;; amdgpu-corpus repo=ROCm/rocThrust kind=compiled arch=gfx90a opt=O3
	.text
	.amdgcn_target "amdgcn-amd-amdhsa--gfx90a"
	.amdhsa_code_object_version 6
	.protected	_Z24InclusiveScanByKeyKerneliPiS_S_ ; -- Begin function _Z24InclusiveScanByKeyKerneliPiS_S_
	.globl	_Z24InclusiveScanByKeyKerneliPiS_S_
	.p2align	8
	.type	_Z24InclusiveScanByKeyKerneliPiS_S_,@function
_Z24InclusiveScanByKeyKerneliPiS_S_:    ; @_Z24InclusiveScanByKeyKerneliPiS_S_
; %bb.0:
	v_cmp_eq_u32_e32 vcc, 0, v0
	s_and_saveexec_b64 s[0:1], vcc
	s_cbranch_execz .LBB0_5
; %bb.1:
	s_load_dword s8, s[4:5], 0x0
	s_waitcnt lgkmcnt(0)
	s_ashr_i32 s9, s8, 31
	s_lshl_b64 s[6:7], s[8:9], 2
	s_cmp_eq_u64 s[6:7], 0
	s_cbranch_scc1 .LBB0_5
; %bb.2:
	s_load_dwordx4 s[0:3], s[4:5], 0x8
	s_load_dwordx2 s[10:11], s[4:5], 0x18
	v_mov_b32_e32 v0, 0
	s_cmp_eq_u32 s8, 1
	s_waitcnt lgkmcnt(0)
	s_load_dword s9, s[0:1], 0x0
	s_load_dword s12, s[2:3], 0x0
	s_waitcnt lgkmcnt(0)
	v_mov_b32_e32 v1, s9
	global_store_dword v0, v1, s[10:11]
	s_cbranch_scc1 .LBB0_5
; %bb.3:
	s_add_u32 s2, s2, 4
	s_addc_u32 s3, s3, 0
	s_add_u32 s4, s10, 4
	s_addc_u32 s5, s11, 0
	;; [unrolled: 2-line block ×3, first 2 shown]
	s_add_u32 s6, s6, -4
	s_addc_u32 s7, s7, -1
	v_mov_b32_e32 v2, s12
	v_mov_b32_e32 v1, s9
.LBB0_4:                                ; =>This Inner Loop Header: Depth=1
	global_load_dword v3, v0, s[2:3]
	global_load_dword v4, v0, s[0:1]
	s_add_u32 s2, s2, 4
	s_addc_u32 s3, s3, 0
	s_waitcnt vmcnt(1)
	v_cmp_eq_u32_e32 vcc, v2, v3
	v_cndmask_b32_e32 v1, 0, v1, vcc
	s_waitcnt vmcnt(0)
	v_add_u32_e32 v1, v1, v4
	global_store_dword v0, v1, s[4:5]
	s_add_u32 s4, s4, 4
	s_addc_u32 s5, s5, 0
	s_add_u32 s0, s0, 4
	s_addc_u32 s1, s1, 0
	s_add_u32 s6, s6, -4
	s_addc_u32 s7, s7, -1
	s_cmp_lg_u64 s[6:7], 0
	v_mov_b32_e32 v2, v3
	s_cbranch_scc1 .LBB0_4
.LBB0_5:
	s_endpgm
	.section	.rodata,"a",@progbits
	.p2align	6, 0x0
	.amdhsa_kernel _Z24InclusiveScanByKeyKerneliPiS_S_
		.amdhsa_group_segment_fixed_size 0
		.amdhsa_private_segment_fixed_size 0
		.amdhsa_kernarg_size 32
		.amdhsa_user_sgpr_count 6
		.amdhsa_user_sgpr_private_segment_buffer 1
		.amdhsa_user_sgpr_dispatch_ptr 0
		.amdhsa_user_sgpr_queue_ptr 0
		.amdhsa_user_sgpr_kernarg_segment_ptr 1
		.amdhsa_user_sgpr_dispatch_id 0
		.amdhsa_user_sgpr_flat_scratch_init 0
		.amdhsa_user_sgpr_kernarg_preload_length 0
		.amdhsa_user_sgpr_kernarg_preload_offset 0
		.amdhsa_user_sgpr_private_segment_size 0
		.amdhsa_uses_dynamic_stack 0
		.amdhsa_system_sgpr_private_segment_wavefront_offset 0
		.amdhsa_system_sgpr_workgroup_id_x 1
		.amdhsa_system_sgpr_workgroup_id_y 0
		.amdhsa_system_sgpr_workgroup_id_z 0
		.amdhsa_system_sgpr_workgroup_info 0
		.amdhsa_system_vgpr_workitem_id 0
		.amdhsa_next_free_vgpr 5
		.amdhsa_next_free_sgpr 13
		.amdhsa_accum_offset 8
		.amdhsa_reserve_vcc 1
		.amdhsa_reserve_flat_scratch 0
		.amdhsa_float_round_mode_32 0
		.amdhsa_float_round_mode_16_64 0
		.amdhsa_float_denorm_mode_32 3
		.amdhsa_float_denorm_mode_16_64 3
		.amdhsa_dx10_clamp 1
		.amdhsa_ieee_mode 1
		.amdhsa_fp16_overflow 0
		.amdhsa_tg_split 0
		.amdhsa_exception_fp_ieee_invalid_op 0
		.amdhsa_exception_fp_denorm_src 0
		.amdhsa_exception_fp_ieee_div_zero 0
		.amdhsa_exception_fp_ieee_overflow 0
		.amdhsa_exception_fp_ieee_underflow 0
		.amdhsa_exception_fp_ieee_inexact 0
		.amdhsa_exception_int_div_zero 0
	.end_amdhsa_kernel
	.text
.Lfunc_end0:
	.size	_Z24InclusiveScanByKeyKerneliPiS_S_, .Lfunc_end0-_Z24InclusiveScanByKeyKerneliPiS_S_
                                        ; -- End function
	.section	.AMDGPU.csdata,"",@progbits
; Kernel info:
; codeLenInByte = 236
; NumSgprs: 17
; NumVgprs: 5
; NumAgprs: 0
; TotalNumVgprs: 5
; ScratchSize: 0
; MemoryBound: 0
; FloatMode: 240
; IeeeMode: 1
; LDSByteSize: 0 bytes/workgroup (compile time only)
; SGPRBlocks: 2
; VGPRBlocks: 0
; NumSGPRsForWavesPerEU: 17
; NumVGPRsForWavesPerEU: 5
; AccumOffset: 8
; Occupancy: 8
; WaveLimiterHint : 0
; COMPUTE_PGM_RSRC2:SCRATCH_EN: 0
; COMPUTE_PGM_RSRC2:USER_SGPR: 6
; COMPUTE_PGM_RSRC2:TRAP_HANDLER: 0
; COMPUTE_PGM_RSRC2:TGID_X_EN: 1
; COMPUTE_PGM_RSRC2:TGID_Y_EN: 0
; COMPUTE_PGM_RSRC2:TGID_Z_EN: 0
; COMPUTE_PGM_RSRC2:TIDIG_COMP_CNT: 0
; COMPUTE_PGM_RSRC3_GFX90A:ACCUM_OFFSET: 1
; COMPUTE_PGM_RSRC3_GFX90A:TG_SPLIT: 0
	.text
	.protected	_Z24ExclusiveScanByKeyKerneliPiS_S_ ; -- Begin function _Z24ExclusiveScanByKeyKerneliPiS_S_
	.globl	_Z24ExclusiveScanByKeyKerneliPiS_S_
	.p2align	8
	.type	_Z24ExclusiveScanByKeyKerneliPiS_S_,@function
_Z24ExclusiveScanByKeyKerneliPiS_S_:    ; @_Z24ExclusiveScanByKeyKerneliPiS_S_
; %bb.0:
	v_cmp_eq_u32_e32 vcc, 0, v0
	s_and_saveexec_b64 s[0:1], vcc
	s_cbranch_execz .LBB1_5
; %bb.1:
	s_load_dword s8, s[4:5], 0x0
	s_waitcnt lgkmcnt(0)
	s_ashr_i32 s9, s8, 31
	s_lshl_b64 s[6:7], s[8:9], 2
	s_cmp_eq_u64 s[6:7], 0
	s_cbranch_scc1 .LBB1_5
; %bb.2:
	s_load_dwordx4 s[0:3], s[4:5], 0x8
	s_load_dwordx2 s[10:11], s[4:5], 0x18
	v_mov_b32_e32 v0, 0
	s_cmp_eq_u32 s8, 1
	s_waitcnt lgkmcnt(0)
	s_load_dword s9, s[2:3], 0x0
	s_load_dword s12, s[0:1], 0x0
	global_store_dword v0, v0, s[10:11]
	s_cbranch_scc1 .LBB1_5
; %bb.3:
	s_add_u32 s2, s2, 4
	s_addc_u32 s3, s3, 0
	s_add_u32 s4, s10, 4
	s_addc_u32 s5, s11, 0
	s_add_u32 s6, s6, -4
	s_addc_u32 s7, s7, -1
	s_add_u32 s0, s0, 4
	s_addc_u32 s1, s1, 0
	s_waitcnt lgkmcnt(0)
	v_mov_b32_e32 v1, s9
	v_mov_b32_e32 v2, s12
.LBB1_4:                                ; =>This Inner Loop Header: Depth=1
	global_load_dword v3, v0, s[2:3]
	global_load_dword v4, v0, s[0:1]
	s_add_u32 s2, s2, 4
	s_addc_u32 s3, s3, 0
	s_waitcnt vmcnt(1)
	v_cmp_eq_u32_e32 vcc, v1, v3
	v_cndmask_b32_e32 v2, 0, v2, vcc
	global_store_dword v0, v2, s[4:5]
	s_add_u32 s4, s4, 4
	s_addc_u32 s5, s5, 0
	s_add_u32 s6, s6, -4
	s_addc_u32 s7, s7, -1
	s_add_u32 s0, s0, 4
	s_addc_u32 s1, s1, 0
	v_mov_b32_e32 v1, v3
	s_cmp_lg_u64 s[6:7], 0
	s_waitcnt vmcnt(1)
	v_add_u32_e32 v2, v2, v4
	s_cbranch_scc1 .LBB1_4
.LBB1_5:
	s_endpgm
	.section	.rodata,"a",@progbits
	.p2align	6, 0x0
	.amdhsa_kernel _Z24ExclusiveScanByKeyKerneliPiS_S_
		.amdhsa_group_segment_fixed_size 0
		.amdhsa_private_segment_fixed_size 0
		.amdhsa_kernarg_size 32
		.amdhsa_user_sgpr_count 6
		.amdhsa_user_sgpr_private_segment_buffer 1
		.amdhsa_user_sgpr_dispatch_ptr 0
		.amdhsa_user_sgpr_queue_ptr 0
		.amdhsa_user_sgpr_kernarg_segment_ptr 1
		.amdhsa_user_sgpr_dispatch_id 0
		.amdhsa_user_sgpr_flat_scratch_init 0
		.amdhsa_user_sgpr_kernarg_preload_length 0
		.amdhsa_user_sgpr_kernarg_preload_offset 0
		.amdhsa_user_sgpr_private_segment_size 0
		.amdhsa_uses_dynamic_stack 0
		.amdhsa_system_sgpr_private_segment_wavefront_offset 0
		.amdhsa_system_sgpr_workgroup_id_x 1
		.amdhsa_system_sgpr_workgroup_id_y 0
		.amdhsa_system_sgpr_workgroup_id_z 0
		.amdhsa_system_sgpr_workgroup_info 0
		.amdhsa_system_vgpr_workitem_id 0
		.amdhsa_next_free_vgpr 5
		.amdhsa_next_free_sgpr 13
		.amdhsa_accum_offset 8
		.amdhsa_reserve_vcc 1
		.amdhsa_reserve_flat_scratch 0
		.amdhsa_float_round_mode_32 0
		.amdhsa_float_round_mode_16_64 0
		.amdhsa_float_denorm_mode_32 3
		.amdhsa_float_denorm_mode_16_64 3
		.amdhsa_dx10_clamp 1
		.amdhsa_ieee_mode 1
		.amdhsa_fp16_overflow 0
		.amdhsa_tg_split 0
		.amdhsa_exception_fp_ieee_invalid_op 0
		.amdhsa_exception_fp_denorm_src 0
		.amdhsa_exception_fp_ieee_div_zero 0
		.amdhsa_exception_fp_ieee_overflow 0
		.amdhsa_exception_fp_ieee_underflow 0
		.amdhsa_exception_fp_ieee_inexact 0
		.amdhsa_exception_int_div_zero 0
	.end_amdhsa_kernel
	.text
.Lfunc_end1:
	.size	_Z24ExclusiveScanByKeyKerneliPiS_S_, .Lfunc_end1-_Z24ExclusiveScanByKeyKerneliPiS_S_
                                        ; -- End function
	.section	.AMDGPU.csdata,"",@progbits
; Kernel info:
; codeLenInByte = 232
; NumSgprs: 17
; NumVgprs: 5
; NumAgprs: 0
; TotalNumVgprs: 5
; ScratchSize: 0
; MemoryBound: 0
; FloatMode: 240
; IeeeMode: 1
; LDSByteSize: 0 bytes/workgroup (compile time only)
; SGPRBlocks: 2
; VGPRBlocks: 0
; NumSGPRsForWavesPerEU: 17
; NumVGPRsForWavesPerEU: 5
; AccumOffset: 8
; Occupancy: 8
; WaveLimiterHint : 0
; COMPUTE_PGM_RSRC2:SCRATCH_EN: 0
; COMPUTE_PGM_RSRC2:USER_SGPR: 6
; COMPUTE_PGM_RSRC2:TRAP_HANDLER: 0
; COMPUTE_PGM_RSRC2:TGID_X_EN: 1
; COMPUTE_PGM_RSRC2:TGID_Y_EN: 0
; COMPUTE_PGM_RSRC2:TGID_Z_EN: 0
; COMPUTE_PGM_RSRC2:TIDIG_COMP_CNT: 0
; COMPUTE_PGM_RSRC3_GFX90A:ACCUM_OFFSET: 1
; COMPUTE_PGM_RSRC3_GFX90A:TG_SPLIT: 0
	.section	.text._ZN6thrust23THRUST_200600_302600_NS11hip_rocprim14__parallel_for6kernelILj256ENS1_20__uninitialized_fill7functorINS0_10device_ptrIxEExEEmLj1EEEvT0_T1_SA_,"axG",@progbits,_ZN6thrust23THRUST_200600_302600_NS11hip_rocprim14__parallel_for6kernelILj256ENS1_20__uninitialized_fill7functorINS0_10device_ptrIxEExEEmLj1EEEvT0_T1_SA_,comdat
	.protected	_ZN6thrust23THRUST_200600_302600_NS11hip_rocprim14__parallel_for6kernelILj256ENS1_20__uninitialized_fill7functorINS0_10device_ptrIxEExEEmLj1EEEvT0_T1_SA_ ; -- Begin function _ZN6thrust23THRUST_200600_302600_NS11hip_rocprim14__parallel_for6kernelILj256ENS1_20__uninitialized_fill7functorINS0_10device_ptrIxEExEEmLj1EEEvT0_T1_SA_
	.globl	_ZN6thrust23THRUST_200600_302600_NS11hip_rocprim14__parallel_for6kernelILj256ENS1_20__uninitialized_fill7functorINS0_10device_ptrIxEExEEmLj1EEEvT0_T1_SA_
	.p2align	8
	.type	_ZN6thrust23THRUST_200600_302600_NS11hip_rocprim14__parallel_for6kernelILj256ENS1_20__uninitialized_fill7functorINS0_10device_ptrIxEExEEmLj1EEEvT0_T1_SA_,@function
_ZN6thrust23THRUST_200600_302600_NS11hip_rocprim14__parallel_for6kernelILj256ENS1_20__uninitialized_fill7functorINS0_10device_ptrIxEExEEmLj1EEEvT0_T1_SA_: ; @_ZN6thrust23THRUST_200600_302600_NS11hip_rocprim14__parallel_for6kernelILj256ENS1_20__uninitialized_fill7functorINS0_10device_ptrIxEExEEmLj1EEEvT0_T1_SA_
; %bb.0:
	s_load_dwordx8 s[8:15], s[4:5], 0x0
	s_lshl_b32 s0, s6, 8
	v_mov_b32_e32 v2, 0x100
	v_mov_b32_e32 v3, 0
	s_waitcnt lgkmcnt(0)
	s_add_u32 s0, s0, s14
	s_addc_u32 s1, 0, s15
	s_sub_u32 s2, s12, s0
	s_subb_u32 s3, s13, s1
	v_cmp_lt_u64_e32 vcc, s[2:3], v[2:3]
	s_cbranch_vccz .LBB2_2
; %bb.1:
	v_cmp_gt_u32_e32 vcc, s2, v0
	s_and_b64 s[2:3], vcc, exec
	s_cbranch_execz .LBB2_3
	s_branch .LBB2_4
.LBB2_2:
	s_mov_b64 s[2:3], 0
.LBB2_3:
	s_or_b64 s[2:3], s[2:3], exec
.LBB2_4:
	s_and_saveexec_b64 s[4:5], s[2:3]
	s_cbranch_execnz .LBB2_6
; %bb.5:
	s_endpgm
.LBB2_6:
	s_lshl_b64 s[0:1], s[0:1], 3
	v_mov_b32_e32 v1, 0
	s_add_u32 s0, s8, s0
	s_addc_u32 s1, s9, s1
	v_lshlrev_b64 v[0:1], 3, v[0:1]
	v_mov_b32_e32 v4, s1
	v_add_co_u32_e32 v0, vcc, s0, v0
	v_mov_b32_e32 v2, s10
	v_mov_b32_e32 v3, s11
	v_addc_co_u32_e32 v1, vcc, v4, v1, vcc
	flat_store_dwordx2 v[0:1], v[2:3]
	s_endpgm
	.section	.rodata,"a",@progbits
	.p2align	6, 0x0
	.amdhsa_kernel _ZN6thrust23THRUST_200600_302600_NS11hip_rocprim14__parallel_for6kernelILj256ENS1_20__uninitialized_fill7functorINS0_10device_ptrIxEExEEmLj1EEEvT0_T1_SA_
		.amdhsa_group_segment_fixed_size 0
		.amdhsa_private_segment_fixed_size 0
		.amdhsa_kernarg_size 32
		.amdhsa_user_sgpr_count 6
		.amdhsa_user_sgpr_private_segment_buffer 1
		.amdhsa_user_sgpr_dispatch_ptr 0
		.amdhsa_user_sgpr_queue_ptr 0
		.amdhsa_user_sgpr_kernarg_segment_ptr 1
		.amdhsa_user_sgpr_dispatch_id 0
		.amdhsa_user_sgpr_flat_scratch_init 0
		.amdhsa_user_sgpr_kernarg_preload_length 0
		.amdhsa_user_sgpr_kernarg_preload_offset 0
		.amdhsa_user_sgpr_private_segment_size 0
		.amdhsa_uses_dynamic_stack 0
		.amdhsa_system_sgpr_private_segment_wavefront_offset 0
		.amdhsa_system_sgpr_workgroup_id_x 1
		.amdhsa_system_sgpr_workgroup_id_y 0
		.amdhsa_system_sgpr_workgroup_id_z 0
		.amdhsa_system_sgpr_workgroup_info 0
		.amdhsa_system_vgpr_workitem_id 0
		.amdhsa_next_free_vgpr 5
		.amdhsa_next_free_sgpr 16
		.amdhsa_accum_offset 8
		.amdhsa_reserve_vcc 1
		.amdhsa_reserve_flat_scratch 0
		.amdhsa_float_round_mode_32 0
		.amdhsa_float_round_mode_16_64 0
		.amdhsa_float_denorm_mode_32 3
		.amdhsa_float_denorm_mode_16_64 3
		.amdhsa_dx10_clamp 1
		.amdhsa_ieee_mode 1
		.amdhsa_fp16_overflow 0
		.amdhsa_tg_split 0
		.amdhsa_exception_fp_ieee_invalid_op 0
		.amdhsa_exception_fp_denorm_src 0
		.amdhsa_exception_fp_ieee_div_zero 0
		.amdhsa_exception_fp_ieee_overflow 0
		.amdhsa_exception_fp_ieee_underflow 0
		.amdhsa_exception_fp_ieee_inexact 0
		.amdhsa_exception_int_div_zero 0
	.end_amdhsa_kernel
	.section	.text._ZN6thrust23THRUST_200600_302600_NS11hip_rocprim14__parallel_for6kernelILj256ENS1_20__uninitialized_fill7functorINS0_10device_ptrIxEExEEmLj1EEEvT0_T1_SA_,"axG",@progbits,_ZN6thrust23THRUST_200600_302600_NS11hip_rocprim14__parallel_for6kernelILj256ENS1_20__uninitialized_fill7functorINS0_10device_ptrIxEExEEmLj1EEEvT0_T1_SA_,comdat
.Lfunc_end2:
	.size	_ZN6thrust23THRUST_200600_302600_NS11hip_rocprim14__parallel_for6kernelILj256ENS1_20__uninitialized_fill7functorINS0_10device_ptrIxEExEEmLj1EEEvT0_T1_SA_, .Lfunc_end2-_ZN6thrust23THRUST_200600_302600_NS11hip_rocprim14__parallel_for6kernelILj256ENS1_20__uninitialized_fill7functorINS0_10device_ptrIxEExEEmLj1EEEvT0_T1_SA_
                                        ; -- End function
	.section	.AMDGPU.csdata,"",@progbits
; Kernel info:
; codeLenInByte = 144
; NumSgprs: 20
; NumVgprs: 5
; NumAgprs: 0
; TotalNumVgprs: 5
; ScratchSize: 0
; MemoryBound: 0
; FloatMode: 240
; IeeeMode: 1
; LDSByteSize: 0 bytes/workgroup (compile time only)
; SGPRBlocks: 2
; VGPRBlocks: 0
; NumSGPRsForWavesPerEU: 20
; NumVGPRsForWavesPerEU: 5
; AccumOffset: 8
; Occupancy: 8
; WaveLimiterHint : 0
; COMPUTE_PGM_RSRC2:SCRATCH_EN: 0
; COMPUTE_PGM_RSRC2:USER_SGPR: 6
; COMPUTE_PGM_RSRC2:TRAP_HANDLER: 0
; COMPUTE_PGM_RSRC2:TGID_X_EN: 1
; COMPUTE_PGM_RSRC2:TGID_Y_EN: 0
; COMPUTE_PGM_RSRC2:TGID_Z_EN: 0
; COMPUTE_PGM_RSRC2:TIDIG_COMP_CNT: 0
; COMPUTE_PGM_RSRC3_GFX90A:ACCUM_OFFSET: 1
; COMPUTE_PGM_RSRC3_GFX90A:TG_SPLIT: 0
	.section	.text._ZN7rocprim17ROCPRIM_400000_NS6detail30init_device_scan_by_key_kernelINS1_19lookback_scan_stateINS0_5tupleIJxbEEELb0ELb0EEEN6thrust23THRUST_200600_302600_NS6detail15normal_iteratorINS8_10device_ptrIxEEEEjNS1_16block_id_wrapperIjLb0EEEEEvT_jjPNSG_10value_typeET0_PNSt15iterator_traitsISJ_E10value_typeEmT1_T2_,"axG",@progbits,_ZN7rocprim17ROCPRIM_400000_NS6detail30init_device_scan_by_key_kernelINS1_19lookback_scan_stateINS0_5tupleIJxbEEELb0ELb0EEEN6thrust23THRUST_200600_302600_NS6detail15normal_iteratorINS8_10device_ptrIxEEEEjNS1_16block_id_wrapperIjLb0EEEEEvT_jjPNSG_10value_typeET0_PNSt15iterator_traitsISJ_E10value_typeEmT1_T2_,comdat
	.protected	_ZN7rocprim17ROCPRIM_400000_NS6detail30init_device_scan_by_key_kernelINS1_19lookback_scan_stateINS0_5tupleIJxbEEELb0ELb0EEEN6thrust23THRUST_200600_302600_NS6detail15normal_iteratorINS8_10device_ptrIxEEEEjNS1_16block_id_wrapperIjLb0EEEEEvT_jjPNSG_10value_typeET0_PNSt15iterator_traitsISJ_E10value_typeEmT1_T2_ ; -- Begin function _ZN7rocprim17ROCPRIM_400000_NS6detail30init_device_scan_by_key_kernelINS1_19lookback_scan_stateINS0_5tupleIJxbEEELb0ELb0EEEN6thrust23THRUST_200600_302600_NS6detail15normal_iteratorINS8_10device_ptrIxEEEEjNS1_16block_id_wrapperIjLb0EEEEEvT_jjPNSG_10value_typeET0_PNSt15iterator_traitsISJ_E10value_typeEmT1_T2_
	.globl	_ZN7rocprim17ROCPRIM_400000_NS6detail30init_device_scan_by_key_kernelINS1_19lookback_scan_stateINS0_5tupleIJxbEEELb0ELb0EEEN6thrust23THRUST_200600_302600_NS6detail15normal_iteratorINS8_10device_ptrIxEEEEjNS1_16block_id_wrapperIjLb0EEEEEvT_jjPNSG_10value_typeET0_PNSt15iterator_traitsISJ_E10value_typeEmT1_T2_
	.p2align	8
	.type	_ZN7rocprim17ROCPRIM_400000_NS6detail30init_device_scan_by_key_kernelINS1_19lookback_scan_stateINS0_5tupleIJxbEEELb0ELb0EEEN6thrust23THRUST_200600_302600_NS6detail15normal_iteratorINS8_10device_ptrIxEEEEjNS1_16block_id_wrapperIjLb0EEEEEvT_jjPNSG_10value_typeET0_PNSt15iterator_traitsISJ_E10value_typeEmT1_T2_,@function
_ZN7rocprim17ROCPRIM_400000_NS6detail30init_device_scan_by_key_kernelINS1_19lookback_scan_stateINS0_5tupleIJxbEEELb0ELb0EEEN6thrust23THRUST_200600_302600_NS6detail15normal_iteratorINS8_10device_ptrIxEEEEjNS1_16block_id_wrapperIjLb0EEEEEvT_jjPNSG_10value_typeET0_PNSt15iterator_traitsISJ_E10value_typeEmT1_T2_: ; @_ZN7rocprim17ROCPRIM_400000_NS6detail30init_device_scan_by_key_kernelINS1_19lookback_scan_stateINS0_5tupleIJxbEEELb0ELb0EEEN6thrust23THRUST_200600_302600_NS6detail15normal_iteratorINS8_10device_ptrIxEEEEjNS1_16block_id_wrapperIjLb0EEEEEvT_jjPNSG_10value_typeET0_PNSt15iterator_traitsISJ_E10value_typeEmT1_T2_
; %bb.0:
	s_load_dword s0, s[4:5], 0x54
	s_load_dwordx8 s[8:15], s[4:5], 0x10
	s_load_dword s20, s[4:5], 0x48
	s_waitcnt lgkmcnt(0)
	s_and_b32 s21, s0, 0xffff
	s_mul_i32 s6, s6, s21
	s_cmp_eq_u64 s[12:13], 0
	v_add_u32_e32 v0, s6, v0
	s_cbranch_scc1 .LBB3_7
; %bb.1:
	s_cmp_lt_u32 s11, s10
	s_cselect_b32 s0, s11, 0
	s_mov_b32 s17, 0
	v_cmp_eq_u32_e32 vcc, s0, v0
	s_and_saveexec_b64 s[6:7], vcc
	s_cbranch_execz .LBB3_6
; %bb.2:
	s_add_i32 s16, s11, 64
	v_mov_b32_e32 v1, s16
	global_load_ubyte v1, v1, s[8:9] glc
	s_load_dwordx4 s[0:3], s[4:5], 0x0
	s_add_u32 s18, s8, s16
	s_addc_u32 s19, s9, 0
	s_waitcnt vmcnt(0)
	v_cmp_ne_u16_e32 vcc, 0, v1
	v_readfirstlane_b32 s11, v1
	s_cbranch_vccnz .LBB3_5
; %bb.3:
	v_mov_b32_e32 v1, 0
.LBB3_4:                                ; =>This Inner Loop Header: Depth=1
	global_load_ubyte v2, v1, s[18:19] glc
	s_waitcnt vmcnt(0)
	v_cmp_eq_u16_e32 vcc, 0, v2
	v_readfirstlane_b32 s11, v2
	s_cbranch_vccnz .LBB3_4
.LBB3_5:
	s_and_b32 s11, 0xffff, s11
	s_cmp_eq_u32 s11, 1
	s_waitcnt lgkmcnt(0)
	s_cselect_b32 s3, s1, s3
	s_cselect_b32 s2, s0, s2
	s_lshl_b64 s[0:1], s[16:17], 4
	s_add_u32 s0, s2, s0
	s_addc_u32 s1, s3, s1
	v_mov_b32_e32 v1, 0
	buffer_wbinvl1_vol
	global_load_dwordx2 v[2:3], v1, s[0:1]
	global_load_ubyte v4, v1, s[0:1] offset:8
	s_waitcnt vmcnt(1)
	global_store_dwordx2 v1, v[2:3], s[12:13]
	s_waitcnt vmcnt(1)
	global_store_byte v1, v4, s[12:13] offset:8
.LBB3_6:
	s_or_b64 exec, exec, s[6:7]
.LBB3_7:
	v_cmp_gt_u32_e32 vcc, s10, v0
	s_and_saveexec_b64 s[0:1], vcc
	s_cbranch_execz .LBB3_9
; %bb.8:
	v_add_u32_e32 v1, 64, v0
	v_mov_b32_e32 v2, 0
	global_store_byte v1, v2, s[8:9]
.LBB3_9:
	s_or_b64 exec, exec, s[0:1]
	v_cmp_gt_u32_e32 vcc, 64, v0
	v_mov_b32_e32 v1, 0
	s_and_saveexec_b64 s[0:1], vcc
	s_cbranch_execz .LBB3_11
; %bb.10:
	v_mov_b32_e32 v3, s9
	v_add_co_u32_e32 v2, vcc, s8, v0
	v_addc_co_u32_e32 v3, vcc, 0, v3, vcc
	v_mov_b32_e32 v4, 0xff
	global_store_byte v[2:3], v4, off
.LBB3_11:
	s_or_b64 exec, exec, s[0:1]
	s_load_dwordx2 s[0:1], s[4:5], 0x38
	s_waitcnt lgkmcnt(0)
	v_cmp_gt_u64_e32 vcc, s[0:1], v[0:1]
	s_and_saveexec_b64 s[2:3], vcc
	s_cbranch_execz .LBB3_14
; %bb.12:
	s_load_dword s10, s[4:5], 0x40
	s_load_dwordx2 s[6:7], s[4:5], 0x30
	s_mov_b32 s5, 0
	s_mov_b32 s3, s5
	s_mul_i32 s2, s20, s21
	s_waitcnt lgkmcnt(0)
	s_add_i32 s4, s10, -1
	s_lshl_b64 s[4:5], s[4:5], 3
	v_mad_u64_u32 v[2:3], s[8:9], s10, v0, 0
	s_add_u32 s4, s14, s4
	v_lshlrev_b64 v[2:3], 3, v[2:3]
	s_addc_u32 s5, s15, s5
	v_mov_b32_e32 v4, s5
	v_add_co_u32_e32 v2, vcc, s4, v2
	v_addc_co_u32_e32 v3, vcc, v4, v3, vcc
	s_mul_hi_u32 s5, s10, s2
	s_mul_i32 s4, s10, s2
	v_lshlrev_b64 v[4:5], 3, v[0:1]
	s_lshl_b64 s[4:5], s[4:5], 3
	v_mov_b32_e32 v6, s7
	v_add_co_u32_e32 v4, vcc, s6, v4
	s_lshl_b64 s[6:7], s[2:3], 3
	v_addc_co_u32_e32 v5, vcc, v6, v5, vcc
	s_mov_b64 s[8:9], 0
	v_mov_b32_e32 v6, s3
	v_mov_b32_e32 v7, s5
	;; [unrolled: 1-line block ×3, first 2 shown]
.LBB3_13:                               ; =>This Inner Loop Header: Depth=1
	global_load_dwordx2 v[10:11], v[2:3], off
	v_add_co_u32_e32 v0, vcc, s2, v0
	v_addc_co_u32_e32 v1, vcc, v1, v6, vcc
	v_add_co_u32_e32 v2, vcc, s4, v2
	v_addc_co_u32_e32 v3, vcc, v3, v7, vcc
	v_cmp_le_u64_e32 vcc, s[0:1], v[0:1]
	s_or_b64 s[8:9], vcc, s[8:9]
	s_waitcnt vmcnt(0)
	global_store_dwordx2 v[4:5], v[10:11], off
	v_add_co_u32_e32 v4, vcc, s6, v4
	v_addc_co_u32_e32 v5, vcc, v5, v8, vcc
	s_andn2_b64 exec, exec, s[8:9]
	s_cbranch_execnz .LBB3_13
.LBB3_14:
	s_endpgm
	.section	.rodata,"a",@progbits
	.p2align	6, 0x0
	.amdhsa_kernel _ZN7rocprim17ROCPRIM_400000_NS6detail30init_device_scan_by_key_kernelINS1_19lookback_scan_stateINS0_5tupleIJxbEEELb0ELb0EEEN6thrust23THRUST_200600_302600_NS6detail15normal_iteratorINS8_10device_ptrIxEEEEjNS1_16block_id_wrapperIjLb0EEEEEvT_jjPNSG_10value_typeET0_PNSt15iterator_traitsISJ_E10value_typeEmT1_T2_
		.amdhsa_group_segment_fixed_size 0
		.amdhsa_private_segment_fixed_size 0
		.amdhsa_kernarg_size 328
		.amdhsa_user_sgpr_count 6
		.amdhsa_user_sgpr_private_segment_buffer 1
		.amdhsa_user_sgpr_dispatch_ptr 0
		.amdhsa_user_sgpr_queue_ptr 0
		.amdhsa_user_sgpr_kernarg_segment_ptr 1
		.amdhsa_user_sgpr_dispatch_id 0
		.amdhsa_user_sgpr_flat_scratch_init 0
		.amdhsa_user_sgpr_kernarg_preload_length 0
		.amdhsa_user_sgpr_kernarg_preload_offset 0
		.amdhsa_user_sgpr_private_segment_size 0
		.amdhsa_uses_dynamic_stack 0
		.amdhsa_system_sgpr_private_segment_wavefront_offset 0
		.amdhsa_system_sgpr_workgroup_id_x 1
		.amdhsa_system_sgpr_workgroup_id_y 0
		.amdhsa_system_sgpr_workgroup_id_z 0
		.amdhsa_system_sgpr_workgroup_info 0
		.amdhsa_system_vgpr_workitem_id 0
		.amdhsa_next_free_vgpr 12
		.amdhsa_next_free_sgpr 22
		.amdhsa_accum_offset 12
		.amdhsa_reserve_vcc 1
		.amdhsa_reserve_flat_scratch 0
		.amdhsa_float_round_mode_32 0
		.amdhsa_float_round_mode_16_64 0
		.amdhsa_float_denorm_mode_32 3
		.amdhsa_float_denorm_mode_16_64 3
		.amdhsa_dx10_clamp 1
		.amdhsa_ieee_mode 1
		.amdhsa_fp16_overflow 0
		.amdhsa_tg_split 0
		.amdhsa_exception_fp_ieee_invalid_op 0
		.amdhsa_exception_fp_denorm_src 0
		.amdhsa_exception_fp_ieee_div_zero 0
		.amdhsa_exception_fp_ieee_overflow 0
		.amdhsa_exception_fp_ieee_underflow 0
		.amdhsa_exception_fp_ieee_inexact 0
		.amdhsa_exception_int_div_zero 0
	.end_amdhsa_kernel
	.section	.text._ZN7rocprim17ROCPRIM_400000_NS6detail30init_device_scan_by_key_kernelINS1_19lookback_scan_stateINS0_5tupleIJxbEEELb0ELb0EEEN6thrust23THRUST_200600_302600_NS6detail15normal_iteratorINS8_10device_ptrIxEEEEjNS1_16block_id_wrapperIjLb0EEEEEvT_jjPNSG_10value_typeET0_PNSt15iterator_traitsISJ_E10value_typeEmT1_T2_,"axG",@progbits,_ZN7rocprim17ROCPRIM_400000_NS6detail30init_device_scan_by_key_kernelINS1_19lookback_scan_stateINS0_5tupleIJxbEEELb0ELb0EEEN6thrust23THRUST_200600_302600_NS6detail15normal_iteratorINS8_10device_ptrIxEEEEjNS1_16block_id_wrapperIjLb0EEEEEvT_jjPNSG_10value_typeET0_PNSt15iterator_traitsISJ_E10value_typeEmT1_T2_,comdat
.Lfunc_end3:
	.size	_ZN7rocprim17ROCPRIM_400000_NS6detail30init_device_scan_by_key_kernelINS1_19lookback_scan_stateINS0_5tupleIJxbEEELb0ELb0EEEN6thrust23THRUST_200600_302600_NS6detail15normal_iteratorINS8_10device_ptrIxEEEEjNS1_16block_id_wrapperIjLb0EEEEEvT_jjPNSG_10value_typeET0_PNSt15iterator_traitsISJ_E10value_typeEmT1_T2_, .Lfunc_end3-_ZN7rocprim17ROCPRIM_400000_NS6detail30init_device_scan_by_key_kernelINS1_19lookback_scan_stateINS0_5tupleIJxbEEELb0ELb0EEEN6thrust23THRUST_200600_302600_NS6detail15normal_iteratorINS8_10device_ptrIxEEEEjNS1_16block_id_wrapperIjLb0EEEEEvT_jjPNSG_10value_typeET0_PNSt15iterator_traitsISJ_E10value_typeEmT1_T2_
                                        ; -- End function
	.section	.AMDGPU.csdata,"",@progbits
; Kernel info:
; codeLenInByte = 540
; NumSgprs: 26
; NumVgprs: 12
; NumAgprs: 0
; TotalNumVgprs: 12
; ScratchSize: 0
; MemoryBound: 0
; FloatMode: 240
; IeeeMode: 1
; LDSByteSize: 0 bytes/workgroup (compile time only)
; SGPRBlocks: 3
; VGPRBlocks: 1
; NumSGPRsForWavesPerEU: 26
; NumVGPRsForWavesPerEU: 12
; AccumOffset: 12
; Occupancy: 8
; WaveLimiterHint : 0
; COMPUTE_PGM_RSRC2:SCRATCH_EN: 0
; COMPUTE_PGM_RSRC2:USER_SGPR: 6
; COMPUTE_PGM_RSRC2:TRAP_HANDLER: 0
; COMPUTE_PGM_RSRC2:TGID_X_EN: 1
; COMPUTE_PGM_RSRC2:TGID_Y_EN: 0
; COMPUTE_PGM_RSRC2:TGID_Z_EN: 0
; COMPUTE_PGM_RSRC2:TIDIG_COMP_CNT: 0
; COMPUTE_PGM_RSRC3_GFX90A:ACCUM_OFFSET: 2
; COMPUTE_PGM_RSRC3_GFX90A:TG_SPLIT: 0
	.section	.text._ZN7rocprim17ROCPRIM_400000_NS6detail30init_device_scan_by_key_kernelINS1_19lookback_scan_stateINS0_5tupleIJxbEEELb0ELb0EEENS1_16block_id_wrapperIjLb0EEEEEvT_jjPNS9_10value_typeET0_,"axG",@progbits,_ZN7rocprim17ROCPRIM_400000_NS6detail30init_device_scan_by_key_kernelINS1_19lookback_scan_stateINS0_5tupleIJxbEEELb0ELb0EEENS1_16block_id_wrapperIjLb0EEEEEvT_jjPNS9_10value_typeET0_,comdat
	.protected	_ZN7rocprim17ROCPRIM_400000_NS6detail30init_device_scan_by_key_kernelINS1_19lookback_scan_stateINS0_5tupleIJxbEEELb0ELb0EEENS1_16block_id_wrapperIjLb0EEEEEvT_jjPNS9_10value_typeET0_ ; -- Begin function _ZN7rocprim17ROCPRIM_400000_NS6detail30init_device_scan_by_key_kernelINS1_19lookback_scan_stateINS0_5tupleIJxbEEELb0ELb0EEENS1_16block_id_wrapperIjLb0EEEEEvT_jjPNS9_10value_typeET0_
	.globl	_ZN7rocprim17ROCPRIM_400000_NS6detail30init_device_scan_by_key_kernelINS1_19lookback_scan_stateINS0_5tupleIJxbEEELb0ELb0EEENS1_16block_id_wrapperIjLb0EEEEEvT_jjPNS9_10value_typeET0_
	.p2align	8
	.type	_ZN7rocprim17ROCPRIM_400000_NS6detail30init_device_scan_by_key_kernelINS1_19lookback_scan_stateINS0_5tupleIJxbEEELb0ELb0EEENS1_16block_id_wrapperIjLb0EEEEEvT_jjPNS9_10value_typeET0_,@function
_ZN7rocprim17ROCPRIM_400000_NS6detail30init_device_scan_by_key_kernelINS1_19lookback_scan_stateINS0_5tupleIJxbEEELb0ELb0EEENS1_16block_id_wrapperIjLb0EEEEEvT_jjPNS9_10value_typeET0_: ; @_ZN7rocprim17ROCPRIM_400000_NS6detail30init_device_scan_by_key_kernelINS1_19lookback_scan_stateINS0_5tupleIJxbEEELb0ELb0EEENS1_16block_id_wrapperIjLb0EEEEEvT_jjPNS9_10value_typeET0_
; %bb.0:
	s_load_dword s7, s[4:5], 0x3c
	s_load_dwordx2 s[8:9], s[4:5], 0x20
	s_load_dwordx4 s[0:3], s[4:5], 0x10
	s_waitcnt lgkmcnt(0)
	s_and_b32 s7, s7, 0xffff
	s_mul_i32 s6, s6, s7
	s_cmp_eq_u64 s[8:9], 0
	v_add_u32_e32 v0, s6, v0
	s_cbranch_scc1 .LBB4_7
; %bb.1:
	s_cmp_lt_u32 s3, s2
	s_cselect_b32 s6, s3, 0
	s_mov_b32 s13, 0
	v_cmp_eq_u32_e32 vcc, s6, v0
	s_and_saveexec_b64 s[10:11], vcc
	s_cbranch_execz .LBB4_6
; %bb.2:
	s_add_i32 s12, s3, 64
	v_mov_b32_e32 v1, s12
	global_load_ubyte v1, v1, s[0:1] glc
	s_load_dwordx4 s[4:7], s[4:5], 0x0
	s_add_u32 s14, s0, s12
	s_addc_u32 s15, s1, 0
	s_waitcnt vmcnt(0)
	v_cmp_ne_u16_e32 vcc, 0, v1
	v_readfirstlane_b32 s3, v1
	s_cbranch_vccnz .LBB4_5
; %bb.3:
	v_mov_b32_e32 v1, 0
.LBB4_4:                                ; =>This Inner Loop Header: Depth=1
	global_load_ubyte v2, v1, s[14:15] glc
	s_waitcnt vmcnt(0)
	v_cmp_eq_u16_e32 vcc, 0, v2
	v_readfirstlane_b32 s3, v2
	s_cbranch_vccnz .LBB4_4
.LBB4_5:
	s_and_b32 s3, 0xffff, s3
	s_cmp_eq_u32 s3, 1
	s_waitcnt lgkmcnt(0)
	s_cselect_b32 s3, s5, s7
	s_cselect_b32 s6, s4, s6
	s_lshl_b64 s[4:5], s[12:13], 4
	s_add_u32 s4, s6, s4
	s_addc_u32 s5, s3, s5
	v_mov_b32_e32 v1, 0
	buffer_wbinvl1_vol
	global_load_dwordx2 v[2:3], v1, s[4:5]
	global_load_ubyte v4, v1, s[4:5] offset:8
	s_waitcnt vmcnt(1)
	global_store_dwordx2 v1, v[2:3], s[8:9]
	s_waitcnt vmcnt(1)
	global_store_byte v1, v4, s[8:9] offset:8
.LBB4_6:
	s_or_b64 exec, exec, s[10:11]
.LBB4_7:
	v_cmp_gt_u32_e32 vcc, s2, v0
	s_and_saveexec_b64 s[2:3], vcc
	s_cbranch_execnz .LBB4_10
; %bb.8:
	s_or_b64 exec, exec, s[2:3]
	v_cmp_gt_u32_e32 vcc, 64, v0
	s_and_saveexec_b64 s[2:3], vcc
	s_cbranch_execnz .LBB4_11
.LBB4_9:
	s_endpgm
.LBB4_10:
	v_add_u32_e32 v1, 64, v0
	v_mov_b32_e32 v2, 0
	global_store_byte v1, v2, s[0:1]
	s_or_b64 exec, exec, s[2:3]
	v_cmp_gt_u32_e32 vcc, 64, v0
	s_and_saveexec_b64 s[2:3], vcc
	s_cbranch_execz .LBB4_9
.LBB4_11:
	v_mov_b32_e32 v1, 0xff
	global_store_byte v0, v1, s[0:1]
	s_endpgm
	.section	.rodata,"a",@progbits
	.p2align	6, 0x0
	.amdhsa_kernel _ZN7rocprim17ROCPRIM_400000_NS6detail30init_device_scan_by_key_kernelINS1_19lookback_scan_stateINS0_5tupleIJxbEEELb0ELb0EEENS1_16block_id_wrapperIjLb0EEEEEvT_jjPNS9_10value_typeET0_
		.amdhsa_group_segment_fixed_size 0
		.amdhsa_private_segment_fixed_size 0
		.amdhsa_kernarg_size 304
		.amdhsa_user_sgpr_count 6
		.amdhsa_user_sgpr_private_segment_buffer 1
		.amdhsa_user_sgpr_dispatch_ptr 0
		.amdhsa_user_sgpr_queue_ptr 0
		.amdhsa_user_sgpr_kernarg_segment_ptr 1
		.amdhsa_user_sgpr_dispatch_id 0
		.amdhsa_user_sgpr_flat_scratch_init 0
		.amdhsa_user_sgpr_kernarg_preload_length 0
		.amdhsa_user_sgpr_kernarg_preload_offset 0
		.amdhsa_user_sgpr_private_segment_size 0
		.amdhsa_uses_dynamic_stack 0
		.amdhsa_system_sgpr_private_segment_wavefront_offset 0
		.amdhsa_system_sgpr_workgroup_id_x 1
		.amdhsa_system_sgpr_workgroup_id_y 0
		.amdhsa_system_sgpr_workgroup_id_z 0
		.amdhsa_system_sgpr_workgroup_info 0
		.amdhsa_system_vgpr_workitem_id 0
		.amdhsa_next_free_vgpr 5
		.amdhsa_next_free_sgpr 16
		.amdhsa_accum_offset 8
		.amdhsa_reserve_vcc 1
		.amdhsa_reserve_flat_scratch 0
		.amdhsa_float_round_mode_32 0
		.amdhsa_float_round_mode_16_64 0
		.amdhsa_float_denorm_mode_32 3
		.amdhsa_float_denorm_mode_16_64 3
		.amdhsa_dx10_clamp 1
		.amdhsa_ieee_mode 1
		.amdhsa_fp16_overflow 0
		.amdhsa_tg_split 0
		.amdhsa_exception_fp_ieee_invalid_op 0
		.amdhsa_exception_fp_denorm_src 0
		.amdhsa_exception_fp_ieee_div_zero 0
		.amdhsa_exception_fp_ieee_overflow 0
		.amdhsa_exception_fp_ieee_underflow 0
		.amdhsa_exception_fp_ieee_inexact 0
		.amdhsa_exception_int_div_zero 0
	.end_amdhsa_kernel
	.section	.text._ZN7rocprim17ROCPRIM_400000_NS6detail30init_device_scan_by_key_kernelINS1_19lookback_scan_stateINS0_5tupleIJxbEEELb0ELb0EEENS1_16block_id_wrapperIjLb0EEEEEvT_jjPNS9_10value_typeET0_,"axG",@progbits,_ZN7rocprim17ROCPRIM_400000_NS6detail30init_device_scan_by_key_kernelINS1_19lookback_scan_stateINS0_5tupleIJxbEEELb0ELb0EEENS1_16block_id_wrapperIjLb0EEEEEvT_jjPNS9_10value_typeET0_,comdat
.Lfunc_end4:
	.size	_ZN7rocprim17ROCPRIM_400000_NS6detail30init_device_scan_by_key_kernelINS1_19lookback_scan_stateINS0_5tupleIJxbEEELb0ELb0EEENS1_16block_id_wrapperIjLb0EEEEEvT_jjPNS9_10value_typeET0_, .Lfunc_end4-_ZN7rocprim17ROCPRIM_400000_NS6detail30init_device_scan_by_key_kernelINS1_19lookback_scan_stateINS0_5tupleIJxbEEELb0ELb0EEENS1_16block_id_wrapperIjLb0EEEEEvT_jjPNS9_10value_typeET0_
                                        ; -- End function
	.section	.AMDGPU.csdata,"",@progbits
; Kernel info:
; codeLenInByte = 328
; NumSgprs: 20
; NumVgprs: 5
; NumAgprs: 0
; TotalNumVgprs: 5
; ScratchSize: 0
; MemoryBound: 0
; FloatMode: 240
; IeeeMode: 1
; LDSByteSize: 0 bytes/workgroup (compile time only)
; SGPRBlocks: 2
; VGPRBlocks: 0
; NumSGPRsForWavesPerEU: 20
; NumVGPRsForWavesPerEU: 5
; AccumOffset: 8
; Occupancy: 8
; WaveLimiterHint : 0
; COMPUTE_PGM_RSRC2:SCRATCH_EN: 0
; COMPUTE_PGM_RSRC2:USER_SGPR: 6
; COMPUTE_PGM_RSRC2:TRAP_HANDLER: 0
; COMPUTE_PGM_RSRC2:TGID_X_EN: 1
; COMPUTE_PGM_RSRC2:TGID_Y_EN: 0
; COMPUTE_PGM_RSRC2:TGID_Z_EN: 0
; COMPUTE_PGM_RSRC2:TIDIG_COMP_CNT: 0
; COMPUTE_PGM_RSRC3_GFX90A:ACCUM_OFFSET: 1
; COMPUTE_PGM_RSRC3_GFX90A:TG_SPLIT: 0
	.section	.text._ZN7rocprim17ROCPRIM_400000_NS6detail17trampoline_kernelINS0_14default_configENS1_27scan_by_key_config_selectorIxxEEZZNS1_16scan_by_key_implILNS1_25lookback_scan_determinismE0ELb0ES3_N6thrust23THRUST_200600_302600_NS6detail15normal_iteratorINS9_10device_ptrIxEEEESE_SE_xNS9_4plusIvEENS9_8equal_toIvEExEE10hipError_tPvRmT2_T3_T4_T5_mT6_T7_P12ihipStream_tbENKUlT_T0_E_clISt17integral_constantIbLb0EESZ_EEDaSU_SV_EUlSU_E_NS1_11comp_targetILNS1_3genE0ELNS1_11target_archE4294967295ELNS1_3gpuE0ELNS1_3repE0EEENS1_30default_config_static_selectorELNS0_4arch9wavefront6targetE1EEEvT1_,"axG",@progbits,_ZN7rocprim17ROCPRIM_400000_NS6detail17trampoline_kernelINS0_14default_configENS1_27scan_by_key_config_selectorIxxEEZZNS1_16scan_by_key_implILNS1_25lookback_scan_determinismE0ELb0ES3_N6thrust23THRUST_200600_302600_NS6detail15normal_iteratorINS9_10device_ptrIxEEEESE_SE_xNS9_4plusIvEENS9_8equal_toIvEExEE10hipError_tPvRmT2_T3_T4_T5_mT6_T7_P12ihipStream_tbENKUlT_T0_E_clISt17integral_constantIbLb0EESZ_EEDaSU_SV_EUlSU_E_NS1_11comp_targetILNS1_3genE0ELNS1_11target_archE4294967295ELNS1_3gpuE0ELNS1_3repE0EEENS1_30default_config_static_selectorELNS0_4arch9wavefront6targetE1EEEvT1_,comdat
	.protected	_ZN7rocprim17ROCPRIM_400000_NS6detail17trampoline_kernelINS0_14default_configENS1_27scan_by_key_config_selectorIxxEEZZNS1_16scan_by_key_implILNS1_25lookback_scan_determinismE0ELb0ES3_N6thrust23THRUST_200600_302600_NS6detail15normal_iteratorINS9_10device_ptrIxEEEESE_SE_xNS9_4plusIvEENS9_8equal_toIvEExEE10hipError_tPvRmT2_T3_T4_T5_mT6_T7_P12ihipStream_tbENKUlT_T0_E_clISt17integral_constantIbLb0EESZ_EEDaSU_SV_EUlSU_E_NS1_11comp_targetILNS1_3genE0ELNS1_11target_archE4294967295ELNS1_3gpuE0ELNS1_3repE0EEENS1_30default_config_static_selectorELNS0_4arch9wavefront6targetE1EEEvT1_ ; -- Begin function _ZN7rocprim17ROCPRIM_400000_NS6detail17trampoline_kernelINS0_14default_configENS1_27scan_by_key_config_selectorIxxEEZZNS1_16scan_by_key_implILNS1_25lookback_scan_determinismE0ELb0ES3_N6thrust23THRUST_200600_302600_NS6detail15normal_iteratorINS9_10device_ptrIxEEEESE_SE_xNS9_4plusIvEENS9_8equal_toIvEExEE10hipError_tPvRmT2_T3_T4_T5_mT6_T7_P12ihipStream_tbENKUlT_T0_E_clISt17integral_constantIbLb0EESZ_EEDaSU_SV_EUlSU_E_NS1_11comp_targetILNS1_3genE0ELNS1_11target_archE4294967295ELNS1_3gpuE0ELNS1_3repE0EEENS1_30default_config_static_selectorELNS0_4arch9wavefront6targetE1EEEvT1_
	.globl	_ZN7rocprim17ROCPRIM_400000_NS6detail17trampoline_kernelINS0_14default_configENS1_27scan_by_key_config_selectorIxxEEZZNS1_16scan_by_key_implILNS1_25lookback_scan_determinismE0ELb0ES3_N6thrust23THRUST_200600_302600_NS6detail15normal_iteratorINS9_10device_ptrIxEEEESE_SE_xNS9_4plusIvEENS9_8equal_toIvEExEE10hipError_tPvRmT2_T3_T4_T5_mT6_T7_P12ihipStream_tbENKUlT_T0_E_clISt17integral_constantIbLb0EESZ_EEDaSU_SV_EUlSU_E_NS1_11comp_targetILNS1_3genE0ELNS1_11target_archE4294967295ELNS1_3gpuE0ELNS1_3repE0EEENS1_30default_config_static_selectorELNS0_4arch9wavefront6targetE1EEEvT1_
	.p2align	8
	.type	_ZN7rocprim17ROCPRIM_400000_NS6detail17trampoline_kernelINS0_14default_configENS1_27scan_by_key_config_selectorIxxEEZZNS1_16scan_by_key_implILNS1_25lookback_scan_determinismE0ELb0ES3_N6thrust23THRUST_200600_302600_NS6detail15normal_iteratorINS9_10device_ptrIxEEEESE_SE_xNS9_4plusIvEENS9_8equal_toIvEExEE10hipError_tPvRmT2_T3_T4_T5_mT6_T7_P12ihipStream_tbENKUlT_T0_E_clISt17integral_constantIbLb0EESZ_EEDaSU_SV_EUlSU_E_NS1_11comp_targetILNS1_3genE0ELNS1_11target_archE4294967295ELNS1_3gpuE0ELNS1_3repE0EEENS1_30default_config_static_selectorELNS0_4arch9wavefront6targetE1EEEvT1_,@function
_ZN7rocprim17ROCPRIM_400000_NS6detail17trampoline_kernelINS0_14default_configENS1_27scan_by_key_config_selectorIxxEEZZNS1_16scan_by_key_implILNS1_25lookback_scan_determinismE0ELb0ES3_N6thrust23THRUST_200600_302600_NS6detail15normal_iteratorINS9_10device_ptrIxEEEESE_SE_xNS9_4plusIvEENS9_8equal_toIvEExEE10hipError_tPvRmT2_T3_T4_T5_mT6_T7_P12ihipStream_tbENKUlT_T0_E_clISt17integral_constantIbLb0EESZ_EEDaSU_SV_EUlSU_E_NS1_11comp_targetILNS1_3genE0ELNS1_11target_archE4294967295ELNS1_3gpuE0ELNS1_3repE0EEENS1_30default_config_static_selectorELNS0_4arch9wavefront6targetE1EEEvT1_: ; @_ZN7rocprim17ROCPRIM_400000_NS6detail17trampoline_kernelINS0_14default_configENS1_27scan_by_key_config_selectorIxxEEZZNS1_16scan_by_key_implILNS1_25lookback_scan_determinismE0ELb0ES3_N6thrust23THRUST_200600_302600_NS6detail15normal_iteratorINS9_10device_ptrIxEEEESE_SE_xNS9_4plusIvEENS9_8equal_toIvEExEE10hipError_tPvRmT2_T3_T4_T5_mT6_T7_P12ihipStream_tbENKUlT_T0_E_clISt17integral_constantIbLb0EESZ_EEDaSU_SV_EUlSU_E_NS1_11comp_targetILNS1_3genE0ELNS1_11target_archE4294967295ELNS1_3gpuE0ELNS1_3repE0EEENS1_30default_config_static_selectorELNS0_4arch9wavefront6targetE1EEEvT1_
; %bb.0:
	.section	.rodata,"a",@progbits
	.p2align	6, 0x0
	.amdhsa_kernel _ZN7rocprim17ROCPRIM_400000_NS6detail17trampoline_kernelINS0_14default_configENS1_27scan_by_key_config_selectorIxxEEZZNS1_16scan_by_key_implILNS1_25lookback_scan_determinismE0ELb0ES3_N6thrust23THRUST_200600_302600_NS6detail15normal_iteratorINS9_10device_ptrIxEEEESE_SE_xNS9_4plusIvEENS9_8equal_toIvEExEE10hipError_tPvRmT2_T3_T4_T5_mT6_T7_P12ihipStream_tbENKUlT_T0_E_clISt17integral_constantIbLb0EESZ_EEDaSU_SV_EUlSU_E_NS1_11comp_targetILNS1_3genE0ELNS1_11target_archE4294967295ELNS1_3gpuE0ELNS1_3repE0EEENS1_30default_config_static_selectorELNS0_4arch9wavefront6targetE1EEEvT1_
		.amdhsa_group_segment_fixed_size 0
		.amdhsa_private_segment_fixed_size 0
		.amdhsa_kernarg_size 136
		.amdhsa_user_sgpr_count 6
		.amdhsa_user_sgpr_private_segment_buffer 1
		.amdhsa_user_sgpr_dispatch_ptr 0
		.amdhsa_user_sgpr_queue_ptr 0
		.amdhsa_user_sgpr_kernarg_segment_ptr 1
		.amdhsa_user_sgpr_dispatch_id 0
		.amdhsa_user_sgpr_flat_scratch_init 0
		.amdhsa_user_sgpr_kernarg_preload_length 0
		.amdhsa_user_sgpr_kernarg_preload_offset 0
		.amdhsa_user_sgpr_private_segment_size 0
		.amdhsa_uses_dynamic_stack 0
		.amdhsa_system_sgpr_private_segment_wavefront_offset 0
		.amdhsa_system_sgpr_workgroup_id_x 1
		.amdhsa_system_sgpr_workgroup_id_y 0
		.amdhsa_system_sgpr_workgroup_id_z 0
		.amdhsa_system_sgpr_workgroup_info 0
		.amdhsa_system_vgpr_workitem_id 0
		.amdhsa_next_free_vgpr 1
		.amdhsa_next_free_sgpr 0
		.amdhsa_accum_offset 4
		.amdhsa_reserve_vcc 0
		.amdhsa_reserve_flat_scratch 0
		.amdhsa_float_round_mode_32 0
		.amdhsa_float_round_mode_16_64 0
		.amdhsa_float_denorm_mode_32 3
		.amdhsa_float_denorm_mode_16_64 3
		.amdhsa_dx10_clamp 1
		.amdhsa_ieee_mode 1
		.amdhsa_fp16_overflow 0
		.amdhsa_tg_split 0
		.amdhsa_exception_fp_ieee_invalid_op 0
		.amdhsa_exception_fp_denorm_src 0
		.amdhsa_exception_fp_ieee_div_zero 0
		.amdhsa_exception_fp_ieee_overflow 0
		.amdhsa_exception_fp_ieee_underflow 0
		.amdhsa_exception_fp_ieee_inexact 0
		.amdhsa_exception_int_div_zero 0
	.end_amdhsa_kernel
	.section	.text._ZN7rocprim17ROCPRIM_400000_NS6detail17trampoline_kernelINS0_14default_configENS1_27scan_by_key_config_selectorIxxEEZZNS1_16scan_by_key_implILNS1_25lookback_scan_determinismE0ELb0ES3_N6thrust23THRUST_200600_302600_NS6detail15normal_iteratorINS9_10device_ptrIxEEEESE_SE_xNS9_4plusIvEENS9_8equal_toIvEExEE10hipError_tPvRmT2_T3_T4_T5_mT6_T7_P12ihipStream_tbENKUlT_T0_E_clISt17integral_constantIbLb0EESZ_EEDaSU_SV_EUlSU_E_NS1_11comp_targetILNS1_3genE0ELNS1_11target_archE4294967295ELNS1_3gpuE0ELNS1_3repE0EEENS1_30default_config_static_selectorELNS0_4arch9wavefront6targetE1EEEvT1_,"axG",@progbits,_ZN7rocprim17ROCPRIM_400000_NS6detail17trampoline_kernelINS0_14default_configENS1_27scan_by_key_config_selectorIxxEEZZNS1_16scan_by_key_implILNS1_25lookback_scan_determinismE0ELb0ES3_N6thrust23THRUST_200600_302600_NS6detail15normal_iteratorINS9_10device_ptrIxEEEESE_SE_xNS9_4plusIvEENS9_8equal_toIvEExEE10hipError_tPvRmT2_T3_T4_T5_mT6_T7_P12ihipStream_tbENKUlT_T0_E_clISt17integral_constantIbLb0EESZ_EEDaSU_SV_EUlSU_E_NS1_11comp_targetILNS1_3genE0ELNS1_11target_archE4294967295ELNS1_3gpuE0ELNS1_3repE0EEENS1_30default_config_static_selectorELNS0_4arch9wavefront6targetE1EEEvT1_,comdat
.Lfunc_end5:
	.size	_ZN7rocprim17ROCPRIM_400000_NS6detail17trampoline_kernelINS0_14default_configENS1_27scan_by_key_config_selectorIxxEEZZNS1_16scan_by_key_implILNS1_25lookback_scan_determinismE0ELb0ES3_N6thrust23THRUST_200600_302600_NS6detail15normal_iteratorINS9_10device_ptrIxEEEESE_SE_xNS9_4plusIvEENS9_8equal_toIvEExEE10hipError_tPvRmT2_T3_T4_T5_mT6_T7_P12ihipStream_tbENKUlT_T0_E_clISt17integral_constantIbLb0EESZ_EEDaSU_SV_EUlSU_E_NS1_11comp_targetILNS1_3genE0ELNS1_11target_archE4294967295ELNS1_3gpuE0ELNS1_3repE0EEENS1_30default_config_static_selectorELNS0_4arch9wavefront6targetE1EEEvT1_, .Lfunc_end5-_ZN7rocprim17ROCPRIM_400000_NS6detail17trampoline_kernelINS0_14default_configENS1_27scan_by_key_config_selectorIxxEEZZNS1_16scan_by_key_implILNS1_25lookback_scan_determinismE0ELb0ES3_N6thrust23THRUST_200600_302600_NS6detail15normal_iteratorINS9_10device_ptrIxEEEESE_SE_xNS9_4plusIvEENS9_8equal_toIvEExEE10hipError_tPvRmT2_T3_T4_T5_mT6_T7_P12ihipStream_tbENKUlT_T0_E_clISt17integral_constantIbLb0EESZ_EEDaSU_SV_EUlSU_E_NS1_11comp_targetILNS1_3genE0ELNS1_11target_archE4294967295ELNS1_3gpuE0ELNS1_3repE0EEENS1_30default_config_static_selectorELNS0_4arch9wavefront6targetE1EEEvT1_
                                        ; -- End function
	.section	.AMDGPU.csdata,"",@progbits
; Kernel info:
; codeLenInByte = 0
; NumSgprs: 4
; NumVgprs: 0
; NumAgprs: 0
; TotalNumVgprs: 0
; ScratchSize: 0
; MemoryBound: 0
; FloatMode: 240
; IeeeMode: 1
; LDSByteSize: 0 bytes/workgroup (compile time only)
; SGPRBlocks: 0
; VGPRBlocks: 0
; NumSGPRsForWavesPerEU: 4
; NumVGPRsForWavesPerEU: 1
; AccumOffset: 4
; Occupancy: 8
; WaveLimiterHint : 0
; COMPUTE_PGM_RSRC2:SCRATCH_EN: 0
; COMPUTE_PGM_RSRC2:USER_SGPR: 6
; COMPUTE_PGM_RSRC2:TRAP_HANDLER: 0
; COMPUTE_PGM_RSRC2:TGID_X_EN: 1
; COMPUTE_PGM_RSRC2:TGID_Y_EN: 0
; COMPUTE_PGM_RSRC2:TGID_Z_EN: 0
; COMPUTE_PGM_RSRC2:TIDIG_COMP_CNT: 0
; COMPUTE_PGM_RSRC3_GFX90A:ACCUM_OFFSET: 0
; COMPUTE_PGM_RSRC3_GFX90A:TG_SPLIT: 0
	.section	.text._ZN7rocprim17ROCPRIM_400000_NS6detail17trampoline_kernelINS0_14default_configENS1_27scan_by_key_config_selectorIxxEEZZNS1_16scan_by_key_implILNS1_25lookback_scan_determinismE0ELb0ES3_N6thrust23THRUST_200600_302600_NS6detail15normal_iteratorINS9_10device_ptrIxEEEESE_SE_xNS9_4plusIvEENS9_8equal_toIvEExEE10hipError_tPvRmT2_T3_T4_T5_mT6_T7_P12ihipStream_tbENKUlT_T0_E_clISt17integral_constantIbLb0EESZ_EEDaSU_SV_EUlSU_E_NS1_11comp_targetILNS1_3genE10ELNS1_11target_archE1201ELNS1_3gpuE5ELNS1_3repE0EEENS1_30default_config_static_selectorELNS0_4arch9wavefront6targetE1EEEvT1_,"axG",@progbits,_ZN7rocprim17ROCPRIM_400000_NS6detail17trampoline_kernelINS0_14default_configENS1_27scan_by_key_config_selectorIxxEEZZNS1_16scan_by_key_implILNS1_25lookback_scan_determinismE0ELb0ES3_N6thrust23THRUST_200600_302600_NS6detail15normal_iteratorINS9_10device_ptrIxEEEESE_SE_xNS9_4plusIvEENS9_8equal_toIvEExEE10hipError_tPvRmT2_T3_T4_T5_mT6_T7_P12ihipStream_tbENKUlT_T0_E_clISt17integral_constantIbLb0EESZ_EEDaSU_SV_EUlSU_E_NS1_11comp_targetILNS1_3genE10ELNS1_11target_archE1201ELNS1_3gpuE5ELNS1_3repE0EEENS1_30default_config_static_selectorELNS0_4arch9wavefront6targetE1EEEvT1_,comdat
	.protected	_ZN7rocprim17ROCPRIM_400000_NS6detail17trampoline_kernelINS0_14default_configENS1_27scan_by_key_config_selectorIxxEEZZNS1_16scan_by_key_implILNS1_25lookback_scan_determinismE0ELb0ES3_N6thrust23THRUST_200600_302600_NS6detail15normal_iteratorINS9_10device_ptrIxEEEESE_SE_xNS9_4plusIvEENS9_8equal_toIvEExEE10hipError_tPvRmT2_T3_T4_T5_mT6_T7_P12ihipStream_tbENKUlT_T0_E_clISt17integral_constantIbLb0EESZ_EEDaSU_SV_EUlSU_E_NS1_11comp_targetILNS1_3genE10ELNS1_11target_archE1201ELNS1_3gpuE5ELNS1_3repE0EEENS1_30default_config_static_selectorELNS0_4arch9wavefront6targetE1EEEvT1_ ; -- Begin function _ZN7rocprim17ROCPRIM_400000_NS6detail17trampoline_kernelINS0_14default_configENS1_27scan_by_key_config_selectorIxxEEZZNS1_16scan_by_key_implILNS1_25lookback_scan_determinismE0ELb0ES3_N6thrust23THRUST_200600_302600_NS6detail15normal_iteratorINS9_10device_ptrIxEEEESE_SE_xNS9_4plusIvEENS9_8equal_toIvEExEE10hipError_tPvRmT2_T3_T4_T5_mT6_T7_P12ihipStream_tbENKUlT_T0_E_clISt17integral_constantIbLb0EESZ_EEDaSU_SV_EUlSU_E_NS1_11comp_targetILNS1_3genE10ELNS1_11target_archE1201ELNS1_3gpuE5ELNS1_3repE0EEENS1_30default_config_static_selectorELNS0_4arch9wavefront6targetE1EEEvT1_
	.globl	_ZN7rocprim17ROCPRIM_400000_NS6detail17trampoline_kernelINS0_14default_configENS1_27scan_by_key_config_selectorIxxEEZZNS1_16scan_by_key_implILNS1_25lookback_scan_determinismE0ELb0ES3_N6thrust23THRUST_200600_302600_NS6detail15normal_iteratorINS9_10device_ptrIxEEEESE_SE_xNS9_4plusIvEENS9_8equal_toIvEExEE10hipError_tPvRmT2_T3_T4_T5_mT6_T7_P12ihipStream_tbENKUlT_T0_E_clISt17integral_constantIbLb0EESZ_EEDaSU_SV_EUlSU_E_NS1_11comp_targetILNS1_3genE10ELNS1_11target_archE1201ELNS1_3gpuE5ELNS1_3repE0EEENS1_30default_config_static_selectorELNS0_4arch9wavefront6targetE1EEEvT1_
	.p2align	8
	.type	_ZN7rocprim17ROCPRIM_400000_NS6detail17trampoline_kernelINS0_14default_configENS1_27scan_by_key_config_selectorIxxEEZZNS1_16scan_by_key_implILNS1_25lookback_scan_determinismE0ELb0ES3_N6thrust23THRUST_200600_302600_NS6detail15normal_iteratorINS9_10device_ptrIxEEEESE_SE_xNS9_4plusIvEENS9_8equal_toIvEExEE10hipError_tPvRmT2_T3_T4_T5_mT6_T7_P12ihipStream_tbENKUlT_T0_E_clISt17integral_constantIbLb0EESZ_EEDaSU_SV_EUlSU_E_NS1_11comp_targetILNS1_3genE10ELNS1_11target_archE1201ELNS1_3gpuE5ELNS1_3repE0EEENS1_30default_config_static_selectorELNS0_4arch9wavefront6targetE1EEEvT1_,@function
_ZN7rocprim17ROCPRIM_400000_NS6detail17trampoline_kernelINS0_14default_configENS1_27scan_by_key_config_selectorIxxEEZZNS1_16scan_by_key_implILNS1_25lookback_scan_determinismE0ELb0ES3_N6thrust23THRUST_200600_302600_NS6detail15normal_iteratorINS9_10device_ptrIxEEEESE_SE_xNS9_4plusIvEENS9_8equal_toIvEExEE10hipError_tPvRmT2_T3_T4_T5_mT6_T7_P12ihipStream_tbENKUlT_T0_E_clISt17integral_constantIbLb0EESZ_EEDaSU_SV_EUlSU_E_NS1_11comp_targetILNS1_3genE10ELNS1_11target_archE1201ELNS1_3gpuE5ELNS1_3repE0EEENS1_30default_config_static_selectorELNS0_4arch9wavefront6targetE1EEEvT1_: ; @_ZN7rocprim17ROCPRIM_400000_NS6detail17trampoline_kernelINS0_14default_configENS1_27scan_by_key_config_selectorIxxEEZZNS1_16scan_by_key_implILNS1_25lookback_scan_determinismE0ELb0ES3_N6thrust23THRUST_200600_302600_NS6detail15normal_iteratorINS9_10device_ptrIxEEEESE_SE_xNS9_4plusIvEENS9_8equal_toIvEExEE10hipError_tPvRmT2_T3_T4_T5_mT6_T7_P12ihipStream_tbENKUlT_T0_E_clISt17integral_constantIbLb0EESZ_EEDaSU_SV_EUlSU_E_NS1_11comp_targetILNS1_3genE10ELNS1_11target_archE1201ELNS1_3gpuE5ELNS1_3repE0EEENS1_30default_config_static_selectorELNS0_4arch9wavefront6targetE1EEEvT1_
; %bb.0:
	.section	.rodata,"a",@progbits
	.p2align	6, 0x0
	.amdhsa_kernel _ZN7rocprim17ROCPRIM_400000_NS6detail17trampoline_kernelINS0_14default_configENS1_27scan_by_key_config_selectorIxxEEZZNS1_16scan_by_key_implILNS1_25lookback_scan_determinismE0ELb0ES3_N6thrust23THRUST_200600_302600_NS6detail15normal_iteratorINS9_10device_ptrIxEEEESE_SE_xNS9_4plusIvEENS9_8equal_toIvEExEE10hipError_tPvRmT2_T3_T4_T5_mT6_T7_P12ihipStream_tbENKUlT_T0_E_clISt17integral_constantIbLb0EESZ_EEDaSU_SV_EUlSU_E_NS1_11comp_targetILNS1_3genE10ELNS1_11target_archE1201ELNS1_3gpuE5ELNS1_3repE0EEENS1_30default_config_static_selectorELNS0_4arch9wavefront6targetE1EEEvT1_
		.amdhsa_group_segment_fixed_size 0
		.amdhsa_private_segment_fixed_size 0
		.amdhsa_kernarg_size 136
		.amdhsa_user_sgpr_count 6
		.amdhsa_user_sgpr_private_segment_buffer 1
		.amdhsa_user_sgpr_dispatch_ptr 0
		.amdhsa_user_sgpr_queue_ptr 0
		.amdhsa_user_sgpr_kernarg_segment_ptr 1
		.amdhsa_user_sgpr_dispatch_id 0
		.amdhsa_user_sgpr_flat_scratch_init 0
		.amdhsa_user_sgpr_kernarg_preload_length 0
		.amdhsa_user_sgpr_kernarg_preload_offset 0
		.amdhsa_user_sgpr_private_segment_size 0
		.amdhsa_uses_dynamic_stack 0
		.amdhsa_system_sgpr_private_segment_wavefront_offset 0
		.amdhsa_system_sgpr_workgroup_id_x 1
		.amdhsa_system_sgpr_workgroup_id_y 0
		.amdhsa_system_sgpr_workgroup_id_z 0
		.amdhsa_system_sgpr_workgroup_info 0
		.amdhsa_system_vgpr_workitem_id 0
		.amdhsa_next_free_vgpr 1
		.amdhsa_next_free_sgpr 0
		.amdhsa_accum_offset 4
		.amdhsa_reserve_vcc 0
		.amdhsa_reserve_flat_scratch 0
		.amdhsa_float_round_mode_32 0
		.amdhsa_float_round_mode_16_64 0
		.amdhsa_float_denorm_mode_32 3
		.amdhsa_float_denorm_mode_16_64 3
		.amdhsa_dx10_clamp 1
		.amdhsa_ieee_mode 1
		.amdhsa_fp16_overflow 0
		.amdhsa_tg_split 0
		.amdhsa_exception_fp_ieee_invalid_op 0
		.amdhsa_exception_fp_denorm_src 0
		.amdhsa_exception_fp_ieee_div_zero 0
		.amdhsa_exception_fp_ieee_overflow 0
		.amdhsa_exception_fp_ieee_underflow 0
		.amdhsa_exception_fp_ieee_inexact 0
		.amdhsa_exception_int_div_zero 0
	.end_amdhsa_kernel
	.section	.text._ZN7rocprim17ROCPRIM_400000_NS6detail17trampoline_kernelINS0_14default_configENS1_27scan_by_key_config_selectorIxxEEZZNS1_16scan_by_key_implILNS1_25lookback_scan_determinismE0ELb0ES3_N6thrust23THRUST_200600_302600_NS6detail15normal_iteratorINS9_10device_ptrIxEEEESE_SE_xNS9_4plusIvEENS9_8equal_toIvEExEE10hipError_tPvRmT2_T3_T4_T5_mT6_T7_P12ihipStream_tbENKUlT_T0_E_clISt17integral_constantIbLb0EESZ_EEDaSU_SV_EUlSU_E_NS1_11comp_targetILNS1_3genE10ELNS1_11target_archE1201ELNS1_3gpuE5ELNS1_3repE0EEENS1_30default_config_static_selectorELNS0_4arch9wavefront6targetE1EEEvT1_,"axG",@progbits,_ZN7rocprim17ROCPRIM_400000_NS6detail17trampoline_kernelINS0_14default_configENS1_27scan_by_key_config_selectorIxxEEZZNS1_16scan_by_key_implILNS1_25lookback_scan_determinismE0ELb0ES3_N6thrust23THRUST_200600_302600_NS6detail15normal_iteratorINS9_10device_ptrIxEEEESE_SE_xNS9_4plusIvEENS9_8equal_toIvEExEE10hipError_tPvRmT2_T3_T4_T5_mT6_T7_P12ihipStream_tbENKUlT_T0_E_clISt17integral_constantIbLb0EESZ_EEDaSU_SV_EUlSU_E_NS1_11comp_targetILNS1_3genE10ELNS1_11target_archE1201ELNS1_3gpuE5ELNS1_3repE0EEENS1_30default_config_static_selectorELNS0_4arch9wavefront6targetE1EEEvT1_,comdat
.Lfunc_end6:
	.size	_ZN7rocprim17ROCPRIM_400000_NS6detail17trampoline_kernelINS0_14default_configENS1_27scan_by_key_config_selectorIxxEEZZNS1_16scan_by_key_implILNS1_25lookback_scan_determinismE0ELb0ES3_N6thrust23THRUST_200600_302600_NS6detail15normal_iteratorINS9_10device_ptrIxEEEESE_SE_xNS9_4plusIvEENS9_8equal_toIvEExEE10hipError_tPvRmT2_T3_T4_T5_mT6_T7_P12ihipStream_tbENKUlT_T0_E_clISt17integral_constantIbLb0EESZ_EEDaSU_SV_EUlSU_E_NS1_11comp_targetILNS1_3genE10ELNS1_11target_archE1201ELNS1_3gpuE5ELNS1_3repE0EEENS1_30default_config_static_selectorELNS0_4arch9wavefront6targetE1EEEvT1_, .Lfunc_end6-_ZN7rocprim17ROCPRIM_400000_NS6detail17trampoline_kernelINS0_14default_configENS1_27scan_by_key_config_selectorIxxEEZZNS1_16scan_by_key_implILNS1_25lookback_scan_determinismE0ELb0ES3_N6thrust23THRUST_200600_302600_NS6detail15normal_iteratorINS9_10device_ptrIxEEEESE_SE_xNS9_4plusIvEENS9_8equal_toIvEExEE10hipError_tPvRmT2_T3_T4_T5_mT6_T7_P12ihipStream_tbENKUlT_T0_E_clISt17integral_constantIbLb0EESZ_EEDaSU_SV_EUlSU_E_NS1_11comp_targetILNS1_3genE10ELNS1_11target_archE1201ELNS1_3gpuE5ELNS1_3repE0EEENS1_30default_config_static_selectorELNS0_4arch9wavefront6targetE1EEEvT1_
                                        ; -- End function
	.section	.AMDGPU.csdata,"",@progbits
; Kernel info:
; codeLenInByte = 0
; NumSgprs: 4
; NumVgprs: 0
; NumAgprs: 0
; TotalNumVgprs: 0
; ScratchSize: 0
; MemoryBound: 0
; FloatMode: 240
; IeeeMode: 1
; LDSByteSize: 0 bytes/workgroup (compile time only)
; SGPRBlocks: 0
; VGPRBlocks: 0
; NumSGPRsForWavesPerEU: 4
; NumVGPRsForWavesPerEU: 1
; AccumOffset: 4
; Occupancy: 8
; WaveLimiterHint : 0
; COMPUTE_PGM_RSRC2:SCRATCH_EN: 0
; COMPUTE_PGM_RSRC2:USER_SGPR: 6
; COMPUTE_PGM_RSRC2:TRAP_HANDLER: 0
; COMPUTE_PGM_RSRC2:TGID_X_EN: 1
; COMPUTE_PGM_RSRC2:TGID_Y_EN: 0
; COMPUTE_PGM_RSRC2:TGID_Z_EN: 0
; COMPUTE_PGM_RSRC2:TIDIG_COMP_CNT: 0
; COMPUTE_PGM_RSRC3_GFX90A:ACCUM_OFFSET: 0
; COMPUTE_PGM_RSRC3_GFX90A:TG_SPLIT: 0
	.section	.text._ZN7rocprim17ROCPRIM_400000_NS6detail17trampoline_kernelINS0_14default_configENS1_27scan_by_key_config_selectorIxxEEZZNS1_16scan_by_key_implILNS1_25lookback_scan_determinismE0ELb0ES3_N6thrust23THRUST_200600_302600_NS6detail15normal_iteratorINS9_10device_ptrIxEEEESE_SE_xNS9_4plusIvEENS9_8equal_toIvEExEE10hipError_tPvRmT2_T3_T4_T5_mT6_T7_P12ihipStream_tbENKUlT_T0_E_clISt17integral_constantIbLb0EESZ_EEDaSU_SV_EUlSU_E_NS1_11comp_targetILNS1_3genE5ELNS1_11target_archE942ELNS1_3gpuE9ELNS1_3repE0EEENS1_30default_config_static_selectorELNS0_4arch9wavefront6targetE1EEEvT1_,"axG",@progbits,_ZN7rocprim17ROCPRIM_400000_NS6detail17trampoline_kernelINS0_14default_configENS1_27scan_by_key_config_selectorIxxEEZZNS1_16scan_by_key_implILNS1_25lookback_scan_determinismE0ELb0ES3_N6thrust23THRUST_200600_302600_NS6detail15normal_iteratorINS9_10device_ptrIxEEEESE_SE_xNS9_4plusIvEENS9_8equal_toIvEExEE10hipError_tPvRmT2_T3_T4_T5_mT6_T7_P12ihipStream_tbENKUlT_T0_E_clISt17integral_constantIbLb0EESZ_EEDaSU_SV_EUlSU_E_NS1_11comp_targetILNS1_3genE5ELNS1_11target_archE942ELNS1_3gpuE9ELNS1_3repE0EEENS1_30default_config_static_selectorELNS0_4arch9wavefront6targetE1EEEvT1_,comdat
	.protected	_ZN7rocprim17ROCPRIM_400000_NS6detail17trampoline_kernelINS0_14default_configENS1_27scan_by_key_config_selectorIxxEEZZNS1_16scan_by_key_implILNS1_25lookback_scan_determinismE0ELb0ES3_N6thrust23THRUST_200600_302600_NS6detail15normal_iteratorINS9_10device_ptrIxEEEESE_SE_xNS9_4plusIvEENS9_8equal_toIvEExEE10hipError_tPvRmT2_T3_T4_T5_mT6_T7_P12ihipStream_tbENKUlT_T0_E_clISt17integral_constantIbLb0EESZ_EEDaSU_SV_EUlSU_E_NS1_11comp_targetILNS1_3genE5ELNS1_11target_archE942ELNS1_3gpuE9ELNS1_3repE0EEENS1_30default_config_static_selectorELNS0_4arch9wavefront6targetE1EEEvT1_ ; -- Begin function _ZN7rocprim17ROCPRIM_400000_NS6detail17trampoline_kernelINS0_14default_configENS1_27scan_by_key_config_selectorIxxEEZZNS1_16scan_by_key_implILNS1_25lookback_scan_determinismE0ELb0ES3_N6thrust23THRUST_200600_302600_NS6detail15normal_iteratorINS9_10device_ptrIxEEEESE_SE_xNS9_4plusIvEENS9_8equal_toIvEExEE10hipError_tPvRmT2_T3_T4_T5_mT6_T7_P12ihipStream_tbENKUlT_T0_E_clISt17integral_constantIbLb0EESZ_EEDaSU_SV_EUlSU_E_NS1_11comp_targetILNS1_3genE5ELNS1_11target_archE942ELNS1_3gpuE9ELNS1_3repE0EEENS1_30default_config_static_selectorELNS0_4arch9wavefront6targetE1EEEvT1_
	.globl	_ZN7rocprim17ROCPRIM_400000_NS6detail17trampoline_kernelINS0_14default_configENS1_27scan_by_key_config_selectorIxxEEZZNS1_16scan_by_key_implILNS1_25lookback_scan_determinismE0ELb0ES3_N6thrust23THRUST_200600_302600_NS6detail15normal_iteratorINS9_10device_ptrIxEEEESE_SE_xNS9_4plusIvEENS9_8equal_toIvEExEE10hipError_tPvRmT2_T3_T4_T5_mT6_T7_P12ihipStream_tbENKUlT_T0_E_clISt17integral_constantIbLb0EESZ_EEDaSU_SV_EUlSU_E_NS1_11comp_targetILNS1_3genE5ELNS1_11target_archE942ELNS1_3gpuE9ELNS1_3repE0EEENS1_30default_config_static_selectorELNS0_4arch9wavefront6targetE1EEEvT1_
	.p2align	8
	.type	_ZN7rocprim17ROCPRIM_400000_NS6detail17trampoline_kernelINS0_14default_configENS1_27scan_by_key_config_selectorIxxEEZZNS1_16scan_by_key_implILNS1_25lookback_scan_determinismE0ELb0ES3_N6thrust23THRUST_200600_302600_NS6detail15normal_iteratorINS9_10device_ptrIxEEEESE_SE_xNS9_4plusIvEENS9_8equal_toIvEExEE10hipError_tPvRmT2_T3_T4_T5_mT6_T7_P12ihipStream_tbENKUlT_T0_E_clISt17integral_constantIbLb0EESZ_EEDaSU_SV_EUlSU_E_NS1_11comp_targetILNS1_3genE5ELNS1_11target_archE942ELNS1_3gpuE9ELNS1_3repE0EEENS1_30default_config_static_selectorELNS0_4arch9wavefront6targetE1EEEvT1_,@function
_ZN7rocprim17ROCPRIM_400000_NS6detail17trampoline_kernelINS0_14default_configENS1_27scan_by_key_config_selectorIxxEEZZNS1_16scan_by_key_implILNS1_25lookback_scan_determinismE0ELb0ES3_N6thrust23THRUST_200600_302600_NS6detail15normal_iteratorINS9_10device_ptrIxEEEESE_SE_xNS9_4plusIvEENS9_8equal_toIvEExEE10hipError_tPvRmT2_T3_T4_T5_mT6_T7_P12ihipStream_tbENKUlT_T0_E_clISt17integral_constantIbLb0EESZ_EEDaSU_SV_EUlSU_E_NS1_11comp_targetILNS1_3genE5ELNS1_11target_archE942ELNS1_3gpuE9ELNS1_3repE0EEENS1_30default_config_static_selectorELNS0_4arch9wavefront6targetE1EEEvT1_: ; @_ZN7rocprim17ROCPRIM_400000_NS6detail17trampoline_kernelINS0_14default_configENS1_27scan_by_key_config_selectorIxxEEZZNS1_16scan_by_key_implILNS1_25lookback_scan_determinismE0ELb0ES3_N6thrust23THRUST_200600_302600_NS6detail15normal_iteratorINS9_10device_ptrIxEEEESE_SE_xNS9_4plusIvEENS9_8equal_toIvEExEE10hipError_tPvRmT2_T3_T4_T5_mT6_T7_P12ihipStream_tbENKUlT_T0_E_clISt17integral_constantIbLb0EESZ_EEDaSU_SV_EUlSU_E_NS1_11comp_targetILNS1_3genE5ELNS1_11target_archE942ELNS1_3gpuE9ELNS1_3repE0EEENS1_30default_config_static_selectorELNS0_4arch9wavefront6targetE1EEEvT1_
; %bb.0:
	.section	.rodata,"a",@progbits
	.p2align	6, 0x0
	.amdhsa_kernel _ZN7rocprim17ROCPRIM_400000_NS6detail17trampoline_kernelINS0_14default_configENS1_27scan_by_key_config_selectorIxxEEZZNS1_16scan_by_key_implILNS1_25lookback_scan_determinismE0ELb0ES3_N6thrust23THRUST_200600_302600_NS6detail15normal_iteratorINS9_10device_ptrIxEEEESE_SE_xNS9_4plusIvEENS9_8equal_toIvEExEE10hipError_tPvRmT2_T3_T4_T5_mT6_T7_P12ihipStream_tbENKUlT_T0_E_clISt17integral_constantIbLb0EESZ_EEDaSU_SV_EUlSU_E_NS1_11comp_targetILNS1_3genE5ELNS1_11target_archE942ELNS1_3gpuE9ELNS1_3repE0EEENS1_30default_config_static_selectorELNS0_4arch9wavefront6targetE1EEEvT1_
		.amdhsa_group_segment_fixed_size 0
		.amdhsa_private_segment_fixed_size 0
		.amdhsa_kernarg_size 136
		.amdhsa_user_sgpr_count 6
		.amdhsa_user_sgpr_private_segment_buffer 1
		.amdhsa_user_sgpr_dispatch_ptr 0
		.amdhsa_user_sgpr_queue_ptr 0
		.amdhsa_user_sgpr_kernarg_segment_ptr 1
		.amdhsa_user_sgpr_dispatch_id 0
		.amdhsa_user_sgpr_flat_scratch_init 0
		.amdhsa_user_sgpr_kernarg_preload_length 0
		.amdhsa_user_sgpr_kernarg_preload_offset 0
		.amdhsa_user_sgpr_private_segment_size 0
		.amdhsa_uses_dynamic_stack 0
		.amdhsa_system_sgpr_private_segment_wavefront_offset 0
		.amdhsa_system_sgpr_workgroup_id_x 1
		.amdhsa_system_sgpr_workgroup_id_y 0
		.amdhsa_system_sgpr_workgroup_id_z 0
		.amdhsa_system_sgpr_workgroup_info 0
		.amdhsa_system_vgpr_workitem_id 0
		.amdhsa_next_free_vgpr 1
		.amdhsa_next_free_sgpr 0
		.amdhsa_accum_offset 4
		.amdhsa_reserve_vcc 0
		.amdhsa_reserve_flat_scratch 0
		.amdhsa_float_round_mode_32 0
		.amdhsa_float_round_mode_16_64 0
		.amdhsa_float_denorm_mode_32 3
		.amdhsa_float_denorm_mode_16_64 3
		.amdhsa_dx10_clamp 1
		.amdhsa_ieee_mode 1
		.amdhsa_fp16_overflow 0
		.amdhsa_tg_split 0
		.amdhsa_exception_fp_ieee_invalid_op 0
		.amdhsa_exception_fp_denorm_src 0
		.amdhsa_exception_fp_ieee_div_zero 0
		.amdhsa_exception_fp_ieee_overflow 0
		.amdhsa_exception_fp_ieee_underflow 0
		.amdhsa_exception_fp_ieee_inexact 0
		.amdhsa_exception_int_div_zero 0
	.end_amdhsa_kernel
	.section	.text._ZN7rocprim17ROCPRIM_400000_NS6detail17trampoline_kernelINS0_14default_configENS1_27scan_by_key_config_selectorIxxEEZZNS1_16scan_by_key_implILNS1_25lookback_scan_determinismE0ELb0ES3_N6thrust23THRUST_200600_302600_NS6detail15normal_iteratorINS9_10device_ptrIxEEEESE_SE_xNS9_4plusIvEENS9_8equal_toIvEExEE10hipError_tPvRmT2_T3_T4_T5_mT6_T7_P12ihipStream_tbENKUlT_T0_E_clISt17integral_constantIbLb0EESZ_EEDaSU_SV_EUlSU_E_NS1_11comp_targetILNS1_3genE5ELNS1_11target_archE942ELNS1_3gpuE9ELNS1_3repE0EEENS1_30default_config_static_selectorELNS0_4arch9wavefront6targetE1EEEvT1_,"axG",@progbits,_ZN7rocprim17ROCPRIM_400000_NS6detail17trampoline_kernelINS0_14default_configENS1_27scan_by_key_config_selectorIxxEEZZNS1_16scan_by_key_implILNS1_25lookback_scan_determinismE0ELb0ES3_N6thrust23THRUST_200600_302600_NS6detail15normal_iteratorINS9_10device_ptrIxEEEESE_SE_xNS9_4plusIvEENS9_8equal_toIvEExEE10hipError_tPvRmT2_T3_T4_T5_mT6_T7_P12ihipStream_tbENKUlT_T0_E_clISt17integral_constantIbLb0EESZ_EEDaSU_SV_EUlSU_E_NS1_11comp_targetILNS1_3genE5ELNS1_11target_archE942ELNS1_3gpuE9ELNS1_3repE0EEENS1_30default_config_static_selectorELNS0_4arch9wavefront6targetE1EEEvT1_,comdat
.Lfunc_end7:
	.size	_ZN7rocprim17ROCPRIM_400000_NS6detail17trampoline_kernelINS0_14default_configENS1_27scan_by_key_config_selectorIxxEEZZNS1_16scan_by_key_implILNS1_25lookback_scan_determinismE0ELb0ES3_N6thrust23THRUST_200600_302600_NS6detail15normal_iteratorINS9_10device_ptrIxEEEESE_SE_xNS9_4plusIvEENS9_8equal_toIvEExEE10hipError_tPvRmT2_T3_T4_T5_mT6_T7_P12ihipStream_tbENKUlT_T0_E_clISt17integral_constantIbLb0EESZ_EEDaSU_SV_EUlSU_E_NS1_11comp_targetILNS1_3genE5ELNS1_11target_archE942ELNS1_3gpuE9ELNS1_3repE0EEENS1_30default_config_static_selectorELNS0_4arch9wavefront6targetE1EEEvT1_, .Lfunc_end7-_ZN7rocprim17ROCPRIM_400000_NS6detail17trampoline_kernelINS0_14default_configENS1_27scan_by_key_config_selectorIxxEEZZNS1_16scan_by_key_implILNS1_25lookback_scan_determinismE0ELb0ES3_N6thrust23THRUST_200600_302600_NS6detail15normal_iteratorINS9_10device_ptrIxEEEESE_SE_xNS9_4plusIvEENS9_8equal_toIvEExEE10hipError_tPvRmT2_T3_T4_T5_mT6_T7_P12ihipStream_tbENKUlT_T0_E_clISt17integral_constantIbLb0EESZ_EEDaSU_SV_EUlSU_E_NS1_11comp_targetILNS1_3genE5ELNS1_11target_archE942ELNS1_3gpuE9ELNS1_3repE0EEENS1_30default_config_static_selectorELNS0_4arch9wavefront6targetE1EEEvT1_
                                        ; -- End function
	.section	.AMDGPU.csdata,"",@progbits
; Kernel info:
; codeLenInByte = 0
; NumSgprs: 4
; NumVgprs: 0
; NumAgprs: 0
; TotalNumVgprs: 0
; ScratchSize: 0
; MemoryBound: 0
; FloatMode: 240
; IeeeMode: 1
; LDSByteSize: 0 bytes/workgroup (compile time only)
; SGPRBlocks: 0
; VGPRBlocks: 0
; NumSGPRsForWavesPerEU: 4
; NumVGPRsForWavesPerEU: 1
; AccumOffset: 4
; Occupancy: 8
; WaveLimiterHint : 0
; COMPUTE_PGM_RSRC2:SCRATCH_EN: 0
; COMPUTE_PGM_RSRC2:USER_SGPR: 6
; COMPUTE_PGM_RSRC2:TRAP_HANDLER: 0
; COMPUTE_PGM_RSRC2:TGID_X_EN: 1
; COMPUTE_PGM_RSRC2:TGID_Y_EN: 0
; COMPUTE_PGM_RSRC2:TGID_Z_EN: 0
; COMPUTE_PGM_RSRC2:TIDIG_COMP_CNT: 0
; COMPUTE_PGM_RSRC3_GFX90A:ACCUM_OFFSET: 0
; COMPUTE_PGM_RSRC3_GFX90A:TG_SPLIT: 0
	.section	.text._ZN7rocprim17ROCPRIM_400000_NS6detail17trampoline_kernelINS0_14default_configENS1_27scan_by_key_config_selectorIxxEEZZNS1_16scan_by_key_implILNS1_25lookback_scan_determinismE0ELb0ES3_N6thrust23THRUST_200600_302600_NS6detail15normal_iteratorINS9_10device_ptrIxEEEESE_SE_xNS9_4plusIvEENS9_8equal_toIvEExEE10hipError_tPvRmT2_T3_T4_T5_mT6_T7_P12ihipStream_tbENKUlT_T0_E_clISt17integral_constantIbLb0EESZ_EEDaSU_SV_EUlSU_E_NS1_11comp_targetILNS1_3genE4ELNS1_11target_archE910ELNS1_3gpuE8ELNS1_3repE0EEENS1_30default_config_static_selectorELNS0_4arch9wavefront6targetE1EEEvT1_,"axG",@progbits,_ZN7rocprim17ROCPRIM_400000_NS6detail17trampoline_kernelINS0_14default_configENS1_27scan_by_key_config_selectorIxxEEZZNS1_16scan_by_key_implILNS1_25lookback_scan_determinismE0ELb0ES3_N6thrust23THRUST_200600_302600_NS6detail15normal_iteratorINS9_10device_ptrIxEEEESE_SE_xNS9_4plusIvEENS9_8equal_toIvEExEE10hipError_tPvRmT2_T3_T4_T5_mT6_T7_P12ihipStream_tbENKUlT_T0_E_clISt17integral_constantIbLb0EESZ_EEDaSU_SV_EUlSU_E_NS1_11comp_targetILNS1_3genE4ELNS1_11target_archE910ELNS1_3gpuE8ELNS1_3repE0EEENS1_30default_config_static_selectorELNS0_4arch9wavefront6targetE1EEEvT1_,comdat
	.protected	_ZN7rocprim17ROCPRIM_400000_NS6detail17trampoline_kernelINS0_14default_configENS1_27scan_by_key_config_selectorIxxEEZZNS1_16scan_by_key_implILNS1_25lookback_scan_determinismE0ELb0ES3_N6thrust23THRUST_200600_302600_NS6detail15normal_iteratorINS9_10device_ptrIxEEEESE_SE_xNS9_4plusIvEENS9_8equal_toIvEExEE10hipError_tPvRmT2_T3_T4_T5_mT6_T7_P12ihipStream_tbENKUlT_T0_E_clISt17integral_constantIbLb0EESZ_EEDaSU_SV_EUlSU_E_NS1_11comp_targetILNS1_3genE4ELNS1_11target_archE910ELNS1_3gpuE8ELNS1_3repE0EEENS1_30default_config_static_selectorELNS0_4arch9wavefront6targetE1EEEvT1_ ; -- Begin function _ZN7rocprim17ROCPRIM_400000_NS6detail17trampoline_kernelINS0_14default_configENS1_27scan_by_key_config_selectorIxxEEZZNS1_16scan_by_key_implILNS1_25lookback_scan_determinismE0ELb0ES3_N6thrust23THRUST_200600_302600_NS6detail15normal_iteratorINS9_10device_ptrIxEEEESE_SE_xNS9_4plusIvEENS9_8equal_toIvEExEE10hipError_tPvRmT2_T3_T4_T5_mT6_T7_P12ihipStream_tbENKUlT_T0_E_clISt17integral_constantIbLb0EESZ_EEDaSU_SV_EUlSU_E_NS1_11comp_targetILNS1_3genE4ELNS1_11target_archE910ELNS1_3gpuE8ELNS1_3repE0EEENS1_30default_config_static_selectorELNS0_4arch9wavefront6targetE1EEEvT1_
	.globl	_ZN7rocprim17ROCPRIM_400000_NS6detail17trampoline_kernelINS0_14default_configENS1_27scan_by_key_config_selectorIxxEEZZNS1_16scan_by_key_implILNS1_25lookback_scan_determinismE0ELb0ES3_N6thrust23THRUST_200600_302600_NS6detail15normal_iteratorINS9_10device_ptrIxEEEESE_SE_xNS9_4plusIvEENS9_8equal_toIvEExEE10hipError_tPvRmT2_T3_T4_T5_mT6_T7_P12ihipStream_tbENKUlT_T0_E_clISt17integral_constantIbLb0EESZ_EEDaSU_SV_EUlSU_E_NS1_11comp_targetILNS1_3genE4ELNS1_11target_archE910ELNS1_3gpuE8ELNS1_3repE0EEENS1_30default_config_static_selectorELNS0_4arch9wavefront6targetE1EEEvT1_
	.p2align	8
	.type	_ZN7rocprim17ROCPRIM_400000_NS6detail17trampoline_kernelINS0_14default_configENS1_27scan_by_key_config_selectorIxxEEZZNS1_16scan_by_key_implILNS1_25lookback_scan_determinismE0ELb0ES3_N6thrust23THRUST_200600_302600_NS6detail15normal_iteratorINS9_10device_ptrIxEEEESE_SE_xNS9_4plusIvEENS9_8equal_toIvEExEE10hipError_tPvRmT2_T3_T4_T5_mT6_T7_P12ihipStream_tbENKUlT_T0_E_clISt17integral_constantIbLb0EESZ_EEDaSU_SV_EUlSU_E_NS1_11comp_targetILNS1_3genE4ELNS1_11target_archE910ELNS1_3gpuE8ELNS1_3repE0EEENS1_30default_config_static_selectorELNS0_4arch9wavefront6targetE1EEEvT1_,@function
_ZN7rocprim17ROCPRIM_400000_NS6detail17trampoline_kernelINS0_14default_configENS1_27scan_by_key_config_selectorIxxEEZZNS1_16scan_by_key_implILNS1_25lookback_scan_determinismE0ELb0ES3_N6thrust23THRUST_200600_302600_NS6detail15normal_iteratorINS9_10device_ptrIxEEEESE_SE_xNS9_4plusIvEENS9_8equal_toIvEExEE10hipError_tPvRmT2_T3_T4_T5_mT6_T7_P12ihipStream_tbENKUlT_T0_E_clISt17integral_constantIbLb0EESZ_EEDaSU_SV_EUlSU_E_NS1_11comp_targetILNS1_3genE4ELNS1_11target_archE910ELNS1_3gpuE8ELNS1_3repE0EEENS1_30default_config_static_selectorELNS0_4arch9wavefront6targetE1EEEvT1_: ; @_ZN7rocprim17ROCPRIM_400000_NS6detail17trampoline_kernelINS0_14default_configENS1_27scan_by_key_config_selectorIxxEEZZNS1_16scan_by_key_implILNS1_25lookback_scan_determinismE0ELb0ES3_N6thrust23THRUST_200600_302600_NS6detail15normal_iteratorINS9_10device_ptrIxEEEESE_SE_xNS9_4plusIvEENS9_8equal_toIvEExEE10hipError_tPvRmT2_T3_T4_T5_mT6_T7_P12ihipStream_tbENKUlT_T0_E_clISt17integral_constantIbLb0EESZ_EEDaSU_SV_EUlSU_E_NS1_11comp_targetILNS1_3genE4ELNS1_11target_archE910ELNS1_3gpuE8ELNS1_3repE0EEENS1_30default_config_static_selectorELNS0_4arch9wavefront6targetE1EEEvT1_
; %bb.0:
	s_load_dwordx8 s[40:47], s[4:5], 0x0
	s_load_dwordx8 s[48:55], s[4:5], 0x30
	s_load_dwordx2 s[66:67], s[4:5], 0x50
	s_load_dword s0, s[4:5], 0x58
	s_load_dwordx8 s[56:63], s[4:5], 0x60
	s_waitcnt lgkmcnt(0)
	s_lshl_b64 s[64:65], s[42:43], 3
	s_add_u32 s2, s40, s64
	s_addc_u32 s3, s41, s65
	s_add_u32 s4, s44, s64
	s_mul_i32 s1, s67, s0
	s_mul_hi_u32 s7, s66, s0
	s_addc_u32 s5, s45, s65
	s_add_i32 s8, s7, s1
	s_mul_i32 s9, s66, s0
	s_cmp_lg_u64 s[60:61], 0
	s_mul_i32 s0, s6, 0x4c0
	s_mov_b32 s1, 0
	s_cselect_b64 s[68:69], -1, 0
	s_lshl_b64 s[60:61], s[0:1], 3
	s_add_u32 s44, s2, s60
	s_addc_u32 s45, s3, s61
	s_add_u32 s7, s4, s60
	s_addc_u32 s55, s5, s61
	;; [unrolled: 2-line block ×3, first 2 shown]
	s_add_u32 s2, s56, -1
	s_addc_u32 s3, s57, -1
	v_pk_mov_b32 v[2:3], s[2:3], s[2:3] op_sel:[0,1]
	v_cmp_ge_u64_e64 s[0:1], s[70:71], v[2:3]
	s_mov_b64 s[10:11], 0
	s_mov_b64 s[4:5], -1
	s_and_b64 vcc, exec, s[0:1]
	s_mul_i32 s33, s2, 0xfffffb40
	s_waitcnt lgkmcnt(0)
	; wave barrier
	s_cbranch_vccz .LBB8_102
; %bb.1:
	v_pk_mov_b32 v[2:3], s[44:45], s[44:45] op_sel:[0,1]
	flat_load_dwordx2 v[2:3], v[2:3]
	s_add_i32 s77, s33, s54
	v_cmp_gt_u32_e64 s[2:3], s77, v0
	s_waitcnt vmcnt(0) lgkmcnt(0)
	v_pk_mov_b32 v[4:5], v[2:3], v[2:3] op_sel:[0,1]
	s_and_saveexec_b64 s[4:5], s[2:3]
	s_cbranch_execz .LBB8_3
; %bb.2:
	v_lshlrev_b32_e32 v1, 3, v0
	v_mov_b32_e32 v5, s45
	v_add_co_u32_e32 v4, vcc, s44, v1
	v_addc_co_u32_e32 v5, vcc, 0, v5, vcc
	flat_load_dwordx2 v[4:5], v[4:5]
.LBB8_3:
	s_or_b64 exec, exec, s[4:5]
	v_or_b32_e32 v1, 64, v0
	v_cmp_gt_u32_e64 s[4:5], s77, v1
	v_pk_mov_b32 v[6:7], v[2:3], v[2:3] op_sel:[0,1]
	s_and_saveexec_b64 s[8:9], s[4:5]
	s_cbranch_execz .LBB8_5
; %bb.4:
	v_lshlrev_b32_e32 v1, 3, v0
	v_mov_b32_e32 v7, s45
	v_add_co_u32_e32 v6, vcc, s44, v1
	v_addc_co_u32_e32 v7, vcc, 0, v7, vcc
	flat_load_dwordx2 v[6:7], v[6:7] offset:512
.LBB8_5:
	s_or_b64 exec, exec, s[8:9]
	v_or_b32_e32 v1, 0x80, v0
	v_cmp_gt_u32_e64 s[42:43], s77, v1
	v_pk_mov_b32 v[8:9], v[2:3], v[2:3] op_sel:[0,1]
	s_and_saveexec_b64 s[8:9], s[42:43]
	s_cbranch_execz .LBB8_7
; %bb.6:
	v_lshlrev_b32_e32 v1, 3, v0
	v_mov_b32_e32 v9, s45
	v_add_co_u32_e32 v8, vcc, s44, v1
	v_addc_co_u32_e32 v9, vcc, 0, v9, vcc
	flat_load_dwordx2 v[8:9], v[8:9] offset:1024
.LBB8_7:
	;; [unrolled: 13-line block ×7, first 2 shown]
	s_or_b64 exec, exec, s[18:19]
	v_or_b32_e32 v1, 0x200, v0
	v_cmp_gt_u32_e64 s[18:19], s77, v1
	v_lshlrev_b32_e32 v1, 3, v1
	v_pk_mov_b32 v[20:21], v[2:3], v[2:3] op_sel:[0,1]
	s_and_saveexec_b64 s[20:21], s[18:19]
	s_cbranch_execz .LBB8_19
; %bb.18:
	v_mov_b32_e32 v21, s45
	v_add_co_u32_e32 v20, vcc, s44, v1
	v_addc_co_u32_e32 v21, vcc, 0, v21, vcc
	flat_load_dwordx2 v[20:21], v[20:21]
.LBB8_19:
	s_or_b64 exec, exec, s[20:21]
	v_or_b32_e32 v22, 0x240, v0
	v_cmp_gt_u32_e64 s[20:21], s77, v22
	v_lshlrev_b32_e32 v40, 3, v22
	v_pk_mov_b32 v[22:23], v[2:3], v[2:3] op_sel:[0,1]
	s_and_saveexec_b64 s[22:23], s[20:21]
	s_cbranch_execz .LBB8_21
; %bb.20:
	v_mov_b32_e32 v23, s45
	v_add_co_u32_e32 v22, vcc, s44, v40
	v_addc_co_u32_e32 v23, vcc, 0, v23, vcc
	flat_load_dwordx2 v[22:23], v[22:23]
.LBB8_21:
	;; [unrolled: 13-line block ×10, first 2 shown]
	s_or_b64 exec, exec, s[40:41]
	v_or_b32_e32 v48, 0x480, v0
	v_cmp_gt_u32_e64 s[40:41], s77, v48
	v_lshlrev_b32_e32 v51, 3, v48
	s_and_saveexec_b64 s[56:57], s[40:41]
	s_cbranch_execz .LBB8_39
; %bb.38:
	v_mov_b32_e32 v3, s45
	v_add_co_u32_e32 v2, vcc, s44, v51
	v_addc_co_u32_e32 v3, vcc, 0, v3, vcc
	flat_load_dwordx2 v[2:3], v[2:3]
.LBB8_39:
	s_or_b64 exec, exec, s[56:57]
	v_lshlrev_b32_e32 v50, 3, v0
	s_movk_i32 s56, 0x90
	v_mad_u32_u24 v48, v0, s56, v50
	s_waitcnt vmcnt(0) lgkmcnt(0)
	ds_write2st64_b64 v50, v[4:5], v[6:7] offset1:1
	ds_write2st64_b64 v50, v[8:9], v[10:11] offset0:2 offset1:3
	ds_write2st64_b64 v50, v[12:13], v[14:15] offset0:4 offset1:5
	;; [unrolled: 1-line block ×8, first 2 shown]
	ds_write_b64 v50, v[2:3] offset:9216
	s_waitcnt lgkmcnt(0)
	; wave barrier
	s_waitcnt lgkmcnt(0)
	ds_read2_b64 v[106:109], v48 offset1:1
	ds_read2_b64 v[102:105], v48 offset0:2 offset1:3
	ds_read2_b64 v[98:101], v48 offset0:4 offset1:5
	;; [unrolled: 1-line block ×8, first 2 shown]
	ds_read_b64 v[4:5], v48 offset:144
	s_cmp_eq_u64 s[70:71], 0
	s_mov_b64 s[56:57], s[44:45]
	s_cbranch_scc1 .LBB8_43
; %bb.40:
	s_andn2_b64 vcc, exec, s[68:69]
	s_cbranch_vccnz .LBB8_255
; %bb.41:
	s_lshl_b64 s[56:57], s[70:71], 3
	s_add_u32 s56, s62, s56
	s_addc_u32 s57, s63, s57
	s_add_u32 s56, s56, -8
	s_addc_u32 s57, s57, -1
	s_cbranch_execnz .LBB8_43
.LBB8_42:
	s_add_u32 s56, s44, -8
	s_addc_u32 s57, s45, -1
.LBB8_43:
	v_pk_mov_b32 v[2:3], s[56:57], s[56:57] op_sel:[0,1]
	flat_load_dwordx2 v[8:9], v[2:3]
	s_movk_i32 s56, 0xff70
	v_mad_i32_i24 v2, v0, s56, v48
	v_cmp_ne_u32_e32 vcc, 0, v0
	s_waitcnt lgkmcnt(0)
	ds_write_b64 v2, v[4:5] offset:9728
	s_waitcnt lgkmcnt(0)
	; wave barrier
	s_waitcnt lgkmcnt(0)
	s_and_saveexec_b64 s[56:57], vcc
	s_cbranch_execz .LBB8_45
; %bb.44:
	v_mul_i32_i24_e32 v2, 0xffffff70, v0
	v_add_u32_e32 v2, v48, v2
	s_waitcnt vmcnt(0)
	ds_read_b64 v[8:9], v2 offset:9720
.LBB8_45:
	s_or_b64 exec, exec, s[56:57]
	s_waitcnt lgkmcnt(0)
	; wave barrier
	s_waitcnt lgkmcnt(0)
                                        ; implicit-def: $vgpr2_vgpr3
	s_and_saveexec_b64 s[56:57], s[2:3]
	s_cbranch_execnz .LBB8_237
; %bb.46:
	s_or_b64 exec, exec, s[56:57]
                                        ; implicit-def: $vgpr6_vgpr7
	s_and_saveexec_b64 s[2:3], s[4:5]
	s_cbranch_execnz .LBB8_238
.LBB8_47:
	s_or_b64 exec, exec, s[2:3]
                                        ; implicit-def: $vgpr10_vgpr11
	s_and_saveexec_b64 s[2:3], s[42:43]
	s_cbranch_execnz .LBB8_239
.LBB8_48:
	s_or_b64 exec, exec, s[2:3]
                                        ; implicit-def: $vgpr12_vgpr13
	s_and_saveexec_b64 s[2:3], s[8:9]
	s_cbranch_execnz .LBB8_240
.LBB8_49:
	s_or_b64 exec, exec, s[2:3]
                                        ; implicit-def: $vgpr14_vgpr15
	s_and_saveexec_b64 s[2:3], s[10:11]
	s_cbranch_execnz .LBB8_241
.LBB8_50:
	s_or_b64 exec, exec, s[2:3]
                                        ; implicit-def: $vgpr16_vgpr17
	s_and_saveexec_b64 s[2:3], s[12:13]
	s_cbranch_execnz .LBB8_242
.LBB8_51:
	s_or_b64 exec, exec, s[2:3]
                                        ; implicit-def: $vgpr18_vgpr19
	s_and_saveexec_b64 s[2:3], s[14:15]
	s_cbranch_execnz .LBB8_243
.LBB8_52:
	s_or_b64 exec, exec, s[2:3]
                                        ; implicit-def: $vgpr20_vgpr21
	s_and_saveexec_b64 s[2:3], s[16:17]
	s_cbranch_execnz .LBB8_244
.LBB8_53:
	s_or_b64 exec, exec, s[2:3]
                                        ; implicit-def: $vgpr22_vgpr23
	s_and_saveexec_b64 s[2:3], s[18:19]
	s_cbranch_execnz .LBB8_245
.LBB8_54:
	s_or_b64 exec, exec, s[2:3]
                                        ; implicit-def: $vgpr24_vgpr25
	s_and_saveexec_b64 s[2:3], s[20:21]
	s_cbranch_execnz .LBB8_246
.LBB8_55:
	s_or_b64 exec, exec, s[2:3]
                                        ; implicit-def: $vgpr26_vgpr27
	s_and_saveexec_b64 s[2:3], s[22:23]
	s_cbranch_execnz .LBB8_247
.LBB8_56:
	s_or_b64 exec, exec, s[2:3]
                                        ; implicit-def: $vgpr28_vgpr29
	s_and_saveexec_b64 s[2:3], s[24:25]
	s_cbranch_execnz .LBB8_248
.LBB8_57:
	s_or_b64 exec, exec, s[2:3]
                                        ; implicit-def: $vgpr30_vgpr31
	s_and_saveexec_b64 s[2:3], s[26:27]
	s_cbranch_execnz .LBB8_249
.LBB8_58:
	s_or_b64 exec, exec, s[2:3]
                                        ; implicit-def: $vgpr32_vgpr33
	s_and_saveexec_b64 s[2:3], s[28:29]
	s_cbranch_execnz .LBB8_250
.LBB8_59:
	s_or_b64 exec, exec, s[2:3]
                                        ; implicit-def: $vgpr34_vgpr35
	s_and_saveexec_b64 s[2:3], s[30:31]
	s_cbranch_execnz .LBB8_251
.LBB8_60:
	s_or_b64 exec, exec, s[2:3]
                                        ; implicit-def: $vgpr36_vgpr37
	s_and_saveexec_b64 s[2:3], s[34:35]
	s_cbranch_execnz .LBB8_252
.LBB8_61:
	s_or_b64 exec, exec, s[2:3]
                                        ; implicit-def: $vgpr38_vgpr39
	s_and_saveexec_b64 s[2:3], s[36:37]
	s_cbranch_execnz .LBB8_253
.LBB8_62:
	s_or_b64 exec, exec, s[2:3]
                                        ; implicit-def: $vgpr40_vgpr41
	s_and_saveexec_b64 s[2:3], s[38:39]
	s_cbranch_execnz .LBB8_254
.LBB8_63:
	s_or_b64 exec, exec, s[2:3]
                                        ; implicit-def: $vgpr42_vgpr43
	s_and_saveexec_b64 s[2:3], s[40:41]
	s_cbranch_execz .LBB8_65
.LBB8_64:
	v_mov_b32_e32 v1, s55
	v_add_co_u32_e32 v42, vcc, s7, v51
	v_addc_co_u32_e32 v43, vcc, 0, v1, vcc
	flat_load_dwordx2 v[42:43], v[42:43]
.LBB8_65:
	s_or_b64 exec, exec, s[2:3]
	v_mul_u32_u24_e32 v49, 19, v0
	s_waitcnt vmcnt(0) lgkmcnt(0)
	ds_write2st64_b64 v50, v[2:3], v[6:7] offset1:1
	ds_write2st64_b64 v50, v[10:11], v[12:13] offset0:2 offset1:3
	ds_write2st64_b64 v50, v[14:15], v[16:17] offset0:4 offset1:5
	;; [unrolled: 1-line block ×8, first 2 shown]
	ds_write_b64 v50, v[42:43] offset:9216
	v_pk_mov_b32 v[6:7], 0, 0
	v_cmp_gt_u32_e32 vcc, s77, v49
	s_mov_b64 s[10:11], 0
	s_mov_b64 s[4:5], 0
	s_mov_b32 s76, 0
	v_mov_b32_e32 v110, 0
	v_mov_b32_e32 v126, 0
	v_pk_mov_b32 v[62:63], v[6:7], v[6:7] op_sel:[0,1]
	v_mov_b32_e32 v125, 0
	v_pk_mov_b32 v[70:71], v[6:7], v[6:7] op_sel:[0,1]
	;; [unrolled: 2-line block ×17, first 2 shown]
	s_waitcnt lgkmcnt(0)
	; wave barrier
	s_waitcnt lgkmcnt(0)
                                        ; implicit-def: $sgpr2_sgpr3
	s_and_saveexec_b64 s[8:9], vcc
	s_cbranch_execz .LBB8_101
; %bb.66:
	ds_read_b64 v[2:3], v48
	v_cmp_ne_u64_e32 vcc, v[8:9], v[106:107]
	v_add_u32_e32 v6, 1, v49
	v_cndmask_b32_e64 v1, 0, 1, vcc
	v_cmp_gt_u32_e32 vcc, s77, v6
	v_pk_mov_b32 v[6:7], 0, 0
	s_mov_b64 s[12:13], 0
	s_mov_b64 s[2:3], 0
	v_mov_b32_e32 v110, 0
	v_mov_b32_e32 v126, 0
	v_pk_mov_b32 v[62:63], v[6:7], v[6:7] op_sel:[0,1]
	v_mov_b32_e32 v125, 0
	v_pk_mov_b32 v[70:71], v[6:7], v[6:7] op_sel:[0,1]
	;; [unrolled: 2-line block ×16, first 2 shown]
                                        ; implicit-def: $sgpr14_sgpr15
	s_and_saveexec_b64 s[10:11], vcc
	s_cbranch_execz .LBB8_100
; %bb.67:
	ds_read2_b64 v[14:17], v48 offset0:1 offset1:2
	v_cmp_ne_u64_e32 vcc, v[106:107], v[108:109]
	v_add_u32_e32 v6, 2, v49
	v_cndmask_b32_e64 v112, 0, 1, vcc
	v_cmp_gt_u32_e32 vcc, s77, v6
	v_pk_mov_b32 v[6:7], 0, 0
	s_mov_b64 s[16:17], 0
	v_mov_b32_e32 v110, 0
	v_mov_b32_e32 v126, 0
	v_pk_mov_b32 v[62:63], v[6:7], v[6:7] op_sel:[0,1]
	v_mov_b32_e32 v125, 0
	v_pk_mov_b32 v[70:71], v[6:7], v[6:7] op_sel:[0,1]
	v_mov_b32_e32 v124, 0
	v_pk_mov_b32 v[54:55], v[6:7], v[6:7] op_sel:[0,1]
	v_mov_b32_e32 v123, 0
	v_pk_mov_b32 v[66:67], v[6:7], v[6:7] op_sel:[0,1]
	v_mov_b32_e32 v122, 0
	v_pk_mov_b32 v[46:47], v[6:7], v[6:7] op_sel:[0,1]
	v_mov_b32_e32 v121, 0
	v_pk_mov_b32 v[58:59], v[6:7], v[6:7] op_sel:[0,1]
	v_mov_b32_e32 v120, 0
	v_pk_mov_b32 v[38:39], v[6:7], v[6:7] op_sel:[0,1]
	v_mov_b32_e32 v119, 0
	v_pk_mov_b32 v[50:51], v[6:7], v[6:7] op_sel:[0,1]
	v_mov_b32_e32 v118, 0
	v_pk_mov_b32 v[30:31], v[6:7], v[6:7] op_sel:[0,1]
	v_mov_b32_e32 v117, 0
	v_pk_mov_b32 v[42:43], v[6:7], v[6:7] op_sel:[0,1]
	v_mov_b32_e32 v116, 0
	v_pk_mov_b32 v[26:27], v[6:7], v[6:7] op_sel:[0,1]
	v_mov_b32_e32 v115, 0
	v_pk_mov_b32 v[34:35], v[6:7], v[6:7] op_sel:[0,1]
	v_mov_b32_e32 v114, 0
	v_pk_mov_b32 v[18:19], v[6:7], v[6:7] op_sel:[0,1]
	v_mov_b32_e32 v113, 0
	v_pk_mov_b32 v[22:23], v[6:7], v[6:7] op_sel:[0,1]
	v_mov_b32_e32 v111, 0
	v_pk_mov_b32 v[10:11], v[6:7], v[6:7] op_sel:[0,1]
                                        ; implicit-def: $sgpr14_sgpr15
	s_and_saveexec_b64 s[12:13], vcc
	s_cbranch_execz .LBB8_99
; %bb.68:
	v_cmp_ne_u64_e32 vcc, v[108:109], v[102:103]
	v_add_u32_e32 v6, 3, v49
	v_cndmask_b32_e64 v111, 0, 1, vcc
	v_cmp_gt_u32_e32 vcc, s77, v6
	v_pk_mov_b32 v[6:7], 0, 0
	s_waitcnt lgkmcnt(0)
	v_mov_b32_e32 v10, v16
	v_mov_b32_e32 v11, v17
	;; [unrolled: 1-line block ×4, first 2 shown]
	v_pk_mov_b32 v[62:63], v[6:7], v[6:7] op_sel:[0,1]
	v_mov_b32_e32 v125, 0
	v_pk_mov_b32 v[70:71], v[6:7], v[6:7] op_sel:[0,1]
	v_mov_b32_e32 v124, 0
	;; [unrolled: 2-line block ×13, first 2 shown]
	v_pk_mov_b32 v[22:23], v[6:7], v[6:7] op_sel:[0,1]
                                        ; implicit-def: $sgpr18_sgpr19
	s_and_saveexec_b64 s[14:15], vcc
	s_cbranch_execz .LBB8_98
; %bb.69:
	ds_read2_b64 v[22:25], v48 offset0:3 offset1:4
	v_cmp_ne_u64_e32 vcc, v[102:103], v[104:105]
	v_add_u32_e32 v6, 4, v49
	v_cndmask_b32_e64 v113, 0, 1, vcc
	v_cmp_gt_u32_e32 vcc, s77, v6
	v_pk_mov_b32 v[6:7], 0, 0
	s_mov_b64 s[20:21], 0
	v_mov_b32_e32 v110, 0
	v_mov_b32_e32 v126, 0
	v_pk_mov_b32 v[62:63], v[6:7], v[6:7] op_sel:[0,1]
	v_mov_b32_e32 v125, 0
	v_pk_mov_b32 v[70:71], v[6:7], v[6:7] op_sel:[0,1]
	v_mov_b32_e32 v124, 0
	v_pk_mov_b32 v[54:55], v[6:7], v[6:7] op_sel:[0,1]
	v_mov_b32_e32 v123, 0
	v_pk_mov_b32 v[66:67], v[6:7], v[6:7] op_sel:[0,1]
	v_mov_b32_e32 v122, 0
	v_pk_mov_b32 v[46:47], v[6:7], v[6:7] op_sel:[0,1]
	v_mov_b32_e32 v121, 0
	v_pk_mov_b32 v[58:59], v[6:7], v[6:7] op_sel:[0,1]
	v_mov_b32_e32 v120, 0
	v_pk_mov_b32 v[38:39], v[6:7], v[6:7] op_sel:[0,1]
	v_mov_b32_e32 v119, 0
	v_pk_mov_b32 v[50:51], v[6:7], v[6:7] op_sel:[0,1]
	v_mov_b32_e32 v118, 0
	v_pk_mov_b32 v[30:31], v[6:7], v[6:7] op_sel:[0,1]
	v_mov_b32_e32 v117, 0
	v_pk_mov_b32 v[42:43], v[6:7], v[6:7] op_sel:[0,1]
	v_mov_b32_e32 v116, 0
	v_pk_mov_b32 v[26:27], v[6:7], v[6:7] op_sel:[0,1]
	v_mov_b32_e32 v115, 0
	v_pk_mov_b32 v[34:35], v[6:7], v[6:7] op_sel:[0,1]
	v_mov_b32_e32 v114, 0
	v_pk_mov_b32 v[18:19], v[6:7], v[6:7] op_sel:[0,1]
                                        ; implicit-def: $sgpr18_sgpr19
	s_and_saveexec_b64 s[16:17], vcc
	s_cbranch_execz .LBB8_97
; %bb.70:
	v_cmp_ne_u64_e32 vcc, v[104:105], v[98:99]
	v_add_u32_e32 v6, 5, v49
	v_cndmask_b32_e64 v114, 0, 1, vcc
	v_cmp_gt_u32_e32 vcc, s77, v6
	v_pk_mov_b32 v[6:7], 0, 0
	s_waitcnt lgkmcnt(0)
	v_mov_b32_e32 v18, v24
	v_mov_b32_e32 v19, v25
	;; [unrolled: 1-line block ×4, first 2 shown]
	v_pk_mov_b32 v[62:63], v[6:7], v[6:7] op_sel:[0,1]
	v_mov_b32_e32 v125, 0
	v_pk_mov_b32 v[70:71], v[6:7], v[6:7] op_sel:[0,1]
	v_mov_b32_e32 v124, 0
	v_pk_mov_b32 v[54:55], v[6:7], v[6:7] op_sel:[0,1]
	v_mov_b32_e32 v123, 0
	v_pk_mov_b32 v[66:67], v[6:7], v[6:7] op_sel:[0,1]
	v_mov_b32_e32 v122, 0
	v_pk_mov_b32 v[46:47], v[6:7], v[6:7] op_sel:[0,1]
	v_mov_b32_e32 v121, 0
	v_pk_mov_b32 v[58:59], v[6:7], v[6:7] op_sel:[0,1]
	v_mov_b32_e32 v120, 0
	v_pk_mov_b32 v[38:39], v[6:7], v[6:7] op_sel:[0,1]
	v_mov_b32_e32 v119, 0
	v_pk_mov_b32 v[50:51], v[6:7], v[6:7] op_sel:[0,1]
	v_mov_b32_e32 v118, 0
	v_pk_mov_b32 v[30:31], v[6:7], v[6:7] op_sel:[0,1]
	v_mov_b32_e32 v117, 0
	v_pk_mov_b32 v[42:43], v[6:7], v[6:7] op_sel:[0,1]
	v_mov_b32_e32 v116, 0
	v_pk_mov_b32 v[26:27], v[6:7], v[6:7] op_sel:[0,1]
	v_mov_b32_e32 v115, 0
	v_pk_mov_b32 v[34:35], v[6:7], v[6:7] op_sel:[0,1]
                                        ; implicit-def: $sgpr22_sgpr23
	s_and_saveexec_b64 s[18:19], vcc
	s_cbranch_execz .LBB8_96
; %bb.71:
	ds_read2_b64 v[34:37], v48 offset0:5 offset1:6
	v_cmp_ne_u64_e32 vcc, v[98:99], v[100:101]
	v_add_u32_e32 v6, 6, v49
	v_cndmask_b32_e64 v115, 0, 1, vcc
	v_cmp_gt_u32_e32 vcc, s77, v6
	v_pk_mov_b32 v[6:7], 0, 0
	s_mov_b64 s[24:25], 0
	v_mov_b32_e32 v110, 0
	v_mov_b32_e32 v126, 0
	v_pk_mov_b32 v[62:63], v[6:7], v[6:7] op_sel:[0,1]
	v_mov_b32_e32 v125, 0
	v_pk_mov_b32 v[70:71], v[6:7], v[6:7] op_sel:[0,1]
	;; [unrolled: 2-line block ×11, first 2 shown]
                                        ; implicit-def: $sgpr22_sgpr23
	s_and_saveexec_b64 s[20:21], vcc
	s_cbranch_execz .LBB8_95
; %bb.72:
	v_cmp_ne_u64_e32 vcc, v[100:101], v[94:95]
	v_add_u32_e32 v6, 7, v49
	v_cndmask_b32_e64 v116, 0, 1, vcc
	v_cmp_gt_u32_e32 vcc, s77, v6
	v_pk_mov_b32 v[6:7], 0, 0
	s_waitcnt lgkmcnt(0)
	v_mov_b32_e32 v26, v36
	v_mov_b32_e32 v27, v37
	;; [unrolled: 1-line block ×4, first 2 shown]
	v_pk_mov_b32 v[62:63], v[6:7], v[6:7] op_sel:[0,1]
	v_mov_b32_e32 v125, 0
	v_pk_mov_b32 v[70:71], v[6:7], v[6:7] op_sel:[0,1]
	v_mov_b32_e32 v124, 0
	;; [unrolled: 2-line block ×9, first 2 shown]
	v_pk_mov_b32 v[42:43], v[6:7], v[6:7] op_sel:[0,1]
                                        ; implicit-def: $sgpr26_sgpr27
	s_and_saveexec_b64 s[22:23], vcc
	s_cbranch_execz .LBB8_94
; %bb.73:
	ds_read2_b64 v[42:45], v48 offset0:7 offset1:8
	v_cmp_ne_u64_e32 vcc, v[94:95], v[96:97]
	v_add_u32_e32 v6, 8, v49
	v_cndmask_b32_e64 v117, 0, 1, vcc
	v_cmp_gt_u32_e32 vcc, s77, v6
	v_pk_mov_b32 v[6:7], 0, 0
	s_mov_b64 s[28:29], 0
	v_mov_b32_e32 v110, 0
	v_mov_b32_e32 v126, 0
	v_pk_mov_b32 v[62:63], v[6:7], v[6:7] op_sel:[0,1]
	v_mov_b32_e32 v125, 0
	v_pk_mov_b32 v[70:71], v[6:7], v[6:7] op_sel:[0,1]
	;; [unrolled: 2-line block ×9, first 2 shown]
                                        ; implicit-def: $sgpr26_sgpr27
	s_and_saveexec_b64 s[24:25], vcc
	s_cbranch_execz .LBB8_93
; %bb.74:
	v_cmp_ne_u64_e32 vcc, v[96:97], v[90:91]
	v_add_u32_e32 v6, 9, v49
	v_cndmask_b32_e64 v118, 0, 1, vcc
	v_cmp_gt_u32_e32 vcc, s77, v6
	v_pk_mov_b32 v[6:7], 0, 0
	s_waitcnt lgkmcnt(0)
	v_mov_b32_e32 v30, v44
	v_mov_b32_e32 v31, v45
	;; [unrolled: 1-line block ×4, first 2 shown]
	v_pk_mov_b32 v[62:63], v[6:7], v[6:7] op_sel:[0,1]
	v_mov_b32_e32 v125, 0
	v_pk_mov_b32 v[70:71], v[6:7], v[6:7] op_sel:[0,1]
	v_mov_b32_e32 v124, 0
	;; [unrolled: 2-line block ×7, first 2 shown]
	v_pk_mov_b32 v[50:51], v[6:7], v[6:7] op_sel:[0,1]
                                        ; implicit-def: $sgpr30_sgpr31
	s_and_saveexec_b64 s[26:27], vcc
	s_cbranch_execz .LBB8_92
; %bb.75:
	ds_read2_b64 v[50:53], v48 offset0:9 offset1:10
	v_cmp_ne_u64_e32 vcc, v[90:91], v[92:93]
	v_add_u32_e32 v6, 10, v49
	v_cndmask_b32_e64 v119, 0, 1, vcc
	v_cmp_gt_u32_e32 vcc, s77, v6
	v_pk_mov_b32 v[6:7], 0, 0
	s_mov_b64 s[34:35], 0
	v_mov_b32_e32 v110, 0
	v_mov_b32_e32 v126, 0
	v_pk_mov_b32 v[62:63], v[6:7], v[6:7] op_sel:[0,1]
	v_mov_b32_e32 v125, 0
	v_pk_mov_b32 v[70:71], v[6:7], v[6:7] op_sel:[0,1]
	;; [unrolled: 2-line block ×7, first 2 shown]
                                        ; implicit-def: $sgpr30_sgpr31
	s_and_saveexec_b64 s[28:29], vcc
	s_cbranch_execz .LBB8_91
; %bb.76:
	v_cmp_ne_u64_e32 vcc, v[92:93], v[86:87]
	v_add_u32_e32 v6, 11, v49
	v_cndmask_b32_e64 v120, 0, 1, vcc
	v_cmp_gt_u32_e32 vcc, s77, v6
	v_pk_mov_b32 v[6:7], 0, 0
	s_waitcnt lgkmcnt(0)
	v_mov_b32_e32 v38, v52
	v_mov_b32_e32 v39, v53
	;; [unrolled: 1-line block ×4, first 2 shown]
	v_pk_mov_b32 v[62:63], v[6:7], v[6:7] op_sel:[0,1]
	v_mov_b32_e32 v125, 0
	v_pk_mov_b32 v[70:71], v[6:7], v[6:7] op_sel:[0,1]
	v_mov_b32_e32 v124, 0
	;; [unrolled: 2-line block ×5, first 2 shown]
	v_pk_mov_b32 v[58:59], v[6:7], v[6:7] op_sel:[0,1]
                                        ; implicit-def: $sgpr36_sgpr37
	s_and_saveexec_b64 s[30:31], vcc
	s_cbranch_execz .LBB8_90
; %bb.77:
	ds_read2_b64 v[58:61], v48 offset0:11 offset1:12
	v_cmp_ne_u64_e32 vcc, v[86:87], v[88:89]
	v_add_u32_e32 v6, 12, v49
	v_cndmask_b32_e64 v121, 0, 1, vcc
	v_cmp_gt_u32_e32 vcc, s77, v6
	v_pk_mov_b32 v[6:7], 0, 0
	s_mov_b64 s[38:39], 0
	v_mov_b32_e32 v110, 0
	v_mov_b32_e32 v126, 0
	v_pk_mov_b32 v[62:63], v[6:7], v[6:7] op_sel:[0,1]
	v_mov_b32_e32 v125, 0
	v_pk_mov_b32 v[70:71], v[6:7], v[6:7] op_sel:[0,1]
	;; [unrolled: 2-line block ×5, first 2 shown]
                                        ; implicit-def: $sgpr36_sgpr37
	s_and_saveexec_b64 s[34:35], vcc
	s_cbranch_execz .LBB8_89
; %bb.78:
	v_cmp_ne_u64_e32 vcc, v[88:89], v[82:83]
	v_add_u32_e32 v6, 13, v49
	v_cndmask_b32_e64 v122, 0, 1, vcc
	v_cmp_gt_u32_e32 vcc, s77, v6
	v_pk_mov_b32 v[6:7], 0, 0
	s_waitcnt lgkmcnt(0)
	v_mov_b32_e32 v46, v60
	v_mov_b32_e32 v47, v61
	v_mov_b32_e32 v110, 0
	v_mov_b32_e32 v126, 0
	v_pk_mov_b32 v[62:63], v[6:7], v[6:7] op_sel:[0,1]
	v_mov_b32_e32 v125, 0
	v_pk_mov_b32 v[70:71], v[6:7], v[6:7] op_sel:[0,1]
	v_mov_b32_e32 v124, 0
	;; [unrolled: 2-line block ×3, first 2 shown]
	v_pk_mov_b32 v[66:67], v[6:7], v[6:7] op_sel:[0,1]
                                        ; implicit-def: $sgpr40_sgpr41
	s_and_saveexec_b64 s[36:37], vcc
	s_cbranch_execz .LBB8_88
; %bb.79:
	ds_read2_b64 v[66:69], v48 offset0:13 offset1:14
	v_cmp_ne_u64_e32 vcc, v[82:83], v[84:85]
	v_add_u32_e32 v6, 14, v49
	v_cndmask_b32_e64 v123, 0, 1, vcc
	v_cmp_gt_u32_e32 vcc, s77, v6
	v_pk_mov_b32 v[6:7], 0, 0
	s_mov_b64 s[42:43], 0
	v_mov_b32_e32 v110, 0
	v_mov_b32_e32 v126, 0
	v_pk_mov_b32 v[62:63], v[6:7], v[6:7] op_sel:[0,1]
	v_mov_b32_e32 v125, 0
	v_pk_mov_b32 v[70:71], v[6:7], v[6:7] op_sel:[0,1]
	;; [unrolled: 2-line block ×3, first 2 shown]
                                        ; implicit-def: $sgpr40_sgpr41
	s_and_saveexec_b64 s[38:39], vcc
	s_cbranch_execz .LBB8_87
; %bb.80:
	v_cmp_ne_u64_e32 vcc, v[84:85], v[78:79]
	v_add_u32_e32 v6, 15, v49
	v_cndmask_b32_e64 v124, 0, 1, vcc
	v_cmp_gt_u32_e32 vcc, s77, v6
	v_pk_mov_b32 v[6:7], 0, 0
	s_waitcnt lgkmcnt(0)
	v_mov_b32_e32 v54, v68
	v_mov_b32_e32 v55, v69
	;; [unrolled: 1-line block ×4, first 2 shown]
	v_pk_mov_b32 v[62:63], v[6:7], v[6:7] op_sel:[0,1]
	v_mov_b32_e32 v125, 0
	v_pk_mov_b32 v[70:71], v[6:7], v[6:7] op_sel:[0,1]
                                        ; implicit-def: $sgpr56_sgpr57
	s_and_saveexec_b64 s[40:41], vcc
	s_cbranch_execz .LBB8_86
; %bb.81:
	ds_read2_b64 v[70:73], v48 offset0:15 offset1:16
	v_cmp_ne_u64_e32 vcc, v[78:79], v[80:81]
	v_add_u32_e32 v6, 16, v49
	v_cndmask_b32_e64 v125, 0, 1, vcc
	v_cmp_gt_u32_e32 vcc, s77, v6
	v_pk_mov_b32 v[6:7], 0, 0
	s_mov_b64 s[56:57], 0
	v_mov_b32_e32 v110, 0
	v_mov_b32_e32 v126, 0
	v_pk_mov_b32 v[62:63], v[6:7], v[6:7] op_sel:[0,1]
                                        ; implicit-def: $sgpr72_sgpr73
	s_and_saveexec_b64 s[42:43], vcc
	s_cbranch_execz .LBB8_85
; %bb.82:
	v_cmp_ne_u64_e32 vcc, v[80:81], v[74:75]
	v_add_u32_e32 v6, 17, v49
	s_waitcnt lgkmcnt(0)
	v_mov_b32_e32 v62, v72
	v_mov_b32_e32 v63, v73
	v_cndmask_b32_e64 v126, 0, 1, vcc
	v_cmp_gt_u32_e32 vcc, s77, v6
	v_mov_b32_e32 v110, 0
	v_pk_mov_b32 v[6:7], 0, 0
                                        ; implicit-def: $sgpr72_sgpr73
	s_and_saveexec_b64 s[2:3], vcc
	s_xor_b64 s[74:75], exec, s[2:3]
	s_cbranch_execz .LBB8_84
; %bb.83:
	ds_read2_b64 v[6:9], v48 offset0:17 offset1:18
	v_cmp_ne_u64_e32 vcc, v[76:77], v[4:5]
	v_cmp_ne_u64_e64 s[2:3], v[74:75], v[76:77]
	v_add_u32_e32 v4, 18, v49
	v_cndmask_b32_e64 v110, 0, 1, s[2:3]
	v_cmp_gt_u32_e64 s[2:3], s77, v4
	s_and_b64 s[72:73], vcc, exec
	s_and_b64 s[56:57], s[2:3], exec
	s_waitcnt lgkmcnt(0)
	v_pk_mov_b32 v[64:65], v[6:7], v[6:7] op_sel:[0,1]
.LBB8_84:
	s_or_b64 exec, exec, s[74:75]
	s_and_b64 s[72:73], s[72:73], exec
	s_and_b64 s[2:3], s[56:57], exec
.LBB8_85:
	s_or_b64 exec, exec, s[42:43]
	s_and_b64 s[56:57], s[72:73], exec
	s_and_b64 s[42:43], s[2:3], exec
	s_waitcnt lgkmcnt(0)
	v_pk_mov_b32 v[56:57], v[70:71], v[70:71] op_sel:[0,1]
	v_pk_mov_b32 v[48:49], v[66:67], v[66:67] op_sel:[0,1]
	;; [unrolled: 1-line block ×8, first 2 shown]
.LBB8_86:
	s_or_b64 exec, exec, s[40:41]
	s_and_b64 s[40:41], s[56:57], exec
	s_and_b64 s[2:3], s[42:43], exec
.LBB8_87:
	s_or_b64 exec, exec, s[38:39]
	s_and_b64 s[40:41], s[40:41], exec
	s_and_b64 s[38:39], s[2:3], exec
.LBB8_88:
	s_or_b64 exec, exec, s[36:37]
	s_and_b64 s[36:37], s[40:41], exec
	s_and_b64 s[2:3], s[38:39], exec
.LBB8_89:
	s_or_b64 exec, exec, s[34:35]
	s_and_b64 s[36:37], s[36:37], exec
	s_and_b64 s[34:35], s[2:3], exec
.LBB8_90:
	s_or_b64 exec, exec, s[30:31]
	s_and_b64 s[30:31], s[36:37], exec
	s_and_b64 s[2:3], s[34:35], exec
.LBB8_91:
	s_or_b64 exec, exec, s[28:29]
	s_and_b64 s[30:31], s[30:31], exec
	s_and_b64 s[28:29], s[2:3], exec
.LBB8_92:
	s_or_b64 exec, exec, s[26:27]
	s_and_b64 s[26:27], s[30:31], exec
	s_and_b64 s[2:3], s[28:29], exec
.LBB8_93:
	s_or_b64 exec, exec, s[24:25]
	s_and_b64 s[26:27], s[26:27], exec
	s_and_b64 s[24:25], s[2:3], exec
.LBB8_94:
	s_or_b64 exec, exec, s[22:23]
	s_and_b64 s[22:23], s[26:27], exec
	s_and_b64 s[2:3], s[24:25], exec
.LBB8_95:
	s_or_b64 exec, exec, s[20:21]
	s_and_b64 s[22:23], s[22:23], exec
	s_and_b64 s[20:21], s[2:3], exec
.LBB8_96:
	s_or_b64 exec, exec, s[18:19]
	s_and_b64 s[18:19], s[22:23], exec
	s_and_b64 s[2:3], s[20:21], exec
.LBB8_97:
	s_or_b64 exec, exec, s[16:17]
	s_and_b64 s[18:19], s[18:19], exec
	s_and_b64 s[16:17], s[2:3], exec
.LBB8_98:
	s_or_b64 exec, exec, s[14:15]
	s_and_b64 s[14:15], s[18:19], exec
	s_and_b64 s[2:3], s[16:17], exec
.LBB8_99:
	s_or_b64 exec, exec, s[12:13]
	s_and_b64 s[14:15], s[14:15], exec
	s_and_b64 s[12:13], s[2:3], exec
.LBB8_100:
	s_or_b64 exec, exec, s[10:11]
	s_and_b64 s[2:3], s[14:15], exec
	s_and_b64 s[10:11], s[12:13], exec
.LBB8_101:
	s_or_b64 exec, exec, s[8:9]
	s_mov_b64 s[8:9], 0
	s_and_b64 vcc, exec, s[4:5]
	v_lshlrev_b32_e32 v127, 3, v0
	s_cbranch_vccnz .LBB8_103
	s_branch .LBB8_111
.LBB8_102:
                                        ; implicit-def: $sgpr2_sgpr3
                                        ; implicit-def: $vgpr8_vgpr9
                                        ; implicit-def: $vgpr110
                                        ; implicit-def: $vgpr64_vgpr65
                                        ; implicit-def: $vgpr126
                                        ; implicit-def: $vgpr125
                                        ; implicit-def: $vgpr56_vgpr57
                                        ; implicit-def: $vgpr124
                                        ; implicit-def: $vgpr123
                                        ; implicit-def: $vgpr48_vgpr49
                                        ; implicit-def: $vgpr122
                                        ; implicit-def: $vgpr121
                                        ; implicit-def: $vgpr40_vgpr41
                                        ; implicit-def: $vgpr120
                                        ; implicit-def: $vgpr119
                                        ; implicit-def: $vgpr32_vgpr33
                                        ; implicit-def: $vgpr118
                                        ; implicit-def: $vgpr117
                                        ; implicit-def: $vgpr28_vgpr29
                                        ; implicit-def: $vgpr116
                                        ; implicit-def: $vgpr115
                                        ; implicit-def: $vgpr20_vgpr21
                                        ; implicit-def: $vgpr114
                                        ; implicit-def: $vgpr113
                                        ; implicit-def: $vgpr12_vgpr13
                                        ; implicit-def: $vgpr111
                                        ; implicit-def: $vgpr112
                                        ; implicit-def: $vgpr4_vgpr5
                                        ; implicit-def: $vgpr1
                                        ; implicit-def: $sgpr76
                                        ; implicit-def: $sgpr8_sgpr9
                                        ; implicit-def: $vgpr70_vgpr71
                                        ; implicit-def: $vgpr66_vgpr67
                                        ; implicit-def: $vgpr58_vgpr59
                                        ; implicit-def: $vgpr50_vgpr51
                                        ; implicit-def: $vgpr42_vgpr43
                                        ; implicit-def: $vgpr34_vgpr35
                                        ; implicit-def: $vgpr22_vgpr23
                                        ; implicit-def: $vgpr14_vgpr15
	s_and_b64 vcc, exec, s[4:5]
	v_lshlrev_b32_e32 v127, 3, v0
	s_cbranch_vccz .LBB8_111
.LBB8_103:
	v_mov_b32_e32 v1, s45
	s_waitcnt lgkmcnt(0)
	v_add_co_u32_e32 v2, vcc, s44, v127
	v_addc_co_u32_e32 v3, vcc, 0, v1, vcc
	v_add_co_u32_e32 v20, vcc, 0x1000, v2
	v_addc_co_u32_e32 v21, vcc, 0, v3, vcc
	flat_load_dwordx2 v[4:5], v[2:3]
	flat_load_dwordx2 v[6:7], v[2:3] offset:512
	flat_load_dwordx2 v[8:9], v[2:3] offset:1024
	;; [unrolled: 1-line block ×7, first 2 shown]
	v_add_co_u32_e32 v2, vcc, 0x2000, v2
	v_addc_co_u32_e32 v3, vcc, 0, v3, vcc
	flat_load_dwordx2 v[22:23], v[20:21]
	flat_load_dwordx2 v[24:25], v[20:21] offset:512
	flat_load_dwordx2 v[26:27], v[20:21] offset:1024
	;; [unrolled: 1-line block ×7, first 2 shown]
	s_nop 0
	flat_load_dwordx2 v[20:21], v[2:3]
	flat_load_dwordx2 v[38:39], v[2:3] offset:512
	flat_load_dwordx2 v[40:41], v[2:3] offset:1024
	s_movk_i32 s2, 0x90
	v_mad_u32_u24 v1, v0, s2, v127
	s_cmp_eq_u64 s[70:71], 0
	s_waitcnt vmcnt(0) lgkmcnt(0)
	ds_write2st64_b64 v127, v[4:5], v[6:7] offset1:1
	ds_write2st64_b64 v127, v[8:9], v[10:11] offset0:2 offset1:3
	ds_write2st64_b64 v127, v[12:13], v[14:15] offset0:4 offset1:5
	;; [unrolled: 1-line block ×8, first 2 shown]
	ds_write_b64 v127, v[40:41] offset:9216
	s_waitcnt lgkmcnt(0)
	; wave barrier
	s_waitcnt lgkmcnt(0)
	ds_read2_b64 v[14:17], v1 offset1:1
	ds_read2_b64 v[2:5], v1 offset0:2 offset1:3
	ds_read2_b64 v[6:9], v1 offset0:4 offset1:5
	;; [unrolled: 1-line block ×8, first 2 shown]
	ds_read_b64 v[38:39], v1 offset:144
	s_cbranch_scc1 .LBB8_108
; %bb.104:
	s_andn2_b64 vcc, exec, s[68:69]
	s_cbranch_vccnz .LBB8_256
; %bb.105:
	s_lshl_b64 s[2:3], s[70:71], 3
	s_add_u32 s2, s62, s2
	s_addc_u32 s3, s63, s3
	s_add_u32 s2, s2, -8
	s_addc_u32 s3, s3, -1
	s_cbranch_execnz .LBB8_107
.LBB8_106:
	s_add_u32 s2, s44, -8
	s_addc_u32 s3, s45, -1
.LBB8_107:
	s_mov_b64 s[44:45], s[2:3]
.LBB8_108:
	v_pk_mov_b32 v[40:41], s[44:45], s[44:45] op_sel:[0,1]
	flat_load_dwordx2 v[42:43], v[40:41]
	s_movk_i32 s2, 0xff70
	v_mad_i32_i24 v40, v0, s2, v1
	v_cmp_ne_u32_e32 vcc, 0, v0
	s_waitcnt lgkmcnt(0)
	ds_write_b64 v40, v[38:39] offset:9728
	s_waitcnt lgkmcnt(0)
	; wave barrier
	s_waitcnt lgkmcnt(0)
	s_and_saveexec_b64 s[2:3], vcc
	s_cbranch_execz .LBB8_110
; %bb.109:
	v_mul_i32_i24_e32 v40, 0xffffff70, v0
	v_add_u32_e32 v40, v1, v40
	s_waitcnt vmcnt(0)
	ds_read_b64 v[42:43], v40 offset:9720
.LBB8_110:
	s_or_b64 exec, exec, s[2:3]
	v_mov_b32_e32 v41, s55
	v_add_co_u32_e32 v40, vcc, s7, v127
	v_addc_co_u32_e32 v41, vcc, 0, v41, vcc
	s_movk_i32 s2, 0x1000
	v_add_co_u32_e32 v60, vcc, s2, v40
	v_addc_co_u32_e32 v61, vcc, 0, v41, vcc
	s_movk_i32 s2, 0x2000
	s_waitcnt lgkmcnt(0)
	; wave barrier
	s_waitcnt lgkmcnt(0)
	flat_load_dwordx2 v[44:45], v[40:41]
	flat_load_dwordx2 v[46:47], v[40:41] offset:512
	flat_load_dwordx2 v[48:49], v[40:41] offset:1024
	;; [unrolled: 1-line block ×7, first 2 shown]
	v_add_co_u32_e32 v40, vcc, s2, v40
	v_addc_co_u32_e32 v41, vcc, 0, v41, vcc
	flat_load_dwordx2 v[62:63], v[60:61]
	flat_load_dwordx2 v[64:65], v[60:61] offset:512
	flat_load_dwordx2 v[66:67], v[60:61] offset:1024
	flat_load_dwordx2 v[68:69], v[60:61] offset:1536
	flat_load_dwordx2 v[70:71], v[60:61] offset:2048
	flat_load_dwordx2 v[72:73], v[60:61] offset:2560
	flat_load_dwordx2 v[74:75], v[60:61] offset:3072
	flat_load_dwordx2 v[76:77], v[60:61] offset:3584
	s_nop 0
	flat_load_dwordx2 v[60:61], v[40:41]
	flat_load_dwordx2 v[78:79], v[40:41] offset:512
	flat_load_dwordx2 v[80:81], v[40:41] offset:1024
	v_cmp_ne_u64_e32 vcc, v[34:35], v[36:37]
	v_cndmask_b32_e64 v110, 0, 1, vcc
	v_cmp_ne_u64_e32 vcc, v[32:33], v[34:35]
	v_cndmask_b32_e64 v126, 0, 1, vcc
	;; [unrolled: 2-line block ×14, first 2 shown]
	v_cmp_ne_u64_e32 vcc, v[2:3], v[4:5]
	v_cmp_ne_u64_e64 s[2:3], v[36:37], v[38:39]
	v_cndmask_b32_e64 v113, 0, 1, vcc
	v_cmp_ne_u64_e32 vcc, v[16:17], v[2:3]
	v_cndmask_b32_e64 v111, 0, 1, vcc
	v_cmp_ne_u64_e32 vcc, v[14:15], v[16:17]
	v_cndmask_b32_e64 v112, 0, 1, vcc
	s_waitcnt vmcnt(0)
	v_cmp_ne_u64_e32 vcc, v[42:43], v[14:15]
	s_mov_b64 s[10:11], -1
                                        ; implicit-def: $sgpr76
                                        ; implicit-def: $sgpr8_sgpr9
                                        ; implicit-def: $vgpr42_vgpr43
                                        ; implicit-def: $vgpr34_vgpr35
                                        ; implicit-def: $vgpr22_vgpr23
                                        ; implicit-def: $vgpr14_vgpr15
	s_waitcnt lgkmcnt(0)
	ds_write2st64_b64 v127, v[44:45], v[46:47] offset1:1
	ds_write2st64_b64 v127, v[48:49], v[50:51] offset0:2 offset1:3
	ds_write2st64_b64 v127, v[52:53], v[54:55] offset0:4 offset1:5
	;; [unrolled: 1-line block ×8, first 2 shown]
	ds_write_b64 v127, v[80:81] offset:9216
	s_waitcnt lgkmcnt(0)
	; wave barrier
	s_waitcnt lgkmcnt(0)
	ds_read2_b64 v[2:5], v1 offset1:1
	ds_read2_b64 v[10:13], v1 offset0:2 offset1:3
	ds_read2_b64 v[18:21], v1 offset0:4 offset1:5
	;; [unrolled: 1-line block ×8, first 2 shown]
	ds_read_b64 v[8:9], v1 offset:144
	v_cndmask_b32_e64 v1, 0, 1, vcc
                                        ; implicit-def: $vgpr70_vgpr71
                                        ; implicit-def: $vgpr66_vgpr67
                                        ; implicit-def: $vgpr58_vgpr59
                                        ; implicit-def: $vgpr50_vgpr51
.LBB8_111:
	s_waitcnt lgkmcnt(0)
	v_pk_mov_b32 v[16:17], s[8:9], s[8:9] op_sel:[0,1]
	v_mov_b32_e32 v36, s76
	s_and_saveexec_b64 s[4:5], s[10:11]
; %bb.112:
	v_cndmask_b32_e64 v36, 0, 1, s[2:3]
	v_pk_mov_b32 v[14:15], v[4:5], v[4:5] op_sel:[0,1]
	v_pk_mov_b32 v[22:23], v[12:13], v[12:13] op_sel:[0,1]
	;; [unrolled: 1-line block ×10, first 2 shown]
; %bb.113:
	s_or_b64 exec, exec, s[4:5]
	v_or_b32_e32 v4, v36, v110
	s_cmp_lg_u32 s6, 0
	v_or_b32_e32 v29, v4, v126
	v_mbcnt_lo_u32_b32 v28, -1, 0
	s_waitcnt lgkmcnt(0)
	; wave barrier
	s_cbranch_scc0 .LBB8_172
; %bb.114:
	v_mov_b32_e32 v4, 0
	v_cmp_eq_u16_sdwa s[38:39], v112, v4 src0_sel:BYTE_0 src1_sel:DWORD
	v_cndmask_b32_e64 v9, 0, v2, s[38:39]
	v_cndmask_b32_e64 v5, 0, v3, s[38:39]
	v_add_co_u32_e32 v9, vcc, v9, v14
	v_cmp_eq_u16_sdwa s[36:37], v111, v4 src0_sel:BYTE_0 src1_sel:DWORD
	v_addc_co_u32_e32 v5, vcc, v5, v15, vcc
	v_cndmask_b32_e64 v9, 0, v9, s[36:37]
	v_cndmask_b32_e64 v5, 0, v5, s[36:37]
	v_add_co_u32_e32 v9, vcc, v9, v10
	v_cmp_eq_u16_sdwa s[34:35], v113, v4 src0_sel:BYTE_0 src1_sel:DWORD
	v_addc_co_u32_e32 v5, vcc, v5, v11, vcc
	v_cndmask_b32_e64 v9, 0, v9, s[34:35]
	v_cndmask_b32_e64 v5, 0, v5, s[34:35]
	v_add_co_u32_e32 v9, vcc, v9, v22
	v_cmp_eq_u16_sdwa s[30:31], v114, v4 src0_sel:BYTE_0 src1_sel:DWORD
	v_addc_co_u32_e32 v5, vcc, v5, v23, vcc
	v_cndmask_b32_e64 v9, 0, v9, s[30:31]
	v_cndmask_b32_e64 v5, 0, v5, s[30:31]
	v_add_co_u32_e32 v9, vcc, v9, v18
	v_cmp_eq_u16_sdwa s[28:29], v115, v4 src0_sel:BYTE_0 src1_sel:DWORD
	v_addc_co_u32_e32 v5, vcc, v5, v19, vcc
	v_cndmask_b32_e64 v9, 0, v9, s[28:29]
	v_cndmask_b32_e64 v5, 0, v5, s[28:29]
	v_add_co_u32_e32 v9, vcc, v9, v34
	v_cmp_eq_u16_sdwa s[26:27], v116, v4 src0_sel:BYTE_0 src1_sel:DWORD
	v_addc_co_u32_e32 v5, vcc, v5, v35, vcc
	v_cndmask_b32_e64 v9, 0, v9, s[26:27]
	v_cndmask_b32_e64 v5, 0, v5, s[26:27]
	v_add_co_u32_e32 v9, vcc, v9, v26
	v_cmp_eq_u16_sdwa s[24:25], v117, v4 src0_sel:BYTE_0 src1_sel:DWORD
	v_addc_co_u32_e32 v5, vcc, v5, v27, vcc
	v_cndmask_b32_e64 v9, 0, v9, s[24:25]
	v_cndmask_b32_e64 v5, 0, v5, s[24:25]
	v_add_co_u32_e32 v9, vcc, v9, v42
	v_cmp_eq_u16_sdwa s[22:23], v118, v4 src0_sel:BYTE_0 src1_sel:DWORD
	v_addc_co_u32_e32 v5, vcc, v5, v43, vcc
	v_cndmask_b32_e64 v9, 0, v9, s[22:23]
	v_cndmask_b32_e64 v5, 0, v5, s[22:23]
	v_add_co_u32_e32 v9, vcc, v9, v30
	v_cmp_eq_u16_sdwa s[20:21], v119, v4 src0_sel:BYTE_0 src1_sel:DWORD
	v_addc_co_u32_e32 v5, vcc, v5, v31, vcc
	v_cndmask_b32_e64 v9, 0, v9, s[20:21]
	v_cndmask_b32_e64 v5, 0, v5, s[20:21]
	v_add_co_u32_e32 v9, vcc, v9, v50
	v_cmp_eq_u16_sdwa s[18:19], v120, v4 src0_sel:BYTE_0 src1_sel:DWORD
	v_addc_co_u32_e32 v5, vcc, v5, v51, vcc
	v_cndmask_b32_e64 v9, 0, v9, s[18:19]
	v_cndmask_b32_e64 v5, 0, v5, s[18:19]
	v_add_co_u32_e32 v9, vcc, v9, v38
	v_cmp_eq_u16_sdwa s[16:17], v121, v4 src0_sel:BYTE_0 src1_sel:DWORD
	v_addc_co_u32_e32 v5, vcc, v5, v39, vcc
	v_cndmask_b32_e64 v9, 0, v9, s[16:17]
	v_cndmask_b32_e64 v5, 0, v5, s[16:17]
	v_add_co_u32_e32 v9, vcc, v9, v58
	v_cmp_eq_u16_sdwa s[14:15], v122, v4 src0_sel:BYTE_0 src1_sel:DWORD
	v_addc_co_u32_e32 v5, vcc, v5, v59, vcc
	v_cndmask_b32_e64 v9, 0, v9, s[14:15]
	v_cndmask_b32_e64 v5, 0, v5, s[14:15]
	v_add_co_u32_e32 v9, vcc, v9, v46
	v_cmp_eq_u16_sdwa s[12:13], v123, v4 src0_sel:BYTE_0 src1_sel:DWORD
	v_addc_co_u32_e32 v5, vcc, v5, v47, vcc
	v_cndmask_b32_e64 v9, 0, v9, s[12:13]
	v_cndmask_b32_e64 v5, 0, v5, s[12:13]
	v_add_co_u32_e32 v9, vcc, v9, v66
	v_cmp_eq_u16_sdwa s[10:11], v124, v4 src0_sel:BYTE_0 src1_sel:DWORD
	v_addc_co_u32_e32 v5, vcc, v5, v67, vcc
	v_cndmask_b32_e64 v9, 0, v9, s[10:11]
	v_cndmask_b32_e64 v5, 0, v5, s[10:11]
	v_add_co_u32_e32 v9, vcc, v9, v54
	v_cmp_eq_u16_sdwa s[8:9], v125, v4 src0_sel:BYTE_0 src1_sel:DWORD
	v_addc_co_u32_e32 v5, vcc, v5, v55, vcc
	v_cndmask_b32_e64 v9, 0, v9, s[8:9]
	v_cndmask_b32_e64 v5, 0, v5, s[8:9]
	v_add_co_u32_e32 v9, vcc, v9, v70
	v_cmp_eq_u16_sdwa s[42:43], v126, v4 src0_sel:BYTE_0 src1_sel:DWORD
	v_addc_co_u32_e32 v5, vcc, v5, v71, vcc
	v_cndmask_b32_e64 v9, 0, v9, s[42:43]
	v_cndmask_b32_e64 v5, 0, v5, s[42:43]
	v_add_co_u32_e32 v9, vcc, v9, v62
	v_cmp_eq_u16_sdwa s[4:5], v110, v4 src0_sel:BYTE_0 src1_sel:DWORD
	v_addc_co_u32_e32 v5, vcc, v5, v63, vcc
	v_cndmask_b32_e64 v9, 0, v9, s[4:5]
	v_add_co_u32_e32 v9, vcc, v9, v6
	v_cmp_eq_u16_sdwa s[2:3], v36, v4 src0_sel:BYTE_0 src1_sel:DWORD
	v_cndmask_b32_e64 v4, 0, v9, s[2:3]
	v_or_b32_e32 v9, v29, v125
	v_or_b32_e32 v9, v9, v124
	;; [unrolled: 1-line block ×12, first 2 shown]
	v_cndmask_b32_e64 v5, 0, v5, s[4:5]
	v_or_b32_e32 v9, v9, v113
	v_addc_co_u32_e32 v5, vcc, v5, v7, vcc
	v_or_b32_e32 v9, v9, v111
	v_cndmask_b32_e64 v5, 0, v5, s[2:3]
	v_add_co_u32_e32 v4, vcc, v4, v16
	v_or_b32_e32 v9, v9, v112
	v_addc_co_u32_e32 v5, vcc, v5, v17, vcc
	v_and_b32_e32 v9, 1, v9
	v_and_b32_e32 v8, 0xff, v1
	v_cmp_eq_u32_e32 vcc, 1, v9
	v_mbcnt_hi_u32_b32 v9, -1, v28
	v_cndmask_b32_e64 v8, v8, 1, vcc
	v_and_b32_e32 v12, 15, v9
	v_mov_b32_dpp v20, v4 row_shr:1 row_mask:0xf bank_mask:0xf
	v_mov_b32_dpp v21, v5 row_shr:1 row_mask:0xf bank_mask:0xf
	;; [unrolled: 1-line block ×3, first 2 shown]
	v_cmp_ne_u32_e32 vcc, 0, v12
	s_and_saveexec_b64 s[40:41], vcc
; %bb.115:
	v_cmp_eq_u32_e32 vcc, 0, v8
	v_cndmask_b32_e32 v20, 0, v20, vcc
	v_cndmask_b32_e32 v21, 0, v21, vcc
	v_add_co_u32_e32 v4, vcc, v20, v4
	v_addc_co_u32_e32 v5, vcc, v21, v5, vcc
	v_and_or_b32 v8, v13, 1, v8
; %bb.116:
	s_or_b64 exec, exec, s[40:41]
	v_mov_b32_dpp v20, v4 row_shr:2 row_mask:0xf bank_mask:0xf
	v_mov_b32_dpp v21, v5 row_shr:2 row_mask:0xf bank_mask:0xf
	v_mov_b32_dpp v13, v8 row_shr:2 row_mask:0xf bank_mask:0xf
	v_cmp_lt_u32_e32 vcc, 1, v12
	s_and_saveexec_b64 s[40:41], vcc
; %bb.117:
	v_cmp_eq_u32_e32 vcc, 0, v8
	v_cndmask_b32_e32 v20, 0, v20, vcc
	v_cndmask_b32_e32 v21, 0, v21, vcc
	v_add_co_u32_e32 v4, vcc, v20, v4
	v_or_b32_e32 v8, v13, v8
	v_addc_co_u32_e32 v5, vcc, v21, v5, vcc
	v_and_b32_e32 v8, 1, v8
; %bb.118:
	s_or_b64 exec, exec, s[40:41]
	v_mov_b32_dpp v20, v4 row_shr:4 row_mask:0xf bank_mask:0xf
	v_mov_b32_dpp v21, v5 row_shr:4 row_mask:0xf bank_mask:0xf
	v_mov_b32_dpp v13, v8 row_shr:4 row_mask:0xf bank_mask:0xf
	v_cmp_lt_u32_e32 vcc, 3, v12
	s_and_saveexec_b64 s[40:41], vcc
; %bb.119:
	v_cmp_eq_u32_e32 vcc, 0, v8
	v_cndmask_b32_e32 v20, 0, v20, vcc
	v_cndmask_b32_e32 v21, 0, v21, vcc
	v_add_co_u32_e32 v4, vcc, v20, v4
	v_or_b32_e32 v8, v13, v8
	v_addc_co_u32_e32 v5, vcc, v21, v5, vcc
	v_and_b32_e32 v8, 1, v8
	;; [unrolled: 15-line block ×3, first 2 shown]
; %bb.122:
	s_or_b64 exec, exec, s[40:41]
	v_and_b32_e32 v21, 16, v9
	v_mov_b32_dpp v13, v4 row_bcast:15 row_mask:0xf bank_mask:0xf
	v_mov_b32_dpp v20, v5 row_bcast:15 row_mask:0xf bank_mask:0xf
	;; [unrolled: 1-line block ×3, first 2 shown]
	v_cmp_ne_u32_e32 vcc, 0, v21
	s_and_saveexec_b64 s[40:41], vcc
; %bb.123:
	v_cmp_eq_u32_e32 vcc, 0, v8
	v_cndmask_b32_e32 v13, 0, v13, vcc
	v_cndmask_b32_e32 v20, 0, v20, vcc
	v_add_co_u32_e32 v4, vcc, v13, v4
	v_or_b32_e32 v8, v12, v8
	v_addc_co_u32_e32 v5, vcc, v20, v5, vcc
	v_and_b32_e32 v8, 1, v8
; %bb.124:
	s_or_b64 exec, exec, s[40:41]
	v_mov_b32_dpp v20, v4 row_bcast:31 row_mask:0xf bank_mask:0xf
	v_mov_b32_dpp v21, v5 row_bcast:31 row_mask:0xf bank_mask:0xf
	;; [unrolled: 1-line block ×3, first 2 shown]
	v_cmp_lt_u32_e32 vcc, 31, v9
	v_mov_b32_e32 v12, v8
	s_and_saveexec_b64 s[40:41], vcc
; %bb.125:
	v_cmp_eq_u32_e32 vcc, 0, v8
	v_cndmask_b32_e32 v20, 0, v20, vcc
	v_cndmask_b32_e32 v12, 0, v21, vcc
	v_add_co_u32_e32 v4, vcc, v20, v4
	v_or_b32_e32 v8, v13, v8
	v_addc_co_u32_e32 v5, vcc, v12, v5, vcc
	v_and_b32_e32 v12, 1, v8
	v_and_b32_e32 v8, 1, v8
; %bb.126:
	s_or_b64 exec, exec, s[40:41]
	v_cmp_eq_u32_e32 vcc, 63, v0
	s_and_saveexec_b64 s[40:41], vcc
	s_cbranch_execz .LBB8_128
; %bb.127:
	v_mov_b32_e32 v13, 0
	ds_write_b64 v13, v[4:5]
	ds_write_b8 v13, v12 offset:8
.LBB8_128:
	s_or_b64 exec, exec, s[40:41]
	v_add_u32_e32 v12, -1, v9
	v_and_b32_e32 v13, 64, v9
	v_cmp_lt_i32_e32 vcc, v12, v13
	v_cndmask_b32_e32 v12, v12, v9, vcc
	v_lshlrev_b32_e32 v12, 2, v12
	ds_bpermute_b32 v33, v12, v4
	ds_bpermute_b32 v37, v12, v5
	;; [unrolled: 1-line block ×3, first 2 shown]
	v_cmp_gt_u32_e32 vcc, 64, v0
	s_waitcnt lgkmcnt(0)
	; wave barrier
	s_waitcnt lgkmcnt(0)
	s_and_saveexec_b64 s[56:57], vcc
	s_cbranch_execz .LBB8_171
; %bb.129:
	v_mov_b32_e32 v13, 0
	ds_read_b64 v[4:5], v13
	ds_read_u8 v40, v13 offset:8
	s_mov_b32 s63, 0
	v_cmp_eq_u32_e64 s[40:41], 0, v9
	s_and_saveexec_b64 s[44:45], s[40:41]
	s_cbranch_execz .LBB8_131
; %bb.130:
	s_add_i32 s62, s6, 64
	s_lshl_b64 s[68:69], s[62:63], 4
	s_add_u32 s68, s48, s68
	s_addc_u32 s69, s49, s69
	v_mov_b32_e32 v8, s62
	v_mov_b32_e32 v12, 1
	s_waitcnt lgkmcnt(1)
	global_store_dwordx2 v13, v[4:5], s[68:69]
	s_waitcnt lgkmcnt(0)
	global_store_byte v13, v40, s[68:69] offset:8
	s_waitcnt vmcnt(0)
	buffer_wbinvl1_vol
	global_store_byte v8, v12, s[52:53]
.LBB8_131:
	s_or_b64 exec, exec, s[44:45]
	v_xad_u32 v8, v9, -1, s6
	v_add_u32_e32 v12, 64, v8
	global_load_ubyte v41, v12, s[52:53] glc
	s_waitcnt vmcnt(0)
	v_cmp_eq_u16_e32 vcc, 0, v41
	s_and_saveexec_b64 s[44:45], vcc
	s_cbranch_execz .LBB8_135
; %bb.132:
	v_mov_b32_e32 v21, s53
	v_add_co_u32_e32 v20, vcc, s52, v12
	v_addc_co_u32_e32 v21, vcc, 0, v21, vcc
	s_mov_b64 s[62:63], 0
.LBB8_133:                              ; =>This Inner Loop Header: Depth=1
	global_load_ubyte v41, v[20:21], off glc
	s_waitcnt vmcnt(0)
	v_cmp_ne_u16_e32 vcc, 0, v41
	s_or_b64 s[62:63], vcc, s[62:63]
	s_andn2_b64 exec, exec, s[62:63]
	s_cbranch_execnz .LBB8_133
; %bb.134:
	s_or_b64 exec, exec, s[62:63]
.LBB8_135:
	s_or_b64 exec, exec, s[44:45]
	v_mov_b32_e32 v20, s51
	v_mov_b32_e32 v21, s49
	v_cmp_eq_u16_e32 vcc, 1, v41
	v_cndmask_b32_e32 v20, v20, v21, vcc
	v_mov_b32_e32 v21, s50
	v_mov_b32_e32 v24, s48
	v_cndmask_b32_e32 v21, v21, v24, vcc
	v_lshlrev_b64 v[12:13], 4, v[12:13]
	v_add_co_u32_e32 v12, vcc, v21, v12
	v_addc_co_u32_e32 v13, vcc, v20, v13, vcc
	s_waitcnt lgkmcnt(0)
	buffer_wbinvl1_vol
	global_load_dwordx2 v[24:25], v[12:13], off
	global_load_ubyte v72, v[12:13], off offset:8
	v_cmp_eq_u16_e32 vcc, 2, v41
	v_lshlrev_b64 v[12:13], v9, -1
	v_and_b32_e32 v44, 63, v9
	v_and_b32_e32 v20, vcc_hi, v13
	v_and_b32_e32 v53, vcc_lo, v12
	v_cmp_ne_u32_e32 vcc, 63, v44
	v_addc_co_u32_e32 v21, vcc, 0, v9, vcc
	v_lshlrev_b32_e32 v45, 2, v21
	v_or_b32_e32 v20, 0x80000000, v20
	v_ffbl_b32_e32 v20, v20
	v_add_u32_e32 v20, 32, v20
	v_ffbl_b32_e32 v53, v53
	v_min_u32_e32 v20, v53, v20
	v_cmp_lt_u32_e32 vcc, v44, v20
	s_waitcnt vmcnt(1)
	ds_bpermute_b32 v49, v45, v24
	s_waitcnt vmcnt(0)
	v_and_b32_e32 v21, 1, v72
	ds_bpermute_b32 v52, v45, v25
	ds_bpermute_b32 v48, v45, v21
	s_and_saveexec_b64 s[44:45], vcc
	s_cbranch_execz .LBB8_137
; %bb.136:
	v_mov_b32_e32 v21, 0
	v_cmp_eq_u16_sdwa vcc, v72, v21 src0_sel:BYTE_0 src1_sel:DWORD
	s_waitcnt lgkmcnt(2)
	v_cndmask_b32_e32 v49, 0, v49, vcc
	s_waitcnt lgkmcnt(1)
	v_cndmask_b32_e32 v21, 0, v52, vcc
	v_add_co_u32_e32 v24, vcc, v49, v24
	v_addc_co_u32_e32 v25, vcc, v21, v25, vcc
	s_waitcnt lgkmcnt(0)
	v_and_b32_e32 v21, 1, v48
	v_or_b32_e32 v72, v21, v72
	v_and_b32_e32 v21, 0xff, v72
.LBB8_137:
	s_or_b64 exec, exec, s[44:45]
	v_cmp_gt_u32_e32 vcc, 62, v44
	s_waitcnt lgkmcnt(0)
	v_cndmask_b32_e64 v48, 0, 1, vcc
	v_lshlrev_b32_e32 v48, 1, v48
	v_add_lshl_u32 v48, v48, v9, 2
	ds_bpermute_b32 v53, v48, v24
	ds_bpermute_b32 v56, v48, v25
	ds_bpermute_b32 v52, v48, v21
	v_add_u32_e32 v49, 2, v44
	v_cmp_le_u32_e32 vcc, v49, v20
	s_and_saveexec_b64 s[62:63], vcc
	s_cbranch_execz .LBB8_139
; %bb.138:
	v_mov_b32_e32 v21, 0
	v_cmp_eq_u16_sdwa vcc, v72, v21 src0_sel:BYTE_0 src1_sel:DWORD
	s_waitcnt lgkmcnt(2)
	v_cndmask_b32_e32 v53, 0, v53, vcc
	s_waitcnt lgkmcnt(1)
	v_cndmask_b32_e32 v21, 0, v56, vcc
	v_add_co_u32_e32 v24, vcc, v53, v24
	v_addc_co_u32_e32 v25, vcc, v21, v25, vcc
	v_and_b32_e32 v21, 1, v72
	v_cmp_eq_u32_e32 vcc, 1, v21
	s_waitcnt lgkmcnt(0)
	v_and_b32_e32 v21, 1, v52
	v_cmp_eq_u32_e64 s[44:45], 1, v21
	s_or_b64 s[44:45], vcc, s[44:45]
	v_cndmask_b32_e64 v72, 0, 1, s[44:45]
	v_cndmask_b32_e64 v21, 0, 1, s[44:45]
.LBB8_139:
	s_or_b64 exec, exec, s[62:63]
	v_cmp_gt_u32_e32 vcc, 60, v44
	s_waitcnt lgkmcnt(0)
	v_cndmask_b32_e64 v52, 0, 1, vcc
	v_lshlrev_b32_e32 v52, 2, v52
	v_add_lshl_u32 v52, v52, v9, 2
	ds_bpermute_b32 v57, v52, v24
	ds_bpermute_b32 v60, v52, v25
	ds_bpermute_b32 v56, v52, v21
	v_add_u32_e32 v53, 4, v44
	v_cmp_le_u32_e32 vcc, v53, v20
	s_and_saveexec_b64 s[62:63], vcc
	s_cbranch_execz .LBB8_141
; %bb.140:
	v_mov_b32_e32 v21, 0
	v_cmp_eq_u16_sdwa vcc, v72, v21 src0_sel:BYTE_0 src1_sel:DWORD
	s_waitcnt lgkmcnt(2)
	v_cndmask_b32_e32 v57, 0, v57, vcc
	s_waitcnt lgkmcnt(1)
	v_cndmask_b32_e32 v21, 0, v60, vcc
	v_add_co_u32_e32 v24, vcc, v57, v24
	v_addc_co_u32_e32 v25, vcc, v21, v25, vcc
	v_and_b32_e32 v21, 1, v72
	v_cmp_eq_u32_e32 vcc, 1, v21
	s_waitcnt lgkmcnt(0)
	v_and_b32_e32 v21, 1, v56
	v_cmp_eq_u32_e64 s[44:45], 1, v21
	s_or_b64 s[44:45], vcc, s[44:45]
	v_cndmask_b32_e64 v72, 0, 1, s[44:45]
	v_cndmask_b32_e64 v21, 0, 1, s[44:45]
.LBB8_141:
	;; [unrolled: 31-line block ×4, first 2 shown]
	s_or_b64 exec, exec, s[62:63]
	v_cmp_gt_u32_e32 vcc, 32, v44
	s_waitcnt lgkmcnt(0)
	v_cndmask_b32_e64 v64, 0, 1, vcc
	v_lshlrev_b32_e32 v64, 5, v64
	v_add_lshl_u32 v65, v64, v9, 2
	ds_bpermute_b32 v64, v65, v24
	ds_bpermute_b32 v69, v65, v25
	;; [unrolled: 1-line block ×3, first 2 shown]
	v_add_u32_e32 v68, 32, v44
	v_cmp_le_u32_e32 vcc, v68, v20
	s_and_saveexec_b64 s[62:63], vcc
	s_cbranch_execz .LBB8_147
; %bb.146:
	v_mov_b32_e32 v20, 0
	v_cmp_eq_u16_sdwa vcc, v72, v20 src0_sel:BYTE_0 src1_sel:DWORD
	s_waitcnt lgkmcnt(2)
	v_cndmask_b32_e32 v21, 0, v64, vcc
	s_waitcnt lgkmcnt(1)
	v_cndmask_b32_e32 v20, 0, v69, vcc
	v_add_co_u32_e32 v24, vcc, v21, v24
	v_addc_co_u32_e32 v25, vcc, v20, v25, vcc
	v_and_b32_e32 v20, 1, v72
	s_waitcnt lgkmcnt(0)
	v_and_b32_e32 v9, 1, v9
	v_cmp_eq_u32_e32 vcc, 1, v20
	v_cmp_eq_u32_e64 s[44:45], 1, v9
	s_or_b64 s[44:45], vcc, s[44:45]
	v_cndmask_b32_e64 v72, 0, 1, s[44:45]
.LBB8_147:
	s_or_b64 exec, exec, s[62:63]
	s_waitcnt lgkmcnt(0)
	v_mov_b32_e32 v9, 0
	v_mov_b32_e32 v69, 2
	s_branch .LBB8_149
.LBB8_148:                              ;   in Loop: Header=BB8_149 Depth=1
	s_or_b64 exec, exec, s[68:69]
	v_cmp_eq_u16_sdwa vcc, v64, v9 src0_sel:BYTE_0 src1_sel:DWORD
	v_cndmask_b32_e32 v24, 0, v24, vcc
	v_cndmask_b32_e32 v25, 0, v25, vcc
	v_add_co_u32_e32 v24, vcc, v24, v20
	v_addc_co_u32_e32 v25, vcc, v25, v21, vcc
	v_and_b32_e32 v72, 1, v64
	v_cmp_eq_u32_e32 vcc, 1, v72
	s_or_b64 s[44:45], vcc, s[62:63]
	v_subrev_u32_e32 v8, 64, v8
	v_cndmask_b32_e64 v72, 0, 1, s[44:45]
.LBB8_149:                              ; =>This Loop Header: Depth=1
                                        ;     Child Loop BB8_152 Depth 2
	v_cmp_ne_u16_sdwa s[44:45], v41, v69 src0_sel:BYTE_0 src1_sel:DWORD
	v_cndmask_b32_e64 v20, 0, 1, s[44:45]
	;;#ASMSTART
	;;#ASMEND
	v_cmp_ne_u32_e32 vcc, 0, v20
	v_mov_b32_e32 v64, v72
	s_cmp_lg_u64 vcc, exec
	v_pk_mov_b32 v[20:21], v[24:25], v[24:25] op_sel:[0,1]
	s_cbranch_scc1 .LBB8_166
; %bb.150:                              ;   in Loop: Header=BB8_149 Depth=1
	global_load_ubyte v41, v8, s[52:53] glc
	s_waitcnt vmcnt(0)
	v_cmp_eq_u16_e32 vcc, 0, v41
	s_and_saveexec_b64 s[44:45], vcc
	s_cbranch_execz .LBB8_154
; %bb.151:                              ;   in Loop: Header=BB8_149 Depth=1
	v_mov_b32_e32 v25, s53
	v_add_co_u32_e32 v24, vcc, s52, v8
	v_addc_co_u32_e32 v25, vcc, 0, v25, vcc
	s_mov_b64 s[62:63], 0
.LBB8_152:                              ;   Parent Loop BB8_149 Depth=1
                                        ; =>  This Inner Loop Header: Depth=2
	global_load_ubyte v41, v[24:25], off glc
	s_waitcnt vmcnt(0)
	v_cmp_ne_u16_e32 vcc, 0, v41
	s_or_b64 s[62:63], vcc, s[62:63]
	s_andn2_b64 exec, exec, s[62:63]
	s_cbranch_execnz .LBB8_152
; %bb.153:                              ;   in Loop: Header=BB8_149 Depth=1
	s_or_b64 exec, exec, s[62:63]
.LBB8_154:                              ;   in Loop: Header=BB8_149 Depth=1
	s_or_b64 exec, exec, s[44:45]
	v_mov_b32_e32 v24, s51
	v_mov_b32_e32 v25, s49
	v_cmp_eq_u16_e32 vcc, 1, v41
	v_cndmask_b32_e32 v73, v24, v25, vcc
	v_mov_b32_e32 v24, s50
	v_mov_b32_e32 v25, s48
	v_cndmask_b32_e32 v72, v24, v25, vcc
	v_lshlrev_b64 v[24:25], 4, v[8:9]
	v_add_co_u32_e32 v72, vcc, v72, v24
	v_addc_co_u32_e32 v73, vcc, v73, v25, vcc
	buffer_wbinvl1_vol
	global_load_dwordx2 v[24:25], v[72:73], off
	s_nop 0
	global_load_ubyte v72, v[72:73], off offset:8
	v_cmp_eq_u16_e32 vcc, 2, v41
	v_and_b32_e32 v73, vcc_hi, v13
	v_or_b32_e32 v73, 0x80000000, v73
	v_and_b32_e32 v78, vcc_lo, v12
	v_ffbl_b32_e32 v73, v73
	v_add_u32_e32 v73, 32, v73
	v_ffbl_b32_e32 v78, v78
	v_min_u32_e32 v73, v78, v73
	v_cmp_lt_u32_e32 vcc, v44, v73
	s_waitcnt vmcnt(1) lgkmcnt(1)
	ds_bpermute_b32 v76, v45, v24
	s_waitcnt vmcnt(0) lgkmcnt(1)
	v_and_b32_e32 v74, 1, v72
	ds_bpermute_b32 v77, v45, v25
	ds_bpermute_b32 v75, v45, v74
	s_and_saveexec_b64 s[44:45], vcc
	s_cbranch_execz .LBB8_156
; %bb.155:                              ;   in Loop: Header=BB8_149 Depth=1
	v_cmp_eq_u16_sdwa vcc, v72, v9 src0_sel:BYTE_0 src1_sel:DWORD
	s_waitcnt lgkmcnt(2)
	v_cndmask_b32_e32 v76, 0, v76, vcc
	s_waitcnt lgkmcnt(1)
	v_cndmask_b32_e32 v74, 0, v77, vcc
	v_add_co_u32_e32 v24, vcc, v76, v24
	v_addc_co_u32_e32 v25, vcc, v74, v25, vcc
	s_waitcnt lgkmcnt(0)
	v_and_b32_e32 v74, 1, v75
	v_or_b32_e32 v72, v74, v72
	v_and_b32_e32 v74, 0xff, v72
.LBB8_156:                              ;   in Loop: Header=BB8_149 Depth=1
	s_or_b64 exec, exec, s[44:45]
	s_waitcnt lgkmcnt(2)
	ds_bpermute_b32 v76, v48, v24
	s_waitcnt lgkmcnt(2)
	ds_bpermute_b32 v77, v48, v25
	s_waitcnt lgkmcnt(2)
	ds_bpermute_b32 v75, v48, v74
	v_and_b32_e32 v78, 1, v72
	v_cmp_le_u32_e32 vcc, v49, v73
	v_cmp_eq_u32_e64 s[62:63], 1, v78
	s_and_saveexec_b64 s[44:45], vcc
	s_cbranch_execz .LBB8_158
; %bb.157:                              ;   in Loop: Header=BB8_149 Depth=1
	v_cmp_eq_u16_sdwa vcc, v72, v9 src0_sel:BYTE_0 src1_sel:DWORD
	s_waitcnt lgkmcnt(2)
	v_cndmask_b32_e32 v74, 0, v76, vcc
	s_waitcnt lgkmcnt(1)
	v_cndmask_b32_e32 v72, 0, v77, vcc
	v_add_co_u32_e32 v24, vcc, v74, v24
	v_addc_co_u32_e32 v25, vcc, v72, v25, vcc
	s_waitcnt lgkmcnt(0)
	v_and_b32_e32 v72, 1, v75
	v_cmp_eq_u32_e32 vcc, 1, v72
	s_or_b64 s[68:69], s[62:63], vcc
	v_cndmask_b32_e64 v72, 0, 1, s[68:69]
	v_cndmask_b32_e64 v74, 0, 1, s[68:69]
	s_andn2_b64 s[62:63], s[62:63], exec
	s_and_b64 s[68:69], s[68:69], exec
	s_or_b64 s[62:63], s[62:63], s[68:69]
.LBB8_158:                              ;   in Loop: Header=BB8_149 Depth=1
	s_or_b64 exec, exec, s[44:45]
	s_waitcnt lgkmcnt(2)
	ds_bpermute_b32 v76, v52, v24
	s_waitcnt lgkmcnt(2)
	ds_bpermute_b32 v77, v52, v25
	s_waitcnt lgkmcnt(2)
	ds_bpermute_b32 v75, v52, v74
	v_cmp_le_u32_e32 vcc, v53, v73
	s_and_saveexec_b64 s[68:69], vcc
	s_cbranch_execz .LBB8_160
; %bb.159:                              ;   in Loop: Header=BB8_149 Depth=1
	v_cmp_eq_u16_sdwa vcc, v72, v9 src0_sel:BYTE_0 src1_sel:DWORD
	s_waitcnt lgkmcnt(2)
	v_cndmask_b32_e32 v76, 0, v76, vcc
	s_waitcnt lgkmcnt(1)
	v_cndmask_b32_e32 v74, 0, v77, vcc
	v_add_co_u32_e32 v24, vcc, v76, v24
	v_addc_co_u32_e32 v25, vcc, v74, v25, vcc
	v_and_b32_e32 v72, 1, v72
	v_cmp_eq_u32_e32 vcc, 1, v72
	s_waitcnt lgkmcnt(0)
	v_and_b32_e32 v72, 1, v75
	v_cmp_eq_u32_e64 s[44:45], 1, v72
	s_or_b64 s[44:45], vcc, s[44:45]
	v_cndmask_b32_e64 v72, 0, 1, s[44:45]
	v_cndmask_b32_e64 v74, 0, 1, s[44:45]
	s_andn2_b64 s[62:63], s[62:63], exec
	s_and_b64 s[44:45], s[44:45], exec
	s_or_b64 s[62:63], s[62:63], s[44:45]
.LBB8_160:                              ;   in Loop: Header=BB8_149 Depth=1
	s_or_b64 exec, exec, s[68:69]
	s_waitcnt lgkmcnt(2)
	ds_bpermute_b32 v76, v56, v24
	s_waitcnt lgkmcnt(2)
	ds_bpermute_b32 v77, v56, v25
	s_waitcnt lgkmcnt(2)
	ds_bpermute_b32 v75, v56, v74
	v_cmp_le_u32_e32 vcc, v57, v73
	s_and_saveexec_b64 s[68:69], vcc
	s_cbranch_execz .LBB8_162
; %bb.161:                              ;   in Loop: Header=BB8_149 Depth=1
	v_cmp_eq_u16_sdwa vcc, v72, v9 src0_sel:BYTE_0 src1_sel:DWORD
	s_waitcnt lgkmcnt(2)
	v_cndmask_b32_e32 v76, 0, v76, vcc
	s_waitcnt lgkmcnt(1)
	v_cndmask_b32_e32 v74, 0, v77, vcc
	v_add_co_u32_e32 v24, vcc, v76, v24
	v_addc_co_u32_e32 v25, vcc, v74, v25, vcc
	v_and_b32_e32 v72, 1, v72
	v_cmp_eq_u32_e32 vcc, 1, v72
	s_waitcnt lgkmcnt(0)
	v_and_b32_e32 v72, 1, v75
	v_cmp_eq_u32_e64 s[44:45], 1, v72
	s_or_b64 s[44:45], vcc, s[44:45]
	v_cndmask_b32_e64 v72, 0, 1, s[44:45]
	v_cndmask_b32_e64 v74, 0, 1, s[44:45]
	s_andn2_b64 s[62:63], s[62:63], exec
	s_and_b64 s[44:45], s[44:45], exec
	s_or_b64 s[62:63], s[62:63], s[44:45]
.LBB8_162:                              ;   in Loop: Header=BB8_149 Depth=1
	;; [unrolled: 30-line block ×3, first 2 shown]
	s_or_b64 exec, exec, s[68:69]
	s_waitcnt lgkmcnt(0)
	ds_bpermute_b32 v75, v65, v24
	ds_bpermute_b32 v76, v65, v25
	;; [unrolled: 1-line block ×3, first 2 shown]
	v_cmp_le_u32_e32 vcc, v68, v73
	s_and_saveexec_b64 s[68:69], vcc
	s_cbranch_execz .LBB8_148
; %bb.165:                              ;   in Loop: Header=BB8_149 Depth=1
	v_cmp_eq_u16_sdwa vcc, v72, v9 src0_sel:BYTE_0 src1_sel:DWORD
	s_waitcnt lgkmcnt(2)
	v_cndmask_b32_e32 v75, 0, v75, vcc
	s_waitcnt lgkmcnt(1)
	v_cndmask_b32_e32 v73, 0, v76, vcc
	v_add_co_u32_e32 v24, vcc, v75, v24
	v_addc_co_u32_e32 v25, vcc, v73, v25, vcc
	v_and_b32_e32 v72, 1, v72
	v_cmp_eq_u32_e32 vcc, 1, v72
	s_waitcnt lgkmcnt(0)
	v_and_b32_e32 v72, 1, v74
	v_cmp_eq_u32_e64 s[44:45], 1, v72
	s_or_b64 s[44:45], vcc, s[44:45]
	s_andn2_b64 s[62:63], s[62:63], exec
	s_and_b64 s[44:45], s[44:45], exec
	s_or_b64 s[62:63], s[62:63], s[44:45]
	s_branch .LBB8_148
.LBB8_166:                              ;   in Loop: Header=BB8_149 Depth=1
                                        ; implicit-def: $vgpr72
                                        ; implicit-def: $vgpr24_vgpr25
                                        ; implicit-def: $vgpr41
	s_cbranch_execz .LBB8_149
; %bb.167:
	s_and_saveexec_b64 s[44:45], s[40:41]
	s_cbranch_execz .LBB8_169
; %bb.168:
	v_mov_b32_e32 v8, 0
	s_mov_b32 s7, 0
	v_cmp_eq_u16_sdwa vcc, v40, v8 src0_sel:BYTE_0 src1_sel:DWORD
	s_add_i32 s6, s6, 64
	v_cndmask_b32_e32 v12, 0, v20, vcc
	s_lshl_b64 s[40:41], s[6:7], 4
	v_cndmask_b32_e32 v9, 0, v21, vcc
	v_add_co_u32_e32 v4, vcc, v12, v4
	s_add_u32 s40, s50, s40
	v_addc_co_u32_e32 v5, vcc, v9, v5, vcc
	v_or_b32_e32 v9, v40, v64
	s_addc_u32 s41, s51, s41
	v_and_b32_e32 v9, 1, v9
	global_store_dwordx2 v8, v[4:5], s[40:41]
	global_store_byte v8, v9, s[40:41] offset:8
	v_mov_b32_e32 v4, s6
	v_mov_b32_e32 v5, 2
	s_waitcnt vmcnt(0) lgkmcnt(0)
	buffer_wbinvl1_vol
	global_store_byte v4, v5, s[52:53]
.LBB8_169:
	s_or_b64 exec, exec, s[44:45]
	v_cmp_eq_u32_e32 vcc, 0, v0
	s_and_b64 exec, exec, vcc
	s_cbranch_execz .LBB8_171
; %bb.170:
	v_mov_b32_e32 v4, 0
	ds_write_b64 v4, v[20:21]
	ds_write_b8 v4, v64 offset:8
.LBB8_171:
	s_or_b64 exec, exec, s[56:57]
	v_mov_b32_e32 v8, 0
	v_cmp_eq_u16_sdwa vcc, v1, v8 src0_sel:BYTE_0 src1_sel:DWORD
	v_and_b32_e32 v13, 1, v1
	v_cndmask_b32_e32 v9, 0, v33, vcc
	v_cndmask_b32_e32 v12, 0, v37, vcc
	v_cmp_eq_u32_e32 vcc, 1, v13
	v_and_b32_e32 v13, 1, v32
	v_cmp_eq_u32_e64 s[6:7], 1, v13
	s_waitcnt lgkmcnt(0)
	; wave barrier
	s_waitcnt lgkmcnt(0)
	ds_read_b64 v[4:5], v8
	s_or_b64 s[6:7], vcc, s[6:7]
	v_cmp_eq_u32_e32 vcc, 0, v0
	v_cndmask_b32_e64 v13, 0, 1, s[6:7]
	v_cndmask_b32_e64 v9, v9, 0, vcc
	v_cndmask_b32_e32 v13, v13, v1, vcc
	v_cndmask_b32_e64 v12, v12, 0, vcc
	v_add_co_u32_e32 v9, vcc, v9, v2
	v_addc_co_u32_e32 v12, vcc, v12, v3, vcc
	v_cmp_eq_u16_sdwa vcc, v13, v8 src0_sel:BYTE_0 src1_sel:DWORD
	s_waitcnt lgkmcnt(0)
	v_cndmask_b32_e32 v4, 0, v4, vcc
	v_cndmask_b32_e32 v5, 0, v5, vcc
	v_add_co_u32_e32 v102, vcc, v9, v4
	v_addc_co_u32_e32 v103, vcc, v12, v5, vcc
	v_cndmask_b32_e64 v5, 0, v102, s[38:39]
	v_cndmask_b32_e64 v4, 0, v103, s[38:39]
	v_add_co_u32_e32 v40, vcc, v5, v14
	v_addc_co_u32_e32 v41, vcc, v4, v15, vcc
	v_cndmask_b32_e64 v5, 0, v40, s[36:37]
	v_cndmask_b32_e64 v4, 0, v41, s[36:37]
	;; [unrolled: 4-line block ×18, first 2 shown]
	v_add_co_u32_e32 v108, vcc, v5, v16
	v_addc_co_u32_e32 v109, vcc, v4, v17, vcc
	s_branch .LBB8_194
.LBB8_172:
                                        ; implicit-def: $vgpr100_vgpr101_vgpr102_vgpr103
                                        ; implicit-def: $vgpr108_vgpr109
                                        ; implicit-def: $vgpr106_vgpr107
                                        ; implicit-def: $vgpr68_vgpr69
                                        ; implicit-def: $vgpr64_vgpr65
                                        ; implicit-def: $vgpr60_vgpr61
                                        ; implicit-def: $vgpr56_vgpr57
                                        ; implicit-def: $vgpr52_vgpr53
                                        ; implicit-def: $vgpr48_vgpr49
                                        ; implicit-def: $vgpr44_vgpr45
                                        ; implicit-def: $vgpr40_vgpr41
                                        ; implicit-def: $vgpr96_vgpr97_vgpr98_vgpr99
                                        ; implicit-def: $vgpr92_vgpr93_vgpr94_vgpr95
                                        ; implicit-def: $vgpr88_vgpr89_vgpr90_vgpr91
                                        ; implicit-def: $vgpr84_vgpr85_vgpr86_vgpr87
                                        ; implicit-def: $vgpr80_vgpr81_vgpr82_vgpr83
                                        ; implicit-def: $vgpr76_vgpr77_vgpr78_vgpr79
                                        ; implicit-def: $vgpr72_vgpr73_vgpr74_vgpr75
                                        ; implicit-def: $vgpr102_vgpr103_vgpr104_vgpr105
	s_cbranch_execz .LBB8_194
; %bb.173:
	s_cmp_lg_u64 s[66:67], 0
	s_cselect_b32 s5, s59, 0
	s_cselect_b32 s4, s58, 0
	s_cmp_lg_u64 s[4:5], 0
	s_cselect_b64 s[6:7], -1, 0
	v_cmp_eq_u32_e32 vcc, 0, v0
	v_cmp_ne_u32_e64 s[2:3], 0, v0
	s_and_b64 s[8:9], vcc, s[6:7]
	s_and_saveexec_b64 s[6:7], s[8:9]
	s_cbranch_execz .LBB8_175
; %bb.174:
	v_mov_b32_e32 v8, 0
	global_load_dwordx2 v[4:5], v8, s[4:5]
	global_load_ubyte v9, v8, s[4:5] offset:8
	v_cmp_eq_u16_sdwa s[4:5], v1, v8 src0_sel:BYTE_0 src1_sel:DWORD
	s_waitcnt vmcnt(1)
	v_cndmask_b32_e64 v4, 0, v4, s[4:5]
	v_cndmask_b32_e64 v5, 0, v5, s[4:5]
	s_waitcnt vmcnt(0)
	v_or_b32_e32 v1, v1, v9
	v_add_co_u32_e64 v2, s[4:5], v4, v2
	v_addc_co_u32_e64 v3, s[4:5], v5, v3, s[4:5]
	v_and_b32_e32 v1, 1, v1
.LBB8_175:
	s_or_b64 exec, exec, s[6:7]
	v_mov_b32_e32 v5, 0
	v_cmp_eq_u16_sdwa s[4:5], v112, v5 src0_sel:BYTE_0 src1_sel:DWORD
	v_cndmask_b32_e64 v9, 0, v2, s[4:5]
	v_cndmask_b32_e64 v8, 0, v3, s[4:5]
	v_add_co_u32_e64 v40, s[6:7], v9, v14
	v_addc_co_u32_e64 v41, s[6:7], v8, v15, s[6:7]
	v_cmp_eq_u16_sdwa s[6:7], v111, v5 src0_sel:BYTE_0 src1_sel:DWORD
	v_cndmask_b32_e64 v9, 0, v40, s[6:7]
	v_cndmask_b32_e64 v8, 0, v41, s[6:7]
	v_add_co_u32_e64 v72, s[8:9], v9, v10
	v_addc_co_u32_e64 v73, s[8:9], v8, v11, s[8:9]
	v_cmp_eq_u16_sdwa s[8:9], v113, v5 src0_sel:BYTE_0 src1_sel:DWORD
	v_cndmask_b32_e64 v9, 0, v72, s[8:9]
	v_cndmask_b32_e64 v8, 0, v73, s[8:9]
	v_add_co_u32_e64 v44, s[10:11], v9, v22
	v_addc_co_u32_e64 v45, s[10:11], v8, v23, s[10:11]
	v_cmp_eq_u16_sdwa s[10:11], v114, v5 src0_sel:BYTE_0 src1_sel:DWORD
	v_cndmask_b32_e64 v9, 0, v44, s[10:11]
	v_cndmask_b32_e64 v8, 0, v45, s[10:11]
	v_add_co_u32_e64 v76, s[12:13], v9, v18
	v_addc_co_u32_e64 v77, s[12:13], v8, v19, s[12:13]
	v_cmp_eq_u16_sdwa s[12:13], v115, v5 src0_sel:BYTE_0 src1_sel:DWORD
	v_cndmask_b32_e64 v9, 0, v76, s[12:13]
	v_cndmask_b32_e64 v8, 0, v77, s[12:13]
	v_add_co_u32_e64 v48, s[14:15], v9, v34
	v_addc_co_u32_e64 v49, s[14:15], v8, v35, s[14:15]
	v_cmp_eq_u16_sdwa s[14:15], v116, v5 src0_sel:BYTE_0 src1_sel:DWORD
	v_cndmask_b32_e64 v9, 0, v48, s[14:15]
	v_cndmask_b32_e64 v8, 0, v49, s[14:15]
	v_add_co_u32_e64 v80, s[16:17], v9, v26
	v_addc_co_u32_e64 v81, s[16:17], v8, v27, s[16:17]
	v_cmp_eq_u16_sdwa s[16:17], v117, v5 src0_sel:BYTE_0 src1_sel:DWORD
	v_cndmask_b32_e64 v9, 0, v80, s[16:17]
	v_cndmask_b32_e64 v8, 0, v81, s[16:17]
	v_add_co_u32_e64 v52, s[18:19], v9, v42
	v_addc_co_u32_e64 v53, s[18:19], v8, v43, s[18:19]
	v_cmp_eq_u16_sdwa s[18:19], v118, v5 src0_sel:BYTE_0 src1_sel:DWORD
	v_cndmask_b32_e64 v9, 0, v52, s[18:19]
	v_cndmask_b32_e64 v8, 0, v53, s[18:19]
	v_add_co_u32_e64 v84, s[20:21], v9, v30
	v_addc_co_u32_e64 v85, s[20:21], v8, v31, s[20:21]
	v_cmp_eq_u16_sdwa s[20:21], v119, v5 src0_sel:BYTE_0 src1_sel:DWORD
	v_cndmask_b32_e64 v9, 0, v84, s[20:21]
	v_cndmask_b32_e64 v8, 0, v85, s[20:21]
	v_add_co_u32_e64 v56, s[22:23], v9, v50
	v_addc_co_u32_e64 v57, s[22:23], v8, v51, s[22:23]
	v_cmp_eq_u16_sdwa s[22:23], v120, v5 src0_sel:BYTE_0 src1_sel:DWORD
	v_cndmask_b32_e64 v9, 0, v56, s[22:23]
	v_cndmask_b32_e64 v8, 0, v57, s[22:23]
	v_add_co_u32_e64 v88, s[24:25], v9, v38
	v_addc_co_u32_e64 v89, s[24:25], v8, v39, s[24:25]
	v_cmp_eq_u16_sdwa s[24:25], v121, v5 src0_sel:BYTE_0 src1_sel:DWORD
	v_cndmask_b32_e64 v9, 0, v88, s[24:25]
	v_cndmask_b32_e64 v8, 0, v89, s[24:25]
	v_add_co_u32_e64 v60, s[26:27], v9, v58
	v_addc_co_u32_e64 v61, s[26:27], v8, v59, s[26:27]
	v_cmp_eq_u16_sdwa s[26:27], v122, v5 src0_sel:BYTE_0 src1_sel:DWORD
	v_cndmask_b32_e64 v9, 0, v60, s[26:27]
	v_cndmask_b32_e64 v8, 0, v61, s[26:27]
	v_add_co_u32_e64 v92, s[28:29], v9, v46
	v_addc_co_u32_e64 v93, s[28:29], v8, v47, s[28:29]
	v_cmp_eq_u16_sdwa s[28:29], v123, v5 src0_sel:BYTE_0 src1_sel:DWORD
	v_cndmask_b32_e64 v9, 0, v92, s[28:29]
	v_cndmask_b32_e64 v8, 0, v93, s[28:29]
	v_add_co_u32_e64 v64, s[30:31], v9, v66
	v_addc_co_u32_e64 v65, s[30:31], v8, v67, s[30:31]
	v_cmp_eq_u16_sdwa s[30:31], v124, v5 src0_sel:BYTE_0 src1_sel:DWORD
	v_cndmask_b32_e64 v9, 0, v64, s[30:31]
	v_cndmask_b32_e64 v8, 0, v65, s[30:31]
	v_add_co_u32_e64 v96, s[34:35], v9, v54
	v_addc_co_u32_e64 v97, s[34:35], v8, v55, s[34:35]
	v_cmp_eq_u16_sdwa s[34:35], v125, v5 src0_sel:BYTE_0 src1_sel:DWORD
	v_cndmask_b32_e64 v9, 0, v96, s[34:35]
	v_cndmask_b32_e64 v8, 0, v97, s[34:35]
	v_add_co_u32_e64 v68, s[36:37], v9, v70
	v_addc_co_u32_e64 v69, s[36:37], v8, v71, s[36:37]
	v_cmp_eq_u16_sdwa s[36:37], v126, v5 src0_sel:BYTE_0 src1_sel:DWORD
	v_cndmask_b32_e64 v9, 0, v68, s[36:37]
	v_cndmask_b32_e64 v8, 0, v69, s[36:37]
	v_add_co_u32_e64 v100, s[38:39], v9, v62
	v_addc_co_u32_e64 v101, s[38:39], v8, v63, s[38:39]
	v_cmp_eq_u16_sdwa s[38:39], v110, v5 src0_sel:BYTE_0 src1_sel:DWORD
	v_cndmask_b32_e64 v9, 0, v100, s[38:39]
	v_cndmask_b32_e64 v8, 0, v101, s[38:39]
	v_add_co_u32_e64 v106, s[40:41], v9, v6
	v_addc_co_u32_e64 v107, s[40:41], v8, v7, s[40:41]
	v_cmp_eq_u16_sdwa s[40:41], v36, v5 src0_sel:BYTE_0 src1_sel:DWORD
	v_cndmask_b32_e64 v8, 0, v106, s[40:41]
	v_cndmask_b32_e64 v5, 0, v107, s[40:41]
	v_add_co_u32_e64 v108, s[42:43], v8, v16
	v_addc_co_u32_e64 v109, s[42:43], v5, v17, s[42:43]
	v_or_b32_e32 v5, v29, v125
	v_or_b32_e32 v5, v5, v124
	;; [unrolled: 1-line block ×15, first 2 shown]
	v_and_b32_e32 v5, 1, v5
	v_and_b32_e32 v4, 0xff, v1
	v_cmp_eq_u32_e64 s[42:43], 1, v5
	v_mbcnt_hi_u32_b32 v12, -1, v28
	v_cndmask_b32_e64 v13, v4, 1, s[42:43]
	v_and_b32_e32 v20, 15, v12
	v_mov_b32_dpp v24, v108 row_shr:1 row_mask:0xf bank_mask:0xf
	v_mov_b32_dpp v25, v109 row_shr:1 row_mask:0xf bank_mask:0xf
	;; [unrolled: 1-line block ×3, first 2 shown]
	v_cmp_ne_u32_e64 s[42:43], 0, v20
	v_pk_mov_b32 v[4:5], v[108:109], v[108:109] op_sel:[0,1]
	v_mov_b32_e32 v9, v109
	v_mov_b32_e32 v8, v108
	s_and_saveexec_b64 s[44:45], s[42:43]
; %bb.176:
	v_cmp_eq_u32_e64 s[42:43], 0, v13
	v_cndmask_b32_e64 v4, 0, v24, s[42:43]
	v_cndmask_b32_e64 v5, 0, v25, s[42:43]
	v_add_co_u32_e64 v4, s[42:43], v108, v4
	v_addc_co_u32_e64 v5, s[42:43], v109, v5, s[42:43]
	v_and_or_b32 v13, v21, 1, v13
	v_mov_b32_e32 v9, v5
	v_mov_b32_e32 v8, v4
; %bb.177:
	s_or_b64 exec, exec, s[44:45]
	s_nop 0
	v_mov_b32_dpp v24, v8 row_shr:2 row_mask:0xf bank_mask:0xf
	v_mov_b32_dpp v25, v9 row_shr:2 row_mask:0xf bank_mask:0xf
	v_mov_b32_dpp v21, v13 row_shr:2 row_mask:0xf bank_mask:0xf
	v_cmp_lt_u32_e64 s[42:43], 1, v20
	s_and_saveexec_b64 s[44:45], s[42:43]
; %bb.178:
	v_cmp_eq_u32_e64 s[42:43], 0, v13
	v_cndmask_b32_e64 v8, 0, v24, s[42:43]
	v_cndmask_b32_e64 v9, 0, v25, s[42:43]
	v_add_co_u32_e64 v8, s[42:43], v8, v4
	v_addc_co_u32_e64 v9, s[42:43], v9, v5, s[42:43]
	v_or_b32_e32 v4, v21, v13
	v_and_b32_e32 v13, 1, v4
	v_pk_mov_b32 v[4:5], v[8:9], v[8:9] op_sel:[0,1]
; %bb.179:
	s_or_b64 exec, exec, s[44:45]
	v_mov_b32_dpp v24, v8 row_shr:4 row_mask:0xf bank_mask:0xf
	v_mov_b32_dpp v25, v9 row_shr:4 row_mask:0xf bank_mask:0xf
	v_mov_b32_dpp v21, v13 row_shr:4 row_mask:0xf bank_mask:0xf
	v_cmp_lt_u32_e64 s[42:43], 3, v20
	s_and_saveexec_b64 s[44:45], s[42:43]
; %bb.180:
	v_cmp_eq_u32_e64 s[42:43], 0, v13
	v_cndmask_b32_e64 v8, 0, v24, s[42:43]
	v_cndmask_b32_e64 v9, 0, v25, s[42:43]
	v_add_co_u32_e64 v8, s[42:43], v8, v4
	v_addc_co_u32_e64 v9, s[42:43], v9, v5, s[42:43]
	v_or_b32_e32 v4, v21, v13
	v_and_b32_e32 v13, 1, v4
	v_pk_mov_b32 v[4:5], v[8:9], v[8:9] op_sel:[0,1]
; %bb.181:
	s_or_b64 exec, exec, s[44:45]
	;; [unrolled: 16-line block ×3, first 2 shown]
	v_and_b32_e32 v25, 16, v12
	v_mov_b32_dpp v21, v8 row_bcast:15 row_mask:0xf bank_mask:0xf
	v_mov_b32_dpp v24, v9 row_bcast:15 row_mask:0xf bank_mask:0xf
	;; [unrolled: 1-line block ×3, first 2 shown]
	v_cmp_ne_u32_e64 s[42:43], 0, v25
	s_and_saveexec_b64 s[44:45], s[42:43]
; %bb.184:
	v_cmp_eq_u32_e64 s[42:43], 0, v13
	v_cndmask_b32_e64 v9, 0, v21, s[42:43]
	v_cndmask_b32_e64 v8, 0, v24, s[42:43]
	v_add_co_u32_e64 v4, s[42:43], v9, v4
	v_addc_co_u32_e64 v5, s[42:43], v8, v5, s[42:43]
	v_or_b32_e32 v8, v20, v13
	v_and_b32_e32 v13, 1, v8
	v_mov_b32_e32 v9, v5
	v_mov_b32_e32 v8, v4
; %bb.185:
	s_or_b64 exec, exec, s[44:45]
	s_nop 0
	v_mov_b32_dpp v20, v8 row_bcast:31 row_mask:0xf bank_mask:0xf
	v_mov_b32_dpp v9, v9 row_bcast:31 row_mask:0xf bank_mask:0xf
	v_mov_b32_dpp v8, v13 row_bcast:31 row_mask:0xf bank_mask:0xf
	v_cmp_lt_u32_e64 s[42:43], 31, v12
	s_and_saveexec_b64 s[44:45], s[42:43]
; %bb.186:
	v_cmp_eq_u32_e64 s[42:43], 0, v13
	v_cndmask_b32_e64 v20, 0, v20, s[42:43]
	v_cndmask_b32_e64 v9, 0, v9, s[42:43]
	v_add_co_u32_e64 v4, s[42:43], v20, v4
	v_or_b32_e32 v8, v8, v13
	v_addc_co_u32_e64 v5, s[42:43], v9, v5, s[42:43]
	v_and_b32_e32 v13, 1, v8
; %bb.187:
	s_or_b64 exec, exec, s[44:45]
	v_cmp_eq_u32_e64 s[42:43], 63, v0
	s_and_saveexec_b64 s[44:45], s[42:43]
	s_cbranch_execz .LBB8_189
; %bb.188:
	v_mov_b32_e32 v8, 0
	ds_write_b64 v8, v[4:5]
	ds_write_b8 v8, v13 offset:8
.LBB8_189:
	s_or_b64 exec, exec, s[44:45]
	v_add_u32_e32 v8, -1, v12
	v_and_b32_e32 v9, 64, v12
	v_cmp_lt_i32_e64 s[42:43], v8, v9
	v_cndmask_b32_e64 v8, v8, v12, s[42:43]
	v_lshlrev_b32_e32 v8, 2, v8
	ds_bpermute_b32 v4, v8, v4
	ds_bpermute_b32 v5, v8, v5
	s_waitcnt lgkmcnt(0)
	; wave barrier
	s_waitcnt lgkmcnt(0)
	s_and_saveexec_b64 s[42:43], s[2:3]
	s_cbranch_execz .LBB8_191
; %bb.190:
	v_mov_b32_e32 v8, 0
	v_cmp_eq_u16_sdwa s[2:3], v1, v8 src0_sel:BYTE_0 src1_sel:DWORD
	v_cndmask_b32_e64 v4, 0, v4, s[2:3]
	v_cndmask_b32_e64 v1, 0, v5, s[2:3]
	v_add_co_u32_e64 v2, s[2:3], v4, v2
	v_addc_co_u32_e64 v3, s[2:3], v1, v3, s[2:3]
	v_cndmask_b32_e64 v4, 0, v2, s[4:5]
	v_cndmask_b32_e64 v1, 0, v3, s[4:5]
	v_add_co_u32_e64 v40, s[2:3], v4, v14
	v_addc_co_u32_e64 v41, s[2:3], v1, v15, s[2:3]
	;; [unrolled: 4-line block ×19, first 2 shown]
	;;#ASMSTART
	;;#ASMEND
.LBB8_191:
	s_or_b64 exec, exec, s[42:43]
	s_and_saveexec_b64 s[2:3], vcc
	s_cbranch_execz .LBB8_193
; %bb.192:
	v_mov_b32_e32 v1, 0
	ds_read_b64 v[4:5], v1
	ds_read_u8 v6, v1 offset:8
	v_mov_b32_e32 v7, 2
	s_waitcnt lgkmcnt(1)
	global_store_dwordx2 v1, v[4:5], s[50:51] offset:1024
	s_waitcnt lgkmcnt(0)
	global_store_byte v1, v6, s[50:51] offset:1032
	s_waitcnt vmcnt(0)
	buffer_wbinvl1_vol
	global_store_byte v1, v7, s[52:53] offset:64
.LBB8_193:
	s_or_b64 exec, exec, s[2:3]
	v_pk_mov_b32 v[102:103], v[2:3], v[2:3] op_sel:[0,1]
.LBB8_194:
	s_add_u32 s2, s46, s64
	s_addc_u32 s3, s47, s65
	s_add_u32 s4, s2, s60
	s_addc_u32 s5, s3, s61
	s_and_b64 vcc, exec, s[0:1]
	s_cbranch_vccz .LBB8_232
; %bb.195:
	s_movk_i32 s0, 0x98
	v_mul_i32_i24_e32 v43, 0xffffff70, v0
	v_mul_u32_u24_e32 v42, 0x98, v0
	v_mad_u32_u24 v2, v0, s0, v43
	s_waitcnt lgkmcnt(0)
	; wave barrier
	ds_write2_b64 v42, v[102:103], v[40:41] offset1:1
	ds_write2_b64 v42, v[72:73], v[44:45] offset0:2 offset1:3
	ds_write2_b64 v42, v[76:77], v[48:49] offset0:4 offset1:5
	;; [unrolled: 1-line block ×8, first 2 shown]
	ds_write_b64 v42, v[108:109] offset:144
	s_waitcnt lgkmcnt(0)
	; wave barrier
	s_waitcnt lgkmcnt(0)
	ds_read2st64_b64 v[34:37], v2 offset0:1 offset1:2
	ds_read2st64_b64 v[30:33], v2 offset0:3 offset1:4
	;; [unrolled: 1-line block ×9, first 2 shown]
	v_mov_b32_e32 v39, s5
	v_add_co_u32_e32 v38, vcc, s4, v127
	s_add_i32 s33, s33, s54
	v_addc_co_u32_e32 v39, vcc, 0, v39, vcc
	v_mov_b32_e32 v1, 0
	v_cmp_gt_u32_e32 vcc, s33, v0
	s_and_saveexec_b64 s[0:1], vcc
	s_cbranch_execz .LBB8_197
; %bb.196:
	v_add_u32_e32 v42, v42, v43
	ds_read_b64 v[42:43], v42
	s_waitcnt lgkmcnt(0)
	flat_store_dwordx2 v[38:39], v[42:43]
.LBB8_197:
	s_or_b64 exec, exec, s[0:1]
	v_or_b32_e32 v42, 64, v0
	v_cmp_gt_u32_e32 vcc, s33, v42
	s_and_saveexec_b64 s[0:1], vcc
	s_cbranch_execz .LBB8_199
; %bb.198:
	s_waitcnt lgkmcnt(0)
	flat_store_dwordx2 v[38:39], v[34:35] offset:512
.LBB8_199:
	s_or_b64 exec, exec, s[0:1]
	s_waitcnt lgkmcnt(0)
	v_or_b32_e32 v34, 0x80, v0
	v_cmp_gt_u32_e32 vcc, s33, v34
	s_and_saveexec_b64 s[0:1], vcc
	s_cbranch_execz .LBB8_201
; %bb.200:
	flat_store_dwordx2 v[38:39], v[36:37] offset:1024
.LBB8_201:
	s_or_b64 exec, exec, s[0:1]
	v_or_b32_e32 v34, 0xc0, v0
	v_cmp_gt_u32_e32 vcc, s33, v34
	s_and_saveexec_b64 s[0:1], vcc
	s_cbranch_execz .LBB8_203
; %bb.202:
	flat_store_dwordx2 v[38:39], v[30:31] offset:1536
.LBB8_203:
	s_or_b64 exec, exec, s[0:1]
	;; [unrolled: 8-line block ×6, first 2 shown]
	v_or_b32_e32 v22, 0x200, v0
	v_cmp_gt_u32_e32 vcc, s33, v22
	s_and_saveexec_b64 s[0:1], vcc
	s_cbranch_execz .LBB8_213
; %bb.212:
	v_add_co_u32_e32 v22, vcc, 0x1000, v38
	v_addc_co_u32_e32 v23, vcc, 0, v39, vcc
	flat_store_dwordx2 v[22:23], v[24:25]
.LBB8_213:
	s_or_b64 exec, exec, s[0:1]
	v_or_b32_e32 v22, 0x240, v0
	v_cmp_gt_u32_e32 vcc, s33, v22
	s_and_saveexec_b64 s[0:1], vcc
	s_cbranch_execz .LBB8_215
; %bb.214:
	v_add_co_u32_e32 v22, vcc, 0x1000, v38
	v_addc_co_u32_e32 v23, vcc, 0, v39, vcc
	flat_store_dwordx2 v[22:23], v[18:19] offset:512
.LBB8_215:
	s_or_b64 exec, exec, s[0:1]
	v_or_b32_e32 v18, 0x280, v0
	v_cmp_gt_u32_e32 vcc, s33, v18
	s_and_saveexec_b64 s[0:1], vcc
	s_cbranch_execz .LBB8_217
; %bb.216:
	v_add_co_u32_e32 v18, vcc, 0x1000, v38
	v_addc_co_u32_e32 v19, vcc, 0, v39, vcc
	flat_store_dwordx2 v[18:19], v[20:21] offset:1024
.LBB8_217:
	;; [unrolled: 10-line block ×7, first 2 shown]
	s_or_b64 exec, exec, s[0:1]
	v_or_b32_e32 v6, 0x400, v0
	v_cmp_gt_u32_e32 vcc, s33, v6
	s_and_saveexec_b64 s[0:1], vcc
	s_cbranch_execz .LBB8_229
; %bb.228:
	v_add_co_u32_e32 v6, vcc, 0x2000, v38
	v_addc_co_u32_e32 v7, vcc, 0, v39, vcc
	flat_store_dwordx2 v[6:7], v[8:9]
.LBB8_229:
	s_or_b64 exec, exec, s[0:1]
	v_or_b32_e32 v6, 0x440, v0
	v_cmp_gt_u32_e32 vcc, s33, v6
	s_and_saveexec_b64 s[0:1], vcc
	s_cbranch_execz .LBB8_231
; %bb.230:
	v_add_co_u32_e32 v6, vcc, 0x2000, v38
	v_addc_co_u32_e32 v7, vcc, 0, v39, vcc
	flat_store_dwordx2 v[6:7], v[2:3] offset:512
.LBB8_231:
	s_or_b64 exec, exec, s[0:1]
	v_or_b32_e32 v2, 0x480, v0
	v_cmp_gt_u32_e64 s[0:1], s33, v2
	s_branch .LBB8_234
.LBB8_232:
	s_mov_b64 s[0:1], 0
                                        ; implicit-def: $vgpr4_vgpr5
	s_cbranch_execz .LBB8_234
; %bb.233:
	s_movk_i32 s2, 0x98
	v_mul_i32_i24_e32 v2, 0xffffff70, v0
	v_mul_u32_u24_e32 v1, 0x98, v0
	v_mad_u32_u24 v2, v0, s2, v2
	s_waitcnt lgkmcnt(0)
	; wave barrier
	s_waitcnt lgkmcnt(0)
	ds_write2_b64 v1, v[102:103], v[40:41] offset1:1
	ds_write2_b64 v1, v[72:73], v[44:45] offset0:2 offset1:3
	ds_write2_b64 v1, v[76:77], v[48:49] offset0:4 offset1:5
	;; [unrolled: 1-line block ×8, first 2 shown]
	ds_write_b64 v1, v[108:109] offset:144
	s_waitcnt lgkmcnt(0)
	; wave barrier
	s_waitcnt lgkmcnt(0)
	ds_read2st64_b64 v[6:9], v2 offset1:1
	ds_read2st64_b64 v[10:13], v2 offset0:2 offset1:3
	ds_read2st64_b64 v[14:17], v2 offset0:4 offset1:5
	;; [unrolled: 1-line block ×8, first 2 shown]
	ds_read_b64 v[4:5], v2 offset:9216
	v_mov_b32_e32 v3, s5
	v_add_co_u32_e32 v2, vcc, s4, v127
	v_addc_co_u32_e32 v3, vcc, 0, v3, vcc
	s_movk_i32 s2, 0x1000
	s_waitcnt lgkmcnt(0)
	flat_store_dwordx2 v[2:3], v[6:7]
	flat_store_dwordx2 v[2:3], v[8:9] offset:512
	flat_store_dwordx2 v[2:3], v[10:11] offset:1024
	;; [unrolled: 1-line block ×7, first 2 shown]
	v_add_co_u32_e32 v6, vcc, s2, v2
	v_addc_co_u32_e32 v7, vcc, 0, v3, vcc
	v_add_co_u32_e32 v2, vcc, 0x2000, v2
	v_mov_b32_e32 v1, 0
	v_addc_co_u32_e32 v3, vcc, 0, v3, vcc
	s_or_b64 s[0:1], s[0:1], exec
	flat_store_dwordx2 v[6:7], v[22:23]
	flat_store_dwordx2 v[6:7], v[24:25] offset:512
	flat_store_dwordx2 v[6:7], v[26:27] offset:1024
	;; [unrolled: 1-line block ×7, first 2 shown]
	flat_store_dwordx2 v[2:3], v[38:39]
	flat_store_dwordx2 v[2:3], v[40:41] offset:512
.LBB8_234:
	s_and_saveexec_b64 s[2:3], s[0:1]
	s_cbranch_execnz .LBB8_236
; %bb.235:
	s_endpgm
.LBB8_236:
	v_lshlrev_b64 v[0:1], 3, v[0:1]
	v_mov_b32_e32 v2, s5
	v_add_co_u32_e32 v0, vcc, s4, v0
	v_addc_co_u32_e32 v1, vcc, v2, v1, vcc
	v_add_co_u32_e32 v0, vcc, 0x2000, v0
	v_addc_co_u32_e32 v1, vcc, 0, v1, vcc
	flat_store_dwordx2 v[0:1], v[4:5] offset:1024
	s_endpgm
.LBB8_237:
	v_mov_b32_e32 v3, s55
	v_add_co_u32_e32 v2, vcc, s7, v50
	v_addc_co_u32_e32 v3, vcc, 0, v3, vcc
	flat_load_dwordx2 v[2:3], v[2:3]
	s_or_b64 exec, exec, s[56:57]
                                        ; implicit-def: $vgpr6_vgpr7
	s_and_saveexec_b64 s[2:3], s[4:5]
	s_cbranch_execz .LBB8_47
.LBB8_238:
	v_mov_b32_e32 v7, s55
	v_add_co_u32_e32 v6, vcc, s7, v50
	v_addc_co_u32_e32 v7, vcc, 0, v7, vcc
	flat_load_dwordx2 v[6:7], v[6:7] offset:512
	s_or_b64 exec, exec, s[2:3]
                                        ; implicit-def: $vgpr10_vgpr11
	s_and_saveexec_b64 s[2:3], s[42:43]
	s_cbranch_execz .LBB8_48
.LBB8_239:
	v_mov_b32_e32 v11, s55
	v_add_co_u32_e32 v10, vcc, s7, v50
	v_addc_co_u32_e32 v11, vcc, 0, v11, vcc
	flat_load_dwordx2 v[10:11], v[10:11] offset:1024
	s_or_b64 exec, exec, s[2:3]
                                        ; implicit-def: $vgpr12_vgpr13
	s_and_saveexec_b64 s[2:3], s[8:9]
	s_cbranch_execz .LBB8_49
.LBB8_240:
	v_mov_b32_e32 v13, s55
	v_add_co_u32_e32 v12, vcc, s7, v50
	v_addc_co_u32_e32 v13, vcc, 0, v13, vcc
	flat_load_dwordx2 v[12:13], v[12:13] offset:1536
	s_or_b64 exec, exec, s[2:3]
                                        ; implicit-def: $vgpr14_vgpr15
	s_and_saveexec_b64 s[2:3], s[10:11]
	s_cbranch_execz .LBB8_50
.LBB8_241:
	v_mov_b32_e32 v15, s55
	v_add_co_u32_e32 v14, vcc, s7, v50
	v_addc_co_u32_e32 v15, vcc, 0, v15, vcc
	flat_load_dwordx2 v[14:15], v[14:15] offset:2048
	s_or_b64 exec, exec, s[2:3]
                                        ; implicit-def: $vgpr16_vgpr17
	s_and_saveexec_b64 s[2:3], s[12:13]
	s_cbranch_execz .LBB8_51
.LBB8_242:
	v_mov_b32_e32 v17, s55
	v_add_co_u32_e32 v16, vcc, s7, v50
	v_addc_co_u32_e32 v17, vcc, 0, v17, vcc
	flat_load_dwordx2 v[16:17], v[16:17] offset:2560
	s_or_b64 exec, exec, s[2:3]
                                        ; implicit-def: $vgpr18_vgpr19
	s_and_saveexec_b64 s[2:3], s[14:15]
	s_cbranch_execz .LBB8_52
.LBB8_243:
	v_mov_b32_e32 v19, s55
	v_add_co_u32_e32 v18, vcc, s7, v50
	v_addc_co_u32_e32 v19, vcc, 0, v19, vcc
	flat_load_dwordx2 v[18:19], v[18:19] offset:3072
	s_or_b64 exec, exec, s[2:3]
                                        ; implicit-def: $vgpr20_vgpr21
	s_and_saveexec_b64 s[2:3], s[16:17]
	s_cbranch_execz .LBB8_53
.LBB8_244:
	v_mov_b32_e32 v21, s55
	v_add_co_u32_e32 v20, vcc, s7, v50
	v_addc_co_u32_e32 v21, vcc, 0, v21, vcc
	flat_load_dwordx2 v[20:21], v[20:21] offset:3584
	s_or_b64 exec, exec, s[2:3]
                                        ; implicit-def: $vgpr22_vgpr23
	s_and_saveexec_b64 s[2:3], s[18:19]
	s_cbranch_execz .LBB8_54
.LBB8_245:
	v_mov_b32_e32 v23, s55
	v_add_co_u32_e32 v22, vcc, s7, v1
	v_addc_co_u32_e32 v23, vcc, 0, v23, vcc
	flat_load_dwordx2 v[22:23], v[22:23]
	s_or_b64 exec, exec, s[2:3]
                                        ; implicit-def: $vgpr24_vgpr25
	s_and_saveexec_b64 s[2:3], s[20:21]
	s_cbranch_execz .LBB8_55
.LBB8_246:
	v_mov_b32_e32 v1, s55
	v_add_co_u32_e32 v24, vcc, s7, v40
	v_addc_co_u32_e32 v25, vcc, 0, v1, vcc
	flat_load_dwordx2 v[24:25], v[24:25]
	s_or_b64 exec, exec, s[2:3]
                                        ; implicit-def: $vgpr26_vgpr27
	s_and_saveexec_b64 s[2:3], s[22:23]
	s_cbranch_execz .LBB8_56
.LBB8_247:
	v_mov_b32_e32 v1, s55
	v_add_co_u32_e32 v26, vcc, s7, v41
	v_addc_co_u32_e32 v27, vcc, 0, v1, vcc
	flat_load_dwordx2 v[26:27], v[26:27]
	s_or_b64 exec, exec, s[2:3]
                                        ; implicit-def: $vgpr28_vgpr29
	s_and_saveexec_b64 s[2:3], s[24:25]
	s_cbranch_execz .LBB8_57
.LBB8_248:
	v_mov_b32_e32 v1, s55
	v_add_co_u32_e32 v28, vcc, s7, v42
	v_addc_co_u32_e32 v29, vcc, 0, v1, vcc
	flat_load_dwordx2 v[28:29], v[28:29]
	s_or_b64 exec, exec, s[2:3]
                                        ; implicit-def: $vgpr30_vgpr31
	s_and_saveexec_b64 s[2:3], s[26:27]
	s_cbranch_execz .LBB8_58
.LBB8_249:
	v_mov_b32_e32 v1, s55
	v_add_co_u32_e32 v30, vcc, s7, v43
	v_addc_co_u32_e32 v31, vcc, 0, v1, vcc
	flat_load_dwordx2 v[30:31], v[30:31]
	s_or_b64 exec, exec, s[2:3]
                                        ; implicit-def: $vgpr32_vgpr33
	s_and_saveexec_b64 s[2:3], s[28:29]
	s_cbranch_execz .LBB8_59
.LBB8_250:
	v_mov_b32_e32 v1, s55
	v_add_co_u32_e32 v32, vcc, s7, v44
	v_addc_co_u32_e32 v33, vcc, 0, v1, vcc
	flat_load_dwordx2 v[32:33], v[32:33]
	s_or_b64 exec, exec, s[2:3]
                                        ; implicit-def: $vgpr34_vgpr35
	s_and_saveexec_b64 s[2:3], s[30:31]
	s_cbranch_execz .LBB8_60
.LBB8_251:
	v_mov_b32_e32 v1, s55
	v_add_co_u32_e32 v34, vcc, s7, v45
	v_addc_co_u32_e32 v35, vcc, 0, v1, vcc
	flat_load_dwordx2 v[34:35], v[34:35]
	s_or_b64 exec, exec, s[2:3]
                                        ; implicit-def: $vgpr36_vgpr37
	s_and_saveexec_b64 s[2:3], s[34:35]
	s_cbranch_execz .LBB8_61
.LBB8_252:
	v_mov_b32_e32 v1, s55
	v_add_co_u32_e32 v36, vcc, s7, v46
	v_addc_co_u32_e32 v37, vcc, 0, v1, vcc
	flat_load_dwordx2 v[36:37], v[36:37]
	s_or_b64 exec, exec, s[2:3]
                                        ; implicit-def: $vgpr38_vgpr39
	s_and_saveexec_b64 s[2:3], s[36:37]
	s_cbranch_execz .LBB8_62
.LBB8_253:
	v_mov_b32_e32 v1, s55
	v_add_co_u32_e32 v38, vcc, s7, v47
	v_addc_co_u32_e32 v39, vcc, 0, v1, vcc
	flat_load_dwordx2 v[38:39], v[38:39]
	s_or_b64 exec, exec, s[2:3]
                                        ; implicit-def: $vgpr40_vgpr41
	s_and_saveexec_b64 s[2:3], s[38:39]
	s_cbranch_execz .LBB8_63
.LBB8_254:
	v_mov_b32_e32 v1, s55
	v_add_co_u32_e32 v40, vcc, s7, v49
	v_addc_co_u32_e32 v41, vcc, 0, v1, vcc
	flat_load_dwordx2 v[40:41], v[40:41]
	s_or_b64 exec, exec, s[2:3]
                                        ; implicit-def: $vgpr42_vgpr43
	s_and_saveexec_b64 s[2:3], s[40:41]
	s_cbranch_execnz .LBB8_64
	s_branch .LBB8_65
.LBB8_255:
                                        ; implicit-def: $sgpr56_sgpr57
	s_branch .LBB8_42
.LBB8_256:
                                        ; implicit-def: $sgpr2_sgpr3
	s_branch .LBB8_106
	.section	.rodata,"a",@progbits
	.p2align	6, 0x0
	.amdhsa_kernel _ZN7rocprim17ROCPRIM_400000_NS6detail17trampoline_kernelINS0_14default_configENS1_27scan_by_key_config_selectorIxxEEZZNS1_16scan_by_key_implILNS1_25lookback_scan_determinismE0ELb0ES3_N6thrust23THRUST_200600_302600_NS6detail15normal_iteratorINS9_10device_ptrIxEEEESE_SE_xNS9_4plusIvEENS9_8equal_toIvEExEE10hipError_tPvRmT2_T3_T4_T5_mT6_T7_P12ihipStream_tbENKUlT_T0_E_clISt17integral_constantIbLb0EESZ_EEDaSU_SV_EUlSU_E_NS1_11comp_targetILNS1_3genE4ELNS1_11target_archE910ELNS1_3gpuE8ELNS1_3repE0EEENS1_30default_config_static_selectorELNS0_4arch9wavefront6targetE1EEEvT1_
		.amdhsa_group_segment_fixed_size 10752
		.amdhsa_private_segment_fixed_size 0
		.amdhsa_kernarg_size 136
		.amdhsa_user_sgpr_count 6
		.amdhsa_user_sgpr_private_segment_buffer 1
		.amdhsa_user_sgpr_dispatch_ptr 0
		.amdhsa_user_sgpr_queue_ptr 0
		.amdhsa_user_sgpr_kernarg_segment_ptr 1
		.amdhsa_user_sgpr_dispatch_id 0
		.amdhsa_user_sgpr_flat_scratch_init 0
		.amdhsa_user_sgpr_kernarg_preload_length 0
		.amdhsa_user_sgpr_kernarg_preload_offset 0
		.amdhsa_user_sgpr_private_segment_size 0
		.amdhsa_uses_dynamic_stack 0
		.amdhsa_system_sgpr_private_segment_wavefront_offset 0
		.amdhsa_system_sgpr_workgroup_id_x 1
		.amdhsa_system_sgpr_workgroup_id_y 0
		.amdhsa_system_sgpr_workgroup_id_z 0
		.amdhsa_system_sgpr_workgroup_info 0
		.amdhsa_system_vgpr_workitem_id 0
		.amdhsa_next_free_vgpr 128
		.amdhsa_next_free_sgpr 78
		.amdhsa_accum_offset 128
		.amdhsa_reserve_vcc 1
		.amdhsa_reserve_flat_scratch 0
		.amdhsa_float_round_mode_32 0
		.amdhsa_float_round_mode_16_64 0
		.amdhsa_float_denorm_mode_32 3
		.amdhsa_float_denorm_mode_16_64 3
		.amdhsa_dx10_clamp 1
		.amdhsa_ieee_mode 1
		.amdhsa_fp16_overflow 0
		.amdhsa_tg_split 0
		.amdhsa_exception_fp_ieee_invalid_op 0
		.amdhsa_exception_fp_denorm_src 0
		.amdhsa_exception_fp_ieee_div_zero 0
		.amdhsa_exception_fp_ieee_overflow 0
		.amdhsa_exception_fp_ieee_underflow 0
		.amdhsa_exception_fp_ieee_inexact 0
		.amdhsa_exception_int_div_zero 0
	.end_amdhsa_kernel
	.section	.text._ZN7rocprim17ROCPRIM_400000_NS6detail17trampoline_kernelINS0_14default_configENS1_27scan_by_key_config_selectorIxxEEZZNS1_16scan_by_key_implILNS1_25lookback_scan_determinismE0ELb0ES3_N6thrust23THRUST_200600_302600_NS6detail15normal_iteratorINS9_10device_ptrIxEEEESE_SE_xNS9_4plusIvEENS9_8equal_toIvEExEE10hipError_tPvRmT2_T3_T4_T5_mT6_T7_P12ihipStream_tbENKUlT_T0_E_clISt17integral_constantIbLb0EESZ_EEDaSU_SV_EUlSU_E_NS1_11comp_targetILNS1_3genE4ELNS1_11target_archE910ELNS1_3gpuE8ELNS1_3repE0EEENS1_30default_config_static_selectorELNS0_4arch9wavefront6targetE1EEEvT1_,"axG",@progbits,_ZN7rocprim17ROCPRIM_400000_NS6detail17trampoline_kernelINS0_14default_configENS1_27scan_by_key_config_selectorIxxEEZZNS1_16scan_by_key_implILNS1_25lookback_scan_determinismE0ELb0ES3_N6thrust23THRUST_200600_302600_NS6detail15normal_iteratorINS9_10device_ptrIxEEEESE_SE_xNS9_4plusIvEENS9_8equal_toIvEExEE10hipError_tPvRmT2_T3_T4_T5_mT6_T7_P12ihipStream_tbENKUlT_T0_E_clISt17integral_constantIbLb0EESZ_EEDaSU_SV_EUlSU_E_NS1_11comp_targetILNS1_3genE4ELNS1_11target_archE910ELNS1_3gpuE8ELNS1_3repE0EEENS1_30default_config_static_selectorELNS0_4arch9wavefront6targetE1EEEvT1_,comdat
.Lfunc_end8:
	.size	_ZN7rocprim17ROCPRIM_400000_NS6detail17trampoline_kernelINS0_14default_configENS1_27scan_by_key_config_selectorIxxEEZZNS1_16scan_by_key_implILNS1_25lookback_scan_determinismE0ELb0ES3_N6thrust23THRUST_200600_302600_NS6detail15normal_iteratorINS9_10device_ptrIxEEEESE_SE_xNS9_4plusIvEENS9_8equal_toIvEExEE10hipError_tPvRmT2_T3_T4_T5_mT6_T7_P12ihipStream_tbENKUlT_T0_E_clISt17integral_constantIbLb0EESZ_EEDaSU_SV_EUlSU_E_NS1_11comp_targetILNS1_3genE4ELNS1_11target_archE910ELNS1_3gpuE8ELNS1_3repE0EEENS1_30default_config_static_selectorELNS0_4arch9wavefront6targetE1EEEvT1_, .Lfunc_end8-_ZN7rocprim17ROCPRIM_400000_NS6detail17trampoline_kernelINS0_14default_configENS1_27scan_by_key_config_selectorIxxEEZZNS1_16scan_by_key_implILNS1_25lookback_scan_determinismE0ELb0ES3_N6thrust23THRUST_200600_302600_NS6detail15normal_iteratorINS9_10device_ptrIxEEEESE_SE_xNS9_4plusIvEENS9_8equal_toIvEExEE10hipError_tPvRmT2_T3_T4_T5_mT6_T7_P12ihipStream_tbENKUlT_T0_E_clISt17integral_constantIbLb0EESZ_EEDaSU_SV_EUlSU_E_NS1_11comp_targetILNS1_3genE4ELNS1_11target_archE910ELNS1_3gpuE8ELNS1_3repE0EEENS1_30default_config_static_selectorELNS0_4arch9wavefront6targetE1EEEvT1_
                                        ; -- End function
	.section	.AMDGPU.csdata,"",@progbits
; Kernel info:
; codeLenInByte = 14924
; NumSgprs: 82
; NumVgprs: 128
; NumAgprs: 0
; TotalNumVgprs: 128
; ScratchSize: 0
; MemoryBound: 0
; FloatMode: 240
; IeeeMode: 1
; LDSByteSize: 10752 bytes/workgroup (compile time only)
; SGPRBlocks: 10
; VGPRBlocks: 15
; NumSGPRsForWavesPerEU: 82
; NumVGPRsForWavesPerEU: 128
; AccumOffset: 128
; Occupancy: 2
; WaveLimiterHint : 1
; COMPUTE_PGM_RSRC2:SCRATCH_EN: 0
; COMPUTE_PGM_RSRC2:USER_SGPR: 6
; COMPUTE_PGM_RSRC2:TRAP_HANDLER: 0
; COMPUTE_PGM_RSRC2:TGID_X_EN: 1
; COMPUTE_PGM_RSRC2:TGID_Y_EN: 0
; COMPUTE_PGM_RSRC2:TGID_Z_EN: 0
; COMPUTE_PGM_RSRC2:TIDIG_COMP_CNT: 0
; COMPUTE_PGM_RSRC3_GFX90A:ACCUM_OFFSET: 31
; COMPUTE_PGM_RSRC3_GFX90A:TG_SPLIT: 0
	.section	.text._ZN7rocprim17ROCPRIM_400000_NS6detail17trampoline_kernelINS0_14default_configENS1_27scan_by_key_config_selectorIxxEEZZNS1_16scan_by_key_implILNS1_25lookback_scan_determinismE0ELb0ES3_N6thrust23THRUST_200600_302600_NS6detail15normal_iteratorINS9_10device_ptrIxEEEESE_SE_xNS9_4plusIvEENS9_8equal_toIvEExEE10hipError_tPvRmT2_T3_T4_T5_mT6_T7_P12ihipStream_tbENKUlT_T0_E_clISt17integral_constantIbLb0EESZ_EEDaSU_SV_EUlSU_E_NS1_11comp_targetILNS1_3genE3ELNS1_11target_archE908ELNS1_3gpuE7ELNS1_3repE0EEENS1_30default_config_static_selectorELNS0_4arch9wavefront6targetE1EEEvT1_,"axG",@progbits,_ZN7rocprim17ROCPRIM_400000_NS6detail17trampoline_kernelINS0_14default_configENS1_27scan_by_key_config_selectorIxxEEZZNS1_16scan_by_key_implILNS1_25lookback_scan_determinismE0ELb0ES3_N6thrust23THRUST_200600_302600_NS6detail15normal_iteratorINS9_10device_ptrIxEEEESE_SE_xNS9_4plusIvEENS9_8equal_toIvEExEE10hipError_tPvRmT2_T3_T4_T5_mT6_T7_P12ihipStream_tbENKUlT_T0_E_clISt17integral_constantIbLb0EESZ_EEDaSU_SV_EUlSU_E_NS1_11comp_targetILNS1_3genE3ELNS1_11target_archE908ELNS1_3gpuE7ELNS1_3repE0EEENS1_30default_config_static_selectorELNS0_4arch9wavefront6targetE1EEEvT1_,comdat
	.protected	_ZN7rocprim17ROCPRIM_400000_NS6detail17trampoline_kernelINS0_14default_configENS1_27scan_by_key_config_selectorIxxEEZZNS1_16scan_by_key_implILNS1_25lookback_scan_determinismE0ELb0ES3_N6thrust23THRUST_200600_302600_NS6detail15normal_iteratorINS9_10device_ptrIxEEEESE_SE_xNS9_4plusIvEENS9_8equal_toIvEExEE10hipError_tPvRmT2_T3_T4_T5_mT6_T7_P12ihipStream_tbENKUlT_T0_E_clISt17integral_constantIbLb0EESZ_EEDaSU_SV_EUlSU_E_NS1_11comp_targetILNS1_3genE3ELNS1_11target_archE908ELNS1_3gpuE7ELNS1_3repE0EEENS1_30default_config_static_selectorELNS0_4arch9wavefront6targetE1EEEvT1_ ; -- Begin function _ZN7rocprim17ROCPRIM_400000_NS6detail17trampoline_kernelINS0_14default_configENS1_27scan_by_key_config_selectorIxxEEZZNS1_16scan_by_key_implILNS1_25lookback_scan_determinismE0ELb0ES3_N6thrust23THRUST_200600_302600_NS6detail15normal_iteratorINS9_10device_ptrIxEEEESE_SE_xNS9_4plusIvEENS9_8equal_toIvEExEE10hipError_tPvRmT2_T3_T4_T5_mT6_T7_P12ihipStream_tbENKUlT_T0_E_clISt17integral_constantIbLb0EESZ_EEDaSU_SV_EUlSU_E_NS1_11comp_targetILNS1_3genE3ELNS1_11target_archE908ELNS1_3gpuE7ELNS1_3repE0EEENS1_30default_config_static_selectorELNS0_4arch9wavefront6targetE1EEEvT1_
	.globl	_ZN7rocprim17ROCPRIM_400000_NS6detail17trampoline_kernelINS0_14default_configENS1_27scan_by_key_config_selectorIxxEEZZNS1_16scan_by_key_implILNS1_25lookback_scan_determinismE0ELb0ES3_N6thrust23THRUST_200600_302600_NS6detail15normal_iteratorINS9_10device_ptrIxEEEESE_SE_xNS9_4plusIvEENS9_8equal_toIvEExEE10hipError_tPvRmT2_T3_T4_T5_mT6_T7_P12ihipStream_tbENKUlT_T0_E_clISt17integral_constantIbLb0EESZ_EEDaSU_SV_EUlSU_E_NS1_11comp_targetILNS1_3genE3ELNS1_11target_archE908ELNS1_3gpuE7ELNS1_3repE0EEENS1_30default_config_static_selectorELNS0_4arch9wavefront6targetE1EEEvT1_
	.p2align	8
	.type	_ZN7rocprim17ROCPRIM_400000_NS6detail17trampoline_kernelINS0_14default_configENS1_27scan_by_key_config_selectorIxxEEZZNS1_16scan_by_key_implILNS1_25lookback_scan_determinismE0ELb0ES3_N6thrust23THRUST_200600_302600_NS6detail15normal_iteratorINS9_10device_ptrIxEEEESE_SE_xNS9_4plusIvEENS9_8equal_toIvEExEE10hipError_tPvRmT2_T3_T4_T5_mT6_T7_P12ihipStream_tbENKUlT_T0_E_clISt17integral_constantIbLb0EESZ_EEDaSU_SV_EUlSU_E_NS1_11comp_targetILNS1_3genE3ELNS1_11target_archE908ELNS1_3gpuE7ELNS1_3repE0EEENS1_30default_config_static_selectorELNS0_4arch9wavefront6targetE1EEEvT1_,@function
_ZN7rocprim17ROCPRIM_400000_NS6detail17trampoline_kernelINS0_14default_configENS1_27scan_by_key_config_selectorIxxEEZZNS1_16scan_by_key_implILNS1_25lookback_scan_determinismE0ELb0ES3_N6thrust23THRUST_200600_302600_NS6detail15normal_iteratorINS9_10device_ptrIxEEEESE_SE_xNS9_4plusIvEENS9_8equal_toIvEExEE10hipError_tPvRmT2_T3_T4_T5_mT6_T7_P12ihipStream_tbENKUlT_T0_E_clISt17integral_constantIbLb0EESZ_EEDaSU_SV_EUlSU_E_NS1_11comp_targetILNS1_3genE3ELNS1_11target_archE908ELNS1_3gpuE7ELNS1_3repE0EEENS1_30default_config_static_selectorELNS0_4arch9wavefront6targetE1EEEvT1_: ; @_ZN7rocprim17ROCPRIM_400000_NS6detail17trampoline_kernelINS0_14default_configENS1_27scan_by_key_config_selectorIxxEEZZNS1_16scan_by_key_implILNS1_25lookback_scan_determinismE0ELb0ES3_N6thrust23THRUST_200600_302600_NS6detail15normal_iteratorINS9_10device_ptrIxEEEESE_SE_xNS9_4plusIvEENS9_8equal_toIvEExEE10hipError_tPvRmT2_T3_T4_T5_mT6_T7_P12ihipStream_tbENKUlT_T0_E_clISt17integral_constantIbLb0EESZ_EEDaSU_SV_EUlSU_E_NS1_11comp_targetILNS1_3genE3ELNS1_11target_archE908ELNS1_3gpuE7ELNS1_3repE0EEENS1_30default_config_static_selectorELNS0_4arch9wavefront6targetE1EEEvT1_
; %bb.0:
	.section	.rodata,"a",@progbits
	.p2align	6, 0x0
	.amdhsa_kernel _ZN7rocprim17ROCPRIM_400000_NS6detail17trampoline_kernelINS0_14default_configENS1_27scan_by_key_config_selectorIxxEEZZNS1_16scan_by_key_implILNS1_25lookback_scan_determinismE0ELb0ES3_N6thrust23THRUST_200600_302600_NS6detail15normal_iteratorINS9_10device_ptrIxEEEESE_SE_xNS9_4plusIvEENS9_8equal_toIvEExEE10hipError_tPvRmT2_T3_T4_T5_mT6_T7_P12ihipStream_tbENKUlT_T0_E_clISt17integral_constantIbLb0EESZ_EEDaSU_SV_EUlSU_E_NS1_11comp_targetILNS1_3genE3ELNS1_11target_archE908ELNS1_3gpuE7ELNS1_3repE0EEENS1_30default_config_static_selectorELNS0_4arch9wavefront6targetE1EEEvT1_
		.amdhsa_group_segment_fixed_size 0
		.amdhsa_private_segment_fixed_size 0
		.amdhsa_kernarg_size 136
		.amdhsa_user_sgpr_count 6
		.amdhsa_user_sgpr_private_segment_buffer 1
		.amdhsa_user_sgpr_dispatch_ptr 0
		.amdhsa_user_sgpr_queue_ptr 0
		.amdhsa_user_sgpr_kernarg_segment_ptr 1
		.amdhsa_user_sgpr_dispatch_id 0
		.amdhsa_user_sgpr_flat_scratch_init 0
		.amdhsa_user_sgpr_kernarg_preload_length 0
		.amdhsa_user_sgpr_kernarg_preload_offset 0
		.amdhsa_user_sgpr_private_segment_size 0
		.amdhsa_uses_dynamic_stack 0
		.amdhsa_system_sgpr_private_segment_wavefront_offset 0
		.amdhsa_system_sgpr_workgroup_id_x 1
		.amdhsa_system_sgpr_workgroup_id_y 0
		.amdhsa_system_sgpr_workgroup_id_z 0
		.amdhsa_system_sgpr_workgroup_info 0
		.amdhsa_system_vgpr_workitem_id 0
		.amdhsa_next_free_vgpr 1
		.amdhsa_next_free_sgpr 0
		.amdhsa_accum_offset 4
		.amdhsa_reserve_vcc 0
		.amdhsa_reserve_flat_scratch 0
		.amdhsa_float_round_mode_32 0
		.amdhsa_float_round_mode_16_64 0
		.amdhsa_float_denorm_mode_32 3
		.amdhsa_float_denorm_mode_16_64 3
		.amdhsa_dx10_clamp 1
		.amdhsa_ieee_mode 1
		.amdhsa_fp16_overflow 0
		.amdhsa_tg_split 0
		.amdhsa_exception_fp_ieee_invalid_op 0
		.amdhsa_exception_fp_denorm_src 0
		.amdhsa_exception_fp_ieee_div_zero 0
		.amdhsa_exception_fp_ieee_overflow 0
		.amdhsa_exception_fp_ieee_underflow 0
		.amdhsa_exception_fp_ieee_inexact 0
		.amdhsa_exception_int_div_zero 0
	.end_amdhsa_kernel
	.section	.text._ZN7rocprim17ROCPRIM_400000_NS6detail17trampoline_kernelINS0_14default_configENS1_27scan_by_key_config_selectorIxxEEZZNS1_16scan_by_key_implILNS1_25lookback_scan_determinismE0ELb0ES3_N6thrust23THRUST_200600_302600_NS6detail15normal_iteratorINS9_10device_ptrIxEEEESE_SE_xNS9_4plusIvEENS9_8equal_toIvEExEE10hipError_tPvRmT2_T3_T4_T5_mT6_T7_P12ihipStream_tbENKUlT_T0_E_clISt17integral_constantIbLb0EESZ_EEDaSU_SV_EUlSU_E_NS1_11comp_targetILNS1_3genE3ELNS1_11target_archE908ELNS1_3gpuE7ELNS1_3repE0EEENS1_30default_config_static_selectorELNS0_4arch9wavefront6targetE1EEEvT1_,"axG",@progbits,_ZN7rocprim17ROCPRIM_400000_NS6detail17trampoline_kernelINS0_14default_configENS1_27scan_by_key_config_selectorIxxEEZZNS1_16scan_by_key_implILNS1_25lookback_scan_determinismE0ELb0ES3_N6thrust23THRUST_200600_302600_NS6detail15normal_iteratorINS9_10device_ptrIxEEEESE_SE_xNS9_4plusIvEENS9_8equal_toIvEExEE10hipError_tPvRmT2_T3_T4_T5_mT6_T7_P12ihipStream_tbENKUlT_T0_E_clISt17integral_constantIbLb0EESZ_EEDaSU_SV_EUlSU_E_NS1_11comp_targetILNS1_3genE3ELNS1_11target_archE908ELNS1_3gpuE7ELNS1_3repE0EEENS1_30default_config_static_selectorELNS0_4arch9wavefront6targetE1EEEvT1_,comdat
.Lfunc_end9:
	.size	_ZN7rocprim17ROCPRIM_400000_NS6detail17trampoline_kernelINS0_14default_configENS1_27scan_by_key_config_selectorIxxEEZZNS1_16scan_by_key_implILNS1_25lookback_scan_determinismE0ELb0ES3_N6thrust23THRUST_200600_302600_NS6detail15normal_iteratorINS9_10device_ptrIxEEEESE_SE_xNS9_4plusIvEENS9_8equal_toIvEExEE10hipError_tPvRmT2_T3_T4_T5_mT6_T7_P12ihipStream_tbENKUlT_T0_E_clISt17integral_constantIbLb0EESZ_EEDaSU_SV_EUlSU_E_NS1_11comp_targetILNS1_3genE3ELNS1_11target_archE908ELNS1_3gpuE7ELNS1_3repE0EEENS1_30default_config_static_selectorELNS0_4arch9wavefront6targetE1EEEvT1_, .Lfunc_end9-_ZN7rocprim17ROCPRIM_400000_NS6detail17trampoline_kernelINS0_14default_configENS1_27scan_by_key_config_selectorIxxEEZZNS1_16scan_by_key_implILNS1_25lookback_scan_determinismE0ELb0ES3_N6thrust23THRUST_200600_302600_NS6detail15normal_iteratorINS9_10device_ptrIxEEEESE_SE_xNS9_4plusIvEENS9_8equal_toIvEExEE10hipError_tPvRmT2_T3_T4_T5_mT6_T7_P12ihipStream_tbENKUlT_T0_E_clISt17integral_constantIbLb0EESZ_EEDaSU_SV_EUlSU_E_NS1_11comp_targetILNS1_3genE3ELNS1_11target_archE908ELNS1_3gpuE7ELNS1_3repE0EEENS1_30default_config_static_selectorELNS0_4arch9wavefront6targetE1EEEvT1_
                                        ; -- End function
	.section	.AMDGPU.csdata,"",@progbits
; Kernel info:
; codeLenInByte = 0
; NumSgprs: 4
; NumVgprs: 0
; NumAgprs: 0
; TotalNumVgprs: 0
; ScratchSize: 0
; MemoryBound: 0
; FloatMode: 240
; IeeeMode: 1
; LDSByteSize: 0 bytes/workgroup (compile time only)
; SGPRBlocks: 0
; VGPRBlocks: 0
; NumSGPRsForWavesPerEU: 4
; NumVGPRsForWavesPerEU: 1
; AccumOffset: 4
; Occupancy: 8
; WaveLimiterHint : 0
; COMPUTE_PGM_RSRC2:SCRATCH_EN: 0
; COMPUTE_PGM_RSRC2:USER_SGPR: 6
; COMPUTE_PGM_RSRC2:TRAP_HANDLER: 0
; COMPUTE_PGM_RSRC2:TGID_X_EN: 1
; COMPUTE_PGM_RSRC2:TGID_Y_EN: 0
; COMPUTE_PGM_RSRC2:TGID_Z_EN: 0
; COMPUTE_PGM_RSRC2:TIDIG_COMP_CNT: 0
; COMPUTE_PGM_RSRC3_GFX90A:ACCUM_OFFSET: 0
; COMPUTE_PGM_RSRC3_GFX90A:TG_SPLIT: 0
	.section	.text._ZN7rocprim17ROCPRIM_400000_NS6detail17trampoline_kernelINS0_14default_configENS1_27scan_by_key_config_selectorIxxEEZZNS1_16scan_by_key_implILNS1_25lookback_scan_determinismE0ELb0ES3_N6thrust23THRUST_200600_302600_NS6detail15normal_iteratorINS9_10device_ptrIxEEEESE_SE_xNS9_4plusIvEENS9_8equal_toIvEExEE10hipError_tPvRmT2_T3_T4_T5_mT6_T7_P12ihipStream_tbENKUlT_T0_E_clISt17integral_constantIbLb0EESZ_EEDaSU_SV_EUlSU_E_NS1_11comp_targetILNS1_3genE2ELNS1_11target_archE906ELNS1_3gpuE6ELNS1_3repE0EEENS1_30default_config_static_selectorELNS0_4arch9wavefront6targetE1EEEvT1_,"axG",@progbits,_ZN7rocprim17ROCPRIM_400000_NS6detail17trampoline_kernelINS0_14default_configENS1_27scan_by_key_config_selectorIxxEEZZNS1_16scan_by_key_implILNS1_25lookback_scan_determinismE0ELb0ES3_N6thrust23THRUST_200600_302600_NS6detail15normal_iteratorINS9_10device_ptrIxEEEESE_SE_xNS9_4plusIvEENS9_8equal_toIvEExEE10hipError_tPvRmT2_T3_T4_T5_mT6_T7_P12ihipStream_tbENKUlT_T0_E_clISt17integral_constantIbLb0EESZ_EEDaSU_SV_EUlSU_E_NS1_11comp_targetILNS1_3genE2ELNS1_11target_archE906ELNS1_3gpuE6ELNS1_3repE0EEENS1_30default_config_static_selectorELNS0_4arch9wavefront6targetE1EEEvT1_,comdat
	.protected	_ZN7rocprim17ROCPRIM_400000_NS6detail17trampoline_kernelINS0_14default_configENS1_27scan_by_key_config_selectorIxxEEZZNS1_16scan_by_key_implILNS1_25lookback_scan_determinismE0ELb0ES3_N6thrust23THRUST_200600_302600_NS6detail15normal_iteratorINS9_10device_ptrIxEEEESE_SE_xNS9_4plusIvEENS9_8equal_toIvEExEE10hipError_tPvRmT2_T3_T4_T5_mT6_T7_P12ihipStream_tbENKUlT_T0_E_clISt17integral_constantIbLb0EESZ_EEDaSU_SV_EUlSU_E_NS1_11comp_targetILNS1_3genE2ELNS1_11target_archE906ELNS1_3gpuE6ELNS1_3repE0EEENS1_30default_config_static_selectorELNS0_4arch9wavefront6targetE1EEEvT1_ ; -- Begin function _ZN7rocprim17ROCPRIM_400000_NS6detail17trampoline_kernelINS0_14default_configENS1_27scan_by_key_config_selectorIxxEEZZNS1_16scan_by_key_implILNS1_25lookback_scan_determinismE0ELb0ES3_N6thrust23THRUST_200600_302600_NS6detail15normal_iteratorINS9_10device_ptrIxEEEESE_SE_xNS9_4plusIvEENS9_8equal_toIvEExEE10hipError_tPvRmT2_T3_T4_T5_mT6_T7_P12ihipStream_tbENKUlT_T0_E_clISt17integral_constantIbLb0EESZ_EEDaSU_SV_EUlSU_E_NS1_11comp_targetILNS1_3genE2ELNS1_11target_archE906ELNS1_3gpuE6ELNS1_3repE0EEENS1_30default_config_static_selectorELNS0_4arch9wavefront6targetE1EEEvT1_
	.globl	_ZN7rocprim17ROCPRIM_400000_NS6detail17trampoline_kernelINS0_14default_configENS1_27scan_by_key_config_selectorIxxEEZZNS1_16scan_by_key_implILNS1_25lookback_scan_determinismE0ELb0ES3_N6thrust23THRUST_200600_302600_NS6detail15normal_iteratorINS9_10device_ptrIxEEEESE_SE_xNS9_4plusIvEENS9_8equal_toIvEExEE10hipError_tPvRmT2_T3_T4_T5_mT6_T7_P12ihipStream_tbENKUlT_T0_E_clISt17integral_constantIbLb0EESZ_EEDaSU_SV_EUlSU_E_NS1_11comp_targetILNS1_3genE2ELNS1_11target_archE906ELNS1_3gpuE6ELNS1_3repE0EEENS1_30default_config_static_selectorELNS0_4arch9wavefront6targetE1EEEvT1_
	.p2align	8
	.type	_ZN7rocprim17ROCPRIM_400000_NS6detail17trampoline_kernelINS0_14default_configENS1_27scan_by_key_config_selectorIxxEEZZNS1_16scan_by_key_implILNS1_25lookback_scan_determinismE0ELb0ES3_N6thrust23THRUST_200600_302600_NS6detail15normal_iteratorINS9_10device_ptrIxEEEESE_SE_xNS9_4plusIvEENS9_8equal_toIvEExEE10hipError_tPvRmT2_T3_T4_T5_mT6_T7_P12ihipStream_tbENKUlT_T0_E_clISt17integral_constantIbLb0EESZ_EEDaSU_SV_EUlSU_E_NS1_11comp_targetILNS1_3genE2ELNS1_11target_archE906ELNS1_3gpuE6ELNS1_3repE0EEENS1_30default_config_static_selectorELNS0_4arch9wavefront6targetE1EEEvT1_,@function
_ZN7rocprim17ROCPRIM_400000_NS6detail17trampoline_kernelINS0_14default_configENS1_27scan_by_key_config_selectorIxxEEZZNS1_16scan_by_key_implILNS1_25lookback_scan_determinismE0ELb0ES3_N6thrust23THRUST_200600_302600_NS6detail15normal_iteratorINS9_10device_ptrIxEEEESE_SE_xNS9_4plusIvEENS9_8equal_toIvEExEE10hipError_tPvRmT2_T3_T4_T5_mT6_T7_P12ihipStream_tbENKUlT_T0_E_clISt17integral_constantIbLb0EESZ_EEDaSU_SV_EUlSU_E_NS1_11comp_targetILNS1_3genE2ELNS1_11target_archE906ELNS1_3gpuE6ELNS1_3repE0EEENS1_30default_config_static_selectorELNS0_4arch9wavefront6targetE1EEEvT1_: ; @_ZN7rocprim17ROCPRIM_400000_NS6detail17trampoline_kernelINS0_14default_configENS1_27scan_by_key_config_selectorIxxEEZZNS1_16scan_by_key_implILNS1_25lookback_scan_determinismE0ELb0ES3_N6thrust23THRUST_200600_302600_NS6detail15normal_iteratorINS9_10device_ptrIxEEEESE_SE_xNS9_4plusIvEENS9_8equal_toIvEExEE10hipError_tPvRmT2_T3_T4_T5_mT6_T7_P12ihipStream_tbENKUlT_T0_E_clISt17integral_constantIbLb0EESZ_EEDaSU_SV_EUlSU_E_NS1_11comp_targetILNS1_3genE2ELNS1_11target_archE906ELNS1_3gpuE6ELNS1_3repE0EEENS1_30default_config_static_selectorELNS0_4arch9wavefront6targetE1EEEvT1_
; %bb.0:
	.section	.rodata,"a",@progbits
	.p2align	6, 0x0
	.amdhsa_kernel _ZN7rocprim17ROCPRIM_400000_NS6detail17trampoline_kernelINS0_14default_configENS1_27scan_by_key_config_selectorIxxEEZZNS1_16scan_by_key_implILNS1_25lookback_scan_determinismE0ELb0ES3_N6thrust23THRUST_200600_302600_NS6detail15normal_iteratorINS9_10device_ptrIxEEEESE_SE_xNS9_4plusIvEENS9_8equal_toIvEExEE10hipError_tPvRmT2_T3_T4_T5_mT6_T7_P12ihipStream_tbENKUlT_T0_E_clISt17integral_constantIbLb0EESZ_EEDaSU_SV_EUlSU_E_NS1_11comp_targetILNS1_3genE2ELNS1_11target_archE906ELNS1_3gpuE6ELNS1_3repE0EEENS1_30default_config_static_selectorELNS0_4arch9wavefront6targetE1EEEvT1_
		.amdhsa_group_segment_fixed_size 0
		.amdhsa_private_segment_fixed_size 0
		.amdhsa_kernarg_size 136
		.amdhsa_user_sgpr_count 6
		.amdhsa_user_sgpr_private_segment_buffer 1
		.amdhsa_user_sgpr_dispatch_ptr 0
		.amdhsa_user_sgpr_queue_ptr 0
		.amdhsa_user_sgpr_kernarg_segment_ptr 1
		.amdhsa_user_sgpr_dispatch_id 0
		.amdhsa_user_sgpr_flat_scratch_init 0
		.amdhsa_user_sgpr_kernarg_preload_length 0
		.amdhsa_user_sgpr_kernarg_preload_offset 0
		.amdhsa_user_sgpr_private_segment_size 0
		.amdhsa_uses_dynamic_stack 0
		.amdhsa_system_sgpr_private_segment_wavefront_offset 0
		.amdhsa_system_sgpr_workgroup_id_x 1
		.amdhsa_system_sgpr_workgroup_id_y 0
		.amdhsa_system_sgpr_workgroup_id_z 0
		.amdhsa_system_sgpr_workgroup_info 0
		.amdhsa_system_vgpr_workitem_id 0
		.amdhsa_next_free_vgpr 1
		.amdhsa_next_free_sgpr 0
		.amdhsa_accum_offset 4
		.amdhsa_reserve_vcc 0
		.amdhsa_reserve_flat_scratch 0
		.amdhsa_float_round_mode_32 0
		.amdhsa_float_round_mode_16_64 0
		.amdhsa_float_denorm_mode_32 3
		.amdhsa_float_denorm_mode_16_64 3
		.amdhsa_dx10_clamp 1
		.amdhsa_ieee_mode 1
		.amdhsa_fp16_overflow 0
		.amdhsa_tg_split 0
		.amdhsa_exception_fp_ieee_invalid_op 0
		.amdhsa_exception_fp_denorm_src 0
		.amdhsa_exception_fp_ieee_div_zero 0
		.amdhsa_exception_fp_ieee_overflow 0
		.amdhsa_exception_fp_ieee_underflow 0
		.amdhsa_exception_fp_ieee_inexact 0
		.amdhsa_exception_int_div_zero 0
	.end_amdhsa_kernel
	.section	.text._ZN7rocprim17ROCPRIM_400000_NS6detail17trampoline_kernelINS0_14default_configENS1_27scan_by_key_config_selectorIxxEEZZNS1_16scan_by_key_implILNS1_25lookback_scan_determinismE0ELb0ES3_N6thrust23THRUST_200600_302600_NS6detail15normal_iteratorINS9_10device_ptrIxEEEESE_SE_xNS9_4plusIvEENS9_8equal_toIvEExEE10hipError_tPvRmT2_T3_T4_T5_mT6_T7_P12ihipStream_tbENKUlT_T0_E_clISt17integral_constantIbLb0EESZ_EEDaSU_SV_EUlSU_E_NS1_11comp_targetILNS1_3genE2ELNS1_11target_archE906ELNS1_3gpuE6ELNS1_3repE0EEENS1_30default_config_static_selectorELNS0_4arch9wavefront6targetE1EEEvT1_,"axG",@progbits,_ZN7rocprim17ROCPRIM_400000_NS6detail17trampoline_kernelINS0_14default_configENS1_27scan_by_key_config_selectorIxxEEZZNS1_16scan_by_key_implILNS1_25lookback_scan_determinismE0ELb0ES3_N6thrust23THRUST_200600_302600_NS6detail15normal_iteratorINS9_10device_ptrIxEEEESE_SE_xNS9_4plusIvEENS9_8equal_toIvEExEE10hipError_tPvRmT2_T3_T4_T5_mT6_T7_P12ihipStream_tbENKUlT_T0_E_clISt17integral_constantIbLb0EESZ_EEDaSU_SV_EUlSU_E_NS1_11comp_targetILNS1_3genE2ELNS1_11target_archE906ELNS1_3gpuE6ELNS1_3repE0EEENS1_30default_config_static_selectorELNS0_4arch9wavefront6targetE1EEEvT1_,comdat
.Lfunc_end10:
	.size	_ZN7rocprim17ROCPRIM_400000_NS6detail17trampoline_kernelINS0_14default_configENS1_27scan_by_key_config_selectorIxxEEZZNS1_16scan_by_key_implILNS1_25lookback_scan_determinismE0ELb0ES3_N6thrust23THRUST_200600_302600_NS6detail15normal_iteratorINS9_10device_ptrIxEEEESE_SE_xNS9_4plusIvEENS9_8equal_toIvEExEE10hipError_tPvRmT2_T3_T4_T5_mT6_T7_P12ihipStream_tbENKUlT_T0_E_clISt17integral_constantIbLb0EESZ_EEDaSU_SV_EUlSU_E_NS1_11comp_targetILNS1_3genE2ELNS1_11target_archE906ELNS1_3gpuE6ELNS1_3repE0EEENS1_30default_config_static_selectorELNS0_4arch9wavefront6targetE1EEEvT1_, .Lfunc_end10-_ZN7rocprim17ROCPRIM_400000_NS6detail17trampoline_kernelINS0_14default_configENS1_27scan_by_key_config_selectorIxxEEZZNS1_16scan_by_key_implILNS1_25lookback_scan_determinismE0ELb0ES3_N6thrust23THRUST_200600_302600_NS6detail15normal_iteratorINS9_10device_ptrIxEEEESE_SE_xNS9_4plusIvEENS9_8equal_toIvEExEE10hipError_tPvRmT2_T3_T4_T5_mT6_T7_P12ihipStream_tbENKUlT_T0_E_clISt17integral_constantIbLb0EESZ_EEDaSU_SV_EUlSU_E_NS1_11comp_targetILNS1_3genE2ELNS1_11target_archE906ELNS1_3gpuE6ELNS1_3repE0EEENS1_30default_config_static_selectorELNS0_4arch9wavefront6targetE1EEEvT1_
                                        ; -- End function
	.section	.AMDGPU.csdata,"",@progbits
; Kernel info:
; codeLenInByte = 0
; NumSgprs: 4
; NumVgprs: 0
; NumAgprs: 0
; TotalNumVgprs: 0
; ScratchSize: 0
; MemoryBound: 0
; FloatMode: 240
; IeeeMode: 1
; LDSByteSize: 0 bytes/workgroup (compile time only)
; SGPRBlocks: 0
; VGPRBlocks: 0
; NumSGPRsForWavesPerEU: 4
; NumVGPRsForWavesPerEU: 1
; AccumOffset: 4
; Occupancy: 8
; WaveLimiterHint : 0
; COMPUTE_PGM_RSRC2:SCRATCH_EN: 0
; COMPUTE_PGM_RSRC2:USER_SGPR: 6
; COMPUTE_PGM_RSRC2:TRAP_HANDLER: 0
; COMPUTE_PGM_RSRC2:TGID_X_EN: 1
; COMPUTE_PGM_RSRC2:TGID_Y_EN: 0
; COMPUTE_PGM_RSRC2:TGID_Z_EN: 0
; COMPUTE_PGM_RSRC2:TIDIG_COMP_CNT: 0
; COMPUTE_PGM_RSRC3_GFX90A:ACCUM_OFFSET: 0
; COMPUTE_PGM_RSRC3_GFX90A:TG_SPLIT: 0
	.section	.text._ZN7rocprim17ROCPRIM_400000_NS6detail17trampoline_kernelINS0_14default_configENS1_27scan_by_key_config_selectorIxxEEZZNS1_16scan_by_key_implILNS1_25lookback_scan_determinismE0ELb0ES3_N6thrust23THRUST_200600_302600_NS6detail15normal_iteratorINS9_10device_ptrIxEEEESE_SE_xNS9_4plusIvEENS9_8equal_toIvEExEE10hipError_tPvRmT2_T3_T4_T5_mT6_T7_P12ihipStream_tbENKUlT_T0_E_clISt17integral_constantIbLb0EESZ_EEDaSU_SV_EUlSU_E_NS1_11comp_targetILNS1_3genE10ELNS1_11target_archE1200ELNS1_3gpuE4ELNS1_3repE0EEENS1_30default_config_static_selectorELNS0_4arch9wavefront6targetE1EEEvT1_,"axG",@progbits,_ZN7rocprim17ROCPRIM_400000_NS6detail17trampoline_kernelINS0_14default_configENS1_27scan_by_key_config_selectorIxxEEZZNS1_16scan_by_key_implILNS1_25lookback_scan_determinismE0ELb0ES3_N6thrust23THRUST_200600_302600_NS6detail15normal_iteratorINS9_10device_ptrIxEEEESE_SE_xNS9_4plusIvEENS9_8equal_toIvEExEE10hipError_tPvRmT2_T3_T4_T5_mT6_T7_P12ihipStream_tbENKUlT_T0_E_clISt17integral_constantIbLb0EESZ_EEDaSU_SV_EUlSU_E_NS1_11comp_targetILNS1_3genE10ELNS1_11target_archE1200ELNS1_3gpuE4ELNS1_3repE0EEENS1_30default_config_static_selectorELNS0_4arch9wavefront6targetE1EEEvT1_,comdat
	.protected	_ZN7rocprim17ROCPRIM_400000_NS6detail17trampoline_kernelINS0_14default_configENS1_27scan_by_key_config_selectorIxxEEZZNS1_16scan_by_key_implILNS1_25lookback_scan_determinismE0ELb0ES3_N6thrust23THRUST_200600_302600_NS6detail15normal_iteratorINS9_10device_ptrIxEEEESE_SE_xNS9_4plusIvEENS9_8equal_toIvEExEE10hipError_tPvRmT2_T3_T4_T5_mT6_T7_P12ihipStream_tbENKUlT_T0_E_clISt17integral_constantIbLb0EESZ_EEDaSU_SV_EUlSU_E_NS1_11comp_targetILNS1_3genE10ELNS1_11target_archE1200ELNS1_3gpuE4ELNS1_3repE0EEENS1_30default_config_static_selectorELNS0_4arch9wavefront6targetE1EEEvT1_ ; -- Begin function _ZN7rocprim17ROCPRIM_400000_NS6detail17trampoline_kernelINS0_14default_configENS1_27scan_by_key_config_selectorIxxEEZZNS1_16scan_by_key_implILNS1_25lookback_scan_determinismE0ELb0ES3_N6thrust23THRUST_200600_302600_NS6detail15normal_iteratorINS9_10device_ptrIxEEEESE_SE_xNS9_4plusIvEENS9_8equal_toIvEExEE10hipError_tPvRmT2_T3_T4_T5_mT6_T7_P12ihipStream_tbENKUlT_T0_E_clISt17integral_constantIbLb0EESZ_EEDaSU_SV_EUlSU_E_NS1_11comp_targetILNS1_3genE10ELNS1_11target_archE1200ELNS1_3gpuE4ELNS1_3repE0EEENS1_30default_config_static_selectorELNS0_4arch9wavefront6targetE1EEEvT1_
	.globl	_ZN7rocprim17ROCPRIM_400000_NS6detail17trampoline_kernelINS0_14default_configENS1_27scan_by_key_config_selectorIxxEEZZNS1_16scan_by_key_implILNS1_25lookback_scan_determinismE0ELb0ES3_N6thrust23THRUST_200600_302600_NS6detail15normal_iteratorINS9_10device_ptrIxEEEESE_SE_xNS9_4plusIvEENS9_8equal_toIvEExEE10hipError_tPvRmT2_T3_T4_T5_mT6_T7_P12ihipStream_tbENKUlT_T0_E_clISt17integral_constantIbLb0EESZ_EEDaSU_SV_EUlSU_E_NS1_11comp_targetILNS1_3genE10ELNS1_11target_archE1200ELNS1_3gpuE4ELNS1_3repE0EEENS1_30default_config_static_selectorELNS0_4arch9wavefront6targetE1EEEvT1_
	.p2align	8
	.type	_ZN7rocprim17ROCPRIM_400000_NS6detail17trampoline_kernelINS0_14default_configENS1_27scan_by_key_config_selectorIxxEEZZNS1_16scan_by_key_implILNS1_25lookback_scan_determinismE0ELb0ES3_N6thrust23THRUST_200600_302600_NS6detail15normal_iteratorINS9_10device_ptrIxEEEESE_SE_xNS9_4plusIvEENS9_8equal_toIvEExEE10hipError_tPvRmT2_T3_T4_T5_mT6_T7_P12ihipStream_tbENKUlT_T0_E_clISt17integral_constantIbLb0EESZ_EEDaSU_SV_EUlSU_E_NS1_11comp_targetILNS1_3genE10ELNS1_11target_archE1200ELNS1_3gpuE4ELNS1_3repE0EEENS1_30default_config_static_selectorELNS0_4arch9wavefront6targetE1EEEvT1_,@function
_ZN7rocprim17ROCPRIM_400000_NS6detail17trampoline_kernelINS0_14default_configENS1_27scan_by_key_config_selectorIxxEEZZNS1_16scan_by_key_implILNS1_25lookback_scan_determinismE0ELb0ES3_N6thrust23THRUST_200600_302600_NS6detail15normal_iteratorINS9_10device_ptrIxEEEESE_SE_xNS9_4plusIvEENS9_8equal_toIvEExEE10hipError_tPvRmT2_T3_T4_T5_mT6_T7_P12ihipStream_tbENKUlT_T0_E_clISt17integral_constantIbLb0EESZ_EEDaSU_SV_EUlSU_E_NS1_11comp_targetILNS1_3genE10ELNS1_11target_archE1200ELNS1_3gpuE4ELNS1_3repE0EEENS1_30default_config_static_selectorELNS0_4arch9wavefront6targetE1EEEvT1_: ; @_ZN7rocprim17ROCPRIM_400000_NS6detail17trampoline_kernelINS0_14default_configENS1_27scan_by_key_config_selectorIxxEEZZNS1_16scan_by_key_implILNS1_25lookback_scan_determinismE0ELb0ES3_N6thrust23THRUST_200600_302600_NS6detail15normal_iteratorINS9_10device_ptrIxEEEESE_SE_xNS9_4plusIvEENS9_8equal_toIvEExEE10hipError_tPvRmT2_T3_T4_T5_mT6_T7_P12ihipStream_tbENKUlT_T0_E_clISt17integral_constantIbLb0EESZ_EEDaSU_SV_EUlSU_E_NS1_11comp_targetILNS1_3genE10ELNS1_11target_archE1200ELNS1_3gpuE4ELNS1_3repE0EEENS1_30default_config_static_selectorELNS0_4arch9wavefront6targetE1EEEvT1_
; %bb.0:
	.section	.rodata,"a",@progbits
	.p2align	6, 0x0
	.amdhsa_kernel _ZN7rocprim17ROCPRIM_400000_NS6detail17trampoline_kernelINS0_14default_configENS1_27scan_by_key_config_selectorIxxEEZZNS1_16scan_by_key_implILNS1_25lookback_scan_determinismE0ELb0ES3_N6thrust23THRUST_200600_302600_NS6detail15normal_iteratorINS9_10device_ptrIxEEEESE_SE_xNS9_4plusIvEENS9_8equal_toIvEExEE10hipError_tPvRmT2_T3_T4_T5_mT6_T7_P12ihipStream_tbENKUlT_T0_E_clISt17integral_constantIbLb0EESZ_EEDaSU_SV_EUlSU_E_NS1_11comp_targetILNS1_3genE10ELNS1_11target_archE1200ELNS1_3gpuE4ELNS1_3repE0EEENS1_30default_config_static_selectorELNS0_4arch9wavefront6targetE1EEEvT1_
		.amdhsa_group_segment_fixed_size 0
		.amdhsa_private_segment_fixed_size 0
		.amdhsa_kernarg_size 136
		.amdhsa_user_sgpr_count 6
		.amdhsa_user_sgpr_private_segment_buffer 1
		.amdhsa_user_sgpr_dispatch_ptr 0
		.amdhsa_user_sgpr_queue_ptr 0
		.amdhsa_user_sgpr_kernarg_segment_ptr 1
		.amdhsa_user_sgpr_dispatch_id 0
		.amdhsa_user_sgpr_flat_scratch_init 0
		.amdhsa_user_sgpr_kernarg_preload_length 0
		.amdhsa_user_sgpr_kernarg_preload_offset 0
		.amdhsa_user_sgpr_private_segment_size 0
		.amdhsa_uses_dynamic_stack 0
		.amdhsa_system_sgpr_private_segment_wavefront_offset 0
		.amdhsa_system_sgpr_workgroup_id_x 1
		.amdhsa_system_sgpr_workgroup_id_y 0
		.amdhsa_system_sgpr_workgroup_id_z 0
		.amdhsa_system_sgpr_workgroup_info 0
		.amdhsa_system_vgpr_workitem_id 0
		.amdhsa_next_free_vgpr 1
		.amdhsa_next_free_sgpr 0
		.amdhsa_accum_offset 4
		.amdhsa_reserve_vcc 0
		.amdhsa_reserve_flat_scratch 0
		.amdhsa_float_round_mode_32 0
		.amdhsa_float_round_mode_16_64 0
		.amdhsa_float_denorm_mode_32 3
		.amdhsa_float_denorm_mode_16_64 3
		.amdhsa_dx10_clamp 1
		.amdhsa_ieee_mode 1
		.amdhsa_fp16_overflow 0
		.amdhsa_tg_split 0
		.amdhsa_exception_fp_ieee_invalid_op 0
		.amdhsa_exception_fp_denorm_src 0
		.amdhsa_exception_fp_ieee_div_zero 0
		.amdhsa_exception_fp_ieee_overflow 0
		.amdhsa_exception_fp_ieee_underflow 0
		.amdhsa_exception_fp_ieee_inexact 0
		.amdhsa_exception_int_div_zero 0
	.end_amdhsa_kernel
	.section	.text._ZN7rocprim17ROCPRIM_400000_NS6detail17trampoline_kernelINS0_14default_configENS1_27scan_by_key_config_selectorIxxEEZZNS1_16scan_by_key_implILNS1_25lookback_scan_determinismE0ELb0ES3_N6thrust23THRUST_200600_302600_NS6detail15normal_iteratorINS9_10device_ptrIxEEEESE_SE_xNS9_4plusIvEENS9_8equal_toIvEExEE10hipError_tPvRmT2_T3_T4_T5_mT6_T7_P12ihipStream_tbENKUlT_T0_E_clISt17integral_constantIbLb0EESZ_EEDaSU_SV_EUlSU_E_NS1_11comp_targetILNS1_3genE10ELNS1_11target_archE1200ELNS1_3gpuE4ELNS1_3repE0EEENS1_30default_config_static_selectorELNS0_4arch9wavefront6targetE1EEEvT1_,"axG",@progbits,_ZN7rocprim17ROCPRIM_400000_NS6detail17trampoline_kernelINS0_14default_configENS1_27scan_by_key_config_selectorIxxEEZZNS1_16scan_by_key_implILNS1_25lookback_scan_determinismE0ELb0ES3_N6thrust23THRUST_200600_302600_NS6detail15normal_iteratorINS9_10device_ptrIxEEEESE_SE_xNS9_4plusIvEENS9_8equal_toIvEExEE10hipError_tPvRmT2_T3_T4_T5_mT6_T7_P12ihipStream_tbENKUlT_T0_E_clISt17integral_constantIbLb0EESZ_EEDaSU_SV_EUlSU_E_NS1_11comp_targetILNS1_3genE10ELNS1_11target_archE1200ELNS1_3gpuE4ELNS1_3repE0EEENS1_30default_config_static_selectorELNS0_4arch9wavefront6targetE1EEEvT1_,comdat
.Lfunc_end11:
	.size	_ZN7rocprim17ROCPRIM_400000_NS6detail17trampoline_kernelINS0_14default_configENS1_27scan_by_key_config_selectorIxxEEZZNS1_16scan_by_key_implILNS1_25lookback_scan_determinismE0ELb0ES3_N6thrust23THRUST_200600_302600_NS6detail15normal_iteratorINS9_10device_ptrIxEEEESE_SE_xNS9_4plusIvEENS9_8equal_toIvEExEE10hipError_tPvRmT2_T3_T4_T5_mT6_T7_P12ihipStream_tbENKUlT_T0_E_clISt17integral_constantIbLb0EESZ_EEDaSU_SV_EUlSU_E_NS1_11comp_targetILNS1_3genE10ELNS1_11target_archE1200ELNS1_3gpuE4ELNS1_3repE0EEENS1_30default_config_static_selectorELNS0_4arch9wavefront6targetE1EEEvT1_, .Lfunc_end11-_ZN7rocprim17ROCPRIM_400000_NS6detail17trampoline_kernelINS0_14default_configENS1_27scan_by_key_config_selectorIxxEEZZNS1_16scan_by_key_implILNS1_25lookback_scan_determinismE0ELb0ES3_N6thrust23THRUST_200600_302600_NS6detail15normal_iteratorINS9_10device_ptrIxEEEESE_SE_xNS9_4plusIvEENS9_8equal_toIvEExEE10hipError_tPvRmT2_T3_T4_T5_mT6_T7_P12ihipStream_tbENKUlT_T0_E_clISt17integral_constantIbLb0EESZ_EEDaSU_SV_EUlSU_E_NS1_11comp_targetILNS1_3genE10ELNS1_11target_archE1200ELNS1_3gpuE4ELNS1_3repE0EEENS1_30default_config_static_selectorELNS0_4arch9wavefront6targetE1EEEvT1_
                                        ; -- End function
	.section	.AMDGPU.csdata,"",@progbits
; Kernel info:
; codeLenInByte = 0
; NumSgprs: 4
; NumVgprs: 0
; NumAgprs: 0
; TotalNumVgprs: 0
; ScratchSize: 0
; MemoryBound: 0
; FloatMode: 240
; IeeeMode: 1
; LDSByteSize: 0 bytes/workgroup (compile time only)
; SGPRBlocks: 0
; VGPRBlocks: 0
; NumSGPRsForWavesPerEU: 4
; NumVGPRsForWavesPerEU: 1
; AccumOffset: 4
; Occupancy: 8
; WaveLimiterHint : 0
; COMPUTE_PGM_RSRC2:SCRATCH_EN: 0
; COMPUTE_PGM_RSRC2:USER_SGPR: 6
; COMPUTE_PGM_RSRC2:TRAP_HANDLER: 0
; COMPUTE_PGM_RSRC2:TGID_X_EN: 1
; COMPUTE_PGM_RSRC2:TGID_Y_EN: 0
; COMPUTE_PGM_RSRC2:TGID_Z_EN: 0
; COMPUTE_PGM_RSRC2:TIDIG_COMP_CNT: 0
; COMPUTE_PGM_RSRC3_GFX90A:ACCUM_OFFSET: 0
; COMPUTE_PGM_RSRC3_GFX90A:TG_SPLIT: 0
	.section	.text._ZN7rocprim17ROCPRIM_400000_NS6detail17trampoline_kernelINS0_14default_configENS1_27scan_by_key_config_selectorIxxEEZZNS1_16scan_by_key_implILNS1_25lookback_scan_determinismE0ELb0ES3_N6thrust23THRUST_200600_302600_NS6detail15normal_iteratorINS9_10device_ptrIxEEEESE_SE_xNS9_4plusIvEENS9_8equal_toIvEExEE10hipError_tPvRmT2_T3_T4_T5_mT6_T7_P12ihipStream_tbENKUlT_T0_E_clISt17integral_constantIbLb0EESZ_EEDaSU_SV_EUlSU_E_NS1_11comp_targetILNS1_3genE9ELNS1_11target_archE1100ELNS1_3gpuE3ELNS1_3repE0EEENS1_30default_config_static_selectorELNS0_4arch9wavefront6targetE1EEEvT1_,"axG",@progbits,_ZN7rocprim17ROCPRIM_400000_NS6detail17trampoline_kernelINS0_14default_configENS1_27scan_by_key_config_selectorIxxEEZZNS1_16scan_by_key_implILNS1_25lookback_scan_determinismE0ELb0ES3_N6thrust23THRUST_200600_302600_NS6detail15normal_iteratorINS9_10device_ptrIxEEEESE_SE_xNS9_4plusIvEENS9_8equal_toIvEExEE10hipError_tPvRmT2_T3_T4_T5_mT6_T7_P12ihipStream_tbENKUlT_T0_E_clISt17integral_constantIbLb0EESZ_EEDaSU_SV_EUlSU_E_NS1_11comp_targetILNS1_3genE9ELNS1_11target_archE1100ELNS1_3gpuE3ELNS1_3repE0EEENS1_30default_config_static_selectorELNS0_4arch9wavefront6targetE1EEEvT1_,comdat
	.protected	_ZN7rocprim17ROCPRIM_400000_NS6detail17trampoline_kernelINS0_14default_configENS1_27scan_by_key_config_selectorIxxEEZZNS1_16scan_by_key_implILNS1_25lookback_scan_determinismE0ELb0ES3_N6thrust23THRUST_200600_302600_NS6detail15normal_iteratorINS9_10device_ptrIxEEEESE_SE_xNS9_4plusIvEENS9_8equal_toIvEExEE10hipError_tPvRmT2_T3_T4_T5_mT6_T7_P12ihipStream_tbENKUlT_T0_E_clISt17integral_constantIbLb0EESZ_EEDaSU_SV_EUlSU_E_NS1_11comp_targetILNS1_3genE9ELNS1_11target_archE1100ELNS1_3gpuE3ELNS1_3repE0EEENS1_30default_config_static_selectorELNS0_4arch9wavefront6targetE1EEEvT1_ ; -- Begin function _ZN7rocprim17ROCPRIM_400000_NS6detail17trampoline_kernelINS0_14default_configENS1_27scan_by_key_config_selectorIxxEEZZNS1_16scan_by_key_implILNS1_25lookback_scan_determinismE0ELb0ES3_N6thrust23THRUST_200600_302600_NS6detail15normal_iteratorINS9_10device_ptrIxEEEESE_SE_xNS9_4plusIvEENS9_8equal_toIvEExEE10hipError_tPvRmT2_T3_T4_T5_mT6_T7_P12ihipStream_tbENKUlT_T0_E_clISt17integral_constantIbLb0EESZ_EEDaSU_SV_EUlSU_E_NS1_11comp_targetILNS1_3genE9ELNS1_11target_archE1100ELNS1_3gpuE3ELNS1_3repE0EEENS1_30default_config_static_selectorELNS0_4arch9wavefront6targetE1EEEvT1_
	.globl	_ZN7rocprim17ROCPRIM_400000_NS6detail17trampoline_kernelINS0_14default_configENS1_27scan_by_key_config_selectorIxxEEZZNS1_16scan_by_key_implILNS1_25lookback_scan_determinismE0ELb0ES3_N6thrust23THRUST_200600_302600_NS6detail15normal_iteratorINS9_10device_ptrIxEEEESE_SE_xNS9_4plusIvEENS9_8equal_toIvEExEE10hipError_tPvRmT2_T3_T4_T5_mT6_T7_P12ihipStream_tbENKUlT_T0_E_clISt17integral_constantIbLb0EESZ_EEDaSU_SV_EUlSU_E_NS1_11comp_targetILNS1_3genE9ELNS1_11target_archE1100ELNS1_3gpuE3ELNS1_3repE0EEENS1_30default_config_static_selectorELNS0_4arch9wavefront6targetE1EEEvT1_
	.p2align	8
	.type	_ZN7rocprim17ROCPRIM_400000_NS6detail17trampoline_kernelINS0_14default_configENS1_27scan_by_key_config_selectorIxxEEZZNS1_16scan_by_key_implILNS1_25lookback_scan_determinismE0ELb0ES3_N6thrust23THRUST_200600_302600_NS6detail15normal_iteratorINS9_10device_ptrIxEEEESE_SE_xNS9_4plusIvEENS9_8equal_toIvEExEE10hipError_tPvRmT2_T3_T4_T5_mT6_T7_P12ihipStream_tbENKUlT_T0_E_clISt17integral_constantIbLb0EESZ_EEDaSU_SV_EUlSU_E_NS1_11comp_targetILNS1_3genE9ELNS1_11target_archE1100ELNS1_3gpuE3ELNS1_3repE0EEENS1_30default_config_static_selectorELNS0_4arch9wavefront6targetE1EEEvT1_,@function
_ZN7rocprim17ROCPRIM_400000_NS6detail17trampoline_kernelINS0_14default_configENS1_27scan_by_key_config_selectorIxxEEZZNS1_16scan_by_key_implILNS1_25lookback_scan_determinismE0ELb0ES3_N6thrust23THRUST_200600_302600_NS6detail15normal_iteratorINS9_10device_ptrIxEEEESE_SE_xNS9_4plusIvEENS9_8equal_toIvEExEE10hipError_tPvRmT2_T3_T4_T5_mT6_T7_P12ihipStream_tbENKUlT_T0_E_clISt17integral_constantIbLb0EESZ_EEDaSU_SV_EUlSU_E_NS1_11comp_targetILNS1_3genE9ELNS1_11target_archE1100ELNS1_3gpuE3ELNS1_3repE0EEENS1_30default_config_static_selectorELNS0_4arch9wavefront6targetE1EEEvT1_: ; @_ZN7rocprim17ROCPRIM_400000_NS6detail17trampoline_kernelINS0_14default_configENS1_27scan_by_key_config_selectorIxxEEZZNS1_16scan_by_key_implILNS1_25lookback_scan_determinismE0ELb0ES3_N6thrust23THRUST_200600_302600_NS6detail15normal_iteratorINS9_10device_ptrIxEEEESE_SE_xNS9_4plusIvEENS9_8equal_toIvEExEE10hipError_tPvRmT2_T3_T4_T5_mT6_T7_P12ihipStream_tbENKUlT_T0_E_clISt17integral_constantIbLb0EESZ_EEDaSU_SV_EUlSU_E_NS1_11comp_targetILNS1_3genE9ELNS1_11target_archE1100ELNS1_3gpuE3ELNS1_3repE0EEENS1_30default_config_static_selectorELNS0_4arch9wavefront6targetE1EEEvT1_
; %bb.0:
	.section	.rodata,"a",@progbits
	.p2align	6, 0x0
	.amdhsa_kernel _ZN7rocprim17ROCPRIM_400000_NS6detail17trampoline_kernelINS0_14default_configENS1_27scan_by_key_config_selectorIxxEEZZNS1_16scan_by_key_implILNS1_25lookback_scan_determinismE0ELb0ES3_N6thrust23THRUST_200600_302600_NS6detail15normal_iteratorINS9_10device_ptrIxEEEESE_SE_xNS9_4plusIvEENS9_8equal_toIvEExEE10hipError_tPvRmT2_T3_T4_T5_mT6_T7_P12ihipStream_tbENKUlT_T0_E_clISt17integral_constantIbLb0EESZ_EEDaSU_SV_EUlSU_E_NS1_11comp_targetILNS1_3genE9ELNS1_11target_archE1100ELNS1_3gpuE3ELNS1_3repE0EEENS1_30default_config_static_selectorELNS0_4arch9wavefront6targetE1EEEvT1_
		.amdhsa_group_segment_fixed_size 0
		.amdhsa_private_segment_fixed_size 0
		.amdhsa_kernarg_size 136
		.amdhsa_user_sgpr_count 6
		.amdhsa_user_sgpr_private_segment_buffer 1
		.amdhsa_user_sgpr_dispatch_ptr 0
		.amdhsa_user_sgpr_queue_ptr 0
		.amdhsa_user_sgpr_kernarg_segment_ptr 1
		.amdhsa_user_sgpr_dispatch_id 0
		.amdhsa_user_sgpr_flat_scratch_init 0
		.amdhsa_user_sgpr_kernarg_preload_length 0
		.amdhsa_user_sgpr_kernarg_preload_offset 0
		.amdhsa_user_sgpr_private_segment_size 0
		.amdhsa_uses_dynamic_stack 0
		.amdhsa_system_sgpr_private_segment_wavefront_offset 0
		.amdhsa_system_sgpr_workgroup_id_x 1
		.amdhsa_system_sgpr_workgroup_id_y 0
		.amdhsa_system_sgpr_workgroup_id_z 0
		.amdhsa_system_sgpr_workgroup_info 0
		.amdhsa_system_vgpr_workitem_id 0
		.amdhsa_next_free_vgpr 1
		.amdhsa_next_free_sgpr 0
		.amdhsa_accum_offset 4
		.amdhsa_reserve_vcc 0
		.amdhsa_reserve_flat_scratch 0
		.amdhsa_float_round_mode_32 0
		.amdhsa_float_round_mode_16_64 0
		.amdhsa_float_denorm_mode_32 3
		.amdhsa_float_denorm_mode_16_64 3
		.amdhsa_dx10_clamp 1
		.amdhsa_ieee_mode 1
		.amdhsa_fp16_overflow 0
		.amdhsa_tg_split 0
		.amdhsa_exception_fp_ieee_invalid_op 0
		.amdhsa_exception_fp_denorm_src 0
		.amdhsa_exception_fp_ieee_div_zero 0
		.amdhsa_exception_fp_ieee_overflow 0
		.amdhsa_exception_fp_ieee_underflow 0
		.amdhsa_exception_fp_ieee_inexact 0
		.amdhsa_exception_int_div_zero 0
	.end_amdhsa_kernel
	.section	.text._ZN7rocprim17ROCPRIM_400000_NS6detail17trampoline_kernelINS0_14default_configENS1_27scan_by_key_config_selectorIxxEEZZNS1_16scan_by_key_implILNS1_25lookback_scan_determinismE0ELb0ES3_N6thrust23THRUST_200600_302600_NS6detail15normal_iteratorINS9_10device_ptrIxEEEESE_SE_xNS9_4plusIvEENS9_8equal_toIvEExEE10hipError_tPvRmT2_T3_T4_T5_mT6_T7_P12ihipStream_tbENKUlT_T0_E_clISt17integral_constantIbLb0EESZ_EEDaSU_SV_EUlSU_E_NS1_11comp_targetILNS1_3genE9ELNS1_11target_archE1100ELNS1_3gpuE3ELNS1_3repE0EEENS1_30default_config_static_selectorELNS0_4arch9wavefront6targetE1EEEvT1_,"axG",@progbits,_ZN7rocprim17ROCPRIM_400000_NS6detail17trampoline_kernelINS0_14default_configENS1_27scan_by_key_config_selectorIxxEEZZNS1_16scan_by_key_implILNS1_25lookback_scan_determinismE0ELb0ES3_N6thrust23THRUST_200600_302600_NS6detail15normal_iteratorINS9_10device_ptrIxEEEESE_SE_xNS9_4plusIvEENS9_8equal_toIvEExEE10hipError_tPvRmT2_T3_T4_T5_mT6_T7_P12ihipStream_tbENKUlT_T0_E_clISt17integral_constantIbLb0EESZ_EEDaSU_SV_EUlSU_E_NS1_11comp_targetILNS1_3genE9ELNS1_11target_archE1100ELNS1_3gpuE3ELNS1_3repE0EEENS1_30default_config_static_selectorELNS0_4arch9wavefront6targetE1EEEvT1_,comdat
.Lfunc_end12:
	.size	_ZN7rocprim17ROCPRIM_400000_NS6detail17trampoline_kernelINS0_14default_configENS1_27scan_by_key_config_selectorIxxEEZZNS1_16scan_by_key_implILNS1_25lookback_scan_determinismE0ELb0ES3_N6thrust23THRUST_200600_302600_NS6detail15normal_iteratorINS9_10device_ptrIxEEEESE_SE_xNS9_4plusIvEENS9_8equal_toIvEExEE10hipError_tPvRmT2_T3_T4_T5_mT6_T7_P12ihipStream_tbENKUlT_T0_E_clISt17integral_constantIbLb0EESZ_EEDaSU_SV_EUlSU_E_NS1_11comp_targetILNS1_3genE9ELNS1_11target_archE1100ELNS1_3gpuE3ELNS1_3repE0EEENS1_30default_config_static_selectorELNS0_4arch9wavefront6targetE1EEEvT1_, .Lfunc_end12-_ZN7rocprim17ROCPRIM_400000_NS6detail17trampoline_kernelINS0_14default_configENS1_27scan_by_key_config_selectorIxxEEZZNS1_16scan_by_key_implILNS1_25lookback_scan_determinismE0ELb0ES3_N6thrust23THRUST_200600_302600_NS6detail15normal_iteratorINS9_10device_ptrIxEEEESE_SE_xNS9_4plusIvEENS9_8equal_toIvEExEE10hipError_tPvRmT2_T3_T4_T5_mT6_T7_P12ihipStream_tbENKUlT_T0_E_clISt17integral_constantIbLb0EESZ_EEDaSU_SV_EUlSU_E_NS1_11comp_targetILNS1_3genE9ELNS1_11target_archE1100ELNS1_3gpuE3ELNS1_3repE0EEENS1_30default_config_static_selectorELNS0_4arch9wavefront6targetE1EEEvT1_
                                        ; -- End function
	.section	.AMDGPU.csdata,"",@progbits
; Kernel info:
; codeLenInByte = 0
; NumSgprs: 4
; NumVgprs: 0
; NumAgprs: 0
; TotalNumVgprs: 0
; ScratchSize: 0
; MemoryBound: 0
; FloatMode: 240
; IeeeMode: 1
; LDSByteSize: 0 bytes/workgroup (compile time only)
; SGPRBlocks: 0
; VGPRBlocks: 0
; NumSGPRsForWavesPerEU: 4
; NumVGPRsForWavesPerEU: 1
; AccumOffset: 4
; Occupancy: 8
; WaveLimiterHint : 0
; COMPUTE_PGM_RSRC2:SCRATCH_EN: 0
; COMPUTE_PGM_RSRC2:USER_SGPR: 6
; COMPUTE_PGM_RSRC2:TRAP_HANDLER: 0
; COMPUTE_PGM_RSRC2:TGID_X_EN: 1
; COMPUTE_PGM_RSRC2:TGID_Y_EN: 0
; COMPUTE_PGM_RSRC2:TGID_Z_EN: 0
; COMPUTE_PGM_RSRC2:TIDIG_COMP_CNT: 0
; COMPUTE_PGM_RSRC3_GFX90A:ACCUM_OFFSET: 0
; COMPUTE_PGM_RSRC3_GFX90A:TG_SPLIT: 0
	.section	.text._ZN7rocprim17ROCPRIM_400000_NS6detail17trampoline_kernelINS0_14default_configENS1_27scan_by_key_config_selectorIxxEEZZNS1_16scan_by_key_implILNS1_25lookback_scan_determinismE0ELb0ES3_N6thrust23THRUST_200600_302600_NS6detail15normal_iteratorINS9_10device_ptrIxEEEESE_SE_xNS9_4plusIvEENS9_8equal_toIvEExEE10hipError_tPvRmT2_T3_T4_T5_mT6_T7_P12ihipStream_tbENKUlT_T0_E_clISt17integral_constantIbLb0EESZ_EEDaSU_SV_EUlSU_E_NS1_11comp_targetILNS1_3genE8ELNS1_11target_archE1030ELNS1_3gpuE2ELNS1_3repE0EEENS1_30default_config_static_selectorELNS0_4arch9wavefront6targetE1EEEvT1_,"axG",@progbits,_ZN7rocprim17ROCPRIM_400000_NS6detail17trampoline_kernelINS0_14default_configENS1_27scan_by_key_config_selectorIxxEEZZNS1_16scan_by_key_implILNS1_25lookback_scan_determinismE0ELb0ES3_N6thrust23THRUST_200600_302600_NS6detail15normal_iteratorINS9_10device_ptrIxEEEESE_SE_xNS9_4plusIvEENS9_8equal_toIvEExEE10hipError_tPvRmT2_T3_T4_T5_mT6_T7_P12ihipStream_tbENKUlT_T0_E_clISt17integral_constantIbLb0EESZ_EEDaSU_SV_EUlSU_E_NS1_11comp_targetILNS1_3genE8ELNS1_11target_archE1030ELNS1_3gpuE2ELNS1_3repE0EEENS1_30default_config_static_selectorELNS0_4arch9wavefront6targetE1EEEvT1_,comdat
	.protected	_ZN7rocprim17ROCPRIM_400000_NS6detail17trampoline_kernelINS0_14default_configENS1_27scan_by_key_config_selectorIxxEEZZNS1_16scan_by_key_implILNS1_25lookback_scan_determinismE0ELb0ES3_N6thrust23THRUST_200600_302600_NS6detail15normal_iteratorINS9_10device_ptrIxEEEESE_SE_xNS9_4plusIvEENS9_8equal_toIvEExEE10hipError_tPvRmT2_T3_T4_T5_mT6_T7_P12ihipStream_tbENKUlT_T0_E_clISt17integral_constantIbLb0EESZ_EEDaSU_SV_EUlSU_E_NS1_11comp_targetILNS1_3genE8ELNS1_11target_archE1030ELNS1_3gpuE2ELNS1_3repE0EEENS1_30default_config_static_selectorELNS0_4arch9wavefront6targetE1EEEvT1_ ; -- Begin function _ZN7rocprim17ROCPRIM_400000_NS6detail17trampoline_kernelINS0_14default_configENS1_27scan_by_key_config_selectorIxxEEZZNS1_16scan_by_key_implILNS1_25lookback_scan_determinismE0ELb0ES3_N6thrust23THRUST_200600_302600_NS6detail15normal_iteratorINS9_10device_ptrIxEEEESE_SE_xNS9_4plusIvEENS9_8equal_toIvEExEE10hipError_tPvRmT2_T3_T4_T5_mT6_T7_P12ihipStream_tbENKUlT_T0_E_clISt17integral_constantIbLb0EESZ_EEDaSU_SV_EUlSU_E_NS1_11comp_targetILNS1_3genE8ELNS1_11target_archE1030ELNS1_3gpuE2ELNS1_3repE0EEENS1_30default_config_static_selectorELNS0_4arch9wavefront6targetE1EEEvT1_
	.globl	_ZN7rocprim17ROCPRIM_400000_NS6detail17trampoline_kernelINS0_14default_configENS1_27scan_by_key_config_selectorIxxEEZZNS1_16scan_by_key_implILNS1_25lookback_scan_determinismE0ELb0ES3_N6thrust23THRUST_200600_302600_NS6detail15normal_iteratorINS9_10device_ptrIxEEEESE_SE_xNS9_4plusIvEENS9_8equal_toIvEExEE10hipError_tPvRmT2_T3_T4_T5_mT6_T7_P12ihipStream_tbENKUlT_T0_E_clISt17integral_constantIbLb0EESZ_EEDaSU_SV_EUlSU_E_NS1_11comp_targetILNS1_3genE8ELNS1_11target_archE1030ELNS1_3gpuE2ELNS1_3repE0EEENS1_30default_config_static_selectorELNS0_4arch9wavefront6targetE1EEEvT1_
	.p2align	8
	.type	_ZN7rocprim17ROCPRIM_400000_NS6detail17trampoline_kernelINS0_14default_configENS1_27scan_by_key_config_selectorIxxEEZZNS1_16scan_by_key_implILNS1_25lookback_scan_determinismE0ELb0ES3_N6thrust23THRUST_200600_302600_NS6detail15normal_iteratorINS9_10device_ptrIxEEEESE_SE_xNS9_4plusIvEENS9_8equal_toIvEExEE10hipError_tPvRmT2_T3_T4_T5_mT6_T7_P12ihipStream_tbENKUlT_T0_E_clISt17integral_constantIbLb0EESZ_EEDaSU_SV_EUlSU_E_NS1_11comp_targetILNS1_3genE8ELNS1_11target_archE1030ELNS1_3gpuE2ELNS1_3repE0EEENS1_30default_config_static_selectorELNS0_4arch9wavefront6targetE1EEEvT1_,@function
_ZN7rocprim17ROCPRIM_400000_NS6detail17trampoline_kernelINS0_14default_configENS1_27scan_by_key_config_selectorIxxEEZZNS1_16scan_by_key_implILNS1_25lookback_scan_determinismE0ELb0ES3_N6thrust23THRUST_200600_302600_NS6detail15normal_iteratorINS9_10device_ptrIxEEEESE_SE_xNS9_4plusIvEENS9_8equal_toIvEExEE10hipError_tPvRmT2_T3_T4_T5_mT6_T7_P12ihipStream_tbENKUlT_T0_E_clISt17integral_constantIbLb0EESZ_EEDaSU_SV_EUlSU_E_NS1_11comp_targetILNS1_3genE8ELNS1_11target_archE1030ELNS1_3gpuE2ELNS1_3repE0EEENS1_30default_config_static_selectorELNS0_4arch9wavefront6targetE1EEEvT1_: ; @_ZN7rocprim17ROCPRIM_400000_NS6detail17trampoline_kernelINS0_14default_configENS1_27scan_by_key_config_selectorIxxEEZZNS1_16scan_by_key_implILNS1_25lookback_scan_determinismE0ELb0ES3_N6thrust23THRUST_200600_302600_NS6detail15normal_iteratorINS9_10device_ptrIxEEEESE_SE_xNS9_4plusIvEENS9_8equal_toIvEExEE10hipError_tPvRmT2_T3_T4_T5_mT6_T7_P12ihipStream_tbENKUlT_T0_E_clISt17integral_constantIbLb0EESZ_EEDaSU_SV_EUlSU_E_NS1_11comp_targetILNS1_3genE8ELNS1_11target_archE1030ELNS1_3gpuE2ELNS1_3repE0EEENS1_30default_config_static_selectorELNS0_4arch9wavefront6targetE1EEEvT1_
; %bb.0:
	.section	.rodata,"a",@progbits
	.p2align	6, 0x0
	.amdhsa_kernel _ZN7rocprim17ROCPRIM_400000_NS6detail17trampoline_kernelINS0_14default_configENS1_27scan_by_key_config_selectorIxxEEZZNS1_16scan_by_key_implILNS1_25lookback_scan_determinismE0ELb0ES3_N6thrust23THRUST_200600_302600_NS6detail15normal_iteratorINS9_10device_ptrIxEEEESE_SE_xNS9_4plusIvEENS9_8equal_toIvEExEE10hipError_tPvRmT2_T3_T4_T5_mT6_T7_P12ihipStream_tbENKUlT_T0_E_clISt17integral_constantIbLb0EESZ_EEDaSU_SV_EUlSU_E_NS1_11comp_targetILNS1_3genE8ELNS1_11target_archE1030ELNS1_3gpuE2ELNS1_3repE0EEENS1_30default_config_static_selectorELNS0_4arch9wavefront6targetE1EEEvT1_
		.amdhsa_group_segment_fixed_size 0
		.amdhsa_private_segment_fixed_size 0
		.amdhsa_kernarg_size 136
		.amdhsa_user_sgpr_count 6
		.amdhsa_user_sgpr_private_segment_buffer 1
		.amdhsa_user_sgpr_dispatch_ptr 0
		.amdhsa_user_sgpr_queue_ptr 0
		.amdhsa_user_sgpr_kernarg_segment_ptr 1
		.amdhsa_user_sgpr_dispatch_id 0
		.amdhsa_user_sgpr_flat_scratch_init 0
		.amdhsa_user_sgpr_kernarg_preload_length 0
		.amdhsa_user_sgpr_kernarg_preload_offset 0
		.amdhsa_user_sgpr_private_segment_size 0
		.amdhsa_uses_dynamic_stack 0
		.amdhsa_system_sgpr_private_segment_wavefront_offset 0
		.amdhsa_system_sgpr_workgroup_id_x 1
		.amdhsa_system_sgpr_workgroup_id_y 0
		.amdhsa_system_sgpr_workgroup_id_z 0
		.amdhsa_system_sgpr_workgroup_info 0
		.amdhsa_system_vgpr_workitem_id 0
		.amdhsa_next_free_vgpr 1
		.amdhsa_next_free_sgpr 0
		.amdhsa_accum_offset 4
		.amdhsa_reserve_vcc 0
		.amdhsa_reserve_flat_scratch 0
		.amdhsa_float_round_mode_32 0
		.amdhsa_float_round_mode_16_64 0
		.amdhsa_float_denorm_mode_32 3
		.amdhsa_float_denorm_mode_16_64 3
		.amdhsa_dx10_clamp 1
		.amdhsa_ieee_mode 1
		.amdhsa_fp16_overflow 0
		.amdhsa_tg_split 0
		.amdhsa_exception_fp_ieee_invalid_op 0
		.amdhsa_exception_fp_denorm_src 0
		.amdhsa_exception_fp_ieee_div_zero 0
		.amdhsa_exception_fp_ieee_overflow 0
		.amdhsa_exception_fp_ieee_underflow 0
		.amdhsa_exception_fp_ieee_inexact 0
		.amdhsa_exception_int_div_zero 0
	.end_amdhsa_kernel
	.section	.text._ZN7rocprim17ROCPRIM_400000_NS6detail17trampoline_kernelINS0_14default_configENS1_27scan_by_key_config_selectorIxxEEZZNS1_16scan_by_key_implILNS1_25lookback_scan_determinismE0ELb0ES3_N6thrust23THRUST_200600_302600_NS6detail15normal_iteratorINS9_10device_ptrIxEEEESE_SE_xNS9_4plusIvEENS9_8equal_toIvEExEE10hipError_tPvRmT2_T3_T4_T5_mT6_T7_P12ihipStream_tbENKUlT_T0_E_clISt17integral_constantIbLb0EESZ_EEDaSU_SV_EUlSU_E_NS1_11comp_targetILNS1_3genE8ELNS1_11target_archE1030ELNS1_3gpuE2ELNS1_3repE0EEENS1_30default_config_static_selectorELNS0_4arch9wavefront6targetE1EEEvT1_,"axG",@progbits,_ZN7rocprim17ROCPRIM_400000_NS6detail17trampoline_kernelINS0_14default_configENS1_27scan_by_key_config_selectorIxxEEZZNS1_16scan_by_key_implILNS1_25lookback_scan_determinismE0ELb0ES3_N6thrust23THRUST_200600_302600_NS6detail15normal_iteratorINS9_10device_ptrIxEEEESE_SE_xNS9_4plusIvEENS9_8equal_toIvEExEE10hipError_tPvRmT2_T3_T4_T5_mT6_T7_P12ihipStream_tbENKUlT_T0_E_clISt17integral_constantIbLb0EESZ_EEDaSU_SV_EUlSU_E_NS1_11comp_targetILNS1_3genE8ELNS1_11target_archE1030ELNS1_3gpuE2ELNS1_3repE0EEENS1_30default_config_static_selectorELNS0_4arch9wavefront6targetE1EEEvT1_,comdat
.Lfunc_end13:
	.size	_ZN7rocprim17ROCPRIM_400000_NS6detail17trampoline_kernelINS0_14default_configENS1_27scan_by_key_config_selectorIxxEEZZNS1_16scan_by_key_implILNS1_25lookback_scan_determinismE0ELb0ES3_N6thrust23THRUST_200600_302600_NS6detail15normal_iteratorINS9_10device_ptrIxEEEESE_SE_xNS9_4plusIvEENS9_8equal_toIvEExEE10hipError_tPvRmT2_T3_T4_T5_mT6_T7_P12ihipStream_tbENKUlT_T0_E_clISt17integral_constantIbLb0EESZ_EEDaSU_SV_EUlSU_E_NS1_11comp_targetILNS1_3genE8ELNS1_11target_archE1030ELNS1_3gpuE2ELNS1_3repE0EEENS1_30default_config_static_selectorELNS0_4arch9wavefront6targetE1EEEvT1_, .Lfunc_end13-_ZN7rocprim17ROCPRIM_400000_NS6detail17trampoline_kernelINS0_14default_configENS1_27scan_by_key_config_selectorIxxEEZZNS1_16scan_by_key_implILNS1_25lookback_scan_determinismE0ELb0ES3_N6thrust23THRUST_200600_302600_NS6detail15normal_iteratorINS9_10device_ptrIxEEEESE_SE_xNS9_4plusIvEENS9_8equal_toIvEExEE10hipError_tPvRmT2_T3_T4_T5_mT6_T7_P12ihipStream_tbENKUlT_T0_E_clISt17integral_constantIbLb0EESZ_EEDaSU_SV_EUlSU_E_NS1_11comp_targetILNS1_3genE8ELNS1_11target_archE1030ELNS1_3gpuE2ELNS1_3repE0EEENS1_30default_config_static_selectorELNS0_4arch9wavefront6targetE1EEEvT1_
                                        ; -- End function
	.section	.AMDGPU.csdata,"",@progbits
; Kernel info:
; codeLenInByte = 0
; NumSgprs: 4
; NumVgprs: 0
; NumAgprs: 0
; TotalNumVgprs: 0
; ScratchSize: 0
; MemoryBound: 0
; FloatMode: 240
; IeeeMode: 1
; LDSByteSize: 0 bytes/workgroup (compile time only)
; SGPRBlocks: 0
; VGPRBlocks: 0
; NumSGPRsForWavesPerEU: 4
; NumVGPRsForWavesPerEU: 1
; AccumOffset: 4
; Occupancy: 8
; WaveLimiterHint : 0
; COMPUTE_PGM_RSRC2:SCRATCH_EN: 0
; COMPUTE_PGM_RSRC2:USER_SGPR: 6
; COMPUTE_PGM_RSRC2:TRAP_HANDLER: 0
; COMPUTE_PGM_RSRC2:TGID_X_EN: 1
; COMPUTE_PGM_RSRC2:TGID_Y_EN: 0
; COMPUTE_PGM_RSRC2:TGID_Z_EN: 0
; COMPUTE_PGM_RSRC2:TIDIG_COMP_CNT: 0
; COMPUTE_PGM_RSRC3_GFX90A:ACCUM_OFFSET: 0
; COMPUTE_PGM_RSRC3_GFX90A:TG_SPLIT: 0
	.section	.text._ZN7rocprim17ROCPRIM_400000_NS6detail30init_device_scan_by_key_kernelINS1_19lookback_scan_stateINS0_5tupleIJxbEEELb1ELb0EEEN6thrust23THRUST_200600_302600_NS6detail15normal_iteratorINS8_10device_ptrIxEEEEjNS1_16block_id_wrapperIjLb1EEEEEvT_jjPNSG_10value_typeET0_PNSt15iterator_traitsISJ_E10value_typeEmT1_T2_,"axG",@progbits,_ZN7rocprim17ROCPRIM_400000_NS6detail30init_device_scan_by_key_kernelINS1_19lookback_scan_stateINS0_5tupleIJxbEEELb1ELb0EEEN6thrust23THRUST_200600_302600_NS6detail15normal_iteratorINS8_10device_ptrIxEEEEjNS1_16block_id_wrapperIjLb1EEEEEvT_jjPNSG_10value_typeET0_PNSt15iterator_traitsISJ_E10value_typeEmT1_T2_,comdat
	.protected	_ZN7rocprim17ROCPRIM_400000_NS6detail30init_device_scan_by_key_kernelINS1_19lookback_scan_stateINS0_5tupleIJxbEEELb1ELb0EEEN6thrust23THRUST_200600_302600_NS6detail15normal_iteratorINS8_10device_ptrIxEEEEjNS1_16block_id_wrapperIjLb1EEEEEvT_jjPNSG_10value_typeET0_PNSt15iterator_traitsISJ_E10value_typeEmT1_T2_ ; -- Begin function _ZN7rocprim17ROCPRIM_400000_NS6detail30init_device_scan_by_key_kernelINS1_19lookback_scan_stateINS0_5tupleIJxbEEELb1ELb0EEEN6thrust23THRUST_200600_302600_NS6detail15normal_iteratorINS8_10device_ptrIxEEEEjNS1_16block_id_wrapperIjLb1EEEEEvT_jjPNSG_10value_typeET0_PNSt15iterator_traitsISJ_E10value_typeEmT1_T2_
	.globl	_ZN7rocprim17ROCPRIM_400000_NS6detail30init_device_scan_by_key_kernelINS1_19lookback_scan_stateINS0_5tupleIJxbEEELb1ELb0EEEN6thrust23THRUST_200600_302600_NS6detail15normal_iteratorINS8_10device_ptrIxEEEEjNS1_16block_id_wrapperIjLb1EEEEEvT_jjPNSG_10value_typeET0_PNSt15iterator_traitsISJ_E10value_typeEmT1_T2_
	.p2align	8
	.type	_ZN7rocprim17ROCPRIM_400000_NS6detail30init_device_scan_by_key_kernelINS1_19lookback_scan_stateINS0_5tupleIJxbEEELb1ELb0EEEN6thrust23THRUST_200600_302600_NS6detail15normal_iteratorINS8_10device_ptrIxEEEEjNS1_16block_id_wrapperIjLb1EEEEEvT_jjPNSG_10value_typeET0_PNSt15iterator_traitsISJ_E10value_typeEmT1_T2_,@function
_ZN7rocprim17ROCPRIM_400000_NS6detail30init_device_scan_by_key_kernelINS1_19lookback_scan_stateINS0_5tupleIJxbEEELb1ELb0EEEN6thrust23THRUST_200600_302600_NS6detail15normal_iteratorINS8_10device_ptrIxEEEEjNS1_16block_id_wrapperIjLb1EEEEEvT_jjPNSG_10value_typeET0_PNSt15iterator_traitsISJ_E10value_typeEmT1_T2_: ; @_ZN7rocprim17ROCPRIM_400000_NS6detail30init_device_scan_by_key_kernelINS1_19lookback_scan_stateINS0_5tupleIJxbEEELb1ELb0EEEN6thrust23THRUST_200600_302600_NS6detail15normal_iteratorINS8_10device_ptrIxEEEEjNS1_16block_id_wrapperIjLb1EEEEEvT_jjPNSG_10value_typeET0_PNSt15iterator_traitsISJ_E10value_typeEmT1_T2_
; %bb.0:
	s_load_dword s0, s[4:5], 0x5c
	s_load_dwordx8 s[8:15], s[4:5], 0x10
	s_load_dword s20, s[4:5], 0x50
	s_waitcnt lgkmcnt(0)
	s_and_b32 s21, s0, 0xffff
	s_mul_i32 s6, s6, s21
	s_cmp_eq_u64 s[12:13], 0
	v_add_u32_e32 v0, s6, v0
	s_cbranch_scc1 .LBB14_11
; %bb.1:
	s_cmp_lt_u32 s11, s10
	s_cselect_b32 s0, s11, 0
	s_mov_b32 s17, 0
	v_cmp_eq_u32_e32 vcc, s0, v0
	s_and_saveexec_b64 s[6:7], vcc
	s_cbranch_execz .LBB14_10
; %bb.2:
	s_add_i32 s16, s11, 64
	v_mov_b32_e32 v1, s16
	global_load_ubyte v1, v1, s[8:9] glc
	s_load_dwordx4 s[0:3], s[4:5], 0x0
	s_add_u32 s18, s8, s16
	s_addc_u32 s19, s9, 0
	s_waitcnt vmcnt(0)
	v_cmp_ne_u16_e32 vcc, 0, v1
	v_readfirstlane_b32 s11, v1
	s_cbranch_vccz .LBB14_4
; %bb.3:
	s_and_b32 s11, 0xffff, s11
	s_branch .LBB14_9
.LBB14_4:
	s_mov_b32 s11, 1
	v_mov_b32_e32 v1, 0
.LBB14_5:                               ; =>This Loop Header: Depth=1
                                        ;     Child Loop BB14_6 Depth 2
	s_max_u32 s22, s11, 1
.LBB14_6:                               ;   Parent Loop BB14_5 Depth=1
                                        ; =>  This Inner Loop Header: Depth=2
	s_add_i32 s22, s22, -1
	s_cmp_eq_u32 s22, 0
	s_sleep 1
	s_cbranch_scc0 .LBB14_6
; %bb.7:                                ;   in Loop: Header=BB14_5 Depth=1
	global_load_ubyte v2, v1, s[18:19] glc
	s_cmp_lt_u32 s11, 32
	s_cselect_b64 s[22:23], -1, 0
	s_cmp_lg_u64 s[22:23], 0
	s_addc_u32 s11, s11, 0
	s_waitcnt vmcnt(0)
	v_cmp_ne_u16_e32 vcc, 0, v2
	v_readfirstlane_b32 s22, v2
	s_cbranch_vccz .LBB14_5
; %bb.8:
	s_and_b32 s11, 0xffff, s22
.LBB14_9:
	s_cmp_eq_u32 s11, 1
	s_waitcnt lgkmcnt(0)
	s_cselect_b32 s3, s1, s3
	s_cselect_b32 s2, s0, s2
	s_lshl_b64 s[0:1], s[16:17], 4
	s_add_u32 s0, s2, s0
	s_addc_u32 s1, s3, s1
	v_mov_b32_e32 v1, 0
	buffer_wbinvl1_vol
	global_load_dwordx2 v[2:3], v1, s[0:1]
	global_load_ubyte v4, v1, s[0:1] offset:8
	s_waitcnt vmcnt(1)
	global_store_dwordx2 v1, v[2:3], s[12:13]
	s_waitcnt vmcnt(1)
	global_store_byte v1, v4, s[12:13] offset:8
.LBB14_10:
	s_or_b64 exec, exec, s[6:7]
.LBB14_11:
	v_cmp_eq_u32_e32 vcc, 0, v0
	s_and_saveexec_b64 s[0:1], vcc
	s_cbranch_execz .LBB14_13
; %bb.12:
	s_load_dwordx2 s[2:3], s[4:5], 0x48
	v_mov_b32_e32 v1, 0
	s_waitcnt lgkmcnt(0)
	global_store_dword v1, v1, s[2:3]
.LBB14_13:
	s_or_b64 exec, exec, s[0:1]
	v_cmp_gt_u32_e32 vcc, s10, v0
	s_and_saveexec_b64 s[0:1], vcc
	s_cbranch_execz .LBB14_15
; %bb.14:
	v_add_u32_e32 v1, 64, v0
	v_mov_b32_e32 v2, 0
	global_store_byte v1, v2, s[8:9]
.LBB14_15:
	s_or_b64 exec, exec, s[0:1]
	v_cmp_gt_u32_e32 vcc, 64, v0
	v_mov_b32_e32 v1, 0
	s_and_saveexec_b64 s[0:1], vcc
	s_cbranch_execz .LBB14_17
; %bb.16:
	v_mov_b32_e32 v3, s9
	v_add_co_u32_e32 v2, vcc, s8, v0
	v_addc_co_u32_e32 v3, vcc, 0, v3, vcc
	v_mov_b32_e32 v4, 0xff
	global_store_byte v[2:3], v4, off
.LBB14_17:
	s_or_b64 exec, exec, s[0:1]
	s_load_dwordx2 s[0:1], s[4:5], 0x38
	s_waitcnt lgkmcnt(0)
	v_cmp_gt_u64_e32 vcc, s[0:1], v[0:1]
	s_and_saveexec_b64 s[2:3], vcc
	s_cbranch_execz .LBB14_20
; %bb.18:
	s_load_dword s10, s[4:5], 0x40
	s_load_dwordx2 s[6:7], s[4:5], 0x30
	s_mov_b32 s5, 0
	s_mov_b32 s3, s5
	s_mul_i32 s2, s20, s21
	s_waitcnt lgkmcnt(0)
	s_add_i32 s4, s10, -1
	s_lshl_b64 s[4:5], s[4:5], 3
	v_mad_u64_u32 v[2:3], s[8:9], s10, v0, 0
	s_add_u32 s4, s14, s4
	v_lshlrev_b64 v[2:3], 3, v[2:3]
	s_addc_u32 s5, s15, s5
	v_mov_b32_e32 v4, s5
	v_add_co_u32_e32 v2, vcc, s4, v2
	v_addc_co_u32_e32 v3, vcc, v4, v3, vcc
	s_mul_hi_u32 s5, s10, s2
	s_mul_i32 s4, s10, s2
	v_lshlrev_b64 v[4:5], 3, v[0:1]
	s_lshl_b64 s[4:5], s[4:5], 3
	v_mov_b32_e32 v6, s7
	v_add_co_u32_e32 v4, vcc, s6, v4
	s_lshl_b64 s[6:7], s[2:3], 3
	v_addc_co_u32_e32 v5, vcc, v6, v5, vcc
	s_mov_b64 s[8:9], 0
	v_mov_b32_e32 v6, s3
	v_mov_b32_e32 v7, s5
	;; [unrolled: 1-line block ×3, first 2 shown]
.LBB14_19:                              ; =>This Inner Loop Header: Depth=1
	global_load_dwordx2 v[10:11], v[2:3], off
	v_add_co_u32_e32 v0, vcc, s2, v0
	v_addc_co_u32_e32 v1, vcc, v1, v6, vcc
	v_add_co_u32_e32 v2, vcc, s4, v2
	v_addc_co_u32_e32 v3, vcc, v3, v7, vcc
	v_cmp_le_u64_e32 vcc, s[0:1], v[0:1]
	s_or_b64 s[8:9], vcc, s[8:9]
	s_waitcnt vmcnt(0)
	global_store_dwordx2 v[4:5], v[10:11], off
	v_add_co_u32_e32 v4, vcc, s6, v4
	v_addc_co_u32_e32 v5, vcc, v5, v8, vcc
	s_andn2_b64 exec, exec, s[8:9]
	s_cbranch_execnz .LBB14_19
.LBB14_20:
	s_endpgm
	.section	.rodata,"a",@progbits
	.p2align	6, 0x0
	.amdhsa_kernel _ZN7rocprim17ROCPRIM_400000_NS6detail30init_device_scan_by_key_kernelINS1_19lookback_scan_stateINS0_5tupleIJxbEEELb1ELb0EEEN6thrust23THRUST_200600_302600_NS6detail15normal_iteratorINS8_10device_ptrIxEEEEjNS1_16block_id_wrapperIjLb1EEEEEvT_jjPNSG_10value_typeET0_PNSt15iterator_traitsISJ_E10value_typeEmT1_T2_
		.amdhsa_group_segment_fixed_size 0
		.amdhsa_private_segment_fixed_size 0
		.amdhsa_kernarg_size 336
		.amdhsa_user_sgpr_count 6
		.amdhsa_user_sgpr_private_segment_buffer 1
		.amdhsa_user_sgpr_dispatch_ptr 0
		.amdhsa_user_sgpr_queue_ptr 0
		.amdhsa_user_sgpr_kernarg_segment_ptr 1
		.amdhsa_user_sgpr_dispatch_id 0
		.amdhsa_user_sgpr_flat_scratch_init 0
		.amdhsa_user_sgpr_kernarg_preload_length 0
		.amdhsa_user_sgpr_kernarg_preload_offset 0
		.amdhsa_user_sgpr_private_segment_size 0
		.amdhsa_uses_dynamic_stack 0
		.amdhsa_system_sgpr_private_segment_wavefront_offset 0
		.amdhsa_system_sgpr_workgroup_id_x 1
		.amdhsa_system_sgpr_workgroup_id_y 0
		.amdhsa_system_sgpr_workgroup_id_z 0
		.amdhsa_system_sgpr_workgroup_info 0
		.amdhsa_system_vgpr_workitem_id 0
		.amdhsa_next_free_vgpr 12
		.amdhsa_next_free_sgpr 24
		.amdhsa_accum_offset 12
		.amdhsa_reserve_vcc 1
		.amdhsa_reserve_flat_scratch 0
		.amdhsa_float_round_mode_32 0
		.amdhsa_float_round_mode_16_64 0
		.amdhsa_float_denorm_mode_32 3
		.amdhsa_float_denorm_mode_16_64 3
		.amdhsa_dx10_clamp 1
		.amdhsa_ieee_mode 1
		.amdhsa_fp16_overflow 0
		.amdhsa_tg_split 0
		.amdhsa_exception_fp_ieee_invalid_op 0
		.amdhsa_exception_fp_denorm_src 0
		.amdhsa_exception_fp_ieee_div_zero 0
		.amdhsa_exception_fp_ieee_overflow 0
		.amdhsa_exception_fp_ieee_underflow 0
		.amdhsa_exception_fp_ieee_inexact 0
		.amdhsa_exception_int_div_zero 0
	.end_amdhsa_kernel
	.section	.text._ZN7rocprim17ROCPRIM_400000_NS6detail30init_device_scan_by_key_kernelINS1_19lookback_scan_stateINS0_5tupleIJxbEEELb1ELb0EEEN6thrust23THRUST_200600_302600_NS6detail15normal_iteratorINS8_10device_ptrIxEEEEjNS1_16block_id_wrapperIjLb1EEEEEvT_jjPNSG_10value_typeET0_PNSt15iterator_traitsISJ_E10value_typeEmT1_T2_,"axG",@progbits,_ZN7rocprim17ROCPRIM_400000_NS6detail30init_device_scan_by_key_kernelINS1_19lookback_scan_stateINS0_5tupleIJxbEEELb1ELb0EEEN6thrust23THRUST_200600_302600_NS6detail15normal_iteratorINS8_10device_ptrIxEEEEjNS1_16block_id_wrapperIjLb1EEEEEvT_jjPNSG_10value_typeET0_PNSt15iterator_traitsISJ_E10value_typeEmT1_T2_,comdat
.Lfunc_end14:
	.size	_ZN7rocprim17ROCPRIM_400000_NS6detail30init_device_scan_by_key_kernelINS1_19lookback_scan_stateINS0_5tupleIJxbEEELb1ELb0EEEN6thrust23THRUST_200600_302600_NS6detail15normal_iteratorINS8_10device_ptrIxEEEEjNS1_16block_id_wrapperIjLb1EEEEEvT_jjPNSG_10value_typeET0_PNSt15iterator_traitsISJ_E10value_typeEmT1_T2_, .Lfunc_end14-_ZN7rocprim17ROCPRIM_400000_NS6detail30init_device_scan_by_key_kernelINS1_19lookback_scan_stateINS0_5tupleIJxbEEELb1ELb0EEEN6thrust23THRUST_200600_302600_NS6detail15normal_iteratorINS8_10device_ptrIxEEEEjNS1_16block_id_wrapperIjLb1EEEEEvT_jjPNSG_10value_typeET0_PNSt15iterator_traitsISJ_E10value_typeEmT1_T2_
                                        ; -- End function
	.section	.AMDGPU.csdata,"",@progbits
; Kernel info:
; codeLenInByte = 632
; NumSgprs: 28
; NumVgprs: 12
; NumAgprs: 0
; TotalNumVgprs: 12
; ScratchSize: 0
; MemoryBound: 0
; FloatMode: 240
; IeeeMode: 1
; LDSByteSize: 0 bytes/workgroup (compile time only)
; SGPRBlocks: 3
; VGPRBlocks: 1
; NumSGPRsForWavesPerEU: 28
; NumVGPRsForWavesPerEU: 12
; AccumOffset: 12
; Occupancy: 8
; WaveLimiterHint : 0
; COMPUTE_PGM_RSRC2:SCRATCH_EN: 0
; COMPUTE_PGM_RSRC2:USER_SGPR: 6
; COMPUTE_PGM_RSRC2:TRAP_HANDLER: 0
; COMPUTE_PGM_RSRC2:TGID_X_EN: 1
; COMPUTE_PGM_RSRC2:TGID_Y_EN: 0
; COMPUTE_PGM_RSRC2:TGID_Z_EN: 0
; COMPUTE_PGM_RSRC2:TIDIG_COMP_CNT: 0
; COMPUTE_PGM_RSRC3_GFX90A:ACCUM_OFFSET: 2
; COMPUTE_PGM_RSRC3_GFX90A:TG_SPLIT: 0
	.section	.text._ZN7rocprim17ROCPRIM_400000_NS6detail30init_device_scan_by_key_kernelINS1_19lookback_scan_stateINS0_5tupleIJxbEEELb1ELb0EEENS1_16block_id_wrapperIjLb1EEEEEvT_jjPNS9_10value_typeET0_,"axG",@progbits,_ZN7rocprim17ROCPRIM_400000_NS6detail30init_device_scan_by_key_kernelINS1_19lookback_scan_stateINS0_5tupleIJxbEEELb1ELb0EEENS1_16block_id_wrapperIjLb1EEEEEvT_jjPNS9_10value_typeET0_,comdat
	.protected	_ZN7rocprim17ROCPRIM_400000_NS6detail30init_device_scan_by_key_kernelINS1_19lookback_scan_stateINS0_5tupleIJxbEEELb1ELb0EEENS1_16block_id_wrapperIjLb1EEEEEvT_jjPNS9_10value_typeET0_ ; -- Begin function _ZN7rocprim17ROCPRIM_400000_NS6detail30init_device_scan_by_key_kernelINS1_19lookback_scan_stateINS0_5tupleIJxbEEELb1ELb0EEENS1_16block_id_wrapperIjLb1EEEEEvT_jjPNS9_10value_typeET0_
	.globl	_ZN7rocprim17ROCPRIM_400000_NS6detail30init_device_scan_by_key_kernelINS1_19lookback_scan_stateINS0_5tupleIJxbEEELb1ELb0EEENS1_16block_id_wrapperIjLb1EEEEEvT_jjPNS9_10value_typeET0_
	.p2align	8
	.type	_ZN7rocprim17ROCPRIM_400000_NS6detail30init_device_scan_by_key_kernelINS1_19lookback_scan_stateINS0_5tupleIJxbEEELb1ELb0EEENS1_16block_id_wrapperIjLb1EEEEEvT_jjPNS9_10value_typeET0_,@function
_ZN7rocprim17ROCPRIM_400000_NS6detail30init_device_scan_by_key_kernelINS1_19lookback_scan_stateINS0_5tupleIJxbEEELb1ELb0EEENS1_16block_id_wrapperIjLb1EEEEEvT_jjPNS9_10value_typeET0_: ; @_ZN7rocprim17ROCPRIM_400000_NS6detail30init_device_scan_by_key_kernelINS1_19lookback_scan_stateINS0_5tupleIJxbEEELb1ELb0EEENS1_16block_id_wrapperIjLb1EEEEEvT_jjPNS9_10value_typeET0_
; %bb.0:
	s_load_dword s0, s[4:5], 0x3c
	s_load_dwordx8 s[8:15], s[4:5], 0x10
	s_waitcnt lgkmcnt(0)
	s_and_b32 s0, s0, 0xffff
	s_mul_i32 s6, s6, s0
	s_cmp_eq_u64 s[12:13], 0
	v_add_u32_e32 v0, s6, v0
	s_cbranch_scc1 .LBB15_11
; %bb.1:
	s_cmp_lt_u32 s11, s10
	s_cselect_b32 s0, s11, 0
	s_mov_b32 s17, 0
	v_cmp_eq_u32_e32 vcc, s0, v0
	s_and_saveexec_b64 s[6:7], vcc
	s_cbranch_execz .LBB15_10
; %bb.2:
	s_add_i32 s16, s11, 64
	v_mov_b32_e32 v1, s16
	global_load_ubyte v1, v1, s[8:9] glc
	s_load_dwordx4 s[0:3], s[4:5], 0x0
	s_add_u32 s4, s8, s16
	s_addc_u32 s5, s9, 0
	s_waitcnt vmcnt(0)
	v_cmp_ne_u16_e32 vcc, 0, v1
	v_readfirstlane_b32 s11, v1
	s_cbranch_vccz .LBB15_4
; %bb.3:
	s_and_b32 s4, 0xffff, s11
	s_branch .LBB15_9
.LBB15_4:
	s_mov_b32 s11, 1
	v_mov_b32_e32 v1, 0
.LBB15_5:                               ; =>This Loop Header: Depth=1
                                        ;     Child Loop BB15_6 Depth 2
	s_max_u32 s18, s11, 1
.LBB15_6:                               ;   Parent Loop BB15_5 Depth=1
                                        ; =>  This Inner Loop Header: Depth=2
	s_add_i32 s18, s18, -1
	s_cmp_eq_u32 s18, 0
	s_sleep 1
	s_cbranch_scc0 .LBB15_6
; %bb.7:                                ;   in Loop: Header=BB15_5 Depth=1
	global_load_ubyte v2, v1, s[4:5] glc
	s_cmp_lt_u32 s11, 32
	s_cselect_b64 s[18:19], -1, 0
	s_cmp_lg_u64 s[18:19], 0
	s_addc_u32 s11, s11, 0
	s_waitcnt vmcnt(0)
	v_cmp_ne_u16_e32 vcc, 0, v2
	v_readfirstlane_b32 s18, v2
	s_cbranch_vccz .LBB15_5
; %bb.8:
	s_and_b32 s4, 0xffff, s18
.LBB15_9:
	s_cmp_eq_u32 s4, 1
	s_waitcnt lgkmcnt(0)
	s_cselect_b32 s3, s1, s3
	s_cselect_b32 s2, s0, s2
	s_lshl_b64 s[0:1], s[16:17], 4
	s_add_u32 s0, s2, s0
	s_addc_u32 s1, s3, s1
	v_mov_b32_e32 v1, 0
	buffer_wbinvl1_vol
	global_load_dwordx2 v[2:3], v1, s[0:1]
	global_load_ubyte v4, v1, s[0:1] offset:8
	s_waitcnt vmcnt(1)
	global_store_dwordx2 v1, v[2:3], s[12:13]
	s_waitcnt vmcnt(1)
	global_store_byte v1, v4, s[12:13] offset:8
.LBB15_10:
	s_or_b64 exec, exec, s[6:7]
.LBB15_11:
	v_cmp_eq_u32_e32 vcc, 0, v0
	s_and_saveexec_b64 s[0:1], vcc
	s_cbranch_execnz .LBB15_15
; %bb.12:
	s_or_b64 exec, exec, s[0:1]
	v_cmp_gt_u32_e32 vcc, s10, v0
	s_and_saveexec_b64 s[0:1], vcc
	s_cbranch_execnz .LBB15_16
.LBB15_13:
	s_or_b64 exec, exec, s[0:1]
	v_cmp_gt_u32_e32 vcc, 64, v0
	s_and_saveexec_b64 s[0:1], vcc
	s_cbranch_execnz .LBB15_17
.LBB15_14:
	s_endpgm
.LBB15_15:
	v_mov_b32_e32 v1, 0
	global_store_dword v1, v1, s[14:15]
	s_or_b64 exec, exec, s[0:1]
	v_cmp_gt_u32_e32 vcc, s10, v0
	s_and_saveexec_b64 s[0:1], vcc
	s_cbranch_execz .LBB15_13
.LBB15_16:
	v_add_u32_e32 v1, 64, v0
	v_mov_b32_e32 v2, 0
	global_store_byte v1, v2, s[8:9]
	s_or_b64 exec, exec, s[0:1]
	v_cmp_gt_u32_e32 vcc, 64, v0
	s_and_saveexec_b64 s[0:1], vcc
	s_cbranch_execz .LBB15_14
.LBB15_17:
	v_mov_b32_e32 v1, 0xff
	global_store_byte v0, v1, s[8:9]
	s_endpgm
	.section	.rodata,"a",@progbits
	.p2align	6, 0x0
	.amdhsa_kernel _ZN7rocprim17ROCPRIM_400000_NS6detail30init_device_scan_by_key_kernelINS1_19lookback_scan_stateINS0_5tupleIJxbEEELb1ELb0EEENS1_16block_id_wrapperIjLb1EEEEEvT_jjPNS9_10value_typeET0_
		.amdhsa_group_segment_fixed_size 0
		.amdhsa_private_segment_fixed_size 0
		.amdhsa_kernarg_size 304
		.amdhsa_user_sgpr_count 6
		.amdhsa_user_sgpr_private_segment_buffer 1
		.amdhsa_user_sgpr_dispatch_ptr 0
		.amdhsa_user_sgpr_queue_ptr 0
		.amdhsa_user_sgpr_kernarg_segment_ptr 1
		.amdhsa_user_sgpr_dispatch_id 0
		.amdhsa_user_sgpr_flat_scratch_init 0
		.amdhsa_user_sgpr_kernarg_preload_length 0
		.amdhsa_user_sgpr_kernarg_preload_offset 0
		.amdhsa_user_sgpr_private_segment_size 0
		.amdhsa_uses_dynamic_stack 0
		.amdhsa_system_sgpr_private_segment_wavefront_offset 0
		.amdhsa_system_sgpr_workgroup_id_x 1
		.amdhsa_system_sgpr_workgroup_id_y 0
		.amdhsa_system_sgpr_workgroup_id_z 0
		.amdhsa_system_sgpr_workgroup_info 0
		.amdhsa_system_vgpr_workitem_id 0
		.amdhsa_next_free_vgpr 5
		.amdhsa_next_free_sgpr 20
		.amdhsa_accum_offset 8
		.amdhsa_reserve_vcc 1
		.amdhsa_reserve_flat_scratch 0
		.amdhsa_float_round_mode_32 0
		.amdhsa_float_round_mode_16_64 0
		.amdhsa_float_denorm_mode_32 3
		.amdhsa_float_denorm_mode_16_64 3
		.amdhsa_dx10_clamp 1
		.amdhsa_ieee_mode 1
		.amdhsa_fp16_overflow 0
		.amdhsa_tg_split 0
		.amdhsa_exception_fp_ieee_invalid_op 0
		.amdhsa_exception_fp_denorm_src 0
		.amdhsa_exception_fp_ieee_div_zero 0
		.amdhsa_exception_fp_ieee_overflow 0
		.amdhsa_exception_fp_ieee_underflow 0
		.amdhsa_exception_fp_ieee_inexact 0
		.amdhsa_exception_int_div_zero 0
	.end_amdhsa_kernel
	.section	.text._ZN7rocprim17ROCPRIM_400000_NS6detail30init_device_scan_by_key_kernelINS1_19lookback_scan_stateINS0_5tupleIJxbEEELb1ELb0EEENS1_16block_id_wrapperIjLb1EEEEEvT_jjPNS9_10value_typeET0_,"axG",@progbits,_ZN7rocprim17ROCPRIM_400000_NS6detail30init_device_scan_by_key_kernelINS1_19lookback_scan_stateINS0_5tupleIJxbEEELb1ELb0EEENS1_16block_id_wrapperIjLb1EEEEEvT_jjPNS9_10value_typeET0_,comdat
.Lfunc_end15:
	.size	_ZN7rocprim17ROCPRIM_400000_NS6detail30init_device_scan_by_key_kernelINS1_19lookback_scan_stateINS0_5tupleIJxbEEELb1ELb0EEENS1_16block_id_wrapperIjLb1EEEEEvT_jjPNS9_10value_typeET0_, .Lfunc_end15-_ZN7rocprim17ROCPRIM_400000_NS6detail30init_device_scan_by_key_kernelINS1_19lookback_scan_stateINS0_5tupleIJxbEEELb1ELb0EEENS1_16block_id_wrapperIjLb1EEEEEvT_jjPNS9_10value_typeET0_
                                        ; -- End function
	.section	.AMDGPU.csdata,"",@progbits
; Kernel info:
; codeLenInByte = 416
; NumSgprs: 24
; NumVgprs: 5
; NumAgprs: 0
; TotalNumVgprs: 5
; ScratchSize: 0
; MemoryBound: 0
; FloatMode: 240
; IeeeMode: 1
; LDSByteSize: 0 bytes/workgroup (compile time only)
; SGPRBlocks: 2
; VGPRBlocks: 0
; NumSGPRsForWavesPerEU: 24
; NumVGPRsForWavesPerEU: 5
; AccumOffset: 8
; Occupancy: 8
; WaveLimiterHint : 0
; COMPUTE_PGM_RSRC2:SCRATCH_EN: 0
; COMPUTE_PGM_RSRC2:USER_SGPR: 6
; COMPUTE_PGM_RSRC2:TRAP_HANDLER: 0
; COMPUTE_PGM_RSRC2:TGID_X_EN: 1
; COMPUTE_PGM_RSRC2:TGID_Y_EN: 0
; COMPUTE_PGM_RSRC2:TGID_Z_EN: 0
; COMPUTE_PGM_RSRC2:TIDIG_COMP_CNT: 0
; COMPUTE_PGM_RSRC3_GFX90A:ACCUM_OFFSET: 1
; COMPUTE_PGM_RSRC3_GFX90A:TG_SPLIT: 0
	.section	.text._ZN7rocprim17ROCPRIM_400000_NS6detail17trampoline_kernelINS0_14default_configENS1_27scan_by_key_config_selectorIxxEEZZNS1_16scan_by_key_implILNS1_25lookback_scan_determinismE0ELb0ES3_N6thrust23THRUST_200600_302600_NS6detail15normal_iteratorINS9_10device_ptrIxEEEESE_SE_xNS9_4plusIvEENS9_8equal_toIvEExEE10hipError_tPvRmT2_T3_T4_T5_mT6_T7_P12ihipStream_tbENKUlT_T0_E_clISt17integral_constantIbLb1EESZ_EEDaSU_SV_EUlSU_E_NS1_11comp_targetILNS1_3genE0ELNS1_11target_archE4294967295ELNS1_3gpuE0ELNS1_3repE0EEENS1_30default_config_static_selectorELNS0_4arch9wavefront6targetE1EEEvT1_,"axG",@progbits,_ZN7rocprim17ROCPRIM_400000_NS6detail17trampoline_kernelINS0_14default_configENS1_27scan_by_key_config_selectorIxxEEZZNS1_16scan_by_key_implILNS1_25lookback_scan_determinismE0ELb0ES3_N6thrust23THRUST_200600_302600_NS6detail15normal_iteratorINS9_10device_ptrIxEEEESE_SE_xNS9_4plusIvEENS9_8equal_toIvEExEE10hipError_tPvRmT2_T3_T4_T5_mT6_T7_P12ihipStream_tbENKUlT_T0_E_clISt17integral_constantIbLb1EESZ_EEDaSU_SV_EUlSU_E_NS1_11comp_targetILNS1_3genE0ELNS1_11target_archE4294967295ELNS1_3gpuE0ELNS1_3repE0EEENS1_30default_config_static_selectorELNS0_4arch9wavefront6targetE1EEEvT1_,comdat
	.protected	_ZN7rocprim17ROCPRIM_400000_NS6detail17trampoline_kernelINS0_14default_configENS1_27scan_by_key_config_selectorIxxEEZZNS1_16scan_by_key_implILNS1_25lookback_scan_determinismE0ELb0ES3_N6thrust23THRUST_200600_302600_NS6detail15normal_iteratorINS9_10device_ptrIxEEEESE_SE_xNS9_4plusIvEENS9_8equal_toIvEExEE10hipError_tPvRmT2_T3_T4_T5_mT6_T7_P12ihipStream_tbENKUlT_T0_E_clISt17integral_constantIbLb1EESZ_EEDaSU_SV_EUlSU_E_NS1_11comp_targetILNS1_3genE0ELNS1_11target_archE4294967295ELNS1_3gpuE0ELNS1_3repE0EEENS1_30default_config_static_selectorELNS0_4arch9wavefront6targetE1EEEvT1_ ; -- Begin function _ZN7rocprim17ROCPRIM_400000_NS6detail17trampoline_kernelINS0_14default_configENS1_27scan_by_key_config_selectorIxxEEZZNS1_16scan_by_key_implILNS1_25lookback_scan_determinismE0ELb0ES3_N6thrust23THRUST_200600_302600_NS6detail15normal_iteratorINS9_10device_ptrIxEEEESE_SE_xNS9_4plusIvEENS9_8equal_toIvEExEE10hipError_tPvRmT2_T3_T4_T5_mT6_T7_P12ihipStream_tbENKUlT_T0_E_clISt17integral_constantIbLb1EESZ_EEDaSU_SV_EUlSU_E_NS1_11comp_targetILNS1_3genE0ELNS1_11target_archE4294967295ELNS1_3gpuE0ELNS1_3repE0EEENS1_30default_config_static_selectorELNS0_4arch9wavefront6targetE1EEEvT1_
	.globl	_ZN7rocprim17ROCPRIM_400000_NS6detail17trampoline_kernelINS0_14default_configENS1_27scan_by_key_config_selectorIxxEEZZNS1_16scan_by_key_implILNS1_25lookback_scan_determinismE0ELb0ES3_N6thrust23THRUST_200600_302600_NS6detail15normal_iteratorINS9_10device_ptrIxEEEESE_SE_xNS9_4plusIvEENS9_8equal_toIvEExEE10hipError_tPvRmT2_T3_T4_T5_mT6_T7_P12ihipStream_tbENKUlT_T0_E_clISt17integral_constantIbLb1EESZ_EEDaSU_SV_EUlSU_E_NS1_11comp_targetILNS1_3genE0ELNS1_11target_archE4294967295ELNS1_3gpuE0ELNS1_3repE0EEENS1_30default_config_static_selectorELNS0_4arch9wavefront6targetE1EEEvT1_
	.p2align	8
	.type	_ZN7rocprim17ROCPRIM_400000_NS6detail17trampoline_kernelINS0_14default_configENS1_27scan_by_key_config_selectorIxxEEZZNS1_16scan_by_key_implILNS1_25lookback_scan_determinismE0ELb0ES3_N6thrust23THRUST_200600_302600_NS6detail15normal_iteratorINS9_10device_ptrIxEEEESE_SE_xNS9_4plusIvEENS9_8equal_toIvEExEE10hipError_tPvRmT2_T3_T4_T5_mT6_T7_P12ihipStream_tbENKUlT_T0_E_clISt17integral_constantIbLb1EESZ_EEDaSU_SV_EUlSU_E_NS1_11comp_targetILNS1_3genE0ELNS1_11target_archE4294967295ELNS1_3gpuE0ELNS1_3repE0EEENS1_30default_config_static_selectorELNS0_4arch9wavefront6targetE1EEEvT1_,@function
_ZN7rocprim17ROCPRIM_400000_NS6detail17trampoline_kernelINS0_14default_configENS1_27scan_by_key_config_selectorIxxEEZZNS1_16scan_by_key_implILNS1_25lookback_scan_determinismE0ELb0ES3_N6thrust23THRUST_200600_302600_NS6detail15normal_iteratorINS9_10device_ptrIxEEEESE_SE_xNS9_4plusIvEENS9_8equal_toIvEExEE10hipError_tPvRmT2_T3_T4_T5_mT6_T7_P12ihipStream_tbENKUlT_T0_E_clISt17integral_constantIbLb1EESZ_EEDaSU_SV_EUlSU_E_NS1_11comp_targetILNS1_3genE0ELNS1_11target_archE4294967295ELNS1_3gpuE0ELNS1_3repE0EEENS1_30default_config_static_selectorELNS0_4arch9wavefront6targetE1EEEvT1_: ; @_ZN7rocprim17ROCPRIM_400000_NS6detail17trampoline_kernelINS0_14default_configENS1_27scan_by_key_config_selectorIxxEEZZNS1_16scan_by_key_implILNS1_25lookback_scan_determinismE0ELb0ES3_N6thrust23THRUST_200600_302600_NS6detail15normal_iteratorINS9_10device_ptrIxEEEESE_SE_xNS9_4plusIvEENS9_8equal_toIvEExEE10hipError_tPvRmT2_T3_T4_T5_mT6_T7_P12ihipStream_tbENKUlT_T0_E_clISt17integral_constantIbLb1EESZ_EEDaSU_SV_EUlSU_E_NS1_11comp_targetILNS1_3genE0ELNS1_11target_archE4294967295ELNS1_3gpuE0ELNS1_3repE0EEENS1_30default_config_static_selectorELNS0_4arch9wavefront6targetE1EEEvT1_
; %bb.0:
	.section	.rodata,"a",@progbits
	.p2align	6, 0x0
	.amdhsa_kernel _ZN7rocprim17ROCPRIM_400000_NS6detail17trampoline_kernelINS0_14default_configENS1_27scan_by_key_config_selectorIxxEEZZNS1_16scan_by_key_implILNS1_25lookback_scan_determinismE0ELb0ES3_N6thrust23THRUST_200600_302600_NS6detail15normal_iteratorINS9_10device_ptrIxEEEESE_SE_xNS9_4plusIvEENS9_8equal_toIvEExEE10hipError_tPvRmT2_T3_T4_T5_mT6_T7_P12ihipStream_tbENKUlT_T0_E_clISt17integral_constantIbLb1EESZ_EEDaSU_SV_EUlSU_E_NS1_11comp_targetILNS1_3genE0ELNS1_11target_archE4294967295ELNS1_3gpuE0ELNS1_3repE0EEENS1_30default_config_static_selectorELNS0_4arch9wavefront6targetE1EEEvT1_
		.amdhsa_group_segment_fixed_size 0
		.amdhsa_private_segment_fixed_size 0
		.amdhsa_kernarg_size 136
		.amdhsa_user_sgpr_count 6
		.amdhsa_user_sgpr_private_segment_buffer 1
		.amdhsa_user_sgpr_dispatch_ptr 0
		.amdhsa_user_sgpr_queue_ptr 0
		.amdhsa_user_sgpr_kernarg_segment_ptr 1
		.amdhsa_user_sgpr_dispatch_id 0
		.amdhsa_user_sgpr_flat_scratch_init 0
		.amdhsa_user_sgpr_kernarg_preload_length 0
		.amdhsa_user_sgpr_kernarg_preload_offset 0
		.amdhsa_user_sgpr_private_segment_size 0
		.amdhsa_uses_dynamic_stack 0
		.amdhsa_system_sgpr_private_segment_wavefront_offset 0
		.amdhsa_system_sgpr_workgroup_id_x 1
		.amdhsa_system_sgpr_workgroup_id_y 0
		.amdhsa_system_sgpr_workgroup_id_z 0
		.amdhsa_system_sgpr_workgroup_info 0
		.amdhsa_system_vgpr_workitem_id 0
		.amdhsa_next_free_vgpr 1
		.amdhsa_next_free_sgpr 0
		.amdhsa_accum_offset 4
		.amdhsa_reserve_vcc 0
		.amdhsa_reserve_flat_scratch 0
		.amdhsa_float_round_mode_32 0
		.amdhsa_float_round_mode_16_64 0
		.amdhsa_float_denorm_mode_32 3
		.amdhsa_float_denorm_mode_16_64 3
		.amdhsa_dx10_clamp 1
		.amdhsa_ieee_mode 1
		.amdhsa_fp16_overflow 0
		.amdhsa_tg_split 0
		.amdhsa_exception_fp_ieee_invalid_op 0
		.amdhsa_exception_fp_denorm_src 0
		.amdhsa_exception_fp_ieee_div_zero 0
		.amdhsa_exception_fp_ieee_overflow 0
		.amdhsa_exception_fp_ieee_underflow 0
		.amdhsa_exception_fp_ieee_inexact 0
		.amdhsa_exception_int_div_zero 0
	.end_amdhsa_kernel
	.section	.text._ZN7rocprim17ROCPRIM_400000_NS6detail17trampoline_kernelINS0_14default_configENS1_27scan_by_key_config_selectorIxxEEZZNS1_16scan_by_key_implILNS1_25lookback_scan_determinismE0ELb0ES3_N6thrust23THRUST_200600_302600_NS6detail15normal_iteratorINS9_10device_ptrIxEEEESE_SE_xNS9_4plusIvEENS9_8equal_toIvEExEE10hipError_tPvRmT2_T3_T4_T5_mT6_T7_P12ihipStream_tbENKUlT_T0_E_clISt17integral_constantIbLb1EESZ_EEDaSU_SV_EUlSU_E_NS1_11comp_targetILNS1_3genE0ELNS1_11target_archE4294967295ELNS1_3gpuE0ELNS1_3repE0EEENS1_30default_config_static_selectorELNS0_4arch9wavefront6targetE1EEEvT1_,"axG",@progbits,_ZN7rocprim17ROCPRIM_400000_NS6detail17trampoline_kernelINS0_14default_configENS1_27scan_by_key_config_selectorIxxEEZZNS1_16scan_by_key_implILNS1_25lookback_scan_determinismE0ELb0ES3_N6thrust23THRUST_200600_302600_NS6detail15normal_iteratorINS9_10device_ptrIxEEEESE_SE_xNS9_4plusIvEENS9_8equal_toIvEExEE10hipError_tPvRmT2_T3_T4_T5_mT6_T7_P12ihipStream_tbENKUlT_T0_E_clISt17integral_constantIbLb1EESZ_EEDaSU_SV_EUlSU_E_NS1_11comp_targetILNS1_3genE0ELNS1_11target_archE4294967295ELNS1_3gpuE0ELNS1_3repE0EEENS1_30default_config_static_selectorELNS0_4arch9wavefront6targetE1EEEvT1_,comdat
.Lfunc_end16:
	.size	_ZN7rocprim17ROCPRIM_400000_NS6detail17trampoline_kernelINS0_14default_configENS1_27scan_by_key_config_selectorIxxEEZZNS1_16scan_by_key_implILNS1_25lookback_scan_determinismE0ELb0ES3_N6thrust23THRUST_200600_302600_NS6detail15normal_iteratorINS9_10device_ptrIxEEEESE_SE_xNS9_4plusIvEENS9_8equal_toIvEExEE10hipError_tPvRmT2_T3_T4_T5_mT6_T7_P12ihipStream_tbENKUlT_T0_E_clISt17integral_constantIbLb1EESZ_EEDaSU_SV_EUlSU_E_NS1_11comp_targetILNS1_3genE0ELNS1_11target_archE4294967295ELNS1_3gpuE0ELNS1_3repE0EEENS1_30default_config_static_selectorELNS0_4arch9wavefront6targetE1EEEvT1_, .Lfunc_end16-_ZN7rocprim17ROCPRIM_400000_NS6detail17trampoline_kernelINS0_14default_configENS1_27scan_by_key_config_selectorIxxEEZZNS1_16scan_by_key_implILNS1_25lookback_scan_determinismE0ELb0ES3_N6thrust23THRUST_200600_302600_NS6detail15normal_iteratorINS9_10device_ptrIxEEEESE_SE_xNS9_4plusIvEENS9_8equal_toIvEExEE10hipError_tPvRmT2_T3_T4_T5_mT6_T7_P12ihipStream_tbENKUlT_T0_E_clISt17integral_constantIbLb1EESZ_EEDaSU_SV_EUlSU_E_NS1_11comp_targetILNS1_3genE0ELNS1_11target_archE4294967295ELNS1_3gpuE0ELNS1_3repE0EEENS1_30default_config_static_selectorELNS0_4arch9wavefront6targetE1EEEvT1_
                                        ; -- End function
	.section	.AMDGPU.csdata,"",@progbits
; Kernel info:
; codeLenInByte = 0
; NumSgprs: 4
; NumVgprs: 0
; NumAgprs: 0
; TotalNumVgprs: 0
; ScratchSize: 0
; MemoryBound: 0
; FloatMode: 240
; IeeeMode: 1
; LDSByteSize: 0 bytes/workgroup (compile time only)
; SGPRBlocks: 0
; VGPRBlocks: 0
; NumSGPRsForWavesPerEU: 4
; NumVGPRsForWavesPerEU: 1
; AccumOffset: 4
; Occupancy: 8
; WaveLimiterHint : 0
; COMPUTE_PGM_RSRC2:SCRATCH_EN: 0
; COMPUTE_PGM_RSRC2:USER_SGPR: 6
; COMPUTE_PGM_RSRC2:TRAP_HANDLER: 0
; COMPUTE_PGM_RSRC2:TGID_X_EN: 1
; COMPUTE_PGM_RSRC2:TGID_Y_EN: 0
; COMPUTE_PGM_RSRC2:TGID_Z_EN: 0
; COMPUTE_PGM_RSRC2:TIDIG_COMP_CNT: 0
; COMPUTE_PGM_RSRC3_GFX90A:ACCUM_OFFSET: 0
; COMPUTE_PGM_RSRC3_GFX90A:TG_SPLIT: 0
	.section	.text._ZN7rocprim17ROCPRIM_400000_NS6detail17trampoline_kernelINS0_14default_configENS1_27scan_by_key_config_selectorIxxEEZZNS1_16scan_by_key_implILNS1_25lookback_scan_determinismE0ELb0ES3_N6thrust23THRUST_200600_302600_NS6detail15normal_iteratorINS9_10device_ptrIxEEEESE_SE_xNS9_4plusIvEENS9_8equal_toIvEExEE10hipError_tPvRmT2_T3_T4_T5_mT6_T7_P12ihipStream_tbENKUlT_T0_E_clISt17integral_constantIbLb1EESZ_EEDaSU_SV_EUlSU_E_NS1_11comp_targetILNS1_3genE10ELNS1_11target_archE1201ELNS1_3gpuE5ELNS1_3repE0EEENS1_30default_config_static_selectorELNS0_4arch9wavefront6targetE1EEEvT1_,"axG",@progbits,_ZN7rocprim17ROCPRIM_400000_NS6detail17trampoline_kernelINS0_14default_configENS1_27scan_by_key_config_selectorIxxEEZZNS1_16scan_by_key_implILNS1_25lookback_scan_determinismE0ELb0ES3_N6thrust23THRUST_200600_302600_NS6detail15normal_iteratorINS9_10device_ptrIxEEEESE_SE_xNS9_4plusIvEENS9_8equal_toIvEExEE10hipError_tPvRmT2_T3_T4_T5_mT6_T7_P12ihipStream_tbENKUlT_T0_E_clISt17integral_constantIbLb1EESZ_EEDaSU_SV_EUlSU_E_NS1_11comp_targetILNS1_3genE10ELNS1_11target_archE1201ELNS1_3gpuE5ELNS1_3repE0EEENS1_30default_config_static_selectorELNS0_4arch9wavefront6targetE1EEEvT1_,comdat
	.protected	_ZN7rocprim17ROCPRIM_400000_NS6detail17trampoline_kernelINS0_14default_configENS1_27scan_by_key_config_selectorIxxEEZZNS1_16scan_by_key_implILNS1_25lookback_scan_determinismE0ELb0ES3_N6thrust23THRUST_200600_302600_NS6detail15normal_iteratorINS9_10device_ptrIxEEEESE_SE_xNS9_4plusIvEENS9_8equal_toIvEExEE10hipError_tPvRmT2_T3_T4_T5_mT6_T7_P12ihipStream_tbENKUlT_T0_E_clISt17integral_constantIbLb1EESZ_EEDaSU_SV_EUlSU_E_NS1_11comp_targetILNS1_3genE10ELNS1_11target_archE1201ELNS1_3gpuE5ELNS1_3repE0EEENS1_30default_config_static_selectorELNS0_4arch9wavefront6targetE1EEEvT1_ ; -- Begin function _ZN7rocprim17ROCPRIM_400000_NS6detail17trampoline_kernelINS0_14default_configENS1_27scan_by_key_config_selectorIxxEEZZNS1_16scan_by_key_implILNS1_25lookback_scan_determinismE0ELb0ES3_N6thrust23THRUST_200600_302600_NS6detail15normal_iteratorINS9_10device_ptrIxEEEESE_SE_xNS9_4plusIvEENS9_8equal_toIvEExEE10hipError_tPvRmT2_T3_T4_T5_mT6_T7_P12ihipStream_tbENKUlT_T0_E_clISt17integral_constantIbLb1EESZ_EEDaSU_SV_EUlSU_E_NS1_11comp_targetILNS1_3genE10ELNS1_11target_archE1201ELNS1_3gpuE5ELNS1_3repE0EEENS1_30default_config_static_selectorELNS0_4arch9wavefront6targetE1EEEvT1_
	.globl	_ZN7rocprim17ROCPRIM_400000_NS6detail17trampoline_kernelINS0_14default_configENS1_27scan_by_key_config_selectorIxxEEZZNS1_16scan_by_key_implILNS1_25lookback_scan_determinismE0ELb0ES3_N6thrust23THRUST_200600_302600_NS6detail15normal_iteratorINS9_10device_ptrIxEEEESE_SE_xNS9_4plusIvEENS9_8equal_toIvEExEE10hipError_tPvRmT2_T3_T4_T5_mT6_T7_P12ihipStream_tbENKUlT_T0_E_clISt17integral_constantIbLb1EESZ_EEDaSU_SV_EUlSU_E_NS1_11comp_targetILNS1_3genE10ELNS1_11target_archE1201ELNS1_3gpuE5ELNS1_3repE0EEENS1_30default_config_static_selectorELNS0_4arch9wavefront6targetE1EEEvT1_
	.p2align	8
	.type	_ZN7rocprim17ROCPRIM_400000_NS6detail17trampoline_kernelINS0_14default_configENS1_27scan_by_key_config_selectorIxxEEZZNS1_16scan_by_key_implILNS1_25lookback_scan_determinismE0ELb0ES3_N6thrust23THRUST_200600_302600_NS6detail15normal_iteratorINS9_10device_ptrIxEEEESE_SE_xNS9_4plusIvEENS9_8equal_toIvEExEE10hipError_tPvRmT2_T3_T4_T5_mT6_T7_P12ihipStream_tbENKUlT_T0_E_clISt17integral_constantIbLb1EESZ_EEDaSU_SV_EUlSU_E_NS1_11comp_targetILNS1_3genE10ELNS1_11target_archE1201ELNS1_3gpuE5ELNS1_3repE0EEENS1_30default_config_static_selectorELNS0_4arch9wavefront6targetE1EEEvT1_,@function
_ZN7rocprim17ROCPRIM_400000_NS6detail17trampoline_kernelINS0_14default_configENS1_27scan_by_key_config_selectorIxxEEZZNS1_16scan_by_key_implILNS1_25lookback_scan_determinismE0ELb0ES3_N6thrust23THRUST_200600_302600_NS6detail15normal_iteratorINS9_10device_ptrIxEEEESE_SE_xNS9_4plusIvEENS9_8equal_toIvEExEE10hipError_tPvRmT2_T3_T4_T5_mT6_T7_P12ihipStream_tbENKUlT_T0_E_clISt17integral_constantIbLb1EESZ_EEDaSU_SV_EUlSU_E_NS1_11comp_targetILNS1_3genE10ELNS1_11target_archE1201ELNS1_3gpuE5ELNS1_3repE0EEENS1_30default_config_static_selectorELNS0_4arch9wavefront6targetE1EEEvT1_: ; @_ZN7rocprim17ROCPRIM_400000_NS6detail17trampoline_kernelINS0_14default_configENS1_27scan_by_key_config_selectorIxxEEZZNS1_16scan_by_key_implILNS1_25lookback_scan_determinismE0ELb0ES3_N6thrust23THRUST_200600_302600_NS6detail15normal_iteratorINS9_10device_ptrIxEEEESE_SE_xNS9_4plusIvEENS9_8equal_toIvEExEE10hipError_tPvRmT2_T3_T4_T5_mT6_T7_P12ihipStream_tbENKUlT_T0_E_clISt17integral_constantIbLb1EESZ_EEDaSU_SV_EUlSU_E_NS1_11comp_targetILNS1_3genE10ELNS1_11target_archE1201ELNS1_3gpuE5ELNS1_3repE0EEENS1_30default_config_static_selectorELNS0_4arch9wavefront6targetE1EEEvT1_
; %bb.0:
	.section	.rodata,"a",@progbits
	.p2align	6, 0x0
	.amdhsa_kernel _ZN7rocprim17ROCPRIM_400000_NS6detail17trampoline_kernelINS0_14default_configENS1_27scan_by_key_config_selectorIxxEEZZNS1_16scan_by_key_implILNS1_25lookback_scan_determinismE0ELb0ES3_N6thrust23THRUST_200600_302600_NS6detail15normal_iteratorINS9_10device_ptrIxEEEESE_SE_xNS9_4plusIvEENS9_8equal_toIvEExEE10hipError_tPvRmT2_T3_T4_T5_mT6_T7_P12ihipStream_tbENKUlT_T0_E_clISt17integral_constantIbLb1EESZ_EEDaSU_SV_EUlSU_E_NS1_11comp_targetILNS1_3genE10ELNS1_11target_archE1201ELNS1_3gpuE5ELNS1_3repE0EEENS1_30default_config_static_selectorELNS0_4arch9wavefront6targetE1EEEvT1_
		.amdhsa_group_segment_fixed_size 0
		.amdhsa_private_segment_fixed_size 0
		.amdhsa_kernarg_size 136
		.amdhsa_user_sgpr_count 6
		.amdhsa_user_sgpr_private_segment_buffer 1
		.amdhsa_user_sgpr_dispatch_ptr 0
		.amdhsa_user_sgpr_queue_ptr 0
		.amdhsa_user_sgpr_kernarg_segment_ptr 1
		.amdhsa_user_sgpr_dispatch_id 0
		.amdhsa_user_sgpr_flat_scratch_init 0
		.amdhsa_user_sgpr_kernarg_preload_length 0
		.amdhsa_user_sgpr_kernarg_preload_offset 0
		.amdhsa_user_sgpr_private_segment_size 0
		.amdhsa_uses_dynamic_stack 0
		.amdhsa_system_sgpr_private_segment_wavefront_offset 0
		.amdhsa_system_sgpr_workgroup_id_x 1
		.amdhsa_system_sgpr_workgroup_id_y 0
		.amdhsa_system_sgpr_workgroup_id_z 0
		.amdhsa_system_sgpr_workgroup_info 0
		.amdhsa_system_vgpr_workitem_id 0
		.amdhsa_next_free_vgpr 1
		.amdhsa_next_free_sgpr 0
		.amdhsa_accum_offset 4
		.amdhsa_reserve_vcc 0
		.amdhsa_reserve_flat_scratch 0
		.amdhsa_float_round_mode_32 0
		.amdhsa_float_round_mode_16_64 0
		.amdhsa_float_denorm_mode_32 3
		.amdhsa_float_denorm_mode_16_64 3
		.amdhsa_dx10_clamp 1
		.amdhsa_ieee_mode 1
		.amdhsa_fp16_overflow 0
		.amdhsa_tg_split 0
		.amdhsa_exception_fp_ieee_invalid_op 0
		.amdhsa_exception_fp_denorm_src 0
		.amdhsa_exception_fp_ieee_div_zero 0
		.amdhsa_exception_fp_ieee_overflow 0
		.amdhsa_exception_fp_ieee_underflow 0
		.amdhsa_exception_fp_ieee_inexact 0
		.amdhsa_exception_int_div_zero 0
	.end_amdhsa_kernel
	.section	.text._ZN7rocprim17ROCPRIM_400000_NS6detail17trampoline_kernelINS0_14default_configENS1_27scan_by_key_config_selectorIxxEEZZNS1_16scan_by_key_implILNS1_25lookback_scan_determinismE0ELb0ES3_N6thrust23THRUST_200600_302600_NS6detail15normal_iteratorINS9_10device_ptrIxEEEESE_SE_xNS9_4plusIvEENS9_8equal_toIvEExEE10hipError_tPvRmT2_T3_T4_T5_mT6_T7_P12ihipStream_tbENKUlT_T0_E_clISt17integral_constantIbLb1EESZ_EEDaSU_SV_EUlSU_E_NS1_11comp_targetILNS1_3genE10ELNS1_11target_archE1201ELNS1_3gpuE5ELNS1_3repE0EEENS1_30default_config_static_selectorELNS0_4arch9wavefront6targetE1EEEvT1_,"axG",@progbits,_ZN7rocprim17ROCPRIM_400000_NS6detail17trampoline_kernelINS0_14default_configENS1_27scan_by_key_config_selectorIxxEEZZNS1_16scan_by_key_implILNS1_25lookback_scan_determinismE0ELb0ES3_N6thrust23THRUST_200600_302600_NS6detail15normal_iteratorINS9_10device_ptrIxEEEESE_SE_xNS9_4plusIvEENS9_8equal_toIvEExEE10hipError_tPvRmT2_T3_T4_T5_mT6_T7_P12ihipStream_tbENKUlT_T0_E_clISt17integral_constantIbLb1EESZ_EEDaSU_SV_EUlSU_E_NS1_11comp_targetILNS1_3genE10ELNS1_11target_archE1201ELNS1_3gpuE5ELNS1_3repE0EEENS1_30default_config_static_selectorELNS0_4arch9wavefront6targetE1EEEvT1_,comdat
.Lfunc_end17:
	.size	_ZN7rocprim17ROCPRIM_400000_NS6detail17trampoline_kernelINS0_14default_configENS1_27scan_by_key_config_selectorIxxEEZZNS1_16scan_by_key_implILNS1_25lookback_scan_determinismE0ELb0ES3_N6thrust23THRUST_200600_302600_NS6detail15normal_iteratorINS9_10device_ptrIxEEEESE_SE_xNS9_4plusIvEENS9_8equal_toIvEExEE10hipError_tPvRmT2_T3_T4_T5_mT6_T7_P12ihipStream_tbENKUlT_T0_E_clISt17integral_constantIbLb1EESZ_EEDaSU_SV_EUlSU_E_NS1_11comp_targetILNS1_3genE10ELNS1_11target_archE1201ELNS1_3gpuE5ELNS1_3repE0EEENS1_30default_config_static_selectorELNS0_4arch9wavefront6targetE1EEEvT1_, .Lfunc_end17-_ZN7rocprim17ROCPRIM_400000_NS6detail17trampoline_kernelINS0_14default_configENS1_27scan_by_key_config_selectorIxxEEZZNS1_16scan_by_key_implILNS1_25lookback_scan_determinismE0ELb0ES3_N6thrust23THRUST_200600_302600_NS6detail15normal_iteratorINS9_10device_ptrIxEEEESE_SE_xNS9_4plusIvEENS9_8equal_toIvEExEE10hipError_tPvRmT2_T3_T4_T5_mT6_T7_P12ihipStream_tbENKUlT_T0_E_clISt17integral_constantIbLb1EESZ_EEDaSU_SV_EUlSU_E_NS1_11comp_targetILNS1_3genE10ELNS1_11target_archE1201ELNS1_3gpuE5ELNS1_3repE0EEENS1_30default_config_static_selectorELNS0_4arch9wavefront6targetE1EEEvT1_
                                        ; -- End function
	.section	.AMDGPU.csdata,"",@progbits
; Kernel info:
; codeLenInByte = 0
; NumSgprs: 4
; NumVgprs: 0
; NumAgprs: 0
; TotalNumVgprs: 0
; ScratchSize: 0
; MemoryBound: 0
; FloatMode: 240
; IeeeMode: 1
; LDSByteSize: 0 bytes/workgroup (compile time only)
; SGPRBlocks: 0
; VGPRBlocks: 0
; NumSGPRsForWavesPerEU: 4
; NumVGPRsForWavesPerEU: 1
; AccumOffset: 4
; Occupancy: 8
; WaveLimiterHint : 0
; COMPUTE_PGM_RSRC2:SCRATCH_EN: 0
; COMPUTE_PGM_RSRC2:USER_SGPR: 6
; COMPUTE_PGM_RSRC2:TRAP_HANDLER: 0
; COMPUTE_PGM_RSRC2:TGID_X_EN: 1
; COMPUTE_PGM_RSRC2:TGID_Y_EN: 0
; COMPUTE_PGM_RSRC2:TGID_Z_EN: 0
; COMPUTE_PGM_RSRC2:TIDIG_COMP_CNT: 0
; COMPUTE_PGM_RSRC3_GFX90A:ACCUM_OFFSET: 0
; COMPUTE_PGM_RSRC3_GFX90A:TG_SPLIT: 0
	.section	.text._ZN7rocprim17ROCPRIM_400000_NS6detail17trampoline_kernelINS0_14default_configENS1_27scan_by_key_config_selectorIxxEEZZNS1_16scan_by_key_implILNS1_25lookback_scan_determinismE0ELb0ES3_N6thrust23THRUST_200600_302600_NS6detail15normal_iteratorINS9_10device_ptrIxEEEESE_SE_xNS9_4plusIvEENS9_8equal_toIvEExEE10hipError_tPvRmT2_T3_T4_T5_mT6_T7_P12ihipStream_tbENKUlT_T0_E_clISt17integral_constantIbLb1EESZ_EEDaSU_SV_EUlSU_E_NS1_11comp_targetILNS1_3genE5ELNS1_11target_archE942ELNS1_3gpuE9ELNS1_3repE0EEENS1_30default_config_static_selectorELNS0_4arch9wavefront6targetE1EEEvT1_,"axG",@progbits,_ZN7rocprim17ROCPRIM_400000_NS6detail17trampoline_kernelINS0_14default_configENS1_27scan_by_key_config_selectorIxxEEZZNS1_16scan_by_key_implILNS1_25lookback_scan_determinismE0ELb0ES3_N6thrust23THRUST_200600_302600_NS6detail15normal_iteratorINS9_10device_ptrIxEEEESE_SE_xNS9_4plusIvEENS9_8equal_toIvEExEE10hipError_tPvRmT2_T3_T4_T5_mT6_T7_P12ihipStream_tbENKUlT_T0_E_clISt17integral_constantIbLb1EESZ_EEDaSU_SV_EUlSU_E_NS1_11comp_targetILNS1_3genE5ELNS1_11target_archE942ELNS1_3gpuE9ELNS1_3repE0EEENS1_30default_config_static_selectorELNS0_4arch9wavefront6targetE1EEEvT1_,comdat
	.protected	_ZN7rocprim17ROCPRIM_400000_NS6detail17trampoline_kernelINS0_14default_configENS1_27scan_by_key_config_selectorIxxEEZZNS1_16scan_by_key_implILNS1_25lookback_scan_determinismE0ELb0ES3_N6thrust23THRUST_200600_302600_NS6detail15normal_iteratorINS9_10device_ptrIxEEEESE_SE_xNS9_4plusIvEENS9_8equal_toIvEExEE10hipError_tPvRmT2_T3_T4_T5_mT6_T7_P12ihipStream_tbENKUlT_T0_E_clISt17integral_constantIbLb1EESZ_EEDaSU_SV_EUlSU_E_NS1_11comp_targetILNS1_3genE5ELNS1_11target_archE942ELNS1_3gpuE9ELNS1_3repE0EEENS1_30default_config_static_selectorELNS0_4arch9wavefront6targetE1EEEvT1_ ; -- Begin function _ZN7rocprim17ROCPRIM_400000_NS6detail17trampoline_kernelINS0_14default_configENS1_27scan_by_key_config_selectorIxxEEZZNS1_16scan_by_key_implILNS1_25lookback_scan_determinismE0ELb0ES3_N6thrust23THRUST_200600_302600_NS6detail15normal_iteratorINS9_10device_ptrIxEEEESE_SE_xNS9_4plusIvEENS9_8equal_toIvEExEE10hipError_tPvRmT2_T3_T4_T5_mT6_T7_P12ihipStream_tbENKUlT_T0_E_clISt17integral_constantIbLb1EESZ_EEDaSU_SV_EUlSU_E_NS1_11comp_targetILNS1_3genE5ELNS1_11target_archE942ELNS1_3gpuE9ELNS1_3repE0EEENS1_30default_config_static_selectorELNS0_4arch9wavefront6targetE1EEEvT1_
	.globl	_ZN7rocprim17ROCPRIM_400000_NS6detail17trampoline_kernelINS0_14default_configENS1_27scan_by_key_config_selectorIxxEEZZNS1_16scan_by_key_implILNS1_25lookback_scan_determinismE0ELb0ES3_N6thrust23THRUST_200600_302600_NS6detail15normal_iteratorINS9_10device_ptrIxEEEESE_SE_xNS9_4plusIvEENS9_8equal_toIvEExEE10hipError_tPvRmT2_T3_T4_T5_mT6_T7_P12ihipStream_tbENKUlT_T0_E_clISt17integral_constantIbLb1EESZ_EEDaSU_SV_EUlSU_E_NS1_11comp_targetILNS1_3genE5ELNS1_11target_archE942ELNS1_3gpuE9ELNS1_3repE0EEENS1_30default_config_static_selectorELNS0_4arch9wavefront6targetE1EEEvT1_
	.p2align	8
	.type	_ZN7rocprim17ROCPRIM_400000_NS6detail17trampoline_kernelINS0_14default_configENS1_27scan_by_key_config_selectorIxxEEZZNS1_16scan_by_key_implILNS1_25lookback_scan_determinismE0ELb0ES3_N6thrust23THRUST_200600_302600_NS6detail15normal_iteratorINS9_10device_ptrIxEEEESE_SE_xNS9_4plusIvEENS9_8equal_toIvEExEE10hipError_tPvRmT2_T3_T4_T5_mT6_T7_P12ihipStream_tbENKUlT_T0_E_clISt17integral_constantIbLb1EESZ_EEDaSU_SV_EUlSU_E_NS1_11comp_targetILNS1_3genE5ELNS1_11target_archE942ELNS1_3gpuE9ELNS1_3repE0EEENS1_30default_config_static_selectorELNS0_4arch9wavefront6targetE1EEEvT1_,@function
_ZN7rocprim17ROCPRIM_400000_NS6detail17trampoline_kernelINS0_14default_configENS1_27scan_by_key_config_selectorIxxEEZZNS1_16scan_by_key_implILNS1_25lookback_scan_determinismE0ELb0ES3_N6thrust23THRUST_200600_302600_NS6detail15normal_iteratorINS9_10device_ptrIxEEEESE_SE_xNS9_4plusIvEENS9_8equal_toIvEExEE10hipError_tPvRmT2_T3_T4_T5_mT6_T7_P12ihipStream_tbENKUlT_T0_E_clISt17integral_constantIbLb1EESZ_EEDaSU_SV_EUlSU_E_NS1_11comp_targetILNS1_3genE5ELNS1_11target_archE942ELNS1_3gpuE9ELNS1_3repE0EEENS1_30default_config_static_selectorELNS0_4arch9wavefront6targetE1EEEvT1_: ; @_ZN7rocprim17ROCPRIM_400000_NS6detail17trampoline_kernelINS0_14default_configENS1_27scan_by_key_config_selectorIxxEEZZNS1_16scan_by_key_implILNS1_25lookback_scan_determinismE0ELb0ES3_N6thrust23THRUST_200600_302600_NS6detail15normal_iteratorINS9_10device_ptrIxEEEESE_SE_xNS9_4plusIvEENS9_8equal_toIvEExEE10hipError_tPvRmT2_T3_T4_T5_mT6_T7_P12ihipStream_tbENKUlT_T0_E_clISt17integral_constantIbLb1EESZ_EEDaSU_SV_EUlSU_E_NS1_11comp_targetILNS1_3genE5ELNS1_11target_archE942ELNS1_3gpuE9ELNS1_3repE0EEENS1_30default_config_static_selectorELNS0_4arch9wavefront6targetE1EEEvT1_
; %bb.0:
	.section	.rodata,"a",@progbits
	.p2align	6, 0x0
	.amdhsa_kernel _ZN7rocprim17ROCPRIM_400000_NS6detail17trampoline_kernelINS0_14default_configENS1_27scan_by_key_config_selectorIxxEEZZNS1_16scan_by_key_implILNS1_25lookback_scan_determinismE0ELb0ES3_N6thrust23THRUST_200600_302600_NS6detail15normal_iteratorINS9_10device_ptrIxEEEESE_SE_xNS9_4plusIvEENS9_8equal_toIvEExEE10hipError_tPvRmT2_T3_T4_T5_mT6_T7_P12ihipStream_tbENKUlT_T0_E_clISt17integral_constantIbLb1EESZ_EEDaSU_SV_EUlSU_E_NS1_11comp_targetILNS1_3genE5ELNS1_11target_archE942ELNS1_3gpuE9ELNS1_3repE0EEENS1_30default_config_static_selectorELNS0_4arch9wavefront6targetE1EEEvT1_
		.amdhsa_group_segment_fixed_size 0
		.amdhsa_private_segment_fixed_size 0
		.amdhsa_kernarg_size 136
		.amdhsa_user_sgpr_count 6
		.amdhsa_user_sgpr_private_segment_buffer 1
		.amdhsa_user_sgpr_dispatch_ptr 0
		.amdhsa_user_sgpr_queue_ptr 0
		.amdhsa_user_sgpr_kernarg_segment_ptr 1
		.amdhsa_user_sgpr_dispatch_id 0
		.amdhsa_user_sgpr_flat_scratch_init 0
		.amdhsa_user_sgpr_kernarg_preload_length 0
		.amdhsa_user_sgpr_kernarg_preload_offset 0
		.amdhsa_user_sgpr_private_segment_size 0
		.amdhsa_uses_dynamic_stack 0
		.amdhsa_system_sgpr_private_segment_wavefront_offset 0
		.amdhsa_system_sgpr_workgroup_id_x 1
		.amdhsa_system_sgpr_workgroup_id_y 0
		.amdhsa_system_sgpr_workgroup_id_z 0
		.amdhsa_system_sgpr_workgroup_info 0
		.amdhsa_system_vgpr_workitem_id 0
		.amdhsa_next_free_vgpr 1
		.amdhsa_next_free_sgpr 0
		.amdhsa_accum_offset 4
		.amdhsa_reserve_vcc 0
		.amdhsa_reserve_flat_scratch 0
		.amdhsa_float_round_mode_32 0
		.amdhsa_float_round_mode_16_64 0
		.amdhsa_float_denorm_mode_32 3
		.amdhsa_float_denorm_mode_16_64 3
		.amdhsa_dx10_clamp 1
		.amdhsa_ieee_mode 1
		.amdhsa_fp16_overflow 0
		.amdhsa_tg_split 0
		.amdhsa_exception_fp_ieee_invalid_op 0
		.amdhsa_exception_fp_denorm_src 0
		.amdhsa_exception_fp_ieee_div_zero 0
		.amdhsa_exception_fp_ieee_overflow 0
		.amdhsa_exception_fp_ieee_underflow 0
		.amdhsa_exception_fp_ieee_inexact 0
		.amdhsa_exception_int_div_zero 0
	.end_amdhsa_kernel
	.section	.text._ZN7rocprim17ROCPRIM_400000_NS6detail17trampoline_kernelINS0_14default_configENS1_27scan_by_key_config_selectorIxxEEZZNS1_16scan_by_key_implILNS1_25lookback_scan_determinismE0ELb0ES3_N6thrust23THRUST_200600_302600_NS6detail15normal_iteratorINS9_10device_ptrIxEEEESE_SE_xNS9_4plusIvEENS9_8equal_toIvEExEE10hipError_tPvRmT2_T3_T4_T5_mT6_T7_P12ihipStream_tbENKUlT_T0_E_clISt17integral_constantIbLb1EESZ_EEDaSU_SV_EUlSU_E_NS1_11comp_targetILNS1_3genE5ELNS1_11target_archE942ELNS1_3gpuE9ELNS1_3repE0EEENS1_30default_config_static_selectorELNS0_4arch9wavefront6targetE1EEEvT1_,"axG",@progbits,_ZN7rocprim17ROCPRIM_400000_NS6detail17trampoline_kernelINS0_14default_configENS1_27scan_by_key_config_selectorIxxEEZZNS1_16scan_by_key_implILNS1_25lookback_scan_determinismE0ELb0ES3_N6thrust23THRUST_200600_302600_NS6detail15normal_iteratorINS9_10device_ptrIxEEEESE_SE_xNS9_4plusIvEENS9_8equal_toIvEExEE10hipError_tPvRmT2_T3_T4_T5_mT6_T7_P12ihipStream_tbENKUlT_T0_E_clISt17integral_constantIbLb1EESZ_EEDaSU_SV_EUlSU_E_NS1_11comp_targetILNS1_3genE5ELNS1_11target_archE942ELNS1_3gpuE9ELNS1_3repE0EEENS1_30default_config_static_selectorELNS0_4arch9wavefront6targetE1EEEvT1_,comdat
.Lfunc_end18:
	.size	_ZN7rocprim17ROCPRIM_400000_NS6detail17trampoline_kernelINS0_14default_configENS1_27scan_by_key_config_selectorIxxEEZZNS1_16scan_by_key_implILNS1_25lookback_scan_determinismE0ELb0ES3_N6thrust23THRUST_200600_302600_NS6detail15normal_iteratorINS9_10device_ptrIxEEEESE_SE_xNS9_4plusIvEENS9_8equal_toIvEExEE10hipError_tPvRmT2_T3_T4_T5_mT6_T7_P12ihipStream_tbENKUlT_T0_E_clISt17integral_constantIbLb1EESZ_EEDaSU_SV_EUlSU_E_NS1_11comp_targetILNS1_3genE5ELNS1_11target_archE942ELNS1_3gpuE9ELNS1_3repE0EEENS1_30default_config_static_selectorELNS0_4arch9wavefront6targetE1EEEvT1_, .Lfunc_end18-_ZN7rocprim17ROCPRIM_400000_NS6detail17trampoline_kernelINS0_14default_configENS1_27scan_by_key_config_selectorIxxEEZZNS1_16scan_by_key_implILNS1_25lookback_scan_determinismE0ELb0ES3_N6thrust23THRUST_200600_302600_NS6detail15normal_iteratorINS9_10device_ptrIxEEEESE_SE_xNS9_4plusIvEENS9_8equal_toIvEExEE10hipError_tPvRmT2_T3_T4_T5_mT6_T7_P12ihipStream_tbENKUlT_T0_E_clISt17integral_constantIbLb1EESZ_EEDaSU_SV_EUlSU_E_NS1_11comp_targetILNS1_3genE5ELNS1_11target_archE942ELNS1_3gpuE9ELNS1_3repE0EEENS1_30default_config_static_selectorELNS0_4arch9wavefront6targetE1EEEvT1_
                                        ; -- End function
	.section	.AMDGPU.csdata,"",@progbits
; Kernel info:
; codeLenInByte = 0
; NumSgprs: 4
; NumVgprs: 0
; NumAgprs: 0
; TotalNumVgprs: 0
; ScratchSize: 0
; MemoryBound: 0
; FloatMode: 240
; IeeeMode: 1
; LDSByteSize: 0 bytes/workgroup (compile time only)
; SGPRBlocks: 0
; VGPRBlocks: 0
; NumSGPRsForWavesPerEU: 4
; NumVGPRsForWavesPerEU: 1
; AccumOffset: 4
; Occupancy: 8
; WaveLimiterHint : 0
; COMPUTE_PGM_RSRC2:SCRATCH_EN: 0
; COMPUTE_PGM_RSRC2:USER_SGPR: 6
; COMPUTE_PGM_RSRC2:TRAP_HANDLER: 0
; COMPUTE_PGM_RSRC2:TGID_X_EN: 1
; COMPUTE_PGM_RSRC2:TGID_Y_EN: 0
; COMPUTE_PGM_RSRC2:TGID_Z_EN: 0
; COMPUTE_PGM_RSRC2:TIDIG_COMP_CNT: 0
; COMPUTE_PGM_RSRC3_GFX90A:ACCUM_OFFSET: 0
; COMPUTE_PGM_RSRC3_GFX90A:TG_SPLIT: 0
	.section	.text._ZN7rocprim17ROCPRIM_400000_NS6detail17trampoline_kernelINS0_14default_configENS1_27scan_by_key_config_selectorIxxEEZZNS1_16scan_by_key_implILNS1_25lookback_scan_determinismE0ELb0ES3_N6thrust23THRUST_200600_302600_NS6detail15normal_iteratorINS9_10device_ptrIxEEEESE_SE_xNS9_4plusIvEENS9_8equal_toIvEExEE10hipError_tPvRmT2_T3_T4_T5_mT6_T7_P12ihipStream_tbENKUlT_T0_E_clISt17integral_constantIbLb1EESZ_EEDaSU_SV_EUlSU_E_NS1_11comp_targetILNS1_3genE4ELNS1_11target_archE910ELNS1_3gpuE8ELNS1_3repE0EEENS1_30default_config_static_selectorELNS0_4arch9wavefront6targetE1EEEvT1_,"axG",@progbits,_ZN7rocprim17ROCPRIM_400000_NS6detail17trampoline_kernelINS0_14default_configENS1_27scan_by_key_config_selectorIxxEEZZNS1_16scan_by_key_implILNS1_25lookback_scan_determinismE0ELb0ES3_N6thrust23THRUST_200600_302600_NS6detail15normal_iteratorINS9_10device_ptrIxEEEESE_SE_xNS9_4plusIvEENS9_8equal_toIvEExEE10hipError_tPvRmT2_T3_T4_T5_mT6_T7_P12ihipStream_tbENKUlT_T0_E_clISt17integral_constantIbLb1EESZ_EEDaSU_SV_EUlSU_E_NS1_11comp_targetILNS1_3genE4ELNS1_11target_archE910ELNS1_3gpuE8ELNS1_3repE0EEENS1_30default_config_static_selectorELNS0_4arch9wavefront6targetE1EEEvT1_,comdat
	.protected	_ZN7rocprim17ROCPRIM_400000_NS6detail17trampoline_kernelINS0_14default_configENS1_27scan_by_key_config_selectorIxxEEZZNS1_16scan_by_key_implILNS1_25lookback_scan_determinismE0ELb0ES3_N6thrust23THRUST_200600_302600_NS6detail15normal_iteratorINS9_10device_ptrIxEEEESE_SE_xNS9_4plusIvEENS9_8equal_toIvEExEE10hipError_tPvRmT2_T3_T4_T5_mT6_T7_P12ihipStream_tbENKUlT_T0_E_clISt17integral_constantIbLb1EESZ_EEDaSU_SV_EUlSU_E_NS1_11comp_targetILNS1_3genE4ELNS1_11target_archE910ELNS1_3gpuE8ELNS1_3repE0EEENS1_30default_config_static_selectorELNS0_4arch9wavefront6targetE1EEEvT1_ ; -- Begin function _ZN7rocprim17ROCPRIM_400000_NS6detail17trampoline_kernelINS0_14default_configENS1_27scan_by_key_config_selectorIxxEEZZNS1_16scan_by_key_implILNS1_25lookback_scan_determinismE0ELb0ES3_N6thrust23THRUST_200600_302600_NS6detail15normal_iteratorINS9_10device_ptrIxEEEESE_SE_xNS9_4plusIvEENS9_8equal_toIvEExEE10hipError_tPvRmT2_T3_T4_T5_mT6_T7_P12ihipStream_tbENKUlT_T0_E_clISt17integral_constantIbLb1EESZ_EEDaSU_SV_EUlSU_E_NS1_11comp_targetILNS1_3genE4ELNS1_11target_archE910ELNS1_3gpuE8ELNS1_3repE0EEENS1_30default_config_static_selectorELNS0_4arch9wavefront6targetE1EEEvT1_
	.globl	_ZN7rocprim17ROCPRIM_400000_NS6detail17trampoline_kernelINS0_14default_configENS1_27scan_by_key_config_selectorIxxEEZZNS1_16scan_by_key_implILNS1_25lookback_scan_determinismE0ELb0ES3_N6thrust23THRUST_200600_302600_NS6detail15normal_iteratorINS9_10device_ptrIxEEEESE_SE_xNS9_4plusIvEENS9_8equal_toIvEExEE10hipError_tPvRmT2_T3_T4_T5_mT6_T7_P12ihipStream_tbENKUlT_T0_E_clISt17integral_constantIbLb1EESZ_EEDaSU_SV_EUlSU_E_NS1_11comp_targetILNS1_3genE4ELNS1_11target_archE910ELNS1_3gpuE8ELNS1_3repE0EEENS1_30default_config_static_selectorELNS0_4arch9wavefront6targetE1EEEvT1_
	.p2align	8
	.type	_ZN7rocprim17ROCPRIM_400000_NS6detail17trampoline_kernelINS0_14default_configENS1_27scan_by_key_config_selectorIxxEEZZNS1_16scan_by_key_implILNS1_25lookback_scan_determinismE0ELb0ES3_N6thrust23THRUST_200600_302600_NS6detail15normal_iteratorINS9_10device_ptrIxEEEESE_SE_xNS9_4plusIvEENS9_8equal_toIvEExEE10hipError_tPvRmT2_T3_T4_T5_mT6_T7_P12ihipStream_tbENKUlT_T0_E_clISt17integral_constantIbLb1EESZ_EEDaSU_SV_EUlSU_E_NS1_11comp_targetILNS1_3genE4ELNS1_11target_archE910ELNS1_3gpuE8ELNS1_3repE0EEENS1_30default_config_static_selectorELNS0_4arch9wavefront6targetE1EEEvT1_,@function
_ZN7rocprim17ROCPRIM_400000_NS6detail17trampoline_kernelINS0_14default_configENS1_27scan_by_key_config_selectorIxxEEZZNS1_16scan_by_key_implILNS1_25lookback_scan_determinismE0ELb0ES3_N6thrust23THRUST_200600_302600_NS6detail15normal_iteratorINS9_10device_ptrIxEEEESE_SE_xNS9_4plusIvEENS9_8equal_toIvEExEE10hipError_tPvRmT2_T3_T4_T5_mT6_T7_P12ihipStream_tbENKUlT_T0_E_clISt17integral_constantIbLb1EESZ_EEDaSU_SV_EUlSU_E_NS1_11comp_targetILNS1_3genE4ELNS1_11target_archE910ELNS1_3gpuE8ELNS1_3repE0EEENS1_30default_config_static_selectorELNS0_4arch9wavefront6targetE1EEEvT1_: ; @_ZN7rocprim17ROCPRIM_400000_NS6detail17trampoline_kernelINS0_14default_configENS1_27scan_by_key_config_selectorIxxEEZZNS1_16scan_by_key_implILNS1_25lookback_scan_determinismE0ELb0ES3_N6thrust23THRUST_200600_302600_NS6detail15normal_iteratorINS9_10device_ptrIxEEEESE_SE_xNS9_4plusIvEENS9_8equal_toIvEExEE10hipError_tPvRmT2_T3_T4_T5_mT6_T7_P12ihipStream_tbENKUlT_T0_E_clISt17integral_constantIbLb1EESZ_EEDaSU_SV_EUlSU_E_NS1_11comp_targetILNS1_3genE4ELNS1_11target_archE910ELNS1_3gpuE8ELNS1_3repE0EEENS1_30default_config_static_selectorELNS0_4arch9wavefront6targetE1EEEvT1_
; %bb.0:
	s_load_dwordx8 s[48:55], s[4:5], 0x30
	s_load_dwordx2 s[72:73], s[4:5], 0x50
	v_cmp_ne_u32_e64 s[46:47], 0, v0
	v_cmp_eq_u32_e64 s[0:1], 0, v0
	s_and_saveexec_b64 s[2:3], s[0:1]
	s_cbranch_execz .LBB19_4
; %bb.1:
	s_mov_b64 s[8:9], exec
	v_mbcnt_lo_u32_b32 v1, s8, 0
	v_mbcnt_hi_u32_b32 v1, s9, v1
	v_cmp_eq_u32_e32 vcc, 0, v1
                                        ; implicit-def: $vgpr2
	s_and_saveexec_b64 s[6:7], vcc
	s_cbranch_execz .LBB19_3
; %bb.2:
	s_load_dwordx2 s[10:11], s[4:5], 0x80
	s_bcnt1_i32_b64 s8, s[8:9]
	v_mov_b32_e32 v2, 0
	v_mov_b32_e32 v3, s8
	s_waitcnt lgkmcnt(0)
	global_atomic_add v2, v2, v3, s[10:11] glc
.LBB19_3:
	s_or_b64 exec, exec, s[6:7]
	s_waitcnt vmcnt(0)
	v_readfirstlane_b32 s6, v2
	v_add_u32_e32 v1, s6, v1
	v_mov_b32_e32 v2, 0
	ds_write_b32 v2, v1
.LBB19_4:
	s_or_b64 exec, exec, s[2:3]
	s_load_dwordx8 s[56:63], s[4:5], 0x0
	s_load_dword s2, s[4:5], 0x58
	s_load_dwordx8 s[64:71], s[4:5], 0x60
	v_mov_b32_e32 v1, 0
	s_waitcnt lgkmcnt(0)
	; wave barrier
	s_waitcnt lgkmcnt(0)
	ds_read_b32 v1, v1
	s_lshl_b64 s[58:59], s[58:59], 3
	s_add_u32 s4, s56, s58
	s_addc_u32 s5, s57, s59
	s_add_u32 s6, s60, s58
	s_mul_i32 s3, s73, s2
	s_mul_hi_u32 s8, s72, s2
	s_addc_u32 s7, s61, s59
	s_add_i32 s8, s8, s3
	s_waitcnt lgkmcnt(0)
	v_readfirstlane_b32 s55, v1
	s_mul_i32 s9, s72, s2
	s_cmp_lg_u64 s[68:69], 0
	s_mov_b32 s3, 0
	s_mul_i32 s2, s55, 0x4c0
	s_cselect_b64 s[68:69], -1, 0
	s_lshl_b64 s[56:57], s[2:3], 3
	s_add_u32 s60, s4, s56
	s_addc_u32 s61, s5, s57
	s_add_u32 s78, s6, s56
	s_addc_u32 s79, s7, s57
	;; [unrolled: 2-line block ×3, first 2 shown]
	s_add_u32 s4, s64, -1
	s_addc_u32 s5, s65, -1
	v_pk_mov_b32 v[2:3], s[4:5], s[4:5] op_sel:[0,1]
	v_cmp_ge_u64_e64 s[2:3], s[74:75], v[2:3]
	s_mov_b64 s[10:11], 0
	s_mov_b64 s[6:7], -1
	s_and_b64 vcc, exec, s[2:3]
	s_mul_i32 s33, s4, 0xfffffb40
	s_waitcnt lgkmcnt(0)
	; wave barrier
	s_waitcnt lgkmcnt(0)
	s_waitcnt lgkmcnt(0)
	; wave barrier
	s_cbranch_vccz .LBB19_106
; %bb.5:
	v_pk_mov_b32 v[2:3], s[60:61], s[60:61] op_sel:[0,1]
	flat_load_dwordx2 v[2:3], v[2:3]
	s_add_i32 s81, s33, s54
	v_cmp_gt_u32_e64 s[6:7], s81, v0
	s_waitcnt vmcnt(0) lgkmcnt(0)
	v_pk_mov_b32 v[4:5], v[2:3], v[2:3] op_sel:[0,1]
	s_and_saveexec_b64 s[4:5], s[6:7]
	s_cbranch_execz .LBB19_7
; %bb.6:
	v_lshlrev_b32_e32 v1, 3, v0
	v_mov_b32_e32 v5, s61
	v_add_co_u32_e32 v4, vcc, s60, v1
	v_addc_co_u32_e32 v5, vcc, 0, v5, vcc
	flat_load_dwordx2 v[4:5], v[4:5]
.LBB19_7:
	s_or_b64 exec, exec, s[4:5]
	v_or_b32_e32 v1, 64, v0
	v_cmp_gt_u32_e64 s[8:9], s81, v1
	v_pk_mov_b32 v[6:7], v[2:3], v[2:3] op_sel:[0,1]
	s_and_saveexec_b64 s[4:5], s[8:9]
	s_cbranch_execz .LBB19_9
; %bb.8:
	v_lshlrev_b32_e32 v1, 3, v0
	v_mov_b32_e32 v7, s61
	v_add_co_u32_e32 v6, vcc, s60, v1
	v_addc_co_u32_e32 v7, vcc, 0, v7, vcc
	flat_load_dwordx2 v[6:7], v[6:7] offset:512
.LBB19_9:
	s_or_b64 exec, exec, s[4:5]
	v_or_b32_e32 v1, 0x80, v0
	v_cmp_gt_u32_e64 s[10:11], s81, v1
	v_pk_mov_b32 v[8:9], v[2:3], v[2:3] op_sel:[0,1]
	s_and_saveexec_b64 s[4:5], s[10:11]
	s_cbranch_execz .LBB19_11
; %bb.10:
	v_lshlrev_b32_e32 v1, 3, v0
	v_mov_b32_e32 v9, s61
	v_add_co_u32_e32 v8, vcc, s60, v1
	v_addc_co_u32_e32 v9, vcc, 0, v9, vcc
	flat_load_dwordx2 v[8:9], v[8:9] offset:1024
.LBB19_11:
	;; [unrolled: 13-line block ×7, first 2 shown]
	s_or_b64 exec, exec, s[4:5]
	v_or_b32_e32 v1, 0x200, v0
	v_cmp_gt_u32_e64 s[22:23], s81, v1
	v_pk_mov_b32 v[20:21], v[2:3], v[2:3] op_sel:[0,1]
	s_and_saveexec_b64 s[4:5], s[22:23]
	s_cbranch_execz .LBB19_23
; %bb.22:
	v_lshlrev_b32_e32 v20, 3, v1
	v_mov_b32_e32 v21, s61
	v_add_co_u32_e32 v20, vcc, s60, v20
	v_addc_co_u32_e32 v21, vcc, 0, v21, vcc
	flat_load_dwordx2 v[20:21], v[20:21]
.LBB19_23:
	s_or_b64 exec, exec, s[4:5]
	v_or_b32_e32 v40, 0x240, v0
	v_cmp_gt_u32_e64 s[24:25], s81, v40
	v_pk_mov_b32 v[22:23], v[2:3], v[2:3] op_sel:[0,1]
	s_and_saveexec_b64 s[4:5], s[24:25]
	s_cbranch_execz .LBB19_25
; %bb.24:
	v_lshlrev_b32_e32 v22, 3, v40
	v_mov_b32_e32 v23, s61
	v_add_co_u32_e32 v22, vcc, s60, v22
	v_addc_co_u32_e32 v23, vcc, 0, v23, vcc
	flat_load_dwordx2 v[22:23], v[22:23]
.LBB19_25:
	;; [unrolled: 13-line block ×10, first 2 shown]
	s_or_b64 exec, exec, s[4:5]
	v_or_b32_e32 v51, 0x480, v0
	v_cmp_gt_u32_e64 s[44:45], s81, v51
	s_and_saveexec_b64 s[4:5], s[44:45]
	s_cbranch_execz .LBB19_43
; %bb.42:
	v_lshlrev_b32_e32 v2, 3, v51
	v_mov_b32_e32 v3, s61
	v_add_co_u32_e32 v2, vcc, s60, v2
	v_addc_co_u32_e32 v3, vcc, 0, v3, vcc
	flat_load_dwordx2 v[2:3], v[2:3]
.LBB19_43:
	s_or_b64 exec, exec, s[4:5]
	v_lshlrev_b32_e32 v50, 3, v0
	s_movk_i32 s4, 0x90
	v_mad_u32_u24 v48, v0, s4, v50
	s_waitcnt vmcnt(0) lgkmcnt(0)
	ds_write2st64_b64 v50, v[4:5], v[6:7] offset1:1
	ds_write2st64_b64 v50, v[8:9], v[10:11] offset0:2 offset1:3
	ds_write2st64_b64 v50, v[12:13], v[14:15] offset0:4 offset1:5
	;; [unrolled: 1-line block ×8, first 2 shown]
	ds_write_b64 v50, v[2:3] offset:9216
	s_waitcnt lgkmcnt(0)
	; wave barrier
	s_waitcnt lgkmcnt(0)
	ds_read2_b64 v[106:109], v48 offset1:1
	ds_read2_b64 v[102:105], v48 offset0:2 offset1:3
	ds_read2_b64 v[98:101], v48 offset0:4 offset1:5
	;; [unrolled: 1-line block ×8, first 2 shown]
	ds_read_b64 v[4:5], v48 offset:144
	s_cmp_eq_u64 s[74:75], 0
	s_mov_b64 s[4:5], s[60:61]
	s_cbranch_scc1 .LBB19_47
; %bb.44:
	s_andn2_b64 vcc, exec, s[68:69]
	s_cbranch_vccnz .LBB19_263
; %bb.45:
	s_lshl_b64 s[4:5], s[74:75], 3
	s_add_u32 s4, s70, s4
	s_addc_u32 s5, s71, s5
	s_add_u32 s4, s4, -8
	s_addc_u32 s5, s5, -1
	s_cbranch_execnz .LBB19_47
.LBB19_46:
	s_add_u32 s4, s60, -8
	s_addc_u32 s5, s61, -1
.LBB19_47:
	v_pk_mov_b32 v[2:3], s[4:5], s[4:5] op_sel:[0,1]
	flat_load_dwordx2 v[8:9], v[2:3]
	s_movk_i32 s4, 0xff70
	v_mad_i32_i24 v2, v0, s4, v48
	s_waitcnt lgkmcnt(0)
	ds_write_b64 v2, v[4:5] offset:9728
	s_waitcnt lgkmcnt(0)
	; wave barrier
	s_waitcnt lgkmcnt(0)
	s_and_saveexec_b64 s[4:5], s[46:47]
	s_cbranch_execz .LBB19_49
; %bb.48:
	v_mul_i32_i24_e32 v2, 0xffffff70, v0
	v_add_u32_e32 v2, v48, v2
	s_waitcnt vmcnt(0)
	ds_read_b64 v[8:9], v2 offset:9720
.LBB19_49:
	s_or_b64 exec, exec, s[4:5]
	s_waitcnt lgkmcnt(0)
	; wave barrier
	s_waitcnt lgkmcnt(0)
                                        ; implicit-def: $vgpr2_vgpr3
	s_and_saveexec_b64 s[4:5], s[6:7]
	s_cbranch_execnz .LBB19_245
; %bb.50:
	s_or_b64 exec, exec, s[4:5]
                                        ; implicit-def: $vgpr6_vgpr7
	s_and_saveexec_b64 s[4:5], s[8:9]
	s_cbranch_execnz .LBB19_246
.LBB19_51:
	s_or_b64 exec, exec, s[4:5]
                                        ; implicit-def: $vgpr10_vgpr11
	s_and_saveexec_b64 s[4:5], s[10:11]
	s_cbranch_execnz .LBB19_247
.LBB19_52:
	s_or_b64 exec, exec, s[4:5]
                                        ; implicit-def: $vgpr12_vgpr13
	s_and_saveexec_b64 s[4:5], s[12:13]
	s_cbranch_execnz .LBB19_248
.LBB19_53:
	s_or_b64 exec, exec, s[4:5]
                                        ; implicit-def: $vgpr14_vgpr15
	s_and_saveexec_b64 s[4:5], s[14:15]
	s_cbranch_execnz .LBB19_249
.LBB19_54:
	s_or_b64 exec, exec, s[4:5]
                                        ; implicit-def: $vgpr16_vgpr17
	s_and_saveexec_b64 s[4:5], s[16:17]
	s_cbranch_execnz .LBB19_250
.LBB19_55:
	s_or_b64 exec, exec, s[4:5]
                                        ; implicit-def: $vgpr18_vgpr19
	s_and_saveexec_b64 s[4:5], s[18:19]
	s_cbranch_execnz .LBB19_251
.LBB19_56:
	s_or_b64 exec, exec, s[4:5]
                                        ; implicit-def: $vgpr20_vgpr21
	s_and_saveexec_b64 s[4:5], s[20:21]
	s_cbranch_execnz .LBB19_252
.LBB19_57:
	s_or_b64 exec, exec, s[4:5]
                                        ; implicit-def: $vgpr22_vgpr23
	s_and_saveexec_b64 s[4:5], s[22:23]
	s_cbranch_execnz .LBB19_253
.LBB19_58:
	s_or_b64 exec, exec, s[4:5]
                                        ; implicit-def: $vgpr24_vgpr25
	s_and_saveexec_b64 s[4:5], s[24:25]
	s_cbranch_execnz .LBB19_254
.LBB19_59:
	s_or_b64 exec, exec, s[4:5]
                                        ; implicit-def: $vgpr26_vgpr27
	s_and_saveexec_b64 s[4:5], s[26:27]
	s_cbranch_execnz .LBB19_255
.LBB19_60:
	s_or_b64 exec, exec, s[4:5]
                                        ; implicit-def: $vgpr28_vgpr29
	s_and_saveexec_b64 s[4:5], s[28:29]
	s_cbranch_execnz .LBB19_256
.LBB19_61:
	s_or_b64 exec, exec, s[4:5]
                                        ; implicit-def: $vgpr30_vgpr31
	s_and_saveexec_b64 s[4:5], s[30:31]
	s_cbranch_execnz .LBB19_257
.LBB19_62:
	s_or_b64 exec, exec, s[4:5]
                                        ; implicit-def: $vgpr32_vgpr33
	s_and_saveexec_b64 s[4:5], s[34:35]
	s_cbranch_execnz .LBB19_258
.LBB19_63:
	s_or_b64 exec, exec, s[4:5]
                                        ; implicit-def: $vgpr34_vgpr35
	s_and_saveexec_b64 s[4:5], s[36:37]
	s_cbranch_execnz .LBB19_259
.LBB19_64:
	s_or_b64 exec, exec, s[4:5]
                                        ; implicit-def: $vgpr36_vgpr37
	s_and_saveexec_b64 s[4:5], s[38:39]
	s_cbranch_execnz .LBB19_260
.LBB19_65:
	s_or_b64 exec, exec, s[4:5]
                                        ; implicit-def: $vgpr38_vgpr39
	s_and_saveexec_b64 s[4:5], s[40:41]
	s_cbranch_execnz .LBB19_261
.LBB19_66:
	s_or_b64 exec, exec, s[4:5]
                                        ; implicit-def: $vgpr40_vgpr41
	s_and_saveexec_b64 s[4:5], s[42:43]
	s_cbranch_execnz .LBB19_262
.LBB19_67:
	s_or_b64 exec, exec, s[4:5]
                                        ; implicit-def: $vgpr42_vgpr43
	s_and_saveexec_b64 s[4:5], s[44:45]
	s_cbranch_execz .LBB19_69
.LBB19_68:
	v_lshlrev_b32_e32 v1, 3, v51
	v_mov_b32_e32 v43, s79
	v_add_co_u32_e32 v42, vcc, s78, v1
	v_addc_co_u32_e32 v43, vcc, 0, v43, vcc
	flat_load_dwordx2 v[42:43], v[42:43]
.LBB19_69:
	s_or_b64 exec, exec, s[4:5]
	v_mul_u32_u24_e32 v49, 19, v0
	s_waitcnt vmcnt(0) lgkmcnt(0)
	ds_write2st64_b64 v50, v[2:3], v[6:7] offset1:1
	ds_write2st64_b64 v50, v[10:11], v[12:13] offset0:2 offset1:3
	ds_write2st64_b64 v50, v[14:15], v[16:17] offset0:4 offset1:5
	ds_write2st64_b64 v50, v[18:19], v[20:21] offset0:6 offset1:7
	ds_write2st64_b64 v50, v[22:23], v[24:25] offset0:8 offset1:9
	ds_write2st64_b64 v50, v[26:27], v[28:29] offset0:10 offset1:11
	ds_write2st64_b64 v50, v[30:31], v[32:33] offset0:12 offset1:13
	ds_write2st64_b64 v50, v[34:35], v[36:37] offset0:14 offset1:15
	ds_write2st64_b64 v50, v[38:39], v[40:41] offset0:16 offset1:17
	ds_write_b64 v50, v[42:43] offset:9216
	v_pk_mov_b32 v[6:7], 0, 0
	v_cmp_gt_u32_e32 vcc, s81, v49
	s_mov_b64 s[10:11], 0
	s_mov_b64 s[6:7], 0
	s_mov_b32 s80, 0
	v_mov_b32_e32 v110, 0
	v_mov_b32_e32 v126, 0
	v_pk_mov_b32 v[62:63], v[6:7], v[6:7] op_sel:[0,1]
	v_mov_b32_e32 v125, 0
	v_pk_mov_b32 v[70:71], v[6:7], v[6:7] op_sel:[0,1]
	;; [unrolled: 2-line block ×17, first 2 shown]
	s_waitcnt lgkmcnt(0)
	; wave barrier
	s_waitcnt lgkmcnt(0)
                                        ; implicit-def: $sgpr4_sgpr5
	s_and_saveexec_b64 s[8:9], vcc
	s_cbranch_execz .LBB19_105
; %bb.70:
	ds_read_b64 v[2:3], v48
	v_cmp_ne_u64_e32 vcc, v[8:9], v[106:107]
	v_add_u32_e32 v6, 1, v49
	v_cndmask_b32_e64 v1, 0, 1, vcc
	v_cmp_gt_u32_e32 vcc, s81, v6
	v_pk_mov_b32 v[6:7], 0, 0
	s_mov_b64 s[12:13], 0
	s_mov_b64 s[4:5], 0
	v_mov_b32_e32 v110, 0
	v_mov_b32_e32 v126, 0
	v_pk_mov_b32 v[62:63], v[6:7], v[6:7] op_sel:[0,1]
	v_mov_b32_e32 v125, 0
	v_pk_mov_b32 v[70:71], v[6:7], v[6:7] op_sel:[0,1]
	;; [unrolled: 2-line block ×16, first 2 shown]
                                        ; implicit-def: $sgpr14_sgpr15
	s_and_saveexec_b64 s[10:11], vcc
	s_cbranch_execz .LBB19_104
; %bb.71:
	ds_read2_b64 v[14:17], v48 offset0:1 offset1:2
	v_cmp_ne_u64_e32 vcc, v[106:107], v[108:109]
	v_add_u32_e32 v6, 2, v49
	v_cndmask_b32_e64 v112, 0, 1, vcc
	v_cmp_gt_u32_e32 vcc, s81, v6
	v_pk_mov_b32 v[6:7], 0, 0
	s_mov_b64 s[16:17], 0
	v_mov_b32_e32 v110, 0
	v_mov_b32_e32 v126, 0
	v_pk_mov_b32 v[62:63], v[6:7], v[6:7] op_sel:[0,1]
	v_mov_b32_e32 v125, 0
	v_pk_mov_b32 v[70:71], v[6:7], v[6:7] op_sel:[0,1]
	;; [unrolled: 2-line block ×15, first 2 shown]
                                        ; implicit-def: $sgpr14_sgpr15
	s_and_saveexec_b64 s[12:13], vcc
	s_cbranch_execz .LBB19_103
; %bb.72:
	v_cmp_ne_u64_e32 vcc, v[108:109], v[102:103]
	v_add_u32_e32 v6, 3, v49
	v_cndmask_b32_e64 v111, 0, 1, vcc
	v_cmp_gt_u32_e32 vcc, s81, v6
	v_pk_mov_b32 v[6:7], 0, 0
	s_waitcnt lgkmcnt(0)
	v_mov_b32_e32 v10, v16
	v_mov_b32_e32 v11, v17
	;; [unrolled: 1-line block ×4, first 2 shown]
	v_pk_mov_b32 v[62:63], v[6:7], v[6:7] op_sel:[0,1]
	v_mov_b32_e32 v125, 0
	v_pk_mov_b32 v[70:71], v[6:7], v[6:7] op_sel:[0,1]
	v_mov_b32_e32 v124, 0
	;; [unrolled: 2-line block ×13, first 2 shown]
	v_pk_mov_b32 v[22:23], v[6:7], v[6:7] op_sel:[0,1]
                                        ; implicit-def: $sgpr18_sgpr19
	s_and_saveexec_b64 s[14:15], vcc
	s_cbranch_execz .LBB19_102
; %bb.73:
	ds_read2_b64 v[22:25], v48 offset0:3 offset1:4
	v_cmp_ne_u64_e32 vcc, v[102:103], v[104:105]
	v_add_u32_e32 v6, 4, v49
	v_cndmask_b32_e64 v113, 0, 1, vcc
	v_cmp_gt_u32_e32 vcc, s81, v6
	v_pk_mov_b32 v[6:7], 0, 0
	s_mov_b64 s[20:21], 0
	v_mov_b32_e32 v110, 0
	v_mov_b32_e32 v126, 0
	v_pk_mov_b32 v[62:63], v[6:7], v[6:7] op_sel:[0,1]
	v_mov_b32_e32 v125, 0
	v_pk_mov_b32 v[70:71], v[6:7], v[6:7] op_sel:[0,1]
	;; [unrolled: 2-line block ×13, first 2 shown]
                                        ; implicit-def: $sgpr18_sgpr19
	s_and_saveexec_b64 s[16:17], vcc
	s_cbranch_execz .LBB19_101
; %bb.74:
	v_cmp_ne_u64_e32 vcc, v[104:105], v[98:99]
	v_add_u32_e32 v6, 5, v49
	v_cndmask_b32_e64 v114, 0, 1, vcc
	v_cmp_gt_u32_e32 vcc, s81, v6
	v_pk_mov_b32 v[6:7], 0, 0
	s_waitcnt lgkmcnt(0)
	v_mov_b32_e32 v18, v24
	v_mov_b32_e32 v19, v25
	;; [unrolled: 1-line block ×4, first 2 shown]
	v_pk_mov_b32 v[62:63], v[6:7], v[6:7] op_sel:[0,1]
	v_mov_b32_e32 v125, 0
	v_pk_mov_b32 v[70:71], v[6:7], v[6:7] op_sel:[0,1]
	v_mov_b32_e32 v124, 0
	;; [unrolled: 2-line block ×11, first 2 shown]
	v_pk_mov_b32 v[34:35], v[6:7], v[6:7] op_sel:[0,1]
                                        ; implicit-def: $sgpr22_sgpr23
	s_and_saveexec_b64 s[18:19], vcc
	s_cbranch_execz .LBB19_100
; %bb.75:
	ds_read2_b64 v[34:37], v48 offset0:5 offset1:6
	v_cmp_ne_u64_e32 vcc, v[98:99], v[100:101]
	v_add_u32_e32 v6, 6, v49
	v_cndmask_b32_e64 v115, 0, 1, vcc
	v_cmp_gt_u32_e32 vcc, s81, v6
	v_pk_mov_b32 v[6:7], 0, 0
	s_mov_b64 s[24:25], 0
	v_mov_b32_e32 v110, 0
	v_mov_b32_e32 v126, 0
	v_pk_mov_b32 v[62:63], v[6:7], v[6:7] op_sel:[0,1]
	v_mov_b32_e32 v125, 0
	v_pk_mov_b32 v[70:71], v[6:7], v[6:7] op_sel:[0,1]
	;; [unrolled: 2-line block ×11, first 2 shown]
                                        ; implicit-def: $sgpr22_sgpr23
	s_and_saveexec_b64 s[20:21], vcc
	s_cbranch_execz .LBB19_99
; %bb.76:
	v_cmp_ne_u64_e32 vcc, v[100:101], v[94:95]
	v_add_u32_e32 v6, 7, v49
	v_cndmask_b32_e64 v116, 0, 1, vcc
	v_cmp_gt_u32_e32 vcc, s81, v6
	v_pk_mov_b32 v[6:7], 0, 0
	s_waitcnt lgkmcnt(0)
	v_mov_b32_e32 v26, v36
	v_mov_b32_e32 v27, v37
	;; [unrolled: 1-line block ×4, first 2 shown]
	v_pk_mov_b32 v[62:63], v[6:7], v[6:7] op_sel:[0,1]
	v_mov_b32_e32 v125, 0
	v_pk_mov_b32 v[70:71], v[6:7], v[6:7] op_sel:[0,1]
	v_mov_b32_e32 v124, 0
	;; [unrolled: 2-line block ×9, first 2 shown]
	v_pk_mov_b32 v[42:43], v[6:7], v[6:7] op_sel:[0,1]
                                        ; implicit-def: $sgpr26_sgpr27
	s_and_saveexec_b64 s[22:23], vcc
	s_cbranch_execz .LBB19_98
; %bb.77:
	ds_read2_b64 v[42:45], v48 offset0:7 offset1:8
	v_cmp_ne_u64_e32 vcc, v[94:95], v[96:97]
	v_add_u32_e32 v6, 8, v49
	v_cndmask_b32_e64 v117, 0, 1, vcc
	v_cmp_gt_u32_e32 vcc, s81, v6
	v_pk_mov_b32 v[6:7], 0, 0
	s_mov_b64 s[28:29], 0
	v_mov_b32_e32 v110, 0
	v_mov_b32_e32 v126, 0
	v_pk_mov_b32 v[62:63], v[6:7], v[6:7] op_sel:[0,1]
	v_mov_b32_e32 v125, 0
	v_pk_mov_b32 v[70:71], v[6:7], v[6:7] op_sel:[0,1]
	v_mov_b32_e32 v124, 0
	v_pk_mov_b32 v[54:55], v[6:7], v[6:7] op_sel:[0,1]
	v_mov_b32_e32 v123, 0
	v_pk_mov_b32 v[66:67], v[6:7], v[6:7] op_sel:[0,1]
	v_mov_b32_e32 v122, 0
	v_pk_mov_b32 v[46:47], v[6:7], v[6:7] op_sel:[0,1]
	v_mov_b32_e32 v121, 0
	v_pk_mov_b32 v[58:59], v[6:7], v[6:7] op_sel:[0,1]
	v_mov_b32_e32 v120, 0
	v_pk_mov_b32 v[38:39], v[6:7], v[6:7] op_sel:[0,1]
	v_mov_b32_e32 v119, 0
	v_pk_mov_b32 v[50:51], v[6:7], v[6:7] op_sel:[0,1]
	v_mov_b32_e32 v118, 0
	v_pk_mov_b32 v[30:31], v[6:7], v[6:7] op_sel:[0,1]
                                        ; implicit-def: $sgpr26_sgpr27
	s_and_saveexec_b64 s[24:25], vcc
	s_cbranch_execz .LBB19_97
; %bb.78:
	v_cmp_ne_u64_e32 vcc, v[96:97], v[90:91]
	v_add_u32_e32 v6, 9, v49
	v_cndmask_b32_e64 v118, 0, 1, vcc
	v_cmp_gt_u32_e32 vcc, s81, v6
	v_pk_mov_b32 v[6:7], 0, 0
	s_waitcnt lgkmcnt(0)
	v_mov_b32_e32 v30, v44
	v_mov_b32_e32 v31, v45
	;; [unrolled: 1-line block ×4, first 2 shown]
	v_pk_mov_b32 v[62:63], v[6:7], v[6:7] op_sel:[0,1]
	v_mov_b32_e32 v125, 0
	v_pk_mov_b32 v[70:71], v[6:7], v[6:7] op_sel:[0,1]
	v_mov_b32_e32 v124, 0
	;; [unrolled: 2-line block ×7, first 2 shown]
	v_pk_mov_b32 v[50:51], v[6:7], v[6:7] op_sel:[0,1]
                                        ; implicit-def: $sgpr30_sgpr31
	s_and_saveexec_b64 s[26:27], vcc
	s_cbranch_execz .LBB19_96
; %bb.79:
	ds_read2_b64 v[50:53], v48 offset0:9 offset1:10
	v_cmp_ne_u64_e32 vcc, v[90:91], v[92:93]
	v_add_u32_e32 v6, 10, v49
	v_cndmask_b32_e64 v119, 0, 1, vcc
	v_cmp_gt_u32_e32 vcc, s81, v6
	v_pk_mov_b32 v[6:7], 0, 0
	s_mov_b64 s[34:35], 0
	v_mov_b32_e32 v110, 0
	v_mov_b32_e32 v126, 0
	v_pk_mov_b32 v[62:63], v[6:7], v[6:7] op_sel:[0,1]
	v_mov_b32_e32 v125, 0
	v_pk_mov_b32 v[70:71], v[6:7], v[6:7] op_sel:[0,1]
	;; [unrolled: 2-line block ×7, first 2 shown]
                                        ; implicit-def: $sgpr30_sgpr31
	s_and_saveexec_b64 s[28:29], vcc
	s_cbranch_execz .LBB19_95
; %bb.80:
	v_cmp_ne_u64_e32 vcc, v[92:93], v[86:87]
	v_add_u32_e32 v6, 11, v49
	v_cndmask_b32_e64 v120, 0, 1, vcc
	v_cmp_gt_u32_e32 vcc, s81, v6
	v_pk_mov_b32 v[6:7], 0, 0
	s_waitcnt lgkmcnt(0)
	v_mov_b32_e32 v38, v52
	v_mov_b32_e32 v39, v53
	;; [unrolled: 1-line block ×4, first 2 shown]
	v_pk_mov_b32 v[62:63], v[6:7], v[6:7] op_sel:[0,1]
	v_mov_b32_e32 v125, 0
	v_pk_mov_b32 v[70:71], v[6:7], v[6:7] op_sel:[0,1]
	v_mov_b32_e32 v124, 0
	;; [unrolled: 2-line block ×5, first 2 shown]
	v_pk_mov_b32 v[58:59], v[6:7], v[6:7] op_sel:[0,1]
                                        ; implicit-def: $sgpr36_sgpr37
	s_and_saveexec_b64 s[30:31], vcc
	s_cbranch_execz .LBB19_94
; %bb.81:
	ds_read2_b64 v[58:61], v48 offset0:11 offset1:12
	v_cmp_ne_u64_e32 vcc, v[86:87], v[88:89]
	v_add_u32_e32 v6, 12, v49
	v_cndmask_b32_e64 v121, 0, 1, vcc
	v_cmp_gt_u32_e32 vcc, s81, v6
	v_pk_mov_b32 v[6:7], 0, 0
	s_mov_b64 s[38:39], 0
	v_mov_b32_e32 v110, 0
	v_mov_b32_e32 v126, 0
	v_pk_mov_b32 v[62:63], v[6:7], v[6:7] op_sel:[0,1]
	v_mov_b32_e32 v125, 0
	v_pk_mov_b32 v[70:71], v[6:7], v[6:7] op_sel:[0,1]
	;; [unrolled: 2-line block ×5, first 2 shown]
                                        ; implicit-def: $sgpr36_sgpr37
	s_and_saveexec_b64 s[34:35], vcc
	s_cbranch_execz .LBB19_93
; %bb.82:
	v_cmp_ne_u64_e32 vcc, v[88:89], v[82:83]
	v_add_u32_e32 v6, 13, v49
	v_cndmask_b32_e64 v122, 0, 1, vcc
	v_cmp_gt_u32_e32 vcc, s81, v6
	v_pk_mov_b32 v[6:7], 0, 0
	s_waitcnt lgkmcnt(0)
	v_mov_b32_e32 v46, v60
	v_mov_b32_e32 v47, v61
	;; [unrolled: 1-line block ×4, first 2 shown]
	v_pk_mov_b32 v[62:63], v[6:7], v[6:7] op_sel:[0,1]
	v_mov_b32_e32 v125, 0
	v_pk_mov_b32 v[70:71], v[6:7], v[6:7] op_sel:[0,1]
	v_mov_b32_e32 v124, 0
	;; [unrolled: 2-line block ×3, first 2 shown]
	v_pk_mov_b32 v[66:67], v[6:7], v[6:7] op_sel:[0,1]
                                        ; implicit-def: $sgpr40_sgpr41
	s_and_saveexec_b64 s[36:37], vcc
	s_cbranch_execz .LBB19_92
; %bb.83:
	ds_read2_b64 v[66:69], v48 offset0:13 offset1:14
	v_cmp_ne_u64_e32 vcc, v[82:83], v[84:85]
	v_add_u32_e32 v6, 14, v49
	v_cndmask_b32_e64 v123, 0, 1, vcc
	v_cmp_gt_u32_e32 vcc, s81, v6
	v_pk_mov_b32 v[6:7], 0, 0
	s_mov_b64 s[42:43], 0
	v_mov_b32_e32 v110, 0
	v_mov_b32_e32 v126, 0
	v_pk_mov_b32 v[62:63], v[6:7], v[6:7] op_sel:[0,1]
	v_mov_b32_e32 v125, 0
	v_pk_mov_b32 v[70:71], v[6:7], v[6:7] op_sel:[0,1]
	;; [unrolled: 2-line block ×3, first 2 shown]
                                        ; implicit-def: $sgpr40_sgpr41
	s_and_saveexec_b64 s[38:39], vcc
	s_cbranch_execz .LBB19_91
; %bb.84:
	v_cmp_ne_u64_e32 vcc, v[84:85], v[78:79]
	v_add_u32_e32 v6, 15, v49
	v_cndmask_b32_e64 v124, 0, 1, vcc
	v_cmp_gt_u32_e32 vcc, s81, v6
	v_pk_mov_b32 v[6:7], 0, 0
	s_waitcnt lgkmcnt(0)
	v_mov_b32_e32 v54, v68
	v_mov_b32_e32 v55, v69
	;; [unrolled: 1-line block ×4, first 2 shown]
	v_pk_mov_b32 v[62:63], v[6:7], v[6:7] op_sel:[0,1]
	v_mov_b32_e32 v125, 0
	v_pk_mov_b32 v[70:71], v[6:7], v[6:7] op_sel:[0,1]
                                        ; implicit-def: $sgpr44_sgpr45
	s_and_saveexec_b64 s[40:41], vcc
	s_cbranch_execz .LBB19_90
; %bb.85:
	ds_read2_b64 v[70:73], v48 offset0:15 offset1:16
	v_cmp_ne_u64_e32 vcc, v[78:79], v[80:81]
	v_add_u32_e32 v6, 16, v49
	v_cndmask_b32_e64 v125, 0, 1, vcc
	v_cmp_gt_u32_e32 vcc, s81, v6
	v_pk_mov_b32 v[6:7], 0, 0
	s_mov_b64 s[44:45], 0
	v_mov_b32_e32 v110, 0
	v_mov_b32_e32 v126, 0
	v_pk_mov_b32 v[62:63], v[6:7], v[6:7] op_sel:[0,1]
                                        ; implicit-def: $sgpr64_sgpr65
	s_and_saveexec_b64 s[42:43], vcc
	s_cbranch_execz .LBB19_89
; %bb.86:
	v_cmp_ne_u64_e32 vcc, v[80:81], v[74:75]
	v_add_u32_e32 v6, 17, v49
	s_waitcnt lgkmcnt(0)
	v_mov_b32_e32 v62, v72
	v_mov_b32_e32 v63, v73
	v_cndmask_b32_e64 v126, 0, 1, vcc
	v_cmp_gt_u32_e32 vcc, s81, v6
	v_mov_b32_e32 v110, 0
	v_pk_mov_b32 v[6:7], 0, 0
                                        ; implicit-def: $sgpr64_sgpr65
	s_and_saveexec_b64 s[4:5], vcc
	s_xor_b64 s[76:77], exec, s[4:5]
	s_cbranch_execz .LBB19_88
; %bb.87:
	ds_read2_b64 v[6:9], v48 offset0:17 offset1:18
	v_cmp_ne_u64_e32 vcc, v[76:77], v[4:5]
	v_cmp_ne_u64_e64 s[4:5], v[74:75], v[76:77]
	v_add_u32_e32 v4, 18, v49
	v_cndmask_b32_e64 v110, 0, 1, s[4:5]
	v_cmp_gt_u32_e64 s[4:5], s81, v4
	s_and_b64 s[64:65], vcc, exec
	s_and_b64 s[44:45], s[4:5], exec
	s_waitcnt lgkmcnt(0)
	v_pk_mov_b32 v[64:65], v[6:7], v[6:7] op_sel:[0,1]
.LBB19_88:
	s_or_b64 exec, exec, s[76:77]
	s_and_b64 s[64:65], s[64:65], exec
	s_and_b64 s[4:5], s[44:45], exec
.LBB19_89:
	s_or_b64 exec, exec, s[42:43]
	s_and_b64 s[44:45], s[64:65], exec
	s_and_b64 s[42:43], s[4:5], exec
	s_waitcnt lgkmcnt(0)
	v_pk_mov_b32 v[56:57], v[70:71], v[70:71] op_sel:[0,1]
	v_pk_mov_b32 v[48:49], v[66:67], v[66:67] op_sel:[0,1]
	;; [unrolled: 1-line block ×8, first 2 shown]
.LBB19_90:
	s_or_b64 exec, exec, s[40:41]
	s_and_b64 s[40:41], s[44:45], exec
	s_and_b64 s[4:5], s[42:43], exec
.LBB19_91:
	s_or_b64 exec, exec, s[38:39]
	s_and_b64 s[40:41], s[40:41], exec
	s_and_b64 s[38:39], s[4:5], exec
.LBB19_92:
	s_or_b64 exec, exec, s[36:37]
	s_and_b64 s[36:37], s[40:41], exec
	s_and_b64 s[4:5], s[38:39], exec
.LBB19_93:
	s_or_b64 exec, exec, s[34:35]
	s_and_b64 s[36:37], s[36:37], exec
	s_and_b64 s[34:35], s[4:5], exec
.LBB19_94:
	s_or_b64 exec, exec, s[30:31]
	s_and_b64 s[30:31], s[36:37], exec
	s_and_b64 s[4:5], s[34:35], exec
.LBB19_95:
	s_or_b64 exec, exec, s[28:29]
	s_and_b64 s[30:31], s[30:31], exec
	s_and_b64 s[28:29], s[4:5], exec
.LBB19_96:
	s_or_b64 exec, exec, s[26:27]
	s_and_b64 s[26:27], s[30:31], exec
	s_and_b64 s[4:5], s[28:29], exec
.LBB19_97:
	s_or_b64 exec, exec, s[24:25]
	s_and_b64 s[26:27], s[26:27], exec
	s_and_b64 s[24:25], s[4:5], exec
.LBB19_98:
	s_or_b64 exec, exec, s[22:23]
	s_and_b64 s[22:23], s[26:27], exec
	s_and_b64 s[4:5], s[24:25], exec
.LBB19_99:
	s_or_b64 exec, exec, s[20:21]
	s_and_b64 s[22:23], s[22:23], exec
	s_and_b64 s[20:21], s[4:5], exec
.LBB19_100:
	s_or_b64 exec, exec, s[18:19]
	s_and_b64 s[18:19], s[22:23], exec
	s_and_b64 s[4:5], s[20:21], exec
.LBB19_101:
	s_or_b64 exec, exec, s[16:17]
	s_and_b64 s[18:19], s[18:19], exec
	s_and_b64 s[16:17], s[4:5], exec
.LBB19_102:
	s_or_b64 exec, exec, s[14:15]
	s_and_b64 s[14:15], s[18:19], exec
	s_and_b64 s[4:5], s[16:17], exec
.LBB19_103:
	s_or_b64 exec, exec, s[12:13]
	s_and_b64 s[14:15], s[14:15], exec
	s_and_b64 s[12:13], s[4:5], exec
.LBB19_104:
	s_or_b64 exec, exec, s[10:11]
	s_and_b64 s[4:5], s[14:15], exec
	s_and_b64 s[10:11], s[12:13], exec
.LBB19_105:
	s_or_b64 exec, exec, s[8:9]
	s_mov_b64 s[8:9], 0
	s_and_b64 vcc, exec, s[6:7]
	v_lshlrev_b32_e32 v127, 3, v0
	s_cbranch_vccnz .LBB19_107
	s_branch .LBB19_115
.LBB19_106:
                                        ; implicit-def: $sgpr4_sgpr5
                                        ; implicit-def: $vgpr8_vgpr9
                                        ; implicit-def: $vgpr110
                                        ; implicit-def: $vgpr64_vgpr65
                                        ; implicit-def: $vgpr126
                                        ; implicit-def: $vgpr125
                                        ; implicit-def: $vgpr56_vgpr57
                                        ; implicit-def: $vgpr124
                                        ; implicit-def: $vgpr123
                                        ; implicit-def: $vgpr48_vgpr49
                                        ; implicit-def: $vgpr122
                                        ; implicit-def: $vgpr121
                                        ; implicit-def: $vgpr40_vgpr41
                                        ; implicit-def: $vgpr120
                                        ; implicit-def: $vgpr119
                                        ; implicit-def: $vgpr32_vgpr33
                                        ; implicit-def: $vgpr118
                                        ; implicit-def: $vgpr117
                                        ; implicit-def: $vgpr28_vgpr29
                                        ; implicit-def: $vgpr116
                                        ; implicit-def: $vgpr115
                                        ; implicit-def: $vgpr20_vgpr21
                                        ; implicit-def: $vgpr114
                                        ; implicit-def: $vgpr113
                                        ; implicit-def: $vgpr12_vgpr13
                                        ; implicit-def: $vgpr111
                                        ; implicit-def: $vgpr112
                                        ; implicit-def: $vgpr4_vgpr5
                                        ; implicit-def: $vgpr1
                                        ; implicit-def: $sgpr80
                                        ; implicit-def: $sgpr8_sgpr9
                                        ; implicit-def: $vgpr70_vgpr71
                                        ; implicit-def: $vgpr66_vgpr67
                                        ; implicit-def: $vgpr58_vgpr59
                                        ; implicit-def: $vgpr50_vgpr51
                                        ; implicit-def: $vgpr42_vgpr43
                                        ; implicit-def: $vgpr34_vgpr35
                                        ; implicit-def: $vgpr22_vgpr23
                                        ; implicit-def: $vgpr14_vgpr15
	s_and_b64 vcc, exec, s[6:7]
	v_lshlrev_b32_e32 v127, 3, v0
	s_cbranch_vccz .LBB19_115
.LBB19_107:
	v_mov_b32_e32 v1, s61
	s_waitcnt lgkmcnt(0)
	v_add_co_u32_e32 v2, vcc, s60, v127
	v_addc_co_u32_e32 v3, vcc, 0, v1, vcc
	v_add_co_u32_e32 v20, vcc, 0x1000, v2
	v_addc_co_u32_e32 v21, vcc, 0, v3, vcc
	flat_load_dwordx2 v[4:5], v[2:3]
	flat_load_dwordx2 v[6:7], v[2:3] offset:512
	flat_load_dwordx2 v[8:9], v[2:3] offset:1024
	;; [unrolled: 1-line block ×7, first 2 shown]
	v_add_co_u32_e32 v2, vcc, 0x2000, v2
	v_addc_co_u32_e32 v3, vcc, 0, v3, vcc
	flat_load_dwordx2 v[22:23], v[20:21]
	flat_load_dwordx2 v[24:25], v[20:21] offset:512
	flat_load_dwordx2 v[26:27], v[20:21] offset:1024
	flat_load_dwordx2 v[28:29], v[20:21] offset:1536
	flat_load_dwordx2 v[30:31], v[20:21] offset:2048
	flat_load_dwordx2 v[32:33], v[20:21] offset:2560
	flat_load_dwordx2 v[34:35], v[20:21] offset:3072
	flat_load_dwordx2 v[36:37], v[20:21] offset:3584
	s_nop 0
	flat_load_dwordx2 v[20:21], v[2:3]
	flat_load_dwordx2 v[38:39], v[2:3] offset:512
	flat_load_dwordx2 v[40:41], v[2:3] offset:1024
	s_movk_i32 s4, 0x90
	v_mad_u32_u24 v1, v0, s4, v127
	s_cmp_eq_u64 s[74:75], 0
	s_waitcnt vmcnt(0) lgkmcnt(0)
	ds_write2st64_b64 v127, v[4:5], v[6:7] offset1:1
	ds_write2st64_b64 v127, v[8:9], v[10:11] offset0:2 offset1:3
	ds_write2st64_b64 v127, v[12:13], v[14:15] offset0:4 offset1:5
	ds_write2st64_b64 v127, v[16:17], v[18:19] offset0:6 offset1:7
	ds_write2st64_b64 v127, v[22:23], v[24:25] offset0:8 offset1:9
	ds_write2st64_b64 v127, v[26:27], v[28:29] offset0:10 offset1:11
	ds_write2st64_b64 v127, v[30:31], v[32:33] offset0:12 offset1:13
	ds_write2st64_b64 v127, v[34:35], v[36:37] offset0:14 offset1:15
	ds_write2st64_b64 v127, v[20:21], v[38:39] offset0:16 offset1:17
	ds_write_b64 v127, v[40:41] offset:9216
	s_waitcnt lgkmcnt(0)
	; wave barrier
	s_waitcnt lgkmcnt(0)
	ds_read2_b64 v[14:17], v1 offset1:1
	ds_read2_b64 v[2:5], v1 offset0:2 offset1:3
	ds_read2_b64 v[6:9], v1 offset0:4 offset1:5
	;; [unrolled: 1-line block ×8, first 2 shown]
	ds_read_b64 v[38:39], v1 offset:144
	s_cbranch_scc1 .LBB19_112
; %bb.108:
	s_andn2_b64 vcc, exec, s[68:69]
	s_cbranch_vccnz .LBB19_264
; %bb.109:
	s_lshl_b64 s[4:5], s[74:75], 3
	s_add_u32 s4, s70, s4
	s_addc_u32 s5, s71, s5
	s_add_u32 s4, s4, -8
	s_addc_u32 s5, s5, -1
	s_cbranch_execnz .LBB19_111
.LBB19_110:
	s_add_u32 s4, s60, -8
	s_addc_u32 s5, s61, -1
.LBB19_111:
	s_mov_b64 s[60:61], s[4:5]
.LBB19_112:
	v_pk_mov_b32 v[40:41], s[60:61], s[60:61] op_sel:[0,1]
	flat_load_dwordx2 v[42:43], v[40:41]
	s_movk_i32 s4, 0xff70
	v_mad_i32_i24 v40, v0, s4, v1
	s_waitcnt lgkmcnt(0)
	ds_write_b64 v40, v[38:39] offset:9728
	s_waitcnt lgkmcnt(0)
	; wave barrier
	s_waitcnt lgkmcnt(0)
	s_and_saveexec_b64 s[4:5], s[46:47]
	s_cbranch_execz .LBB19_114
; %bb.113:
	v_mul_i32_i24_e32 v40, 0xffffff70, v0
	v_add_u32_e32 v40, v1, v40
	s_waitcnt vmcnt(0)
	ds_read_b64 v[42:43], v40 offset:9720
.LBB19_114:
	s_or_b64 exec, exec, s[4:5]
	v_mov_b32_e32 v41, s79
	v_add_co_u32_e32 v40, vcc, s78, v127
	v_addc_co_u32_e32 v41, vcc, 0, v41, vcc
	s_movk_i32 s4, 0x1000
	v_add_co_u32_e32 v60, vcc, s4, v40
	v_addc_co_u32_e32 v61, vcc, 0, v41, vcc
	s_movk_i32 s4, 0x2000
	s_waitcnt lgkmcnt(0)
	; wave barrier
	s_waitcnt lgkmcnt(0)
	flat_load_dwordx2 v[44:45], v[40:41]
	flat_load_dwordx2 v[46:47], v[40:41] offset:512
	flat_load_dwordx2 v[48:49], v[40:41] offset:1024
	flat_load_dwordx2 v[50:51], v[40:41] offset:1536
	flat_load_dwordx2 v[52:53], v[40:41] offset:2048
	flat_load_dwordx2 v[54:55], v[40:41] offset:2560
	flat_load_dwordx2 v[56:57], v[40:41] offset:3072
	flat_load_dwordx2 v[58:59], v[40:41] offset:3584
	v_add_co_u32_e32 v40, vcc, s4, v40
	v_addc_co_u32_e32 v41, vcc, 0, v41, vcc
	flat_load_dwordx2 v[62:63], v[60:61]
	flat_load_dwordx2 v[64:65], v[60:61] offset:512
	flat_load_dwordx2 v[66:67], v[60:61] offset:1024
	;; [unrolled: 1-line block ×7, first 2 shown]
	s_nop 0
	flat_load_dwordx2 v[60:61], v[40:41]
	flat_load_dwordx2 v[78:79], v[40:41] offset:512
	flat_load_dwordx2 v[80:81], v[40:41] offset:1024
	v_cmp_ne_u64_e32 vcc, v[34:35], v[36:37]
	v_cndmask_b32_e64 v110, 0, 1, vcc
	v_cmp_ne_u64_e32 vcc, v[32:33], v[34:35]
	v_cndmask_b32_e64 v126, 0, 1, vcc
	;; [unrolled: 2-line block ×14, first 2 shown]
	v_cmp_ne_u64_e32 vcc, v[2:3], v[4:5]
	v_cmp_ne_u64_e64 s[4:5], v[36:37], v[38:39]
	v_cndmask_b32_e64 v113, 0, 1, vcc
	v_cmp_ne_u64_e32 vcc, v[16:17], v[2:3]
	v_cndmask_b32_e64 v111, 0, 1, vcc
	v_cmp_ne_u64_e32 vcc, v[14:15], v[16:17]
	v_cndmask_b32_e64 v112, 0, 1, vcc
	s_waitcnt vmcnt(0)
	v_cmp_ne_u64_e32 vcc, v[42:43], v[14:15]
	s_mov_b64 s[10:11], -1
                                        ; implicit-def: $sgpr80
                                        ; implicit-def: $sgpr8_sgpr9
                                        ; implicit-def: $vgpr42_vgpr43
                                        ; implicit-def: $vgpr34_vgpr35
                                        ; implicit-def: $vgpr22_vgpr23
                                        ; implicit-def: $vgpr14_vgpr15
	s_waitcnt lgkmcnt(0)
	ds_write2st64_b64 v127, v[44:45], v[46:47] offset1:1
	ds_write2st64_b64 v127, v[48:49], v[50:51] offset0:2 offset1:3
	ds_write2st64_b64 v127, v[52:53], v[54:55] offset0:4 offset1:5
	;; [unrolled: 1-line block ×8, first 2 shown]
	ds_write_b64 v127, v[80:81] offset:9216
	s_waitcnt lgkmcnt(0)
	; wave barrier
	s_waitcnt lgkmcnt(0)
	ds_read2_b64 v[2:5], v1 offset1:1
	ds_read2_b64 v[10:13], v1 offset0:2 offset1:3
	ds_read2_b64 v[18:21], v1 offset0:4 offset1:5
	;; [unrolled: 1-line block ×8, first 2 shown]
	ds_read_b64 v[8:9], v1 offset:144
	v_cndmask_b32_e64 v1, 0, 1, vcc
                                        ; implicit-def: $vgpr70_vgpr71
                                        ; implicit-def: $vgpr66_vgpr67
                                        ; implicit-def: $vgpr58_vgpr59
                                        ; implicit-def: $vgpr50_vgpr51
.LBB19_115:
	s_waitcnt lgkmcnt(0)
	v_pk_mov_b32 v[16:17], s[8:9], s[8:9] op_sel:[0,1]
	v_mov_b32_e32 v36, s80
	s_and_saveexec_b64 s[6:7], s[10:11]
; %bb.116:
	v_cndmask_b32_e64 v36, 0, 1, s[4:5]
	v_pk_mov_b32 v[14:15], v[4:5], v[4:5] op_sel:[0,1]
	v_pk_mov_b32 v[22:23], v[12:13], v[12:13] op_sel:[0,1]
	v_pk_mov_b32 v[34:35], v[20:21], v[20:21] op_sel:[0,1]
	v_pk_mov_b32 v[42:43], v[28:29], v[28:29] op_sel:[0,1]
	v_pk_mov_b32 v[50:51], v[32:33], v[32:33] op_sel:[0,1]
	v_pk_mov_b32 v[58:59], v[40:41], v[40:41] op_sel:[0,1]
	v_pk_mov_b32 v[66:67], v[48:49], v[48:49] op_sel:[0,1]
	v_pk_mov_b32 v[70:71], v[56:57], v[56:57] op_sel:[0,1]
	v_pk_mov_b32 v[6:7], v[64:65], v[64:65] op_sel:[0,1]
	v_pk_mov_b32 v[16:17], v[8:9], v[8:9] op_sel:[0,1]
; %bb.117:
	s_or_b64 exec, exec, s[6:7]
	v_or_b32_e32 v4, v36, v110
	s_cmp_lg_u32 s55, 0
	v_or_b32_e32 v29, v4, v126
	v_mbcnt_lo_u32_b32 v28, -1, 0
	s_waitcnt lgkmcnt(0)
	; wave barrier
	s_cbranch_scc0 .LBB19_180
; %bb.118:
	v_mov_b32_e32 v4, 0
	v_cmp_eq_u16_sdwa s[42:43], v112, v4 src0_sel:BYTE_0 src1_sel:DWORD
	v_cndmask_b32_e64 v9, 0, v2, s[42:43]
	v_cndmask_b32_e64 v5, 0, v3, s[42:43]
	v_add_co_u32_e32 v9, vcc, v9, v14
	v_cmp_eq_u16_sdwa s[40:41], v111, v4 src0_sel:BYTE_0 src1_sel:DWORD
	v_addc_co_u32_e32 v5, vcc, v5, v15, vcc
	v_cndmask_b32_e64 v9, 0, v9, s[40:41]
	v_cndmask_b32_e64 v5, 0, v5, s[40:41]
	v_add_co_u32_e32 v9, vcc, v9, v10
	v_cmp_eq_u16_sdwa s[38:39], v113, v4 src0_sel:BYTE_0 src1_sel:DWORD
	v_addc_co_u32_e32 v5, vcc, v5, v11, vcc
	;; [unrolled: 5-line block ×16, first 2 shown]
	v_cndmask_b32_e64 v9, 0, v9, s[8:9]
	v_add_co_u32_e32 v9, vcc, v9, v6
	v_cmp_eq_u16_sdwa s[6:7], v36, v4 src0_sel:BYTE_0 src1_sel:DWORD
	v_cndmask_b32_e64 v4, 0, v9, s[6:7]
	v_or_b32_e32 v9, v29, v125
	v_or_b32_e32 v9, v9, v124
	;; [unrolled: 1-line block ×12, first 2 shown]
	v_cndmask_b32_e64 v5, 0, v5, s[8:9]
	v_or_b32_e32 v9, v9, v113
	v_addc_co_u32_e32 v5, vcc, v5, v7, vcc
	v_or_b32_e32 v9, v9, v111
	v_cndmask_b32_e64 v5, 0, v5, s[6:7]
	v_add_co_u32_e32 v4, vcc, v4, v16
	v_or_b32_e32 v9, v9, v112
	v_addc_co_u32_e32 v5, vcc, v5, v17, vcc
	v_and_b32_e32 v9, 1, v9
	v_and_b32_e32 v8, 0xff, v1
	v_cmp_eq_u32_e32 vcc, 1, v9
	v_mbcnt_hi_u32_b32 v9, -1, v28
	v_cndmask_b32_e64 v8, v8, 1, vcc
	v_and_b32_e32 v12, 15, v9
	v_mov_b32_dpp v20, v4 row_shr:1 row_mask:0xf bank_mask:0xf
	v_mov_b32_dpp v21, v5 row_shr:1 row_mask:0xf bank_mask:0xf
	;; [unrolled: 1-line block ×3, first 2 shown]
	v_cmp_ne_u32_e32 vcc, 0, v12
	s_and_saveexec_b64 s[4:5], vcc
; %bb.119:
	v_cmp_eq_u32_e32 vcc, 0, v8
	v_cndmask_b32_e32 v20, 0, v20, vcc
	v_cndmask_b32_e32 v21, 0, v21, vcc
	v_add_co_u32_e32 v4, vcc, v20, v4
	v_addc_co_u32_e32 v5, vcc, v21, v5, vcc
	v_and_or_b32 v8, v13, 1, v8
; %bb.120:
	s_or_b64 exec, exec, s[4:5]
	v_mov_b32_dpp v20, v4 row_shr:2 row_mask:0xf bank_mask:0xf
	v_mov_b32_dpp v21, v5 row_shr:2 row_mask:0xf bank_mask:0xf
	v_mov_b32_dpp v13, v8 row_shr:2 row_mask:0xf bank_mask:0xf
	v_cmp_lt_u32_e32 vcc, 1, v12
	s_and_saveexec_b64 s[4:5], vcc
; %bb.121:
	v_cmp_eq_u32_e32 vcc, 0, v8
	v_cndmask_b32_e32 v20, 0, v20, vcc
	v_cndmask_b32_e32 v21, 0, v21, vcc
	v_add_co_u32_e32 v4, vcc, v20, v4
	v_or_b32_e32 v8, v13, v8
	v_addc_co_u32_e32 v5, vcc, v21, v5, vcc
	v_and_b32_e32 v8, 1, v8
; %bb.122:
	s_or_b64 exec, exec, s[4:5]
	v_mov_b32_dpp v20, v4 row_shr:4 row_mask:0xf bank_mask:0xf
	v_mov_b32_dpp v21, v5 row_shr:4 row_mask:0xf bank_mask:0xf
	v_mov_b32_dpp v13, v8 row_shr:4 row_mask:0xf bank_mask:0xf
	v_cmp_lt_u32_e32 vcc, 3, v12
	s_and_saveexec_b64 s[4:5], vcc
; %bb.123:
	v_cmp_eq_u32_e32 vcc, 0, v8
	v_cndmask_b32_e32 v20, 0, v20, vcc
	v_cndmask_b32_e32 v21, 0, v21, vcc
	v_add_co_u32_e32 v4, vcc, v20, v4
	v_or_b32_e32 v8, v13, v8
	v_addc_co_u32_e32 v5, vcc, v21, v5, vcc
	v_and_b32_e32 v8, 1, v8
	;; [unrolled: 15-line block ×3, first 2 shown]
; %bb.126:
	s_or_b64 exec, exec, s[4:5]
	v_and_b32_e32 v21, 16, v9
	v_mov_b32_dpp v13, v4 row_bcast:15 row_mask:0xf bank_mask:0xf
	v_mov_b32_dpp v20, v5 row_bcast:15 row_mask:0xf bank_mask:0xf
	;; [unrolled: 1-line block ×3, first 2 shown]
	v_cmp_ne_u32_e32 vcc, 0, v21
	s_and_saveexec_b64 s[4:5], vcc
; %bb.127:
	v_cmp_eq_u32_e32 vcc, 0, v8
	v_cndmask_b32_e32 v13, 0, v13, vcc
	v_cndmask_b32_e32 v20, 0, v20, vcc
	v_add_co_u32_e32 v4, vcc, v13, v4
	v_or_b32_e32 v8, v12, v8
	v_addc_co_u32_e32 v5, vcc, v20, v5, vcc
	v_and_b32_e32 v8, 1, v8
; %bb.128:
	s_or_b64 exec, exec, s[4:5]
	v_mov_b32_dpp v20, v4 row_bcast:31 row_mask:0xf bank_mask:0xf
	v_mov_b32_dpp v21, v5 row_bcast:31 row_mask:0xf bank_mask:0xf
	;; [unrolled: 1-line block ×3, first 2 shown]
	v_cmp_lt_u32_e32 vcc, 31, v9
	v_mov_b32_e32 v12, v8
	s_and_saveexec_b64 s[4:5], vcc
; %bb.129:
	v_cmp_eq_u32_e32 vcc, 0, v8
	v_cndmask_b32_e32 v20, 0, v20, vcc
	v_cndmask_b32_e32 v12, 0, v21, vcc
	v_add_co_u32_e32 v4, vcc, v20, v4
	v_or_b32_e32 v8, v13, v8
	v_addc_co_u32_e32 v5, vcc, v12, v5, vcc
	v_and_b32_e32 v12, 1, v8
	v_and_b32_e32 v8, 1, v8
; %bb.130:
	s_or_b64 exec, exec, s[4:5]
	v_cmp_eq_u32_e32 vcc, 63, v0
	s_and_saveexec_b64 s[4:5], vcc
	s_cbranch_execz .LBB19_132
; %bb.131:
	v_mov_b32_e32 v13, 0
	ds_write_b64 v13, v[4:5]
	ds_write_b8 v13, v12 offset:8
.LBB19_132:
	s_or_b64 exec, exec, s[4:5]
	v_add_u32_e32 v12, -1, v9
	v_and_b32_e32 v13, 64, v9
	v_cmp_lt_i32_e32 vcc, v12, v13
	v_cndmask_b32_e32 v12, v12, v9, vcc
	v_lshlrev_b32_e32 v12, 2, v12
	ds_bpermute_b32 v33, v12, v4
	ds_bpermute_b32 v37, v12, v5
	;; [unrolled: 1-line block ×3, first 2 shown]
	v_cmp_gt_u32_e32 vcc, 64, v0
	s_waitcnt lgkmcnt(0)
	; wave barrier
	s_waitcnt lgkmcnt(0)
	s_and_saveexec_b64 s[60:61], vcc
	s_cbranch_execz .LBB19_179
; %bb.133:
	v_mov_b32_e32 v13, 0
	ds_read_b64 v[4:5], v13
	ds_read_u8 v40, v13 offset:8
	s_mov_b32 s65, 0
	v_cmp_eq_u32_e64 s[44:45], 0, v9
	s_and_saveexec_b64 s[4:5], s[44:45]
	s_cbranch_execz .LBB19_135
; %bb.134:
	s_add_i32 s64, s55, 64
	s_lshl_b64 s[68:69], s[64:65], 4
	s_add_u32 s68, s48, s68
	s_addc_u32 s69, s49, s69
	v_mov_b32_e32 v8, s64
	v_mov_b32_e32 v12, 1
	s_waitcnt lgkmcnt(1)
	global_store_dwordx2 v13, v[4:5], s[68:69]
	s_waitcnt lgkmcnt(0)
	global_store_byte v13, v40, s[68:69] offset:8
	s_waitcnt vmcnt(0)
	buffer_wbinvl1_vol
	global_store_byte v8, v12, s[52:53]
.LBB19_135:
	s_or_b64 exec, exec, s[4:5]
	v_xad_u32 v8, v9, -1, s55
	v_add_u32_e32 v12, 64, v8
	global_load_ubyte v41, v12, s[52:53] glc
	s_waitcnt vmcnt(0)
	v_cmp_eq_u16_e32 vcc, 0, v41
	s_and_saveexec_b64 s[4:5], vcc
	s_cbranch_execz .LBB19_141
; %bb.136:
	v_mov_b32_e32 v21, s53
	v_add_co_u32_e32 v20, vcc, s52, v12
	v_addc_co_u32_e32 v21, vcc, 0, v21, vcc
	s_mov_b32 s68, 1
	s_mov_b64 s[64:65], 0
.LBB19_137:                             ; =>This Loop Header: Depth=1
                                        ;     Child Loop BB19_138 Depth 2
	s_max_u32 s69, s68, 1
.LBB19_138:                             ;   Parent Loop BB19_137 Depth=1
                                        ; =>  This Inner Loop Header: Depth=2
	s_add_i32 s69, s69, -1
	s_cmp_eq_u32 s69, 0
	s_sleep 1
	s_cbranch_scc0 .LBB19_138
; %bb.139:                              ;   in Loop: Header=BB19_137 Depth=1
	global_load_ubyte v41, v[20:21], off glc
	s_cmp_lt_u32 s68, 32
	s_cselect_b64 s[70:71], -1, 0
	s_cmp_lg_u64 s[70:71], 0
	s_addc_u32 s68, s68, 0
	s_waitcnt vmcnt(0)
	v_cmp_ne_u16_e32 vcc, 0, v41
	s_or_b64 s[64:65], vcc, s[64:65]
	s_andn2_b64 exec, exec, s[64:65]
	s_cbranch_execnz .LBB19_137
; %bb.140:
	s_or_b64 exec, exec, s[64:65]
.LBB19_141:
	s_or_b64 exec, exec, s[4:5]
	v_mov_b32_e32 v20, s51
	v_mov_b32_e32 v21, s49
	v_cmp_eq_u16_e32 vcc, 1, v41
	v_cndmask_b32_e32 v20, v20, v21, vcc
	v_mov_b32_e32 v21, s50
	v_mov_b32_e32 v24, s48
	v_cndmask_b32_e32 v21, v21, v24, vcc
	v_lshlrev_b64 v[12:13], 4, v[12:13]
	v_add_co_u32_e32 v12, vcc, v21, v12
	v_addc_co_u32_e32 v13, vcc, v20, v13, vcc
	s_waitcnt lgkmcnt(0)
	buffer_wbinvl1_vol
	global_load_dwordx2 v[24:25], v[12:13], off
	global_load_ubyte v72, v[12:13], off offset:8
	v_cmp_eq_u16_e32 vcc, 2, v41
	v_lshlrev_b64 v[12:13], v9, -1
	v_and_b32_e32 v44, 63, v9
	v_and_b32_e32 v20, vcc_hi, v13
	v_and_b32_e32 v53, vcc_lo, v12
	v_cmp_ne_u32_e32 vcc, 63, v44
	v_addc_co_u32_e32 v21, vcc, 0, v9, vcc
	v_lshlrev_b32_e32 v45, 2, v21
	v_or_b32_e32 v20, 0x80000000, v20
	v_ffbl_b32_e32 v20, v20
	v_add_u32_e32 v20, 32, v20
	v_ffbl_b32_e32 v53, v53
	v_min_u32_e32 v20, v53, v20
	v_cmp_lt_u32_e32 vcc, v44, v20
	s_waitcnt vmcnt(1)
	ds_bpermute_b32 v49, v45, v24
	s_waitcnt vmcnt(0)
	v_and_b32_e32 v21, 1, v72
	ds_bpermute_b32 v52, v45, v25
	ds_bpermute_b32 v48, v45, v21
	s_and_saveexec_b64 s[4:5], vcc
	s_cbranch_execz .LBB19_143
; %bb.142:
	v_mov_b32_e32 v21, 0
	v_cmp_eq_u16_sdwa vcc, v72, v21 src0_sel:BYTE_0 src1_sel:DWORD
	s_waitcnt lgkmcnt(2)
	v_cndmask_b32_e32 v49, 0, v49, vcc
	s_waitcnt lgkmcnt(1)
	v_cndmask_b32_e32 v21, 0, v52, vcc
	v_add_co_u32_e32 v24, vcc, v49, v24
	v_addc_co_u32_e32 v25, vcc, v21, v25, vcc
	s_waitcnt lgkmcnt(0)
	v_and_b32_e32 v21, 1, v48
	v_or_b32_e32 v72, v21, v72
	v_and_b32_e32 v21, 0xff, v72
.LBB19_143:
	s_or_b64 exec, exec, s[4:5]
	v_cmp_gt_u32_e32 vcc, 62, v44
	s_waitcnt lgkmcnt(0)
	v_cndmask_b32_e64 v48, 0, 1, vcc
	v_lshlrev_b32_e32 v48, 1, v48
	v_add_lshl_u32 v48, v48, v9, 2
	ds_bpermute_b32 v53, v48, v24
	ds_bpermute_b32 v56, v48, v25
	ds_bpermute_b32 v52, v48, v21
	v_add_u32_e32 v49, 2, v44
	v_cmp_le_u32_e32 vcc, v49, v20
	s_and_saveexec_b64 s[64:65], vcc
	s_cbranch_execz .LBB19_145
; %bb.144:
	v_mov_b32_e32 v21, 0
	v_cmp_eq_u16_sdwa vcc, v72, v21 src0_sel:BYTE_0 src1_sel:DWORD
	s_waitcnt lgkmcnt(2)
	v_cndmask_b32_e32 v53, 0, v53, vcc
	s_waitcnt lgkmcnt(1)
	v_cndmask_b32_e32 v21, 0, v56, vcc
	v_add_co_u32_e32 v24, vcc, v53, v24
	v_addc_co_u32_e32 v25, vcc, v21, v25, vcc
	v_and_b32_e32 v21, 1, v72
	v_cmp_eq_u32_e32 vcc, 1, v21
	s_waitcnt lgkmcnt(0)
	v_and_b32_e32 v21, 1, v52
	v_cmp_eq_u32_e64 s[4:5], 1, v21
	s_or_b64 s[4:5], vcc, s[4:5]
	v_cndmask_b32_e64 v72, 0, 1, s[4:5]
	v_cndmask_b32_e64 v21, 0, 1, s[4:5]
.LBB19_145:
	s_or_b64 exec, exec, s[64:65]
	v_cmp_gt_u32_e32 vcc, 60, v44
	s_waitcnt lgkmcnt(0)
	v_cndmask_b32_e64 v52, 0, 1, vcc
	v_lshlrev_b32_e32 v52, 2, v52
	v_add_lshl_u32 v52, v52, v9, 2
	ds_bpermute_b32 v57, v52, v24
	ds_bpermute_b32 v60, v52, v25
	ds_bpermute_b32 v56, v52, v21
	v_add_u32_e32 v53, 4, v44
	v_cmp_le_u32_e32 vcc, v53, v20
	s_and_saveexec_b64 s[64:65], vcc
	s_cbranch_execz .LBB19_147
; %bb.146:
	v_mov_b32_e32 v21, 0
	v_cmp_eq_u16_sdwa vcc, v72, v21 src0_sel:BYTE_0 src1_sel:DWORD
	s_waitcnt lgkmcnt(2)
	v_cndmask_b32_e32 v57, 0, v57, vcc
	s_waitcnt lgkmcnt(1)
	v_cndmask_b32_e32 v21, 0, v60, vcc
	v_add_co_u32_e32 v24, vcc, v57, v24
	v_addc_co_u32_e32 v25, vcc, v21, v25, vcc
	v_and_b32_e32 v21, 1, v72
	v_cmp_eq_u32_e32 vcc, 1, v21
	s_waitcnt lgkmcnt(0)
	v_and_b32_e32 v21, 1, v56
	v_cmp_eq_u32_e64 s[4:5], 1, v21
	s_or_b64 s[4:5], vcc, s[4:5]
	v_cndmask_b32_e64 v72, 0, 1, s[4:5]
	v_cndmask_b32_e64 v21, 0, 1, s[4:5]
.LBB19_147:
	;; [unrolled: 31-line block ×4, first 2 shown]
	s_or_b64 exec, exec, s[64:65]
	v_cmp_gt_u32_e32 vcc, 32, v44
	s_waitcnt lgkmcnt(0)
	v_cndmask_b32_e64 v64, 0, 1, vcc
	v_lshlrev_b32_e32 v64, 5, v64
	v_add_lshl_u32 v65, v64, v9, 2
	ds_bpermute_b32 v64, v65, v24
	ds_bpermute_b32 v69, v65, v25
	;; [unrolled: 1-line block ×3, first 2 shown]
	v_add_u32_e32 v68, 32, v44
	v_cmp_le_u32_e32 vcc, v68, v20
	s_and_saveexec_b64 s[64:65], vcc
	s_cbranch_execz .LBB19_153
; %bb.152:
	v_mov_b32_e32 v20, 0
	v_cmp_eq_u16_sdwa vcc, v72, v20 src0_sel:BYTE_0 src1_sel:DWORD
	s_waitcnt lgkmcnt(2)
	v_cndmask_b32_e32 v21, 0, v64, vcc
	s_waitcnt lgkmcnt(1)
	v_cndmask_b32_e32 v20, 0, v69, vcc
	v_add_co_u32_e32 v24, vcc, v21, v24
	v_addc_co_u32_e32 v25, vcc, v20, v25, vcc
	v_and_b32_e32 v20, 1, v72
	s_waitcnt lgkmcnt(0)
	v_and_b32_e32 v9, 1, v9
	v_cmp_eq_u32_e32 vcc, 1, v20
	v_cmp_eq_u32_e64 s[4:5], 1, v9
	s_or_b64 s[4:5], vcc, s[4:5]
	v_cndmask_b32_e64 v72, 0, 1, s[4:5]
.LBB19_153:
	s_or_b64 exec, exec, s[64:65]
	s_waitcnt lgkmcnt(0)
	v_mov_b32_e32 v9, 0
	v_mov_b32_e32 v69, 2
	s_branch .LBB19_155
.LBB19_154:                             ;   in Loop: Header=BB19_155 Depth=1
	s_or_b64 exec, exec, s[68:69]
	v_cmp_eq_u16_sdwa vcc, v64, v9 src0_sel:BYTE_0 src1_sel:DWORD
	v_cndmask_b32_e32 v24, 0, v24, vcc
	v_cndmask_b32_e32 v25, 0, v25, vcc
	v_add_co_u32_e32 v24, vcc, v24, v20
	v_addc_co_u32_e32 v25, vcc, v25, v21, vcc
	v_and_b32_e32 v72, 1, v64
	v_cmp_eq_u32_e32 vcc, 1, v72
	s_or_b64 s[4:5], vcc, s[64:65]
	v_subrev_u32_e32 v8, 64, v8
	v_cndmask_b32_e64 v72, 0, 1, s[4:5]
.LBB19_155:                             ; =>This Loop Header: Depth=1
                                        ;     Child Loop BB19_158 Depth 2
                                        ;       Child Loop BB19_159 Depth 3
	v_cmp_ne_u16_sdwa s[4:5], v41, v69 src0_sel:BYTE_0 src1_sel:DWORD
	v_cndmask_b32_e64 v20, 0, 1, s[4:5]
	;;#ASMSTART
	;;#ASMEND
	v_cmp_ne_u32_e32 vcc, 0, v20
	v_mov_b32_e32 v64, v72
	s_cmp_lg_u64 vcc, exec
	v_pk_mov_b32 v[20:21], v[24:25], v[24:25] op_sel:[0,1]
	s_cbranch_scc1 .LBB19_174
; %bb.156:                              ;   in Loop: Header=BB19_155 Depth=1
	global_load_ubyte v41, v8, s[52:53] glc
	s_waitcnt vmcnt(0)
	v_cmp_eq_u16_e32 vcc, 0, v41
	s_and_saveexec_b64 s[4:5], vcc
	s_cbranch_execz .LBB19_162
; %bb.157:                              ;   in Loop: Header=BB19_155 Depth=1
	v_mov_b32_e32 v25, s53
	v_add_co_u32_e32 v24, vcc, s52, v8
	v_addc_co_u32_e32 v25, vcc, 0, v25, vcc
	s_mov_b32 s68, 1
	s_mov_b64 s[64:65], 0
.LBB19_158:                             ;   Parent Loop BB19_155 Depth=1
                                        ; =>  This Loop Header: Depth=2
                                        ;       Child Loop BB19_159 Depth 3
	s_max_u32 s69, s68, 1
.LBB19_159:                             ;   Parent Loop BB19_155 Depth=1
                                        ;     Parent Loop BB19_158 Depth=2
                                        ; =>    This Inner Loop Header: Depth=3
	s_add_i32 s69, s69, -1
	s_cmp_eq_u32 s69, 0
	s_sleep 1
	s_cbranch_scc0 .LBB19_159
; %bb.160:                              ;   in Loop: Header=BB19_158 Depth=2
	global_load_ubyte v41, v[24:25], off glc
	s_cmp_lt_u32 s68, 32
	s_cselect_b64 s[70:71], -1, 0
	s_cmp_lg_u64 s[70:71], 0
	s_addc_u32 s68, s68, 0
	s_waitcnt vmcnt(0)
	v_cmp_ne_u16_e32 vcc, 0, v41
	s_or_b64 s[64:65], vcc, s[64:65]
	s_andn2_b64 exec, exec, s[64:65]
	s_cbranch_execnz .LBB19_158
; %bb.161:                              ;   in Loop: Header=BB19_155 Depth=1
	s_or_b64 exec, exec, s[64:65]
.LBB19_162:                             ;   in Loop: Header=BB19_155 Depth=1
	s_or_b64 exec, exec, s[4:5]
	v_mov_b32_e32 v24, s51
	v_mov_b32_e32 v25, s49
	v_cmp_eq_u16_e32 vcc, 1, v41
	v_cndmask_b32_e32 v73, v24, v25, vcc
	v_mov_b32_e32 v24, s50
	v_mov_b32_e32 v25, s48
	v_cndmask_b32_e32 v72, v24, v25, vcc
	v_lshlrev_b64 v[24:25], 4, v[8:9]
	v_add_co_u32_e32 v72, vcc, v72, v24
	v_addc_co_u32_e32 v73, vcc, v73, v25, vcc
	buffer_wbinvl1_vol
	global_load_dwordx2 v[24:25], v[72:73], off
	s_nop 0
	global_load_ubyte v72, v[72:73], off offset:8
	v_cmp_eq_u16_e32 vcc, 2, v41
	v_and_b32_e32 v73, vcc_hi, v13
	v_or_b32_e32 v73, 0x80000000, v73
	v_and_b32_e32 v78, vcc_lo, v12
	v_ffbl_b32_e32 v73, v73
	v_add_u32_e32 v73, 32, v73
	v_ffbl_b32_e32 v78, v78
	v_min_u32_e32 v73, v78, v73
	v_cmp_lt_u32_e32 vcc, v44, v73
	s_waitcnt vmcnt(1) lgkmcnt(1)
	ds_bpermute_b32 v76, v45, v24
	s_waitcnt vmcnt(0) lgkmcnt(1)
	v_and_b32_e32 v74, 1, v72
	ds_bpermute_b32 v77, v45, v25
	ds_bpermute_b32 v75, v45, v74
	s_and_saveexec_b64 s[4:5], vcc
	s_cbranch_execz .LBB19_164
; %bb.163:                              ;   in Loop: Header=BB19_155 Depth=1
	v_cmp_eq_u16_sdwa vcc, v72, v9 src0_sel:BYTE_0 src1_sel:DWORD
	s_waitcnt lgkmcnt(2)
	v_cndmask_b32_e32 v76, 0, v76, vcc
	s_waitcnt lgkmcnt(1)
	v_cndmask_b32_e32 v74, 0, v77, vcc
	v_add_co_u32_e32 v24, vcc, v76, v24
	v_addc_co_u32_e32 v25, vcc, v74, v25, vcc
	s_waitcnt lgkmcnt(0)
	v_and_b32_e32 v74, 1, v75
	v_or_b32_e32 v72, v74, v72
	v_and_b32_e32 v74, 0xff, v72
.LBB19_164:                             ;   in Loop: Header=BB19_155 Depth=1
	s_or_b64 exec, exec, s[4:5]
	s_waitcnt lgkmcnt(2)
	ds_bpermute_b32 v76, v48, v24
	s_waitcnt lgkmcnt(2)
	ds_bpermute_b32 v77, v48, v25
	;; [unrolled: 2-line block ×3, first 2 shown]
	v_and_b32_e32 v78, 1, v72
	v_cmp_le_u32_e32 vcc, v49, v73
	v_cmp_eq_u32_e64 s[64:65], 1, v78
	s_and_saveexec_b64 s[4:5], vcc
	s_cbranch_execz .LBB19_166
; %bb.165:                              ;   in Loop: Header=BB19_155 Depth=1
	v_cmp_eq_u16_sdwa vcc, v72, v9 src0_sel:BYTE_0 src1_sel:DWORD
	s_waitcnt lgkmcnt(2)
	v_cndmask_b32_e32 v74, 0, v76, vcc
	s_waitcnt lgkmcnt(1)
	v_cndmask_b32_e32 v72, 0, v77, vcc
	v_add_co_u32_e32 v24, vcc, v74, v24
	v_addc_co_u32_e32 v25, vcc, v72, v25, vcc
	s_waitcnt lgkmcnt(0)
	v_and_b32_e32 v72, 1, v75
	v_cmp_eq_u32_e32 vcc, 1, v72
	s_or_b64 s[68:69], s[64:65], vcc
	v_cndmask_b32_e64 v72, 0, 1, s[68:69]
	v_cndmask_b32_e64 v74, 0, 1, s[68:69]
	s_andn2_b64 s[64:65], s[64:65], exec
	s_and_b64 s[68:69], s[68:69], exec
	s_or_b64 s[64:65], s[64:65], s[68:69]
.LBB19_166:                             ;   in Loop: Header=BB19_155 Depth=1
	s_or_b64 exec, exec, s[4:5]
	s_waitcnt lgkmcnt(2)
	ds_bpermute_b32 v76, v52, v24
	s_waitcnt lgkmcnt(2)
	ds_bpermute_b32 v77, v52, v25
	s_waitcnt lgkmcnt(2)
	ds_bpermute_b32 v75, v52, v74
	v_cmp_le_u32_e32 vcc, v53, v73
	s_and_saveexec_b64 s[68:69], vcc
	s_cbranch_execz .LBB19_168
; %bb.167:                              ;   in Loop: Header=BB19_155 Depth=1
	v_cmp_eq_u16_sdwa vcc, v72, v9 src0_sel:BYTE_0 src1_sel:DWORD
	s_waitcnt lgkmcnt(2)
	v_cndmask_b32_e32 v76, 0, v76, vcc
	s_waitcnt lgkmcnt(1)
	v_cndmask_b32_e32 v74, 0, v77, vcc
	v_add_co_u32_e32 v24, vcc, v76, v24
	v_addc_co_u32_e32 v25, vcc, v74, v25, vcc
	v_and_b32_e32 v72, 1, v72
	v_cmp_eq_u32_e32 vcc, 1, v72
	s_waitcnt lgkmcnt(0)
	v_and_b32_e32 v72, 1, v75
	v_cmp_eq_u32_e64 s[4:5], 1, v72
	s_or_b64 s[4:5], vcc, s[4:5]
	v_cndmask_b32_e64 v72, 0, 1, s[4:5]
	v_cndmask_b32_e64 v74, 0, 1, s[4:5]
	s_andn2_b64 s[64:65], s[64:65], exec
	s_and_b64 s[4:5], s[4:5], exec
	s_or_b64 s[64:65], s[64:65], s[4:5]
.LBB19_168:                             ;   in Loop: Header=BB19_155 Depth=1
	s_or_b64 exec, exec, s[68:69]
	s_waitcnt lgkmcnt(2)
	ds_bpermute_b32 v76, v56, v24
	s_waitcnt lgkmcnt(2)
	ds_bpermute_b32 v77, v56, v25
	s_waitcnt lgkmcnt(2)
	ds_bpermute_b32 v75, v56, v74
	v_cmp_le_u32_e32 vcc, v57, v73
	s_and_saveexec_b64 s[68:69], vcc
	s_cbranch_execz .LBB19_170
; %bb.169:                              ;   in Loop: Header=BB19_155 Depth=1
	v_cmp_eq_u16_sdwa vcc, v72, v9 src0_sel:BYTE_0 src1_sel:DWORD
	s_waitcnt lgkmcnt(2)
	v_cndmask_b32_e32 v76, 0, v76, vcc
	s_waitcnt lgkmcnt(1)
	v_cndmask_b32_e32 v74, 0, v77, vcc
	v_add_co_u32_e32 v24, vcc, v76, v24
	v_addc_co_u32_e32 v25, vcc, v74, v25, vcc
	v_and_b32_e32 v72, 1, v72
	v_cmp_eq_u32_e32 vcc, 1, v72
	s_waitcnt lgkmcnt(0)
	v_and_b32_e32 v72, 1, v75
	v_cmp_eq_u32_e64 s[4:5], 1, v72
	s_or_b64 s[4:5], vcc, s[4:5]
	v_cndmask_b32_e64 v72, 0, 1, s[4:5]
	v_cndmask_b32_e64 v74, 0, 1, s[4:5]
	s_andn2_b64 s[64:65], s[64:65], exec
	s_and_b64 s[4:5], s[4:5], exec
	s_or_b64 s[64:65], s[64:65], s[4:5]
.LBB19_170:                             ;   in Loop: Header=BB19_155 Depth=1
	;; [unrolled: 30-line block ×3, first 2 shown]
	s_or_b64 exec, exec, s[68:69]
	s_waitcnt lgkmcnt(0)
	ds_bpermute_b32 v75, v65, v24
	ds_bpermute_b32 v76, v65, v25
	;; [unrolled: 1-line block ×3, first 2 shown]
	v_cmp_le_u32_e32 vcc, v68, v73
	s_and_saveexec_b64 s[68:69], vcc
	s_cbranch_execz .LBB19_154
; %bb.173:                              ;   in Loop: Header=BB19_155 Depth=1
	v_cmp_eq_u16_sdwa vcc, v72, v9 src0_sel:BYTE_0 src1_sel:DWORD
	s_waitcnt lgkmcnt(2)
	v_cndmask_b32_e32 v75, 0, v75, vcc
	s_waitcnt lgkmcnt(1)
	v_cndmask_b32_e32 v73, 0, v76, vcc
	v_add_co_u32_e32 v24, vcc, v75, v24
	v_addc_co_u32_e32 v25, vcc, v73, v25, vcc
	v_and_b32_e32 v72, 1, v72
	v_cmp_eq_u32_e32 vcc, 1, v72
	s_waitcnt lgkmcnt(0)
	v_and_b32_e32 v72, 1, v74
	v_cmp_eq_u32_e64 s[4:5], 1, v72
	s_or_b64 s[4:5], vcc, s[4:5]
	s_andn2_b64 s[64:65], s[64:65], exec
	s_and_b64 s[4:5], s[4:5], exec
	s_or_b64 s[64:65], s[64:65], s[4:5]
	s_branch .LBB19_154
.LBB19_174:                             ;   in Loop: Header=BB19_155 Depth=1
                                        ; implicit-def: $vgpr72
                                        ; implicit-def: $vgpr24_vgpr25
                                        ; implicit-def: $vgpr41
	s_cbranch_execz .LBB19_155
; %bb.175:
	s_and_saveexec_b64 s[4:5], s[44:45]
	s_cbranch_execz .LBB19_177
; %bb.176:
	v_mov_b32_e32 v8, 0
	s_mov_b32 s45, 0
	v_cmp_eq_u16_sdwa vcc, v40, v8 src0_sel:BYTE_0 src1_sel:DWORD
	s_add_i32 s44, s55, 64
	v_cndmask_b32_e32 v12, 0, v20, vcc
	s_lshl_b64 s[48:49], s[44:45], 4
	v_cndmask_b32_e32 v9, 0, v21, vcc
	v_add_co_u32_e32 v4, vcc, v12, v4
	s_add_u32 s48, s50, s48
	v_addc_co_u32_e32 v5, vcc, v9, v5, vcc
	v_or_b32_e32 v9, v40, v64
	s_addc_u32 s49, s51, s49
	v_and_b32_e32 v9, 1, v9
	global_store_dwordx2 v8, v[4:5], s[48:49]
	global_store_byte v8, v9, s[48:49] offset:8
	v_mov_b32_e32 v4, s44
	v_mov_b32_e32 v5, 2
	s_waitcnt vmcnt(0) lgkmcnt(0)
	buffer_wbinvl1_vol
	global_store_byte v4, v5, s[52:53]
.LBB19_177:
	s_or_b64 exec, exec, s[4:5]
	s_and_b64 exec, exec, s[0:1]
	s_cbranch_execz .LBB19_179
; %bb.178:
	v_mov_b32_e32 v4, 0
	ds_write_b64 v4, v[20:21]
	ds_write_b8 v4, v64 offset:8
.LBB19_179:
	s_or_b64 exec, exec, s[60:61]
	v_mov_b32_e32 v8, 0
	v_cmp_eq_u16_sdwa vcc, v1, v8 src0_sel:BYTE_0 src1_sel:DWORD
	v_and_b32_e32 v13, 1, v1
	v_cndmask_b32_e32 v9, 0, v33, vcc
	v_cndmask_b32_e32 v12, 0, v37, vcc
	v_cmp_eq_u32_e32 vcc, 1, v13
	v_and_b32_e32 v13, 1, v32
	s_waitcnt lgkmcnt(0)
	; wave barrier
	s_waitcnt lgkmcnt(0)
	ds_read_b64 v[4:5], v8
	v_cmp_eq_u32_e64 s[4:5], 1, v13
	s_or_b64 s[4:5], vcc, s[4:5]
	v_cndmask_b32_e64 v9, v9, 0, s[0:1]
	v_cndmask_b32_e64 v13, 0, 1, s[4:5]
	;; [unrolled: 1-line block ×3, first 2 shown]
	v_add_co_u32_e32 v9, vcc, v9, v2
	v_cndmask_b32_e64 v13, v13, v1, s[0:1]
	v_addc_co_u32_e32 v12, vcc, v12, v3, vcc
	v_cmp_eq_u16_sdwa vcc, v13, v8 src0_sel:BYTE_0 src1_sel:DWORD
	s_waitcnt lgkmcnt(0)
	v_cndmask_b32_e32 v4, 0, v4, vcc
	v_cndmask_b32_e32 v5, 0, v5, vcc
	v_add_co_u32_e32 v102, vcc, v9, v4
	v_addc_co_u32_e32 v103, vcc, v12, v5, vcc
	v_cndmask_b32_e64 v5, 0, v102, s[42:43]
	v_cndmask_b32_e64 v4, 0, v103, s[42:43]
	v_add_co_u32_e32 v40, vcc, v5, v14
	v_addc_co_u32_e32 v41, vcc, v4, v15, vcc
	v_cndmask_b32_e64 v5, 0, v40, s[40:41]
	v_cndmask_b32_e64 v4, 0, v41, s[40:41]
	;; [unrolled: 4-line block ×18, first 2 shown]
	v_add_co_u32_e32 v108, vcc, v5, v16
	v_addc_co_u32_e32 v109, vcc, v4, v17, vcc
	s_branch .LBB19_202
.LBB19_180:
                                        ; implicit-def: $vgpr100_vgpr101_vgpr102_vgpr103
                                        ; implicit-def: $vgpr108_vgpr109
                                        ; implicit-def: $vgpr106_vgpr107
                                        ; implicit-def: $vgpr68_vgpr69
                                        ; implicit-def: $vgpr64_vgpr65
                                        ; implicit-def: $vgpr60_vgpr61
                                        ; implicit-def: $vgpr56_vgpr57
                                        ; implicit-def: $vgpr52_vgpr53
                                        ; implicit-def: $vgpr48_vgpr49
                                        ; implicit-def: $vgpr44_vgpr45
                                        ; implicit-def: $vgpr40_vgpr41
                                        ; implicit-def: $vgpr96_vgpr97_vgpr98_vgpr99
                                        ; implicit-def: $vgpr92_vgpr93_vgpr94_vgpr95
                                        ; implicit-def: $vgpr88_vgpr89_vgpr90_vgpr91
                                        ; implicit-def: $vgpr84_vgpr85_vgpr86_vgpr87
                                        ; implicit-def: $vgpr80_vgpr81_vgpr82_vgpr83
                                        ; implicit-def: $vgpr76_vgpr77_vgpr78_vgpr79
                                        ; implicit-def: $vgpr72_vgpr73_vgpr74_vgpr75
                                        ; implicit-def: $vgpr102_vgpr103_vgpr104_vgpr105
	s_cbranch_execz .LBB19_202
; %bb.181:
	s_cmp_lg_u64 s[72:73], 0
	s_cselect_b32 s7, s67, 0
	s_cselect_b32 s6, s66, 0
	s_cmp_lg_u64 s[6:7], 0
	s_cselect_b64 s[4:5], -1, 0
	s_and_b64 s[8:9], s[0:1], s[4:5]
	s_and_saveexec_b64 s[4:5], s[8:9]
	s_cbranch_execz .LBB19_183
; %bb.182:
	v_mov_b32_e32 v8, 0
	global_load_dwordx2 v[4:5], v8, s[6:7]
	global_load_ubyte v9, v8, s[6:7] offset:8
	v_cmp_eq_u16_sdwa vcc, v1, v8 src0_sel:BYTE_0 src1_sel:DWORD
	s_waitcnt vmcnt(1)
	v_cndmask_b32_e32 v4, 0, v4, vcc
	v_cndmask_b32_e32 v5, 0, v5, vcc
	s_waitcnt vmcnt(0)
	v_or_b32_e32 v1, v1, v9
	v_add_co_u32_e32 v2, vcc, v4, v2
	v_addc_co_u32_e32 v3, vcc, v5, v3, vcc
	v_and_b32_e32 v1, 1, v1
.LBB19_183:
	s_or_b64 exec, exec, s[4:5]
	v_mov_b32_e32 v5, 0
	v_cmp_eq_u16_sdwa vcc, v112, v5 src0_sel:BYTE_0 src1_sel:DWORD
	v_cndmask_b32_e32 v9, 0, v2, vcc
	v_cndmask_b32_e32 v8, 0, v3, vcc
	v_add_co_u32_e64 v40, s[4:5], v9, v14
	v_cmp_eq_u16_sdwa s[6:7], v111, v5 src0_sel:BYTE_0 src1_sel:DWORD
	v_addc_co_u32_e64 v41, s[4:5], v8, v15, s[4:5]
	v_cndmask_b32_e64 v9, 0, v40, s[6:7]
	v_cndmask_b32_e64 v8, 0, v41, s[6:7]
	v_add_co_u32_e64 v72, s[4:5], v9, v10
	v_cmp_eq_u16_sdwa s[8:9], v113, v5 src0_sel:BYTE_0 src1_sel:DWORD
	v_addc_co_u32_e64 v73, s[4:5], v8, v11, s[4:5]
	v_cndmask_b32_e64 v9, 0, v72, s[8:9]
	v_cndmask_b32_e64 v8, 0, v73, s[8:9]
	;; [unrolled: 5-line block ×17, first 2 shown]
	v_add_co_u32_e64 v108, s[4:5], v8, v16
	v_addc_co_u32_e64 v109, s[4:5], v5, v17, s[4:5]
	v_or_b32_e32 v5, v29, v125
	v_or_b32_e32 v5, v5, v124
	;; [unrolled: 1-line block ×15, first 2 shown]
	v_and_b32_e32 v5, 1, v5
	v_and_b32_e32 v4, 0xff, v1
	v_cmp_eq_u32_e64 s[4:5], 1, v5
	v_mbcnt_hi_u32_b32 v12, -1, v28
	v_cndmask_b32_e64 v13, v4, 1, s[4:5]
	v_and_b32_e32 v20, 15, v12
	v_mov_b32_dpp v24, v108 row_shr:1 row_mask:0xf bank_mask:0xf
	v_mov_b32_dpp v25, v109 row_shr:1 row_mask:0xf bank_mask:0xf
	;; [unrolled: 1-line block ×3, first 2 shown]
	v_cmp_ne_u32_e64 s[4:5], 0, v20
	v_pk_mov_b32 v[4:5], v[108:109], v[108:109] op_sel:[0,1]
	v_mov_b32_e32 v9, v109
	v_mov_b32_e32 v8, v108
	s_and_saveexec_b64 s[42:43], s[4:5]
; %bb.184:
	v_cmp_eq_u32_e64 s[4:5], 0, v13
	v_cndmask_b32_e64 v4, 0, v24, s[4:5]
	v_cndmask_b32_e64 v5, 0, v25, s[4:5]
	v_add_co_u32_e64 v4, s[4:5], v108, v4
	v_addc_co_u32_e64 v5, s[4:5], v109, v5, s[4:5]
	v_and_or_b32 v13, v21, 1, v13
	v_mov_b32_e32 v9, v5
	v_mov_b32_e32 v8, v4
; %bb.185:
	s_or_b64 exec, exec, s[42:43]
	s_nop 0
	v_mov_b32_dpp v24, v8 row_shr:2 row_mask:0xf bank_mask:0xf
	v_mov_b32_dpp v25, v9 row_shr:2 row_mask:0xf bank_mask:0xf
	v_mov_b32_dpp v21, v13 row_shr:2 row_mask:0xf bank_mask:0xf
	v_cmp_lt_u32_e64 s[4:5], 1, v20
	s_and_saveexec_b64 s[42:43], s[4:5]
; %bb.186:
	v_cmp_eq_u32_e64 s[4:5], 0, v13
	v_cndmask_b32_e64 v8, 0, v24, s[4:5]
	v_cndmask_b32_e64 v9, 0, v25, s[4:5]
	v_add_co_u32_e64 v8, s[4:5], v8, v4
	v_addc_co_u32_e64 v9, s[4:5], v9, v5, s[4:5]
	v_or_b32_e32 v4, v21, v13
	v_and_b32_e32 v13, 1, v4
	v_pk_mov_b32 v[4:5], v[8:9], v[8:9] op_sel:[0,1]
; %bb.187:
	s_or_b64 exec, exec, s[42:43]
	v_mov_b32_dpp v24, v8 row_shr:4 row_mask:0xf bank_mask:0xf
	v_mov_b32_dpp v25, v9 row_shr:4 row_mask:0xf bank_mask:0xf
	v_mov_b32_dpp v21, v13 row_shr:4 row_mask:0xf bank_mask:0xf
	v_cmp_lt_u32_e64 s[4:5], 3, v20
	s_and_saveexec_b64 s[42:43], s[4:5]
; %bb.188:
	v_cmp_eq_u32_e64 s[4:5], 0, v13
	v_cndmask_b32_e64 v8, 0, v24, s[4:5]
	v_cndmask_b32_e64 v9, 0, v25, s[4:5]
	v_add_co_u32_e64 v8, s[4:5], v8, v4
	v_addc_co_u32_e64 v9, s[4:5], v9, v5, s[4:5]
	v_or_b32_e32 v4, v21, v13
	v_and_b32_e32 v13, 1, v4
	v_pk_mov_b32 v[4:5], v[8:9], v[8:9] op_sel:[0,1]
; %bb.189:
	s_or_b64 exec, exec, s[42:43]
	;; [unrolled: 16-line block ×3, first 2 shown]
	v_and_b32_e32 v25, 16, v12
	v_mov_b32_dpp v21, v8 row_bcast:15 row_mask:0xf bank_mask:0xf
	v_mov_b32_dpp v24, v9 row_bcast:15 row_mask:0xf bank_mask:0xf
	;; [unrolled: 1-line block ×3, first 2 shown]
	v_cmp_ne_u32_e64 s[4:5], 0, v25
	s_and_saveexec_b64 s[42:43], s[4:5]
; %bb.192:
	v_cmp_eq_u32_e64 s[4:5], 0, v13
	v_cndmask_b32_e64 v9, 0, v21, s[4:5]
	v_cndmask_b32_e64 v8, 0, v24, s[4:5]
	v_add_co_u32_e64 v4, s[4:5], v9, v4
	v_addc_co_u32_e64 v5, s[4:5], v8, v5, s[4:5]
	v_or_b32_e32 v8, v20, v13
	v_and_b32_e32 v13, 1, v8
	v_mov_b32_e32 v9, v5
	v_mov_b32_e32 v8, v4
; %bb.193:
	s_or_b64 exec, exec, s[42:43]
	s_nop 0
	v_mov_b32_dpp v20, v8 row_bcast:31 row_mask:0xf bank_mask:0xf
	v_mov_b32_dpp v9, v9 row_bcast:31 row_mask:0xf bank_mask:0xf
	;; [unrolled: 1-line block ×3, first 2 shown]
	v_cmp_lt_u32_e64 s[4:5], 31, v12
	s_and_saveexec_b64 s[42:43], s[4:5]
; %bb.194:
	v_cmp_eq_u32_e64 s[4:5], 0, v13
	v_cndmask_b32_e64 v20, 0, v20, s[4:5]
	v_cndmask_b32_e64 v9, 0, v9, s[4:5]
	v_add_co_u32_e64 v4, s[4:5], v20, v4
	v_or_b32_e32 v8, v8, v13
	v_addc_co_u32_e64 v5, s[4:5], v9, v5, s[4:5]
	v_and_b32_e32 v13, 1, v8
; %bb.195:
	s_or_b64 exec, exec, s[42:43]
	v_cmp_eq_u32_e64 s[4:5], 63, v0
	s_and_saveexec_b64 s[42:43], s[4:5]
	s_cbranch_execz .LBB19_197
; %bb.196:
	v_mov_b32_e32 v8, 0
	ds_write_b64 v8, v[4:5]
	ds_write_b8 v8, v13 offset:8
.LBB19_197:
	s_or_b64 exec, exec, s[42:43]
	v_add_u32_e32 v8, -1, v12
	v_and_b32_e32 v9, 64, v12
	v_cmp_lt_i32_e64 s[4:5], v8, v9
	v_cndmask_b32_e64 v8, v8, v12, s[4:5]
	v_lshlrev_b32_e32 v8, 2, v8
	ds_bpermute_b32 v4, v8, v4
	ds_bpermute_b32 v5, v8, v5
	s_waitcnt lgkmcnt(0)
	; wave barrier
	s_waitcnt lgkmcnt(0)
	s_and_saveexec_b64 s[42:43], s[46:47]
	s_cbranch_execz .LBB19_199
; %bb.198:
	v_mov_b32_e32 v8, 0
	v_cmp_eq_u16_sdwa s[4:5], v1, v8 src0_sel:BYTE_0 src1_sel:DWORD
	v_cndmask_b32_e64 v4, 0, v4, s[4:5]
	v_cndmask_b32_e64 v1, 0, v5, s[4:5]
	v_add_co_u32_e64 v2, s[4:5], v4, v2
	v_addc_co_u32_e64 v3, s[4:5], v1, v3, s[4:5]
	v_cndmask_b32_e32 v4, 0, v2, vcc
	v_cndmask_b32_e32 v1, 0, v3, vcc
	v_add_co_u32_e32 v40, vcc, v4, v14
	v_addc_co_u32_e32 v41, vcc, v1, v15, vcc
	v_cndmask_b32_e64 v4, 0, v40, s[6:7]
	v_cndmask_b32_e64 v1, 0, v41, s[6:7]
	v_add_co_u32_e32 v72, vcc, v4, v10
	v_addc_co_u32_e32 v73, vcc, v1, v11, vcc
	v_cndmask_b32_e64 v4, 0, v72, s[8:9]
	v_cndmask_b32_e64 v1, 0, v73, s[8:9]
	;; [unrolled: 4-line block ×17, first 2 shown]
	v_add_co_u32_e32 v108, vcc, v4, v16
	v_addc_co_u32_e32 v109, vcc, v1, v17, vcc
	;;#ASMSTART
	;;#ASMEND
.LBB19_199:
	s_or_b64 exec, exec, s[42:43]
	s_and_saveexec_b64 s[4:5], s[0:1]
	s_cbranch_execz .LBB19_201
; %bb.200:
	v_mov_b32_e32 v1, 0
	ds_read_b64 v[4:5], v1
	ds_read_u8 v6, v1 offset:8
	v_mov_b32_e32 v7, 2
	s_waitcnt lgkmcnt(1)
	global_store_dwordx2 v1, v[4:5], s[50:51] offset:1024
	s_waitcnt lgkmcnt(0)
	global_store_byte v1, v6, s[50:51] offset:1032
	s_waitcnt vmcnt(0)
	buffer_wbinvl1_vol
	global_store_byte v1, v7, s[52:53] offset:64
.LBB19_201:
	s_or_b64 exec, exec, s[4:5]
	v_pk_mov_b32 v[102:103], v[2:3], v[2:3] op_sel:[0,1]
.LBB19_202:
	s_add_u32 s0, s62, s58
	s_addc_u32 s1, s63, s59
	s_add_u32 s4, s0, s56
	s_addc_u32 s5, s1, s57
	s_and_b64 vcc, exec, s[2:3]
	s_cbranch_vccz .LBB19_240
; %bb.203:
	s_movk_i32 s0, 0x98
	v_mul_i32_i24_e32 v43, 0xffffff70, v0
	v_mul_u32_u24_e32 v42, 0x98, v0
	v_mad_u32_u24 v2, v0, s0, v43
	s_waitcnt lgkmcnt(0)
	; wave barrier
	ds_write2_b64 v42, v[102:103], v[40:41] offset1:1
	ds_write2_b64 v42, v[72:73], v[44:45] offset0:2 offset1:3
	ds_write2_b64 v42, v[76:77], v[48:49] offset0:4 offset1:5
	;; [unrolled: 1-line block ×8, first 2 shown]
	ds_write_b64 v42, v[108:109] offset:144
	s_waitcnt lgkmcnt(0)
	; wave barrier
	s_waitcnt lgkmcnt(0)
	ds_read2st64_b64 v[34:37], v2 offset0:1 offset1:2
	ds_read2st64_b64 v[30:33], v2 offset0:3 offset1:4
	;; [unrolled: 1-line block ×9, first 2 shown]
	v_mov_b32_e32 v39, s5
	v_add_co_u32_e32 v38, vcc, s4, v127
	s_add_i32 s33, s33, s54
	v_addc_co_u32_e32 v39, vcc, 0, v39, vcc
	v_mov_b32_e32 v1, 0
	v_cmp_gt_u32_e32 vcc, s33, v0
	s_and_saveexec_b64 s[0:1], vcc
	s_cbranch_execz .LBB19_205
; %bb.204:
	v_add_u32_e32 v42, v42, v43
	ds_read_b64 v[42:43], v42
	s_waitcnt lgkmcnt(0)
	flat_store_dwordx2 v[38:39], v[42:43]
.LBB19_205:
	s_or_b64 exec, exec, s[0:1]
	v_or_b32_e32 v42, 64, v0
	v_cmp_gt_u32_e32 vcc, s33, v42
	s_and_saveexec_b64 s[0:1], vcc
	s_cbranch_execz .LBB19_207
; %bb.206:
	s_waitcnt lgkmcnt(0)
	flat_store_dwordx2 v[38:39], v[34:35] offset:512
.LBB19_207:
	s_or_b64 exec, exec, s[0:1]
	s_waitcnt lgkmcnt(0)
	v_or_b32_e32 v34, 0x80, v0
	v_cmp_gt_u32_e32 vcc, s33, v34
	s_and_saveexec_b64 s[0:1], vcc
	s_cbranch_execz .LBB19_209
; %bb.208:
	flat_store_dwordx2 v[38:39], v[36:37] offset:1024
.LBB19_209:
	s_or_b64 exec, exec, s[0:1]
	v_or_b32_e32 v34, 0xc0, v0
	v_cmp_gt_u32_e32 vcc, s33, v34
	s_and_saveexec_b64 s[0:1], vcc
	s_cbranch_execz .LBB19_211
; %bb.210:
	flat_store_dwordx2 v[38:39], v[30:31] offset:1536
.LBB19_211:
	s_or_b64 exec, exec, s[0:1]
	;; [unrolled: 8-line block ×6, first 2 shown]
	v_or_b32_e32 v22, 0x200, v0
	v_cmp_gt_u32_e32 vcc, s33, v22
	s_and_saveexec_b64 s[0:1], vcc
	s_cbranch_execz .LBB19_221
; %bb.220:
	v_add_co_u32_e32 v22, vcc, 0x1000, v38
	v_addc_co_u32_e32 v23, vcc, 0, v39, vcc
	flat_store_dwordx2 v[22:23], v[24:25]
.LBB19_221:
	s_or_b64 exec, exec, s[0:1]
	v_or_b32_e32 v22, 0x240, v0
	v_cmp_gt_u32_e32 vcc, s33, v22
	s_and_saveexec_b64 s[0:1], vcc
	s_cbranch_execz .LBB19_223
; %bb.222:
	v_add_co_u32_e32 v22, vcc, 0x1000, v38
	v_addc_co_u32_e32 v23, vcc, 0, v39, vcc
	flat_store_dwordx2 v[22:23], v[18:19] offset:512
.LBB19_223:
	s_or_b64 exec, exec, s[0:1]
	v_or_b32_e32 v18, 0x280, v0
	v_cmp_gt_u32_e32 vcc, s33, v18
	s_and_saveexec_b64 s[0:1], vcc
	s_cbranch_execz .LBB19_225
; %bb.224:
	v_add_co_u32_e32 v18, vcc, 0x1000, v38
	v_addc_co_u32_e32 v19, vcc, 0, v39, vcc
	flat_store_dwordx2 v[18:19], v[20:21] offset:1024
.LBB19_225:
	;; [unrolled: 10-line block ×7, first 2 shown]
	s_or_b64 exec, exec, s[0:1]
	v_or_b32_e32 v6, 0x400, v0
	v_cmp_gt_u32_e32 vcc, s33, v6
	s_and_saveexec_b64 s[0:1], vcc
	s_cbranch_execz .LBB19_237
; %bb.236:
	v_add_co_u32_e32 v6, vcc, 0x2000, v38
	v_addc_co_u32_e32 v7, vcc, 0, v39, vcc
	flat_store_dwordx2 v[6:7], v[8:9]
.LBB19_237:
	s_or_b64 exec, exec, s[0:1]
	v_or_b32_e32 v6, 0x440, v0
	v_cmp_gt_u32_e32 vcc, s33, v6
	s_and_saveexec_b64 s[0:1], vcc
	s_cbranch_execz .LBB19_239
; %bb.238:
	v_add_co_u32_e32 v6, vcc, 0x2000, v38
	v_addc_co_u32_e32 v7, vcc, 0, v39, vcc
	flat_store_dwordx2 v[6:7], v[2:3] offset:512
.LBB19_239:
	s_or_b64 exec, exec, s[0:1]
	v_or_b32_e32 v2, 0x480, v0
	v_cmp_gt_u32_e64 s[0:1], s33, v2
	s_branch .LBB19_242
.LBB19_240:
	s_mov_b64 s[0:1], 0
                                        ; implicit-def: $vgpr4_vgpr5
	s_cbranch_execz .LBB19_242
; %bb.241:
	s_movk_i32 s2, 0x98
	v_mul_i32_i24_e32 v2, 0xffffff70, v0
	v_mul_u32_u24_e32 v1, 0x98, v0
	v_mad_u32_u24 v2, v0, s2, v2
	s_waitcnt lgkmcnt(0)
	; wave barrier
	s_waitcnt lgkmcnt(0)
	ds_write2_b64 v1, v[102:103], v[40:41] offset1:1
	ds_write2_b64 v1, v[72:73], v[44:45] offset0:2 offset1:3
	ds_write2_b64 v1, v[76:77], v[48:49] offset0:4 offset1:5
	;; [unrolled: 1-line block ×8, first 2 shown]
	ds_write_b64 v1, v[108:109] offset:144
	s_waitcnt lgkmcnt(0)
	; wave barrier
	s_waitcnt lgkmcnt(0)
	ds_read2st64_b64 v[6:9], v2 offset1:1
	ds_read2st64_b64 v[10:13], v2 offset0:2 offset1:3
	ds_read2st64_b64 v[14:17], v2 offset0:4 offset1:5
	;; [unrolled: 1-line block ×8, first 2 shown]
	ds_read_b64 v[4:5], v2 offset:9216
	v_mov_b32_e32 v3, s5
	v_add_co_u32_e32 v2, vcc, s4, v127
	v_addc_co_u32_e32 v3, vcc, 0, v3, vcc
	s_movk_i32 s2, 0x1000
	s_waitcnt lgkmcnt(0)
	flat_store_dwordx2 v[2:3], v[6:7]
	flat_store_dwordx2 v[2:3], v[8:9] offset:512
	flat_store_dwordx2 v[2:3], v[10:11] offset:1024
	;; [unrolled: 1-line block ×7, first 2 shown]
	v_add_co_u32_e32 v6, vcc, s2, v2
	v_addc_co_u32_e32 v7, vcc, 0, v3, vcc
	v_add_co_u32_e32 v2, vcc, 0x2000, v2
	v_mov_b32_e32 v1, 0
	v_addc_co_u32_e32 v3, vcc, 0, v3, vcc
	s_or_b64 s[0:1], s[0:1], exec
	flat_store_dwordx2 v[6:7], v[22:23]
	flat_store_dwordx2 v[6:7], v[24:25] offset:512
	flat_store_dwordx2 v[6:7], v[26:27] offset:1024
	;; [unrolled: 1-line block ×7, first 2 shown]
	flat_store_dwordx2 v[2:3], v[38:39]
	flat_store_dwordx2 v[2:3], v[40:41] offset:512
.LBB19_242:
	s_and_saveexec_b64 s[2:3], s[0:1]
	s_cbranch_execnz .LBB19_244
; %bb.243:
	s_endpgm
.LBB19_244:
	v_lshlrev_b64 v[0:1], 3, v[0:1]
	v_mov_b32_e32 v2, s5
	v_add_co_u32_e32 v0, vcc, s4, v0
	v_addc_co_u32_e32 v1, vcc, v2, v1, vcc
	v_add_co_u32_e32 v0, vcc, 0x2000, v0
	v_addc_co_u32_e32 v1, vcc, 0, v1, vcc
	flat_store_dwordx2 v[0:1], v[4:5] offset:1024
	s_endpgm
.LBB19_245:
	v_mov_b32_e32 v3, s79
	v_add_co_u32_e32 v2, vcc, s78, v50
	v_addc_co_u32_e32 v3, vcc, 0, v3, vcc
	flat_load_dwordx2 v[2:3], v[2:3]
	s_or_b64 exec, exec, s[4:5]
                                        ; implicit-def: $vgpr6_vgpr7
	s_and_saveexec_b64 s[4:5], s[8:9]
	s_cbranch_execz .LBB19_51
.LBB19_246:
	v_mov_b32_e32 v7, s79
	v_add_co_u32_e32 v6, vcc, s78, v50
	v_addc_co_u32_e32 v7, vcc, 0, v7, vcc
	flat_load_dwordx2 v[6:7], v[6:7] offset:512
	s_or_b64 exec, exec, s[4:5]
                                        ; implicit-def: $vgpr10_vgpr11
	s_and_saveexec_b64 s[4:5], s[10:11]
	s_cbranch_execz .LBB19_52
.LBB19_247:
	v_mov_b32_e32 v11, s79
	v_add_co_u32_e32 v10, vcc, s78, v50
	v_addc_co_u32_e32 v11, vcc, 0, v11, vcc
	flat_load_dwordx2 v[10:11], v[10:11] offset:1024
	s_or_b64 exec, exec, s[4:5]
                                        ; implicit-def: $vgpr12_vgpr13
	s_and_saveexec_b64 s[4:5], s[12:13]
	s_cbranch_execz .LBB19_53
.LBB19_248:
	v_mov_b32_e32 v13, s79
	v_add_co_u32_e32 v12, vcc, s78, v50
	v_addc_co_u32_e32 v13, vcc, 0, v13, vcc
	flat_load_dwordx2 v[12:13], v[12:13] offset:1536
	s_or_b64 exec, exec, s[4:5]
                                        ; implicit-def: $vgpr14_vgpr15
	s_and_saveexec_b64 s[4:5], s[14:15]
	s_cbranch_execz .LBB19_54
.LBB19_249:
	v_mov_b32_e32 v15, s79
	v_add_co_u32_e32 v14, vcc, s78, v50
	v_addc_co_u32_e32 v15, vcc, 0, v15, vcc
	flat_load_dwordx2 v[14:15], v[14:15] offset:2048
	s_or_b64 exec, exec, s[4:5]
                                        ; implicit-def: $vgpr16_vgpr17
	s_and_saveexec_b64 s[4:5], s[16:17]
	s_cbranch_execz .LBB19_55
.LBB19_250:
	v_mov_b32_e32 v17, s79
	v_add_co_u32_e32 v16, vcc, s78, v50
	v_addc_co_u32_e32 v17, vcc, 0, v17, vcc
	flat_load_dwordx2 v[16:17], v[16:17] offset:2560
	s_or_b64 exec, exec, s[4:5]
                                        ; implicit-def: $vgpr18_vgpr19
	s_and_saveexec_b64 s[4:5], s[18:19]
	s_cbranch_execz .LBB19_56
.LBB19_251:
	v_mov_b32_e32 v19, s79
	v_add_co_u32_e32 v18, vcc, s78, v50
	v_addc_co_u32_e32 v19, vcc, 0, v19, vcc
	flat_load_dwordx2 v[18:19], v[18:19] offset:3072
	s_or_b64 exec, exec, s[4:5]
                                        ; implicit-def: $vgpr20_vgpr21
	s_and_saveexec_b64 s[4:5], s[20:21]
	s_cbranch_execz .LBB19_57
.LBB19_252:
	v_mov_b32_e32 v21, s79
	v_add_co_u32_e32 v20, vcc, s78, v50
	v_addc_co_u32_e32 v21, vcc, 0, v21, vcc
	flat_load_dwordx2 v[20:21], v[20:21] offset:3584
	s_or_b64 exec, exec, s[4:5]
                                        ; implicit-def: $vgpr22_vgpr23
	s_and_saveexec_b64 s[4:5], s[22:23]
	s_cbranch_execz .LBB19_58
.LBB19_253:
	v_lshlrev_b32_e32 v1, 3, v1
	v_mov_b32_e32 v23, s79
	v_add_co_u32_e32 v22, vcc, s78, v1
	v_addc_co_u32_e32 v23, vcc, 0, v23, vcc
	flat_load_dwordx2 v[22:23], v[22:23]
	s_or_b64 exec, exec, s[4:5]
                                        ; implicit-def: $vgpr24_vgpr25
	s_and_saveexec_b64 s[4:5], s[24:25]
	s_cbranch_execz .LBB19_59
.LBB19_254:
	v_lshlrev_b32_e32 v1, 3, v40
	v_mov_b32_e32 v25, s79
	v_add_co_u32_e32 v24, vcc, s78, v1
	v_addc_co_u32_e32 v25, vcc, 0, v25, vcc
	flat_load_dwordx2 v[24:25], v[24:25]
	s_or_b64 exec, exec, s[4:5]
                                        ; implicit-def: $vgpr26_vgpr27
	s_and_saveexec_b64 s[4:5], s[26:27]
	s_cbranch_execz .LBB19_60
.LBB19_255:
	v_lshlrev_b32_e32 v1, 3, v41
	v_mov_b32_e32 v27, s79
	v_add_co_u32_e32 v26, vcc, s78, v1
	v_addc_co_u32_e32 v27, vcc, 0, v27, vcc
	flat_load_dwordx2 v[26:27], v[26:27]
	s_or_b64 exec, exec, s[4:5]
                                        ; implicit-def: $vgpr28_vgpr29
	s_and_saveexec_b64 s[4:5], s[28:29]
	s_cbranch_execz .LBB19_61
.LBB19_256:
	v_lshlrev_b32_e32 v1, 3, v42
	v_mov_b32_e32 v29, s79
	v_add_co_u32_e32 v28, vcc, s78, v1
	v_addc_co_u32_e32 v29, vcc, 0, v29, vcc
	flat_load_dwordx2 v[28:29], v[28:29]
	s_or_b64 exec, exec, s[4:5]
                                        ; implicit-def: $vgpr30_vgpr31
	s_and_saveexec_b64 s[4:5], s[30:31]
	s_cbranch_execz .LBB19_62
.LBB19_257:
	v_lshlrev_b32_e32 v1, 3, v43
	v_mov_b32_e32 v31, s79
	v_add_co_u32_e32 v30, vcc, s78, v1
	v_addc_co_u32_e32 v31, vcc, 0, v31, vcc
	flat_load_dwordx2 v[30:31], v[30:31]
	s_or_b64 exec, exec, s[4:5]
                                        ; implicit-def: $vgpr32_vgpr33
	s_and_saveexec_b64 s[4:5], s[34:35]
	s_cbranch_execz .LBB19_63
.LBB19_258:
	v_lshlrev_b32_e32 v1, 3, v44
	v_mov_b32_e32 v33, s79
	v_add_co_u32_e32 v32, vcc, s78, v1
	v_addc_co_u32_e32 v33, vcc, 0, v33, vcc
	flat_load_dwordx2 v[32:33], v[32:33]
	s_or_b64 exec, exec, s[4:5]
                                        ; implicit-def: $vgpr34_vgpr35
	s_and_saveexec_b64 s[4:5], s[36:37]
	s_cbranch_execz .LBB19_64
.LBB19_259:
	v_lshlrev_b32_e32 v1, 3, v45
	v_mov_b32_e32 v35, s79
	v_add_co_u32_e32 v34, vcc, s78, v1
	v_addc_co_u32_e32 v35, vcc, 0, v35, vcc
	flat_load_dwordx2 v[34:35], v[34:35]
	s_or_b64 exec, exec, s[4:5]
                                        ; implicit-def: $vgpr36_vgpr37
	s_and_saveexec_b64 s[4:5], s[38:39]
	s_cbranch_execz .LBB19_65
.LBB19_260:
	v_lshlrev_b32_e32 v1, 3, v46
	v_mov_b32_e32 v37, s79
	v_add_co_u32_e32 v36, vcc, s78, v1
	v_addc_co_u32_e32 v37, vcc, 0, v37, vcc
	flat_load_dwordx2 v[36:37], v[36:37]
	s_or_b64 exec, exec, s[4:5]
                                        ; implicit-def: $vgpr38_vgpr39
	s_and_saveexec_b64 s[4:5], s[40:41]
	s_cbranch_execz .LBB19_66
.LBB19_261:
	v_lshlrev_b32_e32 v1, 3, v47
	v_mov_b32_e32 v39, s79
	v_add_co_u32_e32 v38, vcc, s78, v1
	v_addc_co_u32_e32 v39, vcc, 0, v39, vcc
	flat_load_dwordx2 v[38:39], v[38:39]
	s_or_b64 exec, exec, s[4:5]
                                        ; implicit-def: $vgpr40_vgpr41
	s_and_saveexec_b64 s[4:5], s[42:43]
	s_cbranch_execz .LBB19_67
.LBB19_262:
	v_lshlrev_b32_e32 v1, 3, v49
	v_mov_b32_e32 v41, s79
	v_add_co_u32_e32 v40, vcc, s78, v1
	v_addc_co_u32_e32 v41, vcc, 0, v41, vcc
	flat_load_dwordx2 v[40:41], v[40:41]
	s_or_b64 exec, exec, s[4:5]
                                        ; implicit-def: $vgpr42_vgpr43
	s_and_saveexec_b64 s[4:5], s[44:45]
	s_cbranch_execnz .LBB19_68
	s_branch .LBB19_69
.LBB19_263:
                                        ; implicit-def: $sgpr4_sgpr5
	s_branch .LBB19_46
.LBB19_264:
                                        ; implicit-def: $sgpr4_sgpr5
	s_branch .LBB19_110
	.section	.rodata,"a",@progbits
	.p2align	6, 0x0
	.amdhsa_kernel _ZN7rocprim17ROCPRIM_400000_NS6detail17trampoline_kernelINS0_14default_configENS1_27scan_by_key_config_selectorIxxEEZZNS1_16scan_by_key_implILNS1_25lookback_scan_determinismE0ELb0ES3_N6thrust23THRUST_200600_302600_NS6detail15normal_iteratorINS9_10device_ptrIxEEEESE_SE_xNS9_4plusIvEENS9_8equal_toIvEExEE10hipError_tPvRmT2_T3_T4_T5_mT6_T7_P12ihipStream_tbENKUlT_T0_E_clISt17integral_constantIbLb1EESZ_EEDaSU_SV_EUlSU_E_NS1_11comp_targetILNS1_3genE4ELNS1_11target_archE910ELNS1_3gpuE8ELNS1_3repE0EEENS1_30default_config_static_selectorELNS0_4arch9wavefront6targetE1EEEvT1_
		.amdhsa_group_segment_fixed_size 10752
		.amdhsa_private_segment_fixed_size 0
		.amdhsa_kernarg_size 136
		.amdhsa_user_sgpr_count 6
		.amdhsa_user_sgpr_private_segment_buffer 1
		.amdhsa_user_sgpr_dispatch_ptr 0
		.amdhsa_user_sgpr_queue_ptr 0
		.amdhsa_user_sgpr_kernarg_segment_ptr 1
		.amdhsa_user_sgpr_dispatch_id 0
		.amdhsa_user_sgpr_flat_scratch_init 0
		.amdhsa_user_sgpr_kernarg_preload_length 0
		.amdhsa_user_sgpr_kernarg_preload_offset 0
		.amdhsa_user_sgpr_private_segment_size 0
		.amdhsa_uses_dynamic_stack 0
		.amdhsa_system_sgpr_private_segment_wavefront_offset 0
		.amdhsa_system_sgpr_workgroup_id_x 1
		.amdhsa_system_sgpr_workgroup_id_y 0
		.amdhsa_system_sgpr_workgroup_id_z 0
		.amdhsa_system_sgpr_workgroup_info 0
		.amdhsa_system_vgpr_workitem_id 0
		.amdhsa_next_free_vgpr 128
		.amdhsa_next_free_sgpr 82
		.amdhsa_accum_offset 128
		.amdhsa_reserve_vcc 1
		.amdhsa_reserve_flat_scratch 0
		.amdhsa_float_round_mode_32 0
		.amdhsa_float_round_mode_16_64 0
		.amdhsa_float_denorm_mode_32 3
		.amdhsa_float_denorm_mode_16_64 3
		.amdhsa_dx10_clamp 1
		.amdhsa_ieee_mode 1
		.amdhsa_fp16_overflow 0
		.amdhsa_tg_split 0
		.amdhsa_exception_fp_ieee_invalid_op 0
		.amdhsa_exception_fp_denorm_src 0
		.amdhsa_exception_fp_ieee_div_zero 0
		.amdhsa_exception_fp_ieee_overflow 0
		.amdhsa_exception_fp_ieee_underflow 0
		.amdhsa_exception_fp_ieee_inexact 0
		.amdhsa_exception_int_div_zero 0
	.end_amdhsa_kernel
	.section	.text._ZN7rocprim17ROCPRIM_400000_NS6detail17trampoline_kernelINS0_14default_configENS1_27scan_by_key_config_selectorIxxEEZZNS1_16scan_by_key_implILNS1_25lookback_scan_determinismE0ELb0ES3_N6thrust23THRUST_200600_302600_NS6detail15normal_iteratorINS9_10device_ptrIxEEEESE_SE_xNS9_4plusIvEENS9_8equal_toIvEExEE10hipError_tPvRmT2_T3_T4_T5_mT6_T7_P12ihipStream_tbENKUlT_T0_E_clISt17integral_constantIbLb1EESZ_EEDaSU_SV_EUlSU_E_NS1_11comp_targetILNS1_3genE4ELNS1_11target_archE910ELNS1_3gpuE8ELNS1_3repE0EEENS1_30default_config_static_selectorELNS0_4arch9wavefront6targetE1EEEvT1_,"axG",@progbits,_ZN7rocprim17ROCPRIM_400000_NS6detail17trampoline_kernelINS0_14default_configENS1_27scan_by_key_config_selectorIxxEEZZNS1_16scan_by_key_implILNS1_25lookback_scan_determinismE0ELb0ES3_N6thrust23THRUST_200600_302600_NS6detail15normal_iteratorINS9_10device_ptrIxEEEESE_SE_xNS9_4plusIvEENS9_8equal_toIvEExEE10hipError_tPvRmT2_T3_T4_T5_mT6_T7_P12ihipStream_tbENKUlT_T0_E_clISt17integral_constantIbLb1EESZ_EEDaSU_SV_EUlSU_E_NS1_11comp_targetILNS1_3genE4ELNS1_11target_archE910ELNS1_3gpuE8ELNS1_3repE0EEENS1_30default_config_static_selectorELNS0_4arch9wavefront6targetE1EEEvT1_,comdat
.Lfunc_end19:
	.size	_ZN7rocprim17ROCPRIM_400000_NS6detail17trampoline_kernelINS0_14default_configENS1_27scan_by_key_config_selectorIxxEEZZNS1_16scan_by_key_implILNS1_25lookback_scan_determinismE0ELb0ES3_N6thrust23THRUST_200600_302600_NS6detail15normal_iteratorINS9_10device_ptrIxEEEESE_SE_xNS9_4plusIvEENS9_8equal_toIvEExEE10hipError_tPvRmT2_T3_T4_T5_mT6_T7_P12ihipStream_tbENKUlT_T0_E_clISt17integral_constantIbLb1EESZ_EEDaSU_SV_EUlSU_E_NS1_11comp_targetILNS1_3genE4ELNS1_11target_archE910ELNS1_3gpuE8ELNS1_3repE0EEENS1_30default_config_static_selectorELNS0_4arch9wavefront6targetE1EEEvT1_, .Lfunc_end19-_ZN7rocprim17ROCPRIM_400000_NS6detail17trampoline_kernelINS0_14default_configENS1_27scan_by_key_config_selectorIxxEEZZNS1_16scan_by_key_implILNS1_25lookback_scan_determinismE0ELb0ES3_N6thrust23THRUST_200600_302600_NS6detail15normal_iteratorINS9_10device_ptrIxEEEESE_SE_xNS9_4plusIvEENS9_8equal_toIvEExEE10hipError_tPvRmT2_T3_T4_T5_mT6_T7_P12ihipStream_tbENKUlT_T0_E_clISt17integral_constantIbLb1EESZ_EEDaSU_SV_EUlSU_E_NS1_11comp_targetILNS1_3genE4ELNS1_11target_archE910ELNS1_3gpuE8ELNS1_3repE0EEENS1_30default_config_static_selectorELNS0_4arch9wavefront6targetE1EEEvT1_
                                        ; -- End function
	.section	.AMDGPU.csdata,"",@progbits
; Kernel info:
; codeLenInByte = 15000
; NumSgprs: 86
; NumVgprs: 128
; NumAgprs: 0
; TotalNumVgprs: 128
; ScratchSize: 0
; MemoryBound: 0
; FloatMode: 240
; IeeeMode: 1
; LDSByteSize: 10752 bytes/workgroup (compile time only)
; SGPRBlocks: 10
; VGPRBlocks: 15
; NumSGPRsForWavesPerEU: 86
; NumVGPRsForWavesPerEU: 128
; AccumOffset: 128
; Occupancy: 2
; WaveLimiterHint : 1
; COMPUTE_PGM_RSRC2:SCRATCH_EN: 0
; COMPUTE_PGM_RSRC2:USER_SGPR: 6
; COMPUTE_PGM_RSRC2:TRAP_HANDLER: 0
; COMPUTE_PGM_RSRC2:TGID_X_EN: 1
; COMPUTE_PGM_RSRC2:TGID_Y_EN: 0
; COMPUTE_PGM_RSRC2:TGID_Z_EN: 0
; COMPUTE_PGM_RSRC2:TIDIG_COMP_CNT: 0
; COMPUTE_PGM_RSRC3_GFX90A:ACCUM_OFFSET: 31
; COMPUTE_PGM_RSRC3_GFX90A:TG_SPLIT: 0
	.section	.text._ZN7rocprim17ROCPRIM_400000_NS6detail17trampoline_kernelINS0_14default_configENS1_27scan_by_key_config_selectorIxxEEZZNS1_16scan_by_key_implILNS1_25lookback_scan_determinismE0ELb0ES3_N6thrust23THRUST_200600_302600_NS6detail15normal_iteratorINS9_10device_ptrIxEEEESE_SE_xNS9_4plusIvEENS9_8equal_toIvEExEE10hipError_tPvRmT2_T3_T4_T5_mT6_T7_P12ihipStream_tbENKUlT_T0_E_clISt17integral_constantIbLb1EESZ_EEDaSU_SV_EUlSU_E_NS1_11comp_targetILNS1_3genE3ELNS1_11target_archE908ELNS1_3gpuE7ELNS1_3repE0EEENS1_30default_config_static_selectorELNS0_4arch9wavefront6targetE1EEEvT1_,"axG",@progbits,_ZN7rocprim17ROCPRIM_400000_NS6detail17trampoline_kernelINS0_14default_configENS1_27scan_by_key_config_selectorIxxEEZZNS1_16scan_by_key_implILNS1_25lookback_scan_determinismE0ELb0ES3_N6thrust23THRUST_200600_302600_NS6detail15normal_iteratorINS9_10device_ptrIxEEEESE_SE_xNS9_4plusIvEENS9_8equal_toIvEExEE10hipError_tPvRmT2_T3_T4_T5_mT6_T7_P12ihipStream_tbENKUlT_T0_E_clISt17integral_constantIbLb1EESZ_EEDaSU_SV_EUlSU_E_NS1_11comp_targetILNS1_3genE3ELNS1_11target_archE908ELNS1_3gpuE7ELNS1_3repE0EEENS1_30default_config_static_selectorELNS0_4arch9wavefront6targetE1EEEvT1_,comdat
	.protected	_ZN7rocprim17ROCPRIM_400000_NS6detail17trampoline_kernelINS0_14default_configENS1_27scan_by_key_config_selectorIxxEEZZNS1_16scan_by_key_implILNS1_25lookback_scan_determinismE0ELb0ES3_N6thrust23THRUST_200600_302600_NS6detail15normal_iteratorINS9_10device_ptrIxEEEESE_SE_xNS9_4plusIvEENS9_8equal_toIvEExEE10hipError_tPvRmT2_T3_T4_T5_mT6_T7_P12ihipStream_tbENKUlT_T0_E_clISt17integral_constantIbLb1EESZ_EEDaSU_SV_EUlSU_E_NS1_11comp_targetILNS1_3genE3ELNS1_11target_archE908ELNS1_3gpuE7ELNS1_3repE0EEENS1_30default_config_static_selectorELNS0_4arch9wavefront6targetE1EEEvT1_ ; -- Begin function _ZN7rocprim17ROCPRIM_400000_NS6detail17trampoline_kernelINS0_14default_configENS1_27scan_by_key_config_selectorIxxEEZZNS1_16scan_by_key_implILNS1_25lookback_scan_determinismE0ELb0ES3_N6thrust23THRUST_200600_302600_NS6detail15normal_iteratorINS9_10device_ptrIxEEEESE_SE_xNS9_4plusIvEENS9_8equal_toIvEExEE10hipError_tPvRmT2_T3_T4_T5_mT6_T7_P12ihipStream_tbENKUlT_T0_E_clISt17integral_constantIbLb1EESZ_EEDaSU_SV_EUlSU_E_NS1_11comp_targetILNS1_3genE3ELNS1_11target_archE908ELNS1_3gpuE7ELNS1_3repE0EEENS1_30default_config_static_selectorELNS0_4arch9wavefront6targetE1EEEvT1_
	.globl	_ZN7rocprim17ROCPRIM_400000_NS6detail17trampoline_kernelINS0_14default_configENS1_27scan_by_key_config_selectorIxxEEZZNS1_16scan_by_key_implILNS1_25lookback_scan_determinismE0ELb0ES3_N6thrust23THRUST_200600_302600_NS6detail15normal_iteratorINS9_10device_ptrIxEEEESE_SE_xNS9_4plusIvEENS9_8equal_toIvEExEE10hipError_tPvRmT2_T3_T4_T5_mT6_T7_P12ihipStream_tbENKUlT_T0_E_clISt17integral_constantIbLb1EESZ_EEDaSU_SV_EUlSU_E_NS1_11comp_targetILNS1_3genE3ELNS1_11target_archE908ELNS1_3gpuE7ELNS1_3repE0EEENS1_30default_config_static_selectorELNS0_4arch9wavefront6targetE1EEEvT1_
	.p2align	8
	.type	_ZN7rocprim17ROCPRIM_400000_NS6detail17trampoline_kernelINS0_14default_configENS1_27scan_by_key_config_selectorIxxEEZZNS1_16scan_by_key_implILNS1_25lookback_scan_determinismE0ELb0ES3_N6thrust23THRUST_200600_302600_NS6detail15normal_iteratorINS9_10device_ptrIxEEEESE_SE_xNS9_4plusIvEENS9_8equal_toIvEExEE10hipError_tPvRmT2_T3_T4_T5_mT6_T7_P12ihipStream_tbENKUlT_T0_E_clISt17integral_constantIbLb1EESZ_EEDaSU_SV_EUlSU_E_NS1_11comp_targetILNS1_3genE3ELNS1_11target_archE908ELNS1_3gpuE7ELNS1_3repE0EEENS1_30default_config_static_selectorELNS0_4arch9wavefront6targetE1EEEvT1_,@function
_ZN7rocprim17ROCPRIM_400000_NS6detail17trampoline_kernelINS0_14default_configENS1_27scan_by_key_config_selectorIxxEEZZNS1_16scan_by_key_implILNS1_25lookback_scan_determinismE0ELb0ES3_N6thrust23THRUST_200600_302600_NS6detail15normal_iteratorINS9_10device_ptrIxEEEESE_SE_xNS9_4plusIvEENS9_8equal_toIvEExEE10hipError_tPvRmT2_T3_T4_T5_mT6_T7_P12ihipStream_tbENKUlT_T0_E_clISt17integral_constantIbLb1EESZ_EEDaSU_SV_EUlSU_E_NS1_11comp_targetILNS1_3genE3ELNS1_11target_archE908ELNS1_3gpuE7ELNS1_3repE0EEENS1_30default_config_static_selectorELNS0_4arch9wavefront6targetE1EEEvT1_: ; @_ZN7rocprim17ROCPRIM_400000_NS6detail17trampoline_kernelINS0_14default_configENS1_27scan_by_key_config_selectorIxxEEZZNS1_16scan_by_key_implILNS1_25lookback_scan_determinismE0ELb0ES3_N6thrust23THRUST_200600_302600_NS6detail15normal_iteratorINS9_10device_ptrIxEEEESE_SE_xNS9_4plusIvEENS9_8equal_toIvEExEE10hipError_tPvRmT2_T3_T4_T5_mT6_T7_P12ihipStream_tbENKUlT_T0_E_clISt17integral_constantIbLb1EESZ_EEDaSU_SV_EUlSU_E_NS1_11comp_targetILNS1_3genE3ELNS1_11target_archE908ELNS1_3gpuE7ELNS1_3repE0EEENS1_30default_config_static_selectorELNS0_4arch9wavefront6targetE1EEEvT1_
; %bb.0:
	.section	.rodata,"a",@progbits
	.p2align	6, 0x0
	.amdhsa_kernel _ZN7rocprim17ROCPRIM_400000_NS6detail17trampoline_kernelINS0_14default_configENS1_27scan_by_key_config_selectorIxxEEZZNS1_16scan_by_key_implILNS1_25lookback_scan_determinismE0ELb0ES3_N6thrust23THRUST_200600_302600_NS6detail15normal_iteratorINS9_10device_ptrIxEEEESE_SE_xNS9_4plusIvEENS9_8equal_toIvEExEE10hipError_tPvRmT2_T3_T4_T5_mT6_T7_P12ihipStream_tbENKUlT_T0_E_clISt17integral_constantIbLb1EESZ_EEDaSU_SV_EUlSU_E_NS1_11comp_targetILNS1_3genE3ELNS1_11target_archE908ELNS1_3gpuE7ELNS1_3repE0EEENS1_30default_config_static_selectorELNS0_4arch9wavefront6targetE1EEEvT1_
		.amdhsa_group_segment_fixed_size 0
		.amdhsa_private_segment_fixed_size 0
		.amdhsa_kernarg_size 136
		.amdhsa_user_sgpr_count 6
		.amdhsa_user_sgpr_private_segment_buffer 1
		.amdhsa_user_sgpr_dispatch_ptr 0
		.amdhsa_user_sgpr_queue_ptr 0
		.amdhsa_user_sgpr_kernarg_segment_ptr 1
		.amdhsa_user_sgpr_dispatch_id 0
		.amdhsa_user_sgpr_flat_scratch_init 0
		.amdhsa_user_sgpr_kernarg_preload_length 0
		.amdhsa_user_sgpr_kernarg_preload_offset 0
		.amdhsa_user_sgpr_private_segment_size 0
		.amdhsa_uses_dynamic_stack 0
		.amdhsa_system_sgpr_private_segment_wavefront_offset 0
		.amdhsa_system_sgpr_workgroup_id_x 1
		.amdhsa_system_sgpr_workgroup_id_y 0
		.amdhsa_system_sgpr_workgroup_id_z 0
		.amdhsa_system_sgpr_workgroup_info 0
		.amdhsa_system_vgpr_workitem_id 0
		.amdhsa_next_free_vgpr 1
		.amdhsa_next_free_sgpr 0
		.amdhsa_accum_offset 4
		.amdhsa_reserve_vcc 0
		.amdhsa_reserve_flat_scratch 0
		.amdhsa_float_round_mode_32 0
		.amdhsa_float_round_mode_16_64 0
		.amdhsa_float_denorm_mode_32 3
		.amdhsa_float_denorm_mode_16_64 3
		.amdhsa_dx10_clamp 1
		.amdhsa_ieee_mode 1
		.amdhsa_fp16_overflow 0
		.amdhsa_tg_split 0
		.amdhsa_exception_fp_ieee_invalid_op 0
		.amdhsa_exception_fp_denorm_src 0
		.amdhsa_exception_fp_ieee_div_zero 0
		.amdhsa_exception_fp_ieee_overflow 0
		.amdhsa_exception_fp_ieee_underflow 0
		.amdhsa_exception_fp_ieee_inexact 0
		.amdhsa_exception_int_div_zero 0
	.end_amdhsa_kernel
	.section	.text._ZN7rocprim17ROCPRIM_400000_NS6detail17trampoline_kernelINS0_14default_configENS1_27scan_by_key_config_selectorIxxEEZZNS1_16scan_by_key_implILNS1_25lookback_scan_determinismE0ELb0ES3_N6thrust23THRUST_200600_302600_NS6detail15normal_iteratorINS9_10device_ptrIxEEEESE_SE_xNS9_4plusIvEENS9_8equal_toIvEExEE10hipError_tPvRmT2_T3_T4_T5_mT6_T7_P12ihipStream_tbENKUlT_T0_E_clISt17integral_constantIbLb1EESZ_EEDaSU_SV_EUlSU_E_NS1_11comp_targetILNS1_3genE3ELNS1_11target_archE908ELNS1_3gpuE7ELNS1_3repE0EEENS1_30default_config_static_selectorELNS0_4arch9wavefront6targetE1EEEvT1_,"axG",@progbits,_ZN7rocprim17ROCPRIM_400000_NS6detail17trampoline_kernelINS0_14default_configENS1_27scan_by_key_config_selectorIxxEEZZNS1_16scan_by_key_implILNS1_25lookback_scan_determinismE0ELb0ES3_N6thrust23THRUST_200600_302600_NS6detail15normal_iteratorINS9_10device_ptrIxEEEESE_SE_xNS9_4plusIvEENS9_8equal_toIvEExEE10hipError_tPvRmT2_T3_T4_T5_mT6_T7_P12ihipStream_tbENKUlT_T0_E_clISt17integral_constantIbLb1EESZ_EEDaSU_SV_EUlSU_E_NS1_11comp_targetILNS1_3genE3ELNS1_11target_archE908ELNS1_3gpuE7ELNS1_3repE0EEENS1_30default_config_static_selectorELNS0_4arch9wavefront6targetE1EEEvT1_,comdat
.Lfunc_end20:
	.size	_ZN7rocprim17ROCPRIM_400000_NS6detail17trampoline_kernelINS0_14default_configENS1_27scan_by_key_config_selectorIxxEEZZNS1_16scan_by_key_implILNS1_25lookback_scan_determinismE0ELb0ES3_N6thrust23THRUST_200600_302600_NS6detail15normal_iteratorINS9_10device_ptrIxEEEESE_SE_xNS9_4plusIvEENS9_8equal_toIvEExEE10hipError_tPvRmT2_T3_T4_T5_mT6_T7_P12ihipStream_tbENKUlT_T0_E_clISt17integral_constantIbLb1EESZ_EEDaSU_SV_EUlSU_E_NS1_11comp_targetILNS1_3genE3ELNS1_11target_archE908ELNS1_3gpuE7ELNS1_3repE0EEENS1_30default_config_static_selectorELNS0_4arch9wavefront6targetE1EEEvT1_, .Lfunc_end20-_ZN7rocprim17ROCPRIM_400000_NS6detail17trampoline_kernelINS0_14default_configENS1_27scan_by_key_config_selectorIxxEEZZNS1_16scan_by_key_implILNS1_25lookback_scan_determinismE0ELb0ES3_N6thrust23THRUST_200600_302600_NS6detail15normal_iteratorINS9_10device_ptrIxEEEESE_SE_xNS9_4plusIvEENS9_8equal_toIvEExEE10hipError_tPvRmT2_T3_T4_T5_mT6_T7_P12ihipStream_tbENKUlT_T0_E_clISt17integral_constantIbLb1EESZ_EEDaSU_SV_EUlSU_E_NS1_11comp_targetILNS1_3genE3ELNS1_11target_archE908ELNS1_3gpuE7ELNS1_3repE0EEENS1_30default_config_static_selectorELNS0_4arch9wavefront6targetE1EEEvT1_
                                        ; -- End function
	.section	.AMDGPU.csdata,"",@progbits
; Kernel info:
; codeLenInByte = 0
; NumSgprs: 4
; NumVgprs: 0
; NumAgprs: 0
; TotalNumVgprs: 0
; ScratchSize: 0
; MemoryBound: 0
; FloatMode: 240
; IeeeMode: 1
; LDSByteSize: 0 bytes/workgroup (compile time only)
; SGPRBlocks: 0
; VGPRBlocks: 0
; NumSGPRsForWavesPerEU: 4
; NumVGPRsForWavesPerEU: 1
; AccumOffset: 4
; Occupancy: 8
; WaveLimiterHint : 0
; COMPUTE_PGM_RSRC2:SCRATCH_EN: 0
; COMPUTE_PGM_RSRC2:USER_SGPR: 6
; COMPUTE_PGM_RSRC2:TRAP_HANDLER: 0
; COMPUTE_PGM_RSRC2:TGID_X_EN: 1
; COMPUTE_PGM_RSRC2:TGID_Y_EN: 0
; COMPUTE_PGM_RSRC2:TGID_Z_EN: 0
; COMPUTE_PGM_RSRC2:TIDIG_COMP_CNT: 0
; COMPUTE_PGM_RSRC3_GFX90A:ACCUM_OFFSET: 0
; COMPUTE_PGM_RSRC3_GFX90A:TG_SPLIT: 0
	.section	.text._ZN7rocprim17ROCPRIM_400000_NS6detail17trampoline_kernelINS0_14default_configENS1_27scan_by_key_config_selectorIxxEEZZNS1_16scan_by_key_implILNS1_25lookback_scan_determinismE0ELb0ES3_N6thrust23THRUST_200600_302600_NS6detail15normal_iteratorINS9_10device_ptrIxEEEESE_SE_xNS9_4plusIvEENS9_8equal_toIvEExEE10hipError_tPvRmT2_T3_T4_T5_mT6_T7_P12ihipStream_tbENKUlT_T0_E_clISt17integral_constantIbLb1EESZ_EEDaSU_SV_EUlSU_E_NS1_11comp_targetILNS1_3genE2ELNS1_11target_archE906ELNS1_3gpuE6ELNS1_3repE0EEENS1_30default_config_static_selectorELNS0_4arch9wavefront6targetE1EEEvT1_,"axG",@progbits,_ZN7rocprim17ROCPRIM_400000_NS6detail17trampoline_kernelINS0_14default_configENS1_27scan_by_key_config_selectorIxxEEZZNS1_16scan_by_key_implILNS1_25lookback_scan_determinismE0ELb0ES3_N6thrust23THRUST_200600_302600_NS6detail15normal_iteratorINS9_10device_ptrIxEEEESE_SE_xNS9_4plusIvEENS9_8equal_toIvEExEE10hipError_tPvRmT2_T3_T4_T5_mT6_T7_P12ihipStream_tbENKUlT_T0_E_clISt17integral_constantIbLb1EESZ_EEDaSU_SV_EUlSU_E_NS1_11comp_targetILNS1_3genE2ELNS1_11target_archE906ELNS1_3gpuE6ELNS1_3repE0EEENS1_30default_config_static_selectorELNS0_4arch9wavefront6targetE1EEEvT1_,comdat
	.protected	_ZN7rocprim17ROCPRIM_400000_NS6detail17trampoline_kernelINS0_14default_configENS1_27scan_by_key_config_selectorIxxEEZZNS1_16scan_by_key_implILNS1_25lookback_scan_determinismE0ELb0ES3_N6thrust23THRUST_200600_302600_NS6detail15normal_iteratorINS9_10device_ptrIxEEEESE_SE_xNS9_4plusIvEENS9_8equal_toIvEExEE10hipError_tPvRmT2_T3_T4_T5_mT6_T7_P12ihipStream_tbENKUlT_T0_E_clISt17integral_constantIbLb1EESZ_EEDaSU_SV_EUlSU_E_NS1_11comp_targetILNS1_3genE2ELNS1_11target_archE906ELNS1_3gpuE6ELNS1_3repE0EEENS1_30default_config_static_selectorELNS0_4arch9wavefront6targetE1EEEvT1_ ; -- Begin function _ZN7rocprim17ROCPRIM_400000_NS6detail17trampoline_kernelINS0_14default_configENS1_27scan_by_key_config_selectorIxxEEZZNS1_16scan_by_key_implILNS1_25lookback_scan_determinismE0ELb0ES3_N6thrust23THRUST_200600_302600_NS6detail15normal_iteratorINS9_10device_ptrIxEEEESE_SE_xNS9_4plusIvEENS9_8equal_toIvEExEE10hipError_tPvRmT2_T3_T4_T5_mT6_T7_P12ihipStream_tbENKUlT_T0_E_clISt17integral_constantIbLb1EESZ_EEDaSU_SV_EUlSU_E_NS1_11comp_targetILNS1_3genE2ELNS1_11target_archE906ELNS1_3gpuE6ELNS1_3repE0EEENS1_30default_config_static_selectorELNS0_4arch9wavefront6targetE1EEEvT1_
	.globl	_ZN7rocprim17ROCPRIM_400000_NS6detail17trampoline_kernelINS0_14default_configENS1_27scan_by_key_config_selectorIxxEEZZNS1_16scan_by_key_implILNS1_25lookback_scan_determinismE0ELb0ES3_N6thrust23THRUST_200600_302600_NS6detail15normal_iteratorINS9_10device_ptrIxEEEESE_SE_xNS9_4plusIvEENS9_8equal_toIvEExEE10hipError_tPvRmT2_T3_T4_T5_mT6_T7_P12ihipStream_tbENKUlT_T0_E_clISt17integral_constantIbLb1EESZ_EEDaSU_SV_EUlSU_E_NS1_11comp_targetILNS1_3genE2ELNS1_11target_archE906ELNS1_3gpuE6ELNS1_3repE0EEENS1_30default_config_static_selectorELNS0_4arch9wavefront6targetE1EEEvT1_
	.p2align	8
	.type	_ZN7rocprim17ROCPRIM_400000_NS6detail17trampoline_kernelINS0_14default_configENS1_27scan_by_key_config_selectorIxxEEZZNS1_16scan_by_key_implILNS1_25lookback_scan_determinismE0ELb0ES3_N6thrust23THRUST_200600_302600_NS6detail15normal_iteratorINS9_10device_ptrIxEEEESE_SE_xNS9_4plusIvEENS9_8equal_toIvEExEE10hipError_tPvRmT2_T3_T4_T5_mT6_T7_P12ihipStream_tbENKUlT_T0_E_clISt17integral_constantIbLb1EESZ_EEDaSU_SV_EUlSU_E_NS1_11comp_targetILNS1_3genE2ELNS1_11target_archE906ELNS1_3gpuE6ELNS1_3repE0EEENS1_30default_config_static_selectorELNS0_4arch9wavefront6targetE1EEEvT1_,@function
_ZN7rocprim17ROCPRIM_400000_NS6detail17trampoline_kernelINS0_14default_configENS1_27scan_by_key_config_selectorIxxEEZZNS1_16scan_by_key_implILNS1_25lookback_scan_determinismE0ELb0ES3_N6thrust23THRUST_200600_302600_NS6detail15normal_iteratorINS9_10device_ptrIxEEEESE_SE_xNS9_4plusIvEENS9_8equal_toIvEExEE10hipError_tPvRmT2_T3_T4_T5_mT6_T7_P12ihipStream_tbENKUlT_T0_E_clISt17integral_constantIbLb1EESZ_EEDaSU_SV_EUlSU_E_NS1_11comp_targetILNS1_3genE2ELNS1_11target_archE906ELNS1_3gpuE6ELNS1_3repE0EEENS1_30default_config_static_selectorELNS0_4arch9wavefront6targetE1EEEvT1_: ; @_ZN7rocprim17ROCPRIM_400000_NS6detail17trampoline_kernelINS0_14default_configENS1_27scan_by_key_config_selectorIxxEEZZNS1_16scan_by_key_implILNS1_25lookback_scan_determinismE0ELb0ES3_N6thrust23THRUST_200600_302600_NS6detail15normal_iteratorINS9_10device_ptrIxEEEESE_SE_xNS9_4plusIvEENS9_8equal_toIvEExEE10hipError_tPvRmT2_T3_T4_T5_mT6_T7_P12ihipStream_tbENKUlT_T0_E_clISt17integral_constantIbLb1EESZ_EEDaSU_SV_EUlSU_E_NS1_11comp_targetILNS1_3genE2ELNS1_11target_archE906ELNS1_3gpuE6ELNS1_3repE0EEENS1_30default_config_static_selectorELNS0_4arch9wavefront6targetE1EEEvT1_
; %bb.0:
	.section	.rodata,"a",@progbits
	.p2align	6, 0x0
	.amdhsa_kernel _ZN7rocprim17ROCPRIM_400000_NS6detail17trampoline_kernelINS0_14default_configENS1_27scan_by_key_config_selectorIxxEEZZNS1_16scan_by_key_implILNS1_25lookback_scan_determinismE0ELb0ES3_N6thrust23THRUST_200600_302600_NS6detail15normal_iteratorINS9_10device_ptrIxEEEESE_SE_xNS9_4plusIvEENS9_8equal_toIvEExEE10hipError_tPvRmT2_T3_T4_T5_mT6_T7_P12ihipStream_tbENKUlT_T0_E_clISt17integral_constantIbLb1EESZ_EEDaSU_SV_EUlSU_E_NS1_11comp_targetILNS1_3genE2ELNS1_11target_archE906ELNS1_3gpuE6ELNS1_3repE0EEENS1_30default_config_static_selectorELNS0_4arch9wavefront6targetE1EEEvT1_
		.amdhsa_group_segment_fixed_size 0
		.amdhsa_private_segment_fixed_size 0
		.amdhsa_kernarg_size 136
		.amdhsa_user_sgpr_count 6
		.amdhsa_user_sgpr_private_segment_buffer 1
		.amdhsa_user_sgpr_dispatch_ptr 0
		.amdhsa_user_sgpr_queue_ptr 0
		.amdhsa_user_sgpr_kernarg_segment_ptr 1
		.amdhsa_user_sgpr_dispatch_id 0
		.amdhsa_user_sgpr_flat_scratch_init 0
		.amdhsa_user_sgpr_kernarg_preload_length 0
		.amdhsa_user_sgpr_kernarg_preload_offset 0
		.amdhsa_user_sgpr_private_segment_size 0
		.amdhsa_uses_dynamic_stack 0
		.amdhsa_system_sgpr_private_segment_wavefront_offset 0
		.amdhsa_system_sgpr_workgroup_id_x 1
		.amdhsa_system_sgpr_workgroup_id_y 0
		.amdhsa_system_sgpr_workgroup_id_z 0
		.amdhsa_system_sgpr_workgroup_info 0
		.amdhsa_system_vgpr_workitem_id 0
		.amdhsa_next_free_vgpr 1
		.amdhsa_next_free_sgpr 0
		.amdhsa_accum_offset 4
		.amdhsa_reserve_vcc 0
		.amdhsa_reserve_flat_scratch 0
		.amdhsa_float_round_mode_32 0
		.amdhsa_float_round_mode_16_64 0
		.amdhsa_float_denorm_mode_32 3
		.amdhsa_float_denorm_mode_16_64 3
		.amdhsa_dx10_clamp 1
		.amdhsa_ieee_mode 1
		.amdhsa_fp16_overflow 0
		.amdhsa_tg_split 0
		.amdhsa_exception_fp_ieee_invalid_op 0
		.amdhsa_exception_fp_denorm_src 0
		.amdhsa_exception_fp_ieee_div_zero 0
		.amdhsa_exception_fp_ieee_overflow 0
		.amdhsa_exception_fp_ieee_underflow 0
		.amdhsa_exception_fp_ieee_inexact 0
		.amdhsa_exception_int_div_zero 0
	.end_amdhsa_kernel
	.section	.text._ZN7rocprim17ROCPRIM_400000_NS6detail17trampoline_kernelINS0_14default_configENS1_27scan_by_key_config_selectorIxxEEZZNS1_16scan_by_key_implILNS1_25lookback_scan_determinismE0ELb0ES3_N6thrust23THRUST_200600_302600_NS6detail15normal_iteratorINS9_10device_ptrIxEEEESE_SE_xNS9_4plusIvEENS9_8equal_toIvEExEE10hipError_tPvRmT2_T3_T4_T5_mT6_T7_P12ihipStream_tbENKUlT_T0_E_clISt17integral_constantIbLb1EESZ_EEDaSU_SV_EUlSU_E_NS1_11comp_targetILNS1_3genE2ELNS1_11target_archE906ELNS1_3gpuE6ELNS1_3repE0EEENS1_30default_config_static_selectorELNS0_4arch9wavefront6targetE1EEEvT1_,"axG",@progbits,_ZN7rocprim17ROCPRIM_400000_NS6detail17trampoline_kernelINS0_14default_configENS1_27scan_by_key_config_selectorIxxEEZZNS1_16scan_by_key_implILNS1_25lookback_scan_determinismE0ELb0ES3_N6thrust23THRUST_200600_302600_NS6detail15normal_iteratorINS9_10device_ptrIxEEEESE_SE_xNS9_4plusIvEENS9_8equal_toIvEExEE10hipError_tPvRmT2_T3_T4_T5_mT6_T7_P12ihipStream_tbENKUlT_T0_E_clISt17integral_constantIbLb1EESZ_EEDaSU_SV_EUlSU_E_NS1_11comp_targetILNS1_3genE2ELNS1_11target_archE906ELNS1_3gpuE6ELNS1_3repE0EEENS1_30default_config_static_selectorELNS0_4arch9wavefront6targetE1EEEvT1_,comdat
.Lfunc_end21:
	.size	_ZN7rocprim17ROCPRIM_400000_NS6detail17trampoline_kernelINS0_14default_configENS1_27scan_by_key_config_selectorIxxEEZZNS1_16scan_by_key_implILNS1_25lookback_scan_determinismE0ELb0ES3_N6thrust23THRUST_200600_302600_NS6detail15normal_iteratorINS9_10device_ptrIxEEEESE_SE_xNS9_4plusIvEENS9_8equal_toIvEExEE10hipError_tPvRmT2_T3_T4_T5_mT6_T7_P12ihipStream_tbENKUlT_T0_E_clISt17integral_constantIbLb1EESZ_EEDaSU_SV_EUlSU_E_NS1_11comp_targetILNS1_3genE2ELNS1_11target_archE906ELNS1_3gpuE6ELNS1_3repE0EEENS1_30default_config_static_selectorELNS0_4arch9wavefront6targetE1EEEvT1_, .Lfunc_end21-_ZN7rocprim17ROCPRIM_400000_NS6detail17trampoline_kernelINS0_14default_configENS1_27scan_by_key_config_selectorIxxEEZZNS1_16scan_by_key_implILNS1_25lookback_scan_determinismE0ELb0ES3_N6thrust23THRUST_200600_302600_NS6detail15normal_iteratorINS9_10device_ptrIxEEEESE_SE_xNS9_4plusIvEENS9_8equal_toIvEExEE10hipError_tPvRmT2_T3_T4_T5_mT6_T7_P12ihipStream_tbENKUlT_T0_E_clISt17integral_constantIbLb1EESZ_EEDaSU_SV_EUlSU_E_NS1_11comp_targetILNS1_3genE2ELNS1_11target_archE906ELNS1_3gpuE6ELNS1_3repE0EEENS1_30default_config_static_selectorELNS0_4arch9wavefront6targetE1EEEvT1_
                                        ; -- End function
	.section	.AMDGPU.csdata,"",@progbits
; Kernel info:
; codeLenInByte = 0
; NumSgprs: 4
; NumVgprs: 0
; NumAgprs: 0
; TotalNumVgprs: 0
; ScratchSize: 0
; MemoryBound: 0
; FloatMode: 240
; IeeeMode: 1
; LDSByteSize: 0 bytes/workgroup (compile time only)
; SGPRBlocks: 0
; VGPRBlocks: 0
; NumSGPRsForWavesPerEU: 4
; NumVGPRsForWavesPerEU: 1
; AccumOffset: 4
; Occupancy: 8
; WaveLimiterHint : 0
; COMPUTE_PGM_RSRC2:SCRATCH_EN: 0
; COMPUTE_PGM_RSRC2:USER_SGPR: 6
; COMPUTE_PGM_RSRC2:TRAP_HANDLER: 0
; COMPUTE_PGM_RSRC2:TGID_X_EN: 1
; COMPUTE_PGM_RSRC2:TGID_Y_EN: 0
; COMPUTE_PGM_RSRC2:TGID_Z_EN: 0
; COMPUTE_PGM_RSRC2:TIDIG_COMP_CNT: 0
; COMPUTE_PGM_RSRC3_GFX90A:ACCUM_OFFSET: 0
; COMPUTE_PGM_RSRC3_GFX90A:TG_SPLIT: 0
	.section	.text._ZN7rocprim17ROCPRIM_400000_NS6detail17trampoline_kernelINS0_14default_configENS1_27scan_by_key_config_selectorIxxEEZZNS1_16scan_by_key_implILNS1_25lookback_scan_determinismE0ELb0ES3_N6thrust23THRUST_200600_302600_NS6detail15normal_iteratorINS9_10device_ptrIxEEEESE_SE_xNS9_4plusIvEENS9_8equal_toIvEExEE10hipError_tPvRmT2_T3_T4_T5_mT6_T7_P12ihipStream_tbENKUlT_T0_E_clISt17integral_constantIbLb1EESZ_EEDaSU_SV_EUlSU_E_NS1_11comp_targetILNS1_3genE10ELNS1_11target_archE1200ELNS1_3gpuE4ELNS1_3repE0EEENS1_30default_config_static_selectorELNS0_4arch9wavefront6targetE1EEEvT1_,"axG",@progbits,_ZN7rocprim17ROCPRIM_400000_NS6detail17trampoline_kernelINS0_14default_configENS1_27scan_by_key_config_selectorIxxEEZZNS1_16scan_by_key_implILNS1_25lookback_scan_determinismE0ELb0ES3_N6thrust23THRUST_200600_302600_NS6detail15normal_iteratorINS9_10device_ptrIxEEEESE_SE_xNS9_4plusIvEENS9_8equal_toIvEExEE10hipError_tPvRmT2_T3_T4_T5_mT6_T7_P12ihipStream_tbENKUlT_T0_E_clISt17integral_constantIbLb1EESZ_EEDaSU_SV_EUlSU_E_NS1_11comp_targetILNS1_3genE10ELNS1_11target_archE1200ELNS1_3gpuE4ELNS1_3repE0EEENS1_30default_config_static_selectorELNS0_4arch9wavefront6targetE1EEEvT1_,comdat
	.protected	_ZN7rocprim17ROCPRIM_400000_NS6detail17trampoline_kernelINS0_14default_configENS1_27scan_by_key_config_selectorIxxEEZZNS1_16scan_by_key_implILNS1_25lookback_scan_determinismE0ELb0ES3_N6thrust23THRUST_200600_302600_NS6detail15normal_iteratorINS9_10device_ptrIxEEEESE_SE_xNS9_4plusIvEENS9_8equal_toIvEExEE10hipError_tPvRmT2_T3_T4_T5_mT6_T7_P12ihipStream_tbENKUlT_T0_E_clISt17integral_constantIbLb1EESZ_EEDaSU_SV_EUlSU_E_NS1_11comp_targetILNS1_3genE10ELNS1_11target_archE1200ELNS1_3gpuE4ELNS1_3repE0EEENS1_30default_config_static_selectorELNS0_4arch9wavefront6targetE1EEEvT1_ ; -- Begin function _ZN7rocprim17ROCPRIM_400000_NS6detail17trampoline_kernelINS0_14default_configENS1_27scan_by_key_config_selectorIxxEEZZNS1_16scan_by_key_implILNS1_25lookback_scan_determinismE0ELb0ES3_N6thrust23THRUST_200600_302600_NS6detail15normal_iteratorINS9_10device_ptrIxEEEESE_SE_xNS9_4plusIvEENS9_8equal_toIvEExEE10hipError_tPvRmT2_T3_T4_T5_mT6_T7_P12ihipStream_tbENKUlT_T0_E_clISt17integral_constantIbLb1EESZ_EEDaSU_SV_EUlSU_E_NS1_11comp_targetILNS1_3genE10ELNS1_11target_archE1200ELNS1_3gpuE4ELNS1_3repE0EEENS1_30default_config_static_selectorELNS0_4arch9wavefront6targetE1EEEvT1_
	.globl	_ZN7rocprim17ROCPRIM_400000_NS6detail17trampoline_kernelINS0_14default_configENS1_27scan_by_key_config_selectorIxxEEZZNS1_16scan_by_key_implILNS1_25lookback_scan_determinismE0ELb0ES3_N6thrust23THRUST_200600_302600_NS6detail15normal_iteratorINS9_10device_ptrIxEEEESE_SE_xNS9_4plusIvEENS9_8equal_toIvEExEE10hipError_tPvRmT2_T3_T4_T5_mT6_T7_P12ihipStream_tbENKUlT_T0_E_clISt17integral_constantIbLb1EESZ_EEDaSU_SV_EUlSU_E_NS1_11comp_targetILNS1_3genE10ELNS1_11target_archE1200ELNS1_3gpuE4ELNS1_3repE0EEENS1_30default_config_static_selectorELNS0_4arch9wavefront6targetE1EEEvT1_
	.p2align	8
	.type	_ZN7rocprim17ROCPRIM_400000_NS6detail17trampoline_kernelINS0_14default_configENS1_27scan_by_key_config_selectorIxxEEZZNS1_16scan_by_key_implILNS1_25lookback_scan_determinismE0ELb0ES3_N6thrust23THRUST_200600_302600_NS6detail15normal_iteratorINS9_10device_ptrIxEEEESE_SE_xNS9_4plusIvEENS9_8equal_toIvEExEE10hipError_tPvRmT2_T3_T4_T5_mT6_T7_P12ihipStream_tbENKUlT_T0_E_clISt17integral_constantIbLb1EESZ_EEDaSU_SV_EUlSU_E_NS1_11comp_targetILNS1_3genE10ELNS1_11target_archE1200ELNS1_3gpuE4ELNS1_3repE0EEENS1_30default_config_static_selectorELNS0_4arch9wavefront6targetE1EEEvT1_,@function
_ZN7rocprim17ROCPRIM_400000_NS6detail17trampoline_kernelINS0_14default_configENS1_27scan_by_key_config_selectorIxxEEZZNS1_16scan_by_key_implILNS1_25lookback_scan_determinismE0ELb0ES3_N6thrust23THRUST_200600_302600_NS6detail15normal_iteratorINS9_10device_ptrIxEEEESE_SE_xNS9_4plusIvEENS9_8equal_toIvEExEE10hipError_tPvRmT2_T3_T4_T5_mT6_T7_P12ihipStream_tbENKUlT_T0_E_clISt17integral_constantIbLb1EESZ_EEDaSU_SV_EUlSU_E_NS1_11comp_targetILNS1_3genE10ELNS1_11target_archE1200ELNS1_3gpuE4ELNS1_3repE0EEENS1_30default_config_static_selectorELNS0_4arch9wavefront6targetE1EEEvT1_: ; @_ZN7rocprim17ROCPRIM_400000_NS6detail17trampoline_kernelINS0_14default_configENS1_27scan_by_key_config_selectorIxxEEZZNS1_16scan_by_key_implILNS1_25lookback_scan_determinismE0ELb0ES3_N6thrust23THRUST_200600_302600_NS6detail15normal_iteratorINS9_10device_ptrIxEEEESE_SE_xNS9_4plusIvEENS9_8equal_toIvEExEE10hipError_tPvRmT2_T3_T4_T5_mT6_T7_P12ihipStream_tbENKUlT_T0_E_clISt17integral_constantIbLb1EESZ_EEDaSU_SV_EUlSU_E_NS1_11comp_targetILNS1_3genE10ELNS1_11target_archE1200ELNS1_3gpuE4ELNS1_3repE0EEENS1_30default_config_static_selectorELNS0_4arch9wavefront6targetE1EEEvT1_
; %bb.0:
	.section	.rodata,"a",@progbits
	.p2align	6, 0x0
	.amdhsa_kernel _ZN7rocprim17ROCPRIM_400000_NS6detail17trampoline_kernelINS0_14default_configENS1_27scan_by_key_config_selectorIxxEEZZNS1_16scan_by_key_implILNS1_25lookback_scan_determinismE0ELb0ES3_N6thrust23THRUST_200600_302600_NS6detail15normal_iteratorINS9_10device_ptrIxEEEESE_SE_xNS9_4plusIvEENS9_8equal_toIvEExEE10hipError_tPvRmT2_T3_T4_T5_mT6_T7_P12ihipStream_tbENKUlT_T0_E_clISt17integral_constantIbLb1EESZ_EEDaSU_SV_EUlSU_E_NS1_11comp_targetILNS1_3genE10ELNS1_11target_archE1200ELNS1_3gpuE4ELNS1_3repE0EEENS1_30default_config_static_selectorELNS0_4arch9wavefront6targetE1EEEvT1_
		.amdhsa_group_segment_fixed_size 0
		.amdhsa_private_segment_fixed_size 0
		.amdhsa_kernarg_size 136
		.amdhsa_user_sgpr_count 6
		.amdhsa_user_sgpr_private_segment_buffer 1
		.amdhsa_user_sgpr_dispatch_ptr 0
		.amdhsa_user_sgpr_queue_ptr 0
		.amdhsa_user_sgpr_kernarg_segment_ptr 1
		.amdhsa_user_sgpr_dispatch_id 0
		.amdhsa_user_sgpr_flat_scratch_init 0
		.amdhsa_user_sgpr_kernarg_preload_length 0
		.amdhsa_user_sgpr_kernarg_preload_offset 0
		.amdhsa_user_sgpr_private_segment_size 0
		.amdhsa_uses_dynamic_stack 0
		.amdhsa_system_sgpr_private_segment_wavefront_offset 0
		.amdhsa_system_sgpr_workgroup_id_x 1
		.amdhsa_system_sgpr_workgroup_id_y 0
		.amdhsa_system_sgpr_workgroup_id_z 0
		.amdhsa_system_sgpr_workgroup_info 0
		.amdhsa_system_vgpr_workitem_id 0
		.amdhsa_next_free_vgpr 1
		.amdhsa_next_free_sgpr 0
		.amdhsa_accum_offset 4
		.amdhsa_reserve_vcc 0
		.amdhsa_reserve_flat_scratch 0
		.amdhsa_float_round_mode_32 0
		.amdhsa_float_round_mode_16_64 0
		.amdhsa_float_denorm_mode_32 3
		.amdhsa_float_denorm_mode_16_64 3
		.amdhsa_dx10_clamp 1
		.amdhsa_ieee_mode 1
		.amdhsa_fp16_overflow 0
		.amdhsa_tg_split 0
		.amdhsa_exception_fp_ieee_invalid_op 0
		.amdhsa_exception_fp_denorm_src 0
		.amdhsa_exception_fp_ieee_div_zero 0
		.amdhsa_exception_fp_ieee_overflow 0
		.amdhsa_exception_fp_ieee_underflow 0
		.amdhsa_exception_fp_ieee_inexact 0
		.amdhsa_exception_int_div_zero 0
	.end_amdhsa_kernel
	.section	.text._ZN7rocprim17ROCPRIM_400000_NS6detail17trampoline_kernelINS0_14default_configENS1_27scan_by_key_config_selectorIxxEEZZNS1_16scan_by_key_implILNS1_25lookback_scan_determinismE0ELb0ES3_N6thrust23THRUST_200600_302600_NS6detail15normal_iteratorINS9_10device_ptrIxEEEESE_SE_xNS9_4plusIvEENS9_8equal_toIvEExEE10hipError_tPvRmT2_T3_T4_T5_mT6_T7_P12ihipStream_tbENKUlT_T0_E_clISt17integral_constantIbLb1EESZ_EEDaSU_SV_EUlSU_E_NS1_11comp_targetILNS1_3genE10ELNS1_11target_archE1200ELNS1_3gpuE4ELNS1_3repE0EEENS1_30default_config_static_selectorELNS0_4arch9wavefront6targetE1EEEvT1_,"axG",@progbits,_ZN7rocprim17ROCPRIM_400000_NS6detail17trampoline_kernelINS0_14default_configENS1_27scan_by_key_config_selectorIxxEEZZNS1_16scan_by_key_implILNS1_25lookback_scan_determinismE0ELb0ES3_N6thrust23THRUST_200600_302600_NS6detail15normal_iteratorINS9_10device_ptrIxEEEESE_SE_xNS9_4plusIvEENS9_8equal_toIvEExEE10hipError_tPvRmT2_T3_T4_T5_mT6_T7_P12ihipStream_tbENKUlT_T0_E_clISt17integral_constantIbLb1EESZ_EEDaSU_SV_EUlSU_E_NS1_11comp_targetILNS1_3genE10ELNS1_11target_archE1200ELNS1_3gpuE4ELNS1_3repE0EEENS1_30default_config_static_selectorELNS0_4arch9wavefront6targetE1EEEvT1_,comdat
.Lfunc_end22:
	.size	_ZN7rocprim17ROCPRIM_400000_NS6detail17trampoline_kernelINS0_14default_configENS1_27scan_by_key_config_selectorIxxEEZZNS1_16scan_by_key_implILNS1_25lookback_scan_determinismE0ELb0ES3_N6thrust23THRUST_200600_302600_NS6detail15normal_iteratorINS9_10device_ptrIxEEEESE_SE_xNS9_4plusIvEENS9_8equal_toIvEExEE10hipError_tPvRmT2_T3_T4_T5_mT6_T7_P12ihipStream_tbENKUlT_T0_E_clISt17integral_constantIbLb1EESZ_EEDaSU_SV_EUlSU_E_NS1_11comp_targetILNS1_3genE10ELNS1_11target_archE1200ELNS1_3gpuE4ELNS1_3repE0EEENS1_30default_config_static_selectorELNS0_4arch9wavefront6targetE1EEEvT1_, .Lfunc_end22-_ZN7rocprim17ROCPRIM_400000_NS6detail17trampoline_kernelINS0_14default_configENS1_27scan_by_key_config_selectorIxxEEZZNS1_16scan_by_key_implILNS1_25lookback_scan_determinismE0ELb0ES3_N6thrust23THRUST_200600_302600_NS6detail15normal_iteratorINS9_10device_ptrIxEEEESE_SE_xNS9_4plusIvEENS9_8equal_toIvEExEE10hipError_tPvRmT2_T3_T4_T5_mT6_T7_P12ihipStream_tbENKUlT_T0_E_clISt17integral_constantIbLb1EESZ_EEDaSU_SV_EUlSU_E_NS1_11comp_targetILNS1_3genE10ELNS1_11target_archE1200ELNS1_3gpuE4ELNS1_3repE0EEENS1_30default_config_static_selectorELNS0_4arch9wavefront6targetE1EEEvT1_
                                        ; -- End function
	.section	.AMDGPU.csdata,"",@progbits
; Kernel info:
; codeLenInByte = 0
; NumSgprs: 4
; NumVgprs: 0
; NumAgprs: 0
; TotalNumVgprs: 0
; ScratchSize: 0
; MemoryBound: 0
; FloatMode: 240
; IeeeMode: 1
; LDSByteSize: 0 bytes/workgroup (compile time only)
; SGPRBlocks: 0
; VGPRBlocks: 0
; NumSGPRsForWavesPerEU: 4
; NumVGPRsForWavesPerEU: 1
; AccumOffset: 4
; Occupancy: 8
; WaveLimiterHint : 0
; COMPUTE_PGM_RSRC2:SCRATCH_EN: 0
; COMPUTE_PGM_RSRC2:USER_SGPR: 6
; COMPUTE_PGM_RSRC2:TRAP_HANDLER: 0
; COMPUTE_PGM_RSRC2:TGID_X_EN: 1
; COMPUTE_PGM_RSRC2:TGID_Y_EN: 0
; COMPUTE_PGM_RSRC2:TGID_Z_EN: 0
; COMPUTE_PGM_RSRC2:TIDIG_COMP_CNT: 0
; COMPUTE_PGM_RSRC3_GFX90A:ACCUM_OFFSET: 0
; COMPUTE_PGM_RSRC3_GFX90A:TG_SPLIT: 0
	.section	.text._ZN7rocprim17ROCPRIM_400000_NS6detail17trampoline_kernelINS0_14default_configENS1_27scan_by_key_config_selectorIxxEEZZNS1_16scan_by_key_implILNS1_25lookback_scan_determinismE0ELb0ES3_N6thrust23THRUST_200600_302600_NS6detail15normal_iteratorINS9_10device_ptrIxEEEESE_SE_xNS9_4plusIvEENS9_8equal_toIvEExEE10hipError_tPvRmT2_T3_T4_T5_mT6_T7_P12ihipStream_tbENKUlT_T0_E_clISt17integral_constantIbLb1EESZ_EEDaSU_SV_EUlSU_E_NS1_11comp_targetILNS1_3genE9ELNS1_11target_archE1100ELNS1_3gpuE3ELNS1_3repE0EEENS1_30default_config_static_selectorELNS0_4arch9wavefront6targetE1EEEvT1_,"axG",@progbits,_ZN7rocprim17ROCPRIM_400000_NS6detail17trampoline_kernelINS0_14default_configENS1_27scan_by_key_config_selectorIxxEEZZNS1_16scan_by_key_implILNS1_25lookback_scan_determinismE0ELb0ES3_N6thrust23THRUST_200600_302600_NS6detail15normal_iteratorINS9_10device_ptrIxEEEESE_SE_xNS9_4plusIvEENS9_8equal_toIvEExEE10hipError_tPvRmT2_T3_T4_T5_mT6_T7_P12ihipStream_tbENKUlT_T0_E_clISt17integral_constantIbLb1EESZ_EEDaSU_SV_EUlSU_E_NS1_11comp_targetILNS1_3genE9ELNS1_11target_archE1100ELNS1_3gpuE3ELNS1_3repE0EEENS1_30default_config_static_selectorELNS0_4arch9wavefront6targetE1EEEvT1_,comdat
	.protected	_ZN7rocprim17ROCPRIM_400000_NS6detail17trampoline_kernelINS0_14default_configENS1_27scan_by_key_config_selectorIxxEEZZNS1_16scan_by_key_implILNS1_25lookback_scan_determinismE0ELb0ES3_N6thrust23THRUST_200600_302600_NS6detail15normal_iteratorINS9_10device_ptrIxEEEESE_SE_xNS9_4plusIvEENS9_8equal_toIvEExEE10hipError_tPvRmT2_T3_T4_T5_mT6_T7_P12ihipStream_tbENKUlT_T0_E_clISt17integral_constantIbLb1EESZ_EEDaSU_SV_EUlSU_E_NS1_11comp_targetILNS1_3genE9ELNS1_11target_archE1100ELNS1_3gpuE3ELNS1_3repE0EEENS1_30default_config_static_selectorELNS0_4arch9wavefront6targetE1EEEvT1_ ; -- Begin function _ZN7rocprim17ROCPRIM_400000_NS6detail17trampoline_kernelINS0_14default_configENS1_27scan_by_key_config_selectorIxxEEZZNS1_16scan_by_key_implILNS1_25lookback_scan_determinismE0ELb0ES3_N6thrust23THRUST_200600_302600_NS6detail15normal_iteratorINS9_10device_ptrIxEEEESE_SE_xNS9_4plusIvEENS9_8equal_toIvEExEE10hipError_tPvRmT2_T3_T4_T5_mT6_T7_P12ihipStream_tbENKUlT_T0_E_clISt17integral_constantIbLb1EESZ_EEDaSU_SV_EUlSU_E_NS1_11comp_targetILNS1_3genE9ELNS1_11target_archE1100ELNS1_3gpuE3ELNS1_3repE0EEENS1_30default_config_static_selectorELNS0_4arch9wavefront6targetE1EEEvT1_
	.globl	_ZN7rocprim17ROCPRIM_400000_NS6detail17trampoline_kernelINS0_14default_configENS1_27scan_by_key_config_selectorIxxEEZZNS1_16scan_by_key_implILNS1_25lookback_scan_determinismE0ELb0ES3_N6thrust23THRUST_200600_302600_NS6detail15normal_iteratorINS9_10device_ptrIxEEEESE_SE_xNS9_4plusIvEENS9_8equal_toIvEExEE10hipError_tPvRmT2_T3_T4_T5_mT6_T7_P12ihipStream_tbENKUlT_T0_E_clISt17integral_constantIbLb1EESZ_EEDaSU_SV_EUlSU_E_NS1_11comp_targetILNS1_3genE9ELNS1_11target_archE1100ELNS1_3gpuE3ELNS1_3repE0EEENS1_30default_config_static_selectorELNS0_4arch9wavefront6targetE1EEEvT1_
	.p2align	8
	.type	_ZN7rocprim17ROCPRIM_400000_NS6detail17trampoline_kernelINS0_14default_configENS1_27scan_by_key_config_selectorIxxEEZZNS1_16scan_by_key_implILNS1_25lookback_scan_determinismE0ELb0ES3_N6thrust23THRUST_200600_302600_NS6detail15normal_iteratorINS9_10device_ptrIxEEEESE_SE_xNS9_4plusIvEENS9_8equal_toIvEExEE10hipError_tPvRmT2_T3_T4_T5_mT6_T7_P12ihipStream_tbENKUlT_T0_E_clISt17integral_constantIbLb1EESZ_EEDaSU_SV_EUlSU_E_NS1_11comp_targetILNS1_3genE9ELNS1_11target_archE1100ELNS1_3gpuE3ELNS1_3repE0EEENS1_30default_config_static_selectorELNS0_4arch9wavefront6targetE1EEEvT1_,@function
_ZN7rocprim17ROCPRIM_400000_NS6detail17trampoline_kernelINS0_14default_configENS1_27scan_by_key_config_selectorIxxEEZZNS1_16scan_by_key_implILNS1_25lookback_scan_determinismE0ELb0ES3_N6thrust23THRUST_200600_302600_NS6detail15normal_iteratorINS9_10device_ptrIxEEEESE_SE_xNS9_4plusIvEENS9_8equal_toIvEExEE10hipError_tPvRmT2_T3_T4_T5_mT6_T7_P12ihipStream_tbENKUlT_T0_E_clISt17integral_constantIbLb1EESZ_EEDaSU_SV_EUlSU_E_NS1_11comp_targetILNS1_3genE9ELNS1_11target_archE1100ELNS1_3gpuE3ELNS1_3repE0EEENS1_30default_config_static_selectorELNS0_4arch9wavefront6targetE1EEEvT1_: ; @_ZN7rocprim17ROCPRIM_400000_NS6detail17trampoline_kernelINS0_14default_configENS1_27scan_by_key_config_selectorIxxEEZZNS1_16scan_by_key_implILNS1_25lookback_scan_determinismE0ELb0ES3_N6thrust23THRUST_200600_302600_NS6detail15normal_iteratorINS9_10device_ptrIxEEEESE_SE_xNS9_4plusIvEENS9_8equal_toIvEExEE10hipError_tPvRmT2_T3_T4_T5_mT6_T7_P12ihipStream_tbENKUlT_T0_E_clISt17integral_constantIbLb1EESZ_EEDaSU_SV_EUlSU_E_NS1_11comp_targetILNS1_3genE9ELNS1_11target_archE1100ELNS1_3gpuE3ELNS1_3repE0EEENS1_30default_config_static_selectorELNS0_4arch9wavefront6targetE1EEEvT1_
; %bb.0:
	.section	.rodata,"a",@progbits
	.p2align	6, 0x0
	.amdhsa_kernel _ZN7rocprim17ROCPRIM_400000_NS6detail17trampoline_kernelINS0_14default_configENS1_27scan_by_key_config_selectorIxxEEZZNS1_16scan_by_key_implILNS1_25lookback_scan_determinismE0ELb0ES3_N6thrust23THRUST_200600_302600_NS6detail15normal_iteratorINS9_10device_ptrIxEEEESE_SE_xNS9_4plusIvEENS9_8equal_toIvEExEE10hipError_tPvRmT2_T3_T4_T5_mT6_T7_P12ihipStream_tbENKUlT_T0_E_clISt17integral_constantIbLb1EESZ_EEDaSU_SV_EUlSU_E_NS1_11comp_targetILNS1_3genE9ELNS1_11target_archE1100ELNS1_3gpuE3ELNS1_3repE0EEENS1_30default_config_static_selectorELNS0_4arch9wavefront6targetE1EEEvT1_
		.amdhsa_group_segment_fixed_size 0
		.amdhsa_private_segment_fixed_size 0
		.amdhsa_kernarg_size 136
		.amdhsa_user_sgpr_count 6
		.amdhsa_user_sgpr_private_segment_buffer 1
		.amdhsa_user_sgpr_dispatch_ptr 0
		.amdhsa_user_sgpr_queue_ptr 0
		.amdhsa_user_sgpr_kernarg_segment_ptr 1
		.amdhsa_user_sgpr_dispatch_id 0
		.amdhsa_user_sgpr_flat_scratch_init 0
		.amdhsa_user_sgpr_kernarg_preload_length 0
		.amdhsa_user_sgpr_kernarg_preload_offset 0
		.amdhsa_user_sgpr_private_segment_size 0
		.amdhsa_uses_dynamic_stack 0
		.amdhsa_system_sgpr_private_segment_wavefront_offset 0
		.amdhsa_system_sgpr_workgroup_id_x 1
		.amdhsa_system_sgpr_workgroup_id_y 0
		.amdhsa_system_sgpr_workgroup_id_z 0
		.amdhsa_system_sgpr_workgroup_info 0
		.amdhsa_system_vgpr_workitem_id 0
		.amdhsa_next_free_vgpr 1
		.amdhsa_next_free_sgpr 0
		.amdhsa_accum_offset 4
		.amdhsa_reserve_vcc 0
		.amdhsa_reserve_flat_scratch 0
		.amdhsa_float_round_mode_32 0
		.amdhsa_float_round_mode_16_64 0
		.amdhsa_float_denorm_mode_32 3
		.amdhsa_float_denorm_mode_16_64 3
		.amdhsa_dx10_clamp 1
		.amdhsa_ieee_mode 1
		.amdhsa_fp16_overflow 0
		.amdhsa_tg_split 0
		.amdhsa_exception_fp_ieee_invalid_op 0
		.amdhsa_exception_fp_denorm_src 0
		.amdhsa_exception_fp_ieee_div_zero 0
		.amdhsa_exception_fp_ieee_overflow 0
		.amdhsa_exception_fp_ieee_underflow 0
		.amdhsa_exception_fp_ieee_inexact 0
		.amdhsa_exception_int_div_zero 0
	.end_amdhsa_kernel
	.section	.text._ZN7rocprim17ROCPRIM_400000_NS6detail17trampoline_kernelINS0_14default_configENS1_27scan_by_key_config_selectorIxxEEZZNS1_16scan_by_key_implILNS1_25lookback_scan_determinismE0ELb0ES3_N6thrust23THRUST_200600_302600_NS6detail15normal_iteratorINS9_10device_ptrIxEEEESE_SE_xNS9_4plusIvEENS9_8equal_toIvEExEE10hipError_tPvRmT2_T3_T4_T5_mT6_T7_P12ihipStream_tbENKUlT_T0_E_clISt17integral_constantIbLb1EESZ_EEDaSU_SV_EUlSU_E_NS1_11comp_targetILNS1_3genE9ELNS1_11target_archE1100ELNS1_3gpuE3ELNS1_3repE0EEENS1_30default_config_static_selectorELNS0_4arch9wavefront6targetE1EEEvT1_,"axG",@progbits,_ZN7rocprim17ROCPRIM_400000_NS6detail17trampoline_kernelINS0_14default_configENS1_27scan_by_key_config_selectorIxxEEZZNS1_16scan_by_key_implILNS1_25lookback_scan_determinismE0ELb0ES3_N6thrust23THRUST_200600_302600_NS6detail15normal_iteratorINS9_10device_ptrIxEEEESE_SE_xNS9_4plusIvEENS9_8equal_toIvEExEE10hipError_tPvRmT2_T3_T4_T5_mT6_T7_P12ihipStream_tbENKUlT_T0_E_clISt17integral_constantIbLb1EESZ_EEDaSU_SV_EUlSU_E_NS1_11comp_targetILNS1_3genE9ELNS1_11target_archE1100ELNS1_3gpuE3ELNS1_3repE0EEENS1_30default_config_static_selectorELNS0_4arch9wavefront6targetE1EEEvT1_,comdat
.Lfunc_end23:
	.size	_ZN7rocprim17ROCPRIM_400000_NS6detail17trampoline_kernelINS0_14default_configENS1_27scan_by_key_config_selectorIxxEEZZNS1_16scan_by_key_implILNS1_25lookback_scan_determinismE0ELb0ES3_N6thrust23THRUST_200600_302600_NS6detail15normal_iteratorINS9_10device_ptrIxEEEESE_SE_xNS9_4plusIvEENS9_8equal_toIvEExEE10hipError_tPvRmT2_T3_T4_T5_mT6_T7_P12ihipStream_tbENKUlT_T0_E_clISt17integral_constantIbLb1EESZ_EEDaSU_SV_EUlSU_E_NS1_11comp_targetILNS1_3genE9ELNS1_11target_archE1100ELNS1_3gpuE3ELNS1_3repE0EEENS1_30default_config_static_selectorELNS0_4arch9wavefront6targetE1EEEvT1_, .Lfunc_end23-_ZN7rocprim17ROCPRIM_400000_NS6detail17trampoline_kernelINS0_14default_configENS1_27scan_by_key_config_selectorIxxEEZZNS1_16scan_by_key_implILNS1_25lookback_scan_determinismE0ELb0ES3_N6thrust23THRUST_200600_302600_NS6detail15normal_iteratorINS9_10device_ptrIxEEEESE_SE_xNS9_4plusIvEENS9_8equal_toIvEExEE10hipError_tPvRmT2_T3_T4_T5_mT6_T7_P12ihipStream_tbENKUlT_T0_E_clISt17integral_constantIbLb1EESZ_EEDaSU_SV_EUlSU_E_NS1_11comp_targetILNS1_3genE9ELNS1_11target_archE1100ELNS1_3gpuE3ELNS1_3repE0EEENS1_30default_config_static_selectorELNS0_4arch9wavefront6targetE1EEEvT1_
                                        ; -- End function
	.section	.AMDGPU.csdata,"",@progbits
; Kernel info:
; codeLenInByte = 0
; NumSgprs: 4
; NumVgprs: 0
; NumAgprs: 0
; TotalNumVgprs: 0
; ScratchSize: 0
; MemoryBound: 0
; FloatMode: 240
; IeeeMode: 1
; LDSByteSize: 0 bytes/workgroup (compile time only)
; SGPRBlocks: 0
; VGPRBlocks: 0
; NumSGPRsForWavesPerEU: 4
; NumVGPRsForWavesPerEU: 1
; AccumOffset: 4
; Occupancy: 8
; WaveLimiterHint : 0
; COMPUTE_PGM_RSRC2:SCRATCH_EN: 0
; COMPUTE_PGM_RSRC2:USER_SGPR: 6
; COMPUTE_PGM_RSRC2:TRAP_HANDLER: 0
; COMPUTE_PGM_RSRC2:TGID_X_EN: 1
; COMPUTE_PGM_RSRC2:TGID_Y_EN: 0
; COMPUTE_PGM_RSRC2:TGID_Z_EN: 0
; COMPUTE_PGM_RSRC2:TIDIG_COMP_CNT: 0
; COMPUTE_PGM_RSRC3_GFX90A:ACCUM_OFFSET: 0
; COMPUTE_PGM_RSRC3_GFX90A:TG_SPLIT: 0
	.section	.text._ZN7rocprim17ROCPRIM_400000_NS6detail17trampoline_kernelINS0_14default_configENS1_27scan_by_key_config_selectorIxxEEZZNS1_16scan_by_key_implILNS1_25lookback_scan_determinismE0ELb0ES3_N6thrust23THRUST_200600_302600_NS6detail15normal_iteratorINS9_10device_ptrIxEEEESE_SE_xNS9_4plusIvEENS9_8equal_toIvEExEE10hipError_tPvRmT2_T3_T4_T5_mT6_T7_P12ihipStream_tbENKUlT_T0_E_clISt17integral_constantIbLb1EESZ_EEDaSU_SV_EUlSU_E_NS1_11comp_targetILNS1_3genE8ELNS1_11target_archE1030ELNS1_3gpuE2ELNS1_3repE0EEENS1_30default_config_static_selectorELNS0_4arch9wavefront6targetE1EEEvT1_,"axG",@progbits,_ZN7rocprim17ROCPRIM_400000_NS6detail17trampoline_kernelINS0_14default_configENS1_27scan_by_key_config_selectorIxxEEZZNS1_16scan_by_key_implILNS1_25lookback_scan_determinismE0ELb0ES3_N6thrust23THRUST_200600_302600_NS6detail15normal_iteratorINS9_10device_ptrIxEEEESE_SE_xNS9_4plusIvEENS9_8equal_toIvEExEE10hipError_tPvRmT2_T3_T4_T5_mT6_T7_P12ihipStream_tbENKUlT_T0_E_clISt17integral_constantIbLb1EESZ_EEDaSU_SV_EUlSU_E_NS1_11comp_targetILNS1_3genE8ELNS1_11target_archE1030ELNS1_3gpuE2ELNS1_3repE0EEENS1_30default_config_static_selectorELNS0_4arch9wavefront6targetE1EEEvT1_,comdat
	.protected	_ZN7rocprim17ROCPRIM_400000_NS6detail17trampoline_kernelINS0_14default_configENS1_27scan_by_key_config_selectorIxxEEZZNS1_16scan_by_key_implILNS1_25lookback_scan_determinismE0ELb0ES3_N6thrust23THRUST_200600_302600_NS6detail15normal_iteratorINS9_10device_ptrIxEEEESE_SE_xNS9_4plusIvEENS9_8equal_toIvEExEE10hipError_tPvRmT2_T3_T4_T5_mT6_T7_P12ihipStream_tbENKUlT_T0_E_clISt17integral_constantIbLb1EESZ_EEDaSU_SV_EUlSU_E_NS1_11comp_targetILNS1_3genE8ELNS1_11target_archE1030ELNS1_3gpuE2ELNS1_3repE0EEENS1_30default_config_static_selectorELNS0_4arch9wavefront6targetE1EEEvT1_ ; -- Begin function _ZN7rocprim17ROCPRIM_400000_NS6detail17trampoline_kernelINS0_14default_configENS1_27scan_by_key_config_selectorIxxEEZZNS1_16scan_by_key_implILNS1_25lookback_scan_determinismE0ELb0ES3_N6thrust23THRUST_200600_302600_NS6detail15normal_iteratorINS9_10device_ptrIxEEEESE_SE_xNS9_4plusIvEENS9_8equal_toIvEExEE10hipError_tPvRmT2_T3_T4_T5_mT6_T7_P12ihipStream_tbENKUlT_T0_E_clISt17integral_constantIbLb1EESZ_EEDaSU_SV_EUlSU_E_NS1_11comp_targetILNS1_3genE8ELNS1_11target_archE1030ELNS1_3gpuE2ELNS1_3repE0EEENS1_30default_config_static_selectorELNS0_4arch9wavefront6targetE1EEEvT1_
	.globl	_ZN7rocprim17ROCPRIM_400000_NS6detail17trampoline_kernelINS0_14default_configENS1_27scan_by_key_config_selectorIxxEEZZNS1_16scan_by_key_implILNS1_25lookback_scan_determinismE0ELb0ES3_N6thrust23THRUST_200600_302600_NS6detail15normal_iteratorINS9_10device_ptrIxEEEESE_SE_xNS9_4plusIvEENS9_8equal_toIvEExEE10hipError_tPvRmT2_T3_T4_T5_mT6_T7_P12ihipStream_tbENKUlT_T0_E_clISt17integral_constantIbLb1EESZ_EEDaSU_SV_EUlSU_E_NS1_11comp_targetILNS1_3genE8ELNS1_11target_archE1030ELNS1_3gpuE2ELNS1_3repE0EEENS1_30default_config_static_selectorELNS0_4arch9wavefront6targetE1EEEvT1_
	.p2align	8
	.type	_ZN7rocprim17ROCPRIM_400000_NS6detail17trampoline_kernelINS0_14default_configENS1_27scan_by_key_config_selectorIxxEEZZNS1_16scan_by_key_implILNS1_25lookback_scan_determinismE0ELb0ES3_N6thrust23THRUST_200600_302600_NS6detail15normal_iteratorINS9_10device_ptrIxEEEESE_SE_xNS9_4plusIvEENS9_8equal_toIvEExEE10hipError_tPvRmT2_T3_T4_T5_mT6_T7_P12ihipStream_tbENKUlT_T0_E_clISt17integral_constantIbLb1EESZ_EEDaSU_SV_EUlSU_E_NS1_11comp_targetILNS1_3genE8ELNS1_11target_archE1030ELNS1_3gpuE2ELNS1_3repE0EEENS1_30default_config_static_selectorELNS0_4arch9wavefront6targetE1EEEvT1_,@function
_ZN7rocprim17ROCPRIM_400000_NS6detail17trampoline_kernelINS0_14default_configENS1_27scan_by_key_config_selectorIxxEEZZNS1_16scan_by_key_implILNS1_25lookback_scan_determinismE0ELb0ES3_N6thrust23THRUST_200600_302600_NS6detail15normal_iteratorINS9_10device_ptrIxEEEESE_SE_xNS9_4plusIvEENS9_8equal_toIvEExEE10hipError_tPvRmT2_T3_T4_T5_mT6_T7_P12ihipStream_tbENKUlT_T0_E_clISt17integral_constantIbLb1EESZ_EEDaSU_SV_EUlSU_E_NS1_11comp_targetILNS1_3genE8ELNS1_11target_archE1030ELNS1_3gpuE2ELNS1_3repE0EEENS1_30default_config_static_selectorELNS0_4arch9wavefront6targetE1EEEvT1_: ; @_ZN7rocprim17ROCPRIM_400000_NS6detail17trampoline_kernelINS0_14default_configENS1_27scan_by_key_config_selectorIxxEEZZNS1_16scan_by_key_implILNS1_25lookback_scan_determinismE0ELb0ES3_N6thrust23THRUST_200600_302600_NS6detail15normal_iteratorINS9_10device_ptrIxEEEESE_SE_xNS9_4plusIvEENS9_8equal_toIvEExEE10hipError_tPvRmT2_T3_T4_T5_mT6_T7_P12ihipStream_tbENKUlT_T0_E_clISt17integral_constantIbLb1EESZ_EEDaSU_SV_EUlSU_E_NS1_11comp_targetILNS1_3genE8ELNS1_11target_archE1030ELNS1_3gpuE2ELNS1_3repE0EEENS1_30default_config_static_selectorELNS0_4arch9wavefront6targetE1EEEvT1_
; %bb.0:
	.section	.rodata,"a",@progbits
	.p2align	6, 0x0
	.amdhsa_kernel _ZN7rocprim17ROCPRIM_400000_NS6detail17trampoline_kernelINS0_14default_configENS1_27scan_by_key_config_selectorIxxEEZZNS1_16scan_by_key_implILNS1_25lookback_scan_determinismE0ELb0ES3_N6thrust23THRUST_200600_302600_NS6detail15normal_iteratorINS9_10device_ptrIxEEEESE_SE_xNS9_4plusIvEENS9_8equal_toIvEExEE10hipError_tPvRmT2_T3_T4_T5_mT6_T7_P12ihipStream_tbENKUlT_T0_E_clISt17integral_constantIbLb1EESZ_EEDaSU_SV_EUlSU_E_NS1_11comp_targetILNS1_3genE8ELNS1_11target_archE1030ELNS1_3gpuE2ELNS1_3repE0EEENS1_30default_config_static_selectorELNS0_4arch9wavefront6targetE1EEEvT1_
		.amdhsa_group_segment_fixed_size 0
		.amdhsa_private_segment_fixed_size 0
		.amdhsa_kernarg_size 136
		.amdhsa_user_sgpr_count 6
		.amdhsa_user_sgpr_private_segment_buffer 1
		.amdhsa_user_sgpr_dispatch_ptr 0
		.amdhsa_user_sgpr_queue_ptr 0
		.amdhsa_user_sgpr_kernarg_segment_ptr 1
		.amdhsa_user_sgpr_dispatch_id 0
		.amdhsa_user_sgpr_flat_scratch_init 0
		.amdhsa_user_sgpr_kernarg_preload_length 0
		.amdhsa_user_sgpr_kernarg_preload_offset 0
		.amdhsa_user_sgpr_private_segment_size 0
		.amdhsa_uses_dynamic_stack 0
		.amdhsa_system_sgpr_private_segment_wavefront_offset 0
		.amdhsa_system_sgpr_workgroup_id_x 1
		.amdhsa_system_sgpr_workgroup_id_y 0
		.amdhsa_system_sgpr_workgroup_id_z 0
		.amdhsa_system_sgpr_workgroup_info 0
		.amdhsa_system_vgpr_workitem_id 0
		.amdhsa_next_free_vgpr 1
		.amdhsa_next_free_sgpr 0
		.amdhsa_accum_offset 4
		.amdhsa_reserve_vcc 0
		.amdhsa_reserve_flat_scratch 0
		.amdhsa_float_round_mode_32 0
		.amdhsa_float_round_mode_16_64 0
		.amdhsa_float_denorm_mode_32 3
		.amdhsa_float_denorm_mode_16_64 3
		.amdhsa_dx10_clamp 1
		.amdhsa_ieee_mode 1
		.amdhsa_fp16_overflow 0
		.amdhsa_tg_split 0
		.amdhsa_exception_fp_ieee_invalid_op 0
		.amdhsa_exception_fp_denorm_src 0
		.amdhsa_exception_fp_ieee_div_zero 0
		.amdhsa_exception_fp_ieee_overflow 0
		.amdhsa_exception_fp_ieee_underflow 0
		.amdhsa_exception_fp_ieee_inexact 0
		.amdhsa_exception_int_div_zero 0
	.end_amdhsa_kernel
	.section	.text._ZN7rocprim17ROCPRIM_400000_NS6detail17trampoline_kernelINS0_14default_configENS1_27scan_by_key_config_selectorIxxEEZZNS1_16scan_by_key_implILNS1_25lookback_scan_determinismE0ELb0ES3_N6thrust23THRUST_200600_302600_NS6detail15normal_iteratorINS9_10device_ptrIxEEEESE_SE_xNS9_4plusIvEENS9_8equal_toIvEExEE10hipError_tPvRmT2_T3_T4_T5_mT6_T7_P12ihipStream_tbENKUlT_T0_E_clISt17integral_constantIbLb1EESZ_EEDaSU_SV_EUlSU_E_NS1_11comp_targetILNS1_3genE8ELNS1_11target_archE1030ELNS1_3gpuE2ELNS1_3repE0EEENS1_30default_config_static_selectorELNS0_4arch9wavefront6targetE1EEEvT1_,"axG",@progbits,_ZN7rocprim17ROCPRIM_400000_NS6detail17trampoline_kernelINS0_14default_configENS1_27scan_by_key_config_selectorIxxEEZZNS1_16scan_by_key_implILNS1_25lookback_scan_determinismE0ELb0ES3_N6thrust23THRUST_200600_302600_NS6detail15normal_iteratorINS9_10device_ptrIxEEEESE_SE_xNS9_4plusIvEENS9_8equal_toIvEExEE10hipError_tPvRmT2_T3_T4_T5_mT6_T7_P12ihipStream_tbENKUlT_T0_E_clISt17integral_constantIbLb1EESZ_EEDaSU_SV_EUlSU_E_NS1_11comp_targetILNS1_3genE8ELNS1_11target_archE1030ELNS1_3gpuE2ELNS1_3repE0EEENS1_30default_config_static_selectorELNS0_4arch9wavefront6targetE1EEEvT1_,comdat
.Lfunc_end24:
	.size	_ZN7rocprim17ROCPRIM_400000_NS6detail17trampoline_kernelINS0_14default_configENS1_27scan_by_key_config_selectorIxxEEZZNS1_16scan_by_key_implILNS1_25lookback_scan_determinismE0ELb0ES3_N6thrust23THRUST_200600_302600_NS6detail15normal_iteratorINS9_10device_ptrIxEEEESE_SE_xNS9_4plusIvEENS9_8equal_toIvEExEE10hipError_tPvRmT2_T3_T4_T5_mT6_T7_P12ihipStream_tbENKUlT_T0_E_clISt17integral_constantIbLb1EESZ_EEDaSU_SV_EUlSU_E_NS1_11comp_targetILNS1_3genE8ELNS1_11target_archE1030ELNS1_3gpuE2ELNS1_3repE0EEENS1_30default_config_static_selectorELNS0_4arch9wavefront6targetE1EEEvT1_, .Lfunc_end24-_ZN7rocprim17ROCPRIM_400000_NS6detail17trampoline_kernelINS0_14default_configENS1_27scan_by_key_config_selectorIxxEEZZNS1_16scan_by_key_implILNS1_25lookback_scan_determinismE0ELb0ES3_N6thrust23THRUST_200600_302600_NS6detail15normal_iteratorINS9_10device_ptrIxEEEESE_SE_xNS9_4plusIvEENS9_8equal_toIvEExEE10hipError_tPvRmT2_T3_T4_T5_mT6_T7_P12ihipStream_tbENKUlT_T0_E_clISt17integral_constantIbLb1EESZ_EEDaSU_SV_EUlSU_E_NS1_11comp_targetILNS1_3genE8ELNS1_11target_archE1030ELNS1_3gpuE2ELNS1_3repE0EEENS1_30default_config_static_selectorELNS0_4arch9wavefront6targetE1EEEvT1_
                                        ; -- End function
	.section	.AMDGPU.csdata,"",@progbits
; Kernel info:
; codeLenInByte = 0
; NumSgprs: 4
; NumVgprs: 0
; NumAgprs: 0
; TotalNumVgprs: 0
; ScratchSize: 0
; MemoryBound: 0
; FloatMode: 240
; IeeeMode: 1
; LDSByteSize: 0 bytes/workgroup (compile time only)
; SGPRBlocks: 0
; VGPRBlocks: 0
; NumSGPRsForWavesPerEU: 4
; NumVGPRsForWavesPerEU: 1
; AccumOffset: 4
; Occupancy: 8
; WaveLimiterHint : 0
; COMPUTE_PGM_RSRC2:SCRATCH_EN: 0
; COMPUTE_PGM_RSRC2:USER_SGPR: 6
; COMPUTE_PGM_RSRC2:TRAP_HANDLER: 0
; COMPUTE_PGM_RSRC2:TGID_X_EN: 1
; COMPUTE_PGM_RSRC2:TGID_Y_EN: 0
; COMPUTE_PGM_RSRC2:TGID_Z_EN: 0
; COMPUTE_PGM_RSRC2:TIDIG_COMP_CNT: 0
; COMPUTE_PGM_RSRC3_GFX90A:ACCUM_OFFSET: 0
; COMPUTE_PGM_RSRC3_GFX90A:TG_SPLIT: 0
	.section	.text._ZN7rocprim17ROCPRIM_400000_NS6detail30init_device_scan_by_key_kernelINS1_19lookback_scan_stateINS0_5tupleIJxbEEELb1ELb0EEEN6thrust23THRUST_200600_302600_NS6detail15normal_iteratorINS8_10device_ptrIxEEEEjNS1_16block_id_wrapperIjLb0EEEEEvT_jjPNSG_10value_typeET0_PNSt15iterator_traitsISJ_E10value_typeEmT1_T2_,"axG",@progbits,_ZN7rocprim17ROCPRIM_400000_NS6detail30init_device_scan_by_key_kernelINS1_19lookback_scan_stateINS0_5tupleIJxbEEELb1ELb0EEEN6thrust23THRUST_200600_302600_NS6detail15normal_iteratorINS8_10device_ptrIxEEEEjNS1_16block_id_wrapperIjLb0EEEEEvT_jjPNSG_10value_typeET0_PNSt15iterator_traitsISJ_E10value_typeEmT1_T2_,comdat
	.protected	_ZN7rocprim17ROCPRIM_400000_NS6detail30init_device_scan_by_key_kernelINS1_19lookback_scan_stateINS0_5tupleIJxbEEELb1ELb0EEEN6thrust23THRUST_200600_302600_NS6detail15normal_iteratorINS8_10device_ptrIxEEEEjNS1_16block_id_wrapperIjLb0EEEEEvT_jjPNSG_10value_typeET0_PNSt15iterator_traitsISJ_E10value_typeEmT1_T2_ ; -- Begin function _ZN7rocprim17ROCPRIM_400000_NS6detail30init_device_scan_by_key_kernelINS1_19lookback_scan_stateINS0_5tupleIJxbEEELb1ELb0EEEN6thrust23THRUST_200600_302600_NS6detail15normal_iteratorINS8_10device_ptrIxEEEEjNS1_16block_id_wrapperIjLb0EEEEEvT_jjPNSG_10value_typeET0_PNSt15iterator_traitsISJ_E10value_typeEmT1_T2_
	.globl	_ZN7rocprim17ROCPRIM_400000_NS6detail30init_device_scan_by_key_kernelINS1_19lookback_scan_stateINS0_5tupleIJxbEEELb1ELb0EEEN6thrust23THRUST_200600_302600_NS6detail15normal_iteratorINS8_10device_ptrIxEEEEjNS1_16block_id_wrapperIjLb0EEEEEvT_jjPNSG_10value_typeET0_PNSt15iterator_traitsISJ_E10value_typeEmT1_T2_
	.p2align	8
	.type	_ZN7rocprim17ROCPRIM_400000_NS6detail30init_device_scan_by_key_kernelINS1_19lookback_scan_stateINS0_5tupleIJxbEEELb1ELb0EEEN6thrust23THRUST_200600_302600_NS6detail15normal_iteratorINS8_10device_ptrIxEEEEjNS1_16block_id_wrapperIjLb0EEEEEvT_jjPNSG_10value_typeET0_PNSt15iterator_traitsISJ_E10value_typeEmT1_T2_,@function
_ZN7rocprim17ROCPRIM_400000_NS6detail30init_device_scan_by_key_kernelINS1_19lookback_scan_stateINS0_5tupleIJxbEEELb1ELb0EEEN6thrust23THRUST_200600_302600_NS6detail15normal_iteratorINS8_10device_ptrIxEEEEjNS1_16block_id_wrapperIjLb0EEEEEvT_jjPNSG_10value_typeET0_PNSt15iterator_traitsISJ_E10value_typeEmT1_T2_: ; @_ZN7rocprim17ROCPRIM_400000_NS6detail30init_device_scan_by_key_kernelINS1_19lookback_scan_stateINS0_5tupleIJxbEEELb1ELb0EEEN6thrust23THRUST_200600_302600_NS6detail15normal_iteratorINS8_10device_ptrIxEEEEjNS1_16block_id_wrapperIjLb0EEEEEvT_jjPNSG_10value_typeET0_PNSt15iterator_traitsISJ_E10value_typeEmT1_T2_
; %bb.0:
	s_load_dword s0, s[4:5], 0x54
	s_load_dwordx8 s[8:15], s[4:5], 0x10
	s_load_dword s20, s[4:5], 0x48
	s_waitcnt lgkmcnt(0)
	s_and_b32 s21, s0, 0xffff
	s_mul_i32 s6, s6, s21
	s_cmp_eq_u64 s[12:13], 0
	v_add_u32_e32 v0, s6, v0
	s_cbranch_scc1 .LBB25_11
; %bb.1:
	s_cmp_lt_u32 s11, s10
	s_cselect_b32 s0, s11, 0
	s_mov_b32 s17, 0
	v_cmp_eq_u32_e32 vcc, s0, v0
	s_and_saveexec_b64 s[6:7], vcc
	s_cbranch_execz .LBB25_10
; %bb.2:
	s_add_i32 s16, s11, 64
	v_mov_b32_e32 v1, s16
	global_load_ubyte v1, v1, s[8:9] glc
	s_load_dwordx4 s[0:3], s[4:5], 0x0
	s_add_u32 s18, s8, s16
	s_addc_u32 s19, s9, 0
	s_waitcnt vmcnt(0)
	v_cmp_ne_u16_e32 vcc, 0, v1
	v_readfirstlane_b32 s11, v1
	s_cbranch_vccz .LBB25_4
; %bb.3:
	s_and_b32 s11, 0xffff, s11
	s_branch .LBB25_9
.LBB25_4:
	s_mov_b32 s11, 1
	v_mov_b32_e32 v1, 0
.LBB25_5:                               ; =>This Loop Header: Depth=1
                                        ;     Child Loop BB25_6 Depth 2
	s_max_u32 s22, s11, 1
.LBB25_6:                               ;   Parent Loop BB25_5 Depth=1
                                        ; =>  This Inner Loop Header: Depth=2
	s_add_i32 s22, s22, -1
	s_cmp_eq_u32 s22, 0
	s_sleep 1
	s_cbranch_scc0 .LBB25_6
; %bb.7:                                ;   in Loop: Header=BB25_5 Depth=1
	global_load_ubyte v2, v1, s[18:19] glc
	s_cmp_lt_u32 s11, 32
	s_cselect_b64 s[22:23], -1, 0
	s_cmp_lg_u64 s[22:23], 0
	s_addc_u32 s11, s11, 0
	s_waitcnt vmcnt(0)
	v_cmp_ne_u16_e32 vcc, 0, v2
	v_readfirstlane_b32 s22, v2
	s_cbranch_vccz .LBB25_5
; %bb.8:
	s_and_b32 s11, 0xffff, s22
.LBB25_9:
	s_cmp_eq_u32 s11, 1
	s_waitcnt lgkmcnt(0)
	s_cselect_b32 s3, s1, s3
	s_cselect_b32 s2, s0, s2
	s_lshl_b64 s[0:1], s[16:17], 4
	s_add_u32 s0, s2, s0
	s_addc_u32 s1, s3, s1
	v_mov_b32_e32 v1, 0
	buffer_wbinvl1_vol
	global_load_dwordx2 v[2:3], v1, s[0:1]
	global_load_ubyte v4, v1, s[0:1] offset:8
	s_waitcnt vmcnt(1)
	global_store_dwordx2 v1, v[2:3], s[12:13]
	s_waitcnt vmcnt(1)
	global_store_byte v1, v4, s[12:13] offset:8
.LBB25_10:
	s_or_b64 exec, exec, s[6:7]
.LBB25_11:
	v_cmp_gt_u32_e32 vcc, s10, v0
	s_and_saveexec_b64 s[0:1], vcc
	s_cbranch_execz .LBB25_13
; %bb.12:
	v_add_u32_e32 v1, 64, v0
	v_mov_b32_e32 v2, 0
	global_store_byte v1, v2, s[8:9]
.LBB25_13:
	s_or_b64 exec, exec, s[0:1]
	v_cmp_gt_u32_e32 vcc, 64, v0
	v_mov_b32_e32 v1, 0
	s_and_saveexec_b64 s[0:1], vcc
	s_cbranch_execz .LBB25_15
; %bb.14:
	v_mov_b32_e32 v3, s9
	v_add_co_u32_e32 v2, vcc, s8, v0
	v_addc_co_u32_e32 v3, vcc, 0, v3, vcc
	v_mov_b32_e32 v4, 0xff
	global_store_byte v[2:3], v4, off
.LBB25_15:
	s_or_b64 exec, exec, s[0:1]
	s_load_dwordx2 s[0:1], s[4:5], 0x38
	s_waitcnt lgkmcnt(0)
	v_cmp_gt_u64_e32 vcc, s[0:1], v[0:1]
	s_and_saveexec_b64 s[2:3], vcc
	s_cbranch_execz .LBB25_18
; %bb.16:
	s_load_dword s10, s[4:5], 0x40
	s_load_dwordx2 s[6:7], s[4:5], 0x30
	s_mov_b32 s5, 0
	s_mov_b32 s3, s5
	s_mul_i32 s2, s20, s21
	s_waitcnt lgkmcnt(0)
	s_add_i32 s4, s10, -1
	s_lshl_b64 s[4:5], s[4:5], 3
	v_mad_u64_u32 v[2:3], s[8:9], s10, v0, 0
	s_add_u32 s4, s14, s4
	v_lshlrev_b64 v[2:3], 3, v[2:3]
	s_addc_u32 s5, s15, s5
	v_mov_b32_e32 v4, s5
	v_add_co_u32_e32 v2, vcc, s4, v2
	v_addc_co_u32_e32 v3, vcc, v4, v3, vcc
	s_mul_hi_u32 s5, s10, s2
	s_mul_i32 s4, s10, s2
	v_lshlrev_b64 v[4:5], 3, v[0:1]
	s_lshl_b64 s[4:5], s[4:5], 3
	v_mov_b32_e32 v6, s7
	v_add_co_u32_e32 v4, vcc, s6, v4
	s_lshl_b64 s[6:7], s[2:3], 3
	v_addc_co_u32_e32 v5, vcc, v6, v5, vcc
	s_mov_b64 s[8:9], 0
	v_mov_b32_e32 v6, s3
	v_mov_b32_e32 v7, s5
	;; [unrolled: 1-line block ×3, first 2 shown]
.LBB25_17:                              ; =>This Inner Loop Header: Depth=1
	global_load_dwordx2 v[10:11], v[2:3], off
	v_add_co_u32_e32 v0, vcc, s2, v0
	v_addc_co_u32_e32 v1, vcc, v1, v6, vcc
	v_add_co_u32_e32 v2, vcc, s4, v2
	v_addc_co_u32_e32 v3, vcc, v3, v7, vcc
	v_cmp_le_u64_e32 vcc, s[0:1], v[0:1]
	s_or_b64 s[8:9], vcc, s[8:9]
	s_waitcnt vmcnt(0)
	global_store_dwordx2 v[4:5], v[10:11], off
	v_add_co_u32_e32 v4, vcc, s6, v4
	v_addc_co_u32_e32 v5, vcc, v5, v8, vcc
	s_andn2_b64 exec, exec, s[8:9]
	s_cbranch_execnz .LBB25_17
.LBB25_18:
	s_endpgm
	.section	.rodata,"a",@progbits
	.p2align	6, 0x0
	.amdhsa_kernel _ZN7rocprim17ROCPRIM_400000_NS6detail30init_device_scan_by_key_kernelINS1_19lookback_scan_stateINS0_5tupleIJxbEEELb1ELb0EEEN6thrust23THRUST_200600_302600_NS6detail15normal_iteratorINS8_10device_ptrIxEEEEjNS1_16block_id_wrapperIjLb0EEEEEvT_jjPNSG_10value_typeET0_PNSt15iterator_traitsISJ_E10value_typeEmT1_T2_
		.amdhsa_group_segment_fixed_size 0
		.amdhsa_private_segment_fixed_size 0
		.amdhsa_kernarg_size 328
		.amdhsa_user_sgpr_count 6
		.amdhsa_user_sgpr_private_segment_buffer 1
		.amdhsa_user_sgpr_dispatch_ptr 0
		.amdhsa_user_sgpr_queue_ptr 0
		.amdhsa_user_sgpr_kernarg_segment_ptr 1
		.amdhsa_user_sgpr_dispatch_id 0
		.amdhsa_user_sgpr_flat_scratch_init 0
		.amdhsa_user_sgpr_kernarg_preload_length 0
		.amdhsa_user_sgpr_kernarg_preload_offset 0
		.amdhsa_user_sgpr_private_segment_size 0
		.amdhsa_uses_dynamic_stack 0
		.amdhsa_system_sgpr_private_segment_wavefront_offset 0
		.amdhsa_system_sgpr_workgroup_id_x 1
		.amdhsa_system_sgpr_workgroup_id_y 0
		.amdhsa_system_sgpr_workgroup_id_z 0
		.amdhsa_system_sgpr_workgroup_info 0
		.amdhsa_system_vgpr_workitem_id 0
		.amdhsa_next_free_vgpr 12
		.amdhsa_next_free_sgpr 24
		.amdhsa_accum_offset 12
		.amdhsa_reserve_vcc 1
		.amdhsa_reserve_flat_scratch 0
		.amdhsa_float_round_mode_32 0
		.amdhsa_float_round_mode_16_64 0
		.amdhsa_float_denorm_mode_32 3
		.amdhsa_float_denorm_mode_16_64 3
		.amdhsa_dx10_clamp 1
		.amdhsa_ieee_mode 1
		.amdhsa_fp16_overflow 0
		.amdhsa_tg_split 0
		.amdhsa_exception_fp_ieee_invalid_op 0
		.amdhsa_exception_fp_denorm_src 0
		.amdhsa_exception_fp_ieee_div_zero 0
		.amdhsa_exception_fp_ieee_overflow 0
		.amdhsa_exception_fp_ieee_underflow 0
		.amdhsa_exception_fp_ieee_inexact 0
		.amdhsa_exception_int_div_zero 0
	.end_amdhsa_kernel
	.section	.text._ZN7rocprim17ROCPRIM_400000_NS6detail30init_device_scan_by_key_kernelINS1_19lookback_scan_stateINS0_5tupleIJxbEEELb1ELb0EEEN6thrust23THRUST_200600_302600_NS6detail15normal_iteratorINS8_10device_ptrIxEEEEjNS1_16block_id_wrapperIjLb0EEEEEvT_jjPNSG_10value_typeET0_PNSt15iterator_traitsISJ_E10value_typeEmT1_T2_,"axG",@progbits,_ZN7rocprim17ROCPRIM_400000_NS6detail30init_device_scan_by_key_kernelINS1_19lookback_scan_stateINS0_5tupleIJxbEEELb1ELb0EEEN6thrust23THRUST_200600_302600_NS6detail15normal_iteratorINS8_10device_ptrIxEEEEjNS1_16block_id_wrapperIjLb0EEEEEvT_jjPNSG_10value_typeET0_PNSt15iterator_traitsISJ_E10value_typeEmT1_T2_,comdat
.Lfunc_end25:
	.size	_ZN7rocprim17ROCPRIM_400000_NS6detail30init_device_scan_by_key_kernelINS1_19lookback_scan_stateINS0_5tupleIJxbEEELb1ELb0EEEN6thrust23THRUST_200600_302600_NS6detail15normal_iteratorINS8_10device_ptrIxEEEEjNS1_16block_id_wrapperIjLb0EEEEEvT_jjPNSG_10value_typeET0_PNSt15iterator_traitsISJ_E10value_typeEmT1_T2_, .Lfunc_end25-_ZN7rocprim17ROCPRIM_400000_NS6detail30init_device_scan_by_key_kernelINS1_19lookback_scan_stateINS0_5tupleIJxbEEELb1ELb0EEEN6thrust23THRUST_200600_302600_NS6detail15normal_iteratorINS8_10device_ptrIxEEEEjNS1_16block_id_wrapperIjLb0EEEEEvT_jjPNSG_10value_typeET0_PNSt15iterator_traitsISJ_E10value_typeEmT1_T2_
                                        ; -- End function
	.section	.AMDGPU.csdata,"",@progbits
; Kernel info:
; codeLenInByte = 592
; NumSgprs: 28
; NumVgprs: 12
; NumAgprs: 0
; TotalNumVgprs: 12
; ScratchSize: 0
; MemoryBound: 0
; FloatMode: 240
; IeeeMode: 1
; LDSByteSize: 0 bytes/workgroup (compile time only)
; SGPRBlocks: 3
; VGPRBlocks: 1
; NumSGPRsForWavesPerEU: 28
; NumVGPRsForWavesPerEU: 12
; AccumOffset: 12
; Occupancy: 8
; WaveLimiterHint : 0
; COMPUTE_PGM_RSRC2:SCRATCH_EN: 0
; COMPUTE_PGM_RSRC2:USER_SGPR: 6
; COMPUTE_PGM_RSRC2:TRAP_HANDLER: 0
; COMPUTE_PGM_RSRC2:TGID_X_EN: 1
; COMPUTE_PGM_RSRC2:TGID_Y_EN: 0
; COMPUTE_PGM_RSRC2:TGID_Z_EN: 0
; COMPUTE_PGM_RSRC2:TIDIG_COMP_CNT: 0
; COMPUTE_PGM_RSRC3_GFX90A:ACCUM_OFFSET: 2
; COMPUTE_PGM_RSRC3_GFX90A:TG_SPLIT: 0
	.section	.text._ZN7rocprim17ROCPRIM_400000_NS6detail30init_device_scan_by_key_kernelINS1_19lookback_scan_stateINS0_5tupleIJxbEEELb1ELb0EEENS1_16block_id_wrapperIjLb0EEEEEvT_jjPNS9_10value_typeET0_,"axG",@progbits,_ZN7rocprim17ROCPRIM_400000_NS6detail30init_device_scan_by_key_kernelINS1_19lookback_scan_stateINS0_5tupleIJxbEEELb1ELb0EEENS1_16block_id_wrapperIjLb0EEEEEvT_jjPNS9_10value_typeET0_,comdat
	.protected	_ZN7rocprim17ROCPRIM_400000_NS6detail30init_device_scan_by_key_kernelINS1_19lookback_scan_stateINS0_5tupleIJxbEEELb1ELb0EEENS1_16block_id_wrapperIjLb0EEEEEvT_jjPNS9_10value_typeET0_ ; -- Begin function _ZN7rocprim17ROCPRIM_400000_NS6detail30init_device_scan_by_key_kernelINS1_19lookback_scan_stateINS0_5tupleIJxbEEELb1ELb0EEENS1_16block_id_wrapperIjLb0EEEEEvT_jjPNS9_10value_typeET0_
	.globl	_ZN7rocprim17ROCPRIM_400000_NS6detail30init_device_scan_by_key_kernelINS1_19lookback_scan_stateINS0_5tupleIJxbEEELb1ELb0EEENS1_16block_id_wrapperIjLb0EEEEEvT_jjPNS9_10value_typeET0_
	.p2align	8
	.type	_ZN7rocprim17ROCPRIM_400000_NS6detail30init_device_scan_by_key_kernelINS1_19lookback_scan_stateINS0_5tupleIJxbEEELb1ELb0EEENS1_16block_id_wrapperIjLb0EEEEEvT_jjPNS9_10value_typeET0_,@function
_ZN7rocprim17ROCPRIM_400000_NS6detail30init_device_scan_by_key_kernelINS1_19lookback_scan_stateINS0_5tupleIJxbEEELb1ELb0EEENS1_16block_id_wrapperIjLb0EEEEEvT_jjPNS9_10value_typeET0_: ; @_ZN7rocprim17ROCPRIM_400000_NS6detail30init_device_scan_by_key_kernelINS1_19lookback_scan_stateINS0_5tupleIJxbEEELb1ELb0EEENS1_16block_id_wrapperIjLb0EEEEEvT_jjPNS9_10value_typeET0_
; %bb.0:
	s_load_dword s7, s[4:5], 0x3c
	s_load_dwordx2 s[8:9], s[4:5], 0x20
	s_load_dwordx4 s[0:3], s[4:5], 0x10
	s_waitcnt lgkmcnt(0)
	s_and_b32 s7, s7, 0xffff
	s_mul_i32 s6, s6, s7
	s_cmp_eq_u64 s[8:9], 0
	v_add_u32_e32 v0, s6, v0
	s_cbranch_scc1 .LBB26_11
; %bb.1:
	s_cmp_lt_u32 s3, s2
	s_cselect_b32 s6, s3, 0
	s_mov_b32 s13, 0
	v_cmp_eq_u32_e32 vcc, s6, v0
	s_and_saveexec_b64 s[10:11], vcc
	s_cbranch_execz .LBB26_10
; %bb.2:
	s_add_i32 s12, s3, 64
	v_mov_b32_e32 v1, s12
	global_load_ubyte v1, v1, s[0:1] glc
	s_load_dwordx4 s[4:7], s[4:5], 0x0
	s_add_u32 s14, s0, s12
	s_addc_u32 s15, s1, 0
	s_waitcnt vmcnt(0)
	v_cmp_ne_u16_e32 vcc, 0, v1
	v_readfirstlane_b32 s3, v1
	s_cbranch_vccz .LBB26_4
; %bb.3:
	s_and_b32 s3, 0xffff, s3
	s_branch .LBB26_9
.LBB26_4:
	s_mov_b32 s3, 1
	v_mov_b32_e32 v1, 0
.LBB26_5:                               ; =>This Loop Header: Depth=1
                                        ;     Child Loop BB26_6 Depth 2
	s_max_u32 s16, s3, 1
.LBB26_6:                               ;   Parent Loop BB26_5 Depth=1
                                        ; =>  This Inner Loop Header: Depth=2
	s_add_i32 s16, s16, -1
	s_cmp_eq_u32 s16, 0
	s_sleep 1
	s_cbranch_scc0 .LBB26_6
; %bb.7:                                ;   in Loop: Header=BB26_5 Depth=1
	global_load_ubyte v2, v1, s[14:15] glc
	s_cmp_lt_u32 s3, 32
	s_cselect_b64 s[16:17], -1, 0
	s_cmp_lg_u64 s[16:17], 0
	s_addc_u32 s3, s3, 0
	s_waitcnt vmcnt(0)
	v_cmp_ne_u16_e32 vcc, 0, v2
	v_readfirstlane_b32 s16, v2
	s_cbranch_vccz .LBB26_5
; %bb.8:
	s_and_b32 s3, 0xffff, s16
.LBB26_9:
	s_cmp_eq_u32 s3, 1
	s_waitcnt lgkmcnt(0)
	s_cselect_b32 s3, s5, s7
	s_cselect_b32 s6, s4, s6
	s_lshl_b64 s[4:5], s[12:13], 4
	s_add_u32 s4, s6, s4
	s_addc_u32 s5, s3, s5
	v_mov_b32_e32 v1, 0
	buffer_wbinvl1_vol
	global_load_dwordx2 v[2:3], v1, s[4:5]
	global_load_ubyte v4, v1, s[4:5] offset:8
	s_waitcnt vmcnt(1)
	global_store_dwordx2 v1, v[2:3], s[8:9]
	s_waitcnt vmcnt(1)
	global_store_byte v1, v4, s[8:9] offset:8
.LBB26_10:
	s_or_b64 exec, exec, s[10:11]
.LBB26_11:
	v_cmp_gt_u32_e32 vcc, s2, v0
	s_and_saveexec_b64 s[2:3], vcc
	s_cbranch_execnz .LBB26_14
; %bb.12:
	s_or_b64 exec, exec, s[2:3]
	v_cmp_gt_u32_e32 vcc, 64, v0
	s_and_saveexec_b64 s[2:3], vcc
	s_cbranch_execnz .LBB26_15
.LBB26_13:
	s_endpgm
.LBB26_14:
	v_add_u32_e32 v1, 64, v0
	v_mov_b32_e32 v2, 0
	global_store_byte v1, v2, s[0:1]
	s_or_b64 exec, exec, s[2:3]
	v_cmp_gt_u32_e32 vcc, 64, v0
	s_and_saveexec_b64 s[2:3], vcc
	s_cbranch_execz .LBB26_13
.LBB26_15:
	v_mov_b32_e32 v1, 0xff
	global_store_byte v0, v1, s[0:1]
	s_endpgm
	.section	.rodata,"a",@progbits
	.p2align	6, 0x0
	.amdhsa_kernel _ZN7rocprim17ROCPRIM_400000_NS6detail30init_device_scan_by_key_kernelINS1_19lookback_scan_stateINS0_5tupleIJxbEEELb1ELb0EEENS1_16block_id_wrapperIjLb0EEEEEvT_jjPNS9_10value_typeET0_
		.amdhsa_group_segment_fixed_size 0
		.amdhsa_private_segment_fixed_size 0
		.amdhsa_kernarg_size 304
		.amdhsa_user_sgpr_count 6
		.amdhsa_user_sgpr_private_segment_buffer 1
		.amdhsa_user_sgpr_dispatch_ptr 0
		.amdhsa_user_sgpr_queue_ptr 0
		.amdhsa_user_sgpr_kernarg_segment_ptr 1
		.amdhsa_user_sgpr_dispatch_id 0
		.amdhsa_user_sgpr_flat_scratch_init 0
		.amdhsa_user_sgpr_kernarg_preload_length 0
		.amdhsa_user_sgpr_kernarg_preload_offset 0
		.amdhsa_user_sgpr_private_segment_size 0
		.amdhsa_uses_dynamic_stack 0
		.amdhsa_system_sgpr_private_segment_wavefront_offset 0
		.amdhsa_system_sgpr_workgroup_id_x 1
		.amdhsa_system_sgpr_workgroup_id_y 0
		.amdhsa_system_sgpr_workgroup_id_z 0
		.amdhsa_system_sgpr_workgroup_info 0
		.amdhsa_system_vgpr_workitem_id 0
		.amdhsa_next_free_vgpr 5
		.amdhsa_next_free_sgpr 18
		.amdhsa_accum_offset 8
		.amdhsa_reserve_vcc 1
		.amdhsa_reserve_flat_scratch 0
		.amdhsa_float_round_mode_32 0
		.amdhsa_float_round_mode_16_64 0
		.amdhsa_float_denorm_mode_32 3
		.amdhsa_float_denorm_mode_16_64 3
		.amdhsa_dx10_clamp 1
		.amdhsa_ieee_mode 1
		.amdhsa_fp16_overflow 0
		.amdhsa_tg_split 0
		.amdhsa_exception_fp_ieee_invalid_op 0
		.amdhsa_exception_fp_denorm_src 0
		.amdhsa_exception_fp_ieee_div_zero 0
		.amdhsa_exception_fp_ieee_overflow 0
		.amdhsa_exception_fp_ieee_underflow 0
		.amdhsa_exception_fp_ieee_inexact 0
		.amdhsa_exception_int_div_zero 0
	.end_amdhsa_kernel
	.section	.text._ZN7rocprim17ROCPRIM_400000_NS6detail30init_device_scan_by_key_kernelINS1_19lookback_scan_stateINS0_5tupleIJxbEEELb1ELb0EEENS1_16block_id_wrapperIjLb0EEEEEvT_jjPNS9_10value_typeET0_,"axG",@progbits,_ZN7rocprim17ROCPRIM_400000_NS6detail30init_device_scan_by_key_kernelINS1_19lookback_scan_stateINS0_5tupleIJxbEEELb1ELb0EEENS1_16block_id_wrapperIjLb0EEEEEvT_jjPNS9_10value_typeET0_,comdat
.Lfunc_end26:
	.size	_ZN7rocprim17ROCPRIM_400000_NS6detail30init_device_scan_by_key_kernelINS1_19lookback_scan_stateINS0_5tupleIJxbEEELb1ELb0EEENS1_16block_id_wrapperIjLb0EEEEEvT_jjPNS9_10value_typeET0_, .Lfunc_end26-_ZN7rocprim17ROCPRIM_400000_NS6detail30init_device_scan_by_key_kernelINS1_19lookback_scan_stateINS0_5tupleIJxbEEELb1ELb0EEENS1_16block_id_wrapperIjLb0EEEEEvT_jjPNS9_10value_typeET0_
                                        ; -- End function
	.section	.AMDGPU.csdata,"",@progbits
; Kernel info:
; codeLenInByte = 380
; NumSgprs: 22
; NumVgprs: 5
; NumAgprs: 0
; TotalNumVgprs: 5
; ScratchSize: 0
; MemoryBound: 0
; FloatMode: 240
; IeeeMode: 1
; LDSByteSize: 0 bytes/workgroup (compile time only)
; SGPRBlocks: 2
; VGPRBlocks: 0
; NumSGPRsForWavesPerEU: 22
; NumVGPRsForWavesPerEU: 5
; AccumOffset: 8
; Occupancy: 8
; WaveLimiterHint : 0
; COMPUTE_PGM_RSRC2:SCRATCH_EN: 0
; COMPUTE_PGM_RSRC2:USER_SGPR: 6
; COMPUTE_PGM_RSRC2:TRAP_HANDLER: 0
; COMPUTE_PGM_RSRC2:TGID_X_EN: 1
; COMPUTE_PGM_RSRC2:TGID_Y_EN: 0
; COMPUTE_PGM_RSRC2:TGID_Z_EN: 0
; COMPUTE_PGM_RSRC2:TIDIG_COMP_CNT: 0
; COMPUTE_PGM_RSRC3_GFX90A:ACCUM_OFFSET: 1
; COMPUTE_PGM_RSRC3_GFX90A:TG_SPLIT: 0
	.section	.text._ZN7rocprim17ROCPRIM_400000_NS6detail17trampoline_kernelINS0_14default_configENS1_27scan_by_key_config_selectorIxxEEZZNS1_16scan_by_key_implILNS1_25lookback_scan_determinismE0ELb0ES3_N6thrust23THRUST_200600_302600_NS6detail15normal_iteratorINS9_10device_ptrIxEEEESE_SE_xNS9_4plusIvEENS9_8equal_toIvEExEE10hipError_tPvRmT2_T3_T4_T5_mT6_T7_P12ihipStream_tbENKUlT_T0_E_clISt17integral_constantIbLb1EESY_IbLb0EEEEDaSU_SV_EUlSU_E_NS1_11comp_targetILNS1_3genE0ELNS1_11target_archE4294967295ELNS1_3gpuE0ELNS1_3repE0EEENS1_30default_config_static_selectorELNS0_4arch9wavefront6targetE1EEEvT1_,"axG",@progbits,_ZN7rocprim17ROCPRIM_400000_NS6detail17trampoline_kernelINS0_14default_configENS1_27scan_by_key_config_selectorIxxEEZZNS1_16scan_by_key_implILNS1_25lookback_scan_determinismE0ELb0ES3_N6thrust23THRUST_200600_302600_NS6detail15normal_iteratorINS9_10device_ptrIxEEEESE_SE_xNS9_4plusIvEENS9_8equal_toIvEExEE10hipError_tPvRmT2_T3_T4_T5_mT6_T7_P12ihipStream_tbENKUlT_T0_E_clISt17integral_constantIbLb1EESY_IbLb0EEEEDaSU_SV_EUlSU_E_NS1_11comp_targetILNS1_3genE0ELNS1_11target_archE4294967295ELNS1_3gpuE0ELNS1_3repE0EEENS1_30default_config_static_selectorELNS0_4arch9wavefront6targetE1EEEvT1_,comdat
	.protected	_ZN7rocprim17ROCPRIM_400000_NS6detail17trampoline_kernelINS0_14default_configENS1_27scan_by_key_config_selectorIxxEEZZNS1_16scan_by_key_implILNS1_25lookback_scan_determinismE0ELb0ES3_N6thrust23THRUST_200600_302600_NS6detail15normal_iteratorINS9_10device_ptrIxEEEESE_SE_xNS9_4plusIvEENS9_8equal_toIvEExEE10hipError_tPvRmT2_T3_T4_T5_mT6_T7_P12ihipStream_tbENKUlT_T0_E_clISt17integral_constantIbLb1EESY_IbLb0EEEEDaSU_SV_EUlSU_E_NS1_11comp_targetILNS1_3genE0ELNS1_11target_archE4294967295ELNS1_3gpuE0ELNS1_3repE0EEENS1_30default_config_static_selectorELNS0_4arch9wavefront6targetE1EEEvT1_ ; -- Begin function _ZN7rocprim17ROCPRIM_400000_NS6detail17trampoline_kernelINS0_14default_configENS1_27scan_by_key_config_selectorIxxEEZZNS1_16scan_by_key_implILNS1_25lookback_scan_determinismE0ELb0ES3_N6thrust23THRUST_200600_302600_NS6detail15normal_iteratorINS9_10device_ptrIxEEEESE_SE_xNS9_4plusIvEENS9_8equal_toIvEExEE10hipError_tPvRmT2_T3_T4_T5_mT6_T7_P12ihipStream_tbENKUlT_T0_E_clISt17integral_constantIbLb1EESY_IbLb0EEEEDaSU_SV_EUlSU_E_NS1_11comp_targetILNS1_3genE0ELNS1_11target_archE4294967295ELNS1_3gpuE0ELNS1_3repE0EEENS1_30default_config_static_selectorELNS0_4arch9wavefront6targetE1EEEvT1_
	.globl	_ZN7rocprim17ROCPRIM_400000_NS6detail17trampoline_kernelINS0_14default_configENS1_27scan_by_key_config_selectorIxxEEZZNS1_16scan_by_key_implILNS1_25lookback_scan_determinismE0ELb0ES3_N6thrust23THRUST_200600_302600_NS6detail15normal_iteratorINS9_10device_ptrIxEEEESE_SE_xNS9_4plusIvEENS9_8equal_toIvEExEE10hipError_tPvRmT2_T3_T4_T5_mT6_T7_P12ihipStream_tbENKUlT_T0_E_clISt17integral_constantIbLb1EESY_IbLb0EEEEDaSU_SV_EUlSU_E_NS1_11comp_targetILNS1_3genE0ELNS1_11target_archE4294967295ELNS1_3gpuE0ELNS1_3repE0EEENS1_30default_config_static_selectorELNS0_4arch9wavefront6targetE1EEEvT1_
	.p2align	8
	.type	_ZN7rocprim17ROCPRIM_400000_NS6detail17trampoline_kernelINS0_14default_configENS1_27scan_by_key_config_selectorIxxEEZZNS1_16scan_by_key_implILNS1_25lookback_scan_determinismE0ELb0ES3_N6thrust23THRUST_200600_302600_NS6detail15normal_iteratorINS9_10device_ptrIxEEEESE_SE_xNS9_4plusIvEENS9_8equal_toIvEExEE10hipError_tPvRmT2_T3_T4_T5_mT6_T7_P12ihipStream_tbENKUlT_T0_E_clISt17integral_constantIbLb1EESY_IbLb0EEEEDaSU_SV_EUlSU_E_NS1_11comp_targetILNS1_3genE0ELNS1_11target_archE4294967295ELNS1_3gpuE0ELNS1_3repE0EEENS1_30default_config_static_selectorELNS0_4arch9wavefront6targetE1EEEvT1_,@function
_ZN7rocprim17ROCPRIM_400000_NS6detail17trampoline_kernelINS0_14default_configENS1_27scan_by_key_config_selectorIxxEEZZNS1_16scan_by_key_implILNS1_25lookback_scan_determinismE0ELb0ES3_N6thrust23THRUST_200600_302600_NS6detail15normal_iteratorINS9_10device_ptrIxEEEESE_SE_xNS9_4plusIvEENS9_8equal_toIvEExEE10hipError_tPvRmT2_T3_T4_T5_mT6_T7_P12ihipStream_tbENKUlT_T0_E_clISt17integral_constantIbLb1EESY_IbLb0EEEEDaSU_SV_EUlSU_E_NS1_11comp_targetILNS1_3genE0ELNS1_11target_archE4294967295ELNS1_3gpuE0ELNS1_3repE0EEENS1_30default_config_static_selectorELNS0_4arch9wavefront6targetE1EEEvT1_: ; @_ZN7rocprim17ROCPRIM_400000_NS6detail17trampoline_kernelINS0_14default_configENS1_27scan_by_key_config_selectorIxxEEZZNS1_16scan_by_key_implILNS1_25lookback_scan_determinismE0ELb0ES3_N6thrust23THRUST_200600_302600_NS6detail15normal_iteratorINS9_10device_ptrIxEEEESE_SE_xNS9_4plusIvEENS9_8equal_toIvEExEE10hipError_tPvRmT2_T3_T4_T5_mT6_T7_P12ihipStream_tbENKUlT_T0_E_clISt17integral_constantIbLb1EESY_IbLb0EEEEDaSU_SV_EUlSU_E_NS1_11comp_targetILNS1_3genE0ELNS1_11target_archE4294967295ELNS1_3gpuE0ELNS1_3repE0EEENS1_30default_config_static_selectorELNS0_4arch9wavefront6targetE1EEEvT1_
; %bb.0:
	.section	.rodata,"a",@progbits
	.p2align	6, 0x0
	.amdhsa_kernel _ZN7rocprim17ROCPRIM_400000_NS6detail17trampoline_kernelINS0_14default_configENS1_27scan_by_key_config_selectorIxxEEZZNS1_16scan_by_key_implILNS1_25lookback_scan_determinismE0ELb0ES3_N6thrust23THRUST_200600_302600_NS6detail15normal_iteratorINS9_10device_ptrIxEEEESE_SE_xNS9_4plusIvEENS9_8equal_toIvEExEE10hipError_tPvRmT2_T3_T4_T5_mT6_T7_P12ihipStream_tbENKUlT_T0_E_clISt17integral_constantIbLb1EESY_IbLb0EEEEDaSU_SV_EUlSU_E_NS1_11comp_targetILNS1_3genE0ELNS1_11target_archE4294967295ELNS1_3gpuE0ELNS1_3repE0EEENS1_30default_config_static_selectorELNS0_4arch9wavefront6targetE1EEEvT1_
		.amdhsa_group_segment_fixed_size 0
		.amdhsa_private_segment_fixed_size 0
		.amdhsa_kernarg_size 136
		.amdhsa_user_sgpr_count 6
		.amdhsa_user_sgpr_private_segment_buffer 1
		.amdhsa_user_sgpr_dispatch_ptr 0
		.amdhsa_user_sgpr_queue_ptr 0
		.amdhsa_user_sgpr_kernarg_segment_ptr 1
		.amdhsa_user_sgpr_dispatch_id 0
		.amdhsa_user_sgpr_flat_scratch_init 0
		.amdhsa_user_sgpr_kernarg_preload_length 0
		.amdhsa_user_sgpr_kernarg_preload_offset 0
		.amdhsa_user_sgpr_private_segment_size 0
		.amdhsa_uses_dynamic_stack 0
		.amdhsa_system_sgpr_private_segment_wavefront_offset 0
		.amdhsa_system_sgpr_workgroup_id_x 1
		.amdhsa_system_sgpr_workgroup_id_y 0
		.amdhsa_system_sgpr_workgroup_id_z 0
		.amdhsa_system_sgpr_workgroup_info 0
		.amdhsa_system_vgpr_workitem_id 0
		.amdhsa_next_free_vgpr 1
		.amdhsa_next_free_sgpr 0
		.amdhsa_accum_offset 4
		.amdhsa_reserve_vcc 0
		.amdhsa_reserve_flat_scratch 0
		.amdhsa_float_round_mode_32 0
		.amdhsa_float_round_mode_16_64 0
		.amdhsa_float_denorm_mode_32 3
		.amdhsa_float_denorm_mode_16_64 3
		.amdhsa_dx10_clamp 1
		.amdhsa_ieee_mode 1
		.amdhsa_fp16_overflow 0
		.amdhsa_tg_split 0
		.amdhsa_exception_fp_ieee_invalid_op 0
		.amdhsa_exception_fp_denorm_src 0
		.amdhsa_exception_fp_ieee_div_zero 0
		.amdhsa_exception_fp_ieee_overflow 0
		.amdhsa_exception_fp_ieee_underflow 0
		.amdhsa_exception_fp_ieee_inexact 0
		.amdhsa_exception_int_div_zero 0
	.end_amdhsa_kernel
	.section	.text._ZN7rocprim17ROCPRIM_400000_NS6detail17trampoline_kernelINS0_14default_configENS1_27scan_by_key_config_selectorIxxEEZZNS1_16scan_by_key_implILNS1_25lookback_scan_determinismE0ELb0ES3_N6thrust23THRUST_200600_302600_NS6detail15normal_iteratorINS9_10device_ptrIxEEEESE_SE_xNS9_4plusIvEENS9_8equal_toIvEExEE10hipError_tPvRmT2_T3_T4_T5_mT6_T7_P12ihipStream_tbENKUlT_T0_E_clISt17integral_constantIbLb1EESY_IbLb0EEEEDaSU_SV_EUlSU_E_NS1_11comp_targetILNS1_3genE0ELNS1_11target_archE4294967295ELNS1_3gpuE0ELNS1_3repE0EEENS1_30default_config_static_selectorELNS0_4arch9wavefront6targetE1EEEvT1_,"axG",@progbits,_ZN7rocprim17ROCPRIM_400000_NS6detail17trampoline_kernelINS0_14default_configENS1_27scan_by_key_config_selectorIxxEEZZNS1_16scan_by_key_implILNS1_25lookback_scan_determinismE0ELb0ES3_N6thrust23THRUST_200600_302600_NS6detail15normal_iteratorINS9_10device_ptrIxEEEESE_SE_xNS9_4plusIvEENS9_8equal_toIvEExEE10hipError_tPvRmT2_T3_T4_T5_mT6_T7_P12ihipStream_tbENKUlT_T0_E_clISt17integral_constantIbLb1EESY_IbLb0EEEEDaSU_SV_EUlSU_E_NS1_11comp_targetILNS1_3genE0ELNS1_11target_archE4294967295ELNS1_3gpuE0ELNS1_3repE0EEENS1_30default_config_static_selectorELNS0_4arch9wavefront6targetE1EEEvT1_,comdat
.Lfunc_end27:
	.size	_ZN7rocprim17ROCPRIM_400000_NS6detail17trampoline_kernelINS0_14default_configENS1_27scan_by_key_config_selectorIxxEEZZNS1_16scan_by_key_implILNS1_25lookback_scan_determinismE0ELb0ES3_N6thrust23THRUST_200600_302600_NS6detail15normal_iteratorINS9_10device_ptrIxEEEESE_SE_xNS9_4plusIvEENS9_8equal_toIvEExEE10hipError_tPvRmT2_T3_T4_T5_mT6_T7_P12ihipStream_tbENKUlT_T0_E_clISt17integral_constantIbLb1EESY_IbLb0EEEEDaSU_SV_EUlSU_E_NS1_11comp_targetILNS1_3genE0ELNS1_11target_archE4294967295ELNS1_3gpuE0ELNS1_3repE0EEENS1_30default_config_static_selectorELNS0_4arch9wavefront6targetE1EEEvT1_, .Lfunc_end27-_ZN7rocprim17ROCPRIM_400000_NS6detail17trampoline_kernelINS0_14default_configENS1_27scan_by_key_config_selectorIxxEEZZNS1_16scan_by_key_implILNS1_25lookback_scan_determinismE0ELb0ES3_N6thrust23THRUST_200600_302600_NS6detail15normal_iteratorINS9_10device_ptrIxEEEESE_SE_xNS9_4plusIvEENS9_8equal_toIvEExEE10hipError_tPvRmT2_T3_T4_T5_mT6_T7_P12ihipStream_tbENKUlT_T0_E_clISt17integral_constantIbLb1EESY_IbLb0EEEEDaSU_SV_EUlSU_E_NS1_11comp_targetILNS1_3genE0ELNS1_11target_archE4294967295ELNS1_3gpuE0ELNS1_3repE0EEENS1_30default_config_static_selectorELNS0_4arch9wavefront6targetE1EEEvT1_
                                        ; -- End function
	.section	.AMDGPU.csdata,"",@progbits
; Kernel info:
; codeLenInByte = 0
; NumSgprs: 4
; NumVgprs: 0
; NumAgprs: 0
; TotalNumVgprs: 0
; ScratchSize: 0
; MemoryBound: 0
; FloatMode: 240
; IeeeMode: 1
; LDSByteSize: 0 bytes/workgroup (compile time only)
; SGPRBlocks: 0
; VGPRBlocks: 0
; NumSGPRsForWavesPerEU: 4
; NumVGPRsForWavesPerEU: 1
; AccumOffset: 4
; Occupancy: 8
; WaveLimiterHint : 0
; COMPUTE_PGM_RSRC2:SCRATCH_EN: 0
; COMPUTE_PGM_RSRC2:USER_SGPR: 6
; COMPUTE_PGM_RSRC2:TRAP_HANDLER: 0
; COMPUTE_PGM_RSRC2:TGID_X_EN: 1
; COMPUTE_PGM_RSRC2:TGID_Y_EN: 0
; COMPUTE_PGM_RSRC2:TGID_Z_EN: 0
; COMPUTE_PGM_RSRC2:TIDIG_COMP_CNT: 0
; COMPUTE_PGM_RSRC3_GFX90A:ACCUM_OFFSET: 0
; COMPUTE_PGM_RSRC3_GFX90A:TG_SPLIT: 0
	.section	.text._ZN7rocprim17ROCPRIM_400000_NS6detail17trampoline_kernelINS0_14default_configENS1_27scan_by_key_config_selectorIxxEEZZNS1_16scan_by_key_implILNS1_25lookback_scan_determinismE0ELb0ES3_N6thrust23THRUST_200600_302600_NS6detail15normal_iteratorINS9_10device_ptrIxEEEESE_SE_xNS9_4plusIvEENS9_8equal_toIvEExEE10hipError_tPvRmT2_T3_T4_T5_mT6_T7_P12ihipStream_tbENKUlT_T0_E_clISt17integral_constantIbLb1EESY_IbLb0EEEEDaSU_SV_EUlSU_E_NS1_11comp_targetILNS1_3genE10ELNS1_11target_archE1201ELNS1_3gpuE5ELNS1_3repE0EEENS1_30default_config_static_selectorELNS0_4arch9wavefront6targetE1EEEvT1_,"axG",@progbits,_ZN7rocprim17ROCPRIM_400000_NS6detail17trampoline_kernelINS0_14default_configENS1_27scan_by_key_config_selectorIxxEEZZNS1_16scan_by_key_implILNS1_25lookback_scan_determinismE0ELb0ES3_N6thrust23THRUST_200600_302600_NS6detail15normal_iteratorINS9_10device_ptrIxEEEESE_SE_xNS9_4plusIvEENS9_8equal_toIvEExEE10hipError_tPvRmT2_T3_T4_T5_mT6_T7_P12ihipStream_tbENKUlT_T0_E_clISt17integral_constantIbLb1EESY_IbLb0EEEEDaSU_SV_EUlSU_E_NS1_11comp_targetILNS1_3genE10ELNS1_11target_archE1201ELNS1_3gpuE5ELNS1_3repE0EEENS1_30default_config_static_selectorELNS0_4arch9wavefront6targetE1EEEvT1_,comdat
	.protected	_ZN7rocprim17ROCPRIM_400000_NS6detail17trampoline_kernelINS0_14default_configENS1_27scan_by_key_config_selectorIxxEEZZNS1_16scan_by_key_implILNS1_25lookback_scan_determinismE0ELb0ES3_N6thrust23THRUST_200600_302600_NS6detail15normal_iteratorINS9_10device_ptrIxEEEESE_SE_xNS9_4plusIvEENS9_8equal_toIvEExEE10hipError_tPvRmT2_T3_T4_T5_mT6_T7_P12ihipStream_tbENKUlT_T0_E_clISt17integral_constantIbLb1EESY_IbLb0EEEEDaSU_SV_EUlSU_E_NS1_11comp_targetILNS1_3genE10ELNS1_11target_archE1201ELNS1_3gpuE5ELNS1_3repE0EEENS1_30default_config_static_selectorELNS0_4arch9wavefront6targetE1EEEvT1_ ; -- Begin function _ZN7rocprim17ROCPRIM_400000_NS6detail17trampoline_kernelINS0_14default_configENS1_27scan_by_key_config_selectorIxxEEZZNS1_16scan_by_key_implILNS1_25lookback_scan_determinismE0ELb0ES3_N6thrust23THRUST_200600_302600_NS6detail15normal_iteratorINS9_10device_ptrIxEEEESE_SE_xNS9_4plusIvEENS9_8equal_toIvEExEE10hipError_tPvRmT2_T3_T4_T5_mT6_T7_P12ihipStream_tbENKUlT_T0_E_clISt17integral_constantIbLb1EESY_IbLb0EEEEDaSU_SV_EUlSU_E_NS1_11comp_targetILNS1_3genE10ELNS1_11target_archE1201ELNS1_3gpuE5ELNS1_3repE0EEENS1_30default_config_static_selectorELNS0_4arch9wavefront6targetE1EEEvT1_
	.globl	_ZN7rocprim17ROCPRIM_400000_NS6detail17trampoline_kernelINS0_14default_configENS1_27scan_by_key_config_selectorIxxEEZZNS1_16scan_by_key_implILNS1_25lookback_scan_determinismE0ELb0ES3_N6thrust23THRUST_200600_302600_NS6detail15normal_iteratorINS9_10device_ptrIxEEEESE_SE_xNS9_4plusIvEENS9_8equal_toIvEExEE10hipError_tPvRmT2_T3_T4_T5_mT6_T7_P12ihipStream_tbENKUlT_T0_E_clISt17integral_constantIbLb1EESY_IbLb0EEEEDaSU_SV_EUlSU_E_NS1_11comp_targetILNS1_3genE10ELNS1_11target_archE1201ELNS1_3gpuE5ELNS1_3repE0EEENS1_30default_config_static_selectorELNS0_4arch9wavefront6targetE1EEEvT1_
	.p2align	8
	.type	_ZN7rocprim17ROCPRIM_400000_NS6detail17trampoline_kernelINS0_14default_configENS1_27scan_by_key_config_selectorIxxEEZZNS1_16scan_by_key_implILNS1_25lookback_scan_determinismE0ELb0ES3_N6thrust23THRUST_200600_302600_NS6detail15normal_iteratorINS9_10device_ptrIxEEEESE_SE_xNS9_4plusIvEENS9_8equal_toIvEExEE10hipError_tPvRmT2_T3_T4_T5_mT6_T7_P12ihipStream_tbENKUlT_T0_E_clISt17integral_constantIbLb1EESY_IbLb0EEEEDaSU_SV_EUlSU_E_NS1_11comp_targetILNS1_3genE10ELNS1_11target_archE1201ELNS1_3gpuE5ELNS1_3repE0EEENS1_30default_config_static_selectorELNS0_4arch9wavefront6targetE1EEEvT1_,@function
_ZN7rocprim17ROCPRIM_400000_NS6detail17trampoline_kernelINS0_14default_configENS1_27scan_by_key_config_selectorIxxEEZZNS1_16scan_by_key_implILNS1_25lookback_scan_determinismE0ELb0ES3_N6thrust23THRUST_200600_302600_NS6detail15normal_iteratorINS9_10device_ptrIxEEEESE_SE_xNS9_4plusIvEENS9_8equal_toIvEExEE10hipError_tPvRmT2_T3_T4_T5_mT6_T7_P12ihipStream_tbENKUlT_T0_E_clISt17integral_constantIbLb1EESY_IbLb0EEEEDaSU_SV_EUlSU_E_NS1_11comp_targetILNS1_3genE10ELNS1_11target_archE1201ELNS1_3gpuE5ELNS1_3repE0EEENS1_30default_config_static_selectorELNS0_4arch9wavefront6targetE1EEEvT1_: ; @_ZN7rocprim17ROCPRIM_400000_NS6detail17trampoline_kernelINS0_14default_configENS1_27scan_by_key_config_selectorIxxEEZZNS1_16scan_by_key_implILNS1_25lookback_scan_determinismE0ELb0ES3_N6thrust23THRUST_200600_302600_NS6detail15normal_iteratorINS9_10device_ptrIxEEEESE_SE_xNS9_4plusIvEENS9_8equal_toIvEExEE10hipError_tPvRmT2_T3_T4_T5_mT6_T7_P12ihipStream_tbENKUlT_T0_E_clISt17integral_constantIbLb1EESY_IbLb0EEEEDaSU_SV_EUlSU_E_NS1_11comp_targetILNS1_3genE10ELNS1_11target_archE1201ELNS1_3gpuE5ELNS1_3repE0EEENS1_30default_config_static_selectorELNS0_4arch9wavefront6targetE1EEEvT1_
; %bb.0:
	.section	.rodata,"a",@progbits
	.p2align	6, 0x0
	.amdhsa_kernel _ZN7rocprim17ROCPRIM_400000_NS6detail17trampoline_kernelINS0_14default_configENS1_27scan_by_key_config_selectorIxxEEZZNS1_16scan_by_key_implILNS1_25lookback_scan_determinismE0ELb0ES3_N6thrust23THRUST_200600_302600_NS6detail15normal_iteratorINS9_10device_ptrIxEEEESE_SE_xNS9_4plusIvEENS9_8equal_toIvEExEE10hipError_tPvRmT2_T3_T4_T5_mT6_T7_P12ihipStream_tbENKUlT_T0_E_clISt17integral_constantIbLb1EESY_IbLb0EEEEDaSU_SV_EUlSU_E_NS1_11comp_targetILNS1_3genE10ELNS1_11target_archE1201ELNS1_3gpuE5ELNS1_3repE0EEENS1_30default_config_static_selectorELNS0_4arch9wavefront6targetE1EEEvT1_
		.amdhsa_group_segment_fixed_size 0
		.amdhsa_private_segment_fixed_size 0
		.amdhsa_kernarg_size 136
		.amdhsa_user_sgpr_count 6
		.amdhsa_user_sgpr_private_segment_buffer 1
		.amdhsa_user_sgpr_dispatch_ptr 0
		.amdhsa_user_sgpr_queue_ptr 0
		.amdhsa_user_sgpr_kernarg_segment_ptr 1
		.amdhsa_user_sgpr_dispatch_id 0
		.amdhsa_user_sgpr_flat_scratch_init 0
		.amdhsa_user_sgpr_kernarg_preload_length 0
		.amdhsa_user_sgpr_kernarg_preload_offset 0
		.amdhsa_user_sgpr_private_segment_size 0
		.amdhsa_uses_dynamic_stack 0
		.amdhsa_system_sgpr_private_segment_wavefront_offset 0
		.amdhsa_system_sgpr_workgroup_id_x 1
		.amdhsa_system_sgpr_workgroup_id_y 0
		.amdhsa_system_sgpr_workgroup_id_z 0
		.amdhsa_system_sgpr_workgroup_info 0
		.amdhsa_system_vgpr_workitem_id 0
		.amdhsa_next_free_vgpr 1
		.amdhsa_next_free_sgpr 0
		.amdhsa_accum_offset 4
		.amdhsa_reserve_vcc 0
		.amdhsa_reserve_flat_scratch 0
		.amdhsa_float_round_mode_32 0
		.amdhsa_float_round_mode_16_64 0
		.amdhsa_float_denorm_mode_32 3
		.amdhsa_float_denorm_mode_16_64 3
		.amdhsa_dx10_clamp 1
		.amdhsa_ieee_mode 1
		.amdhsa_fp16_overflow 0
		.amdhsa_tg_split 0
		.amdhsa_exception_fp_ieee_invalid_op 0
		.amdhsa_exception_fp_denorm_src 0
		.amdhsa_exception_fp_ieee_div_zero 0
		.amdhsa_exception_fp_ieee_overflow 0
		.amdhsa_exception_fp_ieee_underflow 0
		.amdhsa_exception_fp_ieee_inexact 0
		.amdhsa_exception_int_div_zero 0
	.end_amdhsa_kernel
	.section	.text._ZN7rocprim17ROCPRIM_400000_NS6detail17trampoline_kernelINS0_14default_configENS1_27scan_by_key_config_selectorIxxEEZZNS1_16scan_by_key_implILNS1_25lookback_scan_determinismE0ELb0ES3_N6thrust23THRUST_200600_302600_NS6detail15normal_iteratorINS9_10device_ptrIxEEEESE_SE_xNS9_4plusIvEENS9_8equal_toIvEExEE10hipError_tPvRmT2_T3_T4_T5_mT6_T7_P12ihipStream_tbENKUlT_T0_E_clISt17integral_constantIbLb1EESY_IbLb0EEEEDaSU_SV_EUlSU_E_NS1_11comp_targetILNS1_3genE10ELNS1_11target_archE1201ELNS1_3gpuE5ELNS1_3repE0EEENS1_30default_config_static_selectorELNS0_4arch9wavefront6targetE1EEEvT1_,"axG",@progbits,_ZN7rocprim17ROCPRIM_400000_NS6detail17trampoline_kernelINS0_14default_configENS1_27scan_by_key_config_selectorIxxEEZZNS1_16scan_by_key_implILNS1_25lookback_scan_determinismE0ELb0ES3_N6thrust23THRUST_200600_302600_NS6detail15normal_iteratorINS9_10device_ptrIxEEEESE_SE_xNS9_4plusIvEENS9_8equal_toIvEExEE10hipError_tPvRmT2_T3_T4_T5_mT6_T7_P12ihipStream_tbENKUlT_T0_E_clISt17integral_constantIbLb1EESY_IbLb0EEEEDaSU_SV_EUlSU_E_NS1_11comp_targetILNS1_3genE10ELNS1_11target_archE1201ELNS1_3gpuE5ELNS1_3repE0EEENS1_30default_config_static_selectorELNS0_4arch9wavefront6targetE1EEEvT1_,comdat
.Lfunc_end28:
	.size	_ZN7rocprim17ROCPRIM_400000_NS6detail17trampoline_kernelINS0_14default_configENS1_27scan_by_key_config_selectorIxxEEZZNS1_16scan_by_key_implILNS1_25lookback_scan_determinismE0ELb0ES3_N6thrust23THRUST_200600_302600_NS6detail15normal_iteratorINS9_10device_ptrIxEEEESE_SE_xNS9_4plusIvEENS9_8equal_toIvEExEE10hipError_tPvRmT2_T3_T4_T5_mT6_T7_P12ihipStream_tbENKUlT_T0_E_clISt17integral_constantIbLb1EESY_IbLb0EEEEDaSU_SV_EUlSU_E_NS1_11comp_targetILNS1_3genE10ELNS1_11target_archE1201ELNS1_3gpuE5ELNS1_3repE0EEENS1_30default_config_static_selectorELNS0_4arch9wavefront6targetE1EEEvT1_, .Lfunc_end28-_ZN7rocprim17ROCPRIM_400000_NS6detail17trampoline_kernelINS0_14default_configENS1_27scan_by_key_config_selectorIxxEEZZNS1_16scan_by_key_implILNS1_25lookback_scan_determinismE0ELb0ES3_N6thrust23THRUST_200600_302600_NS6detail15normal_iteratorINS9_10device_ptrIxEEEESE_SE_xNS9_4plusIvEENS9_8equal_toIvEExEE10hipError_tPvRmT2_T3_T4_T5_mT6_T7_P12ihipStream_tbENKUlT_T0_E_clISt17integral_constantIbLb1EESY_IbLb0EEEEDaSU_SV_EUlSU_E_NS1_11comp_targetILNS1_3genE10ELNS1_11target_archE1201ELNS1_3gpuE5ELNS1_3repE0EEENS1_30default_config_static_selectorELNS0_4arch9wavefront6targetE1EEEvT1_
                                        ; -- End function
	.section	.AMDGPU.csdata,"",@progbits
; Kernel info:
; codeLenInByte = 0
; NumSgprs: 4
; NumVgprs: 0
; NumAgprs: 0
; TotalNumVgprs: 0
; ScratchSize: 0
; MemoryBound: 0
; FloatMode: 240
; IeeeMode: 1
; LDSByteSize: 0 bytes/workgroup (compile time only)
; SGPRBlocks: 0
; VGPRBlocks: 0
; NumSGPRsForWavesPerEU: 4
; NumVGPRsForWavesPerEU: 1
; AccumOffset: 4
; Occupancy: 8
; WaveLimiterHint : 0
; COMPUTE_PGM_RSRC2:SCRATCH_EN: 0
; COMPUTE_PGM_RSRC2:USER_SGPR: 6
; COMPUTE_PGM_RSRC2:TRAP_HANDLER: 0
; COMPUTE_PGM_RSRC2:TGID_X_EN: 1
; COMPUTE_PGM_RSRC2:TGID_Y_EN: 0
; COMPUTE_PGM_RSRC2:TGID_Z_EN: 0
; COMPUTE_PGM_RSRC2:TIDIG_COMP_CNT: 0
; COMPUTE_PGM_RSRC3_GFX90A:ACCUM_OFFSET: 0
; COMPUTE_PGM_RSRC3_GFX90A:TG_SPLIT: 0
	.section	.text._ZN7rocprim17ROCPRIM_400000_NS6detail17trampoline_kernelINS0_14default_configENS1_27scan_by_key_config_selectorIxxEEZZNS1_16scan_by_key_implILNS1_25lookback_scan_determinismE0ELb0ES3_N6thrust23THRUST_200600_302600_NS6detail15normal_iteratorINS9_10device_ptrIxEEEESE_SE_xNS9_4plusIvEENS9_8equal_toIvEExEE10hipError_tPvRmT2_T3_T4_T5_mT6_T7_P12ihipStream_tbENKUlT_T0_E_clISt17integral_constantIbLb1EESY_IbLb0EEEEDaSU_SV_EUlSU_E_NS1_11comp_targetILNS1_3genE5ELNS1_11target_archE942ELNS1_3gpuE9ELNS1_3repE0EEENS1_30default_config_static_selectorELNS0_4arch9wavefront6targetE1EEEvT1_,"axG",@progbits,_ZN7rocprim17ROCPRIM_400000_NS6detail17trampoline_kernelINS0_14default_configENS1_27scan_by_key_config_selectorIxxEEZZNS1_16scan_by_key_implILNS1_25lookback_scan_determinismE0ELb0ES3_N6thrust23THRUST_200600_302600_NS6detail15normal_iteratorINS9_10device_ptrIxEEEESE_SE_xNS9_4plusIvEENS9_8equal_toIvEExEE10hipError_tPvRmT2_T3_T4_T5_mT6_T7_P12ihipStream_tbENKUlT_T0_E_clISt17integral_constantIbLb1EESY_IbLb0EEEEDaSU_SV_EUlSU_E_NS1_11comp_targetILNS1_3genE5ELNS1_11target_archE942ELNS1_3gpuE9ELNS1_3repE0EEENS1_30default_config_static_selectorELNS0_4arch9wavefront6targetE1EEEvT1_,comdat
	.protected	_ZN7rocprim17ROCPRIM_400000_NS6detail17trampoline_kernelINS0_14default_configENS1_27scan_by_key_config_selectorIxxEEZZNS1_16scan_by_key_implILNS1_25lookback_scan_determinismE0ELb0ES3_N6thrust23THRUST_200600_302600_NS6detail15normal_iteratorINS9_10device_ptrIxEEEESE_SE_xNS9_4plusIvEENS9_8equal_toIvEExEE10hipError_tPvRmT2_T3_T4_T5_mT6_T7_P12ihipStream_tbENKUlT_T0_E_clISt17integral_constantIbLb1EESY_IbLb0EEEEDaSU_SV_EUlSU_E_NS1_11comp_targetILNS1_3genE5ELNS1_11target_archE942ELNS1_3gpuE9ELNS1_3repE0EEENS1_30default_config_static_selectorELNS0_4arch9wavefront6targetE1EEEvT1_ ; -- Begin function _ZN7rocprim17ROCPRIM_400000_NS6detail17trampoline_kernelINS0_14default_configENS1_27scan_by_key_config_selectorIxxEEZZNS1_16scan_by_key_implILNS1_25lookback_scan_determinismE0ELb0ES3_N6thrust23THRUST_200600_302600_NS6detail15normal_iteratorINS9_10device_ptrIxEEEESE_SE_xNS9_4plusIvEENS9_8equal_toIvEExEE10hipError_tPvRmT2_T3_T4_T5_mT6_T7_P12ihipStream_tbENKUlT_T0_E_clISt17integral_constantIbLb1EESY_IbLb0EEEEDaSU_SV_EUlSU_E_NS1_11comp_targetILNS1_3genE5ELNS1_11target_archE942ELNS1_3gpuE9ELNS1_3repE0EEENS1_30default_config_static_selectorELNS0_4arch9wavefront6targetE1EEEvT1_
	.globl	_ZN7rocprim17ROCPRIM_400000_NS6detail17trampoline_kernelINS0_14default_configENS1_27scan_by_key_config_selectorIxxEEZZNS1_16scan_by_key_implILNS1_25lookback_scan_determinismE0ELb0ES3_N6thrust23THRUST_200600_302600_NS6detail15normal_iteratorINS9_10device_ptrIxEEEESE_SE_xNS9_4plusIvEENS9_8equal_toIvEExEE10hipError_tPvRmT2_T3_T4_T5_mT6_T7_P12ihipStream_tbENKUlT_T0_E_clISt17integral_constantIbLb1EESY_IbLb0EEEEDaSU_SV_EUlSU_E_NS1_11comp_targetILNS1_3genE5ELNS1_11target_archE942ELNS1_3gpuE9ELNS1_3repE0EEENS1_30default_config_static_selectorELNS0_4arch9wavefront6targetE1EEEvT1_
	.p2align	8
	.type	_ZN7rocprim17ROCPRIM_400000_NS6detail17trampoline_kernelINS0_14default_configENS1_27scan_by_key_config_selectorIxxEEZZNS1_16scan_by_key_implILNS1_25lookback_scan_determinismE0ELb0ES3_N6thrust23THRUST_200600_302600_NS6detail15normal_iteratorINS9_10device_ptrIxEEEESE_SE_xNS9_4plusIvEENS9_8equal_toIvEExEE10hipError_tPvRmT2_T3_T4_T5_mT6_T7_P12ihipStream_tbENKUlT_T0_E_clISt17integral_constantIbLb1EESY_IbLb0EEEEDaSU_SV_EUlSU_E_NS1_11comp_targetILNS1_3genE5ELNS1_11target_archE942ELNS1_3gpuE9ELNS1_3repE0EEENS1_30default_config_static_selectorELNS0_4arch9wavefront6targetE1EEEvT1_,@function
_ZN7rocprim17ROCPRIM_400000_NS6detail17trampoline_kernelINS0_14default_configENS1_27scan_by_key_config_selectorIxxEEZZNS1_16scan_by_key_implILNS1_25lookback_scan_determinismE0ELb0ES3_N6thrust23THRUST_200600_302600_NS6detail15normal_iteratorINS9_10device_ptrIxEEEESE_SE_xNS9_4plusIvEENS9_8equal_toIvEExEE10hipError_tPvRmT2_T3_T4_T5_mT6_T7_P12ihipStream_tbENKUlT_T0_E_clISt17integral_constantIbLb1EESY_IbLb0EEEEDaSU_SV_EUlSU_E_NS1_11comp_targetILNS1_3genE5ELNS1_11target_archE942ELNS1_3gpuE9ELNS1_3repE0EEENS1_30default_config_static_selectorELNS0_4arch9wavefront6targetE1EEEvT1_: ; @_ZN7rocprim17ROCPRIM_400000_NS6detail17trampoline_kernelINS0_14default_configENS1_27scan_by_key_config_selectorIxxEEZZNS1_16scan_by_key_implILNS1_25lookback_scan_determinismE0ELb0ES3_N6thrust23THRUST_200600_302600_NS6detail15normal_iteratorINS9_10device_ptrIxEEEESE_SE_xNS9_4plusIvEENS9_8equal_toIvEExEE10hipError_tPvRmT2_T3_T4_T5_mT6_T7_P12ihipStream_tbENKUlT_T0_E_clISt17integral_constantIbLb1EESY_IbLb0EEEEDaSU_SV_EUlSU_E_NS1_11comp_targetILNS1_3genE5ELNS1_11target_archE942ELNS1_3gpuE9ELNS1_3repE0EEENS1_30default_config_static_selectorELNS0_4arch9wavefront6targetE1EEEvT1_
; %bb.0:
	.section	.rodata,"a",@progbits
	.p2align	6, 0x0
	.amdhsa_kernel _ZN7rocprim17ROCPRIM_400000_NS6detail17trampoline_kernelINS0_14default_configENS1_27scan_by_key_config_selectorIxxEEZZNS1_16scan_by_key_implILNS1_25lookback_scan_determinismE0ELb0ES3_N6thrust23THRUST_200600_302600_NS6detail15normal_iteratorINS9_10device_ptrIxEEEESE_SE_xNS9_4plusIvEENS9_8equal_toIvEExEE10hipError_tPvRmT2_T3_T4_T5_mT6_T7_P12ihipStream_tbENKUlT_T0_E_clISt17integral_constantIbLb1EESY_IbLb0EEEEDaSU_SV_EUlSU_E_NS1_11comp_targetILNS1_3genE5ELNS1_11target_archE942ELNS1_3gpuE9ELNS1_3repE0EEENS1_30default_config_static_selectorELNS0_4arch9wavefront6targetE1EEEvT1_
		.amdhsa_group_segment_fixed_size 0
		.amdhsa_private_segment_fixed_size 0
		.amdhsa_kernarg_size 136
		.amdhsa_user_sgpr_count 6
		.amdhsa_user_sgpr_private_segment_buffer 1
		.amdhsa_user_sgpr_dispatch_ptr 0
		.amdhsa_user_sgpr_queue_ptr 0
		.amdhsa_user_sgpr_kernarg_segment_ptr 1
		.amdhsa_user_sgpr_dispatch_id 0
		.amdhsa_user_sgpr_flat_scratch_init 0
		.amdhsa_user_sgpr_kernarg_preload_length 0
		.amdhsa_user_sgpr_kernarg_preload_offset 0
		.amdhsa_user_sgpr_private_segment_size 0
		.amdhsa_uses_dynamic_stack 0
		.amdhsa_system_sgpr_private_segment_wavefront_offset 0
		.amdhsa_system_sgpr_workgroup_id_x 1
		.amdhsa_system_sgpr_workgroup_id_y 0
		.amdhsa_system_sgpr_workgroup_id_z 0
		.amdhsa_system_sgpr_workgroup_info 0
		.amdhsa_system_vgpr_workitem_id 0
		.amdhsa_next_free_vgpr 1
		.amdhsa_next_free_sgpr 0
		.amdhsa_accum_offset 4
		.amdhsa_reserve_vcc 0
		.amdhsa_reserve_flat_scratch 0
		.amdhsa_float_round_mode_32 0
		.amdhsa_float_round_mode_16_64 0
		.amdhsa_float_denorm_mode_32 3
		.amdhsa_float_denorm_mode_16_64 3
		.amdhsa_dx10_clamp 1
		.amdhsa_ieee_mode 1
		.amdhsa_fp16_overflow 0
		.amdhsa_tg_split 0
		.amdhsa_exception_fp_ieee_invalid_op 0
		.amdhsa_exception_fp_denorm_src 0
		.amdhsa_exception_fp_ieee_div_zero 0
		.amdhsa_exception_fp_ieee_overflow 0
		.amdhsa_exception_fp_ieee_underflow 0
		.amdhsa_exception_fp_ieee_inexact 0
		.amdhsa_exception_int_div_zero 0
	.end_amdhsa_kernel
	.section	.text._ZN7rocprim17ROCPRIM_400000_NS6detail17trampoline_kernelINS0_14default_configENS1_27scan_by_key_config_selectorIxxEEZZNS1_16scan_by_key_implILNS1_25lookback_scan_determinismE0ELb0ES3_N6thrust23THRUST_200600_302600_NS6detail15normal_iteratorINS9_10device_ptrIxEEEESE_SE_xNS9_4plusIvEENS9_8equal_toIvEExEE10hipError_tPvRmT2_T3_T4_T5_mT6_T7_P12ihipStream_tbENKUlT_T0_E_clISt17integral_constantIbLb1EESY_IbLb0EEEEDaSU_SV_EUlSU_E_NS1_11comp_targetILNS1_3genE5ELNS1_11target_archE942ELNS1_3gpuE9ELNS1_3repE0EEENS1_30default_config_static_selectorELNS0_4arch9wavefront6targetE1EEEvT1_,"axG",@progbits,_ZN7rocprim17ROCPRIM_400000_NS6detail17trampoline_kernelINS0_14default_configENS1_27scan_by_key_config_selectorIxxEEZZNS1_16scan_by_key_implILNS1_25lookback_scan_determinismE0ELb0ES3_N6thrust23THRUST_200600_302600_NS6detail15normal_iteratorINS9_10device_ptrIxEEEESE_SE_xNS9_4plusIvEENS9_8equal_toIvEExEE10hipError_tPvRmT2_T3_T4_T5_mT6_T7_P12ihipStream_tbENKUlT_T0_E_clISt17integral_constantIbLb1EESY_IbLb0EEEEDaSU_SV_EUlSU_E_NS1_11comp_targetILNS1_3genE5ELNS1_11target_archE942ELNS1_3gpuE9ELNS1_3repE0EEENS1_30default_config_static_selectorELNS0_4arch9wavefront6targetE1EEEvT1_,comdat
.Lfunc_end29:
	.size	_ZN7rocprim17ROCPRIM_400000_NS6detail17trampoline_kernelINS0_14default_configENS1_27scan_by_key_config_selectorIxxEEZZNS1_16scan_by_key_implILNS1_25lookback_scan_determinismE0ELb0ES3_N6thrust23THRUST_200600_302600_NS6detail15normal_iteratorINS9_10device_ptrIxEEEESE_SE_xNS9_4plusIvEENS9_8equal_toIvEExEE10hipError_tPvRmT2_T3_T4_T5_mT6_T7_P12ihipStream_tbENKUlT_T0_E_clISt17integral_constantIbLb1EESY_IbLb0EEEEDaSU_SV_EUlSU_E_NS1_11comp_targetILNS1_3genE5ELNS1_11target_archE942ELNS1_3gpuE9ELNS1_3repE0EEENS1_30default_config_static_selectorELNS0_4arch9wavefront6targetE1EEEvT1_, .Lfunc_end29-_ZN7rocprim17ROCPRIM_400000_NS6detail17trampoline_kernelINS0_14default_configENS1_27scan_by_key_config_selectorIxxEEZZNS1_16scan_by_key_implILNS1_25lookback_scan_determinismE0ELb0ES3_N6thrust23THRUST_200600_302600_NS6detail15normal_iteratorINS9_10device_ptrIxEEEESE_SE_xNS9_4plusIvEENS9_8equal_toIvEExEE10hipError_tPvRmT2_T3_T4_T5_mT6_T7_P12ihipStream_tbENKUlT_T0_E_clISt17integral_constantIbLb1EESY_IbLb0EEEEDaSU_SV_EUlSU_E_NS1_11comp_targetILNS1_3genE5ELNS1_11target_archE942ELNS1_3gpuE9ELNS1_3repE0EEENS1_30default_config_static_selectorELNS0_4arch9wavefront6targetE1EEEvT1_
                                        ; -- End function
	.section	.AMDGPU.csdata,"",@progbits
; Kernel info:
; codeLenInByte = 0
; NumSgprs: 4
; NumVgprs: 0
; NumAgprs: 0
; TotalNumVgprs: 0
; ScratchSize: 0
; MemoryBound: 0
; FloatMode: 240
; IeeeMode: 1
; LDSByteSize: 0 bytes/workgroup (compile time only)
; SGPRBlocks: 0
; VGPRBlocks: 0
; NumSGPRsForWavesPerEU: 4
; NumVGPRsForWavesPerEU: 1
; AccumOffset: 4
; Occupancy: 8
; WaveLimiterHint : 0
; COMPUTE_PGM_RSRC2:SCRATCH_EN: 0
; COMPUTE_PGM_RSRC2:USER_SGPR: 6
; COMPUTE_PGM_RSRC2:TRAP_HANDLER: 0
; COMPUTE_PGM_RSRC2:TGID_X_EN: 1
; COMPUTE_PGM_RSRC2:TGID_Y_EN: 0
; COMPUTE_PGM_RSRC2:TGID_Z_EN: 0
; COMPUTE_PGM_RSRC2:TIDIG_COMP_CNT: 0
; COMPUTE_PGM_RSRC3_GFX90A:ACCUM_OFFSET: 0
; COMPUTE_PGM_RSRC3_GFX90A:TG_SPLIT: 0
	.section	.text._ZN7rocprim17ROCPRIM_400000_NS6detail17trampoline_kernelINS0_14default_configENS1_27scan_by_key_config_selectorIxxEEZZNS1_16scan_by_key_implILNS1_25lookback_scan_determinismE0ELb0ES3_N6thrust23THRUST_200600_302600_NS6detail15normal_iteratorINS9_10device_ptrIxEEEESE_SE_xNS9_4plusIvEENS9_8equal_toIvEExEE10hipError_tPvRmT2_T3_T4_T5_mT6_T7_P12ihipStream_tbENKUlT_T0_E_clISt17integral_constantIbLb1EESY_IbLb0EEEEDaSU_SV_EUlSU_E_NS1_11comp_targetILNS1_3genE4ELNS1_11target_archE910ELNS1_3gpuE8ELNS1_3repE0EEENS1_30default_config_static_selectorELNS0_4arch9wavefront6targetE1EEEvT1_,"axG",@progbits,_ZN7rocprim17ROCPRIM_400000_NS6detail17trampoline_kernelINS0_14default_configENS1_27scan_by_key_config_selectorIxxEEZZNS1_16scan_by_key_implILNS1_25lookback_scan_determinismE0ELb0ES3_N6thrust23THRUST_200600_302600_NS6detail15normal_iteratorINS9_10device_ptrIxEEEESE_SE_xNS9_4plusIvEENS9_8equal_toIvEExEE10hipError_tPvRmT2_T3_T4_T5_mT6_T7_P12ihipStream_tbENKUlT_T0_E_clISt17integral_constantIbLb1EESY_IbLb0EEEEDaSU_SV_EUlSU_E_NS1_11comp_targetILNS1_3genE4ELNS1_11target_archE910ELNS1_3gpuE8ELNS1_3repE0EEENS1_30default_config_static_selectorELNS0_4arch9wavefront6targetE1EEEvT1_,comdat
	.protected	_ZN7rocprim17ROCPRIM_400000_NS6detail17trampoline_kernelINS0_14default_configENS1_27scan_by_key_config_selectorIxxEEZZNS1_16scan_by_key_implILNS1_25lookback_scan_determinismE0ELb0ES3_N6thrust23THRUST_200600_302600_NS6detail15normal_iteratorINS9_10device_ptrIxEEEESE_SE_xNS9_4plusIvEENS9_8equal_toIvEExEE10hipError_tPvRmT2_T3_T4_T5_mT6_T7_P12ihipStream_tbENKUlT_T0_E_clISt17integral_constantIbLb1EESY_IbLb0EEEEDaSU_SV_EUlSU_E_NS1_11comp_targetILNS1_3genE4ELNS1_11target_archE910ELNS1_3gpuE8ELNS1_3repE0EEENS1_30default_config_static_selectorELNS0_4arch9wavefront6targetE1EEEvT1_ ; -- Begin function _ZN7rocprim17ROCPRIM_400000_NS6detail17trampoline_kernelINS0_14default_configENS1_27scan_by_key_config_selectorIxxEEZZNS1_16scan_by_key_implILNS1_25lookback_scan_determinismE0ELb0ES3_N6thrust23THRUST_200600_302600_NS6detail15normal_iteratorINS9_10device_ptrIxEEEESE_SE_xNS9_4plusIvEENS9_8equal_toIvEExEE10hipError_tPvRmT2_T3_T4_T5_mT6_T7_P12ihipStream_tbENKUlT_T0_E_clISt17integral_constantIbLb1EESY_IbLb0EEEEDaSU_SV_EUlSU_E_NS1_11comp_targetILNS1_3genE4ELNS1_11target_archE910ELNS1_3gpuE8ELNS1_3repE0EEENS1_30default_config_static_selectorELNS0_4arch9wavefront6targetE1EEEvT1_
	.globl	_ZN7rocprim17ROCPRIM_400000_NS6detail17trampoline_kernelINS0_14default_configENS1_27scan_by_key_config_selectorIxxEEZZNS1_16scan_by_key_implILNS1_25lookback_scan_determinismE0ELb0ES3_N6thrust23THRUST_200600_302600_NS6detail15normal_iteratorINS9_10device_ptrIxEEEESE_SE_xNS9_4plusIvEENS9_8equal_toIvEExEE10hipError_tPvRmT2_T3_T4_T5_mT6_T7_P12ihipStream_tbENKUlT_T0_E_clISt17integral_constantIbLb1EESY_IbLb0EEEEDaSU_SV_EUlSU_E_NS1_11comp_targetILNS1_3genE4ELNS1_11target_archE910ELNS1_3gpuE8ELNS1_3repE0EEENS1_30default_config_static_selectorELNS0_4arch9wavefront6targetE1EEEvT1_
	.p2align	8
	.type	_ZN7rocprim17ROCPRIM_400000_NS6detail17trampoline_kernelINS0_14default_configENS1_27scan_by_key_config_selectorIxxEEZZNS1_16scan_by_key_implILNS1_25lookback_scan_determinismE0ELb0ES3_N6thrust23THRUST_200600_302600_NS6detail15normal_iteratorINS9_10device_ptrIxEEEESE_SE_xNS9_4plusIvEENS9_8equal_toIvEExEE10hipError_tPvRmT2_T3_T4_T5_mT6_T7_P12ihipStream_tbENKUlT_T0_E_clISt17integral_constantIbLb1EESY_IbLb0EEEEDaSU_SV_EUlSU_E_NS1_11comp_targetILNS1_3genE4ELNS1_11target_archE910ELNS1_3gpuE8ELNS1_3repE0EEENS1_30default_config_static_selectorELNS0_4arch9wavefront6targetE1EEEvT1_,@function
_ZN7rocprim17ROCPRIM_400000_NS6detail17trampoline_kernelINS0_14default_configENS1_27scan_by_key_config_selectorIxxEEZZNS1_16scan_by_key_implILNS1_25lookback_scan_determinismE0ELb0ES3_N6thrust23THRUST_200600_302600_NS6detail15normal_iteratorINS9_10device_ptrIxEEEESE_SE_xNS9_4plusIvEENS9_8equal_toIvEExEE10hipError_tPvRmT2_T3_T4_T5_mT6_T7_P12ihipStream_tbENKUlT_T0_E_clISt17integral_constantIbLb1EESY_IbLb0EEEEDaSU_SV_EUlSU_E_NS1_11comp_targetILNS1_3genE4ELNS1_11target_archE910ELNS1_3gpuE8ELNS1_3repE0EEENS1_30default_config_static_selectorELNS0_4arch9wavefront6targetE1EEEvT1_: ; @_ZN7rocprim17ROCPRIM_400000_NS6detail17trampoline_kernelINS0_14default_configENS1_27scan_by_key_config_selectorIxxEEZZNS1_16scan_by_key_implILNS1_25lookback_scan_determinismE0ELb0ES3_N6thrust23THRUST_200600_302600_NS6detail15normal_iteratorINS9_10device_ptrIxEEEESE_SE_xNS9_4plusIvEENS9_8equal_toIvEExEE10hipError_tPvRmT2_T3_T4_T5_mT6_T7_P12ihipStream_tbENKUlT_T0_E_clISt17integral_constantIbLb1EESY_IbLb0EEEEDaSU_SV_EUlSU_E_NS1_11comp_targetILNS1_3genE4ELNS1_11target_archE910ELNS1_3gpuE8ELNS1_3repE0EEENS1_30default_config_static_selectorELNS0_4arch9wavefront6targetE1EEEvT1_
; %bb.0:
	s_load_dwordx8 s[40:47], s[4:5], 0x0
	s_load_dwordx8 s[48:55], s[4:5], 0x30
	s_load_dwordx2 s[66:67], s[4:5], 0x50
	s_load_dword s0, s[4:5], 0x58
	s_load_dwordx8 s[56:63], s[4:5], 0x60
	s_waitcnt lgkmcnt(0)
	s_lshl_b64 s[64:65], s[42:43], 3
	s_add_u32 s2, s40, s64
	s_addc_u32 s3, s41, s65
	s_add_u32 s4, s44, s64
	s_mul_i32 s1, s67, s0
	s_mul_hi_u32 s7, s66, s0
	s_addc_u32 s5, s45, s65
	s_add_i32 s8, s7, s1
	s_mul_i32 s9, s66, s0
	s_cmp_lg_u64 s[60:61], 0
	s_mul_i32 s0, s6, 0x4c0
	s_mov_b32 s1, 0
	s_cselect_b64 s[68:69], -1, 0
	s_lshl_b64 s[60:61], s[0:1], 3
	s_add_u32 s44, s2, s60
	s_addc_u32 s45, s3, s61
	s_add_u32 s7, s4, s60
	s_addc_u32 s55, s5, s61
	s_add_u32 s70, s9, s6
	s_addc_u32 s71, s8, 0
	s_add_u32 s2, s56, -1
	s_addc_u32 s3, s57, -1
	v_pk_mov_b32 v[2:3], s[2:3], s[2:3] op_sel:[0,1]
	v_cmp_ge_u64_e64 s[0:1], s[70:71], v[2:3]
	s_mov_b64 s[10:11], 0
	s_mov_b64 s[4:5], -1
	s_and_b64 vcc, exec, s[0:1]
	s_mul_i32 s33, s2, 0xfffffb40
	s_waitcnt lgkmcnt(0)
	; wave barrier
	s_cbranch_vccz .LBB30_102
; %bb.1:
	v_pk_mov_b32 v[2:3], s[44:45], s[44:45] op_sel:[0,1]
	flat_load_dwordx2 v[2:3], v[2:3]
	s_add_i32 s77, s33, s54
	v_cmp_gt_u32_e64 s[2:3], s77, v0
	s_waitcnt vmcnt(0) lgkmcnt(0)
	v_pk_mov_b32 v[4:5], v[2:3], v[2:3] op_sel:[0,1]
	s_and_saveexec_b64 s[4:5], s[2:3]
	s_cbranch_execz .LBB30_3
; %bb.2:
	v_lshlrev_b32_e32 v1, 3, v0
	v_mov_b32_e32 v5, s45
	v_add_co_u32_e32 v4, vcc, s44, v1
	v_addc_co_u32_e32 v5, vcc, 0, v5, vcc
	flat_load_dwordx2 v[4:5], v[4:5]
.LBB30_3:
	s_or_b64 exec, exec, s[4:5]
	v_or_b32_e32 v1, 64, v0
	v_cmp_gt_u32_e64 s[4:5], s77, v1
	v_pk_mov_b32 v[6:7], v[2:3], v[2:3] op_sel:[0,1]
	s_and_saveexec_b64 s[8:9], s[4:5]
	s_cbranch_execz .LBB30_5
; %bb.4:
	v_lshlrev_b32_e32 v1, 3, v0
	v_mov_b32_e32 v7, s45
	v_add_co_u32_e32 v6, vcc, s44, v1
	v_addc_co_u32_e32 v7, vcc, 0, v7, vcc
	flat_load_dwordx2 v[6:7], v[6:7] offset:512
.LBB30_5:
	s_or_b64 exec, exec, s[8:9]
	v_or_b32_e32 v1, 0x80, v0
	v_cmp_gt_u32_e64 s[42:43], s77, v1
	v_pk_mov_b32 v[8:9], v[2:3], v[2:3] op_sel:[0,1]
	s_and_saveexec_b64 s[8:9], s[42:43]
	s_cbranch_execz .LBB30_7
; %bb.6:
	v_lshlrev_b32_e32 v1, 3, v0
	v_mov_b32_e32 v9, s45
	v_add_co_u32_e32 v8, vcc, s44, v1
	v_addc_co_u32_e32 v9, vcc, 0, v9, vcc
	flat_load_dwordx2 v[8:9], v[8:9] offset:1024
.LBB30_7:
	;; [unrolled: 13-line block ×7, first 2 shown]
	s_or_b64 exec, exec, s[18:19]
	v_or_b32_e32 v1, 0x200, v0
	v_cmp_gt_u32_e64 s[18:19], s77, v1
	v_pk_mov_b32 v[20:21], v[2:3], v[2:3] op_sel:[0,1]
	s_and_saveexec_b64 s[20:21], s[18:19]
	s_cbranch_execz .LBB30_19
; %bb.18:
	v_lshlrev_b32_e32 v20, 3, v1
	v_mov_b32_e32 v21, s45
	v_add_co_u32_e32 v20, vcc, s44, v20
	v_addc_co_u32_e32 v21, vcc, 0, v21, vcc
	flat_load_dwordx2 v[20:21], v[20:21]
.LBB30_19:
	s_or_b64 exec, exec, s[20:21]
	v_or_b32_e32 v40, 0x240, v0
	v_cmp_gt_u32_e64 s[20:21], s77, v40
	v_pk_mov_b32 v[22:23], v[2:3], v[2:3] op_sel:[0,1]
	s_and_saveexec_b64 s[22:23], s[20:21]
	s_cbranch_execz .LBB30_21
; %bb.20:
	v_lshlrev_b32_e32 v22, 3, v40
	v_mov_b32_e32 v23, s45
	v_add_co_u32_e32 v22, vcc, s44, v22
	v_addc_co_u32_e32 v23, vcc, 0, v23, vcc
	flat_load_dwordx2 v[22:23], v[22:23]
.LBB30_21:
	;; [unrolled: 13-line block ×10, first 2 shown]
	s_or_b64 exec, exec, s[40:41]
	v_or_b32_e32 v51, 0x480, v0
	v_cmp_gt_u32_e64 s[40:41], s77, v51
	s_and_saveexec_b64 s[56:57], s[40:41]
	s_cbranch_execz .LBB30_39
; %bb.38:
	v_lshlrev_b32_e32 v2, 3, v51
	v_mov_b32_e32 v3, s45
	v_add_co_u32_e32 v2, vcc, s44, v2
	v_addc_co_u32_e32 v3, vcc, 0, v3, vcc
	flat_load_dwordx2 v[2:3], v[2:3]
.LBB30_39:
	s_or_b64 exec, exec, s[56:57]
	v_lshlrev_b32_e32 v50, 3, v0
	s_movk_i32 s56, 0x90
	v_mad_u32_u24 v48, v0, s56, v50
	s_waitcnt vmcnt(0) lgkmcnt(0)
	ds_write2st64_b64 v50, v[4:5], v[6:7] offset1:1
	ds_write2st64_b64 v50, v[8:9], v[10:11] offset0:2 offset1:3
	ds_write2st64_b64 v50, v[12:13], v[14:15] offset0:4 offset1:5
	;; [unrolled: 1-line block ×8, first 2 shown]
	ds_write_b64 v50, v[2:3] offset:9216
	s_waitcnt lgkmcnt(0)
	; wave barrier
	s_waitcnt lgkmcnt(0)
	ds_read2_b64 v[106:109], v48 offset1:1
	ds_read2_b64 v[102:105], v48 offset0:2 offset1:3
	ds_read2_b64 v[98:101], v48 offset0:4 offset1:5
	;; [unrolled: 1-line block ×8, first 2 shown]
	ds_read_b64 v[4:5], v48 offset:144
	s_cmp_eq_u64 s[70:71], 0
	s_mov_b64 s[56:57], s[44:45]
	s_cbranch_scc1 .LBB30_43
; %bb.40:
	s_andn2_b64 vcc, exec, s[68:69]
	s_cbranch_vccnz .LBB30_259
; %bb.41:
	s_lshl_b64 s[56:57], s[70:71], 3
	s_add_u32 s56, s62, s56
	s_addc_u32 s57, s63, s57
	s_add_u32 s56, s56, -8
	s_addc_u32 s57, s57, -1
	s_cbranch_execnz .LBB30_43
.LBB30_42:
	s_add_u32 s56, s44, -8
	s_addc_u32 s57, s45, -1
.LBB30_43:
	v_pk_mov_b32 v[2:3], s[56:57], s[56:57] op_sel:[0,1]
	flat_load_dwordx2 v[8:9], v[2:3]
	s_movk_i32 s56, 0xff70
	v_mad_i32_i24 v2, v0, s56, v48
	v_cmp_ne_u32_e32 vcc, 0, v0
	s_waitcnt lgkmcnt(0)
	ds_write_b64 v2, v[4:5] offset:9728
	s_waitcnt lgkmcnt(0)
	; wave barrier
	s_waitcnt lgkmcnt(0)
	s_and_saveexec_b64 s[56:57], vcc
	s_cbranch_execz .LBB30_45
; %bb.44:
	v_mul_i32_i24_e32 v2, 0xffffff70, v0
	v_add_u32_e32 v2, v48, v2
	s_waitcnt vmcnt(0)
	ds_read_b64 v[8:9], v2 offset:9720
.LBB30_45:
	s_or_b64 exec, exec, s[56:57]
	s_waitcnt lgkmcnt(0)
	; wave barrier
	s_waitcnt lgkmcnt(0)
                                        ; implicit-def: $vgpr2_vgpr3
	s_and_saveexec_b64 s[56:57], s[2:3]
	s_cbranch_execnz .LBB30_241
; %bb.46:
	s_or_b64 exec, exec, s[56:57]
                                        ; implicit-def: $vgpr6_vgpr7
	s_and_saveexec_b64 s[2:3], s[4:5]
	s_cbranch_execnz .LBB30_242
.LBB30_47:
	s_or_b64 exec, exec, s[2:3]
                                        ; implicit-def: $vgpr10_vgpr11
	s_and_saveexec_b64 s[2:3], s[42:43]
	s_cbranch_execnz .LBB30_243
.LBB30_48:
	s_or_b64 exec, exec, s[2:3]
                                        ; implicit-def: $vgpr12_vgpr13
	s_and_saveexec_b64 s[2:3], s[8:9]
	s_cbranch_execnz .LBB30_244
.LBB30_49:
	s_or_b64 exec, exec, s[2:3]
                                        ; implicit-def: $vgpr14_vgpr15
	s_and_saveexec_b64 s[2:3], s[10:11]
	s_cbranch_execnz .LBB30_245
.LBB30_50:
	s_or_b64 exec, exec, s[2:3]
                                        ; implicit-def: $vgpr16_vgpr17
	s_and_saveexec_b64 s[2:3], s[12:13]
	s_cbranch_execnz .LBB30_246
.LBB30_51:
	s_or_b64 exec, exec, s[2:3]
                                        ; implicit-def: $vgpr18_vgpr19
	s_and_saveexec_b64 s[2:3], s[14:15]
	s_cbranch_execnz .LBB30_247
.LBB30_52:
	s_or_b64 exec, exec, s[2:3]
                                        ; implicit-def: $vgpr20_vgpr21
	s_and_saveexec_b64 s[2:3], s[16:17]
	s_cbranch_execnz .LBB30_248
.LBB30_53:
	s_or_b64 exec, exec, s[2:3]
                                        ; implicit-def: $vgpr22_vgpr23
	s_and_saveexec_b64 s[2:3], s[18:19]
	s_cbranch_execnz .LBB30_249
.LBB30_54:
	s_or_b64 exec, exec, s[2:3]
                                        ; implicit-def: $vgpr24_vgpr25
	s_and_saveexec_b64 s[2:3], s[20:21]
	s_cbranch_execnz .LBB30_250
.LBB30_55:
	s_or_b64 exec, exec, s[2:3]
                                        ; implicit-def: $vgpr26_vgpr27
	s_and_saveexec_b64 s[2:3], s[22:23]
	s_cbranch_execnz .LBB30_251
.LBB30_56:
	s_or_b64 exec, exec, s[2:3]
                                        ; implicit-def: $vgpr28_vgpr29
	s_and_saveexec_b64 s[2:3], s[24:25]
	s_cbranch_execnz .LBB30_252
.LBB30_57:
	s_or_b64 exec, exec, s[2:3]
                                        ; implicit-def: $vgpr30_vgpr31
	s_and_saveexec_b64 s[2:3], s[26:27]
	s_cbranch_execnz .LBB30_253
.LBB30_58:
	s_or_b64 exec, exec, s[2:3]
                                        ; implicit-def: $vgpr32_vgpr33
	s_and_saveexec_b64 s[2:3], s[28:29]
	s_cbranch_execnz .LBB30_254
.LBB30_59:
	s_or_b64 exec, exec, s[2:3]
                                        ; implicit-def: $vgpr34_vgpr35
	s_and_saveexec_b64 s[2:3], s[30:31]
	s_cbranch_execnz .LBB30_255
.LBB30_60:
	s_or_b64 exec, exec, s[2:3]
                                        ; implicit-def: $vgpr36_vgpr37
	s_and_saveexec_b64 s[2:3], s[34:35]
	s_cbranch_execnz .LBB30_256
.LBB30_61:
	s_or_b64 exec, exec, s[2:3]
                                        ; implicit-def: $vgpr38_vgpr39
	s_and_saveexec_b64 s[2:3], s[36:37]
	s_cbranch_execnz .LBB30_257
.LBB30_62:
	s_or_b64 exec, exec, s[2:3]
                                        ; implicit-def: $vgpr40_vgpr41
	s_and_saveexec_b64 s[2:3], s[38:39]
	s_cbranch_execnz .LBB30_258
.LBB30_63:
	s_or_b64 exec, exec, s[2:3]
                                        ; implicit-def: $vgpr42_vgpr43
	s_and_saveexec_b64 s[2:3], s[40:41]
	s_cbranch_execz .LBB30_65
.LBB30_64:
	v_lshlrev_b32_e32 v1, 3, v51
	v_mov_b32_e32 v43, s55
	v_add_co_u32_e32 v42, vcc, s7, v1
	v_addc_co_u32_e32 v43, vcc, 0, v43, vcc
	flat_load_dwordx2 v[42:43], v[42:43]
.LBB30_65:
	s_or_b64 exec, exec, s[2:3]
	v_mul_u32_u24_e32 v49, 19, v0
	s_waitcnt vmcnt(0) lgkmcnt(0)
	ds_write2st64_b64 v50, v[2:3], v[6:7] offset1:1
	ds_write2st64_b64 v50, v[10:11], v[12:13] offset0:2 offset1:3
	ds_write2st64_b64 v50, v[14:15], v[16:17] offset0:4 offset1:5
	;; [unrolled: 1-line block ×8, first 2 shown]
	ds_write_b64 v50, v[42:43] offset:9216
	v_pk_mov_b32 v[6:7], 0, 0
	v_cmp_gt_u32_e32 vcc, s77, v49
	s_mov_b64 s[10:11], 0
	s_mov_b64 s[4:5], 0
	s_mov_b32 s76, 0
	v_mov_b32_e32 v110, 0
	v_mov_b32_e32 v126, 0
	v_pk_mov_b32 v[62:63], v[6:7], v[6:7] op_sel:[0,1]
	v_mov_b32_e32 v125, 0
	v_pk_mov_b32 v[70:71], v[6:7], v[6:7] op_sel:[0,1]
	;; [unrolled: 2-line block ×17, first 2 shown]
	s_waitcnt lgkmcnt(0)
	; wave barrier
	s_waitcnt lgkmcnt(0)
                                        ; implicit-def: $sgpr2_sgpr3
	s_and_saveexec_b64 s[8:9], vcc
	s_cbranch_execz .LBB30_101
; %bb.66:
	ds_read_b64 v[2:3], v48
	v_cmp_ne_u64_e32 vcc, v[8:9], v[106:107]
	v_add_u32_e32 v6, 1, v49
	v_cndmask_b32_e64 v1, 0, 1, vcc
	v_cmp_gt_u32_e32 vcc, s77, v6
	v_pk_mov_b32 v[6:7], 0, 0
	s_mov_b64 s[12:13], 0
	s_mov_b64 s[2:3], 0
	v_mov_b32_e32 v110, 0
	v_mov_b32_e32 v126, 0
	v_pk_mov_b32 v[62:63], v[6:7], v[6:7] op_sel:[0,1]
	v_mov_b32_e32 v125, 0
	v_pk_mov_b32 v[70:71], v[6:7], v[6:7] op_sel:[0,1]
	;; [unrolled: 2-line block ×16, first 2 shown]
                                        ; implicit-def: $sgpr14_sgpr15
	s_and_saveexec_b64 s[10:11], vcc
	s_cbranch_execz .LBB30_100
; %bb.67:
	ds_read2_b64 v[14:17], v48 offset0:1 offset1:2
	v_cmp_ne_u64_e32 vcc, v[106:107], v[108:109]
	v_add_u32_e32 v6, 2, v49
	v_cndmask_b32_e64 v112, 0, 1, vcc
	v_cmp_gt_u32_e32 vcc, s77, v6
	v_pk_mov_b32 v[6:7], 0, 0
	s_mov_b64 s[16:17], 0
	v_mov_b32_e32 v110, 0
	v_mov_b32_e32 v126, 0
	v_pk_mov_b32 v[62:63], v[6:7], v[6:7] op_sel:[0,1]
	v_mov_b32_e32 v125, 0
	v_pk_mov_b32 v[70:71], v[6:7], v[6:7] op_sel:[0,1]
	v_mov_b32_e32 v124, 0
	v_pk_mov_b32 v[54:55], v[6:7], v[6:7] op_sel:[0,1]
	v_mov_b32_e32 v123, 0
	v_pk_mov_b32 v[66:67], v[6:7], v[6:7] op_sel:[0,1]
	v_mov_b32_e32 v122, 0
	v_pk_mov_b32 v[46:47], v[6:7], v[6:7] op_sel:[0,1]
	v_mov_b32_e32 v121, 0
	v_pk_mov_b32 v[58:59], v[6:7], v[6:7] op_sel:[0,1]
	v_mov_b32_e32 v120, 0
	v_pk_mov_b32 v[38:39], v[6:7], v[6:7] op_sel:[0,1]
	v_mov_b32_e32 v119, 0
	v_pk_mov_b32 v[50:51], v[6:7], v[6:7] op_sel:[0,1]
	v_mov_b32_e32 v118, 0
	v_pk_mov_b32 v[30:31], v[6:7], v[6:7] op_sel:[0,1]
	v_mov_b32_e32 v117, 0
	v_pk_mov_b32 v[42:43], v[6:7], v[6:7] op_sel:[0,1]
	v_mov_b32_e32 v116, 0
	v_pk_mov_b32 v[26:27], v[6:7], v[6:7] op_sel:[0,1]
	v_mov_b32_e32 v115, 0
	v_pk_mov_b32 v[34:35], v[6:7], v[6:7] op_sel:[0,1]
	v_mov_b32_e32 v114, 0
	v_pk_mov_b32 v[18:19], v[6:7], v[6:7] op_sel:[0,1]
	v_mov_b32_e32 v113, 0
	v_pk_mov_b32 v[22:23], v[6:7], v[6:7] op_sel:[0,1]
	v_mov_b32_e32 v111, 0
	v_pk_mov_b32 v[10:11], v[6:7], v[6:7] op_sel:[0,1]
                                        ; implicit-def: $sgpr14_sgpr15
	s_and_saveexec_b64 s[12:13], vcc
	s_cbranch_execz .LBB30_99
; %bb.68:
	v_cmp_ne_u64_e32 vcc, v[108:109], v[102:103]
	v_add_u32_e32 v6, 3, v49
	v_cndmask_b32_e64 v111, 0, 1, vcc
	v_cmp_gt_u32_e32 vcc, s77, v6
	v_pk_mov_b32 v[6:7], 0, 0
	s_waitcnt lgkmcnt(0)
	v_mov_b32_e32 v10, v16
	v_mov_b32_e32 v11, v17
	;; [unrolled: 1-line block ×4, first 2 shown]
	v_pk_mov_b32 v[62:63], v[6:7], v[6:7] op_sel:[0,1]
	v_mov_b32_e32 v125, 0
	v_pk_mov_b32 v[70:71], v[6:7], v[6:7] op_sel:[0,1]
	v_mov_b32_e32 v124, 0
	;; [unrolled: 2-line block ×13, first 2 shown]
	v_pk_mov_b32 v[22:23], v[6:7], v[6:7] op_sel:[0,1]
                                        ; implicit-def: $sgpr18_sgpr19
	s_and_saveexec_b64 s[14:15], vcc
	s_cbranch_execz .LBB30_98
; %bb.69:
	ds_read2_b64 v[22:25], v48 offset0:3 offset1:4
	v_cmp_ne_u64_e32 vcc, v[102:103], v[104:105]
	v_add_u32_e32 v6, 4, v49
	v_cndmask_b32_e64 v113, 0, 1, vcc
	v_cmp_gt_u32_e32 vcc, s77, v6
	v_pk_mov_b32 v[6:7], 0, 0
	s_mov_b64 s[20:21], 0
	v_mov_b32_e32 v110, 0
	v_mov_b32_e32 v126, 0
	v_pk_mov_b32 v[62:63], v[6:7], v[6:7] op_sel:[0,1]
	v_mov_b32_e32 v125, 0
	v_pk_mov_b32 v[70:71], v[6:7], v[6:7] op_sel:[0,1]
	;; [unrolled: 2-line block ×13, first 2 shown]
                                        ; implicit-def: $sgpr18_sgpr19
	s_and_saveexec_b64 s[16:17], vcc
	s_cbranch_execz .LBB30_97
; %bb.70:
	v_cmp_ne_u64_e32 vcc, v[104:105], v[98:99]
	v_add_u32_e32 v6, 5, v49
	v_cndmask_b32_e64 v114, 0, 1, vcc
	v_cmp_gt_u32_e32 vcc, s77, v6
	v_pk_mov_b32 v[6:7], 0, 0
	s_waitcnt lgkmcnt(0)
	v_mov_b32_e32 v18, v24
	v_mov_b32_e32 v19, v25
	;; [unrolled: 1-line block ×4, first 2 shown]
	v_pk_mov_b32 v[62:63], v[6:7], v[6:7] op_sel:[0,1]
	v_mov_b32_e32 v125, 0
	v_pk_mov_b32 v[70:71], v[6:7], v[6:7] op_sel:[0,1]
	v_mov_b32_e32 v124, 0
	;; [unrolled: 2-line block ×11, first 2 shown]
	v_pk_mov_b32 v[34:35], v[6:7], v[6:7] op_sel:[0,1]
                                        ; implicit-def: $sgpr22_sgpr23
	s_and_saveexec_b64 s[18:19], vcc
	s_cbranch_execz .LBB30_96
; %bb.71:
	ds_read2_b64 v[34:37], v48 offset0:5 offset1:6
	v_cmp_ne_u64_e32 vcc, v[98:99], v[100:101]
	v_add_u32_e32 v6, 6, v49
	v_cndmask_b32_e64 v115, 0, 1, vcc
	v_cmp_gt_u32_e32 vcc, s77, v6
	v_pk_mov_b32 v[6:7], 0, 0
	s_mov_b64 s[24:25], 0
	v_mov_b32_e32 v110, 0
	v_mov_b32_e32 v126, 0
	v_pk_mov_b32 v[62:63], v[6:7], v[6:7] op_sel:[0,1]
	v_mov_b32_e32 v125, 0
	v_pk_mov_b32 v[70:71], v[6:7], v[6:7] op_sel:[0,1]
	;; [unrolled: 2-line block ×11, first 2 shown]
                                        ; implicit-def: $sgpr22_sgpr23
	s_and_saveexec_b64 s[20:21], vcc
	s_cbranch_execz .LBB30_95
; %bb.72:
	v_cmp_ne_u64_e32 vcc, v[100:101], v[94:95]
	v_add_u32_e32 v6, 7, v49
	v_cndmask_b32_e64 v116, 0, 1, vcc
	v_cmp_gt_u32_e32 vcc, s77, v6
	v_pk_mov_b32 v[6:7], 0, 0
	s_waitcnt lgkmcnt(0)
	v_mov_b32_e32 v26, v36
	v_mov_b32_e32 v27, v37
	;; [unrolled: 1-line block ×4, first 2 shown]
	v_pk_mov_b32 v[62:63], v[6:7], v[6:7] op_sel:[0,1]
	v_mov_b32_e32 v125, 0
	v_pk_mov_b32 v[70:71], v[6:7], v[6:7] op_sel:[0,1]
	v_mov_b32_e32 v124, 0
	;; [unrolled: 2-line block ×9, first 2 shown]
	v_pk_mov_b32 v[42:43], v[6:7], v[6:7] op_sel:[0,1]
                                        ; implicit-def: $sgpr26_sgpr27
	s_and_saveexec_b64 s[22:23], vcc
	s_cbranch_execz .LBB30_94
; %bb.73:
	ds_read2_b64 v[42:45], v48 offset0:7 offset1:8
	v_cmp_ne_u64_e32 vcc, v[94:95], v[96:97]
	v_add_u32_e32 v6, 8, v49
	v_cndmask_b32_e64 v117, 0, 1, vcc
	v_cmp_gt_u32_e32 vcc, s77, v6
	v_pk_mov_b32 v[6:7], 0, 0
	s_mov_b64 s[28:29], 0
	v_mov_b32_e32 v110, 0
	v_mov_b32_e32 v126, 0
	v_pk_mov_b32 v[62:63], v[6:7], v[6:7] op_sel:[0,1]
	v_mov_b32_e32 v125, 0
	v_pk_mov_b32 v[70:71], v[6:7], v[6:7] op_sel:[0,1]
	;; [unrolled: 2-line block ×9, first 2 shown]
                                        ; implicit-def: $sgpr26_sgpr27
	s_and_saveexec_b64 s[24:25], vcc
	s_cbranch_execz .LBB30_93
; %bb.74:
	v_cmp_ne_u64_e32 vcc, v[96:97], v[90:91]
	v_add_u32_e32 v6, 9, v49
	v_cndmask_b32_e64 v118, 0, 1, vcc
	v_cmp_gt_u32_e32 vcc, s77, v6
	v_pk_mov_b32 v[6:7], 0, 0
	s_waitcnt lgkmcnt(0)
	v_mov_b32_e32 v30, v44
	v_mov_b32_e32 v31, v45
	;; [unrolled: 1-line block ×4, first 2 shown]
	v_pk_mov_b32 v[62:63], v[6:7], v[6:7] op_sel:[0,1]
	v_mov_b32_e32 v125, 0
	v_pk_mov_b32 v[70:71], v[6:7], v[6:7] op_sel:[0,1]
	v_mov_b32_e32 v124, 0
	;; [unrolled: 2-line block ×7, first 2 shown]
	v_pk_mov_b32 v[50:51], v[6:7], v[6:7] op_sel:[0,1]
                                        ; implicit-def: $sgpr30_sgpr31
	s_and_saveexec_b64 s[26:27], vcc
	s_cbranch_execz .LBB30_92
; %bb.75:
	ds_read2_b64 v[50:53], v48 offset0:9 offset1:10
	v_cmp_ne_u64_e32 vcc, v[90:91], v[92:93]
	v_add_u32_e32 v6, 10, v49
	v_cndmask_b32_e64 v119, 0, 1, vcc
	v_cmp_gt_u32_e32 vcc, s77, v6
	v_pk_mov_b32 v[6:7], 0, 0
	s_mov_b64 s[34:35], 0
	v_mov_b32_e32 v110, 0
	v_mov_b32_e32 v126, 0
	v_pk_mov_b32 v[62:63], v[6:7], v[6:7] op_sel:[0,1]
	v_mov_b32_e32 v125, 0
	v_pk_mov_b32 v[70:71], v[6:7], v[6:7] op_sel:[0,1]
	;; [unrolled: 2-line block ×7, first 2 shown]
                                        ; implicit-def: $sgpr30_sgpr31
	s_and_saveexec_b64 s[28:29], vcc
	s_cbranch_execz .LBB30_91
; %bb.76:
	v_cmp_ne_u64_e32 vcc, v[92:93], v[86:87]
	v_add_u32_e32 v6, 11, v49
	v_cndmask_b32_e64 v120, 0, 1, vcc
	v_cmp_gt_u32_e32 vcc, s77, v6
	v_pk_mov_b32 v[6:7], 0, 0
	s_waitcnt lgkmcnt(0)
	v_mov_b32_e32 v38, v52
	v_mov_b32_e32 v39, v53
	;; [unrolled: 1-line block ×4, first 2 shown]
	v_pk_mov_b32 v[62:63], v[6:7], v[6:7] op_sel:[0,1]
	v_mov_b32_e32 v125, 0
	v_pk_mov_b32 v[70:71], v[6:7], v[6:7] op_sel:[0,1]
	v_mov_b32_e32 v124, 0
	;; [unrolled: 2-line block ×5, first 2 shown]
	v_pk_mov_b32 v[58:59], v[6:7], v[6:7] op_sel:[0,1]
                                        ; implicit-def: $sgpr36_sgpr37
	s_and_saveexec_b64 s[30:31], vcc
	s_cbranch_execz .LBB30_90
; %bb.77:
	ds_read2_b64 v[58:61], v48 offset0:11 offset1:12
	v_cmp_ne_u64_e32 vcc, v[86:87], v[88:89]
	v_add_u32_e32 v6, 12, v49
	v_cndmask_b32_e64 v121, 0, 1, vcc
	v_cmp_gt_u32_e32 vcc, s77, v6
	v_pk_mov_b32 v[6:7], 0, 0
	s_mov_b64 s[38:39], 0
	v_mov_b32_e32 v110, 0
	v_mov_b32_e32 v126, 0
	v_pk_mov_b32 v[62:63], v[6:7], v[6:7] op_sel:[0,1]
	v_mov_b32_e32 v125, 0
	v_pk_mov_b32 v[70:71], v[6:7], v[6:7] op_sel:[0,1]
	;; [unrolled: 2-line block ×5, first 2 shown]
                                        ; implicit-def: $sgpr36_sgpr37
	s_and_saveexec_b64 s[34:35], vcc
	s_cbranch_execz .LBB30_89
; %bb.78:
	v_cmp_ne_u64_e32 vcc, v[88:89], v[82:83]
	v_add_u32_e32 v6, 13, v49
	v_cndmask_b32_e64 v122, 0, 1, vcc
	v_cmp_gt_u32_e32 vcc, s77, v6
	v_pk_mov_b32 v[6:7], 0, 0
	s_waitcnt lgkmcnt(0)
	v_mov_b32_e32 v46, v60
	v_mov_b32_e32 v47, v61
	;; [unrolled: 1-line block ×4, first 2 shown]
	v_pk_mov_b32 v[62:63], v[6:7], v[6:7] op_sel:[0,1]
	v_mov_b32_e32 v125, 0
	v_pk_mov_b32 v[70:71], v[6:7], v[6:7] op_sel:[0,1]
	v_mov_b32_e32 v124, 0
	;; [unrolled: 2-line block ×3, first 2 shown]
	v_pk_mov_b32 v[66:67], v[6:7], v[6:7] op_sel:[0,1]
                                        ; implicit-def: $sgpr40_sgpr41
	s_and_saveexec_b64 s[36:37], vcc
	s_cbranch_execz .LBB30_88
; %bb.79:
	ds_read2_b64 v[66:69], v48 offset0:13 offset1:14
	v_cmp_ne_u64_e32 vcc, v[82:83], v[84:85]
	v_add_u32_e32 v6, 14, v49
	v_cndmask_b32_e64 v123, 0, 1, vcc
	v_cmp_gt_u32_e32 vcc, s77, v6
	v_pk_mov_b32 v[6:7], 0, 0
	s_mov_b64 s[42:43], 0
	v_mov_b32_e32 v110, 0
	v_mov_b32_e32 v126, 0
	v_pk_mov_b32 v[62:63], v[6:7], v[6:7] op_sel:[0,1]
	v_mov_b32_e32 v125, 0
	v_pk_mov_b32 v[70:71], v[6:7], v[6:7] op_sel:[0,1]
	;; [unrolled: 2-line block ×3, first 2 shown]
                                        ; implicit-def: $sgpr40_sgpr41
	s_and_saveexec_b64 s[38:39], vcc
	s_cbranch_execz .LBB30_87
; %bb.80:
	v_cmp_ne_u64_e32 vcc, v[84:85], v[78:79]
	v_add_u32_e32 v6, 15, v49
	v_cndmask_b32_e64 v124, 0, 1, vcc
	v_cmp_gt_u32_e32 vcc, s77, v6
	v_pk_mov_b32 v[6:7], 0, 0
	s_waitcnt lgkmcnt(0)
	v_mov_b32_e32 v54, v68
	v_mov_b32_e32 v55, v69
	;; [unrolled: 1-line block ×4, first 2 shown]
	v_pk_mov_b32 v[62:63], v[6:7], v[6:7] op_sel:[0,1]
	v_mov_b32_e32 v125, 0
	v_pk_mov_b32 v[70:71], v[6:7], v[6:7] op_sel:[0,1]
                                        ; implicit-def: $sgpr56_sgpr57
	s_and_saveexec_b64 s[40:41], vcc
	s_cbranch_execz .LBB30_86
; %bb.81:
	ds_read2_b64 v[70:73], v48 offset0:15 offset1:16
	v_cmp_ne_u64_e32 vcc, v[78:79], v[80:81]
	v_add_u32_e32 v6, 16, v49
	v_cndmask_b32_e64 v125, 0, 1, vcc
	v_cmp_gt_u32_e32 vcc, s77, v6
	v_pk_mov_b32 v[6:7], 0, 0
	s_mov_b64 s[56:57], 0
	v_mov_b32_e32 v110, 0
	v_mov_b32_e32 v126, 0
	v_pk_mov_b32 v[62:63], v[6:7], v[6:7] op_sel:[0,1]
                                        ; implicit-def: $sgpr72_sgpr73
	s_and_saveexec_b64 s[42:43], vcc
	s_cbranch_execz .LBB30_85
; %bb.82:
	v_cmp_ne_u64_e32 vcc, v[80:81], v[74:75]
	v_add_u32_e32 v6, 17, v49
	s_waitcnt lgkmcnt(0)
	v_mov_b32_e32 v62, v72
	v_mov_b32_e32 v63, v73
	v_cndmask_b32_e64 v126, 0, 1, vcc
	v_cmp_gt_u32_e32 vcc, s77, v6
	v_mov_b32_e32 v110, 0
	v_pk_mov_b32 v[6:7], 0, 0
                                        ; implicit-def: $sgpr72_sgpr73
	s_and_saveexec_b64 s[2:3], vcc
	s_xor_b64 s[74:75], exec, s[2:3]
	s_cbranch_execz .LBB30_84
; %bb.83:
	ds_read2_b64 v[6:9], v48 offset0:17 offset1:18
	v_cmp_ne_u64_e32 vcc, v[76:77], v[4:5]
	v_cmp_ne_u64_e64 s[2:3], v[74:75], v[76:77]
	v_add_u32_e32 v4, 18, v49
	v_cndmask_b32_e64 v110, 0, 1, s[2:3]
	v_cmp_gt_u32_e64 s[2:3], s77, v4
	s_and_b64 s[72:73], vcc, exec
	s_and_b64 s[56:57], s[2:3], exec
	s_waitcnt lgkmcnt(0)
	v_pk_mov_b32 v[64:65], v[6:7], v[6:7] op_sel:[0,1]
.LBB30_84:
	s_or_b64 exec, exec, s[74:75]
	s_and_b64 s[72:73], s[72:73], exec
	s_and_b64 s[2:3], s[56:57], exec
.LBB30_85:
	s_or_b64 exec, exec, s[42:43]
	s_and_b64 s[56:57], s[72:73], exec
	s_and_b64 s[42:43], s[2:3], exec
	s_waitcnt lgkmcnt(0)
	v_pk_mov_b32 v[56:57], v[70:71], v[70:71] op_sel:[0,1]
	v_pk_mov_b32 v[48:49], v[66:67], v[66:67] op_sel:[0,1]
	;; [unrolled: 1-line block ×8, first 2 shown]
.LBB30_86:
	s_or_b64 exec, exec, s[40:41]
	s_and_b64 s[40:41], s[56:57], exec
	s_and_b64 s[2:3], s[42:43], exec
.LBB30_87:
	s_or_b64 exec, exec, s[38:39]
	s_and_b64 s[40:41], s[40:41], exec
	s_and_b64 s[38:39], s[2:3], exec
.LBB30_88:
	s_or_b64 exec, exec, s[36:37]
	s_and_b64 s[36:37], s[40:41], exec
	s_and_b64 s[2:3], s[38:39], exec
.LBB30_89:
	s_or_b64 exec, exec, s[34:35]
	s_and_b64 s[36:37], s[36:37], exec
	s_and_b64 s[34:35], s[2:3], exec
.LBB30_90:
	s_or_b64 exec, exec, s[30:31]
	s_and_b64 s[30:31], s[36:37], exec
	s_and_b64 s[2:3], s[34:35], exec
.LBB30_91:
	s_or_b64 exec, exec, s[28:29]
	s_and_b64 s[30:31], s[30:31], exec
	s_and_b64 s[28:29], s[2:3], exec
.LBB30_92:
	s_or_b64 exec, exec, s[26:27]
	s_and_b64 s[26:27], s[30:31], exec
	s_and_b64 s[2:3], s[28:29], exec
.LBB30_93:
	s_or_b64 exec, exec, s[24:25]
	s_and_b64 s[26:27], s[26:27], exec
	s_and_b64 s[24:25], s[2:3], exec
.LBB30_94:
	s_or_b64 exec, exec, s[22:23]
	s_and_b64 s[22:23], s[26:27], exec
	s_and_b64 s[2:3], s[24:25], exec
.LBB30_95:
	s_or_b64 exec, exec, s[20:21]
	s_and_b64 s[22:23], s[22:23], exec
	s_and_b64 s[20:21], s[2:3], exec
.LBB30_96:
	s_or_b64 exec, exec, s[18:19]
	s_and_b64 s[18:19], s[22:23], exec
	s_and_b64 s[2:3], s[20:21], exec
.LBB30_97:
	s_or_b64 exec, exec, s[16:17]
	s_and_b64 s[18:19], s[18:19], exec
	s_and_b64 s[16:17], s[2:3], exec
.LBB30_98:
	s_or_b64 exec, exec, s[14:15]
	s_and_b64 s[14:15], s[18:19], exec
	s_and_b64 s[2:3], s[16:17], exec
.LBB30_99:
	s_or_b64 exec, exec, s[12:13]
	s_and_b64 s[14:15], s[14:15], exec
	s_and_b64 s[12:13], s[2:3], exec
.LBB30_100:
	s_or_b64 exec, exec, s[10:11]
	s_and_b64 s[2:3], s[14:15], exec
	s_and_b64 s[10:11], s[12:13], exec
.LBB30_101:
	s_or_b64 exec, exec, s[8:9]
	s_mov_b64 s[8:9], 0
	s_and_b64 vcc, exec, s[4:5]
	v_lshlrev_b32_e32 v127, 3, v0
	s_cbranch_vccnz .LBB30_103
	s_branch .LBB30_111
.LBB30_102:
                                        ; implicit-def: $sgpr2_sgpr3
                                        ; implicit-def: $vgpr8_vgpr9
                                        ; implicit-def: $vgpr110
                                        ; implicit-def: $vgpr64_vgpr65
                                        ; implicit-def: $vgpr126
                                        ; implicit-def: $vgpr125
                                        ; implicit-def: $vgpr56_vgpr57
                                        ; implicit-def: $vgpr124
                                        ; implicit-def: $vgpr123
                                        ; implicit-def: $vgpr48_vgpr49
                                        ; implicit-def: $vgpr122
                                        ; implicit-def: $vgpr121
                                        ; implicit-def: $vgpr40_vgpr41
                                        ; implicit-def: $vgpr120
                                        ; implicit-def: $vgpr119
                                        ; implicit-def: $vgpr32_vgpr33
                                        ; implicit-def: $vgpr118
                                        ; implicit-def: $vgpr117
                                        ; implicit-def: $vgpr28_vgpr29
                                        ; implicit-def: $vgpr116
                                        ; implicit-def: $vgpr115
                                        ; implicit-def: $vgpr20_vgpr21
                                        ; implicit-def: $vgpr114
                                        ; implicit-def: $vgpr113
                                        ; implicit-def: $vgpr12_vgpr13
                                        ; implicit-def: $vgpr111
                                        ; implicit-def: $vgpr112
                                        ; implicit-def: $vgpr4_vgpr5
                                        ; implicit-def: $vgpr1
                                        ; implicit-def: $sgpr76
                                        ; implicit-def: $sgpr8_sgpr9
                                        ; implicit-def: $vgpr70_vgpr71
                                        ; implicit-def: $vgpr66_vgpr67
                                        ; implicit-def: $vgpr58_vgpr59
                                        ; implicit-def: $vgpr50_vgpr51
                                        ; implicit-def: $vgpr42_vgpr43
                                        ; implicit-def: $vgpr34_vgpr35
                                        ; implicit-def: $vgpr22_vgpr23
                                        ; implicit-def: $vgpr14_vgpr15
	s_and_b64 vcc, exec, s[4:5]
	v_lshlrev_b32_e32 v127, 3, v0
	s_cbranch_vccz .LBB30_111
.LBB30_103:
	v_mov_b32_e32 v1, s45
	s_waitcnt lgkmcnt(0)
	v_add_co_u32_e32 v2, vcc, s44, v127
	v_addc_co_u32_e32 v3, vcc, 0, v1, vcc
	v_add_co_u32_e32 v20, vcc, 0x1000, v2
	v_addc_co_u32_e32 v21, vcc, 0, v3, vcc
	flat_load_dwordx2 v[4:5], v[2:3]
	flat_load_dwordx2 v[6:7], v[2:3] offset:512
	flat_load_dwordx2 v[8:9], v[2:3] offset:1024
	;; [unrolled: 1-line block ×7, first 2 shown]
	v_add_co_u32_e32 v2, vcc, 0x2000, v2
	v_addc_co_u32_e32 v3, vcc, 0, v3, vcc
	flat_load_dwordx2 v[22:23], v[20:21]
	flat_load_dwordx2 v[24:25], v[20:21] offset:512
	flat_load_dwordx2 v[26:27], v[20:21] offset:1024
	;; [unrolled: 1-line block ×7, first 2 shown]
	s_nop 0
	flat_load_dwordx2 v[20:21], v[2:3]
	flat_load_dwordx2 v[38:39], v[2:3] offset:512
	flat_load_dwordx2 v[40:41], v[2:3] offset:1024
	s_movk_i32 s2, 0x90
	v_mad_u32_u24 v1, v0, s2, v127
	s_cmp_eq_u64 s[70:71], 0
	s_waitcnt vmcnt(0) lgkmcnt(0)
	ds_write2st64_b64 v127, v[4:5], v[6:7] offset1:1
	ds_write2st64_b64 v127, v[8:9], v[10:11] offset0:2 offset1:3
	ds_write2st64_b64 v127, v[12:13], v[14:15] offset0:4 offset1:5
	;; [unrolled: 1-line block ×8, first 2 shown]
	ds_write_b64 v127, v[40:41] offset:9216
	s_waitcnt lgkmcnt(0)
	; wave barrier
	s_waitcnt lgkmcnt(0)
	ds_read2_b64 v[14:17], v1 offset1:1
	ds_read2_b64 v[2:5], v1 offset0:2 offset1:3
	ds_read2_b64 v[6:9], v1 offset0:4 offset1:5
	;; [unrolled: 1-line block ×8, first 2 shown]
	ds_read_b64 v[38:39], v1 offset:144
	s_cbranch_scc1 .LBB30_108
; %bb.104:
	s_andn2_b64 vcc, exec, s[68:69]
	s_cbranch_vccnz .LBB30_260
; %bb.105:
	s_lshl_b64 s[2:3], s[70:71], 3
	s_add_u32 s2, s62, s2
	s_addc_u32 s3, s63, s3
	s_add_u32 s2, s2, -8
	s_addc_u32 s3, s3, -1
	s_cbranch_execnz .LBB30_107
.LBB30_106:
	s_add_u32 s2, s44, -8
	s_addc_u32 s3, s45, -1
.LBB30_107:
	s_mov_b64 s[44:45], s[2:3]
.LBB30_108:
	v_pk_mov_b32 v[40:41], s[44:45], s[44:45] op_sel:[0,1]
	flat_load_dwordx2 v[42:43], v[40:41]
	s_movk_i32 s2, 0xff70
	v_mad_i32_i24 v40, v0, s2, v1
	v_cmp_ne_u32_e32 vcc, 0, v0
	s_waitcnt lgkmcnt(0)
	ds_write_b64 v40, v[38:39] offset:9728
	s_waitcnt lgkmcnt(0)
	; wave barrier
	s_waitcnt lgkmcnt(0)
	s_and_saveexec_b64 s[2:3], vcc
	s_cbranch_execz .LBB30_110
; %bb.109:
	v_mul_i32_i24_e32 v40, 0xffffff70, v0
	v_add_u32_e32 v40, v1, v40
	s_waitcnt vmcnt(0)
	ds_read_b64 v[42:43], v40 offset:9720
.LBB30_110:
	s_or_b64 exec, exec, s[2:3]
	v_mov_b32_e32 v41, s55
	v_add_co_u32_e32 v40, vcc, s7, v127
	v_addc_co_u32_e32 v41, vcc, 0, v41, vcc
	s_movk_i32 s2, 0x1000
	v_add_co_u32_e32 v60, vcc, s2, v40
	v_addc_co_u32_e32 v61, vcc, 0, v41, vcc
	s_movk_i32 s2, 0x2000
	s_waitcnt lgkmcnt(0)
	; wave barrier
	s_waitcnt lgkmcnt(0)
	flat_load_dwordx2 v[44:45], v[40:41]
	flat_load_dwordx2 v[46:47], v[40:41] offset:512
	flat_load_dwordx2 v[48:49], v[40:41] offset:1024
	;; [unrolled: 1-line block ×7, first 2 shown]
	v_add_co_u32_e32 v40, vcc, s2, v40
	v_addc_co_u32_e32 v41, vcc, 0, v41, vcc
	flat_load_dwordx2 v[62:63], v[60:61]
	flat_load_dwordx2 v[64:65], v[60:61] offset:512
	flat_load_dwordx2 v[66:67], v[60:61] offset:1024
	;; [unrolled: 1-line block ×7, first 2 shown]
	s_nop 0
	flat_load_dwordx2 v[60:61], v[40:41]
	flat_load_dwordx2 v[78:79], v[40:41] offset:512
	flat_load_dwordx2 v[80:81], v[40:41] offset:1024
	v_cmp_ne_u64_e32 vcc, v[34:35], v[36:37]
	v_cndmask_b32_e64 v110, 0, 1, vcc
	v_cmp_ne_u64_e32 vcc, v[32:33], v[34:35]
	v_cndmask_b32_e64 v126, 0, 1, vcc
	;; [unrolled: 2-line block ×14, first 2 shown]
	v_cmp_ne_u64_e32 vcc, v[2:3], v[4:5]
	v_cmp_ne_u64_e64 s[2:3], v[36:37], v[38:39]
	v_cndmask_b32_e64 v113, 0, 1, vcc
	v_cmp_ne_u64_e32 vcc, v[16:17], v[2:3]
	v_cndmask_b32_e64 v111, 0, 1, vcc
	v_cmp_ne_u64_e32 vcc, v[14:15], v[16:17]
	v_cndmask_b32_e64 v112, 0, 1, vcc
	s_waitcnt vmcnt(0)
	v_cmp_ne_u64_e32 vcc, v[42:43], v[14:15]
	s_mov_b64 s[10:11], -1
                                        ; implicit-def: $sgpr76
                                        ; implicit-def: $sgpr8_sgpr9
                                        ; implicit-def: $vgpr42_vgpr43
                                        ; implicit-def: $vgpr34_vgpr35
                                        ; implicit-def: $vgpr22_vgpr23
                                        ; implicit-def: $vgpr14_vgpr15
	s_waitcnt lgkmcnt(0)
	ds_write2st64_b64 v127, v[44:45], v[46:47] offset1:1
	ds_write2st64_b64 v127, v[48:49], v[50:51] offset0:2 offset1:3
	ds_write2st64_b64 v127, v[52:53], v[54:55] offset0:4 offset1:5
	;; [unrolled: 1-line block ×8, first 2 shown]
	ds_write_b64 v127, v[80:81] offset:9216
	s_waitcnt lgkmcnt(0)
	; wave barrier
	s_waitcnt lgkmcnt(0)
	ds_read2_b64 v[2:5], v1 offset1:1
	ds_read2_b64 v[10:13], v1 offset0:2 offset1:3
	ds_read2_b64 v[18:21], v1 offset0:4 offset1:5
	;; [unrolled: 1-line block ×8, first 2 shown]
	ds_read_b64 v[8:9], v1 offset:144
	v_cndmask_b32_e64 v1, 0, 1, vcc
                                        ; implicit-def: $vgpr70_vgpr71
                                        ; implicit-def: $vgpr66_vgpr67
                                        ; implicit-def: $vgpr58_vgpr59
                                        ; implicit-def: $vgpr50_vgpr51
.LBB30_111:
	s_waitcnt lgkmcnt(0)
	v_pk_mov_b32 v[16:17], s[8:9], s[8:9] op_sel:[0,1]
	v_mov_b32_e32 v36, s76
	s_and_saveexec_b64 s[4:5], s[10:11]
; %bb.112:
	v_cndmask_b32_e64 v36, 0, 1, s[2:3]
	v_pk_mov_b32 v[14:15], v[4:5], v[4:5] op_sel:[0,1]
	v_pk_mov_b32 v[22:23], v[12:13], v[12:13] op_sel:[0,1]
	;; [unrolled: 1-line block ×10, first 2 shown]
; %bb.113:
	s_or_b64 exec, exec, s[4:5]
	v_or_b32_e32 v4, v36, v110
	s_cmp_lg_u32 s6, 0
	v_or_b32_e32 v29, v4, v126
	v_mbcnt_lo_u32_b32 v28, -1, 0
	s_waitcnt lgkmcnt(0)
	; wave barrier
	s_cbranch_scc0 .LBB30_176
; %bb.114:
	v_mov_b32_e32 v4, 0
	v_cmp_eq_u16_sdwa s[38:39], v112, v4 src0_sel:BYTE_0 src1_sel:DWORD
	v_cndmask_b32_e64 v9, 0, v2, s[38:39]
	v_cndmask_b32_e64 v5, 0, v3, s[38:39]
	v_add_co_u32_e32 v9, vcc, v9, v14
	v_cmp_eq_u16_sdwa s[36:37], v111, v4 src0_sel:BYTE_0 src1_sel:DWORD
	v_addc_co_u32_e32 v5, vcc, v5, v15, vcc
	v_cndmask_b32_e64 v9, 0, v9, s[36:37]
	v_cndmask_b32_e64 v5, 0, v5, s[36:37]
	v_add_co_u32_e32 v9, vcc, v9, v10
	v_cmp_eq_u16_sdwa s[34:35], v113, v4 src0_sel:BYTE_0 src1_sel:DWORD
	v_addc_co_u32_e32 v5, vcc, v5, v11, vcc
	v_cndmask_b32_e64 v9, 0, v9, s[34:35]
	v_cndmask_b32_e64 v5, 0, v5, s[34:35]
	v_add_co_u32_e32 v9, vcc, v9, v22
	v_cmp_eq_u16_sdwa s[30:31], v114, v4 src0_sel:BYTE_0 src1_sel:DWORD
	v_addc_co_u32_e32 v5, vcc, v5, v23, vcc
	v_cndmask_b32_e64 v9, 0, v9, s[30:31]
	v_cndmask_b32_e64 v5, 0, v5, s[30:31]
	v_add_co_u32_e32 v9, vcc, v9, v18
	v_cmp_eq_u16_sdwa s[28:29], v115, v4 src0_sel:BYTE_0 src1_sel:DWORD
	v_addc_co_u32_e32 v5, vcc, v5, v19, vcc
	v_cndmask_b32_e64 v9, 0, v9, s[28:29]
	v_cndmask_b32_e64 v5, 0, v5, s[28:29]
	v_add_co_u32_e32 v9, vcc, v9, v34
	v_cmp_eq_u16_sdwa s[26:27], v116, v4 src0_sel:BYTE_0 src1_sel:DWORD
	v_addc_co_u32_e32 v5, vcc, v5, v35, vcc
	v_cndmask_b32_e64 v9, 0, v9, s[26:27]
	v_cndmask_b32_e64 v5, 0, v5, s[26:27]
	v_add_co_u32_e32 v9, vcc, v9, v26
	v_cmp_eq_u16_sdwa s[24:25], v117, v4 src0_sel:BYTE_0 src1_sel:DWORD
	v_addc_co_u32_e32 v5, vcc, v5, v27, vcc
	v_cndmask_b32_e64 v9, 0, v9, s[24:25]
	v_cndmask_b32_e64 v5, 0, v5, s[24:25]
	v_add_co_u32_e32 v9, vcc, v9, v42
	v_cmp_eq_u16_sdwa s[22:23], v118, v4 src0_sel:BYTE_0 src1_sel:DWORD
	v_addc_co_u32_e32 v5, vcc, v5, v43, vcc
	v_cndmask_b32_e64 v9, 0, v9, s[22:23]
	v_cndmask_b32_e64 v5, 0, v5, s[22:23]
	v_add_co_u32_e32 v9, vcc, v9, v30
	v_cmp_eq_u16_sdwa s[20:21], v119, v4 src0_sel:BYTE_0 src1_sel:DWORD
	v_addc_co_u32_e32 v5, vcc, v5, v31, vcc
	v_cndmask_b32_e64 v9, 0, v9, s[20:21]
	v_cndmask_b32_e64 v5, 0, v5, s[20:21]
	v_add_co_u32_e32 v9, vcc, v9, v50
	v_cmp_eq_u16_sdwa s[18:19], v120, v4 src0_sel:BYTE_0 src1_sel:DWORD
	v_addc_co_u32_e32 v5, vcc, v5, v51, vcc
	v_cndmask_b32_e64 v9, 0, v9, s[18:19]
	v_cndmask_b32_e64 v5, 0, v5, s[18:19]
	v_add_co_u32_e32 v9, vcc, v9, v38
	v_cmp_eq_u16_sdwa s[16:17], v121, v4 src0_sel:BYTE_0 src1_sel:DWORD
	v_addc_co_u32_e32 v5, vcc, v5, v39, vcc
	v_cndmask_b32_e64 v9, 0, v9, s[16:17]
	v_cndmask_b32_e64 v5, 0, v5, s[16:17]
	v_add_co_u32_e32 v9, vcc, v9, v58
	v_cmp_eq_u16_sdwa s[14:15], v122, v4 src0_sel:BYTE_0 src1_sel:DWORD
	v_addc_co_u32_e32 v5, vcc, v5, v59, vcc
	v_cndmask_b32_e64 v9, 0, v9, s[14:15]
	v_cndmask_b32_e64 v5, 0, v5, s[14:15]
	v_add_co_u32_e32 v9, vcc, v9, v46
	v_cmp_eq_u16_sdwa s[12:13], v123, v4 src0_sel:BYTE_0 src1_sel:DWORD
	v_addc_co_u32_e32 v5, vcc, v5, v47, vcc
	v_cndmask_b32_e64 v9, 0, v9, s[12:13]
	v_cndmask_b32_e64 v5, 0, v5, s[12:13]
	v_add_co_u32_e32 v9, vcc, v9, v66
	v_cmp_eq_u16_sdwa s[10:11], v124, v4 src0_sel:BYTE_0 src1_sel:DWORD
	v_addc_co_u32_e32 v5, vcc, v5, v67, vcc
	v_cndmask_b32_e64 v9, 0, v9, s[10:11]
	v_cndmask_b32_e64 v5, 0, v5, s[10:11]
	v_add_co_u32_e32 v9, vcc, v9, v54
	v_cmp_eq_u16_sdwa s[8:9], v125, v4 src0_sel:BYTE_0 src1_sel:DWORD
	v_addc_co_u32_e32 v5, vcc, v5, v55, vcc
	v_cndmask_b32_e64 v9, 0, v9, s[8:9]
	v_cndmask_b32_e64 v5, 0, v5, s[8:9]
	v_add_co_u32_e32 v9, vcc, v9, v70
	v_cmp_eq_u16_sdwa s[42:43], v126, v4 src0_sel:BYTE_0 src1_sel:DWORD
	v_addc_co_u32_e32 v5, vcc, v5, v71, vcc
	v_cndmask_b32_e64 v9, 0, v9, s[42:43]
	v_cndmask_b32_e64 v5, 0, v5, s[42:43]
	v_add_co_u32_e32 v9, vcc, v9, v62
	v_cmp_eq_u16_sdwa s[4:5], v110, v4 src0_sel:BYTE_0 src1_sel:DWORD
	v_addc_co_u32_e32 v5, vcc, v5, v63, vcc
	v_cndmask_b32_e64 v9, 0, v9, s[4:5]
	v_add_co_u32_e32 v9, vcc, v9, v6
	v_cmp_eq_u16_sdwa s[2:3], v36, v4 src0_sel:BYTE_0 src1_sel:DWORD
	v_cndmask_b32_e64 v4, 0, v9, s[2:3]
	v_or_b32_e32 v9, v29, v125
	v_or_b32_e32 v9, v9, v124
	v_or_b32_e32 v9, v9, v123
	v_or_b32_e32 v9, v9, v122
	v_or_b32_e32 v9, v9, v121
	v_or_b32_e32 v9, v9, v120
	v_or_b32_e32 v9, v9, v119
	v_or_b32_e32 v9, v9, v118
	v_or_b32_e32 v9, v9, v117
	v_or_b32_e32 v9, v9, v116
	v_or_b32_e32 v9, v9, v115
	v_or_b32_e32 v9, v9, v114
	v_cndmask_b32_e64 v5, 0, v5, s[4:5]
	v_or_b32_e32 v9, v9, v113
	v_addc_co_u32_e32 v5, vcc, v5, v7, vcc
	v_or_b32_e32 v9, v9, v111
	v_cndmask_b32_e64 v5, 0, v5, s[2:3]
	v_add_co_u32_e32 v4, vcc, v4, v16
	v_or_b32_e32 v9, v9, v112
	v_addc_co_u32_e32 v5, vcc, v5, v17, vcc
	v_and_b32_e32 v9, 1, v9
	v_and_b32_e32 v8, 0xff, v1
	v_cmp_eq_u32_e32 vcc, 1, v9
	v_mbcnt_hi_u32_b32 v9, -1, v28
	v_cndmask_b32_e64 v8, v8, 1, vcc
	v_and_b32_e32 v12, 15, v9
	v_mov_b32_dpp v20, v4 row_shr:1 row_mask:0xf bank_mask:0xf
	v_mov_b32_dpp v21, v5 row_shr:1 row_mask:0xf bank_mask:0xf
	;; [unrolled: 1-line block ×3, first 2 shown]
	v_cmp_ne_u32_e32 vcc, 0, v12
	s_and_saveexec_b64 s[40:41], vcc
; %bb.115:
	v_cmp_eq_u32_e32 vcc, 0, v8
	v_cndmask_b32_e32 v20, 0, v20, vcc
	v_cndmask_b32_e32 v21, 0, v21, vcc
	v_add_co_u32_e32 v4, vcc, v20, v4
	v_addc_co_u32_e32 v5, vcc, v21, v5, vcc
	v_and_or_b32 v8, v13, 1, v8
; %bb.116:
	s_or_b64 exec, exec, s[40:41]
	v_mov_b32_dpp v20, v4 row_shr:2 row_mask:0xf bank_mask:0xf
	v_mov_b32_dpp v21, v5 row_shr:2 row_mask:0xf bank_mask:0xf
	v_mov_b32_dpp v13, v8 row_shr:2 row_mask:0xf bank_mask:0xf
	v_cmp_lt_u32_e32 vcc, 1, v12
	s_and_saveexec_b64 s[40:41], vcc
; %bb.117:
	v_cmp_eq_u32_e32 vcc, 0, v8
	v_cndmask_b32_e32 v20, 0, v20, vcc
	v_cndmask_b32_e32 v21, 0, v21, vcc
	v_add_co_u32_e32 v4, vcc, v20, v4
	v_or_b32_e32 v8, v13, v8
	v_addc_co_u32_e32 v5, vcc, v21, v5, vcc
	v_and_b32_e32 v8, 1, v8
; %bb.118:
	s_or_b64 exec, exec, s[40:41]
	v_mov_b32_dpp v20, v4 row_shr:4 row_mask:0xf bank_mask:0xf
	v_mov_b32_dpp v21, v5 row_shr:4 row_mask:0xf bank_mask:0xf
	v_mov_b32_dpp v13, v8 row_shr:4 row_mask:0xf bank_mask:0xf
	v_cmp_lt_u32_e32 vcc, 3, v12
	s_and_saveexec_b64 s[40:41], vcc
; %bb.119:
	v_cmp_eq_u32_e32 vcc, 0, v8
	v_cndmask_b32_e32 v20, 0, v20, vcc
	v_cndmask_b32_e32 v21, 0, v21, vcc
	v_add_co_u32_e32 v4, vcc, v20, v4
	v_or_b32_e32 v8, v13, v8
	v_addc_co_u32_e32 v5, vcc, v21, v5, vcc
	v_and_b32_e32 v8, 1, v8
	;; [unrolled: 15-line block ×3, first 2 shown]
; %bb.122:
	s_or_b64 exec, exec, s[40:41]
	v_and_b32_e32 v21, 16, v9
	v_mov_b32_dpp v13, v4 row_bcast:15 row_mask:0xf bank_mask:0xf
	v_mov_b32_dpp v20, v5 row_bcast:15 row_mask:0xf bank_mask:0xf
	;; [unrolled: 1-line block ×3, first 2 shown]
	v_cmp_ne_u32_e32 vcc, 0, v21
	s_and_saveexec_b64 s[40:41], vcc
; %bb.123:
	v_cmp_eq_u32_e32 vcc, 0, v8
	v_cndmask_b32_e32 v13, 0, v13, vcc
	v_cndmask_b32_e32 v20, 0, v20, vcc
	v_add_co_u32_e32 v4, vcc, v13, v4
	v_or_b32_e32 v8, v12, v8
	v_addc_co_u32_e32 v5, vcc, v20, v5, vcc
	v_and_b32_e32 v8, 1, v8
; %bb.124:
	s_or_b64 exec, exec, s[40:41]
	v_mov_b32_dpp v20, v4 row_bcast:31 row_mask:0xf bank_mask:0xf
	v_mov_b32_dpp v21, v5 row_bcast:31 row_mask:0xf bank_mask:0xf
	;; [unrolled: 1-line block ×3, first 2 shown]
	v_cmp_lt_u32_e32 vcc, 31, v9
	v_mov_b32_e32 v12, v8
	s_and_saveexec_b64 s[40:41], vcc
; %bb.125:
	v_cmp_eq_u32_e32 vcc, 0, v8
	v_cndmask_b32_e32 v20, 0, v20, vcc
	v_cndmask_b32_e32 v12, 0, v21, vcc
	v_add_co_u32_e32 v4, vcc, v20, v4
	v_or_b32_e32 v8, v13, v8
	v_addc_co_u32_e32 v5, vcc, v12, v5, vcc
	v_and_b32_e32 v12, 1, v8
	v_and_b32_e32 v8, 1, v8
; %bb.126:
	s_or_b64 exec, exec, s[40:41]
	v_cmp_eq_u32_e32 vcc, 63, v0
	s_and_saveexec_b64 s[40:41], vcc
	s_cbranch_execz .LBB30_128
; %bb.127:
	v_mov_b32_e32 v13, 0
	ds_write_b64 v13, v[4:5]
	ds_write_b8 v13, v12 offset:8
.LBB30_128:
	s_or_b64 exec, exec, s[40:41]
	v_add_u32_e32 v12, -1, v9
	v_and_b32_e32 v13, 64, v9
	v_cmp_lt_i32_e32 vcc, v12, v13
	v_cndmask_b32_e32 v12, v12, v9, vcc
	v_lshlrev_b32_e32 v12, 2, v12
	ds_bpermute_b32 v33, v12, v4
	ds_bpermute_b32 v37, v12, v5
	;; [unrolled: 1-line block ×3, first 2 shown]
	v_cmp_gt_u32_e32 vcc, 64, v0
	s_waitcnt lgkmcnt(0)
	; wave barrier
	s_waitcnt lgkmcnt(0)
	s_and_saveexec_b64 s[56:57], vcc
	s_cbranch_execz .LBB30_175
; %bb.129:
	v_mov_b32_e32 v13, 0
	ds_read_b64 v[4:5], v13
	ds_read_u8 v40, v13 offset:8
	s_mov_b32 s63, 0
	v_cmp_eq_u32_e64 s[40:41], 0, v9
	s_and_saveexec_b64 s[44:45], s[40:41]
	s_cbranch_execz .LBB30_131
; %bb.130:
	s_add_i32 s62, s6, 64
	s_lshl_b64 s[68:69], s[62:63], 4
	s_add_u32 s68, s48, s68
	s_addc_u32 s69, s49, s69
	v_mov_b32_e32 v8, s62
	v_mov_b32_e32 v12, 1
	s_waitcnt lgkmcnt(1)
	global_store_dwordx2 v13, v[4:5], s[68:69]
	s_waitcnt lgkmcnt(0)
	global_store_byte v13, v40, s[68:69] offset:8
	s_waitcnt vmcnt(0)
	buffer_wbinvl1_vol
	global_store_byte v8, v12, s[52:53]
.LBB30_131:
	s_or_b64 exec, exec, s[44:45]
	v_xad_u32 v8, v9, -1, s6
	v_add_u32_e32 v12, 64, v8
	global_load_ubyte v41, v12, s[52:53] glc
	s_waitcnt vmcnt(0)
	v_cmp_eq_u16_e32 vcc, 0, v41
	s_and_saveexec_b64 s[44:45], vcc
	s_cbranch_execz .LBB30_137
; %bb.132:
	v_mov_b32_e32 v21, s53
	v_add_co_u32_e32 v20, vcc, s52, v12
	v_addc_co_u32_e32 v21, vcc, 0, v21, vcc
	s_mov_b32 s7, 1
	s_mov_b64 s[62:63], 0
.LBB30_133:                             ; =>This Loop Header: Depth=1
                                        ;     Child Loop BB30_134 Depth 2
	s_max_u32 s55, s7, 1
.LBB30_134:                             ;   Parent Loop BB30_133 Depth=1
                                        ; =>  This Inner Loop Header: Depth=2
	s_add_i32 s55, s55, -1
	s_cmp_eq_u32 s55, 0
	s_sleep 1
	s_cbranch_scc0 .LBB30_134
; %bb.135:                              ;   in Loop: Header=BB30_133 Depth=1
	global_load_ubyte v41, v[20:21], off glc
	s_cmp_lt_u32 s7, 32
	s_cselect_b64 s[68:69], -1, 0
	s_cmp_lg_u64 s[68:69], 0
	s_addc_u32 s7, s7, 0
	s_waitcnt vmcnt(0)
	v_cmp_ne_u16_e32 vcc, 0, v41
	s_or_b64 s[62:63], vcc, s[62:63]
	s_andn2_b64 exec, exec, s[62:63]
	s_cbranch_execnz .LBB30_133
; %bb.136:
	s_or_b64 exec, exec, s[62:63]
.LBB30_137:
	s_or_b64 exec, exec, s[44:45]
	v_mov_b32_e32 v20, s51
	v_mov_b32_e32 v21, s49
	v_cmp_eq_u16_e32 vcc, 1, v41
	v_cndmask_b32_e32 v20, v20, v21, vcc
	v_mov_b32_e32 v21, s50
	v_mov_b32_e32 v24, s48
	v_cndmask_b32_e32 v21, v21, v24, vcc
	v_lshlrev_b64 v[12:13], 4, v[12:13]
	v_add_co_u32_e32 v12, vcc, v21, v12
	v_addc_co_u32_e32 v13, vcc, v20, v13, vcc
	s_waitcnt lgkmcnt(0)
	buffer_wbinvl1_vol
	global_load_dwordx2 v[24:25], v[12:13], off
	global_load_ubyte v72, v[12:13], off offset:8
	v_cmp_eq_u16_e32 vcc, 2, v41
	v_lshlrev_b64 v[12:13], v9, -1
	v_and_b32_e32 v44, 63, v9
	v_and_b32_e32 v20, vcc_hi, v13
	v_and_b32_e32 v53, vcc_lo, v12
	v_cmp_ne_u32_e32 vcc, 63, v44
	v_addc_co_u32_e32 v21, vcc, 0, v9, vcc
	v_lshlrev_b32_e32 v45, 2, v21
	v_or_b32_e32 v20, 0x80000000, v20
	v_ffbl_b32_e32 v20, v20
	v_add_u32_e32 v20, 32, v20
	v_ffbl_b32_e32 v53, v53
	v_min_u32_e32 v20, v53, v20
	v_cmp_lt_u32_e32 vcc, v44, v20
	s_waitcnt vmcnt(1)
	ds_bpermute_b32 v49, v45, v24
	s_waitcnt vmcnt(0)
	v_and_b32_e32 v21, 1, v72
	ds_bpermute_b32 v52, v45, v25
	ds_bpermute_b32 v48, v45, v21
	s_and_saveexec_b64 s[44:45], vcc
	s_cbranch_execz .LBB30_139
; %bb.138:
	v_mov_b32_e32 v21, 0
	v_cmp_eq_u16_sdwa vcc, v72, v21 src0_sel:BYTE_0 src1_sel:DWORD
	s_waitcnt lgkmcnt(2)
	v_cndmask_b32_e32 v49, 0, v49, vcc
	s_waitcnt lgkmcnt(1)
	v_cndmask_b32_e32 v21, 0, v52, vcc
	v_add_co_u32_e32 v24, vcc, v49, v24
	v_addc_co_u32_e32 v25, vcc, v21, v25, vcc
	s_waitcnt lgkmcnt(0)
	v_and_b32_e32 v21, 1, v48
	v_or_b32_e32 v72, v21, v72
	v_and_b32_e32 v21, 0xff, v72
.LBB30_139:
	s_or_b64 exec, exec, s[44:45]
	v_cmp_gt_u32_e32 vcc, 62, v44
	s_waitcnt lgkmcnt(0)
	v_cndmask_b32_e64 v48, 0, 1, vcc
	v_lshlrev_b32_e32 v48, 1, v48
	v_add_lshl_u32 v48, v48, v9, 2
	ds_bpermute_b32 v53, v48, v24
	ds_bpermute_b32 v56, v48, v25
	ds_bpermute_b32 v52, v48, v21
	v_add_u32_e32 v49, 2, v44
	v_cmp_le_u32_e32 vcc, v49, v20
	s_and_saveexec_b64 s[62:63], vcc
	s_cbranch_execz .LBB30_141
; %bb.140:
	v_mov_b32_e32 v21, 0
	v_cmp_eq_u16_sdwa vcc, v72, v21 src0_sel:BYTE_0 src1_sel:DWORD
	s_waitcnt lgkmcnt(2)
	v_cndmask_b32_e32 v53, 0, v53, vcc
	s_waitcnt lgkmcnt(1)
	v_cndmask_b32_e32 v21, 0, v56, vcc
	v_add_co_u32_e32 v24, vcc, v53, v24
	v_addc_co_u32_e32 v25, vcc, v21, v25, vcc
	v_and_b32_e32 v21, 1, v72
	v_cmp_eq_u32_e32 vcc, 1, v21
	s_waitcnt lgkmcnt(0)
	v_and_b32_e32 v21, 1, v52
	v_cmp_eq_u32_e64 s[44:45], 1, v21
	s_or_b64 s[44:45], vcc, s[44:45]
	v_cndmask_b32_e64 v72, 0, 1, s[44:45]
	v_cndmask_b32_e64 v21, 0, 1, s[44:45]
.LBB30_141:
	s_or_b64 exec, exec, s[62:63]
	v_cmp_gt_u32_e32 vcc, 60, v44
	s_waitcnt lgkmcnt(0)
	v_cndmask_b32_e64 v52, 0, 1, vcc
	v_lshlrev_b32_e32 v52, 2, v52
	v_add_lshl_u32 v52, v52, v9, 2
	ds_bpermute_b32 v57, v52, v24
	ds_bpermute_b32 v60, v52, v25
	ds_bpermute_b32 v56, v52, v21
	v_add_u32_e32 v53, 4, v44
	v_cmp_le_u32_e32 vcc, v53, v20
	s_and_saveexec_b64 s[62:63], vcc
	s_cbranch_execz .LBB30_143
; %bb.142:
	v_mov_b32_e32 v21, 0
	v_cmp_eq_u16_sdwa vcc, v72, v21 src0_sel:BYTE_0 src1_sel:DWORD
	s_waitcnt lgkmcnt(2)
	v_cndmask_b32_e32 v57, 0, v57, vcc
	s_waitcnt lgkmcnt(1)
	v_cndmask_b32_e32 v21, 0, v60, vcc
	v_add_co_u32_e32 v24, vcc, v57, v24
	v_addc_co_u32_e32 v25, vcc, v21, v25, vcc
	v_and_b32_e32 v21, 1, v72
	v_cmp_eq_u32_e32 vcc, 1, v21
	s_waitcnt lgkmcnt(0)
	v_and_b32_e32 v21, 1, v56
	v_cmp_eq_u32_e64 s[44:45], 1, v21
	s_or_b64 s[44:45], vcc, s[44:45]
	v_cndmask_b32_e64 v72, 0, 1, s[44:45]
	v_cndmask_b32_e64 v21, 0, 1, s[44:45]
.LBB30_143:
	;; [unrolled: 31-line block ×4, first 2 shown]
	s_or_b64 exec, exec, s[62:63]
	v_cmp_gt_u32_e32 vcc, 32, v44
	s_waitcnt lgkmcnt(0)
	v_cndmask_b32_e64 v64, 0, 1, vcc
	v_lshlrev_b32_e32 v64, 5, v64
	v_add_lshl_u32 v65, v64, v9, 2
	ds_bpermute_b32 v64, v65, v24
	ds_bpermute_b32 v69, v65, v25
	;; [unrolled: 1-line block ×3, first 2 shown]
	v_add_u32_e32 v68, 32, v44
	v_cmp_le_u32_e32 vcc, v68, v20
	s_and_saveexec_b64 s[62:63], vcc
	s_cbranch_execz .LBB30_149
; %bb.148:
	v_mov_b32_e32 v20, 0
	v_cmp_eq_u16_sdwa vcc, v72, v20 src0_sel:BYTE_0 src1_sel:DWORD
	s_waitcnt lgkmcnt(2)
	v_cndmask_b32_e32 v21, 0, v64, vcc
	s_waitcnt lgkmcnt(1)
	v_cndmask_b32_e32 v20, 0, v69, vcc
	v_add_co_u32_e32 v24, vcc, v21, v24
	v_addc_co_u32_e32 v25, vcc, v20, v25, vcc
	v_and_b32_e32 v20, 1, v72
	s_waitcnt lgkmcnt(0)
	v_and_b32_e32 v9, 1, v9
	v_cmp_eq_u32_e32 vcc, 1, v20
	v_cmp_eq_u32_e64 s[44:45], 1, v9
	s_or_b64 s[44:45], vcc, s[44:45]
	v_cndmask_b32_e64 v72, 0, 1, s[44:45]
.LBB30_149:
	s_or_b64 exec, exec, s[62:63]
	s_waitcnt lgkmcnt(0)
	v_mov_b32_e32 v9, 0
	v_mov_b32_e32 v69, 2
	s_branch .LBB30_151
.LBB30_150:                             ;   in Loop: Header=BB30_151 Depth=1
	s_or_b64 exec, exec, s[68:69]
	v_cmp_eq_u16_sdwa vcc, v64, v9 src0_sel:BYTE_0 src1_sel:DWORD
	v_cndmask_b32_e32 v24, 0, v24, vcc
	v_cndmask_b32_e32 v25, 0, v25, vcc
	v_add_co_u32_e32 v24, vcc, v24, v20
	v_addc_co_u32_e32 v25, vcc, v25, v21, vcc
	v_and_b32_e32 v72, 1, v64
	v_cmp_eq_u32_e32 vcc, 1, v72
	s_or_b64 s[44:45], vcc, s[62:63]
	v_subrev_u32_e32 v8, 64, v8
	v_cndmask_b32_e64 v72, 0, 1, s[44:45]
.LBB30_151:                             ; =>This Loop Header: Depth=1
                                        ;     Child Loop BB30_154 Depth 2
                                        ;       Child Loop BB30_155 Depth 3
	v_cmp_ne_u16_sdwa s[44:45], v41, v69 src0_sel:BYTE_0 src1_sel:DWORD
	v_cndmask_b32_e64 v20, 0, 1, s[44:45]
	;;#ASMSTART
	;;#ASMEND
	v_cmp_ne_u32_e32 vcc, 0, v20
	v_mov_b32_e32 v64, v72
	s_cmp_lg_u64 vcc, exec
	v_pk_mov_b32 v[20:21], v[24:25], v[24:25] op_sel:[0,1]
	s_cbranch_scc1 .LBB30_170
; %bb.152:                              ;   in Loop: Header=BB30_151 Depth=1
	global_load_ubyte v41, v8, s[52:53] glc
	s_waitcnt vmcnt(0)
	v_cmp_eq_u16_e32 vcc, 0, v41
	s_and_saveexec_b64 s[44:45], vcc
	s_cbranch_execz .LBB30_158
; %bb.153:                              ;   in Loop: Header=BB30_151 Depth=1
	v_mov_b32_e32 v25, s53
	v_add_co_u32_e32 v24, vcc, s52, v8
	v_addc_co_u32_e32 v25, vcc, 0, v25, vcc
	s_mov_b32 s7, 1
	s_mov_b64 s[62:63], 0
.LBB30_154:                             ;   Parent Loop BB30_151 Depth=1
                                        ; =>  This Loop Header: Depth=2
                                        ;       Child Loop BB30_155 Depth 3
	s_max_u32 s55, s7, 1
.LBB30_155:                             ;   Parent Loop BB30_151 Depth=1
                                        ;     Parent Loop BB30_154 Depth=2
                                        ; =>    This Inner Loop Header: Depth=3
	s_add_i32 s55, s55, -1
	s_cmp_eq_u32 s55, 0
	s_sleep 1
	s_cbranch_scc0 .LBB30_155
; %bb.156:                              ;   in Loop: Header=BB30_154 Depth=2
	global_load_ubyte v41, v[24:25], off glc
	s_cmp_lt_u32 s7, 32
	s_cselect_b64 s[68:69], -1, 0
	s_cmp_lg_u64 s[68:69], 0
	s_addc_u32 s7, s7, 0
	s_waitcnt vmcnt(0)
	v_cmp_ne_u16_e32 vcc, 0, v41
	s_or_b64 s[62:63], vcc, s[62:63]
	s_andn2_b64 exec, exec, s[62:63]
	s_cbranch_execnz .LBB30_154
; %bb.157:                              ;   in Loop: Header=BB30_151 Depth=1
	s_or_b64 exec, exec, s[62:63]
.LBB30_158:                             ;   in Loop: Header=BB30_151 Depth=1
	s_or_b64 exec, exec, s[44:45]
	v_mov_b32_e32 v24, s51
	v_mov_b32_e32 v25, s49
	v_cmp_eq_u16_e32 vcc, 1, v41
	v_cndmask_b32_e32 v73, v24, v25, vcc
	v_mov_b32_e32 v24, s50
	v_mov_b32_e32 v25, s48
	v_cndmask_b32_e32 v72, v24, v25, vcc
	v_lshlrev_b64 v[24:25], 4, v[8:9]
	v_add_co_u32_e32 v72, vcc, v72, v24
	v_addc_co_u32_e32 v73, vcc, v73, v25, vcc
	buffer_wbinvl1_vol
	global_load_dwordx2 v[24:25], v[72:73], off
	s_nop 0
	global_load_ubyte v72, v[72:73], off offset:8
	v_cmp_eq_u16_e32 vcc, 2, v41
	v_and_b32_e32 v73, vcc_hi, v13
	v_or_b32_e32 v73, 0x80000000, v73
	v_and_b32_e32 v78, vcc_lo, v12
	v_ffbl_b32_e32 v73, v73
	v_add_u32_e32 v73, 32, v73
	v_ffbl_b32_e32 v78, v78
	v_min_u32_e32 v73, v78, v73
	v_cmp_lt_u32_e32 vcc, v44, v73
	s_waitcnt vmcnt(1) lgkmcnt(1)
	ds_bpermute_b32 v76, v45, v24
	s_waitcnt vmcnt(0) lgkmcnt(1)
	v_and_b32_e32 v74, 1, v72
	ds_bpermute_b32 v77, v45, v25
	ds_bpermute_b32 v75, v45, v74
	s_and_saveexec_b64 s[44:45], vcc
	s_cbranch_execz .LBB30_160
; %bb.159:                              ;   in Loop: Header=BB30_151 Depth=1
	v_cmp_eq_u16_sdwa vcc, v72, v9 src0_sel:BYTE_0 src1_sel:DWORD
	s_waitcnt lgkmcnt(2)
	v_cndmask_b32_e32 v76, 0, v76, vcc
	s_waitcnt lgkmcnt(1)
	v_cndmask_b32_e32 v74, 0, v77, vcc
	v_add_co_u32_e32 v24, vcc, v76, v24
	v_addc_co_u32_e32 v25, vcc, v74, v25, vcc
	s_waitcnt lgkmcnt(0)
	v_and_b32_e32 v74, 1, v75
	v_or_b32_e32 v72, v74, v72
	v_and_b32_e32 v74, 0xff, v72
.LBB30_160:                             ;   in Loop: Header=BB30_151 Depth=1
	s_or_b64 exec, exec, s[44:45]
	s_waitcnt lgkmcnt(2)
	ds_bpermute_b32 v76, v48, v24
	s_waitcnt lgkmcnt(2)
	ds_bpermute_b32 v77, v48, v25
	s_waitcnt lgkmcnt(2)
	ds_bpermute_b32 v75, v48, v74
	v_and_b32_e32 v78, 1, v72
	v_cmp_le_u32_e32 vcc, v49, v73
	v_cmp_eq_u32_e64 s[62:63], 1, v78
	s_and_saveexec_b64 s[44:45], vcc
	s_cbranch_execz .LBB30_162
; %bb.161:                              ;   in Loop: Header=BB30_151 Depth=1
	v_cmp_eq_u16_sdwa vcc, v72, v9 src0_sel:BYTE_0 src1_sel:DWORD
	s_waitcnt lgkmcnt(2)
	v_cndmask_b32_e32 v74, 0, v76, vcc
	s_waitcnt lgkmcnt(1)
	v_cndmask_b32_e32 v72, 0, v77, vcc
	v_add_co_u32_e32 v24, vcc, v74, v24
	v_addc_co_u32_e32 v25, vcc, v72, v25, vcc
	s_waitcnt lgkmcnt(0)
	v_and_b32_e32 v72, 1, v75
	v_cmp_eq_u32_e32 vcc, 1, v72
	s_or_b64 s[68:69], s[62:63], vcc
	v_cndmask_b32_e64 v72, 0, 1, s[68:69]
	v_cndmask_b32_e64 v74, 0, 1, s[68:69]
	s_andn2_b64 s[62:63], s[62:63], exec
	s_and_b64 s[68:69], s[68:69], exec
	s_or_b64 s[62:63], s[62:63], s[68:69]
.LBB30_162:                             ;   in Loop: Header=BB30_151 Depth=1
	s_or_b64 exec, exec, s[44:45]
	s_waitcnt lgkmcnt(2)
	ds_bpermute_b32 v76, v52, v24
	s_waitcnt lgkmcnt(2)
	ds_bpermute_b32 v77, v52, v25
	s_waitcnt lgkmcnt(2)
	ds_bpermute_b32 v75, v52, v74
	v_cmp_le_u32_e32 vcc, v53, v73
	s_and_saveexec_b64 s[68:69], vcc
	s_cbranch_execz .LBB30_164
; %bb.163:                              ;   in Loop: Header=BB30_151 Depth=1
	v_cmp_eq_u16_sdwa vcc, v72, v9 src0_sel:BYTE_0 src1_sel:DWORD
	s_waitcnt lgkmcnt(2)
	v_cndmask_b32_e32 v76, 0, v76, vcc
	s_waitcnt lgkmcnt(1)
	v_cndmask_b32_e32 v74, 0, v77, vcc
	v_add_co_u32_e32 v24, vcc, v76, v24
	v_addc_co_u32_e32 v25, vcc, v74, v25, vcc
	v_and_b32_e32 v72, 1, v72
	v_cmp_eq_u32_e32 vcc, 1, v72
	s_waitcnt lgkmcnt(0)
	v_and_b32_e32 v72, 1, v75
	v_cmp_eq_u32_e64 s[44:45], 1, v72
	s_or_b64 s[44:45], vcc, s[44:45]
	v_cndmask_b32_e64 v72, 0, 1, s[44:45]
	v_cndmask_b32_e64 v74, 0, 1, s[44:45]
	s_andn2_b64 s[62:63], s[62:63], exec
	s_and_b64 s[44:45], s[44:45], exec
	s_or_b64 s[62:63], s[62:63], s[44:45]
.LBB30_164:                             ;   in Loop: Header=BB30_151 Depth=1
	s_or_b64 exec, exec, s[68:69]
	s_waitcnt lgkmcnt(2)
	ds_bpermute_b32 v76, v56, v24
	s_waitcnt lgkmcnt(2)
	ds_bpermute_b32 v77, v56, v25
	s_waitcnt lgkmcnt(2)
	ds_bpermute_b32 v75, v56, v74
	v_cmp_le_u32_e32 vcc, v57, v73
	s_and_saveexec_b64 s[68:69], vcc
	s_cbranch_execz .LBB30_166
; %bb.165:                              ;   in Loop: Header=BB30_151 Depth=1
	v_cmp_eq_u16_sdwa vcc, v72, v9 src0_sel:BYTE_0 src1_sel:DWORD
	s_waitcnt lgkmcnt(2)
	v_cndmask_b32_e32 v76, 0, v76, vcc
	s_waitcnt lgkmcnt(1)
	v_cndmask_b32_e32 v74, 0, v77, vcc
	v_add_co_u32_e32 v24, vcc, v76, v24
	v_addc_co_u32_e32 v25, vcc, v74, v25, vcc
	v_and_b32_e32 v72, 1, v72
	v_cmp_eq_u32_e32 vcc, 1, v72
	s_waitcnt lgkmcnt(0)
	v_and_b32_e32 v72, 1, v75
	v_cmp_eq_u32_e64 s[44:45], 1, v72
	s_or_b64 s[44:45], vcc, s[44:45]
	v_cndmask_b32_e64 v72, 0, 1, s[44:45]
	v_cndmask_b32_e64 v74, 0, 1, s[44:45]
	s_andn2_b64 s[62:63], s[62:63], exec
	s_and_b64 s[44:45], s[44:45], exec
	s_or_b64 s[62:63], s[62:63], s[44:45]
.LBB30_166:                             ;   in Loop: Header=BB30_151 Depth=1
	;; [unrolled: 30-line block ×3, first 2 shown]
	s_or_b64 exec, exec, s[68:69]
	s_waitcnt lgkmcnt(0)
	ds_bpermute_b32 v75, v65, v24
	ds_bpermute_b32 v76, v65, v25
	;; [unrolled: 1-line block ×3, first 2 shown]
	v_cmp_le_u32_e32 vcc, v68, v73
	s_and_saveexec_b64 s[68:69], vcc
	s_cbranch_execz .LBB30_150
; %bb.169:                              ;   in Loop: Header=BB30_151 Depth=1
	v_cmp_eq_u16_sdwa vcc, v72, v9 src0_sel:BYTE_0 src1_sel:DWORD
	s_waitcnt lgkmcnt(2)
	v_cndmask_b32_e32 v75, 0, v75, vcc
	s_waitcnt lgkmcnt(1)
	v_cndmask_b32_e32 v73, 0, v76, vcc
	v_add_co_u32_e32 v24, vcc, v75, v24
	v_addc_co_u32_e32 v25, vcc, v73, v25, vcc
	v_and_b32_e32 v72, 1, v72
	v_cmp_eq_u32_e32 vcc, 1, v72
	s_waitcnt lgkmcnt(0)
	v_and_b32_e32 v72, 1, v74
	v_cmp_eq_u32_e64 s[44:45], 1, v72
	s_or_b64 s[44:45], vcc, s[44:45]
	s_andn2_b64 s[62:63], s[62:63], exec
	s_and_b64 s[44:45], s[44:45], exec
	s_or_b64 s[62:63], s[62:63], s[44:45]
	s_branch .LBB30_150
.LBB30_170:                             ;   in Loop: Header=BB30_151 Depth=1
                                        ; implicit-def: $vgpr72
                                        ; implicit-def: $vgpr24_vgpr25
                                        ; implicit-def: $vgpr41
	s_cbranch_execz .LBB30_151
; %bb.171:
	s_and_saveexec_b64 s[44:45], s[40:41]
	s_cbranch_execz .LBB30_173
; %bb.172:
	v_mov_b32_e32 v8, 0
	s_mov_b32 s7, 0
	v_cmp_eq_u16_sdwa vcc, v40, v8 src0_sel:BYTE_0 src1_sel:DWORD
	s_add_i32 s6, s6, 64
	v_cndmask_b32_e32 v12, 0, v20, vcc
	s_lshl_b64 s[40:41], s[6:7], 4
	v_cndmask_b32_e32 v9, 0, v21, vcc
	v_add_co_u32_e32 v4, vcc, v12, v4
	s_add_u32 s40, s50, s40
	v_addc_co_u32_e32 v5, vcc, v9, v5, vcc
	v_or_b32_e32 v9, v40, v64
	s_addc_u32 s41, s51, s41
	v_and_b32_e32 v9, 1, v9
	global_store_dwordx2 v8, v[4:5], s[40:41]
	global_store_byte v8, v9, s[40:41] offset:8
	v_mov_b32_e32 v4, s6
	v_mov_b32_e32 v5, 2
	s_waitcnt vmcnt(0) lgkmcnt(0)
	buffer_wbinvl1_vol
	global_store_byte v4, v5, s[52:53]
.LBB30_173:
	s_or_b64 exec, exec, s[44:45]
	v_cmp_eq_u32_e32 vcc, 0, v0
	s_and_b64 exec, exec, vcc
	s_cbranch_execz .LBB30_175
; %bb.174:
	v_mov_b32_e32 v4, 0
	ds_write_b64 v4, v[20:21]
	ds_write_b8 v4, v64 offset:8
.LBB30_175:
	s_or_b64 exec, exec, s[56:57]
	v_mov_b32_e32 v8, 0
	v_cmp_eq_u16_sdwa vcc, v1, v8 src0_sel:BYTE_0 src1_sel:DWORD
	v_and_b32_e32 v13, 1, v1
	v_cndmask_b32_e32 v9, 0, v33, vcc
	v_cndmask_b32_e32 v12, 0, v37, vcc
	v_cmp_eq_u32_e32 vcc, 1, v13
	v_and_b32_e32 v13, 1, v32
	v_cmp_eq_u32_e64 s[6:7], 1, v13
	s_waitcnt lgkmcnt(0)
	; wave barrier
	s_waitcnt lgkmcnt(0)
	ds_read_b64 v[4:5], v8
	s_or_b64 s[6:7], vcc, s[6:7]
	v_cmp_eq_u32_e32 vcc, 0, v0
	v_cndmask_b32_e64 v13, 0, 1, s[6:7]
	v_cndmask_b32_e64 v9, v9, 0, vcc
	v_cndmask_b32_e32 v13, v13, v1, vcc
	v_cndmask_b32_e64 v12, v12, 0, vcc
	v_add_co_u32_e32 v9, vcc, v9, v2
	v_addc_co_u32_e32 v12, vcc, v12, v3, vcc
	v_cmp_eq_u16_sdwa vcc, v13, v8 src0_sel:BYTE_0 src1_sel:DWORD
	s_waitcnt lgkmcnt(0)
	v_cndmask_b32_e32 v4, 0, v4, vcc
	v_cndmask_b32_e32 v5, 0, v5, vcc
	v_add_co_u32_e32 v102, vcc, v9, v4
	v_addc_co_u32_e32 v103, vcc, v12, v5, vcc
	v_cndmask_b32_e64 v5, 0, v102, s[38:39]
	v_cndmask_b32_e64 v4, 0, v103, s[38:39]
	v_add_co_u32_e32 v40, vcc, v5, v14
	v_addc_co_u32_e32 v41, vcc, v4, v15, vcc
	v_cndmask_b32_e64 v5, 0, v40, s[36:37]
	v_cndmask_b32_e64 v4, 0, v41, s[36:37]
	;; [unrolled: 4-line block ×18, first 2 shown]
	v_add_co_u32_e32 v108, vcc, v5, v16
	v_addc_co_u32_e32 v109, vcc, v4, v17, vcc
	s_branch .LBB30_198
.LBB30_176:
                                        ; implicit-def: $vgpr100_vgpr101_vgpr102_vgpr103
                                        ; implicit-def: $vgpr108_vgpr109
                                        ; implicit-def: $vgpr106_vgpr107
                                        ; implicit-def: $vgpr68_vgpr69
                                        ; implicit-def: $vgpr64_vgpr65
                                        ; implicit-def: $vgpr60_vgpr61
                                        ; implicit-def: $vgpr56_vgpr57
                                        ; implicit-def: $vgpr52_vgpr53
                                        ; implicit-def: $vgpr48_vgpr49
                                        ; implicit-def: $vgpr44_vgpr45
                                        ; implicit-def: $vgpr40_vgpr41
                                        ; implicit-def: $vgpr96_vgpr97_vgpr98_vgpr99
                                        ; implicit-def: $vgpr92_vgpr93_vgpr94_vgpr95
                                        ; implicit-def: $vgpr88_vgpr89_vgpr90_vgpr91
                                        ; implicit-def: $vgpr84_vgpr85_vgpr86_vgpr87
                                        ; implicit-def: $vgpr80_vgpr81_vgpr82_vgpr83
                                        ; implicit-def: $vgpr76_vgpr77_vgpr78_vgpr79
                                        ; implicit-def: $vgpr72_vgpr73_vgpr74_vgpr75
                                        ; implicit-def: $vgpr102_vgpr103_vgpr104_vgpr105
	s_cbranch_execz .LBB30_198
; %bb.177:
	s_cmp_lg_u64 s[66:67], 0
	s_cselect_b32 s5, s59, 0
	s_cselect_b32 s4, s58, 0
	s_cmp_lg_u64 s[4:5], 0
	s_cselect_b64 s[6:7], -1, 0
	v_cmp_eq_u32_e32 vcc, 0, v0
	v_cmp_ne_u32_e64 s[2:3], 0, v0
	s_and_b64 s[8:9], vcc, s[6:7]
	s_and_saveexec_b64 s[6:7], s[8:9]
	s_cbranch_execz .LBB30_179
; %bb.178:
	v_mov_b32_e32 v8, 0
	global_load_dwordx2 v[4:5], v8, s[4:5]
	global_load_ubyte v9, v8, s[4:5] offset:8
	v_cmp_eq_u16_sdwa s[4:5], v1, v8 src0_sel:BYTE_0 src1_sel:DWORD
	s_waitcnt vmcnt(1)
	v_cndmask_b32_e64 v4, 0, v4, s[4:5]
	v_cndmask_b32_e64 v5, 0, v5, s[4:5]
	s_waitcnt vmcnt(0)
	v_or_b32_e32 v1, v1, v9
	v_add_co_u32_e64 v2, s[4:5], v4, v2
	v_addc_co_u32_e64 v3, s[4:5], v5, v3, s[4:5]
	v_and_b32_e32 v1, 1, v1
.LBB30_179:
	s_or_b64 exec, exec, s[6:7]
	v_mov_b32_e32 v5, 0
	v_cmp_eq_u16_sdwa s[4:5], v112, v5 src0_sel:BYTE_0 src1_sel:DWORD
	v_cndmask_b32_e64 v9, 0, v2, s[4:5]
	v_cndmask_b32_e64 v8, 0, v3, s[4:5]
	v_add_co_u32_e64 v40, s[6:7], v9, v14
	v_addc_co_u32_e64 v41, s[6:7], v8, v15, s[6:7]
	v_cmp_eq_u16_sdwa s[6:7], v111, v5 src0_sel:BYTE_0 src1_sel:DWORD
	v_cndmask_b32_e64 v9, 0, v40, s[6:7]
	v_cndmask_b32_e64 v8, 0, v41, s[6:7]
	v_add_co_u32_e64 v72, s[8:9], v9, v10
	v_addc_co_u32_e64 v73, s[8:9], v8, v11, s[8:9]
	;; [unrolled: 5-line block ×18, first 2 shown]
	v_or_b32_e32 v5, v29, v125
	v_or_b32_e32 v5, v5, v124
	;; [unrolled: 1-line block ×15, first 2 shown]
	v_and_b32_e32 v5, 1, v5
	v_and_b32_e32 v4, 0xff, v1
	v_cmp_eq_u32_e64 s[42:43], 1, v5
	v_mbcnt_hi_u32_b32 v12, -1, v28
	v_cndmask_b32_e64 v13, v4, 1, s[42:43]
	v_and_b32_e32 v20, 15, v12
	v_mov_b32_dpp v24, v108 row_shr:1 row_mask:0xf bank_mask:0xf
	v_mov_b32_dpp v25, v109 row_shr:1 row_mask:0xf bank_mask:0xf
	;; [unrolled: 1-line block ×3, first 2 shown]
	v_cmp_ne_u32_e64 s[42:43], 0, v20
	v_pk_mov_b32 v[4:5], v[108:109], v[108:109] op_sel:[0,1]
	v_mov_b32_e32 v9, v109
	v_mov_b32_e32 v8, v108
	s_and_saveexec_b64 s[44:45], s[42:43]
; %bb.180:
	v_cmp_eq_u32_e64 s[42:43], 0, v13
	v_cndmask_b32_e64 v4, 0, v24, s[42:43]
	v_cndmask_b32_e64 v5, 0, v25, s[42:43]
	v_add_co_u32_e64 v4, s[42:43], v108, v4
	v_addc_co_u32_e64 v5, s[42:43], v109, v5, s[42:43]
	v_and_or_b32 v13, v21, 1, v13
	v_mov_b32_e32 v9, v5
	v_mov_b32_e32 v8, v4
; %bb.181:
	s_or_b64 exec, exec, s[44:45]
	s_nop 0
	v_mov_b32_dpp v24, v8 row_shr:2 row_mask:0xf bank_mask:0xf
	v_mov_b32_dpp v25, v9 row_shr:2 row_mask:0xf bank_mask:0xf
	v_mov_b32_dpp v21, v13 row_shr:2 row_mask:0xf bank_mask:0xf
	v_cmp_lt_u32_e64 s[42:43], 1, v20
	s_and_saveexec_b64 s[44:45], s[42:43]
; %bb.182:
	v_cmp_eq_u32_e64 s[42:43], 0, v13
	v_cndmask_b32_e64 v8, 0, v24, s[42:43]
	v_cndmask_b32_e64 v9, 0, v25, s[42:43]
	v_add_co_u32_e64 v8, s[42:43], v8, v4
	v_addc_co_u32_e64 v9, s[42:43], v9, v5, s[42:43]
	v_or_b32_e32 v4, v21, v13
	v_and_b32_e32 v13, 1, v4
	v_pk_mov_b32 v[4:5], v[8:9], v[8:9] op_sel:[0,1]
; %bb.183:
	s_or_b64 exec, exec, s[44:45]
	v_mov_b32_dpp v24, v8 row_shr:4 row_mask:0xf bank_mask:0xf
	v_mov_b32_dpp v25, v9 row_shr:4 row_mask:0xf bank_mask:0xf
	v_mov_b32_dpp v21, v13 row_shr:4 row_mask:0xf bank_mask:0xf
	v_cmp_lt_u32_e64 s[42:43], 3, v20
	s_and_saveexec_b64 s[44:45], s[42:43]
; %bb.184:
	v_cmp_eq_u32_e64 s[42:43], 0, v13
	v_cndmask_b32_e64 v8, 0, v24, s[42:43]
	v_cndmask_b32_e64 v9, 0, v25, s[42:43]
	v_add_co_u32_e64 v8, s[42:43], v8, v4
	v_addc_co_u32_e64 v9, s[42:43], v9, v5, s[42:43]
	v_or_b32_e32 v4, v21, v13
	v_and_b32_e32 v13, 1, v4
	v_pk_mov_b32 v[4:5], v[8:9], v[8:9] op_sel:[0,1]
; %bb.185:
	s_or_b64 exec, exec, s[44:45]
	;; [unrolled: 16-line block ×3, first 2 shown]
	v_and_b32_e32 v25, 16, v12
	v_mov_b32_dpp v21, v8 row_bcast:15 row_mask:0xf bank_mask:0xf
	v_mov_b32_dpp v24, v9 row_bcast:15 row_mask:0xf bank_mask:0xf
	;; [unrolled: 1-line block ×3, first 2 shown]
	v_cmp_ne_u32_e64 s[42:43], 0, v25
	s_and_saveexec_b64 s[44:45], s[42:43]
; %bb.188:
	v_cmp_eq_u32_e64 s[42:43], 0, v13
	v_cndmask_b32_e64 v9, 0, v21, s[42:43]
	v_cndmask_b32_e64 v8, 0, v24, s[42:43]
	v_add_co_u32_e64 v4, s[42:43], v9, v4
	v_addc_co_u32_e64 v5, s[42:43], v8, v5, s[42:43]
	v_or_b32_e32 v8, v20, v13
	v_and_b32_e32 v13, 1, v8
	v_mov_b32_e32 v9, v5
	v_mov_b32_e32 v8, v4
; %bb.189:
	s_or_b64 exec, exec, s[44:45]
	s_nop 0
	v_mov_b32_dpp v20, v8 row_bcast:31 row_mask:0xf bank_mask:0xf
	v_mov_b32_dpp v9, v9 row_bcast:31 row_mask:0xf bank_mask:0xf
	;; [unrolled: 1-line block ×3, first 2 shown]
	v_cmp_lt_u32_e64 s[42:43], 31, v12
	s_and_saveexec_b64 s[44:45], s[42:43]
; %bb.190:
	v_cmp_eq_u32_e64 s[42:43], 0, v13
	v_cndmask_b32_e64 v20, 0, v20, s[42:43]
	v_cndmask_b32_e64 v9, 0, v9, s[42:43]
	v_add_co_u32_e64 v4, s[42:43], v20, v4
	v_or_b32_e32 v8, v8, v13
	v_addc_co_u32_e64 v5, s[42:43], v9, v5, s[42:43]
	v_and_b32_e32 v13, 1, v8
; %bb.191:
	s_or_b64 exec, exec, s[44:45]
	v_cmp_eq_u32_e64 s[42:43], 63, v0
	s_and_saveexec_b64 s[44:45], s[42:43]
	s_cbranch_execz .LBB30_193
; %bb.192:
	v_mov_b32_e32 v8, 0
	ds_write_b64 v8, v[4:5]
	ds_write_b8 v8, v13 offset:8
.LBB30_193:
	s_or_b64 exec, exec, s[44:45]
	v_add_u32_e32 v8, -1, v12
	v_and_b32_e32 v9, 64, v12
	v_cmp_lt_i32_e64 s[42:43], v8, v9
	v_cndmask_b32_e64 v8, v8, v12, s[42:43]
	v_lshlrev_b32_e32 v8, 2, v8
	ds_bpermute_b32 v4, v8, v4
	ds_bpermute_b32 v5, v8, v5
	s_waitcnt lgkmcnt(0)
	; wave barrier
	s_waitcnt lgkmcnt(0)
	s_and_saveexec_b64 s[42:43], s[2:3]
	s_cbranch_execz .LBB30_195
; %bb.194:
	v_mov_b32_e32 v8, 0
	v_cmp_eq_u16_sdwa s[2:3], v1, v8 src0_sel:BYTE_0 src1_sel:DWORD
	v_cndmask_b32_e64 v4, 0, v4, s[2:3]
	v_cndmask_b32_e64 v1, 0, v5, s[2:3]
	v_add_co_u32_e64 v2, s[2:3], v4, v2
	v_addc_co_u32_e64 v3, s[2:3], v1, v3, s[2:3]
	v_cndmask_b32_e64 v4, 0, v2, s[4:5]
	v_cndmask_b32_e64 v1, 0, v3, s[4:5]
	v_add_co_u32_e64 v40, s[2:3], v4, v14
	v_addc_co_u32_e64 v41, s[2:3], v1, v15, s[2:3]
	;; [unrolled: 4-line block ×19, first 2 shown]
	;;#ASMSTART
	;;#ASMEND
.LBB30_195:
	s_or_b64 exec, exec, s[42:43]
	s_and_saveexec_b64 s[2:3], vcc
	s_cbranch_execz .LBB30_197
; %bb.196:
	v_mov_b32_e32 v1, 0
	ds_read_b64 v[4:5], v1
	ds_read_u8 v6, v1 offset:8
	v_mov_b32_e32 v7, 2
	s_waitcnt lgkmcnt(1)
	global_store_dwordx2 v1, v[4:5], s[50:51] offset:1024
	s_waitcnt lgkmcnt(0)
	global_store_byte v1, v6, s[50:51] offset:1032
	s_waitcnt vmcnt(0)
	buffer_wbinvl1_vol
	global_store_byte v1, v7, s[52:53] offset:64
.LBB30_197:
	s_or_b64 exec, exec, s[2:3]
	v_pk_mov_b32 v[102:103], v[2:3], v[2:3] op_sel:[0,1]
.LBB30_198:
	s_add_u32 s2, s46, s64
	s_addc_u32 s3, s47, s65
	s_add_u32 s4, s2, s60
	s_addc_u32 s5, s3, s61
	s_and_b64 vcc, exec, s[0:1]
	s_cbranch_vccz .LBB30_236
; %bb.199:
	s_movk_i32 s0, 0x98
	v_mul_i32_i24_e32 v43, 0xffffff70, v0
	v_mul_u32_u24_e32 v42, 0x98, v0
	v_mad_u32_u24 v2, v0, s0, v43
	s_waitcnt lgkmcnt(0)
	; wave barrier
	ds_write2_b64 v42, v[102:103], v[40:41] offset1:1
	ds_write2_b64 v42, v[72:73], v[44:45] offset0:2 offset1:3
	ds_write2_b64 v42, v[76:77], v[48:49] offset0:4 offset1:5
	ds_write2_b64 v42, v[80:81], v[52:53] offset0:6 offset1:7
	ds_write2_b64 v42, v[84:85], v[56:57] offset0:8 offset1:9
	ds_write2_b64 v42, v[88:89], v[60:61] offset0:10 offset1:11
	ds_write2_b64 v42, v[92:93], v[64:65] offset0:12 offset1:13
	ds_write2_b64 v42, v[96:97], v[68:69] offset0:14 offset1:15
	ds_write2_b64 v42, v[100:101], v[106:107] offset0:16 offset1:17
	ds_write_b64 v42, v[108:109] offset:144
	s_waitcnt lgkmcnt(0)
	; wave barrier
	s_waitcnt lgkmcnt(0)
	ds_read2st64_b64 v[34:37], v2 offset0:1 offset1:2
	ds_read2st64_b64 v[30:33], v2 offset0:3 offset1:4
	;; [unrolled: 1-line block ×9, first 2 shown]
	v_mov_b32_e32 v39, s5
	v_add_co_u32_e32 v38, vcc, s4, v127
	s_add_i32 s33, s33, s54
	v_addc_co_u32_e32 v39, vcc, 0, v39, vcc
	v_mov_b32_e32 v1, 0
	v_cmp_gt_u32_e32 vcc, s33, v0
	s_and_saveexec_b64 s[0:1], vcc
	s_cbranch_execz .LBB30_201
; %bb.200:
	v_add_u32_e32 v42, v42, v43
	ds_read_b64 v[42:43], v42
	s_waitcnt lgkmcnt(0)
	flat_store_dwordx2 v[38:39], v[42:43]
.LBB30_201:
	s_or_b64 exec, exec, s[0:1]
	v_or_b32_e32 v42, 64, v0
	v_cmp_gt_u32_e32 vcc, s33, v42
	s_and_saveexec_b64 s[0:1], vcc
	s_cbranch_execz .LBB30_203
; %bb.202:
	s_waitcnt lgkmcnt(0)
	flat_store_dwordx2 v[38:39], v[34:35] offset:512
.LBB30_203:
	s_or_b64 exec, exec, s[0:1]
	s_waitcnt lgkmcnt(0)
	v_or_b32_e32 v34, 0x80, v0
	v_cmp_gt_u32_e32 vcc, s33, v34
	s_and_saveexec_b64 s[0:1], vcc
	s_cbranch_execz .LBB30_205
; %bb.204:
	flat_store_dwordx2 v[38:39], v[36:37] offset:1024
.LBB30_205:
	s_or_b64 exec, exec, s[0:1]
	v_or_b32_e32 v34, 0xc0, v0
	v_cmp_gt_u32_e32 vcc, s33, v34
	s_and_saveexec_b64 s[0:1], vcc
	s_cbranch_execz .LBB30_207
; %bb.206:
	flat_store_dwordx2 v[38:39], v[30:31] offset:1536
.LBB30_207:
	s_or_b64 exec, exec, s[0:1]
	;; [unrolled: 8-line block ×6, first 2 shown]
	v_or_b32_e32 v22, 0x200, v0
	v_cmp_gt_u32_e32 vcc, s33, v22
	s_and_saveexec_b64 s[0:1], vcc
	s_cbranch_execz .LBB30_217
; %bb.216:
	v_add_co_u32_e32 v22, vcc, 0x1000, v38
	v_addc_co_u32_e32 v23, vcc, 0, v39, vcc
	flat_store_dwordx2 v[22:23], v[24:25]
.LBB30_217:
	s_or_b64 exec, exec, s[0:1]
	v_or_b32_e32 v22, 0x240, v0
	v_cmp_gt_u32_e32 vcc, s33, v22
	s_and_saveexec_b64 s[0:1], vcc
	s_cbranch_execz .LBB30_219
; %bb.218:
	v_add_co_u32_e32 v22, vcc, 0x1000, v38
	v_addc_co_u32_e32 v23, vcc, 0, v39, vcc
	flat_store_dwordx2 v[22:23], v[18:19] offset:512
.LBB30_219:
	s_or_b64 exec, exec, s[0:1]
	v_or_b32_e32 v18, 0x280, v0
	v_cmp_gt_u32_e32 vcc, s33, v18
	s_and_saveexec_b64 s[0:1], vcc
	s_cbranch_execz .LBB30_221
; %bb.220:
	v_add_co_u32_e32 v18, vcc, 0x1000, v38
	v_addc_co_u32_e32 v19, vcc, 0, v39, vcc
	flat_store_dwordx2 v[18:19], v[20:21] offset:1024
.LBB30_221:
	;; [unrolled: 10-line block ×7, first 2 shown]
	s_or_b64 exec, exec, s[0:1]
	v_or_b32_e32 v6, 0x400, v0
	v_cmp_gt_u32_e32 vcc, s33, v6
	s_and_saveexec_b64 s[0:1], vcc
	s_cbranch_execz .LBB30_233
; %bb.232:
	v_add_co_u32_e32 v6, vcc, 0x2000, v38
	v_addc_co_u32_e32 v7, vcc, 0, v39, vcc
	flat_store_dwordx2 v[6:7], v[8:9]
.LBB30_233:
	s_or_b64 exec, exec, s[0:1]
	v_or_b32_e32 v6, 0x440, v0
	v_cmp_gt_u32_e32 vcc, s33, v6
	s_and_saveexec_b64 s[0:1], vcc
	s_cbranch_execz .LBB30_235
; %bb.234:
	v_add_co_u32_e32 v6, vcc, 0x2000, v38
	v_addc_co_u32_e32 v7, vcc, 0, v39, vcc
	flat_store_dwordx2 v[6:7], v[2:3] offset:512
.LBB30_235:
	s_or_b64 exec, exec, s[0:1]
	v_or_b32_e32 v2, 0x480, v0
	v_cmp_gt_u32_e64 s[0:1], s33, v2
	s_branch .LBB30_238
.LBB30_236:
	s_mov_b64 s[0:1], 0
                                        ; implicit-def: $vgpr4_vgpr5
	s_cbranch_execz .LBB30_238
; %bb.237:
	s_movk_i32 s2, 0x98
	v_mul_i32_i24_e32 v2, 0xffffff70, v0
	v_mul_u32_u24_e32 v1, 0x98, v0
	v_mad_u32_u24 v2, v0, s2, v2
	s_waitcnt lgkmcnt(0)
	; wave barrier
	s_waitcnt lgkmcnt(0)
	ds_write2_b64 v1, v[102:103], v[40:41] offset1:1
	ds_write2_b64 v1, v[72:73], v[44:45] offset0:2 offset1:3
	ds_write2_b64 v1, v[76:77], v[48:49] offset0:4 offset1:5
	;; [unrolled: 1-line block ×8, first 2 shown]
	ds_write_b64 v1, v[108:109] offset:144
	s_waitcnt lgkmcnt(0)
	; wave barrier
	s_waitcnt lgkmcnt(0)
	ds_read2st64_b64 v[6:9], v2 offset1:1
	ds_read2st64_b64 v[10:13], v2 offset0:2 offset1:3
	ds_read2st64_b64 v[14:17], v2 offset0:4 offset1:5
	;; [unrolled: 1-line block ×8, first 2 shown]
	ds_read_b64 v[4:5], v2 offset:9216
	v_mov_b32_e32 v3, s5
	v_add_co_u32_e32 v2, vcc, s4, v127
	v_addc_co_u32_e32 v3, vcc, 0, v3, vcc
	s_movk_i32 s2, 0x1000
	s_waitcnt lgkmcnt(0)
	flat_store_dwordx2 v[2:3], v[6:7]
	flat_store_dwordx2 v[2:3], v[8:9] offset:512
	flat_store_dwordx2 v[2:3], v[10:11] offset:1024
	;; [unrolled: 1-line block ×7, first 2 shown]
	v_add_co_u32_e32 v6, vcc, s2, v2
	v_addc_co_u32_e32 v7, vcc, 0, v3, vcc
	v_add_co_u32_e32 v2, vcc, 0x2000, v2
	v_mov_b32_e32 v1, 0
	v_addc_co_u32_e32 v3, vcc, 0, v3, vcc
	s_or_b64 s[0:1], s[0:1], exec
	flat_store_dwordx2 v[6:7], v[22:23]
	flat_store_dwordx2 v[6:7], v[24:25] offset:512
	flat_store_dwordx2 v[6:7], v[26:27] offset:1024
	;; [unrolled: 1-line block ×7, first 2 shown]
	flat_store_dwordx2 v[2:3], v[38:39]
	flat_store_dwordx2 v[2:3], v[40:41] offset:512
.LBB30_238:
	s_and_saveexec_b64 s[2:3], s[0:1]
	s_cbranch_execnz .LBB30_240
; %bb.239:
	s_endpgm
.LBB30_240:
	v_lshlrev_b64 v[0:1], 3, v[0:1]
	v_mov_b32_e32 v2, s5
	v_add_co_u32_e32 v0, vcc, s4, v0
	v_addc_co_u32_e32 v1, vcc, v2, v1, vcc
	v_add_co_u32_e32 v0, vcc, 0x2000, v0
	v_addc_co_u32_e32 v1, vcc, 0, v1, vcc
	flat_store_dwordx2 v[0:1], v[4:5] offset:1024
	s_endpgm
.LBB30_241:
	v_mov_b32_e32 v3, s55
	v_add_co_u32_e32 v2, vcc, s7, v50
	v_addc_co_u32_e32 v3, vcc, 0, v3, vcc
	flat_load_dwordx2 v[2:3], v[2:3]
	s_or_b64 exec, exec, s[56:57]
                                        ; implicit-def: $vgpr6_vgpr7
	s_and_saveexec_b64 s[2:3], s[4:5]
	s_cbranch_execz .LBB30_47
.LBB30_242:
	v_mov_b32_e32 v7, s55
	v_add_co_u32_e32 v6, vcc, s7, v50
	v_addc_co_u32_e32 v7, vcc, 0, v7, vcc
	flat_load_dwordx2 v[6:7], v[6:7] offset:512
	s_or_b64 exec, exec, s[2:3]
                                        ; implicit-def: $vgpr10_vgpr11
	s_and_saveexec_b64 s[2:3], s[42:43]
	s_cbranch_execz .LBB30_48
.LBB30_243:
	v_mov_b32_e32 v11, s55
	v_add_co_u32_e32 v10, vcc, s7, v50
	v_addc_co_u32_e32 v11, vcc, 0, v11, vcc
	flat_load_dwordx2 v[10:11], v[10:11] offset:1024
	s_or_b64 exec, exec, s[2:3]
                                        ; implicit-def: $vgpr12_vgpr13
	s_and_saveexec_b64 s[2:3], s[8:9]
	s_cbranch_execz .LBB30_49
.LBB30_244:
	v_mov_b32_e32 v13, s55
	v_add_co_u32_e32 v12, vcc, s7, v50
	v_addc_co_u32_e32 v13, vcc, 0, v13, vcc
	flat_load_dwordx2 v[12:13], v[12:13] offset:1536
	s_or_b64 exec, exec, s[2:3]
                                        ; implicit-def: $vgpr14_vgpr15
	s_and_saveexec_b64 s[2:3], s[10:11]
	s_cbranch_execz .LBB30_50
.LBB30_245:
	v_mov_b32_e32 v15, s55
	v_add_co_u32_e32 v14, vcc, s7, v50
	v_addc_co_u32_e32 v15, vcc, 0, v15, vcc
	flat_load_dwordx2 v[14:15], v[14:15] offset:2048
	s_or_b64 exec, exec, s[2:3]
                                        ; implicit-def: $vgpr16_vgpr17
	s_and_saveexec_b64 s[2:3], s[12:13]
	s_cbranch_execz .LBB30_51
.LBB30_246:
	v_mov_b32_e32 v17, s55
	v_add_co_u32_e32 v16, vcc, s7, v50
	v_addc_co_u32_e32 v17, vcc, 0, v17, vcc
	flat_load_dwordx2 v[16:17], v[16:17] offset:2560
	s_or_b64 exec, exec, s[2:3]
                                        ; implicit-def: $vgpr18_vgpr19
	s_and_saveexec_b64 s[2:3], s[14:15]
	s_cbranch_execz .LBB30_52
.LBB30_247:
	v_mov_b32_e32 v19, s55
	v_add_co_u32_e32 v18, vcc, s7, v50
	v_addc_co_u32_e32 v19, vcc, 0, v19, vcc
	flat_load_dwordx2 v[18:19], v[18:19] offset:3072
	s_or_b64 exec, exec, s[2:3]
                                        ; implicit-def: $vgpr20_vgpr21
	s_and_saveexec_b64 s[2:3], s[16:17]
	s_cbranch_execz .LBB30_53
.LBB30_248:
	v_mov_b32_e32 v21, s55
	v_add_co_u32_e32 v20, vcc, s7, v50
	v_addc_co_u32_e32 v21, vcc, 0, v21, vcc
	flat_load_dwordx2 v[20:21], v[20:21] offset:3584
	s_or_b64 exec, exec, s[2:3]
                                        ; implicit-def: $vgpr22_vgpr23
	s_and_saveexec_b64 s[2:3], s[18:19]
	s_cbranch_execz .LBB30_54
.LBB30_249:
	v_lshlrev_b32_e32 v1, 3, v1
	v_mov_b32_e32 v23, s55
	v_add_co_u32_e32 v22, vcc, s7, v1
	v_addc_co_u32_e32 v23, vcc, 0, v23, vcc
	flat_load_dwordx2 v[22:23], v[22:23]
	s_or_b64 exec, exec, s[2:3]
                                        ; implicit-def: $vgpr24_vgpr25
	s_and_saveexec_b64 s[2:3], s[20:21]
	s_cbranch_execz .LBB30_55
.LBB30_250:
	v_lshlrev_b32_e32 v1, 3, v40
	v_mov_b32_e32 v25, s55
	v_add_co_u32_e32 v24, vcc, s7, v1
	v_addc_co_u32_e32 v25, vcc, 0, v25, vcc
	flat_load_dwordx2 v[24:25], v[24:25]
	s_or_b64 exec, exec, s[2:3]
                                        ; implicit-def: $vgpr26_vgpr27
	s_and_saveexec_b64 s[2:3], s[22:23]
	s_cbranch_execz .LBB30_56
.LBB30_251:
	v_lshlrev_b32_e32 v1, 3, v41
	v_mov_b32_e32 v27, s55
	v_add_co_u32_e32 v26, vcc, s7, v1
	v_addc_co_u32_e32 v27, vcc, 0, v27, vcc
	flat_load_dwordx2 v[26:27], v[26:27]
	s_or_b64 exec, exec, s[2:3]
                                        ; implicit-def: $vgpr28_vgpr29
	s_and_saveexec_b64 s[2:3], s[24:25]
	s_cbranch_execz .LBB30_57
.LBB30_252:
	v_lshlrev_b32_e32 v1, 3, v42
	v_mov_b32_e32 v29, s55
	v_add_co_u32_e32 v28, vcc, s7, v1
	v_addc_co_u32_e32 v29, vcc, 0, v29, vcc
	flat_load_dwordx2 v[28:29], v[28:29]
	s_or_b64 exec, exec, s[2:3]
                                        ; implicit-def: $vgpr30_vgpr31
	s_and_saveexec_b64 s[2:3], s[26:27]
	s_cbranch_execz .LBB30_58
.LBB30_253:
	v_lshlrev_b32_e32 v1, 3, v43
	v_mov_b32_e32 v31, s55
	v_add_co_u32_e32 v30, vcc, s7, v1
	v_addc_co_u32_e32 v31, vcc, 0, v31, vcc
	flat_load_dwordx2 v[30:31], v[30:31]
	s_or_b64 exec, exec, s[2:3]
                                        ; implicit-def: $vgpr32_vgpr33
	s_and_saveexec_b64 s[2:3], s[28:29]
	s_cbranch_execz .LBB30_59
.LBB30_254:
	v_lshlrev_b32_e32 v1, 3, v44
	v_mov_b32_e32 v33, s55
	v_add_co_u32_e32 v32, vcc, s7, v1
	v_addc_co_u32_e32 v33, vcc, 0, v33, vcc
	flat_load_dwordx2 v[32:33], v[32:33]
	s_or_b64 exec, exec, s[2:3]
                                        ; implicit-def: $vgpr34_vgpr35
	s_and_saveexec_b64 s[2:3], s[30:31]
	s_cbranch_execz .LBB30_60
.LBB30_255:
	v_lshlrev_b32_e32 v1, 3, v45
	v_mov_b32_e32 v35, s55
	v_add_co_u32_e32 v34, vcc, s7, v1
	v_addc_co_u32_e32 v35, vcc, 0, v35, vcc
	flat_load_dwordx2 v[34:35], v[34:35]
	s_or_b64 exec, exec, s[2:3]
                                        ; implicit-def: $vgpr36_vgpr37
	s_and_saveexec_b64 s[2:3], s[34:35]
	s_cbranch_execz .LBB30_61
.LBB30_256:
	v_lshlrev_b32_e32 v1, 3, v46
	v_mov_b32_e32 v37, s55
	v_add_co_u32_e32 v36, vcc, s7, v1
	v_addc_co_u32_e32 v37, vcc, 0, v37, vcc
	flat_load_dwordx2 v[36:37], v[36:37]
	s_or_b64 exec, exec, s[2:3]
                                        ; implicit-def: $vgpr38_vgpr39
	s_and_saveexec_b64 s[2:3], s[36:37]
	s_cbranch_execz .LBB30_62
.LBB30_257:
	v_lshlrev_b32_e32 v1, 3, v47
	v_mov_b32_e32 v39, s55
	v_add_co_u32_e32 v38, vcc, s7, v1
	v_addc_co_u32_e32 v39, vcc, 0, v39, vcc
	flat_load_dwordx2 v[38:39], v[38:39]
	s_or_b64 exec, exec, s[2:3]
                                        ; implicit-def: $vgpr40_vgpr41
	s_and_saveexec_b64 s[2:3], s[38:39]
	s_cbranch_execz .LBB30_63
.LBB30_258:
	v_lshlrev_b32_e32 v1, 3, v49
	v_mov_b32_e32 v41, s55
	v_add_co_u32_e32 v40, vcc, s7, v1
	v_addc_co_u32_e32 v41, vcc, 0, v41, vcc
	flat_load_dwordx2 v[40:41], v[40:41]
	s_or_b64 exec, exec, s[2:3]
                                        ; implicit-def: $vgpr42_vgpr43
	s_and_saveexec_b64 s[2:3], s[40:41]
	s_cbranch_execnz .LBB30_64
	s_branch .LBB30_65
.LBB30_259:
                                        ; implicit-def: $sgpr56_sgpr57
	s_branch .LBB30_42
.LBB30_260:
                                        ; implicit-def: $sgpr2_sgpr3
	s_branch .LBB30_106
	.section	.rodata,"a",@progbits
	.p2align	6, 0x0
	.amdhsa_kernel _ZN7rocprim17ROCPRIM_400000_NS6detail17trampoline_kernelINS0_14default_configENS1_27scan_by_key_config_selectorIxxEEZZNS1_16scan_by_key_implILNS1_25lookback_scan_determinismE0ELb0ES3_N6thrust23THRUST_200600_302600_NS6detail15normal_iteratorINS9_10device_ptrIxEEEESE_SE_xNS9_4plusIvEENS9_8equal_toIvEExEE10hipError_tPvRmT2_T3_T4_T5_mT6_T7_P12ihipStream_tbENKUlT_T0_E_clISt17integral_constantIbLb1EESY_IbLb0EEEEDaSU_SV_EUlSU_E_NS1_11comp_targetILNS1_3genE4ELNS1_11target_archE910ELNS1_3gpuE8ELNS1_3repE0EEENS1_30default_config_static_selectorELNS0_4arch9wavefront6targetE1EEEvT1_
		.amdhsa_group_segment_fixed_size 10752
		.amdhsa_private_segment_fixed_size 0
		.amdhsa_kernarg_size 136
		.amdhsa_user_sgpr_count 6
		.amdhsa_user_sgpr_private_segment_buffer 1
		.amdhsa_user_sgpr_dispatch_ptr 0
		.amdhsa_user_sgpr_queue_ptr 0
		.amdhsa_user_sgpr_kernarg_segment_ptr 1
		.amdhsa_user_sgpr_dispatch_id 0
		.amdhsa_user_sgpr_flat_scratch_init 0
		.amdhsa_user_sgpr_kernarg_preload_length 0
		.amdhsa_user_sgpr_kernarg_preload_offset 0
		.amdhsa_user_sgpr_private_segment_size 0
		.amdhsa_uses_dynamic_stack 0
		.amdhsa_system_sgpr_private_segment_wavefront_offset 0
		.amdhsa_system_sgpr_workgroup_id_x 1
		.amdhsa_system_sgpr_workgroup_id_y 0
		.amdhsa_system_sgpr_workgroup_id_z 0
		.amdhsa_system_sgpr_workgroup_info 0
		.amdhsa_system_vgpr_workitem_id 0
		.amdhsa_next_free_vgpr 128
		.amdhsa_next_free_sgpr 78
		.amdhsa_accum_offset 128
		.amdhsa_reserve_vcc 1
		.amdhsa_reserve_flat_scratch 0
		.amdhsa_float_round_mode_32 0
		.amdhsa_float_round_mode_16_64 0
		.amdhsa_float_denorm_mode_32 3
		.amdhsa_float_denorm_mode_16_64 3
		.amdhsa_dx10_clamp 1
		.amdhsa_ieee_mode 1
		.amdhsa_fp16_overflow 0
		.amdhsa_tg_split 0
		.amdhsa_exception_fp_ieee_invalid_op 0
		.amdhsa_exception_fp_denorm_src 0
		.amdhsa_exception_fp_ieee_div_zero 0
		.amdhsa_exception_fp_ieee_overflow 0
		.amdhsa_exception_fp_ieee_underflow 0
		.amdhsa_exception_fp_ieee_inexact 0
		.amdhsa_exception_int_div_zero 0
	.end_amdhsa_kernel
	.section	.text._ZN7rocprim17ROCPRIM_400000_NS6detail17trampoline_kernelINS0_14default_configENS1_27scan_by_key_config_selectorIxxEEZZNS1_16scan_by_key_implILNS1_25lookback_scan_determinismE0ELb0ES3_N6thrust23THRUST_200600_302600_NS6detail15normal_iteratorINS9_10device_ptrIxEEEESE_SE_xNS9_4plusIvEENS9_8equal_toIvEExEE10hipError_tPvRmT2_T3_T4_T5_mT6_T7_P12ihipStream_tbENKUlT_T0_E_clISt17integral_constantIbLb1EESY_IbLb0EEEEDaSU_SV_EUlSU_E_NS1_11comp_targetILNS1_3genE4ELNS1_11target_archE910ELNS1_3gpuE8ELNS1_3repE0EEENS1_30default_config_static_selectorELNS0_4arch9wavefront6targetE1EEEvT1_,"axG",@progbits,_ZN7rocprim17ROCPRIM_400000_NS6detail17trampoline_kernelINS0_14default_configENS1_27scan_by_key_config_selectorIxxEEZZNS1_16scan_by_key_implILNS1_25lookback_scan_determinismE0ELb0ES3_N6thrust23THRUST_200600_302600_NS6detail15normal_iteratorINS9_10device_ptrIxEEEESE_SE_xNS9_4plusIvEENS9_8equal_toIvEExEE10hipError_tPvRmT2_T3_T4_T5_mT6_T7_P12ihipStream_tbENKUlT_T0_E_clISt17integral_constantIbLb1EESY_IbLb0EEEEDaSU_SV_EUlSU_E_NS1_11comp_targetILNS1_3genE4ELNS1_11target_archE910ELNS1_3gpuE8ELNS1_3repE0EEENS1_30default_config_static_selectorELNS0_4arch9wavefront6targetE1EEEvT1_,comdat
.Lfunc_end30:
	.size	_ZN7rocprim17ROCPRIM_400000_NS6detail17trampoline_kernelINS0_14default_configENS1_27scan_by_key_config_selectorIxxEEZZNS1_16scan_by_key_implILNS1_25lookback_scan_determinismE0ELb0ES3_N6thrust23THRUST_200600_302600_NS6detail15normal_iteratorINS9_10device_ptrIxEEEESE_SE_xNS9_4plusIvEENS9_8equal_toIvEExEE10hipError_tPvRmT2_T3_T4_T5_mT6_T7_P12ihipStream_tbENKUlT_T0_E_clISt17integral_constantIbLb1EESY_IbLb0EEEEDaSU_SV_EUlSU_E_NS1_11comp_targetILNS1_3genE4ELNS1_11target_archE910ELNS1_3gpuE8ELNS1_3repE0EEENS1_30default_config_static_selectorELNS0_4arch9wavefront6targetE1EEEvT1_, .Lfunc_end30-_ZN7rocprim17ROCPRIM_400000_NS6detail17trampoline_kernelINS0_14default_configENS1_27scan_by_key_config_selectorIxxEEZZNS1_16scan_by_key_implILNS1_25lookback_scan_determinismE0ELb0ES3_N6thrust23THRUST_200600_302600_NS6detail15normal_iteratorINS9_10device_ptrIxEEEESE_SE_xNS9_4plusIvEENS9_8equal_toIvEExEE10hipError_tPvRmT2_T3_T4_T5_mT6_T7_P12ihipStream_tbENKUlT_T0_E_clISt17integral_constantIbLb1EESY_IbLb0EEEEDaSU_SV_EUlSU_E_NS1_11comp_targetILNS1_3genE4ELNS1_11target_archE910ELNS1_3gpuE8ELNS1_3repE0EEENS1_30default_config_static_selectorELNS0_4arch9wavefront6targetE1EEEvT1_
                                        ; -- End function
	.section	.AMDGPU.csdata,"",@progbits
; Kernel info:
; codeLenInByte = 15048
; NumSgprs: 82
; NumVgprs: 128
; NumAgprs: 0
; TotalNumVgprs: 128
; ScratchSize: 0
; MemoryBound: 0
; FloatMode: 240
; IeeeMode: 1
; LDSByteSize: 10752 bytes/workgroup (compile time only)
; SGPRBlocks: 10
; VGPRBlocks: 15
; NumSGPRsForWavesPerEU: 82
; NumVGPRsForWavesPerEU: 128
; AccumOffset: 128
; Occupancy: 2
; WaveLimiterHint : 1
; COMPUTE_PGM_RSRC2:SCRATCH_EN: 0
; COMPUTE_PGM_RSRC2:USER_SGPR: 6
; COMPUTE_PGM_RSRC2:TRAP_HANDLER: 0
; COMPUTE_PGM_RSRC2:TGID_X_EN: 1
; COMPUTE_PGM_RSRC2:TGID_Y_EN: 0
; COMPUTE_PGM_RSRC2:TGID_Z_EN: 0
; COMPUTE_PGM_RSRC2:TIDIG_COMP_CNT: 0
; COMPUTE_PGM_RSRC3_GFX90A:ACCUM_OFFSET: 31
; COMPUTE_PGM_RSRC3_GFX90A:TG_SPLIT: 0
	.section	.text._ZN7rocprim17ROCPRIM_400000_NS6detail17trampoline_kernelINS0_14default_configENS1_27scan_by_key_config_selectorIxxEEZZNS1_16scan_by_key_implILNS1_25lookback_scan_determinismE0ELb0ES3_N6thrust23THRUST_200600_302600_NS6detail15normal_iteratorINS9_10device_ptrIxEEEESE_SE_xNS9_4plusIvEENS9_8equal_toIvEExEE10hipError_tPvRmT2_T3_T4_T5_mT6_T7_P12ihipStream_tbENKUlT_T0_E_clISt17integral_constantIbLb1EESY_IbLb0EEEEDaSU_SV_EUlSU_E_NS1_11comp_targetILNS1_3genE3ELNS1_11target_archE908ELNS1_3gpuE7ELNS1_3repE0EEENS1_30default_config_static_selectorELNS0_4arch9wavefront6targetE1EEEvT1_,"axG",@progbits,_ZN7rocprim17ROCPRIM_400000_NS6detail17trampoline_kernelINS0_14default_configENS1_27scan_by_key_config_selectorIxxEEZZNS1_16scan_by_key_implILNS1_25lookback_scan_determinismE0ELb0ES3_N6thrust23THRUST_200600_302600_NS6detail15normal_iteratorINS9_10device_ptrIxEEEESE_SE_xNS9_4plusIvEENS9_8equal_toIvEExEE10hipError_tPvRmT2_T3_T4_T5_mT6_T7_P12ihipStream_tbENKUlT_T0_E_clISt17integral_constantIbLb1EESY_IbLb0EEEEDaSU_SV_EUlSU_E_NS1_11comp_targetILNS1_3genE3ELNS1_11target_archE908ELNS1_3gpuE7ELNS1_3repE0EEENS1_30default_config_static_selectorELNS0_4arch9wavefront6targetE1EEEvT1_,comdat
	.protected	_ZN7rocprim17ROCPRIM_400000_NS6detail17trampoline_kernelINS0_14default_configENS1_27scan_by_key_config_selectorIxxEEZZNS1_16scan_by_key_implILNS1_25lookback_scan_determinismE0ELb0ES3_N6thrust23THRUST_200600_302600_NS6detail15normal_iteratorINS9_10device_ptrIxEEEESE_SE_xNS9_4plusIvEENS9_8equal_toIvEExEE10hipError_tPvRmT2_T3_T4_T5_mT6_T7_P12ihipStream_tbENKUlT_T0_E_clISt17integral_constantIbLb1EESY_IbLb0EEEEDaSU_SV_EUlSU_E_NS1_11comp_targetILNS1_3genE3ELNS1_11target_archE908ELNS1_3gpuE7ELNS1_3repE0EEENS1_30default_config_static_selectorELNS0_4arch9wavefront6targetE1EEEvT1_ ; -- Begin function _ZN7rocprim17ROCPRIM_400000_NS6detail17trampoline_kernelINS0_14default_configENS1_27scan_by_key_config_selectorIxxEEZZNS1_16scan_by_key_implILNS1_25lookback_scan_determinismE0ELb0ES3_N6thrust23THRUST_200600_302600_NS6detail15normal_iteratorINS9_10device_ptrIxEEEESE_SE_xNS9_4plusIvEENS9_8equal_toIvEExEE10hipError_tPvRmT2_T3_T4_T5_mT6_T7_P12ihipStream_tbENKUlT_T0_E_clISt17integral_constantIbLb1EESY_IbLb0EEEEDaSU_SV_EUlSU_E_NS1_11comp_targetILNS1_3genE3ELNS1_11target_archE908ELNS1_3gpuE7ELNS1_3repE0EEENS1_30default_config_static_selectorELNS0_4arch9wavefront6targetE1EEEvT1_
	.globl	_ZN7rocprim17ROCPRIM_400000_NS6detail17trampoline_kernelINS0_14default_configENS1_27scan_by_key_config_selectorIxxEEZZNS1_16scan_by_key_implILNS1_25lookback_scan_determinismE0ELb0ES3_N6thrust23THRUST_200600_302600_NS6detail15normal_iteratorINS9_10device_ptrIxEEEESE_SE_xNS9_4plusIvEENS9_8equal_toIvEExEE10hipError_tPvRmT2_T3_T4_T5_mT6_T7_P12ihipStream_tbENKUlT_T0_E_clISt17integral_constantIbLb1EESY_IbLb0EEEEDaSU_SV_EUlSU_E_NS1_11comp_targetILNS1_3genE3ELNS1_11target_archE908ELNS1_3gpuE7ELNS1_3repE0EEENS1_30default_config_static_selectorELNS0_4arch9wavefront6targetE1EEEvT1_
	.p2align	8
	.type	_ZN7rocprim17ROCPRIM_400000_NS6detail17trampoline_kernelINS0_14default_configENS1_27scan_by_key_config_selectorIxxEEZZNS1_16scan_by_key_implILNS1_25lookback_scan_determinismE0ELb0ES3_N6thrust23THRUST_200600_302600_NS6detail15normal_iteratorINS9_10device_ptrIxEEEESE_SE_xNS9_4plusIvEENS9_8equal_toIvEExEE10hipError_tPvRmT2_T3_T4_T5_mT6_T7_P12ihipStream_tbENKUlT_T0_E_clISt17integral_constantIbLb1EESY_IbLb0EEEEDaSU_SV_EUlSU_E_NS1_11comp_targetILNS1_3genE3ELNS1_11target_archE908ELNS1_3gpuE7ELNS1_3repE0EEENS1_30default_config_static_selectorELNS0_4arch9wavefront6targetE1EEEvT1_,@function
_ZN7rocprim17ROCPRIM_400000_NS6detail17trampoline_kernelINS0_14default_configENS1_27scan_by_key_config_selectorIxxEEZZNS1_16scan_by_key_implILNS1_25lookback_scan_determinismE0ELb0ES3_N6thrust23THRUST_200600_302600_NS6detail15normal_iteratorINS9_10device_ptrIxEEEESE_SE_xNS9_4plusIvEENS9_8equal_toIvEExEE10hipError_tPvRmT2_T3_T4_T5_mT6_T7_P12ihipStream_tbENKUlT_T0_E_clISt17integral_constantIbLb1EESY_IbLb0EEEEDaSU_SV_EUlSU_E_NS1_11comp_targetILNS1_3genE3ELNS1_11target_archE908ELNS1_3gpuE7ELNS1_3repE0EEENS1_30default_config_static_selectorELNS0_4arch9wavefront6targetE1EEEvT1_: ; @_ZN7rocprim17ROCPRIM_400000_NS6detail17trampoline_kernelINS0_14default_configENS1_27scan_by_key_config_selectorIxxEEZZNS1_16scan_by_key_implILNS1_25lookback_scan_determinismE0ELb0ES3_N6thrust23THRUST_200600_302600_NS6detail15normal_iteratorINS9_10device_ptrIxEEEESE_SE_xNS9_4plusIvEENS9_8equal_toIvEExEE10hipError_tPvRmT2_T3_T4_T5_mT6_T7_P12ihipStream_tbENKUlT_T0_E_clISt17integral_constantIbLb1EESY_IbLb0EEEEDaSU_SV_EUlSU_E_NS1_11comp_targetILNS1_3genE3ELNS1_11target_archE908ELNS1_3gpuE7ELNS1_3repE0EEENS1_30default_config_static_selectorELNS0_4arch9wavefront6targetE1EEEvT1_
; %bb.0:
	.section	.rodata,"a",@progbits
	.p2align	6, 0x0
	.amdhsa_kernel _ZN7rocprim17ROCPRIM_400000_NS6detail17trampoline_kernelINS0_14default_configENS1_27scan_by_key_config_selectorIxxEEZZNS1_16scan_by_key_implILNS1_25lookback_scan_determinismE0ELb0ES3_N6thrust23THRUST_200600_302600_NS6detail15normal_iteratorINS9_10device_ptrIxEEEESE_SE_xNS9_4plusIvEENS9_8equal_toIvEExEE10hipError_tPvRmT2_T3_T4_T5_mT6_T7_P12ihipStream_tbENKUlT_T0_E_clISt17integral_constantIbLb1EESY_IbLb0EEEEDaSU_SV_EUlSU_E_NS1_11comp_targetILNS1_3genE3ELNS1_11target_archE908ELNS1_3gpuE7ELNS1_3repE0EEENS1_30default_config_static_selectorELNS0_4arch9wavefront6targetE1EEEvT1_
		.amdhsa_group_segment_fixed_size 0
		.amdhsa_private_segment_fixed_size 0
		.amdhsa_kernarg_size 136
		.amdhsa_user_sgpr_count 6
		.amdhsa_user_sgpr_private_segment_buffer 1
		.amdhsa_user_sgpr_dispatch_ptr 0
		.amdhsa_user_sgpr_queue_ptr 0
		.amdhsa_user_sgpr_kernarg_segment_ptr 1
		.amdhsa_user_sgpr_dispatch_id 0
		.amdhsa_user_sgpr_flat_scratch_init 0
		.amdhsa_user_sgpr_kernarg_preload_length 0
		.amdhsa_user_sgpr_kernarg_preload_offset 0
		.amdhsa_user_sgpr_private_segment_size 0
		.amdhsa_uses_dynamic_stack 0
		.amdhsa_system_sgpr_private_segment_wavefront_offset 0
		.amdhsa_system_sgpr_workgroup_id_x 1
		.amdhsa_system_sgpr_workgroup_id_y 0
		.amdhsa_system_sgpr_workgroup_id_z 0
		.amdhsa_system_sgpr_workgroup_info 0
		.amdhsa_system_vgpr_workitem_id 0
		.amdhsa_next_free_vgpr 1
		.amdhsa_next_free_sgpr 0
		.amdhsa_accum_offset 4
		.amdhsa_reserve_vcc 0
		.amdhsa_reserve_flat_scratch 0
		.amdhsa_float_round_mode_32 0
		.amdhsa_float_round_mode_16_64 0
		.amdhsa_float_denorm_mode_32 3
		.amdhsa_float_denorm_mode_16_64 3
		.amdhsa_dx10_clamp 1
		.amdhsa_ieee_mode 1
		.amdhsa_fp16_overflow 0
		.amdhsa_tg_split 0
		.amdhsa_exception_fp_ieee_invalid_op 0
		.amdhsa_exception_fp_denorm_src 0
		.amdhsa_exception_fp_ieee_div_zero 0
		.amdhsa_exception_fp_ieee_overflow 0
		.amdhsa_exception_fp_ieee_underflow 0
		.amdhsa_exception_fp_ieee_inexact 0
		.amdhsa_exception_int_div_zero 0
	.end_amdhsa_kernel
	.section	.text._ZN7rocprim17ROCPRIM_400000_NS6detail17trampoline_kernelINS0_14default_configENS1_27scan_by_key_config_selectorIxxEEZZNS1_16scan_by_key_implILNS1_25lookback_scan_determinismE0ELb0ES3_N6thrust23THRUST_200600_302600_NS6detail15normal_iteratorINS9_10device_ptrIxEEEESE_SE_xNS9_4plusIvEENS9_8equal_toIvEExEE10hipError_tPvRmT2_T3_T4_T5_mT6_T7_P12ihipStream_tbENKUlT_T0_E_clISt17integral_constantIbLb1EESY_IbLb0EEEEDaSU_SV_EUlSU_E_NS1_11comp_targetILNS1_3genE3ELNS1_11target_archE908ELNS1_3gpuE7ELNS1_3repE0EEENS1_30default_config_static_selectorELNS0_4arch9wavefront6targetE1EEEvT1_,"axG",@progbits,_ZN7rocprim17ROCPRIM_400000_NS6detail17trampoline_kernelINS0_14default_configENS1_27scan_by_key_config_selectorIxxEEZZNS1_16scan_by_key_implILNS1_25lookback_scan_determinismE0ELb0ES3_N6thrust23THRUST_200600_302600_NS6detail15normal_iteratorINS9_10device_ptrIxEEEESE_SE_xNS9_4plusIvEENS9_8equal_toIvEExEE10hipError_tPvRmT2_T3_T4_T5_mT6_T7_P12ihipStream_tbENKUlT_T0_E_clISt17integral_constantIbLb1EESY_IbLb0EEEEDaSU_SV_EUlSU_E_NS1_11comp_targetILNS1_3genE3ELNS1_11target_archE908ELNS1_3gpuE7ELNS1_3repE0EEENS1_30default_config_static_selectorELNS0_4arch9wavefront6targetE1EEEvT1_,comdat
.Lfunc_end31:
	.size	_ZN7rocprim17ROCPRIM_400000_NS6detail17trampoline_kernelINS0_14default_configENS1_27scan_by_key_config_selectorIxxEEZZNS1_16scan_by_key_implILNS1_25lookback_scan_determinismE0ELb0ES3_N6thrust23THRUST_200600_302600_NS6detail15normal_iteratorINS9_10device_ptrIxEEEESE_SE_xNS9_4plusIvEENS9_8equal_toIvEExEE10hipError_tPvRmT2_T3_T4_T5_mT6_T7_P12ihipStream_tbENKUlT_T0_E_clISt17integral_constantIbLb1EESY_IbLb0EEEEDaSU_SV_EUlSU_E_NS1_11comp_targetILNS1_3genE3ELNS1_11target_archE908ELNS1_3gpuE7ELNS1_3repE0EEENS1_30default_config_static_selectorELNS0_4arch9wavefront6targetE1EEEvT1_, .Lfunc_end31-_ZN7rocprim17ROCPRIM_400000_NS6detail17trampoline_kernelINS0_14default_configENS1_27scan_by_key_config_selectorIxxEEZZNS1_16scan_by_key_implILNS1_25lookback_scan_determinismE0ELb0ES3_N6thrust23THRUST_200600_302600_NS6detail15normal_iteratorINS9_10device_ptrIxEEEESE_SE_xNS9_4plusIvEENS9_8equal_toIvEExEE10hipError_tPvRmT2_T3_T4_T5_mT6_T7_P12ihipStream_tbENKUlT_T0_E_clISt17integral_constantIbLb1EESY_IbLb0EEEEDaSU_SV_EUlSU_E_NS1_11comp_targetILNS1_3genE3ELNS1_11target_archE908ELNS1_3gpuE7ELNS1_3repE0EEENS1_30default_config_static_selectorELNS0_4arch9wavefront6targetE1EEEvT1_
                                        ; -- End function
	.section	.AMDGPU.csdata,"",@progbits
; Kernel info:
; codeLenInByte = 0
; NumSgprs: 4
; NumVgprs: 0
; NumAgprs: 0
; TotalNumVgprs: 0
; ScratchSize: 0
; MemoryBound: 0
; FloatMode: 240
; IeeeMode: 1
; LDSByteSize: 0 bytes/workgroup (compile time only)
; SGPRBlocks: 0
; VGPRBlocks: 0
; NumSGPRsForWavesPerEU: 4
; NumVGPRsForWavesPerEU: 1
; AccumOffset: 4
; Occupancy: 8
; WaveLimiterHint : 0
; COMPUTE_PGM_RSRC2:SCRATCH_EN: 0
; COMPUTE_PGM_RSRC2:USER_SGPR: 6
; COMPUTE_PGM_RSRC2:TRAP_HANDLER: 0
; COMPUTE_PGM_RSRC2:TGID_X_EN: 1
; COMPUTE_PGM_RSRC2:TGID_Y_EN: 0
; COMPUTE_PGM_RSRC2:TGID_Z_EN: 0
; COMPUTE_PGM_RSRC2:TIDIG_COMP_CNT: 0
; COMPUTE_PGM_RSRC3_GFX90A:ACCUM_OFFSET: 0
; COMPUTE_PGM_RSRC3_GFX90A:TG_SPLIT: 0
	.section	.text._ZN7rocprim17ROCPRIM_400000_NS6detail17trampoline_kernelINS0_14default_configENS1_27scan_by_key_config_selectorIxxEEZZNS1_16scan_by_key_implILNS1_25lookback_scan_determinismE0ELb0ES3_N6thrust23THRUST_200600_302600_NS6detail15normal_iteratorINS9_10device_ptrIxEEEESE_SE_xNS9_4plusIvEENS9_8equal_toIvEExEE10hipError_tPvRmT2_T3_T4_T5_mT6_T7_P12ihipStream_tbENKUlT_T0_E_clISt17integral_constantIbLb1EESY_IbLb0EEEEDaSU_SV_EUlSU_E_NS1_11comp_targetILNS1_3genE2ELNS1_11target_archE906ELNS1_3gpuE6ELNS1_3repE0EEENS1_30default_config_static_selectorELNS0_4arch9wavefront6targetE1EEEvT1_,"axG",@progbits,_ZN7rocprim17ROCPRIM_400000_NS6detail17trampoline_kernelINS0_14default_configENS1_27scan_by_key_config_selectorIxxEEZZNS1_16scan_by_key_implILNS1_25lookback_scan_determinismE0ELb0ES3_N6thrust23THRUST_200600_302600_NS6detail15normal_iteratorINS9_10device_ptrIxEEEESE_SE_xNS9_4plusIvEENS9_8equal_toIvEExEE10hipError_tPvRmT2_T3_T4_T5_mT6_T7_P12ihipStream_tbENKUlT_T0_E_clISt17integral_constantIbLb1EESY_IbLb0EEEEDaSU_SV_EUlSU_E_NS1_11comp_targetILNS1_3genE2ELNS1_11target_archE906ELNS1_3gpuE6ELNS1_3repE0EEENS1_30default_config_static_selectorELNS0_4arch9wavefront6targetE1EEEvT1_,comdat
	.protected	_ZN7rocprim17ROCPRIM_400000_NS6detail17trampoline_kernelINS0_14default_configENS1_27scan_by_key_config_selectorIxxEEZZNS1_16scan_by_key_implILNS1_25lookback_scan_determinismE0ELb0ES3_N6thrust23THRUST_200600_302600_NS6detail15normal_iteratorINS9_10device_ptrIxEEEESE_SE_xNS9_4plusIvEENS9_8equal_toIvEExEE10hipError_tPvRmT2_T3_T4_T5_mT6_T7_P12ihipStream_tbENKUlT_T0_E_clISt17integral_constantIbLb1EESY_IbLb0EEEEDaSU_SV_EUlSU_E_NS1_11comp_targetILNS1_3genE2ELNS1_11target_archE906ELNS1_3gpuE6ELNS1_3repE0EEENS1_30default_config_static_selectorELNS0_4arch9wavefront6targetE1EEEvT1_ ; -- Begin function _ZN7rocprim17ROCPRIM_400000_NS6detail17trampoline_kernelINS0_14default_configENS1_27scan_by_key_config_selectorIxxEEZZNS1_16scan_by_key_implILNS1_25lookback_scan_determinismE0ELb0ES3_N6thrust23THRUST_200600_302600_NS6detail15normal_iteratorINS9_10device_ptrIxEEEESE_SE_xNS9_4plusIvEENS9_8equal_toIvEExEE10hipError_tPvRmT2_T3_T4_T5_mT6_T7_P12ihipStream_tbENKUlT_T0_E_clISt17integral_constantIbLb1EESY_IbLb0EEEEDaSU_SV_EUlSU_E_NS1_11comp_targetILNS1_3genE2ELNS1_11target_archE906ELNS1_3gpuE6ELNS1_3repE0EEENS1_30default_config_static_selectorELNS0_4arch9wavefront6targetE1EEEvT1_
	.globl	_ZN7rocprim17ROCPRIM_400000_NS6detail17trampoline_kernelINS0_14default_configENS1_27scan_by_key_config_selectorIxxEEZZNS1_16scan_by_key_implILNS1_25lookback_scan_determinismE0ELb0ES3_N6thrust23THRUST_200600_302600_NS6detail15normal_iteratorINS9_10device_ptrIxEEEESE_SE_xNS9_4plusIvEENS9_8equal_toIvEExEE10hipError_tPvRmT2_T3_T4_T5_mT6_T7_P12ihipStream_tbENKUlT_T0_E_clISt17integral_constantIbLb1EESY_IbLb0EEEEDaSU_SV_EUlSU_E_NS1_11comp_targetILNS1_3genE2ELNS1_11target_archE906ELNS1_3gpuE6ELNS1_3repE0EEENS1_30default_config_static_selectorELNS0_4arch9wavefront6targetE1EEEvT1_
	.p2align	8
	.type	_ZN7rocprim17ROCPRIM_400000_NS6detail17trampoline_kernelINS0_14default_configENS1_27scan_by_key_config_selectorIxxEEZZNS1_16scan_by_key_implILNS1_25lookback_scan_determinismE0ELb0ES3_N6thrust23THRUST_200600_302600_NS6detail15normal_iteratorINS9_10device_ptrIxEEEESE_SE_xNS9_4plusIvEENS9_8equal_toIvEExEE10hipError_tPvRmT2_T3_T4_T5_mT6_T7_P12ihipStream_tbENKUlT_T0_E_clISt17integral_constantIbLb1EESY_IbLb0EEEEDaSU_SV_EUlSU_E_NS1_11comp_targetILNS1_3genE2ELNS1_11target_archE906ELNS1_3gpuE6ELNS1_3repE0EEENS1_30default_config_static_selectorELNS0_4arch9wavefront6targetE1EEEvT1_,@function
_ZN7rocprim17ROCPRIM_400000_NS6detail17trampoline_kernelINS0_14default_configENS1_27scan_by_key_config_selectorIxxEEZZNS1_16scan_by_key_implILNS1_25lookback_scan_determinismE0ELb0ES3_N6thrust23THRUST_200600_302600_NS6detail15normal_iteratorINS9_10device_ptrIxEEEESE_SE_xNS9_4plusIvEENS9_8equal_toIvEExEE10hipError_tPvRmT2_T3_T4_T5_mT6_T7_P12ihipStream_tbENKUlT_T0_E_clISt17integral_constantIbLb1EESY_IbLb0EEEEDaSU_SV_EUlSU_E_NS1_11comp_targetILNS1_3genE2ELNS1_11target_archE906ELNS1_3gpuE6ELNS1_3repE0EEENS1_30default_config_static_selectorELNS0_4arch9wavefront6targetE1EEEvT1_: ; @_ZN7rocprim17ROCPRIM_400000_NS6detail17trampoline_kernelINS0_14default_configENS1_27scan_by_key_config_selectorIxxEEZZNS1_16scan_by_key_implILNS1_25lookback_scan_determinismE0ELb0ES3_N6thrust23THRUST_200600_302600_NS6detail15normal_iteratorINS9_10device_ptrIxEEEESE_SE_xNS9_4plusIvEENS9_8equal_toIvEExEE10hipError_tPvRmT2_T3_T4_T5_mT6_T7_P12ihipStream_tbENKUlT_T0_E_clISt17integral_constantIbLb1EESY_IbLb0EEEEDaSU_SV_EUlSU_E_NS1_11comp_targetILNS1_3genE2ELNS1_11target_archE906ELNS1_3gpuE6ELNS1_3repE0EEENS1_30default_config_static_selectorELNS0_4arch9wavefront6targetE1EEEvT1_
; %bb.0:
	.section	.rodata,"a",@progbits
	.p2align	6, 0x0
	.amdhsa_kernel _ZN7rocprim17ROCPRIM_400000_NS6detail17trampoline_kernelINS0_14default_configENS1_27scan_by_key_config_selectorIxxEEZZNS1_16scan_by_key_implILNS1_25lookback_scan_determinismE0ELb0ES3_N6thrust23THRUST_200600_302600_NS6detail15normal_iteratorINS9_10device_ptrIxEEEESE_SE_xNS9_4plusIvEENS9_8equal_toIvEExEE10hipError_tPvRmT2_T3_T4_T5_mT6_T7_P12ihipStream_tbENKUlT_T0_E_clISt17integral_constantIbLb1EESY_IbLb0EEEEDaSU_SV_EUlSU_E_NS1_11comp_targetILNS1_3genE2ELNS1_11target_archE906ELNS1_3gpuE6ELNS1_3repE0EEENS1_30default_config_static_selectorELNS0_4arch9wavefront6targetE1EEEvT1_
		.amdhsa_group_segment_fixed_size 0
		.amdhsa_private_segment_fixed_size 0
		.amdhsa_kernarg_size 136
		.amdhsa_user_sgpr_count 6
		.amdhsa_user_sgpr_private_segment_buffer 1
		.amdhsa_user_sgpr_dispatch_ptr 0
		.amdhsa_user_sgpr_queue_ptr 0
		.amdhsa_user_sgpr_kernarg_segment_ptr 1
		.amdhsa_user_sgpr_dispatch_id 0
		.amdhsa_user_sgpr_flat_scratch_init 0
		.amdhsa_user_sgpr_kernarg_preload_length 0
		.amdhsa_user_sgpr_kernarg_preload_offset 0
		.amdhsa_user_sgpr_private_segment_size 0
		.amdhsa_uses_dynamic_stack 0
		.amdhsa_system_sgpr_private_segment_wavefront_offset 0
		.amdhsa_system_sgpr_workgroup_id_x 1
		.amdhsa_system_sgpr_workgroup_id_y 0
		.amdhsa_system_sgpr_workgroup_id_z 0
		.amdhsa_system_sgpr_workgroup_info 0
		.amdhsa_system_vgpr_workitem_id 0
		.amdhsa_next_free_vgpr 1
		.amdhsa_next_free_sgpr 0
		.amdhsa_accum_offset 4
		.amdhsa_reserve_vcc 0
		.amdhsa_reserve_flat_scratch 0
		.amdhsa_float_round_mode_32 0
		.amdhsa_float_round_mode_16_64 0
		.amdhsa_float_denorm_mode_32 3
		.amdhsa_float_denorm_mode_16_64 3
		.amdhsa_dx10_clamp 1
		.amdhsa_ieee_mode 1
		.amdhsa_fp16_overflow 0
		.amdhsa_tg_split 0
		.amdhsa_exception_fp_ieee_invalid_op 0
		.amdhsa_exception_fp_denorm_src 0
		.amdhsa_exception_fp_ieee_div_zero 0
		.amdhsa_exception_fp_ieee_overflow 0
		.amdhsa_exception_fp_ieee_underflow 0
		.amdhsa_exception_fp_ieee_inexact 0
		.amdhsa_exception_int_div_zero 0
	.end_amdhsa_kernel
	.section	.text._ZN7rocprim17ROCPRIM_400000_NS6detail17trampoline_kernelINS0_14default_configENS1_27scan_by_key_config_selectorIxxEEZZNS1_16scan_by_key_implILNS1_25lookback_scan_determinismE0ELb0ES3_N6thrust23THRUST_200600_302600_NS6detail15normal_iteratorINS9_10device_ptrIxEEEESE_SE_xNS9_4plusIvEENS9_8equal_toIvEExEE10hipError_tPvRmT2_T3_T4_T5_mT6_T7_P12ihipStream_tbENKUlT_T0_E_clISt17integral_constantIbLb1EESY_IbLb0EEEEDaSU_SV_EUlSU_E_NS1_11comp_targetILNS1_3genE2ELNS1_11target_archE906ELNS1_3gpuE6ELNS1_3repE0EEENS1_30default_config_static_selectorELNS0_4arch9wavefront6targetE1EEEvT1_,"axG",@progbits,_ZN7rocprim17ROCPRIM_400000_NS6detail17trampoline_kernelINS0_14default_configENS1_27scan_by_key_config_selectorIxxEEZZNS1_16scan_by_key_implILNS1_25lookback_scan_determinismE0ELb0ES3_N6thrust23THRUST_200600_302600_NS6detail15normal_iteratorINS9_10device_ptrIxEEEESE_SE_xNS9_4plusIvEENS9_8equal_toIvEExEE10hipError_tPvRmT2_T3_T4_T5_mT6_T7_P12ihipStream_tbENKUlT_T0_E_clISt17integral_constantIbLb1EESY_IbLb0EEEEDaSU_SV_EUlSU_E_NS1_11comp_targetILNS1_3genE2ELNS1_11target_archE906ELNS1_3gpuE6ELNS1_3repE0EEENS1_30default_config_static_selectorELNS0_4arch9wavefront6targetE1EEEvT1_,comdat
.Lfunc_end32:
	.size	_ZN7rocprim17ROCPRIM_400000_NS6detail17trampoline_kernelINS0_14default_configENS1_27scan_by_key_config_selectorIxxEEZZNS1_16scan_by_key_implILNS1_25lookback_scan_determinismE0ELb0ES3_N6thrust23THRUST_200600_302600_NS6detail15normal_iteratorINS9_10device_ptrIxEEEESE_SE_xNS9_4plusIvEENS9_8equal_toIvEExEE10hipError_tPvRmT2_T3_T4_T5_mT6_T7_P12ihipStream_tbENKUlT_T0_E_clISt17integral_constantIbLb1EESY_IbLb0EEEEDaSU_SV_EUlSU_E_NS1_11comp_targetILNS1_3genE2ELNS1_11target_archE906ELNS1_3gpuE6ELNS1_3repE0EEENS1_30default_config_static_selectorELNS0_4arch9wavefront6targetE1EEEvT1_, .Lfunc_end32-_ZN7rocprim17ROCPRIM_400000_NS6detail17trampoline_kernelINS0_14default_configENS1_27scan_by_key_config_selectorIxxEEZZNS1_16scan_by_key_implILNS1_25lookback_scan_determinismE0ELb0ES3_N6thrust23THRUST_200600_302600_NS6detail15normal_iteratorINS9_10device_ptrIxEEEESE_SE_xNS9_4plusIvEENS9_8equal_toIvEExEE10hipError_tPvRmT2_T3_T4_T5_mT6_T7_P12ihipStream_tbENKUlT_T0_E_clISt17integral_constantIbLb1EESY_IbLb0EEEEDaSU_SV_EUlSU_E_NS1_11comp_targetILNS1_3genE2ELNS1_11target_archE906ELNS1_3gpuE6ELNS1_3repE0EEENS1_30default_config_static_selectorELNS0_4arch9wavefront6targetE1EEEvT1_
                                        ; -- End function
	.section	.AMDGPU.csdata,"",@progbits
; Kernel info:
; codeLenInByte = 0
; NumSgprs: 4
; NumVgprs: 0
; NumAgprs: 0
; TotalNumVgprs: 0
; ScratchSize: 0
; MemoryBound: 0
; FloatMode: 240
; IeeeMode: 1
; LDSByteSize: 0 bytes/workgroup (compile time only)
; SGPRBlocks: 0
; VGPRBlocks: 0
; NumSGPRsForWavesPerEU: 4
; NumVGPRsForWavesPerEU: 1
; AccumOffset: 4
; Occupancy: 8
; WaveLimiterHint : 0
; COMPUTE_PGM_RSRC2:SCRATCH_EN: 0
; COMPUTE_PGM_RSRC2:USER_SGPR: 6
; COMPUTE_PGM_RSRC2:TRAP_HANDLER: 0
; COMPUTE_PGM_RSRC2:TGID_X_EN: 1
; COMPUTE_PGM_RSRC2:TGID_Y_EN: 0
; COMPUTE_PGM_RSRC2:TGID_Z_EN: 0
; COMPUTE_PGM_RSRC2:TIDIG_COMP_CNT: 0
; COMPUTE_PGM_RSRC3_GFX90A:ACCUM_OFFSET: 0
; COMPUTE_PGM_RSRC3_GFX90A:TG_SPLIT: 0
	.section	.text._ZN7rocprim17ROCPRIM_400000_NS6detail17trampoline_kernelINS0_14default_configENS1_27scan_by_key_config_selectorIxxEEZZNS1_16scan_by_key_implILNS1_25lookback_scan_determinismE0ELb0ES3_N6thrust23THRUST_200600_302600_NS6detail15normal_iteratorINS9_10device_ptrIxEEEESE_SE_xNS9_4plusIvEENS9_8equal_toIvEExEE10hipError_tPvRmT2_T3_T4_T5_mT6_T7_P12ihipStream_tbENKUlT_T0_E_clISt17integral_constantIbLb1EESY_IbLb0EEEEDaSU_SV_EUlSU_E_NS1_11comp_targetILNS1_3genE10ELNS1_11target_archE1200ELNS1_3gpuE4ELNS1_3repE0EEENS1_30default_config_static_selectorELNS0_4arch9wavefront6targetE1EEEvT1_,"axG",@progbits,_ZN7rocprim17ROCPRIM_400000_NS6detail17trampoline_kernelINS0_14default_configENS1_27scan_by_key_config_selectorIxxEEZZNS1_16scan_by_key_implILNS1_25lookback_scan_determinismE0ELb0ES3_N6thrust23THRUST_200600_302600_NS6detail15normal_iteratorINS9_10device_ptrIxEEEESE_SE_xNS9_4plusIvEENS9_8equal_toIvEExEE10hipError_tPvRmT2_T3_T4_T5_mT6_T7_P12ihipStream_tbENKUlT_T0_E_clISt17integral_constantIbLb1EESY_IbLb0EEEEDaSU_SV_EUlSU_E_NS1_11comp_targetILNS1_3genE10ELNS1_11target_archE1200ELNS1_3gpuE4ELNS1_3repE0EEENS1_30default_config_static_selectorELNS0_4arch9wavefront6targetE1EEEvT1_,comdat
	.protected	_ZN7rocprim17ROCPRIM_400000_NS6detail17trampoline_kernelINS0_14default_configENS1_27scan_by_key_config_selectorIxxEEZZNS1_16scan_by_key_implILNS1_25lookback_scan_determinismE0ELb0ES3_N6thrust23THRUST_200600_302600_NS6detail15normal_iteratorINS9_10device_ptrIxEEEESE_SE_xNS9_4plusIvEENS9_8equal_toIvEExEE10hipError_tPvRmT2_T3_T4_T5_mT6_T7_P12ihipStream_tbENKUlT_T0_E_clISt17integral_constantIbLb1EESY_IbLb0EEEEDaSU_SV_EUlSU_E_NS1_11comp_targetILNS1_3genE10ELNS1_11target_archE1200ELNS1_3gpuE4ELNS1_3repE0EEENS1_30default_config_static_selectorELNS0_4arch9wavefront6targetE1EEEvT1_ ; -- Begin function _ZN7rocprim17ROCPRIM_400000_NS6detail17trampoline_kernelINS0_14default_configENS1_27scan_by_key_config_selectorIxxEEZZNS1_16scan_by_key_implILNS1_25lookback_scan_determinismE0ELb0ES3_N6thrust23THRUST_200600_302600_NS6detail15normal_iteratorINS9_10device_ptrIxEEEESE_SE_xNS9_4plusIvEENS9_8equal_toIvEExEE10hipError_tPvRmT2_T3_T4_T5_mT6_T7_P12ihipStream_tbENKUlT_T0_E_clISt17integral_constantIbLb1EESY_IbLb0EEEEDaSU_SV_EUlSU_E_NS1_11comp_targetILNS1_3genE10ELNS1_11target_archE1200ELNS1_3gpuE4ELNS1_3repE0EEENS1_30default_config_static_selectorELNS0_4arch9wavefront6targetE1EEEvT1_
	.globl	_ZN7rocprim17ROCPRIM_400000_NS6detail17trampoline_kernelINS0_14default_configENS1_27scan_by_key_config_selectorIxxEEZZNS1_16scan_by_key_implILNS1_25lookback_scan_determinismE0ELb0ES3_N6thrust23THRUST_200600_302600_NS6detail15normal_iteratorINS9_10device_ptrIxEEEESE_SE_xNS9_4plusIvEENS9_8equal_toIvEExEE10hipError_tPvRmT2_T3_T4_T5_mT6_T7_P12ihipStream_tbENKUlT_T0_E_clISt17integral_constantIbLb1EESY_IbLb0EEEEDaSU_SV_EUlSU_E_NS1_11comp_targetILNS1_3genE10ELNS1_11target_archE1200ELNS1_3gpuE4ELNS1_3repE0EEENS1_30default_config_static_selectorELNS0_4arch9wavefront6targetE1EEEvT1_
	.p2align	8
	.type	_ZN7rocprim17ROCPRIM_400000_NS6detail17trampoline_kernelINS0_14default_configENS1_27scan_by_key_config_selectorIxxEEZZNS1_16scan_by_key_implILNS1_25lookback_scan_determinismE0ELb0ES3_N6thrust23THRUST_200600_302600_NS6detail15normal_iteratorINS9_10device_ptrIxEEEESE_SE_xNS9_4plusIvEENS9_8equal_toIvEExEE10hipError_tPvRmT2_T3_T4_T5_mT6_T7_P12ihipStream_tbENKUlT_T0_E_clISt17integral_constantIbLb1EESY_IbLb0EEEEDaSU_SV_EUlSU_E_NS1_11comp_targetILNS1_3genE10ELNS1_11target_archE1200ELNS1_3gpuE4ELNS1_3repE0EEENS1_30default_config_static_selectorELNS0_4arch9wavefront6targetE1EEEvT1_,@function
_ZN7rocprim17ROCPRIM_400000_NS6detail17trampoline_kernelINS0_14default_configENS1_27scan_by_key_config_selectorIxxEEZZNS1_16scan_by_key_implILNS1_25lookback_scan_determinismE0ELb0ES3_N6thrust23THRUST_200600_302600_NS6detail15normal_iteratorINS9_10device_ptrIxEEEESE_SE_xNS9_4plusIvEENS9_8equal_toIvEExEE10hipError_tPvRmT2_T3_T4_T5_mT6_T7_P12ihipStream_tbENKUlT_T0_E_clISt17integral_constantIbLb1EESY_IbLb0EEEEDaSU_SV_EUlSU_E_NS1_11comp_targetILNS1_3genE10ELNS1_11target_archE1200ELNS1_3gpuE4ELNS1_3repE0EEENS1_30default_config_static_selectorELNS0_4arch9wavefront6targetE1EEEvT1_: ; @_ZN7rocprim17ROCPRIM_400000_NS6detail17trampoline_kernelINS0_14default_configENS1_27scan_by_key_config_selectorIxxEEZZNS1_16scan_by_key_implILNS1_25lookback_scan_determinismE0ELb0ES3_N6thrust23THRUST_200600_302600_NS6detail15normal_iteratorINS9_10device_ptrIxEEEESE_SE_xNS9_4plusIvEENS9_8equal_toIvEExEE10hipError_tPvRmT2_T3_T4_T5_mT6_T7_P12ihipStream_tbENKUlT_T0_E_clISt17integral_constantIbLb1EESY_IbLb0EEEEDaSU_SV_EUlSU_E_NS1_11comp_targetILNS1_3genE10ELNS1_11target_archE1200ELNS1_3gpuE4ELNS1_3repE0EEENS1_30default_config_static_selectorELNS0_4arch9wavefront6targetE1EEEvT1_
; %bb.0:
	.section	.rodata,"a",@progbits
	.p2align	6, 0x0
	.amdhsa_kernel _ZN7rocprim17ROCPRIM_400000_NS6detail17trampoline_kernelINS0_14default_configENS1_27scan_by_key_config_selectorIxxEEZZNS1_16scan_by_key_implILNS1_25lookback_scan_determinismE0ELb0ES3_N6thrust23THRUST_200600_302600_NS6detail15normal_iteratorINS9_10device_ptrIxEEEESE_SE_xNS9_4plusIvEENS9_8equal_toIvEExEE10hipError_tPvRmT2_T3_T4_T5_mT6_T7_P12ihipStream_tbENKUlT_T0_E_clISt17integral_constantIbLb1EESY_IbLb0EEEEDaSU_SV_EUlSU_E_NS1_11comp_targetILNS1_3genE10ELNS1_11target_archE1200ELNS1_3gpuE4ELNS1_3repE0EEENS1_30default_config_static_selectorELNS0_4arch9wavefront6targetE1EEEvT1_
		.amdhsa_group_segment_fixed_size 0
		.amdhsa_private_segment_fixed_size 0
		.amdhsa_kernarg_size 136
		.amdhsa_user_sgpr_count 6
		.amdhsa_user_sgpr_private_segment_buffer 1
		.amdhsa_user_sgpr_dispatch_ptr 0
		.amdhsa_user_sgpr_queue_ptr 0
		.amdhsa_user_sgpr_kernarg_segment_ptr 1
		.amdhsa_user_sgpr_dispatch_id 0
		.amdhsa_user_sgpr_flat_scratch_init 0
		.amdhsa_user_sgpr_kernarg_preload_length 0
		.amdhsa_user_sgpr_kernarg_preload_offset 0
		.amdhsa_user_sgpr_private_segment_size 0
		.amdhsa_uses_dynamic_stack 0
		.amdhsa_system_sgpr_private_segment_wavefront_offset 0
		.amdhsa_system_sgpr_workgroup_id_x 1
		.amdhsa_system_sgpr_workgroup_id_y 0
		.amdhsa_system_sgpr_workgroup_id_z 0
		.amdhsa_system_sgpr_workgroup_info 0
		.amdhsa_system_vgpr_workitem_id 0
		.amdhsa_next_free_vgpr 1
		.amdhsa_next_free_sgpr 0
		.amdhsa_accum_offset 4
		.amdhsa_reserve_vcc 0
		.amdhsa_reserve_flat_scratch 0
		.amdhsa_float_round_mode_32 0
		.amdhsa_float_round_mode_16_64 0
		.amdhsa_float_denorm_mode_32 3
		.amdhsa_float_denorm_mode_16_64 3
		.amdhsa_dx10_clamp 1
		.amdhsa_ieee_mode 1
		.amdhsa_fp16_overflow 0
		.amdhsa_tg_split 0
		.amdhsa_exception_fp_ieee_invalid_op 0
		.amdhsa_exception_fp_denorm_src 0
		.amdhsa_exception_fp_ieee_div_zero 0
		.amdhsa_exception_fp_ieee_overflow 0
		.amdhsa_exception_fp_ieee_underflow 0
		.amdhsa_exception_fp_ieee_inexact 0
		.amdhsa_exception_int_div_zero 0
	.end_amdhsa_kernel
	.section	.text._ZN7rocprim17ROCPRIM_400000_NS6detail17trampoline_kernelINS0_14default_configENS1_27scan_by_key_config_selectorIxxEEZZNS1_16scan_by_key_implILNS1_25lookback_scan_determinismE0ELb0ES3_N6thrust23THRUST_200600_302600_NS6detail15normal_iteratorINS9_10device_ptrIxEEEESE_SE_xNS9_4plusIvEENS9_8equal_toIvEExEE10hipError_tPvRmT2_T3_T4_T5_mT6_T7_P12ihipStream_tbENKUlT_T0_E_clISt17integral_constantIbLb1EESY_IbLb0EEEEDaSU_SV_EUlSU_E_NS1_11comp_targetILNS1_3genE10ELNS1_11target_archE1200ELNS1_3gpuE4ELNS1_3repE0EEENS1_30default_config_static_selectorELNS0_4arch9wavefront6targetE1EEEvT1_,"axG",@progbits,_ZN7rocprim17ROCPRIM_400000_NS6detail17trampoline_kernelINS0_14default_configENS1_27scan_by_key_config_selectorIxxEEZZNS1_16scan_by_key_implILNS1_25lookback_scan_determinismE0ELb0ES3_N6thrust23THRUST_200600_302600_NS6detail15normal_iteratorINS9_10device_ptrIxEEEESE_SE_xNS9_4plusIvEENS9_8equal_toIvEExEE10hipError_tPvRmT2_T3_T4_T5_mT6_T7_P12ihipStream_tbENKUlT_T0_E_clISt17integral_constantIbLb1EESY_IbLb0EEEEDaSU_SV_EUlSU_E_NS1_11comp_targetILNS1_3genE10ELNS1_11target_archE1200ELNS1_3gpuE4ELNS1_3repE0EEENS1_30default_config_static_selectorELNS0_4arch9wavefront6targetE1EEEvT1_,comdat
.Lfunc_end33:
	.size	_ZN7rocprim17ROCPRIM_400000_NS6detail17trampoline_kernelINS0_14default_configENS1_27scan_by_key_config_selectorIxxEEZZNS1_16scan_by_key_implILNS1_25lookback_scan_determinismE0ELb0ES3_N6thrust23THRUST_200600_302600_NS6detail15normal_iteratorINS9_10device_ptrIxEEEESE_SE_xNS9_4plusIvEENS9_8equal_toIvEExEE10hipError_tPvRmT2_T3_T4_T5_mT6_T7_P12ihipStream_tbENKUlT_T0_E_clISt17integral_constantIbLb1EESY_IbLb0EEEEDaSU_SV_EUlSU_E_NS1_11comp_targetILNS1_3genE10ELNS1_11target_archE1200ELNS1_3gpuE4ELNS1_3repE0EEENS1_30default_config_static_selectorELNS0_4arch9wavefront6targetE1EEEvT1_, .Lfunc_end33-_ZN7rocprim17ROCPRIM_400000_NS6detail17trampoline_kernelINS0_14default_configENS1_27scan_by_key_config_selectorIxxEEZZNS1_16scan_by_key_implILNS1_25lookback_scan_determinismE0ELb0ES3_N6thrust23THRUST_200600_302600_NS6detail15normal_iteratorINS9_10device_ptrIxEEEESE_SE_xNS9_4plusIvEENS9_8equal_toIvEExEE10hipError_tPvRmT2_T3_T4_T5_mT6_T7_P12ihipStream_tbENKUlT_T0_E_clISt17integral_constantIbLb1EESY_IbLb0EEEEDaSU_SV_EUlSU_E_NS1_11comp_targetILNS1_3genE10ELNS1_11target_archE1200ELNS1_3gpuE4ELNS1_3repE0EEENS1_30default_config_static_selectorELNS0_4arch9wavefront6targetE1EEEvT1_
                                        ; -- End function
	.section	.AMDGPU.csdata,"",@progbits
; Kernel info:
; codeLenInByte = 0
; NumSgprs: 4
; NumVgprs: 0
; NumAgprs: 0
; TotalNumVgprs: 0
; ScratchSize: 0
; MemoryBound: 0
; FloatMode: 240
; IeeeMode: 1
; LDSByteSize: 0 bytes/workgroup (compile time only)
; SGPRBlocks: 0
; VGPRBlocks: 0
; NumSGPRsForWavesPerEU: 4
; NumVGPRsForWavesPerEU: 1
; AccumOffset: 4
; Occupancy: 8
; WaveLimiterHint : 0
; COMPUTE_PGM_RSRC2:SCRATCH_EN: 0
; COMPUTE_PGM_RSRC2:USER_SGPR: 6
; COMPUTE_PGM_RSRC2:TRAP_HANDLER: 0
; COMPUTE_PGM_RSRC2:TGID_X_EN: 1
; COMPUTE_PGM_RSRC2:TGID_Y_EN: 0
; COMPUTE_PGM_RSRC2:TGID_Z_EN: 0
; COMPUTE_PGM_RSRC2:TIDIG_COMP_CNT: 0
; COMPUTE_PGM_RSRC3_GFX90A:ACCUM_OFFSET: 0
; COMPUTE_PGM_RSRC3_GFX90A:TG_SPLIT: 0
	.section	.text._ZN7rocprim17ROCPRIM_400000_NS6detail17trampoline_kernelINS0_14default_configENS1_27scan_by_key_config_selectorIxxEEZZNS1_16scan_by_key_implILNS1_25lookback_scan_determinismE0ELb0ES3_N6thrust23THRUST_200600_302600_NS6detail15normal_iteratorINS9_10device_ptrIxEEEESE_SE_xNS9_4plusIvEENS9_8equal_toIvEExEE10hipError_tPvRmT2_T3_T4_T5_mT6_T7_P12ihipStream_tbENKUlT_T0_E_clISt17integral_constantIbLb1EESY_IbLb0EEEEDaSU_SV_EUlSU_E_NS1_11comp_targetILNS1_3genE9ELNS1_11target_archE1100ELNS1_3gpuE3ELNS1_3repE0EEENS1_30default_config_static_selectorELNS0_4arch9wavefront6targetE1EEEvT1_,"axG",@progbits,_ZN7rocprim17ROCPRIM_400000_NS6detail17trampoline_kernelINS0_14default_configENS1_27scan_by_key_config_selectorIxxEEZZNS1_16scan_by_key_implILNS1_25lookback_scan_determinismE0ELb0ES3_N6thrust23THRUST_200600_302600_NS6detail15normal_iteratorINS9_10device_ptrIxEEEESE_SE_xNS9_4plusIvEENS9_8equal_toIvEExEE10hipError_tPvRmT2_T3_T4_T5_mT6_T7_P12ihipStream_tbENKUlT_T0_E_clISt17integral_constantIbLb1EESY_IbLb0EEEEDaSU_SV_EUlSU_E_NS1_11comp_targetILNS1_3genE9ELNS1_11target_archE1100ELNS1_3gpuE3ELNS1_3repE0EEENS1_30default_config_static_selectorELNS0_4arch9wavefront6targetE1EEEvT1_,comdat
	.protected	_ZN7rocprim17ROCPRIM_400000_NS6detail17trampoline_kernelINS0_14default_configENS1_27scan_by_key_config_selectorIxxEEZZNS1_16scan_by_key_implILNS1_25lookback_scan_determinismE0ELb0ES3_N6thrust23THRUST_200600_302600_NS6detail15normal_iteratorINS9_10device_ptrIxEEEESE_SE_xNS9_4plusIvEENS9_8equal_toIvEExEE10hipError_tPvRmT2_T3_T4_T5_mT6_T7_P12ihipStream_tbENKUlT_T0_E_clISt17integral_constantIbLb1EESY_IbLb0EEEEDaSU_SV_EUlSU_E_NS1_11comp_targetILNS1_3genE9ELNS1_11target_archE1100ELNS1_3gpuE3ELNS1_3repE0EEENS1_30default_config_static_selectorELNS0_4arch9wavefront6targetE1EEEvT1_ ; -- Begin function _ZN7rocprim17ROCPRIM_400000_NS6detail17trampoline_kernelINS0_14default_configENS1_27scan_by_key_config_selectorIxxEEZZNS1_16scan_by_key_implILNS1_25lookback_scan_determinismE0ELb0ES3_N6thrust23THRUST_200600_302600_NS6detail15normal_iteratorINS9_10device_ptrIxEEEESE_SE_xNS9_4plusIvEENS9_8equal_toIvEExEE10hipError_tPvRmT2_T3_T4_T5_mT6_T7_P12ihipStream_tbENKUlT_T0_E_clISt17integral_constantIbLb1EESY_IbLb0EEEEDaSU_SV_EUlSU_E_NS1_11comp_targetILNS1_3genE9ELNS1_11target_archE1100ELNS1_3gpuE3ELNS1_3repE0EEENS1_30default_config_static_selectorELNS0_4arch9wavefront6targetE1EEEvT1_
	.globl	_ZN7rocprim17ROCPRIM_400000_NS6detail17trampoline_kernelINS0_14default_configENS1_27scan_by_key_config_selectorIxxEEZZNS1_16scan_by_key_implILNS1_25lookback_scan_determinismE0ELb0ES3_N6thrust23THRUST_200600_302600_NS6detail15normal_iteratorINS9_10device_ptrIxEEEESE_SE_xNS9_4plusIvEENS9_8equal_toIvEExEE10hipError_tPvRmT2_T3_T4_T5_mT6_T7_P12ihipStream_tbENKUlT_T0_E_clISt17integral_constantIbLb1EESY_IbLb0EEEEDaSU_SV_EUlSU_E_NS1_11comp_targetILNS1_3genE9ELNS1_11target_archE1100ELNS1_3gpuE3ELNS1_3repE0EEENS1_30default_config_static_selectorELNS0_4arch9wavefront6targetE1EEEvT1_
	.p2align	8
	.type	_ZN7rocprim17ROCPRIM_400000_NS6detail17trampoline_kernelINS0_14default_configENS1_27scan_by_key_config_selectorIxxEEZZNS1_16scan_by_key_implILNS1_25lookback_scan_determinismE0ELb0ES3_N6thrust23THRUST_200600_302600_NS6detail15normal_iteratorINS9_10device_ptrIxEEEESE_SE_xNS9_4plusIvEENS9_8equal_toIvEExEE10hipError_tPvRmT2_T3_T4_T5_mT6_T7_P12ihipStream_tbENKUlT_T0_E_clISt17integral_constantIbLb1EESY_IbLb0EEEEDaSU_SV_EUlSU_E_NS1_11comp_targetILNS1_3genE9ELNS1_11target_archE1100ELNS1_3gpuE3ELNS1_3repE0EEENS1_30default_config_static_selectorELNS0_4arch9wavefront6targetE1EEEvT1_,@function
_ZN7rocprim17ROCPRIM_400000_NS6detail17trampoline_kernelINS0_14default_configENS1_27scan_by_key_config_selectorIxxEEZZNS1_16scan_by_key_implILNS1_25lookback_scan_determinismE0ELb0ES3_N6thrust23THRUST_200600_302600_NS6detail15normal_iteratorINS9_10device_ptrIxEEEESE_SE_xNS9_4plusIvEENS9_8equal_toIvEExEE10hipError_tPvRmT2_T3_T4_T5_mT6_T7_P12ihipStream_tbENKUlT_T0_E_clISt17integral_constantIbLb1EESY_IbLb0EEEEDaSU_SV_EUlSU_E_NS1_11comp_targetILNS1_3genE9ELNS1_11target_archE1100ELNS1_3gpuE3ELNS1_3repE0EEENS1_30default_config_static_selectorELNS0_4arch9wavefront6targetE1EEEvT1_: ; @_ZN7rocprim17ROCPRIM_400000_NS6detail17trampoline_kernelINS0_14default_configENS1_27scan_by_key_config_selectorIxxEEZZNS1_16scan_by_key_implILNS1_25lookback_scan_determinismE0ELb0ES3_N6thrust23THRUST_200600_302600_NS6detail15normal_iteratorINS9_10device_ptrIxEEEESE_SE_xNS9_4plusIvEENS9_8equal_toIvEExEE10hipError_tPvRmT2_T3_T4_T5_mT6_T7_P12ihipStream_tbENKUlT_T0_E_clISt17integral_constantIbLb1EESY_IbLb0EEEEDaSU_SV_EUlSU_E_NS1_11comp_targetILNS1_3genE9ELNS1_11target_archE1100ELNS1_3gpuE3ELNS1_3repE0EEENS1_30default_config_static_selectorELNS0_4arch9wavefront6targetE1EEEvT1_
; %bb.0:
	.section	.rodata,"a",@progbits
	.p2align	6, 0x0
	.amdhsa_kernel _ZN7rocprim17ROCPRIM_400000_NS6detail17trampoline_kernelINS0_14default_configENS1_27scan_by_key_config_selectorIxxEEZZNS1_16scan_by_key_implILNS1_25lookback_scan_determinismE0ELb0ES3_N6thrust23THRUST_200600_302600_NS6detail15normal_iteratorINS9_10device_ptrIxEEEESE_SE_xNS9_4plusIvEENS9_8equal_toIvEExEE10hipError_tPvRmT2_T3_T4_T5_mT6_T7_P12ihipStream_tbENKUlT_T0_E_clISt17integral_constantIbLb1EESY_IbLb0EEEEDaSU_SV_EUlSU_E_NS1_11comp_targetILNS1_3genE9ELNS1_11target_archE1100ELNS1_3gpuE3ELNS1_3repE0EEENS1_30default_config_static_selectorELNS0_4arch9wavefront6targetE1EEEvT1_
		.amdhsa_group_segment_fixed_size 0
		.amdhsa_private_segment_fixed_size 0
		.amdhsa_kernarg_size 136
		.amdhsa_user_sgpr_count 6
		.amdhsa_user_sgpr_private_segment_buffer 1
		.amdhsa_user_sgpr_dispatch_ptr 0
		.amdhsa_user_sgpr_queue_ptr 0
		.amdhsa_user_sgpr_kernarg_segment_ptr 1
		.amdhsa_user_sgpr_dispatch_id 0
		.amdhsa_user_sgpr_flat_scratch_init 0
		.amdhsa_user_sgpr_kernarg_preload_length 0
		.amdhsa_user_sgpr_kernarg_preload_offset 0
		.amdhsa_user_sgpr_private_segment_size 0
		.amdhsa_uses_dynamic_stack 0
		.amdhsa_system_sgpr_private_segment_wavefront_offset 0
		.amdhsa_system_sgpr_workgroup_id_x 1
		.amdhsa_system_sgpr_workgroup_id_y 0
		.amdhsa_system_sgpr_workgroup_id_z 0
		.amdhsa_system_sgpr_workgroup_info 0
		.amdhsa_system_vgpr_workitem_id 0
		.amdhsa_next_free_vgpr 1
		.amdhsa_next_free_sgpr 0
		.amdhsa_accum_offset 4
		.amdhsa_reserve_vcc 0
		.amdhsa_reserve_flat_scratch 0
		.amdhsa_float_round_mode_32 0
		.amdhsa_float_round_mode_16_64 0
		.amdhsa_float_denorm_mode_32 3
		.amdhsa_float_denorm_mode_16_64 3
		.amdhsa_dx10_clamp 1
		.amdhsa_ieee_mode 1
		.amdhsa_fp16_overflow 0
		.amdhsa_tg_split 0
		.amdhsa_exception_fp_ieee_invalid_op 0
		.amdhsa_exception_fp_denorm_src 0
		.amdhsa_exception_fp_ieee_div_zero 0
		.amdhsa_exception_fp_ieee_overflow 0
		.amdhsa_exception_fp_ieee_underflow 0
		.amdhsa_exception_fp_ieee_inexact 0
		.amdhsa_exception_int_div_zero 0
	.end_amdhsa_kernel
	.section	.text._ZN7rocprim17ROCPRIM_400000_NS6detail17trampoline_kernelINS0_14default_configENS1_27scan_by_key_config_selectorIxxEEZZNS1_16scan_by_key_implILNS1_25lookback_scan_determinismE0ELb0ES3_N6thrust23THRUST_200600_302600_NS6detail15normal_iteratorINS9_10device_ptrIxEEEESE_SE_xNS9_4plusIvEENS9_8equal_toIvEExEE10hipError_tPvRmT2_T3_T4_T5_mT6_T7_P12ihipStream_tbENKUlT_T0_E_clISt17integral_constantIbLb1EESY_IbLb0EEEEDaSU_SV_EUlSU_E_NS1_11comp_targetILNS1_3genE9ELNS1_11target_archE1100ELNS1_3gpuE3ELNS1_3repE0EEENS1_30default_config_static_selectorELNS0_4arch9wavefront6targetE1EEEvT1_,"axG",@progbits,_ZN7rocprim17ROCPRIM_400000_NS6detail17trampoline_kernelINS0_14default_configENS1_27scan_by_key_config_selectorIxxEEZZNS1_16scan_by_key_implILNS1_25lookback_scan_determinismE0ELb0ES3_N6thrust23THRUST_200600_302600_NS6detail15normal_iteratorINS9_10device_ptrIxEEEESE_SE_xNS9_4plusIvEENS9_8equal_toIvEExEE10hipError_tPvRmT2_T3_T4_T5_mT6_T7_P12ihipStream_tbENKUlT_T0_E_clISt17integral_constantIbLb1EESY_IbLb0EEEEDaSU_SV_EUlSU_E_NS1_11comp_targetILNS1_3genE9ELNS1_11target_archE1100ELNS1_3gpuE3ELNS1_3repE0EEENS1_30default_config_static_selectorELNS0_4arch9wavefront6targetE1EEEvT1_,comdat
.Lfunc_end34:
	.size	_ZN7rocprim17ROCPRIM_400000_NS6detail17trampoline_kernelINS0_14default_configENS1_27scan_by_key_config_selectorIxxEEZZNS1_16scan_by_key_implILNS1_25lookback_scan_determinismE0ELb0ES3_N6thrust23THRUST_200600_302600_NS6detail15normal_iteratorINS9_10device_ptrIxEEEESE_SE_xNS9_4plusIvEENS9_8equal_toIvEExEE10hipError_tPvRmT2_T3_T4_T5_mT6_T7_P12ihipStream_tbENKUlT_T0_E_clISt17integral_constantIbLb1EESY_IbLb0EEEEDaSU_SV_EUlSU_E_NS1_11comp_targetILNS1_3genE9ELNS1_11target_archE1100ELNS1_3gpuE3ELNS1_3repE0EEENS1_30default_config_static_selectorELNS0_4arch9wavefront6targetE1EEEvT1_, .Lfunc_end34-_ZN7rocprim17ROCPRIM_400000_NS6detail17trampoline_kernelINS0_14default_configENS1_27scan_by_key_config_selectorIxxEEZZNS1_16scan_by_key_implILNS1_25lookback_scan_determinismE0ELb0ES3_N6thrust23THRUST_200600_302600_NS6detail15normal_iteratorINS9_10device_ptrIxEEEESE_SE_xNS9_4plusIvEENS9_8equal_toIvEExEE10hipError_tPvRmT2_T3_T4_T5_mT6_T7_P12ihipStream_tbENKUlT_T0_E_clISt17integral_constantIbLb1EESY_IbLb0EEEEDaSU_SV_EUlSU_E_NS1_11comp_targetILNS1_3genE9ELNS1_11target_archE1100ELNS1_3gpuE3ELNS1_3repE0EEENS1_30default_config_static_selectorELNS0_4arch9wavefront6targetE1EEEvT1_
                                        ; -- End function
	.section	.AMDGPU.csdata,"",@progbits
; Kernel info:
; codeLenInByte = 0
; NumSgprs: 4
; NumVgprs: 0
; NumAgprs: 0
; TotalNumVgprs: 0
; ScratchSize: 0
; MemoryBound: 0
; FloatMode: 240
; IeeeMode: 1
; LDSByteSize: 0 bytes/workgroup (compile time only)
; SGPRBlocks: 0
; VGPRBlocks: 0
; NumSGPRsForWavesPerEU: 4
; NumVGPRsForWavesPerEU: 1
; AccumOffset: 4
; Occupancy: 8
; WaveLimiterHint : 0
; COMPUTE_PGM_RSRC2:SCRATCH_EN: 0
; COMPUTE_PGM_RSRC2:USER_SGPR: 6
; COMPUTE_PGM_RSRC2:TRAP_HANDLER: 0
; COMPUTE_PGM_RSRC2:TGID_X_EN: 1
; COMPUTE_PGM_RSRC2:TGID_Y_EN: 0
; COMPUTE_PGM_RSRC2:TGID_Z_EN: 0
; COMPUTE_PGM_RSRC2:TIDIG_COMP_CNT: 0
; COMPUTE_PGM_RSRC3_GFX90A:ACCUM_OFFSET: 0
; COMPUTE_PGM_RSRC3_GFX90A:TG_SPLIT: 0
	.section	.text._ZN7rocprim17ROCPRIM_400000_NS6detail17trampoline_kernelINS0_14default_configENS1_27scan_by_key_config_selectorIxxEEZZNS1_16scan_by_key_implILNS1_25lookback_scan_determinismE0ELb0ES3_N6thrust23THRUST_200600_302600_NS6detail15normal_iteratorINS9_10device_ptrIxEEEESE_SE_xNS9_4plusIvEENS9_8equal_toIvEExEE10hipError_tPvRmT2_T3_T4_T5_mT6_T7_P12ihipStream_tbENKUlT_T0_E_clISt17integral_constantIbLb1EESY_IbLb0EEEEDaSU_SV_EUlSU_E_NS1_11comp_targetILNS1_3genE8ELNS1_11target_archE1030ELNS1_3gpuE2ELNS1_3repE0EEENS1_30default_config_static_selectorELNS0_4arch9wavefront6targetE1EEEvT1_,"axG",@progbits,_ZN7rocprim17ROCPRIM_400000_NS6detail17trampoline_kernelINS0_14default_configENS1_27scan_by_key_config_selectorIxxEEZZNS1_16scan_by_key_implILNS1_25lookback_scan_determinismE0ELb0ES3_N6thrust23THRUST_200600_302600_NS6detail15normal_iteratorINS9_10device_ptrIxEEEESE_SE_xNS9_4plusIvEENS9_8equal_toIvEExEE10hipError_tPvRmT2_T3_T4_T5_mT6_T7_P12ihipStream_tbENKUlT_T0_E_clISt17integral_constantIbLb1EESY_IbLb0EEEEDaSU_SV_EUlSU_E_NS1_11comp_targetILNS1_3genE8ELNS1_11target_archE1030ELNS1_3gpuE2ELNS1_3repE0EEENS1_30default_config_static_selectorELNS0_4arch9wavefront6targetE1EEEvT1_,comdat
	.protected	_ZN7rocprim17ROCPRIM_400000_NS6detail17trampoline_kernelINS0_14default_configENS1_27scan_by_key_config_selectorIxxEEZZNS1_16scan_by_key_implILNS1_25lookback_scan_determinismE0ELb0ES3_N6thrust23THRUST_200600_302600_NS6detail15normal_iteratorINS9_10device_ptrIxEEEESE_SE_xNS9_4plusIvEENS9_8equal_toIvEExEE10hipError_tPvRmT2_T3_T4_T5_mT6_T7_P12ihipStream_tbENKUlT_T0_E_clISt17integral_constantIbLb1EESY_IbLb0EEEEDaSU_SV_EUlSU_E_NS1_11comp_targetILNS1_3genE8ELNS1_11target_archE1030ELNS1_3gpuE2ELNS1_3repE0EEENS1_30default_config_static_selectorELNS0_4arch9wavefront6targetE1EEEvT1_ ; -- Begin function _ZN7rocprim17ROCPRIM_400000_NS6detail17trampoline_kernelINS0_14default_configENS1_27scan_by_key_config_selectorIxxEEZZNS1_16scan_by_key_implILNS1_25lookback_scan_determinismE0ELb0ES3_N6thrust23THRUST_200600_302600_NS6detail15normal_iteratorINS9_10device_ptrIxEEEESE_SE_xNS9_4plusIvEENS9_8equal_toIvEExEE10hipError_tPvRmT2_T3_T4_T5_mT6_T7_P12ihipStream_tbENKUlT_T0_E_clISt17integral_constantIbLb1EESY_IbLb0EEEEDaSU_SV_EUlSU_E_NS1_11comp_targetILNS1_3genE8ELNS1_11target_archE1030ELNS1_3gpuE2ELNS1_3repE0EEENS1_30default_config_static_selectorELNS0_4arch9wavefront6targetE1EEEvT1_
	.globl	_ZN7rocprim17ROCPRIM_400000_NS6detail17trampoline_kernelINS0_14default_configENS1_27scan_by_key_config_selectorIxxEEZZNS1_16scan_by_key_implILNS1_25lookback_scan_determinismE0ELb0ES3_N6thrust23THRUST_200600_302600_NS6detail15normal_iteratorINS9_10device_ptrIxEEEESE_SE_xNS9_4plusIvEENS9_8equal_toIvEExEE10hipError_tPvRmT2_T3_T4_T5_mT6_T7_P12ihipStream_tbENKUlT_T0_E_clISt17integral_constantIbLb1EESY_IbLb0EEEEDaSU_SV_EUlSU_E_NS1_11comp_targetILNS1_3genE8ELNS1_11target_archE1030ELNS1_3gpuE2ELNS1_3repE0EEENS1_30default_config_static_selectorELNS0_4arch9wavefront6targetE1EEEvT1_
	.p2align	8
	.type	_ZN7rocprim17ROCPRIM_400000_NS6detail17trampoline_kernelINS0_14default_configENS1_27scan_by_key_config_selectorIxxEEZZNS1_16scan_by_key_implILNS1_25lookback_scan_determinismE0ELb0ES3_N6thrust23THRUST_200600_302600_NS6detail15normal_iteratorINS9_10device_ptrIxEEEESE_SE_xNS9_4plusIvEENS9_8equal_toIvEExEE10hipError_tPvRmT2_T3_T4_T5_mT6_T7_P12ihipStream_tbENKUlT_T0_E_clISt17integral_constantIbLb1EESY_IbLb0EEEEDaSU_SV_EUlSU_E_NS1_11comp_targetILNS1_3genE8ELNS1_11target_archE1030ELNS1_3gpuE2ELNS1_3repE0EEENS1_30default_config_static_selectorELNS0_4arch9wavefront6targetE1EEEvT1_,@function
_ZN7rocprim17ROCPRIM_400000_NS6detail17trampoline_kernelINS0_14default_configENS1_27scan_by_key_config_selectorIxxEEZZNS1_16scan_by_key_implILNS1_25lookback_scan_determinismE0ELb0ES3_N6thrust23THRUST_200600_302600_NS6detail15normal_iteratorINS9_10device_ptrIxEEEESE_SE_xNS9_4plusIvEENS9_8equal_toIvEExEE10hipError_tPvRmT2_T3_T4_T5_mT6_T7_P12ihipStream_tbENKUlT_T0_E_clISt17integral_constantIbLb1EESY_IbLb0EEEEDaSU_SV_EUlSU_E_NS1_11comp_targetILNS1_3genE8ELNS1_11target_archE1030ELNS1_3gpuE2ELNS1_3repE0EEENS1_30default_config_static_selectorELNS0_4arch9wavefront6targetE1EEEvT1_: ; @_ZN7rocprim17ROCPRIM_400000_NS6detail17trampoline_kernelINS0_14default_configENS1_27scan_by_key_config_selectorIxxEEZZNS1_16scan_by_key_implILNS1_25lookback_scan_determinismE0ELb0ES3_N6thrust23THRUST_200600_302600_NS6detail15normal_iteratorINS9_10device_ptrIxEEEESE_SE_xNS9_4plusIvEENS9_8equal_toIvEExEE10hipError_tPvRmT2_T3_T4_T5_mT6_T7_P12ihipStream_tbENKUlT_T0_E_clISt17integral_constantIbLb1EESY_IbLb0EEEEDaSU_SV_EUlSU_E_NS1_11comp_targetILNS1_3genE8ELNS1_11target_archE1030ELNS1_3gpuE2ELNS1_3repE0EEENS1_30default_config_static_selectorELNS0_4arch9wavefront6targetE1EEEvT1_
; %bb.0:
	.section	.rodata,"a",@progbits
	.p2align	6, 0x0
	.amdhsa_kernel _ZN7rocprim17ROCPRIM_400000_NS6detail17trampoline_kernelINS0_14default_configENS1_27scan_by_key_config_selectorIxxEEZZNS1_16scan_by_key_implILNS1_25lookback_scan_determinismE0ELb0ES3_N6thrust23THRUST_200600_302600_NS6detail15normal_iteratorINS9_10device_ptrIxEEEESE_SE_xNS9_4plusIvEENS9_8equal_toIvEExEE10hipError_tPvRmT2_T3_T4_T5_mT6_T7_P12ihipStream_tbENKUlT_T0_E_clISt17integral_constantIbLb1EESY_IbLb0EEEEDaSU_SV_EUlSU_E_NS1_11comp_targetILNS1_3genE8ELNS1_11target_archE1030ELNS1_3gpuE2ELNS1_3repE0EEENS1_30default_config_static_selectorELNS0_4arch9wavefront6targetE1EEEvT1_
		.amdhsa_group_segment_fixed_size 0
		.amdhsa_private_segment_fixed_size 0
		.amdhsa_kernarg_size 136
		.amdhsa_user_sgpr_count 6
		.amdhsa_user_sgpr_private_segment_buffer 1
		.amdhsa_user_sgpr_dispatch_ptr 0
		.amdhsa_user_sgpr_queue_ptr 0
		.amdhsa_user_sgpr_kernarg_segment_ptr 1
		.amdhsa_user_sgpr_dispatch_id 0
		.amdhsa_user_sgpr_flat_scratch_init 0
		.amdhsa_user_sgpr_kernarg_preload_length 0
		.amdhsa_user_sgpr_kernarg_preload_offset 0
		.amdhsa_user_sgpr_private_segment_size 0
		.amdhsa_uses_dynamic_stack 0
		.amdhsa_system_sgpr_private_segment_wavefront_offset 0
		.amdhsa_system_sgpr_workgroup_id_x 1
		.amdhsa_system_sgpr_workgroup_id_y 0
		.amdhsa_system_sgpr_workgroup_id_z 0
		.amdhsa_system_sgpr_workgroup_info 0
		.amdhsa_system_vgpr_workitem_id 0
		.amdhsa_next_free_vgpr 1
		.amdhsa_next_free_sgpr 0
		.amdhsa_accum_offset 4
		.amdhsa_reserve_vcc 0
		.amdhsa_reserve_flat_scratch 0
		.amdhsa_float_round_mode_32 0
		.amdhsa_float_round_mode_16_64 0
		.amdhsa_float_denorm_mode_32 3
		.amdhsa_float_denorm_mode_16_64 3
		.amdhsa_dx10_clamp 1
		.amdhsa_ieee_mode 1
		.amdhsa_fp16_overflow 0
		.amdhsa_tg_split 0
		.amdhsa_exception_fp_ieee_invalid_op 0
		.amdhsa_exception_fp_denorm_src 0
		.amdhsa_exception_fp_ieee_div_zero 0
		.amdhsa_exception_fp_ieee_overflow 0
		.amdhsa_exception_fp_ieee_underflow 0
		.amdhsa_exception_fp_ieee_inexact 0
		.amdhsa_exception_int_div_zero 0
	.end_amdhsa_kernel
	.section	.text._ZN7rocprim17ROCPRIM_400000_NS6detail17trampoline_kernelINS0_14default_configENS1_27scan_by_key_config_selectorIxxEEZZNS1_16scan_by_key_implILNS1_25lookback_scan_determinismE0ELb0ES3_N6thrust23THRUST_200600_302600_NS6detail15normal_iteratorINS9_10device_ptrIxEEEESE_SE_xNS9_4plusIvEENS9_8equal_toIvEExEE10hipError_tPvRmT2_T3_T4_T5_mT6_T7_P12ihipStream_tbENKUlT_T0_E_clISt17integral_constantIbLb1EESY_IbLb0EEEEDaSU_SV_EUlSU_E_NS1_11comp_targetILNS1_3genE8ELNS1_11target_archE1030ELNS1_3gpuE2ELNS1_3repE0EEENS1_30default_config_static_selectorELNS0_4arch9wavefront6targetE1EEEvT1_,"axG",@progbits,_ZN7rocprim17ROCPRIM_400000_NS6detail17trampoline_kernelINS0_14default_configENS1_27scan_by_key_config_selectorIxxEEZZNS1_16scan_by_key_implILNS1_25lookback_scan_determinismE0ELb0ES3_N6thrust23THRUST_200600_302600_NS6detail15normal_iteratorINS9_10device_ptrIxEEEESE_SE_xNS9_4plusIvEENS9_8equal_toIvEExEE10hipError_tPvRmT2_T3_T4_T5_mT6_T7_P12ihipStream_tbENKUlT_T0_E_clISt17integral_constantIbLb1EESY_IbLb0EEEEDaSU_SV_EUlSU_E_NS1_11comp_targetILNS1_3genE8ELNS1_11target_archE1030ELNS1_3gpuE2ELNS1_3repE0EEENS1_30default_config_static_selectorELNS0_4arch9wavefront6targetE1EEEvT1_,comdat
.Lfunc_end35:
	.size	_ZN7rocprim17ROCPRIM_400000_NS6detail17trampoline_kernelINS0_14default_configENS1_27scan_by_key_config_selectorIxxEEZZNS1_16scan_by_key_implILNS1_25lookback_scan_determinismE0ELb0ES3_N6thrust23THRUST_200600_302600_NS6detail15normal_iteratorINS9_10device_ptrIxEEEESE_SE_xNS9_4plusIvEENS9_8equal_toIvEExEE10hipError_tPvRmT2_T3_T4_T5_mT6_T7_P12ihipStream_tbENKUlT_T0_E_clISt17integral_constantIbLb1EESY_IbLb0EEEEDaSU_SV_EUlSU_E_NS1_11comp_targetILNS1_3genE8ELNS1_11target_archE1030ELNS1_3gpuE2ELNS1_3repE0EEENS1_30default_config_static_selectorELNS0_4arch9wavefront6targetE1EEEvT1_, .Lfunc_end35-_ZN7rocprim17ROCPRIM_400000_NS6detail17trampoline_kernelINS0_14default_configENS1_27scan_by_key_config_selectorIxxEEZZNS1_16scan_by_key_implILNS1_25lookback_scan_determinismE0ELb0ES3_N6thrust23THRUST_200600_302600_NS6detail15normal_iteratorINS9_10device_ptrIxEEEESE_SE_xNS9_4plusIvEENS9_8equal_toIvEExEE10hipError_tPvRmT2_T3_T4_T5_mT6_T7_P12ihipStream_tbENKUlT_T0_E_clISt17integral_constantIbLb1EESY_IbLb0EEEEDaSU_SV_EUlSU_E_NS1_11comp_targetILNS1_3genE8ELNS1_11target_archE1030ELNS1_3gpuE2ELNS1_3repE0EEENS1_30default_config_static_selectorELNS0_4arch9wavefront6targetE1EEEvT1_
                                        ; -- End function
	.section	.AMDGPU.csdata,"",@progbits
; Kernel info:
; codeLenInByte = 0
; NumSgprs: 4
; NumVgprs: 0
; NumAgprs: 0
; TotalNumVgprs: 0
; ScratchSize: 0
; MemoryBound: 0
; FloatMode: 240
; IeeeMode: 1
; LDSByteSize: 0 bytes/workgroup (compile time only)
; SGPRBlocks: 0
; VGPRBlocks: 0
; NumSGPRsForWavesPerEU: 4
; NumVGPRsForWavesPerEU: 1
; AccumOffset: 4
; Occupancy: 8
; WaveLimiterHint : 0
; COMPUTE_PGM_RSRC2:SCRATCH_EN: 0
; COMPUTE_PGM_RSRC2:USER_SGPR: 6
; COMPUTE_PGM_RSRC2:TRAP_HANDLER: 0
; COMPUTE_PGM_RSRC2:TGID_X_EN: 1
; COMPUTE_PGM_RSRC2:TGID_Y_EN: 0
; COMPUTE_PGM_RSRC2:TGID_Z_EN: 0
; COMPUTE_PGM_RSRC2:TIDIG_COMP_CNT: 0
; COMPUTE_PGM_RSRC3_GFX90A:ACCUM_OFFSET: 0
; COMPUTE_PGM_RSRC3_GFX90A:TG_SPLIT: 0
	.section	.text._ZN7rocprim17ROCPRIM_400000_NS6detail30init_device_scan_by_key_kernelINS1_19lookback_scan_stateINS0_5tupleIJxbEEELb0ELb0EEEN6thrust23THRUST_200600_302600_NS6detail15normal_iteratorINS8_10device_ptrIxEEEEjNS1_16block_id_wrapperIjLb1EEEEEvT_jjPNSG_10value_typeET0_PNSt15iterator_traitsISJ_E10value_typeEmT1_T2_,"axG",@progbits,_ZN7rocprim17ROCPRIM_400000_NS6detail30init_device_scan_by_key_kernelINS1_19lookback_scan_stateINS0_5tupleIJxbEEELb0ELb0EEEN6thrust23THRUST_200600_302600_NS6detail15normal_iteratorINS8_10device_ptrIxEEEEjNS1_16block_id_wrapperIjLb1EEEEEvT_jjPNSG_10value_typeET0_PNSt15iterator_traitsISJ_E10value_typeEmT1_T2_,comdat
	.protected	_ZN7rocprim17ROCPRIM_400000_NS6detail30init_device_scan_by_key_kernelINS1_19lookback_scan_stateINS0_5tupleIJxbEEELb0ELb0EEEN6thrust23THRUST_200600_302600_NS6detail15normal_iteratorINS8_10device_ptrIxEEEEjNS1_16block_id_wrapperIjLb1EEEEEvT_jjPNSG_10value_typeET0_PNSt15iterator_traitsISJ_E10value_typeEmT1_T2_ ; -- Begin function _ZN7rocprim17ROCPRIM_400000_NS6detail30init_device_scan_by_key_kernelINS1_19lookback_scan_stateINS0_5tupleIJxbEEELb0ELb0EEEN6thrust23THRUST_200600_302600_NS6detail15normal_iteratorINS8_10device_ptrIxEEEEjNS1_16block_id_wrapperIjLb1EEEEEvT_jjPNSG_10value_typeET0_PNSt15iterator_traitsISJ_E10value_typeEmT1_T2_
	.globl	_ZN7rocprim17ROCPRIM_400000_NS6detail30init_device_scan_by_key_kernelINS1_19lookback_scan_stateINS0_5tupleIJxbEEELb0ELb0EEEN6thrust23THRUST_200600_302600_NS6detail15normal_iteratorINS8_10device_ptrIxEEEEjNS1_16block_id_wrapperIjLb1EEEEEvT_jjPNSG_10value_typeET0_PNSt15iterator_traitsISJ_E10value_typeEmT1_T2_
	.p2align	8
	.type	_ZN7rocprim17ROCPRIM_400000_NS6detail30init_device_scan_by_key_kernelINS1_19lookback_scan_stateINS0_5tupleIJxbEEELb0ELb0EEEN6thrust23THRUST_200600_302600_NS6detail15normal_iteratorINS8_10device_ptrIxEEEEjNS1_16block_id_wrapperIjLb1EEEEEvT_jjPNSG_10value_typeET0_PNSt15iterator_traitsISJ_E10value_typeEmT1_T2_,@function
_ZN7rocprim17ROCPRIM_400000_NS6detail30init_device_scan_by_key_kernelINS1_19lookback_scan_stateINS0_5tupleIJxbEEELb0ELb0EEEN6thrust23THRUST_200600_302600_NS6detail15normal_iteratorINS8_10device_ptrIxEEEEjNS1_16block_id_wrapperIjLb1EEEEEvT_jjPNSG_10value_typeET0_PNSt15iterator_traitsISJ_E10value_typeEmT1_T2_: ; @_ZN7rocprim17ROCPRIM_400000_NS6detail30init_device_scan_by_key_kernelINS1_19lookback_scan_stateINS0_5tupleIJxbEEELb0ELb0EEEN6thrust23THRUST_200600_302600_NS6detail15normal_iteratorINS8_10device_ptrIxEEEEjNS1_16block_id_wrapperIjLb1EEEEEvT_jjPNSG_10value_typeET0_PNSt15iterator_traitsISJ_E10value_typeEmT1_T2_
; %bb.0:
	s_load_dword s0, s[4:5], 0x5c
	s_load_dwordx8 s[8:15], s[4:5], 0x10
	s_load_dword s20, s[4:5], 0x50
	s_waitcnt lgkmcnt(0)
	s_and_b32 s21, s0, 0xffff
	s_mul_i32 s6, s6, s21
	s_cmp_eq_u64 s[12:13], 0
	v_add_u32_e32 v0, s6, v0
	s_cbranch_scc1 .LBB36_7
; %bb.1:
	s_cmp_lt_u32 s11, s10
	s_cselect_b32 s0, s11, 0
	s_mov_b32 s17, 0
	v_cmp_eq_u32_e32 vcc, s0, v0
	s_and_saveexec_b64 s[6:7], vcc
	s_cbranch_execz .LBB36_6
; %bb.2:
	s_add_i32 s16, s11, 64
	v_mov_b32_e32 v1, s16
	global_load_ubyte v1, v1, s[8:9] glc
	s_load_dwordx4 s[0:3], s[4:5], 0x0
	s_add_u32 s18, s8, s16
	s_addc_u32 s19, s9, 0
	s_waitcnt vmcnt(0)
	v_cmp_ne_u16_e32 vcc, 0, v1
	v_readfirstlane_b32 s11, v1
	s_cbranch_vccnz .LBB36_5
; %bb.3:
	v_mov_b32_e32 v1, 0
.LBB36_4:                               ; =>This Inner Loop Header: Depth=1
	global_load_ubyte v2, v1, s[18:19] glc
	s_waitcnt vmcnt(0)
	v_cmp_eq_u16_e32 vcc, 0, v2
	v_readfirstlane_b32 s11, v2
	s_cbranch_vccnz .LBB36_4
.LBB36_5:
	s_and_b32 s11, 0xffff, s11
	s_cmp_eq_u32 s11, 1
	s_waitcnt lgkmcnt(0)
	s_cselect_b32 s3, s1, s3
	s_cselect_b32 s2, s0, s2
	s_lshl_b64 s[0:1], s[16:17], 4
	s_add_u32 s0, s2, s0
	s_addc_u32 s1, s3, s1
	v_mov_b32_e32 v1, 0
	buffer_wbinvl1_vol
	global_load_dwordx2 v[2:3], v1, s[0:1]
	global_load_ubyte v4, v1, s[0:1] offset:8
	s_waitcnt vmcnt(1)
	global_store_dwordx2 v1, v[2:3], s[12:13]
	s_waitcnt vmcnt(1)
	global_store_byte v1, v4, s[12:13] offset:8
.LBB36_6:
	s_or_b64 exec, exec, s[6:7]
.LBB36_7:
	v_cmp_eq_u32_e32 vcc, 0, v0
	s_and_saveexec_b64 s[0:1], vcc
	s_cbranch_execz .LBB36_9
; %bb.8:
	s_load_dwordx2 s[2:3], s[4:5], 0x48
	v_mov_b32_e32 v1, 0
	s_waitcnt lgkmcnt(0)
	global_store_dword v1, v1, s[2:3]
.LBB36_9:
	s_or_b64 exec, exec, s[0:1]
	v_cmp_gt_u32_e32 vcc, s10, v0
	s_and_saveexec_b64 s[0:1], vcc
	s_cbranch_execz .LBB36_11
; %bb.10:
	v_add_u32_e32 v1, 64, v0
	v_mov_b32_e32 v2, 0
	global_store_byte v1, v2, s[8:9]
.LBB36_11:
	s_or_b64 exec, exec, s[0:1]
	v_cmp_gt_u32_e32 vcc, 64, v0
	v_mov_b32_e32 v1, 0
	s_and_saveexec_b64 s[0:1], vcc
	s_cbranch_execz .LBB36_13
; %bb.12:
	v_mov_b32_e32 v3, s9
	v_add_co_u32_e32 v2, vcc, s8, v0
	v_addc_co_u32_e32 v3, vcc, 0, v3, vcc
	v_mov_b32_e32 v4, 0xff
	global_store_byte v[2:3], v4, off
.LBB36_13:
	s_or_b64 exec, exec, s[0:1]
	s_load_dwordx2 s[0:1], s[4:5], 0x38
	s_waitcnt lgkmcnt(0)
	v_cmp_gt_u64_e32 vcc, s[0:1], v[0:1]
	s_and_saveexec_b64 s[2:3], vcc
	s_cbranch_execz .LBB36_16
; %bb.14:
	s_load_dword s10, s[4:5], 0x40
	s_load_dwordx2 s[6:7], s[4:5], 0x30
	s_mov_b32 s5, 0
	s_mov_b32 s3, s5
	s_mul_i32 s2, s20, s21
	s_waitcnt lgkmcnt(0)
	s_add_i32 s4, s10, -1
	s_lshl_b64 s[4:5], s[4:5], 3
	v_mad_u64_u32 v[2:3], s[8:9], s10, v0, 0
	s_add_u32 s4, s14, s4
	v_lshlrev_b64 v[2:3], 3, v[2:3]
	s_addc_u32 s5, s15, s5
	v_mov_b32_e32 v4, s5
	v_add_co_u32_e32 v2, vcc, s4, v2
	v_addc_co_u32_e32 v3, vcc, v4, v3, vcc
	s_mul_hi_u32 s5, s10, s2
	s_mul_i32 s4, s10, s2
	v_lshlrev_b64 v[4:5], 3, v[0:1]
	s_lshl_b64 s[4:5], s[4:5], 3
	v_mov_b32_e32 v6, s7
	v_add_co_u32_e32 v4, vcc, s6, v4
	s_lshl_b64 s[6:7], s[2:3], 3
	v_addc_co_u32_e32 v5, vcc, v6, v5, vcc
	s_mov_b64 s[8:9], 0
	v_mov_b32_e32 v6, s3
	v_mov_b32_e32 v7, s5
	;; [unrolled: 1-line block ×3, first 2 shown]
.LBB36_15:                              ; =>This Inner Loop Header: Depth=1
	global_load_dwordx2 v[10:11], v[2:3], off
	v_add_co_u32_e32 v0, vcc, s2, v0
	v_addc_co_u32_e32 v1, vcc, v1, v6, vcc
	v_add_co_u32_e32 v2, vcc, s4, v2
	v_addc_co_u32_e32 v3, vcc, v3, v7, vcc
	v_cmp_le_u64_e32 vcc, s[0:1], v[0:1]
	s_or_b64 s[8:9], vcc, s[8:9]
	s_waitcnt vmcnt(0)
	global_store_dwordx2 v[4:5], v[10:11], off
	v_add_co_u32_e32 v4, vcc, s6, v4
	v_addc_co_u32_e32 v5, vcc, v5, v8, vcc
	s_andn2_b64 exec, exec, s[8:9]
	s_cbranch_execnz .LBB36_15
.LBB36_16:
	s_endpgm
	.section	.rodata,"a",@progbits
	.p2align	6, 0x0
	.amdhsa_kernel _ZN7rocprim17ROCPRIM_400000_NS6detail30init_device_scan_by_key_kernelINS1_19lookback_scan_stateINS0_5tupleIJxbEEELb0ELb0EEEN6thrust23THRUST_200600_302600_NS6detail15normal_iteratorINS8_10device_ptrIxEEEEjNS1_16block_id_wrapperIjLb1EEEEEvT_jjPNSG_10value_typeET0_PNSt15iterator_traitsISJ_E10value_typeEmT1_T2_
		.amdhsa_group_segment_fixed_size 0
		.amdhsa_private_segment_fixed_size 0
		.amdhsa_kernarg_size 336
		.amdhsa_user_sgpr_count 6
		.amdhsa_user_sgpr_private_segment_buffer 1
		.amdhsa_user_sgpr_dispatch_ptr 0
		.amdhsa_user_sgpr_queue_ptr 0
		.amdhsa_user_sgpr_kernarg_segment_ptr 1
		.amdhsa_user_sgpr_dispatch_id 0
		.amdhsa_user_sgpr_flat_scratch_init 0
		.amdhsa_user_sgpr_kernarg_preload_length 0
		.amdhsa_user_sgpr_kernarg_preload_offset 0
		.amdhsa_user_sgpr_private_segment_size 0
		.amdhsa_uses_dynamic_stack 0
		.amdhsa_system_sgpr_private_segment_wavefront_offset 0
		.amdhsa_system_sgpr_workgroup_id_x 1
		.amdhsa_system_sgpr_workgroup_id_y 0
		.amdhsa_system_sgpr_workgroup_id_z 0
		.amdhsa_system_sgpr_workgroup_info 0
		.amdhsa_system_vgpr_workitem_id 0
		.amdhsa_next_free_vgpr 12
		.amdhsa_next_free_sgpr 22
		.amdhsa_accum_offset 12
		.amdhsa_reserve_vcc 1
		.amdhsa_reserve_flat_scratch 0
		.amdhsa_float_round_mode_32 0
		.amdhsa_float_round_mode_16_64 0
		.amdhsa_float_denorm_mode_32 3
		.amdhsa_float_denorm_mode_16_64 3
		.amdhsa_dx10_clamp 1
		.amdhsa_ieee_mode 1
		.amdhsa_fp16_overflow 0
		.amdhsa_tg_split 0
		.amdhsa_exception_fp_ieee_invalid_op 0
		.amdhsa_exception_fp_denorm_src 0
		.amdhsa_exception_fp_ieee_div_zero 0
		.amdhsa_exception_fp_ieee_overflow 0
		.amdhsa_exception_fp_ieee_underflow 0
		.amdhsa_exception_fp_ieee_inexact 0
		.amdhsa_exception_int_div_zero 0
	.end_amdhsa_kernel
	.section	.text._ZN7rocprim17ROCPRIM_400000_NS6detail30init_device_scan_by_key_kernelINS1_19lookback_scan_stateINS0_5tupleIJxbEEELb0ELb0EEEN6thrust23THRUST_200600_302600_NS6detail15normal_iteratorINS8_10device_ptrIxEEEEjNS1_16block_id_wrapperIjLb1EEEEEvT_jjPNSG_10value_typeET0_PNSt15iterator_traitsISJ_E10value_typeEmT1_T2_,"axG",@progbits,_ZN7rocprim17ROCPRIM_400000_NS6detail30init_device_scan_by_key_kernelINS1_19lookback_scan_stateINS0_5tupleIJxbEEELb0ELb0EEEN6thrust23THRUST_200600_302600_NS6detail15normal_iteratorINS8_10device_ptrIxEEEEjNS1_16block_id_wrapperIjLb1EEEEEvT_jjPNSG_10value_typeET0_PNSt15iterator_traitsISJ_E10value_typeEmT1_T2_,comdat
.Lfunc_end36:
	.size	_ZN7rocprim17ROCPRIM_400000_NS6detail30init_device_scan_by_key_kernelINS1_19lookback_scan_stateINS0_5tupleIJxbEEELb0ELb0EEEN6thrust23THRUST_200600_302600_NS6detail15normal_iteratorINS8_10device_ptrIxEEEEjNS1_16block_id_wrapperIjLb1EEEEEvT_jjPNSG_10value_typeET0_PNSt15iterator_traitsISJ_E10value_typeEmT1_T2_, .Lfunc_end36-_ZN7rocprim17ROCPRIM_400000_NS6detail30init_device_scan_by_key_kernelINS1_19lookback_scan_stateINS0_5tupleIJxbEEELb0ELb0EEEN6thrust23THRUST_200600_302600_NS6detail15normal_iteratorINS8_10device_ptrIxEEEEjNS1_16block_id_wrapperIjLb1EEEEEvT_jjPNSG_10value_typeET0_PNSt15iterator_traitsISJ_E10value_typeEmT1_T2_
                                        ; -- End function
	.section	.AMDGPU.csdata,"",@progbits
; Kernel info:
; codeLenInByte = 580
; NumSgprs: 26
; NumVgprs: 12
; NumAgprs: 0
; TotalNumVgprs: 12
; ScratchSize: 0
; MemoryBound: 0
; FloatMode: 240
; IeeeMode: 1
; LDSByteSize: 0 bytes/workgroup (compile time only)
; SGPRBlocks: 3
; VGPRBlocks: 1
; NumSGPRsForWavesPerEU: 26
; NumVGPRsForWavesPerEU: 12
; AccumOffset: 12
; Occupancy: 8
; WaveLimiterHint : 0
; COMPUTE_PGM_RSRC2:SCRATCH_EN: 0
; COMPUTE_PGM_RSRC2:USER_SGPR: 6
; COMPUTE_PGM_RSRC2:TRAP_HANDLER: 0
; COMPUTE_PGM_RSRC2:TGID_X_EN: 1
; COMPUTE_PGM_RSRC2:TGID_Y_EN: 0
; COMPUTE_PGM_RSRC2:TGID_Z_EN: 0
; COMPUTE_PGM_RSRC2:TIDIG_COMP_CNT: 0
; COMPUTE_PGM_RSRC3_GFX90A:ACCUM_OFFSET: 2
; COMPUTE_PGM_RSRC3_GFX90A:TG_SPLIT: 0
	.section	.text._ZN7rocprim17ROCPRIM_400000_NS6detail30init_device_scan_by_key_kernelINS1_19lookback_scan_stateINS0_5tupleIJxbEEELb0ELb0EEENS1_16block_id_wrapperIjLb1EEEEEvT_jjPNS9_10value_typeET0_,"axG",@progbits,_ZN7rocprim17ROCPRIM_400000_NS6detail30init_device_scan_by_key_kernelINS1_19lookback_scan_stateINS0_5tupleIJxbEEELb0ELb0EEENS1_16block_id_wrapperIjLb1EEEEEvT_jjPNS9_10value_typeET0_,comdat
	.protected	_ZN7rocprim17ROCPRIM_400000_NS6detail30init_device_scan_by_key_kernelINS1_19lookback_scan_stateINS0_5tupleIJxbEEELb0ELb0EEENS1_16block_id_wrapperIjLb1EEEEEvT_jjPNS9_10value_typeET0_ ; -- Begin function _ZN7rocprim17ROCPRIM_400000_NS6detail30init_device_scan_by_key_kernelINS1_19lookback_scan_stateINS0_5tupleIJxbEEELb0ELb0EEENS1_16block_id_wrapperIjLb1EEEEEvT_jjPNS9_10value_typeET0_
	.globl	_ZN7rocprim17ROCPRIM_400000_NS6detail30init_device_scan_by_key_kernelINS1_19lookback_scan_stateINS0_5tupleIJxbEEELb0ELb0EEENS1_16block_id_wrapperIjLb1EEEEEvT_jjPNS9_10value_typeET0_
	.p2align	8
	.type	_ZN7rocprim17ROCPRIM_400000_NS6detail30init_device_scan_by_key_kernelINS1_19lookback_scan_stateINS0_5tupleIJxbEEELb0ELb0EEENS1_16block_id_wrapperIjLb1EEEEEvT_jjPNS9_10value_typeET0_,@function
_ZN7rocprim17ROCPRIM_400000_NS6detail30init_device_scan_by_key_kernelINS1_19lookback_scan_stateINS0_5tupleIJxbEEELb0ELb0EEENS1_16block_id_wrapperIjLb1EEEEEvT_jjPNS9_10value_typeET0_: ; @_ZN7rocprim17ROCPRIM_400000_NS6detail30init_device_scan_by_key_kernelINS1_19lookback_scan_stateINS0_5tupleIJxbEEELb0ELb0EEENS1_16block_id_wrapperIjLb1EEEEEvT_jjPNS9_10value_typeET0_
; %bb.0:
	s_load_dword s0, s[4:5], 0x3c
	s_load_dwordx8 s[8:15], s[4:5], 0x10
	s_waitcnt lgkmcnt(0)
	s_and_b32 s0, s0, 0xffff
	s_mul_i32 s6, s6, s0
	s_cmp_eq_u64 s[12:13], 0
	v_add_u32_e32 v0, s6, v0
	s_cbranch_scc1 .LBB37_7
; %bb.1:
	s_cmp_lt_u32 s11, s10
	s_cselect_b32 s0, s11, 0
	s_mov_b32 s17, 0
	v_cmp_eq_u32_e32 vcc, s0, v0
	s_and_saveexec_b64 s[6:7], vcc
	s_cbranch_execz .LBB37_6
; %bb.2:
	s_add_i32 s16, s11, 64
	v_mov_b32_e32 v1, s16
	global_load_ubyte v1, v1, s[8:9] glc
	s_load_dwordx4 s[0:3], s[4:5], 0x0
	s_add_u32 s4, s8, s16
	s_addc_u32 s5, s9, 0
	s_waitcnt vmcnt(0)
	v_cmp_ne_u16_e32 vcc, 0, v1
	v_readfirstlane_b32 s11, v1
	s_cbranch_vccnz .LBB37_5
; %bb.3:
	v_mov_b32_e32 v1, 0
.LBB37_4:                               ; =>This Inner Loop Header: Depth=1
	global_load_ubyte v2, v1, s[4:5] glc
	s_waitcnt vmcnt(0)
	v_cmp_eq_u16_e32 vcc, 0, v2
	v_readfirstlane_b32 s11, v2
	s_cbranch_vccnz .LBB37_4
.LBB37_5:
	s_and_b32 s4, 0xffff, s11
	s_cmp_eq_u32 s4, 1
	s_waitcnt lgkmcnt(0)
	s_cselect_b32 s3, s1, s3
	s_cselect_b32 s2, s0, s2
	s_lshl_b64 s[0:1], s[16:17], 4
	s_add_u32 s0, s2, s0
	s_addc_u32 s1, s3, s1
	v_mov_b32_e32 v1, 0
	buffer_wbinvl1_vol
	global_load_dwordx2 v[2:3], v1, s[0:1]
	global_load_ubyte v4, v1, s[0:1] offset:8
	s_waitcnt vmcnt(1)
	global_store_dwordx2 v1, v[2:3], s[12:13]
	s_waitcnt vmcnt(1)
	global_store_byte v1, v4, s[12:13] offset:8
.LBB37_6:
	s_or_b64 exec, exec, s[6:7]
.LBB37_7:
	v_cmp_eq_u32_e32 vcc, 0, v0
	s_and_saveexec_b64 s[0:1], vcc
	s_cbranch_execnz .LBB37_11
; %bb.8:
	s_or_b64 exec, exec, s[0:1]
	v_cmp_gt_u32_e32 vcc, s10, v0
	s_and_saveexec_b64 s[0:1], vcc
	s_cbranch_execnz .LBB37_12
.LBB37_9:
	s_or_b64 exec, exec, s[0:1]
	v_cmp_gt_u32_e32 vcc, 64, v0
	s_and_saveexec_b64 s[0:1], vcc
	s_cbranch_execnz .LBB37_13
.LBB37_10:
	s_endpgm
.LBB37_11:
	v_mov_b32_e32 v1, 0
	global_store_dword v1, v1, s[14:15]
	s_or_b64 exec, exec, s[0:1]
	v_cmp_gt_u32_e32 vcc, s10, v0
	s_and_saveexec_b64 s[0:1], vcc
	s_cbranch_execz .LBB37_9
.LBB37_12:
	v_add_u32_e32 v1, 64, v0
	v_mov_b32_e32 v2, 0
	global_store_byte v1, v2, s[8:9]
	s_or_b64 exec, exec, s[0:1]
	v_cmp_gt_u32_e32 vcc, 64, v0
	s_and_saveexec_b64 s[0:1], vcc
	s_cbranch_execz .LBB37_10
.LBB37_13:
	v_mov_b32_e32 v1, 0xff
	global_store_byte v0, v1, s[8:9]
	s_endpgm
	.section	.rodata,"a",@progbits
	.p2align	6, 0x0
	.amdhsa_kernel _ZN7rocprim17ROCPRIM_400000_NS6detail30init_device_scan_by_key_kernelINS1_19lookback_scan_stateINS0_5tupleIJxbEEELb0ELb0EEENS1_16block_id_wrapperIjLb1EEEEEvT_jjPNS9_10value_typeET0_
		.amdhsa_group_segment_fixed_size 0
		.amdhsa_private_segment_fixed_size 0
		.amdhsa_kernarg_size 304
		.amdhsa_user_sgpr_count 6
		.amdhsa_user_sgpr_private_segment_buffer 1
		.amdhsa_user_sgpr_dispatch_ptr 0
		.amdhsa_user_sgpr_queue_ptr 0
		.amdhsa_user_sgpr_kernarg_segment_ptr 1
		.amdhsa_user_sgpr_dispatch_id 0
		.amdhsa_user_sgpr_flat_scratch_init 0
		.amdhsa_user_sgpr_kernarg_preload_length 0
		.amdhsa_user_sgpr_kernarg_preload_offset 0
		.amdhsa_user_sgpr_private_segment_size 0
		.amdhsa_uses_dynamic_stack 0
		.amdhsa_system_sgpr_private_segment_wavefront_offset 0
		.amdhsa_system_sgpr_workgroup_id_x 1
		.amdhsa_system_sgpr_workgroup_id_y 0
		.amdhsa_system_sgpr_workgroup_id_z 0
		.amdhsa_system_sgpr_workgroup_info 0
		.amdhsa_system_vgpr_workitem_id 0
		.amdhsa_next_free_vgpr 5
		.amdhsa_next_free_sgpr 18
		.amdhsa_accum_offset 8
		.amdhsa_reserve_vcc 1
		.amdhsa_reserve_flat_scratch 0
		.amdhsa_float_round_mode_32 0
		.amdhsa_float_round_mode_16_64 0
		.amdhsa_float_denorm_mode_32 3
		.amdhsa_float_denorm_mode_16_64 3
		.amdhsa_dx10_clamp 1
		.amdhsa_ieee_mode 1
		.amdhsa_fp16_overflow 0
		.amdhsa_tg_split 0
		.amdhsa_exception_fp_ieee_invalid_op 0
		.amdhsa_exception_fp_denorm_src 0
		.amdhsa_exception_fp_ieee_div_zero 0
		.amdhsa_exception_fp_ieee_overflow 0
		.amdhsa_exception_fp_ieee_underflow 0
		.amdhsa_exception_fp_ieee_inexact 0
		.amdhsa_exception_int_div_zero 0
	.end_amdhsa_kernel
	.section	.text._ZN7rocprim17ROCPRIM_400000_NS6detail30init_device_scan_by_key_kernelINS1_19lookback_scan_stateINS0_5tupleIJxbEEELb0ELb0EEENS1_16block_id_wrapperIjLb1EEEEEvT_jjPNS9_10value_typeET0_,"axG",@progbits,_ZN7rocprim17ROCPRIM_400000_NS6detail30init_device_scan_by_key_kernelINS1_19lookback_scan_stateINS0_5tupleIJxbEEELb0ELb0EEENS1_16block_id_wrapperIjLb1EEEEEvT_jjPNS9_10value_typeET0_,comdat
.Lfunc_end37:
	.size	_ZN7rocprim17ROCPRIM_400000_NS6detail30init_device_scan_by_key_kernelINS1_19lookback_scan_stateINS0_5tupleIJxbEEELb0ELb0EEENS1_16block_id_wrapperIjLb1EEEEEvT_jjPNS9_10value_typeET0_, .Lfunc_end37-_ZN7rocprim17ROCPRIM_400000_NS6detail30init_device_scan_by_key_kernelINS1_19lookback_scan_stateINS0_5tupleIJxbEEELb0ELb0EEENS1_16block_id_wrapperIjLb1EEEEEvT_jjPNS9_10value_typeET0_
                                        ; -- End function
	.section	.AMDGPU.csdata,"",@progbits
; Kernel info:
; codeLenInByte = 364
; NumSgprs: 22
; NumVgprs: 5
; NumAgprs: 0
; TotalNumVgprs: 5
; ScratchSize: 0
; MemoryBound: 0
; FloatMode: 240
; IeeeMode: 1
; LDSByteSize: 0 bytes/workgroup (compile time only)
; SGPRBlocks: 2
; VGPRBlocks: 0
; NumSGPRsForWavesPerEU: 22
; NumVGPRsForWavesPerEU: 5
; AccumOffset: 8
; Occupancy: 8
; WaveLimiterHint : 0
; COMPUTE_PGM_RSRC2:SCRATCH_EN: 0
; COMPUTE_PGM_RSRC2:USER_SGPR: 6
; COMPUTE_PGM_RSRC2:TRAP_HANDLER: 0
; COMPUTE_PGM_RSRC2:TGID_X_EN: 1
; COMPUTE_PGM_RSRC2:TGID_Y_EN: 0
; COMPUTE_PGM_RSRC2:TGID_Z_EN: 0
; COMPUTE_PGM_RSRC2:TIDIG_COMP_CNT: 0
; COMPUTE_PGM_RSRC3_GFX90A:ACCUM_OFFSET: 1
; COMPUTE_PGM_RSRC3_GFX90A:TG_SPLIT: 0
	.section	.text._ZN7rocprim17ROCPRIM_400000_NS6detail17trampoline_kernelINS0_14default_configENS1_27scan_by_key_config_selectorIxxEEZZNS1_16scan_by_key_implILNS1_25lookback_scan_determinismE0ELb0ES3_N6thrust23THRUST_200600_302600_NS6detail15normal_iteratorINS9_10device_ptrIxEEEESE_SE_xNS9_4plusIvEENS9_8equal_toIvEExEE10hipError_tPvRmT2_T3_T4_T5_mT6_T7_P12ihipStream_tbENKUlT_T0_E_clISt17integral_constantIbLb0EESY_IbLb1EEEEDaSU_SV_EUlSU_E_NS1_11comp_targetILNS1_3genE0ELNS1_11target_archE4294967295ELNS1_3gpuE0ELNS1_3repE0EEENS1_30default_config_static_selectorELNS0_4arch9wavefront6targetE1EEEvT1_,"axG",@progbits,_ZN7rocprim17ROCPRIM_400000_NS6detail17trampoline_kernelINS0_14default_configENS1_27scan_by_key_config_selectorIxxEEZZNS1_16scan_by_key_implILNS1_25lookback_scan_determinismE0ELb0ES3_N6thrust23THRUST_200600_302600_NS6detail15normal_iteratorINS9_10device_ptrIxEEEESE_SE_xNS9_4plusIvEENS9_8equal_toIvEExEE10hipError_tPvRmT2_T3_T4_T5_mT6_T7_P12ihipStream_tbENKUlT_T0_E_clISt17integral_constantIbLb0EESY_IbLb1EEEEDaSU_SV_EUlSU_E_NS1_11comp_targetILNS1_3genE0ELNS1_11target_archE4294967295ELNS1_3gpuE0ELNS1_3repE0EEENS1_30default_config_static_selectorELNS0_4arch9wavefront6targetE1EEEvT1_,comdat
	.protected	_ZN7rocprim17ROCPRIM_400000_NS6detail17trampoline_kernelINS0_14default_configENS1_27scan_by_key_config_selectorIxxEEZZNS1_16scan_by_key_implILNS1_25lookback_scan_determinismE0ELb0ES3_N6thrust23THRUST_200600_302600_NS6detail15normal_iteratorINS9_10device_ptrIxEEEESE_SE_xNS9_4plusIvEENS9_8equal_toIvEExEE10hipError_tPvRmT2_T3_T4_T5_mT6_T7_P12ihipStream_tbENKUlT_T0_E_clISt17integral_constantIbLb0EESY_IbLb1EEEEDaSU_SV_EUlSU_E_NS1_11comp_targetILNS1_3genE0ELNS1_11target_archE4294967295ELNS1_3gpuE0ELNS1_3repE0EEENS1_30default_config_static_selectorELNS0_4arch9wavefront6targetE1EEEvT1_ ; -- Begin function _ZN7rocprim17ROCPRIM_400000_NS6detail17trampoline_kernelINS0_14default_configENS1_27scan_by_key_config_selectorIxxEEZZNS1_16scan_by_key_implILNS1_25lookback_scan_determinismE0ELb0ES3_N6thrust23THRUST_200600_302600_NS6detail15normal_iteratorINS9_10device_ptrIxEEEESE_SE_xNS9_4plusIvEENS9_8equal_toIvEExEE10hipError_tPvRmT2_T3_T4_T5_mT6_T7_P12ihipStream_tbENKUlT_T0_E_clISt17integral_constantIbLb0EESY_IbLb1EEEEDaSU_SV_EUlSU_E_NS1_11comp_targetILNS1_3genE0ELNS1_11target_archE4294967295ELNS1_3gpuE0ELNS1_3repE0EEENS1_30default_config_static_selectorELNS0_4arch9wavefront6targetE1EEEvT1_
	.globl	_ZN7rocprim17ROCPRIM_400000_NS6detail17trampoline_kernelINS0_14default_configENS1_27scan_by_key_config_selectorIxxEEZZNS1_16scan_by_key_implILNS1_25lookback_scan_determinismE0ELb0ES3_N6thrust23THRUST_200600_302600_NS6detail15normal_iteratorINS9_10device_ptrIxEEEESE_SE_xNS9_4plusIvEENS9_8equal_toIvEExEE10hipError_tPvRmT2_T3_T4_T5_mT6_T7_P12ihipStream_tbENKUlT_T0_E_clISt17integral_constantIbLb0EESY_IbLb1EEEEDaSU_SV_EUlSU_E_NS1_11comp_targetILNS1_3genE0ELNS1_11target_archE4294967295ELNS1_3gpuE0ELNS1_3repE0EEENS1_30default_config_static_selectorELNS0_4arch9wavefront6targetE1EEEvT1_
	.p2align	8
	.type	_ZN7rocprim17ROCPRIM_400000_NS6detail17trampoline_kernelINS0_14default_configENS1_27scan_by_key_config_selectorIxxEEZZNS1_16scan_by_key_implILNS1_25lookback_scan_determinismE0ELb0ES3_N6thrust23THRUST_200600_302600_NS6detail15normal_iteratorINS9_10device_ptrIxEEEESE_SE_xNS9_4plusIvEENS9_8equal_toIvEExEE10hipError_tPvRmT2_T3_T4_T5_mT6_T7_P12ihipStream_tbENKUlT_T0_E_clISt17integral_constantIbLb0EESY_IbLb1EEEEDaSU_SV_EUlSU_E_NS1_11comp_targetILNS1_3genE0ELNS1_11target_archE4294967295ELNS1_3gpuE0ELNS1_3repE0EEENS1_30default_config_static_selectorELNS0_4arch9wavefront6targetE1EEEvT1_,@function
_ZN7rocprim17ROCPRIM_400000_NS6detail17trampoline_kernelINS0_14default_configENS1_27scan_by_key_config_selectorIxxEEZZNS1_16scan_by_key_implILNS1_25lookback_scan_determinismE0ELb0ES3_N6thrust23THRUST_200600_302600_NS6detail15normal_iteratorINS9_10device_ptrIxEEEESE_SE_xNS9_4plusIvEENS9_8equal_toIvEExEE10hipError_tPvRmT2_T3_T4_T5_mT6_T7_P12ihipStream_tbENKUlT_T0_E_clISt17integral_constantIbLb0EESY_IbLb1EEEEDaSU_SV_EUlSU_E_NS1_11comp_targetILNS1_3genE0ELNS1_11target_archE4294967295ELNS1_3gpuE0ELNS1_3repE0EEENS1_30default_config_static_selectorELNS0_4arch9wavefront6targetE1EEEvT1_: ; @_ZN7rocprim17ROCPRIM_400000_NS6detail17trampoline_kernelINS0_14default_configENS1_27scan_by_key_config_selectorIxxEEZZNS1_16scan_by_key_implILNS1_25lookback_scan_determinismE0ELb0ES3_N6thrust23THRUST_200600_302600_NS6detail15normal_iteratorINS9_10device_ptrIxEEEESE_SE_xNS9_4plusIvEENS9_8equal_toIvEExEE10hipError_tPvRmT2_T3_T4_T5_mT6_T7_P12ihipStream_tbENKUlT_T0_E_clISt17integral_constantIbLb0EESY_IbLb1EEEEDaSU_SV_EUlSU_E_NS1_11comp_targetILNS1_3genE0ELNS1_11target_archE4294967295ELNS1_3gpuE0ELNS1_3repE0EEENS1_30default_config_static_selectorELNS0_4arch9wavefront6targetE1EEEvT1_
; %bb.0:
	.section	.rodata,"a",@progbits
	.p2align	6, 0x0
	.amdhsa_kernel _ZN7rocprim17ROCPRIM_400000_NS6detail17trampoline_kernelINS0_14default_configENS1_27scan_by_key_config_selectorIxxEEZZNS1_16scan_by_key_implILNS1_25lookback_scan_determinismE0ELb0ES3_N6thrust23THRUST_200600_302600_NS6detail15normal_iteratorINS9_10device_ptrIxEEEESE_SE_xNS9_4plusIvEENS9_8equal_toIvEExEE10hipError_tPvRmT2_T3_T4_T5_mT6_T7_P12ihipStream_tbENKUlT_T0_E_clISt17integral_constantIbLb0EESY_IbLb1EEEEDaSU_SV_EUlSU_E_NS1_11comp_targetILNS1_3genE0ELNS1_11target_archE4294967295ELNS1_3gpuE0ELNS1_3repE0EEENS1_30default_config_static_selectorELNS0_4arch9wavefront6targetE1EEEvT1_
		.amdhsa_group_segment_fixed_size 0
		.amdhsa_private_segment_fixed_size 0
		.amdhsa_kernarg_size 136
		.amdhsa_user_sgpr_count 6
		.amdhsa_user_sgpr_private_segment_buffer 1
		.amdhsa_user_sgpr_dispatch_ptr 0
		.amdhsa_user_sgpr_queue_ptr 0
		.amdhsa_user_sgpr_kernarg_segment_ptr 1
		.amdhsa_user_sgpr_dispatch_id 0
		.amdhsa_user_sgpr_flat_scratch_init 0
		.amdhsa_user_sgpr_kernarg_preload_length 0
		.amdhsa_user_sgpr_kernarg_preload_offset 0
		.amdhsa_user_sgpr_private_segment_size 0
		.amdhsa_uses_dynamic_stack 0
		.amdhsa_system_sgpr_private_segment_wavefront_offset 0
		.amdhsa_system_sgpr_workgroup_id_x 1
		.amdhsa_system_sgpr_workgroup_id_y 0
		.amdhsa_system_sgpr_workgroup_id_z 0
		.amdhsa_system_sgpr_workgroup_info 0
		.amdhsa_system_vgpr_workitem_id 0
		.amdhsa_next_free_vgpr 1
		.amdhsa_next_free_sgpr 0
		.amdhsa_accum_offset 4
		.amdhsa_reserve_vcc 0
		.amdhsa_reserve_flat_scratch 0
		.amdhsa_float_round_mode_32 0
		.amdhsa_float_round_mode_16_64 0
		.amdhsa_float_denorm_mode_32 3
		.amdhsa_float_denorm_mode_16_64 3
		.amdhsa_dx10_clamp 1
		.amdhsa_ieee_mode 1
		.amdhsa_fp16_overflow 0
		.amdhsa_tg_split 0
		.amdhsa_exception_fp_ieee_invalid_op 0
		.amdhsa_exception_fp_denorm_src 0
		.amdhsa_exception_fp_ieee_div_zero 0
		.amdhsa_exception_fp_ieee_overflow 0
		.amdhsa_exception_fp_ieee_underflow 0
		.amdhsa_exception_fp_ieee_inexact 0
		.amdhsa_exception_int_div_zero 0
	.end_amdhsa_kernel
	.section	.text._ZN7rocprim17ROCPRIM_400000_NS6detail17trampoline_kernelINS0_14default_configENS1_27scan_by_key_config_selectorIxxEEZZNS1_16scan_by_key_implILNS1_25lookback_scan_determinismE0ELb0ES3_N6thrust23THRUST_200600_302600_NS6detail15normal_iteratorINS9_10device_ptrIxEEEESE_SE_xNS9_4plusIvEENS9_8equal_toIvEExEE10hipError_tPvRmT2_T3_T4_T5_mT6_T7_P12ihipStream_tbENKUlT_T0_E_clISt17integral_constantIbLb0EESY_IbLb1EEEEDaSU_SV_EUlSU_E_NS1_11comp_targetILNS1_3genE0ELNS1_11target_archE4294967295ELNS1_3gpuE0ELNS1_3repE0EEENS1_30default_config_static_selectorELNS0_4arch9wavefront6targetE1EEEvT1_,"axG",@progbits,_ZN7rocprim17ROCPRIM_400000_NS6detail17trampoline_kernelINS0_14default_configENS1_27scan_by_key_config_selectorIxxEEZZNS1_16scan_by_key_implILNS1_25lookback_scan_determinismE0ELb0ES3_N6thrust23THRUST_200600_302600_NS6detail15normal_iteratorINS9_10device_ptrIxEEEESE_SE_xNS9_4plusIvEENS9_8equal_toIvEExEE10hipError_tPvRmT2_T3_T4_T5_mT6_T7_P12ihipStream_tbENKUlT_T0_E_clISt17integral_constantIbLb0EESY_IbLb1EEEEDaSU_SV_EUlSU_E_NS1_11comp_targetILNS1_3genE0ELNS1_11target_archE4294967295ELNS1_3gpuE0ELNS1_3repE0EEENS1_30default_config_static_selectorELNS0_4arch9wavefront6targetE1EEEvT1_,comdat
.Lfunc_end38:
	.size	_ZN7rocprim17ROCPRIM_400000_NS6detail17trampoline_kernelINS0_14default_configENS1_27scan_by_key_config_selectorIxxEEZZNS1_16scan_by_key_implILNS1_25lookback_scan_determinismE0ELb0ES3_N6thrust23THRUST_200600_302600_NS6detail15normal_iteratorINS9_10device_ptrIxEEEESE_SE_xNS9_4plusIvEENS9_8equal_toIvEExEE10hipError_tPvRmT2_T3_T4_T5_mT6_T7_P12ihipStream_tbENKUlT_T0_E_clISt17integral_constantIbLb0EESY_IbLb1EEEEDaSU_SV_EUlSU_E_NS1_11comp_targetILNS1_3genE0ELNS1_11target_archE4294967295ELNS1_3gpuE0ELNS1_3repE0EEENS1_30default_config_static_selectorELNS0_4arch9wavefront6targetE1EEEvT1_, .Lfunc_end38-_ZN7rocprim17ROCPRIM_400000_NS6detail17trampoline_kernelINS0_14default_configENS1_27scan_by_key_config_selectorIxxEEZZNS1_16scan_by_key_implILNS1_25lookback_scan_determinismE0ELb0ES3_N6thrust23THRUST_200600_302600_NS6detail15normal_iteratorINS9_10device_ptrIxEEEESE_SE_xNS9_4plusIvEENS9_8equal_toIvEExEE10hipError_tPvRmT2_T3_T4_T5_mT6_T7_P12ihipStream_tbENKUlT_T0_E_clISt17integral_constantIbLb0EESY_IbLb1EEEEDaSU_SV_EUlSU_E_NS1_11comp_targetILNS1_3genE0ELNS1_11target_archE4294967295ELNS1_3gpuE0ELNS1_3repE0EEENS1_30default_config_static_selectorELNS0_4arch9wavefront6targetE1EEEvT1_
                                        ; -- End function
	.section	.AMDGPU.csdata,"",@progbits
; Kernel info:
; codeLenInByte = 0
; NumSgprs: 4
; NumVgprs: 0
; NumAgprs: 0
; TotalNumVgprs: 0
; ScratchSize: 0
; MemoryBound: 0
; FloatMode: 240
; IeeeMode: 1
; LDSByteSize: 0 bytes/workgroup (compile time only)
; SGPRBlocks: 0
; VGPRBlocks: 0
; NumSGPRsForWavesPerEU: 4
; NumVGPRsForWavesPerEU: 1
; AccumOffset: 4
; Occupancy: 8
; WaveLimiterHint : 0
; COMPUTE_PGM_RSRC2:SCRATCH_EN: 0
; COMPUTE_PGM_RSRC2:USER_SGPR: 6
; COMPUTE_PGM_RSRC2:TRAP_HANDLER: 0
; COMPUTE_PGM_RSRC2:TGID_X_EN: 1
; COMPUTE_PGM_RSRC2:TGID_Y_EN: 0
; COMPUTE_PGM_RSRC2:TGID_Z_EN: 0
; COMPUTE_PGM_RSRC2:TIDIG_COMP_CNT: 0
; COMPUTE_PGM_RSRC3_GFX90A:ACCUM_OFFSET: 0
; COMPUTE_PGM_RSRC3_GFX90A:TG_SPLIT: 0
	.section	.text._ZN7rocprim17ROCPRIM_400000_NS6detail17trampoline_kernelINS0_14default_configENS1_27scan_by_key_config_selectorIxxEEZZNS1_16scan_by_key_implILNS1_25lookback_scan_determinismE0ELb0ES3_N6thrust23THRUST_200600_302600_NS6detail15normal_iteratorINS9_10device_ptrIxEEEESE_SE_xNS9_4plusIvEENS9_8equal_toIvEExEE10hipError_tPvRmT2_T3_T4_T5_mT6_T7_P12ihipStream_tbENKUlT_T0_E_clISt17integral_constantIbLb0EESY_IbLb1EEEEDaSU_SV_EUlSU_E_NS1_11comp_targetILNS1_3genE10ELNS1_11target_archE1201ELNS1_3gpuE5ELNS1_3repE0EEENS1_30default_config_static_selectorELNS0_4arch9wavefront6targetE1EEEvT1_,"axG",@progbits,_ZN7rocprim17ROCPRIM_400000_NS6detail17trampoline_kernelINS0_14default_configENS1_27scan_by_key_config_selectorIxxEEZZNS1_16scan_by_key_implILNS1_25lookback_scan_determinismE0ELb0ES3_N6thrust23THRUST_200600_302600_NS6detail15normal_iteratorINS9_10device_ptrIxEEEESE_SE_xNS9_4plusIvEENS9_8equal_toIvEExEE10hipError_tPvRmT2_T3_T4_T5_mT6_T7_P12ihipStream_tbENKUlT_T0_E_clISt17integral_constantIbLb0EESY_IbLb1EEEEDaSU_SV_EUlSU_E_NS1_11comp_targetILNS1_3genE10ELNS1_11target_archE1201ELNS1_3gpuE5ELNS1_3repE0EEENS1_30default_config_static_selectorELNS0_4arch9wavefront6targetE1EEEvT1_,comdat
	.protected	_ZN7rocprim17ROCPRIM_400000_NS6detail17trampoline_kernelINS0_14default_configENS1_27scan_by_key_config_selectorIxxEEZZNS1_16scan_by_key_implILNS1_25lookback_scan_determinismE0ELb0ES3_N6thrust23THRUST_200600_302600_NS6detail15normal_iteratorINS9_10device_ptrIxEEEESE_SE_xNS9_4plusIvEENS9_8equal_toIvEExEE10hipError_tPvRmT2_T3_T4_T5_mT6_T7_P12ihipStream_tbENKUlT_T0_E_clISt17integral_constantIbLb0EESY_IbLb1EEEEDaSU_SV_EUlSU_E_NS1_11comp_targetILNS1_3genE10ELNS1_11target_archE1201ELNS1_3gpuE5ELNS1_3repE0EEENS1_30default_config_static_selectorELNS0_4arch9wavefront6targetE1EEEvT1_ ; -- Begin function _ZN7rocprim17ROCPRIM_400000_NS6detail17trampoline_kernelINS0_14default_configENS1_27scan_by_key_config_selectorIxxEEZZNS1_16scan_by_key_implILNS1_25lookback_scan_determinismE0ELb0ES3_N6thrust23THRUST_200600_302600_NS6detail15normal_iteratorINS9_10device_ptrIxEEEESE_SE_xNS9_4plusIvEENS9_8equal_toIvEExEE10hipError_tPvRmT2_T3_T4_T5_mT6_T7_P12ihipStream_tbENKUlT_T0_E_clISt17integral_constantIbLb0EESY_IbLb1EEEEDaSU_SV_EUlSU_E_NS1_11comp_targetILNS1_3genE10ELNS1_11target_archE1201ELNS1_3gpuE5ELNS1_3repE0EEENS1_30default_config_static_selectorELNS0_4arch9wavefront6targetE1EEEvT1_
	.globl	_ZN7rocprim17ROCPRIM_400000_NS6detail17trampoline_kernelINS0_14default_configENS1_27scan_by_key_config_selectorIxxEEZZNS1_16scan_by_key_implILNS1_25lookback_scan_determinismE0ELb0ES3_N6thrust23THRUST_200600_302600_NS6detail15normal_iteratorINS9_10device_ptrIxEEEESE_SE_xNS9_4plusIvEENS9_8equal_toIvEExEE10hipError_tPvRmT2_T3_T4_T5_mT6_T7_P12ihipStream_tbENKUlT_T0_E_clISt17integral_constantIbLb0EESY_IbLb1EEEEDaSU_SV_EUlSU_E_NS1_11comp_targetILNS1_3genE10ELNS1_11target_archE1201ELNS1_3gpuE5ELNS1_3repE0EEENS1_30default_config_static_selectorELNS0_4arch9wavefront6targetE1EEEvT1_
	.p2align	8
	.type	_ZN7rocprim17ROCPRIM_400000_NS6detail17trampoline_kernelINS0_14default_configENS1_27scan_by_key_config_selectorIxxEEZZNS1_16scan_by_key_implILNS1_25lookback_scan_determinismE0ELb0ES3_N6thrust23THRUST_200600_302600_NS6detail15normal_iteratorINS9_10device_ptrIxEEEESE_SE_xNS9_4plusIvEENS9_8equal_toIvEExEE10hipError_tPvRmT2_T3_T4_T5_mT6_T7_P12ihipStream_tbENKUlT_T0_E_clISt17integral_constantIbLb0EESY_IbLb1EEEEDaSU_SV_EUlSU_E_NS1_11comp_targetILNS1_3genE10ELNS1_11target_archE1201ELNS1_3gpuE5ELNS1_3repE0EEENS1_30default_config_static_selectorELNS0_4arch9wavefront6targetE1EEEvT1_,@function
_ZN7rocprim17ROCPRIM_400000_NS6detail17trampoline_kernelINS0_14default_configENS1_27scan_by_key_config_selectorIxxEEZZNS1_16scan_by_key_implILNS1_25lookback_scan_determinismE0ELb0ES3_N6thrust23THRUST_200600_302600_NS6detail15normal_iteratorINS9_10device_ptrIxEEEESE_SE_xNS9_4plusIvEENS9_8equal_toIvEExEE10hipError_tPvRmT2_T3_T4_T5_mT6_T7_P12ihipStream_tbENKUlT_T0_E_clISt17integral_constantIbLb0EESY_IbLb1EEEEDaSU_SV_EUlSU_E_NS1_11comp_targetILNS1_3genE10ELNS1_11target_archE1201ELNS1_3gpuE5ELNS1_3repE0EEENS1_30default_config_static_selectorELNS0_4arch9wavefront6targetE1EEEvT1_: ; @_ZN7rocprim17ROCPRIM_400000_NS6detail17trampoline_kernelINS0_14default_configENS1_27scan_by_key_config_selectorIxxEEZZNS1_16scan_by_key_implILNS1_25lookback_scan_determinismE0ELb0ES3_N6thrust23THRUST_200600_302600_NS6detail15normal_iteratorINS9_10device_ptrIxEEEESE_SE_xNS9_4plusIvEENS9_8equal_toIvEExEE10hipError_tPvRmT2_T3_T4_T5_mT6_T7_P12ihipStream_tbENKUlT_T0_E_clISt17integral_constantIbLb0EESY_IbLb1EEEEDaSU_SV_EUlSU_E_NS1_11comp_targetILNS1_3genE10ELNS1_11target_archE1201ELNS1_3gpuE5ELNS1_3repE0EEENS1_30default_config_static_selectorELNS0_4arch9wavefront6targetE1EEEvT1_
; %bb.0:
	.section	.rodata,"a",@progbits
	.p2align	6, 0x0
	.amdhsa_kernel _ZN7rocprim17ROCPRIM_400000_NS6detail17trampoline_kernelINS0_14default_configENS1_27scan_by_key_config_selectorIxxEEZZNS1_16scan_by_key_implILNS1_25lookback_scan_determinismE0ELb0ES3_N6thrust23THRUST_200600_302600_NS6detail15normal_iteratorINS9_10device_ptrIxEEEESE_SE_xNS9_4plusIvEENS9_8equal_toIvEExEE10hipError_tPvRmT2_T3_T4_T5_mT6_T7_P12ihipStream_tbENKUlT_T0_E_clISt17integral_constantIbLb0EESY_IbLb1EEEEDaSU_SV_EUlSU_E_NS1_11comp_targetILNS1_3genE10ELNS1_11target_archE1201ELNS1_3gpuE5ELNS1_3repE0EEENS1_30default_config_static_selectorELNS0_4arch9wavefront6targetE1EEEvT1_
		.amdhsa_group_segment_fixed_size 0
		.amdhsa_private_segment_fixed_size 0
		.amdhsa_kernarg_size 136
		.amdhsa_user_sgpr_count 6
		.amdhsa_user_sgpr_private_segment_buffer 1
		.amdhsa_user_sgpr_dispatch_ptr 0
		.amdhsa_user_sgpr_queue_ptr 0
		.amdhsa_user_sgpr_kernarg_segment_ptr 1
		.amdhsa_user_sgpr_dispatch_id 0
		.amdhsa_user_sgpr_flat_scratch_init 0
		.amdhsa_user_sgpr_kernarg_preload_length 0
		.amdhsa_user_sgpr_kernarg_preload_offset 0
		.amdhsa_user_sgpr_private_segment_size 0
		.amdhsa_uses_dynamic_stack 0
		.amdhsa_system_sgpr_private_segment_wavefront_offset 0
		.amdhsa_system_sgpr_workgroup_id_x 1
		.amdhsa_system_sgpr_workgroup_id_y 0
		.amdhsa_system_sgpr_workgroup_id_z 0
		.amdhsa_system_sgpr_workgroup_info 0
		.amdhsa_system_vgpr_workitem_id 0
		.amdhsa_next_free_vgpr 1
		.amdhsa_next_free_sgpr 0
		.amdhsa_accum_offset 4
		.amdhsa_reserve_vcc 0
		.amdhsa_reserve_flat_scratch 0
		.amdhsa_float_round_mode_32 0
		.amdhsa_float_round_mode_16_64 0
		.amdhsa_float_denorm_mode_32 3
		.amdhsa_float_denorm_mode_16_64 3
		.amdhsa_dx10_clamp 1
		.amdhsa_ieee_mode 1
		.amdhsa_fp16_overflow 0
		.amdhsa_tg_split 0
		.amdhsa_exception_fp_ieee_invalid_op 0
		.amdhsa_exception_fp_denorm_src 0
		.amdhsa_exception_fp_ieee_div_zero 0
		.amdhsa_exception_fp_ieee_overflow 0
		.amdhsa_exception_fp_ieee_underflow 0
		.amdhsa_exception_fp_ieee_inexact 0
		.amdhsa_exception_int_div_zero 0
	.end_amdhsa_kernel
	.section	.text._ZN7rocprim17ROCPRIM_400000_NS6detail17trampoline_kernelINS0_14default_configENS1_27scan_by_key_config_selectorIxxEEZZNS1_16scan_by_key_implILNS1_25lookback_scan_determinismE0ELb0ES3_N6thrust23THRUST_200600_302600_NS6detail15normal_iteratorINS9_10device_ptrIxEEEESE_SE_xNS9_4plusIvEENS9_8equal_toIvEExEE10hipError_tPvRmT2_T3_T4_T5_mT6_T7_P12ihipStream_tbENKUlT_T0_E_clISt17integral_constantIbLb0EESY_IbLb1EEEEDaSU_SV_EUlSU_E_NS1_11comp_targetILNS1_3genE10ELNS1_11target_archE1201ELNS1_3gpuE5ELNS1_3repE0EEENS1_30default_config_static_selectorELNS0_4arch9wavefront6targetE1EEEvT1_,"axG",@progbits,_ZN7rocprim17ROCPRIM_400000_NS6detail17trampoline_kernelINS0_14default_configENS1_27scan_by_key_config_selectorIxxEEZZNS1_16scan_by_key_implILNS1_25lookback_scan_determinismE0ELb0ES3_N6thrust23THRUST_200600_302600_NS6detail15normal_iteratorINS9_10device_ptrIxEEEESE_SE_xNS9_4plusIvEENS9_8equal_toIvEExEE10hipError_tPvRmT2_T3_T4_T5_mT6_T7_P12ihipStream_tbENKUlT_T0_E_clISt17integral_constantIbLb0EESY_IbLb1EEEEDaSU_SV_EUlSU_E_NS1_11comp_targetILNS1_3genE10ELNS1_11target_archE1201ELNS1_3gpuE5ELNS1_3repE0EEENS1_30default_config_static_selectorELNS0_4arch9wavefront6targetE1EEEvT1_,comdat
.Lfunc_end39:
	.size	_ZN7rocprim17ROCPRIM_400000_NS6detail17trampoline_kernelINS0_14default_configENS1_27scan_by_key_config_selectorIxxEEZZNS1_16scan_by_key_implILNS1_25lookback_scan_determinismE0ELb0ES3_N6thrust23THRUST_200600_302600_NS6detail15normal_iteratorINS9_10device_ptrIxEEEESE_SE_xNS9_4plusIvEENS9_8equal_toIvEExEE10hipError_tPvRmT2_T3_T4_T5_mT6_T7_P12ihipStream_tbENKUlT_T0_E_clISt17integral_constantIbLb0EESY_IbLb1EEEEDaSU_SV_EUlSU_E_NS1_11comp_targetILNS1_3genE10ELNS1_11target_archE1201ELNS1_3gpuE5ELNS1_3repE0EEENS1_30default_config_static_selectorELNS0_4arch9wavefront6targetE1EEEvT1_, .Lfunc_end39-_ZN7rocprim17ROCPRIM_400000_NS6detail17trampoline_kernelINS0_14default_configENS1_27scan_by_key_config_selectorIxxEEZZNS1_16scan_by_key_implILNS1_25lookback_scan_determinismE0ELb0ES3_N6thrust23THRUST_200600_302600_NS6detail15normal_iteratorINS9_10device_ptrIxEEEESE_SE_xNS9_4plusIvEENS9_8equal_toIvEExEE10hipError_tPvRmT2_T3_T4_T5_mT6_T7_P12ihipStream_tbENKUlT_T0_E_clISt17integral_constantIbLb0EESY_IbLb1EEEEDaSU_SV_EUlSU_E_NS1_11comp_targetILNS1_3genE10ELNS1_11target_archE1201ELNS1_3gpuE5ELNS1_3repE0EEENS1_30default_config_static_selectorELNS0_4arch9wavefront6targetE1EEEvT1_
                                        ; -- End function
	.section	.AMDGPU.csdata,"",@progbits
; Kernel info:
; codeLenInByte = 0
; NumSgprs: 4
; NumVgprs: 0
; NumAgprs: 0
; TotalNumVgprs: 0
; ScratchSize: 0
; MemoryBound: 0
; FloatMode: 240
; IeeeMode: 1
; LDSByteSize: 0 bytes/workgroup (compile time only)
; SGPRBlocks: 0
; VGPRBlocks: 0
; NumSGPRsForWavesPerEU: 4
; NumVGPRsForWavesPerEU: 1
; AccumOffset: 4
; Occupancy: 8
; WaveLimiterHint : 0
; COMPUTE_PGM_RSRC2:SCRATCH_EN: 0
; COMPUTE_PGM_RSRC2:USER_SGPR: 6
; COMPUTE_PGM_RSRC2:TRAP_HANDLER: 0
; COMPUTE_PGM_RSRC2:TGID_X_EN: 1
; COMPUTE_PGM_RSRC2:TGID_Y_EN: 0
; COMPUTE_PGM_RSRC2:TGID_Z_EN: 0
; COMPUTE_PGM_RSRC2:TIDIG_COMP_CNT: 0
; COMPUTE_PGM_RSRC3_GFX90A:ACCUM_OFFSET: 0
; COMPUTE_PGM_RSRC3_GFX90A:TG_SPLIT: 0
	.section	.text._ZN7rocprim17ROCPRIM_400000_NS6detail17trampoline_kernelINS0_14default_configENS1_27scan_by_key_config_selectorIxxEEZZNS1_16scan_by_key_implILNS1_25lookback_scan_determinismE0ELb0ES3_N6thrust23THRUST_200600_302600_NS6detail15normal_iteratorINS9_10device_ptrIxEEEESE_SE_xNS9_4plusIvEENS9_8equal_toIvEExEE10hipError_tPvRmT2_T3_T4_T5_mT6_T7_P12ihipStream_tbENKUlT_T0_E_clISt17integral_constantIbLb0EESY_IbLb1EEEEDaSU_SV_EUlSU_E_NS1_11comp_targetILNS1_3genE5ELNS1_11target_archE942ELNS1_3gpuE9ELNS1_3repE0EEENS1_30default_config_static_selectorELNS0_4arch9wavefront6targetE1EEEvT1_,"axG",@progbits,_ZN7rocprim17ROCPRIM_400000_NS6detail17trampoline_kernelINS0_14default_configENS1_27scan_by_key_config_selectorIxxEEZZNS1_16scan_by_key_implILNS1_25lookback_scan_determinismE0ELb0ES3_N6thrust23THRUST_200600_302600_NS6detail15normal_iteratorINS9_10device_ptrIxEEEESE_SE_xNS9_4plusIvEENS9_8equal_toIvEExEE10hipError_tPvRmT2_T3_T4_T5_mT6_T7_P12ihipStream_tbENKUlT_T0_E_clISt17integral_constantIbLb0EESY_IbLb1EEEEDaSU_SV_EUlSU_E_NS1_11comp_targetILNS1_3genE5ELNS1_11target_archE942ELNS1_3gpuE9ELNS1_3repE0EEENS1_30default_config_static_selectorELNS0_4arch9wavefront6targetE1EEEvT1_,comdat
	.protected	_ZN7rocprim17ROCPRIM_400000_NS6detail17trampoline_kernelINS0_14default_configENS1_27scan_by_key_config_selectorIxxEEZZNS1_16scan_by_key_implILNS1_25lookback_scan_determinismE0ELb0ES3_N6thrust23THRUST_200600_302600_NS6detail15normal_iteratorINS9_10device_ptrIxEEEESE_SE_xNS9_4plusIvEENS9_8equal_toIvEExEE10hipError_tPvRmT2_T3_T4_T5_mT6_T7_P12ihipStream_tbENKUlT_T0_E_clISt17integral_constantIbLb0EESY_IbLb1EEEEDaSU_SV_EUlSU_E_NS1_11comp_targetILNS1_3genE5ELNS1_11target_archE942ELNS1_3gpuE9ELNS1_3repE0EEENS1_30default_config_static_selectorELNS0_4arch9wavefront6targetE1EEEvT1_ ; -- Begin function _ZN7rocprim17ROCPRIM_400000_NS6detail17trampoline_kernelINS0_14default_configENS1_27scan_by_key_config_selectorIxxEEZZNS1_16scan_by_key_implILNS1_25lookback_scan_determinismE0ELb0ES3_N6thrust23THRUST_200600_302600_NS6detail15normal_iteratorINS9_10device_ptrIxEEEESE_SE_xNS9_4plusIvEENS9_8equal_toIvEExEE10hipError_tPvRmT2_T3_T4_T5_mT6_T7_P12ihipStream_tbENKUlT_T0_E_clISt17integral_constantIbLb0EESY_IbLb1EEEEDaSU_SV_EUlSU_E_NS1_11comp_targetILNS1_3genE5ELNS1_11target_archE942ELNS1_3gpuE9ELNS1_3repE0EEENS1_30default_config_static_selectorELNS0_4arch9wavefront6targetE1EEEvT1_
	.globl	_ZN7rocprim17ROCPRIM_400000_NS6detail17trampoline_kernelINS0_14default_configENS1_27scan_by_key_config_selectorIxxEEZZNS1_16scan_by_key_implILNS1_25lookback_scan_determinismE0ELb0ES3_N6thrust23THRUST_200600_302600_NS6detail15normal_iteratorINS9_10device_ptrIxEEEESE_SE_xNS9_4plusIvEENS9_8equal_toIvEExEE10hipError_tPvRmT2_T3_T4_T5_mT6_T7_P12ihipStream_tbENKUlT_T0_E_clISt17integral_constantIbLb0EESY_IbLb1EEEEDaSU_SV_EUlSU_E_NS1_11comp_targetILNS1_3genE5ELNS1_11target_archE942ELNS1_3gpuE9ELNS1_3repE0EEENS1_30default_config_static_selectorELNS0_4arch9wavefront6targetE1EEEvT1_
	.p2align	8
	.type	_ZN7rocprim17ROCPRIM_400000_NS6detail17trampoline_kernelINS0_14default_configENS1_27scan_by_key_config_selectorIxxEEZZNS1_16scan_by_key_implILNS1_25lookback_scan_determinismE0ELb0ES3_N6thrust23THRUST_200600_302600_NS6detail15normal_iteratorINS9_10device_ptrIxEEEESE_SE_xNS9_4plusIvEENS9_8equal_toIvEExEE10hipError_tPvRmT2_T3_T4_T5_mT6_T7_P12ihipStream_tbENKUlT_T0_E_clISt17integral_constantIbLb0EESY_IbLb1EEEEDaSU_SV_EUlSU_E_NS1_11comp_targetILNS1_3genE5ELNS1_11target_archE942ELNS1_3gpuE9ELNS1_3repE0EEENS1_30default_config_static_selectorELNS0_4arch9wavefront6targetE1EEEvT1_,@function
_ZN7rocprim17ROCPRIM_400000_NS6detail17trampoline_kernelINS0_14default_configENS1_27scan_by_key_config_selectorIxxEEZZNS1_16scan_by_key_implILNS1_25lookback_scan_determinismE0ELb0ES3_N6thrust23THRUST_200600_302600_NS6detail15normal_iteratorINS9_10device_ptrIxEEEESE_SE_xNS9_4plusIvEENS9_8equal_toIvEExEE10hipError_tPvRmT2_T3_T4_T5_mT6_T7_P12ihipStream_tbENKUlT_T0_E_clISt17integral_constantIbLb0EESY_IbLb1EEEEDaSU_SV_EUlSU_E_NS1_11comp_targetILNS1_3genE5ELNS1_11target_archE942ELNS1_3gpuE9ELNS1_3repE0EEENS1_30default_config_static_selectorELNS0_4arch9wavefront6targetE1EEEvT1_: ; @_ZN7rocprim17ROCPRIM_400000_NS6detail17trampoline_kernelINS0_14default_configENS1_27scan_by_key_config_selectorIxxEEZZNS1_16scan_by_key_implILNS1_25lookback_scan_determinismE0ELb0ES3_N6thrust23THRUST_200600_302600_NS6detail15normal_iteratorINS9_10device_ptrIxEEEESE_SE_xNS9_4plusIvEENS9_8equal_toIvEExEE10hipError_tPvRmT2_T3_T4_T5_mT6_T7_P12ihipStream_tbENKUlT_T0_E_clISt17integral_constantIbLb0EESY_IbLb1EEEEDaSU_SV_EUlSU_E_NS1_11comp_targetILNS1_3genE5ELNS1_11target_archE942ELNS1_3gpuE9ELNS1_3repE0EEENS1_30default_config_static_selectorELNS0_4arch9wavefront6targetE1EEEvT1_
; %bb.0:
	.section	.rodata,"a",@progbits
	.p2align	6, 0x0
	.amdhsa_kernel _ZN7rocprim17ROCPRIM_400000_NS6detail17trampoline_kernelINS0_14default_configENS1_27scan_by_key_config_selectorIxxEEZZNS1_16scan_by_key_implILNS1_25lookback_scan_determinismE0ELb0ES3_N6thrust23THRUST_200600_302600_NS6detail15normal_iteratorINS9_10device_ptrIxEEEESE_SE_xNS9_4plusIvEENS9_8equal_toIvEExEE10hipError_tPvRmT2_T3_T4_T5_mT6_T7_P12ihipStream_tbENKUlT_T0_E_clISt17integral_constantIbLb0EESY_IbLb1EEEEDaSU_SV_EUlSU_E_NS1_11comp_targetILNS1_3genE5ELNS1_11target_archE942ELNS1_3gpuE9ELNS1_3repE0EEENS1_30default_config_static_selectorELNS0_4arch9wavefront6targetE1EEEvT1_
		.amdhsa_group_segment_fixed_size 0
		.amdhsa_private_segment_fixed_size 0
		.amdhsa_kernarg_size 136
		.amdhsa_user_sgpr_count 6
		.amdhsa_user_sgpr_private_segment_buffer 1
		.amdhsa_user_sgpr_dispatch_ptr 0
		.amdhsa_user_sgpr_queue_ptr 0
		.amdhsa_user_sgpr_kernarg_segment_ptr 1
		.amdhsa_user_sgpr_dispatch_id 0
		.amdhsa_user_sgpr_flat_scratch_init 0
		.amdhsa_user_sgpr_kernarg_preload_length 0
		.amdhsa_user_sgpr_kernarg_preload_offset 0
		.amdhsa_user_sgpr_private_segment_size 0
		.amdhsa_uses_dynamic_stack 0
		.amdhsa_system_sgpr_private_segment_wavefront_offset 0
		.amdhsa_system_sgpr_workgroup_id_x 1
		.amdhsa_system_sgpr_workgroup_id_y 0
		.amdhsa_system_sgpr_workgroup_id_z 0
		.amdhsa_system_sgpr_workgroup_info 0
		.amdhsa_system_vgpr_workitem_id 0
		.amdhsa_next_free_vgpr 1
		.amdhsa_next_free_sgpr 0
		.amdhsa_accum_offset 4
		.amdhsa_reserve_vcc 0
		.amdhsa_reserve_flat_scratch 0
		.amdhsa_float_round_mode_32 0
		.amdhsa_float_round_mode_16_64 0
		.amdhsa_float_denorm_mode_32 3
		.amdhsa_float_denorm_mode_16_64 3
		.amdhsa_dx10_clamp 1
		.amdhsa_ieee_mode 1
		.amdhsa_fp16_overflow 0
		.amdhsa_tg_split 0
		.amdhsa_exception_fp_ieee_invalid_op 0
		.amdhsa_exception_fp_denorm_src 0
		.amdhsa_exception_fp_ieee_div_zero 0
		.amdhsa_exception_fp_ieee_overflow 0
		.amdhsa_exception_fp_ieee_underflow 0
		.amdhsa_exception_fp_ieee_inexact 0
		.amdhsa_exception_int_div_zero 0
	.end_amdhsa_kernel
	.section	.text._ZN7rocprim17ROCPRIM_400000_NS6detail17trampoline_kernelINS0_14default_configENS1_27scan_by_key_config_selectorIxxEEZZNS1_16scan_by_key_implILNS1_25lookback_scan_determinismE0ELb0ES3_N6thrust23THRUST_200600_302600_NS6detail15normal_iteratorINS9_10device_ptrIxEEEESE_SE_xNS9_4plusIvEENS9_8equal_toIvEExEE10hipError_tPvRmT2_T3_T4_T5_mT6_T7_P12ihipStream_tbENKUlT_T0_E_clISt17integral_constantIbLb0EESY_IbLb1EEEEDaSU_SV_EUlSU_E_NS1_11comp_targetILNS1_3genE5ELNS1_11target_archE942ELNS1_3gpuE9ELNS1_3repE0EEENS1_30default_config_static_selectorELNS0_4arch9wavefront6targetE1EEEvT1_,"axG",@progbits,_ZN7rocprim17ROCPRIM_400000_NS6detail17trampoline_kernelINS0_14default_configENS1_27scan_by_key_config_selectorIxxEEZZNS1_16scan_by_key_implILNS1_25lookback_scan_determinismE0ELb0ES3_N6thrust23THRUST_200600_302600_NS6detail15normal_iteratorINS9_10device_ptrIxEEEESE_SE_xNS9_4plusIvEENS9_8equal_toIvEExEE10hipError_tPvRmT2_T3_T4_T5_mT6_T7_P12ihipStream_tbENKUlT_T0_E_clISt17integral_constantIbLb0EESY_IbLb1EEEEDaSU_SV_EUlSU_E_NS1_11comp_targetILNS1_3genE5ELNS1_11target_archE942ELNS1_3gpuE9ELNS1_3repE0EEENS1_30default_config_static_selectorELNS0_4arch9wavefront6targetE1EEEvT1_,comdat
.Lfunc_end40:
	.size	_ZN7rocprim17ROCPRIM_400000_NS6detail17trampoline_kernelINS0_14default_configENS1_27scan_by_key_config_selectorIxxEEZZNS1_16scan_by_key_implILNS1_25lookback_scan_determinismE0ELb0ES3_N6thrust23THRUST_200600_302600_NS6detail15normal_iteratorINS9_10device_ptrIxEEEESE_SE_xNS9_4plusIvEENS9_8equal_toIvEExEE10hipError_tPvRmT2_T3_T4_T5_mT6_T7_P12ihipStream_tbENKUlT_T0_E_clISt17integral_constantIbLb0EESY_IbLb1EEEEDaSU_SV_EUlSU_E_NS1_11comp_targetILNS1_3genE5ELNS1_11target_archE942ELNS1_3gpuE9ELNS1_3repE0EEENS1_30default_config_static_selectorELNS0_4arch9wavefront6targetE1EEEvT1_, .Lfunc_end40-_ZN7rocprim17ROCPRIM_400000_NS6detail17trampoline_kernelINS0_14default_configENS1_27scan_by_key_config_selectorIxxEEZZNS1_16scan_by_key_implILNS1_25lookback_scan_determinismE0ELb0ES3_N6thrust23THRUST_200600_302600_NS6detail15normal_iteratorINS9_10device_ptrIxEEEESE_SE_xNS9_4plusIvEENS9_8equal_toIvEExEE10hipError_tPvRmT2_T3_T4_T5_mT6_T7_P12ihipStream_tbENKUlT_T0_E_clISt17integral_constantIbLb0EESY_IbLb1EEEEDaSU_SV_EUlSU_E_NS1_11comp_targetILNS1_3genE5ELNS1_11target_archE942ELNS1_3gpuE9ELNS1_3repE0EEENS1_30default_config_static_selectorELNS0_4arch9wavefront6targetE1EEEvT1_
                                        ; -- End function
	.section	.AMDGPU.csdata,"",@progbits
; Kernel info:
; codeLenInByte = 0
; NumSgprs: 4
; NumVgprs: 0
; NumAgprs: 0
; TotalNumVgprs: 0
; ScratchSize: 0
; MemoryBound: 0
; FloatMode: 240
; IeeeMode: 1
; LDSByteSize: 0 bytes/workgroup (compile time only)
; SGPRBlocks: 0
; VGPRBlocks: 0
; NumSGPRsForWavesPerEU: 4
; NumVGPRsForWavesPerEU: 1
; AccumOffset: 4
; Occupancy: 8
; WaveLimiterHint : 0
; COMPUTE_PGM_RSRC2:SCRATCH_EN: 0
; COMPUTE_PGM_RSRC2:USER_SGPR: 6
; COMPUTE_PGM_RSRC2:TRAP_HANDLER: 0
; COMPUTE_PGM_RSRC2:TGID_X_EN: 1
; COMPUTE_PGM_RSRC2:TGID_Y_EN: 0
; COMPUTE_PGM_RSRC2:TGID_Z_EN: 0
; COMPUTE_PGM_RSRC2:TIDIG_COMP_CNT: 0
; COMPUTE_PGM_RSRC3_GFX90A:ACCUM_OFFSET: 0
; COMPUTE_PGM_RSRC3_GFX90A:TG_SPLIT: 0
	.section	.text._ZN7rocprim17ROCPRIM_400000_NS6detail17trampoline_kernelINS0_14default_configENS1_27scan_by_key_config_selectorIxxEEZZNS1_16scan_by_key_implILNS1_25lookback_scan_determinismE0ELb0ES3_N6thrust23THRUST_200600_302600_NS6detail15normal_iteratorINS9_10device_ptrIxEEEESE_SE_xNS9_4plusIvEENS9_8equal_toIvEExEE10hipError_tPvRmT2_T3_T4_T5_mT6_T7_P12ihipStream_tbENKUlT_T0_E_clISt17integral_constantIbLb0EESY_IbLb1EEEEDaSU_SV_EUlSU_E_NS1_11comp_targetILNS1_3genE4ELNS1_11target_archE910ELNS1_3gpuE8ELNS1_3repE0EEENS1_30default_config_static_selectorELNS0_4arch9wavefront6targetE1EEEvT1_,"axG",@progbits,_ZN7rocprim17ROCPRIM_400000_NS6detail17trampoline_kernelINS0_14default_configENS1_27scan_by_key_config_selectorIxxEEZZNS1_16scan_by_key_implILNS1_25lookback_scan_determinismE0ELb0ES3_N6thrust23THRUST_200600_302600_NS6detail15normal_iteratorINS9_10device_ptrIxEEEESE_SE_xNS9_4plusIvEENS9_8equal_toIvEExEE10hipError_tPvRmT2_T3_T4_T5_mT6_T7_P12ihipStream_tbENKUlT_T0_E_clISt17integral_constantIbLb0EESY_IbLb1EEEEDaSU_SV_EUlSU_E_NS1_11comp_targetILNS1_3genE4ELNS1_11target_archE910ELNS1_3gpuE8ELNS1_3repE0EEENS1_30default_config_static_selectorELNS0_4arch9wavefront6targetE1EEEvT1_,comdat
	.protected	_ZN7rocprim17ROCPRIM_400000_NS6detail17trampoline_kernelINS0_14default_configENS1_27scan_by_key_config_selectorIxxEEZZNS1_16scan_by_key_implILNS1_25lookback_scan_determinismE0ELb0ES3_N6thrust23THRUST_200600_302600_NS6detail15normal_iteratorINS9_10device_ptrIxEEEESE_SE_xNS9_4plusIvEENS9_8equal_toIvEExEE10hipError_tPvRmT2_T3_T4_T5_mT6_T7_P12ihipStream_tbENKUlT_T0_E_clISt17integral_constantIbLb0EESY_IbLb1EEEEDaSU_SV_EUlSU_E_NS1_11comp_targetILNS1_3genE4ELNS1_11target_archE910ELNS1_3gpuE8ELNS1_3repE0EEENS1_30default_config_static_selectorELNS0_4arch9wavefront6targetE1EEEvT1_ ; -- Begin function _ZN7rocprim17ROCPRIM_400000_NS6detail17trampoline_kernelINS0_14default_configENS1_27scan_by_key_config_selectorIxxEEZZNS1_16scan_by_key_implILNS1_25lookback_scan_determinismE0ELb0ES3_N6thrust23THRUST_200600_302600_NS6detail15normal_iteratorINS9_10device_ptrIxEEEESE_SE_xNS9_4plusIvEENS9_8equal_toIvEExEE10hipError_tPvRmT2_T3_T4_T5_mT6_T7_P12ihipStream_tbENKUlT_T0_E_clISt17integral_constantIbLb0EESY_IbLb1EEEEDaSU_SV_EUlSU_E_NS1_11comp_targetILNS1_3genE4ELNS1_11target_archE910ELNS1_3gpuE8ELNS1_3repE0EEENS1_30default_config_static_selectorELNS0_4arch9wavefront6targetE1EEEvT1_
	.globl	_ZN7rocprim17ROCPRIM_400000_NS6detail17trampoline_kernelINS0_14default_configENS1_27scan_by_key_config_selectorIxxEEZZNS1_16scan_by_key_implILNS1_25lookback_scan_determinismE0ELb0ES3_N6thrust23THRUST_200600_302600_NS6detail15normal_iteratorINS9_10device_ptrIxEEEESE_SE_xNS9_4plusIvEENS9_8equal_toIvEExEE10hipError_tPvRmT2_T3_T4_T5_mT6_T7_P12ihipStream_tbENKUlT_T0_E_clISt17integral_constantIbLb0EESY_IbLb1EEEEDaSU_SV_EUlSU_E_NS1_11comp_targetILNS1_3genE4ELNS1_11target_archE910ELNS1_3gpuE8ELNS1_3repE0EEENS1_30default_config_static_selectorELNS0_4arch9wavefront6targetE1EEEvT1_
	.p2align	8
	.type	_ZN7rocprim17ROCPRIM_400000_NS6detail17trampoline_kernelINS0_14default_configENS1_27scan_by_key_config_selectorIxxEEZZNS1_16scan_by_key_implILNS1_25lookback_scan_determinismE0ELb0ES3_N6thrust23THRUST_200600_302600_NS6detail15normal_iteratorINS9_10device_ptrIxEEEESE_SE_xNS9_4plusIvEENS9_8equal_toIvEExEE10hipError_tPvRmT2_T3_T4_T5_mT6_T7_P12ihipStream_tbENKUlT_T0_E_clISt17integral_constantIbLb0EESY_IbLb1EEEEDaSU_SV_EUlSU_E_NS1_11comp_targetILNS1_3genE4ELNS1_11target_archE910ELNS1_3gpuE8ELNS1_3repE0EEENS1_30default_config_static_selectorELNS0_4arch9wavefront6targetE1EEEvT1_,@function
_ZN7rocprim17ROCPRIM_400000_NS6detail17trampoline_kernelINS0_14default_configENS1_27scan_by_key_config_selectorIxxEEZZNS1_16scan_by_key_implILNS1_25lookback_scan_determinismE0ELb0ES3_N6thrust23THRUST_200600_302600_NS6detail15normal_iteratorINS9_10device_ptrIxEEEESE_SE_xNS9_4plusIvEENS9_8equal_toIvEExEE10hipError_tPvRmT2_T3_T4_T5_mT6_T7_P12ihipStream_tbENKUlT_T0_E_clISt17integral_constantIbLb0EESY_IbLb1EEEEDaSU_SV_EUlSU_E_NS1_11comp_targetILNS1_3genE4ELNS1_11target_archE910ELNS1_3gpuE8ELNS1_3repE0EEENS1_30default_config_static_selectorELNS0_4arch9wavefront6targetE1EEEvT1_: ; @_ZN7rocprim17ROCPRIM_400000_NS6detail17trampoline_kernelINS0_14default_configENS1_27scan_by_key_config_selectorIxxEEZZNS1_16scan_by_key_implILNS1_25lookback_scan_determinismE0ELb0ES3_N6thrust23THRUST_200600_302600_NS6detail15normal_iteratorINS9_10device_ptrIxEEEESE_SE_xNS9_4plusIvEENS9_8equal_toIvEExEE10hipError_tPvRmT2_T3_T4_T5_mT6_T7_P12ihipStream_tbENKUlT_T0_E_clISt17integral_constantIbLb0EESY_IbLb1EEEEDaSU_SV_EUlSU_E_NS1_11comp_targetILNS1_3genE4ELNS1_11target_archE910ELNS1_3gpuE8ELNS1_3repE0EEENS1_30default_config_static_selectorELNS0_4arch9wavefront6targetE1EEEvT1_
; %bb.0:
	s_load_dwordx8 s[48:55], s[4:5], 0x30
	s_load_dwordx2 s[72:73], s[4:5], 0x50
	v_cmp_ne_u32_e64 s[46:47], 0, v0
	v_cmp_eq_u32_e64 s[0:1], 0, v0
	s_and_saveexec_b64 s[2:3], s[0:1]
	s_cbranch_execz .LBB41_4
; %bb.1:
	s_mov_b64 s[8:9], exec
	v_mbcnt_lo_u32_b32 v1, s8, 0
	v_mbcnt_hi_u32_b32 v1, s9, v1
	v_cmp_eq_u32_e32 vcc, 0, v1
                                        ; implicit-def: $vgpr2
	s_and_saveexec_b64 s[6:7], vcc
	s_cbranch_execz .LBB41_3
; %bb.2:
	s_load_dwordx2 s[10:11], s[4:5], 0x80
	s_bcnt1_i32_b64 s8, s[8:9]
	v_mov_b32_e32 v2, 0
	v_mov_b32_e32 v3, s8
	s_waitcnt lgkmcnt(0)
	global_atomic_add v2, v2, v3, s[10:11] glc
.LBB41_3:
	s_or_b64 exec, exec, s[6:7]
	s_waitcnt vmcnt(0)
	v_readfirstlane_b32 s6, v2
	v_add_u32_e32 v1, s6, v1
	v_mov_b32_e32 v2, 0
	ds_write_b32 v2, v1
.LBB41_4:
	s_or_b64 exec, exec, s[2:3]
	s_load_dwordx8 s[56:63], s[4:5], 0x0
	s_load_dword s2, s[4:5], 0x58
	s_load_dwordx8 s[64:71], s[4:5], 0x60
	v_mov_b32_e32 v1, 0
	s_waitcnt lgkmcnt(0)
	; wave barrier
	s_waitcnt lgkmcnt(0)
	ds_read_b32 v1, v1
	s_lshl_b64 s[58:59], s[58:59], 3
	s_add_u32 s4, s56, s58
	s_addc_u32 s5, s57, s59
	s_add_u32 s6, s60, s58
	s_mul_i32 s3, s73, s2
	s_mul_hi_u32 s8, s72, s2
	s_addc_u32 s7, s61, s59
	s_add_i32 s8, s8, s3
	s_waitcnt lgkmcnt(0)
	v_readfirstlane_b32 s55, v1
	s_mul_i32 s9, s72, s2
	s_cmp_lg_u64 s[68:69], 0
	s_mov_b32 s3, 0
	s_mul_i32 s2, s55, 0x4c0
	s_cselect_b64 s[68:69], -1, 0
	s_lshl_b64 s[56:57], s[2:3], 3
	s_add_u32 s60, s4, s56
	s_addc_u32 s61, s5, s57
	s_add_u32 s78, s6, s56
	s_addc_u32 s79, s7, s57
	;; [unrolled: 2-line block ×3, first 2 shown]
	s_add_u32 s4, s64, -1
	s_addc_u32 s5, s65, -1
	v_pk_mov_b32 v[2:3], s[4:5], s[4:5] op_sel:[0,1]
	v_cmp_ge_u64_e64 s[2:3], s[74:75], v[2:3]
	s_mov_b64 s[10:11], 0
	s_mov_b64 s[6:7], -1
	s_and_b64 vcc, exec, s[2:3]
	s_mul_i32 s33, s4, 0xfffffb40
	s_waitcnt lgkmcnt(0)
	; wave barrier
	s_waitcnt lgkmcnt(0)
	s_waitcnt lgkmcnt(0)
	; wave barrier
	s_cbranch_vccz .LBB41_106
; %bb.5:
	v_pk_mov_b32 v[2:3], s[60:61], s[60:61] op_sel:[0,1]
	flat_load_dwordx2 v[2:3], v[2:3]
	s_add_i32 s81, s33, s54
	v_cmp_gt_u32_e64 s[6:7], s81, v0
	s_waitcnt vmcnt(0) lgkmcnt(0)
	v_pk_mov_b32 v[4:5], v[2:3], v[2:3] op_sel:[0,1]
	s_and_saveexec_b64 s[4:5], s[6:7]
	s_cbranch_execz .LBB41_7
; %bb.6:
	v_lshlrev_b32_e32 v1, 3, v0
	v_mov_b32_e32 v5, s61
	v_add_co_u32_e32 v4, vcc, s60, v1
	v_addc_co_u32_e32 v5, vcc, 0, v5, vcc
	flat_load_dwordx2 v[4:5], v[4:5]
.LBB41_7:
	s_or_b64 exec, exec, s[4:5]
	v_or_b32_e32 v1, 64, v0
	v_cmp_gt_u32_e64 s[8:9], s81, v1
	v_pk_mov_b32 v[6:7], v[2:3], v[2:3] op_sel:[0,1]
	s_and_saveexec_b64 s[4:5], s[8:9]
	s_cbranch_execz .LBB41_9
; %bb.8:
	v_lshlrev_b32_e32 v1, 3, v0
	v_mov_b32_e32 v7, s61
	v_add_co_u32_e32 v6, vcc, s60, v1
	v_addc_co_u32_e32 v7, vcc, 0, v7, vcc
	flat_load_dwordx2 v[6:7], v[6:7] offset:512
.LBB41_9:
	s_or_b64 exec, exec, s[4:5]
	v_or_b32_e32 v1, 0x80, v0
	v_cmp_gt_u32_e64 s[10:11], s81, v1
	v_pk_mov_b32 v[8:9], v[2:3], v[2:3] op_sel:[0,1]
	s_and_saveexec_b64 s[4:5], s[10:11]
	s_cbranch_execz .LBB41_11
; %bb.10:
	v_lshlrev_b32_e32 v1, 3, v0
	v_mov_b32_e32 v9, s61
	v_add_co_u32_e32 v8, vcc, s60, v1
	v_addc_co_u32_e32 v9, vcc, 0, v9, vcc
	flat_load_dwordx2 v[8:9], v[8:9] offset:1024
.LBB41_11:
	;; [unrolled: 13-line block ×7, first 2 shown]
	s_or_b64 exec, exec, s[4:5]
	v_or_b32_e32 v1, 0x200, v0
	v_cmp_gt_u32_e64 s[22:23], s81, v1
	v_lshlrev_b32_e32 v1, 3, v1
	v_pk_mov_b32 v[20:21], v[2:3], v[2:3] op_sel:[0,1]
	s_and_saveexec_b64 s[4:5], s[22:23]
	s_cbranch_execz .LBB41_23
; %bb.22:
	v_mov_b32_e32 v21, s61
	v_add_co_u32_e32 v20, vcc, s60, v1
	v_addc_co_u32_e32 v21, vcc, 0, v21, vcc
	flat_load_dwordx2 v[20:21], v[20:21]
.LBB41_23:
	s_or_b64 exec, exec, s[4:5]
	v_or_b32_e32 v22, 0x240, v0
	v_cmp_gt_u32_e64 s[24:25], s81, v22
	v_lshlrev_b32_e32 v40, 3, v22
	v_pk_mov_b32 v[22:23], v[2:3], v[2:3] op_sel:[0,1]
	s_and_saveexec_b64 s[4:5], s[24:25]
	s_cbranch_execz .LBB41_25
; %bb.24:
	v_mov_b32_e32 v23, s61
	v_add_co_u32_e32 v22, vcc, s60, v40
	v_addc_co_u32_e32 v23, vcc, 0, v23, vcc
	flat_load_dwordx2 v[22:23], v[22:23]
.LBB41_25:
	;; [unrolled: 13-line block ×10, first 2 shown]
	s_or_b64 exec, exec, s[4:5]
	v_or_b32_e32 v48, 0x480, v0
	v_cmp_gt_u32_e64 s[44:45], s81, v48
	v_lshlrev_b32_e32 v51, 3, v48
	s_and_saveexec_b64 s[4:5], s[44:45]
	s_cbranch_execz .LBB41_43
; %bb.42:
	v_mov_b32_e32 v3, s61
	v_add_co_u32_e32 v2, vcc, s60, v51
	v_addc_co_u32_e32 v3, vcc, 0, v3, vcc
	flat_load_dwordx2 v[2:3], v[2:3]
.LBB41_43:
	s_or_b64 exec, exec, s[4:5]
	v_lshlrev_b32_e32 v50, 3, v0
	s_movk_i32 s4, 0x90
	v_mad_u32_u24 v48, v0, s4, v50
	s_waitcnt vmcnt(0) lgkmcnt(0)
	ds_write2st64_b64 v50, v[4:5], v[6:7] offset1:1
	ds_write2st64_b64 v50, v[8:9], v[10:11] offset0:2 offset1:3
	ds_write2st64_b64 v50, v[12:13], v[14:15] offset0:4 offset1:5
	ds_write2st64_b64 v50, v[16:17], v[18:19] offset0:6 offset1:7
	ds_write2st64_b64 v50, v[20:21], v[22:23] offset0:8 offset1:9
	ds_write2st64_b64 v50, v[24:25], v[26:27] offset0:10 offset1:11
	ds_write2st64_b64 v50, v[28:29], v[30:31] offset0:12 offset1:13
	ds_write2st64_b64 v50, v[32:33], v[34:35] offset0:14 offset1:15
	ds_write2st64_b64 v50, v[36:37], v[38:39] offset0:16 offset1:17
	ds_write_b64 v50, v[2:3] offset:9216
	s_waitcnt lgkmcnt(0)
	; wave barrier
	s_waitcnt lgkmcnt(0)
	ds_read2_b64 v[106:109], v48 offset1:1
	ds_read2_b64 v[102:105], v48 offset0:2 offset1:3
	ds_read2_b64 v[98:101], v48 offset0:4 offset1:5
	;; [unrolled: 1-line block ×8, first 2 shown]
	ds_read_b64 v[4:5], v48 offset:144
	s_cmp_eq_u64 s[74:75], 0
	s_mov_b64 s[4:5], s[60:61]
	s_cbranch_scc1 .LBB41_47
; %bb.44:
	s_andn2_b64 vcc, exec, s[68:69]
	s_cbranch_vccnz .LBB41_259
; %bb.45:
	s_lshl_b64 s[4:5], s[74:75], 3
	s_add_u32 s4, s70, s4
	s_addc_u32 s5, s71, s5
	s_add_u32 s4, s4, -8
	s_addc_u32 s5, s5, -1
	s_cbranch_execnz .LBB41_47
.LBB41_46:
	s_add_u32 s4, s60, -8
	s_addc_u32 s5, s61, -1
.LBB41_47:
	v_pk_mov_b32 v[2:3], s[4:5], s[4:5] op_sel:[0,1]
	flat_load_dwordx2 v[8:9], v[2:3]
	s_movk_i32 s4, 0xff70
	v_mad_i32_i24 v2, v0, s4, v48
	s_waitcnt lgkmcnt(0)
	ds_write_b64 v2, v[4:5] offset:9728
	s_waitcnt lgkmcnt(0)
	; wave barrier
	s_waitcnt lgkmcnt(0)
	s_and_saveexec_b64 s[4:5], s[46:47]
	s_cbranch_execz .LBB41_49
; %bb.48:
	v_mul_i32_i24_e32 v2, 0xffffff70, v0
	v_add_u32_e32 v2, v48, v2
	s_waitcnt vmcnt(0)
	ds_read_b64 v[8:9], v2 offset:9720
.LBB41_49:
	s_or_b64 exec, exec, s[4:5]
	s_waitcnt lgkmcnt(0)
	; wave barrier
	s_waitcnt lgkmcnt(0)
                                        ; implicit-def: $vgpr2_vgpr3
	s_and_saveexec_b64 s[4:5], s[6:7]
	s_cbranch_execnz .LBB41_241
; %bb.50:
	s_or_b64 exec, exec, s[4:5]
                                        ; implicit-def: $vgpr6_vgpr7
	s_and_saveexec_b64 s[4:5], s[8:9]
	s_cbranch_execnz .LBB41_242
.LBB41_51:
	s_or_b64 exec, exec, s[4:5]
                                        ; implicit-def: $vgpr10_vgpr11
	s_and_saveexec_b64 s[4:5], s[10:11]
	s_cbranch_execnz .LBB41_243
.LBB41_52:
	s_or_b64 exec, exec, s[4:5]
                                        ; implicit-def: $vgpr12_vgpr13
	s_and_saveexec_b64 s[4:5], s[12:13]
	s_cbranch_execnz .LBB41_244
.LBB41_53:
	s_or_b64 exec, exec, s[4:5]
                                        ; implicit-def: $vgpr14_vgpr15
	s_and_saveexec_b64 s[4:5], s[14:15]
	s_cbranch_execnz .LBB41_245
.LBB41_54:
	s_or_b64 exec, exec, s[4:5]
                                        ; implicit-def: $vgpr16_vgpr17
	s_and_saveexec_b64 s[4:5], s[16:17]
	s_cbranch_execnz .LBB41_246
.LBB41_55:
	s_or_b64 exec, exec, s[4:5]
                                        ; implicit-def: $vgpr18_vgpr19
	s_and_saveexec_b64 s[4:5], s[18:19]
	s_cbranch_execnz .LBB41_247
.LBB41_56:
	s_or_b64 exec, exec, s[4:5]
                                        ; implicit-def: $vgpr20_vgpr21
	s_and_saveexec_b64 s[4:5], s[20:21]
	s_cbranch_execnz .LBB41_248
.LBB41_57:
	s_or_b64 exec, exec, s[4:5]
                                        ; implicit-def: $vgpr22_vgpr23
	s_and_saveexec_b64 s[4:5], s[22:23]
	s_cbranch_execnz .LBB41_249
.LBB41_58:
	s_or_b64 exec, exec, s[4:5]
                                        ; implicit-def: $vgpr24_vgpr25
	s_and_saveexec_b64 s[4:5], s[24:25]
	s_cbranch_execnz .LBB41_250
.LBB41_59:
	s_or_b64 exec, exec, s[4:5]
                                        ; implicit-def: $vgpr26_vgpr27
	s_and_saveexec_b64 s[4:5], s[26:27]
	s_cbranch_execnz .LBB41_251
.LBB41_60:
	s_or_b64 exec, exec, s[4:5]
                                        ; implicit-def: $vgpr28_vgpr29
	s_and_saveexec_b64 s[4:5], s[28:29]
	s_cbranch_execnz .LBB41_252
.LBB41_61:
	s_or_b64 exec, exec, s[4:5]
                                        ; implicit-def: $vgpr30_vgpr31
	s_and_saveexec_b64 s[4:5], s[30:31]
	s_cbranch_execnz .LBB41_253
.LBB41_62:
	s_or_b64 exec, exec, s[4:5]
                                        ; implicit-def: $vgpr32_vgpr33
	s_and_saveexec_b64 s[4:5], s[34:35]
	s_cbranch_execnz .LBB41_254
.LBB41_63:
	s_or_b64 exec, exec, s[4:5]
                                        ; implicit-def: $vgpr34_vgpr35
	s_and_saveexec_b64 s[4:5], s[36:37]
	s_cbranch_execnz .LBB41_255
.LBB41_64:
	s_or_b64 exec, exec, s[4:5]
                                        ; implicit-def: $vgpr36_vgpr37
	s_and_saveexec_b64 s[4:5], s[38:39]
	s_cbranch_execnz .LBB41_256
.LBB41_65:
	s_or_b64 exec, exec, s[4:5]
                                        ; implicit-def: $vgpr38_vgpr39
	s_and_saveexec_b64 s[4:5], s[40:41]
	s_cbranch_execnz .LBB41_257
.LBB41_66:
	s_or_b64 exec, exec, s[4:5]
                                        ; implicit-def: $vgpr40_vgpr41
	s_and_saveexec_b64 s[4:5], s[42:43]
	s_cbranch_execnz .LBB41_258
.LBB41_67:
	s_or_b64 exec, exec, s[4:5]
                                        ; implicit-def: $vgpr42_vgpr43
	s_and_saveexec_b64 s[4:5], s[44:45]
	s_cbranch_execz .LBB41_69
.LBB41_68:
	v_mov_b32_e32 v1, s79
	v_add_co_u32_e32 v42, vcc, s78, v51
	v_addc_co_u32_e32 v43, vcc, 0, v1, vcc
	flat_load_dwordx2 v[42:43], v[42:43]
.LBB41_69:
	s_or_b64 exec, exec, s[4:5]
	v_mul_u32_u24_e32 v49, 19, v0
	s_waitcnt vmcnt(0) lgkmcnt(0)
	ds_write2st64_b64 v50, v[2:3], v[6:7] offset1:1
	ds_write2st64_b64 v50, v[10:11], v[12:13] offset0:2 offset1:3
	ds_write2st64_b64 v50, v[14:15], v[16:17] offset0:4 offset1:5
	;; [unrolled: 1-line block ×8, first 2 shown]
	ds_write_b64 v50, v[42:43] offset:9216
	v_pk_mov_b32 v[6:7], 0, 0
	v_cmp_gt_u32_e32 vcc, s81, v49
	s_mov_b64 s[10:11], 0
	s_mov_b64 s[6:7], 0
	s_mov_b32 s80, 0
	v_mov_b32_e32 v110, 0
	v_mov_b32_e32 v126, 0
	v_pk_mov_b32 v[62:63], v[6:7], v[6:7] op_sel:[0,1]
	v_mov_b32_e32 v125, 0
	v_pk_mov_b32 v[70:71], v[6:7], v[6:7] op_sel:[0,1]
	;; [unrolled: 2-line block ×17, first 2 shown]
	s_waitcnt lgkmcnt(0)
	; wave barrier
	s_waitcnt lgkmcnt(0)
                                        ; implicit-def: $sgpr4_sgpr5
	s_and_saveexec_b64 s[8:9], vcc
	s_cbranch_execz .LBB41_105
; %bb.70:
	ds_read_b64 v[2:3], v48
	v_cmp_ne_u64_e32 vcc, v[8:9], v[106:107]
	v_add_u32_e32 v6, 1, v49
	v_cndmask_b32_e64 v1, 0, 1, vcc
	v_cmp_gt_u32_e32 vcc, s81, v6
	v_pk_mov_b32 v[6:7], 0, 0
	s_mov_b64 s[12:13], 0
	s_mov_b64 s[4:5], 0
	v_mov_b32_e32 v110, 0
	v_mov_b32_e32 v126, 0
	v_pk_mov_b32 v[62:63], v[6:7], v[6:7] op_sel:[0,1]
	v_mov_b32_e32 v125, 0
	v_pk_mov_b32 v[70:71], v[6:7], v[6:7] op_sel:[0,1]
	;; [unrolled: 2-line block ×16, first 2 shown]
                                        ; implicit-def: $sgpr14_sgpr15
	s_and_saveexec_b64 s[10:11], vcc
	s_cbranch_execz .LBB41_104
; %bb.71:
	ds_read2_b64 v[14:17], v48 offset0:1 offset1:2
	v_cmp_ne_u64_e32 vcc, v[106:107], v[108:109]
	v_add_u32_e32 v6, 2, v49
	v_cndmask_b32_e64 v112, 0, 1, vcc
	v_cmp_gt_u32_e32 vcc, s81, v6
	v_pk_mov_b32 v[6:7], 0, 0
	s_mov_b64 s[16:17], 0
	v_mov_b32_e32 v110, 0
	v_mov_b32_e32 v126, 0
	v_pk_mov_b32 v[62:63], v[6:7], v[6:7] op_sel:[0,1]
	v_mov_b32_e32 v125, 0
	v_pk_mov_b32 v[70:71], v[6:7], v[6:7] op_sel:[0,1]
	;; [unrolled: 2-line block ×15, first 2 shown]
                                        ; implicit-def: $sgpr14_sgpr15
	s_and_saveexec_b64 s[12:13], vcc
	s_cbranch_execz .LBB41_103
; %bb.72:
	v_cmp_ne_u64_e32 vcc, v[108:109], v[102:103]
	v_add_u32_e32 v6, 3, v49
	v_cndmask_b32_e64 v111, 0, 1, vcc
	v_cmp_gt_u32_e32 vcc, s81, v6
	v_pk_mov_b32 v[6:7], 0, 0
	s_waitcnt lgkmcnt(0)
	v_mov_b32_e32 v10, v16
	v_mov_b32_e32 v11, v17
	;; [unrolled: 1-line block ×4, first 2 shown]
	v_pk_mov_b32 v[62:63], v[6:7], v[6:7] op_sel:[0,1]
	v_mov_b32_e32 v125, 0
	v_pk_mov_b32 v[70:71], v[6:7], v[6:7] op_sel:[0,1]
	v_mov_b32_e32 v124, 0
	;; [unrolled: 2-line block ×13, first 2 shown]
	v_pk_mov_b32 v[22:23], v[6:7], v[6:7] op_sel:[0,1]
                                        ; implicit-def: $sgpr18_sgpr19
	s_and_saveexec_b64 s[14:15], vcc
	s_cbranch_execz .LBB41_102
; %bb.73:
	ds_read2_b64 v[22:25], v48 offset0:3 offset1:4
	v_cmp_ne_u64_e32 vcc, v[102:103], v[104:105]
	v_add_u32_e32 v6, 4, v49
	v_cndmask_b32_e64 v113, 0, 1, vcc
	v_cmp_gt_u32_e32 vcc, s81, v6
	v_pk_mov_b32 v[6:7], 0, 0
	s_mov_b64 s[20:21], 0
	v_mov_b32_e32 v110, 0
	v_mov_b32_e32 v126, 0
	v_pk_mov_b32 v[62:63], v[6:7], v[6:7] op_sel:[0,1]
	v_mov_b32_e32 v125, 0
	v_pk_mov_b32 v[70:71], v[6:7], v[6:7] op_sel:[0,1]
	;; [unrolled: 2-line block ×13, first 2 shown]
                                        ; implicit-def: $sgpr18_sgpr19
	s_and_saveexec_b64 s[16:17], vcc
	s_cbranch_execz .LBB41_101
; %bb.74:
	v_cmp_ne_u64_e32 vcc, v[104:105], v[98:99]
	v_add_u32_e32 v6, 5, v49
	v_cndmask_b32_e64 v114, 0, 1, vcc
	v_cmp_gt_u32_e32 vcc, s81, v6
	v_pk_mov_b32 v[6:7], 0, 0
	s_waitcnt lgkmcnt(0)
	v_mov_b32_e32 v18, v24
	v_mov_b32_e32 v19, v25
	;; [unrolled: 1-line block ×4, first 2 shown]
	v_pk_mov_b32 v[62:63], v[6:7], v[6:7] op_sel:[0,1]
	v_mov_b32_e32 v125, 0
	v_pk_mov_b32 v[70:71], v[6:7], v[6:7] op_sel:[0,1]
	v_mov_b32_e32 v124, 0
	;; [unrolled: 2-line block ×11, first 2 shown]
	v_pk_mov_b32 v[34:35], v[6:7], v[6:7] op_sel:[0,1]
                                        ; implicit-def: $sgpr22_sgpr23
	s_and_saveexec_b64 s[18:19], vcc
	s_cbranch_execz .LBB41_100
; %bb.75:
	ds_read2_b64 v[34:37], v48 offset0:5 offset1:6
	v_cmp_ne_u64_e32 vcc, v[98:99], v[100:101]
	v_add_u32_e32 v6, 6, v49
	v_cndmask_b32_e64 v115, 0, 1, vcc
	v_cmp_gt_u32_e32 vcc, s81, v6
	v_pk_mov_b32 v[6:7], 0, 0
	s_mov_b64 s[24:25], 0
	v_mov_b32_e32 v110, 0
	v_mov_b32_e32 v126, 0
	v_pk_mov_b32 v[62:63], v[6:7], v[6:7] op_sel:[0,1]
	v_mov_b32_e32 v125, 0
	v_pk_mov_b32 v[70:71], v[6:7], v[6:7] op_sel:[0,1]
	;; [unrolled: 2-line block ×11, first 2 shown]
                                        ; implicit-def: $sgpr22_sgpr23
	s_and_saveexec_b64 s[20:21], vcc
	s_cbranch_execz .LBB41_99
; %bb.76:
	v_cmp_ne_u64_e32 vcc, v[100:101], v[94:95]
	v_add_u32_e32 v6, 7, v49
	v_cndmask_b32_e64 v116, 0, 1, vcc
	v_cmp_gt_u32_e32 vcc, s81, v6
	v_pk_mov_b32 v[6:7], 0, 0
	s_waitcnt lgkmcnt(0)
	v_mov_b32_e32 v26, v36
	v_mov_b32_e32 v27, v37
	;; [unrolled: 1-line block ×4, first 2 shown]
	v_pk_mov_b32 v[62:63], v[6:7], v[6:7] op_sel:[0,1]
	v_mov_b32_e32 v125, 0
	v_pk_mov_b32 v[70:71], v[6:7], v[6:7] op_sel:[0,1]
	v_mov_b32_e32 v124, 0
	;; [unrolled: 2-line block ×9, first 2 shown]
	v_pk_mov_b32 v[42:43], v[6:7], v[6:7] op_sel:[0,1]
                                        ; implicit-def: $sgpr26_sgpr27
	s_and_saveexec_b64 s[22:23], vcc
	s_cbranch_execz .LBB41_98
; %bb.77:
	ds_read2_b64 v[42:45], v48 offset0:7 offset1:8
	v_cmp_ne_u64_e32 vcc, v[94:95], v[96:97]
	v_add_u32_e32 v6, 8, v49
	v_cndmask_b32_e64 v117, 0, 1, vcc
	v_cmp_gt_u32_e32 vcc, s81, v6
	v_pk_mov_b32 v[6:7], 0, 0
	s_mov_b64 s[28:29], 0
	v_mov_b32_e32 v110, 0
	v_mov_b32_e32 v126, 0
	v_pk_mov_b32 v[62:63], v[6:7], v[6:7] op_sel:[0,1]
	v_mov_b32_e32 v125, 0
	v_pk_mov_b32 v[70:71], v[6:7], v[6:7] op_sel:[0,1]
	;; [unrolled: 2-line block ×9, first 2 shown]
                                        ; implicit-def: $sgpr26_sgpr27
	s_and_saveexec_b64 s[24:25], vcc
	s_cbranch_execz .LBB41_97
; %bb.78:
	v_cmp_ne_u64_e32 vcc, v[96:97], v[90:91]
	v_add_u32_e32 v6, 9, v49
	v_cndmask_b32_e64 v118, 0, 1, vcc
	v_cmp_gt_u32_e32 vcc, s81, v6
	v_pk_mov_b32 v[6:7], 0, 0
	s_waitcnt lgkmcnt(0)
	v_mov_b32_e32 v30, v44
	v_mov_b32_e32 v31, v45
	;; [unrolled: 1-line block ×4, first 2 shown]
	v_pk_mov_b32 v[62:63], v[6:7], v[6:7] op_sel:[0,1]
	v_mov_b32_e32 v125, 0
	v_pk_mov_b32 v[70:71], v[6:7], v[6:7] op_sel:[0,1]
	v_mov_b32_e32 v124, 0
	;; [unrolled: 2-line block ×7, first 2 shown]
	v_pk_mov_b32 v[50:51], v[6:7], v[6:7] op_sel:[0,1]
                                        ; implicit-def: $sgpr30_sgpr31
	s_and_saveexec_b64 s[26:27], vcc
	s_cbranch_execz .LBB41_96
; %bb.79:
	ds_read2_b64 v[50:53], v48 offset0:9 offset1:10
	v_cmp_ne_u64_e32 vcc, v[90:91], v[92:93]
	v_add_u32_e32 v6, 10, v49
	v_cndmask_b32_e64 v119, 0, 1, vcc
	v_cmp_gt_u32_e32 vcc, s81, v6
	v_pk_mov_b32 v[6:7], 0, 0
	s_mov_b64 s[34:35], 0
	v_mov_b32_e32 v110, 0
	v_mov_b32_e32 v126, 0
	v_pk_mov_b32 v[62:63], v[6:7], v[6:7] op_sel:[0,1]
	v_mov_b32_e32 v125, 0
	v_pk_mov_b32 v[70:71], v[6:7], v[6:7] op_sel:[0,1]
	;; [unrolled: 2-line block ×7, first 2 shown]
                                        ; implicit-def: $sgpr30_sgpr31
	s_and_saveexec_b64 s[28:29], vcc
	s_cbranch_execz .LBB41_95
; %bb.80:
	v_cmp_ne_u64_e32 vcc, v[92:93], v[86:87]
	v_add_u32_e32 v6, 11, v49
	v_cndmask_b32_e64 v120, 0, 1, vcc
	v_cmp_gt_u32_e32 vcc, s81, v6
	v_pk_mov_b32 v[6:7], 0, 0
	s_waitcnt lgkmcnt(0)
	v_mov_b32_e32 v38, v52
	v_mov_b32_e32 v39, v53
	;; [unrolled: 1-line block ×4, first 2 shown]
	v_pk_mov_b32 v[62:63], v[6:7], v[6:7] op_sel:[0,1]
	v_mov_b32_e32 v125, 0
	v_pk_mov_b32 v[70:71], v[6:7], v[6:7] op_sel:[0,1]
	v_mov_b32_e32 v124, 0
	;; [unrolled: 2-line block ×5, first 2 shown]
	v_pk_mov_b32 v[58:59], v[6:7], v[6:7] op_sel:[0,1]
                                        ; implicit-def: $sgpr36_sgpr37
	s_and_saveexec_b64 s[30:31], vcc
	s_cbranch_execz .LBB41_94
; %bb.81:
	ds_read2_b64 v[58:61], v48 offset0:11 offset1:12
	v_cmp_ne_u64_e32 vcc, v[86:87], v[88:89]
	v_add_u32_e32 v6, 12, v49
	v_cndmask_b32_e64 v121, 0, 1, vcc
	v_cmp_gt_u32_e32 vcc, s81, v6
	v_pk_mov_b32 v[6:7], 0, 0
	s_mov_b64 s[38:39], 0
	v_mov_b32_e32 v110, 0
	v_mov_b32_e32 v126, 0
	v_pk_mov_b32 v[62:63], v[6:7], v[6:7] op_sel:[0,1]
	v_mov_b32_e32 v125, 0
	v_pk_mov_b32 v[70:71], v[6:7], v[6:7] op_sel:[0,1]
	;; [unrolled: 2-line block ×5, first 2 shown]
                                        ; implicit-def: $sgpr36_sgpr37
	s_and_saveexec_b64 s[34:35], vcc
	s_cbranch_execz .LBB41_93
; %bb.82:
	v_cmp_ne_u64_e32 vcc, v[88:89], v[82:83]
	v_add_u32_e32 v6, 13, v49
	v_cndmask_b32_e64 v122, 0, 1, vcc
	v_cmp_gt_u32_e32 vcc, s81, v6
	v_pk_mov_b32 v[6:7], 0, 0
	s_waitcnt lgkmcnt(0)
	v_mov_b32_e32 v46, v60
	v_mov_b32_e32 v47, v61
	;; [unrolled: 1-line block ×4, first 2 shown]
	v_pk_mov_b32 v[62:63], v[6:7], v[6:7] op_sel:[0,1]
	v_mov_b32_e32 v125, 0
	v_pk_mov_b32 v[70:71], v[6:7], v[6:7] op_sel:[0,1]
	v_mov_b32_e32 v124, 0
	;; [unrolled: 2-line block ×3, first 2 shown]
	v_pk_mov_b32 v[66:67], v[6:7], v[6:7] op_sel:[0,1]
                                        ; implicit-def: $sgpr40_sgpr41
	s_and_saveexec_b64 s[36:37], vcc
	s_cbranch_execz .LBB41_92
; %bb.83:
	ds_read2_b64 v[66:69], v48 offset0:13 offset1:14
	v_cmp_ne_u64_e32 vcc, v[82:83], v[84:85]
	v_add_u32_e32 v6, 14, v49
	v_cndmask_b32_e64 v123, 0, 1, vcc
	v_cmp_gt_u32_e32 vcc, s81, v6
	v_pk_mov_b32 v[6:7], 0, 0
	s_mov_b64 s[42:43], 0
	v_mov_b32_e32 v110, 0
	v_mov_b32_e32 v126, 0
	v_pk_mov_b32 v[62:63], v[6:7], v[6:7] op_sel:[0,1]
	v_mov_b32_e32 v125, 0
	v_pk_mov_b32 v[70:71], v[6:7], v[6:7] op_sel:[0,1]
	;; [unrolled: 2-line block ×3, first 2 shown]
                                        ; implicit-def: $sgpr40_sgpr41
	s_and_saveexec_b64 s[38:39], vcc
	s_cbranch_execz .LBB41_91
; %bb.84:
	v_cmp_ne_u64_e32 vcc, v[84:85], v[78:79]
	v_add_u32_e32 v6, 15, v49
	v_cndmask_b32_e64 v124, 0, 1, vcc
	v_cmp_gt_u32_e32 vcc, s81, v6
	v_pk_mov_b32 v[6:7], 0, 0
	s_waitcnt lgkmcnt(0)
	v_mov_b32_e32 v54, v68
	v_mov_b32_e32 v55, v69
	;; [unrolled: 1-line block ×4, first 2 shown]
	v_pk_mov_b32 v[62:63], v[6:7], v[6:7] op_sel:[0,1]
	v_mov_b32_e32 v125, 0
	v_pk_mov_b32 v[70:71], v[6:7], v[6:7] op_sel:[0,1]
                                        ; implicit-def: $sgpr44_sgpr45
	s_and_saveexec_b64 s[40:41], vcc
	s_cbranch_execz .LBB41_90
; %bb.85:
	ds_read2_b64 v[70:73], v48 offset0:15 offset1:16
	v_cmp_ne_u64_e32 vcc, v[78:79], v[80:81]
	v_add_u32_e32 v6, 16, v49
	v_cndmask_b32_e64 v125, 0, 1, vcc
	v_cmp_gt_u32_e32 vcc, s81, v6
	v_pk_mov_b32 v[6:7], 0, 0
	s_mov_b64 s[44:45], 0
	v_mov_b32_e32 v110, 0
	v_mov_b32_e32 v126, 0
	v_pk_mov_b32 v[62:63], v[6:7], v[6:7] op_sel:[0,1]
                                        ; implicit-def: $sgpr64_sgpr65
	s_and_saveexec_b64 s[42:43], vcc
	s_cbranch_execz .LBB41_89
; %bb.86:
	v_cmp_ne_u64_e32 vcc, v[80:81], v[74:75]
	v_add_u32_e32 v6, 17, v49
	s_waitcnt lgkmcnt(0)
	v_mov_b32_e32 v62, v72
	v_mov_b32_e32 v63, v73
	v_cndmask_b32_e64 v126, 0, 1, vcc
	v_cmp_gt_u32_e32 vcc, s81, v6
	v_mov_b32_e32 v110, 0
	v_pk_mov_b32 v[6:7], 0, 0
                                        ; implicit-def: $sgpr64_sgpr65
	s_and_saveexec_b64 s[4:5], vcc
	s_xor_b64 s[76:77], exec, s[4:5]
	s_cbranch_execz .LBB41_88
; %bb.87:
	ds_read2_b64 v[6:9], v48 offset0:17 offset1:18
	v_cmp_ne_u64_e32 vcc, v[76:77], v[4:5]
	v_cmp_ne_u64_e64 s[4:5], v[74:75], v[76:77]
	v_add_u32_e32 v4, 18, v49
	v_cndmask_b32_e64 v110, 0, 1, s[4:5]
	v_cmp_gt_u32_e64 s[4:5], s81, v4
	s_and_b64 s[64:65], vcc, exec
	s_and_b64 s[44:45], s[4:5], exec
	s_waitcnt lgkmcnt(0)
	v_pk_mov_b32 v[64:65], v[6:7], v[6:7] op_sel:[0,1]
.LBB41_88:
	s_or_b64 exec, exec, s[76:77]
	s_and_b64 s[64:65], s[64:65], exec
	s_and_b64 s[4:5], s[44:45], exec
.LBB41_89:
	s_or_b64 exec, exec, s[42:43]
	s_and_b64 s[44:45], s[64:65], exec
	s_and_b64 s[42:43], s[4:5], exec
	s_waitcnt lgkmcnt(0)
	v_pk_mov_b32 v[56:57], v[70:71], v[70:71] op_sel:[0,1]
	v_pk_mov_b32 v[48:49], v[66:67], v[66:67] op_sel:[0,1]
	;; [unrolled: 1-line block ×8, first 2 shown]
.LBB41_90:
	s_or_b64 exec, exec, s[40:41]
	s_and_b64 s[40:41], s[44:45], exec
	s_and_b64 s[4:5], s[42:43], exec
.LBB41_91:
	s_or_b64 exec, exec, s[38:39]
	s_and_b64 s[40:41], s[40:41], exec
	s_and_b64 s[38:39], s[4:5], exec
.LBB41_92:
	s_or_b64 exec, exec, s[36:37]
	s_and_b64 s[36:37], s[40:41], exec
	s_and_b64 s[4:5], s[38:39], exec
.LBB41_93:
	s_or_b64 exec, exec, s[34:35]
	s_and_b64 s[36:37], s[36:37], exec
	s_and_b64 s[34:35], s[4:5], exec
.LBB41_94:
	s_or_b64 exec, exec, s[30:31]
	s_and_b64 s[30:31], s[36:37], exec
	s_and_b64 s[4:5], s[34:35], exec
.LBB41_95:
	s_or_b64 exec, exec, s[28:29]
	s_and_b64 s[30:31], s[30:31], exec
	s_and_b64 s[28:29], s[4:5], exec
.LBB41_96:
	s_or_b64 exec, exec, s[26:27]
	s_and_b64 s[26:27], s[30:31], exec
	s_and_b64 s[4:5], s[28:29], exec
.LBB41_97:
	s_or_b64 exec, exec, s[24:25]
	s_and_b64 s[26:27], s[26:27], exec
	s_and_b64 s[24:25], s[4:5], exec
.LBB41_98:
	s_or_b64 exec, exec, s[22:23]
	s_and_b64 s[22:23], s[26:27], exec
	s_and_b64 s[4:5], s[24:25], exec
.LBB41_99:
	s_or_b64 exec, exec, s[20:21]
	s_and_b64 s[22:23], s[22:23], exec
	s_and_b64 s[20:21], s[4:5], exec
.LBB41_100:
	s_or_b64 exec, exec, s[18:19]
	s_and_b64 s[18:19], s[22:23], exec
	s_and_b64 s[4:5], s[20:21], exec
.LBB41_101:
	s_or_b64 exec, exec, s[16:17]
	s_and_b64 s[18:19], s[18:19], exec
	s_and_b64 s[16:17], s[4:5], exec
.LBB41_102:
	s_or_b64 exec, exec, s[14:15]
	s_and_b64 s[14:15], s[18:19], exec
	s_and_b64 s[4:5], s[16:17], exec
.LBB41_103:
	s_or_b64 exec, exec, s[12:13]
	s_and_b64 s[14:15], s[14:15], exec
	s_and_b64 s[12:13], s[4:5], exec
.LBB41_104:
	s_or_b64 exec, exec, s[10:11]
	s_and_b64 s[4:5], s[14:15], exec
	s_and_b64 s[10:11], s[12:13], exec
.LBB41_105:
	s_or_b64 exec, exec, s[8:9]
	s_mov_b64 s[8:9], 0
	s_and_b64 vcc, exec, s[6:7]
	v_lshlrev_b32_e32 v127, 3, v0
	s_cbranch_vccnz .LBB41_107
	s_branch .LBB41_115
.LBB41_106:
                                        ; implicit-def: $sgpr4_sgpr5
                                        ; implicit-def: $vgpr8_vgpr9
                                        ; implicit-def: $vgpr110
                                        ; implicit-def: $vgpr64_vgpr65
                                        ; implicit-def: $vgpr126
                                        ; implicit-def: $vgpr125
                                        ; implicit-def: $vgpr56_vgpr57
                                        ; implicit-def: $vgpr124
                                        ; implicit-def: $vgpr123
                                        ; implicit-def: $vgpr48_vgpr49
                                        ; implicit-def: $vgpr122
                                        ; implicit-def: $vgpr121
                                        ; implicit-def: $vgpr40_vgpr41
                                        ; implicit-def: $vgpr120
                                        ; implicit-def: $vgpr119
                                        ; implicit-def: $vgpr32_vgpr33
                                        ; implicit-def: $vgpr118
                                        ; implicit-def: $vgpr117
                                        ; implicit-def: $vgpr28_vgpr29
                                        ; implicit-def: $vgpr116
                                        ; implicit-def: $vgpr115
                                        ; implicit-def: $vgpr20_vgpr21
                                        ; implicit-def: $vgpr114
                                        ; implicit-def: $vgpr113
                                        ; implicit-def: $vgpr12_vgpr13
                                        ; implicit-def: $vgpr111
                                        ; implicit-def: $vgpr112
                                        ; implicit-def: $vgpr4_vgpr5
                                        ; implicit-def: $vgpr1
                                        ; implicit-def: $sgpr80
                                        ; implicit-def: $sgpr8_sgpr9
                                        ; implicit-def: $vgpr70_vgpr71
                                        ; implicit-def: $vgpr66_vgpr67
                                        ; implicit-def: $vgpr58_vgpr59
                                        ; implicit-def: $vgpr50_vgpr51
                                        ; implicit-def: $vgpr42_vgpr43
                                        ; implicit-def: $vgpr34_vgpr35
                                        ; implicit-def: $vgpr22_vgpr23
                                        ; implicit-def: $vgpr14_vgpr15
	s_and_b64 vcc, exec, s[6:7]
	v_lshlrev_b32_e32 v127, 3, v0
	s_cbranch_vccz .LBB41_115
.LBB41_107:
	v_mov_b32_e32 v1, s61
	s_waitcnt lgkmcnt(0)
	v_add_co_u32_e32 v2, vcc, s60, v127
	v_addc_co_u32_e32 v3, vcc, 0, v1, vcc
	v_add_co_u32_e32 v20, vcc, 0x1000, v2
	v_addc_co_u32_e32 v21, vcc, 0, v3, vcc
	flat_load_dwordx2 v[4:5], v[2:3]
	flat_load_dwordx2 v[6:7], v[2:3] offset:512
	flat_load_dwordx2 v[8:9], v[2:3] offset:1024
	;; [unrolled: 1-line block ×7, first 2 shown]
	v_add_co_u32_e32 v2, vcc, 0x2000, v2
	v_addc_co_u32_e32 v3, vcc, 0, v3, vcc
	flat_load_dwordx2 v[22:23], v[20:21]
	flat_load_dwordx2 v[24:25], v[20:21] offset:512
	flat_load_dwordx2 v[26:27], v[20:21] offset:1024
	;; [unrolled: 1-line block ×7, first 2 shown]
	s_nop 0
	flat_load_dwordx2 v[20:21], v[2:3]
	flat_load_dwordx2 v[38:39], v[2:3] offset:512
	flat_load_dwordx2 v[40:41], v[2:3] offset:1024
	s_movk_i32 s4, 0x90
	v_mad_u32_u24 v1, v0, s4, v127
	s_cmp_eq_u64 s[74:75], 0
	s_waitcnt vmcnt(0) lgkmcnt(0)
	ds_write2st64_b64 v127, v[4:5], v[6:7] offset1:1
	ds_write2st64_b64 v127, v[8:9], v[10:11] offset0:2 offset1:3
	ds_write2st64_b64 v127, v[12:13], v[14:15] offset0:4 offset1:5
	;; [unrolled: 1-line block ×8, first 2 shown]
	ds_write_b64 v127, v[40:41] offset:9216
	s_waitcnt lgkmcnt(0)
	; wave barrier
	s_waitcnt lgkmcnt(0)
	ds_read2_b64 v[14:17], v1 offset1:1
	ds_read2_b64 v[2:5], v1 offset0:2 offset1:3
	ds_read2_b64 v[6:9], v1 offset0:4 offset1:5
	;; [unrolled: 1-line block ×8, first 2 shown]
	ds_read_b64 v[38:39], v1 offset:144
	s_cbranch_scc1 .LBB41_112
; %bb.108:
	s_andn2_b64 vcc, exec, s[68:69]
	s_cbranch_vccnz .LBB41_260
; %bb.109:
	s_lshl_b64 s[4:5], s[74:75], 3
	s_add_u32 s4, s70, s4
	s_addc_u32 s5, s71, s5
	s_add_u32 s4, s4, -8
	s_addc_u32 s5, s5, -1
	s_cbranch_execnz .LBB41_111
.LBB41_110:
	s_add_u32 s4, s60, -8
	s_addc_u32 s5, s61, -1
.LBB41_111:
	s_mov_b64 s[60:61], s[4:5]
.LBB41_112:
	v_pk_mov_b32 v[40:41], s[60:61], s[60:61] op_sel:[0,1]
	flat_load_dwordx2 v[42:43], v[40:41]
	s_movk_i32 s4, 0xff70
	v_mad_i32_i24 v40, v0, s4, v1
	s_waitcnt lgkmcnt(0)
	ds_write_b64 v40, v[38:39] offset:9728
	s_waitcnt lgkmcnt(0)
	; wave barrier
	s_waitcnt lgkmcnt(0)
	s_and_saveexec_b64 s[4:5], s[46:47]
	s_cbranch_execz .LBB41_114
; %bb.113:
	v_mul_i32_i24_e32 v40, 0xffffff70, v0
	v_add_u32_e32 v40, v1, v40
	s_waitcnt vmcnt(0)
	ds_read_b64 v[42:43], v40 offset:9720
.LBB41_114:
	s_or_b64 exec, exec, s[4:5]
	v_mov_b32_e32 v41, s79
	v_add_co_u32_e32 v40, vcc, s78, v127
	v_addc_co_u32_e32 v41, vcc, 0, v41, vcc
	s_movk_i32 s4, 0x1000
	v_add_co_u32_e32 v60, vcc, s4, v40
	v_addc_co_u32_e32 v61, vcc, 0, v41, vcc
	s_movk_i32 s4, 0x2000
	s_waitcnt lgkmcnt(0)
	; wave barrier
	s_waitcnt lgkmcnt(0)
	flat_load_dwordx2 v[44:45], v[40:41]
	flat_load_dwordx2 v[46:47], v[40:41] offset:512
	flat_load_dwordx2 v[48:49], v[40:41] offset:1024
	;; [unrolled: 1-line block ×7, first 2 shown]
	v_add_co_u32_e32 v40, vcc, s4, v40
	v_addc_co_u32_e32 v41, vcc, 0, v41, vcc
	flat_load_dwordx2 v[62:63], v[60:61]
	flat_load_dwordx2 v[64:65], v[60:61] offset:512
	flat_load_dwordx2 v[66:67], v[60:61] offset:1024
	;; [unrolled: 1-line block ×7, first 2 shown]
	s_nop 0
	flat_load_dwordx2 v[60:61], v[40:41]
	flat_load_dwordx2 v[78:79], v[40:41] offset:512
	flat_load_dwordx2 v[80:81], v[40:41] offset:1024
	v_cmp_ne_u64_e32 vcc, v[34:35], v[36:37]
	v_cndmask_b32_e64 v110, 0, 1, vcc
	v_cmp_ne_u64_e32 vcc, v[32:33], v[34:35]
	v_cndmask_b32_e64 v126, 0, 1, vcc
	;; [unrolled: 2-line block ×14, first 2 shown]
	v_cmp_ne_u64_e32 vcc, v[2:3], v[4:5]
	v_cmp_ne_u64_e64 s[4:5], v[36:37], v[38:39]
	v_cndmask_b32_e64 v113, 0, 1, vcc
	v_cmp_ne_u64_e32 vcc, v[16:17], v[2:3]
	v_cndmask_b32_e64 v111, 0, 1, vcc
	v_cmp_ne_u64_e32 vcc, v[14:15], v[16:17]
	v_cndmask_b32_e64 v112, 0, 1, vcc
	s_waitcnt vmcnt(0)
	v_cmp_ne_u64_e32 vcc, v[42:43], v[14:15]
	s_mov_b64 s[10:11], -1
                                        ; implicit-def: $sgpr80
                                        ; implicit-def: $sgpr8_sgpr9
                                        ; implicit-def: $vgpr42_vgpr43
                                        ; implicit-def: $vgpr34_vgpr35
                                        ; implicit-def: $vgpr22_vgpr23
                                        ; implicit-def: $vgpr14_vgpr15
	s_waitcnt lgkmcnt(0)
	ds_write2st64_b64 v127, v[44:45], v[46:47] offset1:1
	ds_write2st64_b64 v127, v[48:49], v[50:51] offset0:2 offset1:3
	ds_write2st64_b64 v127, v[52:53], v[54:55] offset0:4 offset1:5
	;; [unrolled: 1-line block ×8, first 2 shown]
	ds_write_b64 v127, v[80:81] offset:9216
	s_waitcnt lgkmcnt(0)
	; wave barrier
	s_waitcnt lgkmcnt(0)
	ds_read2_b64 v[2:5], v1 offset1:1
	ds_read2_b64 v[10:13], v1 offset0:2 offset1:3
	ds_read2_b64 v[18:21], v1 offset0:4 offset1:5
	;; [unrolled: 1-line block ×8, first 2 shown]
	ds_read_b64 v[8:9], v1 offset:144
	v_cndmask_b32_e64 v1, 0, 1, vcc
                                        ; implicit-def: $vgpr70_vgpr71
                                        ; implicit-def: $vgpr66_vgpr67
                                        ; implicit-def: $vgpr58_vgpr59
                                        ; implicit-def: $vgpr50_vgpr51
.LBB41_115:
	s_waitcnt lgkmcnt(0)
	v_pk_mov_b32 v[16:17], s[8:9], s[8:9] op_sel:[0,1]
	v_mov_b32_e32 v36, s80
	s_and_saveexec_b64 s[6:7], s[10:11]
; %bb.116:
	v_cndmask_b32_e64 v36, 0, 1, s[4:5]
	v_pk_mov_b32 v[14:15], v[4:5], v[4:5] op_sel:[0,1]
	v_pk_mov_b32 v[22:23], v[12:13], v[12:13] op_sel:[0,1]
	;; [unrolled: 1-line block ×10, first 2 shown]
; %bb.117:
	s_or_b64 exec, exec, s[6:7]
	v_or_b32_e32 v4, v36, v110
	s_cmp_lg_u32 s55, 0
	v_or_b32_e32 v29, v4, v126
	v_mbcnt_lo_u32_b32 v28, -1, 0
	s_waitcnt lgkmcnt(0)
	; wave barrier
	s_cbranch_scc0 .LBB41_176
; %bb.118:
	v_mov_b32_e32 v4, 0
	v_cmp_eq_u16_sdwa s[42:43], v112, v4 src0_sel:BYTE_0 src1_sel:DWORD
	v_cndmask_b32_e64 v9, 0, v2, s[42:43]
	v_cndmask_b32_e64 v5, 0, v3, s[42:43]
	v_add_co_u32_e32 v9, vcc, v9, v14
	v_cmp_eq_u16_sdwa s[40:41], v111, v4 src0_sel:BYTE_0 src1_sel:DWORD
	v_addc_co_u32_e32 v5, vcc, v5, v15, vcc
	v_cndmask_b32_e64 v9, 0, v9, s[40:41]
	v_cndmask_b32_e64 v5, 0, v5, s[40:41]
	v_add_co_u32_e32 v9, vcc, v9, v10
	v_cmp_eq_u16_sdwa s[38:39], v113, v4 src0_sel:BYTE_0 src1_sel:DWORD
	v_addc_co_u32_e32 v5, vcc, v5, v11, vcc
	;; [unrolled: 5-line block ×16, first 2 shown]
	v_cndmask_b32_e64 v9, 0, v9, s[8:9]
	v_add_co_u32_e32 v9, vcc, v9, v6
	v_cmp_eq_u16_sdwa s[6:7], v36, v4 src0_sel:BYTE_0 src1_sel:DWORD
	v_cndmask_b32_e64 v4, 0, v9, s[6:7]
	v_or_b32_e32 v9, v29, v125
	v_or_b32_e32 v9, v9, v124
	v_or_b32_e32 v9, v9, v123
	v_or_b32_e32 v9, v9, v122
	v_or_b32_e32 v9, v9, v121
	v_or_b32_e32 v9, v9, v120
	v_or_b32_e32 v9, v9, v119
	v_or_b32_e32 v9, v9, v118
	v_or_b32_e32 v9, v9, v117
	v_or_b32_e32 v9, v9, v116
	v_or_b32_e32 v9, v9, v115
	v_or_b32_e32 v9, v9, v114
	v_cndmask_b32_e64 v5, 0, v5, s[8:9]
	v_or_b32_e32 v9, v9, v113
	v_addc_co_u32_e32 v5, vcc, v5, v7, vcc
	v_or_b32_e32 v9, v9, v111
	v_cndmask_b32_e64 v5, 0, v5, s[6:7]
	v_add_co_u32_e32 v4, vcc, v4, v16
	v_or_b32_e32 v9, v9, v112
	v_addc_co_u32_e32 v5, vcc, v5, v17, vcc
	v_and_b32_e32 v9, 1, v9
	v_and_b32_e32 v8, 0xff, v1
	v_cmp_eq_u32_e32 vcc, 1, v9
	v_mbcnt_hi_u32_b32 v9, -1, v28
	v_cndmask_b32_e64 v8, v8, 1, vcc
	v_and_b32_e32 v12, 15, v9
	v_mov_b32_dpp v20, v4 row_shr:1 row_mask:0xf bank_mask:0xf
	v_mov_b32_dpp v21, v5 row_shr:1 row_mask:0xf bank_mask:0xf
	;; [unrolled: 1-line block ×3, first 2 shown]
	v_cmp_ne_u32_e32 vcc, 0, v12
	s_and_saveexec_b64 s[4:5], vcc
; %bb.119:
	v_cmp_eq_u32_e32 vcc, 0, v8
	v_cndmask_b32_e32 v20, 0, v20, vcc
	v_cndmask_b32_e32 v21, 0, v21, vcc
	v_add_co_u32_e32 v4, vcc, v20, v4
	v_addc_co_u32_e32 v5, vcc, v21, v5, vcc
	v_and_or_b32 v8, v13, 1, v8
; %bb.120:
	s_or_b64 exec, exec, s[4:5]
	v_mov_b32_dpp v20, v4 row_shr:2 row_mask:0xf bank_mask:0xf
	v_mov_b32_dpp v21, v5 row_shr:2 row_mask:0xf bank_mask:0xf
	v_mov_b32_dpp v13, v8 row_shr:2 row_mask:0xf bank_mask:0xf
	v_cmp_lt_u32_e32 vcc, 1, v12
	s_and_saveexec_b64 s[4:5], vcc
; %bb.121:
	v_cmp_eq_u32_e32 vcc, 0, v8
	v_cndmask_b32_e32 v20, 0, v20, vcc
	v_cndmask_b32_e32 v21, 0, v21, vcc
	v_add_co_u32_e32 v4, vcc, v20, v4
	v_or_b32_e32 v8, v13, v8
	v_addc_co_u32_e32 v5, vcc, v21, v5, vcc
	v_and_b32_e32 v8, 1, v8
; %bb.122:
	s_or_b64 exec, exec, s[4:5]
	v_mov_b32_dpp v20, v4 row_shr:4 row_mask:0xf bank_mask:0xf
	v_mov_b32_dpp v21, v5 row_shr:4 row_mask:0xf bank_mask:0xf
	v_mov_b32_dpp v13, v8 row_shr:4 row_mask:0xf bank_mask:0xf
	v_cmp_lt_u32_e32 vcc, 3, v12
	s_and_saveexec_b64 s[4:5], vcc
; %bb.123:
	v_cmp_eq_u32_e32 vcc, 0, v8
	v_cndmask_b32_e32 v20, 0, v20, vcc
	v_cndmask_b32_e32 v21, 0, v21, vcc
	v_add_co_u32_e32 v4, vcc, v20, v4
	v_or_b32_e32 v8, v13, v8
	v_addc_co_u32_e32 v5, vcc, v21, v5, vcc
	v_and_b32_e32 v8, 1, v8
	;; [unrolled: 15-line block ×3, first 2 shown]
; %bb.126:
	s_or_b64 exec, exec, s[4:5]
	v_and_b32_e32 v21, 16, v9
	v_mov_b32_dpp v13, v4 row_bcast:15 row_mask:0xf bank_mask:0xf
	v_mov_b32_dpp v20, v5 row_bcast:15 row_mask:0xf bank_mask:0xf
	v_mov_b32_dpp v12, v8 row_bcast:15 row_mask:0xf bank_mask:0xf
	v_cmp_ne_u32_e32 vcc, 0, v21
	s_and_saveexec_b64 s[4:5], vcc
; %bb.127:
	v_cmp_eq_u32_e32 vcc, 0, v8
	v_cndmask_b32_e32 v13, 0, v13, vcc
	v_cndmask_b32_e32 v20, 0, v20, vcc
	v_add_co_u32_e32 v4, vcc, v13, v4
	v_or_b32_e32 v8, v12, v8
	v_addc_co_u32_e32 v5, vcc, v20, v5, vcc
	v_and_b32_e32 v8, 1, v8
; %bb.128:
	s_or_b64 exec, exec, s[4:5]
	v_mov_b32_dpp v20, v4 row_bcast:31 row_mask:0xf bank_mask:0xf
	v_mov_b32_dpp v21, v5 row_bcast:31 row_mask:0xf bank_mask:0xf
	;; [unrolled: 1-line block ×3, first 2 shown]
	v_cmp_lt_u32_e32 vcc, 31, v9
	v_mov_b32_e32 v12, v8
	s_and_saveexec_b64 s[4:5], vcc
; %bb.129:
	v_cmp_eq_u32_e32 vcc, 0, v8
	v_cndmask_b32_e32 v20, 0, v20, vcc
	v_cndmask_b32_e32 v12, 0, v21, vcc
	v_add_co_u32_e32 v4, vcc, v20, v4
	v_or_b32_e32 v8, v13, v8
	v_addc_co_u32_e32 v5, vcc, v12, v5, vcc
	v_and_b32_e32 v12, 1, v8
	v_and_b32_e32 v8, 1, v8
; %bb.130:
	s_or_b64 exec, exec, s[4:5]
	v_cmp_eq_u32_e32 vcc, 63, v0
	s_and_saveexec_b64 s[4:5], vcc
	s_cbranch_execz .LBB41_132
; %bb.131:
	v_mov_b32_e32 v13, 0
	ds_write_b64 v13, v[4:5]
	ds_write_b8 v13, v12 offset:8
.LBB41_132:
	s_or_b64 exec, exec, s[4:5]
	v_add_u32_e32 v12, -1, v9
	v_and_b32_e32 v13, 64, v9
	v_cmp_lt_i32_e32 vcc, v12, v13
	v_cndmask_b32_e32 v12, v12, v9, vcc
	v_lshlrev_b32_e32 v12, 2, v12
	ds_bpermute_b32 v33, v12, v4
	ds_bpermute_b32 v37, v12, v5
	;; [unrolled: 1-line block ×3, first 2 shown]
	v_cmp_gt_u32_e32 vcc, 64, v0
	s_waitcnt lgkmcnt(0)
	; wave barrier
	s_waitcnt lgkmcnt(0)
	s_and_saveexec_b64 s[60:61], vcc
	s_cbranch_execz .LBB41_175
; %bb.133:
	v_mov_b32_e32 v13, 0
	ds_read_b64 v[4:5], v13
	ds_read_u8 v40, v13 offset:8
	s_mov_b32 s65, 0
	v_cmp_eq_u32_e64 s[44:45], 0, v9
	s_and_saveexec_b64 s[4:5], s[44:45]
	s_cbranch_execz .LBB41_135
; %bb.134:
	s_add_i32 s64, s55, 64
	s_lshl_b64 s[68:69], s[64:65], 4
	s_add_u32 s68, s48, s68
	s_addc_u32 s69, s49, s69
	v_mov_b32_e32 v8, s64
	v_mov_b32_e32 v12, 1
	s_waitcnt lgkmcnt(1)
	global_store_dwordx2 v13, v[4:5], s[68:69]
	s_waitcnt lgkmcnt(0)
	global_store_byte v13, v40, s[68:69] offset:8
	s_waitcnt vmcnt(0)
	buffer_wbinvl1_vol
	global_store_byte v8, v12, s[52:53]
.LBB41_135:
	s_or_b64 exec, exec, s[4:5]
	v_xad_u32 v8, v9, -1, s55
	v_add_u32_e32 v12, 64, v8
	global_load_ubyte v41, v12, s[52:53] glc
	s_waitcnt vmcnt(0)
	v_cmp_eq_u16_e32 vcc, 0, v41
	s_and_saveexec_b64 s[4:5], vcc
	s_cbranch_execz .LBB41_139
; %bb.136:
	v_mov_b32_e32 v21, s53
	v_add_co_u32_e32 v20, vcc, s52, v12
	v_addc_co_u32_e32 v21, vcc, 0, v21, vcc
	s_mov_b64 s[64:65], 0
.LBB41_137:                             ; =>This Inner Loop Header: Depth=1
	global_load_ubyte v41, v[20:21], off glc
	s_waitcnt vmcnt(0)
	v_cmp_ne_u16_e32 vcc, 0, v41
	s_or_b64 s[64:65], vcc, s[64:65]
	s_andn2_b64 exec, exec, s[64:65]
	s_cbranch_execnz .LBB41_137
; %bb.138:
	s_or_b64 exec, exec, s[64:65]
.LBB41_139:
	s_or_b64 exec, exec, s[4:5]
	v_mov_b32_e32 v20, s51
	v_mov_b32_e32 v21, s49
	v_cmp_eq_u16_e32 vcc, 1, v41
	v_cndmask_b32_e32 v20, v20, v21, vcc
	v_mov_b32_e32 v21, s50
	v_mov_b32_e32 v24, s48
	v_cndmask_b32_e32 v21, v21, v24, vcc
	v_lshlrev_b64 v[12:13], 4, v[12:13]
	v_add_co_u32_e32 v12, vcc, v21, v12
	v_addc_co_u32_e32 v13, vcc, v20, v13, vcc
	s_waitcnt lgkmcnt(0)
	buffer_wbinvl1_vol
	global_load_dwordx2 v[24:25], v[12:13], off
	global_load_ubyte v72, v[12:13], off offset:8
	v_cmp_eq_u16_e32 vcc, 2, v41
	v_lshlrev_b64 v[12:13], v9, -1
	v_and_b32_e32 v44, 63, v9
	v_and_b32_e32 v20, vcc_hi, v13
	v_and_b32_e32 v53, vcc_lo, v12
	v_cmp_ne_u32_e32 vcc, 63, v44
	v_addc_co_u32_e32 v21, vcc, 0, v9, vcc
	v_lshlrev_b32_e32 v45, 2, v21
	v_or_b32_e32 v20, 0x80000000, v20
	v_ffbl_b32_e32 v20, v20
	v_add_u32_e32 v20, 32, v20
	v_ffbl_b32_e32 v53, v53
	v_min_u32_e32 v20, v53, v20
	v_cmp_lt_u32_e32 vcc, v44, v20
	s_waitcnt vmcnt(1)
	ds_bpermute_b32 v49, v45, v24
	s_waitcnt vmcnt(0)
	v_and_b32_e32 v21, 1, v72
	ds_bpermute_b32 v52, v45, v25
	ds_bpermute_b32 v48, v45, v21
	s_and_saveexec_b64 s[4:5], vcc
	s_cbranch_execz .LBB41_141
; %bb.140:
	v_mov_b32_e32 v21, 0
	v_cmp_eq_u16_sdwa vcc, v72, v21 src0_sel:BYTE_0 src1_sel:DWORD
	s_waitcnt lgkmcnt(2)
	v_cndmask_b32_e32 v49, 0, v49, vcc
	s_waitcnt lgkmcnt(1)
	v_cndmask_b32_e32 v21, 0, v52, vcc
	v_add_co_u32_e32 v24, vcc, v49, v24
	v_addc_co_u32_e32 v25, vcc, v21, v25, vcc
	s_waitcnt lgkmcnt(0)
	v_and_b32_e32 v21, 1, v48
	v_or_b32_e32 v72, v21, v72
	v_and_b32_e32 v21, 0xff, v72
.LBB41_141:
	s_or_b64 exec, exec, s[4:5]
	v_cmp_gt_u32_e32 vcc, 62, v44
	s_waitcnt lgkmcnt(0)
	v_cndmask_b32_e64 v48, 0, 1, vcc
	v_lshlrev_b32_e32 v48, 1, v48
	v_add_lshl_u32 v48, v48, v9, 2
	ds_bpermute_b32 v53, v48, v24
	ds_bpermute_b32 v56, v48, v25
	ds_bpermute_b32 v52, v48, v21
	v_add_u32_e32 v49, 2, v44
	v_cmp_le_u32_e32 vcc, v49, v20
	s_and_saveexec_b64 s[64:65], vcc
	s_cbranch_execz .LBB41_143
; %bb.142:
	v_mov_b32_e32 v21, 0
	v_cmp_eq_u16_sdwa vcc, v72, v21 src0_sel:BYTE_0 src1_sel:DWORD
	s_waitcnt lgkmcnt(2)
	v_cndmask_b32_e32 v53, 0, v53, vcc
	s_waitcnt lgkmcnt(1)
	v_cndmask_b32_e32 v21, 0, v56, vcc
	v_add_co_u32_e32 v24, vcc, v53, v24
	v_addc_co_u32_e32 v25, vcc, v21, v25, vcc
	v_and_b32_e32 v21, 1, v72
	v_cmp_eq_u32_e32 vcc, 1, v21
	s_waitcnt lgkmcnt(0)
	v_and_b32_e32 v21, 1, v52
	v_cmp_eq_u32_e64 s[4:5], 1, v21
	s_or_b64 s[4:5], vcc, s[4:5]
	v_cndmask_b32_e64 v72, 0, 1, s[4:5]
	v_cndmask_b32_e64 v21, 0, 1, s[4:5]
.LBB41_143:
	s_or_b64 exec, exec, s[64:65]
	v_cmp_gt_u32_e32 vcc, 60, v44
	s_waitcnt lgkmcnt(0)
	v_cndmask_b32_e64 v52, 0, 1, vcc
	v_lshlrev_b32_e32 v52, 2, v52
	v_add_lshl_u32 v52, v52, v9, 2
	ds_bpermute_b32 v57, v52, v24
	ds_bpermute_b32 v60, v52, v25
	ds_bpermute_b32 v56, v52, v21
	v_add_u32_e32 v53, 4, v44
	v_cmp_le_u32_e32 vcc, v53, v20
	s_and_saveexec_b64 s[64:65], vcc
	s_cbranch_execz .LBB41_145
; %bb.144:
	v_mov_b32_e32 v21, 0
	v_cmp_eq_u16_sdwa vcc, v72, v21 src0_sel:BYTE_0 src1_sel:DWORD
	s_waitcnt lgkmcnt(2)
	v_cndmask_b32_e32 v57, 0, v57, vcc
	s_waitcnt lgkmcnt(1)
	v_cndmask_b32_e32 v21, 0, v60, vcc
	v_add_co_u32_e32 v24, vcc, v57, v24
	v_addc_co_u32_e32 v25, vcc, v21, v25, vcc
	v_and_b32_e32 v21, 1, v72
	v_cmp_eq_u32_e32 vcc, 1, v21
	s_waitcnt lgkmcnt(0)
	v_and_b32_e32 v21, 1, v56
	v_cmp_eq_u32_e64 s[4:5], 1, v21
	s_or_b64 s[4:5], vcc, s[4:5]
	v_cndmask_b32_e64 v72, 0, 1, s[4:5]
	v_cndmask_b32_e64 v21, 0, 1, s[4:5]
.LBB41_145:
	;; [unrolled: 31-line block ×4, first 2 shown]
	s_or_b64 exec, exec, s[64:65]
	v_cmp_gt_u32_e32 vcc, 32, v44
	s_waitcnt lgkmcnt(0)
	v_cndmask_b32_e64 v64, 0, 1, vcc
	v_lshlrev_b32_e32 v64, 5, v64
	v_add_lshl_u32 v65, v64, v9, 2
	ds_bpermute_b32 v64, v65, v24
	ds_bpermute_b32 v69, v65, v25
	;; [unrolled: 1-line block ×3, first 2 shown]
	v_add_u32_e32 v68, 32, v44
	v_cmp_le_u32_e32 vcc, v68, v20
	s_and_saveexec_b64 s[64:65], vcc
	s_cbranch_execz .LBB41_151
; %bb.150:
	v_mov_b32_e32 v20, 0
	v_cmp_eq_u16_sdwa vcc, v72, v20 src0_sel:BYTE_0 src1_sel:DWORD
	s_waitcnt lgkmcnt(2)
	v_cndmask_b32_e32 v21, 0, v64, vcc
	s_waitcnt lgkmcnt(1)
	v_cndmask_b32_e32 v20, 0, v69, vcc
	v_add_co_u32_e32 v24, vcc, v21, v24
	v_addc_co_u32_e32 v25, vcc, v20, v25, vcc
	v_and_b32_e32 v20, 1, v72
	s_waitcnt lgkmcnt(0)
	v_and_b32_e32 v9, 1, v9
	v_cmp_eq_u32_e32 vcc, 1, v20
	v_cmp_eq_u32_e64 s[4:5], 1, v9
	s_or_b64 s[4:5], vcc, s[4:5]
	v_cndmask_b32_e64 v72, 0, 1, s[4:5]
.LBB41_151:
	s_or_b64 exec, exec, s[64:65]
	s_waitcnt lgkmcnt(0)
	v_mov_b32_e32 v9, 0
	v_mov_b32_e32 v69, 2
	s_branch .LBB41_153
.LBB41_152:                             ;   in Loop: Header=BB41_153 Depth=1
	s_or_b64 exec, exec, s[68:69]
	v_cmp_eq_u16_sdwa vcc, v64, v9 src0_sel:BYTE_0 src1_sel:DWORD
	v_cndmask_b32_e32 v24, 0, v24, vcc
	v_cndmask_b32_e32 v25, 0, v25, vcc
	v_add_co_u32_e32 v24, vcc, v24, v20
	v_addc_co_u32_e32 v25, vcc, v25, v21, vcc
	v_and_b32_e32 v72, 1, v64
	v_cmp_eq_u32_e32 vcc, 1, v72
	s_or_b64 s[4:5], vcc, s[64:65]
	v_subrev_u32_e32 v8, 64, v8
	v_cndmask_b32_e64 v72, 0, 1, s[4:5]
.LBB41_153:                             ; =>This Loop Header: Depth=1
                                        ;     Child Loop BB41_156 Depth 2
	v_cmp_ne_u16_sdwa s[4:5], v41, v69 src0_sel:BYTE_0 src1_sel:DWORD
	v_cndmask_b32_e64 v20, 0, 1, s[4:5]
	;;#ASMSTART
	;;#ASMEND
	v_cmp_ne_u32_e32 vcc, 0, v20
	v_mov_b32_e32 v64, v72
	s_cmp_lg_u64 vcc, exec
	v_pk_mov_b32 v[20:21], v[24:25], v[24:25] op_sel:[0,1]
	s_cbranch_scc1 .LBB41_170
; %bb.154:                              ;   in Loop: Header=BB41_153 Depth=1
	global_load_ubyte v41, v8, s[52:53] glc
	s_waitcnt vmcnt(0)
	v_cmp_eq_u16_e32 vcc, 0, v41
	s_and_saveexec_b64 s[4:5], vcc
	s_cbranch_execz .LBB41_158
; %bb.155:                              ;   in Loop: Header=BB41_153 Depth=1
	v_mov_b32_e32 v25, s53
	v_add_co_u32_e32 v24, vcc, s52, v8
	v_addc_co_u32_e32 v25, vcc, 0, v25, vcc
	s_mov_b64 s[64:65], 0
.LBB41_156:                             ;   Parent Loop BB41_153 Depth=1
                                        ; =>  This Inner Loop Header: Depth=2
	global_load_ubyte v41, v[24:25], off glc
	s_waitcnt vmcnt(0)
	v_cmp_ne_u16_e32 vcc, 0, v41
	s_or_b64 s[64:65], vcc, s[64:65]
	s_andn2_b64 exec, exec, s[64:65]
	s_cbranch_execnz .LBB41_156
; %bb.157:                              ;   in Loop: Header=BB41_153 Depth=1
	s_or_b64 exec, exec, s[64:65]
.LBB41_158:                             ;   in Loop: Header=BB41_153 Depth=1
	s_or_b64 exec, exec, s[4:5]
	v_mov_b32_e32 v24, s51
	v_mov_b32_e32 v25, s49
	v_cmp_eq_u16_e32 vcc, 1, v41
	v_cndmask_b32_e32 v73, v24, v25, vcc
	v_mov_b32_e32 v24, s50
	v_mov_b32_e32 v25, s48
	v_cndmask_b32_e32 v72, v24, v25, vcc
	v_lshlrev_b64 v[24:25], 4, v[8:9]
	v_add_co_u32_e32 v72, vcc, v72, v24
	v_addc_co_u32_e32 v73, vcc, v73, v25, vcc
	buffer_wbinvl1_vol
	global_load_dwordx2 v[24:25], v[72:73], off
	s_nop 0
	global_load_ubyte v72, v[72:73], off offset:8
	v_cmp_eq_u16_e32 vcc, 2, v41
	v_and_b32_e32 v73, vcc_hi, v13
	v_or_b32_e32 v73, 0x80000000, v73
	v_and_b32_e32 v78, vcc_lo, v12
	v_ffbl_b32_e32 v73, v73
	v_add_u32_e32 v73, 32, v73
	v_ffbl_b32_e32 v78, v78
	v_min_u32_e32 v73, v78, v73
	v_cmp_lt_u32_e32 vcc, v44, v73
	s_waitcnt vmcnt(1) lgkmcnt(1)
	ds_bpermute_b32 v76, v45, v24
	s_waitcnt vmcnt(0) lgkmcnt(1)
	v_and_b32_e32 v74, 1, v72
	ds_bpermute_b32 v77, v45, v25
	ds_bpermute_b32 v75, v45, v74
	s_and_saveexec_b64 s[4:5], vcc
	s_cbranch_execz .LBB41_160
; %bb.159:                              ;   in Loop: Header=BB41_153 Depth=1
	v_cmp_eq_u16_sdwa vcc, v72, v9 src0_sel:BYTE_0 src1_sel:DWORD
	s_waitcnt lgkmcnt(2)
	v_cndmask_b32_e32 v76, 0, v76, vcc
	s_waitcnt lgkmcnt(1)
	v_cndmask_b32_e32 v74, 0, v77, vcc
	v_add_co_u32_e32 v24, vcc, v76, v24
	v_addc_co_u32_e32 v25, vcc, v74, v25, vcc
	s_waitcnt lgkmcnt(0)
	v_and_b32_e32 v74, 1, v75
	v_or_b32_e32 v72, v74, v72
	v_and_b32_e32 v74, 0xff, v72
.LBB41_160:                             ;   in Loop: Header=BB41_153 Depth=1
	s_or_b64 exec, exec, s[4:5]
	s_waitcnt lgkmcnt(2)
	ds_bpermute_b32 v76, v48, v24
	s_waitcnt lgkmcnt(2)
	ds_bpermute_b32 v77, v48, v25
	;; [unrolled: 2-line block ×3, first 2 shown]
	v_and_b32_e32 v78, 1, v72
	v_cmp_le_u32_e32 vcc, v49, v73
	v_cmp_eq_u32_e64 s[64:65], 1, v78
	s_and_saveexec_b64 s[4:5], vcc
	s_cbranch_execz .LBB41_162
; %bb.161:                              ;   in Loop: Header=BB41_153 Depth=1
	v_cmp_eq_u16_sdwa vcc, v72, v9 src0_sel:BYTE_0 src1_sel:DWORD
	s_waitcnt lgkmcnt(2)
	v_cndmask_b32_e32 v74, 0, v76, vcc
	s_waitcnt lgkmcnt(1)
	v_cndmask_b32_e32 v72, 0, v77, vcc
	v_add_co_u32_e32 v24, vcc, v74, v24
	v_addc_co_u32_e32 v25, vcc, v72, v25, vcc
	s_waitcnt lgkmcnt(0)
	v_and_b32_e32 v72, 1, v75
	v_cmp_eq_u32_e32 vcc, 1, v72
	s_or_b64 s[68:69], s[64:65], vcc
	v_cndmask_b32_e64 v72, 0, 1, s[68:69]
	v_cndmask_b32_e64 v74, 0, 1, s[68:69]
	s_andn2_b64 s[64:65], s[64:65], exec
	s_and_b64 s[68:69], s[68:69], exec
	s_or_b64 s[64:65], s[64:65], s[68:69]
.LBB41_162:                             ;   in Loop: Header=BB41_153 Depth=1
	s_or_b64 exec, exec, s[4:5]
	s_waitcnt lgkmcnt(2)
	ds_bpermute_b32 v76, v52, v24
	s_waitcnt lgkmcnt(2)
	ds_bpermute_b32 v77, v52, v25
	s_waitcnt lgkmcnt(2)
	ds_bpermute_b32 v75, v52, v74
	v_cmp_le_u32_e32 vcc, v53, v73
	s_and_saveexec_b64 s[68:69], vcc
	s_cbranch_execz .LBB41_164
; %bb.163:                              ;   in Loop: Header=BB41_153 Depth=1
	v_cmp_eq_u16_sdwa vcc, v72, v9 src0_sel:BYTE_0 src1_sel:DWORD
	s_waitcnt lgkmcnt(2)
	v_cndmask_b32_e32 v76, 0, v76, vcc
	s_waitcnt lgkmcnt(1)
	v_cndmask_b32_e32 v74, 0, v77, vcc
	v_add_co_u32_e32 v24, vcc, v76, v24
	v_addc_co_u32_e32 v25, vcc, v74, v25, vcc
	v_and_b32_e32 v72, 1, v72
	v_cmp_eq_u32_e32 vcc, 1, v72
	s_waitcnt lgkmcnt(0)
	v_and_b32_e32 v72, 1, v75
	v_cmp_eq_u32_e64 s[4:5], 1, v72
	s_or_b64 s[4:5], vcc, s[4:5]
	v_cndmask_b32_e64 v72, 0, 1, s[4:5]
	v_cndmask_b32_e64 v74, 0, 1, s[4:5]
	s_andn2_b64 s[64:65], s[64:65], exec
	s_and_b64 s[4:5], s[4:5], exec
	s_or_b64 s[64:65], s[64:65], s[4:5]
.LBB41_164:                             ;   in Loop: Header=BB41_153 Depth=1
	s_or_b64 exec, exec, s[68:69]
	s_waitcnt lgkmcnt(2)
	ds_bpermute_b32 v76, v56, v24
	s_waitcnt lgkmcnt(2)
	ds_bpermute_b32 v77, v56, v25
	s_waitcnt lgkmcnt(2)
	ds_bpermute_b32 v75, v56, v74
	v_cmp_le_u32_e32 vcc, v57, v73
	s_and_saveexec_b64 s[68:69], vcc
	s_cbranch_execz .LBB41_166
; %bb.165:                              ;   in Loop: Header=BB41_153 Depth=1
	v_cmp_eq_u16_sdwa vcc, v72, v9 src0_sel:BYTE_0 src1_sel:DWORD
	s_waitcnt lgkmcnt(2)
	v_cndmask_b32_e32 v76, 0, v76, vcc
	s_waitcnt lgkmcnt(1)
	v_cndmask_b32_e32 v74, 0, v77, vcc
	v_add_co_u32_e32 v24, vcc, v76, v24
	v_addc_co_u32_e32 v25, vcc, v74, v25, vcc
	v_and_b32_e32 v72, 1, v72
	v_cmp_eq_u32_e32 vcc, 1, v72
	s_waitcnt lgkmcnt(0)
	v_and_b32_e32 v72, 1, v75
	v_cmp_eq_u32_e64 s[4:5], 1, v72
	s_or_b64 s[4:5], vcc, s[4:5]
	v_cndmask_b32_e64 v72, 0, 1, s[4:5]
	v_cndmask_b32_e64 v74, 0, 1, s[4:5]
	s_andn2_b64 s[64:65], s[64:65], exec
	s_and_b64 s[4:5], s[4:5], exec
	s_or_b64 s[64:65], s[64:65], s[4:5]
.LBB41_166:                             ;   in Loop: Header=BB41_153 Depth=1
	;; [unrolled: 30-line block ×3, first 2 shown]
	s_or_b64 exec, exec, s[68:69]
	s_waitcnt lgkmcnt(0)
	ds_bpermute_b32 v75, v65, v24
	ds_bpermute_b32 v76, v65, v25
	;; [unrolled: 1-line block ×3, first 2 shown]
	v_cmp_le_u32_e32 vcc, v68, v73
	s_and_saveexec_b64 s[68:69], vcc
	s_cbranch_execz .LBB41_152
; %bb.169:                              ;   in Loop: Header=BB41_153 Depth=1
	v_cmp_eq_u16_sdwa vcc, v72, v9 src0_sel:BYTE_0 src1_sel:DWORD
	s_waitcnt lgkmcnt(2)
	v_cndmask_b32_e32 v75, 0, v75, vcc
	s_waitcnt lgkmcnt(1)
	v_cndmask_b32_e32 v73, 0, v76, vcc
	v_add_co_u32_e32 v24, vcc, v75, v24
	v_addc_co_u32_e32 v25, vcc, v73, v25, vcc
	v_and_b32_e32 v72, 1, v72
	v_cmp_eq_u32_e32 vcc, 1, v72
	s_waitcnt lgkmcnt(0)
	v_and_b32_e32 v72, 1, v74
	v_cmp_eq_u32_e64 s[4:5], 1, v72
	s_or_b64 s[4:5], vcc, s[4:5]
	s_andn2_b64 s[64:65], s[64:65], exec
	s_and_b64 s[4:5], s[4:5], exec
	s_or_b64 s[64:65], s[64:65], s[4:5]
	s_branch .LBB41_152
.LBB41_170:                             ;   in Loop: Header=BB41_153 Depth=1
                                        ; implicit-def: $vgpr72
                                        ; implicit-def: $vgpr24_vgpr25
                                        ; implicit-def: $vgpr41
	s_cbranch_execz .LBB41_153
; %bb.171:
	s_and_saveexec_b64 s[4:5], s[44:45]
	s_cbranch_execz .LBB41_173
; %bb.172:
	v_mov_b32_e32 v8, 0
	s_mov_b32 s45, 0
	v_cmp_eq_u16_sdwa vcc, v40, v8 src0_sel:BYTE_0 src1_sel:DWORD
	s_add_i32 s44, s55, 64
	v_cndmask_b32_e32 v12, 0, v20, vcc
	s_lshl_b64 s[48:49], s[44:45], 4
	v_cndmask_b32_e32 v9, 0, v21, vcc
	v_add_co_u32_e32 v4, vcc, v12, v4
	s_add_u32 s48, s50, s48
	v_addc_co_u32_e32 v5, vcc, v9, v5, vcc
	v_or_b32_e32 v9, v40, v64
	s_addc_u32 s49, s51, s49
	v_and_b32_e32 v9, 1, v9
	global_store_dwordx2 v8, v[4:5], s[48:49]
	global_store_byte v8, v9, s[48:49] offset:8
	v_mov_b32_e32 v4, s44
	v_mov_b32_e32 v5, 2
	s_waitcnt vmcnt(0) lgkmcnt(0)
	buffer_wbinvl1_vol
	global_store_byte v4, v5, s[52:53]
.LBB41_173:
	s_or_b64 exec, exec, s[4:5]
	s_and_b64 exec, exec, s[0:1]
	s_cbranch_execz .LBB41_175
; %bb.174:
	v_mov_b32_e32 v4, 0
	ds_write_b64 v4, v[20:21]
	ds_write_b8 v4, v64 offset:8
.LBB41_175:
	s_or_b64 exec, exec, s[60:61]
	v_mov_b32_e32 v8, 0
	v_cmp_eq_u16_sdwa vcc, v1, v8 src0_sel:BYTE_0 src1_sel:DWORD
	v_and_b32_e32 v13, 1, v1
	v_cndmask_b32_e32 v9, 0, v33, vcc
	v_cndmask_b32_e32 v12, 0, v37, vcc
	v_cmp_eq_u32_e32 vcc, 1, v13
	v_and_b32_e32 v13, 1, v32
	s_waitcnt lgkmcnt(0)
	; wave barrier
	s_waitcnt lgkmcnt(0)
	ds_read_b64 v[4:5], v8
	v_cmp_eq_u32_e64 s[4:5], 1, v13
	s_or_b64 s[4:5], vcc, s[4:5]
	v_cndmask_b32_e64 v9, v9, 0, s[0:1]
	v_cndmask_b32_e64 v13, 0, 1, s[4:5]
	;; [unrolled: 1-line block ×3, first 2 shown]
	v_add_co_u32_e32 v9, vcc, v9, v2
	v_cndmask_b32_e64 v13, v13, v1, s[0:1]
	v_addc_co_u32_e32 v12, vcc, v12, v3, vcc
	v_cmp_eq_u16_sdwa vcc, v13, v8 src0_sel:BYTE_0 src1_sel:DWORD
	s_waitcnt lgkmcnt(0)
	v_cndmask_b32_e32 v4, 0, v4, vcc
	v_cndmask_b32_e32 v5, 0, v5, vcc
	v_add_co_u32_e32 v102, vcc, v9, v4
	v_addc_co_u32_e32 v103, vcc, v12, v5, vcc
	v_cndmask_b32_e64 v5, 0, v102, s[42:43]
	v_cndmask_b32_e64 v4, 0, v103, s[42:43]
	v_add_co_u32_e32 v40, vcc, v5, v14
	v_addc_co_u32_e32 v41, vcc, v4, v15, vcc
	v_cndmask_b32_e64 v5, 0, v40, s[40:41]
	v_cndmask_b32_e64 v4, 0, v41, s[40:41]
	;; [unrolled: 4-line block ×18, first 2 shown]
	v_add_co_u32_e32 v108, vcc, v5, v16
	v_addc_co_u32_e32 v109, vcc, v4, v17, vcc
	s_branch .LBB41_198
.LBB41_176:
                                        ; implicit-def: $vgpr100_vgpr101_vgpr102_vgpr103
                                        ; implicit-def: $vgpr108_vgpr109
                                        ; implicit-def: $vgpr106_vgpr107
                                        ; implicit-def: $vgpr68_vgpr69
                                        ; implicit-def: $vgpr64_vgpr65
                                        ; implicit-def: $vgpr60_vgpr61
                                        ; implicit-def: $vgpr56_vgpr57
                                        ; implicit-def: $vgpr52_vgpr53
                                        ; implicit-def: $vgpr48_vgpr49
                                        ; implicit-def: $vgpr44_vgpr45
                                        ; implicit-def: $vgpr40_vgpr41
                                        ; implicit-def: $vgpr96_vgpr97_vgpr98_vgpr99
                                        ; implicit-def: $vgpr92_vgpr93_vgpr94_vgpr95
                                        ; implicit-def: $vgpr88_vgpr89_vgpr90_vgpr91
                                        ; implicit-def: $vgpr84_vgpr85_vgpr86_vgpr87
                                        ; implicit-def: $vgpr80_vgpr81_vgpr82_vgpr83
                                        ; implicit-def: $vgpr76_vgpr77_vgpr78_vgpr79
                                        ; implicit-def: $vgpr72_vgpr73_vgpr74_vgpr75
                                        ; implicit-def: $vgpr102_vgpr103_vgpr104_vgpr105
	s_cbranch_execz .LBB41_198
; %bb.177:
	s_cmp_lg_u64 s[72:73], 0
	s_cselect_b32 s7, s67, 0
	s_cselect_b32 s6, s66, 0
	s_cmp_lg_u64 s[6:7], 0
	s_cselect_b64 s[4:5], -1, 0
	s_and_b64 s[8:9], s[0:1], s[4:5]
	s_and_saveexec_b64 s[4:5], s[8:9]
	s_cbranch_execz .LBB41_179
; %bb.178:
	v_mov_b32_e32 v8, 0
	global_load_dwordx2 v[4:5], v8, s[6:7]
	global_load_ubyte v9, v8, s[6:7] offset:8
	v_cmp_eq_u16_sdwa vcc, v1, v8 src0_sel:BYTE_0 src1_sel:DWORD
	s_waitcnt vmcnt(1)
	v_cndmask_b32_e32 v4, 0, v4, vcc
	v_cndmask_b32_e32 v5, 0, v5, vcc
	s_waitcnt vmcnt(0)
	v_or_b32_e32 v1, v1, v9
	v_add_co_u32_e32 v2, vcc, v4, v2
	v_addc_co_u32_e32 v3, vcc, v5, v3, vcc
	v_and_b32_e32 v1, 1, v1
.LBB41_179:
	s_or_b64 exec, exec, s[4:5]
	v_mov_b32_e32 v5, 0
	v_cmp_eq_u16_sdwa vcc, v112, v5 src0_sel:BYTE_0 src1_sel:DWORD
	v_cndmask_b32_e32 v9, 0, v2, vcc
	v_cndmask_b32_e32 v8, 0, v3, vcc
	v_add_co_u32_e64 v40, s[4:5], v9, v14
	v_cmp_eq_u16_sdwa s[6:7], v111, v5 src0_sel:BYTE_0 src1_sel:DWORD
	v_addc_co_u32_e64 v41, s[4:5], v8, v15, s[4:5]
	v_cndmask_b32_e64 v9, 0, v40, s[6:7]
	v_cndmask_b32_e64 v8, 0, v41, s[6:7]
	v_add_co_u32_e64 v72, s[4:5], v9, v10
	v_cmp_eq_u16_sdwa s[8:9], v113, v5 src0_sel:BYTE_0 src1_sel:DWORD
	v_addc_co_u32_e64 v73, s[4:5], v8, v11, s[4:5]
	v_cndmask_b32_e64 v9, 0, v72, s[8:9]
	v_cndmask_b32_e64 v8, 0, v73, s[8:9]
	;; [unrolled: 5-line block ×17, first 2 shown]
	v_add_co_u32_e64 v108, s[4:5], v8, v16
	v_addc_co_u32_e64 v109, s[4:5], v5, v17, s[4:5]
	v_or_b32_e32 v5, v29, v125
	v_or_b32_e32 v5, v5, v124
	;; [unrolled: 1-line block ×15, first 2 shown]
	v_and_b32_e32 v5, 1, v5
	v_and_b32_e32 v4, 0xff, v1
	v_cmp_eq_u32_e64 s[4:5], 1, v5
	v_mbcnt_hi_u32_b32 v12, -1, v28
	v_cndmask_b32_e64 v13, v4, 1, s[4:5]
	v_and_b32_e32 v20, 15, v12
	v_mov_b32_dpp v24, v108 row_shr:1 row_mask:0xf bank_mask:0xf
	v_mov_b32_dpp v25, v109 row_shr:1 row_mask:0xf bank_mask:0xf
	v_mov_b32_dpp v21, v13 row_shr:1 row_mask:0xf bank_mask:0xf
	v_cmp_ne_u32_e64 s[4:5], 0, v20
	v_pk_mov_b32 v[4:5], v[108:109], v[108:109] op_sel:[0,1]
	v_mov_b32_e32 v9, v109
	v_mov_b32_e32 v8, v108
	s_and_saveexec_b64 s[42:43], s[4:5]
; %bb.180:
	v_cmp_eq_u32_e64 s[4:5], 0, v13
	v_cndmask_b32_e64 v4, 0, v24, s[4:5]
	v_cndmask_b32_e64 v5, 0, v25, s[4:5]
	v_add_co_u32_e64 v4, s[4:5], v108, v4
	v_addc_co_u32_e64 v5, s[4:5], v109, v5, s[4:5]
	v_and_or_b32 v13, v21, 1, v13
	v_mov_b32_e32 v9, v5
	v_mov_b32_e32 v8, v4
; %bb.181:
	s_or_b64 exec, exec, s[42:43]
	s_nop 0
	v_mov_b32_dpp v24, v8 row_shr:2 row_mask:0xf bank_mask:0xf
	v_mov_b32_dpp v25, v9 row_shr:2 row_mask:0xf bank_mask:0xf
	v_mov_b32_dpp v21, v13 row_shr:2 row_mask:0xf bank_mask:0xf
	v_cmp_lt_u32_e64 s[4:5], 1, v20
	s_and_saveexec_b64 s[42:43], s[4:5]
; %bb.182:
	v_cmp_eq_u32_e64 s[4:5], 0, v13
	v_cndmask_b32_e64 v8, 0, v24, s[4:5]
	v_cndmask_b32_e64 v9, 0, v25, s[4:5]
	v_add_co_u32_e64 v8, s[4:5], v8, v4
	v_addc_co_u32_e64 v9, s[4:5], v9, v5, s[4:5]
	v_or_b32_e32 v4, v21, v13
	v_and_b32_e32 v13, 1, v4
	v_pk_mov_b32 v[4:5], v[8:9], v[8:9] op_sel:[0,1]
; %bb.183:
	s_or_b64 exec, exec, s[42:43]
	v_mov_b32_dpp v24, v8 row_shr:4 row_mask:0xf bank_mask:0xf
	v_mov_b32_dpp v25, v9 row_shr:4 row_mask:0xf bank_mask:0xf
	v_mov_b32_dpp v21, v13 row_shr:4 row_mask:0xf bank_mask:0xf
	v_cmp_lt_u32_e64 s[4:5], 3, v20
	s_and_saveexec_b64 s[42:43], s[4:5]
; %bb.184:
	v_cmp_eq_u32_e64 s[4:5], 0, v13
	v_cndmask_b32_e64 v8, 0, v24, s[4:5]
	v_cndmask_b32_e64 v9, 0, v25, s[4:5]
	v_add_co_u32_e64 v8, s[4:5], v8, v4
	v_addc_co_u32_e64 v9, s[4:5], v9, v5, s[4:5]
	v_or_b32_e32 v4, v21, v13
	v_and_b32_e32 v13, 1, v4
	v_pk_mov_b32 v[4:5], v[8:9], v[8:9] op_sel:[0,1]
; %bb.185:
	s_or_b64 exec, exec, s[42:43]
	;; [unrolled: 16-line block ×3, first 2 shown]
	v_and_b32_e32 v25, 16, v12
	v_mov_b32_dpp v21, v8 row_bcast:15 row_mask:0xf bank_mask:0xf
	v_mov_b32_dpp v24, v9 row_bcast:15 row_mask:0xf bank_mask:0xf
	;; [unrolled: 1-line block ×3, first 2 shown]
	v_cmp_ne_u32_e64 s[4:5], 0, v25
	s_and_saveexec_b64 s[42:43], s[4:5]
; %bb.188:
	v_cmp_eq_u32_e64 s[4:5], 0, v13
	v_cndmask_b32_e64 v9, 0, v21, s[4:5]
	v_cndmask_b32_e64 v8, 0, v24, s[4:5]
	v_add_co_u32_e64 v4, s[4:5], v9, v4
	v_addc_co_u32_e64 v5, s[4:5], v8, v5, s[4:5]
	v_or_b32_e32 v8, v20, v13
	v_and_b32_e32 v13, 1, v8
	v_mov_b32_e32 v9, v5
	v_mov_b32_e32 v8, v4
; %bb.189:
	s_or_b64 exec, exec, s[42:43]
	s_nop 0
	v_mov_b32_dpp v20, v8 row_bcast:31 row_mask:0xf bank_mask:0xf
	v_mov_b32_dpp v9, v9 row_bcast:31 row_mask:0xf bank_mask:0xf
	;; [unrolled: 1-line block ×3, first 2 shown]
	v_cmp_lt_u32_e64 s[4:5], 31, v12
	s_and_saveexec_b64 s[42:43], s[4:5]
; %bb.190:
	v_cmp_eq_u32_e64 s[4:5], 0, v13
	v_cndmask_b32_e64 v20, 0, v20, s[4:5]
	v_cndmask_b32_e64 v9, 0, v9, s[4:5]
	v_add_co_u32_e64 v4, s[4:5], v20, v4
	v_or_b32_e32 v8, v8, v13
	v_addc_co_u32_e64 v5, s[4:5], v9, v5, s[4:5]
	v_and_b32_e32 v13, 1, v8
; %bb.191:
	s_or_b64 exec, exec, s[42:43]
	v_cmp_eq_u32_e64 s[4:5], 63, v0
	s_and_saveexec_b64 s[42:43], s[4:5]
	s_cbranch_execz .LBB41_193
; %bb.192:
	v_mov_b32_e32 v8, 0
	ds_write_b64 v8, v[4:5]
	ds_write_b8 v8, v13 offset:8
.LBB41_193:
	s_or_b64 exec, exec, s[42:43]
	v_add_u32_e32 v8, -1, v12
	v_and_b32_e32 v9, 64, v12
	v_cmp_lt_i32_e64 s[4:5], v8, v9
	v_cndmask_b32_e64 v8, v8, v12, s[4:5]
	v_lshlrev_b32_e32 v8, 2, v8
	ds_bpermute_b32 v4, v8, v4
	ds_bpermute_b32 v5, v8, v5
	s_waitcnt lgkmcnt(0)
	; wave barrier
	s_waitcnt lgkmcnt(0)
	s_and_saveexec_b64 s[42:43], s[46:47]
	s_cbranch_execz .LBB41_195
; %bb.194:
	v_mov_b32_e32 v8, 0
	v_cmp_eq_u16_sdwa s[4:5], v1, v8 src0_sel:BYTE_0 src1_sel:DWORD
	v_cndmask_b32_e64 v4, 0, v4, s[4:5]
	v_cndmask_b32_e64 v1, 0, v5, s[4:5]
	v_add_co_u32_e64 v2, s[4:5], v4, v2
	v_addc_co_u32_e64 v3, s[4:5], v1, v3, s[4:5]
	v_cndmask_b32_e32 v4, 0, v2, vcc
	v_cndmask_b32_e32 v1, 0, v3, vcc
	v_add_co_u32_e32 v40, vcc, v4, v14
	v_addc_co_u32_e32 v41, vcc, v1, v15, vcc
	v_cndmask_b32_e64 v4, 0, v40, s[6:7]
	v_cndmask_b32_e64 v1, 0, v41, s[6:7]
	v_add_co_u32_e32 v72, vcc, v4, v10
	v_addc_co_u32_e32 v73, vcc, v1, v11, vcc
	v_cndmask_b32_e64 v4, 0, v72, s[8:9]
	v_cndmask_b32_e64 v1, 0, v73, s[8:9]
	;; [unrolled: 4-line block ×17, first 2 shown]
	v_add_co_u32_e32 v108, vcc, v4, v16
	v_addc_co_u32_e32 v109, vcc, v1, v17, vcc
	;;#ASMSTART
	;;#ASMEND
.LBB41_195:
	s_or_b64 exec, exec, s[42:43]
	s_and_saveexec_b64 s[4:5], s[0:1]
	s_cbranch_execz .LBB41_197
; %bb.196:
	v_mov_b32_e32 v1, 0
	ds_read_b64 v[4:5], v1
	ds_read_u8 v6, v1 offset:8
	v_mov_b32_e32 v7, 2
	s_waitcnt lgkmcnt(1)
	global_store_dwordx2 v1, v[4:5], s[50:51] offset:1024
	s_waitcnt lgkmcnt(0)
	global_store_byte v1, v6, s[50:51] offset:1032
	s_waitcnt vmcnt(0)
	buffer_wbinvl1_vol
	global_store_byte v1, v7, s[52:53] offset:64
.LBB41_197:
	s_or_b64 exec, exec, s[4:5]
	v_pk_mov_b32 v[102:103], v[2:3], v[2:3] op_sel:[0,1]
.LBB41_198:
	s_add_u32 s0, s62, s58
	s_addc_u32 s1, s63, s59
	s_add_u32 s4, s0, s56
	s_addc_u32 s5, s1, s57
	s_and_b64 vcc, exec, s[2:3]
	s_cbranch_vccz .LBB41_236
; %bb.199:
	s_movk_i32 s0, 0x98
	v_mul_i32_i24_e32 v43, 0xffffff70, v0
	v_mul_u32_u24_e32 v42, 0x98, v0
	v_mad_u32_u24 v2, v0, s0, v43
	s_waitcnt lgkmcnt(0)
	; wave barrier
	ds_write2_b64 v42, v[102:103], v[40:41] offset1:1
	ds_write2_b64 v42, v[72:73], v[44:45] offset0:2 offset1:3
	ds_write2_b64 v42, v[76:77], v[48:49] offset0:4 offset1:5
	;; [unrolled: 1-line block ×8, first 2 shown]
	ds_write_b64 v42, v[108:109] offset:144
	s_waitcnt lgkmcnt(0)
	; wave barrier
	s_waitcnt lgkmcnt(0)
	ds_read2st64_b64 v[34:37], v2 offset0:1 offset1:2
	ds_read2st64_b64 v[30:33], v2 offset0:3 offset1:4
	ds_read2st64_b64 v[26:29], v2 offset0:5 offset1:6
	ds_read2st64_b64 v[22:25], v2 offset0:7 offset1:8
	ds_read2st64_b64 v[18:21], v2 offset0:9 offset1:10
	ds_read2st64_b64 v[14:17], v2 offset0:11 offset1:12
	ds_read2st64_b64 v[10:13], v2 offset0:13 offset1:14
	ds_read2st64_b64 v[6:9], v2 offset0:15 offset1:16
	ds_read2st64_b64 v[2:5], v2 offset0:17 offset1:18
	v_mov_b32_e32 v39, s5
	v_add_co_u32_e32 v38, vcc, s4, v127
	s_add_i32 s33, s33, s54
	v_addc_co_u32_e32 v39, vcc, 0, v39, vcc
	v_mov_b32_e32 v1, 0
	v_cmp_gt_u32_e32 vcc, s33, v0
	s_and_saveexec_b64 s[0:1], vcc
	s_cbranch_execz .LBB41_201
; %bb.200:
	v_add_u32_e32 v42, v42, v43
	ds_read_b64 v[42:43], v42
	s_waitcnt lgkmcnt(0)
	flat_store_dwordx2 v[38:39], v[42:43]
.LBB41_201:
	s_or_b64 exec, exec, s[0:1]
	v_or_b32_e32 v42, 64, v0
	v_cmp_gt_u32_e32 vcc, s33, v42
	s_and_saveexec_b64 s[0:1], vcc
	s_cbranch_execz .LBB41_203
; %bb.202:
	s_waitcnt lgkmcnt(0)
	flat_store_dwordx2 v[38:39], v[34:35] offset:512
.LBB41_203:
	s_or_b64 exec, exec, s[0:1]
	s_waitcnt lgkmcnt(0)
	v_or_b32_e32 v34, 0x80, v0
	v_cmp_gt_u32_e32 vcc, s33, v34
	s_and_saveexec_b64 s[0:1], vcc
	s_cbranch_execz .LBB41_205
; %bb.204:
	flat_store_dwordx2 v[38:39], v[36:37] offset:1024
.LBB41_205:
	s_or_b64 exec, exec, s[0:1]
	v_or_b32_e32 v34, 0xc0, v0
	v_cmp_gt_u32_e32 vcc, s33, v34
	s_and_saveexec_b64 s[0:1], vcc
	s_cbranch_execz .LBB41_207
; %bb.206:
	flat_store_dwordx2 v[38:39], v[30:31] offset:1536
.LBB41_207:
	s_or_b64 exec, exec, s[0:1]
	;; [unrolled: 8-line block ×6, first 2 shown]
	v_or_b32_e32 v22, 0x200, v0
	v_cmp_gt_u32_e32 vcc, s33, v22
	s_and_saveexec_b64 s[0:1], vcc
	s_cbranch_execz .LBB41_217
; %bb.216:
	v_add_co_u32_e32 v22, vcc, 0x1000, v38
	v_addc_co_u32_e32 v23, vcc, 0, v39, vcc
	flat_store_dwordx2 v[22:23], v[24:25]
.LBB41_217:
	s_or_b64 exec, exec, s[0:1]
	v_or_b32_e32 v22, 0x240, v0
	v_cmp_gt_u32_e32 vcc, s33, v22
	s_and_saveexec_b64 s[0:1], vcc
	s_cbranch_execz .LBB41_219
; %bb.218:
	v_add_co_u32_e32 v22, vcc, 0x1000, v38
	v_addc_co_u32_e32 v23, vcc, 0, v39, vcc
	flat_store_dwordx2 v[22:23], v[18:19] offset:512
.LBB41_219:
	s_or_b64 exec, exec, s[0:1]
	v_or_b32_e32 v18, 0x280, v0
	v_cmp_gt_u32_e32 vcc, s33, v18
	s_and_saveexec_b64 s[0:1], vcc
	s_cbranch_execz .LBB41_221
; %bb.220:
	v_add_co_u32_e32 v18, vcc, 0x1000, v38
	v_addc_co_u32_e32 v19, vcc, 0, v39, vcc
	flat_store_dwordx2 v[18:19], v[20:21] offset:1024
.LBB41_221:
	;; [unrolled: 10-line block ×7, first 2 shown]
	s_or_b64 exec, exec, s[0:1]
	v_or_b32_e32 v6, 0x400, v0
	v_cmp_gt_u32_e32 vcc, s33, v6
	s_and_saveexec_b64 s[0:1], vcc
	s_cbranch_execz .LBB41_233
; %bb.232:
	v_add_co_u32_e32 v6, vcc, 0x2000, v38
	v_addc_co_u32_e32 v7, vcc, 0, v39, vcc
	flat_store_dwordx2 v[6:7], v[8:9]
.LBB41_233:
	s_or_b64 exec, exec, s[0:1]
	v_or_b32_e32 v6, 0x440, v0
	v_cmp_gt_u32_e32 vcc, s33, v6
	s_and_saveexec_b64 s[0:1], vcc
	s_cbranch_execz .LBB41_235
; %bb.234:
	v_add_co_u32_e32 v6, vcc, 0x2000, v38
	v_addc_co_u32_e32 v7, vcc, 0, v39, vcc
	flat_store_dwordx2 v[6:7], v[2:3] offset:512
.LBB41_235:
	s_or_b64 exec, exec, s[0:1]
	v_or_b32_e32 v2, 0x480, v0
	v_cmp_gt_u32_e64 s[0:1], s33, v2
	s_branch .LBB41_238
.LBB41_236:
	s_mov_b64 s[0:1], 0
                                        ; implicit-def: $vgpr4_vgpr5
	s_cbranch_execz .LBB41_238
; %bb.237:
	s_movk_i32 s2, 0x98
	v_mul_i32_i24_e32 v2, 0xffffff70, v0
	v_mul_u32_u24_e32 v1, 0x98, v0
	v_mad_u32_u24 v2, v0, s2, v2
	s_waitcnt lgkmcnt(0)
	; wave barrier
	s_waitcnt lgkmcnt(0)
	ds_write2_b64 v1, v[102:103], v[40:41] offset1:1
	ds_write2_b64 v1, v[72:73], v[44:45] offset0:2 offset1:3
	ds_write2_b64 v1, v[76:77], v[48:49] offset0:4 offset1:5
	;; [unrolled: 1-line block ×8, first 2 shown]
	ds_write_b64 v1, v[108:109] offset:144
	s_waitcnt lgkmcnt(0)
	; wave barrier
	s_waitcnt lgkmcnt(0)
	ds_read2st64_b64 v[6:9], v2 offset1:1
	ds_read2st64_b64 v[10:13], v2 offset0:2 offset1:3
	ds_read2st64_b64 v[14:17], v2 offset0:4 offset1:5
	ds_read2st64_b64 v[18:21], v2 offset0:6 offset1:7
	ds_read2st64_b64 v[22:25], v2 offset0:8 offset1:9
	ds_read2st64_b64 v[26:29], v2 offset0:10 offset1:11
	ds_read2st64_b64 v[30:33], v2 offset0:12 offset1:13
	ds_read2st64_b64 v[34:37], v2 offset0:14 offset1:15
	ds_read2st64_b64 v[38:41], v2 offset0:16 offset1:17
	ds_read_b64 v[4:5], v2 offset:9216
	v_mov_b32_e32 v3, s5
	v_add_co_u32_e32 v2, vcc, s4, v127
	v_addc_co_u32_e32 v3, vcc, 0, v3, vcc
	s_movk_i32 s2, 0x1000
	s_waitcnt lgkmcnt(0)
	flat_store_dwordx2 v[2:3], v[6:7]
	flat_store_dwordx2 v[2:3], v[8:9] offset:512
	flat_store_dwordx2 v[2:3], v[10:11] offset:1024
	;; [unrolled: 1-line block ×7, first 2 shown]
	v_add_co_u32_e32 v6, vcc, s2, v2
	v_addc_co_u32_e32 v7, vcc, 0, v3, vcc
	v_add_co_u32_e32 v2, vcc, 0x2000, v2
	v_mov_b32_e32 v1, 0
	v_addc_co_u32_e32 v3, vcc, 0, v3, vcc
	s_or_b64 s[0:1], s[0:1], exec
	flat_store_dwordx2 v[6:7], v[22:23]
	flat_store_dwordx2 v[6:7], v[24:25] offset:512
	flat_store_dwordx2 v[6:7], v[26:27] offset:1024
	;; [unrolled: 1-line block ×7, first 2 shown]
	flat_store_dwordx2 v[2:3], v[38:39]
	flat_store_dwordx2 v[2:3], v[40:41] offset:512
.LBB41_238:
	s_and_saveexec_b64 s[2:3], s[0:1]
	s_cbranch_execnz .LBB41_240
; %bb.239:
	s_endpgm
.LBB41_240:
	v_lshlrev_b64 v[0:1], 3, v[0:1]
	v_mov_b32_e32 v2, s5
	v_add_co_u32_e32 v0, vcc, s4, v0
	v_addc_co_u32_e32 v1, vcc, v2, v1, vcc
	v_add_co_u32_e32 v0, vcc, 0x2000, v0
	v_addc_co_u32_e32 v1, vcc, 0, v1, vcc
	flat_store_dwordx2 v[0:1], v[4:5] offset:1024
	s_endpgm
.LBB41_241:
	v_mov_b32_e32 v3, s79
	v_add_co_u32_e32 v2, vcc, s78, v50
	v_addc_co_u32_e32 v3, vcc, 0, v3, vcc
	flat_load_dwordx2 v[2:3], v[2:3]
	s_or_b64 exec, exec, s[4:5]
                                        ; implicit-def: $vgpr6_vgpr7
	s_and_saveexec_b64 s[4:5], s[8:9]
	s_cbranch_execz .LBB41_51
.LBB41_242:
	v_mov_b32_e32 v7, s79
	v_add_co_u32_e32 v6, vcc, s78, v50
	v_addc_co_u32_e32 v7, vcc, 0, v7, vcc
	flat_load_dwordx2 v[6:7], v[6:7] offset:512
	s_or_b64 exec, exec, s[4:5]
                                        ; implicit-def: $vgpr10_vgpr11
	s_and_saveexec_b64 s[4:5], s[10:11]
	s_cbranch_execz .LBB41_52
.LBB41_243:
	v_mov_b32_e32 v11, s79
	v_add_co_u32_e32 v10, vcc, s78, v50
	v_addc_co_u32_e32 v11, vcc, 0, v11, vcc
	flat_load_dwordx2 v[10:11], v[10:11] offset:1024
	s_or_b64 exec, exec, s[4:5]
                                        ; implicit-def: $vgpr12_vgpr13
	s_and_saveexec_b64 s[4:5], s[12:13]
	s_cbranch_execz .LBB41_53
.LBB41_244:
	v_mov_b32_e32 v13, s79
	v_add_co_u32_e32 v12, vcc, s78, v50
	v_addc_co_u32_e32 v13, vcc, 0, v13, vcc
	flat_load_dwordx2 v[12:13], v[12:13] offset:1536
	s_or_b64 exec, exec, s[4:5]
                                        ; implicit-def: $vgpr14_vgpr15
	s_and_saveexec_b64 s[4:5], s[14:15]
	s_cbranch_execz .LBB41_54
.LBB41_245:
	v_mov_b32_e32 v15, s79
	v_add_co_u32_e32 v14, vcc, s78, v50
	v_addc_co_u32_e32 v15, vcc, 0, v15, vcc
	flat_load_dwordx2 v[14:15], v[14:15] offset:2048
	s_or_b64 exec, exec, s[4:5]
                                        ; implicit-def: $vgpr16_vgpr17
	s_and_saveexec_b64 s[4:5], s[16:17]
	s_cbranch_execz .LBB41_55
.LBB41_246:
	v_mov_b32_e32 v17, s79
	v_add_co_u32_e32 v16, vcc, s78, v50
	v_addc_co_u32_e32 v17, vcc, 0, v17, vcc
	flat_load_dwordx2 v[16:17], v[16:17] offset:2560
	s_or_b64 exec, exec, s[4:5]
                                        ; implicit-def: $vgpr18_vgpr19
	s_and_saveexec_b64 s[4:5], s[18:19]
	s_cbranch_execz .LBB41_56
.LBB41_247:
	v_mov_b32_e32 v19, s79
	v_add_co_u32_e32 v18, vcc, s78, v50
	v_addc_co_u32_e32 v19, vcc, 0, v19, vcc
	flat_load_dwordx2 v[18:19], v[18:19] offset:3072
	s_or_b64 exec, exec, s[4:5]
                                        ; implicit-def: $vgpr20_vgpr21
	s_and_saveexec_b64 s[4:5], s[20:21]
	s_cbranch_execz .LBB41_57
.LBB41_248:
	v_mov_b32_e32 v21, s79
	v_add_co_u32_e32 v20, vcc, s78, v50
	v_addc_co_u32_e32 v21, vcc, 0, v21, vcc
	flat_load_dwordx2 v[20:21], v[20:21] offset:3584
	s_or_b64 exec, exec, s[4:5]
                                        ; implicit-def: $vgpr22_vgpr23
	s_and_saveexec_b64 s[4:5], s[22:23]
	s_cbranch_execz .LBB41_58
.LBB41_249:
	v_mov_b32_e32 v23, s79
	v_add_co_u32_e32 v22, vcc, s78, v1
	v_addc_co_u32_e32 v23, vcc, 0, v23, vcc
	flat_load_dwordx2 v[22:23], v[22:23]
	s_or_b64 exec, exec, s[4:5]
                                        ; implicit-def: $vgpr24_vgpr25
	s_and_saveexec_b64 s[4:5], s[24:25]
	s_cbranch_execz .LBB41_59
.LBB41_250:
	v_mov_b32_e32 v1, s79
	v_add_co_u32_e32 v24, vcc, s78, v40
	v_addc_co_u32_e32 v25, vcc, 0, v1, vcc
	flat_load_dwordx2 v[24:25], v[24:25]
	s_or_b64 exec, exec, s[4:5]
                                        ; implicit-def: $vgpr26_vgpr27
	s_and_saveexec_b64 s[4:5], s[26:27]
	s_cbranch_execz .LBB41_60
.LBB41_251:
	v_mov_b32_e32 v1, s79
	v_add_co_u32_e32 v26, vcc, s78, v41
	v_addc_co_u32_e32 v27, vcc, 0, v1, vcc
	flat_load_dwordx2 v[26:27], v[26:27]
	s_or_b64 exec, exec, s[4:5]
                                        ; implicit-def: $vgpr28_vgpr29
	s_and_saveexec_b64 s[4:5], s[28:29]
	s_cbranch_execz .LBB41_61
.LBB41_252:
	v_mov_b32_e32 v1, s79
	v_add_co_u32_e32 v28, vcc, s78, v42
	v_addc_co_u32_e32 v29, vcc, 0, v1, vcc
	flat_load_dwordx2 v[28:29], v[28:29]
	s_or_b64 exec, exec, s[4:5]
                                        ; implicit-def: $vgpr30_vgpr31
	s_and_saveexec_b64 s[4:5], s[30:31]
	s_cbranch_execz .LBB41_62
.LBB41_253:
	v_mov_b32_e32 v1, s79
	v_add_co_u32_e32 v30, vcc, s78, v43
	v_addc_co_u32_e32 v31, vcc, 0, v1, vcc
	flat_load_dwordx2 v[30:31], v[30:31]
	s_or_b64 exec, exec, s[4:5]
                                        ; implicit-def: $vgpr32_vgpr33
	s_and_saveexec_b64 s[4:5], s[34:35]
	s_cbranch_execz .LBB41_63
.LBB41_254:
	v_mov_b32_e32 v1, s79
	v_add_co_u32_e32 v32, vcc, s78, v44
	v_addc_co_u32_e32 v33, vcc, 0, v1, vcc
	flat_load_dwordx2 v[32:33], v[32:33]
	s_or_b64 exec, exec, s[4:5]
                                        ; implicit-def: $vgpr34_vgpr35
	s_and_saveexec_b64 s[4:5], s[36:37]
	s_cbranch_execz .LBB41_64
.LBB41_255:
	v_mov_b32_e32 v1, s79
	v_add_co_u32_e32 v34, vcc, s78, v45
	v_addc_co_u32_e32 v35, vcc, 0, v1, vcc
	flat_load_dwordx2 v[34:35], v[34:35]
	s_or_b64 exec, exec, s[4:5]
                                        ; implicit-def: $vgpr36_vgpr37
	s_and_saveexec_b64 s[4:5], s[38:39]
	s_cbranch_execz .LBB41_65
.LBB41_256:
	v_mov_b32_e32 v1, s79
	v_add_co_u32_e32 v36, vcc, s78, v46
	v_addc_co_u32_e32 v37, vcc, 0, v1, vcc
	flat_load_dwordx2 v[36:37], v[36:37]
	s_or_b64 exec, exec, s[4:5]
                                        ; implicit-def: $vgpr38_vgpr39
	s_and_saveexec_b64 s[4:5], s[40:41]
	s_cbranch_execz .LBB41_66
.LBB41_257:
	v_mov_b32_e32 v1, s79
	v_add_co_u32_e32 v38, vcc, s78, v47
	v_addc_co_u32_e32 v39, vcc, 0, v1, vcc
	flat_load_dwordx2 v[38:39], v[38:39]
	s_or_b64 exec, exec, s[4:5]
                                        ; implicit-def: $vgpr40_vgpr41
	s_and_saveexec_b64 s[4:5], s[42:43]
	s_cbranch_execz .LBB41_67
.LBB41_258:
	v_mov_b32_e32 v1, s79
	v_add_co_u32_e32 v40, vcc, s78, v49
	v_addc_co_u32_e32 v41, vcc, 0, v1, vcc
	flat_load_dwordx2 v[40:41], v[40:41]
	s_or_b64 exec, exec, s[4:5]
                                        ; implicit-def: $vgpr42_vgpr43
	s_and_saveexec_b64 s[4:5], s[44:45]
	s_cbranch_execnz .LBB41_68
	s_branch .LBB41_69
.LBB41_259:
                                        ; implicit-def: $sgpr4_sgpr5
	s_branch .LBB41_46
.LBB41_260:
                                        ; implicit-def: $sgpr4_sgpr5
	s_branch .LBB41_110
	.section	.rodata,"a",@progbits
	.p2align	6, 0x0
	.amdhsa_kernel _ZN7rocprim17ROCPRIM_400000_NS6detail17trampoline_kernelINS0_14default_configENS1_27scan_by_key_config_selectorIxxEEZZNS1_16scan_by_key_implILNS1_25lookback_scan_determinismE0ELb0ES3_N6thrust23THRUST_200600_302600_NS6detail15normal_iteratorINS9_10device_ptrIxEEEESE_SE_xNS9_4plusIvEENS9_8equal_toIvEExEE10hipError_tPvRmT2_T3_T4_T5_mT6_T7_P12ihipStream_tbENKUlT_T0_E_clISt17integral_constantIbLb0EESY_IbLb1EEEEDaSU_SV_EUlSU_E_NS1_11comp_targetILNS1_3genE4ELNS1_11target_archE910ELNS1_3gpuE8ELNS1_3repE0EEENS1_30default_config_static_selectorELNS0_4arch9wavefront6targetE1EEEvT1_
		.amdhsa_group_segment_fixed_size 10752
		.amdhsa_private_segment_fixed_size 0
		.amdhsa_kernarg_size 136
		.amdhsa_user_sgpr_count 6
		.amdhsa_user_sgpr_private_segment_buffer 1
		.amdhsa_user_sgpr_dispatch_ptr 0
		.amdhsa_user_sgpr_queue_ptr 0
		.amdhsa_user_sgpr_kernarg_segment_ptr 1
		.amdhsa_user_sgpr_dispatch_id 0
		.amdhsa_user_sgpr_flat_scratch_init 0
		.amdhsa_user_sgpr_kernarg_preload_length 0
		.amdhsa_user_sgpr_kernarg_preload_offset 0
		.amdhsa_user_sgpr_private_segment_size 0
		.amdhsa_uses_dynamic_stack 0
		.amdhsa_system_sgpr_private_segment_wavefront_offset 0
		.amdhsa_system_sgpr_workgroup_id_x 1
		.amdhsa_system_sgpr_workgroup_id_y 0
		.amdhsa_system_sgpr_workgroup_id_z 0
		.amdhsa_system_sgpr_workgroup_info 0
		.amdhsa_system_vgpr_workitem_id 0
		.amdhsa_next_free_vgpr 128
		.amdhsa_next_free_sgpr 82
		.amdhsa_accum_offset 128
		.amdhsa_reserve_vcc 1
		.amdhsa_reserve_flat_scratch 0
		.amdhsa_float_round_mode_32 0
		.amdhsa_float_round_mode_16_64 0
		.amdhsa_float_denorm_mode_32 3
		.amdhsa_float_denorm_mode_16_64 3
		.amdhsa_dx10_clamp 1
		.amdhsa_ieee_mode 1
		.amdhsa_fp16_overflow 0
		.amdhsa_tg_split 0
		.amdhsa_exception_fp_ieee_invalid_op 0
		.amdhsa_exception_fp_denorm_src 0
		.amdhsa_exception_fp_ieee_div_zero 0
		.amdhsa_exception_fp_ieee_overflow 0
		.amdhsa_exception_fp_ieee_underflow 0
		.amdhsa_exception_fp_ieee_inexact 0
		.amdhsa_exception_int_div_zero 0
	.end_amdhsa_kernel
	.section	.text._ZN7rocprim17ROCPRIM_400000_NS6detail17trampoline_kernelINS0_14default_configENS1_27scan_by_key_config_selectorIxxEEZZNS1_16scan_by_key_implILNS1_25lookback_scan_determinismE0ELb0ES3_N6thrust23THRUST_200600_302600_NS6detail15normal_iteratorINS9_10device_ptrIxEEEESE_SE_xNS9_4plusIvEENS9_8equal_toIvEExEE10hipError_tPvRmT2_T3_T4_T5_mT6_T7_P12ihipStream_tbENKUlT_T0_E_clISt17integral_constantIbLb0EESY_IbLb1EEEEDaSU_SV_EUlSU_E_NS1_11comp_targetILNS1_3genE4ELNS1_11target_archE910ELNS1_3gpuE8ELNS1_3repE0EEENS1_30default_config_static_selectorELNS0_4arch9wavefront6targetE1EEEvT1_,"axG",@progbits,_ZN7rocprim17ROCPRIM_400000_NS6detail17trampoline_kernelINS0_14default_configENS1_27scan_by_key_config_selectorIxxEEZZNS1_16scan_by_key_implILNS1_25lookback_scan_determinismE0ELb0ES3_N6thrust23THRUST_200600_302600_NS6detail15normal_iteratorINS9_10device_ptrIxEEEESE_SE_xNS9_4plusIvEENS9_8equal_toIvEExEE10hipError_tPvRmT2_T3_T4_T5_mT6_T7_P12ihipStream_tbENKUlT_T0_E_clISt17integral_constantIbLb0EESY_IbLb1EEEEDaSU_SV_EUlSU_E_NS1_11comp_targetILNS1_3genE4ELNS1_11target_archE910ELNS1_3gpuE8ELNS1_3repE0EEENS1_30default_config_static_selectorELNS0_4arch9wavefront6targetE1EEEvT1_,comdat
.Lfunc_end41:
	.size	_ZN7rocprim17ROCPRIM_400000_NS6detail17trampoline_kernelINS0_14default_configENS1_27scan_by_key_config_selectorIxxEEZZNS1_16scan_by_key_implILNS1_25lookback_scan_determinismE0ELb0ES3_N6thrust23THRUST_200600_302600_NS6detail15normal_iteratorINS9_10device_ptrIxEEEESE_SE_xNS9_4plusIvEENS9_8equal_toIvEExEE10hipError_tPvRmT2_T3_T4_T5_mT6_T7_P12ihipStream_tbENKUlT_T0_E_clISt17integral_constantIbLb0EESY_IbLb1EEEEDaSU_SV_EUlSU_E_NS1_11comp_targetILNS1_3genE4ELNS1_11target_archE910ELNS1_3gpuE8ELNS1_3repE0EEENS1_30default_config_static_selectorELNS0_4arch9wavefront6targetE1EEEvT1_, .Lfunc_end41-_ZN7rocprim17ROCPRIM_400000_NS6detail17trampoline_kernelINS0_14default_configENS1_27scan_by_key_config_selectorIxxEEZZNS1_16scan_by_key_implILNS1_25lookback_scan_determinismE0ELb0ES3_N6thrust23THRUST_200600_302600_NS6detail15normal_iteratorINS9_10device_ptrIxEEEESE_SE_xNS9_4plusIvEENS9_8equal_toIvEExEE10hipError_tPvRmT2_T3_T4_T5_mT6_T7_P12ihipStream_tbENKUlT_T0_E_clISt17integral_constantIbLb0EESY_IbLb1EEEEDaSU_SV_EUlSU_E_NS1_11comp_targetILNS1_3genE4ELNS1_11target_archE910ELNS1_3gpuE8ELNS1_3repE0EEENS1_30default_config_static_selectorELNS0_4arch9wavefront6targetE1EEEvT1_
                                        ; -- End function
	.section	.AMDGPU.csdata,"",@progbits
; Kernel info:
; codeLenInByte = 14876
; NumSgprs: 86
; NumVgprs: 128
; NumAgprs: 0
; TotalNumVgprs: 128
; ScratchSize: 0
; MemoryBound: 0
; FloatMode: 240
; IeeeMode: 1
; LDSByteSize: 10752 bytes/workgroup (compile time only)
; SGPRBlocks: 10
; VGPRBlocks: 15
; NumSGPRsForWavesPerEU: 86
; NumVGPRsForWavesPerEU: 128
; AccumOffset: 128
; Occupancy: 2
; WaveLimiterHint : 1
; COMPUTE_PGM_RSRC2:SCRATCH_EN: 0
; COMPUTE_PGM_RSRC2:USER_SGPR: 6
; COMPUTE_PGM_RSRC2:TRAP_HANDLER: 0
; COMPUTE_PGM_RSRC2:TGID_X_EN: 1
; COMPUTE_PGM_RSRC2:TGID_Y_EN: 0
; COMPUTE_PGM_RSRC2:TGID_Z_EN: 0
; COMPUTE_PGM_RSRC2:TIDIG_COMP_CNT: 0
; COMPUTE_PGM_RSRC3_GFX90A:ACCUM_OFFSET: 31
; COMPUTE_PGM_RSRC3_GFX90A:TG_SPLIT: 0
	.section	.text._ZN7rocprim17ROCPRIM_400000_NS6detail17trampoline_kernelINS0_14default_configENS1_27scan_by_key_config_selectorIxxEEZZNS1_16scan_by_key_implILNS1_25lookback_scan_determinismE0ELb0ES3_N6thrust23THRUST_200600_302600_NS6detail15normal_iteratorINS9_10device_ptrIxEEEESE_SE_xNS9_4plusIvEENS9_8equal_toIvEExEE10hipError_tPvRmT2_T3_T4_T5_mT6_T7_P12ihipStream_tbENKUlT_T0_E_clISt17integral_constantIbLb0EESY_IbLb1EEEEDaSU_SV_EUlSU_E_NS1_11comp_targetILNS1_3genE3ELNS1_11target_archE908ELNS1_3gpuE7ELNS1_3repE0EEENS1_30default_config_static_selectorELNS0_4arch9wavefront6targetE1EEEvT1_,"axG",@progbits,_ZN7rocprim17ROCPRIM_400000_NS6detail17trampoline_kernelINS0_14default_configENS1_27scan_by_key_config_selectorIxxEEZZNS1_16scan_by_key_implILNS1_25lookback_scan_determinismE0ELb0ES3_N6thrust23THRUST_200600_302600_NS6detail15normal_iteratorINS9_10device_ptrIxEEEESE_SE_xNS9_4plusIvEENS9_8equal_toIvEExEE10hipError_tPvRmT2_T3_T4_T5_mT6_T7_P12ihipStream_tbENKUlT_T0_E_clISt17integral_constantIbLb0EESY_IbLb1EEEEDaSU_SV_EUlSU_E_NS1_11comp_targetILNS1_3genE3ELNS1_11target_archE908ELNS1_3gpuE7ELNS1_3repE0EEENS1_30default_config_static_selectorELNS0_4arch9wavefront6targetE1EEEvT1_,comdat
	.protected	_ZN7rocprim17ROCPRIM_400000_NS6detail17trampoline_kernelINS0_14default_configENS1_27scan_by_key_config_selectorIxxEEZZNS1_16scan_by_key_implILNS1_25lookback_scan_determinismE0ELb0ES3_N6thrust23THRUST_200600_302600_NS6detail15normal_iteratorINS9_10device_ptrIxEEEESE_SE_xNS9_4plusIvEENS9_8equal_toIvEExEE10hipError_tPvRmT2_T3_T4_T5_mT6_T7_P12ihipStream_tbENKUlT_T0_E_clISt17integral_constantIbLb0EESY_IbLb1EEEEDaSU_SV_EUlSU_E_NS1_11comp_targetILNS1_3genE3ELNS1_11target_archE908ELNS1_3gpuE7ELNS1_3repE0EEENS1_30default_config_static_selectorELNS0_4arch9wavefront6targetE1EEEvT1_ ; -- Begin function _ZN7rocprim17ROCPRIM_400000_NS6detail17trampoline_kernelINS0_14default_configENS1_27scan_by_key_config_selectorIxxEEZZNS1_16scan_by_key_implILNS1_25lookback_scan_determinismE0ELb0ES3_N6thrust23THRUST_200600_302600_NS6detail15normal_iteratorINS9_10device_ptrIxEEEESE_SE_xNS9_4plusIvEENS9_8equal_toIvEExEE10hipError_tPvRmT2_T3_T4_T5_mT6_T7_P12ihipStream_tbENKUlT_T0_E_clISt17integral_constantIbLb0EESY_IbLb1EEEEDaSU_SV_EUlSU_E_NS1_11comp_targetILNS1_3genE3ELNS1_11target_archE908ELNS1_3gpuE7ELNS1_3repE0EEENS1_30default_config_static_selectorELNS0_4arch9wavefront6targetE1EEEvT1_
	.globl	_ZN7rocprim17ROCPRIM_400000_NS6detail17trampoline_kernelINS0_14default_configENS1_27scan_by_key_config_selectorIxxEEZZNS1_16scan_by_key_implILNS1_25lookback_scan_determinismE0ELb0ES3_N6thrust23THRUST_200600_302600_NS6detail15normal_iteratorINS9_10device_ptrIxEEEESE_SE_xNS9_4plusIvEENS9_8equal_toIvEExEE10hipError_tPvRmT2_T3_T4_T5_mT6_T7_P12ihipStream_tbENKUlT_T0_E_clISt17integral_constantIbLb0EESY_IbLb1EEEEDaSU_SV_EUlSU_E_NS1_11comp_targetILNS1_3genE3ELNS1_11target_archE908ELNS1_3gpuE7ELNS1_3repE0EEENS1_30default_config_static_selectorELNS0_4arch9wavefront6targetE1EEEvT1_
	.p2align	8
	.type	_ZN7rocprim17ROCPRIM_400000_NS6detail17trampoline_kernelINS0_14default_configENS1_27scan_by_key_config_selectorIxxEEZZNS1_16scan_by_key_implILNS1_25lookback_scan_determinismE0ELb0ES3_N6thrust23THRUST_200600_302600_NS6detail15normal_iteratorINS9_10device_ptrIxEEEESE_SE_xNS9_4plusIvEENS9_8equal_toIvEExEE10hipError_tPvRmT2_T3_T4_T5_mT6_T7_P12ihipStream_tbENKUlT_T0_E_clISt17integral_constantIbLb0EESY_IbLb1EEEEDaSU_SV_EUlSU_E_NS1_11comp_targetILNS1_3genE3ELNS1_11target_archE908ELNS1_3gpuE7ELNS1_3repE0EEENS1_30default_config_static_selectorELNS0_4arch9wavefront6targetE1EEEvT1_,@function
_ZN7rocprim17ROCPRIM_400000_NS6detail17trampoline_kernelINS0_14default_configENS1_27scan_by_key_config_selectorIxxEEZZNS1_16scan_by_key_implILNS1_25lookback_scan_determinismE0ELb0ES3_N6thrust23THRUST_200600_302600_NS6detail15normal_iteratorINS9_10device_ptrIxEEEESE_SE_xNS9_4plusIvEENS9_8equal_toIvEExEE10hipError_tPvRmT2_T3_T4_T5_mT6_T7_P12ihipStream_tbENKUlT_T0_E_clISt17integral_constantIbLb0EESY_IbLb1EEEEDaSU_SV_EUlSU_E_NS1_11comp_targetILNS1_3genE3ELNS1_11target_archE908ELNS1_3gpuE7ELNS1_3repE0EEENS1_30default_config_static_selectorELNS0_4arch9wavefront6targetE1EEEvT1_: ; @_ZN7rocprim17ROCPRIM_400000_NS6detail17trampoline_kernelINS0_14default_configENS1_27scan_by_key_config_selectorIxxEEZZNS1_16scan_by_key_implILNS1_25lookback_scan_determinismE0ELb0ES3_N6thrust23THRUST_200600_302600_NS6detail15normal_iteratorINS9_10device_ptrIxEEEESE_SE_xNS9_4plusIvEENS9_8equal_toIvEExEE10hipError_tPvRmT2_T3_T4_T5_mT6_T7_P12ihipStream_tbENKUlT_T0_E_clISt17integral_constantIbLb0EESY_IbLb1EEEEDaSU_SV_EUlSU_E_NS1_11comp_targetILNS1_3genE3ELNS1_11target_archE908ELNS1_3gpuE7ELNS1_3repE0EEENS1_30default_config_static_selectorELNS0_4arch9wavefront6targetE1EEEvT1_
; %bb.0:
	.section	.rodata,"a",@progbits
	.p2align	6, 0x0
	.amdhsa_kernel _ZN7rocprim17ROCPRIM_400000_NS6detail17trampoline_kernelINS0_14default_configENS1_27scan_by_key_config_selectorIxxEEZZNS1_16scan_by_key_implILNS1_25lookback_scan_determinismE0ELb0ES3_N6thrust23THRUST_200600_302600_NS6detail15normal_iteratorINS9_10device_ptrIxEEEESE_SE_xNS9_4plusIvEENS9_8equal_toIvEExEE10hipError_tPvRmT2_T3_T4_T5_mT6_T7_P12ihipStream_tbENKUlT_T0_E_clISt17integral_constantIbLb0EESY_IbLb1EEEEDaSU_SV_EUlSU_E_NS1_11comp_targetILNS1_3genE3ELNS1_11target_archE908ELNS1_3gpuE7ELNS1_3repE0EEENS1_30default_config_static_selectorELNS0_4arch9wavefront6targetE1EEEvT1_
		.amdhsa_group_segment_fixed_size 0
		.amdhsa_private_segment_fixed_size 0
		.amdhsa_kernarg_size 136
		.amdhsa_user_sgpr_count 6
		.amdhsa_user_sgpr_private_segment_buffer 1
		.amdhsa_user_sgpr_dispatch_ptr 0
		.amdhsa_user_sgpr_queue_ptr 0
		.amdhsa_user_sgpr_kernarg_segment_ptr 1
		.amdhsa_user_sgpr_dispatch_id 0
		.amdhsa_user_sgpr_flat_scratch_init 0
		.amdhsa_user_sgpr_kernarg_preload_length 0
		.amdhsa_user_sgpr_kernarg_preload_offset 0
		.amdhsa_user_sgpr_private_segment_size 0
		.amdhsa_uses_dynamic_stack 0
		.amdhsa_system_sgpr_private_segment_wavefront_offset 0
		.amdhsa_system_sgpr_workgroup_id_x 1
		.amdhsa_system_sgpr_workgroup_id_y 0
		.amdhsa_system_sgpr_workgroup_id_z 0
		.amdhsa_system_sgpr_workgroup_info 0
		.amdhsa_system_vgpr_workitem_id 0
		.amdhsa_next_free_vgpr 1
		.amdhsa_next_free_sgpr 0
		.amdhsa_accum_offset 4
		.amdhsa_reserve_vcc 0
		.amdhsa_reserve_flat_scratch 0
		.amdhsa_float_round_mode_32 0
		.amdhsa_float_round_mode_16_64 0
		.amdhsa_float_denorm_mode_32 3
		.amdhsa_float_denorm_mode_16_64 3
		.amdhsa_dx10_clamp 1
		.amdhsa_ieee_mode 1
		.amdhsa_fp16_overflow 0
		.amdhsa_tg_split 0
		.amdhsa_exception_fp_ieee_invalid_op 0
		.amdhsa_exception_fp_denorm_src 0
		.amdhsa_exception_fp_ieee_div_zero 0
		.amdhsa_exception_fp_ieee_overflow 0
		.amdhsa_exception_fp_ieee_underflow 0
		.amdhsa_exception_fp_ieee_inexact 0
		.amdhsa_exception_int_div_zero 0
	.end_amdhsa_kernel
	.section	.text._ZN7rocprim17ROCPRIM_400000_NS6detail17trampoline_kernelINS0_14default_configENS1_27scan_by_key_config_selectorIxxEEZZNS1_16scan_by_key_implILNS1_25lookback_scan_determinismE0ELb0ES3_N6thrust23THRUST_200600_302600_NS6detail15normal_iteratorINS9_10device_ptrIxEEEESE_SE_xNS9_4plusIvEENS9_8equal_toIvEExEE10hipError_tPvRmT2_T3_T4_T5_mT6_T7_P12ihipStream_tbENKUlT_T0_E_clISt17integral_constantIbLb0EESY_IbLb1EEEEDaSU_SV_EUlSU_E_NS1_11comp_targetILNS1_3genE3ELNS1_11target_archE908ELNS1_3gpuE7ELNS1_3repE0EEENS1_30default_config_static_selectorELNS0_4arch9wavefront6targetE1EEEvT1_,"axG",@progbits,_ZN7rocprim17ROCPRIM_400000_NS6detail17trampoline_kernelINS0_14default_configENS1_27scan_by_key_config_selectorIxxEEZZNS1_16scan_by_key_implILNS1_25lookback_scan_determinismE0ELb0ES3_N6thrust23THRUST_200600_302600_NS6detail15normal_iteratorINS9_10device_ptrIxEEEESE_SE_xNS9_4plusIvEENS9_8equal_toIvEExEE10hipError_tPvRmT2_T3_T4_T5_mT6_T7_P12ihipStream_tbENKUlT_T0_E_clISt17integral_constantIbLb0EESY_IbLb1EEEEDaSU_SV_EUlSU_E_NS1_11comp_targetILNS1_3genE3ELNS1_11target_archE908ELNS1_3gpuE7ELNS1_3repE0EEENS1_30default_config_static_selectorELNS0_4arch9wavefront6targetE1EEEvT1_,comdat
.Lfunc_end42:
	.size	_ZN7rocprim17ROCPRIM_400000_NS6detail17trampoline_kernelINS0_14default_configENS1_27scan_by_key_config_selectorIxxEEZZNS1_16scan_by_key_implILNS1_25lookback_scan_determinismE0ELb0ES3_N6thrust23THRUST_200600_302600_NS6detail15normal_iteratorINS9_10device_ptrIxEEEESE_SE_xNS9_4plusIvEENS9_8equal_toIvEExEE10hipError_tPvRmT2_T3_T4_T5_mT6_T7_P12ihipStream_tbENKUlT_T0_E_clISt17integral_constantIbLb0EESY_IbLb1EEEEDaSU_SV_EUlSU_E_NS1_11comp_targetILNS1_3genE3ELNS1_11target_archE908ELNS1_3gpuE7ELNS1_3repE0EEENS1_30default_config_static_selectorELNS0_4arch9wavefront6targetE1EEEvT1_, .Lfunc_end42-_ZN7rocprim17ROCPRIM_400000_NS6detail17trampoline_kernelINS0_14default_configENS1_27scan_by_key_config_selectorIxxEEZZNS1_16scan_by_key_implILNS1_25lookback_scan_determinismE0ELb0ES3_N6thrust23THRUST_200600_302600_NS6detail15normal_iteratorINS9_10device_ptrIxEEEESE_SE_xNS9_4plusIvEENS9_8equal_toIvEExEE10hipError_tPvRmT2_T3_T4_T5_mT6_T7_P12ihipStream_tbENKUlT_T0_E_clISt17integral_constantIbLb0EESY_IbLb1EEEEDaSU_SV_EUlSU_E_NS1_11comp_targetILNS1_3genE3ELNS1_11target_archE908ELNS1_3gpuE7ELNS1_3repE0EEENS1_30default_config_static_selectorELNS0_4arch9wavefront6targetE1EEEvT1_
                                        ; -- End function
	.section	.AMDGPU.csdata,"",@progbits
; Kernel info:
; codeLenInByte = 0
; NumSgprs: 4
; NumVgprs: 0
; NumAgprs: 0
; TotalNumVgprs: 0
; ScratchSize: 0
; MemoryBound: 0
; FloatMode: 240
; IeeeMode: 1
; LDSByteSize: 0 bytes/workgroup (compile time only)
; SGPRBlocks: 0
; VGPRBlocks: 0
; NumSGPRsForWavesPerEU: 4
; NumVGPRsForWavesPerEU: 1
; AccumOffset: 4
; Occupancy: 8
; WaveLimiterHint : 0
; COMPUTE_PGM_RSRC2:SCRATCH_EN: 0
; COMPUTE_PGM_RSRC2:USER_SGPR: 6
; COMPUTE_PGM_RSRC2:TRAP_HANDLER: 0
; COMPUTE_PGM_RSRC2:TGID_X_EN: 1
; COMPUTE_PGM_RSRC2:TGID_Y_EN: 0
; COMPUTE_PGM_RSRC2:TGID_Z_EN: 0
; COMPUTE_PGM_RSRC2:TIDIG_COMP_CNT: 0
; COMPUTE_PGM_RSRC3_GFX90A:ACCUM_OFFSET: 0
; COMPUTE_PGM_RSRC3_GFX90A:TG_SPLIT: 0
	.section	.text._ZN7rocprim17ROCPRIM_400000_NS6detail17trampoline_kernelINS0_14default_configENS1_27scan_by_key_config_selectorIxxEEZZNS1_16scan_by_key_implILNS1_25lookback_scan_determinismE0ELb0ES3_N6thrust23THRUST_200600_302600_NS6detail15normal_iteratorINS9_10device_ptrIxEEEESE_SE_xNS9_4plusIvEENS9_8equal_toIvEExEE10hipError_tPvRmT2_T3_T4_T5_mT6_T7_P12ihipStream_tbENKUlT_T0_E_clISt17integral_constantIbLb0EESY_IbLb1EEEEDaSU_SV_EUlSU_E_NS1_11comp_targetILNS1_3genE2ELNS1_11target_archE906ELNS1_3gpuE6ELNS1_3repE0EEENS1_30default_config_static_selectorELNS0_4arch9wavefront6targetE1EEEvT1_,"axG",@progbits,_ZN7rocprim17ROCPRIM_400000_NS6detail17trampoline_kernelINS0_14default_configENS1_27scan_by_key_config_selectorIxxEEZZNS1_16scan_by_key_implILNS1_25lookback_scan_determinismE0ELb0ES3_N6thrust23THRUST_200600_302600_NS6detail15normal_iteratorINS9_10device_ptrIxEEEESE_SE_xNS9_4plusIvEENS9_8equal_toIvEExEE10hipError_tPvRmT2_T3_T4_T5_mT6_T7_P12ihipStream_tbENKUlT_T0_E_clISt17integral_constantIbLb0EESY_IbLb1EEEEDaSU_SV_EUlSU_E_NS1_11comp_targetILNS1_3genE2ELNS1_11target_archE906ELNS1_3gpuE6ELNS1_3repE0EEENS1_30default_config_static_selectorELNS0_4arch9wavefront6targetE1EEEvT1_,comdat
	.protected	_ZN7rocprim17ROCPRIM_400000_NS6detail17trampoline_kernelINS0_14default_configENS1_27scan_by_key_config_selectorIxxEEZZNS1_16scan_by_key_implILNS1_25lookback_scan_determinismE0ELb0ES3_N6thrust23THRUST_200600_302600_NS6detail15normal_iteratorINS9_10device_ptrIxEEEESE_SE_xNS9_4plusIvEENS9_8equal_toIvEExEE10hipError_tPvRmT2_T3_T4_T5_mT6_T7_P12ihipStream_tbENKUlT_T0_E_clISt17integral_constantIbLb0EESY_IbLb1EEEEDaSU_SV_EUlSU_E_NS1_11comp_targetILNS1_3genE2ELNS1_11target_archE906ELNS1_3gpuE6ELNS1_3repE0EEENS1_30default_config_static_selectorELNS0_4arch9wavefront6targetE1EEEvT1_ ; -- Begin function _ZN7rocprim17ROCPRIM_400000_NS6detail17trampoline_kernelINS0_14default_configENS1_27scan_by_key_config_selectorIxxEEZZNS1_16scan_by_key_implILNS1_25lookback_scan_determinismE0ELb0ES3_N6thrust23THRUST_200600_302600_NS6detail15normal_iteratorINS9_10device_ptrIxEEEESE_SE_xNS9_4plusIvEENS9_8equal_toIvEExEE10hipError_tPvRmT2_T3_T4_T5_mT6_T7_P12ihipStream_tbENKUlT_T0_E_clISt17integral_constantIbLb0EESY_IbLb1EEEEDaSU_SV_EUlSU_E_NS1_11comp_targetILNS1_3genE2ELNS1_11target_archE906ELNS1_3gpuE6ELNS1_3repE0EEENS1_30default_config_static_selectorELNS0_4arch9wavefront6targetE1EEEvT1_
	.globl	_ZN7rocprim17ROCPRIM_400000_NS6detail17trampoline_kernelINS0_14default_configENS1_27scan_by_key_config_selectorIxxEEZZNS1_16scan_by_key_implILNS1_25lookback_scan_determinismE0ELb0ES3_N6thrust23THRUST_200600_302600_NS6detail15normal_iteratorINS9_10device_ptrIxEEEESE_SE_xNS9_4plusIvEENS9_8equal_toIvEExEE10hipError_tPvRmT2_T3_T4_T5_mT6_T7_P12ihipStream_tbENKUlT_T0_E_clISt17integral_constantIbLb0EESY_IbLb1EEEEDaSU_SV_EUlSU_E_NS1_11comp_targetILNS1_3genE2ELNS1_11target_archE906ELNS1_3gpuE6ELNS1_3repE0EEENS1_30default_config_static_selectorELNS0_4arch9wavefront6targetE1EEEvT1_
	.p2align	8
	.type	_ZN7rocprim17ROCPRIM_400000_NS6detail17trampoline_kernelINS0_14default_configENS1_27scan_by_key_config_selectorIxxEEZZNS1_16scan_by_key_implILNS1_25lookback_scan_determinismE0ELb0ES3_N6thrust23THRUST_200600_302600_NS6detail15normal_iteratorINS9_10device_ptrIxEEEESE_SE_xNS9_4plusIvEENS9_8equal_toIvEExEE10hipError_tPvRmT2_T3_T4_T5_mT6_T7_P12ihipStream_tbENKUlT_T0_E_clISt17integral_constantIbLb0EESY_IbLb1EEEEDaSU_SV_EUlSU_E_NS1_11comp_targetILNS1_3genE2ELNS1_11target_archE906ELNS1_3gpuE6ELNS1_3repE0EEENS1_30default_config_static_selectorELNS0_4arch9wavefront6targetE1EEEvT1_,@function
_ZN7rocprim17ROCPRIM_400000_NS6detail17trampoline_kernelINS0_14default_configENS1_27scan_by_key_config_selectorIxxEEZZNS1_16scan_by_key_implILNS1_25lookback_scan_determinismE0ELb0ES3_N6thrust23THRUST_200600_302600_NS6detail15normal_iteratorINS9_10device_ptrIxEEEESE_SE_xNS9_4plusIvEENS9_8equal_toIvEExEE10hipError_tPvRmT2_T3_T4_T5_mT6_T7_P12ihipStream_tbENKUlT_T0_E_clISt17integral_constantIbLb0EESY_IbLb1EEEEDaSU_SV_EUlSU_E_NS1_11comp_targetILNS1_3genE2ELNS1_11target_archE906ELNS1_3gpuE6ELNS1_3repE0EEENS1_30default_config_static_selectorELNS0_4arch9wavefront6targetE1EEEvT1_: ; @_ZN7rocprim17ROCPRIM_400000_NS6detail17trampoline_kernelINS0_14default_configENS1_27scan_by_key_config_selectorIxxEEZZNS1_16scan_by_key_implILNS1_25lookback_scan_determinismE0ELb0ES3_N6thrust23THRUST_200600_302600_NS6detail15normal_iteratorINS9_10device_ptrIxEEEESE_SE_xNS9_4plusIvEENS9_8equal_toIvEExEE10hipError_tPvRmT2_T3_T4_T5_mT6_T7_P12ihipStream_tbENKUlT_T0_E_clISt17integral_constantIbLb0EESY_IbLb1EEEEDaSU_SV_EUlSU_E_NS1_11comp_targetILNS1_3genE2ELNS1_11target_archE906ELNS1_3gpuE6ELNS1_3repE0EEENS1_30default_config_static_selectorELNS0_4arch9wavefront6targetE1EEEvT1_
; %bb.0:
	.section	.rodata,"a",@progbits
	.p2align	6, 0x0
	.amdhsa_kernel _ZN7rocprim17ROCPRIM_400000_NS6detail17trampoline_kernelINS0_14default_configENS1_27scan_by_key_config_selectorIxxEEZZNS1_16scan_by_key_implILNS1_25lookback_scan_determinismE0ELb0ES3_N6thrust23THRUST_200600_302600_NS6detail15normal_iteratorINS9_10device_ptrIxEEEESE_SE_xNS9_4plusIvEENS9_8equal_toIvEExEE10hipError_tPvRmT2_T3_T4_T5_mT6_T7_P12ihipStream_tbENKUlT_T0_E_clISt17integral_constantIbLb0EESY_IbLb1EEEEDaSU_SV_EUlSU_E_NS1_11comp_targetILNS1_3genE2ELNS1_11target_archE906ELNS1_3gpuE6ELNS1_3repE0EEENS1_30default_config_static_selectorELNS0_4arch9wavefront6targetE1EEEvT1_
		.amdhsa_group_segment_fixed_size 0
		.amdhsa_private_segment_fixed_size 0
		.amdhsa_kernarg_size 136
		.amdhsa_user_sgpr_count 6
		.amdhsa_user_sgpr_private_segment_buffer 1
		.amdhsa_user_sgpr_dispatch_ptr 0
		.amdhsa_user_sgpr_queue_ptr 0
		.amdhsa_user_sgpr_kernarg_segment_ptr 1
		.amdhsa_user_sgpr_dispatch_id 0
		.amdhsa_user_sgpr_flat_scratch_init 0
		.amdhsa_user_sgpr_kernarg_preload_length 0
		.amdhsa_user_sgpr_kernarg_preload_offset 0
		.amdhsa_user_sgpr_private_segment_size 0
		.amdhsa_uses_dynamic_stack 0
		.amdhsa_system_sgpr_private_segment_wavefront_offset 0
		.amdhsa_system_sgpr_workgroup_id_x 1
		.amdhsa_system_sgpr_workgroup_id_y 0
		.amdhsa_system_sgpr_workgroup_id_z 0
		.amdhsa_system_sgpr_workgroup_info 0
		.amdhsa_system_vgpr_workitem_id 0
		.amdhsa_next_free_vgpr 1
		.amdhsa_next_free_sgpr 0
		.amdhsa_accum_offset 4
		.amdhsa_reserve_vcc 0
		.amdhsa_reserve_flat_scratch 0
		.amdhsa_float_round_mode_32 0
		.amdhsa_float_round_mode_16_64 0
		.amdhsa_float_denorm_mode_32 3
		.amdhsa_float_denorm_mode_16_64 3
		.amdhsa_dx10_clamp 1
		.amdhsa_ieee_mode 1
		.amdhsa_fp16_overflow 0
		.amdhsa_tg_split 0
		.amdhsa_exception_fp_ieee_invalid_op 0
		.amdhsa_exception_fp_denorm_src 0
		.amdhsa_exception_fp_ieee_div_zero 0
		.amdhsa_exception_fp_ieee_overflow 0
		.amdhsa_exception_fp_ieee_underflow 0
		.amdhsa_exception_fp_ieee_inexact 0
		.amdhsa_exception_int_div_zero 0
	.end_amdhsa_kernel
	.section	.text._ZN7rocprim17ROCPRIM_400000_NS6detail17trampoline_kernelINS0_14default_configENS1_27scan_by_key_config_selectorIxxEEZZNS1_16scan_by_key_implILNS1_25lookback_scan_determinismE0ELb0ES3_N6thrust23THRUST_200600_302600_NS6detail15normal_iteratorINS9_10device_ptrIxEEEESE_SE_xNS9_4plusIvEENS9_8equal_toIvEExEE10hipError_tPvRmT2_T3_T4_T5_mT6_T7_P12ihipStream_tbENKUlT_T0_E_clISt17integral_constantIbLb0EESY_IbLb1EEEEDaSU_SV_EUlSU_E_NS1_11comp_targetILNS1_3genE2ELNS1_11target_archE906ELNS1_3gpuE6ELNS1_3repE0EEENS1_30default_config_static_selectorELNS0_4arch9wavefront6targetE1EEEvT1_,"axG",@progbits,_ZN7rocprim17ROCPRIM_400000_NS6detail17trampoline_kernelINS0_14default_configENS1_27scan_by_key_config_selectorIxxEEZZNS1_16scan_by_key_implILNS1_25lookback_scan_determinismE0ELb0ES3_N6thrust23THRUST_200600_302600_NS6detail15normal_iteratorINS9_10device_ptrIxEEEESE_SE_xNS9_4plusIvEENS9_8equal_toIvEExEE10hipError_tPvRmT2_T3_T4_T5_mT6_T7_P12ihipStream_tbENKUlT_T0_E_clISt17integral_constantIbLb0EESY_IbLb1EEEEDaSU_SV_EUlSU_E_NS1_11comp_targetILNS1_3genE2ELNS1_11target_archE906ELNS1_3gpuE6ELNS1_3repE0EEENS1_30default_config_static_selectorELNS0_4arch9wavefront6targetE1EEEvT1_,comdat
.Lfunc_end43:
	.size	_ZN7rocprim17ROCPRIM_400000_NS6detail17trampoline_kernelINS0_14default_configENS1_27scan_by_key_config_selectorIxxEEZZNS1_16scan_by_key_implILNS1_25lookback_scan_determinismE0ELb0ES3_N6thrust23THRUST_200600_302600_NS6detail15normal_iteratorINS9_10device_ptrIxEEEESE_SE_xNS9_4plusIvEENS9_8equal_toIvEExEE10hipError_tPvRmT2_T3_T4_T5_mT6_T7_P12ihipStream_tbENKUlT_T0_E_clISt17integral_constantIbLb0EESY_IbLb1EEEEDaSU_SV_EUlSU_E_NS1_11comp_targetILNS1_3genE2ELNS1_11target_archE906ELNS1_3gpuE6ELNS1_3repE0EEENS1_30default_config_static_selectorELNS0_4arch9wavefront6targetE1EEEvT1_, .Lfunc_end43-_ZN7rocprim17ROCPRIM_400000_NS6detail17trampoline_kernelINS0_14default_configENS1_27scan_by_key_config_selectorIxxEEZZNS1_16scan_by_key_implILNS1_25lookback_scan_determinismE0ELb0ES3_N6thrust23THRUST_200600_302600_NS6detail15normal_iteratorINS9_10device_ptrIxEEEESE_SE_xNS9_4plusIvEENS9_8equal_toIvEExEE10hipError_tPvRmT2_T3_T4_T5_mT6_T7_P12ihipStream_tbENKUlT_T0_E_clISt17integral_constantIbLb0EESY_IbLb1EEEEDaSU_SV_EUlSU_E_NS1_11comp_targetILNS1_3genE2ELNS1_11target_archE906ELNS1_3gpuE6ELNS1_3repE0EEENS1_30default_config_static_selectorELNS0_4arch9wavefront6targetE1EEEvT1_
                                        ; -- End function
	.section	.AMDGPU.csdata,"",@progbits
; Kernel info:
; codeLenInByte = 0
; NumSgprs: 4
; NumVgprs: 0
; NumAgprs: 0
; TotalNumVgprs: 0
; ScratchSize: 0
; MemoryBound: 0
; FloatMode: 240
; IeeeMode: 1
; LDSByteSize: 0 bytes/workgroup (compile time only)
; SGPRBlocks: 0
; VGPRBlocks: 0
; NumSGPRsForWavesPerEU: 4
; NumVGPRsForWavesPerEU: 1
; AccumOffset: 4
; Occupancy: 8
; WaveLimiterHint : 0
; COMPUTE_PGM_RSRC2:SCRATCH_EN: 0
; COMPUTE_PGM_RSRC2:USER_SGPR: 6
; COMPUTE_PGM_RSRC2:TRAP_HANDLER: 0
; COMPUTE_PGM_RSRC2:TGID_X_EN: 1
; COMPUTE_PGM_RSRC2:TGID_Y_EN: 0
; COMPUTE_PGM_RSRC2:TGID_Z_EN: 0
; COMPUTE_PGM_RSRC2:TIDIG_COMP_CNT: 0
; COMPUTE_PGM_RSRC3_GFX90A:ACCUM_OFFSET: 0
; COMPUTE_PGM_RSRC3_GFX90A:TG_SPLIT: 0
	.section	.text._ZN7rocprim17ROCPRIM_400000_NS6detail17trampoline_kernelINS0_14default_configENS1_27scan_by_key_config_selectorIxxEEZZNS1_16scan_by_key_implILNS1_25lookback_scan_determinismE0ELb0ES3_N6thrust23THRUST_200600_302600_NS6detail15normal_iteratorINS9_10device_ptrIxEEEESE_SE_xNS9_4plusIvEENS9_8equal_toIvEExEE10hipError_tPvRmT2_T3_T4_T5_mT6_T7_P12ihipStream_tbENKUlT_T0_E_clISt17integral_constantIbLb0EESY_IbLb1EEEEDaSU_SV_EUlSU_E_NS1_11comp_targetILNS1_3genE10ELNS1_11target_archE1200ELNS1_3gpuE4ELNS1_3repE0EEENS1_30default_config_static_selectorELNS0_4arch9wavefront6targetE1EEEvT1_,"axG",@progbits,_ZN7rocprim17ROCPRIM_400000_NS6detail17trampoline_kernelINS0_14default_configENS1_27scan_by_key_config_selectorIxxEEZZNS1_16scan_by_key_implILNS1_25lookback_scan_determinismE0ELb0ES3_N6thrust23THRUST_200600_302600_NS6detail15normal_iteratorINS9_10device_ptrIxEEEESE_SE_xNS9_4plusIvEENS9_8equal_toIvEExEE10hipError_tPvRmT2_T3_T4_T5_mT6_T7_P12ihipStream_tbENKUlT_T0_E_clISt17integral_constantIbLb0EESY_IbLb1EEEEDaSU_SV_EUlSU_E_NS1_11comp_targetILNS1_3genE10ELNS1_11target_archE1200ELNS1_3gpuE4ELNS1_3repE0EEENS1_30default_config_static_selectorELNS0_4arch9wavefront6targetE1EEEvT1_,comdat
	.protected	_ZN7rocprim17ROCPRIM_400000_NS6detail17trampoline_kernelINS0_14default_configENS1_27scan_by_key_config_selectorIxxEEZZNS1_16scan_by_key_implILNS1_25lookback_scan_determinismE0ELb0ES3_N6thrust23THRUST_200600_302600_NS6detail15normal_iteratorINS9_10device_ptrIxEEEESE_SE_xNS9_4plusIvEENS9_8equal_toIvEExEE10hipError_tPvRmT2_T3_T4_T5_mT6_T7_P12ihipStream_tbENKUlT_T0_E_clISt17integral_constantIbLb0EESY_IbLb1EEEEDaSU_SV_EUlSU_E_NS1_11comp_targetILNS1_3genE10ELNS1_11target_archE1200ELNS1_3gpuE4ELNS1_3repE0EEENS1_30default_config_static_selectorELNS0_4arch9wavefront6targetE1EEEvT1_ ; -- Begin function _ZN7rocprim17ROCPRIM_400000_NS6detail17trampoline_kernelINS0_14default_configENS1_27scan_by_key_config_selectorIxxEEZZNS1_16scan_by_key_implILNS1_25lookback_scan_determinismE0ELb0ES3_N6thrust23THRUST_200600_302600_NS6detail15normal_iteratorINS9_10device_ptrIxEEEESE_SE_xNS9_4plusIvEENS9_8equal_toIvEExEE10hipError_tPvRmT2_T3_T4_T5_mT6_T7_P12ihipStream_tbENKUlT_T0_E_clISt17integral_constantIbLb0EESY_IbLb1EEEEDaSU_SV_EUlSU_E_NS1_11comp_targetILNS1_3genE10ELNS1_11target_archE1200ELNS1_3gpuE4ELNS1_3repE0EEENS1_30default_config_static_selectorELNS0_4arch9wavefront6targetE1EEEvT1_
	.globl	_ZN7rocprim17ROCPRIM_400000_NS6detail17trampoline_kernelINS0_14default_configENS1_27scan_by_key_config_selectorIxxEEZZNS1_16scan_by_key_implILNS1_25lookback_scan_determinismE0ELb0ES3_N6thrust23THRUST_200600_302600_NS6detail15normal_iteratorINS9_10device_ptrIxEEEESE_SE_xNS9_4plusIvEENS9_8equal_toIvEExEE10hipError_tPvRmT2_T3_T4_T5_mT6_T7_P12ihipStream_tbENKUlT_T0_E_clISt17integral_constantIbLb0EESY_IbLb1EEEEDaSU_SV_EUlSU_E_NS1_11comp_targetILNS1_3genE10ELNS1_11target_archE1200ELNS1_3gpuE4ELNS1_3repE0EEENS1_30default_config_static_selectorELNS0_4arch9wavefront6targetE1EEEvT1_
	.p2align	8
	.type	_ZN7rocprim17ROCPRIM_400000_NS6detail17trampoline_kernelINS0_14default_configENS1_27scan_by_key_config_selectorIxxEEZZNS1_16scan_by_key_implILNS1_25lookback_scan_determinismE0ELb0ES3_N6thrust23THRUST_200600_302600_NS6detail15normal_iteratorINS9_10device_ptrIxEEEESE_SE_xNS9_4plusIvEENS9_8equal_toIvEExEE10hipError_tPvRmT2_T3_T4_T5_mT6_T7_P12ihipStream_tbENKUlT_T0_E_clISt17integral_constantIbLb0EESY_IbLb1EEEEDaSU_SV_EUlSU_E_NS1_11comp_targetILNS1_3genE10ELNS1_11target_archE1200ELNS1_3gpuE4ELNS1_3repE0EEENS1_30default_config_static_selectorELNS0_4arch9wavefront6targetE1EEEvT1_,@function
_ZN7rocprim17ROCPRIM_400000_NS6detail17trampoline_kernelINS0_14default_configENS1_27scan_by_key_config_selectorIxxEEZZNS1_16scan_by_key_implILNS1_25lookback_scan_determinismE0ELb0ES3_N6thrust23THRUST_200600_302600_NS6detail15normal_iteratorINS9_10device_ptrIxEEEESE_SE_xNS9_4plusIvEENS9_8equal_toIvEExEE10hipError_tPvRmT2_T3_T4_T5_mT6_T7_P12ihipStream_tbENKUlT_T0_E_clISt17integral_constantIbLb0EESY_IbLb1EEEEDaSU_SV_EUlSU_E_NS1_11comp_targetILNS1_3genE10ELNS1_11target_archE1200ELNS1_3gpuE4ELNS1_3repE0EEENS1_30default_config_static_selectorELNS0_4arch9wavefront6targetE1EEEvT1_: ; @_ZN7rocprim17ROCPRIM_400000_NS6detail17trampoline_kernelINS0_14default_configENS1_27scan_by_key_config_selectorIxxEEZZNS1_16scan_by_key_implILNS1_25lookback_scan_determinismE0ELb0ES3_N6thrust23THRUST_200600_302600_NS6detail15normal_iteratorINS9_10device_ptrIxEEEESE_SE_xNS9_4plusIvEENS9_8equal_toIvEExEE10hipError_tPvRmT2_T3_T4_T5_mT6_T7_P12ihipStream_tbENKUlT_T0_E_clISt17integral_constantIbLb0EESY_IbLb1EEEEDaSU_SV_EUlSU_E_NS1_11comp_targetILNS1_3genE10ELNS1_11target_archE1200ELNS1_3gpuE4ELNS1_3repE0EEENS1_30default_config_static_selectorELNS0_4arch9wavefront6targetE1EEEvT1_
; %bb.0:
	.section	.rodata,"a",@progbits
	.p2align	6, 0x0
	.amdhsa_kernel _ZN7rocprim17ROCPRIM_400000_NS6detail17trampoline_kernelINS0_14default_configENS1_27scan_by_key_config_selectorIxxEEZZNS1_16scan_by_key_implILNS1_25lookback_scan_determinismE0ELb0ES3_N6thrust23THRUST_200600_302600_NS6detail15normal_iteratorINS9_10device_ptrIxEEEESE_SE_xNS9_4plusIvEENS9_8equal_toIvEExEE10hipError_tPvRmT2_T3_T4_T5_mT6_T7_P12ihipStream_tbENKUlT_T0_E_clISt17integral_constantIbLb0EESY_IbLb1EEEEDaSU_SV_EUlSU_E_NS1_11comp_targetILNS1_3genE10ELNS1_11target_archE1200ELNS1_3gpuE4ELNS1_3repE0EEENS1_30default_config_static_selectorELNS0_4arch9wavefront6targetE1EEEvT1_
		.amdhsa_group_segment_fixed_size 0
		.amdhsa_private_segment_fixed_size 0
		.amdhsa_kernarg_size 136
		.amdhsa_user_sgpr_count 6
		.amdhsa_user_sgpr_private_segment_buffer 1
		.amdhsa_user_sgpr_dispatch_ptr 0
		.amdhsa_user_sgpr_queue_ptr 0
		.amdhsa_user_sgpr_kernarg_segment_ptr 1
		.amdhsa_user_sgpr_dispatch_id 0
		.amdhsa_user_sgpr_flat_scratch_init 0
		.amdhsa_user_sgpr_kernarg_preload_length 0
		.amdhsa_user_sgpr_kernarg_preload_offset 0
		.amdhsa_user_sgpr_private_segment_size 0
		.amdhsa_uses_dynamic_stack 0
		.amdhsa_system_sgpr_private_segment_wavefront_offset 0
		.amdhsa_system_sgpr_workgroup_id_x 1
		.amdhsa_system_sgpr_workgroup_id_y 0
		.amdhsa_system_sgpr_workgroup_id_z 0
		.amdhsa_system_sgpr_workgroup_info 0
		.amdhsa_system_vgpr_workitem_id 0
		.amdhsa_next_free_vgpr 1
		.amdhsa_next_free_sgpr 0
		.amdhsa_accum_offset 4
		.amdhsa_reserve_vcc 0
		.amdhsa_reserve_flat_scratch 0
		.amdhsa_float_round_mode_32 0
		.amdhsa_float_round_mode_16_64 0
		.amdhsa_float_denorm_mode_32 3
		.amdhsa_float_denorm_mode_16_64 3
		.amdhsa_dx10_clamp 1
		.amdhsa_ieee_mode 1
		.amdhsa_fp16_overflow 0
		.amdhsa_tg_split 0
		.amdhsa_exception_fp_ieee_invalid_op 0
		.amdhsa_exception_fp_denorm_src 0
		.amdhsa_exception_fp_ieee_div_zero 0
		.amdhsa_exception_fp_ieee_overflow 0
		.amdhsa_exception_fp_ieee_underflow 0
		.amdhsa_exception_fp_ieee_inexact 0
		.amdhsa_exception_int_div_zero 0
	.end_amdhsa_kernel
	.section	.text._ZN7rocprim17ROCPRIM_400000_NS6detail17trampoline_kernelINS0_14default_configENS1_27scan_by_key_config_selectorIxxEEZZNS1_16scan_by_key_implILNS1_25lookback_scan_determinismE0ELb0ES3_N6thrust23THRUST_200600_302600_NS6detail15normal_iteratorINS9_10device_ptrIxEEEESE_SE_xNS9_4plusIvEENS9_8equal_toIvEExEE10hipError_tPvRmT2_T3_T4_T5_mT6_T7_P12ihipStream_tbENKUlT_T0_E_clISt17integral_constantIbLb0EESY_IbLb1EEEEDaSU_SV_EUlSU_E_NS1_11comp_targetILNS1_3genE10ELNS1_11target_archE1200ELNS1_3gpuE4ELNS1_3repE0EEENS1_30default_config_static_selectorELNS0_4arch9wavefront6targetE1EEEvT1_,"axG",@progbits,_ZN7rocprim17ROCPRIM_400000_NS6detail17trampoline_kernelINS0_14default_configENS1_27scan_by_key_config_selectorIxxEEZZNS1_16scan_by_key_implILNS1_25lookback_scan_determinismE0ELb0ES3_N6thrust23THRUST_200600_302600_NS6detail15normal_iteratorINS9_10device_ptrIxEEEESE_SE_xNS9_4plusIvEENS9_8equal_toIvEExEE10hipError_tPvRmT2_T3_T4_T5_mT6_T7_P12ihipStream_tbENKUlT_T0_E_clISt17integral_constantIbLb0EESY_IbLb1EEEEDaSU_SV_EUlSU_E_NS1_11comp_targetILNS1_3genE10ELNS1_11target_archE1200ELNS1_3gpuE4ELNS1_3repE0EEENS1_30default_config_static_selectorELNS0_4arch9wavefront6targetE1EEEvT1_,comdat
.Lfunc_end44:
	.size	_ZN7rocprim17ROCPRIM_400000_NS6detail17trampoline_kernelINS0_14default_configENS1_27scan_by_key_config_selectorIxxEEZZNS1_16scan_by_key_implILNS1_25lookback_scan_determinismE0ELb0ES3_N6thrust23THRUST_200600_302600_NS6detail15normal_iteratorINS9_10device_ptrIxEEEESE_SE_xNS9_4plusIvEENS9_8equal_toIvEExEE10hipError_tPvRmT2_T3_T4_T5_mT6_T7_P12ihipStream_tbENKUlT_T0_E_clISt17integral_constantIbLb0EESY_IbLb1EEEEDaSU_SV_EUlSU_E_NS1_11comp_targetILNS1_3genE10ELNS1_11target_archE1200ELNS1_3gpuE4ELNS1_3repE0EEENS1_30default_config_static_selectorELNS0_4arch9wavefront6targetE1EEEvT1_, .Lfunc_end44-_ZN7rocprim17ROCPRIM_400000_NS6detail17trampoline_kernelINS0_14default_configENS1_27scan_by_key_config_selectorIxxEEZZNS1_16scan_by_key_implILNS1_25lookback_scan_determinismE0ELb0ES3_N6thrust23THRUST_200600_302600_NS6detail15normal_iteratorINS9_10device_ptrIxEEEESE_SE_xNS9_4plusIvEENS9_8equal_toIvEExEE10hipError_tPvRmT2_T3_T4_T5_mT6_T7_P12ihipStream_tbENKUlT_T0_E_clISt17integral_constantIbLb0EESY_IbLb1EEEEDaSU_SV_EUlSU_E_NS1_11comp_targetILNS1_3genE10ELNS1_11target_archE1200ELNS1_3gpuE4ELNS1_3repE0EEENS1_30default_config_static_selectorELNS0_4arch9wavefront6targetE1EEEvT1_
                                        ; -- End function
	.section	.AMDGPU.csdata,"",@progbits
; Kernel info:
; codeLenInByte = 0
; NumSgprs: 4
; NumVgprs: 0
; NumAgprs: 0
; TotalNumVgprs: 0
; ScratchSize: 0
; MemoryBound: 0
; FloatMode: 240
; IeeeMode: 1
; LDSByteSize: 0 bytes/workgroup (compile time only)
; SGPRBlocks: 0
; VGPRBlocks: 0
; NumSGPRsForWavesPerEU: 4
; NumVGPRsForWavesPerEU: 1
; AccumOffset: 4
; Occupancy: 8
; WaveLimiterHint : 0
; COMPUTE_PGM_RSRC2:SCRATCH_EN: 0
; COMPUTE_PGM_RSRC2:USER_SGPR: 6
; COMPUTE_PGM_RSRC2:TRAP_HANDLER: 0
; COMPUTE_PGM_RSRC2:TGID_X_EN: 1
; COMPUTE_PGM_RSRC2:TGID_Y_EN: 0
; COMPUTE_PGM_RSRC2:TGID_Z_EN: 0
; COMPUTE_PGM_RSRC2:TIDIG_COMP_CNT: 0
; COMPUTE_PGM_RSRC3_GFX90A:ACCUM_OFFSET: 0
; COMPUTE_PGM_RSRC3_GFX90A:TG_SPLIT: 0
	.section	.text._ZN7rocprim17ROCPRIM_400000_NS6detail17trampoline_kernelINS0_14default_configENS1_27scan_by_key_config_selectorIxxEEZZNS1_16scan_by_key_implILNS1_25lookback_scan_determinismE0ELb0ES3_N6thrust23THRUST_200600_302600_NS6detail15normal_iteratorINS9_10device_ptrIxEEEESE_SE_xNS9_4plusIvEENS9_8equal_toIvEExEE10hipError_tPvRmT2_T3_T4_T5_mT6_T7_P12ihipStream_tbENKUlT_T0_E_clISt17integral_constantIbLb0EESY_IbLb1EEEEDaSU_SV_EUlSU_E_NS1_11comp_targetILNS1_3genE9ELNS1_11target_archE1100ELNS1_3gpuE3ELNS1_3repE0EEENS1_30default_config_static_selectorELNS0_4arch9wavefront6targetE1EEEvT1_,"axG",@progbits,_ZN7rocprim17ROCPRIM_400000_NS6detail17trampoline_kernelINS0_14default_configENS1_27scan_by_key_config_selectorIxxEEZZNS1_16scan_by_key_implILNS1_25lookback_scan_determinismE0ELb0ES3_N6thrust23THRUST_200600_302600_NS6detail15normal_iteratorINS9_10device_ptrIxEEEESE_SE_xNS9_4plusIvEENS9_8equal_toIvEExEE10hipError_tPvRmT2_T3_T4_T5_mT6_T7_P12ihipStream_tbENKUlT_T0_E_clISt17integral_constantIbLb0EESY_IbLb1EEEEDaSU_SV_EUlSU_E_NS1_11comp_targetILNS1_3genE9ELNS1_11target_archE1100ELNS1_3gpuE3ELNS1_3repE0EEENS1_30default_config_static_selectorELNS0_4arch9wavefront6targetE1EEEvT1_,comdat
	.protected	_ZN7rocprim17ROCPRIM_400000_NS6detail17trampoline_kernelINS0_14default_configENS1_27scan_by_key_config_selectorIxxEEZZNS1_16scan_by_key_implILNS1_25lookback_scan_determinismE0ELb0ES3_N6thrust23THRUST_200600_302600_NS6detail15normal_iteratorINS9_10device_ptrIxEEEESE_SE_xNS9_4plusIvEENS9_8equal_toIvEExEE10hipError_tPvRmT2_T3_T4_T5_mT6_T7_P12ihipStream_tbENKUlT_T0_E_clISt17integral_constantIbLb0EESY_IbLb1EEEEDaSU_SV_EUlSU_E_NS1_11comp_targetILNS1_3genE9ELNS1_11target_archE1100ELNS1_3gpuE3ELNS1_3repE0EEENS1_30default_config_static_selectorELNS0_4arch9wavefront6targetE1EEEvT1_ ; -- Begin function _ZN7rocprim17ROCPRIM_400000_NS6detail17trampoline_kernelINS0_14default_configENS1_27scan_by_key_config_selectorIxxEEZZNS1_16scan_by_key_implILNS1_25lookback_scan_determinismE0ELb0ES3_N6thrust23THRUST_200600_302600_NS6detail15normal_iteratorINS9_10device_ptrIxEEEESE_SE_xNS9_4plusIvEENS9_8equal_toIvEExEE10hipError_tPvRmT2_T3_T4_T5_mT6_T7_P12ihipStream_tbENKUlT_T0_E_clISt17integral_constantIbLb0EESY_IbLb1EEEEDaSU_SV_EUlSU_E_NS1_11comp_targetILNS1_3genE9ELNS1_11target_archE1100ELNS1_3gpuE3ELNS1_3repE0EEENS1_30default_config_static_selectorELNS0_4arch9wavefront6targetE1EEEvT1_
	.globl	_ZN7rocprim17ROCPRIM_400000_NS6detail17trampoline_kernelINS0_14default_configENS1_27scan_by_key_config_selectorIxxEEZZNS1_16scan_by_key_implILNS1_25lookback_scan_determinismE0ELb0ES3_N6thrust23THRUST_200600_302600_NS6detail15normal_iteratorINS9_10device_ptrIxEEEESE_SE_xNS9_4plusIvEENS9_8equal_toIvEExEE10hipError_tPvRmT2_T3_T4_T5_mT6_T7_P12ihipStream_tbENKUlT_T0_E_clISt17integral_constantIbLb0EESY_IbLb1EEEEDaSU_SV_EUlSU_E_NS1_11comp_targetILNS1_3genE9ELNS1_11target_archE1100ELNS1_3gpuE3ELNS1_3repE0EEENS1_30default_config_static_selectorELNS0_4arch9wavefront6targetE1EEEvT1_
	.p2align	8
	.type	_ZN7rocprim17ROCPRIM_400000_NS6detail17trampoline_kernelINS0_14default_configENS1_27scan_by_key_config_selectorIxxEEZZNS1_16scan_by_key_implILNS1_25lookback_scan_determinismE0ELb0ES3_N6thrust23THRUST_200600_302600_NS6detail15normal_iteratorINS9_10device_ptrIxEEEESE_SE_xNS9_4plusIvEENS9_8equal_toIvEExEE10hipError_tPvRmT2_T3_T4_T5_mT6_T7_P12ihipStream_tbENKUlT_T0_E_clISt17integral_constantIbLb0EESY_IbLb1EEEEDaSU_SV_EUlSU_E_NS1_11comp_targetILNS1_3genE9ELNS1_11target_archE1100ELNS1_3gpuE3ELNS1_3repE0EEENS1_30default_config_static_selectorELNS0_4arch9wavefront6targetE1EEEvT1_,@function
_ZN7rocprim17ROCPRIM_400000_NS6detail17trampoline_kernelINS0_14default_configENS1_27scan_by_key_config_selectorIxxEEZZNS1_16scan_by_key_implILNS1_25lookback_scan_determinismE0ELb0ES3_N6thrust23THRUST_200600_302600_NS6detail15normal_iteratorINS9_10device_ptrIxEEEESE_SE_xNS9_4plusIvEENS9_8equal_toIvEExEE10hipError_tPvRmT2_T3_T4_T5_mT6_T7_P12ihipStream_tbENKUlT_T0_E_clISt17integral_constantIbLb0EESY_IbLb1EEEEDaSU_SV_EUlSU_E_NS1_11comp_targetILNS1_3genE9ELNS1_11target_archE1100ELNS1_3gpuE3ELNS1_3repE0EEENS1_30default_config_static_selectorELNS0_4arch9wavefront6targetE1EEEvT1_: ; @_ZN7rocprim17ROCPRIM_400000_NS6detail17trampoline_kernelINS0_14default_configENS1_27scan_by_key_config_selectorIxxEEZZNS1_16scan_by_key_implILNS1_25lookback_scan_determinismE0ELb0ES3_N6thrust23THRUST_200600_302600_NS6detail15normal_iteratorINS9_10device_ptrIxEEEESE_SE_xNS9_4plusIvEENS9_8equal_toIvEExEE10hipError_tPvRmT2_T3_T4_T5_mT6_T7_P12ihipStream_tbENKUlT_T0_E_clISt17integral_constantIbLb0EESY_IbLb1EEEEDaSU_SV_EUlSU_E_NS1_11comp_targetILNS1_3genE9ELNS1_11target_archE1100ELNS1_3gpuE3ELNS1_3repE0EEENS1_30default_config_static_selectorELNS0_4arch9wavefront6targetE1EEEvT1_
; %bb.0:
	.section	.rodata,"a",@progbits
	.p2align	6, 0x0
	.amdhsa_kernel _ZN7rocprim17ROCPRIM_400000_NS6detail17trampoline_kernelINS0_14default_configENS1_27scan_by_key_config_selectorIxxEEZZNS1_16scan_by_key_implILNS1_25lookback_scan_determinismE0ELb0ES3_N6thrust23THRUST_200600_302600_NS6detail15normal_iteratorINS9_10device_ptrIxEEEESE_SE_xNS9_4plusIvEENS9_8equal_toIvEExEE10hipError_tPvRmT2_T3_T4_T5_mT6_T7_P12ihipStream_tbENKUlT_T0_E_clISt17integral_constantIbLb0EESY_IbLb1EEEEDaSU_SV_EUlSU_E_NS1_11comp_targetILNS1_3genE9ELNS1_11target_archE1100ELNS1_3gpuE3ELNS1_3repE0EEENS1_30default_config_static_selectorELNS0_4arch9wavefront6targetE1EEEvT1_
		.amdhsa_group_segment_fixed_size 0
		.amdhsa_private_segment_fixed_size 0
		.amdhsa_kernarg_size 136
		.amdhsa_user_sgpr_count 6
		.amdhsa_user_sgpr_private_segment_buffer 1
		.amdhsa_user_sgpr_dispatch_ptr 0
		.amdhsa_user_sgpr_queue_ptr 0
		.amdhsa_user_sgpr_kernarg_segment_ptr 1
		.amdhsa_user_sgpr_dispatch_id 0
		.amdhsa_user_sgpr_flat_scratch_init 0
		.amdhsa_user_sgpr_kernarg_preload_length 0
		.amdhsa_user_sgpr_kernarg_preload_offset 0
		.amdhsa_user_sgpr_private_segment_size 0
		.amdhsa_uses_dynamic_stack 0
		.amdhsa_system_sgpr_private_segment_wavefront_offset 0
		.amdhsa_system_sgpr_workgroup_id_x 1
		.amdhsa_system_sgpr_workgroup_id_y 0
		.amdhsa_system_sgpr_workgroup_id_z 0
		.amdhsa_system_sgpr_workgroup_info 0
		.amdhsa_system_vgpr_workitem_id 0
		.amdhsa_next_free_vgpr 1
		.amdhsa_next_free_sgpr 0
		.amdhsa_accum_offset 4
		.amdhsa_reserve_vcc 0
		.amdhsa_reserve_flat_scratch 0
		.amdhsa_float_round_mode_32 0
		.amdhsa_float_round_mode_16_64 0
		.amdhsa_float_denorm_mode_32 3
		.amdhsa_float_denorm_mode_16_64 3
		.amdhsa_dx10_clamp 1
		.amdhsa_ieee_mode 1
		.amdhsa_fp16_overflow 0
		.amdhsa_tg_split 0
		.amdhsa_exception_fp_ieee_invalid_op 0
		.amdhsa_exception_fp_denorm_src 0
		.amdhsa_exception_fp_ieee_div_zero 0
		.amdhsa_exception_fp_ieee_overflow 0
		.amdhsa_exception_fp_ieee_underflow 0
		.amdhsa_exception_fp_ieee_inexact 0
		.amdhsa_exception_int_div_zero 0
	.end_amdhsa_kernel
	.section	.text._ZN7rocprim17ROCPRIM_400000_NS6detail17trampoline_kernelINS0_14default_configENS1_27scan_by_key_config_selectorIxxEEZZNS1_16scan_by_key_implILNS1_25lookback_scan_determinismE0ELb0ES3_N6thrust23THRUST_200600_302600_NS6detail15normal_iteratorINS9_10device_ptrIxEEEESE_SE_xNS9_4plusIvEENS9_8equal_toIvEExEE10hipError_tPvRmT2_T3_T4_T5_mT6_T7_P12ihipStream_tbENKUlT_T0_E_clISt17integral_constantIbLb0EESY_IbLb1EEEEDaSU_SV_EUlSU_E_NS1_11comp_targetILNS1_3genE9ELNS1_11target_archE1100ELNS1_3gpuE3ELNS1_3repE0EEENS1_30default_config_static_selectorELNS0_4arch9wavefront6targetE1EEEvT1_,"axG",@progbits,_ZN7rocprim17ROCPRIM_400000_NS6detail17trampoline_kernelINS0_14default_configENS1_27scan_by_key_config_selectorIxxEEZZNS1_16scan_by_key_implILNS1_25lookback_scan_determinismE0ELb0ES3_N6thrust23THRUST_200600_302600_NS6detail15normal_iteratorINS9_10device_ptrIxEEEESE_SE_xNS9_4plusIvEENS9_8equal_toIvEExEE10hipError_tPvRmT2_T3_T4_T5_mT6_T7_P12ihipStream_tbENKUlT_T0_E_clISt17integral_constantIbLb0EESY_IbLb1EEEEDaSU_SV_EUlSU_E_NS1_11comp_targetILNS1_3genE9ELNS1_11target_archE1100ELNS1_3gpuE3ELNS1_3repE0EEENS1_30default_config_static_selectorELNS0_4arch9wavefront6targetE1EEEvT1_,comdat
.Lfunc_end45:
	.size	_ZN7rocprim17ROCPRIM_400000_NS6detail17trampoline_kernelINS0_14default_configENS1_27scan_by_key_config_selectorIxxEEZZNS1_16scan_by_key_implILNS1_25lookback_scan_determinismE0ELb0ES3_N6thrust23THRUST_200600_302600_NS6detail15normal_iteratorINS9_10device_ptrIxEEEESE_SE_xNS9_4plusIvEENS9_8equal_toIvEExEE10hipError_tPvRmT2_T3_T4_T5_mT6_T7_P12ihipStream_tbENKUlT_T0_E_clISt17integral_constantIbLb0EESY_IbLb1EEEEDaSU_SV_EUlSU_E_NS1_11comp_targetILNS1_3genE9ELNS1_11target_archE1100ELNS1_3gpuE3ELNS1_3repE0EEENS1_30default_config_static_selectorELNS0_4arch9wavefront6targetE1EEEvT1_, .Lfunc_end45-_ZN7rocprim17ROCPRIM_400000_NS6detail17trampoline_kernelINS0_14default_configENS1_27scan_by_key_config_selectorIxxEEZZNS1_16scan_by_key_implILNS1_25lookback_scan_determinismE0ELb0ES3_N6thrust23THRUST_200600_302600_NS6detail15normal_iteratorINS9_10device_ptrIxEEEESE_SE_xNS9_4plusIvEENS9_8equal_toIvEExEE10hipError_tPvRmT2_T3_T4_T5_mT6_T7_P12ihipStream_tbENKUlT_T0_E_clISt17integral_constantIbLb0EESY_IbLb1EEEEDaSU_SV_EUlSU_E_NS1_11comp_targetILNS1_3genE9ELNS1_11target_archE1100ELNS1_3gpuE3ELNS1_3repE0EEENS1_30default_config_static_selectorELNS0_4arch9wavefront6targetE1EEEvT1_
                                        ; -- End function
	.section	.AMDGPU.csdata,"",@progbits
; Kernel info:
; codeLenInByte = 0
; NumSgprs: 4
; NumVgprs: 0
; NumAgprs: 0
; TotalNumVgprs: 0
; ScratchSize: 0
; MemoryBound: 0
; FloatMode: 240
; IeeeMode: 1
; LDSByteSize: 0 bytes/workgroup (compile time only)
; SGPRBlocks: 0
; VGPRBlocks: 0
; NumSGPRsForWavesPerEU: 4
; NumVGPRsForWavesPerEU: 1
; AccumOffset: 4
; Occupancy: 8
; WaveLimiterHint : 0
; COMPUTE_PGM_RSRC2:SCRATCH_EN: 0
; COMPUTE_PGM_RSRC2:USER_SGPR: 6
; COMPUTE_PGM_RSRC2:TRAP_HANDLER: 0
; COMPUTE_PGM_RSRC2:TGID_X_EN: 1
; COMPUTE_PGM_RSRC2:TGID_Y_EN: 0
; COMPUTE_PGM_RSRC2:TGID_Z_EN: 0
; COMPUTE_PGM_RSRC2:TIDIG_COMP_CNT: 0
; COMPUTE_PGM_RSRC3_GFX90A:ACCUM_OFFSET: 0
; COMPUTE_PGM_RSRC3_GFX90A:TG_SPLIT: 0
	.section	.text._ZN7rocprim17ROCPRIM_400000_NS6detail17trampoline_kernelINS0_14default_configENS1_27scan_by_key_config_selectorIxxEEZZNS1_16scan_by_key_implILNS1_25lookback_scan_determinismE0ELb0ES3_N6thrust23THRUST_200600_302600_NS6detail15normal_iteratorINS9_10device_ptrIxEEEESE_SE_xNS9_4plusIvEENS9_8equal_toIvEExEE10hipError_tPvRmT2_T3_T4_T5_mT6_T7_P12ihipStream_tbENKUlT_T0_E_clISt17integral_constantIbLb0EESY_IbLb1EEEEDaSU_SV_EUlSU_E_NS1_11comp_targetILNS1_3genE8ELNS1_11target_archE1030ELNS1_3gpuE2ELNS1_3repE0EEENS1_30default_config_static_selectorELNS0_4arch9wavefront6targetE1EEEvT1_,"axG",@progbits,_ZN7rocprim17ROCPRIM_400000_NS6detail17trampoline_kernelINS0_14default_configENS1_27scan_by_key_config_selectorIxxEEZZNS1_16scan_by_key_implILNS1_25lookback_scan_determinismE0ELb0ES3_N6thrust23THRUST_200600_302600_NS6detail15normal_iteratorINS9_10device_ptrIxEEEESE_SE_xNS9_4plusIvEENS9_8equal_toIvEExEE10hipError_tPvRmT2_T3_T4_T5_mT6_T7_P12ihipStream_tbENKUlT_T0_E_clISt17integral_constantIbLb0EESY_IbLb1EEEEDaSU_SV_EUlSU_E_NS1_11comp_targetILNS1_3genE8ELNS1_11target_archE1030ELNS1_3gpuE2ELNS1_3repE0EEENS1_30default_config_static_selectorELNS0_4arch9wavefront6targetE1EEEvT1_,comdat
	.protected	_ZN7rocprim17ROCPRIM_400000_NS6detail17trampoline_kernelINS0_14default_configENS1_27scan_by_key_config_selectorIxxEEZZNS1_16scan_by_key_implILNS1_25lookback_scan_determinismE0ELb0ES3_N6thrust23THRUST_200600_302600_NS6detail15normal_iteratorINS9_10device_ptrIxEEEESE_SE_xNS9_4plusIvEENS9_8equal_toIvEExEE10hipError_tPvRmT2_T3_T4_T5_mT6_T7_P12ihipStream_tbENKUlT_T0_E_clISt17integral_constantIbLb0EESY_IbLb1EEEEDaSU_SV_EUlSU_E_NS1_11comp_targetILNS1_3genE8ELNS1_11target_archE1030ELNS1_3gpuE2ELNS1_3repE0EEENS1_30default_config_static_selectorELNS0_4arch9wavefront6targetE1EEEvT1_ ; -- Begin function _ZN7rocprim17ROCPRIM_400000_NS6detail17trampoline_kernelINS0_14default_configENS1_27scan_by_key_config_selectorIxxEEZZNS1_16scan_by_key_implILNS1_25lookback_scan_determinismE0ELb0ES3_N6thrust23THRUST_200600_302600_NS6detail15normal_iteratorINS9_10device_ptrIxEEEESE_SE_xNS9_4plusIvEENS9_8equal_toIvEExEE10hipError_tPvRmT2_T3_T4_T5_mT6_T7_P12ihipStream_tbENKUlT_T0_E_clISt17integral_constantIbLb0EESY_IbLb1EEEEDaSU_SV_EUlSU_E_NS1_11comp_targetILNS1_3genE8ELNS1_11target_archE1030ELNS1_3gpuE2ELNS1_3repE0EEENS1_30default_config_static_selectorELNS0_4arch9wavefront6targetE1EEEvT1_
	.globl	_ZN7rocprim17ROCPRIM_400000_NS6detail17trampoline_kernelINS0_14default_configENS1_27scan_by_key_config_selectorIxxEEZZNS1_16scan_by_key_implILNS1_25lookback_scan_determinismE0ELb0ES3_N6thrust23THRUST_200600_302600_NS6detail15normal_iteratorINS9_10device_ptrIxEEEESE_SE_xNS9_4plusIvEENS9_8equal_toIvEExEE10hipError_tPvRmT2_T3_T4_T5_mT6_T7_P12ihipStream_tbENKUlT_T0_E_clISt17integral_constantIbLb0EESY_IbLb1EEEEDaSU_SV_EUlSU_E_NS1_11comp_targetILNS1_3genE8ELNS1_11target_archE1030ELNS1_3gpuE2ELNS1_3repE0EEENS1_30default_config_static_selectorELNS0_4arch9wavefront6targetE1EEEvT1_
	.p2align	8
	.type	_ZN7rocprim17ROCPRIM_400000_NS6detail17trampoline_kernelINS0_14default_configENS1_27scan_by_key_config_selectorIxxEEZZNS1_16scan_by_key_implILNS1_25lookback_scan_determinismE0ELb0ES3_N6thrust23THRUST_200600_302600_NS6detail15normal_iteratorINS9_10device_ptrIxEEEESE_SE_xNS9_4plusIvEENS9_8equal_toIvEExEE10hipError_tPvRmT2_T3_T4_T5_mT6_T7_P12ihipStream_tbENKUlT_T0_E_clISt17integral_constantIbLb0EESY_IbLb1EEEEDaSU_SV_EUlSU_E_NS1_11comp_targetILNS1_3genE8ELNS1_11target_archE1030ELNS1_3gpuE2ELNS1_3repE0EEENS1_30default_config_static_selectorELNS0_4arch9wavefront6targetE1EEEvT1_,@function
_ZN7rocprim17ROCPRIM_400000_NS6detail17trampoline_kernelINS0_14default_configENS1_27scan_by_key_config_selectorIxxEEZZNS1_16scan_by_key_implILNS1_25lookback_scan_determinismE0ELb0ES3_N6thrust23THRUST_200600_302600_NS6detail15normal_iteratorINS9_10device_ptrIxEEEESE_SE_xNS9_4plusIvEENS9_8equal_toIvEExEE10hipError_tPvRmT2_T3_T4_T5_mT6_T7_P12ihipStream_tbENKUlT_T0_E_clISt17integral_constantIbLb0EESY_IbLb1EEEEDaSU_SV_EUlSU_E_NS1_11comp_targetILNS1_3genE8ELNS1_11target_archE1030ELNS1_3gpuE2ELNS1_3repE0EEENS1_30default_config_static_selectorELNS0_4arch9wavefront6targetE1EEEvT1_: ; @_ZN7rocprim17ROCPRIM_400000_NS6detail17trampoline_kernelINS0_14default_configENS1_27scan_by_key_config_selectorIxxEEZZNS1_16scan_by_key_implILNS1_25lookback_scan_determinismE0ELb0ES3_N6thrust23THRUST_200600_302600_NS6detail15normal_iteratorINS9_10device_ptrIxEEEESE_SE_xNS9_4plusIvEENS9_8equal_toIvEExEE10hipError_tPvRmT2_T3_T4_T5_mT6_T7_P12ihipStream_tbENKUlT_T0_E_clISt17integral_constantIbLb0EESY_IbLb1EEEEDaSU_SV_EUlSU_E_NS1_11comp_targetILNS1_3genE8ELNS1_11target_archE1030ELNS1_3gpuE2ELNS1_3repE0EEENS1_30default_config_static_selectorELNS0_4arch9wavefront6targetE1EEEvT1_
; %bb.0:
	.section	.rodata,"a",@progbits
	.p2align	6, 0x0
	.amdhsa_kernel _ZN7rocprim17ROCPRIM_400000_NS6detail17trampoline_kernelINS0_14default_configENS1_27scan_by_key_config_selectorIxxEEZZNS1_16scan_by_key_implILNS1_25lookback_scan_determinismE0ELb0ES3_N6thrust23THRUST_200600_302600_NS6detail15normal_iteratorINS9_10device_ptrIxEEEESE_SE_xNS9_4plusIvEENS9_8equal_toIvEExEE10hipError_tPvRmT2_T3_T4_T5_mT6_T7_P12ihipStream_tbENKUlT_T0_E_clISt17integral_constantIbLb0EESY_IbLb1EEEEDaSU_SV_EUlSU_E_NS1_11comp_targetILNS1_3genE8ELNS1_11target_archE1030ELNS1_3gpuE2ELNS1_3repE0EEENS1_30default_config_static_selectorELNS0_4arch9wavefront6targetE1EEEvT1_
		.amdhsa_group_segment_fixed_size 0
		.amdhsa_private_segment_fixed_size 0
		.amdhsa_kernarg_size 136
		.amdhsa_user_sgpr_count 6
		.amdhsa_user_sgpr_private_segment_buffer 1
		.amdhsa_user_sgpr_dispatch_ptr 0
		.amdhsa_user_sgpr_queue_ptr 0
		.amdhsa_user_sgpr_kernarg_segment_ptr 1
		.amdhsa_user_sgpr_dispatch_id 0
		.amdhsa_user_sgpr_flat_scratch_init 0
		.amdhsa_user_sgpr_kernarg_preload_length 0
		.amdhsa_user_sgpr_kernarg_preload_offset 0
		.amdhsa_user_sgpr_private_segment_size 0
		.amdhsa_uses_dynamic_stack 0
		.amdhsa_system_sgpr_private_segment_wavefront_offset 0
		.amdhsa_system_sgpr_workgroup_id_x 1
		.amdhsa_system_sgpr_workgroup_id_y 0
		.amdhsa_system_sgpr_workgroup_id_z 0
		.amdhsa_system_sgpr_workgroup_info 0
		.amdhsa_system_vgpr_workitem_id 0
		.amdhsa_next_free_vgpr 1
		.amdhsa_next_free_sgpr 0
		.amdhsa_accum_offset 4
		.amdhsa_reserve_vcc 0
		.amdhsa_reserve_flat_scratch 0
		.amdhsa_float_round_mode_32 0
		.amdhsa_float_round_mode_16_64 0
		.amdhsa_float_denorm_mode_32 3
		.amdhsa_float_denorm_mode_16_64 3
		.amdhsa_dx10_clamp 1
		.amdhsa_ieee_mode 1
		.amdhsa_fp16_overflow 0
		.amdhsa_tg_split 0
		.amdhsa_exception_fp_ieee_invalid_op 0
		.amdhsa_exception_fp_denorm_src 0
		.amdhsa_exception_fp_ieee_div_zero 0
		.amdhsa_exception_fp_ieee_overflow 0
		.amdhsa_exception_fp_ieee_underflow 0
		.amdhsa_exception_fp_ieee_inexact 0
		.amdhsa_exception_int_div_zero 0
	.end_amdhsa_kernel
	.section	.text._ZN7rocprim17ROCPRIM_400000_NS6detail17trampoline_kernelINS0_14default_configENS1_27scan_by_key_config_selectorIxxEEZZNS1_16scan_by_key_implILNS1_25lookback_scan_determinismE0ELb0ES3_N6thrust23THRUST_200600_302600_NS6detail15normal_iteratorINS9_10device_ptrIxEEEESE_SE_xNS9_4plusIvEENS9_8equal_toIvEExEE10hipError_tPvRmT2_T3_T4_T5_mT6_T7_P12ihipStream_tbENKUlT_T0_E_clISt17integral_constantIbLb0EESY_IbLb1EEEEDaSU_SV_EUlSU_E_NS1_11comp_targetILNS1_3genE8ELNS1_11target_archE1030ELNS1_3gpuE2ELNS1_3repE0EEENS1_30default_config_static_selectorELNS0_4arch9wavefront6targetE1EEEvT1_,"axG",@progbits,_ZN7rocprim17ROCPRIM_400000_NS6detail17trampoline_kernelINS0_14default_configENS1_27scan_by_key_config_selectorIxxEEZZNS1_16scan_by_key_implILNS1_25lookback_scan_determinismE0ELb0ES3_N6thrust23THRUST_200600_302600_NS6detail15normal_iteratorINS9_10device_ptrIxEEEESE_SE_xNS9_4plusIvEENS9_8equal_toIvEExEE10hipError_tPvRmT2_T3_T4_T5_mT6_T7_P12ihipStream_tbENKUlT_T0_E_clISt17integral_constantIbLb0EESY_IbLb1EEEEDaSU_SV_EUlSU_E_NS1_11comp_targetILNS1_3genE8ELNS1_11target_archE1030ELNS1_3gpuE2ELNS1_3repE0EEENS1_30default_config_static_selectorELNS0_4arch9wavefront6targetE1EEEvT1_,comdat
.Lfunc_end46:
	.size	_ZN7rocprim17ROCPRIM_400000_NS6detail17trampoline_kernelINS0_14default_configENS1_27scan_by_key_config_selectorIxxEEZZNS1_16scan_by_key_implILNS1_25lookback_scan_determinismE0ELb0ES3_N6thrust23THRUST_200600_302600_NS6detail15normal_iteratorINS9_10device_ptrIxEEEESE_SE_xNS9_4plusIvEENS9_8equal_toIvEExEE10hipError_tPvRmT2_T3_T4_T5_mT6_T7_P12ihipStream_tbENKUlT_T0_E_clISt17integral_constantIbLb0EESY_IbLb1EEEEDaSU_SV_EUlSU_E_NS1_11comp_targetILNS1_3genE8ELNS1_11target_archE1030ELNS1_3gpuE2ELNS1_3repE0EEENS1_30default_config_static_selectorELNS0_4arch9wavefront6targetE1EEEvT1_, .Lfunc_end46-_ZN7rocprim17ROCPRIM_400000_NS6detail17trampoline_kernelINS0_14default_configENS1_27scan_by_key_config_selectorIxxEEZZNS1_16scan_by_key_implILNS1_25lookback_scan_determinismE0ELb0ES3_N6thrust23THRUST_200600_302600_NS6detail15normal_iteratorINS9_10device_ptrIxEEEESE_SE_xNS9_4plusIvEENS9_8equal_toIvEExEE10hipError_tPvRmT2_T3_T4_T5_mT6_T7_P12ihipStream_tbENKUlT_T0_E_clISt17integral_constantIbLb0EESY_IbLb1EEEEDaSU_SV_EUlSU_E_NS1_11comp_targetILNS1_3genE8ELNS1_11target_archE1030ELNS1_3gpuE2ELNS1_3repE0EEENS1_30default_config_static_selectorELNS0_4arch9wavefront6targetE1EEEvT1_
                                        ; -- End function
	.section	.AMDGPU.csdata,"",@progbits
; Kernel info:
; codeLenInByte = 0
; NumSgprs: 4
; NumVgprs: 0
; NumAgprs: 0
; TotalNumVgprs: 0
; ScratchSize: 0
; MemoryBound: 0
; FloatMode: 240
; IeeeMode: 1
; LDSByteSize: 0 bytes/workgroup (compile time only)
; SGPRBlocks: 0
; VGPRBlocks: 0
; NumSGPRsForWavesPerEU: 4
; NumVGPRsForWavesPerEU: 1
; AccumOffset: 4
; Occupancy: 8
; WaveLimiterHint : 0
; COMPUTE_PGM_RSRC2:SCRATCH_EN: 0
; COMPUTE_PGM_RSRC2:USER_SGPR: 6
; COMPUTE_PGM_RSRC2:TRAP_HANDLER: 0
; COMPUTE_PGM_RSRC2:TGID_X_EN: 1
; COMPUTE_PGM_RSRC2:TGID_Y_EN: 0
; COMPUTE_PGM_RSRC2:TGID_Z_EN: 0
; COMPUTE_PGM_RSRC2:TIDIG_COMP_CNT: 0
; COMPUTE_PGM_RSRC3_GFX90A:ACCUM_OFFSET: 0
; COMPUTE_PGM_RSRC3_GFX90A:TG_SPLIT: 0
	.section	.text._ZN7rocprim17ROCPRIM_400000_NS6detail17trampoline_kernelINS0_14default_configENS1_27scan_by_key_config_selectorIxxEEZZNS1_16scan_by_key_implILNS1_25lookback_scan_determinismE0ELb0ES3_N6thrust23THRUST_200600_302600_NS6detail15normal_iteratorINS9_10device_ptrIxEEEESE_SE_xNS9_10multipliesIxEENS9_8equal_toIxEExEE10hipError_tPvRmT2_T3_T4_T5_mT6_T7_P12ihipStream_tbENKUlT_T0_E_clISt17integral_constantIbLb0EESZ_EEDaSU_SV_EUlSU_E_NS1_11comp_targetILNS1_3genE0ELNS1_11target_archE4294967295ELNS1_3gpuE0ELNS1_3repE0EEENS1_30default_config_static_selectorELNS0_4arch9wavefront6targetE1EEEvT1_,"axG",@progbits,_ZN7rocprim17ROCPRIM_400000_NS6detail17trampoline_kernelINS0_14default_configENS1_27scan_by_key_config_selectorIxxEEZZNS1_16scan_by_key_implILNS1_25lookback_scan_determinismE0ELb0ES3_N6thrust23THRUST_200600_302600_NS6detail15normal_iteratorINS9_10device_ptrIxEEEESE_SE_xNS9_10multipliesIxEENS9_8equal_toIxEExEE10hipError_tPvRmT2_T3_T4_T5_mT6_T7_P12ihipStream_tbENKUlT_T0_E_clISt17integral_constantIbLb0EESZ_EEDaSU_SV_EUlSU_E_NS1_11comp_targetILNS1_3genE0ELNS1_11target_archE4294967295ELNS1_3gpuE0ELNS1_3repE0EEENS1_30default_config_static_selectorELNS0_4arch9wavefront6targetE1EEEvT1_,comdat
	.protected	_ZN7rocprim17ROCPRIM_400000_NS6detail17trampoline_kernelINS0_14default_configENS1_27scan_by_key_config_selectorIxxEEZZNS1_16scan_by_key_implILNS1_25lookback_scan_determinismE0ELb0ES3_N6thrust23THRUST_200600_302600_NS6detail15normal_iteratorINS9_10device_ptrIxEEEESE_SE_xNS9_10multipliesIxEENS9_8equal_toIxEExEE10hipError_tPvRmT2_T3_T4_T5_mT6_T7_P12ihipStream_tbENKUlT_T0_E_clISt17integral_constantIbLb0EESZ_EEDaSU_SV_EUlSU_E_NS1_11comp_targetILNS1_3genE0ELNS1_11target_archE4294967295ELNS1_3gpuE0ELNS1_3repE0EEENS1_30default_config_static_selectorELNS0_4arch9wavefront6targetE1EEEvT1_ ; -- Begin function _ZN7rocprim17ROCPRIM_400000_NS6detail17trampoline_kernelINS0_14default_configENS1_27scan_by_key_config_selectorIxxEEZZNS1_16scan_by_key_implILNS1_25lookback_scan_determinismE0ELb0ES3_N6thrust23THRUST_200600_302600_NS6detail15normal_iteratorINS9_10device_ptrIxEEEESE_SE_xNS9_10multipliesIxEENS9_8equal_toIxEExEE10hipError_tPvRmT2_T3_T4_T5_mT6_T7_P12ihipStream_tbENKUlT_T0_E_clISt17integral_constantIbLb0EESZ_EEDaSU_SV_EUlSU_E_NS1_11comp_targetILNS1_3genE0ELNS1_11target_archE4294967295ELNS1_3gpuE0ELNS1_3repE0EEENS1_30default_config_static_selectorELNS0_4arch9wavefront6targetE1EEEvT1_
	.globl	_ZN7rocprim17ROCPRIM_400000_NS6detail17trampoline_kernelINS0_14default_configENS1_27scan_by_key_config_selectorIxxEEZZNS1_16scan_by_key_implILNS1_25lookback_scan_determinismE0ELb0ES3_N6thrust23THRUST_200600_302600_NS6detail15normal_iteratorINS9_10device_ptrIxEEEESE_SE_xNS9_10multipliesIxEENS9_8equal_toIxEExEE10hipError_tPvRmT2_T3_T4_T5_mT6_T7_P12ihipStream_tbENKUlT_T0_E_clISt17integral_constantIbLb0EESZ_EEDaSU_SV_EUlSU_E_NS1_11comp_targetILNS1_3genE0ELNS1_11target_archE4294967295ELNS1_3gpuE0ELNS1_3repE0EEENS1_30default_config_static_selectorELNS0_4arch9wavefront6targetE1EEEvT1_
	.p2align	8
	.type	_ZN7rocprim17ROCPRIM_400000_NS6detail17trampoline_kernelINS0_14default_configENS1_27scan_by_key_config_selectorIxxEEZZNS1_16scan_by_key_implILNS1_25lookback_scan_determinismE0ELb0ES3_N6thrust23THRUST_200600_302600_NS6detail15normal_iteratorINS9_10device_ptrIxEEEESE_SE_xNS9_10multipliesIxEENS9_8equal_toIxEExEE10hipError_tPvRmT2_T3_T4_T5_mT6_T7_P12ihipStream_tbENKUlT_T0_E_clISt17integral_constantIbLb0EESZ_EEDaSU_SV_EUlSU_E_NS1_11comp_targetILNS1_3genE0ELNS1_11target_archE4294967295ELNS1_3gpuE0ELNS1_3repE0EEENS1_30default_config_static_selectorELNS0_4arch9wavefront6targetE1EEEvT1_,@function
_ZN7rocprim17ROCPRIM_400000_NS6detail17trampoline_kernelINS0_14default_configENS1_27scan_by_key_config_selectorIxxEEZZNS1_16scan_by_key_implILNS1_25lookback_scan_determinismE0ELb0ES3_N6thrust23THRUST_200600_302600_NS6detail15normal_iteratorINS9_10device_ptrIxEEEESE_SE_xNS9_10multipliesIxEENS9_8equal_toIxEExEE10hipError_tPvRmT2_T3_T4_T5_mT6_T7_P12ihipStream_tbENKUlT_T0_E_clISt17integral_constantIbLb0EESZ_EEDaSU_SV_EUlSU_E_NS1_11comp_targetILNS1_3genE0ELNS1_11target_archE4294967295ELNS1_3gpuE0ELNS1_3repE0EEENS1_30default_config_static_selectorELNS0_4arch9wavefront6targetE1EEEvT1_: ; @_ZN7rocprim17ROCPRIM_400000_NS6detail17trampoline_kernelINS0_14default_configENS1_27scan_by_key_config_selectorIxxEEZZNS1_16scan_by_key_implILNS1_25lookback_scan_determinismE0ELb0ES3_N6thrust23THRUST_200600_302600_NS6detail15normal_iteratorINS9_10device_ptrIxEEEESE_SE_xNS9_10multipliesIxEENS9_8equal_toIxEExEE10hipError_tPvRmT2_T3_T4_T5_mT6_T7_P12ihipStream_tbENKUlT_T0_E_clISt17integral_constantIbLb0EESZ_EEDaSU_SV_EUlSU_E_NS1_11comp_targetILNS1_3genE0ELNS1_11target_archE4294967295ELNS1_3gpuE0ELNS1_3repE0EEENS1_30default_config_static_selectorELNS0_4arch9wavefront6targetE1EEEvT1_
; %bb.0:
	.section	.rodata,"a",@progbits
	.p2align	6, 0x0
	.amdhsa_kernel _ZN7rocprim17ROCPRIM_400000_NS6detail17trampoline_kernelINS0_14default_configENS1_27scan_by_key_config_selectorIxxEEZZNS1_16scan_by_key_implILNS1_25lookback_scan_determinismE0ELb0ES3_N6thrust23THRUST_200600_302600_NS6detail15normal_iteratorINS9_10device_ptrIxEEEESE_SE_xNS9_10multipliesIxEENS9_8equal_toIxEExEE10hipError_tPvRmT2_T3_T4_T5_mT6_T7_P12ihipStream_tbENKUlT_T0_E_clISt17integral_constantIbLb0EESZ_EEDaSU_SV_EUlSU_E_NS1_11comp_targetILNS1_3genE0ELNS1_11target_archE4294967295ELNS1_3gpuE0ELNS1_3repE0EEENS1_30default_config_static_selectorELNS0_4arch9wavefront6targetE1EEEvT1_
		.amdhsa_group_segment_fixed_size 0
		.amdhsa_private_segment_fixed_size 0
		.amdhsa_kernarg_size 136
		.amdhsa_user_sgpr_count 6
		.amdhsa_user_sgpr_private_segment_buffer 1
		.amdhsa_user_sgpr_dispatch_ptr 0
		.amdhsa_user_sgpr_queue_ptr 0
		.amdhsa_user_sgpr_kernarg_segment_ptr 1
		.amdhsa_user_sgpr_dispatch_id 0
		.amdhsa_user_sgpr_flat_scratch_init 0
		.amdhsa_user_sgpr_kernarg_preload_length 0
		.amdhsa_user_sgpr_kernarg_preload_offset 0
		.amdhsa_user_sgpr_private_segment_size 0
		.amdhsa_uses_dynamic_stack 0
		.amdhsa_system_sgpr_private_segment_wavefront_offset 0
		.amdhsa_system_sgpr_workgroup_id_x 1
		.amdhsa_system_sgpr_workgroup_id_y 0
		.amdhsa_system_sgpr_workgroup_id_z 0
		.amdhsa_system_sgpr_workgroup_info 0
		.amdhsa_system_vgpr_workitem_id 0
		.amdhsa_next_free_vgpr 1
		.amdhsa_next_free_sgpr 0
		.amdhsa_accum_offset 4
		.amdhsa_reserve_vcc 0
		.amdhsa_reserve_flat_scratch 0
		.amdhsa_float_round_mode_32 0
		.amdhsa_float_round_mode_16_64 0
		.amdhsa_float_denorm_mode_32 3
		.amdhsa_float_denorm_mode_16_64 3
		.amdhsa_dx10_clamp 1
		.amdhsa_ieee_mode 1
		.amdhsa_fp16_overflow 0
		.amdhsa_tg_split 0
		.amdhsa_exception_fp_ieee_invalid_op 0
		.amdhsa_exception_fp_denorm_src 0
		.amdhsa_exception_fp_ieee_div_zero 0
		.amdhsa_exception_fp_ieee_overflow 0
		.amdhsa_exception_fp_ieee_underflow 0
		.amdhsa_exception_fp_ieee_inexact 0
		.amdhsa_exception_int_div_zero 0
	.end_amdhsa_kernel
	.section	.text._ZN7rocprim17ROCPRIM_400000_NS6detail17trampoline_kernelINS0_14default_configENS1_27scan_by_key_config_selectorIxxEEZZNS1_16scan_by_key_implILNS1_25lookback_scan_determinismE0ELb0ES3_N6thrust23THRUST_200600_302600_NS6detail15normal_iteratorINS9_10device_ptrIxEEEESE_SE_xNS9_10multipliesIxEENS9_8equal_toIxEExEE10hipError_tPvRmT2_T3_T4_T5_mT6_T7_P12ihipStream_tbENKUlT_T0_E_clISt17integral_constantIbLb0EESZ_EEDaSU_SV_EUlSU_E_NS1_11comp_targetILNS1_3genE0ELNS1_11target_archE4294967295ELNS1_3gpuE0ELNS1_3repE0EEENS1_30default_config_static_selectorELNS0_4arch9wavefront6targetE1EEEvT1_,"axG",@progbits,_ZN7rocprim17ROCPRIM_400000_NS6detail17trampoline_kernelINS0_14default_configENS1_27scan_by_key_config_selectorIxxEEZZNS1_16scan_by_key_implILNS1_25lookback_scan_determinismE0ELb0ES3_N6thrust23THRUST_200600_302600_NS6detail15normal_iteratorINS9_10device_ptrIxEEEESE_SE_xNS9_10multipliesIxEENS9_8equal_toIxEExEE10hipError_tPvRmT2_T3_T4_T5_mT6_T7_P12ihipStream_tbENKUlT_T0_E_clISt17integral_constantIbLb0EESZ_EEDaSU_SV_EUlSU_E_NS1_11comp_targetILNS1_3genE0ELNS1_11target_archE4294967295ELNS1_3gpuE0ELNS1_3repE0EEENS1_30default_config_static_selectorELNS0_4arch9wavefront6targetE1EEEvT1_,comdat
.Lfunc_end47:
	.size	_ZN7rocprim17ROCPRIM_400000_NS6detail17trampoline_kernelINS0_14default_configENS1_27scan_by_key_config_selectorIxxEEZZNS1_16scan_by_key_implILNS1_25lookback_scan_determinismE0ELb0ES3_N6thrust23THRUST_200600_302600_NS6detail15normal_iteratorINS9_10device_ptrIxEEEESE_SE_xNS9_10multipliesIxEENS9_8equal_toIxEExEE10hipError_tPvRmT2_T3_T4_T5_mT6_T7_P12ihipStream_tbENKUlT_T0_E_clISt17integral_constantIbLb0EESZ_EEDaSU_SV_EUlSU_E_NS1_11comp_targetILNS1_3genE0ELNS1_11target_archE4294967295ELNS1_3gpuE0ELNS1_3repE0EEENS1_30default_config_static_selectorELNS0_4arch9wavefront6targetE1EEEvT1_, .Lfunc_end47-_ZN7rocprim17ROCPRIM_400000_NS6detail17trampoline_kernelINS0_14default_configENS1_27scan_by_key_config_selectorIxxEEZZNS1_16scan_by_key_implILNS1_25lookback_scan_determinismE0ELb0ES3_N6thrust23THRUST_200600_302600_NS6detail15normal_iteratorINS9_10device_ptrIxEEEESE_SE_xNS9_10multipliesIxEENS9_8equal_toIxEExEE10hipError_tPvRmT2_T3_T4_T5_mT6_T7_P12ihipStream_tbENKUlT_T0_E_clISt17integral_constantIbLb0EESZ_EEDaSU_SV_EUlSU_E_NS1_11comp_targetILNS1_3genE0ELNS1_11target_archE4294967295ELNS1_3gpuE0ELNS1_3repE0EEENS1_30default_config_static_selectorELNS0_4arch9wavefront6targetE1EEEvT1_
                                        ; -- End function
	.section	.AMDGPU.csdata,"",@progbits
; Kernel info:
; codeLenInByte = 0
; NumSgprs: 4
; NumVgprs: 0
; NumAgprs: 0
; TotalNumVgprs: 0
; ScratchSize: 0
; MemoryBound: 0
; FloatMode: 240
; IeeeMode: 1
; LDSByteSize: 0 bytes/workgroup (compile time only)
; SGPRBlocks: 0
; VGPRBlocks: 0
; NumSGPRsForWavesPerEU: 4
; NumVGPRsForWavesPerEU: 1
; AccumOffset: 4
; Occupancy: 8
; WaveLimiterHint : 0
; COMPUTE_PGM_RSRC2:SCRATCH_EN: 0
; COMPUTE_PGM_RSRC2:USER_SGPR: 6
; COMPUTE_PGM_RSRC2:TRAP_HANDLER: 0
; COMPUTE_PGM_RSRC2:TGID_X_EN: 1
; COMPUTE_PGM_RSRC2:TGID_Y_EN: 0
; COMPUTE_PGM_RSRC2:TGID_Z_EN: 0
; COMPUTE_PGM_RSRC2:TIDIG_COMP_CNT: 0
; COMPUTE_PGM_RSRC3_GFX90A:ACCUM_OFFSET: 0
; COMPUTE_PGM_RSRC3_GFX90A:TG_SPLIT: 0
	.section	.text._ZN7rocprim17ROCPRIM_400000_NS6detail17trampoline_kernelINS0_14default_configENS1_27scan_by_key_config_selectorIxxEEZZNS1_16scan_by_key_implILNS1_25lookback_scan_determinismE0ELb0ES3_N6thrust23THRUST_200600_302600_NS6detail15normal_iteratorINS9_10device_ptrIxEEEESE_SE_xNS9_10multipliesIxEENS9_8equal_toIxEExEE10hipError_tPvRmT2_T3_T4_T5_mT6_T7_P12ihipStream_tbENKUlT_T0_E_clISt17integral_constantIbLb0EESZ_EEDaSU_SV_EUlSU_E_NS1_11comp_targetILNS1_3genE10ELNS1_11target_archE1201ELNS1_3gpuE5ELNS1_3repE0EEENS1_30default_config_static_selectorELNS0_4arch9wavefront6targetE1EEEvT1_,"axG",@progbits,_ZN7rocprim17ROCPRIM_400000_NS6detail17trampoline_kernelINS0_14default_configENS1_27scan_by_key_config_selectorIxxEEZZNS1_16scan_by_key_implILNS1_25lookback_scan_determinismE0ELb0ES3_N6thrust23THRUST_200600_302600_NS6detail15normal_iteratorINS9_10device_ptrIxEEEESE_SE_xNS9_10multipliesIxEENS9_8equal_toIxEExEE10hipError_tPvRmT2_T3_T4_T5_mT6_T7_P12ihipStream_tbENKUlT_T0_E_clISt17integral_constantIbLb0EESZ_EEDaSU_SV_EUlSU_E_NS1_11comp_targetILNS1_3genE10ELNS1_11target_archE1201ELNS1_3gpuE5ELNS1_3repE0EEENS1_30default_config_static_selectorELNS0_4arch9wavefront6targetE1EEEvT1_,comdat
	.protected	_ZN7rocprim17ROCPRIM_400000_NS6detail17trampoline_kernelINS0_14default_configENS1_27scan_by_key_config_selectorIxxEEZZNS1_16scan_by_key_implILNS1_25lookback_scan_determinismE0ELb0ES3_N6thrust23THRUST_200600_302600_NS6detail15normal_iteratorINS9_10device_ptrIxEEEESE_SE_xNS9_10multipliesIxEENS9_8equal_toIxEExEE10hipError_tPvRmT2_T3_T4_T5_mT6_T7_P12ihipStream_tbENKUlT_T0_E_clISt17integral_constantIbLb0EESZ_EEDaSU_SV_EUlSU_E_NS1_11comp_targetILNS1_3genE10ELNS1_11target_archE1201ELNS1_3gpuE5ELNS1_3repE0EEENS1_30default_config_static_selectorELNS0_4arch9wavefront6targetE1EEEvT1_ ; -- Begin function _ZN7rocprim17ROCPRIM_400000_NS6detail17trampoline_kernelINS0_14default_configENS1_27scan_by_key_config_selectorIxxEEZZNS1_16scan_by_key_implILNS1_25lookback_scan_determinismE0ELb0ES3_N6thrust23THRUST_200600_302600_NS6detail15normal_iteratorINS9_10device_ptrIxEEEESE_SE_xNS9_10multipliesIxEENS9_8equal_toIxEExEE10hipError_tPvRmT2_T3_T4_T5_mT6_T7_P12ihipStream_tbENKUlT_T0_E_clISt17integral_constantIbLb0EESZ_EEDaSU_SV_EUlSU_E_NS1_11comp_targetILNS1_3genE10ELNS1_11target_archE1201ELNS1_3gpuE5ELNS1_3repE0EEENS1_30default_config_static_selectorELNS0_4arch9wavefront6targetE1EEEvT1_
	.globl	_ZN7rocprim17ROCPRIM_400000_NS6detail17trampoline_kernelINS0_14default_configENS1_27scan_by_key_config_selectorIxxEEZZNS1_16scan_by_key_implILNS1_25lookback_scan_determinismE0ELb0ES3_N6thrust23THRUST_200600_302600_NS6detail15normal_iteratorINS9_10device_ptrIxEEEESE_SE_xNS9_10multipliesIxEENS9_8equal_toIxEExEE10hipError_tPvRmT2_T3_T4_T5_mT6_T7_P12ihipStream_tbENKUlT_T0_E_clISt17integral_constantIbLb0EESZ_EEDaSU_SV_EUlSU_E_NS1_11comp_targetILNS1_3genE10ELNS1_11target_archE1201ELNS1_3gpuE5ELNS1_3repE0EEENS1_30default_config_static_selectorELNS0_4arch9wavefront6targetE1EEEvT1_
	.p2align	8
	.type	_ZN7rocprim17ROCPRIM_400000_NS6detail17trampoline_kernelINS0_14default_configENS1_27scan_by_key_config_selectorIxxEEZZNS1_16scan_by_key_implILNS1_25lookback_scan_determinismE0ELb0ES3_N6thrust23THRUST_200600_302600_NS6detail15normal_iteratorINS9_10device_ptrIxEEEESE_SE_xNS9_10multipliesIxEENS9_8equal_toIxEExEE10hipError_tPvRmT2_T3_T4_T5_mT6_T7_P12ihipStream_tbENKUlT_T0_E_clISt17integral_constantIbLb0EESZ_EEDaSU_SV_EUlSU_E_NS1_11comp_targetILNS1_3genE10ELNS1_11target_archE1201ELNS1_3gpuE5ELNS1_3repE0EEENS1_30default_config_static_selectorELNS0_4arch9wavefront6targetE1EEEvT1_,@function
_ZN7rocprim17ROCPRIM_400000_NS6detail17trampoline_kernelINS0_14default_configENS1_27scan_by_key_config_selectorIxxEEZZNS1_16scan_by_key_implILNS1_25lookback_scan_determinismE0ELb0ES3_N6thrust23THRUST_200600_302600_NS6detail15normal_iteratorINS9_10device_ptrIxEEEESE_SE_xNS9_10multipliesIxEENS9_8equal_toIxEExEE10hipError_tPvRmT2_T3_T4_T5_mT6_T7_P12ihipStream_tbENKUlT_T0_E_clISt17integral_constantIbLb0EESZ_EEDaSU_SV_EUlSU_E_NS1_11comp_targetILNS1_3genE10ELNS1_11target_archE1201ELNS1_3gpuE5ELNS1_3repE0EEENS1_30default_config_static_selectorELNS0_4arch9wavefront6targetE1EEEvT1_: ; @_ZN7rocprim17ROCPRIM_400000_NS6detail17trampoline_kernelINS0_14default_configENS1_27scan_by_key_config_selectorIxxEEZZNS1_16scan_by_key_implILNS1_25lookback_scan_determinismE0ELb0ES3_N6thrust23THRUST_200600_302600_NS6detail15normal_iteratorINS9_10device_ptrIxEEEESE_SE_xNS9_10multipliesIxEENS9_8equal_toIxEExEE10hipError_tPvRmT2_T3_T4_T5_mT6_T7_P12ihipStream_tbENKUlT_T0_E_clISt17integral_constantIbLb0EESZ_EEDaSU_SV_EUlSU_E_NS1_11comp_targetILNS1_3genE10ELNS1_11target_archE1201ELNS1_3gpuE5ELNS1_3repE0EEENS1_30default_config_static_selectorELNS0_4arch9wavefront6targetE1EEEvT1_
; %bb.0:
	.section	.rodata,"a",@progbits
	.p2align	6, 0x0
	.amdhsa_kernel _ZN7rocprim17ROCPRIM_400000_NS6detail17trampoline_kernelINS0_14default_configENS1_27scan_by_key_config_selectorIxxEEZZNS1_16scan_by_key_implILNS1_25lookback_scan_determinismE0ELb0ES3_N6thrust23THRUST_200600_302600_NS6detail15normal_iteratorINS9_10device_ptrIxEEEESE_SE_xNS9_10multipliesIxEENS9_8equal_toIxEExEE10hipError_tPvRmT2_T3_T4_T5_mT6_T7_P12ihipStream_tbENKUlT_T0_E_clISt17integral_constantIbLb0EESZ_EEDaSU_SV_EUlSU_E_NS1_11comp_targetILNS1_3genE10ELNS1_11target_archE1201ELNS1_3gpuE5ELNS1_3repE0EEENS1_30default_config_static_selectorELNS0_4arch9wavefront6targetE1EEEvT1_
		.amdhsa_group_segment_fixed_size 0
		.amdhsa_private_segment_fixed_size 0
		.amdhsa_kernarg_size 136
		.amdhsa_user_sgpr_count 6
		.amdhsa_user_sgpr_private_segment_buffer 1
		.amdhsa_user_sgpr_dispatch_ptr 0
		.amdhsa_user_sgpr_queue_ptr 0
		.amdhsa_user_sgpr_kernarg_segment_ptr 1
		.amdhsa_user_sgpr_dispatch_id 0
		.amdhsa_user_sgpr_flat_scratch_init 0
		.amdhsa_user_sgpr_kernarg_preload_length 0
		.amdhsa_user_sgpr_kernarg_preload_offset 0
		.amdhsa_user_sgpr_private_segment_size 0
		.amdhsa_uses_dynamic_stack 0
		.amdhsa_system_sgpr_private_segment_wavefront_offset 0
		.amdhsa_system_sgpr_workgroup_id_x 1
		.amdhsa_system_sgpr_workgroup_id_y 0
		.amdhsa_system_sgpr_workgroup_id_z 0
		.amdhsa_system_sgpr_workgroup_info 0
		.amdhsa_system_vgpr_workitem_id 0
		.amdhsa_next_free_vgpr 1
		.amdhsa_next_free_sgpr 0
		.amdhsa_accum_offset 4
		.amdhsa_reserve_vcc 0
		.amdhsa_reserve_flat_scratch 0
		.amdhsa_float_round_mode_32 0
		.amdhsa_float_round_mode_16_64 0
		.amdhsa_float_denorm_mode_32 3
		.amdhsa_float_denorm_mode_16_64 3
		.amdhsa_dx10_clamp 1
		.amdhsa_ieee_mode 1
		.amdhsa_fp16_overflow 0
		.amdhsa_tg_split 0
		.amdhsa_exception_fp_ieee_invalid_op 0
		.amdhsa_exception_fp_denorm_src 0
		.amdhsa_exception_fp_ieee_div_zero 0
		.amdhsa_exception_fp_ieee_overflow 0
		.amdhsa_exception_fp_ieee_underflow 0
		.amdhsa_exception_fp_ieee_inexact 0
		.amdhsa_exception_int_div_zero 0
	.end_amdhsa_kernel
	.section	.text._ZN7rocprim17ROCPRIM_400000_NS6detail17trampoline_kernelINS0_14default_configENS1_27scan_by_key_config_selectorIxxEEZZNS1_16scan_by_key_implILNS1_25lookback_scan_determinismE0ELb0ES3_N6thrust23THRUST_200600_302600_NS6detail15normal_iteratorINS9_10device_ptrIxEEEESE_SE_xNS9_10multipliesIxEENS9_8equal_toIxEExEE10hipError_tPvRmT2_T3_T4_T5_mT6_T7_P12ihipStream_tbENKUlT_T0_E_clISt17integral_constantIbLb0EESZ_EEDaSU_SV_EUlSU_E_NS1_11comp_targetILNS1_3genE10ELNS1_11target_archE1201ELNS1_3gpuE5ELNS1_3repE0EEENS1_30default_config_static_selectorELNS0_4arch9wavefront6targetE1EEEvT1_,"axG",@progbits,_ZN7rocprim17ROCPRIM_400000_NS6detail17trampoline_kernelINS0_14default_configENS1_27scan_by_key_config_selectorIxxEEZZNS1_16scan_by_key_implILNS1_25lookback_scan_determinismE0ELb0ES3_N6thrust23THRUST_200600_302600_NS6detail15normal_iteratorINS9_10device_ptrIxEEEESE_SE_xNS9_10multipliesIxEENS9_8equal_toIxEExEE10hipError_tPvRmT2_T3_T4_T5_mT6_T7_P12ihipStream_tbENKUlT_T0_E_clISt17integral_constantIbLb0EESZ_EEDaSU_SV_EUlSU_E_NS1_11comp_targetILNS1_3genE10ELNS1_11target_archE1201ELNS1_3gpuE5ELNS1_3repE0EEENS1_30default_config_static_selectorELNS0_4arch9wavefront6targetE1EEEvT1_,comdat
.Lfunc_end48:
	.size	_ZN7rocprim17ROCPRIM_400000_NS6detail17trampoline_kernelINS0_14default_configENS1_27scan_by_key_config_selectorIxxEEZZNS1_16scan_by_key_implILNS1_25lookback_scan_determinismE0ELb0ES3_N6thrust23THRUST_200600_302600_NS6detail15normal_iteratorINS9_10device_ptrIxEEEESE_SE_xNS9_10multipliesIxEENS9_8equal_toIxEExEE10hipError_tPvRmT2_T3_T4_T5_mT6_T7_P12ihipStream_tbENKUlT_T0_E_clISt17integral_constantIbLb0EESZ_EEDaSU_SV_EUlSU_E_NS1_11comp_targetILNS1_3genE10ELNS1_11target_archE1201ELNS1_3gpuE5ELNS1_3repE0EEENS1_30default_config_static_selectorELNS0_4arch9wavefront6targetE1EEEvT1_, .Lfunc_end48-_ZN7rocprim17ROCPRIM_400000_NS6detail17trampoline_kernelINS0_14default_configENS1_27scan_by_key_config_selectorIxxEEZZNS1_16scan_by_key_implILNS1_25lookback_scan_determinismE0ELb0ES3_N6thrust23THRUST_200600_302600_NS6detail15normal_iteratorINS9_10device_ptrIxEEEESE_SE_xNS9_10multipliesIxEENS9_8equal_toIxEExEE10hipError_tPvRmT2_T3_T4_T5_mT6_T7_P12ihipStream_tbENKUlT_T0_E_clISt17integral_constantIbLb0EESZ_EEDaSU_SV_EUlSU_E_NS1_11comp_targetILNS1_3genE10ELNS1_11target_archE1201ELNS1_3gpuE5ELNS1_3repE0EEENS1_30default_config_static_selectorELNS0_4arch9wavefront6targetE1EEEvT1_
                                        ; -- End function
	.section	.AMDGPU.csdata,"",@progbits
; Kernel info:
; codeLenInByte = 0
; NumSgprs: 4
; NumVgprs: 0
; NumAgprs: 0
; TotalNumVgprs: 0
; ScratchSize: 0
; MemoryBound: 0
; FloatMode: 240
; IeeeMode: 1
; LDSByteSize: 0 bytes/workgroup (compile time only)
; SGPRBlocks: 0
; VGPRBlocks: 0
; NumSGPRsForWavesPerEU: 4
; NumVGPRsForWavesPerEU: 1
; AccumOffset: 4
; Occupancy: 8
; WaveLimiterHint : 0
; COMPUTE_PGM_RSRC2:SCRATCH_EN: 0
; COMPUTE_PGM_RSRC2:USER_SGPR: 6
; COMPUTE_PGM_RSRC2:TRAP_HANDLER: 0
; COMPUTE_PGM_RSRC2:TGID_X_EN: 1
; COMPUTE_PGM_RSRC2:TGID_Y_EN: 0
; COMPUTE_PGM_RSRC2:TGID_Z_EN: 0
; COMPUTE_PGM_RSRC2:TIDIG_COMP_CNT: 0
; COMPUTE_PGM_RSRC3_GFX90A:ACCUM_OFFSET: 0
; COMPUTE_PGM_RSRC3_GFX90A:TG_SPLIT: 0
	.section	.text._ZN7rocprim17ROCPRIM_400000_NS6detail17trampoline_kernelINS0_14default_configENS1_27scan_by_key_config_selectorIxxEEZZNS1_16scan_by_key_implILNS1_25lookback_scan_determinismE0ELb0ES3_N6thrust23THRUST_200600_302600_NS6detail15normal_iteratorINS9_10device_ptrIxEEEESE_SE_xNS9_10multipliesIxEENS9_8equal_toIxEExEE10hipError_tPvRmT2_T3_T4_T5_mT6_T7_P12ihipStream_tbENKUlT_T0_E_clISt17integral_constantIbLb0EESZ_EEDaSU_SV_EUlSU_E_NS1_11comp_targetILNS1_3genE5ELNS1_11target_archE942ELNS1_3gpuE9ELNS1_3repE0EEENS1_30default_config_static_selectorELNS0_4arch9wavefront6targetE1EEEvT1_,"axG",@progbits,_ZN7rocprim17ROCPRIM_400000_NS6detail17trampoline_kernelINS0_14default_configENS1_27scan_by_key_config_selectorIxxEEZZNS1_16scan_by_key_implILNS1_25lookback_scan_determinismE0ELb0ES3_N6thrust23THRUST_200600_302600_NS6detail15normal_iteratorINS9_10device_ptrIxEEEESE_SE_xNS9_10multipliesIxEENS9_8equal_toIxEExEE10hipError_tPvRmT2_T3_T4_T5_mT6_T7_P12ihipStream_tbENKUlT_T0_E_clISt17integral_constantIbLb0EESZ_EEDaSU_SV_EUlSU_E_NS1_11comp_targetILNS1_3genE5ELNS1_11target_archE942ELNS1_3gpuE9ELNS1_3repE0EEENS1_30default_config_static_selectorELNS0_4arch9wavefront6targetE1EEEvT1_,comdat
	.protected	_ZN7rocprim17ROCPRIM_400000_NS6detail17trampoline_kernelINS0_14default_configENS1_27scan_by_key_config_selectorIxxEEZZNS1_16scan_by_key_implILNS1_25lookback_scan_determinismE0ELb0ES3_N6thrust23THRUST_200600_302600_NS6detail15normal_iteratorINS9_10device_ptrIxEEEESE_SE_xNS9_10multipliesIxEENS9_8equal_toIxEExEE10hipError_tPvRmT2_T3_T4_T5_mT6_T7_P12ihipStream_tbENKUlT_T0_E_clISt17integral_constantIbLb0EESZ_EEDaSU_SV_EUlSU_E_NS1_11comp_targetILNS1_3genE5ELNS1_11target_archE942ELNS1_3gpuE9ELNS1_3repE0EEENS1_30default_config_static_selectorELNS0_4arch9wavefront6targetE1EEEvT1_ ; -- Begin function _ZN7rocprim17ROCPRIM_400000_NS6detail17trampoline_kernelINS0_14default_configENS1_27scan_by_key_config_selectorIxxEEZZNS1_16scan_by_key_implILNS1_25lookback_scan_determinismE0ELb0ES3_N6thrust23THRUST_200600_302600_NS6detail15normal_iteratorINS9_10device_ptrIxEEEESE_SE_xNS9_10multipliesIxEENS9_8equal_toIxEExEE10hipError_tPvRmT2_T3_T4_T5_mT6_T7_P12ihipStream_tbENKUlT_T0_E_clISt17integral_constantIbLb0EESZ_EEDaSU_SV_EUlSU_E_NS1_11comp_targetILNS1_3genE5ELNS1_11target_archE942ELNS1_3gpuE9ELNS1_3repE0EEENS1_30default_config_static_selectorELNS0_4arch9wavefront6targetE1EEEvT1_
	.globl	_ZN7rocprim17ROCPRIM_400000_NS6detail17trampoline_kernelINS0_14default_configENS1_27scan_by_key_config_selectorIxxEEZZNS1_16scan_by_key_implILNS1_25lookback_scan_determinismE0ELb0ES3_N6thrust23THRUST_200600_302600_NS6detail15normal_iteratorINS9_10device_ptrIxEEEESE_SE_xNS9_10multipliesIxEENS9_8equal_toIxEExEE10hipError_tPvRmT2_T3_T4_T5_mT6_T7_P12ihipStream_tbENKUlT_T0_E_clISt17integral_constantIbLb0EESZ_EEDaSU_SV_EUlSU_E_NS1_11comp_targetILNS1_3genE5ELNS1_11target_archE942ELNS1_3gpuE9ELNS1_3repE0EEENS1_30default_config_static_selectorELNS0_4arch9wavefront6targetE1EEEvT1_
	.p2align	8
	.type	_ZN7rocprim17ROCPRIM_400000_NS6detail17trampoline_kernelINS0_14default_configENS1_27scan_by_key_config_selectorIxxEEZZNS1_16scan_by_key_implILNS1_25lookback_scan_determinismE0ELb0ES3_N6thrust23THRUST_200600_302600_NS6detail15normal_iteratorINS9_10device_ptrIxEEEESE_SE_xNS9_10multipliesIxEENS9_8equal_toIxEExEE10hipError_tPvRmT2_T3_T4_T5_mT6_T7_P12ihipStream_tbENKUlT_T0_E_clISt17integral_constantIbLb0EESZ_EEDaSU_SV_EUlSU_E_NS1_11comp_targetILNS1_3genE5ELNS1_11target_archE942ELNS1_3gpuE9ELNS1_3repE0EEENS1_30default_config_static_selectorELNS0_4arch9wavefront6targetE1EEEvT1_,@function
_ZN7rocprim17ROCPRIM_400000_NS6detail17trampoline_kernelINS0_14default_configENS1_27scan_by_key_config_selectorIxxEEZZNS1_16scan_by_key_implILNS1_25lookback_scan_determinismE0ELb0ES3_N6thrust23THRUST_200600_302600_NS6detail15normal_iteratorINS9_10device_ptrIxEEEESE_SE_xNS9_10multipliesIxEENS9_8equal_toIxEExEE10hipError_tPvRmT2_T3_T4_T5_mT6_T7_P12ihipStream_tbENKUlT_T0_E_clISt17integral_constantIbLb0EESZ_EEDaSU_SV_EUlSU_E_NS1_11comp_targetILNS1_3genE5ELNS1_11target_archE942ELNS1_3gpuE9ELNS1_3repE0EEENS1_30default_config_static_selectorELNS0_4arch9wavefront6targetE1EEEvT1_: ; @_ZN7rocprim17ROCPRIM_400000_NS6detail17trampoline_kernelINS0_14default_configENS1_27scan_by_key_config_selectorIxxEEZZNS1_16scan_by_key_implILNS1_25lookback_scan_determinismE0ELb0ES3_N6thrust23THRUST_200600_302600_NS6detail15normal_iteratorINS9_10device_ptrIxEEEESE_SE_xNS9_10multipliesIxEENS9_8equal_toIxEExEE10hipError_tPvRmT2_T3_T4_T5_mT6_T7_P12ihipStream_tbENKUlT_T0_E_clISt17integral_constantIbLb0EESZ_EEDaSU_SV_EUlSU_E_NS1_11comp_targetILNS1_3genE5ELNS1_11target_archE942ELNS1_3gpuE9ELNS1_3repE0EEENS1_30default_config_static_selectorELNS0_4arch9wavefront6targetE1EEEvT1_
; %bb.0:
	.section	.rodata,"a",@progbits
	.p2align	6, 0x0
	.amdhsa_kernel _ZN7rocprim17ROCPRIM_400000_NS6detail17trampoline_kernelINS0_14default_configENS1_27scan_by_key_config_selectorIxxEEZZNS1_16scan_by_key_implILNS1_25lookback_scan_determinismE0ELb0ES3_N6thrust23THRUST_200600_302600_NS6detail15normal_iteratorINS9_10device_ptrIxEEEESE_SE_xNS9_10multipliesIxEENS9_8equal_toIxEExEE10hipError_tPvRmT2_T3_T4_T5_mT6_T7_P12ihipStream_tbENKUlT_T0_E_clISt17integral_constantIbLb0EESZ_EEDaSU_SV_EUlSU_E_NS1_11comp_targetILNS1_3genE5ELNS1_11target_archE942ELNS1_3gpuE9ELNS1_3repE0EEENS1_30default_config_static_selectorELNS0_4arch9wavefront6targetE1EEEvT1_
		.amdhsa_group_segment_fixed_size 0
		.amdhsa_private_segment_fixed_size 0
		.amdhsa_kernarg_size 136
		.amdhsa_user_sgpr_count 6
		.amdhsa_user_sgpr_private_segment_buffer 1
		.amdhsa_user_sgpr_dispatch_ptr 0
		.amdhsa_user_sgpr_queue_ptr 0
		.amdhsa_user_sgpr_kernarg_segment_ptr 1
		.amdhsa_user_sgpr_dispatch_id 0
		.amdhsa_user_sgpr_flat_scratch_init 0
		.amdhsa_user_sgpr_kernarg_preload_length 0
		.amdhsa_user_sgpr_kernarg_preload_offset 0
		.amdhsa_user_sgpr_private_segment_size 0
		.amdhsa_uses_dynamic_stack 0
		.amdhsa_system_sgpr_private_segment_wavefront_offset 0
		.amdhsa_system_sgpr_workgroup_id_x 1
		.amdhsa_system_sgpr_workgroup_id_y 0
		.amdhsa_system_sgpr_workgroup_id_z 0
		.amdhsa_system_sgpr_workgroup_info 0
		.amdhsa_system_vgpr_workitem_id 0
		.amdhsa_next_free_vgpr 1
		.amdhsa_next_free_sgpr 0
		.amdhsa_accum_offset 4
		.amdhsa_reserve_vcc 0
		.amdhsa_reserve_flat_scratch 0
		.amdhsa_float_round_mode_32 0
		.amdhsa_float_round_mode_16_64 0
		.amdhsa_float_denorm_mode_32 3
		.amdhsa_float_denorm_mode_16_64 3
		.amdhsa_dx10_clamp 1
		.amdhsa_ieee_mode 1
		.amdhsa_fp16_overflow 0
		.amdhsa_tg_split 0
		.amdhsa_exception_fp_ieee_invalid_op 0
		.amdhsa_exception_fp_denorm_src 0
		.amdhsa_exception_fp_ieee_div_zero 0
		.amdhsa_exception_fp_ieee_overflow 0
		.amdhsa_exception_fp_ieee_underflow 0
		.amdhsa_exception_fp_ieee_inexact 0
		.amdhsa_exception_int_div_zero 0
	.end_amdhsa_kernel
	.section	.text._ZN7rocprim17ROCPRIM_400000_NS6detail17trampoline_kernelINS0_14default_configENS1_27scan_by_key_config_selectorIxxEEZZNS1_16scan_by_key_implILNS1_25lookback_scan_determinismE0ELb0ES3_N6thrust23THRUST_200600_302600_NS6detail15normal_iteratorINS9_10device_ptrIxEEEESE_SE_xNS9_10multipliesIxEENS9_8equal_toIxEExEE10hipError_tPvRmT2_T3_T4_T5_mT6_T7_P12ihipStream_tbENKUlT_T0_E_clISt17integral_constantIbLb0EESZ_EEDaSU_SV_EUlSU_E_NS1_11comp_targetILNS1_3genE5ELNS1_11target_archE942ELNS1_3gpuE9ELNS1_3repE0EEENS1_30default_config_static_selectorELNS0_4arch9wavefront6targetE1EEEvT1_,"axG",@progbits,_ZN7rocprim17ROCPRIM_400000_NS6detail17trampoline_kernelINS0_14default_configENS1_27scan_by_key_config_selectorIxxEEZZNS1_16scan_by_key_implILNS1_25lookback_scan_determinismE0ELb0ES3_N6thrust23THRUST_200600_302600_NS6detail15normal_iteratorINS9_10device_ptrIxEEEESE_SE_xNS9_10multipliesIxEENS9_8equal_toIxEExEE10hipError_tPvRmT2_T3_T4_T5_mT6_T7_P12ihipStream_tbENKUlT_T0_E_clISt17integral_constantIbLb0EESZ_EEDaSU_SV_EUlSU_E_NS1_11comp_targetILNS1_3genE5ELNS1_11target_archE942ELNS1_3gpuE9ELNS1_3repE0EEENS1_30default_config_static_selectorELNS0_4arch9wavefront6targetE1EEEvT1_,comdat
.Lfunc_end49:
	.size	_ZN7rocprim17ROCPRIM_400000_NS6detail17trampoline_kernelINS0_14default_configENS1_27scan_by_key_config_selectorIxxEEZZNS1_16scan_by_key_implILNS1_25lookback_scan_determinismE0ELb0ES3_N6thrust23THRUST_200600_302600_NS6detail15normal_iteratorINS9_10device_ptrIxEEEESE_SE_xNS9_10multipliesIxEENS9_8equal_toIxEExEE10hipError_tPvRmT2_T3_T4_T5_mT6_T7_P12ihipStream_tbENKUlT_T0_E_clISt17integral_constantIbLb0EESZ_EEDaSU_SV_EUlSU_E_NS1_11comp_targetILNS1_3genE5ELNS1_11target_archE942ELNS1_3gpuE9ELNS1_3repE0EEENS1_30default_config_static_selectorELNS0_4arch9wavefront6targetE1EEEvT1_, .Lfunc_end49-_ZN7rocprim17ROCPRIM_400000_NS6detail17trampoline_kernelINS0_14default_configENS1_27scan_by_key_config_selectorIxxEEZZNS1_16scan_by_key_implILNS1_25lookback_scan_determinismE0ELb0ES3_N6thrust23THRUST_200600_302600_NS6detail15normal_iteratorINS9_10device_ptrIxEEEESE_SE_xNS9_10multipliesIxEENS9_8equal_toIxEExEE10hipError_tPvRmT2_T3_T4_T5_mT6_T7_P12ihipStream_tbENKUlT_T0_E_clISt17integral_constantIbLb0EESZ_EEDaSU_SV_EUlSU_E_NS1_11comp_targetILNS1_3genE5ELNS1_11target_archE942ELNS1_3gpuE9ELNS1_3repE0EEENS1_30default_config_static_selectorELNS0_4arch9wavefront6targetE1EEEvT1_
                                        ; -- End function
	.section	.AMDGPU.csdata,"",@progbits
; Kernel info:
; codeLenInByte = 0
; NumSgprs: 4
; NumVgprs: 0
; NumAgprs: 0
; TotalNumVgprs: 0
; ScratchSize: 0
; MemoryBound: 0
; FloatMode: 240
; IeeeMode: 1
; LDSByteSize: 0 bytes/workgroup (compile time only)
; SGPRBlocks: 0
; VGPRBlocks: 0
; NumSGPRsForWavesPerEU: 4
; NumVGPRsForWavesPerEU: 1
; AccumOffset: 4
; Occupancy: 8
; WaveLimiterHint : 0
; COMPUTE_PGM_RSRC2:SCRATCH_EN: 0
; COMPUTE_PGM_RSRC2:USER_SGPR: 6
; COMPUTE_PGM_RSRC2:TRAP_HANDLER: 0
; COMPUTE_PGM_RSRC2:TGID_X_EN: 1
; COMPUTE_PGM_RSRC2:TGID_Y_EN: 0
; COMPUTE_PGM_RSRC2:TGID_Z_EN: 0
; COMPUTE_PGM_RSRC2:TIDIG_COMP_CNT: 0
; COMPUTE_PGM_RSRC3_GFX90A:ACCUM_OFFSET: 0
; COMPUTE_PGM_RSRC3_GFX90A:TG_SPLIT: 0
	.section	.text._ZN7rocprim17ROCPRIM_400000_NS6detail17trampoline_kernelINS0_14default_configENS1_27scan_by_key_config_selectorIxxEEZZNS1_16scan_by_key_implILNS1_25lookback_scan_determinismE0ELb0ES3_N6thrust23THRUST_200600_302600_NS6detail15normal_iteratorINS9_10device_ptrIxEEEESE_SE_xNS9_10multipliesIxEENS9_8equal_toIxEExEE10hipError_tPvRmT2_T3_T4_T5_mT6_T7_P12ihipStream_tbENKUlT_T0_E_clISt17integral_constantIbLb0EESZ_EEDaSU_SV_EUlSU_E_NS1_11comp_targetILNS1_3genE4ELNS1_11target_archE910ELNS1_3gpuE8ELNS1_3repE0EEENS1_30default_config_static_selectorELNS0_4arch9wavefront6targetE1EEEvT1_,"axG",@progbits,_ZN7rocprim17ROCPRIM_400000_NS6detail17trampoline_kernelINS0_14default_configENS1_27scan_by_key_config_selectorIxxEEZZNS1_16scan_by_key_implILNS1_25lookback_scan_determinismE0ELb0ES3_N6thrust23THRUST_200600_302600_NS6detail15normal_iteratorINS9_10device_ptrIxEEEESE_SE_xNS9_10multipliesIxEENS9_8equal_toIxEExEE10hipError_tPvRmT2_T3_T4_T5_mT6_T7_P12ihipStream_tbENKUlT_T0_E_clISt17integral_constantIbLb0EESZ_EEDaSU_SV_EUlSU_E_NS1_11comp_targetILNS1_3genE4ELNS1_11target_archE910ELNS1_3gpuE8ELNS1_3repE0EEENS1_30default_config_static_selectorELNS0_4arch9wavefront6targetE1EEEvT1_,comdat
	.protected	_ZN7rocprim17ROCPRIM_400000_NS6detail17trampoline_kernelINS0_14default_configENS1_27scan_by_key_config_selectorIxxEEZZNS1_16scan_by_key_implILNS1_25lookback_scan_determinismE0ELb0ES3_N6thrust23THRUST_200600_302600_NS6detail15normal_iteratorINS9_10device_ptrIxEEEESE_SE_xNS9_10multipliesIxEENS9_8equal_toIxEExEE10hipError_tPvRmT2_T3_T4_T5_mT6_T7_P12ihipStream_tbENKUlT_T0_E_clISt17integral_constantIbLb0EESZ_EEDaSU_SV_EUlSU_E_NS1_11comp_targetILNS1_3genE4ELNS1_11target_archE910ELNS1_3gpuE8ELNS1_3repE0EEENS1_30default_config_static_selectorELNS0_4arch9wavefront6targetE1EEEvT1_ ; -- Begin function _ZN7rocprim17ROCPRIM_400000_NS6detail17trampoline_kernelINS0_14default_configENS1_27scan_by_key_config_selectorIxxEEZZNS1_16scan_by_key_implILNS1_25lookback_scan_determinismE0ELb0ES3_N6thrust23THRUST_200600_302600_NS6detail15normal_iteratorINS9_10device_ptrIxEEEESE_SE_xNS9_10multipliesIxEENS9_8equal_toIxEExEE10hipError_tPvRmT2_T3_T4_T5_mT6_T7_P12ihipStream_tbENKUlT_T0_E_clISt17integral_constantIbLb0EESZ_EEDaSU_SV_EUlSU_E_NS1_11comp_targetILNS1_3genE4ELNS1_11target_archE910ELNS1_3gpuE8ELNS1_3repE0EEENS1_30default_config_static_selectorELNS0_4arch9wavefront6targetE1EEEvT1_
	.globl	_ZN7rocprim17ROCPRIM_400000_NS6detail17trampoline_kernelINS0_14default_configENS1_27scan_by_key_config_selectorIxxEEZZNS1_16scan_by_key_implILNS1_25lookback_scan_determinismE0ELb0ES3_N6thrust23THRUST_200600_302600_NS6detail15normal_iteratorINS9_10device_ptrIxEEEESE_SE_xNS9_10multipliesIxEENS9_8equal_toIxEExEE10hipError_tPvRmT2_T3_T4_T5_mT6_T7_P12ihipStream_tbENKUlT_T0_E_clISt17integral_constantIbLb0EESZ_EEDaSU_SV_EUlSU_E_NS1_11comp_targetILNS1_3genE4ELNS1_11target_archE910ELNS1_3gpuE8ELNS1_3repE0EEENS1_30default_config_static_selectorELNS0_4arch9wavefront6targetE1EEEvT1_
	.p2align	8
	.type	_ZN7rocprim17ROCPRIM_400000_NS6detail17trampoline_kernelINS0_14default_configENS1_27scan_by_key_config_selectorIxxEEZZNS1_16scan_by_key_implILNS1_25lookback_scan_determinismE0ELb0ES3_N6thrust23THRUST_200600_302600_NS6detail15normal_iteratorINS9_10device_ptrIxEEEESE_SE_xNS9_10multipliesIxEENS9_8equal_toIxEExEE10hipError_tPvRmT2_T3_T4_T5_mT6_T7_P12ihipStream_tbENKUlT_T0_E_clISt17integral_constantIbLb0EESZ_EEDaSU_SV_EUlSU_E_NS1_11comp_targetILNS1_3genE4ELNS1_11target_archE910ELNS1_3gpuE8ELNS1_3repE0EEENS1_30default_config_static_selectorELNS0_4arch9wavefront6targetE1EEEvT1_,@function
_ZN7rocprim17ROCPRIM_400000_NS6detail17trampoline_kernelINS0_14default_configENS1_27scan_by_key_config_selectorIxxEEZZNS1_16scan_by_key_implILNS1_25lookback_scan_determinismE0ELb0ES3_N6thrust23THRUST_200600_302600_NS6detail15normal_iteratorINS9_10device_ptrIxEEEESE_SE_xNS9_10multipliesIxEENS9_8equal_toIxEExEE10hipError_tPvRmT2_T3_T4_T5_mT6_T7_P12ihipStream_tbENKUlT_T0_E_clISt17integral_constantIbLb0EESZ_EEDaSU_SV_EUlSU_E_NS1_11comp_targetILNS1_3genE4ELNS1_11target_archE910ELNS1_3gpuE8ELNS1_3repE0EEENS1_30default_config_static_selectorELNS0_4arch9wavefront6targetE1EEEvT1_: ; @_ZN7rocprim17ROCPRIM_400000_NS6detail17trampoline_kernelINS0_14default_configENS1_27scan_by_key_config_selectorIxxEEZZNS1_16scan_by_key_implILNS1_25lookback_scan_determinismE0ELb0ES3_N6thrust23THRUST_200600_302600_NS6detail15normal_iteratorINS9_10device_ptrIxEEEESE_SE_xNS9_10multipliesIxEENS9_8equal_toIxEExEE10hipError_tPvRmT2_T3_T4_T5_mT6_T7_P12ihipStream_tbENKUlT_T0_E_clISt17integral_constantIbLb0EESZ_EEDaSU_SV_EUlSU_E_NS1_11comp_targetILNS1_3genE4ELNS1_11target_archE910ELNS1_3gpuE8ELNS1_3repE0EEENS1_30default_config_static_selectorELNS0_4arch9wavefront6targetE1EEEvT1_
; %bb.0:
	s_load_dwordx8 s[40:47], s[4:5], 0x0
	s_load_dwordx8 s[48:55], s[4:5], 0x30
	s_load_dwordx2 s[66:67], s[4:5], 0x50
	s_load_dword s0, s[4:5], 0x58
	s_load_dwordx8 s[56:63], s[4:5], 0x60
	s_waitcnt lgkmcnt(0)
	s_lshl_b64 s[64:65], s[42:43], 3
	s_add_u32 s2, s40, s64
	s_addc_u32 s3, s41, s65
	s_add_u32 s4, s44, s64
	s_mul_i32 s1, s67, s0
	s_mul_hi_u32 s7, s66, s0
	s_addc_u32 s5, s45, s65
	s_add_i32 s8, s7, s1
	s_mul_i32 s9, s66, s0
	s_cmp_lg_u64 s[60:61], 0
	s_mul_i32 s0, s6, 0x4c0
	s_mov_b32 s1, 0
	s_cselect_b64 s[68:69], -1, 0
	s_lshl_b64 s[60:61], s[0:1], 3
	s_add_u32 s44, s2, s60
	s_addc_u32 s45, s3, s61
	s_add_u32 s7, s4, s60
	s_addc_u32 s55, s5, s61
	;; [unrolled: 2-line block ×3, first 2 shown]
	s_add_u32 s2, s56, -1
	s_addc_u32 s3, s57, -1
	v_pk_mov_b32 v[2:3], s[2:3], s[2:3] op_sel:[0,1]
	v_cmp_ge_u64_e64 s[0:1], s[70:71], v[2:3]
	s_mov_b64 s[10:11], 0
	s_mov_b64 s[4:5], -1
	s_and_b64 vcc, exec, s[0:1]
	s_mul_i32 s33, s2, 0xfffffb40
	s_waitcnt lgkmcnt(0)
	; wave barrier
	s_cbranch_vccz .LBB50_102
; %bb.1:
	v_pk_mov_b32 v[2:3], s[44:45], s[44:45] op_sel:[0,1]
	flat_load_dwordx2 v[2:3], v[2:3]
	s_add_i32 s77, s33, s54
	v_cmp_gt_u32_e64 s[2:3], s77, v0
	s_waitcnt vmcnt(0) lgkmcnt(0)
	v_pk_mov_b32 v[4:5], v[2:3], v[2:3] op_sel:[0,1]
	s_and_saveexec_b64 s[4:5], s[2:3]
	s_cbranch_execz .LBB50_3
; %bb.2:
	v_lshlrev_b32_e32 v1, 3, v0
	v_mov_b32_e32 v5, s45
	v_add_co_u32_e32 v4, vcc, s44, v1
	v_addc_co_u32_e32 v5, vcc, 0, v5, vcc
	flat_load_dwordx2 v[4:5], v[4:5]
.LBB50_3:
	s_or_b64 exec, exec, s[4:5]
	v_or_b32_e32 v1, 64, v0
	v_cmp_gt_u32_e64 s[4:5], s77, v1
	v_pk_mov_b32 v[6:7], v[2:3], v[2:3] op_sel:[0,1]
	s_and_saveexec_b64 s[8:9], s[4:5]
	s_cbranch_execz .LBB50_5
; %bb.4:
	v_lshlrev_b32_e32 v1, 3, v0
	v_mov_b32_e32 v7, s45
	v_add_co_u32_e32 v6, vcc, s44, v1
	v_addc_co_u32_e32 v7, vcc, 0, v7, vcc
	flat_load_dwordx2 v[6:7], v[6:7] offset:512
.LBB50_5:
	s_or_b64 exec, exec, s[8:9]
	v_or_b32_e32 v1, 0x80, v0
	v_cmp_gt_u32_e64 s[42:43], s77, v1
	v_pk_mov_b32 v[8:9], v[2:3], v[2:3] op_sel:[0,1]
	s_and_saveexec_b64 s[8:9], s[42:43]
	s_cbranch_execz .LBB50_7
; %bb.6:
	v_lshlrev_b32_e32 v1, 3, v0
	v_mov_b32_e32 v9, s45
	v_add_co_u32_e32 v8, vcc, s44, v1
	v_addc_co_u32_e32 v9, vcc, 0, v9, vcc
	flat_load_dwordx2 v[8:9], v[8:9] offset:1024
.LBB50_7:
	;; [unrolled: 13-line block ×7, first 2 shown]
	s_or_b64 exec, exec, s[18:19]
	v_or_b32_e32 v1, 0x200, v0
	v_cmp_gt_u32_e64 s[18:19], s77, v1
	v_lshlrev_b32_e32 v1, 3, v1
	v_pk_mov_b32 v[20:21], v[2:3], v[2:3] op_sel:[0,1]
	s_and_saveexec_b64 s[20:21], s[18:19]
	s_cbranch_execz .LBB50_19
; %bb.18:
	v_mov_b32_e32 v21, s45
	v_add_co_u32_e32 v20, vcc, s44, v1
	v_addc_co_u32_e32 v21, vcc, 0, v21, vcc
	flat_load_dwordx2 v[20:21], v[20:21]
.LBB50_19:
	s_or_b64 exec, exec, s[20:21]
	v_or_b32_e32 v22, 0x240, v0
	v_cmp_gt_u32_e64 s[20:21], s77, v22
	v_lshlrev_b32_e32 v40, 3, v22
	v_pk_mov_b32 v[22:23], v[2:3], v[2:3] op_sel:[0,1]
	s_and_saveexec_b64 s[22:23], s[20:21]
	s_cbranch_execz .LBB50_21
; %bb.20:
	v_mov_b32_e32 v23, s45
	v_add_co_u32_e32 v22, vcc, s44, v40
	v_addc_co_u32_e32 v23, vcc, 0, v23, vcc
	flat_load_dwordx2 v[22:23], v[22:23]
.LBB50_21:
	;; [unrolled: 13-line block ×10, first 2 shown]
	s_or_b64 exec, exec, s[40:41]
	v_or_b32_e32 v48, 0x480, v0
	v_cmp_gt_u32_e64 s[40:41], s77, v48
	v_lshlrev_b32_e32 v51, 3, v48
	s_and_saveexec_b64 s[56:57], s[40:41]
	s_cbranch_execz .LBB50_39
; %bb.38:
	v_mov_b32_e32 v3, s45
	v_add_co_u32_e32 v2, vcc, s44, v51
	v_addc_co_u32_e32 v3, vcc, 0, v3, vcc
	flat_load_dwordx2 v[2:3], v[2:3]
.LBB50_39:
	s_or_b64 exec, exec, s[56:57]
	v_lshlrev_b32_e32 v50, 3, v0
	s_movk_i32 s56, 0x90
	v_mad_u32_u24 v48, v0, s56, v50
	s_waitcnt vmcnt(0) lgkmcnt(0)
	ds_write2st64_b64 v50, v[4:5], v[6:7] offset1:1
	ds_write2st64_b64 v50, v[8:9], v[10:11] offset0:2 offset1:3
	ds_write2st64_b64 v50, v[12:13], v[14:15] offset0:4 offset1:5
	;; [unrolled: 1-line block ×8, first 2 shown]
	ds_write_b64 v50, v[2:3] offset:9216
	s_waitcnt lgkmcnt(0)
	; wave barrier
	s_waitcnt lgkmcnt(0)
	ds_read2_b64 v[106:109], v48 offset1:1
	ds_read2_b64 v[102:105], v48 offset0:2 offset1:3
	ds_read2_b64 v[98:101], v48 offset0:4 offset1:5
	;; [unrolled: 1-line block ×8, first 2 shown]
	ds_read_b64 v[4:5], v48 offset:144
	s_cmp_eq_u64 s[70:71], 0
	s_mov_b64 s[56:57], s[44:45]
	s_cbranch_scc1 .LBB50_43
; %bb.40:
	s_andn2_b64 vcc, exec, s[68:69]
	s_cbranch_vccnz .LBB50_257
; %bb.41:
	s_lshl_b64 s[56:57], s[70:71], 3
	s_add_u32 s56, s62, s56
	s_addc_u32 s57, s63, s57
	s_add_u32 s56, s56, -8
	s_addc_u32 s57, s57, -1
	s_cbranch_execnz .LBB50_43
.LBB50_42:
	s_add_u32 s56, s44, -8
	s_addc_u32 s57, s45, -1
.LBB50_43:
	v_pk_mov_b32 v[2:3], s[56:57], s[56:57] op_sel:[0,1]
	flat_load_dwordx2 v[8:9], v[2:3]
	s_movk_i32 s56, 0xff70
	v_mad_i32_i24 v2, v0, s56, v48
	v_cmp_ne_u32_e32 vcc, 0, v0
	s_waitcnt lgkmcnt(0)
	ds_write_b64 v2, v[4:5] offset:9728
	s_waitcnt lgkmcnt(0)
	; wave barrier
	s_waitcnt lgkmcnt(0)
	s_and_saveexec_b64 s[56:57], vcc
	s_cbranch_execz .LBB50_45
; %bb.44:
	v_mul_i32_i24_e32 v2, 0xffffff70, v0
	v_add_u32_e32 v2, v48, v2
	s_waitcnt vmcnt(0)
	ds_read_b64 v[8:9], v2 offset:9720
.LBB50_45:
	s_or_b64 exec, exec, s[56:57]
	s_waitcnt lgkmcnt(0)
	; wave barrier
	s_waitcnt lgkmcnt(0)
                                        ; implicit-def: $vgpr2_vgpr3
	s_and_saveexec_b64 s[56:57], s[2:3]
	s_cbranch_execnz .LBB50_239
; %bb.46:
	s_or_b64 exec, exec, s[56:57]
                                        ; implicit-def: $vgpr6_vgpr7
	s_and_saveexec_b64 s[2:3], s[4:5]
	s_cbranch_execnz .LBB50_240
.LBB50_47:
	s_or_b64 exec, exec, s[2:3]
                                        ; implicit-def: $vgpr10_vgpr11
	s_and_saveexec_b64 s[2:3], s[42:43]
	s_cbranch_execnz .LBB50_241
.LBB50_48:
	s_or_b64 exec, exec, s[2:3]
                                        ; implicit-def: $vgpr12_vgpr13
	s_and_saveexec_b64 s[2:3], s[8:9]
	s_cbranch_execnz .LBB50_242
.LBB50_49:
	s_or_b64 exec, exec, s[2:3]
                                        ; implicit-def: $vgpr14_vgpr15
	s_and_saveexec_b64 s[2:3], s[10:11]
	s_cbranch_execnz .LBB50_243
.LBB50_50:
	s_or_b64 exec, exec, s[2:3]
                                        ; implicit-def: $vgpr16_vgpr17
	s_and_saveexec_b64 s[2:3], s[12:13]
	s_cbranch_execnz .LBB50_244
.LBB50_51:
	s_or_b64 exec, exec, s[2:3]
                                        ; implicit-def: $vgpr18_vgpr19
	s_and_saveexec_b64 s[2:3], s[14:15]
	s_cbranch_execnz .LBB50_245
.LBB50_52:
	s_or_b64 exec, exec, s[2:3]
                                        ; implicit-def: $vgpr20_vgpr21
	s_and_saveexec_b64 s[2:3], s[16:17]
	s_cbranch_execnz .LBB50_246
.LBB50_53:
	s_or_b64 exec, exec, s[2:3]
                                        ; implicit-def: $vgpr22_vgpr23
	s_and_saveexec_b64 s[2:3], s[18:19]
	s_cbranch_execnz .LBB50_247
.LBB50_54:
	s_or_b64 exec, exec, s[2:3]
                                        ; implicit-def: $vgpr24_vgpr25
	s_and_saveexec_b64 s[2:3], s[20:21]
	s_cbranch_execnz .LBB50_248
.LBB50_55:
	s_or_b64 exec, exec, s[2:3]
                                        ; implicit-def: $vgpr26_vgpr27
	s_and_saveexec_b64 s[2:3], s[22:23]
	s_cbranch_execnz .LBB50_249
.LBB50_56:
	s_or_b64 exec, exec, s[2:3]
                                        ; implicit-def: $vgpr28_vgpr29
	s_and_saveexec_b64 s[2:3], s[24:25]
	s_cbranch_execnz .LBB50_250
.LBB50_57:
	s_or_b64 exec, exec, s[2:3]
                                        ; implicit-def: $vgpr30_vgpr31
	s_and_saveexec_b64 s[2:3], s[26:27]
	s_cbranch_execnz .LBB50_251
.LBB50_58:
	s_or_b64 exec, exec, s[2:3]
                                        ; implicit-def: $vgpr32_vgpr33
	s_and_saveexec_b64 s[2:3], s[28:29]
	s_cbranch_execnz .LBB50_252
.LBB50_59:
	s_or_b64 exec, exec, s[2:3]
                                        ; implicit-def: $vgpr34_vgpr35
	s_and_saveexec_b64 s[2:3], s[30:31]
	s_cbranch_execnz .LBB50_253
.LBB50_60:
	s_or_b64 exec, exec, s[2:3]
                                        ; implicit-def: $vgpr36_vgpr37
	s_and_saveexec_b64 s[2:3], s[34:35]
	s_cbranch_execnz .LBB50_254
.LBB50_61:
	s_or_b64 exec, exec, s[2:3]
                                        ; implicit-def: $vgpr38_vgpr39
	s_and_saveexec_b64 s[2:3], s[36:37]
	s_cbranch_execnz .LBB50_255
.LBB50_62:
	s_or_b64 exec, exec, s[2:3]
                                        ; implicit-def: $vgpr40_vgpr41
	s_and_saveexec_b64 s[2:3], s[38:39]
	s_cbranch_execnz .LBB50_256
.LBB50_63:
	s_or_b64 exec, exec, s[2:3]
                                        ; implicit-def: $vgpr42_vgpr43
	s_and_saveexec_b64 s[2:3], s[40:41]
	s_cbranch_execz .LBB50_65
.LBB50_64:
	v_mov_b32_e32 v1, s55
	v_add_co_u32_e32 v42, vcc, s7, v51
	v_addc_co_u32_e32 v43, vcc, 0, v1, vcc
	flat_load_dwordx2 v[42:43], v[42:43]
.LBB50_65:
	s_or_b64 exec, exec, s[2:3]
	v_mul_u32_u24_e32 v49, 19, v0
	s_waitcnt vmcnt(0) lgkmcnt(0)
	ds_write2st64_b64 v50, v[2:3], v[6:7] offset1:1
	ds_write2st64_b64 v50, v[10:11], v[12:13] offset0:2 offset1:3
	ds_write2st64_b64 v50, v[14:15], v[16:17] offset0:4 offset1:5
	;; [unrolled: 1-line block ×8, first 2 shown]
	ds_write_b64 v50, v[42:43] offset:9216
	v_pk_mov_b32 v[6:7], 0, 0
	v_cmp_gt_u32_e32 vcc, s77, v49
	s_mov_b64 s[10:11], 0
	s_mov_b64 s[4:5], 0
	s_mov_b32 s76, 0
	v_mov_b32_e32 v110, 0
	v_mov_b32_e32 v126, 0
	v_pk_mov_b32 v[58:59], v[6:7], v[6:7] op_sel:[0,1]
	v_mov_b32_e32 v125, 0
	v_pk_mov_b32 v[70:71], v[6:7], v[6:7] op_sel:[0,1]
	;; [unrolled: 2-line block ×17, first 2 shown]
	s_waitcnt lgkmcnt(0)
	; wave barrier
	s_waitcnt lgkmcnt(0)
                                        ; implicit-def: $sgpr2_sgpr3
	s_and_saveexec_b64 s[8:9], vcc
	s_cbranch_execz .LBB50_101
; %bb.66:
	ds_read_b64 v[2:3], v48
	v_cmp_ne_u64_e32 vcc, v[8:9], v[106:107]
	v_add_u32_e32 v6, 1, v49
	v_cndmask_b32_e64 v1, 0, 1, vcc
	v_cmp_gt_u32_e32 vcc, s77, v6
	v_pk_mov_b32 v[6:7], 0, 0
	s_mov_b64 s[12:13], 0
	s_mov_b64 s[2:3], 0
	v_mov_b32_e32 v110, 0
	v_mov_b32_e32 v126, 0
	v_pk_mov_b32 v[58:59], v[6:7], v[6:7] op_sel:[0,1]
	v_mov_b32_e32 v125, 0
	v_pk_mov_b32 v[70:71], v[6:7], v[6:7] op_sel:[0,1]
	;; [unrolled: 2-line block ×16, first 2 shown]
                                        ; implicit-def: $sgpr14_sgpr15
	s_and_saveexec_b64 s[10:11], vcc
	s_cbranch_execz .LBB50_100
; %bb.67:
	ds_read2_b64 v[14:17], v48 offset0:1 offset1:2
	v_cmp_ne_u64_e32 vcc, v[106:107], v[108:109]
	v_add_u32_e32 v6, 2, v49
	v_cndmask_b32_e64 v112, 0, 1, vcc
	v_cmp_gt_u32_e32 vcc, s77, v6
	v_pk_mov_b32 v[6:7], 0, 0
	s_mov_b64 s[16:17], 0
	v_mov_b32_e32 v110, 0
	v_mov_b32_e32 v126, 0
	v_pk_mov_b32 v[58:59], v[6:7], v[6:7] op_sel:[0,1]
	v_mov_b32_e32 v125, 0
	v_pk_mov_b32 v[70:71], v[6:7], v[6:7] op_sel:[0,1]
	;; [unrolled: 2-line block ×15, first 2 shown]
                                        ; implicit-def: $sgpr14_sgpr15
	s_and_saveexec_b64 s[12:13], vcc
	s_cbranch_execz .LBB50_99
; %bb.68:
	v_cmp_ne_u64_e32 vcc, v[108:109], v[102:103]
	v_add_u32_e32 v6, 3, v49
	v_cndmask_b32_e64 v111, 0, 1, vcc
	v_cmp_gt_u32_e32 vcc, s77, v6
	v_pk_mov_b32 v[6:7], 0, 0
	s_waitcnt lgkmcnt(0)
	v_mov_b32_e32 v10, v16
	v_mov_b32_e32 v11, v17
	v_mov_b32_e32 v110, 0
	v_mov_b32_e32 v126, 0
	v_pk_mov_b32 v[58:59], v[6:7], v[6:7] op_sel:[0,1]
	v_mov_b32_e32 v125, 0
	v_pk_mov_b32 v[70:71], v[6:7], v[6:7] op_sel:[0,1]
	v_mov_b32_e32 v124, 0
	;; [unrolled: 2-line block ×13, first 2 shown]
	v_pk_mov_b32 v[26:27], v[6:7], v[6:7] op_sel:[0,1]
                                        ; implicit-def: $sgpr18_sgpr19
	s_and_saveexec_b64 s[14:15], vcc
	s_cbranch_execz .LBB50_98
; %bb.69:
	ds_read2_b64 v[26:29], v48 offset0:3 offset1:4
	v_cmp_ne_u64_e32 vcc, v[102:103], v[104:105]
	v_add_u32_e32 v6, 4, v49
	v_cndmask_b32_e64 v113, 0, 1, vcc
	v_cmp_gt_u32_e32 vcc, s77, v6
	v_pk_mov_b32 v[6:7], 0, 0
	s_mov_b64 s[20:21], 0
	v_mov_b32_e32 v110, 0
	v_mov_b32_e32 v126, 0
	v_pk_mov_b32 v[58:59], v[6:7], v[6:7] op_sel:[0,1]
	v_mov_b32_e32 v125, 0
	v_pk_mov_b32 v[70:71], v[6:7], v[6:7] op_sel:[0,1]
	;; [unrolled: 2-line block ×13, first 2 shown]
                                        ; implicit-def: $sgpr18_sgpr19
	s_and_saveexec_b64 s[16:17], vcc
	s_cbranch_execz .LBB50_97
; %bb.70:
	v_cmp_ne_u64_e32 vcc, v[104:105], v[98:99]
	v_add_u32_e32 v6, 5, v49
	v_cndmask_b32_e64 v114, 0, 1, vcc
	v_cmp_gt_u32_e32 vcc, s77, v6
	v_pk_mov_b32 v[6:7], 0, 0
	s_waitcnt lgkmcnt(0)
	v_mov_b32_e32 v18, v28
	v_mov_b32_e32 v19, v29
	;; [unrolled: 1-line block ×4, first 2 shown]
	v_pk_mov_b32 v[58:59], v[6:7], v[6:7] op_sel:[0,1]
	v_mov_b32_e32 v125, 0
	v_pk_mov_b32 v[70:71], v[6:7], v[6:7] op_sel:[0,1]
	v_mov_b32_e32 v124, 0
	;; [unrolled: 2-line block ×11, first 2 shown]
	v_pk_mov_b32 v[34:35], v[6:7], v[6:7] op_sel:[0,1]
                                        ; implicit-def: $sgpr22_sgpr23
	s_and_saveexec_b64 s[18:19], vcc
	s_cbranch_execz .LBB50_96
; %bb.71:
	ds_read2_b64 v[34:37], v48 offset0:5 offset1:6
	v_cmp_ne_u64_e32 vcc, v[98:99], v[100:101]
	v_add_u32_e32 v6, 6, v49
	v_cndmask_b32_e64 v115, 0, 1, vcc
	v_cmp_gt_u32_e32 vcc, s77, v6
	v_pk_mov_b32 v[6:7], 0, 0
	s_mov_b64 s[24:25], 0
	v_mov_b32_e32 v110, 0
	v_mov_b32_e32 v126, 0
	v_pk_mov_b32 v[58:59], v[6:7], v[6:7] op_sel:[0,1]
	v_mov_b32_e32 v125, 0
	v_pk_mov_b32 v[70:71], v[6:7], v[6:7] op_sel:[0,1]
	;; [unrolled: 2-line block ×11, first 2 shown]
                                        ; implicit-def: $sgpr22_sgpr23
	s_and_saveexec_b64 s[20:21], vcc
	s_cbranch_execz .LBB50_95
; %bb.72:
	v_cmp_ne_u64_e32 vcc, v[100:101], v[94:95]
	v_add_u32_e32 v6, 7, v49
	v_cndmask_b32_e64 v116, 0, 1, vcc
	v_cmp_gt_u32_e32 vcc, s77, v6
	v_pk_mov_b32 v[6:7], 0, 0
	s_waitcnt lgkmcnt(0)
	v_mov_b32_e32 v22, v36
	v_mov_b32_e32 v23, v37
	;; [unrolled: 1-line block ×4, first 2 shown]
	v_pk_mov_b32 v[58:59], v[6:7], v[6:7] op_sel:[0,1]
	v_mov_b32_e32 v125, 0
	v_pk_mov_b32 v[70:71], v[6:7], v[6:7] op_sel:[0,1]
	v_mov_b32_e32 v124, 0
	v_pk_mov_b32 v[54:55], v[6:7], v[6:7] op_sel:[0,1]
	v_mov_b32_e32 v123, 0
	v_pk_mov_b32 v[66:67], v[6:7], v[6:7] op_sel:[0,1]
	v_mov_b32_e32 v122, 0
	v_pk_mov_b32 v[46:47], v[6:7], v[6:7] op_sel:[0,1]
	v_mov_b32_e32 v121, 0
	v_pk_mov_b32 v[62:63], v[6:7], v[6:7] op_sel:[0,1]
	v_mov_b32_e32 v120, 0
	v_pk_mov_b32 v[38:39], v[6:7], v[6:7] op_sel:[0,1]
	v_mov_b32_e32 v119, 0
	v_pk_mov_b32 v[50:51], v[6:7], v[6:7] op_sel:[0,1]
	v_mov_b32_e32 v118, 0
	v_pk_mov_b32 v[30:31], v[6:7], v[6:7] op_sel:[0,1]
	v_mov_b32_e32 v117, 0
	v_pk_mov_b32 v[42:43], v[6:7], v[6:7] op_sel:[0,1]
                                        ; implicit-def: $sgpr26_sgpr27
	s_and_saveexec_b64 s[22:23], vcc
	s_cbranch_execz .LBB50_94
; %bb.73:
	ds_read2_b64 v[42:45], v48 offset0:7 offset1:8
	v_cmp_ne_u64_e32 vcc, v[94:95], v[96:97]
	v_add_u32_e32 v6, 8, v49
	v_cndmask_b32_e64 v117, 0, 1, vcc
	v_cmp_gt_u32_e32 vcc, s77, v6
	v_pk_mov_b32 v[6:7], 0, 0
	s_mov_b64 s[28:29], 0
	v_mov_b32_e32 v110, 0
	v_mov_b32_e32 v126, 0
	v_pk_mov_b32 v[58:59], v[6:7], v[6:7] op_sel:[0,1]
	v_mov_b32_e32 v125, 0
	v_pk_mov_b32 v[70:71], v[6:7], v[6:7] op_sel:[0,1]
	;; [unrolled: 2-line block ×9, first 2 shown]
                                        ; implicit-def: $sgpr26_sgpr27
	s_and_saveexec_b64 s[24:25], vcc
	s_cbranch_execz .LBB50_93
; %bb.74:
	v_cmp_ne_u64_e32 vcc, v[96:97], v[90:91]
	v_add_u32_e32 v6, 9, v49
	v_cndmask_b32_e64 v118, 0, 1, vcc
	v_cmp_gt_u32_e32 vcc, s77, v6
	v_pk_mov_b32 v[6:7], 0, 0
	s_waitcnt lgkmcnt(0)
	v_mov_b32_e32 v30, v44
	v_mov_b32_e32 v31, v45
	;; [unrolled: 1-line block ×4, first 2 shown]
	v_pk_mov_b32 v[58:59], v[6:7], v[6:7] op_sel:[0,1]
	v_mov_b32_e32 v125, 0
	v_pk_mov_b32 v[70:71], v[6:7], v[6:7] op_sel:[0,1]
	v_mov_b32_e32 v124, 0
	;; [unrolled: 2-line block ×7, first 2 shown]
	v_pk_mov_b32 v[50:51], v[6:7], v[6:7] op_sel:[0,1]
                                        ; implicit-def: $sgpr30_sgpr31
	s_and_saveexec_b64 s[26:27], vcc
	s_cbranch_execz .LBB50_92
; %bb.75:
	ds_read2_b64 v[50:53], v48 offset0:9 offset1:10
	v_cmp_ne_u64_e32 vcc, v[90:91], v[92:93]
	v_add_u32_e32 v6, 10, v49
	v_cndmask_b32_e64 v119, 0, 1, vcc
	v_cmp_gt_u32_e32 vcc, s77, v6
	v_pk_mov_b32 v[6:7], 0, 0
	s_mov_b64 s[34:35], 0
	v_mov_b32_e32 v110, 0
	v_mov_b32_e32 v126, 0
	v_pk_mov_b32 v[58:59], v[6:7], v[6:7] op_sel:[0,1]
	v_mov_b32_e32 v125, 0
	v_pk_mov_b32 v[70:71], v[6:7], v[6:7] op_sel:[0,1]
	;; [unrolled: 2-line block ×7, first 2 shown]
                                        ; implicit-def: $sgpr30_sgpr31
	s_and_saveexec_b64 s[28:29], vcc
	s_cbranch_execz .LBB50_91
; %bb.76:
	v_cmp_ne_u64_e32 vcc, v[92:93], v[86:87]
	v_add_u32_e32 v6, 11, v49
	v_cndmask_b32_e64 v120, 0, 1, vcc
	v_cmp_gt_u32_e32 vcc, s77, v6
	v_pk_mov_b32 v[6:7], 0, 0
	s_waitcnt lgkmcnt(0)
	v_mov_b32_e32 v38, v52
	v_mov_b32_e32 v39, v53
	;; [unrolled: 1-line block ×4, first 2 shown]
	v_pk_mov_b32 v[58:59], v[6:7], v[6:7] op_sel:[0,1]
	v_mov_b32_e32 v125, 0
	v_pk_mov_b32 v[70:71], v[6:7], v[6:7] op_sel:[0,1]
	v_mov_b32_e32 v124, 0
	;; [unrolled: 2-line block ×5, first 2 shown]
	v_pk_mov_b32 v[62:63], v[6:7], v[6:7] op_sel:[0,1]
                                        ; implicit-def: $sgpr36_sgpr37
	s_and_saveexec_b64 s[30:31], vcc
	s_cbranch_execz .LBB50_90
; %bb.77:
	ds_read2_b64 v[62:65], v48 offset0:11 offset1:12
	v_cmp_ne_u64_e32 vcc, v[86:87], v[88:89]
	v_add_u32_e32 v6, 12, v49
	v_cndmask_b32_e64 v121, 0, 1, vcc
	v_cmp_gt_u32_e32 vcc, s77, v6
	v_pk_mov_b32 v[6:7], 0, 0
	s_mov_b64 s[38:39], 0
	v_mov_b32_e32 v110, 0
	v_mov_b32_e32 v126, 0
	v_pk_mov_b32 v[58:59], v[6:7], v[6:7] op_sel:[0,1]
	v_mov_b32_e32 v125, 0
	v_pk_mov_b32 v[70:71], v[6:7], v[6:7] op_sel:[0,1]
	;; [unrolled: 2-line block ×5, first 2 shown]
                                        ; implicit-def: $sgpr36_sgpr37
	s_and_saveexec_b64 s[34:35], vcc
	s_cbranch_execz .LBB50_89
; %bb.78:
	v_cmp_ne_u64_e32 vcc, v[88:89], v[82:83]
	v_add_u32_e32 v6, 13, v49
	v_cndmask_b32_e64 v122, 0, 1, vcc
	v_cmp_gt_u32_e32 vcc, s77, v6
	v_pk_mov_b32 v[6:7], 0, 0
	s_waitcnt lgkmcnt(0)
	v_mov_b32_e32 v46, v64
	v_mov_b32_e32 v47, v65
	;; [unrolled: 1-line block ×4, first 2 shown]
	v_pk_mov_b32 v[58:59], v[6:7], v[6:7] op_sel:[0,1]
	v_mov_b32_e32 v125, 0
	v_pk_mov_b32 v[70:71], v[6:7], v[6:7] op_sel:[0,1]
	v_mov_b32_e32 v124, 0
	v_pk_mov_b32 v[54:55], v[6:7], v[6:7] op_sel:[0,1]
	v_mov_b32_e32 v123, 0
	v_pk_mov_b32 v[66:67], v[6:7], v[6:7] op_sel:[0,1]
                                        ; implicit-def: $sgpr40_sgpr41
	s_and_saveexec_b64 s[36:37], vcc
	s_cbranch_execz .LBB50_88
; %bb.79:
	ds_read2_b64 v[66:69], v48 offset0:13 offset1:14
	v_cmp_ne_u64_e32 vcc, v[82:83], v[84:85]
	v_add_u32_e32 v6, 14, v49
	v_cndmask_b32_e64 v123, 0, 1, vcc
	v_cmp_gt_u32_e32 vcc, s77, v6
	v_pk_mov_b32 v[6:7], 0, 0
	s_mov_b64 s[42:43], 0
	v_mov_b32_e32 v110, 0
	v_mov_b32_e32 v126, 0
	v_pk_mov_b32 v[58:59], v[6:7], v[6:7] op_sel:[0,1]
	v_mov_b32_e32 v125, 0
	v_pk_mov_b32 v[70:71], v[6:7], v[6:7] op_sel:[0,1]
	;; [unrolled: 2-line block ×3, first 2 shown]
                                        ; implicit-def: $sgpr40_sgpr41
	s_and_saveexec_b64 s[38:39], vcc
	s_cbranch_execz .LBB50_87
; %bb.80:
	v_cmp_ne_u64_e32 vcc, v[84:85], v[78:79]
	v_add_u32_e32 v6, 15, v49
	v_cndmask_b32_e64 v124, 0, 1, vcc
	v_cmp_gt_u32_e32 vcc, s77, v6
	v_pk_mov_b32 v[6:7], 0, 0
	s_waitcnt lgkmcnt(0)
	v_mov_b32_e32 v54, v68
	v_mov_b32_e32 v55, v69
	;; [unrolled: 1-line block ×4, first 2 shown]
	v_pk_mov_b32 v[58:59], v[6:7], v[6:7] op_sel:[0,1]
	v_mov_b32_e32 v125, 0
	v_pk_mov_b32 v[70:71], v[6:7], v[6:7] op_sel:[0,1]
                                        ; implicit-def: $sgpr56_sgpr57
	s_and_saveexec_b64 s[40:41], vcc
	s_cbranch_execz .LBB50_86
; %bb.81:
	ds_read2_b64 v[70:73], v48 offset0:15 offset1:16
	v_cmp_ne_u64_e32 vcc, v[78:79], v[80:81]
	v_add_u32_e32 v6, 16, v49
	v_cndmask_b32_e64 v125, 0, 1, vcc
	v_cmp_gt_u32_e32 vcc, s77, v6
	v_pk_mov_b32 v[6:7], 0, 0
	s_mov_b64 s[56:57], 0
	v_mov_b32_e32 v110, 0
	v_mov_b32_e32 v126, 0
	v_pk_mov_b32 v[58:59], v[6:7], v[6:7] op_sel:[0,1]
                                        ; implicit-def: $sgpr72_sgpr73
	s_and_saveexec_b64 s[42:43], vcc
	s_cbranch_execz .LBB50_85
; %bb.82:
	v_cmp_ne_u64_e32 vcc, v[80:81], v[74:75]
	v_add_u32_e32 v6, 17, v49
	s_waitcnt lgkmcnt(0)
	v_mov_b32_e32 v58, v72
	v_mov_b32_e32 v59, v73
	v_cndmask_b32_e64 v126, 0, 1, vcc
	v_cmp_gt_u32_e32 vcc, s77, v6
	v_mov_b32_e32 v110, 0
	v_pk_mov_b32 v[6:7], 0, 0
                                        ; implicit-def: $sgpr72_sgpr73
	s_and_saveexec_b64 s[2:3], vcc
	s_xor_b64 s[74:75], exec, s[2:3]
	s_cbranch_execz .LBB50_84
; %bb.83:
	ds_read2_b64 v[6:9], v48 offset0:17 offset1:18
	v_cmp_ne_u64_e32 vcc, v[76:77], v[4:5]
	v_cmp_ne_u64_e64 s[2:3], v[74:75], v[76:77]
	v_add_u32_e32 v4, 18, v49
	v_cndmask_b32_e64 v110, 0, 1, s[2:3]
	v_cmp_gt_u32_e64 s[2:3], s77, v4
	s_and_b64 s[72:73], vcc, exec
	s_and_b64 s[56:57], s[2:3], exec
	s_waitcnt lgkmcnt(0)
	v_pk_mov_b32 v[60:61], v[6:7], v[6:7] op_sel:[0,1]
.LBB50_84:
	s_or_b64 exec, exec, s[74:75]
	s_and_b64 s[72:73], s[72:73], exec
	s_and_b64 s[2:3], s[56:57], exec
.LBB50_85:
	s_or_b64 exec, exec, s[42:43]
	s_and_b64 s[56:57], s[72:73], exec
	s_and_b64 s[42:43], s[2:3], exec
	s_waitcnt lgkmcnt(0)
	v_pk_mov_b32 v[56:57], v[70:71], v[70:71] op_sel:[0,1]
	v_pk_mov_b32 v[48:49], v[66:67], v[66:67] op_sel:[0,1]
	;; [unrolled: 1-line block ×8, first 2 shown]
.LBB50_86:
	s_or_b64 exec, exec, s[40:41]
	s_and_b64 s[40:41], s[56:57], exec
	s_and_b64 s[2:3], s[42:43], exec
.LBB50_87:
	s_or_b64 exec, exec, s[38:39]
	s_and_b64 s[40:41], s[40:41], exec
	s_and_b64 s[38:39], s[2:3], exec
.LBB50_88:
	s_or_b64 exec, exec, s[36:37]
	s_and_b64 s[36:37], s[40:41], exec
	s_and_b64 s[2:3], s[38:39], exec
.LBB50_89:
	s_or_b64 exec, exec, s[34:35]
	s_and_b64 s[36:37], s[36:37], exec
	s_and_b64 s[34:35], s[2:3], exec
.LBB50_90:
	s_or_b64 exec, exec, s[30:31]
	s_and_b64 s[30:31], s[36:37], exec
	s_and_b64 s[2:3], s[34:35], exec
.LBB50_91:
	s_or_b64 exec, exec, s[28:29]
	s_and_b64 s[30:31], s[30:31], exec
	s_and_b64 s[28:29], s[2:3], exec
.LBB50_92:
	s_or_b64 exec, exec, s[26:27]
	s_and_b64 s[26:27], s[30:31], exec
	s_and_b64 s[2:3], s[28:29], exec
.LBB50_93:
	s_or_b64 exec, exec, s[24:25]
	s_and_b64 s[26:27], s[26:27], exec
	s_and_b64 s[24:25], s[2:3], exec
.LBB50_94:
	s_or_b64 exec, exec, s[22:23]
	s_and_b64 s[22:23], s[26:27], exec
	s_and_b64 s[2:3], s[24:25], exec
.LBB50_95:
	s_or_b64 exec, exec, s[20:21]
	s_and_b64 s[22:23], s[22:23], exec
	s_and_b64 s[20:21], s[2:3], exec
.LBB50_96:
	s_or_b64 exec, exec, s[18:19]
	s_and_b64 s[18:19], s[22:23], exec
	s_and_b64 s[2:3], s[20:21], exec
.LBB50_97:
	s_or_b64 exec, exec, s[16:17]
	s_and_b64 s[18:19], s[18:19], exec
	s_and_b64 s[16:17], s[2:3], exec
.LBB50_98:
	s_or_b64 exec, exec, s[14:15]
	s_and_b64 s[14:15], s[18:19], exec
	s_and_b64 s[2:3], s[16:17], exec
.LBB50_99:
	s_or_b64 exec, exec, s[12:13]
	s_and_b64 s[14:15], s[14:15], exec
	s_and_b64 s[12:13], s[2:3], exec
.LBB50_100:
	s_or_b64 exec, exec, s[10:11]
	s_and_b64 s[2:3], s[14:15], exec
	s_and_b64 s[10:11], s[12:13], exec
.LBB50_101:
	s_or_b64 exec, exec, s[8:9]
	s_mov_b64 s[8:9], 0
	s_and_b64 vcc, exec, s[4:5]
	v_lshlrev_b32_e32 v127, 3, v0
	s_cbranch_vccnz .LBB50_103
	s_branch .LBB50_111
.LBB50_102:
                                        ; implicit-def: $sgpr2_sgpr3
                                        ; implicit-def: $vgpr8_vgpr9
                                        ; implicit-def: $vgpr110
                                        ; implicit-def: $vgpr60_vgpr61
                                        ; implicit-def: $vgpr126
                                        ; implicit-def: $vgpr125
                                        ; implicit-def: $vgpr56_vgpr57
                                        ; implicit-def: $vgpr124
                                        ; implicit-def: $vgpr123
                                        ; implicit-def: $vgpr48_vgpr49
                                        ; implicit-def: $vgpr122
                                        ; implicit-def: $vgpr121
                                        ; implicit-def: $vgpr40_vgpr41
                                        ; implicit-def: $vgpr120
                                        ; implicit-def: $vgpr119
                                        ; implicit-def: $vgpr32_vgpr33
                                        ; implicit-def: $vgpr118
                                        ; implicit-def: $vgpr117
                                        ; implicit-def: $vgpr24_vgpr25
                                        ; implicit-def: $vgpr116
                                        ; implicit-def: $vgpr115
                                        ; implicit-def: $vgpr20_vgpr21
                                        ; implicit-def: $vgpr114
                                        ; implicit-def: $vgpr113
                                        ; implicit-def: $vgpr12_vgpr13
                                        ; implicit-def: $vgpr111
                                        ; implicit-def: $vgpr112
                                        ; implicit-def: $vgpr4_vgpr5
                                        ; implicit-def: $vgpr1
                                        ; implicit-def: $sgpr76
                                        ; implicit-def: $sgpr8_sgpr9
                                        ; implicit-def: $vgpr70_vgpr71
                                        ; implicit-def: $vgpr66_vgpr67
                                        ; implicit-def: $vgpr62_vgpr63
                                        ; implicit-def: $vgpr50_vgpr51
                                        ; implicit-def: $vgpr42_vgpr43
                                        ; implicit-def: $vgpr34_vgpr35
                                        ; implicit-def: $vgpr26_vgpr27
                                        ; implicit-def: $vgpr14_vgpr15
	s_and_b64 vcc, exec, s[4:5]
	v_lshlrev_b32_e32 v127, 3, v0
	s_cbranch_vccz .LBB50_111
.LBB50_103:
	v_mov_b32_e32 v1, s45
	s_waitcnt lgkmcnt(0)
	v_add_co_u32_e32 v2, vcc, s44, v127
	v_addc_co_u32_e32 v3, vcc, 0, v1, vcc
	v_add_co_u32_e32 v20, vcc, 0x1000, v2
	v_addc_co_u32_e32 v21, vcc, 0, v3, vcc
	flat_load_dwordx2 v[4:5], v[2:3]
	flat_load_dwordx2 v[6:7], v[2:3] offset:512
	flat_load_dwordx2 v[8:9], v[2:3] offset:1024
	;; [unrolled: 1-line block ×7, first 2 shown]
	v_add_co_u32_e32 v2, vcc, 0x2000, v2
	v_addc_co_u32_e32 v3, vcc, 0, v3, vcc
	flat_load_dwordx2 v[22:23], v[20:21]
	flat_load_dwordx2 v[24:25], v[20:21] offset:512
	flat_load_dwordx2 v[26:27], v[20:21] offset:1024
	;; [unrolled: 1-line block ×7, first 2 shown]
	s_nop 0
	flat_load_dwordx2 v[20:21], v[2:3]
	flat_load_dwordx2 v[38:39], v[2:3] offset:512
	flat_load_dwordx2 v[40:41], v[2:3] offset:1024
	s_movk_i32 s2, 0x90
	v_mad_u32_u24 v1, v0, s2, v127
	s_cmp_eq_u64 s[70:71], 0
	s_waitcnt vmcnt(0) lgkmcnt(0)
	ds_write2st64_b64 v127, v[4:5], v[6:7] offset1:1
	ds_write2st64_b64 v127, v[8:9], v[10:11] offset0:2 offset1:3
	ds_write2st64_b64 v127, v[12:13], v[14:15] offset0:4 offset1:5
	;; [unrolled: 1-line block ×8, first 2 shown]
	ds_write_b64 v127, v[40:41] offset:9216
	s_waitcnt lgkmcnt(0)
	; wave barrier
	s_waitcnt lgkmcnt(0)
	ds_read2_b64 v[14:17], v1 offset1:1
	ds_read2_b64 v[2:5], v1 offset0:2 offset1:3
	ds_read2_b64 v[6:9], v1 offset0:4 offset1:5
	;; [unrolled: 1-line block ×8, first 2 shown]
	ds_read_b64 v[38:39], v1 offset:144
	s_cbranch_scc1 .LBB50_108
; %bb.104:
	s_andn2_b64 vcc, exec, s[68:69]
	s_cbranch_vccnz .LBB50_258
; %bb.105:
	s_lshl_b64 s[2:3], s[70:71], 3
	s_add_u32 s2, s62, s2
	s_addc_u32 s3, s63, s3
	s_add_u32 s2, s2, -8
	s_addc_u32 s3, s3, -1
	s_cbranch_execnz .LBB50_107
.LBB50_106:
	s_add_u32 s2, s44, -8
	s_addc_u32 s3, s45, -1
.LBB50_107:
	s_mov_b64 s[44:45], s[2:3]
.LBB50_108:
	v_pk_mov_b32 v[40:41], s[44:45], s[44:45] op_sel:[0,1]
	flat_load_dwordx2 v[42:43], v[40:41]
	s_movk_i32 s2, 0xff70
	v_mad_i32_i24 v40, v0, s2, v1
	v_cmp_ne_u32_e32 vcc, 0, v0
	s_waitcnt lgkmcnt(0)
	ds_write_b64 v40, v[38:39] offset:9728
	s_waitcnt lgkmcnt(0)
	; wave barrier
	s_waitcnt lgkmcnt(0)
	s_and_saveexec_b64 s[2:3], vcc
	s_cbranch_execz .LBB50_110
; %bb.109:
	v_mul_i32_i24_e32 v40, 0xffffff70, v0
	v_add_u32_e32 v40, v1, v40
	s_waitcnt vmcnt(0)
	ds_read_b64 v[42:43], v40 offset:9720
.LBB50_110:
	s_or_b64 exec, exec, s[2:3]
	v_mov_b32_e32 v41, s55
	v_add_co_u32_e32 v40, vcc, s7, v127
	v_addc_co_u32_e32 v41, vcc, 0, v41, vcc
	s_movk_i32 s2, 0x1000
	v_add_co_u32_e32 v60, vcc, s2, v40
	v_addc_co_u32_e32 v61, vcc, 0, v41, vcc
	s_movk_i32 s2, 0x2000
	s_waitcnt lgkmcnt(0)
	; wave barrier
	s_waitcnt lgkmcnt(0)
	flat_load_dwordx2 v[44:45], v[40:41]
	flat_load_dwordx2 v[46:47], v[40:41] offset:512
	flat_load_dwordx2 v[48:49], v[40:41] offset:1024
	;; [unrolled: 1-line block ×7, first 2 shown]
	v_add_co_u32_e32 v40, vcc, s2, v40
	v_addc_co_u32_e32 v41, vcc, 0, v41, vcc
	flat_load_dwordx2 v[62:63], v[60:61]
	flat_load_dwordx2 v[64:65], v[60:61] offset:512
	flat_load_dwordx2 v[66:67], v[60:61] offset:1024
	;; [unrolled: 1-line block ×7, first 2 shown]
	s_nop 0
	flat_load_dwordx2 v[60:61], v[40:41]
	flat_load_dwordx2 v[78:79], v[40:41] offset:512
	flat_load_dwordx2 v[80:81], v[40:41] offset:1024
	v_cmp_ne_u64_e32 vcc, v[34:35], v[36:37]
	v_cndmask_b32_e64 v110, 0, 1, vcc
	v_cmp_ne_u64_e32 vcc, v[32:33], v[34:35]
	v_cndmask_b32_e64 v126, 0, 1, vcc
	;; [unrolled: 2-line block ×14, first 2 shown]
	v_cmp_ne_u64_e32 vcc, v[2:3], v[4:5]
	v_cmp_ne_u64_e64 s[2:3], v[36:37], v[38:39]
	v_cndmask_b32_e64 v113, 0, 1, vcc
	v_cmp_ne_u64_e32 vcc, v[16:17], v[2:3]
	v_cndmask_b32_e64 v111, 0, 1, vcc
	v_cmp_ne_u64_e32 vcc, v[14:15], v[16:17]
	v_cndmask_b32_e64 v112, 0, 1, vcc
	s_waitcnt vmcnt(0)
	v_cmp_ne_u64_e32 vcc, v[42:43], v[14:15]
	s_mov_b64 s[10:11], -1
                                        ; implicit-def: $sgpr76
                                        ; implicit-def: $sgpr8_sgpr9
                                        ; implicit-def: $vgpr42_vgpr43
                                        ; implicit-def: $vgpr34_vgpr35
                                        ; implicit-def: $vgpr26_vgpr27
                                        ; implicit-def: $vgpr14_vgpr15
	s_waitcnt lgkmcnt(0)
	ds_write2st64_b64 v127, v[44:45], v[46:47] offset1:1
	ds_write2st64_b64 v127, v[48:49], v[50:51] offset0:2 offset1:3
	ds_write2st64_b64 v127, v[52:53], v[54:55] offset0:4 offset1:5
	;; [unrolled: 1-line block ×8, first 2 shown]
	ds_write_b64 v127, v[80:81] offset:9216
	s_waitcnt lgkmcnt(0)
	; wave barrier
	s_waitcnt lgkmcnt(0)
	ds_read2_b64 v[2:5], v1 offset1:1
	ds_read2_b64 v[10:13], v1 offset0:2 offset1:3
	ds_read2_b64 v[18:21], v1 offset0:4 offset1:5
	;; [unrolled: 1-line block ×8, first 2 shown]
	ds_read_b64 v[8:9], v1 offset:144
	v_cndmask_b32_e64 v1, 0, 1, vcc
                                        ; implicit-def: $vgpr70_vgpr71
                                        ; implicit-def: $vgpr66_vgpr67
                                        ; implicit-def: $vgpr62_vgpr63
                                        ; implicit-def: $vgpr50_vgpr51
.LBB50_111:
	s_waitcnt lgkmcnt(0)
	v_pk_mov_b32 v[16:17], s[8:9], s[8:9] op_sel:[0,1]
	v_mov_b32_e32 v36, s76
	s_and_saveexec_b64 s[4:5], s[10:11]
; %bb.112:
	v_cndmask_b32_e64 v36, 0, 1, s[2:3]
	v_pk_mov_b32 v[14:15], v[4:5], v[4:5] op_sel:[0,1]
	v_pk_mov_b32 v[26:27], v[12:13], v[12:13] op_sel:[0,1]
	;; [unrolled: 1-line block ×10, first 2 shown]
; %bb.113:
	s_or_b64 exec, exec, s[4:5]
	v_or_b32_e32 v4, v36, v110
	s_cmp_lg_u32 s6, 0
	v_or_b32_e32 v33, v4, v126
	v_mbcnt_lo_u32_b32 v32, -1, 0
	s_waitcnt lgkmcnt(0)
	; wave barrier
	s_cbranch_scc0 .LBB50_174
; %bb.114:
	v_mov_b32_e32 v9, 0
	v_cmp_eq_u16_sdwa s[38:39], v112, v9 src0_sel:BYTE_0 src1_sel:DWORD
	v_cndmask_b32_e64 v4, 1, v2, s[38:39]
	v_cndmask_b32_e64 v5, 0, v3, s[38:39]
	v_mul_lo_u32 v12, v5, v14
	v_mul_lo_u32 v13, v4, v15
	v_mad_u64_u32 v[4:5], s[2:3], v4, v14, 0
	v_add3_u32 v5, v5, v13, v12
	v_cmp_eq_u16_sdwa s[36:37], v111, v9 src0_sel:BYTE_0 src1_sel:DWORD
	v_cndmask_b32_e64 v5, 0, v5, s[36:37]
	v_cndmask_b32_e64 v4, 1, v4, s[36:37]
	v_mul_lo_u32 v12, v5, v10
	v_mul_lo_u32 v13, v4, v11
	v_mad_u64_u32 v[4:5], s[2:3], v4, v10, 0
	v_add3_u32 v5, v5, v13, v12
	;; [unrolled: 7-line block ×18, first 2 shown]
	v_or_b32_e32 v9, v33, v125
	v_or_b32_e32 v9, v9, v124
	;; [unrolled: 1-line block ×15, first 2 shown]
	v_and_b32_e32 v9, 1, v9
	v_and_b32_e32 v8, 0xff, v1
	v_cmp_eq_u32_e32 vcc, 1, v9
	v_mbcnt_hi_u32_b32 v28, -1, v32
	v_cndmask_b32_e64 v12, v8, 1, vcc
	v_and_b32_e32 v13, 15, v28
	v_mov_b32_dpp v21, v4 row_shr:1 row_mask:0xf bank_mask:0xf
	v_mov_b32_dpp v24, v5 row_shr:1 row_mask:0xf bank_mask:0xf
	;; [unrolled: 1-line block ×3, first 2 shown]
	v_cmp_ne_u32_e32 vcc, 0, v13
	v_mov_b32_e32 v9, v5
	v_mov_b32_e32 v8, v4
	s_and_saveexec_b64 s[40:41], vcc
; %bb.115:
	v_cmp_eq_u32_e32 vcc, 0, v12
	v_cndmask_b32_e32 v8, 1, v21, vcc
	v_cndmask_b32_e32 v21, 0, v24, vcc
	v_mul_lo_u32 v5, v8, v5
	v_mad_u64_u32 v[8:9], s[44:45], v8, v4, 0
	v_mul_lo_u32 v4, v21, v4
	v_add3_u32 v9, v9, v5, v4
	v_and_or_b32 v12, v20, 1, v12
	v_pk_mov_b32 v[4:5], v[8:9], v[8:9] op_sel:[0,1]
; %bb.116:
	s_or_b64 exec, exec, s[40:41]
	v_mov_b32_dpp v21, v8 row_shr:2 row_mask:0xf bank_mask:0xf
	v_mov_b32_dpp v24, v9 row_shr:2 row_mask:0xf bank_mask:0xf
	v_mov_b32_dpp v20, v12 row_shr:2 row_mask:0xf bank_mask:0xf
	v_cmp_lt_u32_e32 vcc, 1, v13
	s_and_saveexec_b64 s[40:41], vcc
; %bb.117:
	v_cmp_eq_u32_e32 vcc, 0, v12
	v_cndmask_b32_e32 v8, 1, v21, vcc
	v_cndmask_b32_e32 v21, 0, v24, vcc
	v_mul_lo_u32 v5, v8, v5
	v_mad_u64_u32 v[8:9], s[44:45], v8, v4, 0
	v_mul_lo_u32 v4, v21, v4
	v_add3_u32 v9, v9, v5, v4
	v_or_b32_e32 v4, v20, v12
	v_and_b32_e32 v12, 1, v4
	v_pk_mov_b32 v[4:5], v[8:9], v[8:9] op_sel:[0,1]
; %bb.118:
	s_or_b64 exec, exec, s[40:41]
	v_mov_b32_dpp v21, v8 row_shr:4 row_mask:0xf bank_mask:0xf
	v_mov_b32_dpp v24, v9 row_shr:4 row_mask:0xf bank_mask:0xf
	v_mov_b32_dpp v20, v12 row_shr:4 row_mask:0xf bank_mask:0xf
	v_cmp_lt_u32_e32 vcc, 3, v13
	s_and_saveexec_b64 s[40:41], vcc
; %bb.119:
	v_cmp_eq_u32_e32 vcc, 0, v12
	v_cndmask_b32_e32 v8, 1, v21, vcc
	v_cndmask_b32_e32 v21, 0, v24, vcc
	v_mul_lo_u32 v5, v8, v5
	v_mad_u64_u32 v[8:9], s[44:45], v8, v4, 0
	v_mul_lo_u32 v4, v21, v4
	v_add3_u32 v9, v9, v5, v4
	v_or_b32_e32 v4, v20, v12
	v_and_b32_e32 v12, 1, v4
	v_pk_mov_b32 v[4:5], v[8:9], v[8:9] op_sel:[0,1]
; %bb.120:
	s_or_b64 exec, exec, s[40:41]
	v_mov_b32_dpp v21, v8 row_shr:8 row_mask:0xf bank_mask:0xf
	v_mov_b32_dpp v24, v9 row_shr:8 row_mask:0xf bank_mask:0xf
	v_mov_b32_dpp v20, v12 row_shr:8 row_mask:0xf bank_mask:0xf
	v_cmp_lt_u32_e32 vcc, 7, v13
	s_and_saveexec_b64 s[40:41], vcc
; %bb.121:
	v_cmp_eq_u32_e32 vcc, 0, v12
	v_cndmask_b32_e32 v8, 1, v21, vcc
	v_cndmask_b32_e32 v13, 0, v24, vcc
	v_mul_lo_u32 v5, v8, v5
	v_mad_u64_u32 v[8:9], s[44:45], v8, v4, 0
	v_mul_lo_u32 v4, v13, v4
	v_add3_u32 v9, v9, v5, v4
	v_or_b32_e32 v4, v20, v12
	v_and_b32_e32 v12, 1, v4
	v_pk_mov_b32 v[4:5], v[8:9], v[8:9] op_sel:[0,1]
; %bb.122:
	s_or_b64 exec, exec, s[40:41]
	v_and_b32_e32 v24, 16, v28
	v_mov_b32_dpp v20, v8 row_bcast:15 row_mask:0xf bank_mask:0xf
	v_mov_b32_dpp v21, v9 row_bcast:15 row_mask:0xf bank_mask:0xf
	;; [unrolled: 1-line block ×3, first 2 shown]
	v_cmp_ne_u32_e32 vcc, 0, v24
	s_and_saveexec_b64 s[40:41], vcc
; %bb.123:
	v_cmp_eq_u32_e32 vcc, 0, v12
	v_cndmask_b32_e32 v8, 1, v20, vcc
	v_cndmask_b32_e32 v20, 0, v21, vcc
	v_mul_lo_u32 v5, v8, v5
	v_mad_u64_u32 v[8:9], s[44:45], v8, v4, 0
	v_mul_lo_u32 v4, v20, v4
	v_add3_u32 v9, v9, v5, v4
	v_or_b32_e32 v4, v13, v12
	v_and_b32_e32 v12, 1, v4
	v_pk_mov_b32 v[4:5], v[8:9], v[8:9] op_sel:[0,1]
; %bb.124:
	s_or_b64 exec, exec, s[40:41]
	v_mov_b32_dpp v13, v8 row_bcast:31 row_mask:0xf bank_mask:0xf
	v_mov_b32_dpp v20, v9 row_bcast:31 row_mask:0xf bank_mask:0xf
	;; [unrolled: 1-line block ×3, first 2 shown]
	v_cmp_lt_u32_e32 vcc, 31, v28
	v_mov_b32_e32 v8, v12
	s_and_saveexec_b64 s[40:41], vcc
; %bb.125:
	v_cmp_eq_u32_e32 vcc, 0, v12
	v_cndmask_b32_e32 v8, 1, v13, vcc
	v_cndmask_b32_e32 v13, 0, v20, vcc
	v_mul_lo_u32 v5, v8, v5
	v_mad_u64_u32 v[20:21], s[44:45], v8, v4, 0
	v_mul_lo_u32 v4, v13, v4
	v_add3_u32 v21, v21, v5, v4
	v_or_b32_e32 v4, v9, v12
	v_and_b32_e32 v8, 1, v4
	v_and_b32_e32 v12, 1, v4
	v_pk_mov_b32 v[4:5], v[20:21], v[20:21] op_sel:[0,1]
; %bb.126:
	s_or_b64 exec, exec, s[40:41]
	v_cmp_eq_u32_e32 vcc, 63, v0
	s_and_saveexec_b64 s[40:41], vcc
	s_cbranch_execz .LBB50_128
; %bb.127:
	v_mov_b32_e32 v9, 0
	ds_write_b64 v9, v[4:5]
	ds_write_b8 v9, v8 offset:8
.LBB50_128:
	s_or_b64 exec, exec, s[40:41]
	v_add_u32_e32 v8, -1, v28
	v_and_b32_e32 v9, 64, v28
	v_cmp_lt_i32_e32 vcc, v8, v9
	v_cndmask_b32_e32 v8, v8, v28, vcc
	v_lshlrev_b32_e32 v8, 2, v8
	ds_bpermute_b32 v37, v8, v4
	ds_bpermute_b32 v40, v8, v5
	;; [unrolled: 1-line block ×3, first 2 shown]
	v_cmp_gt_u32_e32 vcc, 64, v0
	s_waitcnt lgkmcnt(0)
	; wave barrier
	s_waitcnt lgkmcnt(0)
	s_and_saveexec_b64 s[56:57], vcc
	s_cbranch_execz .LBB50_171
; %bb.129:
	v_mov_b32_e32 v13, 0
	ds_read_b64 v[4:5], v13
	ds_read_u8 v44, v13 offset:8
	s_mov_b32 s63, 0
	v_cmp_eq_u32_e64 s[40:41], 0, v28
	s_and_saveexec_b64 s[44:45], s[40:41]
	s_cbranch_execz .LBB50_131
; %bb.130:
	s_add_i32 s62, s6, 64
	s_lshl_b64 s[68:69], s[62:63], 4
	s_add_u32 s68, s48, s68
	s_addc_u32 s69, s49, s69
	v_mov_b32_e32 v8, s62
	v_mov_b32_e32 v9, 1
	s_waitcnt lgkmcnt(1)
	global_store_dwordx2 v13, v[4:5], s[68:69]
	s_waitcnt lgkmcnt(0)
	global_store_byte v13, v44, s[68:69] offset:8
	s_waitcnt vmcnt(0)
	buffer_wbinvl1_vol
	global_store_byte v8, v9, s[52:53]
.LBB50_131:
	s_or_b64 exec, exec, s[44:45]
	v_xad_u32 v8, v28, -1, s6
	v_add_u32_e32 v12, 64, v8
	global_load_ubyte v45, v12, s[52:53] glc
	s_waitcnt vmcnt(0)
	v_cmp_eq_u16_e32 vcc, 0, v45
	s_and_saveexec_b64 s[44:45], vcc
	s_cbranch_execz .LBB50_135
; %bb.132:
	v_mov_b32_e32 v9, s53
	v_add_co_u32_e32 v20, vcc, s52, v12
	v_addc_co_u32_e32 v21, vcc, 0, v9, vcc
	s_mov_b64 s[62:63], 0
.LBB50_133:                             ; =>This Inner Loop Header: Depth=1
	global_load_ubyte v45, v[20:21], off glc
	s_waitcnt vmcnt(0)
	v_cmp_ne_u16_e32 vcc, 0, v45
	s_or_b64 s[62:63], vcc, s[62:63]
	s_andn2_b64 exec, exec, s[62:63]
	s_cbranch_execnz .LBB50_133
; %bb.134:
	s_or_b64 exec, exec, s[62:63]
.LBB50_135:
	s_or_b64 exec, exec, s[44:45]
	v_mov_b32_e32 v9, s51
	v_mov_b32_e32 v20, s49
	v_cmp_eq_u16_e32 vcc, 1, v45
	v_cndmask_b32_e32 v9, v9, v20, vcc
	v_mov_b32_e32 v20, s50
	v_mov_b32_e32 v21, s48
	v_cndmask_b32_e32 v20, v20, v21, vcc
	v_lshlrev_b64 v[12:13], 4, v[12:13]
	v_add_co_u32_e32 v12, vcc, v20, v12
	v_addc_co_u32_e32 v13, vcc, v9, v13, vcc
	s_waitcnt lgkmcnt(0)
	buffer_wbinvl1_vol
	global_load_dwordx2 v[24:25], v[12:13], off
	global_load_ubyte v29, v[12:13], off offset:8
	v_cmp_eq_u16_e32 vcc, 2, v45
	v_lshlrev_b64 v[12:13], v28, -1
	v_and_b32_e32 v48, 63, v28
	v_and_b32_e32 v9, vcc_hi, v13
	v_and_b32_e32 v20, vcc_lo, v12
	v_cmp_ne_u32_e32 vcc, 63, v48
	v_addc_co_u32_e32 v21, vcc, 0, v28, vcc
	v_lshlrev_b32_e32 v49, 2, v21
	v_or_b32_e32 v9, 0x80000000, v9
	v_ffbl_b32_e32 v9, v9
	v_ffbl_b32_e32 v20, v20
	v_add_u32_e32 v9, 32, v9
	v_min_u32_e32 v9, v20, v9
	v_cmp_lt_u32_e32 vcc, v48, v9
	s_waitcnt vmcnt(1)
	ds_bpermute_b32 v53, v49, v24
	s_waitcnt vmcnt(0)
	v_and_b32_e32 v68, 1, v29
	ds_bpermute_b32 v56, v49, v25
	ds_bpermute_b32 v52, v49, v68
	v_mov_b32_e32 v21, v25
	v_mov_b32_e32 v20, v24
	s_and_saveexec_b64 s[44:45], vcc
	s_cbranch_execz .LBB50_137
; %bb.136:
	v_mov_b32_e32 v20, 0
	v_cmp_eq_u16_sdwa vcc, v29, v20 src0_sel:BYTE_0 src1_sel:DWORD
	s_waitcnt lgkmcnt(2)
	v_cndmask_b32_e32 v20, 1, v53, vcc
	s_waitcnt lgkmcnt(1)
	v_cndmask_b32_e32 v53, 0, v56, vcc
	v_mul_lo_u32 v25, v20, v25
	v_mad_u64_u32 v[20:21], s[62:63], v20, v24, 0
	v_mul_lo_u32 v24, v53, v24
	v_add3_u32 v21, v21, v25, v24
	s_waitcnt lgkmcnt(0)
	v_and_b32_e32 v24, 1, v52
	v_or_b32_e32 v29, v24, v29
	v_and_b32_e32 v68, 0xff, v29
	v_pk_mov_b32 v[24:25], v[20:21], v[20:21] op_sel:[0,1]
.LBB50_137:
	s_or_b64 exec, exec, s[44:45]
	v_cmp_gt_u32_e32 vcc, 62, v48
	s_waitcnt lgkmcnt(0)
	v_cndmask_b32_e64 v52, 0, 1, vcc
	v_lshlrev_b32_e32 v52, 1, v52
	v_add_lshl_u32 v52, v52, v28, 2
	ds_bpermute_b32 v57, v52, v20
	ds_bpermute_b32 v60, v52, v21
	ds_bpermute_b32 v56, v52, v68
	v_add_u32_e32 v53, 2, v48
	v_cmp_le_u32_e32 vcc, v53, v9
	s_and_saveexec_b64 s[62:63], vcc
	s_cbranch_execz .LBB50_139
; %bb.138:
	v_mov_b32_e32 v20, 0
	v_cmp_eq_u16_sdwa vcc, v29, v20 src0_sel:BYTE_0 src1_sel:DWORD
	s_waitcnt lgkmcnt(2)
	v_cndmask_b32_e32 v20, 1, v57, vcc
	s_waitcnt lgkmcnt(1)
	v_cndmask_b32_e32 v57, 0, v60, vcc
	v_mul_lo_u32 v25, v20, v25
	v_mad_u64_u32 v[20:21], s[44:45], v20, v24, 0
	v_mul_lo_u32 v24, v57, v24
	v_add3_u32 v21, v21, v25, v24
	v_and_b32_e32 v24, 1, v29
	v_cmp_eq_u32_e32 vcc, 1, v24
	s_waitcnt lgkmcnt(0)
	v_and_b32_e32 v24, 1, v56
	v_cmp_eq_u32_e64 s[44:45], 1, v24
	s_or_b64 s[44:45], vcc, s[44:45]
	v_cndmask_b32_e64 v29, 0, 1, s[44:45]
	v_cndmask_b32_e64 v68, 0, 1, s[44:45]
	v_pk_mov_b32 v[24:25], v[20:21], v[20:21] op_sel:[0,1]
.LBB50_139:
	s_or_b64 exec, exec, s[62:63]
	v_cmp_gt_u32_e32 vcc, 60, v48
	s_waitcnt lgkmcnt(0)
	v_cndmask_b32_e64 v56, 0, 1, vcc
	v_lshlrev_b32_e32 v56, 2, v56
	v_add_lshl_u32 v56, v56, v28, 2
	ds_bpermute_b32 v61, v56, v20
	ds_bpermute_b32 v64, v56, v21
	ds_bpermute_b32 v60, v56, v68
	v_add_u32_e32 v57, 4, v48
	v_cmp_le_u32_e32 vcc, v57, v9
	s_and_saveexec_b64 s[62:63], vcc
	s_cbranch_execz .LBB50_141
; %bb.140:
	v_mov_b32_e32 v20, 0
	v_cmp_eq_u16_sdwa vcc, v29, v20 src0_sel:BYTE_0 src1_sel:DWORD
	s_waitcnt lgkmcnt(2)
	v_cndmask_b32_e32 v20, 1, v61, vcc
	s_waitcnt lgkmcnt(1)
	v_cndmask_b32_e32 v61, 0, v64, vcc
	v_mul_lo_u32 v25, v20, v25
	v_mad_u64_u32 v[20:21], s[44:45], v20, v24, 0
	v_mul_lo_u32 v24, v61, v24
	v_add3_u32 v21, v21, v25, v24
	v_and_b32_e32 v24, 1, v29
	v_cmp_eq_u32_e32 vcc, 1, v24
	s_waitcnt lgkmcnt(0)
	v_and_b32_e32 v24, 1, v60
	v_cmp_eq_u32_e64 s[44:45], 1, v24
	s_or_b64 s[44:45], vcc, s[44:45]
	v_cndmask_b32_e64 v29, 0, 1, s[44:45]
	v_cndmask_b32_e64 v68, 0, 1, s[44:45]
	v_pk_mov_b32 v[24:25], v[20:21], v[20:21] op_sel:[0,1]
.LBB50_141:
	;; [unrolled: 34-line block ×4, first 2 shown]
	s_or_b64 exec, exec, s[62:63]
	v_cmp_gt_u32_e32 vcc, 32, v48
	s_waitcnt lgkmcnt(0)
	v_cndmask_b32_e64 v69, 0, 1, vcc
	v_lshlrev_b32_e32 v69, 5, v69
	v_add_lshl_u32 v69, v69, v28, 2
	ds_bpermute_b32 v28, v69, v20
	ds_bpermute_b32 v21, v69, v21
	;; [unrolled: 1-line block ×3, first 2 shown]
	v_add_u32_e32 v72, 32, v48
	v_cmp_le_u32_e32 vcc, v72, v9
	s_and_saveexec_b64 s[62:63], vcc
	s_cbranch_execz .LBB50_147
; %bb.146:
	v_mov_b32_e32 v9, 0
	v_cmp_eq_u16_sdwa vcc, v29, v9 src0_sel:BYTE_0 src1_sel:DWORD
	s_waitcnt lgkmcnt(2)
	v_cndmask_b32_e32 v9, 1, v28, vcc
	s_waitcnt lgkmcnt(1)
	v_cndmask_b32_e32 v21, 0, v21, vcc
	v_mul_lo_u32 v25, v9, v25
	v_mad_u64_u32 v[74:75], s[44:45], v9, v24, 0
	v_mul_lo_u32 v9, v21, v24
	v_add3_u32 v75, v75, v25, v9
	v_and_b32_e32 v9, 1, v29
	v_cmp_eq_u32_e32 vcc, 1, v9
	s_waitcnt lgkmcnt(0)
	v_and_b32_e32 v9, 1, v20
	v_cmp_eq_u32_e64 s[44:45], 1, v9
	s_or_b64 s[44:45], vcc, s[44:45]
	v_cndmask_b32_e64 v29, 0, 1, s[44:45]
	v_pk_mov_b32 v[24:25], v[74:75], v[74:75] op_sel:[0,1]
.LBB50_147:
	s_or_b64 exec, exec, s[62:63]
	v_mov_b32_e32 v9, 0
	v_mov_b32_e32 v73, 2
	s_branch .LBB50_149
.LBB50_148:                             ;   in Loop: Header=BB50_149 Depth=1
	s_or_b64 exec, exec, s[68:69]
	v_cmp_eq_u16_sdwa vcc, v68, v9 src0_sel:BYTE_0 src1_sel:DWORD
	s_waitcnt lgkmcnt(0)
	v_cndmask_b32_e32 v24, 1, v28, vcc
	v_cndmask_b32_e32 v25, 0, v29, vcc
	v_mul_lo_u32 v28, v25, v20
	v_mul_lo_u32 v29, v24, v21
	v_mad_u64_u32 v[24:25], s[44:45], v24, v20, 0
	v_add3_u32 v25, v25, v29, v28
	v_and_b32_e32 v28, 1, v68
	v_cmp_eq_u32_e32 vcc, 1, v28
	s_or_b64 s[44:45], vcc, s[62:63]
	v_subrev_u32_e32 v8, 64, v8
	v_cndmask_b32_e64 v29, 0, 1, s[44:45]
.LBB50_149:                             ; =>This Loop Header: Depth=1
                                        ;     Child Loop BB50_152 Depth 2
	v_cmp_ne_u16_sdwa s[44:45], v45, v73 src0_sel:BYTE_0 src1_sel:DWORD
	s_waitcnt lgkmcnt(0)
	v_cndmask_b32_e64 v20, 0, 1, s[44:45]
	;;#ASMSTART
	;;#ASMEND
	v_cmp_ne_u32_e32 vcc, 0, v20
	v_mov_b32_e32 v68, v29
	s_cmp_lg_u64 vcc, exec
	v_pk_mov_b32 v[20:21], v[24:25], v[24:25] op_sel:[0,1]
	s_cbranch_scc1 .LBB50_166
; %bb.150:                              ;   in Loop: Header=BB50_149 Depth=1
	global_load_ubyte v45, v8, s[52:53] glc
	s_waitcnt vmcnt(0)
	v_cmp_eq_u16_e32 vcc, 0, v45
	s_and_saveexec_b64 s[44:45], vcc
	s_cbranch_execz .LBB50_154
; %bb.151:                              ;   in Loop: Header=BB50_149 Depth=1
	v_mov_b32_e32 v25, s53
	v_add_co_u32_e32 v24, vcc, s52, v8
	v_addc_co_u32_e32 v25, vcc, 0, v25, vcc
	s_mov_b64 s[62:63], 0
.LBB50_152:                             ;   Parent Loop BB50_149 Depth=1
                                        ; =>  This Inner Loop Header: Depth=2
	global_load_ubyte v45, v[24:25], off glc
	s_waitcnt vmcnt(0)
	v_cmp_ne_u16_e32 vcc, 0, v45
	s_or_b64 s[62:63], vcc, s[62:63]
	s_andn2_b64 exec, exec, s[62:63]
	s_cbranch_execnz .LBB50_152
; %bb.153:                              ;   in Loop: Header=BB50_149 Depth=1
	s_or_b64 exec, exec, s[62:63]
.LBB50_154:                             ;   in Loop: Header=BB50_149 Depth=1
	s_or_b64 exec, exec, s[44:45]
	v_mov_b32_e32 v24, s51
	v_mov_b32_e32 v25, s49
	v_cmp_eq_u16_e32 vcc, 1, v45
	v_cndmask_b32_e32 v28, v24, v25, vcc
	v_mov_b32_e32 v24, s50
	v_mov_b32_e32 v25, s48
	v_cndmask_b32_e32 v29, v24, v25, vcc
	v_lshlrev_b64 v[24:25], 4, v[8:9]
	v_add_co_u32_e32 v24, vcc, v29, v24
	v_addc_co_u32_e32 v25, vcc, v28, v25, vcc
	buffer_wbinvl1_vol
	global_load_dwordx2 v[28:29], v[24:25], off
	global_load_ubyte v74, v[24:25], off offset:8
	v_cmp_eq_u16_e32 vcc, 2, v45
	v_and_b32_e32 v24, vcc_hi, v13
	v_or_b32_e32 v24, 0x80000000, v24
	v_and_b32_e32 v25, vcc_lo, v12
	v_ffbl_b32_e32 v24, v24
	v_ffbl_b32_e32 v25, v25
	v_add_u32_e32 v24, 32, v24
	v_min_u32_e32 v75, v25, v24
	v_cmp_lt_u32_e32 vcc, v48, v75
	s_waitcnt vmcnt(1)
	ds_bpermute_b32 v78, v49, v28
	s_waitcnt vmcnt(0)
	v_and_b32_e32 v76, 1, v74
	ds_bpermute_b32 v79, v49, v29
	ds_bpermute_b32 v77, v49, v76
	v_mov_b32_e32 v25, v29
	v_mov_b32_e32 v24, v28
	s_and_saveexec_b64 s[44:45], vcc
	s_cbranch_execz .LBB50_156
; %bb.155:                              ;   in Loop: Header=BB50_149 Depth=1
	v_cmp_eq_u16_sdwa vcc, v74, v9 src0_sel:BYTE_0 src1_sel:DWORD
	s_waitcnt lgkmcnt(2)
	v_cndmask_b32_e32 v24, 1, v78, vcc
	s_waitcnt lgkmcnt(1)
	v_cndmask_b32_e32 v76, 0, v79, vcc
	v_mul_lo_u32 v29, v24, v29
	v_mad_u64_u32 v[24:25], s[62:63], v24, v28, 0
	v_mul_lo_u32 v28, v76, v28
	v_add3_u32 v25, v25, v29, v28
	s_waitcnt lgkmcnt(0)
	v_and_b32_e32 v28, 1, v77
	v_or_b32_e32 v74, v28, v74
	v_and_b32_e32 v76, 0xff, v74
	v_pk_mov_b32 v[28:29], v[24:25], v[24:25] op_sel:[0,1]
.LBB50_156:                             ;   in Loop: Header=BB50_149 Depth=1
	s_or_b64 exec, exec, s[44:45]
	s_waitcnt lgkmcnt(2)
	ds_bpermute_b32 v78, v52, v24
	s_waitcnt lgkmcnt(2)
	ds_bpermute_b32 v79, v52, v25
	;; [unrolled: 2-line block ×3, first 2 shown]
	v_and_b32_e32 v80, 1, v74
	v_cmp_le_u32_e32 vcc, v53, v75
	v_cmp_eq_u32_e64 s[62:63], 1, v80
	s_and_saveexec_b64 s[44:45], vcc
	s_cbranch_execz .LBB50_158
; %bb.157:                              ;   in Loop: Header=BB50_149 Depth=1
	v_cmp_eq_u16_sdwa vcc, v74, v9 src0_sel:BYTE_0 src1_sel:DWORD
	s_waitcnt lgkmcnt(2)
	v_cndmask_b32_e32 v24, 1, v78, vcc
	s_waitcnt lgkmcnt(1)
	v_cndmask_b32_e32 v74, 0, v79, vcc
	v_mul_lo_u32 v29, v24, v29
	v_mad_u64_u32 v[24:25], s[68:69], v24, v28, 0
	v_mul_lo_u32 v28, v74, v28
	v_add3_u32 v25, v25, v29, v28
	s_waitcnt lgkmcnt(0)
	v_and_b32_e32 v28, 1, v77
	v_cmp_eq_u32_e32 vcc, 1, v28
	s_or_b64 s[68:69], s[62:63], vcc
	v_cndmask_b32_e64 v74, 0, 1, s[68:69]
	v_cndmask_b32_e64 v76, 0, 1, s[68:69]
	s_andn2_b64 s[62:63], s[62:63], exec
	s_and_b64 s[68:69], s[68:69], exec
	s_or_b64 s[62:63], s[62:63], s[68:69]
	v_pk_mov_b32 v[28:29], v[24:25], v[24:25] op_sel:[0,1]
.LBB50_158:                             ;   in Loop: Header=BB50_149 Depth=1
	s_or_b64 exec, exec, s[44:45]
	s_waitcnt lgkmcnt(2)
	ds_bpermute_b32 v78, v56, v24
	s_waitcnt lgkmcnt(2)
	ds_bpermute_b32 v79, v56, v25
	s_waitcnt lgkmcnt(2)
	ds_bpermute_b32 v77, v56, v76
	v_cmp_le_u32_e32 vcc, v57, v75
	s_and_saveexec_b64 s[68:69], vcc
	s_cbranch_execz .LBB50_160
; %bb.159:                              ;   in Loop: Header=BB50_149 Depth=1
	v_cmp_eq_u16_sdwa vcc, v74, v9 src0_sel:BYTE_0 src1_sel:DWORD
	s_waitcnt lgkmcnt(2)
	v_cndmask_b32_e32 v24, 1, v78, vcc
	s_waitcnt lgkmcnt(1)
	v_cndmask_b32_e32 v76, 0, v79, vcc
	v_mul_lo_u32 v29, v24, v29
	v_mad_u64_u32 v[24:25], s[44:45], v24, v28, 0
	v_mul_lo_u32 v28, v76, v28
	v_add3_u32 v25, v25, v29, v28
	v_and_b32_e32 v28, 1, v74
	v_cmp_eq_u32_e32 vcc, 1, v28
	s_waitcnt lgkmcnt(0)
	v_and_b32_e32 v28, 1, v77
	v_cmp_eq_u32_e64 s[44:45], 1, v28
	s_or_b64 s[44:45], vcc, s[44:45]
	v_cndmask_b32_e64 v74, 0, 1, s[44:45]
	v_cndmask_b32_e64 v76, 0, 1, s[44:45]
	s_andn2_b64 s[62:63], s[62:63], exec
	s_and_b64 s[44:45], s[44:45], exec
	s_or_b64 s[62:63], s[62:63], s[44:45]
	v_pk_mov_b32 v[28:29], v[24:25], v[24:25] op_sel:[0,1]
.LBB50_160:                             ;   in Loop: Header=BB50_149 Depth=1
	s_or_b64 exec, exec, s[68:69]
	s_waitcnt lgkmcnt(2)
	ds_bpermute_b32 v78, v60, v24
	s_waitcnt lgkmcnt(2)
	ds_bpermute_b32 v79, v60, v25
	s_waitcnt lgkmcnt(2)
	ds_bpermute_b32 v77, v60, v76
	v_cmp_le_u32_e32 vcc, v61, v75
	s_and_saveexec_b64 s[68:69], vcc
	s_cbranch_execz .LBB50_162
; %bb.161:                              ;   in Loop: Header=BB50_149 Depth=1
	v_cmp_eq_u16_sdwa vcc, v74, v9 src0_sel:BYTE_0 src1_sel:DWORD
	s_waitcnt lgkmcnt(2)
	v_cndmask_b32_e32 v24, 1, v78, vcc
	s_waitcnt lgkmcnt(1)
	v_cndmask_b32_e32 v76, 0, v79, vcc
	v_mul_lo_u32 v29, v24, v29
	v_mad_u64_u32 v[24:25], s[44:45], v24, v28, 0
	v_mul_lo_u32 v28, v76, v28
	v_add3_u32 v25, v25, v29, v28
	v_and_b32_e32 v28, 1, v74
	v_cmp_eq_u32_e32 vcc, 1, v28
	s_waitcnt lgkmcnt(0)
	v_and_b32_e32 v28, 1, v77
	v_cmp_eq_u32_e64 s[44:45], 1, v28
	s_or_b64 s[44:45], vcc, s[44:45]
	v_cndmask_b32_e64 v74, 0, 1, s[44:45]
	v_cndmask_b32_e64 v76, 0, 1, s[44:45]
	s_andn2_b64 s[62:63], s[62:63], exec
	s_and_b64 s[44:45], s[44:45], exec
	s_or_b64 s[62:63], s[62:63], s[44:45]
	v_pk_mov_b32 v[28:29], v[24:25], v[24:25] op_sel:[0,1]
.LBB50_162:                             ;   in Loop: Header=BB50_149 Depth=1
	;; [unrolled: 33-line block ×3, first 2 shown]
	s_or_b64 exec, exec, s[68:69]
	s_waitcnt lgkmcnt(0)
	ds_bpermute_b32 v77, v69, v24
	ds_bpermute_b32 v25, v69, v25
	;; [unrolled: 1-line block ×3, first 2 shown]
	v_cmp_le_u32_e32 vcc, v72, v75
	s_and_saveexec_b64 s[68:69], vcc
	s_cbranch_execz .LBB50_148
; %bb.165:                              ;   in Loop: Header=BB50_149 Depth=1
	v_cmp_eq_u16_sdwa vcc, v74, v9 src0_sel:BYTE_0 src1_sel:DWORD
	s_waitcnt lgkmcnt(2)
	v_cndmask_b32_e32 v75, 1, v77, vcc
	s_waitcnt lgkmcnt(1)
	v_cndmask_b32_e32 v25, 0, v25, vcc
	v_mul_lo_u32 v29, v75, v29
	v_mad_u64_u32 v[76:77], s[44:45], v75, v28, 0
	v_mul_lo_u32 v25, v25, v28
	v_add3_u32 v77, v77, v29, v25
	v_and_b32_e32 v25, 1, v74
	s_waitcnt lgkmcnt(0)
	v_and_b32_e32 v24, 1, v24
	v_cmp_eq_u32_e32 vcc, 1, v25
	v_cmp_eq_u32_e64 s[44:45], 1, v24
	s_or_b64 s[44:45], vcc, s[44:45]
	s_andn2_b64 s[62:63], s[62:63], exec
	s_and_b64 s[44:45], s[44:45], exec
	s_or_b64 s[62:63], s[62:63], s[44:45]
	v_pk_mov_b32 v[28:29], v[76:77], v[76:77] op_sel:[0,1]
	s_branch .LBB50_148
.LBB50_166:                             ;   in Loop: Header=BB50_149 Depth=1
                                        ; implicit-def: $vgpr29
                                        ; implicit-def: $vgpr24_vgpr25
                                        ; implicit-def: $vgpr45
	s_cbranch_execz .LBB50_149
; %bb.167:
	s_and_saveexec_b64 s[44:45], s[40:41]
	s_cbranch_execz .LBB50_169
; %bb.168:
	v_mov_b32_e32 v8, 0
	v_cmp_eq_u16_sdwa vcc, v44, v8 src0_sel:BYTE_0 src1_sel:DWORD
	v_cndmask_b32_e32 v9, 1, v20, vcc
	v_cndmask_b32_e32 v12, 0, v21, vcc
	s_mov_b32 s7, 0
	v_mul_lo_u32 v12, v12, v4
	v_mul_lo_u32 v13, v9, v5
	v_mad_u64_u32 v[4:5], s[40:41], v9, v4, 0
	s_add_i32 s6, s6, 64
	s_lshl_b64 s[40:41], s[6:7], 4
	s_add_u32 s40, s50, s40
	v_add3_u32 v5, v5, v13, v12
	v_or_b32_e32 v9, v44, v68
	s_addc_u32 s41, s51, s41
	v_and_b32_e32 v9, 1, v9
	global_store_dwordx2 v8, v[4:5], s[40:41]
	global_store_byte v8, v9, s[40:41] offset:8
	v_mov_b32_e32 v4, s6
	v_mov_b32_e32 v5, 2
	s_waitcnt vmcnt(0)
	buffer_wbinvl1_vol
	global_store_byte v4, v5, s[52:53]
.LBB50_169:
	s_or_b64 exec, exec, s[44:45]
	v_cmp_eq_u32_e32 vcc, 0, v0
	s_and_b64 exec, exec, vcc
	s_cbranch_execz .LBB50_171
; %bb.170:
	v_mov_b32_e32 v4, 0
	ds_write_b64 v4, v[20:21]
	ds_write_b8 v4, v68 offset:8
.LBB50_171:
	s_or_b64 exec, exec, s[56:57]
	v_mov_b32_e32 v12, 0
	s_waitcnt lgkmcnt(0)
	; wave barrier
	s_waitcnt lgkmcnt(0)
	ds_read_b64 v[4:5], v12
	v_cmp_ne_u32_e32 vcc, 0, v0
	v_mov_b32_e32 v13, v1
	v_pk_mov_b32 v[8:9], v[2:3], v[2:3] op_sel:[0,1]
	s_and_saveexec_b64 s[40:41], vcc
	s_cbranch_execz .LBB50_173
; %bb.172:
	v_and_b32_e32 v8, 1, v41
	v_cmp_eq_u32_e32 vcc, 1, v8
	v_and_b32_e32 v8, 1, v1
	v_cmp_eq_u32_e64 s[6:7], 1, v8
	s_or_b64 s[6:7], s[6:7], vcc
	v_cmp_eq_u16_sdwa vcc, v1, v12 src0_sel:BYTE_0 src1_sel:DWORD
	v_cndmask_b32_e32 v8, 1, v37, vcc
	v_cndmask_b32_e32 v20, 0, v40, vcc
	v_cndmask_b32_e64 v13, 0, 1, s[6:7]
	v_mul_lo_u32 v21, v8, v3
	v_mad_u64_u32 v[8:9], s[6:7], v8, v2, 0
	v_mul_lo_u32 v20, v20, v2
	v_add3_u32 v9, v9, v21, v20
.LBB50_173:
	s_or_b64 exec, exec, s[40:41]
	v_cmp_eq_u16_sdwa vcc, v13, v12 src0_sel:BYTE_0 src1_sel:DWORD
	s_waitcnt lgkmcnt(0)
	v_cndmask_b32_e32 v4, 1, v4, vcc
	v_cndmask_b32_e32 v5, 0, v5, vcc
	v_mul_lo_u32 v5, v5, v8
	v_mul_lo_u32 v9, v4, v9
	v_mad_u64_u32 v[102:103], s[6:7], v4, v8, 0
	v_add3_u32 v103, v103, v9, v5
	v_cndmask_b32_e64 v4, 0, v103, s[38:39]
	v_cndmask_b32_e64 v5, 1, v102, s[38:39]
	v_mul_lo_u32 v4, v4, v14
	v_mul_lo_u32 v8, v5, v15
	v_mad_u64_u32 v[40:41], s[6:7], v5, v14, 0
	v_add3_u32 v41, v41, v8, v4
	v_cndmask_b32_e64 v4, 0, v41, s[36:37]
	v_cndmask_b32_e64 v5, 1, v40, s[36:37]
	;; [unrolled: 6-line block ×18, first 2 shown]
	v_mul_lo_u32 v4, v4, v16
	v_mul_lo_u32 v8, v5, v17
	v_mad_u64_u32 v[108:109], s[2:3], v5, v16, 0
	v_add3_u32 v109, v109, v8, v4
	s_branch .LBB50_196
.LBB50_174:
                                        ; implicit-def: $vgpr100_vgpr101_vgpr102_vgpr103
                                        ; implicit-def: $vgpr108_vgpr109
                                        ; implicit-def: $vgpr106_vgpr107
                                        ; implicit-def: $vgpr68_vgpr69
                                        ; implicit-def: $vgpr64_vgpr65
                                        ; implicit-def: $vgpr60_vgpr61
                                        ; implicit-def: $vgpr56_vgpr57
                                        ; implicit-def: $vgpr52_vgpr53
                                        ; implicit-def: $vgpr48_vgpr49
                                        ; implicit-def: $vgpr44_vgpr45
                                        ; implicit-def: $vgpr40_vgpr41
                                        ; implicit-def: $vgpr96_vgpr97_vgpr98_vgpr99
                                        ; implicit-def: $vgpr92_vgpr93_vgpr94_vgpr95
                                        ; implicit-def: $vgpr88_vgpr89_vgpr90_vgpr91
                                        ; implicit-def: $vgpr84_vgpr85_vgpr86_vgpr87
                                        ; implicit-def: $vgpr80_vgpr81_vgpr82_vgpr83
                                        ; implicit-def: $vgpr76_vgpr77_vgpr78_vgpr79
                                        ; implicit-def: $vgpr72_vgpr73_vgpr74_vgpr75
                                        ; implicit-def: $vgpr102_vgpr103_vgpr104_vgpr105
	s_cbranch_execz .LBB50_196
; %bb.175:
	s_cmp_lg_u64 s[66:67], 0
	s_cselect_b32 s3, s59, 0
	s_cselect_b32 s2, s58, 0
	s_cmp_lg_u64 s[2:3], 0
	s_cselect_b64 s[4:5], -1, 0
	v_cmp_eq_u32_e32 vcc, 0, v0
	v_cmp_ne_u32_e64 s[14:15], 0, v0
	s_and_b64 s[6:7], vcc, s[4:5]
	s_and_saveexec_b64 s[4:5], s[6:7]
	s_cbranch_execz .LBB50_177
; %bb.176:
	v_mov_b32_e32 v8, 0
	global_load_dwordx2 v[4:5], v8, s[2:3]
	global_load_ubyte v9, v8, s[2:3] offset:8
	v_cmp_eq_u16_sdwa s[2:3], v1, v8 src0_sel:BYTE_0 src1_sel:DWORD
	s_waitcnt vmcnt(1)
	v_cndmask_b32_e64 v4, 1, v4, s[2:3]
	v_cndmask_b32_e64 v5, 0, v5, s[2:3]
	s_waitcnt vmcnt(0)
	v_or_b32_e32 v1, v1, v9
	v_mul_lo_u32 v5, v5, v2
	v_mul_lo_u32 v8, v4, v3
	v_mad_u64_u32 v[2:3], s[2:3], v4, v2, 0
	v_add3_u32 v3, v3, v8, v5
	v_and_b32_e32 v1, 1, v1
.LBB50_177:
	s_or_b64 exec, exec, s[4:5]
	v_mov_b32_e32 v5, 0
	v_cmp_eq_u16_sdwa s[40:41], v112, v5 src0_sel:BYTE_0 src1_sel:DWORD
	v_cndmask_b32_e64 v8, 1, v2, s[40:41]
	v_cndmask_b32_e64 v9, 0, v3, s[40:41]
	v_mul_lo_u32 v9, v9, v14
	v_mul_lo_u32 v12, v8, v15
	v_mad_u64_u32 v[40:41], s[2:3], v8, v14, 0
	v_add3_u32 v41, v41, v12, v9
	v_cmp_eq_u16_sdwa s[38:39], v111, v5 src0_sel:BYTE_0 src1_sel:DWORD
	v_cndmask_b32_e64 v8, 0, v41, s[38:39]
	v_cndmask_b32_e64 v9, 1, v40, s[38:39]
	v_mul_lo_u32 v8, v8, v10
	v_mul_lo_u32 v12, v9, v11
	v_mad_u64_u32 v[72:73], s[2:3], v9, v10, 0
	v_add3_u32 v73, v73, v12, v8
	;; [unrolled: 7-line block ×18, first 2 shown]
	v_or_b32_e32 v5, v33, v125
	v_or_b32_e32 v5, v5, v124
	;; [unrolled: 1-line block ×15, first 2 shown]
	v_and_b32_e32 v5, 1, v5
	v_and_b32_e32 v4, 0xff, v1
	v_cmp_eq_u32_e64 s[42:43], 1, v5
	v_mbcnt_hi_u32_b32 v12, -1, v32
	v_cndmask_b32_e64 v13, v4, 1, s[42:43]
	v_and_b32_e32 v20, 15, v12
	v_mov_b32_dpp v24, v108 row_shr:1 row_mask:0xf bank_mask:0xf
	v_mov_b32_dpp v25, v109 row_shr:1 row_mask:0xf bank_mask:0xf
	;; [unrolled: 1-line block ×3, first 2 shown]
	v_cmp_ne_u32_e64 s[42:43], 0, v20
	v_pk_mov_b32 v[4:5], v[108:109], v[108:109] op_sel:[0,1]
	v_mov_b32_e32 v9, v109
	v_mov_b32_e32 v8, v108
	s_and_saveexec_b64 s[44:45], s[42:43]
; %bb.178:
	v_cmp_eq_u32_e64 s[42:43], 0, v13
	v_cndmask_b32_e64 v4, 1, v24, s[42:43]
	v_cndmask_b32_e64 v8, 0, v25, s[42:43]
	v_mul_lo_u32 v9, v109, v4
	v_mad_u64_u32 v[4:5], s[42:43], v108, v4, 0
	v_mul_lo_u32 v8, v108, v8
	v_add3_u32 v5, v5, v8, v9
	v_and_or_b32 v13, v21, 1, v13
	v_mov_b32_e32 v9, v5
	v_mov_b32_e32 v8, v4
; %bb.179:
	s_or_b64 exec, exec, s[44:45]
	s_nop 0
	v_mov_b32_dpp v24, v8 row_shr:2 row_mask:0xf bank_mask:0xf
	v_mov_b32_dpp v25, v9 row_shr:2 row_mask:0xf bank_mask:0xf
	v_mov_b32_dpp v21, v13 row_shr:2 row_mask:0xf bank_mask:0xf
	v_cmp_lt_u32_e64 s[42:43], 1, v20
	s_and_saveexec_b64 s[44:45], s[42:43]
; %bb.180:
	v_cmp_eq_u32_e64 s[42:43], 0, v13
	v_cndmask_b32_e64 v8, 1, v24, s[42:43]
	v_cndmask_b32_e64 v24, 0, v25, s[42:43]
	v_mul_lo_u32 v5, v8, v5
	v_mad_u64_u32 v[8:9], s[42:43], v8, v4, 0
	v_mul_lo_u32 v4, v24, v4
	v_add3_u32 v9, v9, v5, v4
	v_or_b32_e32 v4, v21, v13
	v_and_b32_e32 v13, 1, v4
	v_pk_mov_b32 v[4:5], v[8:9], v[8:9] op_sel:[0,1]
; %bb.181:
	s_or_b64 exec, exec, s[44:45]
	v_mov_b32_dpp v24, v8 row_shr:4 row_mask:0xf bank_mask:0xf
	v_mov_b32_dpp v25, v9 row_shr:4 row_mask:0xf bank_mask:0xf
	v_mov_b32_dpp v21, v13 row_shr:4 row_mask:0xf bank_mask:0xf
	v_cmp_lt_u32_e64 s[42:43], 3, v20
	s_and_saveexec_b64 s[44:45], s[42:43]
; %bb.182:
	v_cmp_eq_u32_e64 s[42:43], 0, v13
	v_cndmask_b32_e64 v8, 1, v24, s[42:43]
	v_cndmask_b32_e64 v24, 0, v25, s[42:43]
	v_mul_lo_u32 v5, v8, v5
	v_mad_u64_u32 v[8:9], s[42:43], v8, v4, 0
	v_mul_lo_u32 v4, v24, v4
	v_add3_u32 v9, v9, v5, v4
	v_or_b32_e32 v4, v21, v13
	v_and_b32_e32 v13, 1, v4
	v_pk_mov_b32 v[4:5], v[8:9], v[8:9] op_sel:[0,1]
; %bb.183:
	s_or_b64 exec, exec, s[44:45]
	;; [unrolled: 18-line block ×3, first 2 shown]
	v_and_b32_e32 v25, 16, v12
	v_mov_b32_dpp v21, v8 row_bcast:15 row_mask:0xf bank_mask:0xf
	v_mov_b32_dpp v24, v9 row_bcast:15 row_mask:0xf bank_mask:0xf
	;; [unrolled: 1-line block ×3, first 2 shown]
	v_cmp_ne_u32_e64 s[42:43], 0, v25
	s_and_saveexec_b64 s[44:45], s[42:43]
; %bb.186:
	v_cmp_eq_u32_e64 s[42:43], 0, v13
	v_cndmask_b32_e64 v8, 1, v21, s[42:43]
	v_cndmask_b32_e64 v21, 0, v24, s[42:43]
	v_mul_lo_u32 v5, v8, v5
	v_mad_u64_u32 v[8:9], s[42:43], v8, v4, 0
	v_mul_lo_u32 v4, v21, v4
	v_add3_u32 v9, v9, v5, v4
	v_or_b32_e32 v4, v20, v13
	v_and_b32_e32 v13, 1, v4
	v_pk_mov_b32 v[4:5], v[8:9], v[8:9] op_sel:[0,1]
; %bb.187:
	s_or_b64 exec, exec, s[44:45]
	v_mov_b32_dpp v20, v8 row_bcast:31 row_mask:0xf bank_mask:0xf
	v_mov_b32_dpp v9, v9 row_bcast:31 row_mask:0xf bank_mask:0xf
	;; [unrolled: 1-line block ×3, first 2 shown]
	v_cmp_lt_u32_e64 s[42:43], 31, v12
	s_and_saveexec_b64 s[44:45], s[42:43]
; %bb.188:
	v_cmp_eq_u32_e64 s[42:43], 0, v13
	v_cndmask_b32_e64 v20, 1, v20, s[42:43]
	v_cndmask_b32_e64 v9, 0, v9, s[42:43]
	v_mul_lo_u32 v5, v20, v5
	v_mad_u64_u32 v[20:21], s[42:43], v20, v4, 0
	v_mul_lo_u32 v4, v9, v4
	v_add3_u32 v21, v21, v5, v4
	v_or_b32_e32 v4, v8, v13
	v_and_b32_e32 v13, 1, v4
	v_pk_mov_b32 v[4:5], v[20:21], v[20:21] op_sel:[0,1]
; %bb.189:
	s_or_b64 exec, exec, s[44:45]
	v_cmp_eq_u32_e64 s[42:43], 63, v0
	s_and_saveexec_b64 s[44:45], s[42:43]
	s_cbranch_execz .LBB50_191
; %bb.190:
	v_mov_b32_e32 v8, 0
	ds_write_b64 v8, v[4:5]
	ds_write_b8 v8, v13 offset:8
.LBB50_191:
	s_or_b64 exec, exec, s[44:45]
	v_add_u32_e32 v8, -1, v12
	v_and_b32_e32 v9, 64, v12
	v_cmp_lt_i32_e64 s[42:43], v8, v9
	v_cndmask_b32_e64 v8, v8, v12, s[42:43]
	v_lshlrev_b32_e32 v8, 2, v8
	ds_bpermute_b32 v4, v8, v4
	ds_bpermute_b32 v5, v8, v5
	s_waitcnt lgkmcnt(0)
	; wave barrier
	s_waitcnt lgkmcnt(0)
	s_and_saveexec_b64 s[42:43], s[14:15]
	s_cbranch_execz .LBB50_193
; %bb.192:
	v_mov_b32_e32 v8, 0
	v_cmp_eq_u16_sdwa s[14:15], v1, v8 src0_sel:BYTE_0 src1_sel:DWORD
	v_cndmask_b32_e64 v1, 1, v4, s[14:15]
	v_cndmask_b32_e64 v4, 0, v5, s[14:15]
	v_mul_lo_u32 v4, v4, v2
	v_mul_lo_u32 v5, v1, v3
	v_mad_u64_u32 v[2:3], s[14:15], v1, v2, 0
	v_add3_u32 v3, v3, v5, v4
	v_cndmask_b32_e64 v1, 0, v3, s[40:41]
	v_cndmask_b32_e64 v4, 1, v2, s[40:41]
	v_mul_lo_u32 v1, v1, v14
	v_mul_lo_u32 v5, v4, v15
	v_mad_u64_u32 v[40:41], s[14:15], v4, v14, 0
	v_add3_u32 v41, v41, v5, v1
	;; [unrolled: 6-line block ×19, first 2 shown]
	;;#ASMSTART
	;;#ASMEND
.LBB50_193:
	s_or_b64 exec, exec, s[42:43]
	s_and_saveexec_b64 s[2:3], vcc
	s_cbranch_execz .LBB50_195
; %bb.194:
	v_mov_b32_e32 v1, 0
	ds_read_b64 v[4:5], v1
	ds_read_u8 v6, v1 offset:8
	v_mov_b32_e32 v7, 2
	s_waitcnt lgkmcnt(1)
	global_store_dwordx2 v1, v[4:5], s[50:51] offset:1024
	s_waitcnt lgkmcnt(0)
	global_store_byte v1, v6, s[50:51] offset:1032
	s_waitcnt vmcnt(0)
	buffer_wbinvl1_vol
	global_store_byte v1, v7, s[52:53] offset:64
.LBB50_195:
	s_or_b64 exec, exec, s[2:3]
	v_pk_mov_b32 v[102:103], v[2:3], v[2:3] op_sel:[0,1]
.LBB50_196:
	s_add_u32 s2, s46, s64
	s_addc_u32 s3, s47, s65
	s_add_u32 s4, s2, s60
	s_addc_u32 s5, s3, s61
	s_and_b64 vcc, exec, s[0:1]
	s_cbranch_vccz .LBB50_234
; %bb.197:
	s_movk_i32 s0, 0x98
	v_mul_i32_i24_e32 v43, 0xffffff70, v0
	v_mul_u32_u24_e32 v42, 0x98, v0
	v_mad_u32_u24 v2, v0, s0, v43
	s_waitcnt lgkmcnt(0)
	; wave barrier
	ds_write2_b64 v42, v[102:103], v[40:41] offset1:1
	ds_write2_b64 v42, v[72:73], v[44:45] offset0:2 offset1:3
	ds_write2_b64 v42, v[76:77], v[48:49] offset0:4 offset1:5
	ds_write2_b64 v42, v[80:81], v[52:53] offset0:6 offset1:7
	ds_write2_b64 v42, v[84:85], v[56:57] offset0:8 offset1:9
	ds_write2_b64 v42, v[88:89], v[60:61] offset0:10 offset1:11
	ds_write2_b64 v42, v[92:93], v[64:65] offset0:12 offset1:13
	ds_write2_b64 v42, v[96:97], v[68:69] offset0:14 offset1:15
	ds_write2_b64 v42, v[100:101], v[106:107] offset0:16 offset1:17
	ds_write_b64 v42, v[108:109] offset:144
	s_waitcnt lgkmcnt(0)
	; wave barrier
	s_waitcnt lgkmcnt(0)
	ds_read2st64_b64 v[34:37], v2 offset0:1 offset1:2
	ds_read2st64_b64 v[30:33], v2 offset0:3 offset1:4
	;; [unrolled: 1-line block ×9, first 2 shown]
	v_mov_b32_e32 v39, s5
	v_add_co_u32_e32 v38, vcc, s4, v127
	s_add_i32 s33, s33, s54
	v_addc_co_u32_e32 v39, vcc, 0, v39, vcc
	v_mov_b32_e32 v1, 0
	v_cmp_gt_u32_e32 vcc, s33, v0
	s_and_saveexec_b64 s[0:1], vcc
	s_cbranch_execz .LBB50_199
; %bb.198:
	v_add_u32_e32 v42, v42, v43
	ds_read_b64 v[42:43], v42
	s_waitcnt lgkmcnt(0)
	flat_store_dwordx2 v[38:39], v[42:43]
.LBB50_199:
	s_or_b64 exec, exec, s[0:1]
	v_or_b32_e32 v42, 64, v0
	v_cmp_gt_u32_e32 vcc, s33, v42
	s_and_saveexec_b64 s[0:1], vcc
	s_cbranch_execz .LBB50_201
; %bb.200:
	s_waitcnt lgkmcnt(0)
	flat_store_dwordx2 v[38:39], v[34:35] offset:512
.LBB50_201:
	s_or_b64 exec, exec, s[0:1]
	s_waitcnt lgkmcnt(0)
	v_or_b32_e32 v34, 0x80, v0
	v_cmp_gt_u32_e32 vcc, s33, v34
	s_and_saveexec_b64 s[0:1], vcc
	s_cbranch_execz .LBB50_203
; %bb.202:
	flat_store_dwordx2 v[38:39], v[36:37] offset:1024
.LBB50_203:
	s_or_b64 exec, exec, s[0:1]
	v_or_b32_e32 v34, 0xc0, v0
	v_cmp_gt_u32_e32 vcc, s33, v34
	s_and_saveexec_b64 s[0:1], vcc
	s_cbranch_execz .LBB50_205
; %bb.204:
	flat_store_dwordx2 v[38:39], v[30:31] offset:1536
.LBB50_205:
	s_or_b64 exec, exec, s[0:1]
	;; [unrolled: 8-line block ×6, first 2 shown]
	v_or_b32_e32 v22, 0x200, v0
	v_cmp_gt_u32_e32 vcc, s33, v22
	s_and_saveexec_b64 s[0:1], vcc
	s_cbranch_execz .LBB50_215
; %bb.214:
	v_add_co_u32_e32 v22, vcc, 0x1000, v38
	v_addc_co_u32_e32 v23, vcc, 0, v39, vcc
	flat_store_dwordx2 v[22:23], v[24:25]
.LBB50_215:
	s_or_b64 exec, exec, s[0:1]
	v_or_b32_e32 v22, 0x240, v0
	v_cmp_gt_u32_e32 vcc, s33, v22
	s_and_saveexec_b64 s[0:1], vcc
	s_cbranch_execz .LBB50_217
; %bb.216:
	v_add_co_u32_e32 v22, vcc, 0x1000, v38
	v_addc_co_u32_e32 v23, vcc, 0, v39, vcc
	flat_store_dwordx2 v[22:23], v[18:19] offset:512
.LBB50_217:
	s_or_b64 exec, exec, s[0:1]
	v_or_b32_e32 v18, 0x280, v0
	v_cmp_gt_u32_e32 vcc, s33, v18
	s_and_saveexec_b64 s[0:1], vcc
	s_cbranch_execz .LBB50_219
; %bb.218:
	v_add_co_u32_e32 v18, vcc, 0x1000, v38
	v_addc_co_u32_e32 v19, vcc, 0, v39, vcc
	flat_store_dwordx2 v[18:19], v[20:21] offset:1024
.LBB50_219:
	;; [unrolled: 10-line block ×7, first 2 shown]
	s_or_b64 exec, exec, s[0:1]
	v_or_b32_e32 v6, 0x400, v0
	v_cmp_gt_u32_e32 vcc, s33, v6
	s_and_saveexec_b64 s[0:1], vcc
	s_cbranch_execz .LBB50_231
; %bb.230:
	v_add_co_u32_e32 v6, vcc, 0x2000, v38
	v_addc_co_u32_e32 v7, vcc, 0, v39, vcc
	flat_store_dwordx2 v[6:7], v[8:9]
.LBB50_231:
	s_or_b64 exec, exec, s[0:1]
	v_or_b32_e32 v6, 0x440, v0
	v_cmp_gt_u32_e32 vcc, s33, v6
	s_and_saveexec_b64 s[0:1], vcc
	s_cbranch_execz .LBB50_233
; %bb.232:
	v_add_co_u32_e32 v6, vcc, 0x2000, v38
	v_addc_co_u32_e32 v7, vcc, 0, v39, vcc
	flat_store_dwordx2 v[6:7], v[2:3] offset:512
.LBB50_233:
	s_or_b64 exec, exec, s[0:1]
	v_or_b32_e32 v2, 0x480, v0
	v_cmp_gt_u32_e64 s[0:1], s33, v2
	s_branch .LBB50_236
.LBB50_234:
	s_mov_b64 s[0:1], 0
                                        ; implicit-def: $vgpr4_vgpr5
	s_cbranch_execz .LBB50_236
; %bb.235:
	s_movk_i32 s2, 0x98
	v_mul_i32_i24_e32 v2, 0xffffff70, v0
	v_mul_u32_u24_e32 v1, 0x98, v0
	v_mad_u32_u24 v2, v0, s2, v2
	s_waitcnt lgkmcnt(0)
	; wave barrier
	s_waitcnt lgkmcnt(0)
	ds_write2_b64 v1, v[102:103], v[40:41] offset1:1
	ds_write2_b64 v1, v[72:73], v[44:45] offset0:2 offset1:3
	ds_write2_b64 v1, v[76:77], v[48:49] offset0:4 offset1:5
	;; [unrolled: 1-line block ×8, first 2 shown]
	ds_write_b64 v1, v[108:109] offset:144
	s_waitcnt lgkmcnt(0)
	; wave barrier
	s_waitcnt lgkmcnt(0)
	ds_read2st64_b64 v[6:9], v2 offset1:1
	ds_read2st64_b64 v[10:13], v2 offset0:2 offset1:3
	ds_read2st64_b64 v[14:17], v2 offset0:4 offset1:5
	;; [unrolled: 1-line block ×8, first 2 shown]
	ds_read_b64 v[4:5], v2 offset:9216
	v_mov_b32_e32 v3, s5
	v_add_co_u32_e32 v2, vcc, s4, v127
	v_addc_co_u32_e32 v3, vcc, 0, v3, vcc
	s_movk_i32 s2, 0x1000
	s_waitcnt lgkmcnt(0)
	flat_store_dwordx2 v[2:3], v[6:7]
	flat_store_dwordx2 v[2:3], v[8:9] offset:512
	flat_store_dwordx2 v[2:3], v[10:11] offset:1024
	;; [unrolled: 1-line block ×7, first 2 shown]
	v_add_co_u32_e32 v6, vcc, s2, v2
	v_addc_co_u32_e32 v7, vcc, 0, v3, vcc
	v_add_co_u32_e32 v2, vcc, 0x2000, v2
	v_mov_b32_e32 v1, 0
	v_addc_co_u32_e32 v3, vcc, 0, v3, vcc
	s_or_b64 s[0:1], s[0:1], exec
	flat_store_dwordx2 v[6:7], v[22:23]
	flat_store_dwordx2 v[6:7], v[24:25] offset:512
	flat_store_dwordx2 v[6:7], v[26:27] offset:1024
	flat_store_dwordx2 v[6:7], v[28:29] offset:1536
	flat_store_dwordx2 v[6:7], v[30:31] offset:2048
	flat_store_dwordx2 v[6:7], v[32:33] offset:2560
	flat_store_dwordx2 v[6:7], v[34:35] offset:3072
	flat_store_dwordx2 v[6:7], v[36:37] offset:3584
	flat_store_dwordx2 v[2:3], v[38:39]
	flat_store_dwordx2 v[2:3], v[40:41] offset:512
.LBB50_236:
	s_and_saveexec_b64 s[2:3], s[0:1]
	s_cbranch_execnz .LBB50_238
; %bb.237:
	s_endpgm
.LBB50_238:
	v_lshlrev_b64 v[0:1], 3, v[0:1]
	v_mov_b32_e32 v2, s5
	v_add_co_u32_e32 v0, vcc, s4, v0
	v_addc_co_u32_e32 v1, vcc, v2, v1, vcc
	v_add_co_u32_e32 v0, vcc, 0x2000, v0
	v_addc_co_u32_e32 v1, vcc, 0, v1, vcc
	flat_store_dwordx2 v[0:1], v[4:5] offset:1024
	s_endpgm
.LBB50_239:
	v_mov_b32_e32 v3, s55
	v_add_co_u32_e32 v2, vcc, s7, v50
	v_addc_co_u32_e32 v3, vcc, 0, v3, vcc
	flat_load_dwordx2 v[2:3], v[2:3]
	s_or_b64 exec, exec, s[56:57]
                                        ; implicit-def: $vgpr6_vgpr7
	s_and_saveexec_b64 s[2:3], s[4:5]
	s_cbranch_execz .LBB50_47
.LBB50_240:
	v_mov_b32_e32 v7, s55
	v_add_co_u32_e32 v6, vcc, s7, v50
	v_addc_co_u32_e32 v7, vcc, 0, v7, vcc
	flat_load_dwordx2 v[6:7], v[6:7] offset:512
	s_or_b64 exec, exec, s[2:3]
                                        ; implicit-def: $vgpr10_vgpr11
	s_and_saveexec_b64 s[2:3], s[42:43]
	s_cbranch_execz .LBB50_48
.LBB50_241:
	v_mov_b32_e32 v11, s55
	v_add_co_u32_e32 v10, vcc, s7, v50
	v_addc_co_u32_e32 v11, vcc, 0, v11, vcc
	flat_load_dwordx2 v[10:11], v[10:11] offset:1024
	s_or_b64 exec, exec, s[2:3]
                                        ; implicit-def: $vgpr12_vgpr13
	s_and_saveexec_b64 s[2:3], s[8:9]
	s_cbranch_execz .LBB50_49
.LBB50_242:
	v_mov_b32_e32 v13, s55
	v_add_co_u32_e32 v12, vcc, s7, v50
	v_addc_co_u32_e32 v13, vcc, 0, v13, vcc
	flat_load_dwordx2 v[12:13], v[12:13] offset:1536
	s_or_b64 exec, exec, s[2:3]
                                        ; implicit-def: $vgpr14_vgpr15
	s_and_saveexec_b64 s[2:3], s[10:11]
	s_cbranch_execz .LBB50_50
.LBB50_243:
	v_mov_b32_e32 v15, s55
	v_add_co_u32_e32 v14, vcc, s7, v50
	v_addc_co_u32_e32 v15, vcc, 0, v15, vcc
	flat_load_dwordx2 v[14:15], v[14:15] offset:2048
	s_or_b64 exec, exec, s[2:3]
                                        ; implicit-def: $vgpr16_vgpr17
	s_and_saveexec_b64 s[2:3], s[12:13]
	s_cbranch_execz .LBB50_51
.LBB50_244:
	v_mov_b32_e32 v17, s55
	v_add_co_u32_e32 v16, vcc, s7, v50
	v_addc_co_u32_e32 v17, vcc, 0, v17, vcc
	flat_load_dwordx2 v[16:17], v[16:17] offset:2560
	s_or_b64 exec, exec, s[2:3]
                                        ; implicit-def: $vgpr18_vgpr19
	s_and_saveexec_b64 s[2:3], s[14:15]
	s_cbranch_execz .LBB50_52
.LBB50_245:
	v_mov_b32_e32 v19, s55
	v_add_co_u32_e32 v18, vcc, s7, v50
	v_addc_co_u32_e32 v19, vcc, 0, v19, vcc
	flat_load_dwordx2 v[18:19], v[18:19] offset:3072
	s_or_b64 exec, exec, s[2:3]
                                        ; implicit-def: $vgpr20_vgpr21
	s_and_saveexec_b64 s[2:3], s[16:17]
	s_cbranch_execz .LBB50_53
.LBB50_246:
	v_mov_b32_e32 v21, s55
	v_add_co_u32_e32 v20, vcc, s7, v50
	v_addc_co_u32_e32 v21, vcc, 0, v21, vcc
	flat_load_dwordx2 v[20:21], v[20:21] offset:3584
	s_or_b64 exec, exec, s[2:3]
                                        ; implicit-def: $vgpr22_vgpr23
	s_and_saveexec_b64 s[2:3], s[18:19]
	s_cbranch_execz .LBB50_54
.LBB50_247:
	v_mov_b32_e32 v23, s55
	v_add_co_u32_e32 v22, vcc, s7, v1
	v_addc_co_u32_e32 v23, vcc, 0, v23, vcc
	flat_load_dwordx2 v[22:23], v[22:23]
	s_or_b64 exec, exec, s[2:3]
                                        ; implicit-def: $vgpr24_vgpr25
	s_and_saveexec_b64 s[2:3], s[20:21]
	s_cbranch_execz .LBB50_55
.LBB50_248:
	v_mov_b32_e32 v1, s55
	v_add_co_u32_e32 v24, vcc, s7, v40
	v_addc_co_u32_e32 v25, vcc, 0, v1, vcc
	flat_load_dwordx2 v[24:25], v[24:25]
	s_or_b64 exec, exec, s[2:3]
                                        ; implicit-def: $vgpr26_vgpr27
	s_and_saveexec_b64 s[2:3], s[22:23]
	s_cbranch_execz .LBB50_56
.LBB50_249:
	v_mov_b32_e32 v1, s55
	v_add_co_u32_e32 v26, vcc, s7, v41
	v_addc_co_u32_e32 v27, vcc, 0, v1, vcc
	flat_load_dwordx2 v[26:27], v[26:27]
	s_or_b64 exec, exec, s[2:3]
                                        ; implicit-def: $vgpr28_vgpr29
	s_and_saveexec_b64 s[2:3], s[24:25]
	s_cbranch_execz .LBB50_57
.LBB50_250:
	v_mov_b32_e32 v1, s55
	v_add_co_u32_e32 v28, vcc, s7, v42
	v_addc_co_u32_e32 v29, vcc, 0, v1, vcc
	flat_load_dwordx2 v[28:29], v[28:29]
	s_or_b64 exec, exec, s[2:3]
                                        ; implicit-def: $vgpr30_vgpr31
	s_and_saveexec_b64 s[2:3], s[26:27]
	s_cbranch_execz .LBB50_58
.LBB50_251:
	v_mov_b32_e32 v1, s55
	v_add_co_u32_e32 v30, vcc, s7, v43
	v_addc_co_u32_e32 v31, vcc, 0, v1, vcc
	flat_load_dwordx2 v[30:31], v[30:31]
	s_or_b64 exec, exec, s[2:3]
                                        ; implicit-def: $vgpr32_vgpr33
	s_and_saveexec_b64 s[2:3], s[28:29]
	s_cbranch_execz .LBB50_59
.LBB50_252:
	v_mov_b32_e32 v1, s55
	v_add_co_u32_e32 v32, vcc, s7, v44
	v_addc_co_u32_e32 v33, vcc, 0, v1, vcc
	flat_load_dwordx2 v[32:33], v[32:33]
	s_or_b64 exec, exec, s[2:3]
                                        ; implicit-def: $vgpr34_vgpr35
	s_and_saveexec_b64 s[2:3], s[30:31]
	s_cbranch_execz .LBB50_60
.LBB50_253:
	v_mov_b32_e32 v1, s55
	v_add_co_u32_e32 v34, vcc, s7, v45
	v_addc_co_u32_e32 v35, vcc, 0, v1, vcc
	flat_load_dwordx2 v[34:35], v[34:35]
	s_or_b64 exec, exec, s[2:3]
                                        ; implicit-def: $vgpr36_vgpr37
	s_and_saveexec_b64 s[2:3], s[34:35]
	s_cbranch_execz .LBB50_61
.LBB50_254:
	v_mov_b32_e32 v1, s55
	v_add_co_u32_e32 v36, vcc, s7, v46
	v_addc_co_u32_e32 v37, vcc, 0, v1, vcc
	flat_load_dwordx2 v[36:37], v[36:37]
	s_or_b64 exec, exec, s[2:3]
                                        ; implicit-def: $vgpr38_vgpr39
	s_and_saveexec_b64 s[2:3], s[36:37]
	s_cbranch_execz .LBB50_62
.LBB50_255:
	v_mov_b32_e32 v1, s55
	v_add_co_u32_e32 v38, vcc, s7, v47
	v_addc_co_u32_e32 v39, vcc, 0, v1, vcc
	flat_load_dwordx2 v[38:39], v[38:39]
	s_or_b64 exec, exec, s[2:3]
                                        ; implicit-def: $vgpr40_vgpr41
	s_and_saveexec_b64 s[2:3], s[38:39]
	s_cbranch_execz .LBB50_63
.LBB50_256:
	v_mov_b32_e32 v1, s55
	v_add_co_u32_e32 v40, vcc, s7, v49
	v_addc_co_u32_e32 v41, vcc, 0, v1, vcc
	flat_load_dwordx2 v[40:41], v[40:41]
	s_or_b64 exec, exec, s[2:3]
                                        ; implicit-def: $vgpr42_vgpr43
	s_and_saveexec_b64 s[2:3], s[40:41]
	s_cbranch_execnz .LBB50_64
	s_branch .LBB50_65
.LBB50_257:
                                        ; implicit-def: $sgpr56_sgpr57
	s_branch .LBB50_42
.LBB50_258:
                                        ; implicit-def: $sgpr2_sgpr3
	s_branch .LBB50_106
	.section	.rodata,"a",@progbits
	.p2align	6, 0x0
	.amdhsa_kernel _ZN7rocprim17ROCPRIM_400000_NS6detail17trampoline_kernelINS0_14default_configENS1_27scan_by_key_config_selectorIxxEEZZNS1_16scan_by_key_implILNS1_25lookback_scan_determinismE0ELb0ES3_N6thrust23THRUST_200600_302600_NS6detail15normal_iteratorINS9_10device_ptrIxEEEESE_SE_xNS9_10multipliesIxEENS9_8equal_toIxEExEE10hipError_tPvRmT2_T3_T4_T5_mT6_T7_P12ihipStream_tbENKUlT_T0_E_clISt17integral_constantIbLb0EESZ_EEDaSU_SV_EUlSU_E_NS1_11comp_targetILNS1_3genE4ELNS1_11target_archE910ELNS1_3gpuE8ELNS1_3repE0EEENS1_30default_config_static_selectorELNS0_4arch9wavefront6targetE1EEEvT1_
		.amdhsa_group_segment_fixed_size 10752
		.amdhsa_private_segment_fixed_size 0
		.amdhsa_kernarg_size 136
		.amdhsa_user_sgpr_count 6
		.amdhsa_user_sgpr_private_segment_buffer 1
		.amdhsa_user_sgpr_dispatch_ptr 0
		.amdhsa_user_sgpr_queue_ptr 0
		.amdhsa_user_sgpr_kernarg_segment_ptr 1
		.amdhsa_user_sgpr_dispatch_id 0
		.amdhsa_user_sgpr_flat_scratch_init 0
		.amdhsa_user_sgpr_kernarg_preload_length 0
		.amdhsa_user_sgpr_kernarg_preload_offset 0
		.amdhsa_user_sgpr_private_segment_size 0
		.amdhsa_uses_dynamic_stack 0
		.amdhsa_system_sgpr_private_segment_wavefront_offset 0
		.amdhsa_system_sgpr_workgroup_id_x 1
		.amdhsa_system_sgpr_workgroup_id_y 0
		.amdhsa_system_sgpr_workgroup_id_z 0
		.amdhsa_system_sgpr_workgroup_info 0
		.amdhsa_system_vgpr_workitem_id 0
		.amdhsa_next_free_vgpr 128
		.amdhsa_next_free_sgpr 78
		.amdhsa_accum_offset 128
		.amdhsa_reserve_vcc 1
		.amdhsa_reserve_flat_scratch 0
		.amdhsa_float_round_mode_32 0
		.amdhsa_float_round_mode_16_64 0
		.amdhsa_float_denorm_mode_32 3
		.amdhsa_float_denorm_mode_16_64 3
		.amdhsa_dx10_clamp 1
		.amdhsa_ieee_mode 1
		.amdhsa_fp16_overflow 0
		.amdhsa_tg_split 0
		.amdhsa_exception_fp_ieee_invalid_op 0
		.amdhsa_exception_fp_denorm_src 0
		.amdhsa_exception_fp_ieee_div_zero 0
		.amdhsa_exception_fp_ieee_overflow 0
		.amdhsa_exception_fp_ieee_underflow 0
		.amdhsa_exception_fp_ieee_inexact 0
		.amdhsa_exception_int_div_zero 0
	.end_amdhsa_kernel
	.section	.text._ZN7rocprim17ROCPRIM_400000_NS6detail17trampoline_kernelINS0_14default_configENS1_27scan_by_key_config_selectorIxxEEZZNS1_16scan_by_key_implILNS1_25lookback_scan_determinismE0ELb0ES3_N6thrust23THRUST_200600_302600_NS6detail15normal_iteratorINS9_10device_ptrIxEEEESE_SE_xNS9_10multipliesIxEENS9_8equal_toIxEExEE10hipError_tPvRmT2_T3_T4_T5_mT6_T7_P12ihipStream_tbENKUlT_T0_E_clISt17integral_constantIbLb0EESZ_EEDaSU_SV_EUlSU_E_NS1_11comp_targetILNS1_3genE4ELNS1_11target_archE910ELNS1_3gpuE8ELNS1_3repE0EEENS1_30default_config_static_selectorELNS0_4arch9wavefront6targetE1EEEvT1_,"axG",@progbits,_ZN7rocprim17ROCPRIM_400000_NS6detail17trampoline_kernelINS0_14default_configENS1_27scan_by_key_config_selectorIxxEEZZNS1_16scan_by_key_implILNS1_25lookback_scan_determinismE0ELb0ES3_N6thrust23THRUST_200600_302600_NS6detail15normal_iteratorINS9_10device_ptrIxEEEESE_SE_xNS9_10multipliesIxEENS9_8equal_toIxEExEE10hipError_tPvRmT2_T3_T4_T5_mT6_T7_P12ihipStream_tbENKUlT_T0_E_clISt17integral_constantIbLb0EESZ_EEDaSU_SV_EUlSU_E_NS1_11comp_targetILNS1_3genE4ELNS1_11target_archE910ELNS1_3gpuE8ELNS1_3repE0EEENS1_30default_config_static_selectorELNS0_4arch9wavefront6targetE1EEEvT1_,comdat
.Lfunc_end50:
	.size	_ZN7rocprim17ROCPRIM_400000_NS6detail17trampoline_kernelINS0_14default_configENS1_27scan_by_key_config_selectorIxxEEZZNS1_16scan_by_key_implILNS1_25lookback_scan_determinismE0ELb0ES3_N6thrust23THRUST_200600_302600_NS6detail15normal_iteratorINS9_10device_ptrIxEEEESE_SE_xNS9_10multipliesIxEENS9_8equal_toIxEExEE10hipError_tPvRmT2_T3_T4_T5_mT6_T7_P12ihipStream_tbENKUlT_T0_E_clISt17integral_constantIbLb0EESZ_EEDaSU_SV_EUlSU_E_NS1_11comp_targetILNS1_3genE4ELNS1_11target_archE910ELNS1_3gpuE8ELNS1_3repE0EEENS1_30default_config_static_selectorELNS0_4arch9wavefront6targetE1EEEvT1_, .Lfunc_end50-_ZN7rocprim17ROCPRIM_400000_NS6detail17trampoline_kernelINS0_14default_configENS1_27scan_by_key_config_selectorIxxEEZZNS1_16scan_by_key_implILNS1_25lookback_scan_determinismE0ELb0ES3_N6thrust23THRUST_200600_302600_NS6detail15normal_iteratorINS9_10device_ptrIxEEEESE_SE_xNS9_10multipliesIxEENS9_8equal_toIxEExEE10hipError_tPvRmT2_T3_T4_T5_mT6_T7_P12ihipStream_tbENKUlT_T0_E_clISt17integral_constantIbLb0EESZ_EEDaSU_SV_EUlSU_E_NS1_11comp_targetILNS1_3genE4ELNS1_11target_archE910ELNS1_3gpuE8ELNS1_3repE0EEENS1_30default_config_static_selectorELNS0_4arch9wavefront6targetE1EEEvT1_
                                        ; -- End function
	.section	.AMDGPU.csdata,"",@progbits
; Kernel info:
; codeLenInByte = 17196
; NumSgprs: 82
; NumVgprs: 128
; NumAgprs: 0
; TotalNumVgprs: 128
; ScratchSize: 0
; MemoryBound: 0
; FloatMode: 240
; IeeeMode: 1
; LDSByteSize: 10752 bytes/workgroup (compile time only)
; SGPRBlocks: 10
; VGPRBlocks: 15
; NumSGPRsForWavesPerEU: 82
; NumVGPRsForWavesPerEU: 128
; AccumOffset: 128
; Occupancy: 2
; WaveLimiterHint : 1
; COMPUTE_PGM_RSRC2:SCRATCH_EN: 0
; COMPUTE_PGM_RSRC2:USER_SGPR: 6
; COMPUTE_PGM_RSRC2:TRAP_HANDLER: 0
; COMPUTE_PGM_RSRC2:TGID_X_EN: 1
; COMPUTE_PGM_RSRC2:TGID_Y_EN: 0
; COMPUTE_PGM_RSRC2:TGID_Z_EN: 0
; COMPUTE_PGM_RSRC2:TIDIG_COMP_CNT: 0
; COMPUTE_PGM_RSRC3_GFX90A:ACCUM_OFFSET: 31
; COMPUTE_PGM_RSRC3_GFX90A:TG_SPLIT: 0
	.section	.text._ZN7rocprim17ROCPRIM_400000_NS6detail17trampoline_kernelINS0_14default_configENS1_27scan_by_key_config_selectorIxxEEZZNS1_16scan_by_key_implILNS1_25lookback_scan_determinismE0ELb0ES3_N6thrust23THRUST_200600_302600_NS6detail15normal_iteratorINS9_10device_ptrIxEEEESE_SE_xNS9_10multipliesIxEENS9_8equal_toIxEExEE10hipError_tPvRmT2_T3_T4_T5_mT6_T7_P12ihipStream_tbENKUlT_T0_E_clISt17integral_constantIbLb0EESZ_EEDaSU_SV_EUlSU_E_NS1_11comp_targetILNS1_3genE3ELNS1_11target_archE908ELNS1_3gpuE7ELNS1_3repE0EEENS1_30default_config_static_selectorELNS0_4arch9wavefront6targetE1EEEvT1_,"axG",@progbits,_ZN7rocprim17ROCPRIM_400000_NS6detail17trampoline_kernelINS0_14default_configENS1_27scan_by_key_config_selectorIxxEEZZNS1_16scan_by_key_implILNS1_25lookback_scan_determinismE0ELb0ES3_N6thrust23THRUST_200600_302600_NS6detail15normal_iteratorINS9_10device_ptrIxEEEESE_SE_xNS9_10multipliesIxEENS9_8equal_toIxEExEE10hipError_tPvRmT2_T3_T4_T5_mT6_T7_P12ihipStream_tbENKUlT_T0_E_clISt17integral_constantIbLb0EESZ_EEDaSU_SV_EUlSU_E_NS1_11comp_targetILNS1_3genE3ELNS1_11target_archE908ELNS1_3gpuE7ELNS1_3repE0EEENS1_30default_config_static_selectorELNS0_4arch9wavefront6targetE1EEEvT1_,comdat
	.protected	_ZN7rocprim17ROCPRIM_400000_NS6detail17trampoline_kernelINS0_14default_configENS1_27scan_by_key_config_selectorIxxEEZZNS1_16scan_by_key_implILNS1_25lookback_scan_determinismE0ELb0ES3_N6thrust23THRUST_200600_302600_NS6detail15normal_iteratorINS9_10device_ptrIxEEEESE_SE_xNS9_10multipliesIxEENS9_8equal_toIxEExEE10hipError_tPvRmT2_T3_T4_T5_mT6_T7_P12ihipStream_tbENKUlT_T0_E_clISt17integral_constantIbLb0EESZ_EEDaSU_SV_EUlSU_E_NS1_11comp_targetILNS1_3genE3ELNS1_11target_archE908ELNS1_3gpuE7ELNS1_3repE0EEENS1_30default_config_static_selectorELNS0_4arch9wavefront6targetE1EEEvT1_ ; -- Begin function _ZN7rocprim17ROCPRIM_400000_NS6detail17trampoline_kernelINS0_14default_configENS1_27scan_by_key_config_selectorIxxEEZZNS1_16scan_by_key_implILNS1_25lookback_scan_determinismE0ELb0ES3_N6thrust23THRUST_200600_302600_NS6detail15normal_iteratorINS9_10device_ptrIxEEEESE_SE_xNS9_10multipliesIxEENS9_8equal_toIxEExEE10hipError_tPvRmT2_T3_T4_T5_mT6_T7_P12ihipStream_tbENKUlT_T0_E_clISt17integral_constantIbLb0EESZ_EEDaSU_SV_EUlSU_E_NS1_11comp_targetILNS1_3genE3ELNS1_11target_archE908ELNS1_3gpuE7ELNS1_3repE0EEENS1_30default_config_static_selectorELNS0_4arch9wavefront6targetE1EEEvT1_
	.globl	_ZN7rocprim17ROCPRIM_400000_NS6detail17trampoline_kernelINS0_14default_configENS1_27scan_by_key_config_selectorIxxEEZZNS1_16scan_by_key_implILNS1_25lookback_scan_determinismE0ELb0ES3_N6thrust23THRUST_200600_302600_NS6detail15normal_iteratorINS9_10device_ptrIxEEEESE_SE_xNS9_10multipliesIxEENS9_8equal_toIxEExEE10hipError_tPvRmT2_T3_T4_T5_mT6_T7_P12ihipStream_tbENKUlT_T0_E_clISt17integral_constantIbLb0EESZ_EEDaSU_SV_EUlSU_E_NS1_11comp_targetILNS1_3genE3ELNS1_11target_archE908ELNS1_3gpuE7ELNS1_3repE0EEENS1_30default_config_static_selectorELNS0_4arch9wavefront6targetE1EEEvT1_
	.p2align	8
	.type	_ZN7rocprim17ROCPRIM_400000_NS6detail17trampoline_kernelINS0_14default_configENS1_27scan_by_key_config_selectorIxxEEZZNS1_16scan_by_key_implILNS1_25lookback_scan_determinismE0ELb0ES3_N6thrust23THRUST_200600_302600_NS6detail15normal_iteratorINS9_10device_ptrIxEEEESE_SE_xNS9_10multipliesIxEENS9_8equal_toIxEExEE10hipError_tPvRmT2_T3_T4_T5_mT6_T7_P12ihipStream_tbENKUlT_T0_E_clISt17integral_constantIbLb0EESZ_EEDaSU_SV_EUlSU_E_NS1_11comp_targetILNS1_3genE3ELNS1_11target_archE908ELNS1_3gpuE7ELNS1_3repE0EEENS1_30default_config_static_selectorELNS0_4arch9wavefront6targetE1EEEvT1_,@function
_ZN7rocprim17ROCPRIM_400000_NS6detail17trampoline_kernelINS0_14default_configENS1_27scan_by_key_config_selectorIxxEEZZNS1_16scan_by_key_implILNS1_25lookback_scan_determinismE0ELb0ES3_N6thrust23THRUST_200600_302600_NS6detail15normal_iteratorINS9_10device_ptrIxEEEESE_SE_xNS9_10multipliesIxEENS9_8equal_toIxEExEE10hipError_tPvRmT2_T3_T4_T5_mT6_T7_P12ihipStream_tbENKUlT_T0_E_clISt17integral_constantIbLb0EESZ_EEDaSU_SV_EUlSU_E_NS1_11comp_targetILNS1_3genE3ELNS1_11target_archE908ELNS1_3gpuE7ELNS1_3repE0EEENS1_30default_config_static_selectorELNS0_4arch9wavefront6targetE1EEEvT1_: ; @_ZN7rocprim17ROCPRIM_400000_NS6detail17trampoline_kernelINS0_14default_configENS1_27scan_by_key_config_selectorIxxEEZZNS1_16scan_by_key_implILNS1_25lookback_scan_determinismE0ELb0ES3_N6thrust23THRUST_200600_302600_NS6detail15normal_iteratorINS9_10device_ptrIxEEEESE_SE_xNS9_10multipliesIxEENS9_8equal_toIxEExEE10hipError_tPvRmT2_T3_T4_T5_mT6_T7_P12ihipStream_tbENKUlT_T0_E_clISt17integral_constantIbLb0EESZ_EEDaSU_SV_EUlSU_E_NS1_11comp_targetILNS1_3genE3ELNS1_11target_archE908ELNS1_3gpuE7ELNS1_3repE0EEENS1_30default_config_static_selectorELNS0_4arch9wavefront6targetE1EEEvT1_
; %bb.0:
	.section	.rodata,"a",@progbits
	.p2align	6, 0x0
	.amdhsa_kernel _ZN7rocprim17ROCPRIM_400000_NS6detail17trampoline_kernelINS0_14default_configENS1_27scan_by_key_config_selectorIxxEEZZNS1_16scan_by_key_implILNS1_25lookback_scan_determinismE0ELb0ES3_N6thrust23THRUST_200600_302600_NS6detail15normal_iteratorINS9_10device_ptrIxEEEESE_SE_xNS9_10multipliesIxEENS9_8equal_toIxEExEE10hipError_tPvRmT2_T3_T4_T5_mT6_T7_P12ihipStream_tbENKUlT_T0_E_clISt17integral_constantIbLb0EESZ_EEDaSU_SV_EUlSU_E_NS1_11comp_targetILNS1_3genE3ELNS1_11target_archE908ELNS1_3gpuE7ELNS1_3repE0EEENS1_30default_config_static_selectorELNS0_4arch9wavefront6targetE1EEEvT1_
		.amdhsa_group_segment_fixed_size 0
		.amdhsa_private_segment_fixed_size 0
		.amdhsa_kernarg_size 136
		.amdhsa_user_sgpr_count 6
		.amdhsa_user_sgpr_private_segment_buffer 1
		.amdhsa_user_sgpr_dispatch_ptr 0
		.amdhsa_user_sgpr_queue_ptr 0
		.amdhsa_user_sgpr_kernarg_segment_ptr 1
		.amdhsa_user_sgpr_dispatch_id 0
		.amdhsa_user_sgpr_flat_scratch_init 0
		.amdhsa_user_sgpr_kernarg_preload_length 0
		.amdhsa_user_sgpr_kernarg_preload_offset 0
		.amdhsa_user_sgpr_private_segment_size 0
		.amdhsa_uses_dynamic_stack 0
		.amdhsa_system_sgpr_private_segment_wavefront_offset 0
		.amdhsa_system_sgpr_workgroup_id_x 1
		.amdhsa_system_sgpr_workgroup_id_y 0
		.amdhsa_system_sgpr_workgroup_id_z 0
		.amdhsa_system_sgpr_workgroup_info 0
		.amdhsa_system_vgpr_workitem_id 0
		.amdhsa_next_free_vgpr 1
		.amdhsa_next_free_sgpr 0
		.amdhsa_accum_offset 4
		.amdhsa_reserve_vcc 0
		.amdhsa_reserve_flat_scratch 0
		.amdhsa_float_round_mode_32 0
		.amdhsa_float_round_mode_16_64 0
		.amdhsa_float_denorm_mode_32 3
		.amdhsa_float_denorm_mode_16_64 3
		.amdhsa_dx10_clamp 1
		.amdhsa_ieee_mode 1
		.amdhsa_fp16_overflow 0
		.amdhsa_tg_split 0
		.amdhsa_exception_fp_ieee_invalid_op 0
		.amdhsa_exception_fp_denorm_src 0
		.amdhsa_exception_fp_ieee_div_zero 0
		.amdhsa_exception_fp_ieee_overflow 0
		.amdhsa_exception_fp_ieee_underflow 0
		.amdhsa_exception_fp_ieee_inexact 0
		.amdhsa_exception_int_div_zero 0
	.end_amdhsa_kernel
	.section	.text._ZN7rocprim17ROCPRIM_400000_NS6detail17trampoline_kernelINS0_14default_configENS1_27scan_by_key_config_selectorIxxEEZZNS1_16scan_by_key_implILNS1_25lookback_scan_determinismE0ELb0ES3_N6thrust23THRUST_200600_302600_NS6detail15normal_iteratorINS9_10device_ptrIxEEEESE_SE_xNS9_10multipliesIxEENS9_8equal_toIxEExEE10hipError_tPvRmT2_T3_T4_T5_mT6_T7_P12ihipStream_tbENKUlT_T0_E_clISt17integral_constantIbLb0EESZ_EEDaSU_SV_EUlSU_E_NS1_11comp_targetILNS1_3genE3ELNS1_11target_archE908ELNS1_3gpuE7ELNS1_3repE0EEENS1_30default_config_static_selectorELNS0_4arch9wavefront6targetE1EEEvT1_,"axG",@progbits,_ZN7rocprim17ROCPRIM_400000_NS6detail17trampoline_kernelINS0_14default_configENS1_27scan_by_key_config_selectorIxxEEZZNS1_16scan_by_key_implILNS1_25lookback_scan_determinismE0ELb0ES3_N6thrust23THRUST_200600_302600_NS6detail15normal_iteratorINS9_10device_ptrIxEEEESE_SE_xNS9_10multipliesIxEENS9_8equal_toIxEExEE10hipError_tPvRmT2_T3_T4_T5_mT6_T7_P12ihipStream_tbENKUlT_T0_E_clISt17integral_constantIbLb0EESZ_EEDaSU_SV_EUlSU_E_NS1_11comp_targetILNS1_3genE3ELNS1_11target_archE908ELNS1_3gpuE7ELNS1_3repE0EEENS1_30default_config_static_selectorELNS0_4arch9wavefront6targetE1EEEvT1_,comdat
.Lfunc_end51:
	.size	_ZN7rocprim17ROCPRIM_400000_NS6detail17trampoline_kernelINS0_14default_configENS1_27scan_by_key_config_selectorIxxEEZZNS1_16scan_by_key_implILNS1_25lookback_scan_determinismE0ELb0ES3_N6thrust23THRUST_200600_302600_NS6detail15normal_iteratorINS9_10device_ptrIxEEEESE_SE_xNS9_10multipliesIxEENS9_8equal_toIxEExEE10hipError_tPvRmT2_T3_T4_T5_mT6_T7_P12ihipStream_tbENKUlT_T0_E_clISt17integral_constantIbLb0EESZ_EEDaSU_SV_EUlSU_E_NS1_11comp_targetILNS1_3genE3ELNS1_11target_archE908ELNS1_3gpuE7ELNS1_3repE0EEENS1_30default_config_static_selectorELNS0_4arch9wavefront6targetE1EEEvT1_, .Lfunc_end51-_ZN7rocprim17ROCPRIM_400000_NS6detail17trampoline_kernelINS0_14default_configENS1_27scan_by_key_config_selectorIxxEEZZNS1_16scan_by_key_implILNS1_25lookback_scan_determinismE0ELb0ES3_N6thrust23THRUST_200600_302600_NS6detail15normal_iteratorINS9_10device_ptrIxEEEESE_SE_xNS9_10multipliesIxEENS9_8equal_toIxEExEE10hipError_tPvRmT2_T3_T4_T5_mT6_T7_P12ihipStream_tbENKUlT_T0_E_clISt17integral_constantIbLb0EESZ_EEDaSU_SV_EUlSU_E_NS1_11comp_targetILNS1_3genE3ELNS1_11target_archE908ELNS1_3gpuE7ELNS1_3repE0EEENS1_30default_config_static_selectorELNS0_4arch9wavefront6targetE1EEEvT1_
                                        ; -- End function
	.section	.AMDGPU.csdata,"",@progbits
; Kernel info:
; codeLenInByte = 0
; NumSgprs: 4
; NumVgprs: 0
; NumAgprs: 0
; TotalNumVgprs: 0
; ScratchSize: 0
; MemoryBound: 0
; FloatMode: 240
; IeeeMode: 1
; LDSByteSize: 0 bytes/workgroup (compile time only)
; SGPRBlocks: 0
; VGPRBlocks: 0
; NumSGPRsForWavesPerEU: 4
; NumVGPRsForWavesPerEU: 1
; AccumOffset: 4
; Occupancy: 8
; WaveLimiterHint : 0
; COMPUTE_PGM_RSRC2:SCRATCH_EN: 0
; COMPUTE_PGM_RSRC2:USER_SGPR: 6
; COMPUTE_PGM_RSRC2:TRAP_HANDLER: 0
; COMPUTE_PGM_RSRC2:TGID_X_EN: 1
; COMPUTE_PGM_RSRC2:TGID_Y_EN: 0
; COMPUTE_PGM_RSRC2:TGID_Z_EN: 0
; COMPUTE_PGM_RSRC2:TIDIG_COMP_CNT: 0
; COMPUTE_PGM_RSRC3_GFX90A:ACCUM_OFFSET: 0
; COMPUTE_PGM_RSRC3_GFX90A:TG_SPLIT: 0
	.section	.text._ZN7rocprim17ROCPRIM_400000_NS6detail17trampoline_kernelINS0_14default_configENS1_27scan_by_key_config_selectorIxxEEZZNS1_16scan_by_key_implILNS1_25lookback_scan_determinismE0ELb0ES3_N6thrust23THRUST_200600_302600_NS6detail15normal_iteratorINS9_10device_ptrIxEEEESE_SE_xNS9_10multipliesIxEENS9_8equal_toIxEExEE10hipError_tPvRmT2_T3_T4_T5_mT6_T7_P12ihipStream_tbENKUlT_T0_E_clISt17integral_constantIbLb0EESZ_EEDaSU_SV_EUlSU_E_NS1_11comp_targetILNS1_3genE2ELNS1_11target_archE906ELNS1_3gpuE6ELNS1_3repE0EEENS1_30default_config_static_selectorELNS0_4arch9wavefront6targetE1EEEvT1_,"axG",@progbits,_ZN7rocprim17ROCPRIM_400000_NS6detail17trampoline_kernelINS0_14default_configENS1_27scan_by_key_config_selectorIxxEEZZNS1_16scan_by_key_implILNS1_25lookback_scan_determinismE0ELb0ES3_N6thrust23THRUST_200600_302600_NS6detail15normal_iteratorINS9_10device_ptrIxEEEESE_SE_xNS9_10multipliesIxEENS9_8equal_toIxEExEE10hipError_tPvRmT2_T3_T4_T5_mT6_T7_P12ihipStream_tbENKUlT_T0_E_clISt17integral_constantIbLb0EESZ_EEDaSU_SV_EUlSU_E_NS1_11comp_targetILNS1_3genE2ELNS1_11target_archE906ELNS1_3gpuE6ELNS1_3repE0EEENS1_30default_config_static_selectorELNS0_4arch9wavefront6targetE1EEEvT1_,comdat
	.protected	_ZN7rocprim17ROCPRIM_400000_NS6detail17trampoline_kernelINS0_14default_configENS1_27scan_by_key_config_selectorIxxEEZZNS1_16scan_by_key_implILNS1_25lookback_scan_determinismE0ELb0ES3_N6thrust23THRUST_200600_302600_NS6detail15normal_iteratorINS9_10device_ptrIxEEEESE_SE_xNS9_10multipliesIxEENS9_8equal_toIxEExEE10hipError_tPvRmT2_T3_T4_T5_mT6_T7_P12ihipStream_tbENKUlT_T0_E_clISt17integral_constantIbLb0EESZ_EEDaSU_SV_EUlSU_E_NS1_11comp_targetILNS1_3genE2ELNS1_11target_archE906ELNS1_3gpuE6ELNS1_3repE0EEENS1_30default_config_static_selectorELNS0_4arch9wavefront6targetE1EEEvT1_ ; -- Begin function _ZN7rocprim17ROCPRIM_400000_NS6detail17trampoline_kernelINS0_14default_configENS1_27scan_by_key_config_selectorIxxEEZZNS1_16scan_by_key_implILNS1_25lookback_scan_determinismE0ELb0ES3_N6thrust23THRUST_200600_302600_NS6detail15normal_iteratorINS9_10device_ptrIxEEEESE_SE_xNS9_10multipliesIxEENS9_8equal_toIxEExEE10hipError_tPvRmT2_T3_T4_T5_mT6_T7_P12ihipStream_tbENKUlT_T0_E_clISt17integral_constantIbLb0EESZ_EEDaSU_SV_EUlSU_E_NS1_11comp_targetILNS1_3genE2ELNS1_11target_archE906ELNS1_3gpuE6ELNS1_3repE0EEENS1_30default_config_static_selectorELNS0_4arch9wavefront6targetE1EEEvT1_
	.globl	_ZN7rocprim17ROCPRIM_400000_NS6detail17trampoline_kernelINS0_14default_configENS1_27scan_by_key_config_selectorIxxEEZZNS1_16scan_by_key_implILNS1_25lookback_scan_determinismE0ELb0ES3_N6thrust23THRUST_200600_302600_NS6detail15normal_iteratorINS9_10device_ptrIxEEEESE_SE_xNS9_10multipliesIxEENS9_8equal_toIxEExEE10hipError_tPvRmT2_T3_T4_T5_mT6_T7_P12ihipStream_tbENKUlT_T0_E_clISt17integral_constantIbLb0EESZ_EEDaSU_SV_EUlSU_E_NS1_11comp_targetILNS1_3genE2ELNS1_11target_archE906ELNS1_3gpuE6ELNS1_3repE0EEENS1_30default_config_static_selectorELNS0_4arch9wavefront6targetE1EEEvT1_
	.p2align	8
	.type	_ZN7rocprim17ROCPRIM_400000_NS6detail17trampoline_kernelINS0_14default_configENS1_27scan_by_key_config_selectorIxxEEZZNS1_16scan_by_key_implILNS1_25lookback_scan_determinismE0ELb0ES3_N6thrust23THRUST_200600_302600_NS6detail15normal_iteratorINS9_10device_ptrIxEEEESE_SE_xNS9_10multipliesIxEENS9_8equal_toIxEExEE10hipError_tPvRmT2_T3_T4_T5_mT6_T7_P12ihipStream_tbENKUlT_T0_E_clISt17integral_constantIbLb0EESZ_EEDaSU_SV_EUlSU_E_NS1_11comp_targetILNS1_3genE2ELNS1_11target_archE906ELNS1_3gpuE6ELNS1_3repE0EEENS1_30default_config_static_selectorELNS0_4arch9wavefront6targetE1EEEvT1_,@function
_ZN7rocprim17ROCPRIM_400000_NS6detail17trampoline_kernelINS0_14default_configENS1_27scan_by_key_config_selectorIxxEEZZNS1_16scan_by_key_implILNS1_25lookback_scan_determinismE0ELb0ES3_N6thrust23THRUST_200600_302600_NS6detail15normal_iteratorINS9_10device_ptrIxEEEESE_SE_xNS9_10multipliesIxEENS9_8equal_toIxEExEE10hipError_tPvRmT2_T3_T4_T5_mT6_T7_P12ihipStream_tbENKUlT_T0_E_clISt17integral_constantIbLb0EESZ_EEDaSU_SV_EUlSU_E_NS1_11comp_targetILNS1_3genE2ELNS1_11target_archE906ELNS1_3gpuE6ELNS1_3repE0EEENS1_30default_config_static_selectorELNS0_4arch9wavefront6targetE1EEEvT1_: ; @_ZN7rocprim17ROCPRIM_400000_NS6detail17trampoline_kernelINS0_14default_configENS1_27scan_by_key_config_selectorIxxEEZZNS1_16scan_by_key_implILNS1_25lookback_scan_determinismE0ELb0ES3_N6thrust23THRUST_200600_302600_NS6detail15normal_iteratorINS9_10device_ptrIxEEEESE_SE_xNS9_10multipliesIxEENS9_8equal_toIxEExEE10hipError_tPvRmT2_T3_T4_T5_mT6_T7_P12ihipStream_tbENKUlT_T0_E_clISt17integral_constantIbLb0EESZ_EEDaSU_SV_EUlSU_E_NS1_11comp_targetILNS1_3genE2ELNS1_11target_archE906ELNS1_3gpuE6ELNS1_3repE0EEENS1_30default_config_static_selectorELNS0_4arch9wavefront6targetE1EEEvT1_
; %bb.0:
	.section	.rodata,"a",@progbits
	.p2align	6, 0x0
	.amdhsa_kernel _ZN7rocprim17ROCPRIM_400000_NS6detail17trampoline_kernelINS0_14default_configENS1_27scan_by_key_config_selectorIxxEEZZNS1_16scan_by_key_implILNS1_25lookback_scan_determinismE0ELb0ES3_N6thrust23THRUST_200600_302600_NS6detail15normal_iteratorINS9_10device_ptrIxEEEESE_SE_xNS9_10multipliesIxEENS9_8equal_toIxEExEE10hipError_tPvRmT2_T3_T4_T5_mT6_T7_P12ihipStream_tbENKUlT_T0_E_clISt17integral_constantIbLb0EESZ_EEDaSU_SV_EUlSU_E_NS1_11comp_targetILNS1_3genE2ELNS1_11target_archE906ELNS1_3gpuE6ELNS1_3repE0EEENS1_30default_config_static_selectorELNS0_4arch9wavefront6targetE1EEEvT1_
		.amdhsa_group_segment_fixed_size 0
		.amdhsa_private_segment_fixed_size 0
		.amdhsa_kernarg_size 136
		.amdhsa_user_sgpr_count 6
		.amdhsa_user_sgpr_private_segment_buffer 1
		.amdhsa_user_sgpr_dispatch_ptr 0
		.amdhsa_user_sgpr_queue_ptr 0
		.amdhsa_user_sgpr_kernarg_segment_ptr 1
		.amdhsa_user_sgpr_dispatch_id 0
		.amdhsa_user_sgpr_flat_scratch_init 0
		.amdhsa_user_sgpr_kernarg_preload_length 0
		.amdhsa_user_sgpr_kernarg_preload_offset 0
		.amdhsa_user_sgpr_private_segment_size 0
		.amdhsa_uses_dynamic_stack 0
		.amdhsa_system_sgpr_private_segment_wavefront_offset 0
		.amdhsa_system_sgpr_workgroup_id_x 1
		.amdhsa_system_sgpr_workgroup_id_y 0
		.amdhsa_system_sgpr_workgroup_id_z 0
		.amdhsa_system_sgpr_workgroup_info 0
		.amdhsa_system_vgpr_workitem_id 0
		.amdhsa_next_free_vgpr 1
		.amdhsa_next_free_sgpr 0
		.amdhsa_accum_offset 4
		.amdhsa_reserve_vcc 0
		.amdhsa_reserve_flat_scratch 0
		.amdhsa_float_round_mode_32 0
		.amdhsa_float_round_mode_16_64 0
		.amdhsa_float_denorm_mode_32 3
		.amdhsa_float_denorm_mode_16_64 3
		.amdhsa_dx10_clamp 1
		.amdhsa_ieee_mode 1
		.amdhsa_fp16_overflow 0
		.amdhsa_tg_split 0
		.amdhsa_exception_fp_ieee_invalid_op 0
		.amdhsa_exception_fp_denorm_src 0
		.amdhsa_exception_fp_ieee_div_zero 0
		.amdhsa_exception_fp_ieee_overflow 0
		.amdhsa_exception_fp_ieee_underflow 0
		.amdhsa_exception_fp_ieee_inexact 0
		.amdhsa_exception_int_div_zero 0
	.end_amdhsa_kernel
	.section	.text._ZN7rocprim17ROCPRIM_400000_NS6detail17trampoline_kernelINS0_14default_configENS1_27scan_by_key_config_selectorIxxEEZZNS1_16scan_by_key_implILNS1_25lookback_scan_determinismE0ELb0ES3_N6thrust23THRUST_200600_302600_NS6detail15normal_iteratorINS9_10device_ptrIxEEEESE_SE_xNS9_10multipliesIxEENS9_8equal_toIxEExEE10hipError_tPvRmT2_T3_T4_T5_mT6_T7_P12ihipStream_tbENKUlT_T0_E_clISt17integral_constantIbLb0EESZ_EEDaSU_SV_EUlSU_E_NS1_11comp_targetILNS1_3genE2ELNS1_11target_archE906ELNS1_3gpuE6ELNS1_3repE0EEENS1_30default_config_static_selectorELNS0_4arch9wavefront6targetE1EEEvT1_,"axG",@progbits,_ZN7rocprim17ROCPRIM_400000_NS6detail17trampoline_kernelINS0_14default_configENS1_27scan_by_key_config_selectorIxxEEZZNS1_16scan_by_key_implILNS1_25lookback_scan_determinismE0ELb0ES3_N6thrust23THRUST_200600_302600_NS6detail15normal_iteratorINS9_10device_ptrIxEEEESE_SE_xNS9_10multipliesIxEENS9_8equal_toIxEExEE10hipError_tPvRmT2_T3_T4_T5_mT6_T7_P12ihipStream_tbENKUlT_T0_E_clISt17integral_constantIbLb0EESZ_EEDaSU_SV_EUlSU_E_NS1_11comp_targetILNS1_3genE2ELNS1_11target_archE906ELNS1_3gpuE6ELNS1_3repE0EEENS1_30default_config_static_selectorELNS0_4arch9wavefront6targetE1EEEvT1_,comdat
.Lfunc_end52:
	.size	_ZN7rocprim17ROCPRIM_400000_NS6detail17trampoline_kernelINS0_14default_configENS1_27scan_by_key_config_selectorIxxEEZZNS1_16scan_by_key_implILNS1_25lookback_scan_determinismE0ELb0ES3_N6thrust23THRUST_200600_302600_NS6detail15normal_iteratorINS9_10device_ptrIxEEEESE_SE_xNS9_10multipliesIxEENS9_8equal_toIxEExEE10hipError_tPvRmT2_T3_T4_T5_mT6_T7_P12ihipStream_tbENKUlT_T0_E_clISt17integral_constantIbLb0EESZ_EEDaSU_SV_EUlSU_E_NS1_11comp_targetILNS1_3genE2ELNS1_11target_archE906ELNS1_3gpuE6ELNS1_3repE0EEENS1_30default_config_static_selectorELNS0_4arch9wavefront6targetE1EEEvT1_, .Lfunc_end52-_ZN7rocprim17ROCPRIM_400000_NS6detail17trampoline_kernelINS0_14default_configENS1_27scan_by_key_config_selectorIxxEEZZNS1_16scan_by_key_implILNS1_25lookback_scan_determinismE0ELb0ES3_N6thrust23THRUST_200600_302600_NS6detail15normal_iteratorINS9_10device_ptrIxEEEESE_SE_xNS9_10multipliesIxEENS9_8equal_toIxEExEE10hipError_tPvRmT2_T3_T4_T5_mT6_T7_P12ihipStream_tbENKUlT_T0_E_clISt17integral_constantIbLb0EESZ_EEDaSU_SV_EUlSU_E_NS1_11comp_targetILNS1_3genE2ELNS1_11target_archE906ELNS1_3gpuE6ELNS1_3repE0EEENS1_30default_config_static_selectorELNS0_4arch9wavefront6targetE1EEEvT1_
                                        ; -- End function
	.section	.AMDGPU.csdata,"",@progbits
; Kernel info:
; codeLenInByte = 0
; NumSgprs: 4
; NumVgprs: 0
; NumAgprs: 0
; TotalNumVgprs: 0
; ScratchSize: 0
; MemoryBound: 0
; FloatMode: 240
; IeeeMode: 1
; LDSByteSize: 0 bytes/workgroup (compile time only)
; SGPRBlocks: 0
; VGPRBlocks: 0
; NumSGPRsForWavesPerEU: 4
; NumVGPRsForWavesPerEU: 1
; AccumOffset: 4
; Occupancy: 8
; WaveLimiterHint : 0
; COMPUTE_PGM_RSRC2:SCRATCH_EN: 0
; COMPUTE_PGM_RSRC2:USER_SGPR: 6
; COMPUTE_PGM_RSRC2:TRAP_HANDLER: 0
; COMPUTE_PGM_RSRC2:TGID_X_EN: 1
; COMPUTE_PGM_RSRC2:TGID_Y_EN: 0
; COMPUTE_PGM_RSRC2:TGID_Z_EN: 0
; COMPUTE_PGM_RSRC2:TIDIG_COMP_CNT: 0
; COMPUTE_PGM_RSRC3_GFX90A:ACCUM_OFFSET: 0
; COMPUTE_PGM_RSRC3_GFX90A:TG_SPLIT: 0
	.section	.text._ZN7rocprim17ROCPRIM_400000_NS6detail17trampoline_kernelINS0_14default_configENS1_27scan_by_key_config_selectorIxxEEZZNS1_16scan_by_key_implILNS1_25lookback_scan_determinismE0ELb0ES3_N6thrust23THRUST_200600_302600_NS6detail15normal_iteratorINS9_10device_ptrIxEEEESE_SE_xNS9_10multipliesIxEENS9_8equal_toIxEExEE10hipError_tPvRmT2_T3_T4_T5_mT6_T7_P12ihipStream_tbENKUlT_T0_E_clISt17integral_constantIbLb0EESZ_EEDaSU_SV_EUlSU_E_NS1_11comp_targetILNS1_3genE10ELNS1_11target_archE1200ELNS1_3gpuE4ELNS1_3repE0EEENS1_30default_config_static_selectorELNS0_4arch9wavefront6targetE1EEEvT1_,"axG",@progbits,_ZN7rocprim17ROCPRIM_400000_NS6detail17trampoline_kernelINS0_14default_configENS1_27scan_by_key_config_selectorIxxEEZZNS1_16scan_by_key_implILNS1_25lookback_scan_determinismE0ELb0ES3_N6thrust23THRUST_200600_302600_NS6detail15normal_iteratorINS9_10device_ptrIxEEEESE_SE_xNS9_10multipliesIxEENS9_8equal_toIxEExEE10hipError_tPvRmT2_T3_T4_T5_mT6_T7_P12ihipStream_tbENKUlT_T0_E_clISt17integral_constantIbLb0EESZ_EEDaSU_SV_EUlSU_E_NS1_11comp_targetILNS1_3genE10ELNS1_11target_archE1200ELNS1_3gpuE4ELNS1_3repE0EEENS1_30default_config_static_selectorELNS0_4arch9wavefront6targetE1EEEvT1_,comdat
	.protected	_ZN7rocprim17ROCPRIM_400000_NS6detail17trampoline_kernelINS0_14default_configENS1_27scan_by_key_config_selectorIxxEEZZNS1_16scan_by_key_implILNS1_25lookback_scan_determinismE0ELb0ES3_N6thrust23THRUST_200600_302600_NS6detail15normal_iteratorINS9_10device_ptrIxEEEESE_SE_xNS9_10multipliesIxEENS9_8equal_toIxEExEE10hipError_tPvRmT2_T3_T4_T5_mT6_T7_P12ihipStream_tbENKUlT_T0_E_clISt17integral_constantIbLb0EESZ_EEDaSU_SV_EUlSU_E_NS1_11comp_targetILNS1_3genE10ELNS1_11target_archE1200ELNS1_3gpuE4ELNS1_3repE0EEENS1_30default_config_static_selectorELNS0_4arch9wavefront6targetE1EEEvT1_ ; -- Begin function _ZN7rocprim17ROCPRIM_400000_NS6detail17trampoline_kernelINS0_14default_configENS1_27scan_by_key_config_selectorIxxEEZZNS1_16scan_by_key_implILNS1_25lookback_scan_determinismE0ELb0ES3_N6thrust23THRUST_200600_302600_NS6detail15normal_iteratorINS9_10device_ptrIxEEEESE_SE_xNS9_10multipliesIxEENS9_8equal_toIxEExEE10hipError_tPvRmT2_T3_T4_T5_mT6_T7_P12ihipStream_tbENKUlT_T0_E_clISt17integral_constantIbLb0EESZ_EEDaSU_SV_EUlSU_E_NS1_11comp_targetILNS1_3genE10ELNS1_11target_archE1200ELNS1_3gpuE4ELNS1_3repE0EEENS1_30default_config_static_selectorELNS0_4arch9wavefront6targetE1EEEvT1_
	.globl	_ZN7rocprim17ROCPRIM_400000_NS6detail17trampoline_kernelINS0_14default_configENS1_27scan_by_key_config_selectorIxxEEZZNS1_16scan_by_key_implILNS1_25lookback_scan_determinismE0ELb0ES3_N6thrust23THRUST_200600_302600_NS6detail15normal_iteratorINS9_10device_ptrIxEEEESE_SE_xNS9_10multipliesIxEENS9_8equal_toIxEExEE10hipError_tPvRmT2_T3_T4_T5_mT6_T7_P12ihipStream_tbENKUlT_T0_E_clISt17integral_constantIbLb0EESZ_EEDaSU_SV_EUlSU_E_NS1_11comp_targetILNS1_3genE10ELNS1_11target_archE1200ELNS1_3gpuE4ELNS1_3repE0EEENS1_30default_config_static_selectorELNS0_4arch9wavefront6targetE1EEEvT1_
	.p2align	8
	.type	_ZN7rocprim17ROCPRIM_400000_NS6detail17trampoline_kernelINS0_14default_configENS1_27scan_by_key_config_selectorIxxEEZZNS1_16scan_by_key_implILNS1_25lookback_scan_determinismE0ELb0ES3_N6thrust23THRUST_200600_302600_NS6detail15normal_iteratorINS9_10device_ptrIxEEEESE_SE_xNS9_10multipliesIxEENS9_8equal_toIxEExEE10hipError_tPvRmT2_T3_T4_T5_mT6_T7_P12ihipStream_tbENKUlT_T0_E_clISt17integral_constantIbLb0EESZ_EEDaSU_SV_EUlSU_E_NS1_11comp_targetILNS1_3genE10ELNS1_11target_archE1200ELNS1_3gpuE4ELNS1_3repE0EEENS1_30default_config_static_selectorELNS0_4arch9wavefront6targetE1EEEvT1_,@function
_ZN7rocprim17ROCPRIM_400000_NS6detail17trampoline_kernelINS0_14default_configENS1_27scan_by_key_config_selectorIxxEEZZNS1_16scan_by_key_implILNS1_25lookback_scan_determinismE0ELb0ES3_N6thrust23THRUST_200600_302600_NS6detail15normal_iteratorINS9_10device_ptrIxEEEESE_SE_xNS9_10multipliesIxEENS9_8equal_toIxEExEE10hipError_tPvRmT2_T3_T4_T5_mT6_T7_P12ihipStream_tbENKUlT_T0_E_clISt17integral_constantIbLb0EESZ_EEDaSU_SV_EUlSU_E_NS1_11comp_targetILNS1_3genE10ELNS1_11target_archE1200ELNS1_3gpuE4ELNS1_3repE0EEENS1_30default_config_static_selectorELNS0_4arch9wavefront6targetE1EEEvT1_: ; @_ZN7rocprim17ROCPRIM_400000_NS6detail17trampoline_kernelINS0_14default_configENS1_27scan_by_key_config_selectorIxxEEZZNS1_16scan_by_key_implILNS1_25lookback_scan_determinismE0ELb0ES3_N6thrust23THRUST_200600_302600_NS6detail15normal_iteratorINS9_10device_ptrIxEEEESE_SE_xNS9_10multipliesIxEENS9_8equal_toIxEExEE10hipError_tPvRmT2_T3_T4_T5_mT6_T7_P12ihipStream_tbENKUlT_T0_E_clISt17integral_constantIbLb0EESZ_EEDaSU_SV_EUlSU_E_NS1_11comp_targetILNS1_3genE10ELNS1_11target_archE1200ELNS1_3gpuE4ELNS1_3repE0EEENS1_30default_config_static_selectorELNS0_4arch9wavefront6targetE1EEEvT1_
; %bb.0:
	.section	.rodata,"a",@progbits
	.p2align	6, 0x0
	.amdhsa_kernel _ZN7rocprim17ROCPRIM_400000_NS6detail17trampoline_kernelINS0_14default_configENS1_27scan_by_key_config_selectorIxxEEZZNS1_16scan_by_key_implILNS1_25lookback_scan_determinismE0ELb0ES3_N6thrust23THRUST_200600_302600_NS6detail15normal_iteratorINS9_10device_ptrIxEEEESE_SE_xNS9_10multipliesIxEENS9_8equal_toIxEExEE10hipError_tPvRmT2_T3_T4_T5_mT6_T7_P12ihipStream_tbENKUlT_T0_E_clISt17integral_constantIbLb0EESZ_EEDaSU_SV_EUlSU_E_NS1_11comp_targetILNS1_3genE10ELNS1_11target_archE1200ELNS1_3gpuE4ELNS1_3repE0EEENS1_30default_config_static_selectorELNS0_4arch9wavefront6targetE1EEEvT1_
		.amdhsa_group_segment_fixed_size 0
		.amdhsa_private_segment_fixed_size 0
		.amdhsa_kernarg_size 136
		.amdhsa_user_sgpr_count 6
		.amdhsa_user_sgpr_private_segment_buffer 1
		.amdhsa_user_sgpr_dispatch_ptr 0
		.amdhsa_user_sgpr_queue_ptr 0
		.amdhsa_user_sgpr_kernarg_segment_ptr 1
		.amdhsa_user_sgpr_dispatch_id 0
		.amdhsa_user_sgpr_flat_scratch_init 0
		.amdhsa_user_sgpr_kernarg_preload_length 0
		.amdhsa_user_sgpr_kernarg_preload_offset 0
		.amdhsa_user_sgpr_private_segment_size 0
		.amdhsa_uses_dynamic_stack 0
		.amdhsa_system_sgpr_private_segment_wavefront_offset 0
		.amdhsa_system_sgpr_workgroup_id_x 1
		.amdhsa_system_sgpr_workgroup_id_y 0
		.amdhsa_system_sgpr_workgroup_id_z 0
		.amdhsa_system_sgpr_workgroup_info 0
		.amdhsa_system_vgpr_workitem_id 0
		.amdhsa_next_free_vgpr 1
		.amdhsa_next_free_sgpr 0
		.amdhsa_accum_offset 4
		.amdhsa_reserve_vcc 0
		.amdhsa_reserve_flat_scratch 0
		.amdhsa_float_round_mode_32 0
		.amdhsa_float_round_mode_16_64 0
		.amdhsa_float_denorm_mode_32 3
		.amdhsa_float_denorm_mode_16_64 3
		.amdhsa_dx10_clamp 1
		.amdhsa_ieee_mode 1
		.amdhsa_fp16_overflow 0
		.amdhsa_tg_split 0
		.amdhsa_exception_fp_ieee_invalid_op 0
		.amdhsa_exception_fp_denorm_src 0
		.amdhsa_exception_fp_ieee_div_zero 0
		.amdhsa_exception_fp_ieee_overflow 0
		.amdhsa_exception_fp_ieee_underflow 0
		.amdhsa_exception_fp_ieee_inexact 0
		.amdhsa_exception_int_div_zero 0
	.end_amdhsa_kernel
	.section	.text._ZN7rocprim17ROCPRIM_400000_NS6detail17trampoline_kernelINS0_14default_configENS1_27scan_by_key_config_selectorIxxEEZZNS1_16scan_by_key_implILNS1_25lookback_scan_determinismE0ELb0ES3_N6thrust23THRUST_200600_302600_NS6detail15normal_iteratorINS9_10device_ptrIxEEEESE_SE_xNS9_10multipliesIxEENS9_8equal_toIxEExEE10hipError_tPvRmT2_T3_T4_T5_mT6_T7_P12ihipStream_tbENKUlT_T0_E_clISt17integral_constantIbLb0EESZ_EEDaSU_SV_EUlSU_E_NS1_11comp_targetILNS1_3genE10ELNS1_11target_archE1200ELNS1_3gpuE4ELNS1_3repE0EEENS1_30default_config_static_selectorELNS0_4arch9wavefront6targetE1EEEvT1_,"axG",@progbits,_ZN7rocprim17ROCPRIM_400000_NS6detail17trampoline_kernelINS0_14default_configENS1_27scan_by_key_config_selectorIxxEEZZNS1_16scan_by_key_implILNS1_25lookback_scan_determinismE0ELb0ES3_N6thrust23THRUST_200600_302600_NS6detail15normal_iteratorINS9_10device_ptrIxEEEESE_SE_xNS9_10multipliesIxEENS9_8equal_toIxEExEE10hipError_tPvRmT2_T3_T4_T5_mT6_T7_P12ihipStream_tbENKUlT_T0_E_clISt17integral_constantIbLb0EESZ_EEDaSU_SV_EUlSU_E_NS1_11comp_targetILNS1_3genE10ELNS1_11target_archE1200ELNS1_3gpuE4ELNS1_3repE0EEENS1_30default_config_static_selectorELNS0_4arch9wavefront6targetE1EEEvT1_,comdat
.Lfunc_end53:
	.size	_ZN7rocprim17ROCPRIM_400000_NS6detail17trampoline_kernelINS0_14default_configENS1_27scan_by_key_config_selectorIxxEEZZNS1_16scan_by_key_implILNS1_25lookback_scan_determinismE0ELb0ES3_N6thrust23THRUST_200600_302600_NS6detail15normal_iteratorINS9_10device_ptrIxEEEESE_SE_xNS9_10multipliesIxEENS9_8equal_toIxEExEE10hipError_tPvRmT2_T3_T4_T5_mT6_T7_P12ihipStream_tbENKUlT_T0_E_clISt17integral_constantIbLb0EESZ_EEDaSU_SV_EUlSU_E_NS1_11comp_targetILNS1_3genE10ELNS1_11target_archE1200ELNS1_3gpuE4ELNS1_3repE0EEENS1_30default_config_static_selectorELNS0_4arch9wavefront6targetE1EEEvT1_, .Lfunc_end53-_ZN7rocprim17ROCPRIM_400000_NS6detail17trampoline_kernelINS0_14default_configENS1_27scan_by_key_config_selectorIxxEEZZNS1_16scan_by_key_implILNS1_25lookback_scan_determinismE0ELb0ES3_N6thrust23THRUST_200600_302600_NS6detail15normal_iteratorINS9_10device_ptrIxEEEESE_SE_xNS9_10multipliesIxEENS9_8equal_toIxEExEE10hipError_tPvRmT2_T3_T4_T5_mT6_T7_P12ihipStream_tbENKUlT_T0_E_clISt17integral_constantIbLb0EESZ_EEDaSU_SV_EUlSU_E_NS1_11comp_targetILNS1_3genE10ELNS1_11target_archE1200ELNS1_3gpuE4ELNS1_3repE0EEENS1_30default_config_static_selectorELNS0_4arch9wavefront6targetE1EEEvT1_
                                        ; -- End function
	.section	.AMDGPU.csdata,"",@progbits
; Kernel info:
; codeLenInByte = 0
; NumSgprs: 4
; NumVgprs: 0
; NumAgprs: 0
; TotalNumVgprs: 0
; ScratchSize: 0
; MemoryBound: 0
; FloatMode: 240
; IeeeMode: 1
; LDSByteSize: 0 bytes/workgroup (compile time only)
; SGPRBlocks: 0
; VGPRBlocks: 0
; NumSGPRsForWavesPerEU: 4
; NumVGPRsForWavesPerEU: 1
; AccumOffset: 4
; Occupancy: 8
; WaveLimiterHint : 0
; COMPUTE_PGM_RSRC2:SCRATCH_EN: 0
; COMPUTE_PGM_RSRC2:USER_SGPR: 6
; COMPUTE_PGM_RSRC2:TRAP_HANDLER: 0
; COMPUTE_PGM_RSRC2:TGID_X_EN: 1
; COMPUTE_PGM_RSRC2:TGID_Y_EN: 0
; COMPUTE_PGM_RSRC2:TGID_Z_EN: 0
; COMPUTE_PGM_RSRC2:TIDIG_COMP_CNT: 0
; COMPUTE_PGM_RSRC3_GFX90A:ACCUM_OFFSET: 0
; COMPUTE_PGM_RSRC3_GFX90A:TG_SPLIT: 0
	.section	.text._ZN7rocprim17ROCPRIM_400000_NS6detail17trampoline_kernelINS0_14default_configENS1_27scan_by_key_config_selectorIxxEEZZNS1_16scan_by_key_implILNS1_25lookback_scan_determinismE0ELb0ES3_N6thrust23THRUST_200600_302600_NS6detail15normal_iteratorINS9_10device_ptrIxEEEESE_SE_xNS9_10multipliesIxEENS9_8equal_toIxEExEE10hipError_tPvRmT2_T3_T4_T5_mT6_T7_P12ihipStream_tbENKUlT_T0_E_clISt17integral_constantIbLb0EESZ_EEDaSU_SV_EUlSU_E_NS1_11comp_targetILNS1_3genE9ELNS1_11target_archE1100ELNS1_3gpuE3ELNS1_3repE0EEENS1_30default_config_static_selectorELNS0_4arch9wavefront6targetE1EEEvT1_,"axG",@progbits,_ZN7rocprim17ROCPRIM_400000_NS6detail17trampoline_kernelINS0_14default_configENS1_27scan_by_key_config_selectorIxxEEZZNS1_16scan_by_key_implILNS1_25lookback_scan_determinismE0ELb0ES3_N6thrust23THRUST_200600_302600_NS6detail15normal_iteratorINS9_10device_ptrIxEEEESE_SE_xNS9_10multipliesIxEENS9_8equal_toIxEExEE10hipError_tPvRmT2_T3_T4_T5_mT6_T7_P12ihipStream_tbENKUlT_T0_E_clISt17integral_constantIbLb0EESZ_EEDaSU_SV_EUlSU_E_NS1_11comp_targetILNS1_3genE9ELNS1_11target_archE1100ELNS1_3gpuE3ELNS1_3repE0EEENS1_30default_config_static_selectorELNS0_4arch9wavefront6targetE1EEEvT1_,comdat
	.protected	_ZN7rocprim17ROCPRIM_400000_NS6detail17trampoline_kernelINS0_14default_configENS1_27scan_by_key_config_selectorIxxEEZZNS1_16scan_by_key_implILNS1_25lookback_scan_determinismE0ELb0ES3_N6thrust23THRUST_200600_302600_NS6detail15normal_iteratorINS9_10device_ptrIxEEEESE_SE_xNS9_10multipliesIxEENS9_8equal_toIxEExEE10hipError_tPvRmT2_T3_T4_T5_mT6_T7_P12ihipStream_tbENKUlT_T0_E_clISt17integral_constantIbLb0EESZ_EEDaSU_SV_EUlSU_E_NS1_11comp_targetILNS1_3genE9ELNS1_11target_archE1100ELNS1_3gpuE3ELNS1_3repE0EEENS1_30default_config_static_selectorELNS0_4arch9wavefront6targetE1EEEvT1_ ; -- Begin function _ZN7rocprim17ROCPRIM_400000_NS6detail17trampoline_kernelINS0_14default_configENS1_27scan_by_key_config_selectorIxxEEZZNS1_16scan_by_key_implILNS1_25lookback_scan_determinismE0ELb0ES3_N6thrust23THRUST_200600_302600_NS6detail15normal_iteratorINS9_10device_ptrIxEEEESE_SE_xNS9_10multipliesIxEENS9_8equal_toIxEExEE10hipError_tPvRmT2_T3_T4_T5_mT6_T7_P12ihipStream_tbENKUlT_T0_E_clISt17integral_constantIbLb0EESZ_EEDaSU_SV_EUlSU_E_NS1_11comp_targetILNS1_3genE9ELNS1_11target_archE1100ELNS1_3gpuE3ELNS1_3repE0EEENS1_30default_config_static_selectorELNS0_4arch9wavefront6targetE1EEEvT1_
	.globl	_ZN7rocprim17ROCPRIM_400000_NS6detail17trampoline_kernelINS0_14default_configENS1_27scan_by_key_config_selectorIxxEEZZNS1_16scan_by_key_implILNS1_25lookback_scan_determinismE0ELb0ES3_N6thrust23THRUST_200600_302600_NS6detail15normal_iteratorINS9_10device_ptrIxEEEESE_SE_xNS9_10multipliesIxEENS9_8equal_toIxEExEE10hipError_tPvRmT2_T3_T4_T5_mT6_T7_P12ihipStream_tbENKUlT_T0_E_clISt17integral_constantIbLb0EESZ_EEDaSU_SV_EUlSU_E_NS1_11comp_targetILNS1_3genE9ELNS1_11target_archE1100ELNS1_3gpuE3ELNS1_3repE0EEENS1_30default_config_static_selectorELNS0_4arch9wavefront6targetE1EEEvT1_
	.p2align	8
	.type	_ZN7rocprim17ROCPRIM_400000_NS6detail17trampoline_kernelINS0_14default_configENS1_27scan_by_key_config_selectorIxxEEZZNS1_16scan_by_key_implILNS1_25lookback_scan_determinismE0ELb0ES3_N6thrust23THRUST_200600_302600_NS6detail15normal_iteratorINS9_10device_ptrIxEEEESE_SE_xNS9_10multipliesIxEENS9_8equal_toIxEExEE10hipError_tPvRmT2_T3_T4_T5_mT6_T7_P12ihipStream_tbENKUlT_T0_E_clISt17integral_constantIbLb0EESZ_EEDaSU_SV_EUlSU_E_NS1_11comp_targetILNS1_3genE9ELNS1_11target_archE1100ELNS1_3gpuE3ELNS1_3repE0EEENS1_30default_config_static_selectorELNS0_4arch9wavefront6targetE1EEEvT1_,@function
_ZN7rocprim17ROCPRIM_400000_NS6detail17trampoline_kernelINS0_14default_configENS1_27scan_by_key_config_selectorIxxEEZZNS1_16scan_by_key_implILNS1_25lookback_scan_determinismE0ELb0ES3_N6thrust23THRUST_200600_302600_NS6detail15normal_iteratorINS9_10device_ptrIxEEEESE_SE_xNS9_10multipliesIxEENS9_8equal_toIxEExEE10hipError_tPvRmT2_T3_T4_T5_mT6_T7_P12ihipStream_tbENKUlT_T0_E_clISt17integral_constantIbLb0EESZ_EEDaSU_SV_EUlSU_E_NS1_11comp_targetILNS1_3genE9ELNS1_11target_archE1100ELNS1_3gpuE3ELNS1_3repE0EEENS1_30default_config_static_selectorELNS0_4arch9wavefront6targetE1EEEvT1_: ; @_ZN7rocprim17ROCPRIM_400000_NS6detail17trampoline_kernelINS0_14default_configENS1_27scan_by_key_config_selectorIxxEEZZNS1_16scan_by_key_implILNS1_25lookback_scan_determinismE0ELb0ES3_N6thrust23THRUST_200600_302600_NS6detail15normal_iteratorINS9_10device_ptrIxEEEESE_SE_xNS9_10multipliesIxEENS9_8equal_toIxEExEE10hipError_tPvRmT2_T3_T4_T5_mT6_T7_P12ihipStream_tbENKUlT_T0_E_clISt17integral_constantIbLb0EESZ_EEDaSU_SV_EUlSU_E_NS1_11comp_targetILNS1_3genE9ELNS1_11target_archE1100ELNS1_3gpuE3ELNS1_3repE0EEENS1_30default_config_static_selectorELNS0_4arch9wavefront6targetE1EEEvT1_
; %bb.0:
	.section	.rodata,"a",@progbits
	.p2align	6, 0x0
	.amdhsa_kernel _ZN7rocprim17ROCPRIM_400000_NS6detail17trampoline_kernelINS0_14default_configENS1_27scan_by_key_config_selectorIxxEEZZNS1_16scan_by_key_implILNS1_25lookback_scan_determinismE0ELb0ES3_N6thrust23THRUST_200600_302600_NS6detail15normal_iteratorINS9_10device_ptrIxEEEESE_SE_xNS9_10multipliesIxEENS9_8equal_toIxEExEE10hipError_tPvRmT2_T3_T4_T5_mT6_T7_P12ihipStream_tbENKUlT_T0_E_clISt17integral_constantIbLb0EESZ_EEDaSU_SV_EUlSU_E_NS1_11comp_targetILNS1_3genE9ELNS1_11target_archE1100ELNS1_3gpuE3ELNS1_3repE0EEENS1_30default_config_static_selectorELNS0_4arch9wavefront6targetE1EEEvT1_
		.amdhsa_group_segment_fixed_size 0
		.amdhsa_private_segment_fixed_size 0
		.amdhsa_kernarg_size 136
		.amdhsa_user_sgpr_count 6
		.amdhsa_user_sgpr_private_segment_buffer 1
		.amdhsa_user_sgpr_dispatch_ptr 0
		.amdhsa_user_sgpr_queue_ptr 0
		.amdhsa_user_sgpr_kernarg_segment_ptr 1
		.amdhsa_user_sgpr_dispatch_id 0
		.amdhsa_user_sgpr_flat_scratch_init 0
		.amdhsa_user_sgpr_kernarg_preload_length 0
		.amdhsa_user_sgpr_kernarg_preload_offset 0
		.amdhsa_user_sgpr_private_segment_size 0
		.amdhsa_uses_dynamic_stack 0
		.amdhsa_system_sgpr_private_segment_wavefront_offset 0
		.amdhsa_system_sgpr_workgroup_id_x 1
		.amdhsa_system_sgpr_workgroup_id_y 0
		.amdhsa_system_sgpr_workgroup_id_z 0
		.amdhsa_system_sgpr_workgroup_info 0
		.amdhsa_system_vgpr_workitem_id 0
		.amdhsa_next_free_vgpr 1
		.amdhsa_next_free_sgpr 0
		.amdhsa_accum_offset 4
		.amdhsa_reserve_vcc 0
		.amdhsa_reserve_flat_scratch 0
		.amdhsa_float_round_mode_32 0
		.amdhsa_float_round_mode_16_64 0
		.amdhsa_float_denorm_mode_32 3
		.amdhsa_float_denorm_mode_16_64 3
		.amdhsa_dx10_clamp 1
		.amdhsa_ieee_mode 1
		.amdhsa_fp16_overflow 0
		.amdhsa_tg_split 0
		.amdhsa_exception_fp_ieee_invalid_op 0
		.amdhsa_exception_fp_denorm_src 0
		.amdhsa_exception_fp_ieee_div_zero 0
		.amdhsa_exception_fp_ieee_overflow 0
		.amdhsa_exception_fp_ieee_underflow 0
		.amdhsa_exception_fp_ieee_inexact 0
		.amdhsa_exception_int_div_zero 0
	.end_amdhsa_kernel
	.section	.text._ZN7rocprim17ROCPRIM_400000_NS6detail17trampoline_kernelINS0_14default_configENS1_27scan_by_key_config_selectorIxxEEZZNS1_16scan_by_key_implILNS1_25lookback_scan_determinismE0ELb0ES3_N6thrust23THRUST_200600_302600_NS6detail15normal_iteratorINS9_10device_ptrIxEEEESE_SE_xNS9_10multipliesIxEENS9_8equal_toIxEExEE10hipError_tPvRmT2_T3_T4_T5_mT6_T7_P12ihipStream_tbENKUlT_T0_E_clISt17integral_constantIbLb0EESZ_EEDaSU_SV_EUlSU_E_NS1_11comp_targetILNS1_3genE9ELNS1_11target_archE1100ELNS1_3gpuE3ELNS1_3repE0EEENS1_30default_config_static_selectorELNS0_4arch9wavefront6targetE1EEEvT1_,"axG",@progbits,_ZN7rocprim17ROCPRIM_400000_NS6detail17trampoline_kernelINS0_14default_configENS1_27scan_by_key_config_selectorIxxEEZZNS1_16scan_by_key_implILNS1_25lookback_scan_determinismE0ELb0ES3_N6thrust23THRUST_200600_302600_NS6detail15normal_iteratorINS9_10device_ptrIxEEEESE_SE_xNS9_10multipliesIxEENS9_8equal_toIxEExEE10hipError_tPvRmT2_T3_T4_T5_mT6_T7_P12ihipStream_tbENKUlT_T0_E_clISt17integral_constantIbLb0EESZ_EEDaSU_SV_EUlSU_E_NS1_11comp_targetILNS1_3genE9ELNS1_11target_archE1100ELNS1_3gpuE3ELNS1_3repE0EEENS1_30default_config_static_selectorELNS0_4arch9wavefront6targetE1EEEvT1_,comdat
.Lfunc_end54:
	.size	_ZN7rocprim17ROCPRIM_400000_NS6detail17trampoline_kernelINS0_14default_configENS1_27scan_by_key_config_selectorIxxEEZZNS1_16scan_by_key_implILNS1_25lookback_scan_determinismE0ELb0ES3_N6thrust23THRUST_200600_302600_NS6detail15normal_iteratorINS9_10device_ptrIxEEEESE_SE_xNS9_10multipliesIxEENS9_8equal_toIxEExEE10hipError_tPvRmT2_T3_T4_T5_mT6_T7_P12ihipStream_tbENKUlT_T0_E_clISt17integral_constantIbLb0EESZ_EEDaSU_SV_EUlSU_E_NS1_11comp_targetILNS1_3genE9ELNS1_11target_archE1100ELNS1_3gpuE3ELNS1_3repE0EEENS1_30default_config_static_selectorELNS0_4arch9wavefront6targetE1EEEvT1_, .Lfunc_end54-_ZN7rocprim17ROCPRIM_400000_NS6detail17trampoline_kernelINS0_14default_configENS1_27scan_by_key_config_selectorIxxEEZZNS1_16scan_by_key_implILNS1_25lookback_scan_determinismE0ELb0ES3_N6thrust23THRUST_200600_302600_NS6detail15normal_iteratorINS9_10device_ptrIxEEEESE_SE_xNS9_10multipliesIxEENS9_8equal_toIxEExEE10hipError_tPvRmT2_T3_T4_T5_mT6_T7_P12ihipStream_tbENKUlT_T0_E_clISt17integral_constantIbLb0EESZ_EEDaSU_SV_EUlSU_E_NS1_11comp_targetILNS1_3genE9ELNS1_11target_archE1100ELNS1_3gpuE3ELNS1_3repE0EEENS1_30default_config_static_selectorELNS0_4arch9wavefront6targetE1EEEvT1_
                                        ; -- End function
	.section	.AMDGPU.csdata,"",@progbits
; Kernel info:
; codeLenInByte = 0
; NumSgprs: 4
; NumVgprs: 0
; NumAgprs: 0
; TotalNumVgprs: 0
; ScratchSize: 0
; MemoryBound: 0
; FloatMode: 240
; IeeeMode: 1
; LDSByteSize: 0 bytes/workgroup (compile time only)
; SGPRBlocks: 0
; VGPRBlocks: 0
; NumSGPRsForWavesPerEU: 4
; NumVGPRsForWavesPerEU: 1
; AccumOffset: 4
; Occupancy: 8
; WaveLimiterHint : 0
; COMPUTE_PGM_RSRC2:SCRATCH_EN: 0
; COMPUTE_PGM_RSRC2:USER_SGPR: 6
; COMPUTE_PGM_RSRC2:TRAP_HANDLER: 0
; COMPUTE_PGM_RSRC2:TGID_X_EN: 1
; COMPUTE_PGM_RSRC2:TGID_Y_EN: 0
; COMPUTE_PGM_RSRC2:TGID_Z_EN: 0
; COMPUTE_PGM_RSRC2:TIDIG_COMP_CNT: 0
; COMPUTE_PGM_RSRC3_GFX90A:ACCUM_OFFSET: 0
; COMPUTE_PGM_RSRC3_GFX90A:TG_SPLIT: 0
	.section	.text._ZN7rocprim17ROCPRIM_400000_NS6detail17trampoline_kernelINS0_14default_configENS1_27scan_by_key_config_selectorIxxEEZZNS1_16scan_by_key_implILNS1_25lookback_scan_determinismE0ELb0ES3_N6thrust23THRUST_200600_302600_NS6detail15normal_iteratorINS9_10device_ptrIxEEEESE_SE_xNS9_10multipliesIxEENS9_8equal_toIxEExEE10hipError_tPvRmT2_T3_T4_T5_mT6_T7_P12ihipStream_tbENKUlT_T0_E_clISt17integral_constantIbLb0EESZ_EEDaSU_SV_EUlSU_E_NS1_11comp_targetILNS1_3genE8ELNS1_11target_archE1030ELNS1_3gpuE2ELNS1_3repE0EEENS1_30default_config_static_selectorELNS0_4arch9wavefront6targetE1EEEvT1_,"axG",@progbits,_ZN7rocprim17ROCPRIM_400000_NS6detail17trampoline_kernelINS0_14default_configENS1_27scan_by_key_config_selectorIxxEEZZNS1_16scan_by_key_implILNS1_25lookback_scan_determinismE0ELb0ES3_N6thrust23THRUST_200600_302600_NS6detail15normal_iteratorINS9_10device_ptrIxEEEESE_SE_xNS9_10multipliesIxEENS9_8equal_toIxEExEE10hipError_tPvRmT2_T3_T4_T5_mT6_T7_P12ihipStream_tbENKUlT_T0_E_clISt17integral_constantIbLb0EESZ_EEDaSU_SV_EUlSU_E_NS1_11comp_targetILNS1_3genE8ELNS1_11target_archE1030ELNS1_3gpuE2ELNS1_3repE0EEENS1_30default_config_static_selectorELNS0_4arch9wavefront6targetE1EEEvT1_,comdat
	.protected	_ZN7rocprim17ROCPRIM_400000_NS6detail17trampoline_kernelINS0_14default_configENS1_27scan_by_key_config_selectorIxxEEZZNS1_16scan_by_key_implILNS1_25lookback_scan_determinismE0ELb0ES3_N6thrust23THRUST_200600_302600_NS6detail15normal_iteratorINS9_10device_ptrIxEEEESE_SE_xNS9_10multipliesIxEENS9_8equal_toIxEExEE10hipError_tPvRmT2_T3_T4_T5_mT6_T7_P12ihipStream_tbENKUlT_T0_E_clISt17integral_constantIbLb0EESZ_EEDaSU_SV_EUlSU_E_NS1_11comp_targetILNS1_3genE8ELNS1_11target_archE1030ELNS1_3gpuE2ELNS1_3repE0EEENS1_30default_config_static_selectorELNS0_4arch9wavefront6targetE1EEEvT1_ ; -- Begin function _ZN7rocprim17ROCPRIM_400000_NS6detail17trampoline_kernelINS0_14default_configENS1_27scan_by_key_config_selectorIxxEEZZNS1_16scan_by_key_implILNS1_25lookback_scan_determinismE0ELb0ES3_N6thrust23THRUST_200600_302600_NS6detail15normal_iteratorINS9_10device_ptrIxEEEESE_SE_xNS9_10multipliesIxEENS9_8equal_toIxEExEE10hipError_tPvRmT2_T3_T4_T5_mT6_T7_P12ihipStream_tbENKUlT_T0_E_clISt17integral_constantIbLb0EESZ_EEDaSU_SV_EUlSU_E_NS1_11comp_targetILNS1_3genE8ELNS1_11target_archE1030ELNS1_3gpuE2ELNS1_3repE0EEENS1_30default_config_static_selectorELNS0_4arch9wavefront6targetE1EEEvT1_
	.globl	_ZN7rocprim17ROCPRIM_400000_NS6detail17trampoline_kernelINS0_14default_configENS1_27scan_by_key_config_selectorIxxEEZZNS1_16scan_by_key_implILNS1_25lookback_scan_determinismE0ELb0ES3_N6thrust23THRUST_200600_302600_NS6detail15normal_iteratorINS9_10device_ptrIxEEEESE_SE_xNS9_10multipliesIxEENS9_8equal_toIxEExEE10hipError_tPvRmT2_T3_T4_T5_mT6_T7_P12ihipStream_tbENKUlT_T0_E_clISt17integral_constantIbLb0EESZ_EEDaSU_SV_EUlSU_E_NS1_11comp_targetILNS1_3genE8ELNS1_11target_archE1030ELNS1_3gpuE2ELNS1_3repE0EEENS1_30default_config_static_selectorELNS0_4arch9wavefront6targetE1EEEvT1_
	.p2align	8
	.type	_ZN7rocprim17ROCPRIM_400000_NS6detail17trampoline_kernelINS0_14default_configENS1_27scan_by_key_config_selectorIxxEEZZNS1_16scan_by_key_implILNS1_25lookback_scan_determinismE0ELb0ES3_N6thrust23THRUST_200600_302600_NS6detail15normal_iteratorINS9_10device_ptrIxEEEESE_SE_xNS9_10multipliesIxEENS9_8equal_toIxEExEE10hipError_tPvRmT2_T3_T4_T5_mT6_T7_P12ihipStream_tbENKUlT_T0_E_clISt17integral_constantIbLb0EESZ_EEDaSU_SV_EUlSU_E_NS1_11comp_targetILNS1_3genE8ELNS1_11target_archE1030ELNS1_3gpuE2ELNS1_3repE0EEENS1_30default_config_static_selectorELNS0_4arch9wavefront6targetE1EEEvT1_,@function
_ZN7rocprim17ROCPRIM_400000_NS6detail17trampoline_kernelINS0_14default_configENS1_27scan_by_key_config_selectorIxxEEZZNS1_16scan_by_key_implILNS1_25lookback_scan_determinismE0ELb0ES3_N6thrust23THRUST_200600_302600_NS6detail15normal_iteratorINS9_10device_ptrIxEEEESE_SE_xNS9_10multipliesIxEENS9_8equal_toIxEExEE10hipError_tPvRmT2_T3_T4_T5_mT6_T7_P12ihipStream_tbENKUlT_T0_E_clISt17integral_constantIbLb0EESZ_EEDaSU_SV_EUlSU_E_NS1_11comp_targetILNS1_3genE8ELNS1_11target_archE1030ELNS1_3gpuE2ELNS1_3repE0EEENS1_30default_config_static_selectorELNS0_4arch9wavefront6targetE1EEEvT1_: ; @_ZN7rocprim17ROCPRIM_400000_NS6detail17trampoline_kernelINS0_14default_configENS1_27scan_by_key_config_selectorIxxEEZZNS1_16scan_by_key_implILNS1_25lookback_scan_determinismE0ELb0ES3_N6thrust23THRUST_200600_302600_NS6detail15normal_iteratorINS9_10device_ptrIxEEEESE_SE_xNS9_10multipliesIxEENS9_8equal_toIxEExEE10hipError_tPvRmT2_T3_T4_T5_mT6_T7_P12ihipStream_tbENKUlT_T0_E_clISt17integral_constantIbLb0EESZ_EEDaSU_SV_EUlSU_E_NS1_11comp_targetILNS1_3genE8ELNS1_11target_archE1030ELNS1_3gpuE2ELNS1_3repE0EEENS1_30default_config_static_selectorELNS0_4arch9wavefront6targetE1EEEvT1_
; %bb.0:
	.section	.rodata,"a",@progbits
	.p2align	6, 0x0
	.amdhsa_kernel _ZN7rocprim17ROCPRIM_400000_NS6detail17trampoline_kernelINS0_14default_configENS1_27scan_by_key_config_selectorIxxEEZZNS1_16scan_by_key_implILNS1_25lookback_scan_determinismE0ELb0ES3_N6thrust23THRUST_200600_302600_NS6detail15normal_iteratorINS9_10device_ptrIxEEEESE_SE_xNS9_10multipliesIxEENS9_8equal_toIxEExEE10hipError_tPvRmT2_T3_T4_T5_mT6_T7_P12ihipStream_tbENKUlT_T0_E_clISt17integral_constantIbLb0EESZ_EEDaSU_SV_EUlSU_E_NS1_11comp_targetILNS1_3genE8ELNS1_11target_archE1030ELNS1_3gpuE2ELNS1_3repE0EEENS1_30default_config_static_selectorELNS0_4arch9wavefront6targetE1EEEvT1_
		.amdhsa_group_segment_fixed_size 0
		.amdhsa_private_segment_fixed_size 0
		.amdhsa_kernarg_size 136
		.amdhsa_user_sgpr_count 6
		.amdhsa_user_sgpr_private_segment_buffer 1
		.amdhsa_user_sgpr_dispatch_ptr 0
		.amdhsa_user_sgpr_queue_ptr 0
		.amdhsa_user_sgpr_kernarg_segment_ptr 1
		.amdhsa_user_sgpr_dispatch_id 0
		.amdhsa_user_sgpr_flat_scratch_init 0
		.amdhsa_user_sgpr_kernarg_preload_length 0
		.amdhsa_user_sgpr_kernarg_preload_offset 0
		.amdhsa_user_sgpr_private_segment_size 0
		.amdhsa_uses_dynamic_stack 0
		.amdhsa_system_sgpr_private_segment_wavefront_offset 0
		.amdhsa_system_sgpr_workgroup_id_x 1
		.amdhsa_system_sgpr_workgroup_id_y 0
		.amdhsa_system_sgpr_workgroup_id_z 0
		.amdhsa_system_sgpr_workgroup_info 0
		.amdhsa_system_vgpr_workitem_id 0
		.amdhsa_next_free_vgpr 1
		.amdhsa_next_free_sgpr 0
		.amdhsa_accum_offset 4
		.amdhsa_reserve_vcc 0
		.amdhsa_reserve_flat_scratch 0
		.amdhsa_float_round_mode_32 0
		.amdhsa_float_round_mode_16_64 0
		.amdhsa_float_denorm_mode_32 3
		.amdhsa_float_denorm_mode_16_64 3
		.amdhsa_dx10_clamp 1
		.amdhsa_ieee_mode 1
		.amdhsa_fp16_overflow 0
		.amdhsa_tg_split 0
		.amdhsa_exception_fp_ieee_invalid_op 0
		.amdhsa_exception_fp_denorm_src 0
		.amdhsa_exception_fp_ieee_div_zero 0
		.amdhsa_exception_fp_ieee_overflow 0
		.amdhsa_exception_fp_ieee_underflow 0
		.amdhsa_exception_fp_ieee_inexact 0
		.amdhsa_exception_int_div_zero 0
	.end_amdhsa_kernel
	.section	.text._ZN7rocprim17ROCPRIM_400000_NS6detail17trampoline_kernelINS0_14default_configENS1_27scan_by_key_config_selectorIxxEEZZNS1_16scan_by_key_implILNS1_25lookback_scan_determinismE0ELb0ES3_N6thrust23THRUST_200600_302600_NS6detail15normal_iteratorINS9_10device_ptrIxEEEESE_SE_xNS9_10multipliesIxEENS9_8equal_toIxEExEE10hipError_tPvRmT2_T3_T4_T5_mT6_T7_P12ihipStream_tbENKUlT_T0_E_clISt17integral_constantIbLb0EESZ_EEDaSU_SV_EUlSU_E_NS1_11comp_targetILNS1_3genE8ELNS1_11target_archE1030ELNS1_3gpuE2ELNS1_3repE0EEENS1_30default_config_static_selectorELNS0_4arch9wavefront6targetE1EEEvT1_,"axG",@progbits,_ZN7rocprim17ROCPRIM_400000_NS6detail17trampoline_kernelINS0_14default_configENS1_27scan_by_key_config_selectorIxxEEZZNS1_16scan_by_key_implILNS1_25lookback_scan_determinismE0ELb0ES3_N6thrust23THRUST_200600_302600_NS6detail15normal_iteratorINS9_10device_ptrIxEEEESE_SE_xNS9_10multipliesIxEENS9_8equal_toIxEExEE10hipError_tPvRmT2_T3_T4_T5_mT6_T7_P12ihipStream_tbENKUlT_T0_E_clISt17integral_constantIbLb0EESZ_EEDaSU_SV_EUlSU_E_NS1_11comp_targetILNS1_3genE8ELNS1_11target_archE1030ELNS1_3gpuE2ELNS1_3repE0EEENS1_30default_config_static_selectorELNS0_4arch9wavefront6targetE1EEEvT1_,comdat
.Lfunc_end55:
	.size	_ZN7rocprim17ROCPRIM_400000_NS6detail17trampoline_kernelINS0_14default_configENS1_27scan_by_key_config_selectorIxxEEZZNS1_16scan_by_key_implILNS1_25lookback_scan_determinismE0ELb0ES3_N6thrust23THRUST_200600_302600_NS6detail15normal_iteratorINS9_10device_ptrIxEEEESE_SE_xNS9_10multipliesIxEENS9_8equal_toIxEExEE10hipError_tPvRmT2_T3_T4_T5_mT6_T7_P12ihipStream_tbENKUlT_T0_E_clISt17integral_constantIbLb0EESZ_EEDaSU_SV_EUlSU_E_NS1_11comp_targetILNS1_3genE8ELNS1_11target_archE1030ELNS1_3gpuE2ELNS1_3repE0EEENS1_30default_config_static_selectorELNS0_4arch9wavefront6targetE1EEEvT1_, .Lfunc_end55-_ZN7rocprim17ROCPRIM_400000_NS6detail17trampoline_kernelINS0_14default_configENS1_27scan_by_key_config_selectorIxxEEZZNS1_16scan_by_key_implILNS1_25lookback_scan_determinismE0ELb0ES3_N6thrust23THRUST_200600_302600_NS6detail15normal_iteratorINS9_10device_ptrIxEEEESE_SE_xNS9_10multipliesIxEENS9_8equal_toIxEExEE10hipError_tPvRmT2_T3_T4_T5_mT6_T7_P12ihipStream_tbENKUlT_T0_E_clISt17integral_constantIbLb0EESZ_EEDaSU_SV_EUlSU_E_NS1_11comp_targetILNS1_3genE8ELNS1_11target_archE1030ELNS1_3gpuE2ELNS1_3repE0EEENS1_30default_config_static_selectorELNS0_4arch9wavefront6targetE1EEEvT1_
                                        ; -- End function
	.section	.AMDGPU.csdata,"",@progbits
; Kernel info:
; codeLenInByte = 0
; NumSgprs: 4
; NumVgprs: 0
; NumAgprs: 0
; TotalNumVgprs: 0
; ScratchSize: 0
; MemoryBound: 0
; FloatMode: 240
; IeeeMode: 1
; LDSByteSize: 0 bytes/workgroup (compile time only)
; SGPRBlocks: 0
; VGPRBlocks: 0
; NumSGPRsForWavesPerEU: 4
; NumVGPRsForWavesPerEU: 1
; AccumOffset: 4
; Occupancy: 8
; WaveLimiterHint : 0
; COMPUTE_PGM_RSRC2:SCRATCH_EN: 0
; COMPUTE_PGM_RSRC2:USER_SGPR: 6
; COMPUTE_PGM_RSRC2:TRAP_HANDLER: 0
; COMPUTE_PGM_RSRC2:TGID_X_EN: 1
; COMPUTE_PGM_RSRC2:TGID_Y_EN: 0
; COMPUTE_PGM_RSRC2:TGID_Z_EN: 0
; COMPUTE_PGM_RSRC2:TIDIG_COMP_CNT: 0
; COMPUTE_PGM_RSRC3_GFX90A:ACCUM_OFFSET: 0
; COMPUTE_PGM_RSRC3_GFX90A:TG_SPLIT: 0
	.section	.text._ZN7rocprim17ROCPRIM_400000_NS6detail17trampoline_kernelINS0_14default_configENS1_27scan_by_key_config_selectorIxxEEZZNS1_16scan_by_key_implILNS1_25lookback_scan_determinismE0ELb0ES3_N6thrust23THRUST_200600_302600_NS6detail15normal_iteratorINS9_10device_ptrIxEEEESE_SE_xNS9_10multipliesIxEENS9_8equal_toIxEExEE10hipError_tPvRmT2_T3_T4_T5_mT6_T7_P12ihipStream_tbENKUlT_T0_E_clISt17integral_constantIbLb1EESZ_EEDaSU_SV_EUlSU_E_NS1_11comp_targetILNS1_3genE0ELNS1_11target_archE4294967295ELNS1_3gpuE0ELNS1_3repE0EEENS1_30default_config_static_selectorELNS0_4arch9wavefront6targetE1EEEvT1_,"axG",@progbits,_ZN7rocprim17ROCPRIM_400000_NS6detail17trampoline_kernelINS0_14default_configENS1_27scan_by_key_config_selectorIxxEEZZNS1_16scan_by_key_implILNS1_25lookback_scan_determinismE0ELb0ES3_N6thrust23THRUST_200600_302600_NS6detail15normal_iteratorINS9_10device_ptrIxEEEESE_SE_xNS9_10multipliesIxEENS9_8equal_toIxEExEE10hipError_tPvRmT2_T3_T4_T5_mT6_T7_P12ihipStream_tbENKUlT_T0_E_clISt17integral_constantIbLb1EESZ_EEDaSU_SV_EUlSU_E_NS1_11comp_targetILNS1_3genE0ELNS1_11target_archE4294967295ELNS1_3gpuE0ELNS1_3repE0EEENS1_30default_config_static_selectorELNS0_4arch9wavefront6targetE1EEEvT1_,comdat
	.protected	_ZN7rocprim17ROCPRIM_400000_NS6detail17trampoline_kernelINS0_14default_configENS1_27scan_by_key_config_selectorIxxEEZZNS1_16scan_by_key_implILNS1_25lookback_scan_determinismE0ELb0ES3_N6thrust23THRUST_200600_302600_NS6detail15normal_iteratorINS9_10device_ptrIxEEEESE_SE_xNS9_10multipliesIxEENS9_8equal_toIxEExEE10hipError_tPvRmT2_T3_T4_T5_mT6_T7_P12ihipStream_tbENKUlT_T0_E_clISt17integral_constantIbLb1EESZ_EEDaSU_SV_EUlSU_E_NS1_11comp_targetILNS1_3genE0ELNS1_11target_archE4294967295ELNS1_3gpuE0ELNS1_3repE0EEENS1_30default_config_static_selectorELNS0_4arch9wavefront6targetE1EEEvT1_ ; -- Begin function _ZN7rocprim17ROCPRIM_400000_NS6detail17trampoline_kernelINS0_14default_configENS1_27scan_by_key_config_selectorIxxEEZZNS1_16scan_by_key_implILNS1_25lookback_scan_determinismE0ELb0ES3_N6thrust23THRUST_200600_302600_NS6detail15normal_iteratorINS9_10device_ptrIxEEEESE_SE_xNS9_10multipliesIxEENS9_8equal_toIxEExEE10hipError_tPvRmT2_T3_T4_T5_mT6_T7_P12ihipStream_tbENKUlT_T0_E_clISt17integral_constantIbLb1EESZ_EEDaSU_SV_EUlSU_E_NS1_11comp_targetILNS1_3genE0ELNS1_11target_archE4294967295ELNS1_3gpuE0ELNS1_3repE0EEENS1_30default_config_static_selectorELNS0_4arch9wavefront6targetE1EEEvT1_
	.globl	_ZN7rocprim17ROCPRIM_400000_NS6detail17trampoline_kernelINS0_14default_configENS1_27scan_by_key_config_selectorIxxEEZZNS1_16scan_by_key_implILNS1_25lookback_scan_determinismE0ELb0ES3_N6thrust23THRUST_200600_302600_NS6detail15normal_iteratorINS9_10device_ptrIxEEEESE_SE_xNS9_10multipliesIxEENS9_8equal_toIxEExEE10hipError_tPvRmT2_T3_T4_T5_mT6_T7_P12ihipStream_tbENKUlT_T0_E_clISt17integral_constantIbLb1EESZ_EEDaSU_SV_EUlSU_E_NS1_11comp_targetILNS1_3genE0ELNS1_11target_archE4294967295ELNS1_3gpuE0ELNS1_3repE0EEENS1_30default_config_static_selectorELNS0_4arch9wavefront6targetE1EEEvT1_
	.p2align	8
	.type	_ZN7rocprim17ROCPRIM_400000_NS6detail17trampoline_kernelINS0_14default_configENS1_27scan_by_key_config_selectorIxxEEZZNS1_16scan_by_key_implILNS1_25lookback_scan_determinismE0ELb0ES3_N6thrust23THRUST_200600_302600_NS6detail15normal_iteratorINS9_10device_ptrIxEEEESE_SE_xNS9_10multipliesIxEENS9_8equal_toIxEExEE10hipError_tPvRmT2_T3_T4_T5_mT6_T7_P12ihipStream_tbENKUlT_T0_E_clISt17integral_constantIbLb1EESZ_EEDaSU_SV_EUlSU_E_NS1_11comp_targetILNS1_3genE0ELNS1_11target_archE4294967295ELNS1_3gpuE0ELNS1_3repE0EEENS1_30default_config_static_selectorELNS0_4arch9wavefront6targetE1EEEvT1_,@function
_ZN7rocprim17ROCPRIM_400000_NS6detail17trampoline_kernelINS0_14default_configENS1_27scan_by_key_config_selectorIxxEEZZNS1_16scan_by_key_implILNS1_25lookback_scan_determinismE0ELb0ES3_N6thrust23THRUST_200600_302600_NS6detail15normal_iteratorINS9_10device_ptrIxEEEESE_SE_xNS9_10multipliesIxEENS9_8equal_toIxEExEE10hipError_tPvRmT2_T3_T4_T5_mT6_T7_P12ihipStream_tbENKUlT_T0_E_clISt17integral_constantIbLb1EESZ_EEDaSU_SV_EUlSU_E_NS1_11comp_targetILNS1_3genE0ELNS1_11target_archE4294967295ELNS1_3gpuE0ELNS1_3repE0EEENS1_30default_config_static_selectorELNS0_4arch9wavefront6targetE1EEEvT1_: ; @_ZN7rocprim17ROCPRIM_400000_NS6detail17trampoline_kernelINS0_14default_configENS1_27scan_by_key_config_selectorIxxEEZZNS1_16scan_by_key_implILNS1_25lookback_scan_determinismE0ELb0ES3_N6thrust23THRUST_200600_302600_NS6detail15normal_iteratorINS9_10device_ptrIxEEEESE_SE_xNS9_10multipliesIxEENS9_8equal_toIxEExEE10hipError_tPvRmT2_T3_T4_T5_mT6_T7_P12ihipStream_tbENKUlT_T0_E_clISt17integral_constantIbLb1EESZ_EEDaSU_SV_EUlSU_E_NS1_11comp_targetILNS1_3genE0ELNS1_11target_archE4294967295ELNS1_3gpuE0ELNS1_3repE0EEENS1_30default_config_static_selectorELNS0_4arch9wavefront6targetE1EEEvT1_
; %bb.0:
	.section	.rodata,"a",@progbits
	.p2align	6, 0x0
	.amdhsa_kernel _ZN7rocprim17ROCPRIM_400000_NS6detail17trampoline_kernelINS0_14default_configENS1_27scan_by_key_config_selectorIxxEEZZNS1_16scan_by_key_implILNS1_25lookback_scan_determinismE0ELb0ES3_N6thrust23THRUST_200600_302600_NS6detail15normal_iteratorINS9_10device_ptrIxEEEESE_SE_xNS9_10multipliesIxEENS9_8equal_toIxEExEE10hipError_tPvRmT2_T3_T4_T5_mT6_T7_P12ihipStream_tbENKUlT_T0_E_clISt17integral_constantIbLb1EESZ_EEDaSU_SV_EUlSU_E_NS1_11comp_targetILNS1_3genE0ELNS1_11target_archE4294967295ELNS1_3gpuE0ELNS1_3repE0EEENS1_30default_config_static_selectorELNS0_4arch9wavefront6targetE1EEEvT1_
		.amdhsa_group_segment_fixed_size 0
		.amdhsa_private_segment_fixed_size 0
		.amdhsa_kernarg_size 136
		.amdhsa_user_sgpr_count 6
		.amdhsa_user_sgpr_private_segment_buffer 1
		.amdhsa_user_sgpr_dispatch_ptr 0
		.amdhsa_user_sgpr_queue_ptr 0
		.amdhsa_user_sgpr_kernarg_segment_ptr 1
		.amdhsa_user_sgpr_dispatch_id 0
		.amdhsa_user_sgpr_flat_scratch_init 0
		.amdhsa_user_sgpr_kernarg_preload_length 0
		.amdhsa_user_sgpr_kernarg_preload_offset 0
		.amdhsa_user_sgpr_private_segment_size 0
		.amdhsa_uses_dynamic_stack 0
		.amdhsa_system_sgpr_private_segment_wavefront_offset 0
		.amdhsa_system_sgpr_workgroup_id_x 1
		.amdhsa_system_sgpr_workgroup_id_y 0
		.amdhsa_system_sgpr_workgroup_id_z 0
		.amdhsa_system_sgpr_workgroup_info 0
		.amdhsa_system_vgpr_workitem_id 0
		.amdhsa_next_free_vgpr 1
		.amdhsa_next_free_sgpr 0
		.amdhsa_accum_offset 4
		.amdhsa_reserve_vcc 0
		.amdhsa_reserve_flat_scratch 0
		.amdhsa_float_round_mode_32 0
		.amdhsa_float_round_mode_16_64 0
		.amdhsa_float_denorm_mode_32 3
		.amdhsa_float_denorm_mode_16_64 3
		.amdhsa_dx10_clamp 1
		.amdhsa_ieee_mode 1
		.amdhsa_fp16_overflow 0
		.amdhsa_tg_split 0
		.amdhsa_exception_fp_ieee_invalid_op 0
		.amdhsa_exception_fp_denorm_src 0
		.amdhsa_exception_fp_ieee_div_zero 0
		.amdhsa_exception_fp_ieee_overflow 0
		.amdhsa_exception_fp_ieee_underflow 0
		.amdhsa_exception_fp_ieee_inexact 0
		.amdhsa_exception_int_div_zero 0
	.end_amdhsa_kernel
	.section	.text._ZN7rocprim17ROCPRIM_400000_NS6detail17trampoline_kernelINS0_14default_configENS1_27scan_by_key_config_selectorIxxEEZZNS1_16scan_by_key_implILNS1_25lookback_scan_determinismE0ELb0ES3_N6thrust23THRUST_200600_302600_NS6detail15normal_iteratorINS9_10device_ptrIxEEEESE_SE_xNS9_10multipliesIxEENS9_8equal_toIxEExEE10hipError_tPvRmT2_T3_T4_T5_mT6_T7_P12ihipStream_tbENKUlT_T0_E_clISt17integral_constantIbLb1EESZ_EEDaSU_SV_EUlSU_E_NS1_11comp_targetILNS1_3genE0ELNS1_11target_archE4294967295ELNS1_3gpuE0ELNS1_3repE0EEENS1_30default_config_static_selectorELNS0_4arch9wavefront6targetE1EEEvT1_,"axG",@progbits,_ZN7rocprim17ROCPRIM_400000_NS6detail17trampoline_kernelINS0_14default_configENS1_27scan_by_key_config_selectorIxxEEZZNS1_16scan_by_key_implILNS1_25lookback_scan_determinismE0ELb0ES3_N6thrust23THRUST_200600_302600_NS6detail15normal_iteratorINS9_10device_ptrIxEEEESE_SE_xNS9_10multipliesIxEENS9_8equal_toIxEExEE10hipError_tPvRmT2_T3_T4_T5_mT6_T7_P12ihipStream_tbENKUlT_T0_E_clISt17integral_constantIbLb1EESZ_EEDaSU_SV_EUlSU_E_NS1_11comp_targetILNS1_3genE0ELNS1_11target_archE4294967295ELNS1_3gpuE0ELNS1_3repE0EEENS1_30default_config_static_selectorELNS0_4arch9wavefront6targetE1EEEvT1_,comdat
.Lfunc_end56:
	.size	_ZN7rocprim17ROCPRIM_400000_NS6detail17trampoline_kernelINS0_14default_configENS1_27scan_by_key_config_selectorIxxEEZZNS1_16scan_by_key_implILNS1_25lookback_scan_determinismE0ELb0ES3_N6thrust23THRUST_200600_302600_NS6detail15normal_iteratorINS9_10device_ptrIxEEEESE_SE_xNS9_10multipliesIxEENS9_8equal_toIxEExEE10hipError_tPvRmT2_T3_T4_T5_mT6_T7_P12ihipStream_tbENKUlT_T0_E_clISt17integral_constantIbLb1EESZ_EEDaSU_SV_EUlSU_E_NS1_11comp_targetILNS1_3genE0ELNS1_11target_archE4294967295ELNS1_3gpuE0ELNS1_3repE0EEENS1_30default_config_static_selectorELNS0_4arch9wavefront6targetE1EEEvT1_, .Lfunc_end56-_ZN7rocprim17ROCPRIM_400000_NS6detail17trampoline_kernelINS0_14default_configENS1_27scan_by_key_config_selectorIxxEEZZNS1_16scan_by_key_implILNS1_25lookback_scan_determinismE0ELb0ES3_N6thrust23THRUST_200600_302600_NS6detail15normal_iteratorINS9_10device_ptrIxEEEESE_SE_xNS9_10multipliesIxEENS9_8equal_toIxEExEE10hipError_tPvRmT2_T3_T4_T5_mT6_T7_P12ihipStream_tbENKUlT_T0_E_clISt17integral_constantIbLb1EESZ_EEDaSU_SV_EUlSU_E_NS1_11comp_targetILNS1_3genE0ELNS1_11target_archE4294967295ELNS1_3gpuE0ELNS1_3repE0EEENS1_30default_config_static_selectorELNS0_4arch9wavefront6targetE1EEEvT1_
                                        ; -- End function
	.section	.AMDGPU.csdata,"",@progbits
; Kernel info:
; codeLenInByte = 0
; NumSgprs: 4
; NumVgprs: 0
; NumAgprs: 0
; TotalNumVgprs: 0
; ScratchSize: 0
; MemoryBound: 0
; FloatMode: 240
; IeeeMode: 1
; LDSByteSize: 0 bytes/workgroup (compile time only)
; SGPRBlocks: 0
; VGPRBlocks: 0
; NumSGPRsForWavesPerEU: 4
; NumVGPRsForWavesPerEU: 1
; AccumOffset: 4
; Occupancy: 8
; WaveLimiterHint : 0
; COMPUTE_PGM_RSRC2:SCRATCH_EN: 0
; COMPUTE_PGM_RSRC2:USER_SGPR: 6
; COMPUTE_PGM_RSRC2:TRAP_HANDLER: 0
; COMPUTE_PGM_RSRC2:TGID_X_EN: 1
; COMPUTE_PGM_RSRC2:TGID_Y_EN: 0
; COMPUTE_PGM_RSRC2:TGID_Z_EN: 0
; COMPUTE_PGM_RSRC2:TIDIG_COMP_CNT: 0
; COMPUTE_PGM_RSRC3_GFX90A:ACCUM_OFFSET: 0
; COMPUTE_PGM_RSRC3_GFX90A:TG_SPLIT: 0
	.section	.text._ZN7rocprim17ROCPRIM_400000_NS6detail17trampoline_kernelINS0_14default_configENS1_27scan_by_key_config_selectorIxxEEZZNS1_16scan_by_key_implILNS1_25lookback_scan_determinismE0ELb0ES3_N6thrust23THRUST_200600_302600_NS6detail15normal_iteratorINS9_10device_ptrIxEEEESE_SE_xNS9_10multipliesIxEENS9_8equal_toIxEExEE10hipError_tPvRmT2_T3_T4_T5_mT6_T7_P12ihipStream_tbENKUlT_T0_E_clISt17integral_constantIbLb1EESZ_EEDaSU_SV_EUlSU_E_NS1_11comp_targetILNS1_3genE10ELNS1_11target_archE1201ELNS1_3gpuE5ELNS1_3repE0EEENS1_30default_config_static_selectorELNS0_4arch9wavefront6targetE1EEEvT1_,"axG",@progbits,_ZN7rocprim17ROCPRIM_400000_NS6detail17trampoline_kernelINS0_14default_configENS1_27scan_by_key_config_selectorIxxEEZZNS1_16scan_by_key_implILNS1_25lookback_scan_determinismE0ELb0ES3_N6thrust23THRUST_200600_302600_NS6detail15normal_iteratorINS9_10device_ptrIxEEEESE_SE_xNS9_10multipliesIxEENS9_8equal_toIxEExEE10hipError_tPvRmT2_T3_T4_T5_mT6_T7_P12ihipStream_tbENKUlT_T0_E_clISt17integral_constantIbLb1EESZ_EEDaSU_SV_EUlSU_E_NS1_11comp_targetILNS1_3genE10ELNS1_11target_archE1201ELNS1_3gpuE5ELNS1_3repE0EEENS1_30default_config_static_selectorELNS0_4arch9wavefront6targetE1EEEvT1_,comdat
	.protected	_ZN7rocprim17ROCPRIM_400000_NS6detail17trampoline_kernelINS0_14default_configENS1_27scan_by_key_config_selectorIxxEEZZNS1_16scan_by_key_implILNS1_25lookback_scan_determinismE0ELb0ES3_N6thrust23THRUST_200600_302600_NS6detail15normal_iteratorINS9_10device_ptrIxEEEESE_SE_xNS9_10multipliesIxEENS9_8equal_toIxEExEE10hipError_tPvRmT2_T3_T4_T5_mT6_T7_P12ihipStream_tbENKUlT_T0_E_clISt17integral_constantIbLb1EESZ_EEDaSU_SV_EUlSU_E_NS1_11comp_targetILNS1_3genE10ELNS1_11target_archE1201ELNS1_3gpuE5ELNS1_3repE0EEENS1_30default_config_static_selectorELNS0_4arch9wavefront6targetE1EEEvT1_ ; -- Begin function _ZN7rocprim17ROCPRIM_400000_NS6detail17trampoline_kernelINS0_14default_configENS1_27scan_by_key_config_selectorIxxEEZZNS1_16scan_by_key_implILNS1_25lookback_scan_determinismE0ELb0ES3_N6thrust23THRUST_200600_302600_NS6detail15normal_iteratorINS9_10device_ptrIxEEEESE_SE_xNS9_10multipliesIxEENS9_8equal_toIxEExEE10hipError_tPvRmT2_T3_T4_T5_mT6_T7_P12ihipStream_tbENKUlT_T0_E_clISt17integral_constantIbLb1EESZ_EEDaSU_SV_EUlSU_E_NS1_11comp_targetILNS1_3genE10ELNS1_11target_archE1201ELNS1_3gpuE5ELNS1_3repE0EEENS1_30default_config_static_selectorELNS0_4arch9wavefront6targetE1EEEvT1_
	.globl	_ZN7rocprim17ROCPRIM_400000_NS6detail17trampoline_kernelINS0_14default_configENS1_27scan_by_key_config_selectorIxxEEZZNS1_16scan_by_key_implILNS1_25lookback_scan_determinismE0ELb0ES3_N6thrust23THRUST_200600_302600_NS6detail15normal_iteratorINS9_10device_ptrIxEEEESE_SE_xNS9_10multipliesIxEENS9_8equal_toIxEExEE10hipError_tPvRmT2_T3_T4_T5_mT6_T7_P12ihipStream_tbENKUlT_T0_E_clISt17integral_constantIbLb1EESZ_EEDaSU_SV_EUlSU_E_NS1_11comp_targetILNS1_3genE10ELNS1_11target_archE1201ELNS1_3gpuE5ELNS1_3repE0EEENS1_30default_config_static_selectorELNS0_4arch9wavefront6targetE1EEEvT1_
	.p2align	8
	.type	_ZN7rocprim17ROCPRIM_400000_NS6detail17trampoline_kernelINS0_14default_configENS1_27scan_by_key_config_selectorIxxEEZZNS1_16scan_by_key_implILNS1_25lookback_scan_determinismE0ELb0ES3_N6thrust23THRUST_200600_302600_NS6detail15normal_iteratorINS9_10device_ptrIxEEEESE_SE_xNS9_10multipliesIxEENS9_8equal_toIxEExEE10hipError_tPvRmT2_T3_T4_T5_mT6_T7_P12ihipStream_tbENKUlT_T0_E_clISt17integral_constantIbLb1EESZ_EEDaSU_SV_EUlSU_E_NS1_11comp_targetILNS1_3genE10ELNS1_11target_archE1201ELNS1_3gpuE5ELNS1_3repE0EEENS1_30default_config_static_selectorELNS0_4arch9wavefront6targetE1EEEvT1_,@function
_ZN7rocprim17ROCPRIM_400000_NS6detail17trampoline_kernelINS0_14default_configENS1_27scan_by_key_config_selectorIxxEEZZNS1_16scan_by_key_implILNS1_25lookback_scan_determinismE0ELb0ES3_N6thrust23THRUST_200600_302600_NS6detail15normal_iteratorINS9_10device_ptrIxEEEESE_SE_xNS9_10multipliesIxEENS9_8equal_toIxEExEE10hipError_tPvRmT2_T3_T4_T5_mT6_T7_P12ihipStream_tbENKUlT_T0_E_clISt17integral_constantIbLb1EESZ_EEDaSU_SV_EUlSU_E_NS1_11comp_targetILNS1_3genE10ELNS1_11target_archE1201ELNS1_3gpuE5ELNS1_3repE0EEENS1_30default_config_static_selectorELNS0_4arch9wavefront6targetE1EEEvT1_: ; @_ZN7rocprim17ROCPRIM_400000_NS6detail17trampoline_kernelINS0_14default_configENS1_27scan_by_key_config_selectorIxxEEZZNS1_16scan_by_key_implILNS1_25lookback_scan_determinismE0ELb0ES3_N6thrust23THRUST_200600_302600_NS6detail15normal_iteratorINS9_10device_ptrIxEEEESE_SE_xNS9_10multipliesIxEENS9_8equal_toIxEExEE10hipError_tPvRmT2_T3_T4_T5_mT6_T7_P12ihipStream_tbENKUlT_T0_E_clISt17integral_constantIbLb1EESZ_EEDaSU_SV_EUlSU_E_NS1_11comp_targetILNS1_3genE10ELNS1_11target_archE1201ELNS1_3gpuE5ELNS1_3repE0EEENS1_30default_config_static_selectorELNS0_4arch9wavefront6targetE1EEEvT1_
; %bb.0:
	.section	.rodata,"a",@progbits
	.p2align	6, 0x0
	.amdhsa_kernel _ZN7rocprim17ROCPRIM_400000_NS6detail17trampoline_kernelINS0_14default_configENS1_27scan_by_key_config_selectorIxxEEZZNS1_16scan_by_key_implILNS1_25lookback_scan_determinismE0ELb0ES3_N6thrust23THRUST_200600_302600_NS6detail15normal_iteratorINS9_10device_ptrIxEEEESE_SE_xNS9_10multipliesIxEENS9_8equal_toIxEExEE10hipError_tPvRmT2_T3_T4_T5_mT6_T7_P12ihipStream_tbENKUlT_T0_E_clISt17integral_constantIbLb1EESZ_EEDaSU_SV_EUlSU_E_NS1_11comp_targetILNS1_3genE10ELNS1_11target_archE1201ELNS1_3gpuE5ELNS1_3repE0EEENS1_30default_config_static_selectorELNS0_4arch9wavefront6targetE1EEEvT1_
		.amdhsa_group_segment_fixed_size 0
		.amdhsa_private_segment_fixed_size 0
		.amdhsa_kernarg_size 136
		.amdhsa_user_sgpr_count 6
		.amdhsa_user_sgpr_private_segment_buffer 1
		.amdhsa_user_sgpr_dispatch_ptr 0
		.amdhsa_user_sgpr_queue_ptr 0
		.amdhsa_user_sgpr_kernarg_segment_ptr 1
		.amdhsa_user_sgpr_dispatch_id 0
		.amdhsa_user_sgpr_flat_scratch_init 0
		.amdhsa_user_sgpr_kernarg_preload_length 0
		.amdhsa_user_sgpr_kernarg_preload_offset 0
		.amdhsa_user_sgpr_private_segment_size 0
		.amdhsa_uses_dynamic_stack 0
		.amdhsa_system_sgpr_private_segment_wavefront_offset 0
		.amdhsa_system_sgpr_workgroup_id_x 1
		.amdhsa_system_sgpr_workgroup_id_y 0
		.amdhsa_system_sgpr_workgroup_id_z 0
		.amdhsa_system_sgpr_workgroup_info 0
		.amdhsa_system_vgpr_workitem_id 0
		.amdhsa_next_free_vgpr 1
		.amdhsa_next_free_sgpr 0
		.amdhsa_accum_offset 4
		.amdhsa_reserve_vcc 0
		.amdhsa_reserve_flat_scratch 0
		.amdhsa_float_round_mode_32 0
		.amdhsa_float_round_mode_16_64 0
		.amdhsa_float_denorm_mode_32 3
		.amdhsa_float_denorm_mode_16_64 3
		.amdhsa_dx10_clamp 1
		.amdhsa_ieee_mode 1
		.amdhsa_fp16_overflow 0
		.amdhsa_tg_split 0
		.amdhsa_exception_fp_ieee_invalid_op 0
		.amdhsa_exception_fp_denorm_src 0
		.amdhsa_exception_fp_ieee_div_zero 0
		.amdhsa_exception_fp_ieee_overflow 0
		.amdhsa_exception_fp_ieee_underflow 0
		.amdhsa_exception_fp_ieee_inexact 0
		.amdhsa_exception_int_div_zero 0
	.end_amdhsa_kernel
	.section	.text._ZN7rocprim17ROCPRIM_400000_NS6detail17trampoline_kernelINS0_14default_configENS1_27scan_by_key_config_selectorIxxEEZZNS1_16scan_by_key_implILNS1_25lookback_scan_determinismE0ELb0ES3_N6thrust23THRUST_200600_302600_NS6detail15normal_iteratorINS9_10device_ptrIxEEEESE_SE_xNS9_10multipliesIxEENS9_8equal_toIxEExEE10hipError_tPvRmT2_T3_T4_T5_mT6_T7_P12ihipStream_tbENKUlT_T0_E_clISt17integral_constantIbLb1EESZ_EEDaSU_SV_EUlSU_E_NS1_11comp_targetILNS1_3genE10ELNS1_11target_archE1201ELNS1_3gpuE5ELNS1_3repE0EEENS1_30default_config_static_selectorELNS0_4arch9wavefront6targetE1EEEvT1_,"axG",@progbits,_ZN7rocprim17ROCPRIM_400000_NS6detail17trampoline_kernelINS0_14default_configENS1_27scan_by_key_config_selectorIxxEEZZNS1_16scan_by_key_implILNS1_25lookback_scan_determinismE0ELb0ES3_N6thrust23THRUST_200600_302600_NS6detail15normal_iteratorINS9_10device_ptrIxEEEESE_SE_xNS9_10multipliesIxEENS9_8equal_toIxEExEE10hipError_tPvRmT2_T3_T4_T5_mT6_T7_P12ihipStream_tbENKUlT_T0_E_clISt17integral_constantIbLb1EESZ_EEDaSU_SV_EUlSU_E_NS1_11comp_targetILNS1_3genE10ELNS1_11target_archE1201ELNS1_3gpuE5ELNS1_3repE0EEENS1_30default_config_static_selectorELNS0_4arch9wavefront6targetE1EEEvT1_,comdat
.Lfunc_end57:
	.size	_ZN7rocprim17ROCPRIM_400000_NS6detail17trampoline_kernelINS0_14default_configENS1_27scan_by_key_config_selectorIxxEEZZNS1_16scan_by_key_implILNS1_25lookback_scan_determinismE0ELb0ES3_N6thrust23THRUST_200600_302600_NS6detail15normal_iteratorINS9_10device_ptrIxEEEESE_SE_xNS9_10multipliesIxEENS9_8equal_toIxEExEE10hipError_tPvRmT2_T3_T4_T5_mT6_T7_P12ihipStream_tbENKUlT_T0_E_clISt17integral_constantIbLb1EESZ_EEDaSU_SV_EUlSU_E_NS1_11comp_targetILNS1_3genE10ELNS1_11target_archE1201ELNS1_3gpuE5ELNS1_3repE0EEENS1_30default_config_static_selectorELNS0_4arch9wavefront6targetE1EEEvT1_, .Lfunc_end57-_ZN7rocprim17ROCPRIM_400000_NS6detail17trampoline_kernelINS0_14default_configENS1_27scan_by_key_config_selectorIxxEEZZNS1_16scan_by_key_implILNS1_25lookback_scan_determinismE0ELb0ES3_N6thrust23THRUST_200600_302600_NS6detail15normal_iteratorINS9_10device_ptrIxEEEESE_SE_xNS9_10multipliesIxEENS9_8equal_toIxEExEE10hipError_tPvRmT2_T3_T4_T5_mT6_T7_P12ihipStream_tbENKUlT_T0_E_clISt17integral_constantIbLb1EESZ_EEDaSU_SV_EUlSU_E_NS1_11comp_targetILNS1_3genE10ELNS1_11target_archE1201ELNS1_3gpuE5ELNS1_3repE0EEENS1_30default_config_static_selectorELNS0_4arch9wavefront6targetE1EEEvT1_
                                        ; -- End function
	.section	.AMDGPU.csdata,"",@progbits
; Kernel info:
; codeLenInByte = 0
; NumSgprs: 4
; NumVgprs: 0
; NumAgprs: 0
; TotalNumVgprs: 0
; ScratchSize: 0
; MemoryBound: 0
; FloatMode: 240
; IeeeMode: 1
; LDSByteSize: 0 bytes/workgroup (compile time only)
; SGPRBlocks: 0
; VGPRBlocks: 0
; NumSGPRsForWavesPerEU: 4
; NumVGPRsForWavesPerEU: 1
; AccumOffset: 4
; Occupancy: 8
; WaveLimiterHint : 0
; COMPUTE_PGM_RSRC2:SCRATCH_EN: 0
; COMPUTE_PGM_RSRC2:USER_SGPR: 6
; COMPUTE_PGM_RSRC2:TRAP_HANDLER: 0
; COMPUTE_PGM_RSRC2:TGID_X_EN: 1
; COMPUTE_PGM_RSRC2:TGID_Y_EN: 0
; COMPUTE_PGM_RSRC2:TGID_Z_EN: 0
; COMPUTE_PGM_RSRC2:TIDIG_COMP_CNT: 0
; COMPUTE_PGM_RSRC3_GFX90A:ACCUM_OFFSET: 0
; COMPUTE_PGM_RSRC3_GFX90A:TG_SPLIT: 0
	.section	.text._ZN7rocprim17ROCPRIM_400000_NS6detail17trampoline_kernelINS0_14default_configENS1_27scan_by_key_config_selectorIxxEEZZNS1_16scan_by_key_implILNS1_25lookback_scan_determinismE0ELb0ES3_N6thrust23THRUST_200600_302600_NS6detail15normal_iteratorINS9_10device_ptrIxEEEESE_SE_xNS9_10multipliesIxEENS9_8equal_toIxEExEE10hipError_tPvRmT2_T3_T4_T5_mT6_T7_P12ihipStream_tbENKUlT_T0_E_clISt17integral_constantIbLb1EESZ_EEDaSU_SV_EUlSU_E_NS1_11comp_targetILNS1_3genE5ELNS1_11target_archE942ELNS1_3gpuE9ELNS1_3repE0EEENS1_30default_config_static_selectorELNS0_4arch9wavefront6targetE1EEEvT1_,"axG",@progbits,_ZN7rocprim17ROCPRIM_400000_NS6detail17trampoline_kernelINS0_14default_configENS1_27scan_by_key_config_selectorIxxEEZZNS1_16scan_by_key_implILNS1_25lookback_scan_determinismE0ELb0ES3_N6thrust23THRUST_200600_302600_NS6detail15normal_iteratorINS9_10device_ptrIxEEEESE_SE_xNS9_10multipliesIxEENS9_8equal_toIxEExEE10hipError_tPvRmT2_T3_T4_T5_mT6_T7_P12ihipStream_tbENKUlT_T0_E_clISt17integral_constantIbLb1EESZ_EEDaSU_SV_EUlSU_E_NS1_11comp_targetILNS1_3genE5ELNS1_11target_archE942ELNS1_3gpuE9ELNS1_3repE0EEENS1_30default_config_static_selectorELNS0_4arch9wavefront6targetE1EEEvT1_,comdat
	.protected	_ZN7rocprim17ROCPRIM_400000_NS6detail17trampoline_kernelINS0_14default_configENS1_27scan_by_key_config_selectorIxxEEZZNS1_16scan_by_key_implILNS1_25lookback_scan_determinismE0ELb0ES3_N6thrust23THRUST_200600_302600_NS6detail15normal_iteratorINS9_10device_ptrIxEEEESE_SE_xNS9_10multipliesIxEENS9_8equal_toIxEExEE10hipError_tPvRmT2_T3_T4_T5_mT6_T7_P12ihipStream_tbENKUlT_T0_E_clISt17integral_constantIbLb1EESZ_EEDaSU_SV_EUlSU_E_NS1_11comp_targetILNS1_3genE5ELNS1_11target_archE942ELNS1_3gpuE9ELNS1_3repE0EEENS1_30default_config_static_selectorELNS0_4arch9wavefront6targetE1EEEvT1_ ; -- Begin function _ZN7rocprim17ROCPRIM_400000_NS6detail17trampoline_kernelINS0_14default_configENS1_27scan_by_key_config_selectorIxxEEZZNS1_16scan_by_key_implILNS1_25lookback_scan_determinismE0ELb0ES3_N6thrust23THRUST_200600_302600_NS6detail15normal_iteratorINS9_10device_ptrIxEEEESE_SE_xNS9_10multipliesIxEENS9_8equal_toIxEExEE10hipError_tPvRmT2_T3_T4_T5_mT6_T7_P12ihipStream_tbENKUlT_T0_E_clISt17integral_constantIbLb1EESZ_EEDaSU_SV_EUlSU_E_NS1_11comp_targetILNS1_3genE5ELNS1_11target_archE942ELNS1_3gpuE9ELNS1_3repE0EEENS1_30default_config_static_selectorELNS0_4arch9wavefront6targetE1EEEvT1_
	.globl	_ZN7rocprim17ROCPRIM_400000_NS6detail17trampoline_kernelINS0_14default_configENS1_27scan_by_key_config_selectorIxxEEZZNS1_16scan_by_key_implILNS1_25lookback_scan_determinismE0ELb0ES3_N6thrust23THRUST_200600_302600_NS6detail15normal_iteratorINS9_10device_ptrIxEEEESE_SE_xNS9_10multipliesIxEENS9_8equal_toIxEExEE10hipError_tPvRmT2_T3_T4_T5_mT6_T7_P12ihipStream_tbENKUlT_T0_E_clISt17integral_constantIbLb1EESZ_EEDaSU_SV_EUlSU_E_NS1_11comp_targetILNS1_3genE5ELNS1_11target_archE942ELNS1_3gpuE9ELNS1_3repE0EEENS1_30default_config_static_selectorELNS0_4arch9wavefront6targetE1EEEvT1_
	.p2align	8
	.type	_ZN7rocprim17ROCPRIM_400000_NS6detail17trampoline_kernelINS0_14default_configENS1_27scan_by_key_config_selectorIxxEEZZNS1_16scan_by_key_implILNS1_25lookback_scan_determinismE0ELb0ES3_N6thrust23THRUST_200600_302600_NS6detail15normal_iteratorINS9_10device_ptrIxEEEESE_SE_xNS9_10multipliesIxEENS9_8equal_toIxEExEE10hipError_tPvRmT2_T3_T4_T5_mT6_T7_P12ihipStream_tbENKUlT_T0_E_clISt17integral_constantIbLb1EESZ_EEDaSU_SV_EUlSU_E_NS1_11comp_targetILNS1_3genE5ELNS1_11target_archE942ELNS1_3gpuE9ELNS1_3repE0EEENS1_30default_config_static_selectorELNS0_4arch9wavefront6targetE1EEEvT1_,@function
_ZN7rocprim17ROCPRIM_400000_NS6detail17trampoline_kernelINS0_14default_configENS1_27scan_by_key_config_selectorIxxEEZZNS1_16scan_by_key_implILNS1_25lookback_scan_determinismE0ELb0ES3_N6thrust23THRUST_200600_302600_NS6detail15normal_iteratorINS9_10device_ptrIxEEEESE_SE_xNS9_10multipliesIxEENS9_8equal_toIxEExEE10hipError_tPvRmT2_T3_T4_T5_mT6_T7_P12ihipStream_tbENKUlT_T0_E_clISt17integral_constantIbLb1EESZ_EEDaSU_SV_EUlSU_E_NS1_11comp_targetILNS1_3genE5ELNS1_11target_archE942ELNS1_3gpuE9ELNS1_3repE0EEENS1_30default_config_static_selectorELNS0_4arch9wavefront6targetE1EEEvT1_: ; @_ZN7rocprim17ROCPRIM_400000_NS6detail17trampoline_kernelINS0_14default_configENS1_27scan_by_key_config_selectorIxxEEZZNS1_16scan_by_key_implILNS1_25lookback_scan_determinismE0ELb0ES3_N6thrust23THRUST_200600_302600_NS6detail15normal_iteratorINS9_10device_ptrIxEEEESE_SE_xNS9_10multipliesIxEENS9_8equal_toIxEExEE10hipError_tPvRmT2_T3_T4_T5_mT6_T7_P12ihipStream_tbENKUlT_T0_E_clISt17integral_constantIbLb1EESZ_EEDaSU_SV_EUlSU_E_NS1_11comp_targetILNS1_3genE5ELNS1_11target_archE942ELNS1_3gpuE9ELNS1_3repE0EEENS1_30default_config_static_selectorELNS0_4arch9wavefront6targetE1EEEvT1_
; %bb.0:
	.section	.rodata,"a",@progbits
	.p2align	6, 0x0
	.amdhsa_kernel _ZN7rocprim17ROCPRIM_400000_NS6detail17trampoline_kernelINS0_14default_configENS1_27scan_by_key_config_selectorIxxEEZZNS1_16scan_by_key_implILNS1_25lookback_scan_determinismE0ELb0ES3_N6thrust23THRUST_200600_302600_NS6detail15normal_iteratorINS9_10device_ptrIxEEEESE_SE_xNS9_10multipliesIxEENS9_8equal_toIxEExEE10hipError_tPvRmT2_T3_T4_T5_mT6_T7_P12ihipStream_tbENKUlT_T0_E_clISt17integral_constantIbLb1EESZ_EEDaSU_SV_EUlSU_E_NS1_11comp_targetILNS1_3genE5ELNS1_11target_archE942ELNS1_3gpuE9ELNS1_3repE0EEENS1_30default_config_static_selectorELNS0_4arch9wavefront6targetE1EEEvT1_
		.amdhsa_group_segment_fixed_size 0
		.amdhsa_private_segment_fixed_size 0
		.amdhsa_kernarg_size 136
		.amdhsa_user_sgpr_count 6
		.amdhsa_user_sgpr_private_segment_buffer 1
		.amdhsa_user_sgpr_dispatch_ptr 0
		.amdhsa_user_sgpr_queue_ptr 0
		.amdhsa_user_sgpr_kernarg_segment_ptr 1
		.amdhsa_user_sgpr_dispatch_id 0
		.amdhsa_user_sgpr_flat_scratch_init 0
		.amdhsa_user_sgpr_kernarg_preload_length 0
		.amdhsa_user_sgpr_kernarg_preload_offset 0
		.amdhsa_user_sgpr_private_segment_size 0
		.amdhsa_uses_dynamic_stack 0
		.amdhsa_system_sgpr_private_segment_wavefront_offset 0
		.amdhsa_system_sgpr_workgroup_id_x 1
		.amdhsa_system_sgpr_workgroup_id_y 0
		.amdhsa_system_sgpr_workgroup_id_z 0
		.amdhsa_system_sgpr_workgroup_info 0
		.amdhsa_system_vgpr_workitem_id 0
		.amdhsa_next_free_vgpr 1
		.amdhsa_next_free_sgpr 0
		.amdhsa_accum_offset 4
		.amdhsa_reserve_vcc 0
		.amdhsa_reserve_flat_scratch 0
		.amdhsa_float_round_mode_32 0
		.amdhsa_float_round_mode_16_64 0
		.amdhsa_float_denorm_mode_32 3
		.amdhsa_float_denorm_mode_16_64 3
		.amdhsa_dx10_clamp 1
		.amdhsa_ieee_mode 1
		.amdhsa_fp16_overflow 0
		.amdhsa_tg_split 0
		.amdhsa_exception_fp_ieee_invalid_op 0
		.amdhsa_exception_fp_denorm_src 0
		.amdhsa_exception_fp_ieee_div_zero 0
		.amdhsa_exception_fp_ieee_overflow 0
		.amdhsa_exception_fp_ieee_underflow 0
		.amdhsa_exception_fp_ieee_inexact 0
		.amdhsa_exception_int_div_zero 0
	.end_amdhsa_kernel
	.section	.text._ZN7rocprim17ROCPRIM_400000_NS6detail17trampoline_kernelINS0_14default_configENS1_27scan_by_key_config_selectorIxxEEZZNS1_16scan_by_key_implILNS1_25lookback_scan_determinismE0ELb0ES3_N6thrust23THRUST_200600_302600_NS6detail15normal_iteratorINS9_10device_ptrIxEEEESE_SE_xNS9_10multipliesIxEENS9_8equal_toIxEExEE10hipError_tPvRmT2_T3_T4_T5_mT6_T7_P12ihipStream_tbENKUlT_T0_E_clISt17integral_constantIbLb1EESZ_EEDaSU_SV_EUlSU_E_NS1_11comp_targetILNS1_3genE5ELNS1_11target_archE942ELNS1_3gpuE9ELNS1_3repE0EEENS1_30default_config_static_selectorELNS0_4arch9wavefront6targetE1EEEvT1_,"axG",@progbits,_ZN7rocprim17ROCPRIM_400000_NS6detail17trampoline_kernelINS0_14default_configENS1_27scan_by_key_config_selectorIxxEEZZNS1_16scan_by_key_implILNS1_25lookback_scan_determinismE0ELb0ES3_N6thrust23THRUST_200600_302600_NS6detail15normal_iteratorINS9_10device_ptrIxEEEESE_SE_xNS9_10multipliesIxEENS9_8equal_toIxEExEE10hipError_tPvRmT2_T3_T4_T5_mT6_T7_P12ihipStream_tbENKUlT_T0_E_clISt17integral_constantIbLb1EESZ_EEDaSU_SV_EUlSU_E_NS1_11comp_targetILNS1_3genE5ELNS1_11target_archE942ELNS1_3gpuE9ELNS1_3repE0EEENS1_30default_config_static_selectorELNS0_4arch9wavefront6targetE1EEEvT1_,comdat
.Lfunc_end58:
	.size	_ZN7rocprim17ROCPRIM_400000_NS6detail17trampoline_kernelINS0_14default_configENS1_27scan_by_key_config_selectorIxxEEZZNS1_16scan_by_key_implILNS1_25lookback_scan_determinismE0ELb0ES3_N6thrust23THRUST_200600_302600_NS6detail15normal_iteratorINS9_10device_ptrIxEEEESE_SE_xNS9_10multipliesIxEENS9_8equal_toIxEExEE10hipError_tPvRmT2_T3_T4_T5_mT6_T7_P12ihipStream_tbENKUlT_T0_E_clISt17integral_constantIbLb1EESZ_EEDaSU_SV_EUlSU_E_NS1_11comp_targetILNS1_3genE5ELNS1_11target_archE942ELNS1_3gpuE9ELNS1_3repE0EEENS1_30default_config_static_selectorELNS0_4arch9wavefront6targetE1EEEvT1_, .Lfunc_end58-_ZN7rocprim17ROCPRIM_400000_NS6detail17trampoline_kernelINS0_14default_configENS1_27scan_by_key_config_selectorIxxEEZZNS1_16scan_by_key_implILNS1_25lookback_scan_determinismE0ELb0ES3_N6thrust23THRUST_200600_302600_NS6detail15normal_iteratorINS9_10device_ptrIxEEEESE_SE_xNS9_10multipliesIxEENS9_8equal_toIxEExEE10hipError_tPvRmT2_T3_T4_T5_mT6_T7_P12ihipStream_tbENKUlT_T0_E_clISt17integral_constantIbLb1EESZ_EEDaSU_SV_EUlSU_E_NS1_11comp_targetILNS1_3genE5ELNS1_11target_archE942ELNS1_3gpuE9ELNS1_3repE0EEENS1_30default_config_static_selectorELNS0_4arch9wavefront6targetE1EEEvT1_
                                        ; -- End function
	.section	.AMDGPU.csdata,"",@progbits
; Kernel info:
; codeLenInByte = 0
; NumSgprs: 4
; NumVgprs: 0
; NumAgprs: 0
; TotalNumVgprs: 0
; ScratchSize: 0
; MemoryBound: 0
; FloatMode: 240
; IeeeMode: 1
; LDSByteSize: 0 bytes/workgroup (compile time only)
; SGPRBlocks: 0
; VGPRBlocks: 0
; NumSGPRsForWavesPerEU: 4
; NumVGPRsForWavesPerEU: 1
; AccumOffset: 4
; Occupancy: 8
; WaveLimiterHint : 0
; COMPUTE_PGM_RSRC2:SCRATCH_EN: 0
; COMPUTE_PGM_RSRC2:USER_SGPR: 6
; COMPUTE_PGM_RSRC2:TRAP_HANDLER: 0
; COMPUTE_PGM_RSRC2:TGID_X_EN: 1
; COMPUTE_PGM_RSRC2:TGID_Y_EN: 0
; COMPUTE_PGM_RSRC2:TGID_Z_EN: 0
; COMPUTE_PGM_RSRC2:TIDIG_COMP_CNT: 0
; COMPUTE_PGM_RSRC3_GFX90A:ACCUM_OFFSET: 0
; COMPUTE_PGM_RSRC3_GFX90A:TG_SPLIT: 0
	.section	.text._ZN7rocprim17ROCPRIM_400000_NS6detail17trampoline_kernelINS0_14default_configENS1_27scan_by_key_config_selectorIxxEEZZNS1_16scan_by_key_implILNS1_25lookback_scan_determinismE0ELb0ES3_N6thrust23THRUST_200600_302600_NS6detail15normal_iteratorINS9_10device_ptrIxEEEESE_SE_xNS9_10multipliesIxEENS9_8equal_toIxEExEE10hipError_tPvRmT2_T3_T4_T5_mT6_T7_P12ihipStream_tbENKUlT_T0_E_clISt17integral_constantIbLb1EESZ_EEDaSU_SV_EUlSU_E_NS1_11comp_targetILNS1_3genE4ELNS1_11target_archE910ELNS1_3gpuE8ELNS1_3repE0EEENS1_30default_config_static_selectorELNS0_4arch9wavefront6targetE1EEEvT1_,"axG",@progbits,_ZN7rocprim17ROCPRIM_400000_NS6detail17trampoline_kernelINS0_14default_configENS1_27scan_by_key_config_selectorIxxEEZZNS1_16scan_by_key_implILNS1_25lookback_scan_determinismE0ELb0ES3_N6thrust23THRUST_200600_302600_NS6detail15normal_iteratorINS9_10device_ptrIxEEEESE_SE_xNS9_10multipliesIxEENS9_8equal_toIxEExEE10hipError_tPvRmT2_T3_T4_T5_mT6_T7_P12ihipStream_tbENKUlT_T0_E_clISt17integral_constantIbLb1EESZ_EEDaSU_SV_EUlSU_E_NS1_11comp_targetILNS1_3genE4ELNS1_11target_archE910ELNS1_3gpuE8ELNS1_3repE0EEENS1_30default_config_static_selectorELNS0_4arch9wavefront6targetE1EEEvT1_,comdat
	.protected	_ZN7rocprim17ROCPRIM_400000_NS6detail17trampoline_kernelINS0_14default_configENS1_27scan_by_key_config_selectorIxxEEZZNS1_16scan_by_key_implILNS1_25lookback_scan_determinismE0ELb0ES3_N6thrust23THRUST_200600_302600_NS6detail15normal_iteratorINS9_10device_ptrIxEEEESE_SE_xNS9_10multipliesIxEENS9_8equal_toIxEExEE10hipError_tPvRmT2_T3_T4_T5_mT6_T7_P12ihipStream_tbENKUlT_T0_E_clISt17integral_constantIbLb1EESZ_EEDaSU_SV_EUlSU_E_NS1_11comp_targetILNS1_3genE4ELNS1_11target_archE910ELNS1_3gpuE8ELNS1_3repE0EEENS1_30default_config_static_selectorELNS0_4arch9wavefront6targetE1EEEvT1_ ; -- Begin function _ZN7rocprim17ROCPRIM_400000_NS6detail17trampoline_kernelINS0_14default_configENS1_27scan_by_key_config_selectorIxxEEZZNS1_16scan_by_key_implILNS1_25lookback_scan_determinismE0ELb0ES3_N6thrust23THRUST_200600_302600_NS6detail15normal_iteratorINS9_10device_ptrIxEEEESE_SE_xNS9_10multipliesIxEENS9_8equal_toIxEExEE10hipError_tPvRmT2_T3_T4_T5_mT6_T7_P12ihipStream_tbENKUlT_T0_E_clISt17integral_constantIbLb1EESZ_EEDaSU_SV_EUlSU_E_NS1_11comp_targetILNS1_3genE4ELNS1_11target_archE910ELNS1_3gpuE8ELNS1_3repE0EEENS1_30default_config_static_selectorELNS0_4arch9wavefront6targetE1EEEvT1_
	.globl	_ZN7rocprim17ROCPRIM_400000_NS6detail17trampoline_kernelINS0_14default_configENS1_27scan_by_key_config_selectorIxxEEZZNS1_16scan_by_key_implILNS1_25lookback_scan_determinismE0ELb0ES3_N6thrust23THRUST_200600_302600_NS6detail15normal_iteratorINS9_10device_ptrIxEEEESE_SE_xNS9_10multipliesIxEENS9_8equal_toIxEExEE10hipError_tPvRmT2_T3_T4_T5_mT6_T7_P12ihipStream_tbENKUlT_T0_E_clISt17integral_constantIbLb1EESZ_EEDaSU_SV_EUlSU_E_NS1_11comp_targetILNS1_3genE4ELNS1_11target_archE910ELNS1_3gpuE8ELNS1_3repE0EEENS1_30default_config_static_selectorELNS0_4arch9wavefront6targetE1EEEvT1_
	.p2align	8
	.type	_ZN7rocprim17ROCPRIM_400000_NS6detail17trampoline_kernelINS0_14default_configENS1_27scan_by_key_config_selectorIxxEEZZNS1_16scan_by_key_implILNS1_25lookback_scan_determinismE0ELb0ES3_N6thrust23THRUST_200600_302600_NS6detail15normal_iteratorINS9_10device_ptrIxEEEESE_SE_xNS9_10multipliesIxEENS9_8equal_toIxEExEE10hipError_tPvRmT2_T3_T4_T5_mT6_T7_P12ihipStream_tbENKUlT_T0_E_clISt17integral_constantIbLb1EESZ_EEDaSU_SV_EUlSU_E_NS1_11comp_targetILNS1_3genE4ELNS1_11target_archE910ELNS1_3gpuE8ELNS1_3repE0EEENS1_30default_config_static_selectorELNS0_4arch9wavefront6targetE1EEEvT1_,@function
_ZN7rocprim17ROCPRIM_400000_NS6detail17trampoline_kernelINS0_14default_configENS1_27scan_by_key_config_selectorIxxEEZZNS1_16scan_by_key_implILNS1_25lookback_scan_determinismE0ELb0ES3_N6thrust23THRUST_200600_302600_NS6detail15normal_iteratorINS9_10device_ptrIxEEEESE_SE_xNS9_10multipliesIxEENS9_8equal_toIxEExEE10hipError_tPvRmT2_T3_T4_T5_mT6_T7_P12ihipStream_tbENKUlT_T0_E_clISt17integral_constantIbLb1EESZ_EEDaSU_SV_EUlSU_E_NS1_11comp_targetILNS1_3genE4ELNS1_11target_archE910ELNS1_3gpuE8ELNS1_3repE0EEENS1_30default_config_static_selectorELNS0_4arch9wavefront6targetE1EEEvT1_: ; @_ZN7rocprim17ROCPRIM_400000_NS6detail17trampoline_kernelINS0_14default_configENS1_27scan_by_key_config_selectorIxxEEZZNS1_16scan_by_key_implILNS1_25lookback_scan_determinismE0ELb0ES3_N6thrust23THRUST_200600_302600_NS6detail15normal_iteratorINS9_10device_ptrIxEEEESE_SE_xNS9_10multipliesIxEENS9_8equal_toIxEExEE10hipError_tPvRmT2_T3_T4_T5_mT6_T7_P12ihipStream_tbENKUlT_T0_E_clISt17integral_constantIbLb1EESZ_EEDaSU_SV_EUlSU_E_NS1_11comp_targetILNS1_3genE4ELNS1_11target_archE910ELNS1_3gpuE8ELNS1_3repE0EEENS1_30default_config_static_selectorELNS0_4arch9wavefront6targetE1EEEvT1_
; %bb.0:
	s_load_dwordx8 s[48:55], s[4:5], 0x30
	s_load_dwordx2 s[72:73], s[4:5], 0x50
	v_cmp_ne_u32_e64 s[46:47], 0, v0
	v_cmp_eq_u32_e64 s[0:1], 0, v0
	s_and_saveexec_b64 s[2:3], s[0:1]
	s_cbranch_execz .LBB59_4
; %bb.1:
	s_mov_b64 s[8:9], exec
	v_mbcnt_lo_u32_b32 v1, s8, 0
	v_mbcnt_hi_u32_b32 v1, s9, v1
	v_cmp_eq_u32_e32 vcc, 0, v1
                                        ; implicit-def: $vgpr2
	s_and_saveexec_b64 s[6:7], vcc
	s_cbranch_execz .LBB59_3
; %bb.2:
	s_load_dwordx2 s[10:11], s[4:5], 0x80
	s_bcnt1_i32_b64 s8, s[8:9]
	v_mov_b32_e32 v2, 0
	v_mov_b32_e32 v3, s8
	s_waitcnt lgkmcnt(0)
	global_atomic_add v2, v2, v3, s[10:11] glc
.LBB59_3:
	s_or_b64 exec, exec, s[6:7]
	s_waitcnt vmcnt(0)
	v_readfirstlane_b32 s6, v2
	v_add_u32_e32 v1, s6, v1
	v_mov_b32_e32 v2, 0
	ds_write_b32 v2, v1
.LBB59_4:
	s_or_b64 exec, exec, s[2:3]
	s_load_dwordx8 s[56:63], s[4:5], 0x0
	s_load_dword s2, s[4:5], 0x58
	s_load_dwordx8 s[64:71], s[4:5], 0x60
	v_mov_b32_e32 v1, 0
	s_waitcnt lgkmcnt(0)
	; wave barrier
	s_waitcnt lgkmcnt(0)
	ds_read_b32 v1, v1
	s_lshl_b64 s[58:59], s[58:59], 3
	s_add_u32 s4, s56, s58
	s_addc_u32 s5, s57, s59
	s_add_u32 s6, s60, s58
	s_mul_i32 s3, s73, s2
	s_mul_hi_u32 s8, s72, s2
	s_addc_u32 s7, s61, s59
	s_add_i32 s8, s8, s3
	s_waitcnt lgkmcnt(0)
	v_readfirstlane_b32 s55, v1
	s_mul_i32 s9, s72, s2
	s_cmp_lg_u64 s[68:69], 0
	s_mov_b32 s3, 0
	s_mul_i32 s2, s55, 0x4c0
	s_cselect_b64 s[68:69], -1, 0
	s_lshl_b64 s[56:57], s[2:3], 3
	s_add_u32 s60, s4, s56
	s_addc_u32 s61, s5, s57
	s_add_u32 s78, s6, s56
	s_addc_u32 s79, s7, s57
	;; [unrolled: 2-line block ×3, first 2 shown]
	s_add_u32 s4, s64, -1
	s_addc_u32 s5, s65, -1
	v_pk_mov_b32 v[2:3], s[4:5], s[4:5] op_sel:[0,1]
	v_cmp_ge_u64_e64 s[2:3], s[74:75], v[2:3]
	s_mov_b64 s[10:11], 0
	s_mov_b64 s[6:7], -1
	s_and_b64 vcc, exec, s[2:3]
	s_mul_i32 s33, s4, 0xfffffb40
	s_waitcnt lgkmcnt(0)
	; wave barrier
	s_waitcnt lgkmcnt(0)
	s_waitcnt lgkmcnt(0)
	; wave barrier
	s_cbranch_vccz .LBB59_106
; %bb.5:
	v_pk_mov_b32 v[2:3], s[60:61], s[60:61] op_sel:[0,1]
	flat_load_dwordx2 v[2:3], v[2:3]
	s_add_i32 s81, s33, s54
	v_cmp_gt_u32_e64 s[6:7], s81, v0
	s_waitcnt vmcnt(0) lgkmcnt(0)
	v_pk_mov_b32 v[4:5], v[2:3], v[2:3] op_sel:[0,1]
	s_and_saveexec_b64 s[4:5], s[6:7]
	s_cbranch_execz .LBB59_7
; %bb.6:
	v_lshlrev_b32_e32 v1, 3, v0
	v_mov_b32_e32 v5, s61
	v_add_co_u32_e32 v4, vcc, s60, v1
	v_addc_co_u32_e32 v5, vcc, 0, v5, vcc
	flat_load_dwordx2 v[4:5], v[4:5]
.LBB59_7:
	s_or_b64 exec, exec, s[4:5]
	v_or_b32_e32 v1, 64, v0
	v_cmp_gt_u32_e64 s[8:9], s81, v1
	v_pk_mov_b32 v[6:7], v[2:3], v[2:3] op_sel:[0,1]
	s_and_saveexec_b64 s[4:5], s[8:9]
	s_cbranch_execz .LBB59_9
; %bb.8:
	v_lshlrev_b32_e32 v1, 3, v0
	v_mov_b32_e32 v7, s61
	v_add_co_u32_e32 v6, vcc, s60, v1
	v_addc_co_u32_e32 v7, vcc, 0, v7, vcc
	flat_load_dwordx2 v[6:7], v[6:7] offset:512
.LBB59_9:
	s_or_b64 exec, exec, s[4:5]
	v_or_b32_e32 v1, 0x80, v0
	v_cmp_gt_u32_e64 s[10:11], s81, v1
	v_pk_mov_b32 v[8:9], v[2:3], v[2:3] op_sel:[0,1]
	s_and_saveexec_b64 s[4:5], s[10:11]
	s_cbranch_execz .LBB59_11
; %bb.10:
	v_lshlrev_b32_e32 v1, 3, v0
	v_mov_b32_e32 v9, s61
	v_add_co_u32_e32 v8, vcc, s60, v1
	v_addc_co_u32_e32 v9, vcc, 0, v9, vcc
	flat_load_dwordx2 v[8:9], v[8:9] offset:1024
.LBB59_11:
	;; [unrolled: 13-line block ×7, first 2 shown]
	s_or_b64 exec, exec, s[4:5]
	v_or_b32_e32 v1, 0x200, v0
	v_cmp_gt_u32_e64 s[22:23], s81, v1
	v_pk_mov_b32 v[20:21], v[2:3], v[2:3] op_sel:[0,1]
	s_and_saveexec_b64 s[4:5], s[22:23]
	s_cbranch_execz .LBB59_23
; %bb.22:
	v_lshlrev_b32_e32 v20, 3, v1
	v_mov_b32_e32 v21, s61
	v_add_co_u32_e32 v20, vcc, s60, v20
	v_addc_co_u32_e32 v21, vcc, 0, v21, vcc
	flat_load_dwordx2 v[20:21], v[20:21]
.LBB59_23:
	s_or_b64 exec, exec, s[4:5]
	v_or_b32_e32 v40, 0x240, v0
	v_cmp_gt_u32_e64 s[24:25], s81, v40
	v_pk_mov_b32 v[22:23], v[2:3], v[2:3] op_sel:[0,1]
	s_and_saveexec_b64 s[4:5], s[24:25]
	s_cbranch_execz .LBB59_25
; %bb.24:
	v_lshlrev_b32_e32 v22, 3, v40
	v_mov_b32_e32 v23, s61
	v_add_co_u32_e32 v22, vcc, s60, v22
	v_addc_co_u32_e32 v23, vcc, 0, v23, vcc
	flat_load_dwordx2 v[22:23], v[22:23]
.LBB59_25:
	;; [unrolled: 13-line block ×10, first 2 shown]
	s_or_b64 exec, exec, s[4:5]
	v_or_b32_e32 v51, 0x480, v0
	v_cmp_gt_u32_e64 s[44:45], s81, v51
	s_and_saveexec_b64 s[4:5], s[44:45]
	s_cbranch_execz .LBB59_43
; %bb.42:
	v_lshlrev_b32_e32 v2, 3, v51
	v_mov_b32_e32 v3, s61
	v_add_co_u32_e32 v2, vcc, s60, v2
	v_addc_co_u32_e32 v3, vcc, 0, v3, vcc
	flat_load_dwordx2 v[2:3], v[2:3]
.LBB59_43:
	s_or_b64 exec, exec, s[4:5]
	v_lshlrev_b32_e32 v50, 3, v0
	s_movk_i32 s4, 0x90
	v_mad_u32_u24 v48, v0, s4, v50
	s_waitcnt vmcnt(0) lgkmcnt(0)
	ds_write2st64_b64 v50, v[4:5], v[6:7] offset1:1
	ds_write2st64_b64 v50, v[8:9], v[10:11] offset0:2 offset1:3
	ds_write2st64_b64 v50, v[12:13], v[14:15] offset0:4 offset1:5
	;; [unrolled: 1-line block ×8, first 2 shown]
	ds_write_b64 v50, v[2:3] offset:9216
	s_waitcnt lgkmcnt(0)
	; wave barrier
	s_waitcnt lgkmcnt(0)
	ds_read2_b64 v[106:109], v48 offset1:1
	ds_read2_b64 v[102:105], v48 offset0:2 offset1:3
	ds_read2_b64 v[98:101], v48 offset0:4 offset1:5
	;; [unrolled: 1-line block ×8, first 2 shown]
	ds_read_b64 v[4:5], v48 offset:144
	s_cmp_eq_u64 s[74:75], 0
	s_mov_b64 s[4:5], s[60:61]
	s_cbranch_scc1 .LBB59_47
; %bb.44:
	s_andn2_b64 vcc, exec, s[68:69]
	s_cbranch_vccnz .LBB59_265
; %bb.45:
	s_lshl_b64 s[4:5], s[74:75], 3
	s_add_u32 s4, s70, s4
	s_addc_u32 s5, s71, s5
	s_add_u32 s4, s4, -8
	s_addc_u32 s5, s5, -1
	s_cbranch_execnz .LBB59_47
.LBB59_46:
	s_add_u32 s4, s60, -8
	s_addc_u32 s5, s61, -1
.LBB59_47:
	v_pk_mov_b32 v[2:3], s[4:5], s[4:5] op_sel:[0,1]
	flat_load_dwordx2 v[8:9], v[2:3]
	s_movk_i32 s4, 0xff70
	v_mad_i32_i24 v2, v0, s4, v48
	s_waitcnt lgkmcnt(0)
	ds_write_b64 v2, v[4:5] offset:9728
	s_waitcnt lgkmcnt(0)
	; wave barrier
	s_waitcnt lgkmcnt(0)
	s_and_saveexec_b64 s[4:5], s[46:47]
	s_cbranch_execz .LBB59_49
; %bb.48:
	v_mul_i32_i24_e32 v2, 0xffffff70, v0
	v_add_u32_e32 v2, v48, v2
	s_waitcnt vmcnt(0)
	ds_read_b64 v[8:9], v2 offset:9720
.LBB59_49:
	s_or_b64 exec, exec, s[4:5]
	s_waitcnt lgkmcnt(0)
	; wave barrier
	s_waitcnt lgkmcnt(0)
                                        ; implicit-def: $vgpr2_vgpr3
	s_and_saveexec_b64 s[4:5], s[6:7]
	s_cbranch_execnz .LBB59_247
; %bb.50:
	s_or_b64 exec, exec, s[4:5]
                                        ; implicit-def: $vgpr6_vgpr7
	s_and_saveexec_b64 s[4:5], s[8:9]
	s_cbranch_execnz .LBB59_248
.LBB59_51:
	s_or_b64 exec, exec, s[4:5]
                                        ; implicit-def: $vgpr10_vgpr11
	s_and_saveexec_b64 s[4:5], s[10:11]
	s_cbranch_execnz .LBB59_249
.LBB59_52:
	s_or_b64 exec, exec, s[4:5]
                                        ; implicit-def: $vgpr12_vgpr13
	s_and_saveexec_b64 s[4:5], s[12:13]
	s_cbranch_execnz .LBB59_250
.LBB59_53:
	s_or_b64 exec, exec, s[4:5]
                                        ; implicit-def: $vgpr14_vgpr15
	s_and_saveexec_b64 s[4:5], s[14:15]
	s_cbranch_execnz .LBB59_251
.LBB59_54:
	s_or_b64 exec, exec, s[4:5]
                                        ; implicit-def: $vgpr16_vgpr17
	s_and_saveexec_b64 s[4:5], s[16:17]
	s_cbranch_execnz .LBB59_252
.LBB59_55:
	s_or_b64 exec, exec, s[4:5]
                                        ; implicit-def: $vgpr18_vgpr19
	s_and_saveexec_b64 s[4:5], s[18:19]
	s_cbranch_execnz .LBB59_253
.LBB59_56:
	s_or_b64 exec, exec, s[4:5]
                                        ; implicit-def: $vgpr20_vgpr21
	s_and_saveexec_b64 s[4:5], s[20:21]
	s_cbranch_execnz .LBB59_254
.LBB59_57:
	s_or_b64 exec, exec, s[4:5]
                                        ; implicit-def: $vgpr22_vgpr23
	s_and_saveexec_b64 s[4:5], s[22:23]
	s_cbranch_execnz .LBB59_255
.LBB59_58:
	s_or_b64 exec, exec, s[4:5]
                                        ; implicit-def: $vgpr24_vgpr25
	s_and_saveexec_b64 s[4:5], s[24:25]
	s_cbranch_execnz .LBB59_256
.LBB59_59:
	s_or_b64 exec, exec, s[4:5]
                                        ; implicit-def: $vgpr26_vgpr27
	s_and_saveexec_b64 s[4:5], s[26:27]
	s_cbranch_execnz .LBB59_257
.LBB59_60:
	s_or_b64 exec, exec, s[4:5]
                                        ; implicit-def: $vgpr28_vgpr29
	s_and_saveexec_b64 s[4:5], s[28:29]
	s_cbranch_execnz .LBB59_258
.LBB59_61:
	s_or_b64 exec, exec, s[4:5]
                                        ; implicit-def: $vgpr30_vgpr31
	s_and_saveexec_b64 s[4:5], s[30:31]
	s_cbranch_execnz .LBB59_259
.LBB59_62:
	s_or_b64 exec, exec, s[4:5]
                                        ; implicit-def: $vgpr32_vgpr33
	s_and_saveexec_b64 s[4:5], s[34:35]
	s_cbranch_execnz .LBB59_260
.LBB59_63:
	s_or_b64 exec, exec, s[4:5]
                                        ; implicit-def: $vgpr34_vgpr35
	s_and_saveexec_b64 s[4:5], s[36:37]
	s_cbranch_execnz .LBB59_261
.LBB59_64:
	s_or_b64 exec, exec, s[4:5]
                                        ; implicit-def: $vgpr36_vgpr37
	s_and_saveexec_b64 s[4:5], s[38:39]
	s_cbranch_execnz .LBB59_262
.LBB59_65:
	s_or_b64 exec, exec, s[4:5]
                                        ; implicit-def: $vgpr38_vgpr39
	s_and_saveexec_b64 s[4:5], s[40:41]
	s_cbranch_execnz .LBB59_263
.LBB59_66:
	s_or_b64 exec, exec, s[4:5]
                                        ; implicit-def: $vgpr40_vgpr41
	s_and_saveexec_b64 s[4:5], s[42:43]
	s_cbranch_execnz .LBB59_264
.LBB59_67:
	s_or_b64 exec, exec, s[4:5]
                                        ; implicit-def: $vgpr42_vgpr43
	s_and_saveexec_b64 s[4:5], s[44:45]
	s_cbranch_execz .LBB59_69
.LBB59_68:
	v_lshlrev_b32_e32 v1, 3, v51
	v_mov_b32_e32 v43, s79
	v_add_co_u32_e32 v42, vcc, s78, v1
	v_addc_co_u32_e32 v43, vcc, 0, v43, vcc
	flat_load_dwordx2 v[42:43], v[42:43]
.LBB59_69:
	s_or_b64 exec, exec, s[4:5]
	v_mul_u32_u24_e32 v49, 19, v0
	s_waitcnt vmcnt(0) lgkmcnt(0)
	ds_write2st64_b64 v50, v[2:3], v[6:7] offset1:1
	ds_write2st64_b64 v50, v[10:11], v[12:13] offset0:2 offset1:3
	ds_write2st64_b64 v50, v[14:15], v[16:17] offset0:4 offset1:5
	;; [unrolled: 1-line block ×8, first 2 shown]
	ds_write_b64 v50, v[42:43] offset:9216
	v_pk_mov_b32 v[6:7], 0, 0
	v_cmp_gt_u32_e32 vcc, s81, v49
	s_mov_b64 s[10:11], 0
	s_mov_b64 s[6:7], 0
	s_mov_b32 s80, 0
	v_mov_b32_e32 v110, 0
	v_mov_b32_e32 v126, 0
	v_pk_mov_b32 v[58:59], v[6:7], v[6:7] op_sel:[0,1]
	v_mov_b32_e32 v125, 0
	v_pk_mov_b32 v[70:71], v[6:7], v[6:7] op_sel:[0,1]
	;; [unrolled: 2-line block ×17, first 2 shown]
	s_waitcnt lgkmcnt(0)
	; wave barrier
	s_waitcnt lgkmcnt(0)
                                        ; implicit-def: $sgpr4_sgpr5
	s_and_saveexec_b64 s[8:9], vcc
	s_cbranch_execz .LBB59_105
; %bb.70:
	ds_read_b64 v[2:3], v48
	v_cmp_ne_u64_e32 vcc, v[8:9], v[106:107]
	v_add_u32_e32 v6, 1, v49
	v_cndmask_b32_e64 v1, 0, 1, vcc
	v_cmp_gt_u32_e32 vcc, s81, v6
	v_pk_mov_b32 v[6:7], 0, 0
	s_mov_b64 s[12:13], 0
	s_mov_b64 s[4:5], 0
	v_mov_b32_e32 v110, 0
	v_mov_b32_e32 v126, 0
	v_pk_mov_b32 v[58:59], v[6:7], v[6:7] op_sel:[0,1]
	v_mov_b32_e32 v125, 0
	v_pk_mov_b32 v[70:71], v[6:7], v[6:7] op_sel:[0,1]
	;; [unrolled: 2-line block ×16, first 2 shown]
                                        ; implicit-def: $sgpr14_sgpr15
	s_and_saveexec_b64 s[10:11], vcc
	s_cbranch_execz .LBB59_104
; %bb.71:
	ds_read2_b64 v[14:17], v48 offset0:1 offset1:2
	v_cmp_ne_u64_e32 vcc, v[106:107], v[108:109]
	v_add_u32_e32 v6, 2, v49
	v_cndmask_b32_e64 v112, 0, 1, vcc
	v_cmp_gt_u32_e32 vcc, s81, v6
	v_pk_mov_b32 v[6:7], 0, 0
	s_mov_b64 s[16:17], 0
	v_mov_b32_e32 v110, 0
	v_mov_b32_e32 v126, 0
	v_pk_mov_b32 v[58:59], v[6:7], v[6:7] op_sel:[0,1]
	v_mov_b32_e32 v125, 0
	v_pk_mov_b32 v[70:71], v[6:7], v[6:7] op_sel:[0,1]
	;; [unrolled: 2-line block ×15, first 2 shown]
                                        ; implicit-def: $sgpr14_sgpr15
	s_and_saveexec_b64 s[12:13], vcc
	s_cbranch_execz .LBB59_103
; %bb.72:
	v_cmp_ne_u64_e32 vcc, v[108:109], v[102:103]
	v_add_u32_e32 v6, 3, v49
	v_cndmask_b32_e64 v111, 0, 1, vcc
	v_cmp_gt_u32_e32 vcc, s81, v6
	v_pk_mov_b32 v[6:7], 0, 0
	s_waitcnt lgkmcnt(0)
	v_mov_b32_e32 v10, v16
	v_mov_b32_e32 v11, v17
	;; [unrolled: 1-line block ×4, first 2 shown]
	v_pk_mov_b32 v[58:59], v[6:7], v[6:7] op_sel:[0,1]
	v_mov_b32_e32 v125, 0
	v_pk_mov_b32 v[70:71], v[6:7], v[6:7] op_sel:[0,1]
	v_mov_b32_e32 v124, 0
	;; [unrolled: 2-line block ×13, first 2 shown]
	v_pk_mov_b32 v[26:27], v[6:7], v[6:7] op_sel:[0,1]
                                        ; implicit-def: $sgpr18_sgpr19
	s_and_saveexec_b64 s[14:15], vcc
	s_cbranch_execz .LBB59_102
; %bb.73:
	ds_read2_b64 v[26:29], v48 offset0:3 offset1:4
	v_cmp_ne_u64_e32 vcc, v[102:103], v[104:105]
	v_add_u32_e32 v6, 4, v49
	v_cndmask_b32_e64 v113, 0, 1, vcc
	v_cmp_gt_u32_e32 vcc, s81, v6
	v_pk_mov_b32 v[6:7], 0, 0
	s_mov_b64 s[20:21], 0
	v_mov_b32_e32 v110, 0
	v_mov_b32_e32 v126, 0
	v_pk_mov_b32 v[58:59], v[6:7], v[6:7] op_sel:[0,1]
	v_mov_b32_e32 v125, 0
	v_pk_mov_b32 v[70:71], v[6:7], v[6:7] op_sel:[0,1]
	;; [unrolled: 2-line block ×13, first 2 shown]
                                        ; implicit-def: $sgpr18_sgpr19
	s_and_saveexec_b64 s[16:17], vcc
	s_cbranch_execz .LBB59_101
; %bb.74:
	v_cmp_ne_u64_e32 vcc, v[104:105], v[98:99]
	v_add_u32_e32 v6, 5, v49
	v_cndmask_b32_e64 v114, 0, 1, vcc
	v_cmp_gt_u32_e32 vcc, s81, v6
	v_pk_mov_b32 v[6:7], 0, 0
	s_waitcnt lgkmcnt(0)
	v_mov_b32_e32 v18, v28
	v_mov_b32_e32 v19, v29
	;; [unrolled: 1-line block ×4, first 2 shown]
	v_pk_mov_b32 v[58:59], v[6:7], v[6:7] op_sel:[0,1]
	v_mov_b32_e32 v125, 0
	v_pk_mov_b32 v[70:71], v[6:7], v[6:7] op_sel:[0,1]
	v_mov_b32_e32 v124, 0
	;; [unrolled: 2-line block ×11, first 2 shown]
	v_pk_mov_b32 v[34:35], v[6:7], v[6:7] op_sel:[0,1]
                                        ; implicit-def: $sgpr22_sgpr23
	s_and_saveexec_b64 s[18:19], vcc
	s_cbranch_execz .LBB59_100
; %bb.75:
	ds_read2_b64 v[34:37], v48 offset0:5 offset1:6
	v_cmp_ne_u64_e32 vcc, v[98:99], v[100:101]
	v_add_u32_e32 v6, 6, v49
	v_cndmask_b32_e64 v115, 0, 1, vcc
	v_cmp_gt_u32_e32 vcc, s81, v6
	v_pk_mov_b32 v[6:7], 0, 0
	s_mov_b64 s[24:25], 0
	v_mov_b32_e32 v110, 0
	v_mov_b32_e32 v126, 0
	v_pk_mov_b32 v[58:59], v[6:7], v[6:7] op_sel:[0,1]
	v_mov_b32_e32 v125, 0
	v_pk_mov_b32 v[70:71], v[6:7], v[6:7] op_sel:[0,1]
	;; [unrolled: 2-line block ×11, first 2 shown]
                                        ; implicit-def: $sgpr22_sgpr23
	s_and_saveexec_b64 s[20:21], vcc
	s_cbranch_execz .LBB59_99
; %bb.76:
	v_cmp_ne_u64_e32 vcc, v[100:101], v[94:95]
	v_add_u32_e32 v6, 7, v49
	v_cndmask_b32_e64 v116, 0, 1, vcc
	v_cmp_gt_u32_e32 vcc, s81, v6
	v_pk_mov_b32 v[6:7], 0, 0
	s_waitcnt lgkmcnt(0)
	v_mov_b32_e32 v22, v36
	v_mov_b32_e32 v23, v37
	;; [unrolled: 1-line block ×4, first 2 shown]
	v_pk_mov_b32 v[58:59], v[6:7], v[6:7] op_sel:[0,1]
	v_mov_b32_e32 v125, 0
	v_pk_mov_b32 v[70:71], v[6:7], v[6:7] op_sel:[0,1]
	v_mov_b32_e32 v124, 0
	;; [unrolled: 2-line block ×9, first 2 shown]
	v_pk_mov_b32 v[42:43], v[6:7], v[6:7] op_sel:[0,1]
                                        ; implicit-def: $sgpr26_sgpr27
	s_and_saveexec_b64 s[22:23], vcc
	s_cbranch_execz .LBB59_98
; %bb.77:
	ds_read2_b64 v[42:45], v48 offset0:7 offset1:8
	v_cmp_ne_u64_e32 vcc, v[94:95], v[96:97]
	v_add_u32_e32 v6, 8, v49
	v_cndmask_b32_e64 v117, 0, 1, vcc
	v_cmp_gt_u32_e32 vcc, s81, v6
	v_pk_mov_b32 v[6:7], 0, 0
	s_mov_b64 s[28:29], 0
	v_mov_b32_e32 v110, 0
	v_mov_b32_e32 v126, 0
	v_pk_mov_b32 v[58:59], v[6:7], v[6:7] op_sel:[0,1]
	v_mov_b32_e32 v125, 0
	v_pk_mov_b32 v[70:71], v[6:7], v[6:7] op_sel:[0,1]
	;; [unrolled: 2-line block ×9, first 2 shown]
                                        ; implicit-def: $sgpr26_sgpr27
	s_and_saveexec_b64 s[24:25], vcc
	s_cbranch_execz .LBB59_97
; %bb.78:
	v_cmp_ne_u64_e32 vcc, v[96:97], v[90:91]
	v_add_u32_e32 v6, 9, v49
	v_cndmask_b32_e64 v118, 0, 1, vcc
	v_cmp_gt_u32_e32 vcc, s81, v6
	v_pk_mov_b32 v[6:7], 0, 0
	s_waitcnt lgkmcnt(0)
	v_mov_b32_e32 v30, v44
	v_mov_b32_e32 v31, v45
	;; [unrolled: 1-line block ×4, first 2 shown]
	v_pk_mov_b32 v[58:59], v[6:7], v[6:7] op_sel:[0,1]
	v_mov_b32_e32 v125, 0
	v_pk_mov_b32 v[70:71], v[6:7], v[6:7] op_sel:[0,1]
	v_mov_b32_e32 v124, 0
	;; [unrolled: 2-line block ×7, first 2 shown]
	v_pk_mov_b32 v[50:51], v[6:7], v[6:7] op_sel:[0,1]
                                        ; implicit-def: $sgpr30_sgpr31
	s_and_saveexec_b64 s[26:27], vcc
	s_cbranch_execz .LBB59_96
; %bb.79:
	ds_read2_b64 v[50:53], v48 offset0:9 offset1:10
	v_cmp_ne_u64_e32 vcc, v[90:91], v[92:93]
	v_add_u32_e32 v6, 10, v49
	v_cndmask_b32_e64 v119, 0, 1, vcc
	v_cmp_gt_u32_e32 vcc, s81, v6
	v_pk_mov_b32 v[6:7], 0, 0
	s_mov_b64 s[34:35], 0
	v_mov_b32_e32 v110, 0
	v_mov_b32_e32 v126, 0
	v_pk_mov_b32 v[58:59], v[6:7], v[6:7] op_sel:[0,1]
	v_mov_b32_e32 v125, 0
	v_pk_mov_b32 v[70:71], v[6:7], v[6:7] op_sel:[0,1]
	;; [unrolled: 2-line block ×7, first 2 shown]
                                        ; implicit-def: $sgpr30_sgpr31
	s_and_saveexec_b64 s[28:29], vcc
	s_cbranch_execz .LBB59_95
; %bb.80:
	v_cmp_ne_u64_e32 vcc, v[92:93], v[86:87]
	v_add_u32_e32 v6, 11, v49
	v_cndmask_b32_e64 v120, 0, 1, vcc
	v_cmp_gt_u32_e32 vcc, s81, v6
	v_pk_mov_b32 v[6:7], 0, 0
	s_waitcnt lgkmcnt(0)
	v_mov_b32_e32 v38, v52
	v_mov_b32_e32 v39, v53
	;; [unrolled: 1-line block ×4, first 2 shown]
	v_pk_mov_b32 v[58:59], v[6:7], v[6:7] op_sel:[0,1]
	v_mov_b32_e32 v125, 0
	v_pk_mov_b32 v[70:71], v[6:7], v[6:7] op_sel:[0,1]
	v_mov_b32_e32 v124, 0
	;; [unrolled: 2-line block ×5, first 2 shown]
	v_pk_mov_b32 v[62:63], v[6:7], v[6:7] op_sel:[0,1]
                                        ; implicit-def: $sgpr36_sgpr37
	s_and_saveexec_b64 s[30:31], vcc
	s_cbranch_execz .LBB59_94
; %bb.81:
	ds_read2_b64 v[62:65], v48 offset0:11 offset1:12
	v_cmp_ne_u64_e32 vcc, v[86:87], v[88:89]
	v_add_u32_e32 v6, 12, v49
	v_cndmask_b32_e64 v121, 0, 1, vcc
	v_cmp_gt_u32_e32 vcc, s81, v6
	v_pk_mov_b32 v[6:7], 0, 0
	s_mov_b64 s[38:39], 0
	v_mov_b32_e32 v110, 0
	v_mov_b32_e32 v126, 0
	v_pk_mov_b32 v[58:59], v[6:7], v[6:7] op_sel:[0,1]
	v_mov_b32_e32 v125, 0
	v_pk_mov_b32 v[70:71], v[6:7], v[6:7] op_sel:[0,1]
	;; [unrolled: 2-line block ×5, first 2 shown]
                                        ; implicit-def: $sgpr36_sgpr37
	s_and_saveexec_b64 s[34:35], vcc
	s_cbranch_execz .LBB59_93
; %bb.82:
	v_cmp_ne_u64_e32 vcc, v[88:89], v[82:83]
	v_add_u32_e32 v6, 13, v49
	v_cndmask_b32_e64 v122, 0, 1, vcc
	v_cmp_gt_u32_e32 vcc, s81, v6
	v_pk_mov_b32 v[6:7], 0, 0
	s_waitcnt lgkmcnt(0)
	v_mov_b32_e32 v46, v64
	v_mov_b32_e32 v47, v65
	;; [unrolled: 1-line block ×4, first 2 shown]
	v_pk_mov_b32 v[58:59], v[6:7], v[6:7] op_sel:[0,1]
	v_mov_b32_e32 v125, 0
	v_pk_mov_b32 v[70:71], v[6:7], v[6:7] op_sel:[0,1]
	v_mov_b32_e32 v124, 0
	;; [unrolled: 2-line block ×3, first 2 shown]
	v_pk_mov_b32 v[66:67], v[6:7], v[6:7] op_sel:[0,1]
                                        ; implicit-def: $sgpr40_sgpr41
	s_and_saveexec_b64 s[36:37], vcc
	s_cbranch_execz .LBB59_92
; %bb.83:
	ds_read2_b64 v[66:69], v48 offset0:13 offset1:14
	v_cmp_ne_u64_e32 vcc, v[82:83], v[84:85]
	v_add_u32_e32 v6, 14, v49
	v_cndmask_b32_e64 v123, 0, 1, vcc
	v_cmp_gt_u32_e32 vcc, s81, v6
	v_pk_mov_b32 v[6:7], 0, 0
	s_mov_b64 s[42:43], 0
	v_mov_b32_e32 v110, 0
	v_mov_b32_e32 v126, 0
	v_pk_mov_b32 v[58:59], v[6:7], v[6:7] op_sel:[0,1]
	v_mov_b32_e32 v125, 0
	v_pk_mov_b32 v[70:71], v[6:7], v[6:7] op_sel:[0,1]
	;; [unrolled: 2-line block ×3, first 2 shown]
                                        ; implicit-def: $sgpr40_sgpr41
	s_and_saveexec_b64 s[38:39], vcc
	s_cbranch_execz .LBB59_91
; %bb.84:
	v_cmp_ne_u64_e32 vcc, v[84:85], v[78:79]
	v_add_u32_e32 v6, 15, v49
	v_cndmask_b32_e64 v124, 0, 1, vcc
	v_cmp_gt_u32_e32 vcc, s81, v6
	v_pk_mov_b32 v[6:7], 0, 0
	s_waitcnt lgkmcnt(0)
	v_mov_b32_e32 v54, v68
	v_mov_b32_e32 v55, v69
	;; [unrolled: 1-line block ×4, first 2 shown]
	v_pk_mov_b32 v[58:59], v[6:7], v[6:7] op_sel:[0,1]
	v_mov_b32_e32 v125, 0
	v_pk_mov_b32 v[70:71], v[6:7], v[6:7] op_sel:[0,1]
                                        ; implicit-def: $sgpr44_sgpr45
	s_and_saveexec_b64 s[40:41], vcc
	s_cbranch_execz .LBB59_90
; %bb.85:
	ds_read2_b64 v[70:73], v48 offset0:15 offset1:16
	v_cmp_ne_u64_e32 vcc, v[78:79], v[80:81]
	v_add_u32_e32 v6, 16, v49
	v_cndmask_b32_e64 v125, 0, 1, vcc
	v_cmp_gt_u32_e32 vcc, s81, v6
	v_pk_mov_b32 v[6:7], 0, 0
	s_mov_b64 s[44:45], 0
	v_mov_b32_e32 v110, 0
	v_mov_b32_e32 v126, 0
	v_pk_mov_b32 v[58:59], v[6:7], v[6:7] op_sel:[0,1]
                                        ; implicit-def: $sgpr64_sgpr65
	s_and_saveexec_b64 s[42:43], vcc
	s_cbranch_execz .LBB59_89
; %bb.86:
	v_cmp_ne_u64_e32 vcc, v[80:81], v[74:75]
	v_add_u32_e32 v6, 17, v49
	s_waitcnt lgkmcnt(0)
	v_mov_b32_e32 v58, v72
	v_mov_b32_e32 v59, v73
	v_cndmask_b32_e64 v126, 0, 1, vcc
	v_cmp_gt_u32_e32 vcc, s81, v6
	v_mov_b32_e32 v110, 0
	v_pk_mov_b32 v[6:7], 0, 0
                                        ; implicit-def: $sgpr64_sgpr65
	s_and_saveexec_b64 s[4:5], vcc
	s_xor_b64 s[76:77], exec, s[4:5]
	s_cbranch_execz .LBB59_88
; %bb.87:
	ds_read2_b64 v[6:9], v48 offset0:17 offset1:18
	v_cmp_ne_u64_e32 vcc, v[76:77], v[4:5]
	v_cmp_ne_u64_e64 s[4:5], v[74:75], v[76:77]
	v_add_u32_e32 v4, 18, v49
	v_cndmask_b32_e64 v110, 0, 1, s[4:5]
	v_cmp_gt_u32_e64 s[4:5], s81, v4
	s_and_b64 s[64:65], vcc, exec
	s_and_b64 s[44:45], s[4:5], exec
	s_waitcnt lgkmcnt(0)
	v_pk_mov_b32 v[60:61], v[6:7], v[6:7] op_sel:[0,1]
.LBB59_88:
	s_or_b64 exec, exec, s[76:77]
	s_and_b64 s[64:65], s[64:65], exec
	s_and_b64 s[4:5], s[44:45], exec
.LBB59_89:
	s_or_b64 exec, exec, s[42:43]
	s_and_b64 s[44:45], s[64:65], exec
	s_and_b64 s[42:43], s[4:5], exec
	s_waitcnt lgkmcnt(0)
	v_pk_mov_b32 v[56:57], v[70:71], v[70:71] op_sel:[0,1]
	v_pk_mov_b32 v[48:49], v[66:67], v[66:67] op_sel:[0,1]
	;; [unrolled: 1-line block ×8, first 2 shown]
.LBB59_90:
	s_or_b64 exec, exec, s[40:41]
	s_and_b64 s[40:41], s[44:45], exec
	s_and_b64 s[4:5], s[42:43], exec
.LBB59_91:
	s_or_b64 exec, exec, s[38:39]
	s_and_b64 s[40:41], s[40:41], exec
	s_and_b64 s[38:39], s[4:5], exec
.LBB59_92:
	s_or_b64 exec, exec, s[36:37]
	s_and_b64 s[36:37], s[40:41], exec
	s_and_b64 s[4:5], s[38:39], exec
.LBB59_93:
	s_or_b64 exec, exec, s[34:35]
	s_and_b64 s[36:37], s[36:37], exec
	s_and_b64 s[34:35], s[4:5], exec
.LBB59_94:
	s_or_b64 exec, exec, s[30:31]
	s_and_b64 s[30:31], s[36:37], exec
	s_and_b64 s[4:5], s[34:35], exec
.LBB59_95:
	s_or_b64 exec, exec, s[28:29]
	s_and_b64 s[30:31], s[30:31], exec
	s_and_b64 s[28:29], s[4:5], exec
.LBB59_96:
	s_or_b64 exec, exec, s[26:27]
	s_and_b64 s[26:27], s[30:31], exec
	s_and_b64 s[4:5], s[28:29], exec
.LBB59_97:
	s_or_b64 exec, exec, s[24:25]
	s_and_b64 s[26:27], s[26:27], exec
	s_and_b64 s[24:25], s[4:5], exec
.LBB59_98:
	s_or_b64 exec, exec, s[22:23]
	s_and_b64 s[22:23], s[26:27], exec
	s_and_b64 s[4:5], s[24:25], exec
.LBB59_99:
	s_or_b64 exec, exec, s[20:21]
	s_and_b64 s[22:23], s[22:23], exec
	s_and_b64 s[20:21], s[4:5], exec
.LBB59_100:
	s_or_b64 exec, exec, s[18:19]
	s_and_b64 s[18:19], s[22:23], exec
	s_and_b64 s[4:5], s[20:21], exec
.LBB59_101:
	s_or_b64 exec, exec, s[16:17]
	s_and_b64 s[18:19], s[18:19], exec
	s_and_b64 s[16:17], s[4:5], exec
.LBB59_102:
	s_or_b64 exec, exec, s[14:15]
	s_and_b64 s[14:15], s[18:19], exec
	s_and_b64 s[4:5], s[16:17], exec
.LBB59_103:
	s_or_b64 exec, exec, s[12:13]
	s_and_b64 s[14:15], s[14:15], exec
	s_and_b64 s[12:13], s[4:5], exec
.LBB59_104:
	s_or_b64 exec, exec, s[10:11]
	s_and_b64 s[4:5], s[14:15], exec
	s_and_b64 s[10:11], s[12:13], exec
.LBB59_105:
	s_or_b64 exec, exec, s[8:9]
	s_mov_b64 s[8:9], 0
	s_and_b64 vcc, exec, s[6:7]
	v_lshlrev_b32_e32 v127, 3, v0
	s_cbranch_vccnz .LBB59_107
	s_branch .LBB59_115
.LBB59_106:
                                        ; implicit-def: $sgpr4_sgpr5
                                        ; implicit-def: $vgpr8_vgpr9
                                        ; implicit-def: $vgpr110
                                        ; implicit-def: $vgpr60_vgpr61
                                        ; implicit-def: $vgpr126
                                        ; implicit-def: $vgpr125
                                        ; implicit-def: $vgpr56_vgpr57
                                        ; implicit-def: $vgpr124
                                        ; implicit-def: $vgpr123
                                        ; implicit-def: $vgpr48_vgpr49
                                        ; implicit-def: $vgpr122
                                        ; implicit-def: $vgpr121
                                        ; implicit-def: $vgpr40_vgpr41
                                        ; implicit-def: $vgpr120
                                        ; implicit-def: $vgpr119
                                        ; implicit-def: $vgpr32_vgpr33
                                        ; implicit-def: $vgpr118
                                        ; implicit-def: $vgpr117
                                        ; implicit-def: $vgpr24_vgpr25
                                        ; implicit-def: $vgpr116
                                        ; implicit-def: $vgpr115
                                        ; implicit-def: $vgpr20_vgpr21
                                        ; implicit-def: $vgpr114
                                        ; implicit-def: $vgpr113
                                        ; implicit-def: $vgpr12_vgpr13
                                        ; implicit-def: $vgpr111
                                        ; implicit-def: $vgpr112
                                        ; implicit-def: $vgpr4_vgpr5
                                        ; implicit-def: $vgpr1
                                        ; implicit-def: $sgpr80
                                        ; implicit-def: $sgpr8_sgpr9
                                        ; implicit-def: $vgpr70_vgpr71
                                        ; implicit-def: $vgpr66_vgpr67
                                        ; implicit-def: $vgpr62_vgpr63
                                        ; implicit-def: $vgpr50_vgpr51
                                        ; implicit-def: $vgpr42_vgpr43
                                        ; implicit-def: $vgpr34_vgpr35
                                        ; implicit-def: $vgpr26_vgpr27
                                        ; implicit-def: $vgpr14_vgpr15
	s_and_b64 vcc, exec, s[6:7]
	v_lshlrev_b32_e32 v127, 3, v0
	s_cbranch_vccz .LBB59_115
.LBB59_107:
	v_mov_b32_e32 v1, s61
	s_waitcnt lgkmcnt(0)
	v_add_co_u32_e32 v2, vcc, s60, v127
	v_addc_co_u32_e32 v3, vcc, 0, v1, vcc
	v_add_co_u32_e32 v20, vcc, 0x1000, v2
	v_addc_co_u32_e32 v21, vcc, 0, v3, vcc
	flat_load_dwordx2 v[4:5], v[2:3]
	flat_load_dwordx2 v[6:7], v[2:3] offset:512
	flat_load_dwordx2 v[8:9], v[2:3] offset:1024
	flat_load_dwordx2 v[10:11], v[2:3] offset:1536
	flat_load_dwordx2 v[12:13], v[2:3] offset:2048
	flat_load_dwordx2 v[14:15], v[2:3] offset:2560
	flat_load_dwordx2 v[16:17], v[2:3] offset:3072
	flat_load_dwordx2 v[18:19], v[2:3] offset:3584
	v_add_co_u32_e32 v2, vcc, 0x2000, v2
	v_addc_co_u32_e32 v3, vcc, 0, v3, vcc
	flat_load_dwordx2 v[22:23], v[20:21]
	flat_load_dwordx2 v[24:25], v[20:21] offset:512
	flat_load_dwordx2 v[26:27], v[20:21] offset:1024
	;; [unrolled: 1-line block ×7, first 2 shown]
	s_nop 0
	flat_load_dwordx2 v[20:21], v[2:3]
	flat_load_dwordx2 v[38:39], v[2:3] offset:512
	flat_load_dwordx2 v[40:41], v[2:3] offset:1024
	s_movk_i32 s4, 0x90
	v_mad_u32_u24 v1, v0, s4, v127
	s_cmp_eq_u64 s[74:75], 0
	s_waitcnt vmcnt(0) lgkmcnt(0)
	ds_write2st64_b64 v127, v[4:5], v[6:7] offset1:1
	ds_write2st64_b64 v127, v[8:9], v[10:11] offset0:2 offset1:3
	ds_write2st64_b64 v127, v[12:13], v[14:15] offset0:4 offset1:5
	ds_write2st64_b64 v127, v[16:17], v[18:19] offset0:6 offset1:7
	ds_write2st64_b64 v127, v[22:23], v[24:25] offset0:8 offset1:9
	ds_write2st64_b64 v127, v[26:27], v[28:29] offset0:10 offset1:11
	ds_write2st64_b64 v127, v[30:31], v[32:33] offset0:12 offset1:13
	ds_write2st64_b64 v127, v[34:35], v[36:37] offset0:14 offset1:15
	ds_write2st64_b64 v127, v[20:21], v[38:39] offset0:16 offset1:17
	ds_write_b64 v127, v[40:41] offset:9216
	s_waitcnt lgkmcnt(0)
	; wave barrier
	s_waitcnt lgkmcnt(0)
	ds_read2_b64 v[14:17], v1 offset1:1
	ds_read2_b64 v[2:5], v1 offset0:2 offset1:3
	ds_read2_b64 v[6:9], v1 offset0:4 offset1:5
	;; [unrolled: 1-line block ×8, first 2 shown]
	ds_read_b64 v[38:39], v1 offset:144
	s_cbranch_scc1 .LBB59_112
; %bb.108:
	s_andn2_b64 vcc, exec, s[68:69]
	s_cbranch_vccnz .LBB59_266
; %bb.109:
	s_lshl_b64 s[4:5], s[74:75], 3
	s_add_u32 s4, s70, s4
	s_addc_u32 s5, s71, s5
	s_add_u32 s4, s4, -8
	s_addc_u32 s5, s5, -1
	s_cbranch_execnz .LBB59_111
.LBB59_110:
	s_add_u32 s4, s60, -8
	s_addc_u32 s5, s61, -1
.LBB59_111:
	s_mov_b64 s[60:61], s[4:5]
.LBB59_112:
	v_pk_mov_b32 v[40:41], s[60:61], s[60:61] op_sel:[0,1]
	flat_load_dwordx2 v[42:43], v[40:41]
	s_movk_i32 s4, 0xff70
	v_mad_i32_i24 v40, v0, s4, v1
	s_waitcnt lgkmcnt(0)
	ds_write_b64 v40, v[38:39] offset:9728
	s_waitcnt lgkmcnt(0)
	; wave barrier
	s_waitcnt lgkmcnt(0)
	s_and_saveexec_b64 s[4:5], s[46:47]
	s_cbranch_execz .LBB59_114
; %bb.113:
	v_mul_i32_i24_e32 v40, 0xffffff70, v0
	v_add_u32_e32 v40, v1, v40
	s_waitcnt vmcnt(0)
	ds_read_b64 v[42:43], v40 offset:9720
.LBB59_114:
	s_or_b64 exec, exec, s[4:5]
	v_mov_b32_e32 v41, s79
	v_add_co_u32_e32 v40, vcc, s78, v127
	v_addc_co_u32_e32 v41, vcc, 0, v41, vcc
	s_movk_i32 s4, 0x1000
	v_add_co_u32_e32 v60, vcc, s4, v40
	v_addc_co_u32_e32 v61, vcc, 0, v41, vcc
	s_movk_i32 s4, 0x2000
	s_waitcnt lgkmcnt(0)
	; wave barrier
	s_waitcnt lgkmcnt(0)
	flat_load_dwordx2 v[44:45], v[40:41]
	flat_load_dwordx2 v[46:47], v[40:41] offset:512
	flat_load_dwordx2 v[48:49], v[40:41] offset:1024
	flat_load_dwordx2 v[50:51], v[40:41] offset:1536
	flat_load_dwordx2 v[52:53], v[40:41] offset:2048
	flat_load_dwordx2 v[54:55], v[40:41] offset:2560
	flat_load_dwordx2 v[56:57], v[40:41] offset:3072
	flat_load_dwordx2 v[58:59], v[40:41] offset:3584
	v_add_co_u32_e32 v40, vcc, s4, v40
	v_addc_co_u32_e32 v41, vcc, 0, v41, vcc
	flat_load_dwordx2 v[62:63], v[60:61]
	flat_load_dwordx2 v[64:65], v[60:61] offset:512
	flat_load_dwordx2 v[66:67], v[60:61] offset:1024
	;; [unrolled: 1-line block ×7, first 2 shown]
	s_nop 0
	flat_load_dwordx2 v[60:61], v[40:41]
	flat_load_dwordx2 v[78:79], v[40:41] offset:512
	flat_load_dwordx2 v[80:81], v[40:41] offset:1024
	v_cmp_ne_u64_e32 vcc, v[34:35], v[36:37]
	v_cndmask_b32_e64 v110, 0, 1, vcc
	v_cmp_ne_u64_e32 vcc, v[32:33], v[34:35]
	v_cndmask_b32_e64 v126, 0, 1, vcc
	;; [unrolled: 2-line block ×14, first 2 shown]
	v_cmp_ne_u64_e32 vcc, v[2:3], v[4:5]
	v_cmp_ne_u64_e64 s[4:5], v[36:37], v[38:39]
	v_cndmask_b32_e64 v113, 0, 1, vcc
	v_cmp_ne_u64_e32 vcc, v[16:17], v[2:3]
	v_cndmask_b32_e64 v111, 0, 1, vcc
	v_cmp_ne_u64_e32 vcc, v[14:15], v[16:17]
	v_cndmask_b32_e64 v112, 0, 1, vcc
	s_waitcnt vmcnt(0)
	v_cmp_ne_u64_e32 vcc, v[42:43], v[14:15]
	s_mov_b64 s[10:11], -1
                                        ; implicit-def: $sgpr80
                                        ; implicit-def: $sgpr8_sgpr9
                                        ; implicit-def: $vgpr42_vgpr43
                                        ; implicit-def: $vgpr34_vgpr35
                                        ; implicit-def: $vgpr26_vgpr27
                                        ; implicit-def: $vgpr14_vgpr15
	s_waitcnt lgkmcnt(0)
	ds_write2st64_b64 v127, v[44:45], v[46:47] offset1:1
	ds_write2st64_b64 v127, v[48:49], v[50:51] offset0:2 offset1:3
	ds_write2st64_b64 v127, v[52:53], v[54:55] offset0:4 offset1:5
	;; [unrolled: 1-line block ×8, first 2 shown]
	ds_write_b64 v127, v[80:81] offset:9216
	s_waitcnt lgkmcnt(0)
	; wave barrier
	s_waitcnt lgkmcnt(0)
	ds_read2_b64 v[2:5], v1 offset1:1
	ds_read2_b64 v[10:13], v1 offset0:2 offset1:3
	ds_read2_b64 v[18:21], v1 offset0:4 offset1:5
	;; [unrolled: 1-line block ×8, first 2 shown]
	ds_read_b64 v[8:9], v1 offset:144
	v_cndmask_b32_e64 v1, 0, 1, vcc
                                        ; implicit-def: $vgpr70_vgpr71
                                        ; implicit-def: $vgpr66_vgpr67
                                        ; implicit-def: $vgpr62_vgpr63
                                        ; implicit-def: $vgpr50_vgpr51
.LBB59_115:
	s_waitcnt lgkmcnt(0)
	v_pk_mov_b32 v[16:17], s[8:9], s[8:9] op_sel:[0,1]
	v_mov_b32_e32 v36, s80
	s_and_saveexec_b64 s[6:7], s[10:11]
; %bb.116:
	v_cndmask_b32_e64 v36, 0, 1, s[4:5]
	v_pk_mov_b32 v[14:15], v[4:5], v[4:5] op_sel:[0,1]
	v_pk_mov_b32 v[26:27], v[12:13], v[12:13] op_sel:[0,1]
	;; [unrolled: 1-line block ×10, first 2 shown]
; %bb.117:
	s_or_b64 exec, exec, s[6:7]
	v_or_b32_e32 v4, v36, v110
	s_cmp_lg_u32 s55, 0
	v_or_b32_e32 v33, v4, v126
	v_mbcnt_lo_u32_b32 v32, -1, 0
	s_waitcnt lgkmcnt(0)
	; wave barrier
	s_cbranch_scc0 .LBB59_182
; %bb.118:
	v_mov_b32_e32 v9, 0
	v_cmp_eq_u16_sdwa s[42:43], v112, v9 src0_sel:BYTE_0 src1_sel:DWORD
	v_cndmask_b32_e64 v4, 1, v2, s[42:43]
	v_cndmask_b32_e64 v5, 0, v3, s[42:43]
	v_mul_lo_u32 v12, v5, v14
	v_mul_lo_u32 v13, v4, v15
	v_mad_u64_u32 v[4:5], s[4:5], v4, v14, 0
	v_add3_u32 v5, v5, v13, v12
	v_cmp_eq_u16_sdwa s[40:41], v111, v9 src0_sel:BYTE_0 src1_sel:DWORD
	v_cndmask_b32_e64 v5, 0, v5, s[40:41]
	v_cndmask_b32_e64 v4, 1, v4, s[40:41]
	v_mul_lo_u32 v12, v5, v10
	v_mul_lo_u32 v13, v4, v11
	v_mad_u64_u32 v[4:5], s[4:5], v4, v10, 0
	v_add3_u32 v5, v5, v13, v12
	;; [unrolled: 7-line block ×18, first 2 shown]
	v_or_b32_e32 v9, v33, v125
	v_or_b32_e32 v9, v9, v124
	;; [unrolled: 1-line block ×15, first 2 shown]
	v_and_b32_e32 v9, 1, v9
	v_and_b32_e32 v8, 0xff, v1
	v_cmp_eq_u32_e32 vcc, 1, v9
	v_mbcnt_hi_u32_b32 v28, -1, v32
	v_cndmask_b32_e64 v12, v8, 1, vcc
	v_and_b32_e32 v13, 15, v28
	v_mov_b32_dpp v21, v4 row_shr:1 row_mask:0xf bank_mask:0xf
	v_mov_b32_dpp v24, v5 row_shr:1 row_mask:0xf bank_mask:0xf
	;; [unrolled: 1-line block ×3, first 2 shown]
	v_cmp_ne_u32_e32 vcc, 0, v13
	v_mov_b32_e32 v9, v5
	v_mov_b32_e32 v8, v4
	s_and_saveexec_b64 s[4:5], vcc
; %bb.119:
	v_cmp_eq_u32_e32 vcc, 0, v12
	v_cndmask_b32_e32 v8, 1, v21, vcc
	v_cndmask_b32_e32 v21, 0, v24, vcc
	v_mul_lo_u32 v5, v8, v5
	v_mad_u64_u32 v[8:9], s[44:45], v8, v4, 0
	v_mul_lo_u32 v4, v21, v4
	v_add3_u32 v9, v9, v5, v4
	v_and_or_b32 v12, v20, 1, v12
	v_pk_mov_b32 v[4:5], v[8:9], v[8:9] op_sel:[0,1]
; %bb.120:
	s_or_b64 exec, exec, s[4:5]
	v_mov_b32_dpp v21, v8 row_shr:2 row_mask:0xf bank_mask:0xf
	v_mov_b32_dpp v24, v9 row_shr:2 row_mask:0xf bank_mask:0xf
	v_mov_b32_dpp v20, v12 row_shr:2 row_mask:0xf bank_mask:0xf
	v_cmp_lt_u32_e32 vcc, 1, v13
	s_and_saveexec_b64 s[4:5], vcc
; %bb.121:
	v_cmp_eq_u32_e32 vcc, 0, v12
	v_cndmask_b32_e32 v8, 1, v21, vcc
	v_cndmask_b32_e32 v21, 0, v24, vcc
	v_mul_lo_u32 v5, v8, v5
	v_mad_u64_u32 v[8:9], s[44:45], v8, v4, 0
	v_mul_lo_u32 v4, v21, v4
	v_add3_u32 v9, v9, v5, v4
	v_or_b32_e32 v4, v20, v12
	v_and_b32_e32 v12, 1, v4
	v_pk_mov_b32 v[4:5], v[8:9], v[8:9] op_sel:[0,1]
; %bb.122:
	s_or_b64 exec, exec, s[4:5]
	v_mov_b32_dpp v21, v8 row_shr:4 row_mask:0xf bank_mask:0xf
	v_mov_b32_dpp v24, v9 row_shr:4 row_mask:0xf bank_mask:0xf
	v_mov_b32_dpp v20, v12 row_shr:4 row_mask:0xf bank_mask:0xf
	v_cmp_lt_u32_e32 vcc, 3, v13
	s_and_saveexec_b64 s[4:5], vcc
; %bb.123:
	v_cmp_eq_u32_e32 vcc, 0, v12
	v_cndmask_b32_e32 v8, 1, v21, vcc
	v_cndmask_b32_e32 v21, 0, v24, vcc
	v_mul_lo_u32 v5, v8, v5
	v_mad_u64_u32 v[8:9], s[44:45], v8, v4, 0
	v_mul_lo_u32 v4, v21, v4
	v_add3_u32 v9, v9, v5, v4
	v_or_b32_e32 v4, v20, v12
	v_and_b32_e32 v12, 1, v4
	;; [unrolled: 18-line block ×3, first 2 shown]
	v_pk_mov_b32 v[4:5], v[8:9], v[8:9] op_sel:[0,1]
; %bb.126:
	s_or_b64 exec, exec, s[4:5]
	v_and_b32_e32 v24, 16, v28
	v_mov_b32_dpp v20, v8 row_bcast:15 row_mask:0xf bank_mask:0xf
	v_mov_b32_dpp v21, v9 row_bcast:15 row_mask:0xf bank_mask:0xf
	;; [unrolled: 1-line block ×3, first 2 shown]
	v_cmp_ne_u32_e32 vcc, 0, v24
	s_and_saveexec_b64 s[4:5], vcc
; %bb.127:
	v_cmp_eq_u32_e32 vcc, 0, v12
	v_cndmask_b32_e32 v8, 1, v20, vcc
	v_cndmask_b32_e32 v20, 0, v21, vcc
	v_mul_lo_u32 v5, v8, v5
	v_mad_u64_u32 v[8:9], s[44:45], v8, v4, 0
	v_mul_lo_u32 v4, v20, v4
	v_add3_u32 v9, v9, v5, v4
	v_or_b32_e32 v4, v13, v12
	v_and_b32_e32 v12, 1, v4
	v_pk_mov_b32 v[4:5], v[8:9], v[8:9] op_sel:[0,1]
; %bb.128:
	s_or_b64 exec, exec, s[4:5]
	v_mov_b32_dpp v13, v8 row_bcast:31 row_mask:0xf bank_mask:0xf
	v_mov_b32_dpp v20, v9 row_bcast:31 row_mask:0xf bank_mask:0xf
	;; [unrolled: 1-line block ×3, first 2 shown]
	v_cmp_lt_u32_e32 vcc, 31, v28
	v_mov_b32_e32 v8, v12
	s_and_saveexec_b64 s[4:5], vcc
; %bb.129:
	v_cmp_eq_u32_e32 vcc, 0, v12
	v_cndmask_b32_e32 v8, 1, v13, vcc
	v_cndmask_b32_e32 v13, 0, v20, vcc
	v_mul_lo_u32 v5, v8, v5
	v_mad_u64_u32 v[20:21], s[44:45], v8, v4, 0
	v_mul_lo_u32 v4, v13, v4
	v_add3_u32 v21, v21, v5, v4
	v_or_b32_e32 v4, v9, v12
	v_and_b32_e32 v8, 1, v4
	v_and_b32_e32 v12, 1, v4
	v_pk_mov_b32 v[4:5], v[20:21], v[20:21] op_sel:[0,1]
; %bb.130:
	s_or_b64 exec, exec, s[4:5]
	v_cmp_eq_u32_e32 vcc, 63, v0
	s_and_saveexec_b64 s[4:5], vcc
	s_cbranch_execz .LBB59_132
; %bb.131:
	v_mov_b32_e32 v9, 0
	ds_write_b64 v9, v[4:5]
	ds_write_b8 v9, v8 offset:8
.LBB59_132:
	s_or_b64 exec, exec, s[4:5]
	v_add_u32_e32 v8, -1, v28
	v_and_b32_e32 v9, 64, v28
	v_cmp_lt_i32_e32 vcc, v8, v9
	v_cndmask_b32_e32 v8, v8, v28, vcc
	v_lshlrev_b32_e32 v8, 2, v8
	ds_bpermute_b32 v37, v8, v4
	ds_bpermute_b32 v40, v8, v5
	;; [unrolled: 1-line block ×3, first 2 shown]
	v_cmp_gt_u32_e32 vcc, 64, v0
	s_waitcnt lgkmcnt(0)
	; wave barrier
	s_waitcnt lgkmcnt(0)
	s_and_saveexec_b64 s[60:61], vcc
	s_cbranch_execz .LBB59_179
; %bb.133:
	v_mov_b32_e32 v13, 0
	ds_read_b64 v[4:5], v13
	ds_read_u8 v44, v13 offset:8
	s_mov_b32 s65, 0
	v_cmp_eq_u32_e64 s[44:45], 0, v28
	s_and_saveexec_b64 s[4:5], s[44:45]
	s_cbranch_execz .LBB59_135
; %bb.134:
	s_add_i32 s64, s55, 64
	s_lshl_b64 s[68:69], s[64:65], 4
	s_add_u32 s68, s48, s68
	s_addc_u32 s69, s49, s69
	v_mov_b32_e32 v8, s64
	v_mov_b32_e32 v9, 1
	s_waitcnt lgkmcnt(1)
	global_store_dwordx2 v13, v[4:5], s[68:69]
	s_waitcnt lgkmcnt(0)
	global_store_byte v13, v44, s[68:69] offset:8
	s_waitcnt vmcnt(0)
	buffer_wbinvl1_vol
	global_store_byte v8, v9, s[52:53]
.LBB59_135:
	s_or_b64 exec, exec, s[4:5]
	v_xad_u32 v8, v28, -1, s55
	v_add_u32_e32 v12, 64, v8
	global_load_ubyte v45, v12, s[52:53] glc
	s_waitcnt vmcnt(0)
	v_cmp_eq_u16_e32 vcc, 0, v45
	s_and_saveexec_b64 s[4:5], vcc
	s_cbranch_execz .LBB59_141
; %bb.136:
	v_mov_b32_e32 v9, s53
	v_add_co_u32_e32 v20, vcc, s52, v12
	v_addc_co_u32_e32 v21, vcc, 0, v9, vcc
	s_mov_b32 s68, 1
	s_mov_b64 s[64:65], 0
.LBB59_137:                             ; =>This Loop Header: Depth=1
                                        ;     Child Loop BB59_138 Depth 2
	s_max_u32 s69, s68, 1
.LBB59_138:                             ;   Parent Loop BB59_137 Depth=1
                                        ; =>  This Inner Loop Header: Depth=2
	s_add_i32 s69, s69, -1
	s_cmp_eq_u32 s69, 0
	s_sleep 1
	s_cbranch_scc0 .LBB59_138
; %bb.139:                              ;   in Loop: Header=BB59_137 Depth=1
	global_load_ubyte v45, v[20:21], off glc
	s_cmp_lt_u32 s68, 32
	s_cselect_b64 s[70:71], -1, 0
	s_cmp_lg_u64 s[70:71], 0
	s_addc_u32 s68, s68, 0
	s_waitcnt vmcnt(0)
	v_cmp_ne_u16_e32 vcc, 0, v45
	s_or_b64 s[64:65], vcc, s[64:65]
	s_andn2_b64 exec, exec, s[64:65]
	s_cbranch_execnz .LBB59_137
; %bb.140:
	s_or_b64 exec, exec, s[64:65]
.LBB59_141:
	s_or_b64 exec, exec, s[4:5]
	v_mov_b32_e32 v9, s51
	v_mov_b32_e32 v20, s49
	v_cmp_eq_u16_e32 vcc, 1, v45
	v_cndmask_b32_e32 v9, v9, v20, vcc
	v_mov_b32_e32 v20, s50
	v_mov_b32_e32 v21, s48
	v_cndmask_b32_e32 v20, v20, v21, vcc
	v_lshlrev_b64 v[12:13], 4, v[12:13]
	v_add_co_u32_e32 v12, vcc, v20, v12
	v_addc_co_u32_e32 v13, vcc, v9, v13, vcc
	s_waitcnt lgkmcnt(0)
	buffer_wbinvl1_vol
	global_load_dwordx2 v[24:25], v[12:13], off
	global_load_ubyte v29, v[12:13], off offset:8
	v_cmp_eq_u16_e32 vcc, 2, v45
	v_lshlrev_b64 v[12:13], v28, -1
	v_and_b32_e32 v48, 63, v28
	v_and_b32_e32 v9, vcc_hi, v13
	v_and_b32_e32 v20, vcc_lo, v12
	v_cmp_ne_u32_e32 vcc, 63, v48
	v_addc_co_u32_e32 v21, vcc, 0, v28, vcc
	v_lshlrev_b32_e32 v49, 2, v21
	v_or_b32_e32 v9, 0x80000000, v9
	v_ffbl_b32_e32 v9, v9
	v_ffbl_b32_e32 v20, v20
	v_add_u32_e32 v9, 32, v9
	v_min_u32_e32 v9, v20, v9
	v_cmp_lt_u32_e32 vcc, v48, v9
	s_waitcnt vmcnt(1)
	ds_bpermute_b32 v53, v49, v24
	s_waitcnt vmcnt(0)
	v_and_b32_e32 v69, 1, v29
	ds_bpermute_b32 v56, v49, v25
	ds_bpermute_b32 v52, v49, v69
	v_mov_b32_e32 v21, v25
	v_mov_b32_e32 v20, v24
	s_and_saveexec_b64 s[4:5], vcc
	s_cbranch_execz .LBB59_143
; %bb.142:
	v_mov_b32_e32 v20, 0
	v_cmp_eq_u16_sdwa vcc, v29, v20 src0_sel:BYTE_0 src1_sel:DWORD
	s_waitcnt lgkmcnt(2)
	v_cndmask_b32_e32 v20, 1, v53, vcc
	s_waitcnt lgkmcnt(1)
	v_cndmask_b32_e32 v53, 0, v56, vcc
	v_mul_lo_u32 v25, v20, v25
	v_mad_u64_u32 v[20:21], s[64:65], v20, v24, 0
	v_mul_lo_u32 v24, v53, v24
	v_add3_u32 v21, v21, v25, v24
	s_waitcnt lgkmcnt(0)
	v_and_b32_e32 v24, 1, v52
	v_or_b32_e32 v29, v24, v29
	v_and_b32_e32 v69, 0xff, v29
	v_pk_mov_b32 v[24:25], v[20:21], v[20:21] op_sel:[0,1]
.LBB59_143:
	s_or_b64 exec, exec, s[4:5]
	v_cmp_gt_u32_e32 vcc, 62, v48
	s_waitcnt lgkmcnt(0)
	v_cndmask_b32_e64 v52, 0, 1, vcc
	v_lshlrev_b32_e32 v52, 1, v52
	v_add_lshl_u32 v52, v52, v28, 2
	ds_bpermute_b32 v57, v52, v20
	ds_bpermute_b32 v60, v52, v21
	ds_bpermute_b32 v56, v52, v69
	v_add_u32_e32 v53, 2, v48
	v_cmp_le_u32_e32 vcc, v53, v9
	s_and_saveexec_b64 s[64:65], vcc
	s_cbranch_execz .LBB59_145
; %bb.144:
	v_mov_b32_e32 v20, 0
	v_cmp_eq_u16_sdwa vcc, v29, v20 src0_sel:BYTE_0 src1_sel:DWORD
	s_waitcnt lgkmcnt(2)
	v_cndmask_b32_e32 v20, 1, v57, vcc
	s_waitcnt lgkmcnt(1)
	v_cndmask_b32_e32 v57, 0, v60, vcc
	v_mul_lo_u32 v25, v20, v25
	v_mad_u64_u32 v[20:21], s[4:5], v20, v24, 0
	v_mul_lo_u32 v24, v57, v24
	v_add3_u32 v21, v21, v25, v24
	v_and_b32_e32 v24, 1, v29
	v_cmp_eq_u32_e32 vcc, 1, v24
	s_waitcnt lgkmcnt(0)
	v_and_b32_e32 v24, 1, v56
	v_cmp_eq_u32_e64 s[4:5], 1, v24
	s_or_b64 s[4:5], vcc, s[4:5]
	v_cndmask_b32_e64 v29, 0, 1, s[4:5]
	v_cndmask_b32_e64 v69, 0, 1, s[4:5]
	v_pk_mov_b32 v[24:25], v[20:21], v[20:21] op_sel:[0,1]
.LBB59_145:
	s_or_b64 exec, exec, s[64:65]
	v_cmp_gt_u32_e32 vcc, 60, v48
	s_waitcnt lgkmcnt(0)
	v_cndmask_b32_e64 v56, 0, 1, vcc
	v_lshlrev_b32_e32 v56, 2, v56
	v_add_lshl_u32 v56, v56, v28, 2
	ds_bpermute_b32 v61, v56, v20
	ds_bpermute_b32 v64, v56, v21
	ds_bpermute_b32 v60, v56, v69
	v_add_u32_e32 v57, 4, v48
	v_cmp_le_u32_e32 vcc, v57, v9
	s_and_saveexec_b64 s[64:65], vcc
	s_cbranch_execz .LBB59_147
; %bb.146:
	v_mov_b32_e32 v20, 0
	v_cmp_eq_u16_sdwa vcc, v29, v20 src0_sel:BYTE_0 src1_sel:DWORD
	s_waitcnt lgkmcnt(2)
	v_cndmask_b32_e32 v20, 1, v61, vcc
	s_waitcnt lgkmcnt(1)
	v_cndmask_b32_e32 v61, 0, v64, vcc
	v_mul_lo_u32 v25, v20, v25
	v_mad_u64_u32 v[20:21], s[4:5], v20, v24, 0
	v_mul_lo_u32 v24, v61, v24
	v_add3_u32 v21, v21, v25, v24
	v_and_b32_e32 v24, 1, v29
	v_cmp_eq_u32_e32 vcc, 1, v24
	s_waitcnt lgkmcnt(0)
	v_and_b32_e32 v24, 1, v60
	v_cmp_eq_u32_e64 s[4:5], 1, v24
	s_or_b64 s[4:5], vcc, s[4:5]
	v_cndmask_b32_e64 v29, 0, 1, s[4:5]
	v_cndmask_b32_e64 v69, 0, 1, s[4:5]
	v_pk_mov_b32 v[24:25], v[20:21], v[20:21] op_sel:[0,1]
.LBB59_147:
	;; [unrolled: 34-line block ×4, first 2 shown]
	s_or_b64 exec, exec, s[64:65]
	v_cmp_gt_u32_e32 vcc, 32, v48
	s_waitcnt lgkmcnt(0)
	v_cndmask_b32_e64 v68, 0, 1, vcc
	v_lshlrev_b32_e32 v68, 5, v68
	v_add_lshl_u32 v68, v68, v28, 2
	ds_bpermute_b32 v28, v68, v20
	ds_bpermute_b32 v21, v68, v21
	;; [unrolled: 1-line block ×3, first 2 shown]
	v_add_u32_e32 v72, 32, v48
	v_cmp_le_u32_e32 vcc, v72, v9
	s_and_saveexec_b64 s[64:65], vcc
	s_cbranch_execz .LBB59_153
; %bb.152:
	v_mov_b32_e32 v9, 0
	v_cmp_eq_u16_sdwa vcc, v29, v9 src0_sel:BYTE_0 src1_sel:DWORD
	s_waitcnt lgkmcnt(2)
	v_cndmask_b32_e32 v9, 1, v28, vcc
	s_waitcnt lgkmcnt(1)
	v_cndmask_b32_e32 v21, 0, v21, vcc
	v_mul_lo_u32 v25, v9, v25
	v_mad_u64_u32 v[74:75], s[4:5], v9, v24, 0
	v_mul_lo_u32 v9, v21, v24
	v_add3_u32 v75, v75, v25, v9
	v_and_b32_e32 v9, 1, v29
	v_cmp_eq_u32_e32 vcc, 1, v9
	s_waitcnt lgkmcnt(0)
	v_and_b32_e32 v9, 1, v20
	v_cmp_eq_u32_e64 s[4:5], 1, v9
	s_or_b64 s[4:5], vcc, s[4:5]
	v_cndmask_b32_e64 v29, 0, 1, s[4:5]
	v_pk_mov_b32 v[24:25], v[74:75], v[74:75] op_sel:[0,1]
.LBB59_153:
	s_or_b64 exec, exec, s[64:65]
	v_mov_b32_e32 v9, 0
	v_mov_b32_e32 v73, 2
	s_branch .LBB59_155
.LBB59_154:                             ;   in Loop: Header=BB59_155 Depth=1
	s_or_b64 exec, exec, s[68:69]
	v_cmp_eq_u16_sdwa vcc, v69, v9 src0_sel:BYTE_0 src1_sel:DWORD
	s_waitcnt lgkmcnt(0)
	v_cndmask_b32_e32 v24, 1, v28, vcc
	v_cndmask_b32_e32 v25, 0, v29, vcc
	v_mul_lo_u32 v28, v25, v20
	v_mul_lo_u32 v29, v24, v21
	v_mad_u64_u32 v[24:25], s[4:5], v24, v20, 0
	v_add3_u32 v25, v25, v29, v28
	v_and_b32_e32 v28, 1, v69
	v_cmp_eq_u32_e32 vcc, 1, v28
	s_or_b64 s[4:5], vcc, s[64:65]
	v_subrev_u32_e32 v8, 64, v8
	v_cndmask_b32_e64 v29, 0, 1, s[4:5]
.LBB59_155:                             ; =>This Loop Header: Depth=1
                                        ;     Child Loop BB59_158 Depth 2
                                        ;       Child Loop BB59_159 Depth 3
	v_cmp_ne_u16_sdwa s[4:5], v45, v73 src0_sel:BYTE_0 src1_sel:DWORD
	s_waitcnt lgkmcnt(0)
	v_cndmask_b32_e64 v20, 0, 1, s[4:5]
	;;#ASMSTART
	;;#ASMEND
	v_cmp_ne_u32_e32 vcc, 0, v20
	v_mov_b32_e32 v69, v29
	s_cmp_lg_u64 vcc, exec
	v_pk_mov_b32 v[20:21], v[24:25], v[24:25] op_sel:[0,1]
	s_cbranch_scc1 .LBB59_174
; %bb.156:                              ;   in Loop: Header=BB59_155 Depth=1
	global_load_ubyte v45, v8, s[52:53] glc
	s_waitcnt vmcnt(0)
	v_cmp_eq_u16_e32 vcc, 0, v45
	s_and_saveexec_b64 s[4:5], vcc
	s_cbranch_execz .LBB59_162
; %bb.157:                              ;   in Loop: Header=BB59_155 Depth=1
	v_mov_b32_e32 v25, s53
	v_add_co_u32_e32 v24, vcc, s52, v8
	v_addc_co_u32_e32 v25, vcc, 0, v25, vcc
	s_mov_b32 s68, 1
	s_mov_b64 s[64:65], 0
.LBB59_158:                             ;   Parent Loop BB59_155 Depth=1
                                        ; =>  This Loop Header: Depth=2
                                        ;       Child Loop BB59_159 Depth 3
	s_max_u32 s69, s68, 1
.LBB59_159:                             ;   Parent Loop BB59_155 Depth=1
                                        ;     Parent Loop BB59_158 Depth=2
                                        ; =>    This Inner Loop Header: Depth=3
	s_add_i32 s69, s69, -1
	s_cmp_eq_u32 s69, 0
	s_sleep 1
	s_cbranch_scc0 .LBB59_159
; %bb.160:                              ;   in Loop: Header=BB59_158 Depth=2
	global_load_ubyte v45, v[24:25], off glc
	s_cmp_lt_u32 s68, 32
	s_cselect_b64 s[70:71], -1, 0
	s_cmp_lg_u64 s[70:71], 0
	s_addc_u32 s68, s68, 0
	s_waitcnt vmcnt(0)
	v_cmp_ne_u16_e32 vcc, 0, v45
	s_or_b64 s[64:65], vcc, s[64:65]
	s_andn2_b64 exec, exec, s[64:65]
	s_cbranch_execnz .LBB59_158
; %bb.161:                              ;   in Loop: Header=BB59_155 Depth=1
	s_or_b64 exec, exec, s[64:65]
.LBB59_162:                             ;   in Loop: Header=BB59_155 Depth=1
	s_or_b64 exec, exec, s[4:5]
	v_mov_b32_e32 v24, s51
	v_mov_b32_e32 v25, s49
	v_cmp_eq_u16_e32 vcc, 1, v45
	v_cndmask_b32_e32 v28, v24, v25, vcc
	v_mov_b32_e32 v24, s50
	v_mov_b32_e32 v25, s48
	v_cndmask_b32_e32 v29, v24, v25, vcc
	v_lshlrev_b64 v[24:25], 4, v[8:9]
	v_add_co_u32_e32 v24, vcc, v29, v24
	v_addc_co_u32_e32 v25, vcc, v28, v25, vcc
	buffer_wbinvl1_vol
	global_load_dwordx2 v[28:29], v[24:25], off
	global_load_ubyte v74, v[24:25], off offset:8
	v_cmp_eq_u16_e32 vcc, 2, v45
	v_and_b32_e32 v24, vcc_hi, v13
	v_or_b32_e32 v24, 0x80000000, v24
	v_and_b32_e32 v25, vcc_lo, v12
	v_ffbl_b32_e32 v24, v24
	v_ffbl_b32_e32 v25, v25
	v_add_u32_e32 v24, 32, v24
	v_min_u32_e32 v75, v25, v24
	v_cmp_lt_u32_e32 vcc, v48, v75
	s_waitcnt vmcnt(1)
	ds_bpermute_b32 v78, v49, v28
	s_waitcnt vmcnt(0)
	v_and_b32_e32 v76, 1, v74
	ds_bpermute_b32 v79, v49, v29
	ds_bpermute_b32 v77, v49, v76
	v_mov_b32_e32 v25, v29
	v_mov_b32_e32 v24, v28
	s_and_saveexec_b64 s[4:5], vcc
	s_cbranch_execz .LBB59_164
; %bb.163:                              ;   in Loop: Header=BB59_155 Depth=1
	v_cmp_eq_u16_sdwa vcc, v74, v9 src0_sel:BYTE_0 src1_sel:DWORD
	s_waitcnt lgkmcnt(2)
	v_cndmask_b32_e32 v24, 1, v78, vcc
	s_waitcnt lgkmcnt(1)
	v_cndmask_b32_e32 v76, 0, v79, vcc
	v_mul_lo_u32 v29, v24, v29
	v_mad_u64_u32 v[24:25], s[64:65], v24, v28, 0
	v_mul_lo_u32 v28, v76, v28
	v_add3_u32 v25, v25, v29, v28
	s_waitcnt lgkmcnt(0)
	v_and_b32_e32 v28, 1, v77
	v_or_b32_e32 v74, v28, v74
	v_and_b32_e32 v76, 0xff, v74
	v_pk_mov_b32 v[28:29], v[24:25], v[24:25] op_sel:[0,1]
.LBB59_164:                             ;   in Loop: Header=BB59_155 Depth=1
	s_or_b64 exec, exec, s[4:5]
	s_waitcnt lgkmcnt(2)
	ds_bpermute_b32 v78, v52, v24
	s_waitcnt lgkmcnt(2)
	ds_bpermute_b32 v79, v52, v25
	;; [unrolled: 2-line block ×3, first 2 shown]
	v_and_b32_e32 v80, 1, v74
	v_cmp_le_u32_e32 vcc, v53, v75
	v_cmp_eq_u32_e64 s[64:65], 1, v80
	s_and_saveexec_b64 s[4:5], vcc
	s_cbranch_execz .LBB59_166
; %bb.165:                              ;   in Loop: Header=BB59_155 Depth=1
	v_cmp_eq_u16_sdwa vcc, v74, v9 src0_sel:BYTE_0 src1_sel:DWORD
	s_waitcnt lgkmcnt(2)
	v_cndmask_b32_e32 v24, 1, v78, vcc
	s_waitcnt lgkmcnt(1)
	v_cndmask_b32_e32 v74, 0, v79, vcc
	v_mul_lo_u32 v29, v24, v29
	v_mad_u64_u32 v[24:25], s[68:69], v24, v28, 0
	v_mul_lo_u32 v28, v74, v28
	v_add3_u32 v25, v25, v29, v28
	s_waitcnt lgkmcnt(0)
	v_and_b32_e32 v28, 1, v77
	v_cmp_eq_u32_e32 vcc, 1, v28
	s_or_b64 s[68:69], s[64:65], vcc
	v_cndmask_b32_e64 v74, 0, 1, s[68:69]
	v_cndmask_b32_e64 v76, 0, 1, s[68:69]
	s_andn2_b64 s[64:65], s[64:65], exec
	s_and_b64 s[68:69], s[68:69], exec
	s_or_b64 s[64:65], s[64:65], s[68:69]
	v_pk_mov_b32 v[28:29], v[24:25], v[24:25] op_sel:[0,1]
.LBB59_166:                             ;   in Loop: Header=BB59_155 Depth=1
	s_or_b64 exec, exec, s[4:5]
	s_waitcnt lgkmcnt(2)
	ds_bpermute_b32 v78, v56, v24
	s_waitcnt lgkmcnt(2)
	ds_bpermute_b32 v79, v56, v25
	s_waitcnt lgkmcnt(2)
	ds_bpermute_b32 v77, v56, v76
	v_cmp_le_u32_e32 vcc, v57, v75
	s_and_saveexec_b64 s[68:69], vcc
	s_cbranch_execz .LBB59_168
; %bb.167:                              ;   in Loop: Header=BB59_155 Depth=1
	v_cmp_eq_u16_sdwa vcc, v74, v9 src0_sel:BYTE_0 src1_sel:DWORD
	s_waitcnt lgkmcnt(2)
	v_cndmask_b32_e32 v24, 1, v78, vcc
	s_waitcnt lgkmcnt(1)
	v_cndmask_b32_e32 v76, 0, v79, vcc
	v_mul_lo_u32 v29, v24, v29
	v_mad_u64_u32 v[24:25], s[4:5], v24, v28, 0
	v_mul_lo_u32 v28, v76, v28
	v_add3_u32 v25, v25, v29, v28
	v_and_b32_e32 v28, 1, v74
	v_cmp_eq_u32_e32 vcc, 1, v28
	s_waitcnt lgkmcnt(0)
	v_and_b32_e32 v28, 1, v77
	v_cmp_eq_u32_e64 s[4:5], 1, v28
	s_or_b64 s[4:5], vcc, s[4:5]
	v_cndmask_b32_e64 v74, 0, 1, s[4:5]
	v_cndmask_b32_e64 v76, 0, 1, s[4:5]
	s_andn2_b64 s[64:65], s[64:65], exec
	s_and_b64 s[4:5], s[4:5], exec
	s_or_b64 s[64:65], s[64:65], s[4:5]
	v_pk_mov_b32 v[28:29], v[24:25], v[24:25] op_sel:[0,1]
.LBB59_168:                             ;   in Loop: Header=BB59_155 Depth=1
	s_or_b64 exec, exec, s[68:69]
	s_waitcnt lgkmcnt(2)
	ds_bpermute_b32 v78, v60, v24
	s_waitcnt lgkmcnt(2)
	ds_bpermute_b32 v79, v60, v25
	s_waitcnt lgkmcnt(2)
	ds_bpermute_b32 v77, v60, v76
	v_cmp_le_u32_e32 vcc, v61, v75
	s_and_saveexec_b64 s[68:69], vcc
	s_cbranch_execz .LBB59_170
; %bb.169:                              ;   in Loop: Header=BB59_155 Depth=1
	v_cmp_eq_u16_sdwa vcc, v74, v9 src0_sel:BYTE_0 src1_sel:DWORD
	s_waitcnt lgkmcnt(2)
	v_cndmask_b32_e32 v24, 1, v78, vcc
	s_waitcnt lgkmcnt(1)
	v_cndmask_b32_e32 v76, 0, v79, vcc
	v_mul_lo_u32 v29, v24, v29
	v_mad_u64_u32 v[24:25], s[4:5], v24, v28, 0
	v_mul_lo_u32 v28, v76, v28
	v_add3_u32 v25, v25, v29, v28
	v_and_b32_e32 v28, 1, v74
	v_cmp_eq_u32_e32 vcc, 1, v28
	s_waitcnt lgkmcnt(0)
	v_and_b32_e32 v28, 1, v77
	v_cmp_eq_u32_e64 s[4:5], 1, v28
	s_or_b64 s[4:5], vcc, s[4:5]
	v_cndmask_b32_e64 v74, 0, 1, s[4:5]
	v_cndmask_b32_e64 v76, 0, 1, s[4:5]
	s_andn2_b64 s[64:65], s[64:65], exec
	s_and_b64 s[4:5], s[4:5], exec
	s_or_b64 s[64:65], s[64:65], s[4:5]
	v_pk_mov_b32 v[28:29], v[24:25], v[24:25] op_sel:[0,1]
.LBB59_170:                             ;   in Loop: Header=BB59_155 Depth=1
	;; [unrolled: 33-line block ×3, first 2 shown]
	s_or_b64 exec, exec, s[68:69]
	s_waitcnt lgkmcnt(0)
	ds_bpermute_b32 v77, v68, v24
	ds_bpermute_b32 v25, v68, v25
	;; [unrolled: 1-line block ×3, first 2 shown]
	v_cmp_le_u32_e32 vcc, v72, v75
	s_and_saveexec_b64 s[68:69], vcc
	s_cbranch_execz .LBB59_154
; %bb.173:                              ;   in Loop: Header=BB59_155 Depth=1
	v_cmp_eq_u16_sdwa vcc, v74, v9 src0_sel:BYTE_0 src1_sel:DWORD
	s_waitcnt lgkmcnt(2)
	v_cndmask_b32_e32 v75, 1, v77, vcc
	s_waitcnt lgkmcnt(1)
	v_cndmask_b32_e32 v25, 0, v25, vcc
	v_mul_lo_u32 v29, v75, v29
	v_mad_u64_u32 v[76:77], s[4:5], v75, v28, 0
	v_mul_lo_u32 v25, v25, v28
	v_add3_u32 v77, v77, v29, v25
	v_and_b32_e32 v25, 1, v74
	s_waitcnt lgkmcnt(0)
	v_and_b32_e32 v24, 1, v24
	v_cmp_eq_u32_e32 vcc, 1, v25
	v_cmp_eq_u32_e64 s[4:5], 1, v24
	s_or_b64 s[4:5], vcc, s[4:5]
	s_andn2_b64 s[64:65], s[64:65], exec
	s_and_b64 s[4:5], s[4:5], exec
	s_or_b64 s[64:65], s[64:65], s[4:5]
	v_pk_mov_b32 v[28:29], v[76:77], v[76:77] op_sel:[0,1]
	s_branch .LBB59_154
.LBB59_174:                             ;   in Loop: Header=BB59_155 Depth=1
                                        ; implicit-def: $vgpr29
                                        ; implicit-def: $vgpr24_vgpr25
                                        ; implicit-def: $vgpr45
	s_cbranch_execz .LBB59_155
; %bb.175:
	s_and_saveexec_b64 s[4:5], s[44:45]
	s_cbranch_execz .LBB59_177
; %bb.176:
	v_mov_b32_e32 v8, 0
	v_cmp_eq_u16_sdwa vcc, v44, v8 src0_sel:BYTE_0 src1_sel:DWORD
	v_cndmask_b32_e32 v9, 1, v20, vcc
	v_cndmask_b32_e32 v12, 0, v21, vcc
	s_mov_b32 s45, 0
	v_mul_lo_u32 v12, v12, v4
	v_mul_lo_u32 v13, v9, v5
	v_mad_u64_u32 v[4:5], s[48:49], v9, v4, 0
	s_add_i32 s44, s55, 64
	s_lshl_b64 s[48:49], s[44:45], 4
	s_add_u32 s48, s50, s48
	v_add3_u32 v5, v5, v13, v12
	v_or_b32_e32 v9, v44, v69
	s_addc_u32 s49, s51, s49
	v_and_b32_e32 v9, 1, v9
	global_store_dwordx2 v8, v[4:5], s[48:49]
	global_store_byte v8, v9, s[48:49] offset:8
	v_mov_b32_e32 v4, s44
	v_mov_b32_e32 v5, 2
	s_waitcnt vmcnt(0)
	buffer_wbinvl1_vol
	global_store_byte v4, v5, s[52:53]
.LBB59_177:
	s_or_b64 exec, exec, s[4:5]
	s_and_b64 exec, exec, s[0:1]
	s_cbranch_execz .LBB59_179
; %bb.178:
	v_mov_b32_e32 v4, 0
	ds_write_b64 v4, v[20:21]
	ds_write_b8 v4, v69 offset:8
.LBB59_179:
	s_or_b64 exec, exec, s[60:61]
	v_mov_b32_e32 v12, 0
	s_waitcnt lgkmcnt(0)
	; wave barrier
	s_waitcnt lgkmcnt(0)
	ds_read_b64 v[4:5], v12
	v_mov_b32_e32 v13, v1
	v_pk_mov_b32 v[8:9], v[2:3], v[2:3] op_sel:[0,1]
	s_and_saveexec_b64 s[44:45], s[46:47]
	s_cbranch_execz .LBB59_181
; %bb.180:
	v_and_b32_e32 v8, 1, v41
	v_cmp_eq_u32_e32 vcc, 1, v8
	v_and_b32_e32 v8, 1, v1
	v_cmp_eq_u32_e64 s[4:5], 1, v8
	s_or_b64 s[4:5], s[4:5], vcc
	v_cmp_eq_u16_sdwa vcc, v1, v12 src0_sel:BYTE_0 src1_sel:DWORD
	v_cndmask_b32_e32 v8, 1, v37, vcc
	v_cndmask_b32_e32 v20, 0, v40, vcc
	v_cndmask_b32_e64 v13, 0, 1, s[4:5]
	v_mul_lo_u32 v21, v8, v3
	v_mad_u64_u32 v[8:9], s[4:5], v8, v2, 0
	v_mul_lo_u32 v20, v20, v2
	v_add3_u32 v9, v9, v21, v20
.LBB59_181:
	s_or_b64 exec, exec, s[44:45]
	v_cmp_eq_u16_sdwa vcc, v13, v12 src0_sel:BYTE_0 src1_sel:DWORD
	s_waitcnt lgkmcnt(0)
	v_cndmask_b32_e32 v4, 1, v4, vcc
	v_cndmask_b32_e32 v5, 0, v5, vcc
	v_mul_lo_u32 v5, v5, v8
	v_mul_lo_u32 v9, v4, v9
	v_mad_u64_u32 v[102:103], s[4:5], v4, v8, 0
	v_add3_u32 v103, v103, v9, v5
	v_cndmask_b32_e64 v4, 0, v103, s[42:43]
	v_cndmask_b32_e64 v5, 1, v102, s[42:43]
	v_mul_lo_u32 v4, v4, v14
	v_mul_lo_u32 v8, v5, v15
	v_mad_u64_u32 v[40:41], s[4:5], v5, v14, 0
	v_add3_u32 v41, v41, v8, v4
	v_cndmask_b32_e64 v4, 0, v41, s[40:41]
	v_cndmask_b32_e64 v5, 1, v40, s[40:41]
	;; [unrolled: 6-line block ×18, first 2 shown]
	v_mul_lo_u32 v4, v4, v16
	v_mul_lo_u32 v8, v5, v17
	v_mad_u64_u32 v[108:109], s[4:5], v5, v16, 0
	v_add3_u32 v109, v109, v8, v4
	s_branch .LBB59_204
.LBB59_182:
                                        ; implicit-def: $vgpr100_vgpr101_vgpr102_vgpr103
                                        ; implicit-def: $vgpr108_vgpr109
                                        ; implicit-def: $vgpr106_vgpr107
                                        ; implicit-def: $vgpr68_vgpr69
                                        ; implicit-def: $vgpr64_vgpr65
                                        ; implicit-def: $vgpr60_vgpr61
                                        ; implicit-def: $vgpr56_vgpr57
                                        ; implicit-def: $vgpr52_vgpr53
                                        ; implicit-def: $vgpr48_vgpr49
                                        ; implicit-def: $vgpr44_vgpr45
                                        ; implicit-def: $vgpr40_vgpr41
                                        ; implicit-def: $vgpr96_vgpr97_vgpr98_vgpr99
                                        ; implicit-def: $vgpr92_vgpr93_vgpr94_vgpr95
                                        ; implicit-def: $vgpr88_vgpr89_vgpr90_vgpr91
                                        ; implicit-def: $vgpr84_vgpr85_vgpr86_vgpr87
                                        ; implicit-def: $vgpr80_vgpr81_vgpr82_vgpr83
                                        ; implicit-def: $vgpr76_vgpr77_vgpr78_vgpr79
                                        ; implicit-def: $vgpr72_vgpr73_vgpr74_vgpr75
                                        ; implicit-def: $vgpr102_vgpr103_vgpr104_vgpr105
	s_cbranch_execz .LBB59_204
; %bb.183:
	s_cmp_lg_u64 s[72:73], 0
	s_cselect_b32 s7, s67, 0
	s_cselect_b32 s6, s66, 0
	s_cmp_lg_u64 s[6:7], 0
	s_cselect_b64 s[4:5], -1, 0
	s_and_b64 s[8:9], s[0:1], s[4:5]
	s_and_saveexec_b64 s[4:5], s[8:9]
	s_cbranch_execz .LBB59_185
; %bb.184:
	v_mov_b32_e32 v8, 0
	global_load_dwordx2 v[4:5], v8, s[6:7]
	global_load_ubyte v9, v8, s[6:7] offset:8
	v_cmp_eq_u16_sdwa vcc, v1, v8 src0_sel:BYTE_0 src1_sel:DWORD
	s_waitcnt vmcnt(1)
	v_cndmask_b32_e32 v4, 1, v4, vcc
	v_cndmask_b32_e32 v5, 0, v5, vcc
	s_waitcnt vmcnt(0)
	v_or_b32_e32 v1, v1, v9
	v_mul_lo_u32 v5, v5, v2
	v_mul_lo_u32 v8, v4, v3
	v_mad_u64_u32 v[2:3], s[6:7], v4, v2, 0
	v_add3_u32 v3, v3, v8, v5
	v_and_b32_e32 v1, 1, v1
.LBB59_185:
	s_or_b64 exec, exec, s[4:5]
	v_mov_b32_e32 v5, 0
	v_cmp_eq_u16_sdwa s[40:41], v112, v5 src0_sel:BYTE_0 src1_sel:DWORD
	v_cndmask_b32_e64 v8, 1, v2, s[40:41]
	v_cndmask_b32_e64 v9, 0, v3, s[40:41]
	v_mul_lo_u32 v9, v9, v14
	v_mul_lo_u32 v12, v8, v15
	v_mad_u64_u32 v[40:41], s[4:5], v8, v14, 0
	v_add3_u32 v41, v41, v12, v9
	v_cmp_eq_u16_sdwa s[38:39], v111, v5 src0_sel:BYTE_0 src1_sel:DWORD
	v_cndmask_b32_e64 v8, 0, v41, s[38:39]
	v_cndmask_b32_e64 v9, 1, v40, s[38:39]
	v_mul_lo_u32 v8, v8, v10
	v_mul_lo_u32 v12, v9, v11
	v_mad_u64_u32 v[72:73], s[4:5], v9, v10, 0
	v_add3_u32 v73, v73, v12, v8
	;; [unrolled: 7-line block ×17, first 2 shown]
	v_cmp_eq_u16_sdwa vcc, v36, v5 src0_sel:BYTE_0 src1_sel:DWORD
	v_cndmask_b32_e32 v5, 0, v107, vcc
	v_cndmask_b32_e32 v8, 1, v106, vcc
	v_mul_lo_u32 v5, v5, v16
	v_mul_lo_u32 v9, v8, v17
	v_mad_u64_u32 v[108:109], s[4:5], v8, v16, 0
	v_add3_u32 v109, v109, v9, v5
	v_or_b32_e32 v5, v33, v125
	v_or_b32_e32 v5, v5, v124
	;; [unrolled: 1-line block ×15, first 2 shown]
	v_and_b32_e32 v5, 1, v5
	v_and_b32_e32 v4, 0xff, v1
	v_cmp_eq_u32_e64 s[4:5], 1, v5
	v_mbcnt_hi_u32_b32 v12, -1, v32
	v_cndmask_b32_e64 v13, v4, 1, s[4:5]
	v_and_b32_e32 v20, 15, v12
	v_mov_b32_dpp v24, v108 row_shr:1 row_mask:0xf bank_mask:0xf
	v_mov_b32_dpp v25, v109 row_shr:1 row_mask:0xf bank_mask:0xf
	v_mov_b32_dpp v21, v13 row_shr:1 row_mask:0xf bank_mask:0xf
	v_cmp_ne_u32_e64 s[4:5], 0, v20
	v_pk_mov_b32 v[4:5], v[108:109], v[108:109] op_sel:[0,1]
	v_mov_b32_e32 v9, v109
	v_mov_b32_e32 v8, v108
	s_and_saveexec_b64 s[42:43], s[4:5]
; %bb.186:
	v_cmp_eq_u32_e64 s[4:5], 0, v13
	v_cndmask_b32_e64 v4, 1, v24, s[4:5]
	v_cndmask_b32_e64 v8, 0, v25, s[4:5]
	v_mul_lo_u32 v9, v109, v4
	v_mad_u64_u32 v[4:5], s[4:5], v108, v4, 0
	v_mul_lo_u32 v8, v108, v8
	v_add3_u32 v5, v5, v8, v9
	v_and_or_b32 v13, v21, 1, v13
	v_mov_b32_e32 v9, v5
	v_mov_b32_e32 v8, v4
; %bb.187:
	s_or_b64 exec, exec, s[42:43]
	s_nop 0
	v_mov_b32_dpp v24, v8 row_shr:2 row_mask:0xf bank_mask:0xf
	v_mov_b32_dpp v25, v9 row_shr:2 row_mask:0xf bank_mask:0xf
	v_mov_b32_dpp v21, v13 row_shr:2 row_mask:0xf bank_mask:0xf
	v_cmp_lt_u32_e64 s[4:5], 1, v20
	s_and_saveexec_b64 s[42:43], s[4:5]
; %bb.188:
	v_cmp_eq_u32_e64 s[4:5], 0, v13
	v_cndmask_b32_e64 v8, 1, v24, s[4:5]
	v_cndmask_b32_e64 v24, 0, v25, s[4:5]
	v_mul_lo_u32 v5, v8, v5
	v_mad_u64_u32 v[8:9], s[4:5], v8, v4, 0
	v_mul_lo_u32 v4, v24, v4
	v_add3_u32 v9, v9, v5, v4
	v_or_b32_e32 v4, v21, v13
	v_and_b32_e32 v13, 1, v4
	v_pk_mov_b32 v[4:5], v[8:9], v[8:9] op_sel:[0,1]
; %bb.189:
	s_or_b64 exec, exec, s[42:43]
	v_mov_b32_dpp v24, v8 row_shr:4 row_mask:0xf bank_mask:0xf
	v_mov_b32_dpp v25, v9 row_shr:4 row_mask:0xf bank_mask:0xf
	v_mov_b32_dpp v21, v13 row_shr:4 row_mask:0xf bank_mask:0xf
	v_cmp_lt_u32_e64 s[4:5], 3, v20
	s_and_saveexec_b64 s[42:43], s[4:5]
; %bb.190:
	v_cmp_eq_u32_e64 s[4:5], 0, v13
	v_cndmask_b32_e64 v8, 1, v24, s[4:5]
	v_cndmask_b32_e64 v24, 0, v25, s[4:5]
	v_mul_lo_u32 v5, v8, v5
	v_mad_u64_u32 v[8:9], s[4:5], v8, v4, 0
	v_mul_lo_u32 v4, v24, v4
	v_add3_u32 v9, v9, v5, v4
	v_or_b32_e32 v4, v21, v13
	v_and_b32_e32 v13, 1, v4
	v_pk_mov_b32 v[4:5], v[8:9], v[8:9] op_sel:[0,1]
; %bb.191:
	s_or_b64 exec, exec, s[42:43]
	;; [unrolled: 18-line block ×3, first 2 shown]
	v_and_b32_e32 v25, 16, v12
	v_mov_b32_dpp v21, v8 row_bcast:15 row_mask:0xf bank_mask:0xf
	v_mov_b32_dpp v24, v9 row_bcast:15 row_mask:0xf bank_mask:0xf
	;; [unrolled: 1-line block ×3, first 2 shown]
	v_cmp_ne_u32_e64 s[4:5], 0, v25
	s_and_saveexec_b64 s[42:43], s[4:5]
; %bb.194:
	v_cmp_eq_u32_e64 s[4:5], 0, v13
	v_cndmask_b32_e64 v8, 1, v21, s[4:5]
	v_cndmask_b32_e64 v21, 0, v24, s[4:5]
	v_mul_lo_u32 v5, v8, v5
	v_mad_u64_u32 v[8:9], s[4:5], v8, v4, 0
	v_mul_lo_u32 v4, v21, v4
	v_add3_u32 v9, v9, v5, v4
	v_or_b32_e32 v4, v20, v13
	v_and_b32_e32 v13, 1, v4
	v_pk_mov_b32 v[4:5], v[8:9], v[8:9] op_sel:[0,1]
; %bb.195:
	s_or_b64 exec, exec, s[42:43]
	v_mov_b32_dpp v20, v8 row_bcast:31 row_mask:0xf bank_mask:0xf
	v_mov_b32_dpp v9, v9 row_bcast:31 row_mask:0xf bank_mask:0xf
	;; [unrolled: 1-line block ×3, first 2 shown]
	v_cmp_lt_u32_e64 s[4:5], 31, v12
	s_and_saveexec_b64 s[42:43], s[4:5]
; %bb.196:
	v_cmp_eq_u32_e64 s[4:5], 0, v13
	v_cndmask_b32_e64 v20, 1, v20, s[4:5]
	v_cndmask_b32_e64 v9, 0, v9, s[4:5]
	v_mul_lo_u32 v5, v20, v5
	v_mad_u64_u32 v[20:21], s[4:5], v20, v4, 0
	v_mul_lo_u32 v4, v9, v4
	v_add3_u32 v21, v21, v5, v4
	v_or_b32_e32 v4, v8, v13
	v_and_b32_e32 v13, 1, v4
	v_pk_mov_b32 v[4:5], v[20:21], v[20:21] op_sel:[0,1]
; %bb.197:
	s_or_b64 exec, exec, s[42:43]
	v_cmp_eq_u32_e64 s[4:5], 63, v0
	s_and_saveexec_b64 s[42:43], s[4:5]
	s_cbranch_execz .LBB59_199
; %bb.198:
	v_mov_b32_e32 v8, 0
	ds_write_b64 v8, v[4:5]
	ds_write_b8 v8, v13 offset:8
.LBB59_199:
	s_or_b64 exec, exec, s[42:43]
	v_add_u32_e32 v8, -1, v12
	v_and_b32_e32 v9, 64, v12
	v_cmp_lt_i32_e64 s[4:5], v8, v9
	v_cndmask_b32_e64 v8, v8, v12, s[4:5]
	v_lshlrev_b32_e32 v8, 2, v8
	ds_bpermute_b32 v4, v8, v4
	ds_bpermute_b32 v5, v8, v5
	s_waitcnt lgkmcnt(0)
	; wave barrier
	s_waitcnt lgkmcnt(0)
	s_and_saveexec_b64 s[42:43], s[46:47]
	s_cbranch_execz .LBB59_201
; %bb.200:
	v_mov_b32_e32 v8, 0
	v_cmp_eq_u16_sdwa s[4:5], v1, v8 src0_sel:BYTE_0 src1_sel:DWORD
	v_cndmask_b32_e64 v1, 1, v4, s[4:5]
	v_cndmask_b32_e64 v4, 0, v5, s[4:5]
	v_mul_lo_u32 v4, v4, v2
	v_mul_lo_u32 v5, v1, v3
	v_mad_u64_u32 v[2:3], s[4:5], v1, v2, 0
	v_add3_u32 v3, v3, v5, v4
	v_cndmask_b32_e64 v1, 0, v3, s[40:41]
	v_cndmask_b32_e64 v4, 1, v2, s[40:41]
	v_mul_lo_u32 v1, v1, v14
	v_mul_lo_u32 v5, v4, v15
	v_mad_u64_u32 v[40:41], s[4:5], v4, v14, 0
	v_add3_u32 v41, v41, v5, v1
	;; [unrolled: 6-line block ×18, first 2 shown]
	v_cndmask_b32_e32 v1, 0, v107, vcc
	v_cndmask_b32_e32 v4, 1, v106, vcc
	v_mul_lo_u32 v1, v1, v16
	v_mul_lo_u32 v5, v4, v17
	v_mad_u64_u32 v[108:109], s[4:5], v4, v16, 0
	v_add3_u32 v109, v109, v5, v1
	;;#ASMSTART
	;;#ASMEND
.LBB59_201:
	s_or_b64 exec, exec, s[42:43]
	s_and_saveexec_b64 s[4:5], s[0:1]
	s_cbranch_execz .LBB59_203
; %bb.202:
	v_mov_b32_e32 v1, 0
	ds_read_b64 v[4:5], v1
	ds_read_u8 v6, v1 offset:8
	v_mov_b32_e32 v7, 2
	s_waitcnt lgkmcnt(1)
	global_store_dwordx2 v1, v[4:5], s[50:51] offset:1024
	s_waitcnt lgkmcnt(0)
	global_store_byte v1, v6, s[50:51] offset:1032
	s_waitcnt vmcnt(0)
	buffer_wbinvl1_vol
	global_store_byte v1, v7, s[52:53] offset:64
.LBB59_203:
	s_or_b64 exec, exec, s[4:5]
	v_pk_mov_b32 v[102:103], v[2:3], v[2:3] op_sel:[0,1]
.LBB59_204:
	s_add_u32 s0, s62, s58
	s_addc_u32 s1, s63, s59
	s_add_u32 s4, s0, s56
	s_addc_u32 s5, s1, s57
	s_and_b64 vcc, exec, s[2:3]
	s_cbranch_vccz .LBB59_242
; %bb.205:
	s_movk_i32 s0, 0x98
	v_mul_i32_i24_e32 v43, 0xffffff70, v0
	v_mul_u32_u24_e32 v42, 0x98, v0
	v_mad_u32_u24 v2, v0, s0, v43
	s_waitcnt lgkmcnt(0)
	; wave barrier
	ds_write2_b64 v42, v[102:103], v[40:41] offset1:1
	ds_write2_b64 v42, v[72:73], v[44:45] offset0:2 offset1:3
	ds_write2_b64 v42, v[76:77], v[48:49] offset0:4 offset1:5
	;; [unrolled: 1-line block ×8, first 2 shown]
	ds_write_b64 v42, v[108:109] offset:144
	s_waitcnt lgkmcnt(0)
	; wave barrier
	s_waitcnt lgkmcnt(0)
	ds_read2st64_b64 v[34:37], v2 offset0:1 offset1:2
	ds_read2st64_b64 v[30:33], v2 offset0:3 offset1:4
	;; [unrolled: 1-line block ×9, first 2 shown]
	v_mov_b32_e32 v39, s5
	v_add_co_u32_e32 v38, vcc, s4, v127
	s_add_i32 s33, s33, s54
	v_addc_co_u32_e32 v39, vcc, 0, v39, vcc
	v_mov_b32_e32 v1, 0
	v_cmp_gt_u32_e32 vcc, s33, v0
	s_and_saveexec_b64 s[0:1], vcc
	s_cbranch_execz .LBB59_207
; %bb.206:
	v_add_u32_e32 v42, v42, v43
	ds_read_b64 v[42:43], v42
	s_waitcnt lgkmcnt(0)
	flat_store_dwordx2 v[38:39], v[42:43]
.LBB59_207:
	s_or_b64 exec, exec, s[0:1]
	v_or_b32_e32 v42, 64, v0
	v_cmp_gt_u32_e32 vcc, s33, v42
	s_and_saveexec_b64 s[0:1], vcc
	s_cbranch_execz .LBB59_209
; %bb.208:
	s_waitcnt lgkmcnt(0)
	flat_store_dwordx2 v[38:39], v[34:35] offset:512
.LBB59_209:
	s_or_b64 exec, exec, s[0:1]
	s_waitcnt lgkmcnt(0)
	v_or_b32_e32 v34, 0x80, v0
	v_cmp_gt_u32_e32 vcc, s33, v34
	s_and_saveexec_b64 s[0:1], vcc
	s_cbranch_execz .LBB59_211
; %bb.210:
	flat_store_dwordx2 v[38:39], v[36:37] offset:1024
.LBB59_211:
	s_or_b64 exec, exec, s[0:1]
	v_or_b32_e32 v34, 0xc0, v0
	v_cmp_gt_u32_e32 vcc, s33, v34
	s_and_saveexec_b64 s[0:1], vcc
	s_cbranch_execz .LBB59_213
; %bb.212:
	flat_store_dwordx2 v[38:39], v[30:31] offset:1536
.LBB59_213:
	s_or_b64 exec, exec, s[0:1]
	;; [unrolled: 8-line block ×6, first 2 shown]
	v_or_b32_e32 v22, 0x200, v0
	v_cmp_gt_u32_e32 vcc, s33, v22
	s_and_saveexec_b64 s[0:1], vcc
	s_cbranch_execz .LBB59_223
; %bb.222:
	v_add_co_u32_e32 v22, vcc, 0x1000, v38
	v_addc_co_u32_e32 v23, vcc, 0, v39, vcc
	flat_store_dwordx2 v[22:23], v[24:25]
.LBB59_223:
	s_or_b64 exec, exec, s[0:1]
	v_or_b32_e32 v22, 0x240, v0
	v_cmp_gt_u32_e32 vcc, s33, v22
	s_and_saveexec_b64 s[0:1], vcc
	s_cbranch_execz .LBB59_225
; %bb.224:
	v_add_co_u32_e32 v22, vcc, 0x1000, v38
	v_addc_co_u32_e32 v23, vcc, 0, v39, vcc
	flat_store_dwordx2 v[22:23], v[18:19] offset:512
.LBB59_225:
	s_or_b64 exec, exec, s[0:1]
	v_or_b32_e32 v18, 0x280, v0
	v_cmp_gt_u32_e32 vcc, s33, v18
	s_and_saveexec_b64 s[0:1], vcc
	s_cbranch_execz .LBB59_227
; %bb.226:
	v_add_co_u32_e32 v18, vcc, 0x1000, v38
	v_addc_co_u32_e32 v19, vcc, 0, v39, vcc
	flat_store_dwordx2 v[18:19], v[20:21] offset:1024
.LBB59_227:
	;; [unrolled: 10-line block ×7, first 2 shown]
	s_or_b64 exec, exec, s[0:1]
	v_or_b32_e32 v6, 0x400, v0
	v_cmp_gt_u32_e32 vcc, s33, v6
	s_and_saveexec_b64 s[0:1], vcc
	s_cbranch_execz .LBB59_239
; %bb.238:
	v_add_co_u32_e32 v6, vcc, 0x2000, v38
	v_addc_co_u32_e32 v7, vcc, 0, v39, vcc
	flat_store_dwordx2 v[6:7], v[8:9]
.LBB59_239:
	s_or_b64 exec, exec, s[0:1]
	v_or_b32_e32 v6, 0x440, v0
	v_cmp_gt_u32_e32 vcc, s33, v6
	s_and_saveexec_b64 s[0:1], vcc
	s_cbranch_execz .LBB59_241
; %bb.240:
	v_add_co_u32_e32 v6, vcc, 0x2000, v38
	v_addc_co_u32_e32 v7, vcc, 0, v39, vcc
	flat_store_dwordx2 v[6:7], v[2:3] offset:512
.LBB59_241:
	s_or_b64 exec, exec, s[0:1]
	v_or_b32_e32 v2, 0x480, v0
	v_cmp_gt_u32_e64 s[0:1], s33, v2
	s_branch .LBB59_244
.LBB59_242:
	s_mov_b64 s[0:1], 0
                                        ; implicit-def: $vgpr4_vgpr5
	s_cbranch_execz .LBB59_244
; %bb.243:
	s_movk_i32 s2, 0x98
	v_mul_i32_i24_e32 v2, 0xffffff70, v0
	v_mul_u32_u24_e32 v1, 0x98, v0
	v_mad_u32_u24 v2, v0, s2, v2
	s_waitcnt lgkmcnt(0)
	; wave barrier
	s_waitcnt lgkmcnt(0)
	ds_write2_b64 v1, v[102:103], v[40:41] offset1:1
	ds_write2_b64 v1, v[72:73], v[44:45] offset0:2 offset1:3
	ds_write2_b64 v1, v[76:77], v[48:49] offset0:4 offset1:5
	;; [unrolled: 1-line block ×8, first 2 shown]
	ds_write_b64 v1, v[108:109] offset:144
	s_waitcnt lgkmcnt(0)
	; wave barrier
	s_waitcnt lgkmcnt(0)
	ds_read2st64_b64 v[6:9], v2 offset1:1
	ds_read2st64_b64 v[10:13], v2 offset0:2 offset1:3
	ds_read2st64_b64 v[14:17], v2 offset0:4 offset1:5
	;; [unrolled: 1-line block ×8, first 2 shown]
	ds_read_b64 v[4:5], v2 offset:9216
	v_mov_b32_e32 v3, s5
	v_add_co_u32_e32 v2, vcc, s4, v127
	v_addc_co_u32_e32 v3, vcc, 0, v3, vcc
	s_movk_i32 s2, 0x1000
	s_waitcnt lgkmcnt(0)
	flat_store_dwordx2 v[2:3], v[6:7]
	flat_store_dwordx2 v[2:3], v[8:9] offset:512
	flat_store_dwordx2 v[2:3], v[10:11] offset:1024
	;; [unrolled: 1-line block ×7, first 2 shown]
	v_add_co_u32_e32 v6, vcc, s2, v2
	v_addc_co_u32_e32 v7, vcc, 0, v3, vcc
	v_add_co_u32_e32 v2, vcc, 0x2000, v2
	v_mov_b32_e32 v1, 0
	v_addc_co_u32_e32 v3, vcc, 0, v3, vcc
	s_or_b64 s[0:1], s[0:1], exec
	flat_store_dwordx2 v[6:7], v[22:23]
	flat_store_dwordx2 v[6:7], v[24:25] offset:512
	flat_store_dwordx2 v[6:7], v[26:27] offset:1024
	;; [unrolled: 1-line block ×7, first 2 shown]
	flat_store_dwordx2 v[2:3], v[38:39]
	flat_store_dwordx2 v[2:3], v[40:41] offset:512
.LBB59_244:
	s_and_saveexec_b64 s[2:3], s[0:1]
	s_cbranch_execnz .LBB59_246
; %bb.245:
	s_endpgm
.LBB59_246:
	v_lshlrev_b64 v[0:1], 3, v[0:1]
	v_mov_b32_e32 v2, s5
	v_add_co_u32_e32 v0, vcc, s4, v0
	v_addc_co_u32_e32 v1, vcc, v2, v1, vcc
	v_add_co_u32_e32 v0, vcc, 0x2000, v0
	v_addc_co_u32_e32 v1, vcc, 0, v1, vcc
	flat_store_dwordx2 v[0:1], v[4:5] offset:1024
	s_endpgm
.LBB59_247:
	v_mov_b32_e32 v3, s79
	v_add_co_u32_e32 v2, vcc, s78, v50
	v_addc_co_u32_e32 v3, vcc, 0, v3, vcc
	flat_load_dwordx2 v[2:3], v[2:3]
	s_or_b64 exec, exec, s[4:5]
                                        ; implicit-def: $vgpr6_vgpr7
	s_and_saveexec_b64 s[4:5], s[8:9]
	s_cbranch_execz .LBB59_51
.LBB59_248:
	v_mov_b32_e32 v7, s79
	v_add_co_u32_e32 v6, vcc, s78, v50
	v_addc_co_u32_e32 v7, vcc, 0, v7, vcc
	flat_load_dwordx2 v[6:7], v[6:7] offset:512
	s_or_b64 exec, exec, s[4:5]
                                        ; implicit-def: $vgpr10_vgpr11
	s_and_saveexec_b64 s[4:5], s[10:11]
	s_cbranch_execz .LBB59_52
.LBB59_249:
	v_mov_b32_e32 v11, s79
	v_add_co_u32_e32 v10, vcc, s78, v50
	v_addc_co_u32_e32 v11, vcc, 0, v11, vcc
	flat_load_dwordx2 v[10:11], v[10:11] offset:1024
	s_or_b64 exec, exec, s[4:5]
                                        ; implicit-def: $vgpr12_vgpr13
	s_and_saveexec_b64 s[4:5], s[12:13]
	s_cbranch_execz .LBB59_53
.LBB59_250:
	v_mov_b32_e32 v13, s79
	v_add_co_u32_e32 v12, vcc, s78, v50
	v_addc_co_u32_e32 v13, vcc, 0, v13, vcc
	flat_load_dwordx2 v[12:13], v[12:13] offset:1536
	s_or_b64 exec, exec, s[4:5]
                                        ; implicit-def: $vgpr14_vgpr15
	s_and_saveexec_b64 s[4:5], s[14:15]
	s_cbranch_execz .LBB59_54
.LBB59_251:
	v_mov_b32_e32 v15, s79
	v_add_co_u32_e32 v14, vcc, s78, v50
	v_addc_co_u32_e32 v15, vcc, 0, v15, vcc
	flat_load_dwordx2 v[14:15], v[14:15] offset:2048
	s_or_b64 exec, exec, s[4:5]
                                        ; implicit-def: $vgpr16_vgpr17
	s_and_saveexec_b64 s[4:5], s[16:17]
	s_cbranch_execz .LBB59_55
.LBB59_252:
	v_mov_b32_e32 v17, s79
	v_add_co_u32_e32 v16, vcc, s78, v50
	v_addc_co_u32_e32 v17, vcc, 0, v17, vcc
	flat_load_dwordx2 v[16:17], v[16:17] offset:2560
	s_or_b64 exec, exec, s[4:5]
                                        ; implicit-def: $vgpr18_vgpr19
	s_and_saveexec_b64 s[4:5], s[18:19]
	s_cbranch_execz .LBB59_56
.LBB59_253:
	v_mov_b32_e32 v19, s79
	v_add_co_u32_e32 v18, vcc, s78, v50
	v_addc_co_u32_e32 v19, vcc, 0, v19, vcc
	flat_load_dwordx2 v[18:19], v[18:19] offset:3072
	s_or_b64 exec, exec, s[4:5]
                                        ; implicit-def: $vgpr20_vgpr21
	s_and_saveexec_b64 s[4:5], s[20:21]
	s_cbranch_execz .LBB59_57
.LBB59_254:
	v_mov_b32_e32 v21, s79
	v_add_co_u32_e32 v20, vcc, s78, v50
	v_addc_co_u32_e32 v21, vcc, 0, v21, vcc
	flat_load_dwordx2 v[20:21], v[20:21] offset:3584
	s_or_b64 exec, exec, s[4:5]
                                        ; implicit-def: $vgpr22_vgpr23
	s_and_saveexec_b64 s[4:5], s[22:23]
	s_cbranch_execz .LBB59_58
.LBB59_255:
	v_lshlrev_b32_e32 v1, 3, v1
	v_mov_b32_e32 v23, s79
	v_add_co_u32_e32 v22, vcc, s78, v1
	v_addc_co_u32_e32 v23, vcc, 0, v23, vcc
	flat_load_dwordx2 v[22:23], v[22:23]
	s_or_b64 exec, exec, s[4:5]
                                        ; implicit-def: $vgpr24_vgpr25
	s_and_saveexec_b64 s[4:5], s[24:25]
	s_cbranch_execz .LBB59_59
.LBB59_256:
	v_lshlrev_b32_e32 v1, 3, v40
	v_mov_b32_e32 v25, s79
	v_add_co_u32_e32 v24, vcc, s78, v1
	v_addc_co_u32_e32 v25, vcc, 0, v25, vcc
	flat_load_dwordx2 v[24:25], v[24:25]
	s_or_b64 exec, exec, s[4:5]
                                        ; implicit-def: $vgpr26_vgpr27
	s_and_saveexec_b64 s[4:5], s[26:27]
	s_cbranch_execz .LBB59_60
.LBB59_257:
	v_lshlrev_b32_e32 v1, 3, v41
	v_mov_b32_e32 v27, s79
	v_add_co_u32_e32 v26, vcc, s78, v1
	v_addc_co_u32_e32 v27, vcc, 0, v27, vcc
	flat_load_dwordx2 v[26:27], v[26:27]
	s_or_b64 exec, exec, s[4:5]
                                        ; implicit-def: $vgpr28_vgpr29
	s_and_saveexec_b64 s[4:5], s[28:29]
	s_cbranch_execz .LBB59_61
.LBB59_258:
	v_lshlrev_b32_e32 v1, 3, v42
	v_mov_b32_e32 v29, s79
	v_add_co_u32_e32 v28, vcc, s78, v1
	v_addc_co_u32_e32 v29, vcc, 0, v29, vcc
	flat_load_dwordx2 v[28:29], v[28:29]
	s_or_b64 exec, exec, s[4:5]
                                        ; implicit-def: $vgpr30_vgpr31
	s_and_saveexec_b64 s[4:5], s[30:31]
	s_cbranch_execz .LBB59_62
.LBB59_259:
	v_lshlrev_b32_e32 v1, 3, v43
	v_mov_b32_e32 v31, s79
	v_add_co_u32_e32 v30, vcc, s78, v1
	v_addc_co_u32_e32 v31, vcc, 0, v31, vcc
	flat_load_dwordx2 v[30:31], v[30:31]
	s_or_b64 exec, exec, s[4:5]
                                        ; implicit-def: $vgpr32_vgpr33
	s_and_saveexec_b64 s[4:5], s[34:35]
	s_cbranch_execz .LBB59_63
.LBB59_260:
	v_lshlrev_b32_e32 v1, 3, v44
	v_mov_b32_e32 v33, s79
	v_add_co_u32_e32 v32, vcc, s78, v1
	v_addc_co_u32_e32 v33, vcc, 0, v33, vcc
	flat_load_dwordx2 v[32:33], v[32:33]
	s_or_b64 exec, exec, s[4:5]
                                        ; implicit-def: $vgpr34_vgpr35
	s_and_saveexec_b64 s[4:5], s[36:37]
	s_cbranch_execz .LBB59_64
.LBB59_261:
	v_lshlrev_b32_e32 v1, 3, v45
	v_mov_b32_e32 v35, s79
	v_add_co_u32_e32 v34, vcc, s78, v1
	v_addc_co_u32_e32 v35, vcc, 0, v35, vcc
	flat_load_dwordx2 v[34:35], v[34:35]
	s_or_b64 exec, exec, s[4:5]
                                        ; implicit-def: $vgpr36_vgpr37
	s_and_saveexec_b64 s[4:5], s[38:39]
	s_cbranch_execz .LBB59_65
.LBB59_262:
	v_lshlrev_b32_e32 v1, 3, v46
	v_mov_b32_e32 v37, s79
	v_add_co_u32_e32 v36, vcc, s78, v1
	v_addc_co_u32_e32 v37, vcc, 0, v37, vcc
	flat_load_dwordx2 v[36:37], v[36:37]
	s_or_b64 exec, exec, s[4:5]
                                        ; implicit-def: $vgpr38_vgpr39
	s_and_saveexec_b64 s[4:5], s[40:41]
	s_cbranch_execz .LBB59_66
.LBB59_263:
	v_lshlrev_b32_e32 v1, 3, v47
	v_mov_b32_e32 v39, s79
	v_add_co_u32_e32 v38, vcc, s78, v1
	v_addc_co_u32_e32 v39, vcc, 0, v39, vcc
	flat_load_dwordx2 v[38:39], v[38:39]
	s_or_b64 exec, exec, s[4:5]
                                        ; implicit-def: $vgpr40_vgpr41
	s_and_saveexec_b64 s[4:5], s[42:43]
	s_cbranch_execz .LBB59_67
.LBB59_264:
	v_lshlrev_b32_e32 v1, 3, v49
	v_mov_b32_e32 v41, s79
	v_add_co_u32_e32 v40, vcc, s78, v1
	v_addc_co_u32_e32 v41, vcc, 0, v41, vcc
	flat_load_dwordx2 v[40:41], v[40:41]
	s_or_b64 exec, exec, s[4:5]
                                        ; implicit-def: $vgpr42_vgpr43
	s_and_saveexec_b64 s[4:5], s[44:45]
	s_cbranch_execnz .LBB59_68
	s_branch .LBB59_69
.LBB59_265:
                                        ; implicit-def: $sgpr4_sgpr5
	s_branch .LBB59_46
.LBB59_266:
                                        ; implicit-def: $sgpr4_sgpr5
	s_branch .LBB59_110
	.section	.rodata,"a",@progbits
	.p2align	6, 0x0
	.amdhsa_kernel _ZN7rocprim17ROCPRIM_400000_NS6detail17trampoline_kernelINS0_14default_configENS1_27scan_by_key_config_selectorIxxEEZZNS1_16scan_by_key_implILNS1_25lookback_scan_determinismE0ELb0ES3_N6thrust23THRUST_200600_302600_NS6detail15normal_iteratorINS9_10device_ptrIxEEEESE_SE_xNS9_10multipliesIxEENS9_8equal_toIxEExEE10hipError_tPvRmT2_T3_T4_T5_mT6_T7_P12ihipStream_tbENKUlT_T0_E_clISt17integral_constantIbLb1EESZ_EEDaSU_SV_EUlSU_E_NS1_11comp_targetILNS1_3genE4ELNS1_11target_archE910ELNS1_3gpuE8ELNS1_3repE0EEENS1_30default_config_static_selectorELNS0_4arch9wavefront6targetE1EEEvT1_
		.amdhsa_group_segment_fixed_size 10752
		.amdhsa_private_segment_fixed_size 0
		.amdhsa_kernarg_size 136
		.amdhsa_user_sgpr_count 6
		.amdhsa_user_sgpr_private_segment_buffer 1
		.amdhsa_user_sgpr_dispatch_ptr 0
		.amdhsa_user_sgpr_queue_ptr 0
		.amdhsa_user_sgpr_kernarg_segment_ptr 1
		.amdhsa_user_sgpr_dispatch_id 0
		.amdhsa_user_sgpr_flat_scratch_init 0
		.amdhsa_user_sgpr_kernarg_preload_length 0
		.amdhsa_user_sgpr_kernarg_preload_offset 0
		.amdhsa_user_sgpr_private_segment_size 0
		.amdhsa_uses_dynamic_stack 0
		.amdhsa_system_sgpr_private_segment_wavefront_offset 0
		.amdhsa_system_sgpr_workgroup_id_x 1
		.amdhsa_system_sgpr_workgroup_id_y 0
		.amdhsa_system_sgpr_workgroup_id_z 0
		.amdhsa_system_sgpr_workgroup_info 0
		.amdhsa_system_vgpr_workitem_id 0
		.amdhsa_next_free_vgpr 128
		.amdhsa_next_free_sgpr 82
		.amdhsa_accum_offset 128
		.amdhsa_reserve_vcc 1
		.amdhsa_reserve_flat_scratch 0
		.amdhsa_float_round_mode_32 0
		.amdhsa_float_round_mode_16_64 0
		.amdhsa_float_denorm_mode_32 3
		.amdhsa_float_denorm_mode_16_64 3
		.amdhsa_dx10_clamp 1
		.amdhsa_ieee_mode 1
		.amdhsa_fp16_overflow 0
		.amdhsa_tg_split 0
		.amdhsa_exception_fp_ieee_invalid_op 0
		.amdhsa_exception_fp_denorm_src 0
		.amdhsa_exception_fp_ieee_div_zero 0
		.amdhsa_exception_fp_ieee_overflow 0
		.amdhsa_exception_fp_ieee_underflow 0
		.amdhsa_exception_fp_ieee_inexact 0
		.amdhsa_exception_int_div_zero 0
	.end_amdhsa_kernel
	.section	.text._ZN7rocprim17ROCPRIM_400000_NS6detail17trampoline_kernelINS0_14default_configENS1_27scan_by_key_config_selectorIxxEEZZNS1_16scan_by_key_implILNS1_25lookback_scan_determinismE0ELb0ES3_N6thrust23THRUST_200600_302600_NS6detail15normal_iteratorINS9_10device_ptrIxEEEESE_SE_xNS9_10multipliesIxEENS9_8equal_toIxEExEE10hipError_tPvRmT2_T3_T4_T5_mT6_T7_P12ihipStream_tbENKUlT_T0_E_clISt17integral_constantIbLb1EESZ_EEDaSU_SV_EUlSU_E_NS1_11comp_targetILNS1_3genE4ELNS1_11target_archE910ELNS1_3gpuE8ELNS1_3repE0EEENS1_30default_config_static_selectorELNS0_4arch9wavefront6targetE1EEEvT1_,"axG",@progbits,_ZN7rocprim17ROCPRIM_400000_NS6detail17trampoline_kernelINS0_14default_configENS1_27scan_by_key_config_selectorIxxEEZZNS1_16scan_by_key_implILNS1_25lookback_scan_determinismE0ELb0ES3_N6thrust23THRUST_200600_302600_NS6detail15normal_iteratorINS9_10device_ptrIxEEEESE_SE_xNS9_10multipliesIxEENS9_8equal_toIxEExEE10hipError_tPvRmT2_T3_T4_T5_mT6_T7_P12ihipStream_tbENKUlT_T0_E_clISt17integral_constantIbLb1EESZ_EEDaSU_SV_EUlSU_E_NS1_11comp_targetILNS1_3genE4ELNS1_11target_archE910ELNS1_3gpuE8ELNS1_3repE0EEENS1_30default_config_static_selectorELNS0_4arch9wavefront6targetE1EEEvT1_,comdat
.Lfunc_end59:
	.size	_ZN7rocprim17ROCPRIM_400000_NS6detail17trampoline_kernelINS0_14default_configENS1_27scan_by_key_config_selectorIxxEEZZNS1_16scan_by_key_implILNS1_25lookback_scan_determinismE0ELb0ES3_N6thrust23THRUST_200600_302600_NS6detail15normal_iteratorINS9_10device_ptrIxEEEESE_SE_xNS9_10multipliesIxEENS9_8equal_toIxEExEE10hipError_tPvRmT2_T3_T4_T5_mT6_T7_P12ihipStream_tbENKUlT_T0_E_clISt17integral_constantIbLb1EESZ_EEDaSU_SV_EUlSU_E_NS1_11comp_targetILNS1_3genE4ELNS1_11target_archE910ELNS1_3gpuE8ELNS1_3repE0EEENS1_30default_config_static_selectorELNS0_4arch9wavefront6targetE1EEEvT1_, .Lfunc_end59-_ZN7rocprim17ROCPRIM_400000_NS6detail17trampoline_kernelINS0_14default_configENS1_27scan_by_key_config_selectorIxxEEZZNS1_16scan_by_key_implILNS1_25lookback_scan_determinismE0ELb0ES3_N6thrust23THRUST_200600_302600_NS6detail15normal_iteratorINS9_10device_ptrIxEEEESE_SE_xNS9_10multipliesIxEENS9_8equal_toIxEExEE10hipError_tPvRmT2_T3_T4_T5_mT6_T7_P12ihipStream_tbENKUlT_T0_E_clISt17integral_constantIbLb1EESZ_EEDaSU_SV_EUlSU_E_NS1_11comp_targetILNS1_3genE4ELNS1_11target_archE910ELNS1_3gpuE8ELNS1_3repE0EEENS1_30default_config_static_selectorELNS0_4arch9wavefront6targetE1EEEvT1_
                                        ; -- End function
	.section	.AMDGPU.csdata,"",@progbits
; Kernel info:
; codeLenInByte = 17420
; NumSgprs: 86
; NumVgprs: 128
; NumAgprs: 0
; TotalNumVgprs: 128
; ScratchSize: 0
; MemoryBound: 0
; FloatMode: 240
; IeeeMode: 1
; LDSByteSize: 10752 bytes/workgroup (compile time only)
; SGPRBlocks: 10
; VGPRBlocks: 15
; NumSGPRsForWavesPerEU: 86
; NumVGPRsForWavesPerEU: 128
; AccumOffset: 128
; Occupancy: 2
; WaveLimiterHint : 1
; COMPUTE_PGM_RSRC2:SCRATCH_EN: 0
; COMPUTE_PGM_RSRC2:USER_SGPR: 6
; COMPUTE_PGM_RSRC2:TRAP_HANDLER: 0
; COMPUTE_PGM_RSRC2:TGID_X_EN: 1
; COMPUTE_PGM_RSRC2:TGID_Y_EN: 0
; COMPUTE_PGM_RSRC2:TGID_Z_EN: 0
; COMPUTE_PGM_RSRC2:TIDIG_COMP_CNT: 0
; COMPUTE_PGM_RSRC3_GFX90A:ACCUM_OFFSET: 31
; COMPUTE_PGM_RSRC3_GFX90A:TG_SPLIT: 0
	.section	.text._ZN7rocprim17ROCPRIM_400000_NS6detail17trampoline_kernelINS0_14default_configENS1_27scan_by_key_config_selectorIxxEEZZNS1_16scan_by_key_implILNS1_25lookback_scan_determinismE0ELb0ES3_N6thrust23THRUST_200600_302600_NS6detail15normal_iteratorINS9_10device_ptrIxEEEESE_SE_xNS9_10multipliesIxEENS9_8equal_toIxEExEE10hipError_tPvRmT2_T3_T4_T5_mT6_T7_P12ihipStream_tbENKUlT_T0_E_clISt17integral_constantIbLb1EESZ_EEDaSU_SV_EUlSU_E_NS1_11comp_targetILNS1_3genE3ELNS1_11target_archE908ELNS1_3gpuE7ELNS1_3repE0EEENS1_30default_config_static_selectorELNS0_4arch9wavefront6targetE1EEEvT1_,"axG",@progbits,_ZN7rocprim17ROCPRIM_400000_NS6detail17trampoline_kernelINS0_14default_configENS1_27scan_by_key_config_selectorIxxEEZZNS1_16scan_by_key_implILNS1_25lookback_scan_determinismE0ELb0ES3_N6thrust23THRUST_200600_302600_NS6detail15normal_iteratorINS9_10device_ptrIxEEEESE_SE_xNS9_10multipliesIxEENS9_8equal_toIxEExEE10hipError_tPvRmT2_T3_T4_T5_mT6_T7_P12ihipStream_tbENKUlT_T0_E_clISt17integral_constantIbLb1EESZ_EEDaSU_SV_EUlSU_E_NS1_11comp_targetILNS1_3genE3ELNS1_11target_archE908ELNS1_3gpuE7ELNS1_3repE0EEENS1_30default_config_static_selectorELNS0_4arch9wavefront6targetE1EEEvT1_,comdat
	.protected	_ZN7rocprim17ROCPRIM_400000_NS6detail17trampoline_kernelINS0_14default_configENS1_27scan_by_key_config_selectorIxxEEZZNS1_16scan_by_key_implILNS1_25lookback_scan_determinismE0ELb0ES3_N6thrust23THRUST_200600_302600_NS6detail15normal_iteratorINS9_10device_ptrIxEEEESE_SE_xNS9_10multipliesIxEENS9_8equal_toIxEExEE10hipError_tPvRmT2_T3_T4_T5_mT6_T7_P12ihipStream_tbENKUlT_T0_E_clISt17integral_constantIbLb1EESZ_EEDaSU_SV_EUlSU_E_NS1_11comp_targetILNS1_3genE3ELNS1_11target_archE908ELNS1_3gpuE7ELNS1_3repE0EEENS1_30default_config_static_selectorELNS0_4arch9wavefront6targetE1EEEvT1_ ; -- Begin function _ZN7rocprim17ROCPRIM_400000_NS6detail17trampoline_kernelINS0_14default_configENS1_27scan_by_key_config_selectorIxxEEZZNS1_16scan_by_key_implILNS1_25lookback_scan_determinismE0ELb0ES3_N6thrust23THRUST_200600_302600_NS6detail15normal_iteratorINS9_10device_ptrIxEEEESE_SE_xNS9_10multipliesIxEENS9_8equal_toIxEExEE10hipError_tPvRmT2_T3_T4_T5_mT6_T7_P12ihipStream_tbENKUlT_T0_E_clISt17integral_constantIbLb1EESZ_EEDaSU_SV_EUlSU_E_NS1_11comp_targetILNS1_3genE3ELNS1_11target_archE908ELNS1_3gpuE7ELNS1_3repE0EEENS1_30default_config_static_selectorELNS0_4arch9wavefront6targetE1EEEvT1_
	.globl	_ZN7rocprim17ROCPRIM_400000_NS6detail17trampoline_kernelINS0_14default_configENS1_27scan_by_key_config_selectorIxxEEZZNS1_16scan_by_key_implILNS1_25lookback_scan_determinismE0ELb0ES3_N6thrust23THRUST_200600_302600_NS6detail15normal_iteratorINS9_10device_ptrIxEEEESE_SE_xNS9_10multipliesIxEENS9_8equal_toIxEExEE10hipError_tPvRmT2_T3_T4_T5_mT6_T7_P12ihipStream_tbENKUlT_T0_E_clISt17integral_constantIbLb1EESZ_EEDaSU_SV_EUlSU_E_NS1_11comp_targetILNS1_3genE3ELNS1_11target_archE908ELNS1_3gpuE7ELNS1_3repE0EEENS1_30default_config_static_selectorELNS0_4arch9wavefront6targetE1EEEvT1_
	.p2align	8
	.type	_ZN7rocprim17ROCPRIM_400000_NS6detail17trampoline_kernelINS0_14default_configENS1_27scan_by_key_config_selectorIxxEEZZNS1_16scan_by_key_implILNS1_25lookback_scan_determinismE0ELb0ES3_N6thrust23THRUST_200600_302600_NS6detail15normal_iteratorINS9_10device_ptrIxEEEESE_SE_xNS9_10multipliesIxEENS9_8equal_toIxEExEE10hipError_tPvRmT2_T3_T4_T5_mT6_T7_P12ihipStream_tbENKUlT_T0_E_clISt17integral_constantIbLb1EESZ_EEDaSU_SV_EUlSU_E_NS1_11comp_targetILNS1_3genE3ELNS1_11target_archE908ELNS1_3gpuE7ELNS1_3repE0EEENS1_30default_config_static_selectorELNS0_4arch9wavefront6targetE1EEEvT1_,@function
_ZN7rocprim17ROCPRIM_400000_NS6detail17trampoline_kernelINS0_14default_configENS1_27scan_by_key_config_selectorIxxEEZZNS1_16scan_by_key_implILNS1_25lookback_scan_determinismE0ELb0ES3_N6thrust23THRUST_200600_302600_NS6detail15normal_iteratorINS9_10device_ptrIxEEEESE_SE_xNS9_10multipliesIxEENS9_8equal_toIxEExEE10hipError_tPvRmT2_T3_T4_T5_mT6_T7_P12ihipStream_tbENKUlT_T0_E_clISt17integral_constantIbLb1EESZ_EEDaSU_SV_EUlSU_E_NS1_11comp_targetILNS1_3genE3ELNS1_11target_archE908ELNS1_3gpuE7ELNS1_3repE0EEENS1_30default_config_static_selectorELNS0_4arch9wavefront6targetE1EEEvT1_: ; @_ZN7rocprim17ROCPRIM_400000_NS6detail17trampoline_kernelINS0_14default_configENS1_27scan_by_key_config_selectorIxxEEZZNS1_16scan_by_key_implILNS1_25lookback_scan_determinismE0ELb0ES3_N6thrust23THRUST_200600_302600_NS6detail15normal_iteratorINS9_10device_ptrIxEEEESE_SE_xNS9_10multipliesIxEENS9_8equal_toIxEExEE10hipError_tPvRmT2_T3_T4_T5_mT6_T7_P12ihipStream_tbENKUlT_T0_E_clISt17integral_constantIbLb1EESZ_EEDaSU_SV_EUlSU_E_NS1_11comp_targetILNS1_3genE3ELNS1_11target_archE908ELNS1_3gpuE7ELNS1_3repE0EEENS1_30default_config_static_selectorELNS0_4arch9wavefront6targetE1EEEvT1_
; %bb.0:
	.section	.rodata,"a",@progbits
	.p2align	6, 0x0
	.amdhsa_kernel _ZN7rocprim17ROCPRIM_400000_NS6detail17trampoline_kernelINS0_14default_configENS1_27scan_by_key_config_selectorIxxEEZZNS1_16scan_by_key_implILNS1_25lookback_scan_determinismE0ELb0ES3_N6thrust23THRUST_200600_302600_NS6detail15normal_iteratorINS9_10device_ptrIxEEEESE_SE_xNS9_10multipliesIxEENS9_8equal_toIxEExEE10hipError_tPvRmT2_T3_T4_T5_mT6_T7_P12ihipStream_tbENKUlT_T0_E_clISt17integral_constantIbLb1EESZ_EEDaSU_SV_EUlSU_E_NS1_11comp_targetILNS1_3genE3ELNS1_11target_archE908ELNS1_3gpuE7ELNS1_3repE0EEENS1_30default_config_static_selectorELNS0_4arch9wavefront6targetE1EEEvT1_
		.amdhsa_group_segment_fixed_size 0
		.amdhsa_private_segment_fixed_size 0
		.amdhsa_kernarg_size 136
		.amdhsa_user_sgpr_count 6
		.amdhsa_user_sgpr_private_segment_buffer 1
		.amdhsa_user_sgpr_dispatch_ptr 0
		.amdhsa_user_sgpr_queue_ptr 0
		.amdhsa_user_sgpr_kernarg_segment_ptr 1
		.amdhsa_user_sgpr_dispatch_id 0
		.amdhsa_user_sgpr_flat_scratch_init 0
		.amdhsa_user_sgpr_kernarg_preload_length 0
		.amdhsa_user_sgpr_kernarg_preload_offset 0
		.amdhsa_user_sgpr_private_segment_size 0
		.amdhsa_uses_dynamic_stack 0
		.amdhsa_system_sgpr_private_segment_wavefront_offset 0
		.amdhsa_system_sgpr_workgroup_id_x 1
		.amdhsa_system_sgpr_workgroup_id_y 0
		.amdhsa_system_sgpr_workgroup_id_z 0
		.amdhsa_system_sgpr_workgroup_info 0
		.amdhsa_system_vgpr_workitem_id 0
		.amdhsa_next_free_vgpr 1
		.amdhsa_next_free_sgpr 0
		.amdhsa_accum_offset 4
		.amdhsa_reserve_vcc 0
		.amdhsa_reserve_flat_scratch 0
		.amdhsa_float_round_mode_32 0
		.amdhsa_float_round_mode_16_64 0
		.amdhsa_float_denorm_mode_32 3
		.amdhsa_float_denorm_mode_16_64 3
		.amdhsa_dx10_clamp 1
		.amdhsa_ieee_mode 1
		.amdhsa_fp16_overflow 0
		.amdhsa_tg_split 0
		.amdhsa_exception_fp_ieee_invalid_op 0
		.amdhsa_exception_fp_denorm_src 0
		.amdhsa_exception_fp_ieee_div_zero 0
		.amdhsa_exception_fp_ieee_overflow 0
		.amdhsa_exception_fp_ieee_underflow 0
		.amdhsa_exception_fp_ieee_inexact 0
		.amdhsa_exception_int_div_zero 0
	.end_amdhsa_kernel
	.section	.text._ZN7rocprim17ROCPRIM_400000_NS6detail17trampoline_kernelINS0_14default_configENS1_27scan_by_key_config_selectorIxxEEZZNS1_16scan_by_key_implILNS1_25lookback_scan_determinismE0ELb0ES3_N6thrust23THRUST_200600_302600_NS6detail15normal_iteratorINS9_10device_ptrIxEEEESE_SE_xNS9_10multipliesIxEENS9_8equal_toIxEExEE10hipError_tPvRmT2_T3_T4_T5_mT6_T7_P12ihipStream_tbENKUlT_T0_E_clISt17integral_constantIbLb1EESZ_EEDaSU_SV_EUlSU_E_NS1_11comp_targetILNS1_3genE3ELNS1_11target_archE908ELNS1_3gpuE7ELNS1_3repE0EEENS1_30default_config_static_selectorELNS0_4arch9wavefront6targetE1EEEvT1_,"axG",@progbits,_ZN7rocprim17ROCPRIM_400000_NS6detail17trampoline_kernelINS0_14default_configENS1_27scan_by_key_config_selectorIxxEEZZNS1_16scan_by_key_implILNS1_25lookback_scan_determinismE0ELb0ES3_N6thrust23THRUST_200600_302600_NS6detail15normal_iteratorINS9_10device_ptrIxEEEESE_SE_xNS9_10multipliesIxEENS9_8equal_toIxEExEE10hipError_tPvRmT2_T3_T4_T5_mT6_T7_P12ihipStream_tbENKUlT_T0_E_clISt17integral_constantIbLb1EESZ_EEDaSU_SV_EUlSU_E_NS1_11comp_targetILNS1_3genE3ELNS1_11target_archE908ELNS1_3gpuE7ELNS1_3repE0EEENS1_30default_config_static_selectorELNS0_4arch9wavefront6targetE1EEEvT1_,comdat
.Lfunc_end60:
	.size	_ZN7rocprim17ROCPRIM_400000_NS6detail17trampoline_kernelINS0_14default_configENS1_27scan_by_key_config_selectorIxxEEZZNS1_16scan_by_key_implILNS1_25lookback_scan_determinismE0ELb0ES3_N6thrust23THRUST_200600_302600_NS6detail15normal_iteratorINS9_10device_ptrIxEEEESE_SE_xNS9_10multipliesIxEENS9_8equal_toIxEExEE10hipError_tPvRmT2_T3_T4_T5_mT6_T7_P12ihipStream_tbENKUlT_T0_E_clISt17integral_constantIbLb1EESZ_EEDaSU_SV_EUlSU_E_NS1_11comp_targetILNS1_3genE3ELNS1_11target_archE908ELNS1_3gpuE7ELNS1_3repE0EEENS1_30default_config_static_selectorELNS0_4arch9wavefront6targetE1EEEvT1_, .Lfunc_end60-_ZN7rocprim17ROCPRIM_400000_NS6detail17trampoline_kernelINS0_14default_configENS1_27scan_by_key_config_selectorIxxEEZZNS1_16scan_by_key_implILNS1_25lookback_scan_determinismE0ELb0ES3_N6thrust23THRUST_200600_302600_NS6detail15normal_iteratorINS9_10device_ptrIxEEEESE_SE_xNS9_10multipliesIxEENS9_8equal_toIxEExEE10hipError_tPvRmT2_T3_T4_T5_mT6_T7_P12ihipStream_tbENKUlT_T0_E_clISt17integral_constantIbLb1EESZ_EEDaSU_SV_EUlSU_E_NS1_11comp_targetILNS1_3genE3ELNS1_11target_archE908ELNS1_3gpuE7ELNS1_3repE0EEENS1_30default_config_static_selectorELNS0_4arch9wavefront6targetE1EEEvT1_
                                        ; -- End function
	.section	.AMDGPU.csdata,"",@progbits
; Kernel info:
; codeLenInByte = 0
; NumSgprs: 4
; NumVgprs: 0
; NumAgprs: 0
; TotalNumVgprs: 0
; ScratchSize: 0
; MemoryBound: 0
; FloatMode: 240
; IeeeMode: 1
; LDSByteSize: 0 bytes/workgroup (compile time only)
; SGPRBlocks: 0
; VGPRBlocks: 0
; NumSGPRsForWavesPerEU: 4
; NumVGPRsForWavesPerEU: 1
; AccumOffset: 4
; Occupancy: 8
; WaveLimiterHint : 0
; COMPUTE_PGM_RSRC2:SCRATCH_EN: 0
; COMPUTE_PGM_RSRC2:USER_SGPR: 6
; COMPUTE_PGM_RSRC2:TRAP_HANDLER: 0
; COMPUTE_PGM_RSRC2:TGID_X_EN: 1
; COMPUTE_PGM_RSRC2:TGID_Y_EN: 0
; COMPUTE_PGM_RSRC2:TGID_Z_EN: 0
; COMPUTE_PGM_RSRC2:TIDIG_COMP_CNT: 0
; COMPUTE_PGM_RSRC3_GFX90A:ACCUM_OFFSET: 0
; COMPUTE_PGM_RSRC3_GFX90A:TG_SPLIT: 0
	.section	.text._ZN7rocprim17ROCPRIM_400000_NS6detail17trampoline_kernelINS0_14default_configENS1_27scan_by_key_config_selectorIxxEEZZNS1_16scan_by_key_implILNS1_25lookback_scan_determinismE0ELb0ES3_N6thrust23THRUST_200600_302600_NS6detail15normal_iteratorINS9_10device_ptrIxEEEESE_SE_xNS9_10multipliesIxEENS9_8equal_toIxEExEE10hipError_tPvRmT2_T3_T4_T5_mT6_T7_P12ihipStream_tbENKUlT_T0_E_clISt17integral_constantIbLb1EESZ_EEDaSU_SV_EUlSU_E_NS1_11comp_targetILNS1_3genE2ELNS1_11target_archE906ELNS1_3gpuE6ELNS1_3repE0EEENS1_30default_config_static_selectorELNS0_4arch9wavefront6targetE1EEEvT1_,"axG",@progbits,_ZN7rocprim17ROCPRIM_400000_NS6detail17trampoline_kernelINS0_14default_configENS1_27scan_by_key_config_selectorIxxEEZZNS1_16scan_by_key_implILNS1_25lookback_scan_determinismE0ELb0ES3_N6thrust23THRUST_200600_302600_NS6detail15normal_iteratorINS9_10device_ptrIxEEEESE_SE_xNS9_10multipliesIxEENS9_8equal_toIxEExEE10hipError_tPvRmT2_T3_T4_T5_mT6_T7_P12ihipStream_tbENKUlT_T0_E_clISt17integral_constantIbLb1EESZ_EEDaSU_SV_EUlSU_E_NS1_11comp_targetILNS1_3genE2ELNS1_11target_archE906ELNS1_3gpuE6ELNS1_3repE0EEENS1_30default_config_static_selectorELNS0_4arch9wavefront6targetE1EEEvT1_,comdat
	.protected	_ZN7rocprim17ROCPRIM_400000_NS6detail17trampoline_kernelINS0_14default_configENS1_27scan_by_key_config_selectorIxxEEZZNS1_16scan_by_key_implILNS1_25lookback_scan_determinismE0ELb0ES3_N6thrust23THRUST_200600_302600_NS6detail15normal_iteratorINS9_10device_ptrIxEEEESE_SE_xNS9_10multipliesIxEENS9_8equal_toIxEExEE10hipError_tPvRmT2_T3_T4_T5_mT6_T7_P12ihipStream_tbENKUlT_T0_E_clISt17integral_constantIbLb1EESZ_EEDaSU_SV_EUlSU_E_NS1_11comp_targetILNS1_3genE2ELNS1_11target_archE906ELNS1_3gpuE6ELNS1_3repE0EEENS1_30default_config_static_selectorELNS0_4arch9wavefront6targetE1EEEvT1_ ; -- Begin function _ZN7rocprim17ROCPRIM_400000_NS6detail17trampoline_kernelINS0_14default_configENS1_27scan_by_key_config_selectorIxxEEZZNS1_16scan_by_key_implILNS1_25lookback_scan_determinismE0ELb0ES3_N6thrust23THRUST_200600_302600_NS6detail15normal_iteratorINS9_10device_ptrIxEEEESE_SE_xNS9_10multipliesIxEENS9_8equal_toIxEExEE10hipError_tPvRmT2_T3_T4_T5_mT6_T7_P12ihipStream_tbENKUlT_T0_E_clISt17integral_constantIbLb1EESZ_EEDaSU_SV_EUlSU_E_NS1_11comp_targetILNS1_3genE2ELNS1_11target_archE906ELNS1_3gpuE6ELNS1_3repE0EEENS1_30default_config_static_selectorELNS0_4arch9wavefront6targetE1EEEvT1_
	.globl	_ZN7rocprim17ROCPRIM_400000_NS6detail17trampoline_kernelINS0_14default_configENS1_27scan_by_key_config_selectorIxxEEZZNS1_16scan_by_key_implILNS1_25lookback_scan_determinismE0ELb0ES3_N6thrust23THRUST_200600_302600_NS6detail15normal_iteratorINS9_10device_ptrIxEEEESE_SE_xNS9_10multipliesIxEENS9_8equal_toIxEExEE10hipError_tPvRmT2_T3_T4_T5_mT6_T7_P12ihipStream_tbENKUlT_T0_E_clISt17integral_constantIbLb1EESZ_EEDaSU_SV_EUlSU_E_NS1_11comp_targetILNS1_3genE2ELNS1_11target_archE906ELNS1_3gpuE6ELNS1_3repE0EEENS1_30default_config_static_selectorELNS0_4arch9wavefront6targetE1EEEvT1_
	.p2align	8
	.type	_ZN7rocprim17ROCPRIM_400000_NS6detail17trampoline_kernelINS0_14default_configENS1_27scan_by_key_config_selectorIxxEEZZNS1_16scan_by_key_implILNS1_25lookback_scan_determinismE0ELb0ES3_N6thrust23THRUST_200600_302600_NS6detail15normal_iteratorINS9_10device_ptrIxEEEESE_SE_xNS9_10multipliesIxEENS9_8equal_toIxEExEE10hipError_tPvRmT2_T3_T4_T5_mT6_T7_P12ihipStream_tbENKUlT_T0_E_clISt17integral_constantIbLb1EESZ_EEDaSU_SV_EUlSU_E_NS1_11comp_targetILNS1_3genE2ELNS1_11target_archE906ELNS1_3gpuE6ELNS1_3repE0EEENS1_30default_config_static_selectorELNS0_4arch9wavefront6targetE1EEEvT1_,@function
_ZN7rocprim17ROCPRIM_400000_NS6detail17trampoline_kernelINS0_14default_configENS1_27scan_by_key_config_selectorIxxEEZZNS1_16scan_by_key_implILNS1_25lookback_scan_determinismE0ELb0ES3_N6thrust23THRUST_200600_302600_NS6detail15normal_iteratorINS9_10device_ptrIxEEEESE_SE_xNS9_10multipliesIxEENS9_8equal_toIxEExEE10hipError_tPvRmT2_T3_T4_T5_mT6_T7_P12ihipStream_tbENKUlT_T0_E_clISt17integral_constantIbLb1EESZ_EEDaSU_SV_EUlSU_E_NS1_11comp_targetILNS1_3genE2ELNS1_11target_archE906ELNS1_3gpuE6ELNS1_3repE0EEENS1_30default_config_static_selectorELNS0_4arch9wavefront6targetE1EEEvT1_: ; @_ZN7rocprim17ROCPRIM_400000_NS6detail17trampoline_kernelINS0_14default_configENS1_27scan_by_key_config_selectorIxxEEZZNS1_16scan_by_key_implILNS1_25lookback_scan_determinismE0ELb0ES3_N6thrust23THRUST_200600_302600_NS6detail15normal_iteratorINS9_10device_ptrIxEEEESE_SE_xNS9_10multipliesIxEENS9_8equal_toIxEExEE10hipError_tPvRmT2_T3_T4_T5_mT6_T7_P12ihipStream_tbENKUlT_T0_E_clISt17integral_constantIbLb1EESZ_EEDaSU_SV_EUlSU_E_NS1_11comp_targetILNS1_3genE2ELNS1_11target_archE906ELNS1_3gpuE6ELNS1_3repE0EEENS1_30default_config_static_selectorELNS0_4arch9wavefront6targetE1EEEvT1_
; %bb.0:
	.section	.rodata,"a",@progbits
	.p2align	6, 0x0
	.amdhsa_kernel _ZN7rocprim17ROCPRIM_400000_NS6detail17trampoline_kernelINS0_14default_configENS1_27scan_by_key_config_selectorIxxEEZZNS1_16scan_by_key_implILNS1_25lookback_scan_determinismE0ELb0ES3_N6thrust23THRUST_200600_302600_NS6detail15normal_iteratorINS9_10device_ptrIxEEEESE_SE_xNS9_10multipliesIxEENS9_8equal_toIxEExEE10hipError_tPvRmT2_T3_T4_T5_mT6_T7_P12ihipStream_tbENKUlT_T0_E_clISt17integral_constantIbLb1EESZ_EEDaSU_SV_EUlSU_E_NS1_11comp_targetILNS1_3genE2ELNS1_11target_archE906ELNS1_3gpuE6ELNS1_3repE0EEENS1_30default_config_static_selectorELNS0_4arch9wavefront6targetE1EEEvT1_
		.amdhsa_group_segment_fixed_size 0
		.amdhsa_private_segment_fixed_size 0
		.amdhsa_kernarg_size 136
		.amdhsa_user_sgpr_count 6
		.amdhsa_user_sgpr_private_segment_buffer 1
		.amdhsa_user_sgpr_dispatch_ptr 0
		.amdhsa_user_sgpr_queue_ptr 0
		.amdhsa_user_sgpr_kernarg_segment_ptr 1
		.amdhsa_user_sgpr_dispatch_id 0
		.amdhsa_user_sgpr_flat_scratch_init 0
		.amdhsa_user_sgpr_kernarg_preload_length 0
		.amdhsa_user_sgpr_kernarg_preload_offset 0
		.amdhsa_user_sgpr_private_segment_size 0
		.amdhsa_uses_dynamic_stack 0
		.amdhsa_system_sgpr_private_segment_wavefront_offset 0
		.amdhsa_system_sgpr_workgroup_id_x 1
		.amdhsa_system_sgpr_workgroup_id_y 0
		.amdhsa_system_sgpr_workgroup_id_z 0
		.amdhsa_system_sgpr_workgroup_info 0
		.amdhsa_system_vgpr_workitem_id 0
		.amdhsa_next_free_vgpr 1
		.amdhsa_next_free_sgpr 0
		.amdhsa_accum_offset 4
		.amdhsa_reserve_vcc 0
		.amdhsa_reserve_flat_scratch 0
		.amdhsa_float_round_mode_32 0
		.amdhsa_float_round_mode_16_64 0
		.amdhsa_float_denorm_mode_32 3
		.amdhsa_float_denorm_mode_16_64 3
		.amdhsa_dx10_clamp 1
		.amdhsa_ieee_mode 1
		.amdhsa_fp16_overflow 0
		.amdhsa_tg_split 0
		.amdhsa_exception_fp_ieee_invalid_op 0
		.amdhsa_exception_fp_denorm_src 0
		.amdhsa_exception_fp_ieee_div_zero 0
		.amdhsa_exception_fp_ieee_overflow 0
		.amdhsa_exception_fp_ieee_underflow 0
		.amdhsa_exception_fp_ieee_inexact 0
		.amdhsa_exception_int_div_zero 0
	.end_amdhsa_kernel
	.section	.text._ZN7rocprim17ROCPRIM_400000_NS6detail17trampoline_kernelINS0_14default_configENS1_27scan_by_key_config_selectorIxxEEZZNS1_16scan_by_key_implILNS1_25lookback_scan_determinismE0ELb0ES3_N6thrust23THRUST_200600_302600_NS6detail15normal_iteratorINS9_10device_ptrIxEEEESE_SE_xNS9_10multipliesIxEENS9_8equal_toIxEExEE10hipError_tPvRmT2_T3_T4_T5_mT6_T7_P12ihipStream_tbENKUlT_T0_E_clISt17integral_constantIbLb1EESZ_EEDaSU_SV_EUlSU_E_NS1_11comp_targetILNS1_3genE2ELNS1_11target_archE906ELNS1_3gpuE6ELNS1_3repE0EEENS1_30default_config_static_selectorELNS0_4arch9wavefront6targetE1EEEvT1_,"axG",@progbits,_ZN7rocprim17ROCPRIM_400000_NS6detail17trampoline_kernelINS0_14default_configENS1_27scan_by_key_config_selectorIxxEEZZNS1_16scan_by_key_implILNS1_25lookback_scan_determinismE0ELb0ES3_N6thrust23THRUST_200600_302600_NS6detail15normal_iteratorINS9_10device_ptrIxEEEESE_SE_xNS9_10multipliesIxEENS9_8equal_toIxEExEE10hipError_tPvRmT2_T3_T4_T5_mT6_T7_P12ihipStream_tbENKUlT_T0_E_clISt17integral_constantIbLb1EESZ_EEDaSU_SV_EUlSU_E_NS1_11comp_targetILNS1_3genE2ELNS1_11target_archE906ELNS1_3gpuE6ELNS1_3repE0EEENS1_30default_config_static_selectorELNS0_4arch9wavefront6targetE1EEEvT1_,comdat
.Lfunc_end61:
	.size	_ZN7rocprim17ROCPRIM_400000_NS6detail17trampoline_kernelINS0_14default_configENS1_27scan_by_key_config_selectorIxxEEZZNS1_16scan_by_key_implILNS1_25lookback_scan_determinismE0ELb0ES3_N6thrust23THRUST_200600_302600_NS6detail15normal_iteratorINS9_10device_ptrIxEEEESE_SE_xNS9_10multipliesIxEENS9_8equal_toIxEExEE10hipError_tPvRmT2_T3_T4_T5_mT6_T7_P12ihipStream_tbENKUlT_T0_E_clISt17integral_constantIbLb1EESZ_EEDaSU_SV_EUlSU_E_NS1_11comp_targetILNS1_3genE2ELNS1_11target_archE906ELNS1_3gpuE6ELNS1_3repE0EEENS1_30default_config_static_selectorELNS0_4arch9wavefront6targetE1EEEvT1_, .Lfunc_end61-_ZN7rocprim17ROCPRIM_400000_NS6detail17trampoline_kernelINS0_14default_configENS1_27scan_by_key_config_selectorIxxEEZZNS1_16scan_by_key_implILNS1_25lookback_scan_determinismE0ELb0ES3_N6thrust23THRUST_200600_302600_NS6detail15normal_iteratorINS9_10device_ptrIxEEEESE_SE_xNS9_10multipliesIxEENS9_8equal_toIxEExEE10hipError_tPvRmT2_T3_T4_T5_mT6_T7_P12ihipStream_tbENKUlT_T0_E_clISt17integral_constantIbLb1EESZ_EEDaSU_SV_EUlSU_E_NS1_11comp_targetILNS1_3genE2ELNS1_11target_archE906ELNS1_3gpuE6ELNS1_3repE0EEENS1_30default_config_static_selectorELNS0_4arch9wavefront6targetE1EEEvT1_
                                        ; -- End function
	.section	.AMDGPU.csdata,"",@progbits
; Kernel info:
; codeLenInByte = 0
; NumSgprs: 4
; NumVgprs: 0
; NumAgprs: 0
; TotalNumVgprs: 0
; ScratchSize: 0
; MemoryBound: 0
; FloatMode: 240
; IeeeMode: 1
; LDSByteSize: 0 bytes/workgroup (compile time only)
; SGPRBlocks: 0
; VGPRBlocks: 0
; NumSGPRsForWavesPerEU: 4
; NumVGPRsForWavesPerEU: 1
; AccumOffset: 4
; Occupancy: 8
; WaveLimiterHint : 0
; COMPUTE_PGM_RSRC2:SCRATCH_EN: 0
; COMPUTE_PGM_RSRC2:USER_SGPR: 6
; COMPUTE_PGM_RSRC2:TRAP_HANDLER: 0
; COMPUTE_PGM_RSRC2:TGID_X_EN: 1
; COMPUTE_PGM_RSRC2:TGID_Y_EN: 0
; COMPUTE_PGM_RSRC2:TGID_Z_EN: 0
; COMPUTE_PGM_RSRC2:TIDIG_COMP_CNT: 0
; COMPUTE_PGM_RSRC3_GFX90A:ACCUM_OFFSET: 0
; COMPUTE_PGM_RSRC3_GFX90A:TG_SPLIT: 0
	.section	.text._ZN7rocprim17ROCPRIM_400000_NS6detail17trampoline_kernelINS0_14default_configENS1_27scan_by_key_config_selectorIxxEEZZNS1_16scan_by_key_implILNS1_25lookback_scan_determinismE0ELb0ES3_N6thrust23THRUST_200600_302600_NS6detail15normal_iteratorINS9_10device_ptrIxEEEESE_SE_xNS9_10multipliesIxEENS9_8equal_toIxEExEE10hipError_tPvRmT2_T3_T4_T5_mT6_T7_P12ihipStream_tbENKUlT_T0_E_clISt17integral_constantIbLb1EESZ_EEDaSU_SV_EUlSU_E_NS1_11comp_targetILNS1_3genE10ELNS1_11target_archE1200ELNS1_3gpuE4ELNS1_3repE0EEENS1_30default_config_static_selectorELNS0_4arch9wavefront6targetE1EEEvT1_,"axG",@progbits,_ZN7rocprim17ROCPRIM_400000_NS6detail17trampoline_kernelINS0_14default_configENS1_27scan_by_key_config_selectorIxxEEZZNS1_16scan_by_key_implILNS1_25lookback_scan_determinismE0ELb0ES3_N6thrust23THRUST_200600_302600_NS6detail15normal_iteratorINS9_10device_ptrIxEEEESE_SE_xNS9_10multipliesIxEENS9_8equal_toIxEExEE10hipError_tPvRmT2_T3_T4_T5_mT6_T7_P12ihipStream_tbENKUlT_T0_E_clISt17integral_constantIbLb1EESZ_EEDaSU_SV_EUlSU_E_NS1_11comp_targetILNS1_3genE10ELNS1_11target_archE1200ELNS1_3gpuE4ELNS1_3repE0EEENS1_30default_config_static_selectorELNS0_4arch9wavefront6targetE1EEEvT1_,comdat
	.protected	_ZN7rocprim17ROCPRIM_400000_NS6detail17trampoline_kernelINS0_14default_configENS1_27scan_by_key_config_selectorIxxEEZZNS1_16scan_by_key_implILNS1_25lookback_scan_determinismE0ELb0ES3_N6thrust23THRUST_200600_302600_NS6detail15normal_iteratorINS9_10device_ptrIxEEEESE_SE_xNS9_10multipliesIxEENS9_8equal_toIxEExEE10hipError_tPvRmT2_T3_T4_T5_mT6_T7_P12ihipStream_tbENKUlT_T0_E_clISt17integral_constantIbLb1EESZ_EEDaSU_SV_EUlSU_E_NS1_11comp_targetILNS1_3genE10ELNS1_11target_archE1200ELNS1_3gpuE4ELNS1_3repE0EEENS1_30default_config_static_selectorELNS0_4arch9wavefront6targetE1EEEvT1_ ; -- Begin function _ZN7rocprim17ROCPRIM_400000_NS6detail17trampoline_kernelINS0_14default_configENS1_27scan_by_key_config_selectorIxxEEZZNS1_16scan_by_key_implILNS1_25lookback_scan_determinismE0ELb0ES3_N6thrust23THRUST_200600_302600_NS6detail15normal_iteratorINS9_10device_ptrIxEEEESE_SE_xNS9_10multipliesIxEENS9_8equal_toIxEExEE10hipError_tPvRmT2_T3_T4_T5_mT6_T7_P12ihipStream_tbENKUlT_T0_E_clISt17integral_constantIbLb1EESZ_EEDaSU_SV_EUlSU_E_NS1_11comp_targetILNS1_3genE10ELNS1_11target_archE1200ELNS1_3gpuE4ELNS1_3repE0EEENS1_30default_config_static_selectorELNS0_4arch9wavefront6targetE1EEEvT1_
	.globl	_ZN7rocprim17ROCPRIM_400000_NS6detail17trampoline_kernelINS0_14default_configENS1_27scan_by_key_config_selectorIxxEEZZNS1_16scan_by_key_implILNS1_25lookback_scan_determinismE0ELb0ES3_N6thrust23THRUST_200600_302600_NS6detail15normal_iteratorINS9_10device_ptrIxEEEESE_SE_xNS9_10multipliesIxEENS9_8equal_toIxEExEE10hipError_tPvRmT2_T3_T4_T5_mT6_T7_P12ihipStream_tbENKUlT_T0_E_clISt17integral_constantIbLb1EESZ_EEDaSU_SV_EUlSU_E_NS1_11comp_targetILNS1_3genE10ELNS1_11target_archE1200ELNS1_3gpuE4ELNS1_3repE0EEENS1_30default_config_static_selectorELNS0_4arch9wavefront6targetE1EEEvT1_
	.p2align	8
	.type	_ZN7rocprim17ROCPRIM_400000_NS6detail17trampoline_kernelINS0_14default_configENS1_27scan_by_key_config_selectorIxxEEZZNS1_16scan_by_key_implILNS1_25lookback_scan_determinismE0ELb0ES3_N6thrust23THRUST_200600_302600_NS6detail15normal_iteratorINS9_10device_ptrIxEEEESE_SE_xNS9_10multipliesIxEENS9_8equal_toIxEExEE10hipError_tPvRmT2_T3_T4_T5_mT6_T7_P12ihipStream_tbENKUlT_T0_E_clISt17integral_constantIbLb1EESZ_EEDaSU_SV_EUlSU_E_NS1_11comp_targetILNS1_3genE10ELNS1_11target_archE1200ELNS1_3gpuE4ELNS1_3repE0EEENS1_30default_config_static_selectorELNS0_4arch9wavefront6targetE1EEEvT1_,@function
_ZN7rocprim17ROCPRIM_400000_NS6detail17trampoline_kernelINS0_14default_configENS1_27scan_by_key_config_selectorIxxEEZZNS1_16scan_by_key_implILNS1_25lookback_scan_determinismE0ELb0ES3_N6thrust23THRUST_200600_302600_NS6detail15normal_iteratorINS9_10device_ptrIxEEEESE_SE_xNS9_10multipliesIxEENS9_8equal_toIxEExEE10hipError_tPvRmT2_T3_T4_T5_mT6_T7_P12ihipStream_tbENKUlT_T0_E_clISt17integral_constantIbLb1EESZ_EEDaSU_SV_EUlSU_E_NS1_11comp_targetILNS1_3genE10ELNS1_11target_archE1200ELNS1_3gpuE4ELNS1_3repE0EEENS1_30default_config_static_selectorELNS0_4arch9wavefront6targetE1EEEvT1_: ; @_ZN7rocprim17ROCPRIM_400000_NS6detail17trampoline_kernelINS0_14default_configENS1_27scan_by_key_config_selectorIxxEEZZNS1_16scan_by_key_implILNS1_25lookback_scan_determinismE0ELb0ES3_N6thrust23THRUST_200600_302600_NS6detail15normal_iteratorINS9_10device_ptrIxEEEESE_SE_xNS9_10multipliesIxEENS9_8equal_toIxEExEE10hipError_tPvRmT2_T3_T4_T5_mT6_T7_P12ihipStream_tbENKUlT_T0_E_clISt17integral_constantIbLb1EESZ_EEDaSU_SV_EUlSU_E_NS1_11comp_targetILNS1_3genE10ELNS1_11target_archE1200ELNS1_3gpuE4ELNS1_3repE0EEENS1_30default_config_static_selectorELNS0_4arch9wavefront6targetE1EEEvT1_
; %bb.0:
	.section	.rodata,"a",@progbits
	.p2align	6, 0x0
	.amdhsa_kernel _ZN7rocprim17ROCPRIM_400000_NS6detail17trampoline_kernelINS0_14default_configENS1_27scan_by_key_config_selectorIxxEEZZNS1_16scan_by_key_implILNS1_25lookback_scan_determinismE0ELb0ES3_N6thrust23THRUST_200600_302600_NS6detail15normal_iteratorINS9_10device_ptrIxEEEESE_SE_xNS9_10multipliesIxEENS9_8equal_toIxEExEE10hipError_tPvRmT2_T3_T4_T5_mT6_T7_P12ihipStream_tbENKUlT_T0_E_clISt17integral_constantIbLb1EESZ_EEDaSU_SV_EUlSU_E_NS1_11comp_targetILNS1_3genE10ELNS1_11target_archE1200ELNS1_3gpuE4ELNS1_3repE0EEENS1_30default_config_static_selectorELNS0_4arch9wavefront6targetE1EEEvT1_
		.amdhsa_group_segment_fixed_size 0
		.amdhsa_private_segment_fixed_size 0
		.amdhsa_kernarg_size 136
		.amdhsa_user_sgpr_count 6
		.amdhsa_user_sgpr_private_segment_buffer 1
		.amdhsa_user_sgpr_dispatch_ptr 0
		.amdhsa_user_sgpr_queue_ptr 0
		.amdhsa_user_sgpr_kernarg_segment_ptr 1
		.amdhsa_user_sgpr_dispatch_id 0
		.amdhsa_user_sgpr_flat_scratch_init 0
		.amdhsa_user_sgpr_kernarg_preload_length 0
		.amdhsa_user_sgpr_kernarg_preload_offset 0
		.amdhsa_user_sgpr_private_segment_size 0
		.amdhsa_uses_dynamic_stack 0
		.amdhsa_system_sgpr_private_segment_wavefront_offset 0
		.amdhsa_system_sgpr_workgroup_id_x 1
		.amdhsa_system_sgpr_workgroup_id_y 0
		.amdhsa_system_sgpr_workgroup_id_z 0
		.amdhsa_system_sgpr_workgroup_info 0
		.amdhsa_system_vgpr_workitem_id 0
		.amdhsa_next_free_vgpr 1
		.amdhsa_next_free_sgpr 0
		.amdhsa_accum_offset 4
		.amdhsa_reserve_vcc 0
		.amdhsa_reserve_flat_scratch 0
		.amdhsa_float_round_mode_32 0
		.amdhsa_float_round_mode_16_64 0
		.amdhsa_float_denorm_mode_32 3
		.amdhsa_float_denorm_mode_16_64 3
		.amdhsa_dx10_clamp 1
		.amdhsa_ieee_mode 1
		.amdhsa_fp16_overflow 0
		.amdhsa_tg_split 0
		.amdhsa_exception_fp_ieee_invalid_op 0
		.amdhsa_exception_fp_denorm_src 0
		.amdhsa_exception_fp_ieee_div_zero 0
		.amdhsa_exception_fp_ieee_overflow 0
		.amdhsa_exception_fp_ieee_underflow 0
		.amdhsa_exception_fp_ieee_inexact 0
		.amdhsa_exception_int_div_zero 0
	.end_amdhsa_kernel
	.section	.text._ZN7rocprim17ROCPRIM_400000_NS6detail17trampoline_kernelINS0_14default_configENS1_27scan_by_key_config_selectorIxxEEZZNS1_16scan_by_key_implILNS1_25lookback_scan_determinismE0ELb0ES3_N6thrust23THRUST_200600_302600_NS6detail15normal_iteratorINS9_10device_ptrIxEEEESE_SE_xNS9_10multipliesIxEENS9_8equal_toIxEExEE10hipError_tPvRmT2_T3_T4_T5_mT6_T7_P12ihipStream_tbENKUlT_T0_E_clISt17integral_constantIbLb1EESZ_EEDaSU_SV_EUlSU_E_NS1_11comp_targetILNS1_3genE10ELNS1_11target_archE1200ELNS1_3gpuE4ELNS1_3repE0EEENS1_30default_config_static_selectorELNS0_4arch9wavefront6targetE1EEEvT1_,"axG",@progbits,_ZN7rocprim17ROCPRIM_400000_NS6detail17trampoline_kernelINS0_14default_configENS1_27scan_by_key_config_selectorIxxEEZZNS1_16scan_by_key_implILNS1_25lookback_scan_determinismE0ELb0ES3_N6thrust23THRUST_200600_302600_NS6detail15normal_iteratorINS9_10device_ptrIxEEEESE_SE_xNS9_10multipliesIxEENS9_8equal_toIxEExEE10hipError_tPvRmT2_T3_T4_T5_mT6_T7_P12ihipStream_tbENKUlT_T0_E_clISt17integral_constantIbLb1EESZ_EEDaSU_SV_EUlSU_E_NS1_11comp_targetILNS1_3genE10ELNS1_11target_archE1200ELNS1_3gpuE4ELNS1_3repE0EEENS1_30default_config_static_selectorELNS0_4arch9wavefront6targetE1EEEvT1_,comdat
.Lfunc_end62:
	.size	_ZN7rocprim17ROCPRIM_400000_NS6detail17trampoline_kernelINS0_14default_configENS1_27scan_by_key_config_selectorIxxEEZZNS1_16scan_by_key_implILNS1_25lookback_scan_determinismE0ELb0ES3_N6thrust23THRUST_200600_302600_NS6detail15normal_iteratorINS9_10device_ptrIxEEEESE_SE_xNS9_10multipliesIxEENS9_8equal_toIxEExEE10hipError_tPvRmT2_T3_T4_T5_mT6_T7_P12ihipStream_tbENKUlT_T0_E_clISt17integral_constantIbLb1EESZ_EEDaSU_SV_EUlSU_E_NS1_11comp_targetILNS1_3genE10ELNS1_11target_archE1200ELNS1_3gpuE4ELNS1_3repE0EEENS1_30default_config_static_selectorELNS0_4arch9wavefront6targetE1EEEvT1_, .Lfunc_end62-_ZN7rocprim17ROCPRIM_400000_NS6detail17trampoline_kernelINS0_14default_configENS1_27scan_by_key_config_selectorIxxEEZZNS1_16scan_by_key_implILNS1_25lookback_scan_determinismE0ELb0ES3_N6thrust23THRUST_200600_302600_NS6detail15normal_iteratorINS9_10device_ptrIxEEEESE_SE_xNS9_10multipliesIxEENS9_8equal_toIxEExEE10hipError_tPvRmT2_T3_T4_T5_mT6_T7_P12ihipStream_tbENKUlT_T0_E_clISt17integral_constantIbLb1EESZ_EEDaSU_SV_EUlSU_E_NS1_11comp_targetILNS1_3genE10ELNS1_11target_archE1200ELNS1_3gpuE4ELNS1_3repE0EEENS1_30default_config_static_selectorELNS0_4arch9wavefront6targetE1EEEvT1_
                                        ; -- End function
	.section	.AMDGPU.csdata,"",@progbits
; Kernel info:
; codeLenInByte = 0
; NumSgprs: 4
; NumVgprs: 0
; NumAgprs: 0
; TotalNumVgprs: 0
; ScratchSize: 0
; MemoryBound: 0
; FloatMode: 240
; IeeeMode: 1
; LDSByteSize: 0 bytes/workgroup (compile time only)
; SGPRBlocks: 0
; VGPRBlocks: 0
; NumSGPRsForWavesPerEU: 4
; NumVGPRsForWavesPerEU: 1
; AccumOffset: 4
; Occupancy: 8
; WaveLimiterHint : 0
; COMPUTE_PGM_RSRC2:SCRATCH_EN: 0
; COMPUTE_PGM_RSRC2:USER_SGPR: 6
; COMPUTE_PGM_RSRC2:TRAP_HANDLER: 0
; COMPUTE_PGM_RSRC2:TGID_X_EN: 1
; COMPUTE_PGM_RSRC2:TGID_Y_EN: 0
; COMPUTE_PGM_RSRC2:TGID_Z_EN: 0
; COMPUTE_PGM_RSRC2:TIDIG_COMP_CNT: 0
; COMPUTE_PGM_RSRC3_GFX90A:ACCUM_OFFSET: 0
; COMPUTE_PGM_RSRC3_GFX90A:TG_SPLIT: 0
	.section	.text._ZN7rocprim17ROCPRIM_400000_NS6detail17trampoline_kernelINS0_14default_configENS1_27scan_by_key_config_selectorIxxEEZZNS1_16scan_by_key_implILNS1_25lookback_scan_determinismE0ELb0ES3_N6thrust23THRUST_200600_302600_NS6detail15normal_iteratorINS9_10device_ptrIxEEEESE_SE_xNS9_10multipliesIxEENS9_8equal_toIxEExEE10hipError_tPvRmT2_T3_T4_T5_mT6_T7_P12ihipStream_tbENKUlT_T0_E_clISt17integral_constantIbLb1EESZ_EEDaSU_SV_EUlSU_E_NS1_11comp_targetILNS1_3genE9ELNS1_11target_archE1100ELNS1_3gpuE3ELNS1_3repE0EEENS1_30default_config_static_selectorELNS0_4arch9wavefront6targetE1EEEvT1_,"axG",@progbits,_ZN7rocprim17ROCPRIM_400000_NS6detail17trampoline_kernelINS0_14default_configENS1_27scan_by_key_config_selectorIxxEEZZNS1_16scan_by_key_implILNS1_25lookback_scan_determinismE0ELb0ES3_N6thrust23THRUST_200600_302600_NS6detail15normal_iteratorINS9_10device_ptrIxEEEESE_SE_xNS9_10multipliesIxEENS9_8equal_toIxEExEE10hipError_tPvRmT2_T3_T4_T5_mT6_T7_P12ihipStream_tbENKUlT_T0_E_clISt17integral_constantIbLb1EESZ_EEDaSU_SV_EUlSU_E_NS1_11comp_targetILNS1_3genE9ELNS1_11target_archE1100ELNS1_3gpuE3ELNS1_3repE0EEENS1_30default_config_static_selectorELNS0_4arch9wavefront6targetE1EEEvT1_,comdat
	.protected	_ZN7rocprim17ROCPRIM_400000_NS6detail17trampoline_kernelINS0_14default_configENS1_27scan_by_key_config_selectorIxxEEZZNS1_16scan_by_key_implILNS1_25lookback_scan_determinismE0ELb0ES3_N6thrust23THRUST_200600_302600_NS6detail15normal_iteratorINS9_10device_ptrIxEEEESE_SE_xNS9_10multipliesIxEENS9_8equal_toIxEExEE10hipError_tPvRmT2_T3_T4_T5_mT6_T7_P12ihipStream_tbENKUlT_T0_E_clISt17integral_constantIbLb1EESZ_EEDaSU_SV_EUlSU_E_NS1_11comp_targetILNS1_3genE9ELNS1_11target_archE1100ELNS1_3gpuE3ELNS1_3repE0EEENS1_30default_config_static_selectorELNS0_4arch9wavefront6targetE1EEEvT1_ ; -- Begin function _ZN7rocprim17ROCPRIM_400000_NS6detail17trampoline_kernelINS0_14default_configENS1_27scan_by_key_config_selectorIxxEEZZNS1_16scan_by_key_implILNS1_25lookback_scan_determinismE0ELb0ES3_N6thrust23THRUST_200600_302600_NS6detail15normal_iteratorINS9_10device_ptrIxEEEESE_SE_xNS9_10multipliesIxEENS9_8equal_toIxEExEE10hipError_tPvRmT2_T3_T4_T5_mT6_T7_P12ihipStream_tbENKUlT_T0_E_clISt17integral_constantIbLb1EESZ_EEDaSU_SV_EUlSU_E_NS1_11comp_targetILNS1_3genE9ELNS1_11target_archE1100ELNS1_3gpuE3ELNS1_3repE0EEENS1_30default_config_static_selectorELNS0_4arch9wavefront6targetE1EEEvT1_
	.globl	_ZN7rocprim17ROCPRIM_400000_NS6detail17trampoline_kernelINS0_14default_configENS1_27scan_by_key_config_selectorIxxEEZZNS1_16scan_by_key_implILNS1_25lookback_scan_determinismE0ELb0ES3_N6thrust23THRUST_200600_302600_NS6detail15normal_iteratorINS9_10device_ptrIxEEEESE_SE_xNS9_10multipliesIxEENS9_8equal_toIxEExEE10hipError_tPvRmT2_T3_T4_T5_mT6_T7_P12ihipStream_tbENKUlT_T0_E_clISt17integral_constantIbLb1EESZ_EEDaSU_SV_EUlSU_E_NS1_11comp_targetILNS1_3genE9ELNS1_11target_archE1100ELNS1_3gpuE3ELNS1_3repE0EEENS1_30default_config_static_selectorELNS0_4arch9wavefront6targetE1EEEvT1_
	.p2align	8
	.type	_ZN7rocprim17ROCPRIM_400000_NS6detail17trampoline_kernelINS0_14default_configENS1_27scan_by_key_config_selectorIxxEEZZNS1_16scan_by_key_implILNS1_25lookback_scan_determinismE0ELb0ES3_N6thrust23THRUST_200600_302600_NS6detail15normal_iteratorINS9_10device_ptrIxEEEESE_SE_xNS9_10multipliesIxEENS9_8equal_toIxEExEE10hipError_tPvRmT2_T3_T4_T5_mT6_T7_P12ihipStream_tbENKUlT_T0_E_clISt17integral_constantIbLb1EESZ_EEDaSU_SV_EUlSU_E_NS1_11comp_targetILNS1_3genE9ELNS1_11target_archE1100ELNS1_3gpuE3ELNS1_3repE0EEENS1_30default_config_static_selectorELNS0_4arch9wavefront6targetE1EEEvT1_,@function
_ZN7rocprim17ROCPRIM_400000_NS6detail17trampoline_kernelINS0_14default_configENS1_27scan_by_key_config_selectorIxxEEZZNS1_16scan_by_key_implILNS1_25lookback_scan_determinismE0ELb0ES3_N6thrust23THRUST_200600_302600_NS6detail15normal_iteratorINS9_10device_ptrIxEEEESE_SE_xNS9_10multipliesIxEENS9_8equal_toIxEExEE10hipError_tPvRmT2_T3_T4_T5_mT6_T7_P12ihipStream_tbENKUlT_T0_E_clISt17integral_constantIbLb1EESZ_EEDaSU_SV_EUlSU_E_NS1_11comp_targetILNS1_3genE9ELNS1_11target_archE1100ELNS1_3gpuE3ELNS1_3repE0EEENS1_30default_config_static_selectorELNS0_4arch9wavefront6targetE1EEEvT1_: ; @_ZN7rocprim17ROCPRIM_400000_NS6detail17trampoline_kernelINS0_14default_configENS1_27scan_by_key_config_selectorIxxEEZZNS1_16scan_by_key_implILNS1_25lookback_scan_determinismE0ELb0ES3_N6thrust23THRUST_200600_302600_NS6detail15normal_iteratorINS9_10device_ptrIxEEEESE_SE_xNS9_10multipliesIxEENS9_8equal_toIxEExEE10hipError_tPvRmT2_T3_T4_T5_mT6_T7_P12ihipStream_tbENKUlT_T0_E_clISt17integral_constantIbLb1EESZ_EEDaSU_SV_EUlSU_E_NS1_11comp_targetILNS1_3genE9ELNS1_11target_archE1100ELNS1_3gpuE3ELNS1_3repE0EEENS1_30default_config_static_selectorELNS0_4arch9wavefront6targetE1EEEvT1_
; %bb.0:
	.section	.rodata,"a",@progbits
	.p2align	6, 0x0
	.amdhsa_kernel _ZN7rocprim17ROCPRIM_400000_NS6detail17trampoline_kernelINS0_14default_configENS1_27scan_by_key_config_selectorIxxEEZZNS1_16scan_by_key_implILNS1_25lookback_scan_determinismE0ELb0ES3_N6thrust23THRUST_200600_302600_NS6detail15normal_iteratorINS9_10device_ptrIxEEEESE_SE_xNS9_10multipliesIxEENS9_8equal_toIxEExEE10hipError_tPvRmT2_T3_T4_T5_mT6_T7_P12ihipStream_tbENKUlT_T0_E_clISt17integral_constantIbLb1EESZ_EEDaSU_SV_EUlSU_E_NS1_11comp_targetILNS1_3genE9ELNS1_11target_archE1100ELNS1_3gpuE3ELNS1_3repE0EEENS1_30default_config_static_selectorELNS0_4arch9wavefront6targetE1EEEvT1_
		.amdhsa_group_segment_fixed_size 0
		.amdhsa_private_segment_fixed_size 0
		.amdhsa_kernarg_size 136
		.amdhsa_user_sgpr_count 6
		.amdhsa_user_sgpr_private_segment_buffer 1
		.amdhsa_user_sgpr_dispatch_ptr 0
		.amdhsa_user_sgpr_queue_ptr 0
		.amdhsa_user_sgpr_kernarg_segment_ptr 1
		.amdhsa_user_sgpr_dispatch_id 0
		.amdhsa_user_sgpr_flat_scratch_init 0
		.amdhsa_user_sgpr_kernarg_preload_length 0
		.amdhsa_user_sgpr_kernarg_preload_offset 0
		.amdhsa_user_sgpr_private_segment_size 0
		.amdhsa_uses_dynamic_stack 0
		.amdhsa_system_sgpr_private_segment_wavefront_offset 0
		.amdhsa_system_sgpr_workgroup_id_x 1
		.amdhsa_system_sgpr_workgroup_id_y 0
		.amdhsa_system_sgpr_workgroup_id_z 0
		.amdhsa_system_sgpr_workgroup_info 0
		.amdhsa_system_vgpr_workitem_id 0
		.amdhsa_next_free_vgpr 1
		.amdhsa_next_free_sgpr 0
		.amdhsa_accum_offset 4
		.amdhsa_reserve_vcc 0
		.amdhsa_reserve_flat_scratch 0
		.amdhsa_float_round_mode_32 0
		.amdhsa_float_round_mode_16_64 0
		.amdhsa_float_denorm_mode_32 3
		.amdhsa_float_denorm_mode_16_64 3
		.amdhsa_dx10_clamp 1
		.amdhsa_ieee_mode 1
		.amdhsa_fp16_overflow 0
		.amdhsa_tg_split 0
		.amdhsa_exception_fp_ieee_invalid_op 0
		.amdhsa_exception_fp_denorm_src 0
		.amdhsa_exception_fp_ieee_div_zero 0
		.amdhsa_exception_fp_ieee_overflow 0
		.amdhsa_exception_fp_ieee_underflow 0
		.amdhsa_exception_fp_ieee_inexact 0
		.amdhsa_exception_int_div_zero 0
	.end_amdhsa_kernel
	.section	.text._ZN7rocprim17ROCPRIM_400000_NS6detail17trampoline_kernelINS0_14default_configENS1_27scan_by_key_config_selectorIxxEEZZNS1_16scan_by_key_implILNS1_25lookback_scan_determinismE0ELb0ES3_N6thrust23THRUST_200600_302600_NS6detail15normal_iteratorINS9_10device_ptrIxEEEESE_SE_xNS9_10multipliesIxEENS9_8equal_toIxEExEE10hipError_tPvRmT2_T3_T4_T5_mT6_T7_P12ihipStream_tbENKUlT_T0_E_clISt17integral_constantIbLb1EESZ_EEDaSU_SV_EUlSU_E_NS1_11comp_targetILNS1_3genE9ELNS1_11target_archE1100ELNS1_3gpuE3ELNS1_3repE0EEENS1_30default_config_static_selectorELNS0_4arch9wavefront6targetE1EEEvT1_,"axG",@progbits,_ZN7rocprim17ROCPRIM_400000_NS6detail17trampoline_kernelINS0_14default_configENS1_27scan_by_key_config_selectorIxxEEZZNS1_16scan_by_key_implILNS1_25lookback_scan_determinismE0ELb0ES3_N6thrust23THRUST_200600_302600_NS6detail15normal_iteratorINS9_10device_ptrIxEEEESE_SE_xNS9_10multipliesIxEENS9_8equal_toIxEExEE10hipError_tPvRmT2_T3_T4_T5_mT6_T7_P12ihipStream_tbENKUlT_T0_E_clISt17integral_constantIbLb1EESZ_EEDaSU_SV_EUlSU_E_NS1_11comp_targetILNS1_3genE9ELNS1_11target_archE1100ELNS1_3gpuE3ELNS1_3repE0EEENS1_30default_config_static_selectorELNS0_4arch9wavefront6targetE1EEEvT1_,comdat
.Lfunc_end63:
	.size	_ZN7rocprim17ROCPRIM_400000_NS6detail17trampoline_kernelINS0_14default_configENS1_27scan_by_key_config_selectorIxxEEZZNS1_16scan_by_key_implILNS1_25lookback_scan_determinismE0ELb0ES3_N6thrust23THRUST_200600_302600_NS6detail15normal_iteratorINS9_10device_ptrIxEEEESE_SE_xNS9_10multipliesIxEENS9_8equal_toIxEExEE10hipError_tPvRmT2_T3_T4_T5_mT6_T7_P12ihipStream_tbENKUlT_T0_E_clISt17integral_constantIbLb1EESZ_EEDaSU_SV_EUlSU_E_NS1_11comp_targetILNS1_3genE9ELNS1_11target_archE1100ELNS1_3gpuE3ELNS1_3repE0EEENS1_30default_config_static_selectorELNS0_4arch9wavefront6targetE1EEEvT1_, .Lfunc_end63-_ZN7rocprim17ROCPRIM_400000_NS6detail17trampoline_kernelINS0_14default_configENS1_27scan_by_key_config_selectorIxxEEZZNS1_16scan_by_key_implILNS1_25lookback_scan_determinismE0ELb0ES3_N6thrust23THRUST_200600_302600_NS6detail15normal_iteratorINS9_10device_ptrIxEEEESE_SE_xNS9_10multipliesIxEENS9_8equal_toIxEExEE10hipError_tPvRmT2_T3_T4_T5_mT6_T7_P12ihipStream_tbENKUlT_T0_E_clISt17integral_constantIbLb1EESZ_EEDaSU_SV_EUlSU_E_NS1_11comp_targetILNS1_3genE9ELNS1_11target_archE1100ELNS1_3gpuE3ELNS1_3repE0EEENS1_30default_config_static_selectorELNS0_4arch9wavefront6targetE1EEEvT1_
                                        ; -- End function
	.section	.AMDGPU.csdata,"",@progbits
; Kernel info:
; codeLenInByte = 0
; NumSgprs: 4
; NumVgprs: 0
; NumAgprs: 0
; TotalNumVgprs: 0
; ScratchSize: 0
; MemoryBound: 0
; FloatMode: 240
; IeeeMode: 1
; LDSByteSize: 0 bytes/workgroup (compile time only)
; SGPRBlocks: 0
; VGPRBlocks: 0
; NumSGPRsForWavesPerEU: 4
; NumVGPRsForWavesPerEU: 1
; AccumOffset: 4
; Occupancy: 8
; WaveLimiterHint : 0
; COMPUTE_PGM_RSRC2:SCRATCH_EN: 0
; COMPUTE_PGM_RSRC2:USER_SGPR: 6
; COMPUTE_PGM_RSRC2:TRAP_HANDLER: 0
; COMPUTE_PGM_RSRC2:TGID_X_EN: 1
; COMPUTE_PGM_RSRC2:TGID_Y_EN: 0
; COMPUTE_PGM_RSRC2:TGID_Z_EN: 0
; COMPUTE_PGM_RSRC2:TIDIG_COMP_CNT: 0
; COMPUTE_PGM_RSRC3_GFX90A:ACCUM_OFFSET: 0
; COMPUTE_PGM_RSRC3_GFX90A:TG_SPLIT: 0
	.section	.text._ZN7rocprim17ROCPRIM_400000_NS6detail17trampoline_kernelINS0_14default_configENS1_27scan_by_key_config_selectorIxxEEZZNS1_16scan_by_key_implILNS1_25lookback_scan_determinismE0ELb0ES3_N6thrust23THRUST_200600_302600_NS6detail15normal_iteratorINS9_10device_ptrIxEEEESE_SE_xNS9_10multipliesIxEENS9_8equal_toIxEExEE10hipError_tPvRmT2_T3_T4_T5_mT6_T7_P12ihipStream_tbENKUlT_T0_E_clISt17integral_constantIbLb1EESZ_EEDaSU_SV_EUlSU_E_NS1_11comp_targetILNS1_3genE8ELNS1_11target_archE1030ELNS1_3gpuE2ELNS1_3repE0EEENS1_30default_config_static_selectorELNS0_4arch9wavefront6targetE1EEEvT1_,"axG",@progbits,_ZN7rocprim17ROCPRIM_400000_NS6detail17trampoline_kernelINS0_14default_configENS1_27scan_by_key_config_selectorIxxEEZZNS1_16scan_by_key_implILNS1_25lookback_scan_determinismE0ELb0ES3_N6thrust23THRUST_200600_302600_NS6detail15normal_iteratorINS9_10device_ptrIxEEEESE_SE_xNS9_10multipliesIxEENS9_8equal_toIxEExEE10hipError_tPvRmT2_T3_T4_T5_mT6_T7_P12ihipStream_tbENKUlT_T0_E_clISt17integral_constantIbLb1EESZ_EEDaSU_SV_EUlSU_E_NS1_11comp_targetILNS1_3genE8ELNS1_11target_archE1030ELNS1_3gpuE2ELNS1_3repE0EEENS1_30default_config_static_selectorELNS0_4arch9wavefront6targetE1EEEvT1_,comdat
	.protected	_ZN7rocprim17ROCPRIM_400000_NS6detail17trampoline_kernelINS0_14default_configENS1_27scan_by_key_config_selectorIxxEEZZNS1_16scan_by_key_implILNS1_25lookback_scan_determinismE0ELb0ES3_N6thrust23THRUST_200600_302600_NS6detail15normal_iteratorINS9_10device_ptrIxEEEESE_SE_xNS9_10multipliesIxEENS9_8equal_toIxEExEE10hipError_tPvRmT2_T3_T4_T5_mT6_T7_P12ihipStream_tbENKUlT_T0_E_clISt17integral_constantIbLb1EESZ_EEDaSU_SV_EUlSU_E_NS1_11comp_targetILNS1_3genE8ELNS1_11target_archE1030ELNS1_3gpuE2ELNS1_3repE0EEENS1_30default_config_static_selectorELNS0_4arch9wavefront6targetE1EEEvT1_ ; -- Begin function _ZN7rocprim17ROCPRIM_400000_NS6detail17trampoline_kernelINS0_14default_configENS1_27scan_by_key_config_selectorIxxEEZZNS1_16scan_by_key_implILNS1_25lookback_scan_determinismE0ELb0ES3_N6thrust23THRUST_200600_302600_NS6detail15normal_iteratorINS9_10device_ptrIxEEEESE_SE_xNS9_10multipliesIxEENS9_8equal_toIxEExEE10hipError_tPvRmT2_T3_T4_T5_mT6_T7_P12ihipStream_tbENKUlT_T0_E_clISt17integral_constantIbLb1EESZ_EEDaSU_SV_EUlSU_E_NS1_11comp_targetILNS1_3genE8ELNS1_11target_archE1030ELNS1_3gpuE2ELNS1_3repE0EEENS1_30default_config_static_selectorELNS0_4arch9wavefront6targetE1EEEvT1_
	.globl	_ZN7rocprim17ROCPRIM_400000_NS6detail17trampoline_kernelINS0_14default_configENS1_27scan_by_key_config_selectorIxxEEZZNS1_16scan_by_key_implILNS1_25lookback_scan_determinismE0ELb0ES3_N6thrust23THRUST_200600_302600_NS6detail15normal_iteratorINS9_10device_ptrIxEEEESE_SE_xNS9_10multipliesIxEENS9_8equal_toIxEExEE10hipError_tPvRmT2_T3_T4_T5_mT6_T7_P12ihipStream_tbENKUlT_T0_E_clISt17integral_constantIbLb1EESZ_EEDaSU_SV_EUlSU_E_NS1_11comp_targetILNS1_3genE8ELNS1_11target_archE1030ELNS1_3gpuE2ELNS1_3repE0EEENS1_30default_config_static_selectorELNS0_4arch9wavefront6targetE1EEEvT1_
	.p2align	8
	.type	_ZN7rocprim17ROCPRIM_400000_NS6detail17trampoline_kernelINS0_14default_configENS1_27scan_by_key_config_selectorIxxEEZZNS1_16scan_by_key_implILNS1_25lookback_scan_determinismE0ELb0ES3_N6thrust23THRUST_200600_302600_NS6detail15normal_iteratorINS9_10device_ptrIxEEEESE_SE_xNS9_10multipliesIxEENS9_8equal_toIxEExEE10hipError_tPvRmT2_T3_T4_T5_mT6_T7_P12ihipStream_tbENKUlT_T0_E_clISt17integral_constantIbLb1EESZ_EEDaSU_SV_EUlSU_E_NS1_11comp_targetILNS1_3genE8ELNS1_11target_archE1030ELNS1_3gpuE2ELNS1_3repE0EEENS1_30default_config_static_selectorELNS0_4arch9wavefront6targetE1EEEvT1_,@function
_ZN7rocprim17ROCPRIM_400000_NS6detail17trampoline_kernelINS0_14default_configENS1_27scan_by_key_config_selectorIxxEEZZNS1_16scan_by_key_implILNS1_25lookback_scan_determinismE0ELb0ES3_N6thrust23THRUST_200600_302600_NS6detail15normal_iteratorINS9_10device_ptrIxEEEESE_SE_xNS9_10multipliesIxEENS9_8equal_toIxEExEE10hipError_tPvRmT2_T3_T4_T5_mT6_T7_P12ihipStream_tbENKUlT_T0_E_clISt17integral_constantIbLb1EESZ_EEDaSU_SV_EUlSU_E_NS1_11comp_targetILNS1_3genE8ELNS1_11target_archE1030ELNS1_3gpuE2ELNS1_3repE0EEENS1_30default_config_static_selectorELNS0_4arch9wavefront6targetE1EEEvT1_: ; @_ZN7rocprim17ROCPRIM_400000_NS6detail17trampoline_kernelINS0_14default_configENS1_27scan_by_key_config_selectorIxxEEZZNS1_16scan_by_key_implILNS1_25lookback_scan_determinismE0ELb0ES3_N6thrust23THRUST_200600_302600_NS6detail15normal_iteratorINS9_10device_ptrIxEEEESE_SE_xNS9_10multipliesIxEENS9_8equal_toIxEExEE10hipError_tPvRmT2_T3_T4_T5_mT6_T7_P12ihipStream_tbENKUlT_T0_E_clISt17integral_constantIbLb1EESZ_EEDaSU_SV_EUlSU_E_NS1_11comp_targetILNS1_3genE8ELNS1_11target_archE1030ELNS1_3gpuE2ELNS1_3repE0EEENS1_30default_config_static_selectorELNS0_4arch9wavefront6targetE1EEEvT1_
; %bb.0:
	.section	.rodata,"a",@progbits
	.p2align	6, 0x0
	.amdhsa_kernel _ZN7rocprim17ROCPRIM_400000_NS6detail17trampoline_kernelINS0_14default_configENS1_27scan_by_key_config_selectorIxxEEZZNS1_16scan_by_key_implILNS1_25lookback_scan_determinismE0ELb0ES3_N6thrust23THRUST_200600_302600_NS6detail15normal_iteratorINS9_10device_ptrIxEEEESE_SE_xNS9_10multipliesIxEENS9_8equal_toIxEExEE10hipError_tPvRmT2_T3_T4_T5_mT6_T7_P12ihipStream_tbENKUlT_T0_E_clISt17integral_constantIbLb1EESZ_EEDaSU_SV_EUlSU_E_NS1_11comp_targetILNS1_3genE8ELNS1_11target_archE1030ELNS1_3gpuE2ELNS1_3repE0EEENS1_30default_config_static_selectorELNS0_4arch9wavefront6targetE1EEEvT1_
		.amdhsa_group_segment_fixed_size 0
		.amdhsa_private_segment_fixed_size 0
		.amdhsa_kernarg_size 136
		.amdhsa_user_sgpr_count 6
		.amdhsa_user_sgpr_private_segment_buffer 1
		.amdhsa_user_sgpr_dispatch_ptr 0
		.amdhsa_user_sgpr_queue_ptr 0
		.amdhsa_user_sgpr_kernarg_segment_ptr 1
		.amdhsa_user_sgpr_dispatch_id 0
		.amdhsa_user_sgpr_flat_scratch_init 0
		.amdhsa_user_sgpr_kernarg_preload_length 0
		.amdhsa_user_sgpr_kernarg_preload_offset 0
		.amdhsa_user_sgpr_private_segment_size 0
		.amdhsa_uses_dynamic_stack 0
		.amdhsa_system_sgpr_private_segment_wavefront_offset 0
		.amdhsa_system_sgpr_workgroup_id_x 1
		.amdhsa_system_sgpr_workgroup_id_y 0
		.amdhsa_system_sgpr_workgroup_id_z 0
		.amdhsa_system_sgpr_workgroup_info 0
		.amdhsa_system_vgpr_workitem_id 0
		.amdhsa_next_free_vgpr 1
		.amdhsa_next_free_sgpr 0
		.amdhsa_accum_offset 4
		.amdhsa_reserve_vcc 0
		.amdhsa_reserve_flat_scratch 0
		.amdhsa_float_round_mode_32 0
		.amdhsa_float_round_mode_16_64 0
		.amdhsa_float_denorm_mode_32 3
		.amdhsa_float_denorm_mode_16_64 3
		.amdhsa_dx10_clamp 1
		.amdhsa_ieee_mode 1
		.amdhsa_fp16_overflow 0
		.amdhsa_tg_split 0
		.amdhsa_exception_fp_ieee_invalid_op 0
		.amdhsa_exception_fp_denorm_src 0
		.amdhsa_exception_fp_ieee_div_zero 0
		.amdhsa_exception_fp_ieee_overflow 0
		.amdhsa_exception_fp_ieee_underflow 0
		.amdhsa_exception_fp_ieee_inexact 0
		.amdhsa_exception_int_div_zero 0
	.end_amdhsa_kernel
	.section	.text._ZN7rocprim17ROCPRIM_400000_NS6detail17trampoline_kernelINS0_14default_configENS1_27scan_by_key_config_selectorIxxEEZZNS1_16scan_by_key_implILNS1_25lookback_scan_determinismE0ELb0ES3_N6thrust23THRUST_200600_302600_NS6detail15normal_iteratorINS9_10device_ptrIxEEEESE_SE_xNS9_10multipliesIxEENS9_8equal_toIxEExEE10hipError_tPvRmT2_T3_T4_T5_mT6_T7_P12ihipStream_tbENKUlT_T0_E_clISt17integral_constantIbLb1EESZ_EEDaSU_SV_EUlSU_E_NS1_11comp_targetILNS1_3genE8ELNS1_11target_archE1030ELNS1_3gpuE2ELNS1_3repE0EEENS1_30default_config_static_selectorELNS0_4arch9wavefront6targetE1EEEvT1_,"axG",@progbits,_ZN7rocprim17ROCPRIM_400000_NS6detail17trampoline_kernelINS0_14default_configENS1_27scan_by_key_config_selectorIxxEEZZNS1_16scan_by_key_implILNS1_25lookback_scan_determinismE0ELb0ES3_N6thrust23THRUST_200600_302600_NS6detail15normal_iteratorINS9_10device_ptrIxEEEESE_SE_xNS9_10multipliesIxEENS9_8equal_toIxEExEE10hipError_tPvRmT2_T3_T4_T5_mT6_T7_P12ihipStream_tbENKUlT_T0_E_clISt17integral_constantIbLb1EESZ_EEDaSU_SV_EUlSU_E_NS1_11comp_targetILNS1_3genE8ELNS1_11target_archE1030ELNS1_3gpuE2ELNS1_3repE0EEENS1_30default_config_static_selectorELNS0_4arch9wavefront6targetE1EEEvT1_,comdat
.Lfunc_end64:
	.size	_ZN7rocprim17ROCPRIM_400000_NS6detail17trampoline_kernelINS0_14default_configENS1_27scan_by_key_config_selectorIxxEEZZNS1_16scan_by_key_implILNS1_25lookback_scan_determinismE0ELb0ES3_N6thrust23THRUST_200600_302600_NS6detail15normal_iteratorINS9_10device_ptrIxEEEESE_SE_xNS9_10multipliesIxEENS9_8equal_toIxEExEE10hipError_tPvRmT2_T3_T4_T5_mT6_T7_P12ihipStream_tbENKUlT_T0_E_clISt17integral_constantIbLb1EESZ_EEDaSU_SV_EUlSU_E_NS1_11comp_targetILNS1_3genE8ELNS1_11target_archE1030ELNS1_3gpuE2ELNS1_3repE0EEENS1_30default_config_static_selectorELNS0_4arch9wavefront6targetE1EEEvT1_, .Lfunc_end64-_ZN7rocprim17ROCPRIM_400000_NS6detail17trampoline_kernelINS0_14default_configENS1_27scan_by_key_config_selectorIxxEEZZNS1_16scan_by_key_implILNS1_25lookback_scan_determinismE0ELb0ES3_N6thrust23THRUST_200600_302600_NS6detail15normal_iteratorINS9_10device_ptrIxEEEESE_SE_xNS9_10multipliesIxEENS9_8equal_toIxEExEE10hipError_tPvRmT2_T3_T4_T5_mT6_T7_P12ihipStream_tbENKUlT_T0_E_clISt17integral_constantIbLb1EESZ_EEDaSU_SV_EUlSU_E_NS1_11comp_targetILNS1_3genE8ELNS1_11target_archE1030ELNS1_3gpuE2ELNS1_3repE0EEENS1_30default_config_static_selectorELNS0_4arch9wavefront6targetE1EEEvT1_
                                        ; -- End function
	.section	.AMDGPU.csdata,"",@progbits
; Kernel info:
; codeLenInByte = 0
; NumSgprs: 4
; NumVgprs: 0
; NumAgprs: 0
; TotalNumVgprs: 0
; ScratchSize: 0
; MemoryBound: 0
; FloatMode: 240
; IeeeMode: 1
; LDSByteSize: 0 bytes/workgroup (compile time only)
; SGPRBlocks: 0
; VGPRBlocks: 0
; NumSGPRsForWavesPerEU: 4
; NumVGPRsForWavesPerEU: 1
; AccumOffset: 4
; Occupancy: 8
; WaveLimiterHint : 0
; COMPUTE_PGM_RSRC2:SCRATCH_EN: 0
; COMPUTE_PGM_RSRC2:USER_SGPR: 6
; COMPUTE_PGM_RSRC2:TRAP_HANDLER: 0
; COMPUTE_PGM_RSRC2:TGID_X_EN: 1
; COMPUTE_PGM_RSRC2:TGID_Y_EN: 0
; COMPUTE_PGM_RSRC2:TGID_Z_EN: 0
; COMPUTE_PGM_RSRC2:TIDIG_COMP_CNT: 0
; COMPUTE_PGM_RSRC3_GFX90A:ACCUM_OFFSET: 0
; COMPUTE_PGM_RSRC3_GFX90A:TG_SPLIT: 0
	.section	.text._ZN7rocprim17ROCPRIM_400000_NS6detail17trampoline_kernelINS0_14default_configENS1_27scan_by_key_config_selectorIxxEEZZNS1_16scan_by_key_implILNS1_25lookback_scan_determinismE0ELb0ES3_N6thrust23THRUST_200600_302600_NS6detail15normal_iteratorINS9_10device_ptrIxEEEESE_SE_xNS9_10multipliesIxEENS9_8equal_toIxEExEE10hipError_tPvRmT2_T3_T4_T5_mT6_T7_P12ihipStream_tbENKUlT_T0_E_clISt17integral_constantIbLb1EESY_IbLb0EEEEDaSU_SV_EUlSU_E_NS1_11comp_targetILNS1_3genE0ELNS1_11target_archE4294967295ELNS1_3gpuE0ELNS1_3repE0EEENS1_30default_config_static_selectorELNS0_4arch9wavefront6targetE1EEEvT1_,"axG",@progbits,_ZN7rocprim17ROCPRIM_400000_NS6detail17trampoline_kernelINS0_14default_configENS1_27scan_by_key_config_selectorIxxEEZZNS1_16scan_by_key_implILNS1_25lookback_scan_determinismE0ELb0ES3_N6thrust23THRUST_200600_302600_NS6detail15normal_iteratorINS9_10device_ptrIxEEEESE_SE_xNS9_10multipliesIxEENS9_8equal_toIxEExEE10hipError_tPvRmT2_T3_T4_T5_mT6_T7_P12ihipStream_tbENKUlT_T0_E_clISt17integral_constantIbLb1EESY_IbLb0EEEEDaSU_SV_EUlSU_E_NS1_11comp_targetILNS1_3genE0ELNS1_11target_archE4294967295ELNS1_3gpuE0ELNS1_3repE0EEENS1_30default_config_static_selectorELNS0_4arch9wavefront6targetE1EEEvT1_,comdat
	.protected	_ZN7rocprim17ROCPRIM_400000_NS6detail17trampoline_kernelINS0_14default_configENS1_27scan_by_key_config_selectorIxxEEZZNS1_16scan_by_key_implILNS1_25lookback_scan_determinismE0ELb0ES3_N6thrust23THRUST_200600_302600_NS6detail15normal_iteratorINS9_10device_ptrIxEEEESE_SE_xNS9_10multipliesIxEENS9_8equal_toIxEExEE10hipError_tPvRmT2_T3_T4_T5_mT6_T7_P12ihipStream_tbENKUlT_T0_E_clISt17integral_constantIbLb1EESY_IbLb0EEEEDaSU_SV_EUlSU_E_NS1_11comp_targetILNS1_3genE0ELNS1_11target_archE4294967295ELNS1_3gpuE0ELNS1_3repE0EEENS1_30default_config_static_selectorELNS0_4arch9wavefront6targetE1EEEvT1_ ; -- Begin function _ZN7rocprim17ROCPRIM_400000_NS6detail17trampoline_kernelINS0_14default_configENS1_27scan_by_key_config_selectorIxxEEZZNS1_16scan_by_key_implILNS1_25lookback_scan_determinismE0ELb0ES3_N6thrust23THRUST_200600_302600_NS6detail15normal_iteratorINS9_10device_ptrIxEEEESE_SE_xNS9_10multipliesIxEENS9_8equal_toIxEExEE10hipError_tPvRmT2_T3_T4_T5_mT6_T7_P12ihipStream_tbENKUlT_T0_E_clISt17integral_constantIbLb1EESY_IbLb0EEEEDaSU_SV_EUlSU_E_NS1_11comp_targetILNS1_3genE0ELNS1_11target_archE4294967295ELNS1_3gpuE0ELNS1_3repE0EEENS1_30default_config_static_selectorELNS0_4arch9wavefront6targetE1EEEvT1_
	.globl	_ZN7rocprim17ROCPRIM_400000_NS6detail17trampoline_kernelINS0_14default_configENS1_27scan_by_key_config_selectorIxxEEZZNS1_16scan_by_key_implILNS1_25lookback_scan_determinismE0ELb0ES3_N6thrust23THRUST_200600_302600_NS6detail15normal_iteratorINS9_10device_ptrIxEEEESE_SE_xNS9_10multipliesIxEENS9_8equal_toIxEExEE10hipError_tPvRmT2_T3_T4_T5_mT6_T7_P12ihipStream_tbENKUlT_T0_E_clISt17integral_constantIbLb1EESY_IbLb0EEEEDaSU_SV_EUlSU_E_NS1_11comp_targetILNS1_3genE0ELNS1_11target_archE4294967295ELNS1_3gpuE0ELNS1_3repE0EEENS1_30default_config_static_selectorELNS0_4arch9wavefront6targetE1EEEvT1_
	.p2align	8
	.type	_ZN7rocprim17ROCPRIM_400000_NS6detail17trampoline_kernelINS0_14default_configENS1_27scan_by_key_config_selectorIxxEEZZNS1_16scan_by_key_implILNS1_25lookback_scan_determinismE0ELb0ES3_N6thrust23THRUST_200600_302600_NS6detail15normal_iteratorINS9_10device_ptrIxEEEESE_SE_xNS9_10multipliesIxEENS9_8equal_toIxEExEE10hipError_tPvRmT2_T3_T4_T5_mT6_T7_P12ihipStream_tbENKUlT_T0_E_clISt17integral_constantIbLb1EESY_IbLb0EEEEDaSU_SV_EUlSU_E_NS1_11comp_targetILNS1_3genE0ELNS1_11target_archE4294967295ELNS1_3gpuE0ELNS1_3repE0EEENS1_30default_config_static_selectorELNS0_4arch9wavefront6targetE1EEEvT1_,@function
_ZN7rocprim17ROCPRIM_400000_NS6detail17trampoline_kernelINS0_14default_configENS1_27scan_by_key_config_selectorIxxEEZZNS1_16scan_by_key_implILNS1_25lookback_scan_determinismE0ELb0ES3_N6thrust23THRUST_200600_302600_NS6detail15normal_iteratorINS9_10device_ptrIxEEEESE_SE_xNS9_10multipliesIxEENS9_8equal_toIxEExEE10hipError_tPvRmT2_T3_T4_T5_mT6_T7_P12ihipStream_tbENKUlT_T0_E_clISt17integral_constantIbLb1EESY_IbLb0EEEEDaSU_SV_EUlSU_E_NS1_11comp_targetILNS1_3genE0ELNS1_11target_archE4294967295ELNS1_3gpuE0ELNS1_3repE0EEENS1_30default_config_static_selectorELNS0_4arch9wavefront6targetE1EEEvT1_: ; @_ZN7rocprim17ROCPRIM_400000_NS6detail17trampoline_kernelINS0_14default_configENS1_27scan_by_key_config_selectorIxxEEZZNS1_16scan_by_key_implILNS1_25lookback_scan_determinismE0ELb0ES3_N6thrust23THRUST_200600_302600_NS6detail15normal_iteratorINS9_10device_ptrIxEEEESE_SE_xNS9_10multipliesIxEENS9_8equal_toIxEExEE10hipError_tPvRmT2_T3_T4_T5_mT6_T7_P12ihipStream_tbENKUlT_T0_E_clISt17integral_constantIbLb1EESY_IbLb0EEEEDaSU_SV_EUlSU_E_NS1_11comp_targetILNS1_3genE0ELNS1_11target_archE4294967295ELNS1_3gpuE0ELNS1_3repE0EEENS1_30default_config_static_selectorELNS0_4arch9wavefront6targetE1EEEvT1_
; %bb.0:
	.section	.rodata,"a",@progbits
	.p2align	6, 0x0
	.amdhsa_kernel _ZN7rocprim17ROCPRIM_400000_NS6detail17trampoline_kernelINS0_14default_configENS1_27scan_by_key_config_selectorIxxEEZZNS1_16scan_by_key_implILNS1_25lookback_scan_determinismE0ELb0ES3_N6thrust23THRUST_200600_302600_NS6detail15normal_iteratorINS9_10device_ptrIxEEEESE_SE_xNS9_10multipliesIxEENS9_8equal_toIxEExEE10hipError_tPvRmT2_T3_T4_T5_mT6_T7_P12ihipStream_tbENKUlT_T0_E_clISt17integral_constantIbLb1EESY_IbLb0EEEEDaSU_SV_EUlSU_E_NS1_11comp_targetILNS1_3genE0ELNS1_11target_archE4294967295ELNS1_3gpuE0ELNS1_3repE0EEENS1_30default_config_static_selectorELNS0_4arch9wavefront6targetE1EEEvT1_
		.amdhsa_group_segment_fixed_size 0
		.amdhsa_private_segment_fixed_size 0
		.amdhsa_kernarg_size 136
		.amdhsa_user_sgpr_count 6
		.amdhsa_user_sgpr_private_segment_buffer 1
		.amdhsa_user_sgpr_dispatch_ptr 0
		.amdhsa_user_sgpr_queue_ptr 0
		.amdhsa_user_sgpr_kernarg_segment_ptr 1
		.amdhsa_user_sgpr_dispatch_id 0
		.amdhsa_user_sgpr_flat_scratch_init 0
		.amdhsa_user_sgpr_kernarg_preload_length 0
		.amdhsa_user_sgpr_kernarg_preload_offset 0
		.amdhsa_user_sgpr_private_segment_size 0
		.amdhsa_uses_dynamic_stack 0
		.amdhsa_system_sgpr_private_segment_wavefront_offset 0
		.amdhsa_system_sgpr_workgroup_id_x 1
		.amdhsa_system_sgpr_workgroup_id_y 0
		.amdhsa_system_sgpr_workgroup_id_z 0
		.amdhsa_system_sgpr_workgroup_info 0
		.amdhsa_system_vgpr_workitem_id 0
		.amdhsa_next_free_vgpr 1
		.amdhsa_next_free_sgpr 0
		.amdhsa_accum_offset 4
		.amdhsa_reserve_vcc 0
		.amdhsa_reserve_flat_scratch 0
		.amdhsa_float_round_mode_32 0
		.amdhsa_float_round_mode_16_64 0
		.amdhsa_float_denorm_mode_32 3
		.amdhsa_float_denorm_mode_16_64 3
		.amdhsa_dx10_clamp 1
		.amdhsa_ieee_mode 1
		.amdhsa_fp16_overflow 0
		.amdhsa_tg_split 0
		.amdhsa_exception_fp_ieee_invalid_op 0
		.amdhsa_exception_fp_denorm_src 0
		.amdhsa_exception_fp_ieee_div_zero 0
		.amdhsa_exception_fp_ieee_overflow 0
		.amdhsa_exception_fp_ieee_underflow 0
		.amdhsa_exception_fp_ieee_inexact 0
		.amdhsa_exception_int_div_zero 0
	.end_amdhsa_kernel
	.section	.text._ZN7rocprim17ROCPRIM_400000_NS6detail17trampoline_kernelINS0_14default_configENS1_27scan_by_key_config_selectorIxxEEZZNS1_16scan_by_key_implILNS1_25lookback_scan_determinismE0ELb0ES3_N6thrust23THRUST_200600_302600_NS6detail15normal_iteratorINS9_10device_ptrIxEEEESE_SE_xNS9_10multipliesIxEENS9_8equal_toIxEExEE10hipError_tPvRmT2_T3_T4_T5_mT6_T7_P12ihipStream_tbENKUlT_T0_E_clISt17integral_constantIbLb1EESY_IbLb0EEEEDaSU_SV_EUlSU_E_NS1_11comp_targetILNS1_3genE0ELNS1_11target_archE4294967295ELNS1_3gpuE0ELNS1_3repE0EEENS1_30default_config_static_selectorELNS0_4arch9wavefront6targetE1EEEvT1_,"axG",@progbits,_ZN7rocprim17ROCPRIM_400000_NS6detail17trampoline_kernelINS0_14default_configENS1_27scan_by_key_config_selectorIxxEEZZNS1_16scan_by_key_implILNS1_25lookback_scan_determinismE0ELb0ES3_N6thrust23THRUST_200600_302600_NS6detail15normal_iteratorINS9_10device_ptrIxEEEESE_SE_xNS9_10multipliesIxEENS9_8equal_toIxEExEE10hipError_tPvRmT2_T3_T4_T5_mT6_T7_P12ihipStream_tbENKUlT_T0_E_clISt17integral_constantIbLb1EESY_IbLb0EEEEDaSU_SV_EUlSU_E_NS1_11comp_targetILNS1_3genE0ELNS1_11target_archE4294967295ELNS1_3gpuE0ELNS1_3repE0EEENS1_30default_config_static_selectorELNS0_4arch9wavefront6targetE1EEEvT1_,comdat
.Lfunc_end65:
	.size	_ZN7rocprim17ROCPRIM_400000_NS6detail17trampoline_kernelINS0_14default_configENS1_27scan_by_key_config_selectorIxxEEZZNS1_16scan_by_key_implILNS1_25lookback_scan_determinismE0ELb0ES3_N6thrust23THRUST_200600_302600_NS6detail15normal_iteratorINS9_10device_ptrIxEEEESE_SE_xNS9_10multipliesIxEENS9_8equal_toIxEExEE10hipError_tPvRmT2_T3_T4_T5_mT6_T7_P12ihipStream_tbENKUlT_T0_E_clISt17integral_constantIbLb1EESY_IbLb0EEEEDaSU_SV_EUlSU_E_NS1_11comp_targetILNS1_3genE0ELNS1_11target_archE4294967295ELNS1_3gpuE0ELNS1_3repE0EEENS1_30default_config_static_selectorELNS0_4arch9wavefront6targetE1EEEvT1_, .Lfunc_end65-_ZN7rocprim17ROCPRIM_400000_NS6detail17trampoline_kernelINS0_14default_configENS1_27scan_by_key_config_selectorIxxEEZZNS1_16scan_by_key_implILNS1_25lookback_scan_determinismE0ELb0ES3_N6thrust23THRUST_200600_302600_NS6detail15normal_iteratorINS9_10device_ptrIxEEEESE_SE_xNS9_10multipliesIxEENS9_8equal_toIxEExEE10hipError_tPvRmT2_T3_T4_T5_mT6_T7_P12ihipStream_tbENKUlT_T0_E_clISt17integral_constantIbLb1EESY_IbLb0EEEEDaSU_SV_EUlSU_E_NS1_11comp_targetILNS1_3genE0ELNS1_11target_archE4294967295ELNS1_3gpuE0ELNS1_3repE0EEENS1_30default_config_static_selectorELNS0_4arch9wavefront6targetE1EEEvT1_
                                        ; -- End function
	.section	.AMDGPU.csdata,"",@progbits
; Kernel info:
; codeLenInByte = 0
; NumSgprs: 4
; NumVgprs: 0
; NumAgprs: 0
; TotalNumVgprs: 0
; ScratchSize: 0
; MemoryBound: 0
; FloatMode: 240
; IeeeMode: 1
; LDSByteSize: 0 bytes/workgroup (compile time only)
; SGPRBlocks: 0
; VGPRBlocks: 0
; NumSGPRsForWavesPerEU: 4
; NumVGPRsForWavesPerEU: 1
; AccumOffset: 4
; Occupancy: 8
; WaveLimiterHint : 0
; COMPUTE_PGM_RSRC2:SCRATCH_EN: 0
; COMPUTE_PGM_RSRC2:USER_SGPR: 6
; COMPUTE_PGM_RSRC2:TRAP_HANDLER: 0
; COMPUTE_PGM_RSRC2:TGID_X_EN: 1
; COMPUTE_PGM_RSRC2:TGID_Y_EN: 0
; COMPUTE_PGM_RSRC2:TGID_Z_EN: 0
; COMPUTE_PGM_RSRC2:TIDIG_COMP_CNT: 0
; COMPUTE_PGM_RSRC3_GFX90A:ACCUM_OFFSET: 0
; COMPUTE_PGM_RSRC3_GFX90A:TG_SPLIT: 0
	.section	.text._ZN7rocprim17ROCPRIM_400000_NS6detail17trampoline_kernelINS0_14default_configENS1_27scan_by_key_config_selectorIxxEEZZNS1_16scan_by_key_implILNS1_25lookback_scan_determinismE0ELb0ES3_N6thrust23THRUST_200600_302600_NS6detail15normal_iteratorINS9_10device_ptrIxEEEESE_SE_xNS9_10multipliesIxEENS9_8equal_toIxEExEE10hipError_tPvRmT2_T3_T4_T5_mT6_T7_P12ihipStream_tbENKUlT_T0_E_clISt17integral_constantIbLb1EESY_IbLb0EEEEDaSU_SV_EUlSU_E_NS1_11comp_targetILNS1_3genE10ELNS1_11target_archE1201ELNS1_3gpuE5ELNS1_3repE0EEENS1_30default_config_static_selectorELNS0_4arch9wavefront6targetE1EEEvT1_,"axG",@progbits,_ZN7rocprim17ROCPRIM_400000_NS6detail17trampoline_kernelINS0_14default_configENS1_27scan_by_key_config_selectorIxxEEZZNS1_16scan_by_key_implILNS1_25lookback_scan_determinismE0ELb0ES3_N6thrust23THRUST_200600_302600_NS6detail15normal_iteratorINS9_10device_ptrIxEEEESE_SE_xNS9_10multipliesIxEENS9_8equal_toIxEExEE10hipError_tPvRmT2_T3_T4_T5_mT6_T7_P12ihipStream_tbENKUlT_T0_E_clISt17integral_constantIbLb1EESY_IbLb0EEEEDaSU_SV_EUlSU_E_NS1_11comp_targetILNS1_3genE10ELNS1_11target_archE1201ELNS1_3gpuE5ELNS1_3repE0EEENS1_30default_config_static_selectorELNS0_4arch9wavefront6targetE1EEEvT1_,comdat
	.protected	_ZN7rocprim17ROCPRIM_400000_NS6detail17trampoline_kernelINS0_14default_configENS1_27scan_by_key_config_selectorIxxEEZZNS1_16scan_by_key_implILNS1_25lookback_scan_determinismE0ELb0ES3_N6thrust23THRUST_200600_302600_NS6detail15normal_iteratorINS9_10device_ptrIxEEEESE_SE_xNS9_10multipliesIxEENS9_8equal_toIxEExEE10hipError_tPvRmT2_T3_T4_T5_mT6_T7_P12ihipStream_tbENKUlT_T0_E_clISt17integral_constantIbLb1EESY_IbLb0EEEEDaSU_SV_EUlSU_E_NS1_11comp_targetILNS1_3genE10ELNS1_11target_archE1201ELNS1_3gpuE5ELNS1_3repE0EEENS1_30default_config_static_selectorELNS0_4arch9wavefront6targetE1EEEvT1_ ; -- Begin function _ZN7rocprim17ROCPRIM_400000_NS6detail17trampoline_kernelINS0_14default_configENS1_27scan_by_key_config_selectorIxxEEZZNS1_16scan_by_key_implILNS1_25lookback_scan_determinismE0ELb0ES3_N6thrust23THRUST_200600_302600_NS6detail15normal_iteratorINS9_10device_ptrIxEEEESE_SE_xNS9_10multipliesIxEENS9_8equal_toIxEExEE10hipError_tPvRmT2_T3_T4_T5_mT6_T7_P12ihipStream_tbENKUlT_T0_E_clISt17integral_constantIbLb1EESY_IbLb0EEEEDaSU_SV_EUlSU_E_NS1_11comp_targetILNS1_3genE10ELNS1_11target_archE1201ELNS1_3gpuE5ELNS1_3repE0EEENS1_30default_config_static_selectorELNS0_4arch9wavefront6targetE1EEEvT1_
	.globl	_ZN7rocprim17ROCPRIM_400000_NS6detail17trampoline_kernelINS0_14default_configENS1_27scan_by_key_config_selectorIxxEEZZNS1_16scan_by_key_implILNS1_25lookback_scan_determinismE0ELb0ES3_N6thrust23THRUST_200600_302600_NS6detail15normal_iteratorINS9_10device_ptrIxEEEESE_SE_xNS9_10multipliesIxEENS9_8equal_toIxEExEE10hipError_tPvRmT2_T3_T4_T5_mT6_T7_P12ihipStream_tbENKUlT_T0_E_clISt17integral_constantIbLb1EESY_IbLb0EEEEDaSU_SV_EUlSU_E_NS1_11comp_targetILNS1_3genE10ELNS1_11target_archE1201ELNS1_3gpuE5ELNS1_3repE0EEENS1_30default_config_static_selectorELNS0_4arch9wavefront6targetE1EEEvT1_
	.p2align	8
	.type	_ZN7rocprim17ROCPRIM_400000_NS6detail17trampoline_kernelINS0_14default_configENS1_27scan_by_key_config_selectorIxxEEZZNS1_16scan_by_key_implILNS1_25lookback_scan_determinismE0ELb0ES3_N6thrust23THRUST_200600_302600_NS6detail15normal_iteratorINS9_10device_ptrIxEEEESE_SE_xNS9_10multipliesIxEENS9_8equal_toIxEExEE10hipError_tPvRmT2_T3_T4_T5_mT6_T7_P12ihipStream_tbENKUlT_T0_E_clISt17integral_constantIbLb1EESY_IbLb0EEEEDaSU_SV_EUlSU_E_NS1_11comp_targetILNS1_3genE10ELNS1_11target_archE1201ELNS1_3gpuE5ELNS1_3repE0EEENS1_30default_config_static_selectorELNS0_4arch9wavefront6targetE1EEEvT1_,@function
_ZN7rocprim17ROCPRIM_400000_NS6detail17trampoline_kernelINS0_14default_configENS1_27scan_by_key_config_selectorIxxEEZZNS1_16scan_by_key_implILNS1_25lookback_scan_determinismE0ELb0ES3_N6thrust23THRUST_200600_302600_NS6detail15normal_iteratorINS9_10device_ptrIxEEEESE_SE_xNS9_10multipliesIxEENS9_8equal_toIxEExEE10hipError_tPvRmT2_T3_T4_T5_mT6_T7_P12ihipStream_tbENKUlT_T0_E_clISt17integral_constantIbLb1EESY_IbLb0EEEEDaSU_SV_EUlSU_E_NS1_11comp_targetILNS1_3genE10ELNS1_11target_archE1201ELNS1_3gpuE5ELNS1_3repE0EEENS1_30default_config_static_selectorELNS0_4arch9wavefront6targetE1EEEvT1_: ; @_ZN7rocprim17ROCPRIM_400000_NS6detail17trampoline_kernelINS0_14default_configENS1_27scan_by_key_config_selectorIxxEEZZNS1_16scan_by_key_implILNS1_25lookback_scan_determinismE0ELb0ES3_N6thrust23THRUST_200600_302600_NS6detail15normal_iteratorINS9_10device_ptrIxEEEESE_SE_xNS9_10multipliesIxEENS9_8equal_toIxEExEE10hipError_tPvRmT2_T3_T4_T5_mT6_T7_P12ihipStream_tbENKUlT_T0_E_clISt17integral_constantIbLb1EESY_IbLb0EEEEDaSU_SV_EUlSU_E_NS1_11comp_targetILNS1_3genE10ELNS1_11target_archE1201ELNS1_3gpuE5ELNS1_3repE0EEENS1_30default_config_static_selectorELNS0_4arch9wavefront6targetE1EEEvT1_
; %bb.0:
	.section	.rodata,"a",@progbits
	.p2align	6, 0x0
	.amdhsa_kernel _ZN7rocprim17ROCPRIM_400000_NS6detail17trampoline_kernelINS0_14default_configENS1_27scan_by_key_config_selectorIxxEEZZNS1_16scan_by_key_implILNS1_25lookback_scan_determinismE0ELb0ES3_N6thrust23THRUST_200600_302600_NS6detail15normal_iteratorINS9_10device_ptrIxEEEESE_SE_xNS9_10multipliesIxEENS9_8equal_toIxEExEE10hipError_tPvRmT2_T3_T4_T5_mT6_T7_P12ihipStream_tbENKUlT_T0_E_clISt17integral_constantIbLb1EESY_IbLb0EEEEDaSU_SV_EUlSU_E_NS1_11comp_targetILNS1_3genE10ELNS1_11target_archE1201ELNS1_3gpuE5ELNS1_3repE0EEENS1_30default_config_static_selectorELNS0_4arch9wavefront6targetE1EEEvT1_
		.amdhsa_group_segment_fixed_size 0
		.amdhsa_private_segment_fixed_size 0
		.amdhsa_kernarg_size 136
		.amdhsa_user_sgpr_count 6
		.amdhsa_user_sgpr_private_segment_buffer 1
		.amdhsa_user_sgpr_dispatch_ptr 0
		.amdhsa_user_sgpr_queue_ptr 0
		.amdhsa_user_sgpr_kernarg_segment_ptr 1
		.amdhsa_user_sgpr_dispatch_id 0
		.amdhsa_user_sgpr_flat_scratch_init 0
		.amdhsa_user_sgpr_kernarg_preload_length 0
		.amdhsa_user_sgpr_kernarg_preload_offset 0
		.amdhsa_user_sgpr_private_segment_size 0
		.amdhsa_uses_dynamic_stack 0
		.amdhsa_system_sgpr_private_segment_wavefront_offset 0
		.amdhsa_system_sgpr_workgroup_id_x 1
		.amdhsa_system_sgpr_workgroup_id_y 0
		.amdhsa_system_sgpr_workgroup_id_z 0
		.amdhsa_system_sgpr_workgroup_info 0
		.amdhsa_system_vgpr_workitem_id 0
		.amdhsa_next_free_vgpr 1
		.amdhsa_next_free_sgpr 0
		.amdhsa_accum_offset 4
		.amdhsa_reserve_vcc 0
		.amdhsa_reserve_flat_scratch 0
		.amdhsa_float_round_mode_32 0
		.amdhsa_float_round_mode_16_64 0
		.amdhsa_float_denorm_mode_32 3
		.amdhsa_float_denorm_mode_16_64 3
		.amdhsa_dx10_clamp 1
		.amdhsa_ieee_mode 1
		.amdhsa_fp16_overflow 0
		.amdhsa_tg_split 0
		.amdhsa_exception_fp_ieee_invalid_op 0
		.amdhsa_exception_fp_denorm_src 0
		.amdhsa_exception_fp_ieee_div_zero 0
		.amdhsa_exception_fp_ieee_overflow 0
		.amdhsa_exception_fp_ieee_underflow 0
		.amdhsa_exception_fp_ieee_inexact 0
		.amdhsa_exception_int_div_zero 0
	.end_amdhsa_kernel
	.section	.text._ZN7rocprim17ROCPRIM_400000_NS6detail17trampoline_kernelINS0_14default_configENS1_27scan_by_key_config_selectorIxxEEZZNS1_16scan_by_key_implILNS1_25lookback_scan_determinismE0ELb0ES3_N6thrust23THRUST_200600_302600_NS6detail15normal_iteratorINS9_10device_ptrIxEEEESE_SE_xNS9_10multipliesIxEENS9_8equal_toIxEExEE10hipError_tPvRmT2_T3_T4_T5_mT6_T7_P12ihipStream_tbENKUlT_T0_E_clISt17integral_constantIbLb1EESY_IbLb0EEEEDaSU_SV_EUlSU_E_NS1_11comp_targetILNS1_3genE10ELNS1_11target_archE1201ELNS1_3gpuE5ELNS1_3repE0EEENS1_30default_config_static_selectorELNS0_4arch9wavefront6targetE1EEEvT1_,"axG",@progbits,_ZN7rocprim17ROCPRIM_400000_NS6detail17trampoline_kernelINS0_14default_configENS1_27scan_by_key_config_selectorIxxEEZZNS1_16scan_by_key_implILNS1_25lookback_scan_determinismE0ELb0ES3_N6thrust23THRUST_200600_302600_NS6detail15normal_iteratorINS9_10device_ptrIxEEEESE_SE_xNS9_10multipliesIxEENS9_8equal_toIxEExEE10hipError_tPvRmT2_T3_T4_T5_mT6_T7_P12ihipStream_tbENKUlT_T0_E_clISt17integral_constantIbLb1EESY_IbLb0EEEEDaSU_SV_EUlSU_E_NS1_11comp_targetILNS1_3genE10ELNS1_11target_archE1201ELNS1_3gpuE5ELNS1_3repE0EEENS1_30default_config_static_selectorELNS0_4arch9wavefront6targetE1EEEvT1_,comdat
.Lfunc_end66:
	.size	_ZN7rocprim17ROCPRIM_400000_NS6detail17trampoline_kernelINS0_14default_configENS1_27scan_by_key_config_selectorIxxEEZZNS1_16scan_by_key_implILNS1_25lookback_scan_determinismE0ELb0ES3_N6thrust23THRUST_200600_302600_NS6detail15normal_iteratorINS9_10device_ptrIxEEEESE_SE_xNS9_10multipliesIxEENS9_8equal_toIxEExEE10hipError_tPvRmT2_T3_T4_T5_mT6_T7_P12ihipStream_tbENKUlT_T0_E_clISt17integral_constantIbLb1EESY_IbLb0EEEEDaSU_SV_EUlSU_E_NS1_11comp_targetILNS1_3genE10ELNS1_11target_archE1201ELNS1_3gpuE5ELNS1_3repE0EEENS1_30default_config_static_selectorELNS0_4arch9wavefront6targetE1EEEvT1_, .Lfunc_end66-_ZN7rocprim17ROCPRIM_400000_NS6detail17trampoline_kernelINS0_14default_configENS1_27scan_by_key_config_selectorIxxEEZZNS1_16scan_by_key_implILNS1_25lookback_scan_determinismE0ELb0ES3_N6thrust23THRUST_200600_302600_NS6detail15normal_iteratorINS9_10device_ptrIxEEEESE_SE_xNS9_10multipliesIxEENS9_8equal_toIxEExEE10hipError_tPvRmT2_T3_T4_T5_mT6_T7_P12ihipStream_tbENKUlT_T0_E_clISt17integral_constantIbLb1EESY_IbLb0EEEEDaSU_SV_EUlSU_E_NS1_11comp_targetILNS1_3genE10ELNS1_11target_archE1201ELNS1_3gpuE5ELNS1_3repE0EEENS1_30default_config_static_selectorELNS0_4arch9wavefront6targetE1EEEvT1_
                                        ; -- End function
	.section	.AMDGPU.csdata,"",@progbits
; Kernel info:
; codeLenInByte = 0
; NumSgprs: 4
; NumVgprs: 0
; NumAgprs: 0
; TotalNumVgprs: 0
; ScratchSize: 0
; MemoryBound: 0
; FloatMode: 240
; IeeeMode: 1
; LDSByteSize: 0 bytes/workgroup (compile time only)
; SGPRBlocks: 0
; VGPRBlocks: 0
; NumSGPRsForWavesPerEU: 4
; NumVGPRsForWavesPerEU: 1
; AccumOffset: 4
; Occupancy: 8
; WaveLimiterHint : 0
; COMPUTE_PGM_RSRC2:SCRATCH_EN: 0
; COMPUTE_PGM_RSRC2:USER_SGPR: 6
; COMPUTE_PGM_RSRC2:TRAP_HANDLER: 0
; COMPUTE_PGM_RSRC2:TGID_X_EN: 1
; COMPUTE_PGM_RSRC2:TGID_Y_EN: 0
; COMPUTE_PGM_RSRC2:TGID_Z_EN: 0
; COMPUTE_PGM_RSRC2:TIDIG_COMP_CNT: 0
; COMPUTE_PGM_RSRC3_GFX90A:ACCUM_OFFSET: 0
; COMPUTE_PGM_RSRC3_GFX90A:TG_SPLIT: 0
	.section	.text._ZN7rocprim17ROCPRIM_400000_NS6detail17trampoline_kernelINS0_14default_configENS1_27scan_by_key_config_selectorIxxEEZZNS1_16scan_by_key_implILNS1_25lookback_scan_determinismE0ELb0ES3_N6thrust23THRUST_200600_302600_NS6detail15normal_iteratorINS9_10device_ptrIxEEEESE_SE_xNS9_10multipliesIxEENS9_8equal_toIxEExEE10hipError_tPvRmT2_T3_T4_T5_mT6_T7_P12ihipStream_tbENKUlT_T0_E_clISt17integral_constantIbLb1EESY_IbLb0EEEEDaSU_SV_EUlSU_E_NS1_11comp_targetILNS1_3genE5ELNS1_11target_archE942ELNS1_3gpuE9ELNS1_3repE0EEENS1_30default_config_static_selectorELNS0_4arch9wavefront6targetE1EEEvT1_,"axG",@progbits,_ZN7rocprim17ROCPRIM_400000_NS6detail17trampoline_kernelINS0_14default_configENS1_27scan_by_key_config_selectorIxxEEZZNS1_16scan_by_key_implILNS1_25lookback_scan_determinismE0ELb0ES3_N6thrust23THRUST_200600_302600_NS6detail15normal_iteratorINS9_10device_ptrIxEEEESE_SE_xNS9_10multipliesIxEENS9_8equal_toIxEExEE10hipError_tPvRmT2_T3_T4_T5_mT6_T7_P12ihipStream_tbENKUlT_T0_E_clISt17integral_constantIbLb1EESY_IbLb0EEEEDaSU_SV_EUlSU_E_NS1_11comp_targetILNS1_3genE5ELNS1_11target_archE942ELNS1_3gpuE9ELNS1_3repE0EEENS1_30default_config_static_selectorELNS0_4arch9wavefront6targetE1EEEvT1_,comdat
	.protected	_ZN7rocprim17ROCPRIM_400000_NS6detail17trampoline_kernelINS0_14default_configENS1_27scan_by_key_config_selectorIxxEEZZNS1_16scan_by_key_implILNS1_25lookback_scan_determinismE0ELb0ES3_N6thrust23THRUST_200600_302600_NS6detail15normal_iteratorINS9_10device_ptrIxEEEESE_SE_xNS9_10multipliesIxEENS9_8equal_toIxEExEE10hipError_tPvRmT2_T3_T4_T5_mT6_T7_P12ihipStream_tbENKUlT_T0_E_clISt17integral_constantIbLb1EESY_IbLb0EEEEDaSU_SV_EUlSU_E_NS1_11comp_targetILNS1_3genE5ELNS1_11target_archE942ELNS1_3gpuE9ELNS1_3repE0EEENS1_30default_config_static_selectorELNS0_4arch9wavefront6targetE1EEEvT1_ ; -- Begin function _ZN7rocprim17ROCPRIM_400000_NS6detail17trampoline_kernelINS0_14default_configENS1_27scan_by_key_config_selectorIxxEEZZNS1_16scan_by_key_implILNS1_25lookback_scan_determinismE0ELb0ES3_N6thrust23THRUST_200600_302600_NS6detail15normal_iteratorINS9_10device_ptrIxEEEESE_SE_xNS9_10multipliesIxEENS9_8equal_toIxEExEE10hipError_tPvRmT2_T3_T4_T5_mT6_T7_P12ihipStream_tbENKUlT_T0_E_clISt17integral_constantIbLb1EESY_IbLb0EEEEDaSU_SV_EUlSU_E_NS1_11comp_targetILNS1_3genE5ELNS1_11target_archE942ELNS1_3gpuE9ELNS1_3repE0EEENS1_30default_config_static_selectorELNS0_4arch9wavefront6targetE1EEEvT1_
	.globl	_ZN7rocprim17ROCPRIM_400000_NS6detail17trampoline_kernelINS0_14default_configENS1_27scan_by_key_config_selectorIxxEEZZNS1_16scan_by_key_implILNS1_25lookback_scan_determinismE0ELb0ES3_N6thrust23THRUST_200600_302600_NS6detail15normal_iteratorINS9_10device_ptrIxEEEESE_SE_xNS9_10multipliesIxEENS9_8equal_toIxEExEE10hipError_tPvRmT2_T3_T4_T5_mT6_T7_P12ihipStream_tbENKUlT_T0_E_clISt17integral_constantIbLb1EESY_IbLb0EEEEDaSU_SV_EUlSU_E_NS1_11comp_targetILNS1_3genE5ELNS1_11target_archE942ELNS1_3gpuE9ELNS1_3repE0EEENS1_30default_config_static_selectorELNS0_4arch9wavefront6targetE1EEEvT1_
	.p2align	8
	.type	_ZN7rocprim17ROCPRIM_400000_NS6detail17trampoline_kernelINS0_14default_configENS1_27scan_by_key_config_selectorIxxEEZZNS1_16scan_by_key_implILNS1_25lookback_scan_determinismE0ELb0ES3_N6thrust23THRUST_200600_302600_NS6detail15normal_iteratorINS9_10device_ptrIxEEEESE_SE_xNS9_10multipliesIxEENS9_8equal_toIxEExEE10hipError_tPvRmT2_T3_T4_T5_mT6_T7_P12ihipStream_tbENKUlT_T0_E_clISt17integral_constantIbLb1EESY_IbLb0EEEEDaSU_SV_EUlSU_E_NS1_11comp_targetILNS1_3genE5ELNS1_11target_archE942ELNS1_3gpuE9ELNS1_3repE0EEENS1_30default_config_static_selectorELNS0_4arch9wavefront6targetE1EEEvT1_,@function
_ZN7rocprim17ROCPRIM_400000_NS6detail17trampoline_kernelINS0_14default_configENS1_27scan_by_key_config_selectorIxxEEZZNS1_16scan_by_key_implILNS1_25lookback_scan_determinismE0ELb0ES3_N6thrust23THRUST_200600_302600_NS6detail15normal_iteratorINS9_10device_ptrIxEEEESE_SE_xNS9_10multipliesIxEENS9_8equal_toIxEExEE10hipError_tPvRmT2_T3_T4_T5_mT6_T7_P12ihipStream_tbENKUlT_T0_E_clISt17integral_constantIbLb1EESY_IbLb0EEEEDaSU_SV_EUlSU_E_NS1_11comp_targetILNS1_3genE5ELNS1_11target_archE942ELNS1_3gpuE9ELNS1_3repE0EEENS1_30default_config_static_selectorELNS0_4arch9wavefront6targetE1EEEvT1_: ; @_ZN7rocprim17ROCPRIM_400000_NS6detail17trampoline_kernelINS0_14default_configENS1_27scan_by_key_config_selectorIxxEEZZNS1_16scan_by_key_implILNS1_25lookback_scan_determinismE0ELb0ES3_N6thrust23THRUST_200600_302600_NS6detail15normal_iteratorINS9_10device_ptrIxEEEESE_SE_xNS9_10multipliesIxEENS9_8equal_toIxEExEE10hipError_tPvRmT2_T3_T4_T5_mT6_T7_P12ihipStream_tbENKUlT_T0_E_clISt17integral_constantIbLb1EESY_IbLb0EEEEDaSU_SV_EUlSU_E_NS1_11comp_targetILNS1_3genE5ELNS1_11target_archE942ELNS1_3gpuE9ELNS1_3repE0EEENS1_30default_config_static_selectorELNS0_4arch9wavefront6targetE1EEEvT1_
; %bb.0:
	.section	.rodata,"a",@progbits
	.p2align	6, 0x0
	.amdhsa_kernel _ZN7rocprim17ROCPRIM_400000_NS6detail17trampoline_kernelINS0_14default_configENS1_27scan_by_key_config_selectorIxxEEZZNS1_16scan_by_key_implILNS1_25lookback_scan_determinismE0ELb0ES3_N6thrust23THRUST_200600_302600_NS6detail15normal_iteratorINS9_10device_ptrIxEEEESE_SE_xNS9_10multipliesIxEENS9_8equal_toIxEExEE10hipError_tPvRmT2_T3_T4_T5_mT6_T7_P12ihipStream_tbENKUlT_T0_E_clISt17integral_constantIbLb1EESY_IbLb0EEEEDaSU_SV_EUlSU_E_NS1_11comp_targetILNS1_3genE5ELNS1_11target_archE942ELNS1_3gpuE9ELNS1_3repE0EEENS1_30default_config_static_selectorELNS0_4arch9wavefront6targetE1EEEvT1_
		.amdhsa_group_segment_fixed_size 0
		.amdhsa_private_segment_fixed_size 0
		.amdhsa_kernarg_size 136
		.amdhsa_user_sgpr_count 6
		.amdhsa_user_sgpr_private_segment_buffer 1
		.amdhsa_user_sgpr_dispatch_ptr 0
		.amdhsa_user_sgpr_queue_ptr 0
		.amdhsa_user_sgpr_kernarg_segment_ptr 1
		.amdhsa_user_sgpr_dispatch_id 0
		.amdhsa_user_sgpr_flat_scratch_init 0
		.amdhsa_user_sgpr_kernarg_preload_length 0
		.amdhsa_user_sgpr_kernarg_preload_offset 0
		.amdhsa_user_sgpr_private_segment_size 0
		.amdhsa_uses_dynamic_stack 0
		.amdhsa_system_sgpr_private_segment_wavefront_offset 0
		.amdhsa_system_sgpr_workgroup_id_x 1
		.amdhsa_system_sgpr_workgroup_id_y 0
		.amdhsa_system_sgpr_workgroup_id_z 0
		.amdhsa_system_sgpr_workgroup_info 0
		.amdhsa_system_vgpr_workitem_id 0
		.amdhsa_next_free_vgpr 1
		.amdhsa_next_free_sgpr 0
		.amdhsa_accum_offset 4
		.amdhsa_reserve_vcc 0
		.amdhsa_reserve_flat_scratch 0
		.amdhsa_float_round_mode_32 0
		.amdhsa_float_round_mode_16_64 0
		.amdhsa_float_denorm_mode_32 3
		.amdhsa_float_denorm_mode_16_64 3
		.amdhsa_dx10_clamp 1
		.amdhsa_ieee_mode 1
		.amdhsa_fp16_overflow 0
		.amdhsa_tg_split 0
		.amdhsa_exception_fp_ieee_invalid_op 0
		.amdhsa_exception_fp_denorm_src 0
		.amdhsa_exception_fp_ieee_div_zero 0
		.amdhsa_exception_fp_ieee_overflow 0
		.amdhsa_exception_fp_ieee_underflow 0
		.amdhsa_exception_fp_ieee_inexact 0
		.amdhsa_exception_int_div_zero 0
	.end_amdhsa_kernel
	.section	.text._ZN7rocprim17ROCPRIM_400000_NS6detail17trampoline_kernelINS0_14default_configENS1_27scan_by_key_config_selectorIxxEEZZNS1_16scan_by_key_implILNS1_25lookback_scan_determinismE0ELb0ES3_N6thrust23THRUST_200600_302600_NS6detail15normal_iteratorINS9_10device_ptrIxEEEESE_SE_xNS9_10multipliesIxEENS9_8equal_toIxEExEE10hipError_tPvRmT2_T3_T4_T5_mT6_T7_P12ihipStream_tbENKUlT_T0_E_clISt17integral_constantIbLb1EESY_IbLb0EEEEDaSU_SV_EUlSU_E_NS1_11comp_targetILNS1_3genE5ELNS1_11target_archE942ELNS1_3gpuE9ELNS1_3repE0EEENS1_30default_config_static_selectorELNS0_4arch9wavefront6targetE1EEEvT1_,"axG",@progbits,_ZN7rocprim17ROCPRIM_400000_NS6detail17trampoline_kernelINS0_14default_configENS1_27scan_by_key_config_selectorIxxEEZZNS1_16scan_by_key_implILNS1_25lookback_scan_determinismE0ELb0ES3_N6thrust23THRUST_200600_302600_NS6detail15normal_iteratorINS9_10device_ptrIxEEEESE_SE_xNS9_10multipliesIxEENS9_8equal_toIxEExEE10hipError_tPvRmT2_T3_T4_T5_mT6_T7_P12ihipStream_tbENKUlT_T0_E_clISt17integral_constantIbLb1EESY_IbLb0EEEEDaSU_SV_EUlSU_E_NS1_11comp_targetILNS1_3genE5ELNS1_11target_archE942ELNS1_3gpuE9ELNS1_3repE0EEENS1_30default_config_static_selectorELNS0_4arch9wavefront6targetE1EEEvT1_,comdat
.Lfunc_end67:
	.size	_ZN7rocprim17ROCPRIM_400000_NS6detail17trampoline_kernelINS0_14default_configENS1_27scan_by_key_config_selectorIxxEEZZNS1_16scan_by_key_implILNS1_25lookback_scan_determinismE0ELb0ES3_N6thrust23THRUST_200600_302600_NS6detail15normal_iteratorINS9_10device_ptrIxEEEESE_SE_xNS9_10multipliesIxEENS9_8equal_toIxEExEE10hipError_tPvRmT2_T3_T4_T5_mT6_T7_P12ihipStream_tbENKUlT_T0_E_clISt17integral_constantIbLb1EESY_IbLb0EEEEDaSU_SV_EUlSU_E_NS1_11comp_targetILNS1_3genE5ELNS1_11target_archE942ELNS1_3gpuE9ELNS1_3repE0EEENS1_30default_config_static_selectorELNS0_4arch9wavefront6targetE1EEEvT1_, .Lfunc_end67-_ZN7rocprim17ROCPRIM_400000_NS6detail17trampoline_kernelINS0_14default_configENS1_27scan_by_key_config_selectorIxxEEZZNS1_16scan_by_key_implILNS1_25lookback_scan_determinismE0ELb0ES3_N6thrust23THRUST_200600_302600_NS6detail15normal_iteratorINS9_10device_ptrIxEEEESE_SE_xNS9_10multipliesIxEENS9_8equal_toIxEExEE10hipError_tPvRmT2_T3_T4_T5_mT6_T7_P12ihipStream_tbENKUlT_T0_E_clISt17integral_constantIbLb1EESY_IbLb0EEEEDaSU_SV_EUlSU_E_NS1_11comp_targetILNS1_3genE5ELNS1_11target_archE942ELNS1_3gpuE9ELNS1_3repE0EEENS1_30default_config_static_selectorELNS0_4arch9wavefront6targetE1EEEvT1_
                                        ; -- End function
	.section	.AMDGPU.csdata,"",@progbits
; Kernel info:
; codeLenInByte = 0
; NumSgprs: 4
; NumVgprs: 0
; NumAgprs: 0
; TotalNumVgprs: 0
; ScratchSize: 0
; MemoryBound: 0
; FloatMode: 240
; IeeeMode: 1
; LDSByteSize: 0 bytes/workgroup (compile time only)
; SGPRBlocks: 0
; VGPRBlocks: 0
; NumSGPRsForWavesPerEU: 4
; NumVGPRsForWavesPerEU: 1
; AccumOffset: 4
; Occupancy: 8
; WaveLimiterHint : 0
; COMPUTE_PGM_RSRC2:SCRATCH_EN: 0
; COMPUTE_PGM_RSRC2:USER_SGPR: 6
; COMPUTE_PGM_RSRC2:TRAP_HANDLER: 0
; COMPUTE_PGM_RSRC2:TGID_X_EN: 1
; COMPUTE_PGM_RSRC2:TGID_Y_EN: 0
; COMPUTE_PGM_RSRC2:TGID_Z_EN: 0
; COMPUTE_PGM_RSRC2:TIDIG_COMP_CNT: 0
; COMPUTE_PGM_RSRC3_GFX90A:ACCUM_OFFSET: 0
; COMPUTE_PGM_RSRC3_GFX90A:TG_SPLIT: 0
	.section	.text._ZN7rocprim17ROCPRIM_400000_NS6detail17trampoline_kernelINS0_14default_configENS1_27scan_by_key_config_selectorIxxEEZZNS1_16scan_by_key_implILNS1_25lookback_scan_determinismE0ELb0ES3_N6thrust23THRUST_200600_302600_NS6detail15normal_iteratorINS9_10device_ptrIxEEEESE_SE_xNS9_10multipliesIxEENS9_8equal_toIxEExEE10hipError_tPvRmT2_T3_T4_T5_mT6_T7_P12ihipStream_tbENKUlT_T0_E_clISt17integral_constantIbLb1EESY_IbLb0EEEEDaSU_SV_EUlSU_E_NS1_11comp_targetILNS1_3genE4ELNS1_11target_archE910ELNS1_3gpuE8ELNS1_3repE0EEENS1_30default_config_static_selectorELNS0_4arch9wavefront6targetE1EEEvT1_,"axG",@progbits,_ZN7rocprim17ROCPRIM_400000_NS6detail17trampoline_kernelINS0_14default_configENS1_27scan_by_key_config_selectorIxxEEZZNS1_16scan_by_key_implILNS1_25lookback_scan_determinismE0ELb0ES3_N6thrust23THRUST_200600_302600_NS6detail15normal_iteratorINS9_10device_ptrIxEEEESE_SE_xNS9_10multipliesIxEENS9_8equal_toIxEExEE10hipError_tPvRmT2_T3_T4_T5_mT6_T7_P12ihipStream_tbENKUlT_T0_E_clISt17integral_constantIbLb1EESY_IbLb0EEEEDaSU_SV_EUlSU_E_NS1_11comp_targetILNS1_3genE4ELNS1_11target_archE910ELNS1_3gpuE8ELNS1_3repE0EEENS1_30default_config_static_selectorELNS0_4arch9wavefront6targetE1EEEvT1_,comdat
	.protected	_ZN7rocprim17ROCPRIM_400000_NS6detail17trampoline_kernelINS0_14default_configENS1_27scan_by_key_config_selectorIxxEEZZNS1_16scan_by_key_implILNS1_25lookback_scan_determinismE0ELb0ES3_N6thrust23THRUST_200600_302600_NS6detail15normal_iteratorINS9_10device_ptrIxEEEESE_SE_xNS9_10multipliesIxEENS9_8equal_toIxEExEE10hipError_tPvRmT2_T3_T4_T5_mT6_T7_P12ihipStream_tbENKUlT_T0_E_clISt17integral_constantIbLb1EESY_IbLb0EEEEDaSU_SV_EUlSU_E_NS1_11comp_targetILNS1_3genE4ELNS1_11target_archE910ELNS1_3gpuE8ELNS1_3repE0EEENS1_30default_config_static_selectorELNS0_4arch9wavefront6targetE1EEEvT1_ ; -- Begin function _ZN7rocprim17ROCPRIM_400000_NS6detail17trampoline_kernelINS0_14default_configENS1_27scan_by_key_config_selectorIxxEEZZNS1_16scan_by_key_implILNS1_25lookback_scan_determinismE0ELb0ES3_N6thrust23THRUST_200600_302600_NS6detail15normal_iteratorINS9_10device_ptrIxEEEESE_SE_xNS9_10multipliesIxEENS9_8equal_toIxEExEE10hipError_tPvRmT2_T3_T4_T5_mT6_T7_P12ihipStream_tbENKUlT_T0_E_clISt17integral_constantIbLb1EESY_IbLb0EEEEDaSU_SV_EUlSU_E_NS1_11comp_targetILNS1_3genE4ELNS1_11target_archE910ELNS1_3gpuE8ELNS1_3repE0EEENS1_30default_config_static_selectorELNS0_4arch9wavefront6targetE1EEEvT1_
	.globl	_ZN7rocprim17ROCPRIM_400000_NS6detail17trampoline_kernelINS0_14default_configENS1_27scan_by_key_config_selectorIxxEEZZNS1_16scan_by_key_implILNS1_25lookback_scan_determinismE0ELb0ES3_N6thrust23THRUST_200600_302600_NS6detail15normal_iteratorINS9_10device_ptrIxEEEESE_SE_xNS9_10multipliesIxEENS9_8equal_toIxEExEE10hipError_tPvRmT2_T3_T4_T5_mT6_T7_P12ihipStream_tbENKUlT_T0_E_clISt17integral_constantIbLb1EESY_IbLb0EEEEDaSU_SV_EUlSU_E_NS1_11comp_targetILNS1_3genE4ELNS1_11target_archE910ELNS1_3gpuE8ELNS1_3repE0EEENS1_30default_config_static_selectorELNS0_4arch9wavefront6targetE1EEEvT1_
	.p2align	8
	.type	_ZN7rocprim17ROCPRIM_400000_NS6detail17trampoline_kernelINS0_14default_configENS1_27scan_by_key_config_selectorIxxEEZZNS1_16scan_by_key_implILNS1_25lookback_scan_determinismE0ELb0ES3_N6thrust23THRUST_200600_302600_NS6detail15normal_iteratorINS9_10device_ptrIxEEEESE_SE_xNS9_10multipliesIxEENS9_8equal_toIxEExEE10hipError_tPvRmT2_T3_T4_T5_mT6_T7_P12ihipStream_tbENKUlT_T0_E_clISt17integral_constantIbLb1EESY_IbLb0EEEEDaSU_SV_EUlSU_E_NS1_11comp_targetILNS1_3genE4ELNS1_11target_archE910ELNS1_3gpuE8ELNS1_3repE0EEENS1_30default_config_static_selectorELNS0_4arch9wavefront6targetE1EEEvT1_,@function
_ZN7rocprim17ROCPRIM_400000_NS6detail17trampoline_kernelINS0_14default_configENS1_27scan_by_key_config_selectorIxxEEZZNS1_16scan_by_key_implILNS1_25lookback_scan_determinismE0ELb0ES3_N6thrust23THRUST_200600_302600_NS6detail15normal_iteratorINS9_10device_ptrIxEEEESE_SE_xNS9_10multipliesIxEENS9_8equal_toIxEExEE10hipError_tPvRmT2_T3_T4_T5_mT6_T7_P12ihipStream_tbENKUlT_T0_E_clISt17integral_constantIbLb1EESY_IbLb0EEEEDaSU_SV_EUlSU_E_NS1_11comp_targetILNS1_3genE4ELNS1_11target_archE910ELNS1_3gpuE8ELNS1_3repE0EEENS1_30default_config_static_selectorELNS0_4arch9wavefront6targetE1EEEvT1_: ; @_ZN7rocprim17ROCPRIM_400000_NS6detail17trampoline_kernelINS0_14default_configENS1_27scan_by_key_config_selectorIxxEEZZNS1_16scan_by_key_implILNS1_25lookback_scan_determinismE0ELb0ES3_N6thrust23THRUST_200600_302600_NS6detail15normal_iteratorINS9_10device_ptrIxEEEESE_SE_xNS9_10multipliesIxEENS9_8equal_toIxEExEE10hipError_tPvRmT2_T3_T4_T5_mT6_T7_P12ihipStream_tbENKUlT_T0_E_clISt17integral_constantIbLb1EESY_IbLb0EEEEDaSU_SV_EUlSU_E_NS1_11comp_targetILNS1_3genE4ELNS1_11target_archE910ELNS1_3gpuE8ELNS1_3repE0EEENS1_30default_config_static_selectorELNS0_4arch9wavefront6targetE1EEEvT1_
; %bb.0:
	s_load_dwordx8 s[40:47], s[4:5], 0x0
	s_load_dwordx8 s[48:55], s[4:5], 0x30
	s_load_dwordx2 s[66:67], s[4:5], 0x50
	s_load_dword s0, s[4:5], 0x58
	s_load_dwordx8 s[56:63], s[4:5], 0x60
	s_waitcnt lgkmcnt(0)
	s_lshl_b64 s[64:65], s[42:43], 3
	s_add_u32 s2, s40, s64
	s_addc_u32 s3, s41, s65
	s_add_u32 s4, s44, s64
	s_mul_i32 s1, s67, s0
	s_mul_hi_u32 s7, s66, s0
	s_addc_u32 s5, s45, s65
	s_add_i32 s8, s7, s1
	s_mul_i32 s9, s66, s0
	s_cmp_lg_u64 s[60:61], 0
	s_mul_i32 s0, s6, 0x4c0
	s_mov_b32 s1, 0
	s_cselect_b64 s[68:69], -1, 0
	s_lshl_b64 s[60:61], s[0:1], 3
	s_add_u32 s44, s2, s60
	s_addc_u32 s45, s3, s61
	s_add_u32 s7, s4, s60
	s_addc_u32 s55, s5, s61
	;; [unrolled: 2-line block ×3, first 2 shown]
	s_add_u32 s2, s56, -1
	s_addc_u32 s3, s57, -1
	v_pk_mov_b32 v[2:3], s[2:3], s[2:3] op_sel:[0,1]
	v_cmp_ge_u64_e64 s[0:1], s[70:71], v[2:3]
	s_mov_b64 s[10:11], 0
	s_mov_b64 s[4:5], -1
	s_and_b64 vcc, exec, s[0:1]
	s_mul_i32 s33, s2, 0xfffffb40
	s_waitcnt lgkmcnt(0)
	; wave barrier
	s_cbranch_vccz .LBB68_102
; %bb.1:
	v_pk_mov_b32 v[2:3], s[44:45], s[44:45] op_sel:[0,1]
	flat_load_dwordx2 v[2:3], v[2:3]
	s_add_i32 s77, s33, s54
	v_cmp_gt_u32_e64 s[2:3], s77, v0
	s_waitcnt vmcnt(0) lgkmcnt(0)
	v_pk_mov_b32 v[4:5], v[2:3], v[2:3] op_sel:[0,1]
	s_and_saveexec_b64 s[4:5], s[2:3]
	s_cbranch_execz .LBB68_3
; %bb.2:
	v_lshlrev_b32_e32 v1, 3, v0
	v_mov_b32_e32 v5, s45
	v_add_co_u32_e32 v4, vcc, s44, v1
	v_addc_co_u32_e32 v5, vcc, 0, v5, vcc
	flat_load_dwordx2 v[4:5], v[4:5]
.LBB68_3:
	s_or_b64 exec, exec, s[4:5]
	v_or_b32_e32 v1, 64, v0
	v_cmp_gt_u32_e64 s[4:5], s77, v1
	v_pk_mov_b32 v[6:7], v[2:3], v[2:3] op_sel:[0,1]
	s_and_saveexec_b64 s[8:9], s[4:5]
	s_cbranch_execz .LBB68_5
; %bb.4:
	v_lshlrev_b32_e32 v1, 3, v0
	v_mov_b32_e32 v7, s45
	v_add_co_u32_e32 v6, vcc, s44, v1
	v_addc_co_u32_e32 v7, vcc, 0, v7, vcc
	flat_load_dwordx2 v[6:7], v[6:7] offset:512
.LBB68_5:
	s_or_b64 exec, exec, s[8:9]
	v_or_b32_e32 v1, 0x80, v0
	v_cmp_gt_u32_e64 s[42:43], s77, v1
	v_pk_mov_b32 v[8:9], v[2:3], v[2:3] op_sel:[0,1]
	s_and_saveexec_b64 s[8:9], s[42:43]
	s_cbranch_execz .LBB68_7
; %bb.6:
	v_lshlrev_b32_e32 v1, 3, v0
	v_mov_b32_e32 v9, s45
	v_add_co_u32_e32 v8, vcc, s44, v1
	v_addc_co_u32_e32 v9, vcc, 0, v9, vcc
	flat_load_dwordx2 v[8:9], v[8:9] offset:1024
.LBB68_7:
	s_or_b64 exec, exec, s[8:9]
	v_or_b32_e32 v1, 0xc0, v0
	v_cmp_gt_u32_e64 s[8:9], s77, v1
	v_pk_mov_b32 v[10:11], v[2:3], v[2:3] op_sel:[0,1]
	s_and_saveexec_b64 s[10:11], s[8:9]
	s_cbranch_execz .LBB68_9
; %bb.8:
	v_lshlrev_b32_e32 v1, 3, v0
	v_mov_b32_e32 v11, s45
	v_add_co_u32_e32 v10, vcc, s44, v1
	v_addc_co_u32_e32 v11, vcc, 0, v11, vcc
	flat_load_dwordx2 v[10:11], v[10:11] offset:1536
.LBB68_9:
	s_or_b64 exec, exec, s[10:11]
	v_or_b32_e32 v1, 0x100, v0
	v_cmp_gt_u32_e64 s[10:11], s77, v1
	v_pk_mov_b32 v[12:13], v[2:3], v[2:3] op_sel:[0,1]
	s_and_saveexec_b64 s[12:13], s[10:11]
	s_cbranch_execz .LBB68_11
; %bb.10:
	v_lshlrev_b32_e32 v1, 3, v0
	v_mov_b32_e32 v13, s45
	v_add_co_u32_e32 v12, vcc, s44, v1
	v_addc_co_u32_e32 v13, vcc, 0, v13, vcc
	flat_load_dwordx2 v[12:13], v[12:13] offset:2048
.LBB68_11:
	s_or_b64 exec, exec, s[12:13]
	v_or_b32_e32 v1, 0x140, v0
	v_cmp_gt_u32_e64 s[12:13], s77, v1
	v_pk_mov_b32 v[14:15], v[2:3], v[2:3] op_sel:[0,1]
	s_and_saveexec_b64 s[14:15], s[12:13]
	s_cbranch_execz .LBB68_13
; %bb.12:
	v_lshlrev_b32_e32 v1, 3, v0
	v_mov_b32_e32 v15, s45
	v_add_co_u32_e32 v14, vcc, s44, v1
	v_addc_co_u32_e32 v15, vcc, 0, v15, vcc
	flat_load_dwordx2 v[14:15], v[14:15] offset:2560
.LBB68_13:
	s_or_b64 exec, exec, s[14:15]
	v_or_b32_e32 v1, 0x180, v0
	v_cmp_gt_u32_e64 s[14:15], s77, v1
	v_pk_mov_b32 v[16:17], v[2:3], v[2:3] op_sel:[0,1]
	s_and_saveexec_b64 s[16:17], s[14:15]
	s_cbranch_execz .LBB68_15
; %bb.14:
	v_lshlrev_b32_e32 v1, 3, v0
	v_mov_b32_e32 v17, s45
	v_add_co_u32_e32 v16, vcc, s44, v1
	v_addc_co_u32_e32 v17, vcc, 0, v17, vcc
	flat_load_dwordx2 v[16:17], v[16:17] offset:3072
.LBB68_15:
	s_or_b64 exec, exec, s[16:17]
	v_or_b32_e32 v1, 0x1c0, v0
	v_cmp_gt_u32_e64 s[16:17], s77, v1
	v_pk_mov_b32 v[18:19], v[2:3], v[2:3] op_sel:[0,1]
	s_and_saveexec_b64 s[18:19], s[16:17]
	s_cbranch_execz .LBB68_17
; %bb.16:
	v_lshlrev_b32_e32 v1, 3, v0
	v_mov_b32_e32 v19, s45
	v_add_co_u32_e32 v18, vcc, s44, v1
	v_addc_co_u32_e32 v19, vcc, 0, v19, vcc
	flat_load_dwordx2 v[18:19], v[18:19] offset:3584
.LBB68_17:
	s_or_b64 exec, exec, s[18:19]
	v_or_b32_e32 v1, 0x200, v0
	v_cmp_gt_u32_e64 s[18:19], s77, v1
	v_pk_mov_b32 v[20:21], v[2:3], v[2:3] op_sel:[0,1]
	s_and_saveexec_b64 s[20:21], s[18:19]
	s_cbranch_execz .LBB68_19
; %bb.18:
	v_lshlrev_b32_e32 v20, 3, v1
	v_mov_b32_e32 v21, s45
	v_add_co_u32_e32 v20, vcc, s44, v20
	v_addc_co_u32_e32 v21, vcc, 0, v21, vcc
	flat_load_dwordx2 v[20:21], v[20:21]
.LBB68_19:
	s_or_b64 exec, exec, s[20:21]
	v_or_b32_e32 v40, 0x240, v0
	v_cmp_gt_u32_e64 s[20:21], s77, v40
	v_pk_mov_b32 v[22:23], v[2:3], v[2:3] op_sel:[0,1]
	s_and_saveexec_b64 s[22:23], s[20:21]
	s_cbranch_execz .LBB68_21
; %bb.20:
	v_lshlrev_b32_e32 v22, 3, v40
	v_mov_b32_e32 v23, s45
	v_add_co_u32_e32 v22, vcc, s44, v22
	v_addc_co_u32_e32 v23, vcc, 0, v23, vcc
	flat_load_dwordx2 v[22:23], v[22:23]
.LBB68_21:
	;; [unrolled: 13-line block ×10, first 2 shown]
	s_or_b64 exec, exec, s[40:41]
	v_or_b32_e32 v51, 0x480, v0
	v_cmp_gt_u32_e64 s[40:41], s77, v51
	s_and_saveexec_b64 s[56:57], s[40:41]
	s_cbranch_execz .LBB68_39
; %bb.38:
	v_lshlrev_b32_e32 v2, 3, v51
	v_mov_b32_e32 v3, s45
	v_add_co_u32_e32 v2, vcc, s44, v2
	v_addc_co_u32_e32 v3, vcc, 0, v3, vcc
	flat_load_dwordx2 v[2:3], v[2:3]
.LBB68_39:
	s_or_b64 exec, exec, s[56:57]
	v_lshlrev_b32_e32 v50, 3, v0
	s_movk_i32 s56, 0x90
	v_mad_u32_u24 v48, v0, s56, v50
	s_waitcnt vmcnt(0) lgkmcnt(0)
	ds_write2st64_b64 v50, v[4:5], v[6:7] offset1:1
	ds_write2st64_b64 v50, v[8:9], v[10:11] offset0:2 offset1:3
	ds_write2st64_b64 v50, v[12:13], v[14:15] offset0:4 offset1:5
	;; [unrolled: 1-line block ×8, first 2 shown]
	ds_write_b64 v50, v[2:3] offset:9216
	s_waitcnt lgkmcnt(0)
	; wave barrier
	s_waitcnt lgkmcnt(0)
	ds_read2_b64 v[106:109], v48 offset1:1
	ds_read2_b64 v[102:105], v48 offset0:2 offset1:3
	ds_read2_b64 v[98:101], v48 offset0:4 offset1:5
	;; [unrolled: 1-line block ×8, first 2 shown]
	ds_read_b64 v[4:5], v48 offset:144
	s_cmp_eq_u64 s[70:71], 0
	s_mov_b64 s[56:57], s[44:45]
	s_cbranch_scc1 .LBB68_43
; %bb.40:
	s_andn2_b64 vcc, exec, s[68:69]
	s_cbranch_vccnz .LBB68_261
; %bb.41:
	s_lshl_b64 s[56:57], s[70:71], 3
	s_add_u32 s56, s62, s56
	s_addc_u32 s57, s63, s57
	s_add_u32 s56, s56, -8
	s_addc_u32 s57, s57, -1
	s_cbranch_execnz .LBB68_43
.LBB68_42:
	s_add_u32 s56, s44, -8
	s_addc_u32 s57, s45, -1
.LBB68_43:
	v_pk_mov_b32 v[2:3], s[56:57], s[56:57] op_sel:[0,1]
	flat_load_dwordx2 v[8:9], v[2:3]
	s_movk_i32 s56, 0xff70
	v_mad_i32_i24 v2, v0, s56, v48
	v_cmp_ne_u32_e32 vcc, 0, v0
	s_waitcnt lgkmcnt(0)
	ds_write_b64 v2, v[4:5] offset:9728
	s_waitcnt lgkmcnt(0)
	; wave barrier
	s_waitcnt lgkmcnt(0)
	s_and_saveexec_b64 s[56:57], vcc
	s_cbranch_execz .LBB68_45
; %bb.44:
	v_mul_i32_i24_e32 v2, 0xffffff70, v0
	v_add_u32_e32 v2, v48, v2
	s_waitcnt vmcnt(0)
	ds_read_b64 v[8:9], v2 offset:9720
.LBB68_45:
	s_or_b64 exec, exec, s[56:57]
	s_waitcnt lgkmcnt(0)
	; wave barrier
	s_waitcnt lgkmcnt(0)
                                        ; implicit-def: $vgpr2_vgpr3
	s_and_saveexec_b64 s[56:57], s[2:3]
	s_cbranch_execnz .LBB68_243
; %bb.46:
	s_or_b64 exec, exec, s[56:57]
                                        ; implicit-def: $vgpr6_vgpr7
	s_and_saveexec_b64 s[2:3], s[4:5]
	s_cbranch_execnz .LBB68_244
.LBB68_47:
	s_or_b64 exec, exec, s[2:3]
                                        ; implicit-def: $vgpr10_vgpr11
	s_and_saveexec_b64 s[2:3], s[42:43]
	s_cbranch_execnz .LBB68_245
.LBB68_48:
	s_or_b64 exec, exec, s[2:3]
                                        ; implicit-def: $vgpr12_vgpr13
	s_and_saveexec_b64 s[2:3], s[8:9]
	s_cbranch_execnz .LBB68_246
.LBB68_49:
	s_or_b64 exec, exec, s[2:3]
                                        ; implicit-def: $vgpr14_vgpr15
	s_and_saveexec_b64 s[2:3], s[10:11]
	s_cbranch_execnz .LBB68_247
.LBB68_50:
	s_or_b64 exec, exec, s[2:3]
                                        ; implicit-def: $vgpr16_vgpr17
	s_and_saveexec_b64 s[2:3], s[12:13]
	s_cbranch_execnz .LBB68_248
.LBB68_51:
	s_or_b64 exec, exec, s[2:3]
                                        ; implicit-def: $vgpr18_vgpr19
	s_and_saveexec_b64 s[2:3], s[14:15]
	s_cbranch_execnz .LBB68_249
.LBB68_52:
	s_or_b64 exec, exec, s[2:3]
                                        ; implicit-def: $vgpr20_vgpr21
	s_and_saveexec_b64 s[2:3], s[16:17]
	s_cbranch_execnz .LBB68_250
.LBB68_53:
	s_or_b64 exec, exec, s[2:3]
                                        ; implicit-def: $vgpr22_vgpr23
	s_and_saveexec_b64 s[2:3], s[18:19]
	s_cbranch_execnz .LBB68_251
.LBB68_54:
	s_or_b64 exec, exec, s[2:3]
                                        ; implicit-def: $vgpr24_vgpr25
	s_and_saveexec_b64 s[2:3], s[20:21]
	s_cbranch_execnz .LBB68_252
.LBB68_55:
	s_or_b64 exec, exec, s[2:3]
                                        ; implicit-def: $vgpr26_vgpr27
	s_and_saveexec_b64 s[2:3], s[22:23]
	s_cbranch_execnz .LBB68_253
.LBB68_56:
	s_or_b64 exec, exec, s[2:3]
                                        ; implicit-def: $vgpr28_vgpr29
	s_and_saveexec_b64 s[2:3], s[24:25]
	s_cbranch_execnz .LBB68_254
.LBB68_57:
	s_or_b64 exec, exec, s[2:3]
                                        ; implicit-def: $vgpr30_vgpr31
	s_and_saveexec_b64 s[2:3], s[26:27]
	s_cbranch_execnz .LBB68_255
.LBB68_58:
	s_or_b64 exec, exec, s[2:3]
                                        ; implicit-def: $vgpr32_vgpr33
	s_and_saveexec_b64 s[2:3], s[28:29]
	s_cbranch_execnz .LBB68_256
.LBB68_59:
	s_or_b64 exec, exec, s[2:3]
                                        ; implicit-def: $vgpr34_vgpr35
	s_and_saveexec_b64 s[2:3], s[30:31]
	s_cbranch_execnz .LBB68_257
.LBB68_60:
	s_or_b64 exec, exec, s[2:3]
                                        ; implicit-def: $vgpr36_vgpr37
	s_and_saveexec_b64 s[2:3], s[34:35]
	s_cbranch_execnz .LBB68_258
.LBB68_61:
	s_or_b64 exec, exec, s[2:3]
                                        ; implicit-def: $vgpr38_vgpr39
	s_and_saveexec_b64 s[2:3], s[36:37]
	s_cbranch_execnz .LBB68_259
.LBB68_62:
	s_or_b64 exec, exec, s[2:3]
                                        ; implicit-def: $vgpr40_vgpr41
	s_and_saveexec_b64 s[2:3], s[38:39]
	s_cbranch_execnz .LBB68_260
.LBB68_63:
	s_or_b64 exec, exec, s[2:3]
                                        ; implicit-def: $vgpr42_vgpr43
	s_and_saveexec_b64 s[2:3], s[40:41]
	s_cbranch_execz .LBB68_65
.LBB68_64:
	v_lshlrev_b32_e32 v1, 3, v51
	v_mov_b32_e32 v43, s55
	v_add_co_u32_e32 v42, vcc, s7, v1
	v_addc_co_u32_e32 v43, vcc, 0, v43, vcc
	flat_load_dwordx2 v[42:43], v[42:43]
.LBB68_65:
	s_or_b64 exec, exec, s[2:3]
	v_mul_u32_u24_e32 v49, 19, v0
	s_waitcnt vmcnt(0) lgkmcnt(0)
	ds_write2st64_b64 v50, v[2:3], v[6:7] offset1:1
	ds_write2st64_b64 v50, v[10:11], v[12:13] offset0:2 offset1:3
	ds_write2st64_b64 v50, v[14:15], v[16:17] offset0:4 offset1:5
	;; [unrolled: 1-line block ×8, first 2 shown]
	ds_write_b64 v50, v[42:43] offset:9216
	v_pk_mov_b32 v[6:7], 0, 0
	v_cmp_gt_u32_e32 vcc, s77, v49
	s_mov_b64 s[10:11], 0
	s_mov_b64 s[4:5], 0
	s_mov_b32 s76, 0
	v_mov_b32_e32 v110, 0
	v_mov_b32_e32 v126, 0
	v_pk_mov_b32 v[58:59], v[6:7], v[6:7] op_sel:[0,1]
	v_mov_b32_e32 v125, 0
	v_pk_mov_b32 v[70:71], v[6:7], v[6:7] op_sel:[0,1]
	;; [unrolled: 2-line block ×17, first 2 shown]
	s_waitcnt lgkmcnt(0)
	; wave barrier
	s_waitcnt lgkmcnt(0)
                                        ; implicit-def: $sgpr2_sgpr3
	s_and_saveexec_b64 s[8:9], vcc
	s_cbranch_execz .LBB68_101
; %bb.66:
	ds_read_b64 v[2:3], v48
	v_cmp_ne_u64_e32 vcc, v[8:9], v[106:107]
	v_add_u32_e32 v6, 1, v49
	v_cndmask_b32_e64 v1, 0, 1, vcc
	v_cmp_gt_u32_e32 vcc, s77, v6
	v_pk_mov_b32 v[6:7], 0, 0
	s_mov_b64 s[12:13], 0
	s_mov_b64 s[2:3], 0
	v_mov_b32_e32 v110, 0
	v_mov_b32_e32 v126, 0
	v_pk_mov_b32 v[58:59], v[6:7], v[6:7] op_sel:[0,1]
	v_mov_b32_e32 v125, 0
	v_pk_mov_b32 v[70:71], v[6:7], v[6:7] op_sel:[0,1]
	;; [unrolled: 2-line block ×16, first 2 shown]
                                        ; implicit-def: $sgpr14_sgpr15
	s_and_saveexec_b64 s[10:11], vcc
	s_cbranch_execz .LBB68_100
; %bb.67:
	ds_read2_b64 v[14:17], v48 offset0:1 offset1:2
	v_cmp_ne_u64_e32 vcc, v[106:107], v[108:109]
	v_add_u32_e32 v6, 2, v49
	v_cndmask_b32_e64 v112, 0, 1, vcc
	v_cmp_gt_u32_e32 vcc, s77, v6
	v_pk_mov_b32 v[6:7], 0, 0
	s_mov_b64 s[16:17], 0
	v_mov_b32_e32 v110, 0
	v_mov_b32_e32 v126, 0
	v_pk_mov_b32 v[58:59], v[6:7], v[6:7] op_sel:[0,1]
	v_mov_b32_e32 v125, 0
	v_pk_mov_b32 v[70:71], v[6:7], v[6:7] op_sel:[0,1]
	v_mov_b32_e32 v124, 0
	v_pk_mov_b32 v[54:55], v[6:7], v[6:7] op_sel:[0,1]
	v_mov_b32_e32 v123, 0
	v_pk_mov_b32 v[66:67], v[6:7], v[6:7] op_sel:[0,1]
	v_mov_b32_e32 v122, 0
	v_pk_mov_b32 v[46:47], v[6:7], v[6:7] op_sel:[0,1]
	v_mov_b32_e32 v121, 0
	v_pk_mov_b32 v[62:63], v[6:7], v[6:7] op_sel:[0,1]
	v_mov_b32_e32 v120, 0
	v_pk_mov_b32 v[38:39], v[6:7], v[6:7] op_sel:[0,1]
	v_mov_b32_e32 v119, 0
	v_pk_mov_b32 v[50:51], v[6:7], v[6:7] op_sel:[0,1]
	v_mov_b32_e32 v118, 0
	v_pk_mov_b32 v[30:31], v[6:7], v[6:7] op_sel:[0,1]
	v_mov_b32_e32 v117, 0
	v_pk_mov_b32 v[42:43], v[6:7], v[6:7] op_sel:[0,1]
	v_mov_b32_e32 v116, 0
	v_pk_mov_b32 v[22:23], v[6:7], v[6:7] op_sel:[0,1]
	v_mov_b32_e32 v115, 0
	v_pk_mov_b32 v[34:35], v[6:7], v[6:7] op_sel:[0,1]
	v_mov_b32_e32 v114, 0
	v_pk_mov_b32 v[18:19], v[6:7], v[6:7] op_sel:[0,1]
	v_mov_b32_e32 v113, 0
	v_pk_mov_b32 v[26:27], v[6:7], v[6:7] op_sel:[0,1]
	v_mov_b32_e32 v111, 0
	v_pk_mov_b32 v[10:11], v[6:7], v[6:7] op_sel:[0,1]
                                        ; implicit-def: $sgpr14_sgpr15
	s_and_saveexec_b64 s[12:13], vcc
	s_cbranch_execz .LBB68_99
; %bb.68:
	v_cmp_ne_u64_e32 vcc, v[108:109], v[102:103]
	v_add_u32_e32 v6, 3, v49
	v_cndmask_b32_e64 v111, 0, 1, vcc
	v_cmp_gt_u32_e32 vcc, s77, v6
	v_pk_mov_b32 v[6:7], 0, 0
	s_waitcnt lgkmcnt(0)
	v_mov_b32_e32 v10, v16
	v_mov_b32_e32 v11, v17
	;; [unrolled: 1-line block ×4, first 2 shown]
	v_pk_mov_b32 v[58:59], v[6:7], v[6:7] op_sel:[0,1]
	v_mov_b32_e32 v125, 0
	v_pk_mov_b32 v[70:71], v[6:7], v[6:7] op_sel:[0,1]
	v_mov_b32_e32 v124, 0
	;; [unrolled: 2-line block ×13, first 2 shown]
	v_pk_mov_b32 v[26:27], v[6:7], v[6:7] op_sel:[0,1]
                                        ; implicit-def: $sgpr18_sgpr19
	s_and_saveexec_b64 s[14:15], vcc
	s_cbranch_execz .LBB68_98
; %bb.69:
	ds_read2_b64 v[26:29], v48 offset0:3 offset1:4
	v_cmp_ne_u64_e32 vcc, v[102:103], v[104:105]
	v_add_u32_e32 v6, 4, v49
	v_cndmask_b32_e64 v113, 0, 1, vcc
	v_cmp_gt_u32_e32 vcc, s77, v6
	v_pk_mov_b32 v[6:7], 0, 0
	s_mov_b64 s[20:21], 0
	v_mov_b32_e32 v110, 0
	v_mov_b32_e32 v126, 0
	v_pk_mov_b32 v[58:59], v[6:7], v[6:7] op_sel:[0,1]
	v_mov_b32_e32 v125, 0
	v_pk_mov_b32 v[70:71], v[6:7], v[6:7] op_sel:[0,1]
	;; [unrolled: 2-line block ×13, first 2 shown]
                                        ; implicit-def: $sgpr18_sgpr19
	s_and_saveexec_b64 s[16:17], vcc
	s_cbranch_execz .LBB68_97
; %bb.70:
	v_cmp_ne_u64_e32 vcc, v[104:105], v[98:99]
	v_add_u32_e32 v6, 5, v49
	v_cndmask_b32_e64 v114, 0, 1, vcc
	v_cmp_gt_u32_e32 vcc, s77, v6
	v_pk_mov_b32 v[6:7], 0, 0
	s_waitcnt lgkmcnt(0)
	v_mov_b32_e32 v18, v28
	v_mov_b32_e32 v19, v29
	;; [unrolled: 1-line block ×4, first 2 shown]
	v_pk_mov_b32 v[58:59], v[6:7], v[6:7] op_sel:[0,1]
	v_mov_b32_e32 v125, 0
	v_pk_mov_b32 v[70:71], v[6:7], v[6:7] op_sel:[0,1]
	v_mov_b32_e32 v124, 0
	;; [unrolled: 2-line block ×11, first 2 shown]
	v_pk_mov_b32 v[34:35], v[6:7], v[6:7] op_sel:[0,1]
                                        ; implicit-def: $sgpr22_sgpr23
	s_and_saveexec_b64 s[18:19], vcc
	s_cbranch_execz .LBB68_96
; %bb.71:
	ds_read2_b64 v[34:37], v48 offset0:5 offset1:6
	v_cmp_ne_u64_e32 vcc, v[98:99], v[100:101]
	v_add_u32_e32 v6, 6, v49
	v_cndmask_b32_e64 v115, 0, 1, vcc
	v_cmp_gt_u32_e32 vcc, s77, v6
	v_pk_mov_b32 v[6:7], 0, 0
	s_mov_b64 s[24:25], 0
	v_mov_b32_e32 v110, 0
	v_mov_b32_e32 v126, 0
	v_pk_mov_b32 v[58:59], v[6:7], v[6:7] op_sel:[0,1]
	v_mov_b32_e32 v125, 0
	v_pk_mov_b32 v[70:71], v[6:7], v[6:7] op_sel:[0,1]
	;; [unrolled: 2-line block ×11, first 2 shown]
                                        ; implicit-def: $sgpr22_sgpr23
	s_and_saveexec_b64 s[20:21], vcc
	s_cbranch_execz .LBB68_95
; %bb.72:
	v_cmp_ne_u64_e32 vcc, v[100:101], v[94:95]
	v_add_u32_e32 v6, 7, v49
	v_cndmask_b32_e64 v116, 0, 1, vcc
	v_cmp_gt_u32_e32 vcc, s77, v6
	v_pk_mov_b32 v[6:7], 0, 0
	s_waitcnt lgkmcnt(0)
	v_mov_b32_e32 v22, v36
	v_mov_b32_e32 v23, v37
	;; [unrolled: 1-line block ×4, first 2 shown]
	v_pk_mov_b32 v[58:59], v[6:7], v[6:7] op_sel:[0,1]
	v_mov_b32_e32 v125, 0
	v_pk_mov_b32 v[70:71], v[6:7], v[6:7] op_sel:[0,1]
	v_mov_b32_e32 v124, 0
	;; [unrolled: 2-line block ×9, first 2 shown]
	v_pk_mov_b32 v[42:43], v[6:7], v[6:7] op_sel:[0,1]
                                        ; implicit-def: $sgpr26_sgpr27
	s_and_saveexec_b64 s[22:23], vcc
	s_cbranch_execz .LBB68_94
; %bb.73:
	ds_read2_b64 v[42:45], v48 offset0:7 offset1:8
	v_cmp_ne_u64_e32 vcc, v[94:95], v[96:97]
	v_add_u32_e32 v6, 8, v49
	v_cndmask_b32_e64 v117, 0, 1, vcc
	v_cmp_gt_u32_e32 vcc, s77, v6
	v_pk_mov_b32 v[6:7], 0, 0
	s_mov_b64 s[28:29], 0
	v_mov_b32_e32 v110, 0
	v_mov_b32_e32 v126, 0
	v_pk_mov_b32 v[58:59], v[6:7], v[6:7] op_sel:[0,1]
	v_mov_b32_e32 v125, 0
	v_pk_mov_b32 v[70:71], v[6:7], v[6:7] op_sel:[0,1]
	;; [unrolled: 2-line block ×9, first 2 shown]
                                        ; implicit-def: $sgpr26_sgpr27
	s_and_saveexec_b64 s[24:25], vcc
	s_cbranch_execz .LBB68_93
; %bb.74:
	v_cmp_ne_u64_e32 vcc, v[96:97], v[90:91]
	v_add_u32_e32 v6, 9, v49
	v_cndmask_b32_e64 v118, 0, 1, vcc
	v_cmp_gt_u32_e32 vcc, s77, v6
	v_pk_mov_b32 v[6:7], 0, 0
	s_waitcnt lgkmcnt(0)
	v_mov_b32_e32 v30, v44
	v_mov_b32_e32 v31, v45
	;; [unrolled: 1-line block ×4, first 2 shown]
	v_pk_mov_b32 v[58:59], v[6:7], v[6:7] op_sel:[0,1]
	v_mov_b32_e32 v125, 0
	v_pk_mov_b32 v[70:71], v[6:7], v[6:7] op_sel:[0,1]
	v_mov_b32_e32 v124, 0
	;; [unrolled: 2-line block ×7, first 2 shown]
	v_pk_mov_b32 v[50:51], v[6:7], v[6:7] op_sel:[0,1]
                                        ; implicit-def: $sgpr30_sgpr31
	s_and_saveexec_b64 s[26:27], vcc
	s_cbranch_execz .LBB68_92
; %bb.75:
	ds_read2_b64 v[50:53], v48 offset0:9 offset1:10
	v_cmp_ne_u64_e32 vcc, v[90:91], v[92:93]
	v_add_u32_e32 v6, 10, v49
	v_cndmask_b32_e64 v119, 0, 1, vcc
	v_cmp_gt_u32_e32 vcc, s77, v6
	v_pk_mov_b32 v[6:7], 0, 0
	s_mov_b64 s[34:35], 0
	v_mov_b32_e32 v110, 0
	v_mov_b32_e32 v126, 0
	v_pk_mov_b32 v[58:59], v[6:7], v[6:7] op_sel:[0,1]
	v_mov_b32_e32 v125, 0
	v_pk_mov_b32 v[70:71], v[6:7], v[6:7] op_sel:[0,1]
	v_mov_b32_e32 v124, 0
	v_pk_mov_b32 v[54:55], v[6:7], v[6:7] op_sel:[0,1]
	v_mov_b32_e32 v123, 0
	v_pk_mov_b32 v[66:67], v[6:7], v[6:7] op_sel:[0,1]
	v_mov_b32_e32 v122, 0
	v_pk_mov_b32 v[46:47], v[6:7], v[6:7] op_sel:[0,1]
	v_mov_b32_e32 v121, 0
	v_pk_mov_b32 v[62:63], v[6:7], v[6:7] op_sel:[0,1]
	v_mov_b32_e32 v120, 0
	v_pk_mov_b32 v[38:39], v[6:7], v[6:7] op_sel:[0,1]
                                        ; implicit-def: $sgpr30_sgpr31
	s_and_saveexec_b64 s[28:29], vcc
	s_cbranch_execz .LBB68_91
; %bb.76:
	v_cmp_ne_u64_e32 vcc, v[92:93], v[86:87]
	v_add_u32_e32 v6, 11, v49
	v_cndmask_b32_e64 v120, 0, 1, vcc
	v_cmp_gt_u32_e32 vcc, s77, v6
	v_pk_mov_b32 v[6:7], 0, 0
	s_waitcnt lgkmcnt(0)
	v_mov_b32_e32 v38, v52
	v_mov_b32_e32 v39, v53
	;; [unrolled: 1-line block ×4, first 2 shown]
	v_pk_mov_b32 v[58:59], v[6:7], v[6:7] op_sel:[0,1]
	v_mov_b32_e32 v125, 0
	v_pk_mov_b32 v[70:71], v[6:7], v[6:7] op_sel:[0,1]
	v_mov_b32_e32 v124, 0
	;; [unrolled: 2-line block ×5, first 2 shown]
	v_pk_mov_b32 v[62:63], v[6:7], v[6:7] op_sel:[0,1]
                                        ; implicit-def: $sgpr36_sgpr37
	s_and_saveexec_b64 s[30:31], vcc
	s_cbranch_execz .LBB68_90
; %bb.77:
	ds_read2_b64 v[62:65], v48 offset0:11 offset1:12
	v_cmp_ne_u64_e32 vcc, v[86:87], v[88:89]
	v_add_u32_e32 v6, 12, v49
	v_cndmask_b32_e64 v121, 0, 1, vcc
	v_cmp_gt_u32_e32 vcc, s77, v6
	v_pk_mov_b32 v[6:7], 0, 0
	s_mov_b64 s[38:39], 0
	v_mov_b32_e32 v110, 0
	v_mov_b32_e32 v126, 0
	v_pk_mov_b32 v[58:59], v[6:7], v[6:7] op_sel:[0,1]
	v_mov_b32_e32 v125, 0
	v_pk_mov_b32 v[70:71], v[6:7], v[6:7] op_sel:[0,1]
	;; [unrolled: 2-line block ×5, first 2 shown]
                                        ; implicit-def: $sgpr36_sgpr37
	s_and_saveexec_b64 s[34:35], vcc
	s_cbranch_execz .LBB68_89
; %bb.78:
	v_cmp_ne_u64_e32 vcc, v[88:89], v[82:83]
	v_add_u32_e32 v6, 13, v49
	v_cndmask_b32_e64 v122, 0, 1, vcc
	v_cmp_gt_u32_e32 vcc, s77, v6
	v_pk_mov_b32 v[6:7], 0, 0
	s_waitcnt lgkmcnt(0)
	v_mov_b32_e32 v46, v64
	v_mov_b32_e32 v47, v65
	v_mov_b32_e32 v110, 0
	v_mov_b32_e32 v126, 0
	v_pk_mov_b32 v[58:59], v[6:7], v[6:7] op_sel:[0,1]
	v_mov_b32_e32 v125, 0
	v_pk_mov_b32 v[70:71], v[6:7], v[6:7] op_sel:[0,1]
	v_mov_b32_e32 v124, 0
	v_pk_mov_b32 v[54:55], v[6:7], v[6:7] op_sel:[0,1]
	v_mov_b32_e32 v123, 0
	v_pk_mov_b32 v[66:67], v[6:7], v[6:7] op_sel:[0,1]
                                        ; implicit-def: $sgpr40_sgpr41
	s_and_saveexec_b64 s[36:37], vcc
	s_cbranch_execz .LBB68_88
; %bb.79:
	ds_read2_b64 v[66:69], v48 offset0:13 offset1:14
	v_cmp_ne_u64_e32 vcc, v[82:83], v[84:85]
	v_add_u32_e32 v6, 14, v49
	v_cndmask_b32_e64 v123, 0, 1, vcc
	v_cmp_gt_u32_e32 vcc, s77, v6
	v_pk_mov_b32 v[6:7], 0, 0
	s_mov_b64 s[42:43], 0
	v_mov_b32_e32 v110, 0
	v_mov_b32_e32 v126, 0
	v_pk_mov_b32 v[58:59], v[6:7], v[6:7] op_sel:[0,1]
	v_mov_b32_e32 v125, 0
	v_pk_mov_b32 v[70:71], v[6:7], v[6:7] op_sel:[0,1]
	;; [unrolled: 2-line block ×3, first 2 shown]
                                        ; implicit-def: $sgpr40_sgpr41
	s_and_saveexec_b64 s[38:39], vcc
	s_cbranch_execz .LBB68_87
; %bb.80:
	v_cmp_ne_u64_e32 vcc, v[84:85], v[78:79]
	v_add_u32_e32 v6, 15, v49
	v_cndmask_b32_e64 v124, 0, 1, vcc
	v_cmp_gt_u32_e32 vcc, s77, v6
	v_pk_mov_b32 v[6:7], 0, 0
	s_waitcnt lgkmcnt(0)
	v_mov_b32_e32 v54, v68
	v_mov_b32_e32 v55, v69
	;; [unrolled: 1-line block ×4, first 2 shown]
	v_pk_mov_b32 v[58:59], v[6:7], v[6:7] op_sel:[0,1]
	v_mov_b32_e32 v125, 0
	v_pk_mov_b32 v[70:71], v[6:7], v[6:7] op_sel:[0,1]
                                        ; implicit-def: $sgpr56_sgpr57
	s_and_saveexec_b64 s[40:41], vcc
	s_cbranch_execz .LBB68_86
; %bb.81:
	ds_read2_b64 v[70:73], v48 offset0:15 offset1:16
	v_cmp_ne_u64_e32 vcc, v[78:79], v[80:81]
	v_add_u32_e32 v6, 16, v49
	v_cndmask_b32_e64 v125, 0, 1, vcc
	v_cmp_gt_u32_e32 vcc, s77, v6
	v_pk_mov_b32 v[6:7], 0, 0
	s_mov_b64 s[56:57], 0
	v_mov_b32_e32 v110, 0
	v_mov_b32_e32 v126, 0
	v_pk_mov_b32 v[58:59], v[6:7], v[6:7] op_sel:[0,1]
                                        ; implicit-def: $sgpr72_sgpr73
	s_and_saveexec_b64 s[42:43], vcc
	s_cbranch_execz .LBB68_85
; %bb.82:
	v_cmp_ne_u64_e32 vcc, v[80:81], v[74:75]
	v_add_u32_e32 v6, 17, v49
	s_waitcnt lgkmcnt(0)
	v_mov_b32_e32 v58, v72
	v_mov_b32_e32 v59, v73
	v_cndmask_b32_e64 v126, 0, 1, vcc
	v_cmp_gt_u32_e32 vcc, s77, v6
	v_mov_b32_e32 v110, 0
	v_pk_mov_b32 v[6:7], 0, 0
                                        ; implicit-def: $sgpr72_sgpr73
	s_and_saveexec_b64 s[2:3], vcc
	s_xor_b64 s[74:75], exec, s[2:3]
	s_cbranch_execz .LBB68_84
; %bb.83:
	ds_read2_b64 v[6:9], v48 offset0:17 offset1:18
	v_cmp_ne_u64_e32 vcc, v[76:77], v[4:5]
	v_cmp_ne_u64_e64 s[2:3], v[74:75], v[76:77]
	v_add_u32_e32 v4, 18, v49
	v_cndmask_b32_e64 v110, 0, 1, s[2:3]
	v_cmp_gt_u32_e64 s[2:3], s77, v4
	s_and_b64 s[72:73], vcc, exec
	s_and_b64 s[56:57], s[2:3], exec
	s_waitcnt lgkmcnt(0)
	v_pk_mov_b32 v[60:61], v[6:7], v[6:7] op_sel:[0,1]
.LBB68_84:
	s_or_b64 exec, exec, s[74:75]
	s_and_b64 s[72:73], s[72:73], exec
	s_and_b64 s[2:3], s[56:57], exec
.LBB68_85:
	s_or_b64 exec, exec, s[42:43]
	s_and_b64 s[56:57], s[72:73], exec
	s_and_b64 s[42:43], s[2:3], exec
	s_waitcnt lgkmcnt(0)
	v_pk_mov_b32 v[56:57], v[70:71], v[70:71] op_sel:[0,1]
	v_pk_mov_b32 v[48:49], v[66:67], v[66:67] op_sel:[0,1]
	;; [unrolled: 1-line block ×8, first 2 shown]
.LBB68_86:
	s_or_b64 exec, exec, s[40:41]
	s_and_b64 s[40:41], s[56:57], exec
	s_and_b64 s[2:3], s[42:43], exec
.LBB68_87:
	s_or_b64 exec, exec, s[38:39]
	s_and_b64 s[40:41], s[40:41], exec
	s_and_b64 s[38:39], s[2:3], exec
.LBB68_88:
	s_or_b64 exec, exec, s[36:37]
	s_and_b64 s[36:37], s[40:41], exec
	s_and_b64 s[2:3], s[38:39], exec
.LBB68_89:
	s_or_b64 exec, exec, s[34:35]
	s_and_b64 s[36:37], s[36:37], exec
	s_and_b64 s[34:35], s[2:3], exec
.LBB68_90:
	s_or_b64 exec, exec, s[30:31]
	s_and_b64 s[30:31], s[36:37], exec
	s_and_b64 s[2:3], s[34:35], exec
.LBB68_91:
	s_or_b64 exec, exec, s[28:29]
	s_and_b64 s[30:31], s[30:31], exec
	s_and_b64 s[28:29], s[2:3], exec
.LBB68_92:
	s_or_b64 exec, exec, s[26:27]
	s_and_b64 s[26:27], s[30:31], exec
	s_and_b64 s[2:3], s[28:29], exec
.LBB68_93:
	s_or_b64 exec, exec, s[24:25]
	s_and_b64 s[26:27], s[26:27], exec
	s_and_b64 s[24:25], s[2:3], exec
.LBB68_94:
	s_or_b64 exec, exec, s[22:23]
	s_and_b64 s[22:23], s[26:27], exec
	s_and_b64 s[2:3], s[24:25], exec
.LBB68_95:
	s_or_b64 exec, exec, s[20:21]
	s_and_b64 s[22:23], s[22:23], exec
	s_and_b64 s[20:21], s[2:3], exec
.LBB68_96:
	s_or_b64 exec, exec, s[18:19]
	s_and_b64 s[18:19], s[22:23], exec
	s_and_b64 s[2:3], s[20:21], exec
.LBB68_97:
	s_or_b64 exec, exec, s[16:17]
	s_and_b64 s[18:19], s[18:19], exec
	s_and_b64 s[16:17], s[2:3], exec
.LBB68_98:
	s_or_b64 exec, exec, s[14:15]
	s_and_b64 s[14:15], s[18:19], exec
	s_and_b64 s[2:3], s[16:17], exec
.LBB68_99:
	s_or_b64 exec, exec, s[12:13]
	s_and_b64 s[14:15], s[14:15], exec
	s_and_b64 s[12:13], s[2:3], exec
.LBB68_100:
	s_or_b64 exec, exec, s[10:11]
	s_and_b64 s[2:3], s[14:15], exec
	s_and_b64 s[10:11], s[12:13], exec
.LBB68_101:
	s_or_b64 exec, exec, s[8:9]
	s_mov_b64 s[8:9], 0
	s_and_b64 vcc, exec, s[4:5]
	v_lshlrev_b32_e32 v127, 3, v0
	s_cbranch_vccnz .LBB68_103
	s_branch .LBB68_111
.LBB68_102:
                                        ; implicit-def: $sgpr2_sgpr3
                                        ; implicit-def: $vgpr8_vgpr9
                                        ; implicit-def: $vgpr110
                                        ; implicit-def: $vgpr60_vgpr61
                                        ; implicit-def: $vgpr126
                                        ; implicit-def: $vgpr125
                                        ; implicit-def: $vgpr56_vgpr57
                                        ; implicit-def: $vgpr124
                                        ; implicit-def: $vgpr123
                                        ; implicit-def: $vgpr48_vgpr49
                                        ; implicit-def: $vgpr122
                                        ; implicit-def: $vgpr121
                                        ; implicit-def: $vgpr40_vgpr41
                                        ; implicit-def: $vgpr120
                                        ; implicit-def: $vgpr119
                                        ; implicit-def: $vgpr32_vgpr33
                                        ; implicit-def: $vgpr118
                                        ; implicit-def: $vgpr117
                                        ; implicit-def: $vgpr24_vgpr25
                                        ; implicit-def: $vgpr116
                                        ; implicit-def: $vgpr115
                                        ; implicit-def: $vgpr20_vgpr21
                                        ; implicit-def: $vgpr114
                                        ; implicit-def: $vgpr113
                                        ; implicit-def: $vgpr12_vgpr13
                                        ; implicit-def: $vgpr111
                                        ; implicit-def: $vgpr112
                                        ; implicit-def: $vgpr4_vgpr5
                                        ; implicit-def: $vgpr1
                                        ; implicit-def: $sgpr76
                                        ; implicit-def: $sgpr8_sgpr9
                                        ; implicit-def: $vgpr70_vgpr71
                                        ; implicit-def: $vgpr66_vgpr67
                                        ; implicit-def: $vgpr62_vgpr63
                                        ; implicit-def: $vgpr50_vgpr51
                                        ; implicit-def: $vgpr42_vgpr43
                                        ; implicit-def: $vgpr34_vgpr35
                                        ; implicit-def: $vgpr26_vgpr27
                                        ; implicit-def: $vgpr14_vgpr15
	s_and_b64 vcc, exec, s[4:5]
	v_lshlrev_b32_e32 v127, 3, v0
	s_cbranch_vccz .LBB68_111
.LBB68_103:
	v_mov_b32_e32 v1, s45
	s_waitcnt lgkmcnt(0)
	v_add_co_u32_e32 v2, vcc, s44, v127
	v_addc_co_u32_e32 v3, vcc, 0, v1, vcc
	v_add_co_u32_e32 v20, vcc, 0x1000, v2
	v_addc_co_u32_e32 v21, vcc, 0, v3, vcc
	flat_load_dwordx2 v[4:5], v[2:3]
	flat_load_dwordx2 v[6:7], v[2:3] offset:512
	flat_load_dwordx2 v[8:9], v[2:3] offset:1024
	;; [unrolled: 1-line block ×7, first 2 shown]
	v_add_co_u32_e32 v2, vcc, 0x2000, v2
	v_addc_co_u32_e32 v3, vcc, 0, v3, vcc
	flat_load_dwordx2 v[22:23], v[20:21]
	flat_load_dwordx2 v[24:25], v[20:21] offset:512
	flat_load_dwordx2 v[26:27], v[20:21] offset:1024
	flat_load_dwordx2 v[28:29], v[20:21] offset:1536
	flat_load_dwordx2 v[30:31], v[20:21] offset:2048
	flat_load_dwordx2 v[32:33], v[20:21] offset:2560
	flat_load_dwordx2 v[34:35], v[20:21] offset:3072
	flat_load_dwordx2 v[36:37], v[20:21] offset:3584
	s_nop 0
	flat_load_dwordx2 v[20:21], v[2:3]
	flat_load_dwordx2 v[38:39], v[2:3] offset:512
	flat_load_dwordx2 v[40:41], v[2:3] offset:1024
	s_movk_i32 s2, 0x90
	v_mad_u32_u24 v1, v0, s2, v127
	s_cmp_eq_u64 s[70:71], 0
	s_waitcnt vmcnt(0) lgkmcnt(0)
	ds_write2st64_b64 v127, v[4:5], v[6:7] offset1:1
	ds_write2st64_b64 v127, v[8:9], v[10:11] offset0:2 offset1:3
	ds_write2st64_b64 v127, v[12:13], v[14:15] offset0:4 offset1:5
	;; [unrolled: 1-line block ×8, first 2 shown]
	ds_write_b64 v127, v[40:41] offset:9216
	s_waitcnt lgkmcnt(0)
	; wave barrier
	s_waitcnt lgkmcnt(0)
	ds_read2_b64 v[14:17], v1 offset1:1
	ds_read2_b64 v[2:5], v1 offset0:2 offset1:3
	ds_read2_b64 v[6:9], v1 offset0:4 offset1:5
	ds_read2_b64 v[10:13], v1 offset0:6 offset1:7
	ds_read2_b64 v[18:21], v1 offset0:8 offset1:9
	ds_read2_b64 v[22:25], v1 offset0:10 offset1:11
	ds_read2_b64 v[26:29], v1 offset0:12 offset1:13
	ds_read2_b64 v[30:33], v1 offset0:14 offset1:15
	ds_read2_b64 v[34:37], v1 offset0:16 offset1:17
	ds_read_b64 v[38:39], v1 offset:144
	s_cbranch_scc1 .LBB68_108
; %bb.104:
	s_andn2_b64 vcc, exec, s[68:69]
	s_cbranch_vccnz .LBB68_262
; %bb.105:
	s_lshl_b64 s[2:3], s[70:71], 3
	s_add_u32 s2, s62, s2
	s_addc_u32 s3, s63, s3
	s_add_u32 s2, s2, -8
	s_addc_u32 s3, s3, -1
	s_cbranch_execnz .LBB68_107
.LBB68_106:
	s_add_u32 s2, s44, -8
	s_addc_u32 s3, s45, -1
.LBB68_107:
	s_mov_b64 s[44:45], s[2:3]
.LBB68_108:
	v_pk_mov_b32 v[40:41], s[44:45], s[44:45] op_sel:[0,1]
	flat_load_dwordx2 v[42:43], v[40:41]
	s_movk_i32 s2, 0xff70
	v_mad_i32_i24 v40, v0, s2, v1
	v_cmp_ne_u32_e32 vcc, 0, v0
	s_waitcnt lgkmcnt(0)
	ds_write_b64 v40, v[38:39] offset:9728
	s_waitcnt lgkmcnt(0)
	; wave barrier
	s_waitcnt lgkmcnt(0)
	s_and_saveexec_b64 s[2:3], vcc
	s_cbranch_execz .LBB68_110
; %bb.109:
	v_mul_i32_i24_e32 v40, 0xffffff70, v0
	v_add_u32_e32 v40, v1, v40
	s_waitcnt vmcnt(0)
	ds_read_b64 v[42:43], v40 offset:9720
.LBB68_110:
	s_or_b64 exec, exec, s[2:3]
	v_mov_b32_e32 v41, s55
	v_add_co_u32_e32 v40, vcc, s7, v127
	v_addc_co_u32_e32 v41, vcc, 0, v41, vcc
	s_movk_i32 s2, 0x1000
	v_add_co_u32_e32 v60, vcc, s2, v40
	v_addc_co_u32_e32 v61, vcc, 0, v41, vcc
	s_movk_i32 s2, 0x2000
	s_waitcnt lgkmcnt(0)
	; wave barrier
	s_waitcnt lgkmcnt(0)
	flat_load_dwordx2 v[44:45], v[40:41]
	flat_load_dwordx2 v[46:47], v[40:41] offset:512
	flat_load_dwordx2 v[48:49], v[40:41] offset:1024
	;; [unrolled: 1-line block ×7, first 2 shown]
	v_add_co_u32_e32 v40, vcc, s2, v40
	v_addc_co_u32_e32 v41, vcc, 0, v41, vcc
	flat_load_dwordx2 v[62:63], v[60:61]
	flat_load_dwordx2 v[64:65], v[60:61] offset:512
	flat_load_dwordx2 v[66:67], v[60:61] offset:1024
	;; [unrolled: 1-line block ×7, first 2 shown]
	s_nop 0
	flat_load_dwordx2 v[60:61], v[40:41]
	flat_load_dwordx2 v[78:79], v[40:41] offset:512
	flat_load_dwordx2 v[80:81], v[40:41] offset:1024
	v_cmp_ne_u64_e32 vcc, v[34:35], v[36:37]
	v_cndmask_b32_e64 v110, 0, 1, vcc
	v_cmp_ne_u64_e32 vcc, v[32:33], v[34:35]
	v_cndmask_b32_e64 v126, 0, 1, vcc
	;; [unrolled: 2-line block ×14, first 2 shown]
	v_cmp_ne_u64_e32 vcc, v[2:3], v[4:5]
	v_cmp_ne_u64_e64 s[2:3], v[36:37], v[38:39]
	v_cndmask_b32_e64 v113, 0, 1, vcc
	v_cmp_ne_u64_e32 vcc, v[16:17], v[2:3]
	v_cndmask_b32_e64 v111, 0, 1, vcc
	v_cmp_ne_u64_e32 vcc, v[14:15], v[16:17]
	v_cndmask_b32_e64 v112, 0, 1, vcc
	s_waitcnt vmcnt(0)
	v_cmp_ne_u64_e32 vcc, v[42:43], v[14:15]
	s_mov_b64 s[10:11], -1
                                        ; implicit-def: $sgpr76
                                        ; implicit-def: $sgpr8_sgpr9
                                        ; implicit-def: $vgpr42_vgpr43
                                        ; implicit-def: $vgpr34_vgpr35
                                        ; implicit-def: $vgpr26_vgpr27
                                        ; implicit-def: $vgpr14_vgpr15
	s_waitcnt lgkmcnt(0)
	ds_write2st64_b64 v127, v[44:45], v[46:47] offset1:1
	ds_write2st64_b64 v127, v[48:49], v[50:51] offset0:2 offset1:3
	ds_write2st64_b64 v127, v[52:53], v[54:55] offset0:4 offset1:5
	ds_write2st64_b64 v127, v[56:57], v[58:59] offset0:6 offset1:7
	ds_write2st64_b64 v127, v[62:63], v[64:65] offset0:8 offset1:9
	ds_write2st64_b64 v127, v[66:67], v[68:69] offset0:10 offset1:11
	ds_write2st64_b64 v127, v[70:71], v[72:73] offset0:12 offset1:13
	ds_write2st64_b64 v127, v[74:75], v[76:77] offset0:14 offset1:15
	ds_write2st64_b64 v127, v[60:61], v[78:79] offset0:16 offset1:17
	ds_write_b64 v127, v[80:81] offset:9216
	s_waitcnt lgkmcnt(0)
	; wave barrier
	s_waitcnt lgkmcnt(0)
	ds_read2_b64 v[2:5], v1 offset1:1
	ds_read2_b64 v[10:13], v1 offset0:2 offset1:3
	ds_read2_b64 v[18:21], v1 offset0:4 offset1:5
	;; [unrolled: 1-line block ×8, first 2 shown]
	ds_read_b64 v[8:9], v1 offset:144
	v_cndmask_b32_e64 v1, 0, 1, vcc
                                        ; implicit-def: $vgpr70_vgpr71
                                        ; implicit-def: $vgpr66_vgpr67
                                        ; implicit-def: $vgpr62_vgpr63
                                        ; implicit-def: $vgpr50_vgpr51
.LBB68_111:
	s_waitcnt lgkmcnt(0)
	v_pk_mov_b32 v[16:17], s[8:9], s[8:9] op_sel:[0,1]
	v_mov_b32_e32 v36, s76
	s_and_saveexec_b64 s[4:5], s[10:11]
; %bb.112:
	v_cndmask_b32_e64 v36, 0, 1, s[2:3]
	v_pk_mov_b32 v[14:15], v[4:5], v[4:5] op_sel:[0,1]
	v_pk_mov_b32 v[26:27], v[12:13], v[12:13] op_sel:[0,1]
	;; [unrolled: 1-line block ×10, first 2 shown]
; %bb.113:
	s_or_b64 exec, exec, s[4:5]
	v_or_b32_e32 v4, v36, v110
	s_cmp_lg_u32 s6, 0
	v_or_b32_e32 v33, v4, v126
	v_mbcnt_lo_u32_b32 v32, -1, 0
	s_waitcnt lgkmcnt(0)
	; wave barrier
	s_cbranch_scc0 .LBB68_178
; %bb.114:
	v_mov_b32_e32 v9, 0
	v_cmp_eq_u16_sdwa s[38:39], v112, v9 src0_sel:BYTE_0 src1_sel:DWORD
	v_cndmask_b32_e64 v4, 1, v2, s[38:39]
	v_cndmask_b32_e64 v5, 0, v3, s[38:39]
	v_mul_lo_u32 v12, v5, v14
	v_mul_lo_u32 v13, v4, v15
	v_mad_u64_u32 v[4:5], s[2:3], v4, v14, 0
	v_add3_u32 v5, v5, v13, v12
	v_cmp_eq_u16_sdwa s[36:37], v111, v9 src0_sel:BYTE_0 src1_sel:DWORD
	v_cndmask_b32_e64 v5, 0, v5, s[36:37]
	v_cndmask_b32_e64 v4, 1, v4, s[36:37]
	v_mul_lo_u32 v12, v5, v10
	v_mul_lo_u32 v13, v4, v11
	v_mad_u64_u32 v[4:5], s[2:3], v4, v10, 0
	v_add3_u32 v5, v5, v13, v12
	;; [unrolled: 7-line block ×18, first 2 shown]
	v_or_b32_e32 v9, v33, v125
	v_or_b32_e32 v9, v9, v124
	;; [unrolled: 1-line block ×15, first 2 shown]
	v_and_b32_e32 v9, 1, v9
	v_and_b32_e32 v8, 0xff, v1
	v_cmp_eq_u32_e32 vcc, 1, v9
	v_mbcnt_hi_u32_b32 v28, -1, v32
	v_cndmask_b32_e64 v12, v8, 1, vcc
	v_and_b32_e32 v13, 15, v28
	v_mov_b32_dpp v21, v4 row_shr:1 row_mask:0xf bank_mask:0xf
	v_mov_b32_dpp v24, v5 row_shr:1 row_mask:0xf bank_mask:0xf
	;; [unrolled: 1-line block ×3, first 2 shown]
	v_cmp_ne_u32_e32 vcc, 0, v13
	v_mov_b32_e32 v9, v5
	v_mov_b32_e32 v8, v4
	s_and_saveexec_b64 s[40:41], vcc
; %bb.115:
	v_cmp_eq_u32_e32 vcc, 0, v12
	v_cndmask_b32_e32 v8, 1, v21, vcc
	v_cndmask_b32_e32 v21, 0, v24, vcc
	v_mul_lo_u32 v5, v8, v5
	v_mad_u64_u32 v[8:9], s[44:45], v8, v4, 0
	v_mul_lo_u32 v4, v21, v4
	v_add3_u32 v9, v9, v5, v4
	v_and_or_b32 v12, v20, 1, v12
	v_pk_mov_b32 v[4:5], v[8:9], v[8:9] op_sel:[0,1]
; %bb.116:
	s_or_b64 exec, exec, s[40:41]
	v_mov_b32_dpp v21, v8 row_shr:2 row_mask:0xf bank_mask:0xf
	v_mov_b32_dpp v24, v9 row_shr:2 row_mask:0xf bank_mask:0xf
	v_mov_b32_dpp v20, v12 row_shr:2 row_mask:0xf bank_mask:0xf
	v_cmp_lt_u32_e32 vcc, 1, v13
	s_and_saveexec_b64 s[40:41], vcc
; %bb.117:
	v_cmp_eq_u32_e32 vcc, 0, v12
	v_cndmask_b32_e32 v8, 1, v21, vcc
	v_cndmask_b32_e32 v21, 0, v24, vcc
	v_mul_lo_u32 v5, v8, v5
	v_mad_u64_u32 v[8:9], s[44:45], v8, v4, 0
	v_mul_lo_u32 v4, v21, v4
	v_add3_u32 v9, v9, v5, v4
	v_or_b32_e32 v4, v20, v12
	v_and_b32_e32 v12, 1, v4
	v_pk_mov_b32 v[4:5], v[8:9], v[8:9] op_sel:[0,1]
; %bb.118:
	s_or_b64 exec, exec, s[40:41]
	v_mov_b32_dpp v21, v8 row_shr:4 row_mask:0xf bank_mask:0xf
	v_mov_b32_dpp v24, v9 row_shr:4 row_mask:0xf bank_mask:0xf
	v_mov_b32_dpp v20, v12 row_shr:4 row_mask:0xf bank_mask:0xf
	v_cmp_lt_u32_e32 vcc, 3, v13
	s_and_saveexec_b64 s[40:41], vcc
; %bb.119:
	v_cmp_eq_u32_e32 vcc, 0, v12
	v_cndmask_b32_e32 v8, 1, v21, vcc
	v_cndmask_b32_e32 v21, 0, v24, vcc
	v_mul_lo_u32 v5, v8, v5
	v_mad_u64_u32 v[8:9], s[44:45], v8, v4, 0
	v_mul_lo_u32 v4, v21, v4
	v_add3_u32 v9, v9, v5, v4
	v_or_b32_e32 v4, v20, v12
	v_and_b32_e32 v12, 1, v4
	;; [unrolled: 18-line block ×3, first 2 shown]
	v_pk_mov_b32 v[4:5], v[8:9], v[8:9] op_sel:[0,1]
; %bb.122:
	s_or_b64 exec, exec, s[40:41]
	v_and_b32_e32 v24, 16, v28
	v_mov_b32_dpp v20, v8 row_bcast:15 row_mask:0xf bank_mask:0xf
	v_mov_b32_dpp v21, v9 row_bcast:15 row_mask:0xf bank_mask:0xf
	;; [unrolled: 1-line block ×3, first 2 shown]
	v_cmp_ne_u32_e32 vcc, 0, v24
	s_and_saveexec_b64 s[40:41], vcc
; %bb.123:
	v_cmp_eq_u32_e32 vcc, 0, v12
	v_cndmask_b32_e32 v8, 1, v20, vcc
	v_cndmask_b32_e32 v20, 0, v21, vcc
	v_mul_lo_u32 v5, v8, v5
	v_mad_u64_u32 v[8:9], s[44:45], v8, v4, 0
	v_mul_lo_u32 v4, v20, v4
	v_add3_u32 v9, v9, v5, v4
	v_or_b32_e32 v4, v13, v12
	v_and_b32_e32 v12, 1, v4
	v_pk_mov_b32 v[4:5], v[8:9], v[8:9] op_sel:[0,1]
; %bb.124:
	s_or_b64 exec, exec, s[40:41]
	v_mov_b32_dpp v13, v8 row_bcast:31 row_mask:0xf bank_mask:0xf
	v_mov_b32_dpp v20, v9 row_bcast:31 row_mask:0xf bank_mask:0xf
	;; [unrolled: 1-line block ×3, first 2 shown]
	v_cmp_lt_u32_e32 vcc, 31, v28
	v_mov_b32_e32 v8, v12
	s_and_saveexec_b64 s[40:41], vcc
; %bb.125:
	v_cmp_eq_u32_e32 vcc, 0, v12
	v_cndmask_b32_e32 v8, 1, v13, vcc
	v_cndmask_b32_e32 v13, 0, v20, vcc
	v_mul_lo_u32 v5, v8, v5
	v_mad_u64_u32 v[20:21], s[44:45], v8, v4, 0
	v_mul_lo_u32 v4, v13, v4
	v_add3_u32 v21, v21, v5, v4
	v_or_b32_e32 v4, v9, v12
	v_and_b32_e32 v8, 1, v4
	v_and_b32_e32 v12, 1, v4
	v_pk_mov_b32 v[4:5], v[20:21], v[20:21] op_sel:[0,1]
; %bb.126:
	s_or_b64 exec, exec, s[40:41]
	v_cmp_eq_u32_e32 vcc, 63, v0
	s_and_saveexec_b64 s[40:41], vcc
	s_cbranch_execz .LBB68_128
; %bb.127:
	v_mov_b32_e32 v9, 0
	ds_write_b64 v9, v[4:5]
	ds_write_b8 v9, v8 offset:8
.LBB68_128:
	s_or_b64 exec, exec, s[40:41]
	v_add_u32_e32 v8, -1, v28
	v_and_b32_e32 v9, 64, v28
	v_cmp_lt_i32_e32 vcc, v8, v9
	v_cndmask_b32_e32 v8, v8, v28, vcc
	v_lshlrev_b32_e32 v8, 2, v8
	ds_bpermute_b32 v37, v8, v4
	ds_bpermute_b32 v40, v8, v5
	;; [unrolled: 1-line block ×3, first 2 shown]
	v_cmp_gt_u32_e32 vcc, 64, v0
	s_waitcnt lgkmcnt(0)
	; wave barrier
	s_waitcnt lgkmcnt(0)
	s_and_saveexec_b64 s[56:57], vcc
	s_cbranch_execz .LBB68_175
; %bb.129:
	v_mov_b32_e32 v13, 0
	ds_read_b64 v[4:5], v13
	ds_read_u8 v44, v13 offset:8
	s_mov_b32 s63, 0
	v_cmp_eq_u32_e64 s[40:41], 0, v28
	s_and_saveexec_b64 s[44:45], s[40:41]
	s_cbranch_execz .LBB68_131
; %bb.130:
	s_add_i32 s62, s6, 64
	s_lshl_b64 s[68:69], s[62:63], 4
	s_add_u32 s68, s48, s68
	s_addc_u32 s69, s49, s69
	v_mov_b32_e32 v8, s62
	v_mov_b32_e32 v9, 1
	s_waitcnt lgkmcnt(1)
	global_store_dwordx2 v13, v[4:5], s[68:69]
	s_waitcnt lgkmcnt(0)
	global_store_byte v13, v44, s[68:69] offset:8
	s_waitcnt vmcnt(0)
	buffer_wbinvl1_vol
	global_store_byte v8, v9, s[52:53]
.LBB68_131:
	s_or_b64 exec, exec, s[44:45]
	v_xad_u32 v8, v28, -1, s6
	v_add_u32_e32 v12, 64, v8
	global_load_ubyte v45, v12, s[52:53] glc
	s_waitcnt vmcnt(0)
	v_cmp_eq_u16_e32 vcc, 0, v45
	s_and_saveexec_b64 s[44:45], vcc
	s_cbranch_execz .LBB68_137
; %bb.132:
	v_mov_b32_e32 v9, s53
	v_add_co_u32_e32 v20, vcc, s52, v12
	v_addc_co_u32_e32 v21, vcc, 0, v9, vcc
	s_mov_b32 s7, 1
	s_mov_b64 s[62:63], 0
.LBB68_133:                             ; =>This Loop Header: Depth=1
                                        ;     Child Loop BB68_134 Depth 2
	s_max_u32 s55, s7, 1
.LBB68_134:                             ;   Parent Loop BB68_133 Depth=1
                                        ; =>  This Inner Loop Header: Depth=2
	s_add_i32 s55, s55, -1
	s_cmp_eq_u32 s55, 0
	s_sleep 1
	s_cbranch_scc0 .LBB68_134
; %bb.135:                              ;   in Loop: Header=BB68_133 Depth=1
	global_load_ubyte v45, v[20:21], off glc
	s_cmp_lt_u32 s7, 32
	s_cselect_b64 s[68:69], -1, 0
	s_cmp_lg_u64 s[68:69], 0
	s_addc_u32 s7, s7, 0
	s_waitcnt vmcnt(0)
	v_cmp_ne_u16_e32 vcc, 0, v45
	s_or_b64 s[62:63], vcc, s[62:63]
	s_andn2_b64 exec, exec, s[62:63]
	s_cbranch_execnz .LBB68_133
; %bb.136:
	s_or_b64 exec, exec, s[62:63]
.LBB68_137:
	s_or_b64 exec, exec, s[44:45]
	v_mov_b32_e32 v9, s51
	v_mov_b32_e32 v20, s49
	v_cmp_eq_u16_e32 vcc, 1, v45
	v_cndmask_b32_e32 v9, v9, v20, vcc
	v_mov_b32_e32 v20, s50
	v_mov_b32_e32 v21, s48
	v_cndmask_b32_e32 v20, v20, v21, vcc
	v_lshlrev_b64 v[12:13], 4, v[12:13]
	v_add_co_u32_e32 v12, vcc, v20, v12
	v_addc_co_u32_e32 v13, vcc, v9, v13, vcc
	s_waitcnt lgkmcnt(0)
	buffer_wbinvl1_vol
	global_load_dwordx2 v[24:25], v[12:13], off
	global_load_ubyte v29, v[12:13], off offset:8
	v_cmp_eq_u16_e32 vcc, 2, v45
	v_lshlrev_b64 v[12:13], v28, -1
	v_and_b32_e32 v48, 63, v28
	v_and_b32_e32 v9, vcc_hi, v13
	v_and_b32_e32 v20, vcc_lo, v12
	v_cmp_ne_u32_e32 vcc, 63, v48
	v_addc_co_u32_e32 v21, vcc, 0, v28, vcc
	v_lshlrev_b32_e32 v49, 2, v21
	v_or_b32_e32 v9, 0x80000000, v9
	v_ffbl_b32_e32 v9, v9
	v_ffbl_b32_e32 v20, v20
	v_add_u32_e32 v9, 32, v9
	v_min_u32_e32 v9, v20, v9
	v_cmp_lt_u32_e32 vcc, v48, v9
	s_waitcnt vmcnt(1)
	ds_bpermute_b32 v53, v49, v24
	s_waitcnt vmcnt(0)
	v_and_b32_e32 v68, 1, v29
	ds_bpermute_b32 v56, v49, v25
	ds_bpermute_b32 v52, v49, v68
	v_mov_b32_e32 v21, v25
	v_mov_b32_e32 v20, v24
	s_and_saveexec_b64 s[44:45], vcc
	s_cbranch_execz .LBB68_139
; %bb.138:
	v_mov_b32_e32 v20, 0
	v_cmp_eq_u16_sdwa vcc, v29, v20 src0_sel:BYTE_0 src1_sel:DWORD
	s_waitcnt lgkmcnt(2)
	v_cndmask_b32_e32 v20, 1, v53, vcc
	s_waitcnt lgkmcnt(1)
	v_cndmask_b32_e32 v53, 0, v56, vcc
	v_mul_lo_u32 v25, v20, v25
	v_mad_u64_u32 v[20:21], s[62:63], v20, v24, 0
	v_mul_lo_u32 v24, v53, v24
	v_add3_u32 v21, v21, v25, v24
	s_waitcnt lgkmcnt(0)
	v_and_b32_e32 v24, 1, v52
	v_or_b32_e32 v29, v24, v29
	v_and_b32_e32 v68, 0xff, v29
	v_pk_mov_b32 v[24:25], v[20:21], v[20:21] op_sel:[0,1]
.LBB68_139:
	s_or_b64 exec, exec, s[44:45]
	v_cmp_gt_u32_e32 vcc, 62, v48
	s_waitcnt lgkmcnt(0)
	v_cndmask_b32_e64 v52, 0, 1, vcc
	v_lshlrev_b32_e32 v52, 1, v52
	v_add_lshl_u32 v52, v52, v28, 2
	ds_bpermute_b32 v57, v52, v20
	ds_bpermute_b32 v60, v52, v21
	ds_bpermute_b32 v56, v52, v68
	v_add_u32_e32 v53, 2, v48
	v_cmp_le_u32_e32 vcc, v53, v9
	s_and_saveexec_b64 s[62:63], vcc
	s_cbranch_execz .LBB68_141
; %bb.140:
	v_mov_b32_e32 v20, 0
	v_cmp_eq_u16_sdwa vcc, v29, v20 src0_sel:BYTE_0 src1_sel:DWORD
	s_waitcnt lgkmcnt(2)
	v_cndmask_b32_e32 v20, 1, v57, vcc
	s_waitcnt lgkmcnt(1)
	v_cndmask_b32_e32 v57, 0, v60, vcc
	v_mul_lo_u32 v25, v20, v25
	v_mad_u64_u32 v[20:21], s[44:45], v20, v24, 0
	v_mul_lo_u32 v24, v57, v24
	v_add3_u32 v21, v21, v25, v24
	v_and_b32_e32 v24, 1, v29
	v_cmp_eq_u32_e32 vcc, 1, v24
	s_waitcnt lgkmcnt(0)
	v_and_b32_e32 v24, 1, v56
	v_cmp_eq_u32_e64 s[44:45], 1, v24
	s_or_b64 s[44:45], vcc, s[44:45]
	v_cndmask_b32_e64 v29, 0, 1, s[44:45]
	v_cndmask_b32_e64 v68, 0, 1, s[44:45]
	v_pk_mov_b32 v[24:25], v[20:21], v[20:21] op_sel:[0,1]
.LBB68_141:
	s_or_b64 exec, exec, s[62:63]
	v_cmp_gt_u32_e32 vcc, 60, v48
	s_waitcnt lgkmcnt(0)
	v_cndmask_b32_e64 v56, 0, 1, vcc
	v_lshlrev_b32_e32 v56, 2, v56
	v_add_lshl_u32 v56, v56, v28, 2
	ds_bpermute_b32 v61, v56, v20
	ds_bpermute_b32 v64, v56, v21
	ds_bpermute_b32 v60, v56, v68
	v_add_u32_e32 v57, 4, v48
	v_cmp_le_u32_e32 vcc, v57, v9
	s_and_saveexec_b64 s[62:63], vcc
	s_cbranch_execz .LBB68_143
; %bb.142:
	v_mov_b32_e32 v20, 0
	v_cmp_eq_u16_sdwa vcc, v29, v20 src0_sel:BYTE_0 src1_sel:DWORD
	s_waitcnt lgkmcnt(2)
	v_cndmask_b32_e32 v20, 1, v61, vcc
	s_waitcnt lgkmcnt(1)
	v_cndmask_b32_e32 v61, 0, v64, vcc
	v_mul_lo_u32 v25, v20, v25
	v_mad_u64_u32 v[20:21], s[44:45], v20, v24, 0
	v_mul_lo_u32 v24, v61, v24
	v_add3_u32 v21, v21, v25, v24
	v_and_b32_e32 v24, 1, v29
	v_cmp_eq_u32_e32 vcc, 1, v24
	s_waitcnt lgkmcnt(0)
	v_and_b32_e32 v24, 1, v60
	v_cmp_eq_u32_e64 s[44:45], 1, v24
	s_or_b64 s[44:45], vcc, s[44:45]
	v_cndmask_b32_e64 v29, 0, 1, s[44:45]
	v_cndmask_b32_e64 v68, 0, 1, s[44:45]
	v_pk_mov_b32 v[24:25], v[20:21], v[20:21] op_sel:[0,1]
.LBB68_143:
	;; [unrolled: 34-line block ×4, first 2 shown]
	s_or_b64 exec, exec, s[62:63]
	v_cmp_gt_u32_e32 vcc, 32, v48
	s_waitcnt lgkmcnt(0)
	v_cndmask_b32_e64 v69, 0, 1, vcc
	v_lshlrev_b32_e32 v69, 5, v69
	v_add_lshl_u32 v69, v69, v28, 2
	ds_bpermute_b32 v28, v69, v20
	ds_bpermute_b32 v21, v69, v21
	;; [unrolled: 1-line block ×3, first 2 shown]
	v_add_u32_e32 v72, 32, v48
	v_cmp_le_u32_e32 vcc, v72, v9
	s_and_saveexec_b64 s[62:63], vcc
	s_cbranch_execz .LBB68_149
; %bb.148:
	v_mov_b32_e32 v9, 0
	v_cmp_eq_u16_sdwa vcc, v29, v9 src0_sel:BYTE_0 src1_sel:DWORD
	s_waitcnt lgkmcnt(2)
	v_cndmask_b32_e32 v9, 1, v28, vcc
	s_waitcnt lgkmcnt(1)
	v_cndmask_b32_e32 v21, 0, v21, vcc
	v_mul_lo_u32 v25, v9, v25
	v_mad_u64_u32 v[74:75], s[44:45], v9, v24, 0
	v_mul_lo_u32 v9, v21, v24
	v_add3_u32 v75, v75, v25, v9
	v_and_b32_e32 v9, 1, v29
	v_cmp_eq_u32_e32 vcc, 1, v9
	s_waitcnt lgkmcnt(0)
	v_and_b32_e32 v9, 1, v20
	v_cmp_eq_u32_e64 s[44:45], 1, v9
	s_or_b64 s[44:45], vcc, s[44:45]
	v_cndmask_b32_e64 v29, 0, 1, s[44:45]
	v_pk_mov_b32 v[24:25], v[74:75], v[74:75] op_sel:[0,1]
.LBB68_149:
	s_or_b64 exec, exec, s[62:63]
	v_mov_b32_e32 v9, 0
	v_mov_b32_e32 v73, 2
	s_branch .LBB68_151
.LBB68_150:                             ;   in Loop: Header=BB68_151 Depth=1
	s_or_b64 exec, exec, s[68:69]
	v_cmp_eq_u16_sdwa vcc, v68, v9 src0_sel:BYTE_0 src1_sel:DWORD
	s_waitcnt lgkmcnt(0)
	v_cndmask_b32_e32 v24, 1, v28, vcc
	v_cndmask_b32_e32 v25, 0, v29, vcc
	v_mul_lo_u32 v28, v25, v20
	v_mul_lo_u32 v29, v24, v21
	v_mad_u64_u32 v[24:25], s[44:45], v24, v20, 0
	v_add3_u32 v25, v25, v29, v28
	v_and_b32_e32 v28, 1, v68
	v_cmp_eq_u32_e32 vcc, 1, v28
	s_or_b64 s[44:45], vcc, s[62:63]
	v_subrev_u32_e32 v8, 64, v8
	v_cndmask_b32_e64 v29, 0, 1, s[44:45]
.LBB68_151:                             ; =>This Loop Header: Depth=1
                                        ;     Child Loop BB68_154 Depth 2
                                        ;       Child Loop BB68_155 Depth 3
	v_cmp_ne_u16_sdwa s[44:45], v45, v73 src0_sel:BYTE_0 src1_sel:DWORD
	s_waitcnt lgkmcnt(0)
	v_cndmask_b32_e64 v20, 0, 1, s[44:45]
	;;#ASMSTART
	;;#ASMEND
	v_cmp_ne_u32_e32 vcc, 0, v20
	v_mov_b32_e32 v68, v29
	s_cmp_lg_u64 vcc, exec
	v_pk_mov_b32 v[20:21], v[24:25], v[24:25] op_sel:[0,1]
	s_cbranch_scc1 .LBB68_170
; %bb.152:                              ;   in Loop: Header=BB68_151 Depth=1
	global_load_ubyte v45, v8, s[52:53] glc
	s_waitcnt vmcnt(0)
	v_cmp_eq_u16_e32 vcc, 0, v45
	s_and_saveexec_b64 s[44:45], vcc
	s_cbranch_execz .LBB68_158
; %bb.153:                              ;   in Loop: Header=BB68_151 Depth=1
	v_mov_b32_e32 v25, s53
	v_add_co_u32_e32 v24, vcc, s52, v8
	v_addc_co_u32_e32 v25, vcc, 0, v25, vcc
	s_mov_b32 s7, 1
	s_mov_b64 s[62:63], 0
.LBB68_154:                             ;   Parent Loop BB68_151 Depth=1
                                        ; =>  This Loop Header: Depth=2
                                        ;       Child Loop BB68_155 Depth 3
	s_max_u32 s55, s7, 1
.LBB68_155:                             ;   Parent Loop BB68_151 Depth=1
                                        ;     Parent Loop BB68_154 Depth=2
                                        ; =>    This Inner Loop Header: Depth=3
	s_add_i32 s55, s55, -1
	s_cmp_eq_u32 s55, 0
	s_sleep 1
	s_cbranch_scc0 .LBB68_155
; %bb.156:                              ;   in Loop: Header=BB68_154 Depth=2
	global_load_ubyte v45, v[24:25], off glc
	s_cmp_lt_u32 s7, 32
	s_cselect_b64 s[68:69], -1, 0
	s_cmp_lg_u64 s[68:69], 0
	s_addc_u32 s7, s7, 0
	s_waitcnt vmcnt(0)
	v_cmp_ne_u16_e32 vcc, 0, v45
	s_or_b64 s[62:63], vcc, s[62:63]
	s_andn2_b64 exec, exec, s[62:63]
	s_cbranch_execnz .LBB68_154
; %bb.157:                              ;   in Loop: Header=BB68_151 Depth=1
	s_or_b64 exec, exec, s[62:63]
.LBB68_158:                             ;   in Loop: Header=BB68_151 Depth=1
	s_or_b64 exec, exec, s[44:45]
	v_mov_b32_e32 v24, s51
	v_mov_b32_e32 v25, s49
	v_cmp_eq_u16_e32 vcc, 1, v45
	v_cndmask_b32_e32 v28, v24, v25, vcc
	v_mov_b32_e32 v24, s50
	v_mov_b32_e32 v25, s48
	v_cndmask_b32_e32 v29, v24, v25, vcc
	v_lshlrev_b64 v[24:25], 4, v[8:9]
	v_add_co_u32_e32 v24, vcc, v29, v24
	v_addc_co_u32_e32 v25, vcc, v28, v25, vcc
	buffer_wbinvl1_vol
	global_load_dwordx2 v[28:29], v[24:25], off
	global_load_ubyte v74, v[24:25], off offset:8
	v_cmp_eq_u16_e32 vcc, 2, v45
	v_and_b32_e32 v24, vcc_hi, v13
	v_or_b32_e32 v24, 0x80000000, v24
	v_and_b32_e32 v25, vcc_lo, v12
	v_ffbl_b32_e32 v24, v24
	v_ffbl_b32_e32 v25, v25
	v_add_u32_e32 v24, 32, v24
	v_min_u32_e32 v75, v25, v24
	v_cmp_lt_u32_e32 vcc, v48, v75
	s_waitcnt vmcnt(1)
	ds_bpermute_b32 v78, v49, v28
	s_waitcnt vmcnt(0)
	v_and_b32_e32 v76, 1, v74
	ds_bpermute_b32 v79, v49, v29
	ds_bpermute_b32 v77, v49, v76
	v_mov_b32_e32 v25, v29
	v_mov_b32_e32 v24, v28
	s_and_saveexec_b64 s[44:45], vcc
	s_cbranch_execz .LBB68_160
; %bb.159:                              ;   in Loop: Header=BB68_151 Depth=1
	v_cmp_eq_u16_sdwa vcc, v74, v9 src0_sel:BYTE_0 src1_sel:DWORD
	s_waitcnt lgkmcnt(2)
	v_cndmask_b32_e32 v24, 1, v78, vcc
	s_waitcnt lgkmcnt(1)
	v_cndmask_b32_e32 v76, 0, v79, vcc
	v_mul_lo_u32 v29, v24, v29
	v_mad_u64_u32 v[24:25], s[62:63], v24, v28, 0
	v_mul_lo_u32 v28, v76, v28
	v_add3_u32 v25, v25, v29, v28
	s_waitcnt lgkmcnt(0)
	v_and_b32_e32 v28, 1, v77
	v_or_b32_e32 v74, v28, v74
	v_and_b32_e32 v76, 0xff, v74
	v_pk_mov_b32 v[28:29], v[24:25], v[24:25] op_sel:[0,1]
.LBB68_160:                             ;   in Loop: Header=BB68_151 Depth=1
	s_or_b64 exec, exec, s[44:45]
	s_waitcnt lgkmcnt(2)
	ds_bpermute_b32 v78, v52, v24
	s_waitcnt lgkmcnt(2)
	ds_bpermute_b32 v79, v52, v25
	;; [unrolled: 2-line block ×3, first 2 shown]
	v_and_b32_e32 v80, 1, v74
	v_cmp_le_u32_e32 vcc, v53, v75
	v_cmp_eq_u32_e64 s[62:63], 1, v80
	s_and_saveexec_b64 s[44:45], vcc
	s_cbranch_execz .LBB68_162
; %bb.161:                              ;   in Loop: Header=BB68_151 Depth=1
	v_cmp_eq_u16_sdwa vcc, v74, v9 src0_sel:BYTE_0 src1_sel:DWORD
	s_waitcnt lgkmcnt(2)
	v_cndmask_b32_e32 v24, 1, v78, vcc
	s_waitcnt lgkmcnt(1)
	v_cndmask_b32_e32 v74, 0, v79, vcc
	v_mul_lo_u32 v29, v24, v29
	v_mad_u64_u32 v[24:25], s[68:69], v24, v28, 0
	v_mul_lo_u32 v28, v74, v28
	v_add3_u32 v25, v25, v29, v28
	s_waitcnt lgkmcnt(0)
	v_and_b32_e32 v28, 1, v77
	v_cmp_eq_u32_e32 vcc, 1, v28
	s_or_b64 s[68:69], s[62:63], vcc
	v_cndmask_b32_e64 v74, 0, 1, s[68:69]
	v_cndmask_b32_e64 v76, 0, 1, s[68:69]
	s_andn2_b64 s[62:63], s[62:63], exec
	s_and_b64 s[68:69], s[68:69], exec
	s_or_b64 s[62:63], s[62:63], s[68:69]
	v_pk_mov_b32 v[28:29], v[24:25], v[24:25] op_sel:[0,1]
.LBB68_162:                             ;   in Loop: Header=BB68_151 Depth=1
	s_or_b64 exec, exec, s[44:45]
	s_waitcnt lgkmcnt(2)
	ds_bpermute_b32 v78, v56, v24
	s_waitcnt lgkmcnt(2)
	ds_bpermute_b32 v79, v56, v25
	s_waitcnt lgkmcnt(2)
	ds_bpermute_b32 v77, v56, v76
	v_cmp_le_u32_e32 vcc, v57, v75
	s_and_saveexec_b64 s[68:69], vcc
	s_cbranch_execz .LBB68_164
; %bb.163:                              ;   in Loop: Header=BB68_151 Depth=1
	v_cmp_eq_u16_sdwa vcc, v74, v9 src0_sel:BYTE_0 src1_sel:DWORD
	s_waitcnt lgkmcnt(2)
	v_cndmask_b32_e32 v24, 1, v78, vcc
	s_waitcnt lgkmcnt(1)
	v_cndmask_b32_e32 v76, 0, v79, vcc
	v_mul_lo_u32 v29, v24, v29
	v_mad_u64_u32 v[24:25], s[44:45], v24, v28, 0
	v_mul_lo_u32 v28, v76, v28
	v_add3_u32 v25, v25, v29, v28
	v_and_b32_e32 v28, 1, v74
	v_cmp_eq_u32_e32 vcc, 1, v28
	s_waitcnt lgkmcnt(0)
	v_and_b32_e32 v28, 1, v77
	v_cmp_eq_u32_e64 s[44:45], 1, v28
	s_or_b64 s[44:45], vcc, s[44:45]
	v_cndmask_b32_e64 v74, 0, 1, s[44:45]
	v_cndmask_b32_e64 v76, 0, 1, s[44:45]
	s_andn2_b64 s[62:63], s[62:63], exec
	s_and_b64 s[44:45], s[44:45], exec
	s_or_b64 s[62:63], s[62:63], s[44:45]
	v_pk_mov_b32 v[28:29], v[24:25], v[24:25] op_sel:[0,1]
.LBB68_164:                             ;   in Loop: Header=BB68_151 Depth=1
	s_or_b64 exec, exec, s[68:69]
	s_waitcnt lgkmcnt(2)
	ds_bpermute_b32 v78, v60, v24
	s_waitcnt lgkmcnt(2)
	ds_bpermute_b32 v79, v60, v25
	s_waitcnt lgkmcnt(2)
	ds_bpermute_b32 v77, v60, v76
	v_cmp_le_u32_e32 vcc, v61, v75
	s_and_saveexec_b64 s[68:69], vcc
	s_cbranch_execz .LBB68_166
; %bb.165:                              ;   in Loop: Header=BB68_151 Depth=1
	v_cmp_eq_u16_sdwa vcc, v74, v9 src0_sel:BYTE_0 src1_sel:DWORD
	s_waitcnt lgkmcnt(2)
	v_cndmask_b32_e32 v24, 1, v78, vcc
	s_waitcnt lgkmcnt(1)
	v_cndmask_b32_e32 v76, 0, v79, vcc
	v_mul_lo_u32 v29, v24, v29
	v_mad_u64_u32 v[24:25], s[44:45], v24, v28, 0
	v_mul_lo_u32 v28, v76, v28
	v_add3_u32 v25, v25, v29, v28
	v_and_b32_e32 v28, 1, v74
	v_cmp_eq_u32_e32 vcc, 1, v28
	s_waitcnt lgkmcnt(0)
	v_and_b32_e32 v28, 1, v77
	v_cmp_eq_u32_e64 s[44:45], 1, v28
	s_or_b64 s[44:45], vcc, s[44:45]
	v_cndmask_b32_e64 v74, 0, 1, s[44:45]
	v_cndmask_b32_e64 v76, 0, 1, s[44:45]
	s_andn2_b64 s[62:63], s[62:63], exec
	s_and_b64 s[44:45], s[44:45], exec
	s_or_b64 s[62:63], s[62:63], s[44:45]
	v_pk_mov_b32 v[28:29], v[24:25], v[24:25] op_sel:[0,1]
.LBB68_166:                             ;   in Loop: Header=BB68_151 Depth=1
	;; [unrolled: 33-line block ×3, first 2 shown]
	s_or_b64 exec, exec, s[68:69]
	s_waitcnt lgkmcnt(0)
	ds_bpermute_b32 v77, v69, v24
	ds_bpermute_b32 v25, v69, v25
	;; [unrolled: 1-line block ×3, first 2 shown]
	v_cmp_le_u32_e32 vcc, v72, v75
	s_and_saveexec_b64 s[68:69], vcc
	s_cbranch_execz .LBB68_150
; %bb.169:                              ;   in Loop: Header=BB68_151 Depth=1
	v_cmp_eq_u16_sdwa vcc, v74, v9 src0_sel:BYTE_0 src1_sel:DWORD
	s_waitcnt lgkmcnt(2)
	v_cndmask_b32_e32 v75, 1, v77, vcc
	s_waitcnt lgkmcnt(1)
	v_cndmask_b32_e32 v25, 0, v25, vcc
	v_mul_lo_u32 v29, v75, v29
	v_mad_u64_u32 v[76:77], s[44:45], v75, v28, 0
	v_mul_lo_u32 v25, v25, v28
	v_add3_u32 v77, v77, v29, v25
	v_and_b32_e32 v25, 1, v74
	s_waitcnt lgkmcnt(0)
	v_and_b32_e32 v24, 1, v24
	v_cmp_eq_u32_e32 vcc, 1, v25
	v_cmp_eq_u32_e64 s[44:45], 1, v24
	s_or_b64 s[44:45], vcc, s[44:45]
	s_andn2_b64 s[62:63], s[62:63], exec
	s_and_b64 s[44:45], s[44:45], exec
	s_or_b64 s[62:63], s[62:63], s[44:45]
	v_pk_mov_b32 v[28:29], v[76:77], v[76:77] op_sel:[0,1]
	s_branch .LBB68_150
.LBB68_170:                             ;   in Loop: Header=BB68_151 Depth=1
                                        ; implicit-def: $vgpr29
                                        ; implicit-def: $vgpr24_vgpr25
                                        ; implicit-def: $vgpr45
	s_cbranch_execz .LBB68_151
; %bb.171:
	s_and_saveexec_b64 s[44:45], s[40:41]
	s_cbranch_execz .LBB68_173
; %bb.172:
	v_mov_b32_e32 v8, 0
	v_cmp_eq_u16_sdwa vcc, v44, v8 src0_sel:BYTE_0 src1_sel:DWORD
	v_cndmask_b32_e32 v9, 1, v20, vcc
	v_cndmask_b32_e32 v12, 0, v21, vcc
	s_mov_b32 s7, 0
	v_mul_lo_u32 v12, v12, v4
	v_mul_lo_u32 v13, v9, v5
	v_mad_u64_u32 v[4:5], s[40:41], v9, v4, 0
	s_add_i32 s6, s6, 64
	s_lshl_b64 s[40:41], s[6:7], 4
	s_add_u32 s40, s50, s40
	v_add3_u32 v5, v5, v13, v12
	v_or_b32_e32 v9, v44, v68
	s_addc_u32 s41, s51, s41
	v_and_b32_e32 v9, 1, v9
	global_store_dwordx2 v8, v[4:5], s[40:41]
	global_store_byte v8, v9, s[40:41] offset:8
	v_mov_b32_e32 v4, s6
	v_mov_b32_e32 v5, 2
	s_waitcnt vmcnt(0)
	buffer_wbinvl1_vol
	global_store_byte v4, v5, s[52:53]
.LBB68_173:
	s_or_b64 exec, exec, s[44:45]
	v_cmp_eq_u32_e32 vcc, 0, v0
	s_and_b64 exec, exec, vcc
	s_cbranch_execz .LBB68_175
; %bb.174:
	v_mov_b32_e32 v4, 0
	ds_write_b64 v4, v[20:21]
	ds_write_b8 v4, v68 offset:8
.LBB68_175:
	s_or_b64 exec, exec, s[56:57]
	v_mov_b32_e32 v12, 0
	s_waitcnt lgkmcnt(0)
	; wave barrier
	s_waitcnt lgkmcnt(0)
	ds_read_b64 v[4:5], v12
	v_cmp_ne_u32_e32 vcc, 0, v0
	v_mov_b32_e32 v13, v1
	v_pk_mov_b32 v[8:9], v[2:3], v[2:3] op_sel:[0,1]
	s_and_saveexec_b64 s[40:41], vcc
	s_cbranch_execz .LBB68_177
; %bb.176:
	v_and_b32_e32 v8, 1, v41
	v_cmp_eq_u32_e32 vcc, 1, v8
	v_and_b32_e32 v8, 1, v1
	v_cmp_eq_u32_e64 s[6:7], 1, v8
	s_or_b64 s[6:7], s[6:7], vcc
	v_cmp_eq_u16_sdwa vcc, v1, v12 src0_sel:BYTE_0 src1_sel:DWORD
	v_cndmask_b32_e32 v8, 1, v37, vcc
	v_cndmask_b32_e32 v20, 0, v40, vcc
	v_cndmask_b32_e64 v13, 0, 1, s[6:7]
	v_mul_lo_u32 v21, v8, v3
	v_mad_u64_u32 v[8:9], s[6:7], v8, v2, 0
	v_mul_lo_u32 v20, v20, v2
	v_add3_u32 v9, v9, v21, v20
.LBB68_177:
	s_or_b64 exec, exec, s[40:41]
	v_cmp_eq_u16_sdwa vcc, v13, v12 src0_sel:BYTE_0 src1_sel:DWORD
	s_waitcnt lgkmcnt(0)
	v_cndmask_b32_e32 v4, 1, v4, vcc
	v_cndmask_b32_e32 v5, 0, v5, vcc
	v_mul_lo_u32 v5, v5, v8
	v_mul_lo_u32 v9, v4, v9
	v_mad_u64_u32 v[102:103], s[6:7], v4, v8, 0
	v_add3_u32 v103, v103, v9, v5
	v_cndmask_b32_e64 v4, 0, v103, s[38:39]
	v_cndmask_b32_e64 v5, 1, v102, s[38:39]
	v_mul_lo_u32 v4, v4, v14
	v_mul_lo_u32 v8, v5, v15
	v_mad_u64_u32 v[40:41], s[6:7], v5, v14, 0
	v_add3_u32 v41, v41, v8, v4
	v_cndmask_b32_e64 v4, 0, v41, s[36:37]
	v_cndmask_b32_e64 v5, 1, v40, s[36:37]
	v_mul_lo_u32 v4, v4, v10
	v_mul_lo_u32 v8, v5, v11
	v_mad_u64_u32 v[72:73], s[6:7], v5, v10, 0
	v_add3_u32 v73, v73, v8, v4
	v_cndmask_b32_e64 v4, 0, v73, s[34:35]
	v_cndmask_b32_e64 v5, 1, v72, s[34:35]
	v_mul_lo_u32 v4, v4, v26
	v_mul_lo_u32 v8, v5, v27
	v_mad_u64_u32 v[44:45], s[6:7], v5, v26, 0
	v_add3_u32 v45, v45, v8, v4
	v_cndmask_b32_e64 v4, 0, v45, s[30:31]
	v_cndmask_b32_e64 v5, 1, v44, s[30:31]
	v_mul_lo_u32 v4, v4, v18
	v_mul_lo_u32 v8, v5, v19
	v_mad_u64_u32 v[76:77], s[6:7], v5, v18, 0
	v_add3_u32 v77, v77, v8, v4
	v_cndmask_b32_e64 v4, 0, v77, s[28:29]
	v_cndmask_b32_e64 v5, 1, v76, s[28:29]
	v_mul_lo_u32 v4, v4, v34
	v_mul_lo_u32 v8, v5, v35
	v_mad_u64_u32 v[48:49], s[6:7], v5, v34, 0
	v_add3_u32 v49, v49, v8, v4
	v_cndmask_b32_e64 v4, 0, v49, s[26:27]
	v_cndmask_b32_e64 v5, 1, v48, s[26:27]
	v_mul_lo_u32 v4, v4, v22
	v_mul_lo_u32 v8, v5, v23
	v_mad_u64_u32 v[80:81], s[6:7], v5, v22, 0
	v_add3_u32 v81, v81, v8, v4
	v_cndmask_b32_e64 v4, 0, v81, s[24:25]
	v_cndmask_b32_e64 v5, 1, v80, s[24:25]
	v_mul_lo_u32 v4, v4, v42
	v_mul_lo_u32 v8, v5, v43
	v_mad_u64_u32 v[52:53], s[6:7], v5, v42, 0
	v_add3_u32 v53, v53, v8, v4
	v_cndmask_b32_e64 v4, 0, v53, s[22:23]
	v_cndmask_b32_e64 v5, 1, v52, s[22:23]
	v_mul_lo_u32 v4, v4, v30
	v_mul_lo_u32 v8, v5, v31
	v_mad_u64_u32 v[84:85], s[6:7], v5, v30, 0
	v_add3_u32 v85, v85, v8, v4
	v_cndmask_b32_e64 v4, 0, v85, s[20:21]
	v_cndmask_b32_e64 v5, 1, v84, s[20:21]
	v_mul_lo_u32 v4, v4, v50
	v_mul_lo_u32 v8, v5, v51
	v_mad_u64_u32 v[56:57], s[6:7], v5, v50, 0
	v_add3_u32 v57, v57, v8, v4
	v_cndmask_b32_e64 v4, 0, v57, s[18:19]
	v_cndmask_b32_e64 v5, 1, v56, s[18:19]
	v_mul_lo_u32 v4, v4, v38
	v_mul_lo_u32 v8, v5, v39
	v_mad_u64_u32 v[88:89], s[6:7], v5, v38, 0
	v_add3_u32 v89, v89, v8, v4
	v_cndmask_b32_e64 v4, 0, v89, s[16:17]
	v_cndmask_b32_e64 v5, 1, v88, s[16:17]
	v_mul_lo_u32 v4, v4, v62
	v_mul_lo_u32 v8, v5, v63
	v_mad_u64_u32 v[60:61], s[6:7], v5, v62, 0
	v_add3_u32 v61, v61, v8, v4
	v_cndmask_b32_e64 v4, 0, v61, s[14:15]
	v_cndmask_b32_e64 v5, 1, v60, s[14:15]
	v_mul_lo_u32 v4, v4, v46
	v_mul_lo_u32 v8, v5, v47
	v_mad_u64_u32 v[92:93], s[6:7], v5, v46, 0
	v_add3_u32 v93, v93, v8, v4
	v_cndmask_b32_e64 v4, 0, v93, s[12:13]
	v_cndmask_b32_e64 v5, 1, v92, s[12:13]
	v_mul_lo_u32 v4, v4, v66
	v_mul_lo_u32 v8, v5, v67
	v_mad_u64_u32 v[64:65], s[6:7], v5, v66, 0
	v_add3_u32 v65, v65, v8, v4
	v_cndmask_b32_e64 v4, 0, v65, s[10:11]
	v_cndmask_b32_e64 v5, 1, v64, s[10:11]
	v_mul_lo_u32 v4, v4, v54
	v_mul_lo_u32 v8, v5, v55
	v_mad_u64_u32 v[96:97], s[6:7], v5, v54, 0
	v_add3_u32 v97, v97, v8, v4
	v_cndmask_b32_e64 v4, 0, v97, s[8:9]
	v_cndmask_b32_e64 v5, 1, v96, s[8:9]
	v_mul_lo_u32 v4, v4, v70
	v_mul_lo_u32 v8, v5, v71
	v_mad_u64_u32 v[68:69], s[6:7], v5, v70, 0
	v_add3_u32 v69, v69, v8, v4
	v_cndmask_b32_e64 v4, 0, v69, s[42:43]
	v_cndmask_b32_e64 v5, 1, v68, s[42:43]
	v_mul_lo_u32 v4, v4, v58
	v_mul_lo_u32 v8, v5, v59
	v_mad_u64_u32 v[100:101], s[6:7], v5, v58, 0
	v_add3_u32 v101, v101, v8, v4
	v_cndmask_b32_e64 v4, 0, v101, s[4:5]
	v_cndmask_b32_e64 v5, 1, v100, s[4:5]
	v_mul_lo_u32 v4, v4, v6
	v_mul_lo_u32 v8, v5, v7
	v_mad_u64_u32 v[106:107], s[4:5], v5, v6, 0
	v_add3_u32 v107, v107, v8, v4
	v_cndmask_b32_e64 v4, 0, v107, s[2:3]
	v_cndmask_b32_e64 v5, 1, v106, s[2:3]
	v_mul_lo_u32 v4, v4, v16
	v_mul_lo_u32 v8, v5, v17
	v_mad_u64_u32 v[108:109], s[2:3], v5, v16, 0
	v_add3_u32 v109, v109, v8, v4
	s_branch .LBB68_200
.LBB68_178:
                                        ; implicit-def: $vgpr100_vgpr101_vgpr102_vgpr103
                                        ; implicit-def: $vgpr108_vgpr109
                                        ; implicit-def: $vgpr106_vgpr107
                                        ; implicit-def: $vgpr68_vgpr69
                                        ; implicit-def: $vgpr64_vgpr65
                                        ; implicit-def: $vgpr60_vgpr61
                                        ; implicit-def: $vgpr56_vgpr57
                                        ; implicit-def: $vgpr52_vgpr53
                                        ; implicit-def: $vgpr48_vgpr49
                                        ; implicit-def: $vgpr44_vgpr45
                                        ; implicit-def: $vgpr40_vgpr41
                                        ; implicit-def: $vgpr96_vgpr97_vgpr98_vgpr99
                                        ; implicit-def: $vgpr92_vgpr93_vgpr94_vgpr95
                                        ; implicit-def: $vgpr88_vgpr89_vgpr90_vgpr91
                                        ; implicit-def: $vgpr84_vgpr85_vgpr86_vgpr87
                                        ; implicit-def: $vgpr80_vgpr81_vgpr82_vgpr83
                                        ; implicit-def: $vgpr76_vgpr77_vgpr78_vgpr79
                                        ; implicit-def: $vgpr72_vgpr73_vgpr74_vgpr75
                                        ; implicit-def: $vgpr102_vgpr103_vgpr104_vgpr105
	s_cbranch_execz .LBB68_200
; %bb.179:
	s_cmp_lg_u64 s[66:67], 0
	s_cselect_b32 s3, s59, 0
	s_cselect_b32 s2, s58, 0
	s_cmp_lg_u64 s[2:3], 0
	s_cselect_b64 s[4:5], -1, 0
	v_cmp_eq_u32_e32 vcc, 0, v0
	v_cmp_ne_u32_e64 s[14:15], 0, v0
	s_and_b64 s[6:7], vcc, s[4:5]
	s_and_saveexec_b64 s[4:5], s[6:7]
	s_cbranch_execz .LBB68_181
; %bb.180:
	v_mov_b32_e32 v8, 0
	global_load_dwordx2 v[4:5], v8, s[2:3]
	global_load_ubyte v9, v8, s[2:3] offset:8
	v_cmp_eq_u16_sdwa s[2:3], v1, v8 src0_sel:BYTE_0 src1_sel:DWORD
	s_waitcnt vmcnt(1)
	v_cndmask_b32_e64 v4, 1, v4, s[2:3]
	v_cndmask_b32_e64 v5, 0, v5, s[2:3]
	s_waitcnt vmcnt(0)
	v_or_b32_e32 v1, v1, v9
	v_mul_lo_u32 v5, v5, v2
	v_mul_lo_u32 v8, v4, v3
	v_mad_u64_u32 v[2:3], s[2:3], v4, v2, 0
	v_add3_u32 v3, v3, v8, v5
	v_and_b32_e32 v1, 1, v1
.LBB68_181:
	s_or_b64 exec, exec, s[4:5]
	v_mov_b32_e32 v5, 0
	v_cmp_eq_u16_sdwa s[40:41], v112, v5 src0_sel:BYTE_0 src1_sel:DWORD
	v_cndmask_b32_e64 v8, 1, v2, s[40:41]
	v_cndmask_b32_e64 v9, 0, v3, s[40:41]
	v_mul_lo_u32 v9, v9, v14
	v_mul_lo_u32 v12, v8, v15
	v_mad_u64_u32 v[40:41], s[2:3], v8, v14, 0
	v_add3_u32 v41, v41, v12, v9
	v_cmp_eq_u16_sdwa s[38:39], v111, v5 src0_sel:BYTE_0 src1_sel:DWORD
	v_cndmask_b32_e64 v8, 0, v41, s[38:39]
	v_cndmask_b32_e64 v9, 1, v40, s[38:39]
	v_mul_lo_u32 v8, v8, v10
	v_mul_lo_u32 v12, v9, v11
	v_mad_u64_u32 v[72:73], s[2:3], v9, v10, 0
	v_add3_u32 v73, v73, v12, v8
	v_cmp_eq_u16_sdwa s[36:37], v113, v5 src0_sel:BYTE_0 src1_sel:DWORD
	v_cndmask_b32_e64 v8, 0, v73, s[36:37]
	v_cndmask_b32_e64 v9, 1, v72, s[36:37]
	v_mul_lo_u32 v8, v8, v26
	v_mul_lo_u32 v12, v9, v27
	v_mad_u64_u32 v[44:45], s[2:3], v9, v26, 0
	v_add3_u32 v45, v45, v12, v8
	v_cmp_eq_u16_sdwa s[34:35], v114, v5 src0_sel:BYTE_0 src1_sel:DWORD
	v_cndmask_b32_e64 v8, 0, v45, s[34:35]
	v_cndmask_b32_e64 v9, 1, v44, s[34:35]
	v_mul_lo_u32 v8, v8, v18
	v_mul_lo_u32 v12, v9, v19
	v_mad_u64_u32 v[76:77], s[2:3], v9, v18, 0
	v_add3_u32 v77, v77, v12, v8
	v_cmp_eq_u16_sdwa s[30:31], v115, v5 src0_sel:BYTE_0 src1_sel:DWORD
	v_cndmask_b32_e64 v8, 0, v77, s[30:31]
	v_cndmask_b32_e64 v9, 1, v76, s[30:31]
	v_mul_lo_u32 v8, v8, v34
	v_mul_lo_u32 v12, v9, v35
	v_mad_u64_u32 v[48:49], s[2:3], v9, v34, 0
	v_add3_u32 v49, v49, v12, v8
	v_cmp_eq_u16_sdwa s[28:29], v116, v5 src0_sel:BYTE_0 src1_sel:DWORD
	v_cndmask_b32_e64 v8, 0, v49, s[28:29]
	v_cndmask_b32_e64 v9, 1, v48, s[28:29]
	v_mul_lo_u32 v8, v8, v22
	v_mul_lo_u32 v12, v9, v23
	v_mad_u64_u32 v[80:81], s[2:3], v9, v22, 0
	v_add3_u32 v81, v81, v12, v8
	v_cmp_eq_u16_sdwa s[26:27], v117, v5 src0_sel:BYTE_0 src1_sel:DWORD
	v_cndmask_b32_e64 v8, 0, v81, s[26:27]
	v_cndmask_b32_e64 v9, 1, v80, s[26:27]
	v_mul_lo_u32 v8, v8, v42
	v_mul_lo_u32 v12, v9, v43
	v_mad_u64_u32 v[52:53], s[2:3], v9, v42, 0
	v_add3_u32 v53, v53, v12, v8
	v_cmp_eq_u16_sdwa s[24:25], v118, v5 src0_sel:BYTE_0 src1_sel:DWORD
	v_cndmask_b32_e64 v8, 0, v53, s[24:25]
	v_cndmask_b32_e64 v9, 1, v52, s[24:25]
	v_mul_lo_u32 v8, v8, v30
	v_mul_lo_u32 v12, v9, v31
	v_mad_u64_u32 v[84:85], s[2:3], v9, v30, 0
	v_add3_u32 v85, v85, v12, v8
	v_cmp_eq_u16_sdwa s[22:23], v119, v5 src0_sel:BYTE_0 src1_sel:DWORD
	v_cndmask_b32_e64 v8, 0, v85, s[22:23]
	v_cndmask_b32_e64 v9, 1, v84, s[22:23]
	v_mul_lo_u32 v8, v8, v50
	v_mul_lo_u32 v12, v9, v51
	v_mad_u64_u32 v[56:57], s[2:3], v9, v50, 0
	v_add3_u32 v57, v57, v12, v8
	v_cmp_eq_u16_sdwa s[20:21], v120, v5 src0_sel:BYTE_0 src1_sel:DWORD
	v_cndmask_b32_e64 v8, 0, v57, s[20:21]
	v_cndmask_b32_e64 v9, 1, v56, s[20:21]
	v_mul_lo_u32 v8, v8, v38
	v_mul_lo_u32 v12, v9, v39
	v_mad_u64_u32 v[88:89], s[2:3], v9, v38, 0
	v_add3_u32 v89, v89, v12, v8
	v_cmp_eq_u16_sdwa s[18:19], v121, v5 src0_sel:BYTE_0 src1_sel:DWORD
	v_cndmask_b32_e64 v8, 0, v89, s[18:19]
	v_cndmask_b32_e64 v9, 1, v88, s[18:19]
	v_mul_lo_u32 v8, v8, v62
	v_mul_lo_u32 v12, v9, v63
	v_mad_u64_u32 v[60:61], s[2:3], v9, v62, 0
	v_add3_u32 v61, v61, v12, v8
	v_cmp_eq_u16_sdwa s[16:17], v122, v5 src0_sel:BYTE_0 src1_sel:DWORD
	v_cndmask_b32_e64 v8, 0, v61, s[16:17]
	v_cndmask_b32_e64 v9, 1, v60, s[16:17]
	v_mul_lo_u32 v8, v8, v46
	v_mul_lo_u32 v12, v9, v47
	v_mad_u64_u32 v[92:93], s[2:3], v9, v46, 0
	v_add3_u32 v93, v93, v12, v8
	v_cmp_eq_u16_sdwa s[12:13], v123, v5 src0_sel:BYTE_0 src1_sel:DWORD
	v_cndmask_b32_e64 v8, 0, v93, s[12:13]
	v_cndmask_b32_e64 v9, 1, v92, s[12:13]
	v_mul_lo_u32 v8, v8, v66
	v_mul_lo_u32 v12, v9, v67
	v_mad_u64_u32 v[64:65], s[2:3], v9, v66, 0
	v_add3_u32 v65, v65, v12, v8
	v_cmp_eq_u16_sdwa s[10:11], v124, v5 src0_sel:BYTE_0 src1_sel:DWORD
	v_cndmask_b32_e64 v8, 0, v65, s[10:11]
	v_cndmask_b32_e64 v9, 1, v64, s[10:11]
	v_mul_lo_u32 v8, v8, v54
	v_mul_lo_u32 v12, v9, v55
	v_mad_u64_u32 v[96:97], s[2:3], v9, v54, 0
	v_add3_u32 v97, v97, v12, v8
	v_cmp_eq_u16_sdwa s[8:9], v125, v5 src0_sel:BYTE_0 src1_sel:DWORD
	v_cndmask_b32_e64 v8, 0, v97, s[8:9]
	v_cndmask_b32_e64 v9, 1, v96, s[8:9]
	v_mul_lo_u32 v8, v8, v70
	v_mul_lo_u32 v12, v9, v71
	v_mad_u64_u32 v[68:69], s[2:3], v9, v70, 0
	v_add3_u32 v69, v69, v12, v8
	v_cmp_eq_u16_sdwa s[6:7], v126, v5 src0_sel:BYTE_0 src1_sel:DWORD
	v_cndmask_b32_e64 v8, 0, v69, s[6:7]
	v_cndmask_b32_e64 v9, 1, v68, s[6:7]
	v_mul_lo_u32 v8, v8, v58
	v_mul_lo_u32 v12, v9, v59
	v_mad_u64_u32 v[100:101], s[2:3], v9, v58, 0
	v_add3_u32 v101, v101, v12, v8
	v_cmp_eq_u16_sdwa s[4:5], v110, v5 src0_sel:BYTE_0 src1_sel:DWORD
	v_cndmask_b32_e64 v8, 0, v101, s[4:5]
	v_cndmask_b32_e64 v9, 1, v100, s[4:5]
	v_mul_lo_u32 v8, v8, v6
	v_mul_lo_u32 v12, v9, v7
	v_mad_u64_u32 v[106:107], s[2:3], v9, v6, 0
	v_add3_u32 v107, v107, v12, v8
	v_cmp_eq_u16_sdwa s[2:3], v36, v5 src0_sel:BYTE_0 src1_sel:DWORD
	v_cndmask_b32_e64 v5, 0, v107, s[2:3]
	v_cndmask_b32_e64 v8, 1, v106, s[2:3]
	v_mul_lo_u32 v5, v5, v16
	v_mul_lo_u32 v9, v8, v17
	v_mad_u64_u32 v[108:109], s[42:43], v8, v16, 0
	v_add3_u32 v109, v109, v9, v5
	v_or_b32_e32 v5, v33, v125
	v_or_b32_e32 v5, v5, v124
	;; [unrolled: 1-line block ×15, first 2 shown]
	v_and_b32_e32 v5, 1, v5
	v_and_b32_e32 v4, 0xff, v1
	v_cmp_eq_u32_e64 s[42:43], 1, v5
	v_mbcnt_hi_u32_b32 v12, -1, v32
	v_cndmask_b32_e64 v13, v4, 1, s[42:43]
	v_and_b32_e32 v20, 15, v12
	v_mov_b32_dpp v24, v108 row_shr:1 row_mask:0xf bank_mask:0xf
	v_mov_b32_dpp v25, v109 row_shr:1 row_mask:0xf bank_mask:0xf
	;; [unrolled: 1-line block ×3, first 2 shown]
	v_cmp_ne_u32_e64 s[42:43], 0, v20
	v_pk_mov_b32 v[4:5], v[108:109], v[108:109] op_sel:[0,1]
	v_mov_b32_e32 v9, v109
	v_mov_b32_e32 v8, v108
	s_and_saveexec_b64 s[44:45], s[42:43]
; %bb.182:
	v_cmp_eq_u32_e64 s[42:43], 0, v13
	v_cndmask_b32_e64 v4, 1, v24, s[42:43]
	v_cndmask_b32_e64 v8, 0, v25, s[42:43]
	v_mul_lo_u32 v9, v109, v4
	v_mad_u64_u32 v[4:5], s[42:43], v108, v4, 0
	v_mul_lo_u32 v8, v108, v8
	v_add3_u32 v5, v5, v8, v9
	v_and_or_b32 v13, v21, 1, v13
	v_mov_b32_e32 v9, v5
	v_mov_b32_e32 v8, v4
; %bb.183:
	s_or_b64 exec, exec, s[44:45]
	s_nop 0
	v_mov_b32_dpp v24, v8 row_shr:2 row_mask:0xf bank_mask:0xf
	v_mov_b32_dpp v25, v9 row_shr:2 row_mask:0xf bank_mask:0xf
	v_mov_b32_dpp v21, v13 row_shr:2 row_mask:0xf bank_mask:0xf
	v_cmp_lt_u32_e64 s[42:43], 1, v20
	s_and_saveexec_b64 s[44:45], s[42:43]
; %bb.184:
	v_cmp_eq_u32_e64 s[42:43], 0, v13
	v_cndmask_b32_e64 v8, 1, v24, s[42:43]
	v_cndmask_b32_e64 v24, 0, v25, s[42:43]
	v_mul_lo_u32 v5, v8, v5
	v_mad_u64_u32 v[8:9], s[42:43], v8, v4, 0
	v_mul_lo_u32 v4, v24, v4
	v_add3_u32 v9, v9, v5, v4
	v_or_b32_e32 v4, v21, v13
	v_and_b32_e32 v13, 1, v4
	v_pk_mov_b32 v[4:5], v[8:9], v[8:9] op_sel:[0,1]
; %bb.185:
	s_or_b64 exec, exec, s[44:45]
	v_mov_b32_dpp v24, v8 row_shr:4 row_mask:0xf bank_mask:0xf
	v_mov_b32_dpp v25, v9 row_shr:4 row_mask:0xf bank_mask:0xf
	v_mov_b32_dpp v21, v13 row_shr:4 row_mask:0xf bank_mask:0xf
	v_cmp_lt_u32_e64 s[42:43], 3, v20
	s_and_saveexec_b64 s[44:45], s[42:43]
; %bb.186:
	v_cmp_eq_u32_e64 s[42:43], 0, v13
	v_cndmask_b32_e64 v8, 1, v24, s[42:43]
	v_cndmask_b32_e64 v24, 0, v25, s[42:43]
	v_mul_lo_u32 v5, v8, v5
	v_mad_u64_u32 v[8:9], s[42:43], v8, v4, 0
	v_mul_lo_u32 v4, v24, v4
	v_add3_u32 v9, v9, v5, v4
	v_or_b32_e32 v4, v21, v13
	v_and_b32_e32 v13, 1, v4
	v_pk_mov_b32 v[4:5], v[8:9], v[8:9] op_sel:[0,1]
; %bb.187:
	s_or_b64 exec, exec, s[44:45]
	;; [unrolled: 18-line block ×3, first 2 shown]
	v_and_b32_e32 v25, 16, v12
	v_mov_b32_dpp v21, v8 row_bcast:15 row_mask:0xf bank_mask:0xf
	v_mov_b32_dpp v24, v9 row_bcast:15 row_mask:0xf bank_mask:0xf
	;; [unrolled: 1-line block ×3, first 2 shown]
	v_cmp_ne_u32_e64 s[42:43], 0, v25
	s_and_saveexec_b64 s[44:45], s[42:43]
; %bb.190:
	v_cmp_eq_u32_e64 s[42:43], 0, v13
	v_cndmask_b32_e64 v8, 1, v21, s[42:43]
	v_cndmask_b32_e64 v21, 0, v24, s[42:43]
	v_mul_lo_u32 v5, v8, v5
	v_mad_u64_u32 v[8:9], s[42:43], v8, v4, 0
	v_mul_lo_u32 v4, v21, v4
	v_add3_u32 v9, v9, v5, v4
	v_or_b32_e32 v4, v20, v13
	v_and_b32_e32 v13, 1, v4
	v_pk_mov_b32 v[4:5], v[8:9], v[8:9] op_sel:[0,1]
; %bb.191:
	s_or_b64 exec, exec, s[44:45]
	v_mov_b32_dpp v20, v8 row_bcast:31 row_mask:0xf bank_mask:0xf
	v_mov_b32_dpp v9, v9 row_bcast:31 row_mask:0xf bank_mask:0xf
	;; [unrolled: 1-line block ×3, first 2 shown]
	v_cmp_lt_u32_e64 s[42:43], 31, v12
	s_and_saveexec_b64 s[44:45], s[42:43]
; %bb.192:
	v_cmp_eq_u32_e64 s[42:43], 0, v13
	v_cndmask_b32_e64 v20, 1, v20, s[42:43]
	v_cndmask_b32_e64 v9, 0, v9, s[42:43]
	v_mul_lo_u32 v5, v20, v5
	v_mad_u64_u32 v[20:21], s[42:43], v20, v4, 0
	v_mul_lo_u32 v4, v9, v4
	v_add3_u32 v21, v21, v5, v4
	v_or_b32_e32 v4, v8, v13
	v_and_b32_e32 v13, 1, v4
	v_pk_mov_b32 v[4:5], v[20:21], v[20:21] op_sel:[0,1]
; %bb.193:
	s_or_b64 exec, exec, s[44:45]
	v_cmp_eq_u32_e64 s[42:43], 63, v0
	s_and_saveexec_b64 s[44:45], s[42:43]
	s_cbranch_execz .LBB68_195
; %bb.194:
	v_mov_b32_e32 v8, 0
	ds_write_b64 v8, v[4:5]
	ds_write_b8 v8, v13 offset:8
.LBB68_195:
	s_or_b64 exec, exec, s[44:45]
	v_add_u32_e32 v8, -1, v12
	v_and_b32_e32 v9, 64, v12
	v_cmp_lt_i32_e64 s[42:43], v8, v9
	v_cndmask_b32_e64 v8, v8, v12, s[42:43]
	v_lshlrev_b32_e32 v8, 2, v8
	ds_bpermute_b32 v4, v8, v4
	ds_bpermute_b32 v5, v8, v5
	s_waitcnt lgkmcnt(0)
	; wave barrier
	s_waitcnt lgkmcnt(0)
	s_and_saveexec_b64 s[42:43], s[14:15]
	s_cbranch_execz .LBB68_197
; %bb.196:
	v_mov_b32_e32 v8, 0
	v_cmp_eq_u16_sdwa s[14:15], v1, v8 src0_sel:BYTE_0 src1_sel:DWORD
	v_cndmask_b32_e64 v1, 1, v4, s[14:15]
	v_cndmask_b32_e64 v4, 0, v5, s[14:15]
	v_mul_lo_u32 v4, v4, v2
	v_mul_lo_u32 v5, v1, v3
	v_mad_u64_u32 v[2:3], s[14:15], v1, v2, 0
	v_add3_u32 v3, v3, v5, v4
	v_cndmask_b32_e64 v1, 0, v3, s[40:41]
	v_cndmask_b32_e64 v4, 1, v2, s[40:41]
	v_mul_lo_u32 v1, v1, v14
	v_mul_lo_u32 v5, v4, v15
	v_mad_u64_u32 v[40:41], s[14:15], v4, v14, 0
	v_add3_u32 v41, v41, v5, v1
	;; [unrolled: 6-line block ×19, first 2 shown]
	;;#ASMSTART
	;;#ASMEND
.LBB68_197:
	s_or_b64 exec, exec, s[42:43]
	s_and_saveexec_b64 s[2:3], vcc
	s_cbranch_execz .LBB68_199
; %bb.198:
	v_mov_b32_e32 v1, 0
	ds_read_b64 v[4:5], v1
	ds_read_u8 v6, v1 offset:8
	v_mov_b32_e32 v7, 2
	s_waitcnt lgkmcnt(1)
	global_store_dwordx2 v1, v[4:5], s[50:51] offset:1024
	s_waitcnt lgkmcnt(0)
	global_store_byte v1, v6, s[50:51] offset:1032
	s_waitcnt vmcnt(0)
	buffer_wbinvl1_vol
	global_store_byte v1, v7, s[52:53] offset:64
.LBB68_199:
	s_or_b64 exec, exec, s[2:3]
	v_pk_mov_b32 v[102:103], v[2:3], v[2:3] op_sel:[0,1]
.LBB68_200:
	s_add_u32 s2, s46, s64
	s_addc_u32 s3, s47, s65
	s_add_u32 s4, s2, s60
	s_addc_u32 s5, s3, s61
	s_and_b64 vcc, exec, s[0:1]
	s_cbranch_vccz .LBB68_238
; %bb.201:
	s_movk_i32 s0, 0x98
	v_mul_i32_i24_e32 v43, 0xffffff70, v0
	v_mul_u32_u24_e32 v42, 0x98, v0
	v_mad_u32_u24 v2, v0, s0, v43
	s_waitcnt lgkmcnt(0)
	; wave barrier
	ds_write2_b64 v42, v[102:103], v[40:41] offset1:1
	ds_write2_b64 v42, v[72:73], v[44:45] offset0:2 offset1:3
	ds_write2_b64 v42, v[76:77], v[48:49] offset0:4 offset1:5
	;; [unrolled: 1-line block ×8, first 2 shown]
	ds_write_b64 v42, v[108:109] offset:144
	s_waitcnt lgkmcnt(0)
	; wave barrier
	s_waitcnt lgkmcnt(0)
	ds_read2st64_b64 v[34:37], v2 offset0:1 offset1:2
	ds_read2st64_b64 v[30:33], v2 offset0:3 offset1:4
	;; [unrolled: 1-line block ×9, first 2 shown]
	v_mov_b32_e32 v39, s5
	v_add_co_u32_e32 v38, vcc, s4, v127
	s_add_i32 s33, s33, s54
	v_addc_co_u32_e32 v39, vcc, 0, v39, vcc
	v_mov_b32_e32 v1, 0
	v_cmp_gt_u32_e32 vcc, s33, v0
	s_and_saveexec_b64 s[0:1], vcc
	s_cbranch_execz .LBB68_203
; %bb.202:
	v_add_u32_e32 v42, v42, v43
	ds_read_b64 v[42:43], v42
	s_waitcnt lgkmcnt(0)
	flat_store_dwordx2 v[38:39], v[42:43]
.LBB68_203:
	s_or_b64 exec, exec, s[0:1]
	v_or_b32_e32 v42, 64, v0
	v_cmp_gt_u32_e32 vcc, s33, v42
	s_and_saveexec_b64 s[0:1], vcc
	s_cbranch_execz .LBB68_205
; %bb.204:
	s_waitcnt lgkmcnt(0)
	flat_store_dwordx2 v[38:39], v[34:35] offset:512
.LBB68_205:
	s_or_b64 exec, exec, s[0:1]
	s_waitcnt lgkmcnt(0)
	v_or_b32_e32 v34, 0x80, v0
	v_cmp_gt_u32_e32 vcc, s33, v34
	s_and_saveexec_b64 s[0:1], vcc
	s_cbranch_execz .LBB68_207
; %bb.206:
	flat_store_dwordx2 v[38:39], v[36:37] offset:1024
.LBB68_207:
	s_or_b64 exec, exec, s[0:1]
	v_or_b32_e32 v34, 0xc0, v0
	v_cmp_gt_u32_e32 vcc, s33, v34
	s_and_saveexec_b64 s[0:1], vcc
	s_cbranch_execz .LBB68_209
; %bb.208:
	flat_store_dwordx2 v[38:39], v[30:31] offset:1536
.LBB68_209:
	s_or_b64 exec, exec, s[0:1]
	;; [unrolled: 8-line block ×6, first 2 shown]
	v_or_b32_e32 v22, 0x200, v0
	v_cmp_gt_u32_e32 vcc, s33, v22
	s_and_saveexec_b64 s[0:1], vcc
	s_cbranch_execz .LBB68_219
; %bb.218:
	v_add_co_u32_e32 v22, vcc, 0x1000, v38
	v_addc_co_u32_e32 v23, vcc, 0, v39, vcc
	flat_store_dwordx2 v[22:23], v[24:25]
.LBB68_219:
	s_or_b64 exec, exec, s[0:1]
	v_or_b32_e32 v22, 0x240, v0
	v_cmp_gt_u32_e32 vcc, s33, v22
	s_and_saveexec_b64 s[0:1], vcc
	s_cbranch_execz .LBB68_221
; %bb.220:
	v_add_co_u32_e32 v22, vcc, 0x1000, v38
	v_addc_co_u32_e32 v23, vcc, 0, v39, vcc
	flat_store_dwordx2 v[22:23], v[18:19] offset:512
.LBB68_221:
	s_or_b64 exec, exec, s[0:1]
	v_or_b32_e32 v18, 0x280, v0
	v_cmp_gt_u32_e32 vcc, s33, v18
	s_and_saveexec_b64 s[0:1], vcc
	s_cbranch_execz .LBB68_223
; %bb.222:
	v_add_co_u32_e32 v18, vcc, 0x1000, v38
	v_addc_co_u32_e32 v19, vcc, 0, v39, vcc
	flat_store_dwordx2 v[18:19], v[20:21] offset:1024
.LBB68_223:
	;; [unrolled: 10-line block ×7, first 2 shown]
	s_or_b64 exec, exec, s[0:1]
	v_or_b32_e32 v6, 0x400, v0
	v_cmp_gt_u32_e32 vcc, s33, v6
	s_and_saveexec_b64 s[0:1], vcc
	s_cbranch_execz .LBB68_235
; %bb.234:
	v_add_co_u32_e32 v6, vcc, 0x2000, v38
	v_addc_co_u32_e32 v7, vcc, 0, v39, vcc
	flat_store_dwordx2 v[6:7], v[8:9]
.LBB68_235:
	s_or_b64 exec, exec, s[0:1]
	v_or_b32_e32 v6, 0x440, v0
	v_cmp_gt_u32_e32 vcc, s33, v6
	s_and_saveexec_b64 s[0:1], vcc
	s_cbranch_execz .LBB68_237
; %bb.236:
	v_add_co_u32_e32 v6, vcc, 0x2000, v38
	v_addc_co_u32_e32 v7, vcc, 0, v39, vcc
	flat_store_dwordx2 v[6:7], v[2:3] offset:512
.LBB68_237:
	s_or_b64 exec, exec, s[0:1]
	v_or_b32_e32 v2, 0x480, v0
	v_cmp_gt_u32_e64 s[0:1], s33, v2
	s_branch .LBB68_240
.LBB68_238:
	s_mov_b64 s[0:1], 0
                                        ; implicit-def: $vgpr4_vgpr5
	s_cbranch_execz .LBB68_240
; %bb.239:
	s_movk_i32 s2, 0x98
	v_mul_i32_i24_e32 v2, 0xffffff70, v0
	v_mul_u32_u24_e32 v1, 0x98, v0
	v_mad_u32_u24 v2, v0, s2, v2
	s_waitcnt lgkmcnt(0)
	; wave barrier
	s_waitcnt lgkmcnt(0)
	ds_write2_b64 v1, v[102:103], v[40:41] offset1:1
	ds_write2_b64 v1, v[72:73], v[44:45] offset0:2 offset1:3
	ds_write2_b64 v1, v[76:77], v[48:49] offset0:4 offset1:5
	;; [unrolled: 1-line block ×8, first 2 shown]
	ds_write_b64 v1, v[108:109] offset:144
	s_waitcnt lgkmcnt(0)
	; wave barrier
	s_waitcnt lgkmcnt(0)
	ds_read2st64_b64 v[6:9], v2 offset1:1
	ds_read2st64_b64 v[10:13], v2 offset0:2 offset1:3
	ds_read2st64_b64 v[14:17], v2 offset0:4 offset1:5
	;; [unrolled: 1-line block ×8, first 2 shown]
	ds_read_b64 v[4:5], v2 offset:9216
	v_mov_b32_e32 v3, s5
	v_add_co_u32_e32 v2, vcc, s4, v127
	v_addc_co_u32_e32 v3, vcc, 0, v3, vcc
	s_movk_i32 s2, 0x1000
	s_waitcnt lgkmcnt(0)
	flat_store_dwordx2 v[2:3], v[6:7]
	flat_store_dwordx2 v[2:3], v[8:9] offset:512
	flat_store_dwordx2 v[2:3], v[10:11] offset:1024
	;; [unrolled: 1-line block ×7, first 2 shown]
	v_add_co_u32_e32 v6, vcc, s2, v2
	v_addc_co_u32_e32 v7, vcc, 0, v3, vcc
	v_add_co_u32_e32 v2, vcc, 0x2000, v2
	v_mov_b32_e32 v1, 0
	v_addc_co_u32_e32 v3, vcc, 0, v3, vcc
	s_or_b64 s[0:1], s[0:1], exec
	flat_store_dwordx2 v[6:7], v[22:23]
	flat_store_dwordx2 v[6:7], v[24:25] offset:512
	flat_store_dwordx2 v[6:7], v[26:27] offset:1024
	;; [unrolled: 1-line block ×7, first 2 shown]
	flat_store_dwordx2 v[2:3], v[38:39]
	flat_store_dwordx2 v[2:3], v[40:41] offset:512
.LBB68_240:
	s_and_saveexec_b64 s[2:3], s[0:1]
	s_cbranch_execnz .LBB68_242
; %bb.241:
	s_endpgm
.LBB68_242:
	v_lshlrev_b64 v[0:1], 3, v[0:1]
	v_mov_b32_e32 v2, s5
	v_add_co_u32_e32 v0, vcc, s4, v0
	v_addc_co_u32_e32 v1, vcc, v2, v1, vcc
	v_add_co_u32_e32 v0, vcc, 0x2000, v0
	v_addc_co_u32_e32 v1, vcc, 0, v1, vcc
	flat_store_dwordx2 v[0:1], v[4:5] offset:1024
	s_endpgm
.LBB68_243:
	v_mov_b32_e32 v3, s55
	v_add_co_u32_e32 v2, vcc, s7, v50
	v_addc_co_u32_e32 v3, vcc, 0, v3, vcc
	flat_load_dwordx2 v[2:3], v[2:3]
	s_or_b64 exec, exec, s[56:57]
                                        ; implicit-def: $vgpr6_vgpr7
	s_and_saveexec_b64 s[2:3], s[4:5]
	s_cbranch_execz .LBB68_47
.LBB68_244:
	v_mov_b32_e32 v7, s55
	v_add_co_u32_e32 v6, vcc, s7, v50
	v_addc_co_u32_e32 v7, vcc, 0, v7, vcc
	flat_load_dwordx2 v[6:7], v[6:7] offset:512
	s_or_b64 exec, exec, s[2:3]
                                        ; implicit-def: $vgpr10_vgpr11
	s_and_saveexec_b64 s[2:3], s[42:43]
	s_cbranch_execz .LBB68_48
.LBB68_245:
	v_mov_b32_e32 v11, s55
	v_add_co_u32_e32 v10, vcc, s7, v50
	v_addc_co_u32_e32 v11, vcc, 0, v11, vcc
	flat_load_dwordx2 v[10:11], v[10:11] offset:1024
	s_or_b64 exec, exec, s[2:3]
                                        ; implicit-def: $vgpr12_vgpr13
	s_and_saveexec_b64 s[2:3], s[8:9]
	s_cbranch_execz .LBB68_49
.LBB68_246:
	v_mov_b32_e32 v13, s55
	v_add_co_u32_e32 v12, vcc, s7, v50
	v_addc_co_u32_e32 v13, vcc, 0, v13, vcc
	flat_load_dwordx2 v[12:13], v[12:13] offset:1536
	s_or_b64 exec, exec, s[2:3]
                                        ; implicit-def: $vgpr14_vgpr15
	s_and_saveexec_b64 s[2:3], s[10:11]
	s_cbranch_execz .LBB68_50
.LBB68_247:
	v_mov_b32_e32 v15, s55
	v_add_co_u32_e32 v14, vcc, s7, v50
	v_addc_co_u32_e32 v15, vcc, 0, v15, vcc
	flat_load_dwordx2 v[14:15], v[14:15] offset:2048
	s_or_b64 exec, exec, s[2:3]
                                        ; implicit-def: $vgpr16_vgpr17
	s_and_saveexec_b64 s[2:3], s[12:13]
	s_cbranch_execz .LBB68_51
.LBB68_248:
	v_mov_b32_e32 v17, s55
	v_add_co_u32_e32 v16, vcc, s7, v50
	v_addc_co_u32_e32 v17, vcc, 0, v17, vcc
	flat_load_dwordx2 v[16:17], v[16:17] offset:2560
	s_or_b64 exec, exec, s[2:3]
                                        ; implicit-def: $vgpr18_vgpr19
	s_and_saveexec_b64 s[2:3], s[14:15]
	s_cbranch_execz .LBB68_52
.LBB68_249:
	v_mov_b32_e32 v19, s55
	v_add_co_u32_e32 v18, vcc, s7, v50
	v_addc_co_u32_e32 v19, vcc, 0, v19, vcc
	flat_load_dwordx2 v[18:19], v[18:19] offset:3072
	s_or_b64 exec, exec, s[2:3]
                                        ; implicit-def: $vgpr20_vgpr21
	s_and_saveexec_b64 s[2:3], s[16:17]
	s_cbranch_execz .LBB68_53
.LBB68_250:
	v_mov_b32_e32 v21, s55
	v_add_co_u32_e32 v20, vcc, s7, v50
	v_addc_co_u32_e32 v21, vcc, 0, v21, vcc
	flat_load_dwordx2 v[20:21], v[20:21] offset:3584
	s_or_b64 exec, exec, s[2:3]
                                        ; implicit-def: $vgpr22_vgpr23
	s_and_saveexec_b64 s[2:3], s[18:19]
	s_cbranch_execz .LBB68_54
.LBB68_251:
	v_lshlrev_b32_e32 v1, 3, v1
	v_mov_b32_e32 v23, s55
	v_add_co_u32_e32 v22, vcc, s7, v1
	v_addc_co_u32_e32 v23, vcc, 0, v23, vcc
	flat_load_dwordx2 v[22:23], v[22:23]
	s_or_b64 exec, exec, s[2:3]
                                        ; implicit-def: $vgpr24_vgpr25
	s_and_saveexec_b64 s[2:3], s[20:21]
	s_cbranch_execz .LBB68_55
.LBB68_252:
	v_lshlrev_b32_e32 v1, 3, v40
	v_mov_b32_e32 v25, s55
	v_add_co_u32_e32 v24, vcc, s7, v1
	v_addc_co_u32_e32 v25, vcc, 0, v25, vcc
	flat_load_dwordx2 v[24:25], v[24:25]
	s_or_b64 exec, exec, s[2:3]
                                        ; implicit-def: $vgpr26_vgpr27
	s_and_saveexec_b64 s[2:3], s[22:23]
	s_cbranch_execz .LBB68_56
.LBB68_253:
	v_lshlrev_b32_e32 v1, 3, v41
	v_mov_b32_e32 v27, s55
	v_add_co_u32_e32 v26, vcc, s7, v1
	v_addc_co_u32_e32 v27, vcc, 0, v27, vcc
	flat_load_dwordx2 v[26:27], v[26:27]
	s_or_b64 exec, exec, s[2:3]
                                        ; implicit-def: $vgpr28_vgpr29
	s_and_saveexec_b64 s[2:3], s[24:25]
	s_cbranch_execz .LBB68_57
.LBB68_254:
	v_lshlrev_b32_e32 v1, 3, v42
	v_mov_b32_e32 v29, s55
	v_add_co_u32_e32 v28, vcc, s7, v1
	v_addc_co_u32_e32 v29, vcc, 0, v29, vcc
	flat_load_dwordx2 v[28:29], v[28:29]
	s_or_b64 exec, exec, s[2:3]
                                        ; implicit-def: $vgpr30_vgpr31
	s_and_saveexec_b64 s[2:3], s[26:27]
	s_cbranch_execz .LBB68_58
.LBB68_255:
	v_lshlrev_b32_e32 v1, 3, v43
	v_mov_b32_e32 v31, s55
	v_add_co_u32_e32 v30, vcc, s7, v1
	v_addc_co_u32_e32 v31, vcc, 0, v31, vcc
	flat_load_dwordx2 v[30:31], v[30:31]
	s_or_b64 exec, exec, s[2:3]
                                        ; implicit-def: $vgpr32_vgpr33
	s_and_saveexec_b64 s[2:3], s[28:29]
	s_cbranch_execz .LBB68_59
.LBB68_256:
	v_lshlrev_b32_e32 v1, 3, v44
	v_mov_b32_e32 v33, s55
	v_add_co_u32_e32 v32, vcc, s7, v1
	v_addc_co_u32_e32 v33, vcc, 0, v33, vcc
	flat_load_dwordx2 v[32:33], v[32:33]
	s_or_b64 exec, exec, s[2:3]
                                        ; implicit-def: $vgpr34_vgpr35
	s_and_saveexec_b64 s[2:3], s[30:31]
	s_cbranch_execz .LBB68_60
.LBB68_257:
	v_lshlrev_b32_e32 v1, 3, v45
	v_mov_b32_e32 v35, s55
	v_add_co_u32_e32 v34, vcc, s7, v1
	v_addc_co_u32_e32 v35, vcc, 0, v35, vcc
	flat_load_dwordx2 v[34:35], v[34:35]
	s_or_b64 exec, exec, s[2:3]
                                        ; implicit-def: $vgpr36_vgpr37
	s_and_saveexec_b64 s[2:3], s[34:35]
	s_cbranch_execz .LBB68_61
.LBB68_258:
	v_lshlrev_b32_e32 v1, 3, v46
	v_mov_b32_e32 v37, s55
	v_add_co_u32_e32 v36, vcc, s7, v1
	v_addc_co_u32_e32 v37, vcc, 0, v37, vcc
	flat_load_dwordx2 v[36:37], v[36:37]
	s_or_b64 exec, exec, s[2:3]
                                        ; implicit-def: $vgpr38_vgpr39
	s_and_saveexec_b64 s[2:3], s[36:37]
	s_cbranch_execz .LBB68_62
.LBB68_259:
	v_lshlrev_b32_e32 v1, 3, v47
	v_mov_b32_e32 v39, s55
	v_add_co_u32_e32 v38, vcc, s7, v1
	v_addc_co_u32_e32 v39, vcc, 0, v39, vcc
	flat_load_dwordx2 v[38:39], v[38:39]
	s_or_b64 exec, exec, s[2:3]
                                        ; implicit-def: $vgpr40_vgpr41
	s_and_saveexec_b64 s[2:3], s[38:39]
	s_cbranch_execz .LBB68_63
.LBB68_260:
	v_lshlrev_b32_e32 v1, 3, v49
	v_mov_b32_e32 v41, s55
	v_add_co_u32_e32 v40, vcc, s7, v1
	v_addc_co_u32_e32 v41, vcc, 0, v41, vcc
	flat_load_dwordx2 v[40:41], v[40:41]
	s_or_b64 exec, exec, s[2:3]
                                        ; implicit-def: $vgpr42_vgpr43
	s_and_saveexec_b64 s[2:3], s[40:41]
	s_cbranch_execnz .LBB68_64
	s_branch .LBB68_65
.LBB68_261:
                                        ; implicit-def: $sgpr56_sgpr57
	s_branch .LBB68_42
.LBB68_262:
                                        ; implicit-def: $sgpr2_sgpr3
	s_branch .LBB68_106
	.section	.rodata,"a",@progbits
	.p2align	6, 0x0
	.amdhsa_kernel _ZN7rocprim17ROCPRIM_400000_NS6detail17trampoline_kernelINS0_14default_configENS1_27scan_by_key_config_selectorIxxEEZZNS1_16scan_by_key_implILNS1_25lookback_scan_determinismE0ELb0ES3_N6thrust23THRUST_200600_302600_NS6detail15normal_iteratorINS9_10device_ptrIxEEEESE_SE_xNS9_10multipliesIxEENS9_8equal_toIxEExEE10hipError_tPvRmT2_T3_T4_T5_mT6_T7_P12ihipStream_tbENKUlT_T0_E_clISt17integral_constantIbLb1EESY_IbLb0EEEEDaSU_SV_EUlSU_E_NS1_11comp_targetILNS1_3genE4ELNS1_11target_archE910ELNS1_3gpuE8ELNS1_3repE0EEENS1_30default_config_static_selectorELNS0_4arch9wavefront6targetE1EEEvT1_
		.amdhsa_group_segment_fixed_size 10752
		.amdhsa_private_segment_fixed_size 0
		.amdhsa_kernarg_size 136
		.amdhsa_user_sgpr_count 6
		.amdhsa_user_sgpr_private_segment_buffer 1
		.amdhsa_user_sgpr_dispatch_ptr 0
		.amdhsa_user_sgpr_queue_ptr 0
		.amdhsa_user_sgpr_kernarg_segment_ptr 1
		.amdhsa_user_sgpr_dispatch_id 0
		.amdhsa_user_sgpr_flat_scratch_init 0
		.amdhsa_user_sgpr_kernarg_preload_length 0
		.amdhsa_user_sgpr_kernarg_preload_offset 0
		.amdhsa_user_sgpr_private_segment_size 0
		.amdhsa_uses_dynamic_stack 0
		.amdhsa_system_sgpr_private_segment_wavefront_offset 0
		.amdhsa_system_sgpr_workgroup_id_x 1
		.amdhsa_system_sgpr_workgroup_id_y 0
		.amdhsa_system_sgpr_workgroup_id_z 0
		.amdhsa_system_sgpr_workgroup_info 0
		.amdhsa_system_vgpr_workitem_id 0
		.amdhsa_next_free_vgpr 128
		.amdhsa_next_free_sgpr 78
		.amdhsa_accum_offset 128
		.amdhsa_reserve_vcc 1
		.amdhsa_reserve_flat_scratch 0
		.amdhsa_float_round_mode_32 0
		.amdhsa_float_round_mode_16_64 0
		.amdhsa_float_denorm_mode_32 3
		.amdhsa_float_denorm_mode_16_64 3
		.amdhsa_dx10_clamp 1
		.amdhsa_ieee_mode 1
		.amdhsa_fp16_overflow 0
		.amdhsa_tg_split 0
		.amdhsa_exception_fp_ieee_invalid_op 0
		.amdhsa_exception_fp_denorm_src 0
		.amdhsa_exception_fp_ieee_div_zero 0
		.amdhsa_exception_fp_ieee_overflow 0
		.amdhsa_exception_fp_ieee_underflow 0
		.amdhsa_exception_fp_ieee_inexact 0
		.amdhsa_exception_int_div_zero 0
	.end_amdhsa_kernel
	.section	.text._ZN7rocprim17ROCPRIM_400000_NS6detail17trampoline_kernelINS0_14default_configENS1_27scan_by_key_config_selectorIxxEEZZNS1_16scan_by_key_implILNS1_25lookback_scan_determinismE0ELb0ES3_N6thrust23THRUST_200600_302600_NS6detail15normal_iteratorINS9_10device_ptrIxEEEESE_SE_xNS9_10multipliesIxEENS9_8equal_toIxEExEE10hipError_tPvRmT2_T3_T4_T5_mT6_T7_P12ihipStream_tbENKUlT_T0_E_clISt17integral_constantIbLb1EESY_IbLb0EEEEDaSU_SV_EUlSU_E_NS1_11comp_targetILNS1_3genE4ELNS1_11target_archE910ELNS1_3gpuE8ELNS1_3repE0EEENS1_30default_config_static_selectorELNS0_4arch9wavefront6targetE1EEEvT1_,"axG",@progbits,_ZN7rocprim17ROCPRIM_400000_NS6detail17trampoline_kernelINS0_14default_configENS1_27scan_by_key_config_selectorIxxEEZZNS1_16scan_by_key_implILNS1_25lookback_scan_determinismE0ELb0ES3_N6thrust23THRUST_200600_302600_NS6detail15normal_iteratorINS9_10device_ptrIxEEEESE_SE_xNS9_10multipliesIxEENS9_8equal_toIxEExEE10hipError_tPvRmT2_T3_T4_T5_mT6_T7_P12ihipStream_tbENKUlT_T0_E_clISt17integral_constantIbLb1EESY_IbLb0EEEEDaSU_SV_EUlSU_E_NS1_11comp_targetILNS1_3genE4ELNS1_11target_archE910ELNS1_3gpuE8ELNS1_3repE0EEENS1_30default_config_static_selectorELNS0_4arch9wavefront6targetE1EEEvT1_,comdat
.Lfunc_end68:
	.size	_ZN7rocprim17ROCPRIM_400000_NS6detail17trampoline_kernelINS0_14default_configENS1_27scan_by_key_config_selectorIxxEEZZNS1_16scan_by_key_implILNS1_25lookback_scan_determinismE0ELb0ES3_N6thrust23THRUST_200600_302600_NS6detail15normal_iteratorINS9_10device_ptrIxEEEESE_SE_xNS9_10multipliesIxEENS9_8equal_toIxEExEE10hipError_tPvRmT2_T3_T4_T5_mT6_T7_P12ihipStream_tbENKUlT_T0_E_clISt17integral_constantIbLb1EESY_IbLb0EEEEDaSU_SV_EUlSU_E_NS1_11comp_targetILNS1_3genE4ELNS1_11target_archE910ELNS1_3gpuE8ELNS1_3repE0EEENS1_30default_config_static_selectorELNS0_4arch9wavefront6targetE1EEEvT1_, .Lfunc_end68-_ZN7rocprim17ROCPRIM_400000_NS6detail17trampoline_kernelINS0_14default_configENS1_27scan_by_key_config_selectorIxxEEZZNS1_16scan_by_key_implILNS1_25lookback_scan_determinismE0ELb0ES3_N6thrust23THRUST_200600_302600_NS6detail15normal_iteratorINS9_10device_ptrIxEEEESE_SE_xNS9_10multipliesIxEENS9_8equal_toIxEExEE10hipError_tPvRmT2_T3_T4_T5_mT6_T7_P12ihipStream_tbENKUlT_T0_E_clISt17integral_constantIbLb1EESY_IbLb0EEEEDaSU_SV_EUlSU_E_NS1_11comp_targetILNS1_3genE4ELNS1_11target_archE910ELNS1_3gpuE8ELNS1_3repE0EEENS1_30default_config_static_selectorELNS0_4arch9wavefront6targetE1EEEvT1_
                                        ; -- End function
	.section	.AMDGPU.csdata,"",@progbits
; Kernel info:
; codeLenInByte = 17320
; NumSgprs: 82
; NumVgprs: 128
; NumAgprs: 0
; TotalNumVgprs: 128
; ScratchSize: 0
; MemoryBound: 0
; FloatMode: 240
; IeeeMode: 1
; LDSByteSize: 10752 bytes/workgroup (compile time only)
; SGPRBlocks: 10
; VGPRBlocks: 15
; NumSGPRsForWavesPerEU: 82
; NumVGPRsForWavesPerEU: 128
; AccumOffset: 128
; Occupancy: 2
; WaveLimiterHint : 1
; COMPUTE_PGM_RSRC2:SCRATCH_EN: 0
; COMPUTE_PGM_RSRC2:USER_SGPR: 6
; COMPUTE_PGM_RSRC2:TRAP_HANDLER: 0
; COMPUTE_PGM_RSRC2:TGID_X_EN: 1
; COMPUTE_PGM_RSRC2:TGID_Y_EN: 0
; COMPUTE_PGM_RSRC2:TGID_Z_EN: 0
; COMPUTE_PGM_RSRC2:TIDIG_COMP_CNT: 0
; COMPUTE_PGM_RSRC3_GFX90A:ACCUM_OFFSET: 31
; COMPUTE_PGM_RSRC3_GFX90A:TG_SPLIT: 0
	.section	.text._ZN7rocprim17ROCPRIM_400000_NS6detail17trampoline_kernelINS0_14default_configENS1_27scan_by_key_config_selectorIxxEEZZNS1_16scan_by_key_implILNS1_25lookback_scan_determinismE0ELb0ES3_N6thrust23THRUST_200600_302600_NS6detail15normal_iteratorINS9_10device_ptrIxEEEESE_SE_xNS9_10multipliesIxEENS9_8equal_toIxEExEE10hipError_tPvRmT2_T3_T4_T5_mT6_T7_P12ihipStream_tbENKUlT_T0_E_clISt17integral_constantIbLb1EESY_IbLb0EEEEDaSU_SV_EUlSU_E_NS1_11comp_targetILNS1_3genE3ELNS1_11target_archE908ELNS1_3gpuE7ELNS1_3repE0EEENS1_30default_config_static_selectorELNS0_4arch9wavefront6targetE1EEEvT1_,"axG",@progbits,_ZN7rocprim17ROCPRIM_400000_NS6detail17trampoline_kernelINS0_14default_configENS1_27scan_by_key_config_selectorIxxEEZZNS1_16scan_by_key_implILNS1_25lookback_scan_determinismE0ELb0ES3_N6thrust23THRUST_200600_302600_NS6detail15normal_iteratorINS9_10device_ptrIxEEEESE_SE_xNS9_10multipliesIxEENS9_8equal_toIxEExEE10hipError_tPvRmT2_T3_T4_T5_mT6_T7_P12ihipStream_tbENKUlT_T0_E_clISt17integral_constantIbLb1EESY_IbLb0EEEEDaSU_SV_EUlSU_E_NS1_11comp_targetILNS1_3genE3ELNS1_11target_archE908ELNS1_3gpuE7ELNS1_3repE0EEENS1_30default_config_static_selectorELNS0_4arch9wavefront6targetE1EEEvT1_,comdat
	.protected	_ZN7rocprim17ROCPRIM_400000_NS6detail17trampoline_kernelINS0_14default_configENS1_27scan_by_key_config_selectorIxxEEZZNS1_16scan_by_key_implILNS1_25lookback_scan_determinismE0ELb0ES3_N6thrust23THRUST_200600_302600_NS6detail15normal_iteratorINS9_10device_ptrIxEEEESE_SE_xNS9_10multipliesIxEENS9_8equal_toIxEExEE10hipError_tPvRmT2_T3_T4_T5_mT6_T7_P12ihipStream_tbENKUlT_T0_E_clISt17integral_constantIbLb1EESY_IbLb0EEEEDaSU_SV_EUlSU_E_NS1_11comp_targetILNS1_3genE3ELNS1_11target_archE908ELNS1_3gpuE7ELNS1_3repE0EEENS1_30default_config_static_selectorELNS0_4arch9wavefront6targetE1EEEvT1_ ; -- Begin function _ZN7rocprim17ROCPRIM_400000_NS6detail17trampoline_kernelINS0_14default_configENS1_27scan_by_key_config_selectorIxxEEZZNS1_16scan_by_key_implILNS1_25lookback_scan_determinismE0ELb0ES3_N6thrust23THRUST_200600_302600_NS6detail15normal_iteratorINS9_10device_ptrIxEEEESE_SE_xNS9_10multipliesIxEENS9_8equal_toIxEExEE10hipError_tPvRmT2_T3_T4_T5_mT6_T7_P12ihipStream_tbENKUlT_T0_E_clISt17integral_constantIbLb1EESY_IbLb0EEEEDaSU_SV_EUlSU_E_NS1_11comp_targetILNS1_3genE3ELNS1_11target_archE908ELNS1_3gpuE7ELNS1_3repE0EEENS1_30default_config_static_selectorELNS0_4arch9wavefront6targetE1EEEvT1_
	.globl	_ZN7rocprim17ROCPRIM_400000_NS6detail17trampoline_kernelINS0_14default_configENS1_27scan_by_key_config_selectorIxxEEZZNS1_16scan_by_key_implILNS1_25lookback_scan_determinismE0ELb0ES3_N6thrust23THRUST_200600_302600_NS6detail15normal_iteratorINS9_10device_ptrIxEEEESE_SE_xNS9_10multipliesIxEENS9_8equal_toIxEExEE10hipError_tPvRmT2_T3_T4_T5_mT6_T7_P12ihipStream_tbENKUlT_T0_E_clISt17integral_constantIbLb1EESY_IbLb0EEEEDaSU_SV_EUlSU_E_NS1_11comp_targetILNS1_3genE3ELNS1_11target_archE908ELNS1_3gpuE7ELNS1_3repE0EEENS1_30default_config_static_selectorELNS0_4arch9wavefront6targetE1EEEvT1_
	.p2align	8
	.type	_ZN7rocprim17ROCPRIM_400000_NS6detail17trampoline_kernelINS0_14default_configENS1_27scan_by_key_config_selectorIxxEEZZNS1_16scan_by_key_implILNS1_25lookback_scan_determinismE0ELb0ES3_N6thrust23THRUST_200600_302600_NS6detail15normal_iteratorINS9_10device_ptrIxEEEESE_SE_xNS9_10multipliesIxEENS9_8equal_toIxEExEE10hipError_tPvRmT2_T3_T4_T5_mT6_T7_P12ihipStream_tbENKUlT_T0_E_clISt17integral_constantIbLb1EESY_IbLb0EEEEDaSU_SV_EUlSU_E_NS1_11comp_targetILNS1_3genE3ELNS1_11target_archE908ELNS1_3gpuE7ELNS1_3repE0EEENS1_30default_config_static_selectorELNS0_4arch9wavefront6targetE1EEEvT1_,@function
_ZN7rocprim17ROCPRIM_400000_NS6detail17trampoline_kernelINS0_14default_configENS1_27scan_by_key_config_selectorIxxEEZZNS1_16scan_by_key_implILNS1_25lookback_scan_determinismE0ELb0ES3_N6thrust23THRUST_200600_302600_NS6detail15normal_iteratorINS9_10device_ptrIxEEEESE_SE_xNS9_10multipliesIxEENS9_8equal_toIxEExEE10hipError_tPvRmT2_T3_T4_T5_mT6_T7_P12ihipStream_tbENKUlT_T0_E_clISt17integral_constantIbLb1EESY_IbLb0EEEEDaSU_SV_EUlSU_E_NS1_11comp_targetILNS1_3genE3ELNS1_11target_archE908ELNS1_3gpuE7ELNS1_3repE0EEENS1_30default_config_static_selectorELNS0_4arch9wavefront6targetE1EEEvT1_: ; @_ZN7rocprim17ROCPRIM_400000_NS6detail17trampoline_kernelINS0_14default_configENS1_27scan_by_key_config_selectorIxxEEZZNS1_16scan_by_key_implILNS1_25lookback_scan_determinismE0ELb0ES3_N6thrust23THRUST_200600_302600_NS6detail15normal_iteratorINS9_10device_ptrIxEEEESE_SE_xNS9_10multipliesIxEENS9_8equal_toIxEExEE10hipError_tPvRmT2_T3_T4_T5_mT6_T7_P12ihipStream_tbENKUlT_T0_E_clISt17integral_constantIbLb1EESY_IbLb0EEEEDaSU_SV_EUlSU_E_NS1_11comp_targetILNS1_3genE3ELNS1_11target_archE908ELNS1_3gpuE7ELNS1_3repE0EEENS1_30default_config_static_selectorELNS0_4arch9wavefront6targetE1EEEvT1_
; %bb.0:
	.section	.rodata,"a",@progbits
	.p2align	6, 0x0
	.amdhsa_kernel _ZN7rocprim17ROCPRIM_400000_NS6detail17trampoline_kernelINS0_14default_configENS1_27scan_by_key_config_selectorIxxEEZZNS1_16scan_by_key_implILNS1_25lookback_scan_determinismE0ELb0ES3_N6thrust23THRUST_200600_302600_NS6detail15normal_iteratorINS9_10device_ptrIxEEEESE_SE_xNS9_10multipliesIxEENS9_8equal_toIxEExEE10hipError_tPvRmT2_T3_T4_T5_mT6_T7_P12ihipStream_tbENKUlT_T0_E_clISt17integral_constantIbLb1EESY_IbLb0EEEEDaSU_SV_EUlSU_E_NS1_11comp_targetILNS1_3genE3ELNS1_11target_archE908ELNS1_3gpuE7ELNS1_3repE0EEENS1_30default_config_static_selectorELNS0_4arch9wavefront6targetE1EEEvT1_
		.amdhsa_group_segment_fixed_size 0
		.amdhsa_private_segment_fixed_size 0
		.amdhsa_kernarg_size 136
		.amdhsa_user_sgpr_count 6
		.amdhsa_user_sgpr_private_segment_buffer 1
		.amdhsa_user_sgpr_dispatch_ptr 0
		.amdhsa_user_sgpr_queue_ptr 0
		.amdhsa_user_sgpr_kernarg_segment_ptr 1
		.amdhsa_user_sgpr_dispatch_id 0
		.amdhsa_user_sgpr_flat_scratch_init 0
		.amdhsa_user_sgpr_kernarg_preload_length 0
		.amdhsa_user_sgpr_kernarg_preload_offset 0
		.amdhsa_user_sgpr_private_segment_size 0
		.amdhsa_uses_dynamic_stack 0
		.amdhsa_system_sgpr_private_segment_wavefront_offset 0
		.amdhsa_system_sgpr_workgroup_id_x 1
		.amdhsa_system_sgpr_workgroup_id_y 0
		.amdhsa_system_sgpr_workgroup_id_z 0
		.amdhsa_system_sgpr_workgroup_info 0
		.amdhsa_system_vgpr_workitem_id 0
		.amdhsa_next_free_vgpr 1
		.amdhsa_next_free_sgpr 0
		.amdhsa_accum_offset 4
		.amdhsa_reserve_vcc 0
		.amdhsa_reserve_flat_scratch 0
		.amdhsa_float_round_mode_32 0
		.amdhsa_float_round_mode_16_64 0
		.amdhsa_float_denorm_mode_32 3
		.amdhsa_float_denorm_mode_16_64 3
		.amdhsa_dx10_clamp 1
		.amdhsa_ieee_mode 1
		.amdhsa_fp16_overflow 0
		.amdhsa_tg_split 0
		.amdhsa_exception_fp_ieee_invalid_op 0
		.amdhsa_exception_fp_denorm_src 0
		.amdhsa_exception_fp_ieee_div_zero 0
		.amdhsa_exception_fp_ieee_overflow 0
		.amdhsa_exception_fp_ieee_underflow 0
		.amdhsa_exception_fp_ieee_inexact 0
		.amdhsa_exception_int_div_zero 0
	.end_amdhsa_kernel
	.section	.text._ZN7rocprim17ROCPRIM_400000_NS6detail17trampoline_kernelINS0_14default_configENS1_27scan_by_key_config_selectorIxxEEZZNS1_16scan_by_key_implILNS1_25lookback_scan_determinismE0ELb0ES3_N6thrust23THRUST_200600_302600_NS6detail15normal_iteratorINS9_10device_ptrIxEEEESE_SE_xNS9_10multipliesIxEENS9_8equal_toIxEExEE10hipError_tPvRmT2_T3_T4_T5_mT6_T7_P12ihipStream_tbENKUlT_T0_E_clISt17integral_constantIbLb1EESY_IbLb0EEEEDaSU_SV_EUlSU_E_NS1_11comp_targetILNS1_3genE3ELNS1_11target_archE908ELNS1_3gpuE7ELNS1_3repE0EEENS1_30default_config_static_selectorELNS0_4arch9wavefront6targetE1EEEvT1_,"axG",@progbits,_ZN7rocprim17ROCPRIM_400000_NS6detail17trampoline_kernelINS0_14default_configENS1_27scan_by_key_config_selectorIxxEEZZNS1_16scan_by_key_implILNS1_25lookback_scan_determinismE0ELb0ES3_N6thrust23THRUST_200600_302600_NS6detail15normal_iteratorINS9_10device_ptrIxEEEESE_SE_xNS9_10multipliesIxEENS9_8equal_toIxEExEE10hipError_tPvRmT2_T3_T4_T5_mT6_T7_P12ihipStream_tbENKUlT_T0_E_clISt17integral_constantIbLb1EESY_IbLb0EEEEDaSU_SV_EUlSU_E_NS1_11comp_targetILNS1_3genE3ELNS1_11target_archE908ELNS1_3gpuE7ELNS1_3repE0EEENS1_30default_config_static_selectorELNS0_4arch9wavefront6targetE1EEEvT1_,comdat
.Lfunc_end69:
	.size	_ZN7rocprim17ROCPRIM_400000_NS6detail17trampoline_kernelINS0_14default_configENS1_27scan_by_key_config_selectorIxxEEZZNS1_16scan_by_key_implILNS1_25lookback_scan_determinismE0ELb0ES3_N6thrust23THRUST_200600_302600_NS6detail15normal_iteratorINS9_10device_ptrIxEEEESE_SE_xNS9_10multipliesIxEENS9_8equal_toIxEExEE10hipError_tPvRmT2_T3_T4_T5_mT6_T7_P12ihipStream_tbENKUlT_T0_E_clISt17integral_constantIbLb1EESY_IbLb0EEEEDaSU_SV_EUlSU_E_NS1_11comp_targetILNS1_3genE3ELNS1_11target_archE908ELNS1_3gpuE7ELNS1_3repE0EEENS1_30default_config_static_selectorELNS0_4arch9wavefront6targetE1EEEvT1_, .Lfunc_end69-_ZN7rocprim17ROCPRIM_400000_NS6detail17trampoline_kernelINS0_14default_configENS1_27scan_by_key_config_selectorIxxEEZZNS1_16scan_by_key_implILNS1_25lookback_scan_determinismE0ELb0ES3_N6thrust23THRUST_200600_302600_NS6detail15normal_iteratorINS9_10device_ptrIxEEEESE_SE_xNS9_10multipliesIxEENS9_8equal_toIxEExEE10hipError_tPvRmT2_T3_T4_T5_mT6_T7_P12ihipStream_tbENKUlT_T0_E_clISt17integral_constantIbLb1EESY_IbLb0EEEEDaSU_SV_EUlSU_E_NS1_11comp_targetILNS1_3genE3ELNS1_11target_archE908ELNS1_3gpuE7ELNS1_3repE0EEENS1_30default_config_static_selectorELNS0_4arch9wavefront6targetE1EEEvT1_
                                        ; -- End function
	.section	.AMDGPU.csdata,"",@progbits
; Kernel info:
; codeLenInByte = 0
; NumSgprs: 4
; NumVgprs: 0
; NumAgprs: 0
; TotalNumVgprs: 0
; ScratchSize: 0
; MemoryBound: 0
; FloatMode: 240
; IeeeMode: 1
; LDSByteSize: 0 bytes/workgroup (compile time only)
; SGPRBlocks: 0
; VGPRBlocks: 0
; NumSGPRsForWavesPerEU: 4
; NumVGPRsForWavesPerEU: 1
; AccumOffset: 4
; Occupancy: 8
; WaveLimiterHint : 0
; COMPUTE_PGM_RSRC2:SCRATCH_EN: 0
; COMPUTE_PGM_RSRC2:USER_SGPR: 6
; COMPUTE_PGM_RSRC2:TRAP_HANDLER: 0
; COMPUTE_PGM_RSRC2:TGID_X_EN: 1
; COMPUTE_PGM_RSRC2:TGID_Y_EN: 0
; COMPUTE_PGM_RSRC2:TGID_Z_EN: 0
; COMPUTE_PGM_RSRC2:TIDIG_COMP_CNT: 0
; COMPUTE_PGM_RSRC3_GFX90A:ACCUM_OFFSET: 0
; COMPUTE_PGM_RSRC3_GFX90A:TG_SPLIT: 0
	.section	.text._ZN7rocprim17ROCPRIM_400000_NS6detail17trampoline_kernelINS0_14default_configENS1_27scan_by_key_config_selectorIxxEEZZNS1_16scan_by_key_implILNS1_25lookback_scan_determinismE0ELb0ES3_N6thrust23THRUST_200600_302600_NS6detail15normal_iteratorINS9_10device_ptrIxEEEESE_SE_xNS9_10multipliesIxEENS9_8equal_toIxEExEE10hipError_tPvRmT2_T3_T4_T5_mT6_T7_P12ihipStream_tbENKUlT_T0_E_clISt17integral_constantIbLb1EESY_IbLb0EEEEDaSU_SV_EUlSU_E_NS1_11comp_targetILNS1_3genE2ELNS1_11target_archE906ELNS1_3gpuE6ELNS1_3repE0EEENS1_30default_config_static_selectorELNS0_4arch9wavefront6targetE1EEEvT1_,"axG",@progbits,_ZN7rocprim17ROCPRIM_400000_NS6detail17trampoline_kernelINS0_14default_configENS1_27scan_by_key_config_selectorIxxEEZZNS1_16scan_by_key_implILNS1_25lookback_scan_determinismE0ELb0ES3_N6thrust23THRUST_200600_302600_NS6detail15normal_iteratorINS9_10device_ptrIxEEEESE_SE_xNS9_10multipliesIxEENS9_8equal_toIxEExEE10hipError_tPvRmT2_T3_T4_T5_mT6_T7_P12ihipStream_tbENKUlT_T0_E_clISt17integral_constantIbLb1EESY_IbLb0EEEEDaSU_SV_EUlSU_E_NS1_11comp_targetILNS1_3genE2ELNS1_11target_archE906ELNS1_3gpuE6ELNS1_3repE0EEENS1_30default_config_static_selectorELNS0_4arch9wavefront6targetE1EEEvT1_,comdat
	.protected	_ZN7rocprim17ROCPRIM_400000_NS6detail17trampoline_kernelINS0_14default_configENS1_27scan_by_key_config_selectorIxxEEZZNS1_16scan_by_key_implILNS1_25lookback_scan_determinismE0ELb0ES3_N6thrust23THRUST_200600_302600_NS6detail15normal_iteratorINS9_10device_ptrIxEEEESE_SE_xNS9_10multipliesIxEENS9_8equal_toIxEExEE10hipError_tPvRmT2_T3_T4_T5_mT6_T7_P12ihipStream_tbENKUlT_T0_E_clISt17integral_constantIbLb1EESY_IbLb0EEEEDaSU_SV_EUlSU_E_NS1_11comp_targetILNS1_3genE2ELNS1_11target_archE906ELNS1_3gpuE6ELNS1_3repE0EEENS1_30default_config_static_selectorELNS0_4arch9wavefront6targetE1EEEvT1_ ; -- Begin function _ZN7rocprim17ROCPRIM_400000_NS6detail17trampoline_kernelINS0_14default_configENS1_27scan_by_key_config_selectorIxxEEZZNS1_16scan_by_key_implILNS1_25lookback_scan_determinismE0ELb0ES3_N6thrust23THRUST_200600_302600_NS6detail15normal_iteratorINS9_10device_ptrIxEEEESE_SE_xNS9_10multipliesIxEENS9_8equal_toIxEExEE10hipError_tPvRmT2_T3_T4_T5_mT6_T7_P12ihipStream_tbENKUlT_T0_E_clISt17integral_constantIbLb1EESY_IbLb0EEEEDaSU_SV_EUlSU_E_NS1_11comp_targetILNS1_3genE2ELNS1_11target_archE906ELNS1_3gpuE6ELNS1_3repE0EEENS1_30default_config_static_selectorELNS0_4arch9wavefront6targetE1EEEvT1_
	.globl	_ZN7rocprim17ROCPRIM_400000_NS6detail17trampoline_kernelINS0_14default_configENS1_27scan_by_key_config_selectorIxxEEZZNS1_16scan_by_key_implILNS1_25lookback_scan_determinismE0ELb0ES3_N6thrust23THRUST_200600_302600_NS6detail15normal_iteratorINS9_10device_ptrIxEEEESE_SE_xNS9_10multipliesIxEENS9_8equal_toIxEExEE10hipError_tPvRmT2_T3_T4_T5_mT6_T7_P12ihipStream_tbENKUlT_T0_E_clISt17integral_constantIbLb1EESY_IbLb0EEEEDaSU_SV_EUlSU_E_NS1_11comp_targetILNS1_3genE2ELNS1_11target_archE906ELNS1_3gpuE6ELNS1_3repE0EEENS1_30default_config_static_selectorELNS0_4arch9wavefront6targetE1EEEvT1_
	.p2align	8
	.type	_ZN7rocprim17ROCPRIM_400000_NS6detail17trampoline_kernelINS0_14default_configENS1_27scan_by_key_config_selectorIxxEEZZNS1_16scan_by_key_implILNS1_25lookback_scan_determinismE0ELb0ES3_N6thrust23THRUST_200600_302600_NS6detail15normal_iteratorINS9_10device_ptrIxEEEESE_SE_xNS9_10multipliesIxEENS9_8equal_toIxEExEE10hipError_tPvRmT2_T3_T4_T5_mT6_T7_P12ihipStream_tbENKUlT_T0_E_clISt17integral_constantIbLb1EESY_IbLb0EEEEDaSU_SV_EUlSU_E_NS1_11comp_targetILNS1_3genE2ELNS1_11target_archE906ELNS1_3gpuE6ELNS1_3repE0EEENS1_30default_config_static_selectorELNS0_4arch9wavefront6targetE1EEEvT1_,@function
_ZN7rocprim17ROCPRIM_400000_NS6detail17trampoline_kernelINS0_14default_configENS1_27scan_by_key_config_selectorIxxEEZZNS1_16scan_by_key_implILNS1_25lookback_scan_determinismE0ELb0ES3_N6thrust23THRUST_200600_302600_NS6detail15normal_iteratorINS9_10device_ptrIxEEEESE_SE_xNS9_10multipliesIxEENS9_8equal_toIxEExEE10hipError_tPvRmT2_T3_T4_T5_mT6_T7_P12ihipStream_tbENKUlT_T0_E_clISt17integral_constantIbLb1EESY_IbLb0EEEEDaSU_SV_EUlSU_E_NS1_11comp_targetILNS1_3genE2ELNS1_11target_archE906ELNS1_3gpuE6ELNS1_3repE0EEENS1_30default_config_static_selectorELNS0_4arch9wavefront6targetE1EEEvT1_: ; @_ZN7rocprim17ROCPRIM_400000_NS6detail17trampoline_kernelINS0_14default_configENS1_27scan_by_key_config_selectorIxxEEZZNS1_16scan_by_key_implILNS1_25lookback_scan_determinismE0ELb0ES3_N6thrust23THRUST_200600_302600_NS6detail15normal_iteratorINS9_10device_ptrIxEEEESE_SE_xNS9_10multipliesIxEENS9_8equal_toIxEExEE10hipError_tPvRmT2_T3_T4_T5_mT6_T7_P12ihipStream_tbENKUlT_T0_E_clISt17integral_constantIbLb1EESY_IbLb0EEEEDaSU_SV_EUlSU_E_NS1_11comp_targetILNS1_3genE2ELNS1_11target_archE906ELNS1_3gpuE6ELNS1_3repE0EEENS1_30default_config_static_selectorELNS0_4arch9wavefront6targetE1EEEvT1_
; %bb.0:
	.section	.rodata,"a",@progbits
	.p2align	6, 0x0
	.amdhsa_kernel _ZN7rocprim17ROCPRIM_400000_NS6detail17trampoline_kernelINS0_14default_configENS1_27scan_by_key_config_selectorIxxEEZZNS1_16scan_by_key_implILNS1_25lookback_scan_determinismE0ELb0ES3_N6thrust23THRUST_200600_302600_NS6detail15normal_iteratorINS9_10device_ptrIxEEEESE_SE_xNS9_10multipliesIxEENS9_8equal_toIxEExEE10hipError_tPvRmT2_T3_T4_T5_mT6_T7_P12ihipStream_tbENKUlT_T0_E_clISt17integral_constantIbLb1EESY_IbLb0EEEEDaSU_SV_EUlSU_E_NS1_11comp_targetILNS1_3genE2ELNS1_11target_archE906ELNS1_3gpuE6ELNS1_3repE0EEENS1_30default_config_static_selectorELNS0_4arch9wavefront6targetE1EEEvT1_
		.amdhsa_group_segment_fixed_size 0
		.amdhsa_private_segment_fixed_size 0
		.amdhsa_kernarg_size 136
		.amdhsa_user_sgpr_count 6
		.amdhsa_user_sgpr_private_segment_buffer 1
		.amdhsa_user_sgpr_dispatch_ptr 0
		.amdhsa_user_sgpr_queue_ptr 0
		.amdhsa_user_sgpr_kernarg_segment_ptr 1
		.amdhsa_user_sgpr_dispatch_id 0
		.amdhsa_user_sgpr_flat_scratch_init 0
		.amdhsa_user_sgpr_kernarg_preload_length 0
		.amdhsa_user_sgpr_kernarg_preload_offset 0
		.amdhsa_user_sgpr_private_segment_size 0
		.amdhsa_uses_dynamic_stack 0
		.amdhsa_system_sgpr_private_segment_wavefront_offset 0
		.amdhsa_system_sgpr_workgroup_id_x 1
		.amdhsa_system_sgpr_workgroup_id_y 0
		.amdhsa_system_sgpr_workgroup_id_z 0
		.amdhsa_system_sgpr_workgroup_info 0
		.amdhsa_system_vgpr_workitem_id 0
		.amdhsa_next_free_vgpr 1
		.amdhsa_next_free_sgpr 0
		.amdhsa_accum_offset 4
		.amdhsa_reserve_vcc 0
		.amdhsa_reserve_flat_scratch 0
		.amdhsa_float_round_mode_32 0
		.amdhsa_float_round_mode_16_64 0
		.amdhsa_float_denorm_mode_32 3
		.amdhsa_float_denorm_mode_16_64 3
		.amdhsa_dx10_clamp 1
		.amdhsa_ieee_mode 1
		.amdhsa_fp16_overflow 0
		.amdhsa_tg_split 0
		.amdhsa_exception_fp_ieee_invalid_op 0
		.amdhsa_exception_fp_denorm_src 0
		.amdhsa_exception_fp_ieee_div_zero 0
		.amdhsa_exception_fp_ieee_overflow 0
		.amdhsa_exception_fp_ieee_underflow 0
		.amdhsa_exception_fp_ieee_inexact 0
		.amdhsa_exception_int_div_zero 0
	.end_amdhsa_kernel
	.section	.text._ZN7rocprim17ROCPRIM_400000_NS6detail17trampoline_kernelINS0_14default_configENS1_27scan_by_key_config_selectorIxxEEZZNS1_16scan_by_key_implILNS1_25lookback_scan_determinismE0ELb0ES3_N6thrust23THRUST_200600_302600_NS6detail15normal_iteratorINS9_10device_ptrIxEEEESE_SE_xNS9_10multipliesIxEENS9_8equal_toIxEExEE10hipError_tPvRmT2_T3_T4_T5_mT6_T7_P12ihipStream_tbENKUlT_T0_E_clISt17integral_constantIbLb1EESY_IbLb0EEEEDaSU_SV_EUlSU_E_NS1_11comp_targetILNS1_3genE2ELNS1_11target_archE906ELNS1_3gpuE6ELNS1_3repE0EEENS1_30default_config_static_selectorELNS0_4arch9wavefront6targetE1EEEvT1_,"axG",@progbits,_ZN7rocprim17ROCPRIM_400000_NS6detail17trampoline_kernelINS0_14default_configENS1_27scan_by_key_config_selectorIxxEEZZNS1_16scan_by_key_implILNS1_25lookback_scan_determinismE0ELb0ES3_N6thrust23THRUST_200600_302600_NS6detail15normal_iteratorINS9_10device_ptrIxEEEESE_SE_xNS9_10multipliesIxEENS9_8equal_toIxEExEE10hipError_tPvRmT2_T3_T4_T5_mT6_T7_P12ihipStream_tbENKUlT_T0_E_clISt17integral_constantIbLb1EESY_IbLb0EEEEDaSU_SV_EUlSU_E_NS1_11comp_targetILNS1_3genE2ELNS1_11target_archE906ELNS1_3gpuE6ELNS1_3repE0EEENS1_30default_config_static_selectorELNS0_4arch9wavefront6targetE1EEEvT1_,comdat
.Lfunc_end70:
	.size	_ZN7rocprim17ROCPRIM_400000_NS6detail17trampoline_kernelINS0_14default_configENS1_27scan_by_key_config_selectorIxxEEZZNS1_16scan_by_key_implILNS1_25lookback_scan_determinismE0ELb0ES3_N6thrust23THRUST_200600_302600_NS6detail15normal_iteratorINS9_10device_ptrIxEEEESE_SE_xNS9_10multipliesIxEENS9_8equal_toIxEExEE10hipError_tPvRmT2_T3_T4_T5_mT6_T7_P12ihipStream_tbENKUlT_T0_E_clISt17integral_constantIbLb1EESY_IbLb0EEEEDaSU_SV_EUlSU_E_NS1_11comp_targetILNS1_3genE2ELNS1_11target_archE906ELNS1_3gpuE6ELNS1_3repE0EEENS1_30default_config_static_selectorELNS0_4arch9wavefront6targetE1EEEvT1_, .Lfunc_end70-_ZN7rocprim17ROCPRIM_400000_NS6detail17trampoline_kernelINS0_14default_configENS1_27scan_by_key_config_selectorIxxEEZZNS1_16scan_by_key_implILNS1_25lookback_scan_determinismE0ELb0ES3_N6thrust23THRUST_200600_302600_NS6detail15normal_iteratorINS9_10device_ptrIxEEEESE_SE_xNS9_10multipliesIxEENS9_8equal_toIxEExEE10hipError_tPvRmT2_T3_T4_T5_mT6_T7_P12ihipStream_tbENKUlT_T0_E_clISt17integral_constantIbLb1EESY_IbLb0EEEEDaSU_SV_EUlSU_E_NS1_11comp_targetILNS1_3genE2ELNS1_11target_archE906ELNS1_3gpuE6ELNS1_3repE0EEENS1_30default_config_static_selectorELNS0_4arch9wavefront6targetE1EEEvT1_
                                        ; -- End function
	.section	.AMDGPU.csdata,"",@progbits
; Kernel info:
; codeLenInByte = 0
; NumSgprs: 4
; NumVgprs: 0
; NumAgprs: 0
; TotalNumVgprs: 0
; ScratchSize: 0
; MemoryBound: 0
; FloatMode: 240
; IeeeMode: 1
; LDSByteSize: 0 bytes/workgroup (compile time only)
; SGPRBlocks: 0
; VGPRBlocks: 0
; NumSGPRsForWavesPerEU: 4
; NumVGPRsForWavesPerEU: 1
; AccumOffset: 4
; Occupancy: 8
; WaveLimiterHint : 0
; COMPUTE_PGM_RSRC2:SCRATCH_EN: 0
; COMPUTE_PGM_RSRC2:USER_SGPR: 6
; COMPUTE_PGM_RSRC2:TRAP_HANDLER: 0
; COMPUTE_PGM_RSRC2:TGID_X_EN: 1
; COMPUTE_PGM_RSRC2:TGID_Y_EN: 0
; COMPUTE_PGM_RSRC2:TGID_Z_EN: 0
; COMPUTE_PGM_RSRC2:TIDIG_COMP_CNT: 0
; COMPUTE_PGM_RSRC3_GFX90A:ACCUM_OFFSET: 0
; COMPUTE_PGM_RSRC3_GFX90A:TG_SPLIT: 0
	.section	.text._ZN7rocprim17ROCPRIM_400000_NS6detail17trampoline_kernelINS0_14default_configENS1_27scan_by_key_config_selectorIxxEEZZNS1_16scan_by_key_implILNS1_25lookback_scan_determinismE0ELb0ES3_N6thrust23THRUST_200600_302600_NS6detail15normal_iteratorINS9_10device_ptrIxEEEESE_SE_xNS9_10multipliesIxEENS9_8equal_toIxEExEE10hipError_tPvRmT2_T3_T4_T5_mT6_T7_P12ihipStream_tbENKUlT_T0_E_clISt17integral_constantIbLb1EESY_IbLb0EEEEDaSU_SV_EUlSU_E_NS1_11comp_targetILNS1_3genE10ELNS1_11target_archE1200ELNS1_3gpuE4ELNS1_3repE0EEENS1_30default_config_static_selectorELNS0_4arch9wavefront6targetE1EEEvT1_,"axG",@progbits,_ZN7rocprim17ROCPRIM_400000_NS6detail17trampoline_kernelINS0_14default_configENS1_27scan_by_key_config_selectorIxxEEZZNS1_16scan_by_key_implILNS1_25lookback_scan_determinismE0ELb0ES3_N6thrust23THRUST_200600_302600_NS6detail15normal_iteratorINS9_10device_ptrIxEEEESE_SE_xNS9_10multipliesIxEENS9_8equal_toIxEExEE10hipError_tPvRmT2_T3_T4_T5_mT6_T7_P12ihipStream_tbENKUlT_T0_E_clISt17integral_constantIbLb1EESY_IbLb0EEEEDaSU_SV_EUlSU_E_NS1_11comp_targetILNS1_3genE10ELNS1_11target_archE1200ELNS1_3gpuE4ELNS1_3repE0EEENS1_30default_config_static_selectorELNS0_4arch9wavefront6targetE1EEEvT1_,comdat
	.protected	_ZN7rocprim17ROCPRIM_400000_NS6detail17trampoline_kernelINS0_14default_configENS1_27scan_by_key_config_selectorIxxEEZZNS1_16scan_by_key_implILNS1_25lookback_scan_determinismE0ELb0ES3_N6thrust23THRUST_200600_302600_NS6detail15normal_iteratorINS9_10device_ptrIxEEEESE_SE_xNS9_10multipliesIxEENS9_8equal_toIxEExEE10hipError_tPvRmT2_T3_T4_T5_mT6_T7_P12ihipStream_tbENKUlT_T0_E_clISt17integral_constantIbLb1EESY_IbLb0EEEEDaSU_SV_EUlSU_E_NS1_11comp_targetILNS1_3genE10ELNS1_11target_archE1200ELNS1_3gpuE4ELNS1_3repE0EEENS1_30default_config_static_selectorELNS0_4arch9wavefront6targetE1EEEvT1_ ; -- Begin function _ZN7rocprim17ROCPRIM_400000_NS6detail17trampoline_kernelINS0_14default_configENS1_27scan_by_key_config_selectorIxxEEZZNS1_16scan_by_key_implILNS1_25lookback_scan_determinismE0ELb0ES3_N6thrust23THRUST_200600_302600_NS6detail15normal_iteratorINS9_10device_ptrIxEEEESE_SE_xNS9_10multipliesIxEENS9_8equal_toIxEExEE10hipError_tPvRmT2_T3_T4_T5_mT6_T7_P12ihipStream_tbENKUlT_T0_E_clISt17integral_constantIbLb1EESY_IbLb0EEEEDaSU_SV_EUlSU_E_NS1_11comp_targetILNS1_3genE10ELNS1_11target_archE1200ELNS1_3gpuE4ELNS1_3repE0EEENS1_30default_config_static_selectorELNS0_4arch9wavefront6targetE1EEEvT1_
	.globl	_ZN7rocprim17ROCPRIM_400000_NS6detail17trampoline_kernelINS0_14default_configENS1_27scan_by_key_config_selectorIxxEEZZNS1_16scan_by_key_implILNS1_25lookback_scan_determinismE0ELb0ES3_N6thrust23THRUST_200600_302600_NS6detail15normal_iteratorINS9_10device_ptrIxEEEESE_SE_xNS9_10multipliesIxEENS9_8equal_toIxEExEE10hipError_tPvRmT2_T3_T4_T5_mT6_T7_P12ihipStream_tbENKUlT_T0_E_clISt17integral_constantIbLb1EESY_IbLb0EEEEDaSU_SV_EUlSU_E_NS1_11comp_targetILNS1_3genE10ELNS1_11target_archE1200ELNS1_3gpuE4ELNS1_3repE0EEENS1_30default_config_static_selectorELNS0_4arch9wavefront6targetE1EEEvT1_
	.p2align	8
	.type	_ZN7rocprim17ROCPRIM_400000_NS6detail17trampoline_kernelINS0_14default_configENS1_27scan_by_key_config_selectorIxxEEZZNS1_16scan_by_key_implILNS1_25lookback_scan_determinismE0ELb0ES3_N6thrust23THRUST_200600_302600_NS6detail15normal_iteratorINS9_10device_ptrIxEEEESE_SE_xNS9_10multipliesIxEENS9_8equal_toIxEExEE10hipError_tPvRmT2_T3_T4_T5_mT6_T7_P12ihipStream_tbENKUlT_T0_E_clISt17integral_constantIbLb1EESY_IbLb0EEEEDaSU_SV_EUlSU_E_NS1_11comp_targetILNS1_3genE10ELNS1_11target_archE1200ELNS1_3gpuE4ELNS1_3repE0EEENS1_30default_config_static_selectorELNS0_4arch9wavefront6targetE1EEEvT1_,@function
_ZN7rocprim17ROCPRIM_400000_NS6detail17trampoline_kernelINS0_14default_configENS1_27scan_by_key_config_selectorIxxEEZZNS1_16scan_by_key_implILNS1_25lookback_scan_determinismE0ELb0ES3_N6thrust23THRUST_200600_302600_NS6detail15normal_iteratorINS9_10device_ptrIxEEEESE_SE_xNS9_10multipliesIxEENS9_8equal_toIxEExEE10hipError_tPvRmT2_T3_T4_T5_mT6_T7_P12ihipStream_tbENKUlT_T0_E_clISt17integral_constantIbLb1EESY_IbLb0EEEEDaSU_SV_EUlSU_E_NS1_11comp_targetILNS1_3genE10ELNS1_11target_archE1200ELNS1_3gpuE4ELNS1_3repE0EEENS1_30default_config_static_selectorELNS0_4arch9wavefront6targetE1EEEvT1_: ; @_ZN7rocprim17ROCPRIM_400000_NS6detail17trampoline_kernelINS0_14default_configENS1_27scan_by_key_config_selectorIxxEEZZNS1_16scan_by_key_implILNS1_25lookback_scan_determinismE0ELb0ES3_N6thrust23THRUST_200600_302600_NS6detail15normal_iteratorINS9_10device_ptrIxEEEESE_SE_xNS9_10multipliesIxEENS9_8equal_toIxEExEE10hipError_tPvRmT2_T3_T4_T5_mT6_T7_P12ihipStream_tbENKUlT_T0_E_clISt17integral_constantIbLb1EESY_IbLb0EEEEDaSU_SV_EUlSU_E_NS1_11comp_targetILNS1_3genE10ELNS1_11target_archE1200ELNS1_3gpuE4ELNS1_3repE0EEENS1_30default_config_static_selectorELNS0_4arch9wavefront6targetE1EEEvT1_
; %bb.0:
	.section	.rodata,"a",@progbits
	.p2align	6, 0x0
	.amdhsa_kernel _ZN7rocprim17ROCPRIM_400000_NS6detail17trampoline_kernelINS0_14default_configENS1_27scan_by_key_config_selectorIxxEEZZNS1_16scan_by_key_implILNS1_25lookback_scan_determinismE0ELb0ES3_N6thrust23THRUST_200600_302600_NS6detail15normal_iteratorINS9_10device_ptrIxEEEESE_SE_xNS9_10multipliesIxEENS9_8equal_toIxEExEE10hipError_tPvRmT2_T3_T4_T5_mT6_T7_P12ihipStream_tbENKUlT_T0_E_clISt17integral_constantIbLb1EESY_IbLb0EEEEDaSU_SV_EUlSU_E_NS1_11comp_targetILNS1_3genE10ELNS1_11target_archE1200ELNS1_3gpuE4ELNS1_3repE0EEENS1_30default_config_static_selectorELNS0_4arch9wavefront6targetE1EEEvT1_
		.amdhsa_group_segment_fixed_size 0
		.amdhsa_private_segment_fixed_size 0
		.amdhsa_kernarg_size 136
		.amdhsa_user_sgpr_count 6
		.amdhsa_user_sgpr_private_segment_buffer 1
		.amdhsa_user_sgpr_dispatch_ptr 0
		.amdhsa_user_sgpr_queue_ptr 0
		.amdhsa_user_sgpr_kernarg_segment_ptr 1
		.amdhsa_user_sgpr_dispatch_id 0
		.amdhsa_user_sgpr_flat_scratch_init 0
		.amdhsa_user_sgpr_kernarg_preload_length 0
		.amdhsa_user_sgpr_kernarg_preload_offset 0
		.amdhsa_user_sgpr_private_segment_size 0
		.amdhsa_uses_dynamic_stack 0
		.amdhsa_system_sgpr_private_segment_wavefront_offset 0
		.amdhsa_system_sgpr_workgroup_id_x 1
		.amdhsa_system_sgpr_workgroup_id_y 0
		.amdhsa_system_sgpr_workgroup_id_z 0
		.amdhsa_system_sgpr_workgroup_info 0
		.amdhsa_system_vgpr_workitem_id 0
		.amdhsa_next_free_vgpr 1
		.amdhsa_next_free_sgpr 0
		.amdhsa_accum_offset 4
		.amdhsa_reserve_vcc 0
		.amdhsa_reserve_flat_scratch 0
		.amdhsa_float_round_mode_32 0
		.amdhsa_float_round_mode_16_64 0
		.amdhsa_float_denorm_mode_32 3
		.amdhsa_float_denorm_mode_16_64 3
		.amdhsa_dx10_clamp 1
		.amdhsa_ieee_mode 1
		.amdhsa_fp16_overflow 0
		.amdhsa_tg_split 0
		.amdhsa_exception_fp_ieee_invalid_op 0
		.amdhsa_exception_fp_denorm_src 0
		.amdhsa_exception_fp_ieee_div_zero 0
		.amdhsa_exception_fp_ieee_overflow 0
		.amdhsa_exception_fp_ieee_underflow 0
		.amdhsa_exception_fp_ieee_inexact 0
		.amdhsa_exception_int_div_zero 0
	.end_amdhsa_kernel
	.section	.text._ZN7rocprim17ROCPRIM_400000_NS6detail17trampoline_kernelINS0_14default_configENS1_27scan_by_key_config_selectorIxxEEZZNS1_16scan_by_key_implILNS1_25lookback_scan_determinismE0ELb0ES3_N6thrust23THRUST_200600_302600_NS6detail15normal_iteratorINS9_10device_ptrIxEEEESE_SE_xNS9_10multipliesIxEENS9_8equal_toIxEExEE10hipError_tPvRmT2_T3_T4_T5_mT6_T7_P12ihipStream_tbENKUlT_T0_E_clISt17integral_constantIbLb1EESY_IbLb0EEEEDaSU_SV_EUlSU_E_NS1_11comp_targetILNS1_3genE10ELNS1_11target_archE1200ELNS1_3gpuE4ELNS1_3repE0EEENS1_30default_config_static_selectorELNS0_4arch9wavefront6targetE1EEEvT1_,"axG",@progbits,_ZN7rocprim17ROCPRIM_400000_NS6detail17trampoline_kernelINS0_14default_configENS1_27scan_by_key_config_selectorIxxEEZZNS1_16scan_by_key_implILNS1_25lookback_scan_determinismE0ELb0ES3_N6thrust23THRUST_200600_302600_NS6detail15normal_iteratorINS9_10device_ptrIxEEEESE_SE_xNS9_10multipliesIxEENS9_8equal_toIxEExEE10hipError_tPvRmT2_T3_T4_T5_mT6_T7_P12ihipStream_tbENKUlT_T0_E_clISt17integral_constantIbLb1EESY_IbLb0EEEEDaSU_SV_EUlSU_E_NS1_11comp_targetILNS1_3genE10ELNS1_11target_archE1200ELNS1_3gpuE4ELNS1_3repE0EEENS1_30default_config_static_selectorELNS0_4arch9wavefront6targetE1EEEvT1_,comdat
.Lfunc_end71:
	.size	_ZN7rocprim17ROCPRIM_400000_NS6detail17trampoline_kernelINS0_14default_configENS1_27scan_by_key_config_selectorIxxEEZZNS1_16scan_by_key_implILNS1_25lookback_scan_determinismE0ELb0ES3_N6thrust23THRUST_200600_302600_NS6detail15normal_iteratorINS9_10device_ptrIxEEEESE_SE_xNS9_10multipliesIxEENS9_8equal_toIxEExEE10hipError_tPvRmT2_T3_T4_T5_mT6_T7_P12ihipStream_tbENKUlT_T0_E_clISt17integral_constantIbLb1EESY_IbLb0EEEEDaSU_SV_EUlSU_E_NS1_11comp_targetILNS1_3genE10ELNS1_11target_archE1200ELNS1_3gpuE4ELNS1_3repE0EEENS1_30default_config_static_selectorELNS0_4arch9wavefront6targetE1EEEvT1_, .Lfunc_end71-_ZN7rocprim17ROCPRIM_400000_NS6detail17trampoline_kernelINS0_14default_configENS1_27scan_by_key_config_selectorIxxEEZZNS1_16scan_by_key_implILNS1_25lookback_scan_determinismE0ELb0ES3_N6thrust23THRUST_200600_302600_NS6detail15normal_iteratorINS9_10device_ptrIxEEEESE_SE_xNS9_10multipliesIxEENS9_8equal_toIxEExEE10hipError_tPvRmT2_T3_T4_T5_mT6_T7_P12ihipStream_tbENKUlT_T0_E_clISt17integral_constantIbLb1EESY_IbLb0EEEEDaSU_SV_EUlSU_E_NS1_11comp_targetILNS1_3genE10ELNS1_11target_archE1200ELNS1_3gpuE4ELNS1_3repE0EEENS1_30default_config_static_selectorELNS0_4arch9wavefront6targetE1EEEvT1_
                                        ; -- End function
	.section	.AMDGPU.csdata,"",@progbits
; Kernel info:
; codeLenInByte = 0
; NumSgprs: 4
; NumVgprs: 0
; NumAgprs: 0
; TotalNumVgprs: 0
; ScratchSize: 0
; MemoryBound: 0
; FloatMode: 240
; IeeeMode: 1
; LDSByteSize: 0 bytes/workgroup (compile time only)
; SGPRBlocks: 0
; VGPRBlocks: 0
; NumSGPRsForWavesPerEU: 4
; NumVGPRsForWavesPerEU: 1
; AccumOffset: 4
; Occupancy: 8
; WaveLimiterHint : 0
; COMPUTE_PGM_RSRC2:SCRATCH_EN: 0
; COMPUTE_PGM_RSRC2:USER_SGPR: 6
; COMPUTE_PGM_RSRC2:TRAP_HANDLER: 0
; COMPUTE_PGM_RSRC2:TGID_X_EN: 1
; COMPUTE_PGM_RSRC2:TGID_Y_EN: 0
; COMPUTE_PGM_RSRC2:TGID_Z_EN: 0
; COMPUTE_PGM_RSRC2:TIDIG_COMP_CNT: 0
; COMPUTE_PGM_RSRC3_GFX90A:ACCUM_OFFSET: 0
; COMPUTE_PGM_RSRC3_GFX90A:TG_SPLIT: 0
	.section	.text._ZN7rocprim17ROCPRIM_400000_NS6detail17trampoline_kernelINS0_14default_configENS1_27scan_by_key_config_selectorIxxEEZZNS1_16scan_by_key_implILNS1_25lookback_scan_determinismE0ELb0ES3_N6thrust23THRUST_200600_302600_NS6detail15normal_iteratorINS9_10device_ptrIxEEEESE_SE_xNS9_10multipliesIxEENS9_8equal_toIxEExEE10hipError_tPvRmT2_T3_T4_T5_mT6_T7_P12ihipStream_tbENKUlT_T0_E_clISt17integral_constantIbLb1EESY_IbLb0EEEEDaSU_SV_EUlSU_E_NS1_11comp_targetILNS1_3genE9ELNS1_11target_archE1100ELNS1_3gpuE3ELNS1_3repE0EEENS1_30default_config_static_selectorELNS0_4arch9wavefront6targetE1EEEvT1_,"axG",@progbits,_ZN7rocprim17ROCPRIM_400000_NS6detail17trampoline_kernelINS0_14default_configENS1_27scan_by_key_config_selectorIxxEEZZNS1_16scan_by_key_implILNS1_25lookback_scan_determinismE0ELb0ES3_N6thrust23THRUST_200600_302600_NS6detail15normal_iteratorINS9_10device_ptrIxEEEESE_SE_xNS9_10multipliesIxEENS9_8equal_toIxEExEE10hipError_tPvRmT2_T3_T4_T5_mT6_T7_P12ihipStream_tbENKUlT_T0_E_clISt17integral_constantIbLb1EESY_IbLb0EEEEDaSU_SV_EUlSU_E_NS1_11comp_targetILNS1_3genE9ELNS1_11target_archE1100ELNS1_3gpuE3ELNS1_3repE0EEENS1_30default_config_static_selectorELNS0_4arch9wavefront6targetE1EEEvT1_,comdat
	.protected	_ZN7rocprim17ROCPRIM_400000_NS6detail17trampoline_kernelINS0_14default_configENS1_27scan_by_key_config_selectorIxxEEZZNS1_16scan_by_key_implILNS1_25lookback_scan_determinismE0ELb0ES3_N6thrust23THRUST_200600_302600_NS6detail15normal_iteratorINS9_10device_ptrIxEEEESE_SE_xNS9_10multipliesIxEENS9_8equal_toIxEExEE10hipError_tPvRmT2_T3_T4_T5_mT6_T7_P12ihipStream_tbENKUlT_T0_E_clISt17integral_constantIbLb1EESY_IbLb0EEEEDaSU_SV_EUlSU_E_NS1_11comp_targetILNS1_3genE9ELNS1_11target_archE1100ELNS1_3gpuE3ELNS1_3repE0EEENS1_30default_config_static_selectorELNS0_4arch9wavefront6targetE1EEEvT1_ ; -- Begin function _ZN7rocprim17ROCPRIM_400000_NS6detail17trampoline_kernelINS0_14default_configENS1_27scan_by_key_config_selectorIxxEEZZNS1_16scan_by_key_implILNS1_25lookback_scan_determinismE0ELb0ES3_N6thrust23THRUST_200600_302600_NS6detail15normal_iteratorINS9_10device_ptrIxEEEESE_SE_xNS9_10multipliesIxEENS9_8equal_toIxEExEE10hipError_tPvRmT2_T3_T4_T5_mT6_T7_P12ihipStream_tbENKUlT_T0_E_clISt17integral_constantIbLb1EESY_IbLb0EEEEDaSU_SV_EUlSU_E_NS1_11comp_targetILNS1_3genE9ELNS1_11target_archE1100ELNS1_3gpuE3ELNS1_3repE0EEENS1_30default_config_static_selectorELNS0_4arch9wavefront6targetE1EEEvT1_
	.globl	_ZN7rocprim17ROCPRIM_400000_NS6detail17trampoline_kernelINS0_14default_configENS1_27scan_by_key_config_selectorIxxEEZZNS1_16scan_by_key_implILNS1_25lookback_scan_determinismE0ELb0ES3_N6thrust23THRUST_200600_302600_NS6detail15normal_iteratorINS9_10device_ptrIxEEEESE_SE_xNS9_10multipliesIxEENS9_8equal_toIxEExEE10hipError_tPvRmT2_T3_T4_T5_mT6_T7_P12ihipStream_tbENKUlT_T0_E_clISt17integral_constantIbLb1EESY_IbLb0EEEEDaSU_SV_EUlSU_E_NS1_11comp_targetILNS1_3genE9ELNS1_11target_archE1100ELNS1_3gpuE3ELNS1_3repE0EEENS1_30default_config_static_selectorELNS0_4arch9wavefront6targetE1EEEvT1_
	.p2align	8
	.type	_ZN7rocprim17ROCPRIM_400000_NS6detail17trampoline_kernelINS0_14default_configENS1_27scan_by_key_config_selectorIxxEEZZNS1_16scan_by_key_implILNS1_25lookback_scan_determinismE0ELb0ES3_N6thrust23THRUST_200600_302600_NS6detail15normal_iteratorINS9_10device_ptrIxEEEESE_SE_xNS9_10multipliesIxEENS9_8equal_toIxEExEE10hipError_tPvRmT2_T3_T4_T5_mT6_T7_P12ihipStream_tbENKUlT_T0_E_clISt17integral_constantIbLb1EESY_IbLb0EEEEDaSU_SV_EUlSU_E_NS1_11comp_targetILNS1_3genE9ELNS1_11target_archE1100ELNS1_3gpuE3ELNS1_3repE0EEENS1_30default_config_static_selectorELNS0_4arch9wavefront6targetE1EEEvT1_,@function
_ZN7rocprim17ROCPRIM_400000_NS6detail17trampoline_kernelINS0_14default_configENS1_27scan_by_key_config_selectorIxxEEZZNS1_16scan_by_key_implILNS1_25lookback_scan_determinismE0ELb0ES3_N6thrust23THRUST_200600_302600_NS6detail15normal_iteratorINS9_10device_ptrIxEEEESE_SE_xNS9_10multipliesIxEENS9_8equal_toIxEExEE10hipError_tPvRmT2_T3_T4_T5_mT6_T7_P12ihipStream_tbENKUlT_T0_E_clISt17integral_constantIbLb1EESY_IbLb0EEEEDaSU_SV_EUlSU_E_NS1_11comp_targetILNS1_3genE9ELNS1_11target_archE1100ELNS1_3gpuE3ELNS1_3repE0EEENS1_30default_config_static_selectorELNS0_4arch9wavefront6targetE1EEEvT1_: ; @_ZN7rocprim17ROCPRIM_400000_NS6detail17trampoline_kernelINS0_14default_configENS1_27scan_by_key_config_selectorIxxEEZZNS1_16scan_by_key_implILNS1_25lookback_scan_determinismE0ELb0ES3_N6thrust23THRUST_200600_302600_NS6detail15normal_iteratorINS9_10device_ptrIxEEEESE_SE_xNS9_10multipliesIxEENS9_8equal_toIxEExEE10hipError_tPvRmT2_T3_T4_T5_mT6_T7_P12ihipStream_tbENKUlT_T0_E_clISt17integral_constantIbLb1EESY_IbLb0EEEEDaSU_SV_EUlSU_E_NS1_11comp_targetILNS1_3genE9ELNS1_11target_archE1100ELNS1_3gpuE3ELNS1_3repE0EEENS1_30default_config_static_selectorELNS0_4arch9wavefront6targetE1EEEvT1_
; %bb.0:
	.section	.rodata,"a",@progbits
	.p2align	6, 0x0
	.amdhsa_kernel _ZN7rocprim17ROCPRIM_400000_NS6detail17trampoline_kernelINS0_14default_configENS1_27scan_by_key_config_selectorIxxEEZZNS1_16scan_by_key_implILNS1_25lookback_scan_determinismE0ELb0ES3_N6thrust23THRUST_200600_302600_NS6detail15normal_iteratorINS9_10device_ptrIxEEEESE_SE_xNS9_10multipliesIxEENS9_8equal_toIxEExEE10hipError_tPvRmT2_T3_T4_T5_mT6_T7_P12ihipStream_tbENKUlT_T0_E_clISt17integral_constantIbLb1EESY_IbLb0EEEEDaSU_SV_EUlSU_E_NS1_11comp_targetILNS1_3genE9ELNS1_11target_archE1100ELNS1_3gpuE3ELNS1_3repE0EEENS1_30default_config_static_selectorELNS0_4arch9wavefront6targetE1EEEvT1_
		.amdhsa_group_segment_fixed_size 0
		.amdhsa_private_segment_fixed_size 0
		.amdhsa_kernarg_size 136
		.amdhsa_user_sgpr_count 6
		.amdhsa_user_sgpr_private_segment_buffer 1
		.amdhsa_user_sgpr_dispatch_ptr 0
		.amdhsa_user_sgpr_queue_ptr 0
		.amdhsa_user_sgpr_kernarg_segment_ptr 1
		.amdhsa_user_sgpr_dispatch_id 0
		.amdhsa_user_sgpr_flat_scratch_init 0
		.amdhsa_user_sgpr_kernarg_preload_length 0
		.amdhsa_user_sgpr_kernarg_preload_offset 0
		.amdhsa_user_sgpr_private_segment_size 0
		.amdhsa_uses_dynamic_stack 0
		.amdhsa_system_sgpr_private_segment_wavefront_offset 0
		.amdhsa_system_sgpr_workgroup_id_x 1
		.amdhsa_system_sgpr_workgroup_id_y 0
		.amdhsa_system_sgpr_workgroup_id_z 0
		.amdhsa_system_sgpr_workgroup_info 0
		.amdhsa_system_vgpr_workitem_id 0
		.amdhsa_next_free_vgpr 1
		.amdhsa_next_free_sgpr 0
		.amdhsa_accum_offset 4
		.amdhsa_reserve_vcc 0
		.amdhsa_reserve_flat_scratch 0
		.amdhsa_float_round_mode_32 0
		.amdhsa_float_round_mode_16_64 0
		.amdhsa_float_denorm_mode_32 3
		.amdhsa_float_denorm_mode_16_64 3
		.amdhsa_dx10_clamp 1
		.amdhsa_ieee_mode 1
		.amdhsa_fp16_overflow 0
		.amdhsa_tg_split 0
		.amdhsa_exception_fp_ieee_invalid_op 0
		.amdhsa_exception_fp_denorm_src 0
		.amdhsa_exception_fp_ieee_div_zero 0
		.amdhsa_exception_fp_ieee_overflow 0
		.amdhsa_exception_fp_ieee_underflow 0
		.amdhsa_exception_fp_ieee_inexact 0
		.amdhsa_exception_int_div_zero 0
	.end_amdhsa_kernel
	.section	.text._ZN7rocprim17ROCPRIM_400000_NS6detail17trampoline_kernelINS0_14default_configENS1_27scan_by_key_config_selectorIxxEEZZNS1_16scan_by_key_implILNS1_25lookback_scan_determinismE0ELb0ES3_N6thrust23THRUST_200600_302600_NS6detail15normal_iteratorINS9_10device_ptrIxEEEESE_SE_xNS9_10multipliesIxEENS9_8equal_toIxEExEE10hipError_tPvRmT2_T3_T4_T5_mT6_T7_P12ihipStream_tbENKUlT_T0_E_clISt17integral_constantIbLb1EESY_IbLb0EEEEDaSU_SV_EUlSU_E_NS1_11comp_targetILNS1_3genE9ELNS1_11target_archE1100ELNS1_3gpuE3ELNS1_3repE0EEENS1_30default_config_static_selectorELNS0_4arch9wavefront6targetE1EEEvT1_,"axG",@progbits,_ZN7rocprim17ROCPRIM_400000_NS6detail17trampoline_kernelINS0_14default_configENS1_27scan_by_key_config_selectorIxxEEZZNS1_16scan_by_key_implILNS1_25lookback_scan_determinismE0ELb0ES3_N6thrust23THRUST_200600_302600_NS6detail15normal_iteratorINS9_10device_ptrIxEEEESE_SE_xNS9_10multipliesIxEENS9_8equal_toIxEExEE10hipError_tPvRmT2_T3_T4_T5_mT6_T7_P12ihipStream_tbENKUlT_T0_E_clISt17integral_constantIbLb1EESY_IbLb0EEEEDaSU_SV_EUlSU_E_NS1_11comp_targetILNS1_3genE9ELNS1_11target_archE1100ELNS1_3gpuE3ELNS1_3repE0EEENS1_30default_config_static_selectorELNS0_4arch9wavefront6targetE1EEEvT1_,comdat
.Lfunc_end72:
	.size	_ZN7rocprim17ROCPRIM_400000_NS6detail17trampoline_kernelINS0_14default_configENS1_27scan_by_key_config_selectorIxxEEZZNS1_16scan_by_key_implILNS1_25lookback_scan_determinismE0ELb0ES3_N6thrust23THRUST_200600_302600_NS6detail15normal_iteratorINS9_10device_ptrIxEEEESE_SE_xNS9_10multipliesIxEENS9_8equal_toIxEExEE10hipError_tPvRmT2_T3_T4_T5_mT6_T7_P12ihipStream_tbENKUlT_T0_E_clISt17integral_constantIbLb1EESY_IbLb0EEEEDaSU_SV_EUlSU_E_NS1_11comp_targetILNS1_3genE9ELNS1_11target_archE1100ELNS1_3gpuE3ELNS1_3repE0EEENS1_30default_config_static_selectorELNS0_4arch9wavefront6targetE1EEEvT1_, .Lfunc_end72-_ZN7rocprim17ROCPRIM_400000_NS6detail17trampoline_kernelINS0_14default_configENS1_27scan_by_key_config_selectorIxxEEZZNS1_16scan_by_key_implILNS1_25lookback_scan_determinismE0ELb0ES3_N6thrust23THRUST_200600_302600_NS6detail15normal_iteratorINS9_10device_ptrIxEEEESE_SE_xNS9_10multipliesIxEENS9_8equal_toIxEExEE10hipError_tPvRmT2_T3_T4_T5_mT6_T7_P12ihipStream_tbENKUlT_T0_E_clISt17integral_constantIbLb1EESY_IbLb0EEEEDaSU_SV_EUlSU_E_NS1_11comp_targetILNS1_3genE9ELNS1_11target_archE1100ELNS1_3gpuE3ELNS1_3repE0EEENS1_30default_config_static_selectorELNS0_4arch9wavefront6targetE1EEEvT1_
                                        ; -- End function
	.section	.AMDGPU.csdata,"",@progbits
; Kernel info:
; codeLenInByte = 0
; NumSgprs: 4
; NumVgprs: 0
; NumAgprs: 0
; TotalNumVgprs: 0
; ScratchSize: 0
; MemoryBound: 0
; FloatMode: 240
; IeeeMode: 1
; LDSByteSize: 0 bytes/workgroup (compile time only)
; SGPRBlocks: 0
; VGPRBlocks: 0
; NumSGPRsForWavesPerEU: 4
; NumVGPRsForWavesPerEU: 1
; AccumOffset: 4
; Occupancy: 8
; WaveLimiterHint : 0
; COMPUTE_PGM_RSRC2:SCRATCH_EN: 0
; COMPUTE_PGM_RSRC2:USER_SGPR: 6
; COMPUTE_PGM_RSRC2:TRAP_HANDLER: 0
; COMPUTE_PGM_RSRC2:TGID_X_EN: 1
; COMPUTE_PGM_RSRC2:TGID_Y_EN: 0
; COMPUTE_PGM_RSRC2:TGID_Z_EN: 0
; COMPUTE_PGM_RSRC2:TIDIG_COMP_CNT: 0
; COMPUTE_PGM_RSRC3_GFX90A:ACCUM_OFFSET: 0
; COMPUTE_PGM_RSRC3_GFX90A:TG_SPLIT: 0
	.section	.text._ZN7rocprim17ROCPRIM_400000_NS6detail17trampoline_kernelINS0_14default_configENS1_27scan_by_key_config_selectorIxxEEZZNS1_16scan_by_key_implILNS1_25lookback_scan_determinismE0ELb0ES3_N6thrust23THRUST_200600_302600_NS6detail15normal_iteratorINS9_10device_ptrIxEEEESE_SE_xNS9_10multipliesIxEENS9_8equal_toIxEExEE10hipError_tPvRmT2_T3_T4_T5_mT6_T7_P12ihipStream_tbENKUlT_T0_E_clISt17integral_constantIbLb1EESY_IbLb0EEEEDaSU_SV_EUlSU_E_NS1_11comp_targetILNS1_3genE8ELNS1_11target_archE1030ELNS1_3gpuE2ELNS1_3repE0EEENS1_30default_config_static_selectorELNS0_4arch9wavefront6targetE1EEEvT1_,"axG",@progbits,_ZN7rocprim17ROCPRIM_400000_NS6detail17trampoline_kernelINS0_14default_configENS1_27scan_by_key_config_selectorIxxEEZZNS1_16scan_by_key_implILNS1_25lookback_scan_determinismE0ELb0ES3_N6thrust23THRUST_200600_302600_NS6detail15normal_iteratorINS9_10device_ptrIxEEEESE_SE_xNS9_10multipliesIxEENS9_8equal_toIxEExEE10hipError_tPvRmT2_T3_T4_T5_mT6_T7_P12ihipStream_tbENKUlT_T0_E_clISt17integral_constantIbLb1EESY_IbLb0EEEEDaSU_SV_EUlSU_E_NS1_11comp_targetILNS1_3genE8ELNS1_11target_archE1030ELNS1_3gpuE2ELNS1_3repE0EEENS1_30default_config_static_selectorELNS0_4arch9wavefront6targetE1EEEvT1_,comdat
	.protected	_ZN7rocprim17ROCPRIM_400000_NS6detail17trampoline_kernelINS0_14default_configENS1_27scan_by_key_config_selectorIxxEEZZNS1_16scan_by_key_implILNS1_25lookback_scan_determinismE0ELb0ES3_N6thrust23THRUST_200600_302600_NS6detail15normal_iteratorINS9_10device_ptrIxEEEESE_SE_xNS9_10multipliesIxEENS9_8equal_toIxEExEE10hipError_tPvRmT2_T3_T4_T5_mT6_T7_P12ihipStream_tbENKUlT_T0_E_clISt17integral_constantIbLb1EESY_IbLb0EEEEDaSU_SV_EUlSU_E_NS1_11comp_targetILNS1_3genE8ELNS1_11target_archE1030ELNS1_3gpuE2ELNS1_3repE0EEENS1_30default_config_static_selectorELNS0_4arch9wavefront6targetE1EEEvT1_ ; -- Begin function _ZN7rocprim17ROCPRIM_400000_NS6detail17trampoline_kernelINS0_14default_configENS1_27scan_by_key_config_selectorIxxEEZZNS1_16scan_by_key_implILNS1_25lookback_scan_determinismE0ELb0ES3_N6thrust23THRUST_200600_302600_NS6detail15normal_iteratorINS9_10device_ptrIxEEEESE_SE_xNS9_10multipliesIxEENS9_8equal_toIxEExEE10hipError_tPvRmT2_T3_T4_T5_mT6_T7_P12ihipStream_tbENKUlT_T0_E_clISt17integral_constantIbLb1EESY_IbLb0EEEEDaSU_SV_EUlSU_E_NS1_11comp_targetILNS1_3genE8ELNS1_11target_archE1030ELNS1_3gpuE2ELNS1_3repE0EEENS1_30default_config_static_selectorELNS0_4arch9wavefront6targetE1EEEvT1_
	.globl	_ZN7rocprim17ROCPRIM_400000_NS6detail17trampoline_kernelINS0_14default_configENS1_27scan_by_key_config_selectorIxxEEZZNS1_16scan_by_key_implILNS1_25lookback_scan_determinismE0ELb0ES3_N6thrust23THRUST_200600_302600_NS6detail15normal_iteratorINS9_10device_ptrIxEEEESE_SE_xNS9_10multipliesIxEENS9_8equal_toIxEExEE10hipError_tPvRmT2_T3_T4_T5_mT6_T7_P12ihipStream_tbENKUlT_T0_E_clISt17integral_constantIbLb1EESY_IbLb0EEEEDaSU_SV_EUlSU_E_NS1_11comp_targetILNS1_3genE8ELNS1_11target_archE1030ELNS1_3gpuE2ELNS1_3repE0EEENS1_30default_config_static_selectorELNS0_4arch9wavefront6targetE1EEEvT1_
	.p2align	8
	.type	_ZN7rocprim17ROCPRIM_400000_NS6detail17trampoline_kernelINS0_14default_configENS1_27scan_by_key_config_selectorIxxEEZZNS1_16scan_by_key_implILNS1_25lookback_scan_determinismE0ELb0ES3_N6thrust23THRUST_200600_302600_NS6detail15normal_iteratorINS9_10device_ptrIxEEEESE_SE_xNS9_10multipliesIxEENS9_8equal_toIxEExEE10hipError_tPvRmT2_T3_T4_T5_mT6_T7_P12ihipStream_tbENKUlT_T0_E_clISt17integral_constantIbLb1EESY_IbLb0EEEEDaSU_SV_EUlSU_E_NS1_11comp_targetILNS1_3genE8ELNS1_11target_archE1030ELNS1_3gpuE2ELNS1_3repE0EEENS1_30default_config_static_selectorELNS0_4arch9wavefront6targetE1EEEvT1_,@function
_ZN7rocprim17ROCPRIM_400000_NS6detail17trampoline_kernelINS0_14default_configENS1_27scan_by_key_config_selectorIxxEEZZNS1_16scan_by_key_implILNS1_25lookback_scan_determinismE0ELb0ES3_N6thrust23THRUST_200600_302600_NS6detail15normal_iteratorINS9_10device_ptrIxEEEESE_SE_xNS9_10multipliesIxEENS9_8equal_toIxEExEE10hipError_tPvRmT2_T3_T4_T5_mT6_T7_P12ihipStream_tbENKUlT_T0_E_clISt17integral_constantIbLb1EESY_IbLb0EEEEDaSU_SV_EUlSU_E_NS1_11comp_targetILNS1_3genE8ELNS1_11target_archE1030ELNS1_3gpuE2ELNS1_3repE0EEENS1_30default_config_static_selectorELNS0_4arch9wavefront6targetE1EEEvT1_: ; @_ZN7rocprim17ROCPRIM_400000_NS6detail17trampoline_kernelINS0_14default_configENS1_27scan_by_key_config_selectorIxxEEZZNS1_16scan_by_key_implILNS1_25lookback_scan_determinismE0ELb0ES3_N6thrust23THRUST_200600_302600_NS6detail15normal_iteratorINS9_10device_ptrIxEEEESE_SE_xNS9_10multipliesIxEENS9_8equal_toIxEExEE10hipError_tPvRmT2_T3_T4_T5_mT6_T7_P12ihipStream_tbENKUlT_T0_E_clISt17integral_constantIbLb1EESY_IbLb0EEEEDaSU_SV_EUlSU_E_NS1_11comp_targetILNS1_3genE8ELNS1_11target_archE1030ELNS1_3gpuE2ELNS1_3repE0EEENS1_30default_config_static_selectorELNS0_4arch9wavefront6targetE1EEEvT1_
; %bb.0:
	.section	.rodata,"a",@progbits
	.p2align	6, 0x0
	.amdhsa_kernel _ZN7rocprim17ROCPRIM_400000_NS6detail17trampoline_kernelINS0_14default_configENS1_27scan_by_key_config_selectorIxxEEZZNS1_16scan_by_key_implILNS1_25lookback_scan_determinismE0ELb0ES3_N6thrust23THRUST_200600_302600_NS6detail15normal_iteratorINS9_10device_ptrIxEEEESE_SE_xNS9_10multipliesIxEENS9_8equal_toIxEExEE10hipError_tPvRmT2_T3_T4_T5_mT6_T7_P12ihipStream_tbENKUlT_T0_E_clISt17integral_constantIbLb1EESY_IbLb0EEEEDaSU_SV_EUlSU_E_NS1_11comp_targetILNS1_3genE8ELNS1_11target_archE1030ELNS1_3gpuE2ELNS1_3repE0EEENS1_30default_config_static_selectorELNS0_4arch9wavefront6targetE1EEEvT1_
		.amdhsa_group_segment_fixed_size 0
		.amdhsa_private_segment_fixed_size 0
		.amdhsa_kernarg_size 136
		.amdhsa_user_sgpr_count 6
		.amdhsa_user_sgpr_private_segment_buffer 1
		.amdhsa_user_sgpr_dispatch_ptr 0
		.amdhsa_user_sgpr_queue_ptr 0
		.amdhsa_user_sgpr_kernarg_segment_ptr 1
		.amdhsa_user_sgpr_dispatch_id 0
		.amdhsa_user_sgpr_flat_scratch_init 0
		.amdhsa_user_sgpr_kernarg_preload_length 0
		.amdhsa_user_sgpr_kernarg_preload_offset 0
		.amdhsa_user_sgpr_private_segment_size 0
		.amdhsa_uses_dynamic_stack 0
		.amdhsa_system_sgpr_private_segment_wavefront_offset 0
		.amdhsa_system_sgpr_workgroup_id_x 1
		.amdhsa_system_sgpr_workgroup_id_y 0
		.amdhsa_system_sgpr_workgroup_id_z 0
		.amdhsa_system_sgpr_workgroup_info 0
		.amdhsa_system_vgpr_workitem_id 0
		.amdhsa_next_free_vgpr 1
		.amdhsa_next_free_sgpr 0
		.amdhsa_accum_offset 4
		.amdhsa_reserve_vcc 0
		.amdhsa_reserve_flat_scratch 0
		.amdhsa_float_round_mode_32 0
		.amdhsa_float_round_mode_16_64 0
		.amdhsa_float_denorm_mode_32 3
		.amdhsa_float_denorm_mode_16_64 3
		.amdhsa_dx10_clamp 1
		.amdhsa_ieee_mode 1
		.amdhsa_fp16_overflow 0
		.amdhsa_tg_split 0
		.amdhsa_exception_fp_ieee_invalid_op 0
		.amdhsa_exception_fp_denorm_src 0
		.amdhsa_exception_fp_ieee_div_zero 0
		.amdhsa_exception_fp_ieee_overflow 0
		.amdhsa_exception_fp_ieee_underflow 0
		.amdhsa_exception_fp_ieee_inexact 0
		.amdhsa_exception_int_div_zero 0
	.end_amdhsa_kernel
	.section	.text._ZN7rocprim17ROCPRIM_400000_NS6detail17trampoline_kernelINS0_14default_configENS1_27scan_by_key_config_selectorIxxEEZZNS1_16scan_by_key_implILNS1_25lookback_scan_determinismE0ELb0ES3_N6thrust23THRUST_200600_302600_NS6detail15normal_iteratorINS9_10device_ptrIxEEEESE_SE_xNS9_10multipliesIxEENS9_8equal_toIxEExEE10hipError_tPvRmT2_T3_T4_T5_mT6_T7_P12ihipStream_tbENKUlT_T0_E_clISt17integral_constantIbLb1EESY_IbLb0EEEEDaSU_SV_EUlSU_E_NS1_11comp_targetILNS1_3genE8ELNS1_11target_archE1030ELNS1_3gpuE2ELNS1_3repE0EEENS1_30default_config_static_selectorELNS0_4arch9wavefront6targetE1EEEvT1_,"axG",@progbits,_ZN7rocprim17ROCPRIM_400000_NS6detail17trampoline_kernelINS0_14default_configENS1_27scan_by_key_config_selectorIxxEEZZNS1_16scan_by_key_implILNS1_25lookback_scan_determinismE0ELb0ES3_N6thrust23THRUST_200600_302600_NS6detail15normal_iteratorINS9_10device_ptrIxEEEESE_SE_xNS9_10multipliesIxEENS9_8equal_toIxEExEE10hipError_tPvRmT2_T3_T4_T5_mT6_T7_P12ihipStream_tbENKUlT_T0_E_clISt17integral_constantIbLb1EESY_IbLb0EEEEDaSU_SV_EUlSU_E_NS1_11comp_targetILNS1_3genE8ELNS1_11target_archE1030ELNS1_3gpuE2ELNS1_3repE0EEENS1_30default_config_static_selectorELNS0_4arch9wavefront6targetE1EEEvT1_,comdat
.Lfunc_end73:
	.size	_ZN7rocprim17ROCPRIM_400000_NS6detail17trampoline_kernelINS0_14default_configENS1_27scan_by_key_config_selectorIxxEEZZNS1_16scan_by_key_implILNS1_25lookback_scan_determinismE0ELb0ES3_N6thrust23THRUST_200600_302600_NS6detail15normal_iteratorINS9_10device_ptrIxEEEESE_SE_xNS9_10multipliesIxEENS9_8equal_toIxEExEE10hipError_tPvRmT2_T3_T4_T5_mT6_T7_P12ihipStream_tbENKUlT_T0_E_clISt17integral_constantIbLb1EESY_IbLb0EEEEDaSU_SV_EUlSU_E_NS1_11comp_targetILNS1_3genE8ELNS1_11target_archE1030ELNS1_3gpuE2ELNS1_3repE0EEENS1_30default_config_static_selectorELNS0_4arch9wavefront6targetE1EEEvT1_, .Lfunc_end73-_ZN7rocprim17ROCPRIM_400000_NS6detail17trampoline_kernelINS0_14default_configENS1_27scan_by_key_config_selectorIxxEEZZNS1_16scan_by_key_implILNS1_25lookback_scan_determinismE0ELb0ES3_N6thrust23THRUST_200600_302600_NS6detail15normal_iteratorINS9_10device_ptrIxEEEESE_SE_xNS9_10multipliesIxEENS9_8equal_toIxEExEE10hipError_tPvRmT2_T3_T4_T5_mT6_T7_P12ihipStream_tbENKUlT_T0_E_clISt17integral_constantIbLb1EESY_IbLb0EEEEDaSU_SV_EUlSU_E_NS1_11comp_targetILNS1_3genE8ELNS1_11target_archE1030ELNS1_3gpuE2ELNS1_3repE0EEENS1_30default_config_static_selectorELNS0_4arch9wavefront6targetE1EEEvT1_
                                        ; -- End function
	.section	.AMDGPU.csdata,"",@progbits
; Kernel info:
; codeLenInByte = 0
; NumSgprs: 4
; NumVgprs: 0
; NumAgprs: 0
; TotalNumVgprs: 0
; ScratchSize: 0
; MemoryBound: 0
; FloatMode: 240
; IeeeMode: 1
; LDSByteSize: 0 bytes/workgroup (compile time only)
; SGPRBlocks: 0
; VGPRBlocks: 0
; NumSGPRsForWavesPerEU: 4
; NumVGPRsForWavesPerEU: 1
; AccumOffset: 4
; Occupancy: 8
; WaveLimiterHint : 0
; COMPUTE_PGM_RSRC2:SCRATCH_EN: 0
; COMPUTE_PGM_RSRC2:USER_SGPR: 6
; COMPUTE_PGM_RSRC2:TRAP_HANDLER: 0
; COMPUTE_PGM_RSRC2:TGID_X_EN: 1
; COMPUTE_PGM_RSRC2:TGID_Y_EN: 0
; COMPUTE_PGM_RSRC2:TGID_Z_EN: 0
; COMPUTE_PGM_RSRC2:TIDIG_COMP_CNT: 0
; COMPUTE_PGM_RSRC3_GFX90A:ACCUM_OFFSET: 0
; COMPUTE_PGM_RSRC3_GFX90A:TG_SPLIT: 0
	.section	.text._ZN7rocprim17ROCPRIM_400000_NS6detail17trampoline_kernelINS0_14default_configENS1_27scan_by_key_config_selectorIxxEEZZNS1_16scan_by_key_implILNS1_25lookback_scan_determinismE0ELb0ES3_N6thrust23THRUST_200600_302600_NS6detail15normal_iteratorINS9_10device_ptrIxEEEESE_SE_xNS9_10multipliesIxEENS9_8equal_toIxEExEE10hipError_tPvRmT2_T3_T4_T5_mT6_T7_P12ihipStream_tbENKUlT_T0_E_clISt17integral_constantIbLb0EESY_IbLb1EEEEDaSU_SV_EUlSU_E_NS1_11comp_targetILNS1_3genE0ELNS1_11target_archE4294967295ELNS1_3gpuE0ELNS1_3repE0EEENS1_30default_config_static_selectorELNS0_4arch9wavefront6targetE1EEEvT1_,"axG",@progbits,_ZN7rocprim17ROCPRIM_400000_NS6detail17trampoline_kernelINS0_14default_configENS1_27scan_by_key_config_selectorIxxEEZZNS1_16scan_by_key_implILNS1_25lookback_scan_determinismE0ELb0ES3_N6thrust23THRUST_200600_302600_NS6detail15normal_iteratorINS9_10device_ptrIxEEEESE_SE_xNS9_10multipliesIxEENS9_8equal_toIxEExEE10hipError_tPvRmT2_T3_T4_T5_mT6_T7_P12ihipStream_tbENKUlT_T0_E_clISt17integral_constantIbLb0EESY_IbLb1EEEEDaSU_SV_EUlSU_E_NS1_11comp_targetILNS1_3genE0ELNS1_11target_archE4294967295ELNS1_3gpuE0ELNS1_3repE0EEENS1_30default_config_static_selectorELNS0_4arch9wavefront6targetE1EEEvT1_,comdat
	.protected	_ZN7rocprim17ROCPRIM_400000_NS6detail17trampoline_kernelINS0_14default_configENS1_27scan_by_key_config_selectorIxxEEZZNS1_16scan_by_key_implILNS1_25lookback_scan_determinismE0ELb0ES3_N6thrust23THRUST_200600_302600_NS6detail15normal_iteratorINS9_10device_ptrIxEEEESE_SE_xNS9_10multipliesIxEENS9_8equal_toIxEExEE10hipError_tPvRmT2_T3_T4_T5_mT6_T7_P12ihipStream_tbENKUlT_T0_E_clISt17integral_constantIbLb0EESY_IbLb1EEEEDaSU_SV_EUlSU_E_NS1_11comp_targetILNS1_3genE0ELNS1_11target_archE4294967295ELNS1_3gpuE0ELNS1_3repE0EEENS1_30default_config_static_selectorELNS0_4arch9wavefront6targetE1EEEvT1_ ; -- Begin function _ZN7rocprim17ROCPRIM_400000_NS6detail17trampoline_kernelINS0_14default_configENS1_27scan_by_key_config_selectorIxxEEZZNS1_16scan_by_key_implILNS1_25lookback_scan_determinismE0ELb0ES3_N6thrust23THRUST_200600_302600_NS6detail15normal_iteratorINS9_10device_ptrIxEEEESE_SE_xNS9_10multipliesIxEENS9_8equal_toIxEExEE10hipError_tPvRmT2_T3_T4_T5_mT6_T7_P12ihipStream_tbENKUlT_T0_E_clISt17integral_constantIbLb0EESY_IbLb1EEEEDaSU_SV_EUlSU_E_NS1_11comp_targetILNS1_3genE0ELNS1_11target_archE4294967295ELNS1_3gpuE0ELNS1_3repE0EEENS1_30default_config_static_selectorELNS0_4arch9wavefront6targetE1EEEvT1_
	.globl	_ZN7rocprim17ROCPRIM_400000_NS6detail17trampoline_kernelINS0_14default_configENS1_27scan_by_key_config_selectorIxxEEZZNS1_16scan_by_key_implILNS1_25lookback_scan_determinismE0ELb0ES3_N6thrust23THRUST_200600_302600_NS6detail15normal_iteratorINS9_10device_ptrIxEEEESE_SE_xNS9_10multipliesIxEENS9_8equal_toIxEExEE10hipError_tPvRmT2_T3_T4_T5_mT6_T7_P12ihipStream_tbENKUlT_T0_E_clISt17integral_constantIbLb0EESY_IbLb1EEEEDaSU_SV_EUlSU_E_NS1_11comp_targetILNS1_3genE0ELNS1_11target_archE4294967295ELNS1_3gpuE0ELNS1_3repE0EEENS1_30default_config_static_selectorELNS0_4arch9wavefront6targetE1EEEvT1_
	.p2align	8
	.type	_ZN7rocprim17ROCPRIM_400000_NS6detail17trampoline_kernelINS0_14default_configENS1_27scan_by_key_config_selectorIxxEEZZNS1_16scan_by_key_implILNS1_25lookback_scan_determinismE0ELb0ES3_N6thrust23THRUST_200600_302600_NS6detail15normal_iteratorINS9_10device_ptrIxEEEESE_SE_xNS9_10multipliesIxEENS9_8equal_toIxEExEE10hipError_tPvRmT2_T3_T4_T5_mT6_T7_P12ihipStream_tbENKUlT_T0_E_clISt17integral_constantIbLb0EESY_IbLb1EEEEDaSU_SV_EUlSU_E_NS1_11comp_targetILNS1_3genE0ELNS1_11target_archE4294967295ELNS1_3gpuE0ELNS1_3repE0EEENS1_30default_config_static_selectorELNS0_4arch9wavefront6targetE1EEEvT1_,@function
_ZN7rocprim17ROCPRIM_400000_NS6detail17trampoline_kernelINS0_14default_configENS1_27scan_by_key_config_selectorIxxEEZZNS1_16scan_by_key_implILNS1_25lookback_scan_determinismE0ELb0ES3_N6thrust23THRUST_200600_302600_NS6detail15normal_iteratorINS9_10device_ptrIxEEEESE_SE_xNS9_10multipliesIxEENS9_8equal_toIxEExEE10hipError_tPvRmT2_T3_T4_T5_mT6_T7_P12ihipStream_tbENKUlT_T0_E_clISt17integral_constantIbLb0EESY_IbLb1EEEEDaSU_SV_EUlSU_E_NS1_11comp_targetILNS1_3genE0ELNS1_11target_archE4294967295ELNS1_3gpuE0ELNS1_3repE0EEENS1_30default_config_static_selectorELNS0_4arch9wavefront6targetE1EEEvT1_: ; @_ZN7rocprim17ROCPRIM_400000_NS6detail17trampoline_kernelINS0_14default_configENS1_27scan_by_key_config_selectorIxxEEZZNS1_16scan_by_key_implILNS1_25lookback_scan_determinismE0ELb0ES3_N6thrust23THRUST_200600_302600_NS6detail15normal_iteratorINS9_10device_ptrIxEEEESE_SE_xNS9_10multipliesIxEENS9_8equal_toIxEExEE10hipError_tPvRmT2_T3_T4_T5_mT6_T7_P12ihipStream_tbENKUlT_T0_E_clISt17integral_constantIbLb0EESY_IbLb1EEEEDaSU_SV_EUlSU_E_NS1_11comp_targetILNS1_3genE0ELNS1_11target_archE4294967295ELNS1_3gpuE0ELNS1_3repE0EEENS1_30default_config_static_selectorELNS0_4arch9wavefront6targetE1EEEvT1_
; %bb.0:
	.section	.rodata,"a",@progbits
	.p2align	6, 0x0
	.amdhsa_kernel _ZN7rocprim17ROCPRIM_400000_NS6detail17trampoline_kernelINS0_14default_configENS1_27scan_by_key_config_selectorIxxEEZZNS1_16scan_by_key_implILNS1_25lookback_scan_determinismE0ELb0ES3_N6thrust23THRUST_200600_302600_NS6detail15normal_iteratorINS9_10device_ptrIxEEEESE_SE_xNS9_10multipliesIxEENS9_8equal_toIxEExEE10hipError_tPvRmT2_T3_T4_T5_mT6_T7_P12ihipStream_tbENKUlT_T0_E_clISt17integral_constantIbLb0EESY_IbLb1EEEEDaSU_SV_EUlSU_E_NS1_11comp_targetILNS1_3genE0ELNS1_11target_archE4294967295ELNS1_3gpuE0ELNS1_3repE0EEENS1_30default_config_static_selectorELNS0_4arch9wavefront6targetE1EEEvT1_
		.amdhsa_group_segment_fixed_size 0
		.amdhsa_private_segment_fixed_size 0
		.amdhsa_kernarg_size 136
		.amdhsa_user_sgpr_count 6
		.amdhsa_user_sgpr_private_segment_buffer 1
		.amdhsa_user_sgpr_dispatch_ptr 0
		.amdhsa_user_sgpr_queue_ptr 0
		.amdhsa_user_sgpr_kernarg_segment_ptr 1
		.amdhsa_user_sgpr_dispatch_id 0
		.amdhsa_user_sgpr_flat_scratch_init 0
		.amdhsa_user_sgpr_kernarg_preload_length 0
		.amdhsa_user_sgpr_kernarg_preload_offset 0
		.amdhsa_user_sgpr_private_segment_size 0
		.amdhsa_uses_dynamic_stack 0
		.amdhsa_system_sgpr_private_segment_wavefront_offset 0
		.amdhsa_system_sgpr_workgroup_id_x 1
		.amdhsa_system_sgpr_workgroup_id_y 0
		.amdhsa_system_sgpr_workgroup_id_z 0
		.amdhsa_system_sgpr_workgroup_info 0
		.amdhsa_system_vgpr_workitem_id 0
		.amdhsa_next_free_vgpr 1
		.amdhsa_next_free_sgpr 0
		.amdhsa_accum_offset 4
		.amdhsa_reserve_vcc 0
		.amdhsa_reserve_flat_scratch 0
		.amdhsa_float_round_mode_32 0
		.amdhsa_float_round_mode_16_64 0
		.amdhsa_float_denorm_mode_32 3
		.amdhsa_float_denorm_mode_16_64 3
		.amdhsa_dx10_clamp 1
		.amdhsa_ieee_mode 1
		.amdhsa_fp16_overflow 0
		.amdhsa_tg_split 0
		.amdhsa_exception_fp_ieee_invalid_op 0
		.amdhsa_exception_fp_denorm_src 0
		.amdhsa_exception_fp_ieee_div_zero 0
		.amdhsa_exception_fp_ieee_overflow 0
		.amdhsa_exception_fp_ieee_underflow 0
		.amdhsa_exception_fp_ieee_inexact 0
		.amdhsa_exception_int_div_zero 0
	.end_amdhsa_kernel
	.section	.text._ZN7rocprim17ROCPRIM_400000_NS6detail17trampoline_kernelINS0_14default_configENS1_27scan_by_key_config_selectorIxxEEZZNS1_16scan_by_key_implILNS1_25lookback_scan_determinismE0ELb0ES3_N6thrust23THRUST_200600_302600_NS6detail15normal_iteratorINS9_10device_ptrIxEEEESE_SE_xNS9_10multipliesIxEENS9_8equal_toIxEExEE10hipError_tPvRmT2_T3_T4_T5_mT6_T7_P12ihipStream_tbENKUlT_T0_E_clISt17integral_constantIbLb0EESY_IbLb1EEEEDaSU_SV_EUlSU_E_NS1_11comp_targetILNS1_3genE0ELNS1_11target_archE4294967295ELNS1_3gpuE0ELNS1_3repE0EEENS1_30default_config_static_selectorELNS0_4arch9wavefront6targetE1EEEvT1_,"axG",@progbits,_ZN7rocprim17ROCPRIM_400000_NS6detail17trampoline_kernelINS0_14default_configENS1_27scan_by_key_config_selectorIxxEEZZNS1_16scan_by_key_implILNS1_25lookback_scan_determinismE0ELb0ES3_N6thrust23THRUST_200600_302600_NS6detail15normal_iteratorINS9_10device_ptrIxEEEESE_SE_xNS9_10multipliesIxEENS9_8equal_toIxEExEE10hipError_tPvRmT2_T3_T4_T5_mT6_T7_P12ihipStream_tbENKUlT_T0_E_clISt17integral_constantIbLb0EESY_IbLb1EEEEDaSU_SV_EUlSU_E_NS1_11comp_targetILNS1_3genE0ELNS1_11target_archE4294967295ELNS1_3gpuE0ELNS1_3repE0EEENS1_30default_config_static_selectorELNS0_4arch9wavefront6targetE1EEEvT1_,comdat
.Lfunc_end74:
	.size	_ZN7rocprim17ROCPRIM_400000_NS6detail17trampoline_kernelINS0_14default_configENS1_27scan_by_key_config_selectorIxxEEZZNS1_16scan_by_key_implILNS1_25lookback_scan_determinismE0ELb0ES3_N6thrust23THRUST_200600_302600_NS6detail15normal_iteratorINS9_10device_ptrIxEEEESE_SE_xNS9_10multipliesIxEENS9_8equal_toIxEExEE10hipError_tPvRmT2_T3_T4_T5_mT6_T7_P12ihipStream_tbENKUlT_T0_E_clISt17integral_constantIbLb0EESY_IbLb1EEEEDaSU_SV_EUlSU_E_NS1_11comp_targetILNS1_3genE0ELNS1_11target_archE4294967295ELNS1_3gpuE0ELNS1_3repE0EEENS1_30default_config_static_selectorELNS0_4arch9wavefront6targetE1EEEvT1_, .Lfunc_end74-_ZN7rocprim17ROCPRIM_400000_NS6detail17trampoline_kernelINS0_14default_configENS1_27scan_by_key_config_selectorIxxEEZZNS1_16scan_by_key_implILNS1_25lookback_scan_determinismE0ELb0ES3_N6thrust23THRUST_200600_302600_NS6detail15normal_iteratorINS9_10device_ptrIxEEEESE_SE_xNS9_10multipliesIxEENS9_8equal_toIxEExEE10hipError_tPvRmT2_T3_T4_T5_mT6_T7_P12ihipStream_tbENKUlT_T0_E_clISt17integral_constantIbLb0EESY_IbLb1EEEEDaSU_SV_EUlSU_E_NS1_11comp_targetILNS1_3genE0ELNS1_11target_archE4294967295ELNS1_3gpuE0ELNS1_3repE0EEENS1_30default_config_static_selectorELNS0_4arch9wavefront6targetE1EEEvT1_
                                        ; -- End function
	.section	.AMDGPU.csdata,"",@progbits
; Kernel info:
; codeLenInByte = 0
; NumSgprs: 4
; NumVgprs: 0
; NumAgprs: 0
; TotalNumVgprs: 0
; ScratchSize: 0
; MemoryBound: 0
; FloatMode: 240
; IeeeMode: 1
; LDSByteSize: 0 bytes/workgroup (compile time only)
; SGPRBlocks: 0
; VGPRBlocks: 0
; NumSGPRsForWavesPerEU: 4
; NumVGPRsForWavesPerEU: 1
; AccumOffset: 4
; Occupancy: 8
; WaveLimiterHint : 0
; COMPUTE_PGM_RSRC2:SCRATCH_EN: 0
; COMPUTE_PGM_RSRC2:USER_SGPR: 6
; COMPUTE_PGM_RSRC2:TRAP_HANDLER: 0
; COMPUTE_PGM_RSRC2:TGID_X_EN: 1
; COMPUTE_PGM_RSRC2:TGID_Y_EN: 0
; COMPUTE_PGM_RSRC2:TGID_Z_EN: 0
; COMPUTE_PGM_RSRC2:TIDIG_COMP_CNT: 0
; COMPUTE_PGM_RSRC3_GFX90A:ACCUM_OFFSET: 0
; COMPUTE_PGM_RSRC3_GFX90A:TG_SPLIT: 0
	.section	.text._ZN7rocprim17ROCPRIM_400000_NS6detail17trampoline_kernelINS0_14default_configENS1_27scan_by_key_config_selectorIxxEEZZNS1_16scan_by_key_implILNS1_25lookback_scan_determinismE0ELb0ES3_N6thrust23THRUST_200600_302600_NS6detail15normal_iteratorINS9_10device_ptrIxEEEESE_SE_xNS9_10multipliesIxEENS9_8equal_toIxEExEE10hipError_tPvRmT2_T3_T4_T5_mT6_T7_P12ihipStream_tbENKUlT_T0_E_clISt17integral_constantIbLb0EESY_IbLb1EEEEDaSU_SV_EUlSU_E_NS1_11comp_targetILNS1_3genE10ELNS1_11target_archE1201ELNS1_3gpuE5ELNS1_3repE0EEENS1_30default_config_static_selectorELNS0_4arch9wavefront6targetE1EEEvT1_,"axG",@progbits,_ZN7rocprim17ROCPRIM_400000_NS6detail17trampoline_kernelINS0_14default_configENS1_27scan_by_key_config_selectorIxxEEZZNS1_16scan_by_key_implILNS1_25lookback_scan_determinismE0ELb0ES3_N6thrust23THRUST_200600_302600_NS6detail15normal_iteratorINS9_10device_ptrIxEEEESE_SE_xNS9_10multipliesIxEENS9_8equal_toIxEExEE10hipError_tPvRmT2_T3_T4_T5_mT6_T7_P12ihipStream_tbENKUlT_T0_E_clISt17integral_constantIbLb0EESY_IbLb1EEEEDaSU_SV_EUlSU_E_NS1_11comp_targetILNS1_3genE10ELNS1_11target_archE1201ELNS1_3gpuE5ELNS1_3repE0EEENS1_30default_config_static_selectorELNS0_4arch9wavefront6targetE1EEEvT1_,comdat
	.protected	_ZN7rocprim17ROCPRIM_400000_NS6detail17trampoline_kernelINS0_14default_configENS1_27scan_by_key_config_selectorIxxEEZZNS1_16scan_by_key_implILNS1_25lookback_scan_determinismE0ELb0ES3_N6thrust23THRUST_200600_302600_NS6detail15normal_iteratorINS9_10device_ptrIxEEEESE_SE_xNS9_10multipliesIxEENS9_8equal_toIxEExEE10hipError_tPvRmT2_T3_T4_T5_mT6_T7_P12ihipStream_tbENKUlT_T0_E_clISt17integral_constantIbLb0EESY_IbLb1EEEEDaSU_SV_EUlSU_E_NS1_11comp_targetILNS1_3genE10ELNS1_11target_archE1201ELNS1_3gpuE5ELNS1_3repE0EEENS1_30default_config_static_selectorELNS0_4arch9wavefront6targetE1EEEvT1_ ; -- Begin function _ZN7rocprim17ROCPRIM_400000_NS6detail17trampoline_kernelINS0_14default_configENS1_27scan_by_key_config_selectorIxxEEZZNS1_16scan_by_key_implILNS1_25lookback_scan_determinismE0ELb0ES3_N6thrust23THRUST_200600_302600_NS6detail15normal_iteratorINS9_10device_ptrIxEEEESE_SE_xNS9_10multipliesIxEENS9_8equal_toIxEExEE10hipError_tPvRmT2_T3_T4_T5_mT6_T7_P12ihipStream_tbENKUlT_T0_E_clISt17integral_constantIbLb0EESY_IbLb1EEEEDaSU_SV_EUlSU_E_NS1_11comp_targetILNS1_3genE10ELNS1_11target_archE1201ELNS1_3gpuE5ELNS1_3repE0EEENS1_30default_config_static_selectorELNS0_4arch9wavefront6targetE1EEEvT1_
	.globl	_ZN7rocprim17ROCPRIM_400000_NS6detail17trampoline_kernelINS0_14default_configENS1_27scan_by_key_config_selectorIxxEEZZNS1_16scan_by_key_implILNS1_25lookback_scan_determinismE0ELb0ES3_N6thrust23THRUST_200600_302600_NS6detail15normal_iteratorINS9_10device_ptrIxEEEESE_SE_xNS9_10multipliesIxEENS9_8equal_toIxEExEE10hipError_tPvRmT2_T3_T4_T5_mT6_T7_P12ihipStream_tbENKUlT_T0_E_clISt17integral_constantIbLb0EESY_IbLb1EEEEDaSU_SV_EUlSU_E_NS1_11comp_targetILNS1_3genE10ELNS1_11target_archE1201ELNS1_3gpuE5ELNS1_3repE0EEENS1_30default_config_static_selectorELNS0_4arch9wavefront6targetE1EEEvT1_
	.p2align	8
	.type	_ZN7rocprim17ROCPRIM_400000_NS6detail17trampoline_kernelINS0_14default_configENS1_27scan_by_key_config_selectorIxxEEZZNS1_16scan_by_key_implILNS1_25lookback_scan_determinismE0ELb0ES3_N6thrust23THRUST_200600_302600_NS6detail15normal_iteratorINS9_10device_ptrIxEEEESE_SE_xNS9_10multipliesIxEENS9_8equal_toIxEExEE10hipError_tPvRmT2_T3_T4_T5_mT6_T7_P12ihipStream_tbENKUlT_T0_E_clISt17integral_constantIbLb0EESY_IbLb1EEEEDaSU_SV_EUlSU_E_NS1_11comp_targetILNS1_3genE10ELNS1_11target_archE1201ELNS1_3gpuE5ELNS1_3repE0EEENS1_30default_config_static_selectorELNS0_4arch9wavefront6targetE1EEEvT1_,@function
_ZN7rocprim17ROCPRIM_400000_NS6detail17trampoline_kernelINS0_14default_configENS1_27scan_by_key_config_selectorIxxEEZZNS1_16scan_by_key_implILNS1_25lookback_scan_determinismE0ELb0ES3_N6thrust23THRUST_200600_302600_NS6detail15normal_iteratorINS9_10device_ptrIxEEEESE_SE_xNS9_10multipliesIxEENS9_8equal_toIxEExEE10hipError_tPvRmT2_T3_T4_T5_mT6_T7_P12ihipStream_tbENKUlT_T0_E_clISt17integral_constantIbLb0EESY_IbLb1EEEEDaSU_SV_EUlSU_E_NS1_11comp_targetILNS1_3genE10ELNS1_11target_archE1201ELNS1_3gpuE5ELNS1_3repE0EEENS1_30default_config_static_selectorELNS0_4arch9wavefront6targetE1EEEvT1_: ; @_ZN7rocprim17ROCPRIM_400000_NS6detail17trampoline_kernelINS0_14default_configENS1_27scan_by_key_config_selectorIxxEEZZNS1_16scan_by_key_implILNS1_25lookback_scan_determinismE0ELb0ES3_N6thrust23THRUST_200600_302600_NS6detail15normal_iteratorINS9_10device_ptrIxEEEESE_SE_xNS9_10multipliesIxEENS9_8equal_toIxEExEE10hipError_tPvRmT2_T3_T4_T5_mT6_T7_P12ihipStream_tbENKUlT_T0_E_clISt17integral_constantIbLb0EESY_IbLb1EEEEDaSU_SV_EUlSU_E_NS1_11comp_targetILNS1_3genE10ELNS1_11target_archE1201ELNS1_3gpuE5ELNS1_3repE0EEENS1_30default_config_static_selectorELNS0_4arch9wavefront6targetE1EEEvT1_
; %bb.0:
	.section	.rodata,"a",@progbits
	.p2align	6, 0x0
	.amdhsa_kernel _ZN7rocprim17ROCPRIM_400000_NS6detail17trampoline_kernelINS0_14default_configENS1_27scan_by_key_config_selectorIxxEEZZNS1_16scan_by_key_implILNS1_25lookback_scan_determinismE0ELb0ES3_N6thrust23THRUST_200600_302600_NS6detail15normal_iteratorINS9_10device_ptrIxEEEESE_SE_xNS9_10multipliesIxEENS9_8equal_toIxEExEE10hipError_tPvRmT2_T3_T4_T5_mT6_T7_P12ihipStream_tbENKUlT_T0_E_clISt17integral_constantIbLb0EESY_IbLb1EEEEDaSU_SV_EUlSU_E_NS1_11comp_targetILNS1_3genE10ELNS1_11target_archE1201ELNS1_3gpuE5ELNS1_3repE0EEENS1_30default_config_static_selectorELNS0_4arch9wavefront6targetE1EEEvT1_
		.amdhsa_group_segment_fixed_size 0
		.amdhsa_private_segment_fixed_size 0
		.amdhsa_kernarg_size 136
		.amdhsa_user_sgpr_count 6
		.amdhsa_user_sgpr_private_segment_buffer 1
		.amdhsa_user_sgpr_dispatch_ptr 0
		.amdhsa_user_sgpr_queue_ptr 0
		.amdhsa_user_sgpr_kernarg_segment_ptr 1
		.amdhsa_user_sgpr_dispatch_id 0
		.amdhsa_user_sgpr_flat_scratch_init 0
		.amdhsa_user_sgpr_kernarg_preload_length 0
		.amdhsa_user_sgpr_kernarg_preload_offset 0
		.amdhsa_user_sgpr_private_segment_size 0
		.amdhsa_uses_dynamic_stack 0
		.amdhsa_system_sgpr_private_segment_wavefront_offset 0
		.amdhsa_system_sgpr_workgroup_id_x 1
		.amdhsa_system_sgpr_workgroup_id_y 0
		.amdhsa_system_sgpr_workgroup_id_z 0
		.amdhsa_system_sgpr_workgroup_info 0
		.amdhsa_system_vgpr_workitem_id 0
		.amdhsa_next_free_vgpr 1
		.amdhsa_next_free_sgpr 0
		.amdhsa_accum_offset 4
		.amdhsa_reserve_vcc 0
		.amdhsa_reserve_flat_scratch 0
		.amdhsa_float_round_mode_32 0
		.amdhsa_float_round_mode_16_64 0
		.amdhsa_float_denorm_mode_32 3
		.amdhsa_float_denorm_mode_16_64 3
		.amdhsa_dx10_clamp 1
		.amdhsa_ieee_mode 1
		.amdhsa_fp16_overflow 0
		.amdhsa_tg_split 0
		.amdhsa_exception_fp_ieee_invalid_op 0
		.amdhsa_exception_fp_denorm_src 0
		.amdhsa_exception_fp_ieee_div_zero 0
		.amdhsa_exception_fp_ieee_overflow 0
		.amdhsa_exception_fp_ieee_underflow 0
		.amdhsa_exception_fp_ieee_inexact 0
		.amdhsa_exception_int_div_zero 0
	.end_amdhsa_kernel
	.section	.text._ZN7rocprim17ROCPRIM_400000_NS6detail17trampoline_kernelINS0_14default_configENS1_27scan_by_key_config_selectorIxxEEZZNS1_16scan_by_key_implILNS1_25lookback_scan_determinismE0ELb0ES3_N6thrust23THRUST_200600_302600_NS6detail15normal_iteratorINS9_10device_ptrIxEEEESE_SE_xNS9_10multipliesIxEENS9_8equal_toIxEExEE10hipError_tPvRmT2_T3_T4_T5_mT6_T7_P12ihipStream_tbENKUlT_T0_E_clISt17integral_constantIbLb0EESY_IbLb1EEEEDaSU_SV_EUlSU_E_NS1_11comp_targetILNS1_3genE10ELNS1_11target_archE1201ELNS1_3gpuE5ELNS1_3repE0EEENS1_30default_config_static_selectorELNS0_4arch9wavefront6targetE1EEEvT1_,"axG",@progbits,_ZN7rocprim17ROCPRIM_400000_NS6detail17trampoline_kernelINS0_14default_configENS1_27scan_by_key_config_selectorIxxEEZZNS1_16scan_by_key_implILNS1_25lookback_scan_determinismE0ELb0ES3_N6thrust23THRUST_200600_302600_NS6detail15normal_iteratorINS9_10device_ptrIxEEEESE_SE_xNS9_10multipliesIxEENS9_8equal_toIxEExEE10hipError_tPvRmT2_T3_T4_T5_mT6_T7_P12ihipStream_tbENKUlT_T0_E_clISt17integral_constantIbLb0EESY_IbLb1EEEEDaSU_SV_EUlSU_E_NS1_11comp_targetILNS1_3genE10ELNS1_11target_archE1201ELNS1_3gpuE5ELNS1_3repE0EEENS1_30default_config_static_selectorELNS0_4arch9wavefront6targetE1EEEvT1_,comdat
.Lfunc_end75:
	.size	_ZN7rocprim17ROCPRIM_400000_NS6detail17trampoline_kernelINS0_14default_configENS1_27scan_by_key_config_selectorIxxEEZZNS1_16scan_by_key_implILNS1_25lookback_scan_determinismE0ELb0ES3_N6thrust23THRUST_200600_302600_NS6detail15normal_iteratorINS9_10device_ptrIxEEEESE_SE_xNS9_10multipliesIxEENS9_8equal_toIxEExEE10hipError_tPvRmT2_T3_T4_T5_mT6_T7_P12ihipStream_tbENKUlT_T0_E_clISt17integral_constantIbLb0EESY_IbLb1EEEEDaSU_SV_EUlSU_E_NS1_11comp_targetILNS1_3genE10ELNS1_11target_archE1201ELNS1_3gpuE5ELNS1_3repE0EEENS1_30default_config_static_selectorELNS0_4arch9wavefront6targetE1EEEvT1_, .Lfunc_end75-_ZN7rocprim17ROCPRIM_400000_NS6detail17trampoline_kernelINS0_14default_configENS1_27scan_by_key_config_selectorIxxEEZZNS1_16scan_by_key_implILNS1_25lookback_scan_determinismE0ELb0ES3_N6thrust23THRUST_200600_302600_NS6detail15normal_iteratorINS9_10device_ptrIxEEEESE_SE_xNS9_10multipliesIxEENS9_8equal_toIxEExEE10hipError_tPvRmT2_T3_T4_T5_mT6_T7_P12ihipStream_tbENKUlT_T0_E_clISt17integral_constantIbLb0EESY_IbLb1EEEEDaSU_SV_EUlSU_E_NS1_11comp_targetILNS1_3genE10ELNS1_11target_archE1201ELNS1_3gpuE5ELNS1_3repE0EEENS1_30default_config_static_selectorELNS0_4arch9wavefront6targetE1EEEvT1_
                                        ; -- End function
	.section	.AMDGPU.csdata,"",@progbits
; Kernel info:
; codeLenInByte = 0
; NumSgprs: 4
; NumVgprs: 0
; NumAgprs: 0
; TotalNumVgprs: 0
; ScratchSize: 0
; MemoryBound: 0
; FloatMode: 240
; IeeeMode: 1
; LDSByteSize: 0 bytes/workgroup (compile time only)
; SGPRBlocks: 0
; VGPRBlocks: 0
; NumSGPRsForWavesPerEU: 4
; NumVGPRsForWavesPerEU: 1
; AccumOffset: 4
; Occupancy: 8
; WaveLimiterHint : 0
; COMPUTE_PGM_RSRC2:SCRATCH_EN: 0
; COMPUTE_PGM_RSRC2:USER_SGPR: 6
; COMPUTE_PGM_RSRC2:TRAP_HANDLER: 0
; COMPUTE_PGM_RSRC2:TGID_X_EN: 1
; COMPUTE_PGM_RSRC2:TGID_Y_EN: 0
; COMPUTE_PGM_RSRC2:TGID_Z_EN: 0
; COMPUTE_PGM_RSRC2:TIDIG_COMP_CNT: 0
; COMPUTE_PGM_RSRC3_GFX90A:ACCUM_OFFSET: 0
; COMPUTE_PGM_RSRC3_GFX90A:TG_SPLIT: 0
	.section	.text._ZN7rocprim17ROCPRIM_400000_NS6detail17trampoline_kernelINS0_14default_configENS1_27scan_by_key_config_selectorIxxEEZZNS1_16scan_by_key_implILNS1_25lookback_scan_determinismE0ELb0ES3_N6thrust23THRUST_200600_302600_NS6detail15normal_iteratorINS9_10device_ptrIxEEEESE_SE_xNS9_10multipliesIxEENS9_8equal_toIxEExEE10hipError_tPvRmT2_T3_T4_T5_mT6_T7_P12ihipStream_tbENKUlT_T0_E_clISt17integral_constantIbLb0EESY_IbLb1EEEEDaSU_SV_EUlSU_E_NS1_11comp_targetILNS1_3genE5ELNS1_11target_archE942ELNS1_3gpuE9ELNS1_3repE0EEENS1_30default_config_static_selectorELNS0_4arch9wavefront6targetE1EEEvT1_,"axG",@progbits,_ZN7rocprim17ROCPRIM_400000_NS6detail17trampoline_kernelINS0_14default_configENS1_27scan_by_key_config_selectorIxxEEZZNS1_16scan_by_key_implILNS1_25lookback_scan_determinismE0ELb0ES3_N6thrust23THRUST_200600_302600_NS6detail15normal_iteratorINS9_10device_ptrIxEEEESE_SE_xNS9_10multipliesIxEENS9_8equal_toIxEExEE10hipError_tPvRmT2_T3_T4_T5_mT6_T7_P12ihipStream_tbENKUlT_T0_E_clISt17integral_constantIbLb0EESY_IbLb1EEEEDaSU_SV_EUlSU_E_NS1_11comp_targetILNS1_3genE5ELNS1_11target_archE942ELNS1_3gpuE9ELNS1_3repE0EEENS1_30default_config_static_selectorELNS0_4arch9wavefront6targetE1EEEvT1_,comdat
	.protected	_ZN7rocprim17ROCPRIM_400000_NS6detail17trampoline_kernelINS0_14default_configENS1_27scan_by_key_config_selectorIxxEEZZNS1_16scan_by_key_implILNS1_25lookback_scan_determinismE0ELb0ES3_N6thrust23THRUST_200600_302600_NS6detail15normal_iteratorINS9_10device_ptrIxEEEESE_SE_xNS9_10multipliesIxEENS9_8equal_toIxEExEE10hipError_tPvRmT2_T3_T4_T5_mT6_T7_P12ihipStream_tbENKUlT_T0_E_clISt17integral_constantIbLb0EESY_IbLb1EEEEDaSU_SV_EUlSU_E_NS1_11comp_targetILNS1_3genE5ELNS1_11target_archE942ELNS1_3gpuE9ELNS1_3repE0EEENS1_30default_config_static_selectorELNS0_4arch9wavefront6targetE1EEEvT1_ ; -- Begin function _ZN7rocprim17ROCPRIM_400000_NS6detail17trampoline_kernelINS0_14default_configENS1_27scan_by_key_config_selectorIxxEEZZNS1_16scan_by_key_implILNS1_25lookback_scan_determinismE0ELb0ES3_N6thrust23THRUST_200600_302600_NS6detail15normal_iteratorINS9_10device_ptrIxEEEESE_SE_xNS9_10multipliesIxEENS9_8equal_toIxEExEE10hipError_tPvRmT2_T3_T4_T5_mT6_T7_P12ihipStream_tbENKUlT_T0_E_clISt17integral_constantIbLb0EESY_IbLb1EEEEDaSU_SV_EUlSU_E_NS1_11comp_targetILNS1_3genE5ELNS1_11target_archE942ELNS1_3gpuE9ELNS1_3repE0EEENS1_30default_config_static_selectorELNS0_4arch9wavefront6targetE1EEEvT1_
	.globl	_ZN7rocprim17ROCPRIM_400000_NS6detail17trampoline_kernelINS0_14default_configENS1_27scan_by_key_config_selectorIxxEEZZNS1_16scan_by_key_implILNS1_25lookback_scan_determinismE0ELb0ES3_N6thrust23THRUST_200600_302600_NS6detail15normal_iteratorINS9_10device_ptrIxEEEESE_SE_xNS9_10multipliesIxEENS9_8equal_toIxEExEE10hipError_tPvRmT2_T3_T4_T5_mT6_T7_P12ihipStream_tbENKUlT_T0_E_clISt17integral_constantIbLb0EESY_IbLb1EEEEDaSU_SV_EUlSU_E_NS1_11comp_targetILNS1_3genE5ELNS1_11target_archE942ELNS1_3gpuE9ELNS1_3repE0EEENS1_30default_config_static_selectorELNS0_4arch9wavefront6targetE1EEEvT1_
	.p2align	8
	.type	_ZN7rocprim17ROCPRIM_400000_NS6detail17trampoline_kernelINS0_14default_configENS1_27scan_by_key_config_selectorIxxEEZZNS1_16scan_by_key_implILNS1_25lookback_scan_determinismE0ELb0ES3_N6thrust23THRUST_200600_302600_NS6detail15normal_iteratorINS9_10device_ptrIxEEEESE_SE_xNS9_10multipliesIxEENS9_8equal_toIxEExEE10hipError_tPvRmT2_T3_T4_T5_mT6_T7_P12ihipStream_tbENKUlT_T0_E_clISt17integral_constantIbLb0EESY_IbLb1EEEEDaSU_SV_EUlSU_E_NS1_11comp_targetILNS1_3genE5ELNS1_11target_archE942ELNS1_3gpuE9ELNS1_3repE0EEENS1_30default_config_static_selectorELNS0_4arch9wavefront6targetE1EEEvT1_,@function
_ZN7rocprim17ROCPRIM_400000_NS6detail17trampoline_kernelINS0_14default_configENS1_27scan_by_key_config_selectorIxxEEZZNS1_16scan_by_key_implILNS1_25lookback_scan_determinismE0ELb0ES3_N6thrust23THRUST_200600_302600_NS6detail15normal_iteratorINS9_10device_ptrIxEEEESE_SE_xNS9_10multipliesIxEENS9_8equal_toIxEExEE10hipError_tPvRmT2_T3_T4_T5_mT6_T7_P12ihipStream_tbENKUlT_T0_E_clISt17integral_constantIbLb0EESY_IbLb1EEEEDaSU_SV_EUlSU_E_NS1_11comp_targetILNS1_3genE5ELNS1_11target_archE942ELNS1_3gpuE9ELNS1_3repE0EEENS1_30default_config_static_selectorELNS0_4arch9wavefront6targetE1EEEvT1_: ; @_ZN7rocprim17ROCPRIM_400000_NS6detail17trampoline_kernelINS0_14default_configENS1_27scan_by_key_config_selectorIxxEEZZNS1_16scan_by_key_implILNS1_25lookback_scan_determinismE0ELb0ES3_N6thrust23THRUST_200600_302600_NS6detail15normal_iteratorINS9_10device_ptrIxEEEESE_SE_xNS9_10multipliesIxEENS9_8equal_toIxEExEE10hipError_tPvRmT2_T3_T4_T5_mT6_T7_P12ihipStream_tbENKUlT_T0_E_clISt17integral_constantIbLb0EESY_IbLb1EEEEDaSU_SV_EUlSU_E_NS1_11comp_targetILNS1_3genE5ELNS1_11target_archE942ELNS1_3gpuE9ELNS1_3repE0EEENS1_30default_config_static_selectorELNS0_4arch9wavefront6targetE1EEEvT1_
; %bb.0:
	.section	.rodata,"a",@progbits
	.p2align	6, 0x0
	.amdhsa_kernel _ZN7rocprim17ROCPRIM_400000_NS6detail17trampoline_kernelINS0_14default_configENS1_27scan_by_key_config_selectorIxxEEZZNS1_16scan_by_key_implILNS1_25lookback_scan_determinismE0ELb0ES3_N6thrust23THRUST_200600_302600_NS6detail15normal_iteratorINS9_10device_ptrIxEEEESE_SE_xNS9_10multipliesIxEENS9_8equal_toIxEExEE10hipError_tPvRmT2_T3_T4_T5_mT6_T7_P12ihipStream_tbENKUlT_T0_E_clISt17integral_constantIbLb0EESY_IbLb1EEEEDaSU_SV_EUlSU_E_NS1_11comp_targetILNS1_3genE5ELNS1_11target_archE942ELNS1_3gpuE9ELNS1_3repE0EEENS1_30default_config_static_selectorELNS0_4arch9wavefront6targetE1EEEvT1_
		.amdhsa_group_segment_fixed_size 0
		.amdhsa_private_segment_fixed_size 0
		.amdhsa_kernarg_size 136
		.amdhsa_user_sgpr_count 6
		.amdhsa_user_sgpr_private_segment_buffer 1
		.amdhsa_user_sgpr_dispatch_ptr 0
		.amdhsa_user_sgpr_queue_ptr 0
		.amdhsa_user_sgpr_kernarg_segment_ptr 1
		.amdhsa_user_sgpr_dispatch_id 0
		.amdhsa_user_sgpr_flat_scratch_init 0
		.amdhsa_user_sgpr_kernarg_preload_length 0
		.amdhsa_user_sgpr_kernarg_preload_offset 0
		.amdhsa_user_sgpr_private_segment_size 0
		.amdhsa_uses_dynamic_stack 0
		.amdhsa_system_sgpr_private_segment_wavefront_offset 0
		.amdhsa_system_sgpr_workgroup_id_x 1
		.amdhsa_system_sgpr_workgroup_id_y 0
		.amdhsa_system_sgpr_workgroup_id_z 0
		.amdhsa_system_sgpr_workgroup_info 0
		.amdhsa_system_vgpr_workitem_id 0
		.amdhsa_next_free_vgpr 1
		.amdhsa_next_free_sgpr 0
		.amdhsa_accum_offset 4
		.amdhsa_reserve_vcc 0
		.amdhsa_reserve_flat_scratch 0
		.amdhsa_float_round_mode_32 0
		.amdhsa_float_round_mode_16_64 0
		.amdhsa_float_denorm_mode_32 3
		.amdhsa_float_denorm_mode_16_64 3
		.amdhsa_dx10_clamp 1
		.amdhsa_ieee_mode 1
		.amdhsa_fp16_overflow 0
		.amdhsa_tg_split 0
		.amdhsa_exception_fp_ieee_invalid_op 0
		.amdhsa_exception_fp_denorm_src 0
		.amdhsa_exception_fp_ieee_div_zero 0
		.amdhsa_exception_fp_ieee_overflow 0
		.amdhsa_exception_fp_ieee_underflow 0
		.amdhsa_exception_fp_ieee_inexact 0
		.amdhsa_exception_int_div_zero 0
	.end_amdhsa_kernel
	.section	.text._ZN7rocprim17ROCPRIM_400000_NS6detail17trampoline_kernelINS0_14default_configENS1_27scan_by_key_config_selectorIxxEEZZNS1_16scan_by_key_implILNS1_25lookback_scan_determinismE0ELb0ES3_N6thrust23THRUST_200600_302600_NS6detail15normal_iteratorINS9_10device_ptrIxEEEESE_SE_xNS9_10multipliesIxEENS9_8equal_toIxEExEE10hipError_tPvRmT2_T3_T4_T5_mT6_T7_P12ihipStream_tbENKUlT_T0_E_clISt17integral_constantIbLb0EESY_IbLb1EEEEDaSU_SV_EUlSU_E_NS1_11comp_targetILNS1_3genE5ELNS1_11target_archE942ELNS1_3gpuE9ELNS1_3repE0EEENS1_30default_config_static_selectorELNS0_4arch9wavefront6targetE1EEEvT1_,"axG",@progbits,_ZN7rocprim17ROCPRIM_400000_NS6detail17trampoline_kernelINS0_14default_configENS1_27scan_by_key_config_selectorIxxEEZZNS1_16scan_by_key_implILNS1_25lookback_scan_determinismE0ELb0ES3_N6thrust23THRUST_200600_302600_NS6detail15normal_iteratorINS9_10device_ptrIxEEEESE_SE_xNS9_10multipliesIxEENS9_8equal_toIxEExEE10hipError_tPvRmT2_T3_T4_T5_mT6_T7_P12ihipStream_tbENKUlT_T0_E_clISt17integral_constantIbLb0EESY_IbLb1EEEEDaSU_SV_EUlSU_E_NS1_11comp_targetILNS1_3genE5ELNS1_11target_archE942ELNS1_3gpuE9ELNS1_3repE0EEENS1_30default_config_static_selectorELNS0_4arch9wavefront6targetE1EEEvT1_,comdat
.Lfunc_end76:
	.size	_ZN7rocprim17ROCPRIM_400000_NS6detail17trampoline_kernelINS0_14default_configENS1_27scan_by_key_config_selectorIxxEEZZNS1_16scan_by_key_implILNS1_25lookback_scan_determinismE0ELb0ES3_N6thrust23THRUST_200600_302600_NS6detail15normal_iteratorINS9_10device_ptrIxEEEESE_SE_xNS9_10multipliesIxEENS9_8equal_toIxEExEE10hipError_tPvRmT2_T3_T4_T5_mT6_T7_P12ihipStream_tbENKUlT_T0_E_clISt17integral_constantIbLb0EESY_IbLb1EEEEDaSU_SV_EUlSU_E_NS1_11comp_targetILNS1_3genE5ELNS1_11target_archE942ELNS1_3gpuE9ELNS1_3repE0EEENS1_30default_config_static_selectorELNS0_4arch9wavefront6targetE1EEEvT1_, .Lfunc_end76-_ZN7rocprim17ROCPRIM_400000_NS6detail17trampoline_kernelINS0_14default_configENS1_27scan_by_key_config_selectorIxxEEZZNS1_16scan_by_key_implILNS1_25lookback_scan_determinismE0ELb0ES3_N6thrust23THRUST_200600_302600_NS6detail15normal_iteratorINS9_10device_ptrIxEEEESE_SE_xNS9_10multipliesIxEENS9_8equal_toIxEExEE10hipError_tPvRmT2_T3_T4_T5_mT6_T7_P12ihipStream_tbENKUlT_T0_E_clISt17integral_constantIbLb0EESY_IbLb1EEEEDaSU_SV_EUlSU_E_NS1_11comp_targetILNS1_3genE5ELNS1_11target_archE942ELNS1_3gpuE9ELNS1_3repE0EEENS1_30default_config_static_selectorELNS0_4arch9wavefront6targetE1EEEvT1_
                                        ; -- End function
	.section	.AMDGPU.csdata,"",@progbits
; Kernel info:
; codeLenInByte = 0
; NumSgprs: 4
; NumVgprs: 0
; NumAgprs: 0
; TotalNumVgprs: 0
; ScratchSize: 0
; MemoryBound: 0
; FloatMode: 240
; IeeeMode: 1
; LDSByteSize: 0 bytes/workgroup (compile time only)
; SGPRBlocks: 0
; VGPRBlocks: 0
; NumSGPRsForWavesPerEU: 4
; NumVGPRsForWavesPerEU: 1
; AccumOffset: 4
; Occupancy: 8
; WaveLimiterHint : 0
; COMPUTE_PGM_RSRC2:SCRATCH_EN: 0
; COMPUTE_PGM_RSRC2:USER_SGPR: 6
; COMPUTE_PGM_RSRC2:TRAP_HANDLER: 0
; COMPUTE_PGM_RSRC2:TGID_X_EN: 1
; COMPUTE_PGM_RSRC2:TGID_Y_EN: 0
; COMPUTE_PGM_RSRC2:TGID_Z_EN: 0
; COMPUTE_PGM_RSRC2:TIDIG_COMP_CNT: 0
; COMPUTE_PGM_RSRC3_GFX90A:ACCUM_OFFSET: 0
; COMPUTE_PGM_RSRC3_GFX90A:TG_SPLIT: 0
	.section	.text._ZN7rocprim17ROCPRIM_400000_NS6detail17trampoline_kernelINS0_14default_configENS1_27scan_by_key_config_selectorIxxEEZZNS1_16scan_by_key_implILNS1_25lookback_scan_determinismE0ELb0ES3_N6thrust23THRUST_200600_302600_NS6detail15normal_iteratorINS9_10device_ptrIxEEEESE_SE_xNS9_10multipliesIxEENS9_8equal_toIxEExEE10hipError_tPvRmT2_T3_T4_T5_mT6_T7_P12ihipStream_tbENKUlT_T0_E_clISt17integral_constantIbLb0EESY_IbLb1EEEEDaSU_SV_EUlSU_E_NS1_11comp_targetILNS1_3genE4ELNS1_11target_archE910ELNS1_3gpuE8ELNS1_3repE0EEENS1_30default_config_static_selectorELNS0_4arch9wavefront6targetE1EEEvT1_,"axG",@progbits,_ZN7rocprim17ROCPRIM_400000_NS6detail17trampoline_kernelINS0_14default_configENS1_27scan_by_key_config_selectorIxxEEZZNS1_16scan_by_key_implILNS1_25lookback_scan_determinismE0ELb0ES3_N6thrust23THRUST_200600_302600_NS6detail15normal_iteratorINS9_10device_ptrIxEEEESE_SE_xNS9_10multipliesIxEENS9_8equal_toIxEExEE10hipError_tPvRmT2_T3_T4_T5_mT6_T7_P12ihipStream_tbENKUlT_T0_E_clISt17integral_constantIbLb0EESY_IbLb1EEEEDaSU_SV_EUlSU_E_NS1_11comp_targetILNS1_3genE4ELNS1_11target_archE910ELNS1_3gpuE8ELNS1_3repE0EEENS1_30default_config_static_selectorELNS0_4arch9wavefront6targetE1EEEvT1_,comdat
	.protected	_ZN7rocprim17ROCPRIM_400000_NS6detail17trampoline_kernelINS0_14default_configENS1_27scan_by_key_config_selectorIxxEEZZNS1_16scan_by_key_implILNS1_25lookback_scan_determinismE0ELb0ES3_N6thrust23THRUST_200600_302600_NS6detail15normal_iteratorINS9_10device_ptrIxEEEESE_SE_xNS9_10multipliesIxEENS9_8equal_toIxEExEE10hipError_tPvRmT2_T3_T4_T5_mT6_T7_P12ihipStream_tbENKUlT_T0_E_clISt17integral_constantIbLb0EESY_IbLb1EEEEDaSU_SV_EUlSU_E_NS1_11comp_targetILNS1_3genE4ELNS1_11target_archE910ELNS1_3gpuE8ELNS1_3repE0EEENS1_30default_config_static_selectorELNS0_4arch9wavefront6targetE1EEEvT1_ ; -- Begin function _ZN7rocprim17ROCPRIM_400000_NS6detail17trampoline_kernelINS0_14default_configENS1_27scan_by_key_config_selectorIxxEEZZNS1_16scan_by_key_implILNS1_25lookback_scan_determinismE0ELb0ES3_N6thrust23THRUST_200600_302600_NS6detail15normal_iteratorINS9_10device_ptrIxEEEESE_SE_xNS9_10multipliesIxEENS9_8equal_toIxEExEE10hipError_tPvRmT2_T3_T4_T5_mT6_T7_P12ihipStream_tbENKUlT_T0_E_clISt17integral_constantIbLb0EESY_IbLb1EEEEDaSU_SV_EUlSU_E_NS1_11comp_targetILNS1_3genE4ELNS1_11target_archE910ELNS1_3gpuE8ELNS1_3repE0EEENS1_30default_config_static_selectorELNS0_4arch9wavefront6targetE1EEEvT1_
	.globl	_ZN7rocprim17ROCPRIM_400000_NS6detail17trampoline_kernelINS0_14default_configENS1_27scan_by_key_config_selectorIxxEEZZNS1_16scan_by_key_implILNS1_25lookback_scan_determinismE0ELb0ES3_N6thrust23THRUST_200600_302600_NS6detail15normal_iteratorINS9_10device_ptrIxEEEESE_SE_xNS9_10multipliesIxEENS9_8equal_toIxEExEE10hipError_tPvRmT2_T3_T4_T5_mT6_T7_P12ihipStream_tbENKUlT_T0_E_clISt17integral_constantIbLb0EESY_IbLb1EEEEDaSU_SV_EUlSU_E_NS1_11comp_targetILNS1_3genE4ELNS1_11target_archE910ELNS1_3gpuE8ELNS1_3repE0EEENS1_30default_config_static_selectorELNS0_4arch9wavefront6targetE1EEEvT1_
	.p2align	8
	.type	_ZN7rocprim17ROCPRIM_400000_NS6detail17trampoline_kernelINS0_14default_configENS1_27scan_by_key_config_selectorIxxEEZZNS1_16scan_by_key_implILNS1_25lookback_scan_determinismE0ELb0ES3_N6thrust23THRUST_200600_302600_NS6detail15normal_iteratorINS9_10device_ptrIxEEEESE_SE_xNS9_10multipliesIxEENS9_8equal_toIxEExEE10hipError_tPvRmT2_T3_T4_T5_mT6_T7_P12ihipStream_tbENKUlT_T0_E_clISt17integral_constantIbLb0EESY_IbLb1EEEEDaSU_SV_EUlSU_E_NS1_11comp_targetILNS1_3genE4ELNS1_11target_archE910ELNS1_3gpuE8ELNS1_3repE0EEENS1_30default_config_static_selectorELNS0_4arch9wavefront6targetE1EEEvT1_,@function
_ZN7rocprim17ROCPRIM_400000_NS6detail17trampoline_kernelINS0_14default_configENS1_27scan_by_key_config_selectorIxxEEZZNS1_16scan_by_key_implILNS1_25lookback_scan_determinismE0ELb0ES3_N6thrust23THRUST_200600_302600_NS6detail15normal_iteratorINS9_10device_ptrIxEEEESE_SE_xNS9_10multipliesIxEENS9_8equal_toIxEExEE10hipError_tPvRmT2_T3_T4_T5_mT6_T7_P12ihipStream_tbENKUlT_T0_E_clISt17integral_constantIbLb0EESY_IbLb1EEEEDaSU_SV_EUlSU_E_NS1_11comp_targetILNS1_3genE4ELNS1_11target_archE910ELNS1_3gpuE8ELNS1_3repE0EEENS1_30default_config_static_selectorELNS0_4arch9wavefront6targetE1EEEvT1_: ; @_ZN7rocprim17ROCPRIM_400000_NS6detail17trampoline_kernelINS0_14default_configENS1_27scan_by_key_config_selectorIxxEEZZNS1_16scan_by_key_implILNS1_25lookback_scan_determinismE0ELb0ES3_N6thrust23THRUST_200600_302600_NS6detail15normal_iteratorINS9_10device_ptrIxEEEESE_SE_xNS9_10multipliesIxEENS9_8equal_toIxEExEE10hipError_tPvRmT2_T3_T4_T5_mT6_T7_P12ihipStream_tbENKUlT_T0_E_clISt17integral_constantIbLb0EESY_IbLb1EEEEDaSU_SV_EUlSU_E_NS1_11comp_targetILNS1_3genE4ELNS1_11target_archE910ELNS1_3gpuE8ELNS1_3repE0EEENS1_30default_config_static_selectorELNS0_4arch9wavefront6targetE1EEEvT1_
; %bb.0:
	s_load_dwordx8 s[48:55], s[4:5], 0x30
	s_load_dwordx2 s[72:73], s[4:5], 0x50
	v_cmp_ne_u32_e64 s[46:47], 0, v0
	v_cmp_eq_u32_e64 s[0:1], 0, v0
	s_and_saveexec_b64 s[2:3], s[0:1]
	s_cbranch_execz .LBB77_4
; %bb.1:
	s_mov_b64 s[8:9], exec
	v_mbcnt_lo_u32_b32 v1, s8, 0
	v_mbcnt_hi_u32_b32 v1, s9, v1
	v_cmp_eq_u32_e32 vcc, 0, v1
                                        ; implicit-def: $vgpr2
	s_and_saveexec_b64 s[6:7], vcc
	s_cbranch_execz .LBB77_3
; %bb.2:
	s_load_dwordx2 s[10:11], s[4:5], 0x80
	s_bcnt1_i32_b64 s8, s[8:9]
	v_mov_b32_e32 v2, 0
	v_mov_b32_e32 v3, s8
	s_waitcnt lgkmcnt(0)
	global_atomic_add v2, v2, v3, s[10:11] glc
.LBB77_3:
	s_or_b64 exec, exec, s[6:7]
	s_waitcnt vmcnt(0)
	v_readfirstlane_b32 s6, v2
	v_add_u32_e32 v1, s6, v1
	v_mov_b32_e32 v2, 0
	ds_write_b32 v2, v1
.LBB77_4:
	s_or_b64 exec, exec, s[2:3]
	s_load_dwordx8 s[56:63], s[4:5], 0x0
	s_load_dword s2, s[4:5], 0x58
	s_load_dwordx8 s[64:71], s[4:5], 0x60
	v_mov_b32_e32 v1, 0
	s_waitcnt lgkmcnt(0)
	; wave barrier
	s_waitcnt lgkmcnt(0)
	ds_read_b32 v1, v1
	s_lshl_b64 s[58:59], s[58:59], 3
	s_add_u32 s4, s56, s58
	s_addc_u32 s5, s57, s59
	s_add_u32 s6, s60, s58
	s_mul_i32 s3, s73, s2
	s_mul_hi_u32 s8, s72, s2
	s_addc_u32 s7, s61, s59
	s_add_i32 s8, s8, s3
	s_waitcnt lgkmcnt(0)
	v_readfirstlane_b32 s55, v1
	s_mul_i32 s9, s72, s2
	s_cmp_lg_u64 s[68:69], 0
	s_mov_b32 s3, 0
	s_mul_i32 s2, s55, 0x4c0
	s_cselect_b64 s[68:69], -1, 0
	s_lshl_b64 s[56:57], s[2:3], 3
	s_add_u32 s60, s4, s56
	s_addc_u32 s61, s5, s57
	s_add_u32 s78, s6, s56
	s_addc_u32 s79, s7, s57
	;; [unrolled: 2-line block ×3, first 2 shown]
	s_add_u32 s4, s64, -1
	s_addc_u32 s5, s65, -1
	v_pk_mov_b32 v[2:3], s[4:5], s[4:5] op_sel:[0,1]
	v_cmp_ge_u64_e64 s[2:3], s[74:75], v[2:3]
	s_mov_b64 s[10:11], 0
	s_mov_b64 s[6:7], -1
	s_and_b64 vcc, exec, s[2:3]
	s_mul_i32 s33, s4, 0xfffffb40
	s_waitcnt lgkmcnt(0)
	; wave barrier
	s_waitcnt lgkmcnt(0)
	s_waitcnt lgkmcnt(0)
	; wave barrier
	s_cbranch_vccz .LBB77_106
; %bb.5:
	v_pk_mov_b32 v[2:3], s[60:61], s[60:61] op_sel:[0,1]
	flat_load_dwordx2 v[2:3], v[2:3]
	s_add_i32 s81, s33, s54
	v_cmp_gt_u32_e64 s[6:7], s81, v0
	s_waitcnt vmcnt(0) lgkmcnt(0)
	v_pk_mov_b32 v[4:5], v[2:3], v[2:3] op_sel:[0,1]
	s_and_saveexec_b64 s[4:5], s[6:7]
	s_cbranch_execz .LBB77_7
; %bb.6:
	v_lshlrev_b32_e32 v1, 3, v0
	v_mov_b32_e32 v5, s61
	v_add_co_u32_e32 v4, vcc, s60, v1
	v_addc_co_u32_e32 v5, vcc, 0, v5, vcc
	flat_load_dwordx2 v[4:5], v[4:5]
.LBB77_7:
	s_or_b64 exec, exec, s[4:5]
	v_or_b32_e32 v1, 64, v0
	v_cmp_gt_u32_e64 s[8:9], s81, v1
	v_pk_mov_b32 v[6:7], v[2:3], v[2:3] op_sel:[0,1]
	s_and_saveexec_b64 s[4:5], s[8:9]
	s_cbranch_execz .LBB77_9
; %bb.8:
	v_lshlrev_b32_e32 v1, 3, v0
	v_mov_b32_e32 v7, s61
	v_add_co_u32_e32 v6, vcc, s60, v1
	v_addc_co_u32_e32 v7, vcc, 0, v7, vcc
	flat_load_dwordx2 v[6:7], v[6:7] offset:512
.LBB77_9:
	s_or_b64 exec, exec, s[4:5]
	v_or_b32_e32 v1, 0x80, v0
	v_cmp_gt_u32_e64 s[10:11], s81, v1
	v_pk_mov_b32 v[8:9], v[2:3], v[2:3] op_sel:[0,1]
	s_and_saveexec_b64 s[4:5], s[10:11]
	s_cbranch_execz .LBB77_11
; %bb.10:
	v_lshlrev_b32_e32 v1, 3, v0
	v_mov_b32_e32 v9, s61
	v_add_co_u32_e32 v8, vcc, s60, v1
	v_addc_co_u32_e32 v9, vcc, 0, v9, vcc
	flat_load_dwordx2 v[8:9], v[8:9] offset:1024
.LBB77_11:
	;; [unrolled: 13-line block ×7, first 2 shown]
	s_or_b64 exec, exec, s[4:5]
	v_or_b32_e32 v1, 0x200, v0
	v_cmp_gt_u32_e64 s[22:23], s81, v1
	v_lshlrev_b32_e32 v1, 3, v1
	v_pk_mov_b32 v[20:21], v[2:3], v[2:3] op_sel:[0,1]
	s_and_saveexec_b64 s[4:5], s[22:23]
	s_cbranch_execz .LBB77_23
; %bb.22:
	v_mov_b32_e32 v21, s61
	v_add_co_u32_e32 v20, vcc, s60, v1
	v_addc_co_u32_e32 v21, vcc, 0, v21, vcc
	flat_load_dwordx2 v[20:21], v[20:21]
.LBB77_23:
	s_or_b64 exec, exec, s[4:5]
	v_or_b32_e32 v22, 0x240, v0
	v_cmp_gt_u32_e64 s[24:25], s81, v22
	v_lshlrev_b32_e32 v40, 3, v22
	v_pk_mov_b32 v[22:23], v[2:3], v[2:3] op_sel:[0,1]
	s_and_saveexec_b64 s[4:5], s[24:25]
	s_cbranch_execz .LBB77_25
; %bb.24:
	v_mov_b32_e32 v23, s61
	v_add_co_u32_e32 v22, vcc, s60, v40
	v_addc_co_u32_e32 v23, vcc, 0, v23, vcc
	flat_load_dwordx2 v[22:23], v[22:23]
.LBB77_25:
	;; [unrolled: 13-line block ×10, first 2 shown]
	s_or_b64 exec, exec, s[4:5]
	v_or_b32_e32 v48, 0x480, v0
	v_cmp_gt_u32_e64 s[44:45], s81, v48
	v_lshlrev_b32_e32 v51, 3, v48
	s_and_saveexec_b64 s[4:5], s[44:45]
	s_cbranch_execz .LBB77_43
; %bb.42:
	v_mov_b32_e32 v3, s61
	v_add_co_u32_e32 v2, vcc, s60, v51
	v_addc_co_u32_e32 v3, vcc, 0, v3, vcc
	flat_load_dwordx2 v[2:3], v[2:3]
.LBB77_43:
	s_or_b64 exec, exec, s[4:5]
	v_lshlrev_b32_e32 v50, 3, v0
	s_movk_i32 s4, 0x90
	v_mad_u32_u24 v48, v0, s4, v50
	s_waitcnt vmcnt(0) lgkmcnt(0)
	ds_write2st64_b64 v50, v[4:5], v[6:7] offset1:1
	ds_write2st64_b64 v50, v[8:9], v[10:11] offset0:2 offset1:3
	ds_write2st64_b64 v50, v[12:13], v[14:15] offset0:4 offset1:5
	;; [unrolled: 1-line block ×8, first 2 shown]
	ds_write_b64 v50, v[2:3] offset:9216
	s_waitcnt lgkmcnt(0)
	; wave barrier
	s_waitcnt lgkmcnt(0)
	ds_read2_b64 v[106:109], v48 offset1:1
	ds_read2_b64 v[102:105], v48 offset0:2 offset1:3
	ds_read2_b64 v[98:101], v48 offset0:4 offset1:5
	;; [unrolled: 1-line block ×8, first 2 shown]
	ds_read_b64 v[4:5], v48 offset:144
	s_cmp_eq_u64 s[74:75], 0
	s_mov_b64 s[4:5], s[60:61]
	s_cbranch_scc1 .LBB77_47
; %bb.44:
	s_andn2_b64 vcc, exec, s[68:69]
	s_cbranch_vccnz .LBB77_261
; %bb.45:
	s_lshl_b64 s[4:5], s[74:75], 3
	s_add_u32 s4, s70, s4
	s_addc_u32 s5, s71, s5
	s_add_u32 s4, s4, -8
	s_addc_u32 s5, s5, -1
	s_cbranch_execnz .LBB77_47
.LBB77_46:
	s_add_u32 s4, s60, -8
	s_addc_u32 s5, s61, -1
.LBB77_47:
	v_pk_mov_b32 v[2:3], s[4:5], s[4:5] op_sel:[0,1]
	flat_load_dwordx2 v[8:9], v[2:3]
	s_movk_i32 s4, 0xff70
	v_mad_i32_i24 v2, v0, s4, v48
	s_waitcnt lgkmcnt(0)
	ds_write_b64 v2, v[4:5] offset:9728
	s_waitcnt lgkmcnt(0)
	; wave barrier
	s_waitcnt lgkmcnt(0)
	s_and_saveexec_b64 s[4:5], s[46:47]
	s_cbranch_execz .LBB77_49
; %bb.48:
	v_mul_i32_i24_e32 v2, 0xffffff70, v0
	v_add_u32_e32 v2, v48, v2
	s_waitcnt vmcnt(0)
	ds_read_b64 v[8:9], v2 offset:9720
.LBB77_49:
	s_or_b64 exec, exec, s[4:5]
	s_waitcnt lgkmcnt(0)
	; wave barrier
	s_waitcnt lgkmcnt(0)
                                        ; implicit-def: $vgpr2_vgpr3
	s_and_saveexec_b64 s[4:5], s[6:7]
	s_cbranch_execnz .LBB77_243
; %bb.50:
	s_or_b64 exec, exec, s[4:5]
                                        ; implicit-def: $vgpr6_vgpr7
	s_and_saveexec_b64 s[4:5], s[8:9]
	s_cbranch_execnz .LBB77_244
.LBB77_51:
	s_or_b64 exec, exec, s[4:5]
                                        ; implicit-def: $vgpr10_vgpr11
	s_and_saveexec_b64 s[4:5], s[10:11]
	s_cbranch_execnz .LBB77_245
.LBB77_52:
	s_or_b64 exec, exec, s[4:5]
                                        ; implicit-def: $vgpr12_vgpr13
	s_and_saveexec_b64 s[4:5], s[12:13]
	s_cbranch_execnz .LBB77_246
.LBB77_53:
	s_or_b64 exec, exec, s[4:5]
                                        ; implicit-def: $vgpr14_vgpr15
	s_and_saveexec_b64 s[4:5], s[14:15]
	s_cbranch_execnz .LBB77_247
.LBB77_54:
	s_or_b64 exec, exec, s[4:5]
                                        ; implicit-def: $vgpr16_vgpr17
	s_and_saveexec_b64 s[4:5], s[16:17]
	s_cbranch_execnz .LBB77_248
.LBB77_55:
	s_or_b64 exec, exec, s[4:5]
                                        ; implicit-def: $vgpr18_vgpr19
	s_and_saveexec_b64 s[4:5], s[18:19]
	s_cbranch_execnz .LBB77_249
.LBB77_56:
	s_or_b64 exec, exec, s[4:5]
                                        ; implicit-def: $vgpr20_vgpr21
	s_and_saveexec_b64 s[4:5], s[20:21]
	s_cbranch_execnz .LBB77_250
.LBB77_57:
	s_or_b64 exec, exec, s[4:5]
                                        ; implicit-def: $vgpr22_vgpr23
	s_and_saveexec_b64 s[4:5], s[22:23]
	s_cbranch_execnz .LBB77_251
.LBB77_58:
	s_or_b64 exec, exec, s[4:5]
                                        ; implicit-def: $vgpr24_vgpr25
	s_and_saveexec_b64 s[4:5], s[24:25]
	s_cbranch_execnz .LBB77_252
.LBB77_59:
	s_or_b64 exec, exec, s[4:5]
                                        ; implicit-def: $vgpr26_vgpr27
	s_and_saveexec_b64 s[4:5], s[26:27]
	s_cbranch_execnz .LBB77_253
.LBB77_60:
	s_or_b64 exec, exec, s[4:5]
                                        ; implicit-def: $vgpr28_vgpr29
	s_and_saveexec_b64 s[4:5], s[28:29]
	s_cbranch_execnz .LBB77_254
.LBB77_61:
	s_or_b64 exec, exec, s[4:5]
                                        ; implicit-def: $vgpr30_vgpr31
	s_and_saveexec_b64 s[4:5], s[30:31]
	s_cbranch_execnz .LBB77_255
.LBB77_62:
	s_or_b64 exec, exec, s[4:5]
                                        ; implicit-def: $vgpr32_vgpr33
	s_and_saveexec_b64 s[4:5], s[34:35]
	s_cbranch_execnz .LBB77_256
.LBB77_63:
	s_or_b64 exec, exec, s[4:5]
                                        ; implicit-def: $vgpr34_vgpr35
	s_and_saveexec_b64 s[4:5], s[36:37]
	s_cbranch_execnz .LBB77_257
.LBB77_64:
	s_or_b64 exec, exec, s[4:5]
                                        ; implicit-def: $vgpr36_vgpr37
	s_and_saveexec_b64 s[4:5], s[38:39]
	s_cbranch_execnz .LBB77_258
.LBB77_65:
	s_or_b64 exec, exec, s[4:5]
                                        ; implicit-def: $vgpr38_vgpr39
	s_and_saveexec_b64 s[4:5], s[40:41]
	s_cbranch_execnz .LBB77_259
.LBB77_66:
	s_or_b64 exec, exec, s[4:5]
                                        ; implicit-def: $vgpr40_vgpr41
	s_and_saveexec_b64 s[4:5], s[42:43]
	s_cbranch_execnz .LBB77_260
.LBB77_67:
	s_or_b64 exec, exec, s[4:5]
                                        ; implicit-def: $vgpr42_vgpr43
	s_and_saveexec_b64 s[4:5], s[44:45]
	s_cbranch_execz .LBB77_69
.LBB77_68:
	v_mov_b32_e32 v1, s79
	v_add_co_u32_e32 v42, vcc, s78, v51
	v_addc_co_u32_e32 v43, vcc, 0, v1, vcc
	flat_load_dwordx2 v[42:43], v[42:43]
.LBB77_69:
	s_or_b64 exec, exec, s[4:5]
	v_mul_u32_u24_e32 v49, 19, v0
	s_waitcnt vmcnt(0) lgkmcnt(0)
	ds_write2st64_b64 v50, v[2:3], v[6:7] offset1:1
	ds_write2st64_b64 v50, v[10:11], v[12:13] offset0:2 offset1:3
	ds_write2st64_b64 v50, v[14:15], v[16:17] offset0:4 offset1:5
	;; [unrolled: 1-line block ×8, first 2 shown]
	ds_write_b64 v50, v[42:43] offset:9216
	v_pk_mov_b32 v[6:7], 0, 0
	v_cmp_gt_u32_e32 vcc, s81, v49
	s_mov_b64 s[10:11], 0
	s_mov_b64 s[6:7], 0
	s_mov_b32 s80, 0
	v_mov_b32_e32 v110, 0
	v_mov_b32_e32 v126, 0
	v_pk_mov_b32 v[58:59], v[6:7], v[6:7] op_sel:[0,1]
	v_mov_b32_e32 v125, 0
	v_pk_mov_b32 v[70:71], v[6:7], v[6:7] op_sel:[0,1]
	;; [unrolled: 2-line block ×17, first 2 shown]
	s_waitcnt lgkmcnt(0)
	; wave barrier
	s_waitcnt lgkmcnt(0)
                                        ; implicit-def: $sgpr4_sgpr5
	s_and_saveexec_b64 s[8:9], vcc
	s_cbranch_execz .LBB77_105
; %bb.70:
	ds_read_b64 v[2:3], v48
	v_cmp_ne_u64_e32 vcc, v[8:9], v[106:107]
	v_add_u32_e32 v6, 1, v49
	v_cndmask_b32_e64 v1, 0, 1, vcc
	v_cmp_gt_u32_e32 vcc, s81, v6
	v_pk_mov_b32 v[6:7], 0, 0
	s_mov_b64 s[12:13], 0
	s_mov_b64 s[4:5], 0
	v_mov_b32_e32 v110, 0
	v_mov_b32_e32 v126, 0
	v_pk_mov_b32 v[58:59], v[6:7], v[6:7] op_sel:[0,1]
	v_mov_b32_e32 v125, 0
	v_pk_mov_b32 v[70:71], v[6:7], v[6:7] op_sel:[0,1]
	;; [unrolled: 2-line block ×16, first 2 shown]
                                        ; implicit-def: $sgpr14_sgpr15
	s_and_saveexec_b64 s[10:11], vcc
	s_cbranch_execz .LBB77_104
; %bb.71:
	ds_read2_b64 v[14:17], v48 offset0:1 offset1:2
	v_cmp_ne_u64_e32 vcc, v[106:107], v[108:109]
	v_add_u32_e32 v6, 2, v49
	v_cndmask_b32_e64 v112, 0, 1, vcc
	v_cmp_gt_u32_e32 vcc, s81, v6
	v_pk_mov_b32 v[6:7], 0, 0
	s_mov_b64 s[16:17], 0
	v_mov_b32_e32 v110, 0
	v_mov_b32_e32 v126, 0
	v_pk_mov_b32 v[58:59], v[6:7], v[6:7] op_sel:[0,1]
	v_mov_b32_e32 v125, 0
	v_pk_mov_b32 v[70:71], v[6:7], v[6:7] op_sel:[0,1]
	;; [unrolled: 2-line block ×15, first 2 shown]
                                        ; implicit-def: $sgpr14_sgpr15
	s_and_saveexec_b64 s[12:13], vcc
	s_cbranch_execz .LBB77_103
; %bb.72:
	v_cmp_ne_u64_e32 vcc, v[108:109], v[102:103]
	v_add_u32_e32 v6, 3, v49
	v_cndmask_b32_e64 v111, 0, 1, vcc
	v_cmp_gt_u32_e32 vcc, s81, v6
	v_pk_mov_b32 v[6:7], 0, 0
	s_waitcnt lgkmcnt(0)
	v_mov_b32_e32 v10, v16
	v_mov_b32_e32 v11, v17
	v_mov_b32_e32 v110, 0
	v_mov_b32_e32 v126, 0
	v_pk_mov_b32 v[58:59], v[6:7], v[6:7] op_sel:[0,1]
	v_mov_b32_e32 v125, 0
	v_pk_mov_b32 v[70:71], v[6:7], v[6:7] op_sel:[0,1]
	v_mov_b32_e32 v124, 0
	;; [unrolled: 2-line block ×13, first 2 shown]
	v_pk_mov_b32 v[26:27], v[6:7], v[6:7] op_sel:[0,1]
                                        ; implicit-def: $sgpr18_sgpr19
	s_and_saveexec_b64 s[14:15], vcc
	s_cbranch_execz .LBB77_102
; %bb.73:
	ds_read2_b64 v[26:29], v48 offset0:3 offset1:4
	v_cmp_ne_u64_e32 vcc, v[102:103], v[104:105]
	v_add_u32_e32 v6, 4, v49
	v_cndmask_b32_e64 v113, 0, 1, vcc
	v_cmp_gt_u32_e32 vcc, s81, v6
	v_pk_mov_b32 v[6:7], 0, 0
	s_mov_b64 s[20:21], 0
	v_mov_b32_e32 v110, 0
	v_mov_b32_e32 v126, 0
	v_pk_mov_b32 v[58:59], v[6:7], v[6:7] op_sel:[0,1]
	v_mov_b32_e32 v125, 0
	v_pk_mov_b32 v[70:71], v[6:7], v[6:7] op_sel:[0,1]
	;; [unrolled: 2-line block ×13, first 2 shown]
                                        ; implicit-def: $sgpr18_sgpr19
	s_and_saveexec_b64 s[16:17], vcc
	s_cbranch_execz .LBB77_101
; %bb.74:
	v_cmp_ne_u64_e32 vcc, v[104:105], v[98:99]
	v_add_u32_e32 v6, 5, v49
	v_cndmask_b32_e64 v114, 0, 1, vcc
	v_cmp_gt_u32_e32 vcc, s81, v6
	v_pk_mov_b32 v[6:7], 0, 0
	s_waitcnt lgkmcnt(0)
	v_mov_b32_e32 v18, v28
	v_mov_b32_e32 v19, v29
	v_mov_b32_e32 v110, 0
	v_mov_b32_e32 v126, 0
	v_pk_mov_b32 v[58:59], v[6:7], v[6:7] op_sel:[0,1]
	v_mov_b32_e32 v125, 0
	v_pk_mov_b32 v[70:71], v[6:7], v[6:7] op_sel:[0,1]
	v_mov_b32_e32 v124, 0
	;; [unrolled: 2-line block ×11, first 2 shown]
	v_pk_mov_b32 v[34:35], v[6:7], v[6:7] op_sel:[0,1]
                                        ; implicit-def: $sgpr22_sgpr23
	s_and_saveexec_b64 s[18:19], vcc
	s_cbranch_execz .LBB77_100
; %bb.75:
	ds_read2_b64 v[34:37], v48 offset0:5 offset1:6
	v_cmp_ne_u64_e32 vcc, v[98:99], v[100:101]
	v_add_u32_e32 v6, 6, v49
	v_cndmask_b32_e64 v115, 0, 1, vcc
	v_cmp_gt_u32_e32 vcc, s81, v6
	v_pk_mov_b32 v[6:7], 0, 0
	s_mov_b64 s[24:25], 0
	v_mov_b32_e32 v110, 0
	v_mov_b32_e32 v126, 0
	v_pk_mov_b32 v[58:59], v[6:7], v[6:7] op_sel:[0,1]
	v_mov_b32_e32 v125, 0
	v_pk_mov_b32 v[70:71], v[6:7], v[6:7] op_sel:[0,1]
	;; [unrolled: 2-line block ×11, first 2 shown]
                                        ; implicit-def: $sgpr22_sgpr23
	s_and_saveexec_b64 s[20:21], vcc
	s_cbranch_execz .LBB77_99
; %bb.76:
	v_cmp_ne_u64_e32 vcc, v[100:101], v[94:95]
	v_add_u32_e32 v6, 7, v49
	v_cndmask_b32_e64 v116, 0, 1, vcc
	v_cmp_gt_u32_e32 vcc, s81, v6
	v_pk_mov_b32 v[6:7], 0, 0
	s_waitcnt lgkmcnt(0)
	v_mov_b32_e32 v22, v36
	v_mov_b32_e32 v23, v37
	;; [unrolled: 1-line block ×4, first 2 shown]
	v_pk_mov_b32 v[58:59], v[6:7], v[6:7] op_sel:[0,1]
	v_mov_b32_e32 v125, 0
	v_pk_mov_b32 v[70:71], v[6:7], v[6:7] op_sel:[0,1]
	v_mov_b32_e32 v124, 0
	;; [unrolled: 2-line block ×9, first 2 shown]
	v_pk_mov_b32 v[42:43], v[6:7], v[6:7] op_sel:[0,1]
                                        ; implicit-def: $sgpr26_sgpr27
	s_and_saveexec_b64 s[22:23], vcc
	s_cbranch_execz .LBB77_98
; %bb.77:
	ds_read2_b64 v[42:45], v48 offset0:7 offset1:8
	v_cmp_ne_u64_e32 vcc, v[94:95], v[96:97]
	v_add_u32_e32 v6, 8, v49
	v_cndmask_b32_e64 v117, 0, 1, vcc
	v_cmp_gt_u32_e32 vcc, s81, v6
	v_pk_mov_b32 v[6:7], 0, 0
	s_mov_b64 s[28:29], 0
	v_mov_b32_e32 v110, 0
	v_mov_b32_e32 v126, 0
	v_pk_mov_b32 v[58:59], v[6:7], v[6:7] op_sel:[0,1]
	v_mov_b32_e32 v125, 0
	v_pk_mov_b32 v[70:71], v[6:7], v[6:7] op_sel:[0,1]
	;; [unrolled: 2-line block ×9, first 2 shown]
                                        ; implicit-def: $sgpr26_sgpr27
	s_and_saveexec_b64 s[24:25], vcc
	s_cbranch_execz .LBB77_97
; %bb.78:
	v_cmp_ne_u64_e32 vcc, v[96:97], v[90:91]
	v_add_u32_e32 v6, 9, v49
	v_cndmask_b32_e64 v118, 0, 1, vcc
	v_cmp_gt_u32_e32 vcc, s81, v6
	v_pk_mov_b32 v[6:7], 0, 0
	s_waitcnt lgkmcnt(0)
	v_mov_b32_e32 v30, v44
	v_mov_b32_e32 v31, v45
	;; [unrolled: 1-line block ×4, first 2 shown]
	v_pk_mov_b32 v[58:59], v[6:7], v[6:7] op_sel:[0,1]
	v_mov_b32_e32 v125, 0
	v_pk_mov_b32 v[70:71], v[6:7], v[6:7] op_sel:[0,1]
	v_mov_b32_e32 v124, 0
	;; [unrolled: 2-line block ×7, first 2 shown]
	v_pk_mov_b32 v[50:51], v[6:7], v[6:7] op_sel:[0,1]
                                        ; implicit-def: $sgpr30_sgpr31
	s_and_saveexec_b64 s[26:27], vcc
	s_cbranch_execz .LBB77_96
; %bb.79:
	ds_read2_b64 v[50:53], v48 offset0:9 offset1:10
	v_cmp_ne_u64_e32 vcc, v[90:91], v[92:93]
	v_add_u32_e32 v6, 10, v49
	v_cndmask_b32_e64 v119, 0, 1, vcc
	v_cmp_gt_u32_e32 vcc, s81, v6
	v_pk_mov_b32 v[6:7], 0, 0
	s_mov_b64 s[34:35], 0
	v_mov_b32_e32 v110, 0
	v_mov_b32_e32 v126, 0
	v_pk_mov_b32 v[58:59], v[6:7], v[6:7] op_sel:[0,1]
	v_mov_b32_e32 v125, 0
	v_pk_mov_b32 v[70:71], v[6:7], v[6:7] op_sel:[0,1]
	;; [unrolled: 2-line block ×7, first 2 shown]
                                        ; implicit-def: $sgpr30_sgpr31
	s_and_saveexec_b64 s[28:29], vcc
	s_cbranch_execz .LBB77_95
; %bb.80:
	v_cmp_ne_u64_e32 vcc, v[92:93], v[86:87]
	v_add_u32_e32 v6, 11, v49
	v_cndmask_b32_e64 v120, 0, 1, vcc
	v_cmp_gt_u32_e32 vcc, s81, v6
	v_pk_mov_b32 v[6:7], 0, 0
	s_waitcnt lgkmcnt(0)
	v_mov_b32_e32 v38, v52
	v_mov_b32_e32 v39, v53
	;; [unrolled: 1-line block ×4, first 2 shown]
	v_pk_mov_b32 v[58:59], v[6:7], v[6:7] op_sel:[0,1]
	v_mov_b32_e32 v125, 0
	v_pk_mov_b32 v[70:71], v[6:7], v[6:7] op_sel:[0,1]
	v_mov_b32_e32 v124, 0
	;; [unrolled: 2-line block ×5, first 2 shown]
	v_pk_mov_b32 v[62:63], v[6:7], v[6:7] op_sel:[0,1]
                                        ; implicit-def: $sgpr36_sgpr37
	s_and_saveexec_b64 s[30:31], vcc
	s_cbranch_execz .LBB77_94
; %bb.81:
	ds_read2_b64 v[62:65], v48 offset0:11 offset1:12
	v_cmp_ne_u64_e32 vcc, v[86:87], v[88:89]
	v_add_u32_e32 v6, 12, v49
	v_cndmask_b32_e64 v121, 0, 1, vcc
	v_cmp_gt_u32_e32 vcc, s81, v6
	v_pk_mov_b32 v[6:7], 0, 0
	s_mov_b64 s[38:39], 0
	v_mov_b32_e32 v110, 0
	v_mov_b32_e32 v126, 0
	v_pk_mov_b32 v[58:59], v[6:7], v[6:7] op_sel:[0,1]
	v_mov_b32_e32 v125, 0
	v_pk_mov_b32 v[70:71], v[6:7], v[6:7] op_sel:[0,1]
	;; [unrolled: 2-line block ×5, first 2 shown]
                                        ; implicit-def: $sgpr36_sgpr37
	s_and_saveexec_b64 s[34:35], vcc
	s_cbranch_execz .LBB77_93
; %bb.82:
	v_cmp_ne_u64_e32 vcc, v[88:89], v[82:83]
	v_add_u32_e32 v6, 13, v49
	v_cndmask_b32_e64 v122, 0, 1, vcc
	v_cmp_gt_u32_e32 vcc, s81, v6
	v_pk_mov_b32 v[6:7], 0, 0
	s_waitcnt lgkmcnt(0)
	v_mov_b32_e32 v46, v64
	v_mov_b32_e32 v47, v65
	;; [unrolled: 1-line block ×4, first 2 shown]
	v_pk_mov_b32 v[58:59], v[6:7], v[6:7] op_sel:[0,1]
	v_mov_b32_e32 v125, 0
	v_pk_mov_b32 v[70:71], v[6:7], v[6:7] op_sel:[0,1]
	v_mov_b32_e32 v124, 0
	;; [unrolled: 2-line block ×3, first 2 shown]
	v_pk_mov_b32 v[66:67], v[6:7], v[6:7] op_sel:[0,1]
                                        ; implicit-def: $sgpr40_sgpr41
	s_and_saveexec_b64 s[36:37], vcc
	s_cbranch_execz .LBB77_92
; %bb.83:
	ds_read2_b64 v[66:69], v48 offset0:13 offset1:14
	v_cmp_ne_u64_e32 vcc, v[82:83], v[84:85]
	v_add_u32_e32 v6, 14, v49
	v_cndmask_b32_e64 v123, 0, 1, vcc
	v_cmp_gt_u32_e32 vcc, s81, v6
	v_pk_mov_b32 v[6:7], 0, 0
	s_mov_b64 s[42:43], 0
	v_mov_b32_e32 v110, 0
	v_mov_b32_e32 v126, 0
	v_pk_mov_b32 v[58:59], v[6:7], v[6:7] op_sel:[0,1]
	v_mov_b32_e32 v125, 0
	v_pk_mov_b32 v[70:71], v[6:7], v[6:7] op_sel:[0,1]
	;; [unrolled: 2-line block ×3, first 2 shown]
                                        ; implicit-def: $sgpr40_sgpr41
	s_and_saveexec_b64 s[38:39], vcc
	s_cbranch_execz .LBB77_91
; %bb.84:
	v_cmp_ne_u64_e32 vcc, v[84:85], v[78:79]
	v_add_u32_e32 v6, 15, v49
	v_cndmask_b32_e64 v124, 0, 1, vcc
	v_cmp_gt_u32_e32 vcc, s81, v6
	v_pk_mov_b32 v[6:7], 0, 0
	s_waitcnt lgkmcnt(0)
	v_mov_b32_e32 v54, v68
	v_mov_b32_e32 v55, v69
	;; [unrolled: 1-line block ×4, first 2 shown]
	v_pk_mov_b32 v[58:59], v[6:7], v[6:7] op_sel:[0,1]
	v_mov_b32_e32 v125, 0
	v_pk_mov_b32 v[70:71], v[6:7], v[6:7] op_sel:[0,1]
                                        ; implicit-def: $sgpr44_sgpr45
	s_and_saveexec_b64 s[40:41], vcc
	s_cbranch_execz .LBB77_90
; %bb.85:
	ds_read2_b64 v[70:73], v48 offset0:15 offset1:16
	v_cmp_ne_u64_e32 vcc, v[78:79], v[80:81]
	v_add_u32_e32 v6, 16, v49
	v_cndmask_b32_e64 v125, 0, 1, vcc
	v_cmp_gt_u32_e32 vcc, s81, v6
	v_pk_mov_b32 v[6:7], 0, 0
	s_mov_b64 s[44:45], 0
	v_mov_b32_e32 v110, 0
	v_mov_b32_e32 v126, 0
	v_pk_mov_b32 v[58:59], v[6:7], v[6:7] op_sel:[0,1]
                                        ; implicit-def: $sgpr64_sgpr65
	s_and_saveexec_b64 s[42:43], vcc
	s_cbranch_execz .LBB77_89
; %bb.86:
	v_cmp_ne_u64_e32 vcc, v[80:81], v[74:75]
	v_add_u32_e32 v6, 17, v49
	s_waitcnt lgkmcnt(0)
	v_mov_b32_e32 v58, v72
	v_mov_b32_e32 v59, v73
	v_cndmask_b32_e64 v126, 0, 1, vcc
	v_cmp_gt_u32_e32 vcc, s81, v6
	v_mov_b32_e32 v110, 0
	v_pk_mov_b32 v[6:7], 0, 0
                                        ; implicit-def: $sgpr64_sgpr65
	s_and_saveexec_b64 s[4:5], vcc
	s_xor_b64 s[76:77], exec, s[4:5]
	s_cbranch_execz .LBB77_88
; %bb.87:
	ds_read2_b64 v[6:9], v48 offset0:17 offset1:18
	v_cmp_ne_u64_e32 vcc, v[76:77], v[4:5]
	v_cmp_ne_u64_e64 s[4:5], v[74:75], v[76:77]
	v_add_u32_e32 v4, 18, v49
	v_cndmask_b32_e64 v110, 0, 1, s[4:5]
	v_cmp_gt_u32_e64 s[4:5], s81, v4
	s_and_b64 s[64:65], vcc, exec
	s_and_b64 s[44:45], s[4:5], exec
	s_waitcnt lgkmcnt(0)
	v_pk_mov_b32 v[60:61], v[6:7], v[6:7] op_sel:[0,1]
.LBB77_88:
	s_or_b64 exec, exec, s[76:77]
	s_and_b64 s[64:65], s[64:65], exec
	s_and_b64 s[4:5], s[44:45], exec
.LBB77_89:
	s_or_b64 exec, exec, s[42:43]
	s_and_b64 s[44:45], s[64:65], exec
	s_and_b64 s[42:43], s[4:5], exec
	s_waitcnt lgkmcnt(0)
	v_pk_mov_b32 v[56:57], v[70:71], v[70:71] op_sel:[0,1]
	v_pk_mov_b32 v[48:49], v[66:67], v[66:67] op_sel:[0,1]
	;; [unrolled: 1-line block ×8, first 2 shown]
.LBB77_90:
	s_or_b64 exec, exec, s[40:41]
	s_and_b64 s[40:41], s[44:45], exec
	s_and_b64 s[4:5], s[42:43], exec
.LBB77_91:
	s_or_b64 exec, exec, s[38:39]
	s_and_b64 s[40:41], s[40:41], exec
	s_and_b64 s[38:39], s[4:5], exec
.LBB77_92:
	s_or_b64 exec, exec, s[36:37]
	s_and_b64 s[36:37], s[40:41], exec
	s_and_b64 s[4:5], s[38:39], exec
.LBB77_93:
	s_or_b64 exec, exec, s[34:35]
	s_and_b64 s[36:37], s[36:37], exec
	s_and_b64 s[34:35], s[4:5], exec
.LBB77_94:
	s_or_b64 exec, exec, s[30:31]
	s_and_b64 s[30:31], s[36:37], exec
	s_and_b64 s[4:5], s[34:35], exec
.LBB77_95:
	s_or_b64 exec, exec, s[28:29]
	s_and_b64 s[30:31], s[30:31], exec
	s_and_b64 s[28:29], s[4:5], exec
.LBB77_96:
	s_or_b64 exec, exec, s[26:27]
	s_and_b64 s[26:27], s[30:31], exec
	s_and_b64 s[4:5], s[28:29], exec
.LBB77_97:
	s_or_b64 exec, exec, s[24:25]
	s_and_b64 s[26:27], s[26:27], exec
	s_and_b64 s[24:25], s[4:5], exec
.LBB77_98:
	s_or_b64 exec, exec, s[22:23]
	s_and_b64 s[22:23], s[26:27], exec
	s_and_b64 s[4:5], s[24:25], exec
.LBB77_99:
	s_or_b64 exec, exec, s[20:21]
	s_and_b64 s[22:23], s[22:23], exec
	s_and_b64 s[20:21], s[4:5], exec
.LBB77_100:
	s_or_b64 exec, exec, s[18:19]
	s_and_b64 s[18:19], s[22:23], exec
	s_and_b64 s[4:5], s[20:21], exec
.LBB77_101:
	s_or_b64 exec, exec, s[16:17]
	s_and_b64 s[18:19], s[18:19], exec
	s_and_b64 s[16:17], s[4:5], exec
.LBB77_102:
	s_or_b64 exec, exec, s[14:15]
	s_and_b64 s[14:15], s[18:19], exec
	s_and_b64 s[4:5], s[16:17], exec
.LBB77_103:
	s_or_b64 exec, exec, s[12:13]
	s_and_b64 s[14:15], s[14:15], exec
	s_and_b64 s[12:13], s[4:5], exec
.LBB77_104:
	s_or_b64 exec, exec, s[10:11]
	s_and_b64 s[4:5], s[14:15], exec
	s_and_b64 s[10:11], s[12:13], exec
.LBB77_105:
	s_or_b64 exec, exec, s[8:9]
	s_mov_b64 s[8:9], 0
	s_and_b64 vcc, exec, s[6:7]
	v_lshlrev_b32_e32 v127, 3, v0
	s_cbranch_vccnz .LBB77_107
	s_branch .LBB77_115
.LBB77_106:
                                        ; implicit-def: $sgpr4_sgpr5
                                        ; implicit-def: $vgpr8_vgpr9
                                        ; implicit-def: $vgpr110
                                        ; implicit-def: $vgpr60_vgpr61
                                        ; implicit-def: $vgpr126
                                        ; implicit-def: $vgpr125
                                        ; implicit-def: $vgpr56_vgpr57
                                        ; implicit-def: $vgpr124
                                        ; implicit-def: $vgpr123
                                        ; implicit-def: $vgpr48_vgpr49
                                        ; implicit-def: $vgpr122
                                        ; implicit-def: $vgpr121
                                        ; implicit-def: $vgpr40_vgpr41
                                        ; implicit-def: $vgpr120
                                        ; implicit-def: $vgpr119
                                        ; implicit-def: $vgpr32_vgpr33
                                        ; implicit-def: $vgpr118
                                        ; implicit-def: $vgpr117
                                        ; implicit-def: $vgpr24_vgpr25
                                        ; implicit-def: $vgpr116
                                        ; implicit-def: $vgpr115
                                        ; implicit-def: $vgpr20_vgpr21
                                        ; implicit-def: $vgpr114
                                        ; implicit-def: $vgpr113
                                        ; implicit-def: $vgpr12_vgpr13
                                        ; implicit-def: $vgpr111
                                        ; implicit-def: $vgpr112
                                        ; implicit-def: $vgpr4_vgpr5
                                        ; implicit-def: $vgpr1
                                        ; implicit-def: $sgpr80
                                        ; implicit-def: $sgpr8_sgpr9
                                        ; implicit-def: $vgpr70_vgpr71
                                        ; implicit-def: $vgpr66_vgpr67
                                        ; implicit-def: $vgpr62_vgpr63
                                        ; implicit-def: $vgpr50_vgpr51
                                        ; implicit-def: $vgpr42_vgpr43
                                        ; implicit-def: $vgpr34_vgpr35
                                        ; implicit-def: $vgpr26_vgpr27
                                        ; implicit-def: $vgpr14_vgpr15
	s_and_b64 vcc, exec, s[6:7]
	v_lshlrev_b32_e32 v127, 3, v0
	s_cbranch_vccz .LBB77_115
.LBB77_107:
	v_mov_b32_e32 v1, s61
	s_waitcnt lgkmcnt(0)
	v_add_co_u32_e32 v2, vcc, s60, v127
	v_addc_co_u32_e32 v3, vcc, 0, v1, vcc
	v_add_co_u32_e32 v20, vcc, 0x1000, v2
	v_addc_co_u32_e32 v21, vcc, 0, v3, vcc
	flat_load_dwordx2 v[4:5], v[2:3]
	flat_load_dwordx2 v[6:7], v[2:3] offset:512
	flat_load_dwordx2 v[8:9], v[2:3] offset:1024
	;; [unrolled: 1-line block ×7, first 2 shown]
	v_add_co_u32_e32 v2, vcc, 0x2000, v2
	v_addc_co_u32_e32 v3, vcc, 0, v3, vcc
	flat_load_dwordx2 v[22:23], v[20:21]
	flat_load_dwordx2 v[24:25], v[20:21] offset:512
	flat_load_dwordx2 v[26:27], v[20:21] offset:1024
	flat_load_dwordx2 v[28:29], v[20:21] offset:1536
	flat_load_dwordx2 v[30:31], v[20:21] offset:2048
	flat_load_dwordx2 v[32:33], v[20:21] offset:2560
	flat_load_dwordx2 v[34:35], v[20:21] offset:3072
	flat_load_dwordx2 v[36:37], v[20:21] offset:3584
	s_nop 0
	flat_load_dwordx2 v[20:21], v[2:3]
	flat_load_dwordx2 v[38:39], v[2:3] offset:512
	flat_load_dwordx2 v[40:41], v[2:3] offset:1024
	s_movk_i32 s4, 0x90
	v_mad_u32_u24 v1, v0, s4, v127
	s_cmp_eq_u64 s[74:75], 0
	s_waitcnt vmcnt(0) lgkmcnt(0)
	ds_write2st64_b64 v127, v[4:5], v[6:7] offset1:1
	ds_write2st64_b64 v127, v[8:9], v[10:11] offset0:2 offset1:3
	ds_write2st64_b64 v127, v[12:13], v[14:15] offset0:4 offset1:5
	;; [unrolled: 1-line block ×8, first 2 shown]
	ds_write_b64 v127, v[40:41] offset:9216
	s_waitcnt lgkmcnt(0)
	; wave barrier
	s_waitcnt lgkmcnt(0)
	ds_read2_b64 v[14:17], v1 offset1:1
	ds_read2_b64 v[2:5], v1 offset0:2 offset1:3
	ds_read2_b64 v[6:9], v1 offset0:4 offset1:5
	;; [unrolled: 1-line block ×8, first 2 shown]
	ds_read_b64 v[38:39], v1 offset:144
	s_cbranch_scc1 .LBB77_112
; %bb.108:
	s_andn2_b64 vcc, exec, s[68:69]
	s_cbranch_vccnz .LBB77_262
; %bb.109:
	s_lshl_b64 s[4:5], s[74:75], 3
	s_add_u32 s4, s70, s4
	s_addc_u32 s5, s71, s5
	s_add_u32 s4, s4, -8
	s_addc_u32 s5, s5, -1
	s_cbranch_execnz .LBB77_111
.LBB77_110:
	s_add_u32 s4, s60, -8
	s_addc_u32 s5, s61, -1
.LBB77_111:
	s_mov_b64 s[60:61], s[4:5]
.LBB77_112:
	v_pk_mov_b32 v[40:41], s[60:61], s[60:61] op_sel:[0,1]
	flat_load_dwordx2 v[42:43], v[40:41]
	s_movk_i32 s4, 0xff70
	v_mad_i32_i24 v40, v0, s4, v1
	s_waitcnt lgkmcnt(0)
	ds_write_b64 v40, v[38:39] offset:9728
	s_waitcnt lgkmcnt(0)
	; wave barrier
	s_waitcnt lgkmcnt(0)
	s_and_saveexec_b64 s[4:5], s[46:47]
	s_cbranch_execz .LBB77_114
; %bb.113:
	v_mul_i32_i24_e32 v40, 0xffffff70, v0
	v_add_u32_e32 v40, v1, v40
	s_waitcnt vmcnt(0)
	ds_read_b64 v[42:43], v40 offset:9720
.LBB77_114:
	s_or_b64 exec, exec, s[4:5]
	v_mov_b32_e32 v41, s79
	v_add_co_u32_e32 v40, vcc, s78, v127
	v_addc_co_u32_e32 v41, vcc, 0, v41, vcc
	s_movk_i32 s4, 0x1000
	v_add_co_u32_e32 v60, vcc, s4, v40
	v_addc_co_u32_e32 v61, vcc, 0, v41, vcc
	s_movk_i32 s4, 0x2000
	s_waitcnt lgkmcnt(0)
	; wave barrier
	s_waitcnt lgkmcnt(0)
	flat_load_dwordx2 v[44:45], v[40:41]
	flat_load_dwordx2 v[46:47], v[40:41] offset:512
	flat_load_dwordx2 v[48:49], v[40:41] offset:1024
	;; [unrolled: 1-line block ×7, first 2 shown]
	v_add_co_u32_e32 v40, vcc, s4, v40
	v_addc_co_u32_e32 v41, vcc, 0, v41, vcc
	flat_load_dwordx2 v[62:63], v[60:61]
	flat_load_dwordx2 v[64:65], v[60:61] offset:512
	flat_load_dwordx2 v[66:67], v[60:61] offset:1024
	;; [unrolled: 1-line block ×7, first 2 shown]
	s_nop 0
	flat_load_dwordx2 v[60:61], v[40:41]
	flat_load_dwordx2 v[78:79], v[40:41] offset:512
	flat_load_dwordx2 v[80:81], v[40:41] offset:1024
	v_cmp_ne_u64_e32 vcc, v[34:35], v[36:37]
	v_cndmask_b32_e64 v110, 0, 1, vcc
	v_cmp_ne_u64_e32 vcc, v[32:33], v[34:35]
	v_cndmask_b32_e64 v126, 0, 1, vcc
	;; [unrolled: 2-line block ×14, first 2 shown]
	v_cmp_ne_u64_e32 vcc, v[2:3], v[4:5]
	v_cmp_ne_u64_e64 s[4:5], v[36:37], v[38:39]
	v_cndmask_b32_e64 v113, 0, 1, vcc
	v_cmp_ne_u64_e32 vcc, v[16:17], v[2:3]
	v_cndmask_b32_e64 v111, 0, 1, vcc
	v_cmp_ne_u64_e32 vcc, v[14:15], v[16:17]
	v_cndmask_b32_e64 v112, 0, 1, vcc
	s_waitcnt vmcnt(0)
	v_cmp_ne_u64_e32 vcc, v[42:43], v[14:15]
	s_mov_b64 s[10:11], -1
                                        ; implicit-def: $sgpr80
                                        ; implicit-def: $sgpr8_sgpr9
                                        ; implicit-def: $vgpr42_vgpr43
                                        ; implicit-def: $vgpr34_vgpr35
                                        ; implicit-def: $vgpr26_vgpr27
                                        ; implicit-def: $vgpr14_vgpr15
	s_waitcnt lgkmcnt(0)
	ds_write2st64_b64 v127, v[44:45], v[46:47] offset1:1
	ds_write2st64_b64 v127, v[48:49], v[50:51] offset0:2 offset1:3
	ds_write2st64_b64 v127, v[52:53], v[54:55] offset0:4 offset1:5
	ds_write2st64_b64 v127, v[56:57], v[58:59] offset0:6 offset1:7
	ds_write2st64_b64 v127, v[62:63], v[64:65] offset0:8 offset1:9
	ds_write2st64_b64 v127, v[66:67], v[68:69] offset0:10 offset1:11
	ds_write2st64_b64 v127, v[70:71], v[72:73] offset0:12 offset1:13
	ds_write2st64_b64 v127, v[74:75], v[76:77] offset0:14 offset1:15
	ds_write2st64_b64 v127, v[60:61], v[78:79] offset0:16 offset1:17
	ds_write_b64 v127, v[80:81] offset:9216
	s_waitcnt lgkmcnt(0)
	; wave barrier
	s_waitcnt lgkmcnt(0)
	ds_read2_b64 v[2:5], v1 offset1:1
	ds_read2_b64 v[10:13], v1 offset0:2 offset1:3
	ds_read2_b64 v[18:21], v1 offset0:4 offset1:5
	;; [unrolled: 1-line block ×8, first 2 shown]
	ds_read_b64 v[8:9], v1 offset:144
	v_cndmask_b32_e64 v1, 0, 1, vcc
                                        ; implicit-def: $vgpr70_vgpr71
                                        ; implicit-def: $vgpr66_vgpr67
                                        ; implicit-def: $vgpr62_vgpr63
                                        ; implicit-def: $vgpr50_vgpr51
.LBB77_115:
	s_waitcnt lgkmcnt(0)
	v_pk_mov_b32 v[16:17], s[8:9], s[8:9] op_sel:[0,1]
	v_mov_b32_e32 v36, s80
	s_and_saveexec_b64 s[6:7], s[10:11]
; %bb.116:
	v_cndmask_b32_e64 v36, 0, 1, s[4:5]
	v_pk_mov_b32 v[14:15], v[4:5], v[4:5] op_sel:[0,1]
	v_pk_mov_b32 v[26:27], v[12:13], v[12:13] op_sel:[0,1]
	;; [unrolled: 1-line block ×10, first 2 shown]
; %bb.117:
	s_or_b64 exec, exec, s[6:7]
	v_or_b32_e32 v4, v36, v110
	s_cmp_lg_u32 s55, 0
	v_or_b32_e32 v33, v4, v126
	v_mbcnt_lo_u32_b32 v32, -1, 0
	s_waitcnt lgkmcnt(0)
	; wave barrier
	s_cbranch_scc0 .LBB77_178
; %bb.118:
	v_mov_b32_e32 v9, 0
	v_cmp_eq_u16_sdwa s[42:43], v112, v9 src0_sel:BYTE_0 src1_sel:DWORD
	v_cndmask_b32_e64 v4, 1, v2, s[42:43]
	v_cndmask_b32_e64 v5, 0, v3, s[42:43]
	v_mul_lo_u32 v12, v5, v14
	v_mul_lo_u32 v13, v4, v15
	v_mad_u64_u32 v[4:5], s[4:5], v4, v14, 0
	v_add3_u32 v5, v5, v13, v12
	v_cmp_eq_u16_sdwa s[40:41], v111, v9 src0_sel:BYTE_0 src1_sel:DWORD
	v_cndmask_b32_e64 v5, 0, v5, s[40:41]
	v_cndmask_b32_e64 v4, 1, v4, s[40:41]
	v_mul_lo_u32 v12, v5, v10
	v_mul_lo_u32 v13, v4, v11
	v_mad_u64_u32 v[4:5], s[4:5], v4, v10, 0
	v_add3_u32 v5, v5, v13, v12
	;; [unrolled: 7-line block ×18, first 2 shown]
	v_or_b32_e32 v9, v33, v125
	v_or_b32_e32 v9, v9, v124
	;; [unrolled: 1-line block ×15, first 2 shown]
	v_and_b32_e32 v9, 1, v9
	v_and_b32_e32 v8, 0xff, v1
	v_cmp_eq_u32_e32 vcc, 1, v9
	v_mbcnt_hi_u32_b32 v28, -1, v32
	v_cndmask_b32_e64 v12, v8, 1, vcc
	v_and_b32_e32 v13, 15, v28
	v_mov_b32_dpp v21, v4 row_shr:1 row_mask:0xf bank_mask:0xf
	v_mov_b32_dpp v24, v5 row_shr:1 row_mask:0xf bank_mask:0xf
	;; [unrolled: 1-line block ×3, first 2 shown]
	v_cmp_ne_u32_e32 vcc, 0, v13
	v_mov_b32_e32 v9, v5
	v_mov_b32_e32 v8, v4
	s_and_saveexec_b64 s[4:5], vcc
; %bb.119:
	v_cmp_eq_u32_e32 vcc, 0, v12
	v_cndmask_b32_e32 v8, 1, v21, vcc
	v_cndmask_b32_e32 v21, 0, v24, vcc
	v_mul_lo_u32 v5, v8, v5
	v_mad_u64_u32 v[8:9], s[44:45], v8, v4, 0
	v_mul_lo_u32 v4, v21, v4
	v_add3_u32 v9, v9, v5, v4
	v_and_or_b32 v12, v20, 1, v12
	v_pk_mov_b32 v[4:5], v[8:9], v[8:9] op_sel:[0,1]
; %bb.120:
	s_or_b64 exec, exec, s[4:5]
	v_mov_b32_dpp v21, v8 row_shr:2 row_mask:0xf bank_mask:0xf
	v_mov_b32_dpp v24, v9 row_shr:2 row_mask:0xf bank_mask:0xf
	v_mov_b32_dpp v20, v12 row_shr:2 row_mask:0xf bank_mask:0xf
	v_cmp_lt_u32_e32 vcc, 1, v13
	s_and_saveexec_b64 s[4:5], vcc
; %bb.121:
	v_cmp_eq_u32_e32 vcc, 0, v12
	v_cndmask_b32_e32 v8, 1, v21, vcc
	v_cndmask_b32_e32 v21, 0, v24, vcc
	v_mul_lo_u32 v5, v8, v5
	v_mad_u64_u32 v[8:9], s[44:45], v8, v4, 0
	v_mul_lo_u32 v4, v21, v4
	v_add3_u32 v9, v9, v5, v4
	v_or_b32_e32 v4, v20, v12
	v_and_b32_e32 v12, 1, v4
	v_pk_mov_b32 v[4:5], v[8:9], v[8:9] op_sel:[0,1]
; %bb.122:
	s_or_b64 exec, exec, s[4:5]
	v_mov_b32_dpp v21, v8 row_shr:4 row_mask:0xf bank_mask:0xf
	v_mov_b32_dpp v24, v9 row_shr:4 row_mask:0xf bank_mask:0xf
	v_mov_b32_dpp v20, v12 row_shr:4 row_mask:0xf bank_mask:0xf
	v_cmp_lt_u32_e32 vcc, 3, v13
	s_and_saveexec_b64 s[4:5], vcc
; %bb.123:
	v_cmp_eq_u32_e32 vcc, 0, v12
	v_cndmask_b32_e32 v8, 1, v21, vcc
	v_cndmask_b32_e32 v21, 0, v24, vcc
	v_mul_lo_u32 v5, v8, v5
	v_mad_u64_u32 v[8:9], s[44:45], v8, v4, 0
	v_mul_lo_u32 v4, v21, v4
	v_add3_u32 v9, v9, v5, v4
	v_or_b32_e32 v4, v20, v12
	v_and_b32_e32 v12, 1, v4
	;; [unrolled: 18-line block ×3, first 2 shown]
	v_pk_mov_b32 v[4:5], v[8:9], v[8:9] op_sel:[0,1]
; %bb.126:
	s_or_b64 exec, exec, s[4:5]
	v_and_b32_e32 v24, 16, v28
	v_mov_b32_dpp v20, v8 row_bcast:15 row_mask:0xf bank_mask:0xf
	v_mov_b32_dpp v21, v9 row_bcast:15 row_mask:0xf bank_mask:0xf
	;; [unrolled: 1-line block ×3, first 2 shown]
	v_cmp_ne_u32_e32 vcc, 0, v24
	s_and_saveexec_b64 s[4:5], vcc
; %bb.127:
	v_cmp_eq_u32_e32 vcc, 0, v12
	v_cndmask_b32_e32 v8, 1, v20, vcc
	v_cndmask_b32_e32 v20, 0, v21, vcc
	v_mul_lo_u32 v5, v8, v5
	v_mad_u64_u32 v[8:9], s[44:45], v8, v4, 0
	v_mul_lo_u32 v4, v20, v4
	v_add3_u32 v9, v9, v5, v4
	v_or_b32_e32 v4, v13, v12
	v_and_b32_e32 v12, 1, v4
	v_pk_mov_b32 v[4:5], v[8:9], v[8:9] op_sel:[0,1]
; %bb.128:
	s_or_b64 exec, exec, s[4:5]
	v_mov_b32_dpp v13, v8 row_bcast:31 row_mask:0xf bank_mask:0xf
	v_mov_b32_dpp v20, v9 row_bcast:31 row_mask:0xf bank_mask:0xf
	;; [unrolled: 1-line block ×3, first 2 shown]
	v_cmp_lt_u32_e32 vcc, 31, v28
	v_mov_b32_e32 v8, v12
	s_and_saveexec_b64 s[4:5], vcc
; %bb.129:
	v_cmp_eq_u32_e32 vcc, 0, v12
	v_cndmask_b32_e32 v8, 1, v13, vcc
	v_cndmask_b32_e32 v13, 0, v20, vcc
	v_mul_lo_u32 v5, v8, v5
	v_mad_u64_u32 v[20:21], s[44:45], v8, v4, 0
	v_mul_lo_u32 v4, v13, v4
	v_add3_u32 v21, v21, v5, v4
	v_or_b32_e32 v4, v9, v12
	v_and_b32_e32 v8, 1, v4
	v_and_b32_e32 v12, 1, v4
	v_pk_mov_b32 v[4:5], v[20:21], v[20:21] op_sel:[0,1]
; %bb.130:
	s_or_b64 exec, exec, s[4:5]
	v_cmp_eq_u32_e32 vcc, 63, v0
	s_and_saveexec_b64 s[4:5], vcc
	s_cbranch_execz .LBB77_132
; %bb.131:
	v_mov_b32_e32 v9, 0
	ds_write_b64 v9, v[4:5]
	ds_write_b8 v9, v8 offset:8
.LBB77_132:
	s_or_b64 exec, exec, s[4:5]
	v_add_u32_e32 v8, -1, v28
	v_and_b32_e32 v9, 64, v28
	v_cmp_lt_i32_e32 vcc, v8, v9
	v_cndmask_b32_e32 v8, v8, v28, vcc
	v_lshlrev_b32_e32 v8, 2, v8
	ds_bpermute_b32 v37, v8, v4
	ds_bpermute_b32 v40, v8, v5
	;; [unrolled: 1-line block ×3, first 2 shown]
	v_cmp_gt_u32_e32 vcc, 64, v0
	s_waitcnt lgkmcnt(0)
	; wave barrier
	s_waitcnt lgkmcnt(0)
	s_and_saveexec_b64 s[60:61], vcc
	s_cbranch_execz .LBB77_175
; %bb.133:
	v_mov_b32_e32 v13, 0
	ds_read_b64 v[4:5], v13
	ds_read_u8 v44, v13 offset:8
	s_mov_b32 s65, 0
	v_cmp_eq_u32_e64 s[44:45], 0, v28
	s_and_saveexec_b64 s[4:5], s[44:45]
	s_cbranch_execz .LBB77_135
; %bb.134:
	s_add_i32 s64, s55, 64
	s_lshl_b64 s[68:69], s[64:65], 4
	s_add_u32 s68, s48, s68
	s_addc_u32 s69, s49, s69
	v_mov_b32_e32 v8, s64
	v_mov_b32_e32 v9, 1
	s_waitcnt lgkmcnt(1)
	global_store_dwordx2 v13, v[4:5], s[68:69]
	s_waitcnt lgkmcnt(0)
	global_store_byte v13, v44, s[68:69] offset:8
	s_waitcnt vmcnt(0)
	buffer_wbinvl1_vol
	global_store_byte v8, v9, s[52:53]
.LBB77_135:
	s_or_b64 exec, exec, s[4:5]
	v_xad_u32 v8, v28, -1, s55
	v_add_u32_e32 v12, 64, v8
	global_load_ubyte v45, v12, s[52:53] glc
	s_waitcnt vmcnt(0)
	v_cmp_eq_u16_e32 vcc, 0, v45
	s_and_saveexec_b64 s[4:5], vcc
	s_cbranch_execz .LBB77_139
; %bb.136:
	v_mov_b32_e32 v9, s53
	v_add_co_u32_e32 v20, vcc, s52, v12
	v_addc_co_u32_e32 v21, vcc, 0, v9, vcc
	s_mov_b64 s[64:65], 0
.LBB77_137:                             ; =>This Inner Loop Header: Depth=1
	global_load_ubyte v45, v[20:21], off glc
	s_waitcnt vmcnt(0)
	v_cmp_ne_u16_e32 vcc, 0, v45
	s_or_b64 s[64:65], vcc, s[64:65]
	s_andn2_b64 exec, exec, s[64:65]
	s_cbranch_execnz .LBB77_137
; %bb.138:
	s_or_b64 exec, exec, s[64:65]
.LBB77_139:
	s_or_b64 exec, exec, s[4:5]
	v_mov_b32_e32 v9, s51
	v_mov_b32_e32 v20, s49
	v_cmp_eq_u16_e32 vcc, 1, v45
	v_cndmask_b32_e32 v9, v9, v20, vcc
	v_mov_b32_e32 v20, s50
	v_mov_b32_e32 v21, s48
	v_cndmask_b32_e32 v20, v20, v21, vcc
	v_lshlrev_b64 v[12:13], 4, v[12:13]
	v_add_co_u32_e32 v12, vcc, v20, v12
	v_addc_co_u32_e32 v13, vcc, v9, v13, vcc
	s_waitcnt lgkmcnt(0)
	buffer_wbinvl1_vol
	global_load_dwordx2 v[24:25], v[12:13], off
	global_load_ubyte v29, v[12:13], off offset:8
	v_cmp_eq_u16_e32 vcc, 2, v45
	v_lshlrev_b64 v[12:13], v28, -1
	v_and_b32_e32 v48, 63, v28
	v_and_b32_e32 v9, vcc_hi, v13
	v_and_b32_e32 v20, vcc_lo, v12
	v_cmp_ne_u32_e32 vcc, 63, v48
	v_addc_co_u32_e32 v21, vcc, 0, v28, vcc
	v_lshlrev_b32_e32 v49, 2, v21
	v_or_b32_e32 v9, 0x80000000, v9
	v_ffbl_b32_e32 v9, v9
	v_ffbl_b32_e32 v20, v20
	v_add_u32_e32 v9, 32, v9
	v_min_u32_e32 v9, v20, v9
	v_cmp_lt_u32_e32 vcc, v48, v9
	s_waitcnt vmcnt(1)
	ds_bpermute_b32 v53, v49, v24
	s_waitcnt vmcnt(0)
	v_and_b32_e32 v69, 1, v29
	ds_bpermute_b32 v56, v49, v25
	ds_bpermute_b32 v52, v49, v69
	v_mov_b32_e32 v21, v25
	v_mov_b32_e32 v20, v24
	s_and_saveexec_b64 s[4:5], vcc
	s_cbranch_execz .LBB77_141
; %bb.140:
	v_mov_b32_e32 v20, 0
	v_cmp_eq_u16_sdwa vcc, v29, v20 src0_sel:BYTE_0 src1_sel:DWORD
	s_waitcnt lgkmcnt(2)
	v_cndmask_b32_e32 v20, 1, v53, vcc
	s_waitcnt lgkmcnt(1)
	v_cndmask_b32_e32 v53, 0, v56, vcc
	v_mul_lo_u32 v25, v20, v25
	v_mad_u64_u32 v[20:21], s[64:65], v20, v24, 0
	v_mul_lo_u32 v24, v53, v24
	v_add3_u32 v21, v21, v25, v24
	s_waitcnt lgkmcnt(0)
	v_and_b32_e32 v24, 1, v52
	v_or_b32_e32 v29, v24, v29
	v_and_b32_e32 v69, 0xff, v29
	v_pk_mov_b32 v[24:25], v[20:21], v[20:21] op_sel:[0,1]
.LBB77_141:
	s_or_b64 exec, exec, s[4:5]
	v_cmp_gt_u32_e32 vcc, 62, v48
	s_waitcnt lgkmcnt(0)
	v_cndmask_b32_e64 v52, 0, 1, vcc
	v_lshlrev_b32_e32 v52, 1, v52
	v_add_lshl_u32 v52, v52, v28, 2
	ds_bpermute_b32 v57, v52, v20
	ds_bpermute_b32 v60, v52, v21
	ds_bpermute_b32 v56, v52, v69
	v_add_u32_e32 v53, 2, v48
	v_cmp_le_u32_e32 vcc, v53, v9
	s_and_saveexec_b64 s[64:65], vcc
	s_cbranch_execz .LBB77_143
; %bb.142:
	v_mov_b32_e32 v20, 0
	v_cmp_eq_u16_sdwa vcc, v29, v20 src0_sel:BYTE_0 src1_sel:DWORD
	s_waitcnt lgkmcnt(2)
	v_cndmask_b32_e32 v20, 1, v57, vcc
	s_waitcnt lgkmcnt(1)
	v_cndmask_b32_e32 v57, 0, v60, vcc
	v_mul_lo_u32 v25, v20, v25
	v_mad_u64_u32 v[20:21], s[4:5], v20, v24, 0
	v_mul_lo_u32 v24, v57, v24
	v_add3_u32 v21, v21, v25, v24
	v_and_b32_e32 v24, 1, v29
	v_cmp_eq_u32_e32 vcc, 1, v24
	s_waitcnt lgkmcnt(0)
	v_and_b32_e32 v24, 1, v56
	v_cmp_eq_u32_e64 s[4:5], 1, v24
	s_or_b64 s[4:5], vcc, s[4:5]
	v_cndmask_b32_e64 v29, 0, 1, s[4:5]
	v_cndmask_b32_e64 v69, 0, 1, s[4:5]
	v_pk_mov_b32 v[24:25], v[20:21], v[20:21] op_sel:[0,1]
.LBB77_143:
	s_or_b64 exec, exec, s[64:65]
	v_cmp_gt_u32_e32 vcc, 60, v48
	s_waitcnt lgkmcnt(0)
	v_cndmask_b32_e64 v56, 0, 1, vcc
	v_lshlrev_b32_e32 v56, 2, v56
	v_add_lshl_u32 v56, v56, v28, 2
	ds_bpermute_b32 v61, v56, v20
	ds_bpermute_b32 v64, v56, v21
	ds_bpermute_b32 v60, v56, v69
	v_add_u32_e32 v57, 4, v48
	v_cmp_le_u32_e32 vcc, v57, v9
	s_and_saveexec_b64 s[64:65], vcc
	s_cbranch_execz .LBB77_145
; %bb.144:
	v_mov_b32_e32 v20, 0
	v_cmp_eq_u16_sdwa vcc, v29, v20 src0_sel:BYTE_0 src1_sel:DWORD
	s_waitcnt lgkmcnt(2)
	v_cndmask_b32_e32 v20, 1, v61, vcc
	s_waitcnt lgkmcnt(1)
	v_cndmask_b32_e32 v61, 0, v64, vcc
	v_mul_lo_u32 v25, v20, v25
	v_mad_u64_u32 v[20:21], s[4:5], v20, v24, 0
	v_mul_lo_u32 v24, v61, v24
	v_add3_u32 v21, v21, v25, v24
	v_and_b32_e32 v24, 1, v29
	v_cmp_eq_u32_e32 vcc, 1, v24
	s_waitcnt lgkmcnt(0)
	v_and_b32_e32 v24, 1, v60
	v_cmp_eq_u32_e64 s[4:5], 1, v24
	s_or_b64 s[4:5], vcc, s[4:5]
	v_cndmask_b32_e64 v29, 0, 1, s[4:5]
	v_cndmask_b32_e64 v69, 0, 1, s[4:5]
	v_pk_mov_b32 v[24:25], v[20:21], v[20:21] op_sel:[0,1]
.LBB77_145:
	;; [unrolled: 34-line block ×4, first 2 shown]
	s_or_b64 exec, exec, s[64:65]
	v_cmp_gt_u32_e32 vcc, 32, v48
	s_waitcnt lgkmcnt(0)
	v_cndmask_b32_e64 v68, 0, 1, vcc
	v_lshlrev_b32_e32 v68, 5, v68
	v_add_lshl_u32 v68, v68, v28, 2
	ds_bpermute_b32 v28, v68, v20
	ds_bpermute_b32 v21, v68, v21
	;; [unrolled: 1-line block ×3, first 2 shown]
	v_add_u32_e32 v72, 32, v48
	v_cmp_le_u32_e32 vcc, v72, v9
	s_and_saveexec_b64 s[64:65], vcc
	s_cbranch_execz .LBB77_151
; %bb.150:
	v_mov_b32_e32 v9, 0
	v_cmp_eq_u16_sdwa vcc, v29, v9 src0_sel:BYTE_0 src1_sel:DWORD
	s_waitcnt lgkmcnt(2)
	v_cndmask_b32_e32 v9, 1, v28, vcc
	s_waitcnt lgkmcnt(1)
	v_cndmask_b32_e32 v21, 0, v21, vcc
	v_mul_lo_u32 v25, v9, v25
	v_mad_u64_u32 v[74:75], s[4:5], v9, v24, 0
	v_mul_lo_u32 v9, v21, v24
	v_add3_u32 v75, v75, v25, v9
	v_and_b32_e32 v9, 1, v29
	v_cmp_eq_u32_e32 vcc, 1, v9
	s_waitcnt lgkmcnt(0)
	v_and_b32_e32 v9, 1, v20
	v_cmp_eq_u32_e64 s[4:5], 1, v9
	s_or_b64 s[4:5], vcc, s[4:5]
	v_cndmask_b32_e64 v29, 0, 1, s[4:5]
	v_pk_mov_b32 v[24:25], v[74:75], v[74:75] op_sel:[0,1]
.LBB77_151:
	s_or_b64 exec, exec, s[64:65]
	v_mov_b32_e32 v9, 0
	v_mov_b32_e32 v73, 2
	s_branch .LBB77_153
.LBB77_152:                             ;   in Loop: Header=BB77_153 Depth=1
	s_or_b64 exec, exec, s[68:69]
	v_cmp_eq_u16_sdwa vcc, v69, v9 src0_sel:BYTE_0 src1_sel:DWORD
	s_waitcnt lgkmcnt(0)
	v_cndmask_b32_e32 v24, 1, v28, vcc
	v_cndmask_b32_e32 v25, 0, v29, vcc
	v_mul_lo_u32 v28, v25, v20
	v_mul_lo_u32 v29, v24, v21
	v_mad_u64_u32 v[24:25], s[4:5], v24, v20, 0
	v_add3_u32 v25, v25, v29, v28
	v_and_b32_e32 v28, 1, v69
	v_cmp_eq_u32_e32 vcc, 1, v28
	s_or_b64 s[4:5], vcc, s[64:65]
	v_subrev_u32_e32 v8, 64, v8
	v_cndmask_b32_e64 v29, 0, 1, s[4:5]
.LBB77_153:                             ; =>This Loop Header: Depth=1
                                        ;     Child Loop BB77_156 Depth 2
	v_cmp_ne_u16_sdwa s[4:5], v45, v73 src0_sel:BYTE_0 src1_sel:DWORD
	s_waitcnt lgkmcnt(0)
	v_cndmask_b32_e64 v20, 0, 1, s[4:5]
	;;#ASMSTART
	;;#ASMEND
	v_cmp_ne_u32_e32 vcc, 0, v20
	v_mov_b32_e32 v69, v29
	s_cmp_lg_u64 vcc, exec
	v_pk_mov_b32 v[20:21], v[24:25], v[24:25] op_sel:[0,1]
	s_cbranch_scc1 .LBB77_170
; %bb.154:                              ;   in Loop: Header=BB77_153 Depth=1
	global_load_ubyte v45, v8, s[52:53] glc
	s_waitcnt vmcnt(0)
	v_cmp_eq_u16_e32 vcc, 0, v45
	s_and_saveexec_b64 s[4:5], vcc
	s_cbranch_execz .LBB77_158
; %bb.155:                              ;   in Loop: Header=BB77_153 Depth=1
	v_mov_b32_e32 v25, s53
	v_add_co_u32_e32 v24, vcc, s52, v8
	v_addc_co_u32_e32 v25, vcc, 0, v25, vcc
	s_mov_b64 s[64:65], 0
.LBB77_156:                             ;   Parent Loop BB77_153 Depth=1
                                        ; =>  This Inner Loop Header: Depth=2
	global_load_ubyte v45, v[24:25], off glc
	s_waitcnt vmcnt(0)
	v_cmp_ne_u16_e32 vcc, 0, v45
	s_or_b64 s[64:65], vcc, s[64:65]
	s_andn2_b64 exec, exec, s[64:65]
	s_cbranch_execnz .LBB77_156
; %bb.157:                              ;   in Loop: Header=BB77_153 Depth=1
	s_or_b64 exec, exec, s[64:65]
.LBB77_158:                             ;   in Loop: Header=BB77_153 Depth=1
	s_or_b64 exec, exec, s[4:5]
	v_mov_b32_e32 v24, s51
	v_mov_b32_e32 v25, s49
	v_cmp_eq_u16_e32 vcc, 1, v45
	v_cndmask_b32_e32 v28, v24, v25, vcc
	v_mov_b32_e32 v24, s50
	v_mov_b32_e32 v25, s48
	v_cndmask_b32_e32 v29, v24, v25, vcc
	v_lshlrev_b64 v[24:25], 4, v[8:9]
	v_add_co_u32_e32 v24, vcc, v29, v24
	v_addc_co_u32_e32 v25, vcc, v28, v25, vcc
	buffer_wbinvl1_vol
	global_load_dwordx2 v[28:29], v[24:25], off
	global_load_ubyte v74, v[24:25], off offset:8
	v_cmp_eq_u16_e32 vcc, 2, v45
	v_and_b32_e32 v24, vcc_hi, v13
	v_or_b32_e32 v24, 0x80000000, v24
	v_and_b32_e32 v25, vcc_lo, v12
	v_ffbl_b32_e32 v24, v24
	v_ffbl_b32_e32 v25, v25
	v_add_u32_e32 v24, 32, v24
	v_min_u32_e32 v75, v25, v24
	v_cmp_lt_u32_e32 vcc, v48, v75
	s_waitcnt vmcnt(1)
	ds_bpermute_b32 v78, v49, v28
	s_waitcnt vmcnt(0)
	v_and_b32_e32 v76, 1, v74
	ds_bpermute_b32 v79, v49, v29
	ds_bpermute_b32 v77, v49, v76
	v_mov_b32_e32 v25, v29
	v_mov_b32_e32 v24, v28
	s_and_saveexec_b64 s[4:5], vcc
	s_cbranch_execz .LBB77_160
; %bb.159:                              ;   in Loop: Header=BB77_153 Depth=1
	v_cmp_eq_u16_sdwa vcc, v74, v9 src0_sel:BYTE_0 src1_sel:DWORD
	s_waitcnt lgkmcnt(2)
	v_cndmask_b32_e32 v24, 1, v78, vcc
	s_waitcnt lgkmcnt(1)
	v_cndmask_b32_e32 v76, 0, v79, vcc
	v_mul_lo_u32 v29, v24, v29
	v_mad_u64_u32 v[24:25], s[64:65], v24, v28, 0
	v_mul_lo_u32 v28, v76, v28
	v_add3_u32 v25, v25, v29, v28
	s_waitcnt lgkmcnt(0)
	v_and_b32_e32 v28, 1, v77
	v_or_b32_e32 v74, v28, v74
	v_and_b32_e32 v76, 0xff, v74
	v_pk_mov_b32 v[28:29], v[24:25], v[24:25] op_sel:[0,1]
.LBB77_160:                             ;   in Loop: Header=BB77_153 Depth=1
	s_or_b64 exec, exec, s[4:5]
	s_waitcnt lgkmcnt(2)
	ds_bpermute_b32 v78, v52, v24
	s_waitcnt lgkmcnt(2)
	ds_bpermute_b32 v79, v52, v25
	;; [unrolled: 2-line block ×3, first 2 shown]
	v_and_b32_e32 v80, 1, v74
	v_cmp_le_u32_e32 vcc, v53, v75
	v_cmp_eq_u32_e64 s[64:65], 1, v80
	s_and_saveexec_b64 s[4:5], vcc
	s_cbranch_execz .LBB77_162
; %bb.161:                              ;   in Loop: Header=BB77_153 Depth=1
	v_cmp_eq_u16_sdwa vcc, v74, v9 src0_sel:BYTE_0 src1_sel:DWORD
	s_waitcnt lgkmcnt(2)
	v_cndmask_b32_e32 v24, 1, v78, vcc
	s_waitcnt lgkmcnt(1)
	v_cndmask_b32_e32 v74, 0, v79, vcc
	v_mul_lo_u32 v29, v24, v29
	v_mad_u64_u32 v[24:25], s[68:69], v24, v28, 0
	v_mul_lo_u32 v28, v74, v28
	v_add3_u32 v25, v25, v29, v28
	s_waitcnt lgkmcnt(0)
	v_and_b32_e32 v28, 1, v77
	v_cmp_eq_u32_e32 vcc, 1, v28
	s_or_b64 s[68:69], s[64:65], vcc
	v_cndmask_b32_e64 v74, 0, 1, s[68:69]
	v_cndmask_b32_e64 v76, 0, 1, s[68:69]
	s_andn2_b64 s[64:65], s[64:65], exec
	s_and_b64 s[68:69], s[68:69], exec
	s_or_b64 s[64:65], s[64:65], s[68:69]
	v_pk_mov_b32 v[28:29], v[24:25], v[24:25] op_sel:[0,1]
.LBB77_162:                             ;   in Loop: Header=BB77_153 Depth=1
	s_or_b64 exec, exec, s[4:5]
	s_waitcnt lgkmcnt(2)
	ds_bpermute_b32 v78, v56, v24
	s_waitcnt lgkmcnt(2)
	ds_bpermute_b32 v79, v56, v25
	s_waitcnt lgkmcnt(2)
	ds_bpermute_b32 v77, v56, v76
	v_cmp_le_u32_e32 vcc, v57, v75
	s_and_saveexec_b64 s[68:69], vcc
	s_cbranch_execz .LBB77_164
; %bb.163:                              ;   in Loop: Header=BB77_153 Depth=1
	v_cmp_eq_u16_sdwa vcc, v74, v9 src0_sel:BYTE_0 src1_sel:DWORD
	s_waitcnt lgkmcnt(2)
	v_cndmask_b32_e32 v24, 1, v78, vcc
	s_waitcnt lgkmcnt(1)
	v_cndmask_b32_e32 v76, 0, v79, vcc
	v_mul_lo_u32 v29, v24, v29
	v_mad_u64_u32 v[24:25], s[4:5], v24, v28, 0
	v_mul_lo_u32 v28, v76, v28
	v_add3_u32 v25, v25, v29, v28
	v_and_b32_e32 v28, 1, v74
	v_cmp_eq_u32_e32 vcc, 1, v28
	s_waitcnt lgkmcnt(0)
	v_and_b32_e32 v28, 1, v77
	v_cmp_eq_u32_e64 s[4:5], 1, v28
	s_or_b64 s[4:5], vcc, s[4:5]
	v_cndmask_b32_e64 v74, 0, 1, s[4:5]
	v_cndmask_b32_e64 v76, 0, 1, s[4:5]
	s_andn2_b64 s[64:65], s[64:65], exec
	s_and_b64 s[4:5], s[4:5], exec
	s_or_b64 s[64:65], s[64:65], s[4:5]
	v_pk_mov_b32 v[28:29], v[24:25], v[24:25] op_sel:[0,1]
.LBB77_164:                             ;   in Loop: Header=BB77_153 Depth=1
	s_or_b64 exec, exec, s[68:69]
	s_waitcnt lgkmcnt(2)
	ds_bpermute_b32 v78, v60, v24
	s_waitcnt lgkmcnt(2)
	ds_bpermute_b32 v79, v60, v25
	s_waitcnt lgkmcnt(2)
	ds_bpermute_b32 v77, v60, v76
	v_cmp_le_u32_e32 vcc, v61, v75
	s_and_saveexec_b64 s[68:69], vcc
	s_cbranch_execz .LBB77_166
; %bb.165:                              ;   in Loop: Header=BB77_153 Depth=1
	v_cmp_eq_u16_sdwa vcc, v74, v9 src0_sel:BYTE_0 src1_sel:DWORD
	s_waitcnt lgkmcnt(2)
	v_cndmask_b32_e32 v24, 1, v78, vcc
	s_waitcnt lgkmcnt(1)
	v_cndmask_b32_e32 v76, 0, v79, vcc
	v_mul_lo_u32 v29, v24, v29
	v_mad_u64_u32 v[24:25], s[4:5], v24, v28, 0
	v_mul_lo_u32 v28, v76, v28
	v_add3_u32 v25, v25, v29, v28
	v_and_b32_e32 v28, 1, v74
	v_cmp_eq_u32_e32 vcc, 1, v28
	s_waitcnt lgkmcnt(0)
	v_and_b32_e32 v28, 1, v77
	v_cmp_eq_u32_e64 s[4:5], 1, v28
	s_or_b64 s[4:5], vcc, s[4:5]
	v_cndmask_b32_e64 v74, 0, 1, s[4:5]
	v_cndmask_b32_e64 v76, 0, 1, s[4:5]
	s_andn2_b64 s[64:65], s[64:65], exec
	s_and_b64 s[4:5], s[4:5], exec
	s_or_b64 s[64:65], s[64:65], s[4:5]
	v_pk_mov_b32 v[28:29], v[24:25], v[24:25] op_sel:[0,1]
.LBB77_166:                             ;   in Loop: Header=BB77_153 Depth=1
	;; [unrolled: 33-line block ×3, first 2 shown]
	s_or_b64 exec, exec, s[68:69]
	s_waitcnt lgkmcnt(0)
	ds_bpermute_b32 v77, v68, v24
	ds_bpermute_b32 v25, v68, v25
	;; [unrolled: 1-line block ×3, first 2 shown]
	v_cmp_le_u32_e32 vcc, v72, v75
	s_and_saveexec_b64 s[68:69], vcc
	s_cbranch_execz .LBB77_152
; %bb.169:                              ;   in Loop: Header=BB77_153 Depth=1
	v_cmp_eq_u16_sdwa vcc, v74, v9 src0_sel:BYTE_0 src1_sel:DWORD
	s_waitcnt lgkmcnt(2)
	v_cndmask_b32_e32 v75, 1, v77, vcc
	s_waitcnt lgkmcnt(1)
	v_cndmask_b32_e32 v25, 0, v25, vcc
	v_mul_lo_u32 v29, v75, v29
	v_mad_u64_u32 v[76:77], s[4:5], v75, v28, 0
	v_mul_lo_u32 v25, v25, v28
	v_add3_u32 v77, v77, v29, v25
	v_and_b32_e32 v25, 1, v74
	s_waitcnt lgkmcnt(0)
	v_and_b32_e32 v24, 1, v24
	v_cmp_eq_u32_e32 vcc, 1, v25
	v_cmp_eq_u32_e64 s[4:5], 1, v24
	s_or_b64 s[4:5], vcc, s[4:5]
	s_andn2_b64 s[64:65], s[64:65], exec
	s_and_b64 s[4:5], s[4:5], exec
	s_or_b64 s[64:65], s[64:65], s[4:5]
	v_pk_mov_b32 v[28:29], v[76:77], v[76:77] op_sel:[0,1]
	s_branch .LBB77_152
.LBB77_170:                             ;   in Loop: Header=BB77_153 Depth=1
                                        ; implicit-def: $vgpr29
                                        ; implicit-def: $vgpr24_vgpr25
                                        ; implicit-def: $vgpr45
	s_cbranch_execz .LBB77_153
; %bb.171:
	s_and_saveexec_b64 s[4:5], s[44:45]
	s_cbranch_execz .LBB77_173
; %bb.172:
	v_mov_b32_e32 v8, 0
	v_cmp_eq_u16_sdwa vcc, v44, v8 src0_sel:BYTE_0 src1_sel:DWORD
	v_cndmask_b32_e32 v9, 1, v20, vcc
	v_cndmask_b32_e32 v12, 0, v21, vcc
	s_mov_b32 s45, 0
	v_mul_lo_u32 v12, v12, v4
	v_mul_lo_u32 v13, v9, v5
	v_mad_u64_u32 v[4:5], s[48:49], v9, v4, 0
	s_add_i32 s44, s55, 64
	s_lshl_b64 s[48:49], s[44:45], 4
	s_add_u32 s48, s50, s48
	v_add3_u32 v5, v5, v13, v12
	v_or_b32_e32 v9, v44, v69
	s_addc_u32 s49, s51, s49
	v_and_b32_e32 v9, 1, v9
	global_store_dwordx2 v8, v[4:5], s[48:49]
	global_store_byte v8, v9, s[48:49] offset:8
	v_mov_b32_e32 v4, s44
	v_mov_b32_e32 v5, 2
	s_waitcnt vmcnt(0)
	buffer_wbinvl1_vol
	global_store_byte v4, v5, s[52:53]
.LBB77_173:
	s_or_b64 exec, exec, s[4:5]
	s_and_b64 exec, exec, s[0:1]
	s_cbranch_execz .LBB77_175
; %bb.174:
	v_mov_b32_e32 v4, 0
	ds_write_b64 v4, v[20:21]
	ds_write_b8 v4, v69 offset:8
.LBB77_175:
	s_or_b64 exec, exec, s[60:61]
	v_mov_b32_e32 v12, 0
	s_waitcnt lgkmcnt(0)
	; wave barrier
	s_waitcnt lgkmcnt(0)
	ds_read_b64 v[4:5], v12
	v_mov_b32_e32 v13, v1
	v_pk_mov_b32 v[8:9], v[2:3], v[2:3] op_sel:[0,1]
	s_and_saveexec_b64 s[44:45], s[46:47]
	s_cbranch_execz .LBB77_177
; %bb.176:
	v_and_b32_e32 v8, 1, v41
	v_cmp_eq_u32_e32 vcc, 1, v8
	v_and_b32_e32 v8, 1, v1
	v_cmp_eq_u32_e64 s[4:5], 1, v8
	s_or_b64 s[4:5], s[4:5], vcc
	v_cmp_eq_u16_sdwa vcc, v1, v12 src0_sel:BYTE_0 src1_sel:DWORD
	v_cndmask_b32_e32 v8, 1, v37, vcc
	v_cndmask_b32_e32 v20, 0, v40, vcc
	v_cndmask_b32_e64 v13, 0, 1, s[4:5]
	v_mul_lo_u32 v21, v8, v3
	v_mad_u64_u32 v[8:9], s[4:5], v8, v2, 0
	v_mul_lo_u32 v20, v20, v2
	v_add3_u32 v9, v9, v21, v20
.LBB77_177:
	s_or_b64 exec, exec, s[44:45]
	v_cmp_eq_u16_sdwa vcc, v13, v12 src0_sel:BYTE_0 src1_sel:DWORD
	s_waitcnt lgkmcnt(0)
	v_cndmask_b32_e32 v4, 1, v4, vcc
	v_cndmask_b32_e32 v5, 0, v5, vcc
	v_mul_lo_u32 v5, v5, v8
	v_mul_lo_u32 v9, v4, v9
	v_mad_u64_u32 v[102:103], s[4:5], v4, v8, 0
	v_add3_u32 v103, v103, v9, v5
	v_cndmask_b32_e64 v4, 0, v103, s[42:43]
	v_cndmask_b32_e64 v5, 1, v102, s[42:43]
	v_mul_lo_u32 v4, v4, v14
	v_mul_lo_u32 v8, v5, v15
	v_mad_u64_u32 v[40:41], s[4:5], v5, v14, 0
	v_add3_u32 v41, v41, v8, v4
	v_cndmask_b32_e64 v4, 0, v41, s[40:41]
	v_cndmask_b32_e64 v5, 1, v40, s[40:41]
	;; [unrolled: 6-line block ×18, first 2 shown]
	v_mul_lo_u32 v4, v4, v16
	v_mul_lo_u32 v8, v5, v17
	v_mad_u64_u32 v[108:109], s[4:5], v5, v16, 0
	v_add3_u32 v109, v109, v8, v4
	s_branch .LBB77_200
.LBB77_178:
                                        ; implicit-def: $vgpr100_vgpr101_vgpr102_vgpr103
                                        ; implicit-def: $vgpr108_vgpr109
                                        ; implicit-def: $vgpr106_vgpr107
                                        ; implicit-def: $vgpr68_vgpr69
                                        ; implicit-def: $vgpr64_vgpr65
                                        ; implicit-def: $vgpr60_vgpr61
                                        ; implicit-def: $vgpr56_vgpr57
                                        ; implicit-def: $vgpr52_vgpr53
                                        ; implicit-def: $vgpr48_vgpr49
                                        ; implicit-def: $vgpr44_vgpr45
                                        ; implicit-def: $vgpr40_vgpr41
                                        ; implicit-def: $vgpr96_vgpr97_vgpr98_vgpr99
                                        ; implicit-def: $vgpr92_vgpr93_vgpr94_vgpr95
                                        ; implicit-def: $vgpr88_vgpr89_vgpr90_vgpr91
                                        ; implicit-def: $vgpr84_vgpr85_vgpr86_vgpr87
                                        ; implicit-def: $vgpr80_vgpr81_vgpr82_vgpr83
                                        ; implicit-def: $vgpr76_vgpr77_vgpr78_vgpr79
                                        ; implicit-def: $vgpr72_vgpr73_vgpr74_vgpr75
                                        ; implicit-def: $vgpr102_vgpr103_vgpr104_vgpr105
	s_cbranch_execz .LBB77_200
; %bb.179:
	s_cmp_lg_u64 s[72:73], 0
	s_cselect_b32 s7, s67, 0
	s_cselect_b32 s6, s66, 0
	s_cmp_lg_u64 s[6:7], 0
	s_cselect_b64 s[4:5], -1, 0
	s_and_b64 s[8:9], s[0:1], s[4:5]
	s_and_saveexec_b64 s[4:5], s[8:9]
	s_cbranch_execz .LBB77_181
; %bb.180:
	v_mov_b32_e32 v8, 0
	global_load_dwordx2 v[4:5], v8, s[6:7]
	global_load_ubyte v9, v8, s[6:7] offset:8
	v_cmp_eq_u16_sdwa vcc, v1, v8 src0_sel:BYTE_0 src1_sel:DWORD
	s_waitcnt vmcnt(1)
	v_cndmask_b32_e32 v4, 1, v4, vcc
	v_cndmask_b32_e32 v5, 0, v5, vcc
	s_waitcnt vmcnt(0)
	v_or_b32_e32 v1, v1, v9
	v_mul_lo_u32 v5, v5, v2
	v_mul_lo_u32 v8, v4, v3
	v_mad_u64_u32 v[2:3], s[6:7], v4, v2, 0
	v_add3_u32 v3, v3, v8, v5
	v_and_b32_e32 v1, 1, v1
.LBB77_181:
	s_or_b64 exec, exec, s[4:5]
	v_mov_b32_e32 v5, 0
	v_cmp_eq_u16_sdwa s[40:41], v112, v5 src0_sel:BYTE_0 src1_sel:DWORD
	v_cndmask_b32_e64 v8, 1, v2, s[40:41]
	v_cndmask_b32_e64 v9, 0, v3, s[40:41]
	v_mul_lo_u32 v9, v9, v14
	v_mul_lo_u32 v12, v8, v15
	v_mad_u64_u32 v[40:41], s[4:5], v8, v14, 0
	v_add3_u32 v41, v41, v12, v9
	v_cmp_eq_u16_sdwa s[38:39], v111, v5 src0_sel:BYTE_0 src1_sel:DWORD
	v_cndmask_b32_e64 v8, 0, v41, s[38:39]
	v_cndmask_b32_e64 v9, 1, v40, s[38:39]
	v_mul_lo_u32 v8, v8, v10
	v_mul_lo_u32 v12, v9, v11
	v_mad_u64_u32 v[72:73], s[4:5], v9, v10, 0
	v_add3_u32 v73, v73, v12, v8
	;; [unrolled: 7-line block ×17, first 2 shown]
	v_cmp_eq_u16_sdwa vcc, v36, v5 src0_sel:BYTE_0 src1_sel:DWORD
	v_cndmask_b32_e32 v5, 0, v107, vcc
	v_cndmask_b32_e32 v8, 1, v106, vcc
	v_mul_lo_u32 v5, v5, v16
	v_mul_lo_u32 v9, v8, v17
	v_mad_u64_u32 v[108:109], s[4:5], v8, v16, 0
	v_add3_u32 v109, v109, v9, v5
	v_or_b32_e32 v5, v33, v125
	v_or_b32_e32 v5, v5, v124
	;; [unrolled: 1-line block ×15, first 2 shown]
	v_and_b32_e32 v5, 1, v5
	v_and_b32_e32 v4, 0xff, v1
	v_cmp_eq_u32_e64 s[4:5], 1, v5
	v_mbcnt_hi_u32_b32 v12, -1, v32
	v_cndmask_b32_e64 v13, v4, 1, s[4:5]
	v_and_b32_e32 v20, 15, v12
	v_mov_b32_dpp v24, v108 row_shr:1 row_mask:0xf bank_mask:0xf
	v_mov_b32_dpp v25, v109 row_shr:1 row_mask:0xf bank_mask:0xf
	;; [unrolled: 1-line block ×3, first 2 shown]
	v_cmp_ne_u32_e64 s[4:5], 0, v20
	v_pk_mov_b32 v[4:5], v[108:109], v[108:109] op_sel:[0,1]
	v_mov_b32_e32 v9, v109
	v_mov_b32_e32 v8, v108
	s_and_saveexec_b64 s[42:43], s[4:5]
; %bb.182:
	v_cmp_eq_u32_e64 s[4:5], 0, v13
	v_cndmask_b32_e64 v4, 1, v24, s[4:5]
	v_cndmask_b32_e64 v8, 0, v25, s[4:5]
	v_mul_lo_u32 v9, v109, v4
	v_mad_u64_u32 v[4:5], s[4:5], v108, v4, 0
	v_mul_lo_u32 v8, v108, v8
	v_add3_u32 v5, v5, v8, v9
	v_and_or_b32 v13, v21, 1, v13
	v_mov_b32_e32 v9, v5
	v_mov_b32_e32 v8, v4
; %bb.183:
	s_or_b64 exec, exec, s[42:43]
	s_nop 0
	v_mov_b32_dpp v24, v8 row_shr:2 row_mask:0xf bank_mask:0xf
	v_mov_b32_dpp v25, v9 row_shr:2 row_mask:0xf bank_mask:0xf
	v_mov_b32_dpp v21, v13 row_shr:2 row_mask:0xf bank_mask:0xf
	v_cmp_lt_u32_e64 s[4:5], 1, v20
	s_and_saveexec_b64 s[42:43], s[4:5]
; %bb.184:
	v_cmp_eq_u32_e64 s[4:5], 0, v13
	v_cndmask_b32_e64 v8, 1, v24, s[4:5]
	v_cndmask_b32_e64 v24, 0, v25, s[4:5]
	v_mul_lo_u32 v5, v8, v5
	v_mad_u64_u32 v[8:9], s[4:5], v8, v4, 0
	v_mul_lo_u32 v4, v24, v4
	v_add3_u32 v9, v9, v5, v4
	v_or_b32_e32 v4, v21, v13
	v_and_b32_e32 v13, 1, v4
	v_pk_mov_b32 v[4:5], v[8:9], v[8:9] op_sel:[0,1]
; %bb.185:
	s_or_b64 exec, exec, s[42:43]
	v_mov_b32_dpp v24, v8 row_shr:4 row_mask:0xf bank_mask:0xf
	v_mov_b32_dpp v25, v9 row_shr:4 row_mask:0xf bank_mask:0xf
	v_mov_b32_dpp v21, v13 row_shr:4 row_mask:0xf bank_mask:0xf
	v_cmp_lt_u32_e64 s[4:5], 3, v20
	s_and_saveexec_b64 s[42:43], s[4:5]
; %bb.186:
	v_cmp_eq_u32_e64 s[4:5], 0, v13
	v_cndmask_b32_e64 v8, 1, v24, s[4:5]
	v_cndmask_b32_e64 v24, 0, v25, s[4:5]
	v_mul_lo_u32 v5, v8, v5
	v_mad_u64_u32 v[8:9], s[4:5], v8, v4, 0
	v_mul_lo_u32 v4, v24, v4
	v_add3_u32 v9, v9, v5, v4
	v_or_b32_e32 v4, v21, v13
	v_and_b32_e32 v13, 1, v4
	v_pk_mov_b32 v[4:5], v[8:9], v[8:9] op_sel:[0,1]
; %bb.187:
	s_or_b64 exec, exec, s[42:43]
	;; [unrolled: 18-line block ×3, first 2 shown]
	v_and_b32_e32 v25, 16, v12
	v_mov_b32_dpp v21, v8 row_bcast:15 row_mask:0xf bank_mask:0xf
	v_mov_b32_dpp v24, v9 row_bcast:15 row_mask:0xf bank_mask:0xf
	;; [unrolled: 1-line block ×3, first 2 shown]
	v_cmp_ne_u32_e64 s[4:5], 0, v25
	s_and_saveexec_b64 s[42:43], s[4:5]
; %bb.190:
	v_cmp_eq_u32_e64 s[4:5], 0, v13
	v_cndmask_b32_e64 v8, 1, v21, s[4:5]
	v_cndmask_b32_e64 v21, 0, v24, s[4:5]
	v_mul_lo_u32 v5, v8, v5
	v_mad_u64_u32 v[8:9], s[4:5], v8, v4, 0
	v_mul_lo_u32 v4, v21, v4
	v_add3_u32 v9, v9, v5, v4
	v_or_b32_e32 v4, v20, v13
	v_and_b32_e32 v13, 1, v4
	v_pk_mov_b32 v[4:5], v[8:9], v[8:9] op_sel:[0,1]
; %bb.191:
	s_or_b64 exec, exec, s[42:43]
	v_mov_b32_dpp v20, v8 row_bcast:31 row_mask:0xf bank_mask:0xf
	v_mov_b32_dpp v9, v9 row_bcast:31 row_mask:0xf bank_mask:0xf
	;; [unrolled: 1-line block ×3, first 2 shown]
	v_cmp_lt_u32_e64 s[4:5], 31, v12
	s_and_saveexec_b64 s[42:43], s[4:5]
; %bb.192:
	v_cmp_eq_u32_e64 s[4:5], 0, v13
	v_cndmask_b32_e64 v20, 1, v20, s[4:5]
	v_cndmask_b32_e64 v9, 0, v9, s[4:5]
	v_mul_lo_u32 v5, v20, v5
	v_mad_u64_u32 v[20:21], s[4:5], v20, v4, 0
	v_mul_lo_u32 v4, v9, v4
	v_add3_u32 v21, v21, v5, v4
	v_or_b32_e32 v4, v8, v13
	v_and_b32_e32 v13, 1, v4
	v_pk_mov_b32 v[4:5], v[20:21], v[20:21] op_sel:[0,1]
; %bb.193:
	s_or_b64 exec, exec, s[42:43]
	v_cmp_eq_u32_e64 s[4:5], 63, v0
	s_and_saveexec_b64 s[42:43], s[4:5]
	s_cbranch_execz .LBB77_195
; %bb.194:
	v_mov_b32_e32 v8, 0
	ds_write_b64 v8, v[4:5]
	ds_write_b8 v8, v13 offset:8
.LBB77_195:
	s_or_b64 exec, exec, s[42:43]
	v_add_u32_e32 v8, -1, v12
	v_and_b32_e32 v9, 64, v12
	v_cmp_lt_i32_e64 s[4:5], v8, v9
	v_cndmask_b32_e64 v8, v8, v12, s[4:5]
	v_lshlrev_b32_e32 v8, 2, v8
	ds_bpermute_b32 v4, v8, v4
	ds_bpermute_b32 v5, v8, v5
	s_waitcnt lgkmcnt(0)
	; wave barrier
	s_waitcnt lgkmcnt(0)
	s_and_saveexec_b64 s[42:43], s[46:47]
	s_cbranch_execz .LBB77_197
; %bb.196:
	v_mov_b32_e32 v8, 0
	v_cmp_eq_u16_sdwa s[4:5], v1, v8 src0_sel:BYTE_0 src1_sel:DWORD
	v_cndmask_b32_e64 v1, 1, v4, s[4:5]
	v_cndmask_b32_e64 v4, 0, v5, s[4:5]
	v_mul_lo_u32 v4, v4, v2
	v_mul_lo_u32 v5, v1, v3
	v_mad_u64_u32 v[2:3], s[4:5], v1, v2, 0
	v_add3_u32 v3, v3, v5, v4
	v_cndmask_b32_e64 v1, 0, v3, s[40:41]
	v_cndmask_b32_e64 v4, 1, v2, s[40:41]
	v_mul_lo_u32 v1, v1, v14
	v_mul_lo_u32 v5, v4, v15
	v_mad_u64_u32 v[40:41], s[4:5], v4, v14, 0
	v_add3_u32 v41, v41, v5, v1
	v_cndmask_b32_e64 v1, 0, v41, s[38:39]
	v_cndmask_b32_e64 v4, 1, v40, s[38:39]
	v_mul_lo_u32 v1, v1, v10
	v_mul_lo_u32 v5, v4, v11
	v_mad_u64_u32 v[72:73], s[4:5], v4, v10, 0
	v_add3_u32 v73, v73, v5, v1
	v_cndmask_b32_e64 v1, 0, v73, s[36:37]
	v_cndmask_b32_e64 v4, 1, v72, s[36:37]
	v_mul_lo_u32 v1, v1, v26
	v_mul_lo_u32 v5, v4, v27
	v_mad_u64_u32 v[44:45], s[4:5], v4, v26, 0
	v_add3_u32 v45, v45, v5, v1
	v_cndmask_b32_e64 v1, 0, v45, s[34:35]
	v_cndmask_b32_e64 v4, 1, v44, s[34:35]
	v_mul_lo_u32 v1, v1, v18
	v_mul_lo_u32 v5, v4, v19
	v_mad_u64_u32 v[76:77], s[4:5], v4, v18, 0
	v_add3_u32 v77, v77, v5, v1
	v_cndmask_b32_e64 v1, 0, v77, s[30:31]
	v_cndmask_b32_e64 v4, 1, v76, s[30:31]
	v_mul_lo_u32 v1, v1, v34
	v_mul_lo_u32 v5, v4, v35
	v_mad_u64_u32 v[48:49], s[4:5], v4, v34, 0
	v_add3_u32 v49, v49, v5, v1
	v_cndmask_b32_e64 v1, 0, v49, s[28:29]
	v_cndmask_b32_e64 v4, 1, v48, s[28:29]
	v_mul_lo_u32 v1, v1, v22
	v_mul_lo_u32 v5, v4, v23
	v_mad_u64_u32 v[80:81], s[4:5], v4, v22, 0
	v_add3_u32 v81, v81, v5, v1
	v_cndmask_b32_e64 v1, 0, v81, s[26:27]
	v_cndmask_b32_e64 v4, 1, v80, s[26:27]
	v_mul_lo_u32 v1, v1, v42
	v_mul_lo_u32 v5, v4, v43
	v_mad_u64_u32 v[52:53], s[4:5], v4, v42, 0
	v_add3_u32 v53, v53, v5, v1
	v_cndmask_b32_e64 v1, 0, v53, s[24:25]
	v_cndmask_b32_e64 v4, 1, v52, s[24:25]
	v_mul_lo_u32 v1, v1, v30
	v_mul_lo_u32 v5, v4, v31
	v_mad_u64_u32 v[84:85], s[4:5], v4, v30, 0
	v_add3_u32 v85, v85, v5, v1
	v_cndmask_b32_e64 v1, 0, v85, s[22:23]
	v_cndmask_b32_e64 v4, 1, v84, s[22:23]
	v_mul_lo_u32 v1, v1, v50
	v_mul_lo_u32 v5, v4, v51
	v_mad_u64_u32 v[56:57], s[4:5], v4, v50, 0
	v_add3_u32 v57, v57, v5, v1
	v_cndmask_b32_e64 v1, 0, v57, s[20:21]
	v_cndmask_b32_e64 v4, 1, v56, s[20:21]
	v_mul_lo_u32 v1, v1, v38
	v_mul_lo_u32 v5, v4, v39
	v_mad_u64_u32 v[88:89], s[4:5], v4, v38, 0
	v_add3_u32 v89, v89, v5, v1
	v_cndmask_b32_e64 v1, 0, v89, s[18:19]
	v_cndmask_b32_e64 v4, 1, v88, s[18:19]
	v_mul_lo_u32 v1, v1, v62
	v_mul_lo_u32 v5, v4, v63
	v_mad_u64_u32 v[60:61], s[4:5], v4, v62, 0
	v_add3_u32 v61, v61, v5, v1
	v_cndmask_b32_e64 v1, 0, v61, s[16:17]
	v_cndmask_b32_e64 v4, 1, v60, s[16:17]
	v_mul_lo_u32 v1, v1, v46
	v_mul_lo_u32 v5, v4, v47
	v_mad_u64_u32 v[92:93], s[4:5], v4, v46, 0
	v_add3_u32 v93, v93, v5, v1
	v_cndmask_b32_e64 v1, 0, v93, s[14:15]
	v_cndmask_b32_e64 v4, 1, v92, s[14:15]
	v_mul_lo_u32 v1, v1, v66
	v_mul_lo_u32 v5, v4, v67
	v_mad_u64_u32 v[64:65], s[4:5], v4, v66, 0
	v_add3_u32 v65, v65, v5, v1
	v_cndmask_b32_e64 v1, 0, v65, s[12:13]
	v_cndmask_b32_e64 v4, 1, v64, s[12:13]
	v_mul_lo_u32 v1, v1, v54
	v_mul_lo_u32 v5, v4, v55
	v_mad_u64_u32 v[96:97], s[4:5], v4, v54, 0
	v_add3_u32 v97, v97, v5, v1
	v_cndmask_b32_e64 v1, 0, v97, s[10:11]
	v_cndmask_b32_e64 v4, 1, v96, s[10:11]
	v_mul_lo_u32 v1, v1, v70
	v_mul_lo_u32 v5, v4, v71
	v_mad_u64_u32 v[68:69], s[4:5], v4, v70, 0
	v_add3_u32 v69, v69, v5, v1
	v_cndmask_b32_e64 v1, 0, v69, s[8:9]
	v_cndmask_b32_e64 v4, 1, v68, s[8:9]
	v_mul_lo_u32 v1, v1, v58
	v_mul_lo_u32 v5, v4, v59
	v_mad_u64_u32 v[100:101], s[4:5], v4, v58, 0
	v_add3_u32 v101, v101, v5, v1
	v_cndmask_b32_e64 v1, 0, v101, s[6:7]
	v_cndmask_b32_e64 v4, 1, v100, s[6:7]
	v_mul_lo_u32 v1, v1, v6
	v_mul_lo_u32 v5, v4, v7
	v_mad_u64_u32 v[106:107], s[4:5], v4, v6, 0
	v_add3_u32 v107, v107, v5, v1
	v_cndmask_b32_e32 v1, 0, v107, vcc
	v_cndmask_b32_e32 v4, 1, v106, vcc
	v_mul_lo_u32 v1, v1, v16
	v_mul_lo_u32 v5, v4, v17
	v_mad_u64_u32 v[108:109], s[4:5], v4, v16, 0
	v_add3_u32 v109, v109, v5, v1
	;;#ASMSTART
	;;#ASMEND
.LBB77_197:
	s_or_b64 exec, exec, s[42:43]
	s_and_saveexec_b64 s[4:5], s[0:1]
	s_cbranch_execz .LBB77_199
; %bb.198:
	v_mov_b32_e32 v1, 0
	ds_read_b64 v[4:5], v1
	ds_read_u8 v6, v1 offset:8
	v_mov_b32_e32 v7, 2
	s_waitcnt lgkmcnt(1)
	global_store_dwordx2 v1, v[4:5], s[50:51] offset:1024
	s_waitcnt lgkmcnt(0)
	global_store_byte v1, v6, s[50:51] offset:1032
	s_waitcnt vmcnt(0)
	buffer_wbinvl1_vol
	global_store_byte v1, v7, s[52:53] offset:64
.LBB77_199:
	s_or_b64 exec, exec, s[4:5]
	v_pk_mov_b32 v[102:103], v[2:3], v[2:3] op_sel:[0,1]
.LBB77_200:
	s_add_u32 s0, s62, s58
	s_addc_u32 s1, s63, s59
	s_add_u32 s4, s0, s56
	s_addc_u32 s5, s1, s57
	s_and_b64 vcc, exec, s[2:3]
	s_cbranch_vccz .LBB77_238
; %bb.201:
	s_movk_i32 s0, 0x98
	v_mul_i32_i24_e32 v43, 0xffffff70, v0
	v_mul_u32_u24_e32 v42, 0x98, v0
	v_mad_u32_u24 v2, v0, s0, v43
	s_waitcnt lgkmcnt(0)
	; wave barrier
	ds_write2_b64 v42, v[102:103], v[40:41] offset1:1
	ds_write2_b64 v42, v[72:73], v[44:45] offset0:2 offset1:3
	ds_write2_b64 v42, v[76:77], v[48:49] offset0:4 offset1:5
	;; [unrolled: 1-line block ×8, first 2 shown]
	ds_write_b64 v42, v[108:109] offset:144
	s_waitcnt lgkmcnt(0)
	; wave barrier
	s_waitcnt lgkmcnt(0)
	ds_read2st64_b64 v[34:37], v2 offset0:1 offset1:2
	ds_read2st64_b64 v[30:33], v2 offset0:3 offset1:4
	;; [unrolled: 1-line block ×9, first 2 shown]
	v_mov_b32_e32 v39, s5
	v_add_co_u32_e32 v38, vcc, s4, v127
	s_add_i32 s33, s33, s54
	v_addc_co_u32_e32 v39, vcc, 0, v39, vcc
	v_mov_b32_e32 v1, 0
	v_cmp_gt_u32_e32 vcc, s33, v0
	s_and_saveexec_b64 s[0:1], vcc
	s_cbranch_execz .LBB77_203
; %bb.202:
	v_add_u32_e32 v42, v42, v43
	ds_read_b64 v[42:43], v42
	s_waitcnt lgkmcnt(0)
	flat_store_dwordx2 v[38:39], v[42:43]
.LBB77_203:
	s_or_b64 exec, exec, s[0:1]
	v_or_b32_e32 v42, 64, v0
	v_cmp_gt_u32_e32 vcc, s33, v42
	s_and_saveexec_b64 s[0:1], vcc
	s_cbranch_execz .LBB77_205
; %bb.204:
	s_waitcnt lgkmcnt(0)
	flat_store_dwordx2 v[38:39], v[34:35] offset:512
.LBB77_205:
	s_or_b64 exec, exec, s[0:1]
	s_waitcnt lgkmcnt(0)
	v_or_b32_e32 v34, 0x80, v0
	v_cmp_gt_u32_e32 vcc, s33, v34
	s_and_saveexec_b64 s[0:1], vcc
	s_cbranch_execz .LBB77_207
; %bb.206:
	flat_store_dwordx2 v[38:39], v[36:37] offset:1024
.LBB77_207:
	s_or_b64 exec, exec, s[0:1]
	v_or_b32_e32 v34, 0xc0, v0
	v_cmp_gt_u32_e32 vcc, s33, v34
	s_and_saveexec_b64 s[0:1], vcc
	s_cbranch_execz .LBB77_209
; %bb.208:
	flat_store_dwordx2 v[38:39], v[30:31] offset:1536
.LBB77_209:
	s_or_b64 exec, exec, s[0:1]
	;; [unrolled: 8-line block ×6, first 2 shown]
	v_or_b32_e32 v22, 0x200, v0
	v_cmp_gt_u32_e32 vcc, s33, v22
	s_and_saveexec_b64 s[0:1], vcc
	s_cbranch_execz .LBB77_219
; %bb.218:
	v_add_co_u32_e32 v22, vcc, 0x1000, v38
	v_addc_co_u32_e32 v23, vcc, 0, v39, vcc
	flat_store_dwordx2 v[22:23], v[24:25]
.LBB77_219:
	s_or_b64 exec, exec, s[0:1]
	v_or_b32_e32 v22, 0x240, v0
	v_cmp_gt_u32_e32 vcc, s33, v22
	s_and_saveexec_b64 s[0:1], vcc
	s_cbranch_execz .LBB77_221
; %bb.220:
	v_add_co_u32_e32 v22, vcc, 0x1000, v38
	v_addc_co_u32_e32 v23, vcc, 0, v39, vcc
	flat_store_dwordx2 v[22:23], v[18:19] offset:512
.LBB77_221:
	s_or_b64 exec, exec, s[0:1]
	v_or_b32_e32 v18, 0x280, v0
	v_cmp_gt_u32_e32 vcc, s33, v18
	s_and_saveexec_b64 s[0:1], vcc
	s_cbranch_execz .LBB77_223
; %bb.222:
	v_add_co_u32_e32 v18, vcc, 0x1000, v38
	v_addc_co_u32_e32 v19, vcc, 0, v39, vcc
	flat_store_dwordx2 v[18:19], v[20:21] offset:1024
.LBB77_223:
	;; [unrolled: 10-line block ×7, first 2 shown]
	s_or_b64 exec, exec, s[0:1]
	v_or_b32_e32 v6, 0x400, v0
	v_cmp_gt_u32_e32 vcc, s33, v6
	s_and_saveexec_b64 s[0:1], vcc
	s_cbranch_execz .LBB77_235
; %bb.234:
	v_add_co_u32_e32 v6, vcc, 0x2000, v38
	v_addc_co_u32_e32 v7, vcc, 0, v39, vcc
	flat_store_dwordx2 v[6:7], v[8:9]
.LBB77_235:
	s_or_b64 exec, exec, s[0:1]
	v_or_b32_e32 v6, 0x440, v0
	v_cmp_gt_u32_e32 vcc, s33, v6
	s_and_saveexec_b64 s[0:1], vcc
	s_cbranch_execz .LBB77_237
; %bb.236:
	v_add_co_u32_e32 v6, vcc, 0x2000, v38
	v_addc_co_u32_e32 v7, vcc, 0, v39, vcc
	flat_store_dwordx2 v[6:7], v[2:3] offset:512
.LBB77_237:
	s_or_b64 exec, exec, s[0:1]
	v_or_b32_e32 v2, 0x480, v0
	v_cmp_gt_u32_e64 s[0:1], s33, v2
	s_branch .LBB77_240
.LBB77_238:
	s_mov_b64 s[0:1], 0
                                        ; implicit-def: $vgpr4_vgpr5
	s_cbranch_execz .LBB77_240
; %bb.239:
	s_movk_i32 s2, 0x98
	v_mul_i32_i24_e32 v2, 0xffffff70, v0
	v_mul_u32_u24_e32 v1, 0x98, v0
	v_mad_u32_u24 v2, v0, s2, v2
	s_waitcnt lgkmcnt(0)
	; wave barrier
	s_waitcnt lgkmcnt(0)
	ds_write2_b64 v1, v[102:103], v[40:41] offset1:1
	ds_write2_b64 v1, v[72:73], v[44:45] offset0:2 offset1:3
	ds_write2_b64 v1, v[76:77], v[48:49] offset0:4 offset1:5
	;; [unrolled: 1-line block ×8, first 2 shown]
	ds_write_b64 v1, v[108:109] offset:144
	s_waitcnt lgkmcnt(0)
	; wave barrier
	s_waitcnt lgkmcnt(0)
	ds_read2st64_b64 v[6:9], v2 offset1:1
	ds_read2st64_b64 v[10:13], v2 offset0:2 offset1:3
	ds_read2st64_b64 v[14:17], v2 offset0:4 offset1:5
	;; [unrolled: 1-line block ×8, first 2 shown]
	ds_read_b64 v[4:5], v2 offset:9216
	v_mov_b32_e32 v3, s5
	v_add_co_u32_e32 v2, vcc, s4, v127
	v_addc_co_u32_e32 v3, vcc, 0, v3, vcc
	s_movk_i32 s2, 0x1000
	s_waitcnt lgkmcnt(0)
	flat_store_dwordx2 v[2:3], v[6:7]
	flat_store_dwordx2 v[2:3], v[8:9] offset:512
	flat_store_dwordx2 v[2:3], v[10:11] offset:1024
	flat_store_dwordx2 v[2:3], v[12:13] offset:1536
	flat_store_dwordx2 v[2:3], v[14:15] offset:2048
	flat_store_dwordx2 v[2:3], v[16:17] offset:2560
	flat_store_dwordx2 v[2:3], v[18:19] offset:3072
	flat_store_dwordx2 v[2:3], v[20:21] offset:3584
	v_add_co_u32_e32 v6, vcc, s2, v2
	v_addc_co_u32_e32 v7, vcc, 0, v3, vcc
	v_add_co_u32_e32 v2, vcc, 0x2000, v2
	v_mov_b32_e32 v1, 0
	v_addc_co_u32_e32 v3, vcc, 0, v3, vcc
	s_or_b64 s[0:1], s[0:1], exec
	flat_store_dwordx2 v[6:7], v[22:23]
	flat_store_dwordx2 v[6:7], v[24:25] offset:512
	flat_store_dwordx2 v[6:7], v[26:27] offset:1024
	;; [unrolled: 1-line block ×7, first 2 shown]
	flat_store_dwordx2 v[2:3], v[38:39]
	flat_store_dwordx2 v[2:3], v[40:41] offset:512
.LBB77_240:
	s_and_saveexec_b64 s[2:3], s[0:1]
	s_cbranch_execnz .LBB77_242
; %bb.241:
	s_endpgm
.LBB77_242:
	v_lshlrev_b64 v[0:1], 3, v[0:1]
	v_mov_b32_e32 v2, s5
	v_add_co_u32_e32 v0, vcc, s4, v0
	v_addc_co_u32_e32 v1, vcc, v2, v1, vcc
	v_add_co_u32_e32 v0, vcc, 0x2000, v0
	v_addc_co_u32_e32 v1, vcc, 0, v1, vcc
	flat_store_dwordx2 v[0:1], v[4:5] offset:1024
	s_endpgm
.LBB77_243:
	v_mov_b32_e32 v3, s79
	v_add_co_u32_e32 v2, vcc, s78, v50
	v_addc_co_u32_e32 v3, vcc, 0, v3, vcc
	flat_load_dwordx2 v[2:3], v[2:3]
	s_or_b64 exec, exec, s[4:5]
                                        ; implicit-def: $vgpr6_vgpr7
	s_and_saveexec_b64 s[4:5], s[8:9]
	s_cbranch_execz .LBB77_51
.LBB77_244:
	v_mov_b32_e32 v7, s79
	v_add_co_u32_e32 v6, vcc, s78, v50
	v_addc_co_u32_e32 v7, vcc, 0, v7, vcc
	flat_load_dwordx2 v[6:7], v[6:7] offset:512
	s_or_b64 exec, exec, s[4:5]
                                        ; implicit-def: $vgpr10_vgpr11
	s_and_saveexec_b64 s[4:5], s[10:11]
	s_cbranch_execz .LBB77_52
.LBB77_245:
	v_mov_b32_e32 v11, s79
	v_add_co_u32_e32 v10, vcc, s78, v50
	v_addc_co_u32_e32 v11, vcc, 0, v11, vcc
	flat_load_dwordx2 v[10:11], v[10:11] offset:1024
	s_or_b64 exec, exec, s[4:5]
                                        ; implicit-def: $vgpr12_vgpr13
	s_and_saveexec_b64 s[4:5], s[12:13]
	s_cbranch_execz .LBB77_53
.LBB77_246:
	v_mov_b32_e32 v13, s79
	v_add_co_u32_e32 v12, vcc, s78, v50
	v_addc_co_u32_e32 v13, vcc, 0, v13, vcc
	flat_load_dwordx2 v[12:13], v[12:13] offset:1536
	s_or_b64 exec, exec, s[4:5]
                                        ; implicit-def: $vgpr14_vgpr15
	s_and_saveexec_b64 s[4:5], s[14:15]
	s_cbranch_execz .LBB77_54
.LBB77_247:
	v_mov_b32_e32 v15, s79
	v_add_co_u32_e32 v14, vcc, s78, v50
	v_addc_co_u32_e32 v15, vcc, 0, v15, vcc
	flat_load_dwordx2 v[14:15], v[14:15] offset:2048
	s_or_b64 exec, exec, s[4:5]
                                        ; implicit-def: $vgpr16_vgpr17
	s_and_saveexec_b64 s[4:5], s[16:17]
	s_cbranch_execz .LBB77_55
.LBB77_248:
	v_mov_b32_e32 v17, s79
	v_add_co_u32_e32 v16, vcc, s78, v50
	v_addc_co_u32_e32 v17, vcc, 0, v17, vcc
	flat_load_dwordx2 v[16:17], v[16:17] offset:2560
	s_or_b64 exec, exec, s[4:5]
                                        ; implicit-def: $vgpr18_vgpr19
	s_and_saveexec_b64 s[4:5], s[18:19]
	s_cbranch_execz .LBB77_56
.LBB77_249:
	v_mov_b32_e32 v19, s79
	v_add_co_u32_e32 v18, vcc, s78, v50
	v_addc_co_u32_e32 v19, vcc, 0, v19, vcc
	flat_load_dwordx2 v[18:19], v[18:19] offset:3072
	s_or_b64 exec, exec, s[4:5]
                                        ; implicit-def: $vgpr20_vgpr21
	s_and_saveexec_b64 s[4:5], s[20:21]
	s_cbranch_execz .LBB77_57
.LBB77_250:
	v_mov_b32_e32 v21, s79
	v_add_co_u32_e32 v20, vcc, s78, v50
	v_addc_co_u32_e32 v21, vcc, 0, v21, vcc
	flat_load_dwordx2 v[20:21], v[20:21] offset:3584
	s_or_b64 exec, exec, s[4:5]
                                        ; implicit-def: $vgpr22_vgpr23
	s_and_saveexec_b64 s[4:5], s[22:23]
	s_cbranch_execz .LBB77_58
.LBB77_251:
	v_mov_b32_e32 v23, s79
	v_add_co_u32_e32 v22, vcc, s78, v1
	v_addc_co_u32_e32 v23, vcc, 0, v23, vcc
	flat_load_dwordx2 v[22:23], v[22:23]
	s_or_b64 exec, exec, s[4:5]
                                        ; implicit-def: $vgpr24_vgpr25
	s_and_saveexec_b64 s[4:5], s[24:25]
	s_cbranch_execz .LBB77_59
.LBB77_252:
	v_mov_b32_e32 v1, s79
	v_add_co_u32_e32 v24, vcc, s78, v40
	v_addc_co_u32_e32 v25, vcc, 0, v1, vcc
	flat_load_dwordx2 v[24:25], v[24:25]
	s_or_b64 exec, exec, s[4:5]
                                        ; implicit-def: $vgpr26_vgpr27
	s_and_saveexec_b64 s[4:5], s[26:27]
	s_cbranch_execz .LBB77_60
.LBB77_253:
	v_mov_b32_e32 v1, s79
	v_add_co_u32_e32 v26, vcc, s78, v41
	v_addc_co_u32_e32 v27, vcc, 0, v1, vcc
	flat_load_dwordx2 v[26:27], v[26:27]
	s_or_b64 exec, exec, s[4:5]
                                        ; implicit-def: $vgpr28_vgpr29
	s_and_saveexec_b64 s[4:5], s[28:29]
	s_cbranch_execz .LBB77_61
.LBB77_254:
	v_mov_b32_e32 v1, s79
	v_add_co_u32_e32 v28, vcc, s78, v42
	v_addc_co_u32_e32 v29, vcc, 0, v1, vcc
	flat_load_dwordx2 v[28:29], v[28:29]
	s_or_b64 exec, exec, s[4:5]
                                        ; implicit-def: $vgpr30_vgpr31
	s_and_saveexec_b64 s[4:5], s[30:31]
	s_cbranch_execz .LBB77_62
.LBB77_255:
	v_mov_b32_e32 v1, s79
	v_add_co_u32_e32 v30, vcc, s78, v43
	v_addc_co_u32_e32 v31, vcc, 0, v1, vcc
	flat_load_dwordx2 v[30:31], v[30:31]
	s_or_b64 exec, exec, s[4:5]
                                        ; implicit-def: $vgpr32_vgpr33
	s_and_saveexec_b64 s[4:5], s[34:35]
	s_cbranch_execz .LBB77_63
.LBB77_256:
	v_mov_b32_e32 v1, s79
	v_add_co_u32_e32 v32, vcc, s78, v44
	v_addc_co_u32_e32 v33, vcc, 0, v1, vcc
	flat_load_dwordx2 v[32:33], v[32:33]
	s_or_b64 exec, exec, s[4:5]
                                        ; implicit-def: $vgpr34_vgpr35
	s_and_saveexec_b64 s[4:5], s[36:37]
	s_cbranch_execz .LBB77_64
.LBB77_257:
	v_mov_b32_e32 v1, s79
	v_add_co_u32_e32 v34, vcc, s78, v45
	v_addc_co_u32_e32 v35, vcc, 0, v1, vcc
	flat_load_dwordx2 v[34:35], v[34:35]
	s_or_b64 exec, exec, s[4:5]
                                        ; implicit-def: $vgpr36_vgpr37
	s_and_saveexec_b64 s[4:5], s[38:39]
	s_cbranch_execz .LBB77_65
.LBB77_258:
	v_mov_b32_e32 v1, s79
	v_add_co_u32_e32 v36, vcc, s78, v46
	v_addc_co_u32_e32 v37, vcc, 0, v1, vcc
	flat_load_dwordx2 v[36:37], v[36:37]
	s_or_b64 exec, exec, s[4:5]
                                        ; implicit-def: $vgpr38_vgpr39
	s_and_saveexec_b64 s[4:5], s[40:41]
	s_cbranch_execz .LBB77_66
.LBB77_259:
	v_mov_b32_e32 v1, s79
	v_add_co_u32_e32 v38, vcc, s78, v47
	v_addc_co_u32_e32 v39, vcc, 0, v1, vcc
	flat_load_dwordx2 v[38:39], v[38:39]
	s_or_b64 exec, exec, s[4:5]
                                        ; implicit-def: $vgpr40_vgpr41
	s_and_saveexec_b64 s[4:5], s[42:43]
	s_cbranch_execz .LBB77_67
.LBB77_260:
	v_mov_b32_e32 v1, s79
	v_add_co_u32_e32 v40, vcc, s78, v49
	v_addc_co_u32_e32 v41, vcc, 0, v1, vcc
	flat_load_dwordx2 v[40:41], v[40:41]
	s_or_b64 exec, exec, s[4:5]
                                        ; implicit-def: $vgpr42_vgpr43
	s_and_saveexec_b64 s[4:5], s[44:45]
	s_cbranch_execnz .LBB77_68
	s_branch .LBB77_69
.LBB77_261:
                                        ; implicit-def: $sgpr4_sgpr5
	s_branch .LBB77_46
.LBB77_262:
                                        ; implicit-def: $sgpr4_sgpr5
	s_branch .LBB77_110
	.section	.rodata,"a",@progbits
	.p2align	6, 0x0
	.amdhsa_kernel _ZN7rocprim17ROCPRIM_400000_NS6detail17trampoline_kernelINS0_14default_configENS1_27scan_by_key_config_selectorIxxEEZZNS1_16scan_by_key_implILNS1_25lookback_scan_determinismE0ELb0ES3_N6thrust23THRUST_200600_302600_NS6detail15normal_iteratorINS9_10device_ptrIxEEEESE_SE_xNS9_10multipliesIxEENS9_8equal_toIxEExEE10hipError_tPvRmT2_T3_T4_T5_mT6_T7_P12ihipStream_tbENKUlT_T0_E_clISt17integral_constantIbLb0EESY_IbLb1EEEEDaSU_SV_EUlSU_E_NS1_11comp_targetILNS1_3genE4ELNS1_11target_archE910ELNS1_3gpuE8ELNS1_3repE0EEENS1_30default_config_static_selectorELNS0_4arch9wavefront6targetE1EEEvT1_
		.amdhsa_group_segment_fixed_size 10752
		.amdhsa_private_segment_fixed_size 0
		.amdhsa_kernarg_size 136
		.amdhsa_user_sgpr_count 6
		.amdhsa_user_sgpr_private_segment_buffer 1
		.amdhsa_user_sgpr_dispatch_ptr 0
		.amdhsa_user_sgpr_queue_ptr 0
		.amdhsa_user_sgpr_kernarg_segment_ptr 1
		.amdhsa_user_sgpr_dispatch_id 0
		.amdhsa_user_sgpr_flat_scratch_init 0
		.amdhsa_user_sgpr_kernarg_preload_length 0
		.amdhsa_user_sgpr_kernarg_preload_offset 0
		.amdhsa_user_sgpr_private_segment_size 0
		.amdhsa_uses_dynamic_stack 0
		.amdhsa_system_sgpr_private_segment_wavefront_offset 0
		.amdhsa_system_sgpr_workgroup_id_x 1
		.amdhsa_system_sgpr_workgroup_id_y 0
		.amdhsa_system_sgpr_workgroup_id_z 0
		.amdhsa_system_sgpr_workgroup_info 0
		.amdhsa_system_vgpr_workitem_id 0
		.amdhsa_next_free_vgpr 128
		.amdhsa_next_free_sgpr 82
		.amdhsa_accum_offset 128
		.amdhsa_reserve_vcc 1
		.amdhsa_reserve_flat_scratch 0
		.amdhsa_float_round_mode_32 0
		.amdhsa_float_round_mode_16_64 0
		.amdhsa_float_denorm_mode_32 3
		.amdhsa_float_denorm_mode_16_64 3
		.amdhsa_dx10_clamp 1
		.amdhsa_ieee_mode 1
		.amdhsa_fp16_overflow 0
		.amdhsa_tg_split 0
		.amdhsa_exception_fp_ieee_invalid_op 0
		.amdhsa_exception_fp_denorm_src 0
		.amdhsa_exception_fp_ieee_div_zero 0
		.amdhsa_exception_fp_ieee_overflow 0
		.amdhsa_exception_fp_ieee_underflow 0
		.amdhsa_exception_fp_ieee_inexact 0
		.amdhsa_exception_int_div_zero 0
	.end_amdhsa_kernel
	.section	.text._ZN7rocprim17ROCPRIM_400000_NS6detail17trampoline_kernelINS0_14default_configENS1_27scan_by_key_config_selectorIxxEEZZNS1_16scan_by_key_implILNS1_25lookback_scan_determinismE0ELb0ES3_N6thrust23THRUST_200600_302600_NS6detail15normal_iteratorINS9_10device_ptrIxEEEESE_SE_xNS9_10multipliesIxEENS9_8equal_toIxEExEE10hipError_tPvRmT2_T3_T4_T5_mT6_T7_P12ihipStream_tbENKUlT_T0_E_clISt17integral_constantIbLb0EESY_IbLb1EEEEDaSU_SV_EUlSU_E_NS1_11comp_targetILNS1_3genE4ELNS1_11target_archE910ELNS1_3gpuE8ELNS1_3repE0EEENS1_30default_config_static_selectorELNS0_4arch9wavefront6targetE1EEEvT1_,"axG",@progbits,_ZN7rocprim17ROCPRIM_400000_NS6detail17trampoline_kernelINS0_14default_configENS1_27scan_by_key_config_selectorIxxEEZZNS1_16scan_by_key_implILNS1_25lookback_scan_determinismE0ELb0ES3_N6thrust23THRUST_200600_302600_NS6detail15normal_iteratorINS9_10device_ptrIxEEEESE_SE_xNS9_10multipliesIxEENS9_8equal_toIxEExEE10hipError_tPvRmT2_T3_T4_T5_mT6_T7_P12ihipStream_tbENKUlT_T0_E_clISt17integral_constantIbLb0EESY_IbLb1EEEEDaSU_SV_EUlSU_E_NS1_11comp_targetILNS1_3genE4ELNS1_11target_archE910ELNS1_3gpuE8ELNS1_3repE0EEENS1_30default_config_static_selectorELNS0_4arch9wavefront6targetE1EEEvT1_,comdat
.Lfunc_end77:
	.size	_ZN7rocprim17ROCPRIM_400000_NS6detail17trampoline_kernelINS0_14default_configENS1_27scan_by_key_config_selectorIxxEEZZNS1_16scan_by_key_implILNS1_25lookback_scan_determinismE0ELb0ES3_N6thrust23THRUST_200600_302600_NS6detail15normal_iteratorINS9_10device_ptrIxEEEESE_SE_xNS9_10multipliesIxEENS9_8equal_toIxEExEE10hipError_tPvRmT2_T3_T4_T5_mT6_T7_P12ihipStream_tbENKUlT_T0_E_clISt17integral_constantIbLb0EESY_IbLb1EEEEDaSU_SV_EUlSU_E_NS1_11comp_targetILNS1_3genE4ELNS1_11target_archE910ELNS1_3gpuE8ELNS1_3repE0EEENS1_30default_config_static_selectorELNS0_4arch9wavefront6targetE1EEEvT1_, .Lfunc_end77-_ZN7rocprim17ROCPRIM_400000_NS6detail17trampoline_kernelINS0_14default_configENS1_27scan_by_key_config_selectorIxxEEZZNS1_16scan_by_key_implILNS1_25lookback_scan_determinismE0ELb0ES3_N6thrust23THRUST_200600_302600_NS6detail15normal_iteratorINS9_10device_ptrIxEEEESE_SE_xNS9_10multipliesIxEENS9_8equal_toIxEExEE10hipError_tPvRmT2_T3_T4_T5_mT6_T7_P12ihipStream_tbENKUlT_T0_E_clISt17integral_constantIbLb0EESY_IbLb1EEEEDaSU_SV_EUlSU_E_NS1_11comp_targetILNS1_3genE4ELNS1_11target_archE910ELNS1_3gpuE8ELNS1_3repE0EEENS1_30default_config_static_selectorELNS0_4arch9wavefront6targetE1EEEvT1_
                                        ; -- End function
	.section	.AMDGPU.csdata,"",@progbits
; Kernel info:
; codeLenInByte = 17296
; NumSgprs: 86
; NumVgprs: 128
; NumAgprs: 0
; TotalNumVgprs: 128
; ScratchSize: 0
; MemoryBound: 0
; FloatMode: 240
; IeeeMode: 1
; LDSByteSize: 10752 bytes/workgroup (compile time only)
; SGPRBlocks: 10
; VGPRBlocks: 15
; NumSGPRsForWavesPerEU: 86
; NumVGPRsForWavesPerEU: 128
; AccumOffset: 128
; Occupancy: 2
; WaveLimiterHint : 1
; COMPUTE_PGM_RSRC2:SCRATCH_EN: 0
; COMPUTE_PGM_RSRC2:USER_SGPR: 6
; COMPUTE_PGM_RSRC2:TRAP_HANDLER: 0
; COMPUTE_PGM_RSRC2:TGID_X_EN: 1
; COMPUTE_PGM_RSRC2:TGID_Y_EN: 0
; COMPUTE_PGM_RSRC2:TGID_Z_EN: 0
; COMPUTE_PGM_RSRC2:TIDIG_COMP_CNT: 0
; COMPUTE_PGM_RSRC3_GFX90A:ACCUM_OFFSET: 31
; COMPUTE_PGM_RSRC3_GFX90A:TG_SPLIT: 0
	.section	.text._ZN7rocprim17ROCPRIM_400000_NS6detail17trampoline_kernelINS0_14default_configENS1_27scan_by_key_config_selectorIxxEEZZNS1_16scan_by_key_implILNS1_25lookback_scan_determinismE0ELb0ES3_N6thrust23THRUST_200600_302600_NS6detail15normal_iteratorINS9_10device_ptrIxEEEESE_SE_xNS9_10multipliesIxEENS9_8equal_toIxEExEE10hipError_tPvRmT2_T3_T4_T5_mT6_T7_P12ihipStream_tbENKUlT_T0_E_clISt17integral_constantIbLb0EESY_IbLb1EEEEDaSU_SV_EUlSU_E_NS1_11comp_targetILNS1_3genE3ELNS1_11target_archE908ELNS1_3gpuE7ELNS1_3repE0EEENS1_30default_config_static_selectorELNS0_4arch9wavefront6targetE1EEEvT1_,"axG",@progbits,_ZN7rocprim17ROCPRIM_400000_NS6detail17trampoline_kernelINS0_14default_configENS1_27scan_by_key_config_selectorIxxEEZZNS1_16scan_by_key_implILNS1_25lookback_scan_determinismE0ELb0ES3_N6thrust23THRUST_200600_302600_NS6detail15normal_iteratorINS9_10device_ptrIxEEEESE_SE_xNS9_10multipliesIxEENS9_8equal_toIxEExEE10hipError_tPvRmT2_T3_T4_T5_mT6_T7_P12ihipStream_tbENKUlT_T0_E_clISt17integral_constantIbLb0EESY_IbLb1EEEEDaSU_SV_EUlSU_E_NS1_11comp_targetILNS1_3genE3ELNS1_11target_archE908ELNS1_3gpuE7ELNS1_3repE0EEENS1_30default_config_static_selectorELNS0_4arch9wavefront6targetE1EEEvT1_,comdat
	.protected	_ZN7rocprim17ROCPRIM_400000_NS6detail17trampoline_kernelINS0_14default_configENS1_27scan_by_key_config_selectorIxxEEZZNS1_16scan_by_key_implILNS1_25lookback_scan_determinismE0ELb0ES3_N6thrust23THRUST_200600_302600_NS6detail15normal_iteratorINS9_10device_ptrIxEEEESE_SE_xNS9_10multipliesIxEENS9_8equal_toIxEExEE10hipError_tPvRmT2_T3_T4_T5_mT6_T7_P12ihipStream_tbENKUlT_T0_E_clISt17integral_constantIbLb0EESY_IbLb1EEEEDaSU_SV_EUlSU_E_NS1_11comp_targetILNS1_3genE3ELNS1_11target_archE908ELNS1_3gpuE7ELNS1_3repE0EEENS1_30default_config_static_selectorELNS0_4arch9wavefront6targetE1EEEvT1_ ; -- Begin function _ZN7rocprim17ROCPRIM_400000_NS6detail17trampoline_kernelINS0_14default_configENS1_27scan_by_key_config_selectorIxxEEZZNS1_16scan_by_key_implILNS1_25lookback_scan_determinismE0ELb0ES3_N6thrust23THRUST_200600_302600_NS6detail15normal_iteratorINS9_10device_ptrIxEEEESE_SE_xNS9_10multipliesIxEENS9_8equal_toIxEExEE10hipError_tPvRmT2_T3_T4_T5_mT6_T7_P12ihipStream_tbENKUlT_T0_E_clISt17integral_constantIbLb0EESY_IbLb1EEEEDaSU_SV_EUlSU_E_NS1_11comp_targetILNS1_3genE3ELNS1_11target_archE908ELNS1_3gpuE7ELNS1_3repE0EEENS1_30default_config_static_selectorELNS0_4arch9wavefront6targetE1EEEvT1_
	.globl	_ZN7rocprim17ROCPRIM_400000_NS6detail17trampoline_kernelINS0_14default_configENS1_27scan_by_key_config_selectorIxxEEZZNS1_16scan_by_key_implILNS1_25lookback_scan_determinismE0ELb0ES3_N6thrust23THRUST_200600_302600_NS6detail15normal_iteratorINS9_10device_ptrIxEEEESE_SE_xNS9_10multipliesIxEENS9_8equal_toIxEExEE10hipError_tPvRmT2_T3_T4_T5_mT6_T7_P12ihipStream_tbENKUlT_T0_E_clISt17integral_constantIbLb0EESY_IbLb1EEEEDaSU_SV_EUlSU_E_NS1_11comp_targetILNS1_3genE3ELNS1_11target_archE908ELNS1_3gpuE7ELNS1_3repE0EEENS1_30default_config_static_selectorELNS0_4arch9wavefront6targetE1EEEvT1_
	.p2align	8
	.type	_ZN7rocprim17ROCPRIM_400000_NS6detail17trampoline_kernelINS0_14default_configENS1_27scan_by_key_config_selectorIxxEEZZNS1_16scan_by_key_implILNS1_25lookback_scan_determinismE0ELb0ES3_N6thrust23THRUST_200600_302600_NS6detail15normal_iteratorINS9_10device_ptrIxEEEESE_SE_xNS9_10multipliesIxEENS9_8equal_toIxEExEE10hipError_tPvRmT2_T3_T4_T5_mT6_T7_P12ihipStream_tbENKUlT_T0_E_clISt17integral_constantIbLb0EESY_IbLb1EEEEDaSU_SV_EUlSU_E_NS1_11comp_targetILNS1_3genE3ELNS1_11target_archE908ELNS1_3gpuE7ELNS1_3repE0EEENS1_30default_config_static_selectorELNS0_4arch9wavefront6targetE1EEEvT1_,@function
_ZN7rocprim17ROCPRIM_400000_NS6detail17trampoline_kernelINS0_14default_configENS1_27scan_by_key_config_selectorIxxEEZZNS1_16scan_by_key_implILNS1_25lookback_scan_determinismE0ELb0ES3_N6thrust23THRUST_200600_302600_NS6detail15normal_iteratorINS9_10device_ptrIxEEEESE_SE_xNS9_10multipliesIxEENS9_8equal_toIxEExEE10hipError_tPvRmT2_T3_T4_T5_mT6_T7_P12ihipStream_tbENKUlT_T0_E_clISt17integral_constantIbLb0EESY_IbLb1EEEEDaSU_SV_EUlSU_E_NS1_11comp_targetILNS1_3genE3ELNS1_11target_archE908ELNS1_3gpuE7ELNS1_3repE0EEENS1_30default_config_static_selectorELNS0_4arch9wavefront6targetE1EEEvT1_: ; @_ZN7rocprim17ROCPRIM_400000_NS6detail17trampoline_kernelINS0_14default_configENS1_27scan_by_key_config_selectorIxxEEZZNS1_16scan_by_key_implILNS1_25lookback_scan_determinismE0ELb0ES3_N6thrust23THRUST_200600_302600_NS6detail15normal_iteratorINS9_10device_ptrIxEEEESE_SE_xNS9_10multipliesIxEENS9_8equal_toIxEExEE10hipError_tPvRmT2_T3_T4_T5_mT6_T7_P12ihipStream_tbENKUlT_T0_E_clISt17integral_constantIbLb0EESY_IbLb1EEEEDaSU_SV_EUlSU_E_NS1_11comp_targetILNS1_3genE3ELNS1_11target_archE908ELNS1_3gpuE7ELNS1_3repE0EEENS1_30default_config_static_selectorELNS0_4arch9wavefront6targetE1EEEvT1_
; %bb.0:
	.section	.rodata,"a",@progbits
	.p2align	6, 0x0
	.amdhsa_kernel _ZN7rocprim17ROCPRIM_400000_NS6detail17trampoline_kernelINS0_14default_configENS1_27scan_by_key_config_selectorIxxEEZZNS1_16scan_by_key_implILNS1_25lookback_scan_determinismE0ELb0ES3_N6thrust23THRUST_200600_302600_NS6detail15normal_iteratorINS9_10device_ptrIxEEEESE_SE_xNS9_10multipliesIxEENS9_8equal_toIxEExEE10hipError_tPvRmT2_T3_T4_T5_mT6_T7_P12ihipStream_tbENKUlT_T0_E_clISt17integral_constantIbLb0EESY_IbLb1EEEEDaSU_SV_EUlSU_E_NS1_11comp_targetILNS1_3genE3ELNS1_11target_archE908ELNS1_3gpuE7ELNS1_3repE0EEENS1_30default_config_static_selectorELNS0_4arch9wavefront6targetE1EEEvT1_
		.amdhsa_group_segment_fixed_size 0
		.amdhsa_private_segment_fixed_size 0
		.amdhsa_kernarg_size 136
		.amdhsa_user_sgpr_count 6
		.amdhsa_user_sgpr_private_segment_buffer 1
		.amdhsa_user_sgpr_dispatch_ptr 0
		.amdhsa_user_sgpr_queue_ptr 0
		.amdhsa_user_sgpr_kernarg_segment_ptr 1
		.amdhsa_user_sgpr_dispatch_id 0
		.amdhsa_user_sgpr_flat_scratch_init 0
		.amdhsa_user_sgpr_kernarg_preload_length 0
		.amdhsa_user_sgpr_kernarg_preload_offset 0
		.amdhsa_user_sgpr_private_segment_size 0
		.amdhsa_uses_dynamic_stack 0
		.amdhsa_system_sgpr_private_segment_wavefront_offset 0
		.amdhsa_system_sgpr_workgroup_id_x 1
		.amdhsa_system_sgpr_workgroup_id_y 0
		.amdhsa_system_sgpr_workgroup_id_z 0
		.amdhsa_system_sgpr_workgroup_info 0
		.amdhsa_system_vgpr_workitem_id 0
		.amdhsa_next_free_vgpr 1
		.amdhsa_next_free_sgpr 0
		.amdhsa_accum_offset 4
		.amdhsa_reserve_vcc 0
		.amdhsa_reserve_flat_scratch 0
		.amdhsa_float_round_mode_32 0
		.amdhsa_float_round_mode_16_64 0
		.amdhsa_float_denorm_mode_32 3
		.amdhsa_float_denorm_mode_16_64 3
		.amdhsa_dx10_clamp 1
		.amdhsa_ieee_mode 1
		.amdhsa_fp16_overflow 0
		.amdhsa_tg_split 0
		.amdhsa_exception_fp_ieee_invalid_op 0
		.amdhsa_exception_fp_denorm_src 0
		.amdhsa_exception_fp_ieee_div_zero 0
		.amdhsa_exception_fp_ieee_overflow 0
		.amdhsa_exception_fp_ieee_underflow 0
		.amdhsa_exception_fp_ieee_inexact 0
		.amdhsa_exception_int_div_zero 0
	.end_amdhsa_kernel
	.section	.text._ZN7rocprim17ROCPRIM_400000_NS6detail17trampoline_kernelINS0_14default_configENS1_27scan_by_key_config_selectorIxxEEZZNS1_16scan_by_key_implILNS1_25lookback_scan_determinismE0ELb0ES3_N6thrust23THRUST_200600_302600_NS6detail15normal_iteratorINS9_10device_ptrIxEEEESE_SE_xNS9_10multipliesIxEENS9_8equal_toIxEExEE10hipError_tPvRmT2_T3_T4_T5_mT6_T7_P12ihipStream_tbENKUlT_T0_E_clISt17integral_constantIbLb0EESY_IbLb1EEEEDaSU_SV_EUlSU_E_NS1_11comp_targetILNS1_3genE3ELNS1_11target_archE908ELNS1_3gpuE7ELNS1_3repE0EEENS1_30default_config_static_selectorELNS0_4arch9wavefront6targetE1EEEvT1_,"axG",@progbits,_ZN7rocprim17ROCPRIM_400000_NS6detail17trampoline_kernelINS0_14default_configENS1_27scan_by_key_config_selectorIxxEEZZNS1_16scan_by_key_implILNS1_25lookback_scan_determinismE0ELb0ES3_N6thrust23THRUST_200600_302600_NS6detail15normal_iteratorINS9_10device_ptrIxEEEESE_SE_xNS9_10multipliesIxEENS9_8equal_toIxEExEE10hipError_tPvRmT2_T3_T4_T5_mT6_T7_P12ihipStream_tbENKUlT_T0_E_clISt17integral_constantIbLb0EESY_IbLb1EEEEDaSU_SV_EUlSU_E_NS1_11comp_targetILNS1_3genE3ELNS1_11target_archE908ELNS1_3gpuE7ELNS1_3repE0EEENS1_30default_config_static_selectorELNS0_4arch9wavefront6targetE1EEEvT1_,comdat
.Lfunc_end78:
	.size	_ZN7rocprim17ROCPRIM_400000_NS6detail17trampoline_kernelINS0_14default_configENS1_27scan_by_key_config_selectorIxxEEZZNS1_16scan_by_key_implILNS1_25lookback_scan_determinismE0ELb0ES3_N6thrust23THRUST_200600_302600_NS6detail15normal_iteratorINS9_10device_ptrIxEEEESE_SE_xNS9_10multipliesIxEENS9_8equal_toIxEExEE10hipError_tPvRmT2_T3_T4_T5_mT6_T7_P12ihipStream_tbENKUlT_T0_E_clISt17integral_constantIbLb0EESY_IbLb1EEEEDaSU_SV_EUlSU_E_NS1_11comp_targetILNS1_3genE3ELNS1_11target_archE908ELNS1_3gpuE7ELNS1_3repE0EEENS1_30default_config_static_selectorELNS0_4arch9wavefront6targetE1EEEvT1_, .Lfunc_end78-_ZN7rocprim17ROCPRIM_400000_NS6detail17trampoline_kernelINS0_14default_configENS1_27scan_by_key_config_selectorIxxEEZZNS1_16scan_by_key_implILNS1_25lookback_scan_determinismE0ELb0ES3_N6thrust23THRUST_200600_302600_NS6detail15normal_iteratorINS9_10device_ptrIxEEEESE_SE_xNS9_10multipliesIxEENS9_8equal_toIxEExEE10hipError_tPvRmT2_T3_T4_T5_mT6_T7_P12ihipStream_tbENKUlT_T0_E_clISt17integral_constantIbLb0EESY_IbLb1EEEEDaSU_SV_EUlSU_E_NS1_11comp_targetILNS1_3genE3ELNS1_11target_archE908ELNS1_3gpuE7ELNS1_3repE0EEENS1_30default_config_static_selectorELNS0_4arch9wavefront6targetE1EEEvT1_
                                        ; -- End function
	.section	.AMDGPU.csdata,"",@progbits
; Kernel info:
; codeLenInByte = 0
; NumSgprs: 4
; NumVgprs: 0
; NumAgprs: 0
; TotalNumVgprs: 0
; ScratchSize: 0
; MemoryBound: 0
; FloatMode: 240
; IeeeMode: 1
; LDSByteSize: 0 bytes/workgroup (compile time only)
; SGPRBlocks: 0
; VGPRBlocks: 0
; NumSGPRsForWavesPerEU: 4
; NumVGPRsForWavesPerEU: 1
; AccumOffset: 4
; Occupancy: 8
; WaveLimiterHint : 0
; COMPUTE_PGM_RSRC2:SCRATCH_EN: 0
; COMPUTE_PGM_RSRC2:USER_SGPR: 6
; COMPUTE_PGM_RSRC2:TRAP_HANDLER: 0
; COMPUTE_PGM_RSRC2:TGID_X_EN: 1
; COMPUTE_PGM_RSRC2:TGID_Y_EN: 0
; COMPUTE_PGM_RSRC2:TGID_Z_EN: 0
; COMPUTE_PGM_RSRC2:TIDIG_COMP_CNT: 0
; COMPUTE_PGM_RSRC3_GFX90A:ACCUM_OFFSET: 0
; COMPUTE_PGM_RSRC3_GFX90A:TG_SPLIT: 0
	.section	.text._ZN7rocprim17ROCPRIM_400000_NS6detail17trampoline_kernelINS0_14default_configENS1_27scan_by_key_config_selectorIxxEEZZNS1_16scan_by_key_implILNS1_25lookback_scan_determinismE0ELb0ES3_N6thrust23THRUST_200600_302600_NS6detail15normal_iteratorINS9_10device_ptrIxEEEESE_SE_xNS9_10multipliesIxEENS9_8equal_toIxEExEE10hipError_tPvRmT2_T3_T4_T5_mT6_T7_P12ihipStream_tbENKUlT_T0_E_clISt17integral_constantIbLb0EESY_IbLb1EEEEDaSU_SV_EUlSU_E_NS1_11comp_targetILNS1_3genE2ELNS1_11target_archE906ELNS1_3gpuE6ELNS1_3repE0EEENS1_30default_config_static_selectorELNS0_4arch9wavefront6targetE1EEEvT1_,"axG",@progbits,_ZN7rocprim17ROCPRIM_400000_NS6detail17trampoline_kernelINS0_14default_configENS1_27scan_by_key_config_selectorIxxEEZZNS1_16scan_by_key_implILNS1_25lookback_scan_determinismE0ELb0ES3_N6thrust23THRUST_200600_302600_NS6detail15normal_iteratorINS9_10device_ptrIxEEEESE_SE_xNS9_10multipliesIxEENS9_8equal_toIxEExEE10hipError_tPvRmT2_T3_T4_T5_mT6_T7_P12ihipStream_tbENKUlT_T0_E_clISt17integral_constantIbLb0EESY_IbLb1EEEEDaSU_SV_EUlSU_E_NS1_11comp_targetILNS1_3genE2ELNS1_11target_archE906ELNS1_3gpuE6ELNS1_3repE0EEENS1_30default_config_static_selectorELNS0_4arch9wavefront6targetE1EEEvT1_,comdat
	.protected	_ZN7rocprim17ROCPRIM_400000_NS6detail17trampoline_kernelINS0_14default_configENS1_27scan_by_key_config_selectorIxxEEZZNS1_16scan_by_key_implILNS1_25lookback_scan_determinismE0ELb0ES3_N6thrust23THRUST_200600_302600_NS6detail15normal_iteratorINS9_10device_ptrIxEEEESE_SE_xNS9_10multipliesIxEENS9_8equal_toIxEExEE10hipError_tPvRmT2_T3_T4_T5_mT6_T7_P12ihipStream_tbENKUlT_T0_E_clISt17integral_constantIbLb0EESY_IbLb1EEEEDaSU_SV_EUlSU_E_NS1_11comp_targetILNS1_3genE2ELNS1_11target_archE906ELNS1_3gpuE6ELNS1_3repE0EEENS1_30default_config_static_selectorELNS0_4arch9wavefront6targetE1EEEvT1_ ; -- Begin function _ZN7rocprim17ROCPRIM_400000_NS6detail17trampoline_kernelINS0_14default_configENS1_27scan_by_key_config_selectorIxxEEZZNS1_16scan_by_key_implILNS1_25lookback_scan_determinismE0ELb0ES3_N6thrust23THRUST_200600_302600_NS6detail15normal_iteratorINS9_10device_ptrIxEEEESE_SE_xNS9_10multipliesIxEENS9_8equal_toIxEExEE10hipError_tPvRmT2_T3_T4_T5_mT6_T7_P12ihipStream_tbENKUlT_T0_E_clISt17integral_constantIbLb0EESY_IbLb1EEEEDaSU_SV_EUlSU_E_NS1_11comp_targetILNS1_3genE2ELNS1_11target_archE906ELNS1_3gpuE6ELNS1_3repE0EEENS1_30default_config_static_selectorELNS0_4arch9wavefront6targetE1EEEvT1_
	.globl	_ZN7rocprim17ROCPRIM_400000_NS6detail17trampoline_kernelINS0_14default_configENS1_27scan_by_key_config_selectorIxxEEZZNS1_16scan_by_key_implILNS1_25lookback_scan_determinismE0ELb0ES3_N6thrust23THRUST_200600_302600_NS6detail15normal_iteratorINS9_10device_ptrIxEEEESE_SE_xNS9_10multipliesIxEENS9_8equal_toIxEExEE10hipError_tPvRmT2_T3_T4_T5_mT6_T7_P12ihipStream_tbENKUlT_T0_E_clISt17integral_constantIbLb0EESY_IbLb1EEEEDaSU_SV_EUlSU_E_NS1_11comp_targetILNS1_3genE2ELNS1_11target_archE906ELNS1_3gpuE6ELNS1_3repE0EEENS1_30default_config_static_selectorELNS0_4arch9wavefront6targetE1EEEvT1_
	.p2align	8
	.type	_ZN7rocprim17ROCPRIM_400000_NS6detail17trampoline_kernelINS0_14default_configENS1_27scan_by_key_config_selectorIxxEEZZNS1_16scan_by_key_implILNS1_25lookback_scan_determinismE0ELb0ES3_N6thrust23THRUST_200600_302600_NS6detail15normal_iteratorINS9_10device_ptrIxEEEESE_SE_xNS9_10multipliesIxEENS9_8equal_toIxEExEE10hipError_tPvRmT2_T3_T4_T5_mT6_T7_P12ihipStream_tbENKUlT_T0_E_clISt17integral_constantIbLb0EESY_IbLb1EEEEDaSU_SV_EUlSU_E_NS1_11comp_targetILNS1_3genE2ELNS1_11target_archE906ELNS1_3gpuE6ELNS1_3repE0EEENS1_30default_config_static_selectorELNS0_4arch9wavefront6targetE1EEEvT1_,@function
_ZN7rocprim17ROCPRIM_400000_NS6detail17trampoline_kernelINS0_14default_configENS1_27scan_by_key_config_selectorIxxEEZZNS1_16scan_by_key_implILNS1_25lookback_scan_determinismE0ELb0ES3_N6thrust23THRUST_200600_302600_NS6detail15normal_iteratorINS9_10device_ptrIxEEEESE_SE_xNS9_10multipliesIxEENS9_8equal_toIxEExEE10hipError_tPvRmT2_T3_T4_T5_mT6_T7_P12ihipStream_tbENKUlT_T0_E_clISt17integral_constantIbLb0EESY_IbLb1EEEEDaSU_SV_EUlSU_E_NS1_11comp_targetILNS1_3genE2ELNS1_11target_archE906ELNS1_3gpuE6ELNS1_3repE0EEENS1_30default_config_static_selectorELNS0_4arch9wavefront6targetE1EEEvT1_: ; @_ZN7rocprim17ROCPRIM_400000_NS6detail17trampoline_kernelINS0_14default_configENS1_27scan_by_key_config_selectorIxxEEZZNS1_16scan_by_key_implILNS1_25lookback_scan_determinismE0ELb0ES3_N6thrust23THRUST_200600_302600_NS6detail15normal_iteratorINS9_10device_ptrIxEEEESE_SE_xNS9_10multipliesIxEENS9_8equal_toIxEExEE10hipError_tPvRmT2_T3_T4_T5_mT6_T7_P12ihipStream_tbENKUlT_T0_E_clISt17integral_constantIbLb0EESY_IbLb1EEEEDaSU_SV_EUlSU_E_NS1_11comp_targetILNS1_3genE2ELNS1_11target_archE906ELNS1_3gpuE6ELNS1_3repE0EEENS1_30default_config_static_selectorELNS0_4arch9wavefront6targetE1EEEvT1_
; %bb.0:
	.section	.rodata,"a",@progbits
	.p2align	6, 0x0
	.amdhsa_kernel _ZN7rocprim17ROCPRIM_400000_NS6detail17trampoline_kernelINS0_14default_configENS1_27scan_by_key_config_selectorIxxEEZZNS1_16scan_by_key_implILNS1_25lookback_scan_determinismE0ELb0ES3_N6thrust23THRUST_200600_302600_NS6detail15normal_iteratorINS9_10device_ptrIxEEEESE_SE_xNS9_10multipliesIxEENS9_8equal_toIxEExEE10hipError_tPvRmT2_T3_T4_T5_mT6_T7_P12ihipStream_tbENKUlT_T0_E_clISt17integral_constantIbLb0EESY_IbLb1EEEEDaSU_SV_EUlSU_E_NS1_11comp_targetILNS1_3genE2ELNS1_11target_archE906ELNS1_3gpuE6ELNS1_3repE0EEENS1_30default_config_static_selectorELNS0_4arch9wavefront6targetE1EEEvT1_
		.amdhsa_group_segment_fixed_size 0
		.amdhsa_private_segment_fixed_size 0
		.amdhsa_kernarg_size 136
		.amdhsa_user_sgpr_count 6
		.amdhsa_user_sgpr_private_segment_buffer 1
		.amdhsa_user_sgpr_dispatch_ptr 0
		.amdhsa_user_sgpr_queue_ptr 0
		.amdhsa_user_sgpr_kernarg_segment_ptr 1
		.amdhsa_user_sgpr_dispatch_id 0
		.amdhsa_user_sgpr_flat_scratch_init 0
		.amdhsa_user_sgpr_kernarg_preload_length 0
		.amdhsa_user_sgpr_kernarg_preload_offset 0
		.amdhsa_user_sgpr_private_segment_size 0
		.amdhsa_uses_dynamic_stack 0
		.amdhsa_system_sgpr_private_segment_wavefront_offset 0
		.amdhsa_system_sgpr_workgroup_id_x 1
		.amdhsa_system_sgpr_workgroup_id_y 0
		.amdhsa_system_sgpr_workgroup_id_z 0
		.amdhsa_system_sgpr_workgroup_info 0
		.amdhsa_system_vgpr_workitem_id 0
		.amdhsa_next_free_vgpr 1
		.amdhsa_next_free_sgpr 0
		.amdhsa_accum_offset 4
		.amdhsa_reserve_vcc 0
		.amdhsa_reserve_flat_scratch 0
		.amdhsa_float_round_mode_32 0
		.amdhsa_float_round_mode_16_64 0
		.amdhsa_float_denorm_mode_32 3
		.amdhsa_float_denorm_mode_16_64 3
		.amdhsa_dx10_clamp 1
		.amdhsa_ieee_mode 1
		.amdhsa_fp16_overflow 0
		.amdhsa_tg_split 0
		.amdhsa_exception_fp_ieee_invalid_op 0
		.amdhsa_exception_fp_denorm_src 0
		.amdhsa_exception_fp_ieee_div_zero 0
		.amdhsa_exception_fp_ieee_overflow 0
		.amdhsa_exception_fp_ieee_underflow 0
		.amdhsa_exception_fp_ieee_inexact 0
		.amdhsa_exception_int_div_zero 0
	.end_amdhsa_kernel
	.section	.text._ZN7rocprim17ROCPRIM_400000_NS6detail17trampoline_kernelINS0_14default_configENS1_27scan_by_key_config_selectorIxxEEZZNS1_16scan_by_key_implILNS1_25lookback_scan_determinismE0ELb0ES3_N6thrust23THRUST_200600_302600_NS6detail15normal_iteratorINS9_10device_ptrIxEEEESE_SE_xNS9_10multipliesIxEENS9_8equal_toIxEExEE10hipError_tPvRmT2_T3_T4_T5_mT6_T7_P12ihipStream_tbENKUlT_T0_E_clISt17integral_constantIbLb0EESY_IbLb1EEEEDaSU_SV_EUlSU_E_NS1_11comp_targetILNS1_3genE2ELNS1_11target_archE906ELNS1_3gpuE6ELNS1_3repE0EEENS1_30default_config_static_selectorELNS0_4arch9wavefront6targetE1EEEvT1_,"axG",@progbits,_ZN7rocprim17ROCPRIM_400000_NS6detail17trampoline_kernelINS0_14default_configENS1_27scan_by_key_config_selectorIxxEEZZNS1_16scan_by_key_implILNS1_25lookback_scan_determinismE0ELb0ES3_N6thrust23THRUST_200600_302600_NS6detail15normal_iteratorINS9_10device_ptrIxEEEESE_SE_xNS9_10multipliesIxEENS9_8equal_toIxEExEE10hipError_tPvRmT2_T3_T4_T5_mT6_T7_P12ihipStream_tbENKUlT_T0_E_clISt17integral_constantIbLb0EESY_IbLb1EEEEDaSU_SV_EUlSU_E_NS1_11comp_targetILNS1_3genE2ELNS1_11target_archE906ELNS1_3gpuE6ELNS1_3repE0EEENS1_30default_config_static_selectorELNS0_4arch9wavefront6targetE1EEEvT1_,comdat
.Lfunc_end79:
	.size	_ZN7rocprim17ROCPRIM_400000_NS6detail17trampoline_kernelINS0_14default_configENS1_27scan_by_key_config_selectorIxxEEZZNS1_16scan_by_key_implILNS1_25lookback_scan_determinismE0ELb0ES3_N6thrust23THRUST_200600_302600_NS6detail15normal_iteratorINS9_10device_ptrIxEEEESE_SE_xNS9_10multipliesIxEENS9_8equal_toIxEExEE10hipError_tPvRmT2_T3_T4_T5_mT6_T7_P12ihipStream_tbENKUlT_T0_E_clISt17integral_constantIbLb0EESY_IbLb1EEEEDaSU_SV_EUlSU_E_NS1_11comp_targetILNS1_3genE2ELNS1_11target_archE906ELNS1_3gpuE6ELNS1_3repE0EEENS1_30default_config_static_selectorELNS0_4arch9wavefront6targetE1EEEvT1_, .Lfunc_end79-_ZN7rocprim17ROCPRIM_400000_NS6detail17trampoline_kernelINS0_14default_configENS1_27scan_by_key_config_selectorIxxEEZZNS1_16scan_by_key_implILNS1_25lookback_scan_determinismE0ELb0ES3_N6thrust23THRUST_200600_302600_NS6detail15normal_iteratorINS9_10device_ptrIxEEEESE_SE_xNS9_10multipliesIxEENS9_8equal_toIxEExEE10hipError_tPvRmT2_T3_T4_T5_mT6_T7_P12ihipStream_tbENKUlT_T0_E_clISt17integral_constantIbLb0EESY_IbLb1EEEEDaSU_SV_EUlSU_E_NS1_11comp_targetILNS1_3genE2ELNS1_11target_archE906ELNS1_3gpuE6ELNS1_3repE0EEENS1_30default_config_static_selectorELNS0_4arch9wavefront6targetE1EEEvT1_
                                        ; -- End function
	.section	.AMDGPU.csdata,"",@progbits
; Kernel info:
; codeLenInByte = 0
; NumSgprs: 4
; NumVgprs: 0
; NumAgprs: 0
; TotalNumVgprs: 0
; ScratchSize: 0
; MemoryBound: 0
; FloatMode: 240
; IeeeMode: 1
; LDSByteSize: 0 bytes/workgroup (compile time only)
; SGPRBlocks: 0
; VGPRBlocks: 0
; NumSGPRsForWavesPerEU: 4
; NumVGPRsForWavesPerEU: 1
; AccumOffset: 4
; Occupancy: 8
; WaveLimiterHint : 0
; COMPUTE_PGM_RSRC2:SCRATCH_EN: 0
; COMPUTE_PGM_RSRC2:USER_SGPR: 6
; COMPUTE_PGM_RSRC2:TRAP_HANDLER: 0
; COMPUTE_PGM_RSRC2:TGID_X_EN: 1
; COMPUTE_PGM_RSRC2:TGID_Y_EN: 0
; COMPUTE_PGM_RSRC2:TGID_Z_EN: 0
; COMPUTE_PGM_RSRC2:TIDIG_COMP_CNT: 0
; COMPUTE_PGM_RSRC3_GFX90A:ACCUM_OFFSET: 0
; COMPUTE_PGM_RSRC3_GFX90A:TG_SPLIT: 0
	.section	.text._ZN7rocprim17ROCPRIM_400000_NS6detail17trampoline_kernelINS0_14default_configENS1_27scan_by_key_config_selectorIxxEEZZNS1_16scan_by_key_implILNS1_25lookback_scan_determinismE0ELb0ES3_N6thrust23THRUST_200600_302600_NS6detail15normal_iteratorINS9_10device_ptrIxEEEESE_SE_xNS9_10multipliesIxEENS9_8equal_toIxEExEE10hipError_tPvRmT2_T3_T4_T5_mT6_T7_P12ihipStream_tbENKUlT_T0_E_clISt17integral_constantIbLb0EESY_IbLb1EEEEDaSU_SV_EUlSU_E_NS1_11comp_targetILNS1_3genE10ELNS1_11target_archE1200ELNS1_3gpuE4ELNS1_3repE0EEENS1_30default_config_static_selectorELNS0_4arch9wavefront6targetE1EEEvT1_,"axG",@progbits,_ZN7rocprim17ROCPRIM_400000_NS6detail17trampoline_kernelINS0_14default_configENS1_27scan_by_key_config_selectorIxxEEZZNS1_16scan_by_key_implILNS1_25lookback_scan_determinismE0ELb0ES3_N6thrust23THRUST_200600_302600_NS6detail15normal_iteratorINS9_10device_ptrIxEEEESE_SE_xNS9_10multipliesIxEENS9_8equal_toIxEExEE10hipError_tPvRmT2_T3_T4_T5_mT6_T7_P12ihipStream_tbENKUlT_T0_E_clISt17integral_constantIbLb0EESY_IbLb1EEEEDaSU_SV_EUlSU_E_NS1_11comp_targetILNS1_3genE10ELNS1_11target_archE1200ELNS1_3gpuE4ELNS1_3repE0EEENS1_30default_config_static_selectorELNS0_4arch9wavefront6targetE1EEEvT1_,comdat
	.protected	_ZN7rocprim17ROCPRIM_400000_NS6detail17trampoline_kernelINS0_14default_configENS1_27scan_by_key_config_selectorIxxEEZZNS1_16scan_by_key_implILNS1_25lookback_scan_determinismE0ELb0ES3_N6thrust23THRUST_200600_302600_NS6detail15normal_iteratorINS9_10device_ptrIxEEEESE_SE_xNS9_10multipliesIxEENS9_8equal_toIxEExEE10hipError_tPvRmT2_T3_T4_T5_mT6_T7_P12ihipStream_tbENKUlT_T0_E_clISt17integral_constantIbLb0EESY_IbLb1EEEEDaSU_SV_EUlSU_E_NS1_11comp_targetILNS1_3genE10ELNS1_11target_archE1200ELNS1_3gpuE4ELNS1_3repE0EEENS1_30default_config_static_selectorELNS0_4arch9wavefront6targetE1EEEvT1_ ; -- Begin function _ZN7rocprim17ROCPRIM_400000_NS6detail17trampoline_kernelINS0_14default_configENS1_27scan_by_key_config_selectorIxxEEZZNS1_16scan_by_key_implILNS1_25lookback_scan_determinismE0ELb0ES3_N6thrust23THRUST_200600_302600_NS6detail15normal_iteratorINS9_10device_ptrIxEEEESE_SE_xNS9_10multipliesIxEENS9_8equal_toIxEExEE10hipError_tPvRmT2_T3_T4_T5_mT6_T7_P12ihipStream_tbENKUlT_T0_E_clISt17integral_constantIbLb0EESY_IbLb1EEEEDaSU_SV_EUlSU_E_NS1_11comp_targetILNS1_3genE10ELNS1_11target_archE1200ELNS1_3gpuE4ELNS1_3repE0EEENS1_30default_config_static_selectorELNS0_4arch9wavefront6targetE1EEEvT1_
	.globl	_ZN7rocprim17ROCPRIM_400000_NS6detail17trampoline_kernelINS0_14default_configENS1_27scan_by_key_config_selectorIxxEEZZNS1_16scan_by_key_implILNS1_25lookback_scan_determinismE0ELb0ES3_N6thrust23THRUST_200600_302600_NS6detail15normal_iteratorINS9_10device_ptrIxEEEESE_SE_xNS9_10multipliesIxEENS9_8equal_toIxEExEE10hipError_tPvRmT2_T3_T4_T5_mT6_T7_P12ihipStream_tbENKUlT_T0_E_clISt17integral_constantIbLb0EESY_IbLb1EEEEDaSU_SV_EUlSU_E_NS1_11comp_targetILNS1_3genE10ELNS1_11target_archE1200ELNS1_3gpuE4ELNS1_3repE0EEENS1_30default_config_static_selectorELNS0_4arch9wavefront6targetE1EEEvT1_
	.p2align	8
	.type	_ZN7rocprim17ROCPRIM_400000_NS6detail17trampoline_kernelINS0_14default_configENS1_27scan_by_key_config_selectorIxxEEZZNS1_16scan_by_key_implILNS1_25lookback_scan_determinismE0ELb0ES3_N6thrust23THRUST_200600_302600_NS6detail15normal_iteratorINS9_10device_ptrIxEEEESE_SE_xNS9_10multipliesIxEENS9_8equal_toIxEExEE10hipError_tPvRmT2_T3_T4_T5_mT6_T7_P12ihipStream_tbENKUlT_T0_E_clISt17integral_constantIbLb0EESY_IbLb1EEEEDaSU_SV_EUlSU_E_NS1_11comp_targetILNS1_3genE10ELNS1_11target_archE1200ELNS1_3gpuE4ELNS1_3repE0EEENS1_30default_config_static_selectorELNS0_4arch9wavefront6targetE1EEEvT1_,@function
_ZN7rocprim17ROCPRIM_400000_NS6detail17trampoline_kernelINS0_14default_configENS1_27scan_by_key_config_selectorIxxEEZZNS1_16scan_by_key_implILNS1_25lookback_scan_determinismE0ELb0ES3_N6thrust23THRUST_200600_302600_NS6detail15normal_iteratorINS9_10device_ptrIxEEEESE_SE_xNS9_10multipliesIxEENS9_8equal_toIxEExEE10hipError_tPvRmT2_T3_T4_T5_mT6_T7_P12ihipStream_tbENKUlT_T0_E_clISt17integral_constantIbLb0EESY_IbLb1EEEEDaSU_SV_EUlSU_E_NS1_11comp_targetILNS1_3genE10ELNS1_11target_archE1200ELNS1_3gpuE4ELNS1_3repE0EEENS1_30default_config_static_selectorELNS0_4arch9wavefront6targetE1EEEvT1_: ; @_ZN7rocprim17ROCPRIM_400000_NS6detail17trampoline_kernelINS0_14default_configENS1_27scan_by_key_config_selectorIxxEEZZNS1_16scan_by_key_implILNS1_25lookback_scan_determinismE0ELb0ES3_N6thrust23THRUST_200600_302600_NS6detail15normal_iteratorINS9_10device_ptrIxEEEESE_SE_xNS9_10multipliesIxEENS9_8equal_toIxEExEE10hipError_tPvRmT2_T3_T4_T5_mT6_T7_P12ihipStream_tbENKUlT_T0_E_clISt17integral_constantIbLb0EESY_IbLb1EEEEDaSU_SV_EUlSU_E_NS1_11comp_targetILNS1_3genE10ELNS1_11target_archE1200ELNS1_3gpuE4ELNS1_3repE0EEENS1_30default_config_static_selectorELNS0_4arch9wavefront6targetE1EEEvT1_
; %bb.0:
	.section	.rodata,"a",@progbits
	.p2align	6, 0x0
	.amdhsa_kernel _ZN7rocprim17ROCPRIM_400000_NS6detail17trampoline_kernelINS0_14default_configENS1_27scan_by_key_config_selectorIxxEEZZNS1_16scan_by_key_implILNS1_25lookback_scan_determinismE0ELb0ES3_N6thrust23THRUST_200600_302600_NS6detail15normal_iteratorINS9_10device_ptrIxEEEESE_SE_xNS9_10multipliesIxEENS9_8equal_toIxEExEE10hipError_tPvRmT2_T3_T4_T5_mT6_T7_P12ihipStream_tbENKUlT_T0_E_clISt17integral_constantIbLb0EESY_IbLb1EEEEDaSU_SV_EUlSU_E_NS1_11comp_targetILNS1_3genE10ELNS1_11target_archE1200ELNS1_3gpuE4ELNS1_3repE0EEENS1_30default_config_static_selectorELNS0_4arch9wavefront6targetE1EEEvT1_
		.amdhsa_group_segment_fixed_size 0
		.amdhsa_private_segment_fixed_size 0
		.amdhsa_kernarg_size 136
		.amdhsa_user_sgpr_count 6
		.amdhsa_user_sgpr_private_segment_buffer 1
		.amdhsa_user_sgpr_dispatch_ptr 0
		.amdhsa_user_sgpr_queue_ptr 0
		.amdhsa_user_sgpr_kernarg_segment_ptr 1
		.amdhsa_user_sgpr_dispatch_id 0
		.amdhsa_user_sgpr_flat_scratch_init 0
		.amdhsa_user_sgpr_kernarg_preload_length 0
		.amdhsa_user_sgpr_kernarg_preload_offset 0
		.amdhsa_user_sgpr_private_segment_size 0
		.amdhsa_uses_dynamic_stack 0
		.amdhsa_system_sgpr_private_segment_wavefront_offset 0
		.amdhsa_system_sgpr_workgroup_id_x 1
		.amdhsa_system_sgpr_workgroup_id_y 0
		.amdhsa_system_sgpr_workgroup_id_z 0
		.amdhsa_system_sgpr_workgroup_info 0
		.amdhsa_system_vgpr_workitem_id 0
		.amdhsa_next_free_vgpr 1
		.amdhsa_next_free_sgpr 0
		.amdhsa_accum_offset 4
		.amdhsa_reserve_vcc 0
		.amdhsa_reserve_flat_scratch 0
		.amdhsa_float_round_mode_32 0
		.amdhsa_float_round_mode_16_64 0
		.amdhsa_float_denorm_mode_32 3
		.amdhsa_float_denorm_mode_16_64 3
		.amdhsa_dx10_clamp 1
		.amdhsa_ieee_mode 1
		.amdhsa_fp16_overflow 0
		.amdhsa_tg_split 0
		.amdhsa_exception_fp_ieee_invalid_op 0
		.amdhsa_exception_fp_denorm_src 0
		.amdhsa_exception_fp_ieee_div_zero 0
		.amdhsa_exception_fp_ieee_overflow 0
		.amdhsa_exception_fp_ieee_underflow 0
		.amdhsa_exception_fp_ieee_inexact 0
		.amdhsa_exception_int_div_zero 0
	.end_amdhsa_kernel
	.section	.text._ZN7rocprim17ROCPRIM_400000_NS6detail17trampoline_kernelINS0_14default_configENS1_27scan_by_key_config_selectorIxxEEZZNS1_16scan_by_key_implILNS1_25lookback_scan_determinismE0ELb0ES3_N6thrust23THRUST_200600_302600_NS6detail15normal_iteratorINS9_10device_ptrIxEEEESE_SE_xNS9_10multipliesIxEENS9_8equal_toIxEExEE10hipError_tPvRmT2_T3_T4_T5_mT6_T7_P12ihipStream_tbENKUlT_T0_E_clISt17integral_constantIbLb0EESY_IbLb1EEEEDaSU_SV_EUlSU_E_NS1_11comp_targetILNS1_3genE10ELNS1_11target_archE1200ELNS1_3gpuE4ELNS1_3repE0EEENS1_30default_config_static_selectorELNS0_4arch9wavefront6targetE1EEEvT1_,"axG",@progbits,_ZN7rocprim17ROCPRIM_400000_NS6detail17trampoline_kernelINS0_14default_configENS1_27scan_by_key_config_selectorIxxEEZZNS1_16scan_by_key_implILNS1_25lookback_scan_determinismE0ELb0ES3_N6thrust23THRUST_200600_302600_NS6detail15normal_iteratorINS9_10device_ptrIxEEEESE_SE_xNS9_10multipliesIxEENS9_8equal_toIxEExEE10hipError_tPvRmT2_T3_T4_T5_mT6_T7_P12ihipStream_tbENKUlT_T0_E_clISt17integral_constantIbLb0EESY_IbLb1EEEEDaSU_SV_EUlSU_E_NS1_11comp_targetILNS1_3genE10ELNS1_11target_archE1200ELNS1_3gpuE4ELNS1_3repE0EEENS1_30default_config_static_selectorELNS0_4arch9wavefront6targetE1EEEvT1_,comdat
.Lfunc_end80:
	.size	_ZN7rocprim17ROCPRIM_400000_NS6detail17trampoline_kernelINS0_14default_configENS1_27scan_by_key_config_selectorIxxEEZZNS1_16scan_by_key_implILNS1_25lookback_scan_determinismE0ELb0ES3_N6thrust23THRUST_200600_302600_NS6detail15normal_iteratorINS9_10device_ptrIxEEEESE_SE_xNS9_10multipliesIxEENS9_8equal_toIxEExEE10hipError_tPvRmT2_T3_T4_T5_mT6_T7_P12ihipStream_tbENKUlT_T0_E_clISt17integral_constantIbLb0EESY_IbLb1EEEEDaSU_SV_EUlSU_E_NS1_11comp_targetILNS1_3genE10ELNS1_11target_archE1200ELNS1_3gpuE4ELNS1_3repE0EEENS1_30default_config_static_selectorELNS0_4arch9wavefront6targetE1EEEvT1_, .Lfunc_end80-_ZN7rocprim17ROCPRIM_400000_NS6detail17trampoline_kernelINS0_14default_configENS1_27scan_by_key_config_selectorIxxEEZZNS1_16scan_by_key_implILNS1_25lookback_scan_determinismE0ELb0ES3_N6thrust23THRUST_200600_302600_NS6detail15normal_iteratorINS9_10device_ptrIxEEEESE_SE_xNS9_10multipliesIxEENS9_8equal_toIxEExEE10hipError_tPvRmT2_T3_T4_T5_mT6_T7_P12ihipStream_tbENKUlT_T0_E_clISt17integral_constantIbLb0EESY_IbLb1EEEEDaSU_SV_EUlSU_E_NS1_11comp_targetILNS1_3genE10ELNS1_11target_archE1200ELNS1_3gpuE4ELNS1_3repE0EEENS1_30default_config_static_selectorELNS0_4arch9wavefront6targetE1EEEvT1_
                                        ; -- End function
	.section	.AMDGPU.csdata,"",@progbits
; Kernel info:
; codeLenInByte = 0
; NumSgprs: 4
; NumVgprs: 0
; NumAgprs: 0
; TotalNumVgprs: 0
; ScratchSize: 0
; MemoryBound: 0
; FloatMode: 240
; IeeeMode: 1
; LDSByteSize: 0 bytes/workgroup (compile time only)
; SGPRBlocks: 0
; VGPRBlocks: 0
; NumSGPRsForWavesPerEU: 4
; NumVGPRsForWavesPerEU: 1
; AccumOffset: 4
; Occupancy: 8
; WaveLimiterHint : 0
; COMPUTE_PGM_RSRC2:SCRATCH_EN: 0
; COMPUTE_PGM_RSRC2:USER_SGPR: 6
; COMPUTE_PGM_RSRC2:TRAP_HANDLER: 0
; COMPUTE_PGM_RSRC2:TGID_X_EN: 1
; COMPUTE_PGM_RSRC2:TGID_Y_EN: 0
; COMPUTE_PGM_RSRC2:TGID_Z_EN: 0
; COMPUTE_PGM_RSRC2:TIDIG_COMP_CNT: 0
; COMPUTE_PGM_RSRC3_GFX90A:ACCUM_OFFSET: 0
; COMPUTE_PGM_RSRC3_GFX90A:TG_SPLIT: 0
	.section	.text._ZN7rocprim17ROCPRIM_400000_NS6detail17trampoline_kernelINS0_14default_configENS1_27scan_by_key_config_selectorIxxEEZZNS1_16scan_by_key_implILNS1_25lookback_scan_determinismE0ELb0ES3_N6thrust23THRUST_200600_302600_NS6detail15normal_iteratorINS9_10device_ptrIxEEEESE_SE_xNS9_10multipliesIxEENS9_8equal_toIxEExEE10hipError_tPvRmT2_T3_T4_T5_mT6_T7_P12ihipStream_tbENKUlT_T0_E_clISt17integral_constantIbLb0EESY_IbLb1EEEEDaSU_SV_EUlSU_E_NS1_11comp_targetILNS1_3genE9ELNS1_11target_archE1100ELNS1_3gpuE3ELNS1_3repE0EEENS1_30default_config_static_selectorELNS0_4arch9wavefront6targetE1EEEvT1_,"axG",@progbits,_ZN7rocprim17ROCPRIM_400000_NS6detail17trampoline_kernelINS0_14default_configENS1_27scan_by_key_config_selectorIxxEEZZNS1_16scan_by_key_implILNS1_25lookback_scan_determinismE0ELb0ES3_N6thrust23THRUST_200600_302600_NS6detail15normal_iteratorINS9_10device_ptrIxEEEESE_SE_xNS9_10multipliesIxEENS9_8equal_toIxEExEE10hipError_tPvRmT2_T3_T4_T5_mT6_T7_P12ihipStream_tbENKUlT_T0_E_clISt17integral_constantIbLb0EESY_IbLb1EEEEDaSU_SV_EUlSU_E_NS1_11comp_targetILNS1_3genE9ELNS1_11target_archE1100ELNS1_3gpuE3ELNS1_3repE0EEENS1_30default_config_static_selectorELNS0_4arch9wavefront6targetE1EEEvT1_,comdat
	.protected	_ZN7rocprim17ROCPRIM_400000_NS6detail17trampoline_kernelINS0_14default_configENS1_27scan_by_key_config_selectorIxxEEZZNS1_16scan_by_key_implILNS1_25lookback_scan_determinismE0ELb0ES3_N6thrust23THRUST_200600_302600_NS6detail15normal_iteratorINS9_10device_ptrIxEEEESE_SE_xNS9_10multipliesIxEENS9_8equal_toIxEExEE10hipError_tPvRmT2_T3_T4_T5_mT6_T7_P12ihipStream_tbENKUlT_T0_E_clISt17integral_constantIbLb0EESY_IbLb1EEEEDaSU_SV_EUlSU_E_NS1_11comp_targetILNS1_3genE9ELNS1_11target_archE1100ELNS1_3gpuE3ELNS1_3repE0EEENS1_30default_config_static_selectorELNS0_4arch9wavefront6targetE1EEEvT1_ ; -- Begin function _ZN7rocprim17ROCPRIM_400000_NS6detail17trampoline_kernelINS0_14default_configENS1_27scan_by_key_config_selectorIxxEEZZNS1_16scan_by_key_implILNS1_25lookback_scan_determinismE0ELb0ES3_N6thrust23THRUST_200600_302600_NS6detail15normal_iteratorINS9_10device_ptrIxEEEESE_SE_xNS9_10multipliesIxEENS9_8equal_toIxEExEE10hipError_tPvRmT2_T3_T4_T5_mT6_T7_P12ihipStream_tbENKUlT_T0_E_clISt17integral_constantIbLb0EESY_IbLb1EEEEDaSU_SV_EUlSU_E_NS1_11comp_targetILNS1_3genE9ELNS1_11target_archE1100ELNS1_3gpuE3ELNS1_3repE0EEENS1_30default_config_static_selectorELNS0_4arch9wavefront6targetE1EEEvT1_
	.globl	_ZN7rocprim17ROCPRIM_400000_NS6detail17trampoline_kernelINS0_14default_configENS1_27scan_by_key_config_selectorIxxEEZZNS1_16scan_by_key_implILNS1_25lookback_scan_determinismE0ELb0ES3_N6thrust23THRUST_200600_302600_NS6detail15normal_iteratorINS9_10device_ptrIxEEEESE_SE_xNS9_10multipliesIxEENS9_8equal_toIxEExEE10hipError_tPvRmT2_T3_T4_T5_mT6_T7_P12ihipStream_tbENKUlT_T0_E_clISt17integral_constantIbLb0EESY_IbLb1EEEEDaSU_SV_EUlSU_E_NS1_11comp_targetILNS1_3genE9ELNS1_11target_archE1100ELNS1_3gpuE3ELNS1_3repE0EEENS1_30default_config_static_selectorELNS0_4arch9wavefront6targetE1EEEvT1_
	.p2align	8
	.type	_ZN7rocprim17ROCPRIM_400000_NS6detail17trampoline_kernelINS0_14default_configENS1_27scan_by_key_config_selectorIxxEEZZNS1_16scan_by_key_implILNS1_25lookback_scan_determinismE0ELb0ES3_N6thrust23THRUST_200600_302600_NS6detail15normal_iteratorINS9_10device_ptrIxEEEESE_SE_xNS9_10multipliesIxEENS9_8equal_toIxEExEE10hipError_tPvRmT2_T3_T4_T5_mT6_T7_P12ihipStream_tbENKUlT_T0_E_clISt17integral_constantIbLb0EESY_IbLb1EEEEDaSU_SV_EUlSU_E_NS1_11comp_targetILNS1_3genE9ELNS1_11target_archE1100ELNS1_3gpuE3ELNS1_3repE0EEENS1_30default_config_static_selectorELNS0_4arch9wavefront6targetE1EEEvT1_,@function
_ZN7rocprim17ROCPRIM_400000_NS6detail17trampoline_kernelINS0_14default_configENS1_27scan_by_key_config_selectorIxxEEZZNS1_16scan_by_key_implILNS1_25lookback_scan_determinismE0ELb0ES3_N6thrust23THRUST_200600_302600_NS6detail15normal_iteratorINS9_10device_ptrIxEEEESE_SE_xNS9_10multipliesIxEENS9_8equal_toIxEExEE10hipError_tPvRmT2_T3_T4_T5_mT6_T7_P12ihipStream_tbENKUlT_T0_E_clISt17integral_constantIbLb0EESY_IbLb1EEEEDaSU_SV_EUlSU_E_NS1_11comp_targetILNS1_3genE9ELNS1_11target_archE1100ELNS1_3gpuE3ELNS1_3repE0EEENS1_30default_config_static_selectorELNS0_4arch9wavefront6targetE1EEEvT1_: ; @_ZN7rocprim17ROCPRIM_400000_NS6detail17trampoline_kernelINS0_14default_configENS1_27scan_by_key_config_selectorIxxEEZZNS1_16scan_by_key_implILNS1_25lookback_scan_determinismE0ELb0ES3_N6thrust23THRUST_200600_302600_NS6detail15normal_iteratorINS9_10device_ptrIxEEEESE_SE_xNS9_10multipliesIxEENS9_8equal_toIxEExEE10hipError_tPvRmT2_T3_T4_T5_mT6_T7_P12ihipStream_tbENKUlT_T0_E_clISt17integral_constantIbLb0EESY_IbLb1EEEEDaSU_SV_EUlSU_E_NS1_11comp_targetILNS1_3genE9ELNS1_11target_archE1100ELNS1_3gpuE3ELNS1_3repE0EEENS1_30default_config_static_selectorELNS0_4arch9wavefront6targetE1EEEvT1_
; %bb.0:
	.section	.rodata,"a",@progbits
	.p2align	6, 0x0
	.amdhsa_kernel _ZN7rocprim17ROCPRIM_400000_NS6detail17trampoline_kernelINS0_14default_configENS1_27scan_by_key_config_selectorIxxEEZZNS1_16scan_by_key_implILNS1_25lookback_scan_determinismE0ELb0ES3_N6thrust23THRUST_200600_302600_NS6detail15normal_iteratorINS9_10device_ptrIxEEEESE_SE_xNS9_10multipliesIxEENS9_8equal_toIxEExEE10hipError_tPvRmT2_T3_T4_T5_mT6_T7_P12ihipStream_tbENKUlT_T0_E_clISt17integral_constantIbLb0EESY_IbLb1EEEEDaSU_SV_EUlSU_E_NS1_11comp_targetILNS1_3genE9ELNS1_11target_archE1100ELNS1_3gpuE3ELNS1_3repE0EEENS1_30default_config_static_selectorELNS0_4arch9wavefront6targetE1EEEvT1_
		.amdhsa_group_segment_fixed_size 0
		.amdhsa_private_segment_fixed_size 0
		.amdhsa_kernarg_size 136
		.amdhsa_user_sgpr_count 6
		.amdhsa_user_sgpr_private_segment_buffer 1
		.amdhsa_user_sgpr_dispatch_ptr 0
		.amdhsa_user_sgpr_queue_ptr 0
		.amdhsa_user_sgpr_kernarg_segment_ptr 1
		.amdhsa_user_sgpr_dispatch_id 0
		.amdhsa_user_sgpr_flat_scratch_init 0
		.amdhsa_user_sgpr_kernarg_preload_length 0
		.amdhsa_user_sgpr_kernarg_preload_offset 0
		.amdhsa_user_sgpr_private_segment_size 0
		.amdhsa_uses_dynamic_stack 0
		.amdhsa_system_sgpr_private_segment_wavefront_offset 0
		.amdhsa_system_sgpr_workgroup_id_x 1
		.amdhsa_system_sgpr_workgroup_id_y 0
		.amdhsa_system_sgpr_workgroup_id_z 0
		.amdhsa_system_sgpr_workgroup_info 0
		.amdhsa_system_vgpr_workitem_id 0
		.amdhsa_next_free_vgpr 1
		.amdhsa_next_free_sgpr 0
		.amdhsa_accum_offset 4
		.amdhsa_reserve_vcc 0
		.amdhsa_reserve_flat_scratch 0
		.amdhsa_float_round_mode_32 0
		.amdhsa_float_round_mode_16_64 0
		.amdhsa_float_denorm_mode_32 3
		.amdhsa_float_denorm_mode_16_64 3
		.amdhsa_dx10_clamp 1
		.amdhsa_ieee_mode 1
		.amdhsa_fp16_overflow 0
		.amdhsa_tg_split 0
		.amdhsa_exception_fp_ieee_invalid_op 0
		.amdhsa_exception_fp_denorm_src 0
		.amdhsa_exception_fp_ieee_div_zero 0
		.amdhsa_exception_fp_ieee_overflow 0
		.amdhsa_exception_fp_ieee_underflow 0
		.amdhsa_exception_fp_ieee_inexact 0
		.amdhsa_exception_int_div_zero 0
	.end_amdhsa_kernel
	.section	.text._ZN7rocprim17ROCPRIM_400000_NS6detail17trampoline_kernelINS0_14default_configENS1_27scan_by_key_config_selectorIxxEEZZNS1_16scan_by_key_implILNS1_25lookback_scan_determinismE0ELb0ES3_N6thrust23THRUST_200600_302600_NS6detail15normal_iteratorINS9_10device_ptrIxEEEESE_SE_xNS9_10multipliesIxEENS9_8equal_toIxEExEE10hipError_tPvRmT2_T3_T4_T5_mT6_T7_P12ihipStream_tbENKUlT_T0_E_clISt17integral_constantIbLb0EESY_IbLb1EEEEDaSU_SV_EUlSU_E_NS1_11comp_targetILNS1_3genE9ELNS1_11target_archE1100ELNS1_3gpuE3ELNS1_3repE0EEENS1_30default_config_static_selectorELNS0_4arch9wavefront6targetE1EEEvT1_,"axG",@progbits,_ZN7rocprim17ROCPRIM_400000_NS6detail17trampoline_kernelINS0_14default_configENS1_27scan_by_key_config_selectorIxxEEZZNS1_16scan_by_key_implILNS1_25lookback_scan_determinismE0ELb0ES3_N6thrust23THRUST_200600_302600_NS6detail15normal_iteratorINS9_10device_ptrIxEEEESE_SE_xNS9_10multipliesIxEENS9_8equal_toIxEExEE10hipError_tPvRmT2_T3_T4_T5_mT6_T7_P12ihipStream_tbENKUlT_T0_E_clISt17integral_constantIbLb0EESY_IbLb1EEEEDaSU_SV_EUlSU_E_NS1_11comp_targetILNS1_3genE9ELNS1_11target_archE1100ELNS1_3gpuE3ELNS1_3repE0EEENS1_30default_config_static_selectorELNS0_4arch9wavefront6targetE1EEEvT1_,comdat
.Lfunc_end81:
	.size	_ZN7rocprim17ROCPRIM_400000_NS6detail17trampoline_kernelINS0_14default_configENS1_27scan_by_key_config_selectorIxxEEZZNS1_16scan_by_key_implILNS1_25lookback_scan_determinismE0ELb0ES3_N6thrust23THRUST_200600_302600_NS6detail15normal_iteratorINS9_10device_ptrIxEEEESE_SE_xNS9_10multipliesIxEENS9_8equal_toIxEExEE10hipError_tPvRmT2_T3_T4_T5_mT6_T7_P12ihipStream_tbENKUlT_T0_E_clISt17integral_constantIbLb0EESY_IbLb1EEEEDaSU_SV_EUlSU_E_NS1_11comp_targetILNS1_3genE9ELNS1_11target_archE1100ELNS1_3gpuE3ELNS1_3repE0EEENS1_30default_config_static_selectorELNS0_4arch9wavefront6targetE1EEEvT1_, .Lfunc_end81-_ZN7rocprim17ROCPRIM_400000_NS6detail17trampoline_kernelINS0_14default_configENS1_27scan_by_key_config_selectorIxxEEZZNS1_16scan_by_key_implILNS1_25lookback_scan_determinismE0ELb0ES3_N6thrust23THRUST_200600_302600_NS6detail15normal_iteratorINS9_10device_ptrIxEEEESE_SE_xNS9_10multipliesIxEENS9_8equal_toIxEExEE10hipError_tPvRmT2_T3_T4_T5_mT6_T7_P12ihipStream_tbENKUlT_T0_E_clISt17integral_constantIbLb0EESY_IbLb1EEEEDaSU_SV_EUlSU_E_NS1_11comp_targetILNS1_3genE9ELNS1_11target_archE1100ELNS1_3gpuE3ELNS1_3repE0EEENS1_30default_config_static_selectorELNS0_4arch9wavefront6targetE1EEEvT1_
                                        ; -- End function
	.section	.AMDGPU.csdata,"",@progbits
; Kernel info:
; codeLenInByte = 0
; NumSgprs: 4
; NumVgprs: 0
; NumAgprs: 0
; TotalNumVgprs: 0
; ScratchSize: 0
; MemoryBound: 0
; FloatMode: 240
; IeeeMode: 1
; LDSByteSize: 0 bytes/workgroup (compile time only)
; SGPRBlocks: 0
; VGPRBlocks: 0
; NumSGPRsForWavesPerEU: 4
; NumVGPRsForWavesPerEU: 1
; AccumOffset: 4
; Occupancy: 8
; WaveLimiterHint : 0
; COMPUTE_PGM_RSRC2:SCRATCH_EN: 0
; COMPUTE_PGM_RSRC2:USER_SGPR: 6
; COMPUTE_PGM_RSRC2:TRAP_HANDLER: 0
; COMPUTE_PGM_RSRC2:TGID_X_EN: 1
; COMPUTE_PGM_RSRC2:TGID_Y_EN: 0
; COMPUTE_PGM_RSRC2:TGID_Z_EN: 0
; COMPUTE_PGM_RSRC2:TIDIG_COMP_CNT: 0
; COMPUTE_PGM_RSRC3_GFX90A:ACCUM_OFFSET: 0
; COMPUTE_PGM_RSRC3_GFX90A:TG_SPLIT: 0
	.section	.text._ZN7rocprim17ROCPRIM_400000_NS6detail17trampoline_kernelINS0_14default_configENS1_27scan_by_key_config_selectorIxxEEZZNS1_16scan_by_key_implILNS1_25lookback_scan_determinismE0ELb0ES3_N6thrust23THRUST_200600_302600_NS6detail15normal_iteratorINS9_10device_ptrIxEEEESE_SE_xNS9_10multipliesIxEENS9_8equal_toIxEExEE10hipError_tPvRmT2_T3_T4_T5_mT6_T7_P12ihipStream_tbENKUlT_T0_E_clISt17integral_constantIbLb0EESY_IbLb1EEEEDaSU_SV_EUlSU_E_NS1_11comp_targetILNS1_3genE8ELNS1_11target_archE1030ELNS1_3gpuE2ELNS1_3repE0EEENS1_30default_config_static_selectorELNS0_4arch9wavefront6targetE1EEEvT1_,"axG",@progbits,_ZN7rocprim17ROCPRIM_400000_NS6detail17trampoline_kernelINS0_14default_configENS1_27scan_by_key_config_selectorIxxEEZZNS1_16scan_by_key_implILNS1_25lookback_scan_determinismE0ELb0ES3_N6thrust23THRUST_200600_302600_NS6detail15normal_iteratorINS9_10device_ptrIxEEEESE_SE_xNS9_10multipliesIxEENS9_8equal_toIxEExEE10hipError_tPvRmT2_T3_T4_T5_mT6_T7_P12ihipStream_tbENKUlT_T0_E_clISt17integral_constantIbLb0EESY_IbLb1EEEEDaSU_SV_EUlSU_E_NS1_11comp_targetILNS1_3genE8ELNS1_11target_archE1030ELNS1_3gpuE2ELNS1_3repE0EEENS1_30default_config_static_selectorELNS0_4arch9wavefront6targetE1EEEvT1_,comdat
	.protected	_ZN7rocprim17ROCPRIM_400000_NS6detail17trampoline_kernelINS0_14default_configENS1_27scan_by_key_config_selectorIxxEEZZNS1_16scan_by_key_implILNS1_25lookback_scan_determinismE0ELb0ES3_N6thrust23THRUST_200600_302600_NS6detail15normal_iteratorINS9_10device_ptrIxEEEESE_SE_xNS9_10multipliesIxEENS9_8equal_toIxEExEE10hipError_tPvRmT2_T3_T4_T5_mT6_T7_P12ihipStream_tbENKUlT_T0_E_clISt17integral_constantIbLb0EESY_IbLb1EEEEDaSU_SV_EUlSU_E_NS1_11comp_targetILNS1_3genE8ELNS1_11target_archE1030ELNS1_3gpuE2ELNS1_3repE0EEENS1_30default_config_static_selectorELNS0_4arch9wavefront6targetE1EEEvT1_ ; -- Begin function _ZN7rocprim17ROCPRIM_400000_NS6detail17trampoline_kernelINS0_14default_configENS1_27scan_by_key_config_selectorIxxEEZZNS1_16scan_by_key_implILNS1_25lookback_scan_determinismE0ELb0ES3_N6thrust23THRUST_200600_302600_NS6detail15normal_iteratorINS9_10device_ptrIxEEEESE_SE_xNS9_10multipliesIxEENS9_8equal_toIxEExEE10hipError_tPvRmT2_T3_T4_T5_mT6_T7_P12ihipStream_tbENKUlT_T0_E_clISt17integral_constantIbLb0EESY_IbLb1EEEEDaSU_SV_EUlSU_E_NS1_11comp_targetILNS1_3genE8ELNS1_11target_archE1030ELNS1_3gpuE2ELNS1_3repE0EEENS1_30default_config_static_selectorELNS0_4arch9wavefront6targetE1EEEvT1_
	.globl	_ZN7rocprim17ROCPRIM_400000_NS6detail17trampoline_kernelINS0_14default_configENS1_27scan_by_key_config_selectorIxxEEZZNS1_16scan_by_key_implILNS1_25lookback_scan_determinismE0ELb0ES3_N6thrust23THRUST_200600_302600_NS6detail15normal_iteratorINS9_10device_ptrIxEEEESE_SE_xNS9_10multipliesIxEENS9_8equal_toIxEExEE10hipError_tPvRmT2_T3_T4_T5_mT6_T7_P12ihipStream_tbENKUlT_T0_E_clISt17integral_constantIbLb0EESY_IbLb1EEEEDaSU_SV_EUlSU_E_NS1_11comp_targetILNS1_3genE8ELNS1_11target_archE1030ELNS1_3gpuE2ELNS1_3repE0EEENS1_30default_config_static_selectorELNS0_4arch9wavefront6targetE1EEEvT1_
	.p2align	8
	.type	_ZN7rocprim17ROCPRIM_400000_NS6detail17trampoline_kernelINS0_14default_configENS1_27scan_by_key_config_selectorIxxEEZZNS1_16scan_by_key_implILNS1_25lookback_scan_determinismE0ELb0ES3_N6thrust23THRUST_200600_302600_NS6detail15normal_iteratorINS9_10device_ptrIxEEEESE_SE_xNS9_10multipliesIxEENS9_8equal_toIxEExEE10hipError_tPvRmT2_T3_T4_T5_mT6_T7_P12ihipStream_tbENKUlT_T0_E_clISt17integral_constantIbLb0EESY_IbLb1EEEEDaSU_SV_EUlSU_E_NS1_11comp_targetILNS1_3genE8ELNS1_11target_archE1030ELNS1_3gpuE2ELNS1_3repE0EEENS1_30default_config_static_selectorELNS0_4arch9wavefront6targetE1EEEvT1_,@function
_ZN7rocprim17ROCPRIM_400000_NS6detail17trampoline_kernelINS0_14default_configENS1_27scan_by_key_config_selectorIxxEEZZNS1_16scan_by_key_implILNS1_25lookback_scan_determinismE0ELb0ES3_N6thrust23THRUST_200600_302600_NS6detail15normal_iteratorINS9_10device_ptrIxEEEESE_SE_xNS9_10multipliesIxEENS9_8equal_toIxEExEE10hipError_tPvRmT2_T3_T4_T5_mT6_T7_P12ihipStream_tbENKUlT_T0_E_clISt17integral_constantIbLb0EESY_IbLb1EEEEDaSU_SV_EUlSU_E_NS1_11comp_targetILNS1_3genE8ELNS1_11target_archE1030ELNS1_3gpuE2ELNS1_3repE0EEENS1_30default_config_static_selectorELNS0_4arch9wavefront6targetE1EEEvT1_: ; @_ZN7rocprim17ROCPRIM_400000_NS6detail17trampoline_kernelINS0_14default_configENS1_27scan_by_key_config_selectorIxxEEZZNS1_16scan_by_key_implILNS1_25lookback_scan_determinismE0ELb0ES3_N6thrust23THRUST_200600_302600_NS6detail15normal_iteratorINS9_10device_ptrIxEEEESE_SE_xNS9_10multipliesIxEENS9_8equal_toIxEExEE10hipError_tPvRmT2_T3_T4_T5_mT6_T7_P12ihipStream_tbENKUlT_T0_E_clISt17integral_constantIbLb0EESY_IbLb1EEEEDaSU_SV_EUlSU_E_NS1_11comp_targetILNS1_3genE8ELNS1_11target_archE1030ELNS1_3gpuE2ELNS1_3repE0EEENS1_30default_config_static_selectorELNS0_4arch9wavefront6targetE1EEEvT1_
; %bb.0:
	.section	.rodata,"a",@progbits
	.p2align	6, 0x0
	.amdhsa_kernel _ZN7rocprim17ROCPRIM_400000_NS6detail17trampoline_kernelINS0_14default_configENS1_27scan_by_key_config_selectorIxxEEZZNS1_16scan_by_key_implILNS1_25lookback_scan_determinismE0ELb0ES3_N6thrust23THRUST_200600_302600_NS6detail15normal_iteratorINS9_10device_ptrIxEEEESE_SE_xNS9_10multipliesIxEENS9_8equal_toIxEExEE10hipError_tPvRmT2_T3_T4_T5_mT6_T7_P12ihipStream_tbENKUlT_T0_E_clISt17integral_constantIbLb0EESY_IbLb1EEEEDaSU_SV_EUlSU_E_NS1_11comp_targetILNS1_3genE8ELNS1_11target_archE1030ELNS1_3gpuE2ELNS1_3repE0EEENS1_30default_config_static_selectorELNS0_4arch9wavefront6targetE1EEEvT1_
		.amdhsa_group_segment_fixed_size 0
		.amdhsa_private_segment_fixed_size 0
		.amdhsa_kernarg_size 136
		.amdhsa_user_sgpr_count 6
		.amdhsa_user_sgpr_private_segment_buffer 1
		.amdhsa_user_sgpr_dispatch_ptr 0
		.amdhsa_user_sgpr_queue_ptr 0
		.amdhsa_user_sgpr_kernarg_segment_ptr 1
		.amdhsa_user_sgpr_dispatch_id 0
		.amdhsa_user_sgpr_flat_scratch_init 0
		.amdhsa_user_sgpr_kernarg_preload_length 0
		.amdhsa_user_sgpr_kernarg_preload_offset 0
		.amdhsa_user_sgpr_private_segment_size 0
		.amdhsa_uses_dynamic_stack 0
		.amdhsa_system_sgpr_private_segment_wavefront_offset 0
		.amdhsa_system_sgpr_workgroup_id_x 1
		.amdhsa_system_sgpr_workgroup_id_y 0
		.amdhsa_system_sgpr_workgroup_id_z 0
		.amdhsa_system_sgpr_workgroup_info 0
		.amdhsa_system_vgpr_workitem_id 0
		.amdhsa_next_free_vgpr 1
		.amdhsa_next_free_sgpr 0
		.amdhsa_accum_offset 4
		.amdhsa_reserve_vcc 0
		.amdhsa_reserve_flat_scratch 0
		.amdhsa_float_round_mode_32 0
		.amdhsa_float_round_mode_16_64 0
		.amdhsa_float_denorm_mode_32 3
		.amdhsa_float_denorm_mode_16_64 3
		.amdhsa_dx10_clamp 1
		.amdhsa_ieee_mode 1
		.amdhsa_fp16_overflow 0
		.amdhsa_tg_split 0
		.amdhsa_exception_fp_ieee_invalid_op 0
		.amdhsa_exception_fp_denorm_src 0
		.amdhsa_exception_fp_ieee_div_zero 0
		.amdhsa_exception_fp_ieee_overflow 0
		.amdhsa_exception_fp_ieee_underflow 0
		.amdhsa_exception_fp_ieee_inexact 0
		.amdhsa_exception_int_div_zero 0
	.end_amdhsa_kernel
	.section	.text._ZN7rocprim17ROCPRIM_400000_NS6detail17trampoline_kernelINS0_14default_configENS1_27scan_by_key_config_selectorIxxEEZZNS1_16scan_by_key_implILNS1_25lookback_scan_determinismE0ELb0ES3_N6thrust23THRUST_200600_302600_NS6detail15normal_iteratorINS9_10device_ptrIxEEEESE_SE_xNS9_10multipliesIxEENS9_8equal_toIxEExEE10hipError_tPvRmT2_T3_T4_T5_mT6_T7_P12ihipStream_tbENKUlT_T0_E_clISt17integral_constantIbLb0EESY_IbLb1EEEEDaSU_SV_EUlSU_E_NS1_11comp_targetILNS1_3genE8ELNS1_11target_archE1030ELNS1_3gpuE2ELNS1_3repE0EEENS1_30default_config_static_selectorELNS0_4arch9wavefront6targetE1EEEvT1_,"axG",@progbits,_ZN7rocprim17ROCPRIM_400000_NS6detail17trampoline_kernelINS0_14default_configENS1_27scan_by_key_config_selectorIxxEEZZNS1_16scan_by_key_implILNS1_25lookback_scan_determinismE0ELb0ES3_N6thrust23THRUST_200600_302600_NS6detail15normal_iteratorINS9_10device_ptrIxEEEESE_SE_xNS9_10multipliesIxEENS9_8equal_toIxEExEE10hipError_tPvRmT2_T3_T4_T5_mT6_T7_P12ihipStream_tbENKUlT_T0_E_clISt17integral_constantIbLb0EESY_IbLb1EEEEDaSU_SV_EUlSU_E_NS1_11comp_targetILNS1_3genE8ELNS1_11target_archE1030ELNS1_3gpuE2ELNS1_3repE0EEENS1_30default_config_static_selectorELNS0_4arch9wavefront6targetE1EEEvT1_,comdat
.Lfunc_end82:
	.size	_ZN7rocprim17ROCPRIM_400000_NS6detail17trampoline_kernelINS0_14default_configENS1_27scan_by_key_config_selectorIxxEEZZNS1_16scan_by_key_implILNS1_25lookback_scan_determinismE0ELb0ES3_N6thrust23THRUST_200600_302600_NS6detail15normal_iteratorINS9_10device_ptrIxEEEESE_SE_xNS9_10multipliesIxEENS9_8equal_toIxEExEE10hipError_tPvRmT2_T3_T4_T5_mT6_T7_P12ihipStream_tbENKUlT_T0_E_clISt17integral_constantIbLb0EESY_IbLb1EEEEDaSU_SV_EUlSU_E_NS1_11comp_targetILNS1_3genE8ELNS1_11target_archE1030ELNS1_3gpuE2ELNS1_3repE0EEENS1_30default_config_static_selectorELNS0_4arch9wavefront6targetE1EEEvT1_, .Lfunc_end82-_ZN7rocprim17ROCPRIM_400000_NS6detail17trampoline_kernelINS0_14default_configENS1_27scan_by_key_config_selectorIxxEEZZNS1_16scan_by_key_implILNS1_25lookback_scan_determinismE0ELb0ES3_N6thrust23THRUST_200600_302600_NS6detail15normal_iteratorINS9_10device_ptrIxEEEESE_SE_xNS9_10multipliesIxEENS9_8equal_toIxEExEE10hipError_tPvRmT2_T3_T4_T5_mT6_T7_P12ihipStream_tbENKUlT_T0_E_clISt17integral_constantIbLb0EESY_IbLb1EEEEDaSU_SV_EUlSU_E_NS1_11comp_targetILNS1_3genE8ELNS1_11target_archE1030ELNS1_3gpuE2ELNS1_3repE0EEENS1_30default_config_static_selectorELNS0_4arch9wavefront6targetE1EEEvT1_
                                        ; -- End function
	.section	.AMDGPU.csdata,"",@progbits
; Kernel info:
; codeLenInByte = 0
; NumSgprs: 4
; NumVgprs: 0
; NumAgprs: 0
; TotalNumVgprs: 0
; ScratchSize: 0
; MemoryBound: 0
; FloatMode: 240
; IeeeMode: 1
; LDSByteSize: 0 bytes/workgroup (compile time only)
; SGPRBlocks: 0
; VGPRBlocks: 0
; NumSGPRsForWavesPerEU: 4
; NumVGPRsForWavesPerEU: 1
; AccumOffset: 4
; Occupancy: 8
; WaveLimiterHint : 0
; COMPUTE_PGM_RSRC2:SCRATCH_EN: 0
; COMPUTE_PGM_RSRC2:USER_SGPR: 6
; COMPUTE_PGM_RSRC2:TRAP_HANDLER: 0
; COMPUTE_PGM_RSRC2:TGID_X_EN: 1
; COMPUTE_PGM_RSRC2:TGID_Y_EN: 0
; COMPUTE_PGM_RSRC2:TGID_Z_EN: 0
; COMPUTE_PGM_RSRC2:TIDIG_COMP_CNT: 0
; COMPUTE_PGM_RSRC3_GFX90A:ACCUM_OFFSET: 0
; COMPUTE_PGM_RSRC3_GFX90A:TG_SPLIT: 0
	.section	.text._ZN7rocprim17ROCPRIM_400000_NS6detail17trampoline_kernelINS0_14default_configENS1_27scan_by_key_config_selectorIxxEEZZNS1_16scan_by_key_implILNS1_25lookback_scan_determinismE0ELb0ES3_N6thrust23THRUST_200600_302600_NS6detail15normal_iteratorINS9_10device_ptrIxEEEESE_SE_xNS9_4plusIvEENS9_8equal_toIxEExEE10hipError_tPvRmT2_T3_T4_T5_mT6_T7_P12ihipStream_tbENKUlT_T0_E_clISt17integral_constantIbLb0EESZ_EEDaSU_SV_EUlSU_E_NS1_11comp_targetILNS1_3genE0ELNS1_11target_archE4294967295ELNS1_3gpuE0ELNS1_3repE0EEENS1_30default_config_static_selectorELNS0_4arch9wavefront6targetE1EEEvT1_,"axG",@progbits,_ZN7rocprim17ROCPRIM_400000_NS6detail17trampoline_kernelINS0_14default_configENS1_27scan_by_key_config_selectorIxxEEZZNS1_16scan_by_key_implILNS1_25lookback_scan_determinismE0ELb0ES3_N6thrust23THRUST_200600_302600_NS6detail15normal_iteratorINS9_10device_ptrIxEEEESE_SE_xNS9_4plusIvEENS9_8equal_toIxEExEE10hipError_tPvRmT2_T3_T4_T5_mT6_T7_P12ihipStream_tbENKUlT_T0_E_clISt17integral_constantIbLb0EESZ_EEDaSU_SV_EUlSU_E_NS1_11comp_targetILNS1_3genE0ELNS1_11target_archE4294967295ELNS1_3gpuE0ELNS1_3repE0EEENS1_30default_config_static_selectorELNS0_4arch9wavefront6targetE1EEEvT1_,comdat
	.protected	_ZN7rocprim17ROCPRIM_400000_NS6detail17trampoline_kernelINS0_14default_configENS1_27scan_by_key_config_selectorIxxEEZZNS1_16scan_by_key_implILNS1_25lookback_scan_determinismE0ELb0ES3_N6thrust23THRUST_200600_302600_NS6detail15normal_iteratorINS9_10device_ptrIxEEEESE_SE_xNS9_4plusIvEENS9_8equal_toIxEExEE10hipError_tPvRmT2_T3_T4_T5_mT6_T7_P12ihipStream_tbENKUlT_T0_E_clISt17integral_constantIbLb0EESZ_EEDaSU_SV_EUlSU_E_NS1_11comp_targetILNS1_3genE0ELNS1_11target_archE4294967295ELNS1_3gpuE0ELNS1_3repE0EEENS1_30default_config_static_selectorELNS0_4arch9wavefront6targetE1EEEvT1_ ; -- Begin function _ZN7rocprim17ROCPRIM_400000_NS6detail17trampoline_kernelINS0_14default_configENS1_27scan_by_key_config_selectorIxxEEZZNS1_16scan_by_key_implILNS1_25lookback_scan_determinismE0ELb0ES3_N6thrust23THRUST_200600_302600_NS6detail15normal_iteratorINS9_10device_ptrIxEEEESE_SE_xNS9_4plusIvEENS9_8equal_toIxEExEE10hipError_tPvRmT2_T3_T4_T5_mT6_T7_P12ihipStream_tbENKUlT_T0_E_clISt17integral_constantIbLb0EESZ_EEDaSU_SV_EUlSU_E_NS1_11comp_targetILNS1_3genE0ELNS1_11target_archE4294967295ELNS1_3gpuE0ELNS1_3repE0EEENS1_30default_config_static_selectorELNS0_4arch9wavefront6targetE1EEEvT1_
	.globl	_ZN7rocprim17ROCPRIM_400000_NS6detail17trampoline_kernelINS0_14default_configENS1_27scan_by_key_config_selectorIxxEEZZNS1_16scan_by_key_implILNS1_25lookback_scan_determinismE0ELb0ES3_N6thrust23THRUST_200600_302600_NS6detail15normal_iteratorINS9_10device_ptrIxEEEESE_SE_xNS9_4plusIvEENS9_8equal_toIxEExEE10hipError_tPvRmT2_T3_T4_T5_mT6_T7_P12ihipStream_tbENKUlT_T0_E_clISt17integral_constantIbLb0EESZ_EEDaSU_SV_EUlSU_E_NS1_11comp_targetILNS1_3genE0ELNS1_11target_archE4294967295ELNS1_3gpuE0ELNS1_3repE0EEENS1_30default_config_static_selectorELNS0_4arch9wavefront6targetE1EEEvT1_
	.p2align	8
	.type	_ZN7rocprim17ROCPRIM_400000_NS6detail17trampoline_kernelINS0_14default_configENS1_27scan_by_key_config_selectorIxxEEZZNS1_16scan_by_key_implILNS1_25lookback_scan_determinismE0ELb0ES3_N6thrust23THRUST_200600_302600_NS6detail15normal_iteratorINS9_10device_ptrIxEEEESE_SE_xNS9_4plusIvEENS9_8equal_toIxEExEE10hipError_tPvRmT2_T3_T4_T5_mT6_T7_P12ihipStream_tbENKUlT_T0_E_clISt17integral_constantIbLb0EESZ_EEDaSU_SV_EUlSU_E_NS1_11comp_targetILNS1_3genE0ELNS1_11target_archE4294967295ELNS1_3gpuE0ELNS1_3repE0EEENS1_30default_config_static_selectorELNS0_4arch9wavefront6targetE1EEEvT1_,@function
_ZN7rocprim17ROCPRIM_400000_NS6detail17trampoline_kernelINS0_14default_configENS1_27scan_by_key_config_selectorIxxEEZZNS1_16scan_by_key_implILNS1_25lookback_scan_determinismE0ELb0ES3_N6thrust23THRUST_200600_302600_NS6detail15normal_iteratorINS9_10device_ptrIxEEEESE_SE_xNS9_4plusIvEENS9_8equal_toIxEExEE10hipError_tPvRmT2_T3_T4_T5_mT6_T7_P12ihipStream_tbENKUlT_T0_E_clISt17integral_constantIbLb0EESZ_EEDaSU_SV_EUlSU_E_NS1_11comp_targetILNS1_3genE0ELNS1_11target_archE4294967295ELNS1_3gpuE0ELNS1_3repE0EEENS1_30default_config_static_selectorELNS0_4arch9wavefront6targetE1EEEvT1_: ; @_ZN7rocprim17ROCPRIM_400000_NS6detail17trampoline_kernelINS0_14default_configENS1_27scan_by_key_config_selectorIxxEEZZNS1_16scan_by_key_implILNS1_25lookback_scan_determinismE0ELb0ES3_N6thrust23THRUST_200600_302600_NS6detail15normal_iteratorINS9_10device_ptrIxEEEESE_SE_xNS9_4plusIvEENS9_8equal_toIxEExEE10hipError_tPvRmT2_T3_T4_T5_mT6_T7_P12ihipStream_tbENKUlT_T0_E_clISt17integral_constantIbLb0EESZ_EEDaSU_SV_EUlSU_E_NS1_11comp_targetILNS1_3genE0ELNS1_11target_archE4294967295ELNS1_3gpuE0ELNS1_3repE0EEENS1_30default_config_static_selectorELNS0_4arch9wavefront6targetE1EEEvT1_
; %bb.0:
	.section	.rodata,"a",@progbits
	.p2align	6, 0x0
	.amdhsa_kernel _ZN7rocprim17ROCPRIM_400000_NS6detail17trampoline_kernelINS0_14default_configENS1_27scan_by_key_config_selectorIxxEEZZNS1_16scan_by_key_implILNS1_25lookback_scan_determinismE0ELb0ES3_N6thrust23THRUST_200600_302600_NS6detail15normal_iteratorINS9_10device_ptrIxEEEESE_SE_xNS9_4plusIvEENS9_8equal_toIxEExEE10hipError_tPvRmT2_T3_T4_T5_mT6_T7_P12ihipStream_tbENKUlT_T0_E_clISt17integral_constantIbLb0EESZ_EEDaSU_SV_EUlSU_E_NS1_11comp_targetILNS1_3genE0ELNS1_11target_archE4294967295ELNS1_3gpuE0ELNS1_3repE0EEENS1_30default_config_static_selectorELNS0_4arch9wavefront6targetE1EEEvT1_
		.amdhsa_group_segment_fixed_size 0
		.amdhsa_private_segment_fixed_size 0
		.amdhsa_kernarg_size 136
		.amdhsa_user_sgpr_count 6
		.amdhsa_user_sgpr_private_segment_buffer 1
		.amdhsa_user_sgpr_dispatch_ptr 0
		.amdhsa_user_sgpr_queue_ptr 0
		.amdhsa_user_sgpr_kernarg_segment_ptr 1
		.amdhsa_user_sgpr_dispatch_id 0
		.amdhsa_user_sgpr_flat_scratch_init 0
		.amdhsa_user_sgpr_kernarg_preload_length 0
		.amdhsa_user_sgpr_kernarg_preload_offset 0
		.amdhsa_user_sgpr_private_segment_size 0
		.amdhsa_uses_dynamic_stack 0
		.amdhsa_system_sgpr_private_segment_wavefront_offset 0
		.amdhsa_system_sgpr_workgroup_id_x 1
		.amdhsa_system_sgpr_workgroup_id_y 0
		.amdhsa_system_sgpr_workgroup_id_z 0
		.amdhsa_system_sgpr_workgroup_info 0
		.amdhsa_system_vgpr_workitem_id 0
		.amdhsa_next_free_vgpr 1
		.amdhsa_next_free_sgpr 0
		.amdhsa_accum_offset 4
		.amdhsa_reserve_vcc 0
		.amdhsa_reserve_flat_scratch 0
		.amdhsa_float_round_mode_32 0
		.amdhsa_float_round_mode_16_64 0
		.amdhsa_float_denorm_mode_32 3
		.amdhsa_float_denorm_mode_16_64 3
		.amdhsa_dx10_clamp 1
		.amdhsa_ieee_mode 1
		.amdhsa_fp16_overflow 0
		.amdhsa_tg_split 0
		.amdhsa_exception_fp_ieee_invalid_op 0
		.amdhsa_exception_fp_denorm_src 0
		.amdhsa_exception_fp_ieee_div_zero 0
		.amdhsa_exception_fp_ieee_overflow 0
		.amdhsa_exception_fp_ieee_underflow 0
		.amdhsa_exception_fp_ieee_inexact 0
		.amdhsa_exception_int_div_zero 0
	.end_amdhsa_kernel
	.section	.text._ZN7rocprim17ROCPRIM_400000_NS6detail17trampoline_kernelINS0_14default_configENS1_27scan_by_key_config_selectorIxxEEZZNS1_16scan_by_key_implILNS1_25lookback_scan_determinismE0ELb0ES3_N6thrust23THRUST_200600_302600_NS6detail15normal_iteratorINS9_10device_ptrIxEEEESE_SE_xNS9_4plusIvEENS9_8equal_toIxEExEE10hipError_tPvRmT2_T3_T4_T5_mT6_T7_P12ihipStream_tbENKUlT_T0_E_clISt17integral_constantIbLb0EESZ_EEDaSU_SV_EUlSU_E_NS1_11comp_targetILNS1_3genE0ELNS1_11target_archE4294967295ELNS1_3gpuE0ELNS1_3repE0EEENS1_30default_config_static_selectorELNS0_4arch9wavefront6targetE1EEEvT1_,"axG",@progbits,_ZN7rocprim17ROCPRIM_400000_NS6detail17trampoline_kernelINS0_14default_configENS1_27scan_by_key_config_selectorIxxEEZZNS1_16scan_by_key_implILNS1_25lookback_scan_determinismE0ELb0ES3_N6thrust23THRUST_200600_302600_NS6detail15normal_iteratorINS9_10device_ptrIxEEEESE_SE_xNS9_4plusIvEENS9_8equal_toIxEExEE10hipError_tPvRmT2_T3_T4_T5_mT6_T7_P12ihipStream_tbENKUlT_T0_E_clISt17integral_constantIbLb0EESZ_EEDaSU_SV_EUlSU_E_NS1_11comp_targetILNS1_3genE0ELNS1_11target_archE4294967295ELNS1_3gpuE0ELNS1_3repE0EEENS1_30default_config_static_selectorELNS0_4arch9wavefront6targetE1EEEvT1_,comdat
.Lfunc_end83:
	.size	_ZN7rocprim17ROCPRIM_400000_NS6detail17trampoline_kernelINS0_14default_configENS1_27scan_by_key_config_selectorIxxEEZZNS1_16scan_by_key_implILNS1_25lookback_scan_determinismE0ELb0ES3_N6thrust23THRUST_200600_302600_NS6detail15normal_iteratorINS9_10device_ptrIxEEEESE_SE_xNS9_4plusIvEENS9_8equal_toIxEExEE10hipError_tPvRmT2_T3_T4_T5_mT6_T7_P12ihipStream_tbENKUlT_T0_E_clISt17integral_constantIbLb0EESZ_EEDaSU_SV_EUlSU_E_NS1_11comp_targetILNS1_3genE0ELNS1_11target_archE4294967295ELNS1_3gpuE0ELNS1_3repE0EEENS1_30default_config_static_selectorELNS0_4arch9wavefront6targetE1EEEvT1_, .Lfunc_end83-_ZN7rocprim17ROCPRIM_400000_NS6detail17trampoline_kernelINS0_14default_configENS1_27scan_by_key_config_selectorIxxEEZZNS1_16scan_by_key_implILNS1_25lookback_scan_determinismE0ELb0ES3_N6thrust23THRUST_200600_302600_NS6detail15normal_iteratorINS9_10device_ptrIxEEEESE_SE_xNS9_4plusIvEENS9_8equal_toIxEExEE10hipError_tPvRmT2_T3_T4_T5_mT6_T7_P12ihipStream_tbENKUlT_T0_E_clISt17integral_constantIbLb0EESZ_EEDaSU_SV_EUlSU_E_NS1_11comp_targetILNS1_3genE0ELNS1_11target_archE4294967295ELNS1_3gpuE0ELNS1_3repE0EEENS1_30default_config_static_selectorELNS0_4arch9wavefront6targetE1EEEvT1_
                                        ; -- End function
	.section	.AMDGPU.csdata,"",@progbits
; Kernel info:
; codeLenInByte = 0
; NumSgprs: 4
; NumVgprs: 0
; NumAgprs: 0
; TotalNumVgprs: 0
; ScratchSize: 0
; MemoryBound: 0
; FloatMode: 240
; IeeeMode: 1
; LDSByteSize: 0 bytes/workgroup (compile time only)
; SGPRBlocks: 0
; VGPRBlocks: 0
; NumSGPRsForWavesPerEU: 4
; NumVGPRsForWavesPerEU: 1
; AccumOffset: 4
; Occupancy: 8
; WaveLimiterHint : 0
; COMPUTE_PGM_RSRC2:SCRATCH_EN: 0
; COMPUTE_PGM_RSRC2:USER_SGPR: 6
; COMPUTE_PGM_RSRC2:TRAP_HANDLER: 0
; COMPUTE_PGM_RSRC2:TGID_X_EN: 1
; COMPUTE_PGM_RSRC2:TGID_Y_EN: 0
; COMPUTE_PGM_RSRC2:TGID_Z_EN: 0
; COMPUTE_PGM_RSRC2:TIDIG_COMP_CNT: 0
; COMPUTE_PGM_RSRC3_GFX90A:ACCUM_OFFSET: 0
; COMPUTE_PGM_RSRC3_GFX90A:TG_SPLIT: 0
	.section	.text._ZN7rocprim17ROCPRIM_400000_NS6detail17trampoline_kernelINS0_14default_configENS1_27scan_by_key_config_selectorIxxEEZZNS1_16scan_by_key_implILNS1_25lookback_scan_determinismE0ELb0ES3_N6thrust23THRUST_200600_302600_NS6detail15normal_iteratorINS9_10device_ptrIxEEEESE_SE_xNS9_4plusIvEENS9_8equal_toIxEExEE10hipError_tPvRmT2_T3_T4_T5_mT6_T7_P12ihipStream_tbENKUlT_T0_E_clISt17integral_constantIbLb0EESZ_EEDaSU_SV_EUlSU_E_NS1_11comp_targetILNS1_3genE10ELNS1_11target_archE1201ELNS1_3gpuE5ELNS1_3repE0EEENS1_30default_config_static_selectorELNS0_4arch9wavefront6targetE1EEEvT1_,"axG",@progbits,_ZN7rocprim17ROCPRIM_400000_NS6detail17trampoline_kernelINS0_14default_configENS1_27scan_by_key_config_selectorIxxEEZZNS1_16scan_by_key_implILNS1_25lookback_scan_determinismE0ELb0ES3_N6thrust23THRUST_200600_302600_NS6detail15normal_iteratorINS9_10device_ptrIxEEEESE_SE_xNS9_4plusIvEENS9_8equal_toIxEExEE10hipError_tPvRmT2_T3_T4_T5_mT6_T7_P12ihipStream_tbENKUlT_T0_E_clISt17integral_constantIbLb0EESZ_EEDaSU_SV_EUlSU_E_NS1_11comp_targetILNS1_3genE10ELNS1_11target_archE1201ELNS1_3gpuE5ELNS1_3repE0EEENS1_30default_config_static_selectorELNS0_4arch9wavefront6targetE1EEEvT1_,comdat
	.protected	_ZN7rocprim17ROCPRIM_400000_NS6detail17trampoline_kernelINS0_14default_configENS1_27scan_by_key_config_selectorIxxEEZZNS1_16scan_by_key_implILNS1_25lookback_scan_determinismE0ELb0ES3_N6thrust23THRUST_200600_302600_NS6detail15normal_iteratorINS9_10device_ptrIxEEEESE_SE_xNS9_4plusIvEENS9_8equal_toIxEExEE10hipError_tPvRmT2_T3_T4_T5_mT6_T7_P12ihipStream_tbENKUlT_T0_E_clISt17integral_constantIbLb0EESZ_EEDaSU_SV_EUlSU_E_NS1_11comp_targetILNS1_3genE10ELNS1_11target_archE1201ELNS1_3gpuE5ELNS1_3repE0EEENS1_30default_config_static_selectorELNS0_4arch9wavefront6targetE1EEEvT1_ ; -- Begin function _ZN7rocprim17ROCPRIM_400000_NS6detail17trampoline_kernelINS0_14default_configENS1_27scan_by_key_config_selectorIxxEEZZNS1_16scan_by_key_implILNS1_25lookback_scan_determinismE0ELb0ES3_N6thrust23THRUST_200600_302600_NS6detail15normal_iteratorINS9_10device_ptrIxEEEESE_SE_xNS9_4plusIvEENS9_8equal_toIxEExEE10hipError_tPvRmT2_T3_T4_T5_mT6_T7_P12ihipStream_tbENKUlT_T0_E_clISt17integral_constantIbLb0EESZ_EEDaSU_SV_EUlSU_E_NS1_11comp_targetILNS1_3genE10ELNS1_11target_archE1201ELNS1_3gpuE5ELNS1_3repE0EEENS1_30default_config_static_selectorELNS0_4arch9wavefront6targetE1EEEvT1_
	.globl	_ZN7rocprim17ROCPRIM_400000_NS6detail17trampoline_kernelINS0_14default_configENS1_27scan_by_key_config_selectorIxxEEZZNS1_16scan_by_key_implILNS1_25lookback_scan_determinismE0ELb0ES3_N6thrust23THRUST_200600_302600_NS6detail15normal_iteratorINS9_10device_ptrIxEEEESE_SE_xNS9_4plusIvEENS9_8equal_toIxEExEE10hipError_tPvRmT2_T3_T4_T5_mT6_T7_P12ihipStream_tbENKUlT_T0_E_clISt17integral_constantIbLb0EESZ_EEDaSU_SV_EUlSU_E_NS1_11comp_targetILNS1_3genE10ELNS1_11target_archE1201ELNS1_3gpuE5ELNS1_3repE0EEENS1_30default_config_static_selectorELNS0_4arch9wavefront6targetE1EEEvT1_
	.p2align	8
	.type	_ZN7rocprim17ROCPRIM_400000_NS6detail17trampoline_kernelINS0_14default_configENS1_27scan_by_key_config_selectorIxxEEZZNS1_16scan_by_key_implILNS1_25lookback_scan_determinismE0ELb0ES3_N6thrust23THRUST_200600_302600_NS6detail15normal_iteratorINS9_10device_ptrIxEEEESE_SE_xNS9_4plusIvEENS9_8equal_toIxEExEE10hipError_tPvRmT2_T3_T4_T5_mT6_T7_P12ihipStream_tbENKUlT_T0_E_clISt17integral_constantIbLb0EESZ_EEDaSU_SV_EUlSU_E_NS1_11comp_targetILNS1_3genE10ELNS1_11target_archE1201ELNS1_3gpuE5ELNS1_3repE0EEENS1_30default_config_static_selectorELNS0_4arch9wavefront6targetE1EEEvT1_,@function
_ZN7rocprim17ROCPRIM_400000_NS6detail17trampoline_kernelINS0_14default_configENS1_27scan_by_key_config_selectorIxxEEZZNS1_16scan_by_key_implILNS1_25lookback_scan_determinismE0ELb0ES3_N6thrust23THRUST_200600_302600_NS6detail15normal_iteratorINS9_10device_ptrIxEEEESE_SE_xNS9_4plusIvEENS9_8equal_toIxEExEE10hipError_tPvRmT2_T3_T4_T5_mT6_T7_P12ihipStream_tbENKUlT_T0_E_clISt17integral_constantIbLb0EESZ_EEDaSU_SV_EUlSU_E_NS1_11comp_targetILNS1_3genE10ELNS1_11target_archE1201ELNS1_3gpuE5ELNS1_3repE0EEENS1_30default_config_static_selectorELNS0_4arch9wavefront6targetE1EEEvT1_: ; @_ZN7rocprim17ROCPRIM_400000_NS6detail17trampoline_kernelINS0_14default_configENS1_27scan_by_key_config_selectorIxxEEZZNS1_16scan_by_key_implILNS1_25lookback_scan_determinismE0ELb0ES3_N6thrust23THRUST_200600_302600_NS6detail15normal_iteratorINS9_10device_ptrIxEEEESE_SE_xNS9_4plusIvEENS9_8equal_toIxEExEE10hipError_tPvRmT2_T3_T4_T5_mT6_T7_P12ihipStream_tbENKUlT_T0_E_clISt17integral_constantIbLb0EESZ_EEDaSU_SV_EUlSU_E_NS1_11comp_targetILNS1_3genE10ELNS1_11target_archE1201ELNS1_3gpuE5ELNS1_3repE0EEENS1_30default_config_static_selectorELNS0_4arch9wavefront6targetE1EEEvT1_
; %bb.0:
	.section	.rodata,"a",@progbits
	.p2align	6, 0x0
	.amdhsa_kernel _ZN7rocprim17ROCPRIM_400000_NS6detail17trampoline_kernelINS0_14default_configENS1_27scan_by_key_config_selectorIxxEEZZNS1_16scan_by_key_implILNS1_25lookback_scan_determinismE0ELb0ES3_N6thrust23THRUST_200600_302600_NS6detail15normal_iteratorINS9_10device_ptrIxEEEESE_SE_xNS9_4plusIvEENS9_8equal_toIxEExEE10hipError_tPvRmT2_T3_T4_T5_mT6_T7_P12ihipStream_tbENKUlT_T0_E_clISt17integral_constantIbLb0EESZ_EEDaSU_SV_EUlSU_E_NS1_11comp_targetILNS1_3genE10ELNS1_11target_archE1201ELNS1_3gpuE5ELNS1_3repE0EEENS1_30default_config_static_selectorELNS0_4arch9wavefront6targetE1EEEvT1_
		.amdhsa_group_segment_fixed_size 0
		.amdhsa_private_segment_fixed_size 0
		.amdhsa_kernarg_size 136
		.amdhsa_user_sgpr_count 6
		.amdhsa_user_sgpr_private_segment_buffer 1
		.amdhsa_user_sgpr_dispatch_ptr 0
		.amdhsa_user_sgpr_queue_ptr 0
		.amdhsa_user_sgpr_kernarg_segment_ptr 1
		.amdhsa_user_sgpr_dispatch_id 0
		.amdhsa_user_sgpr_flat_scratch_init 0
		.amdhsa_user_sgpr_kernarg_preload_length 0
		.amdhsa_user_sgpr_kernarg_preload_offset 0
		.amdhsa_user_sgpr_private_segment_size 0
		.amdhsa_uses_dynamic_stack 0
		.amdhsa_system_sgpr_private_segment_wavefront_offset 0
		.amdhsa_system_sgpr_workgroup_id_x 1
		.amdhsa_system_sgpr_workgroup_id_y 0
		.amdhsa_system_sgpr_workgroup_id_z 0
		.amdhsa_system_sgpr_workgroup_info 0
		.amdhsa_system_vgpr_workitem_id 0
		.amdhsa_next_free_vgpr 1
		.amdhsa_next_free_sgpr 0
		.amdhsa_accum_offset 4
		.amdhsa_reserve_vcc 0
		.amdhsa_reserve_flat_scratch 0
		.amdhsa_float_round_mode_32 0
		.amdhsa_float_round_mode_16_64 0
		.amdhsa_float_denorm_mode_32 3
		.amdhsa_float_denorm_mode_16_64 3
		.amdhsa_dx10_clamp 1
		.amdhsa_ieee_mode 1
		.amdhsa_fp16_overflow 0
		.amdhsa_tg_split 0
		.amdhsa_exception_fp_ieee_invalid_op 0
		.amdhsa_exception_fp_denorm_src 0
		.amdhsa_exception_fp_ieee_div_zero 0
		.amdhsa_exception_fp_ieee_overflow 0
		.amdhsa_exception_fp_ieee_underflow 0
		.amdhsa_exception_fp_ieee_inexact 0
		.amdhsa_exception_int_div_zero 0
	.end_amdhsa_kernel
	.section	.text._ZN7rocprim17ROCPRIM_400000_NS6detail17trampoline_kernelINS0_14default_configENS1_27scan_by_key_config_selectorIxxEEZZNS1_16scan_by_key_implILNS1_25lookback_scan_determinismE0ELb0ES3_N6thrust23THRUST_200600_302600_NS6detail15normal_iteratorINS9_10device_ptrIxEEEESE_SE_xNS9_4plusIvEENS9_8equal_toIxEExEE10hipError_tPvRmT2_T3_T4_T5_mT6_T7_P12ihipStream_tbENKUlT_T0_E_clISt17integral_constantIbLb0EESZ_EEDaSU_SV_EUlSU_E_NS1_11comp_targetILNS1_3genE10ELNS1_11target_archE1201ELNS1_3gpuE5ELNS1_3repE0EEENS1_30default_config_static_selectorELNS0_4arch9wavefront6targetE1EEEvT1_,"axG",@progbits,_ZN7rocprim17ROCPRIM_400000_NS6detail17trampoline_kernelINS0_14default_configENS1_27scan_by_key_config_selectorIxxEEZZNS1_16scan_by_key_implILNS1_25lookback_scan_determinismE0ELb0ES3_N6thrust23THRUST_200600_302600_NS6detail15normal_iteratorINS9_10device_ptrIxEEEESE_SE_xNS9_4plusIvEENS9_8equal_toIxEExEE10hipError_tPvRmT2_T3_T4_T5_mT6_T7_P12ihipStream_tbENKUlT_T0_E_clISt17integral_constantIbLb0EESZ_EEDaSU_SV_EUlSU_E_NS1_11comp_targetILNS1_3genE10ELNS1_11target_archE1201ELNS1_3gpuE5ELNS1_3repE0EEENS1_30default_config_static_selectorELNS0_4arch9wavefront6targetE1EEEvT1_,comdat
.Lfunc_end84:
	.size	_ZN7rocprim17ROCPRIM_400000_NS6detail17trampoline_kernelINS0_14default_configENS1_27scan_by_key_config_selectorIxxEEZZNS1_16scan_by_key_implILNS1_25lookback_scan_determinismE0ELb0ES3_N6thrust23THRUST_200600_302600_NS6detail15normal_iteratorINS9_10device_ptrIxEEEESE_SE_xNS9_4plusIvEENS9_8equal_toIxEExEE10hipError_tPvRmT2_T3_T4_T5_mT6_T7_P12ihipStream_tbENKUlT_T0_E_clISt17integral_constantIbLb0EESZ_EEDaSU_SV_EUlSU_E_NS1_11comp_targetILNS1_3genE10ELNS1_11target_archE1201ELNS1_3gpuE5ELNS1_3repE0EEENS1_30default_config_static_selectorELNS0_4arch9wavefront6targetE1EEEvT1_, .Lfunc_end84-_ZN7rocprim17ROCPRIM_400000_NS6detail17trampoline_kernelINS0_14default_configENS1_27scan_by_key_config_selectorIxxEEZZNS1_16scan_by_key_implILNS1_25lookback_scan_determinismE0ELb0ES3_N6thrust23THRUST_200600_302600_NS6detail15normal_iteratorINS9_10device_ptrIxEEEESE_SE_xNS9_4plusIvEENS9_8equal_toIxEExEE10hipError_tPvRmT2_T3_T4_T5_mT6_T7_P12ihipStream_tbENKUlT_T0_E_clISt17integral_constantIbLb0EESZ_EEDaSU_SV_EUlSU_E_NS1_11comp_targetILNS1_3genE10ELNS1_11target_archE1201ELNS1_3gpuE5ELNS1_3repE0EEENS1_30default_config_static_selectorELNS0_4arch9wavefront6targetE1EEEvT1_
                                        ; -- End function
	.section	.AMDGPU.csdata,"",@progbits
; Kernel info:
; codeLenInByte = 0
; NumSgprs: 4
; NumVgprs: 0
; NumAgprs: 0
; TotalNumVgprs: 0
; ScratchSize: 0
; MemoryBound: 0
; FloatMode: 240
; IeeeMode: 1
; LDSByteSize: 0 bytes/workgroup (compile time only)
; SGPRBlocks: 0
; VGPRBlocks: 0
; NumSGPRsForWavesPerEU: 4
; NumVGPRsForWavesPerEU: 1
; AccumOffset: 4
; Occupancy: 8
; WaveLimiterHint : 0
; COMPUTE_PGM_RSRC2:SCRATCH_EN: 0
; COMPUTE_PGM_RSRC2:USER_SGPR: 6
; COMPUTE_PGM_RSRC2:TRAP_HANDLER: 0
; COMPUTE_PGM_RSRC2:TGID_X_EN: 1
; COMPUTE_PGM_RSRC2:TGID_Y_EN: 0
; COMPUTE_PGM_RSRC2:TGID_Z_EN: 0
; COMPUTE_PGM_RSRC2:TIDIG_COMP_CNT: 0
; COMPUTE_PGM_RSRC3_GFX90A:ACCUM_OFFSET: 0
; COMPUTE_PGM_RSRC3_GFX90A:TG_SPLIT: 0
	.section	.text._ZN7rocprim17ROCPRIM_400000_NS6detail17trampoline_kernelINS0_14default_configENS1_27scan_by_key_config_selectorIxxEEZZNS1_16scan_by_key_implILNS1_25lookback_scan_determinismE0ELb0ES3_N6thrust23THRUST_200600_302600_NS6detail15normal_iteratorINS9_10device_ptrIxEEEESE_SE_xNS9_4plusIvEENS9_8equal_toIxEExEE10hipError_tPvRmT2_T3_T4_T5_mT6_T7_P12ihipStream_tbENKUlT_T0_E_clISt17integral_constantIbLb0EESZ_EEDaSU_SV_EUlSU_E_NS1_11comp_targetILNS1_3genE5ELNS1_11target_archE942ELNS1_3gpuE9ELNS1_3repE0EEENS1_30default_config_static_selectorELNS0_4arch9wavefront6targetE1EEEvT1_,"axG",@progbits,_ZN7rocprim17ROCPRIM_400000_NS6detail17trampoline_kernelINS0_14default_configENS1_27scan_by_key_config_selectorIxxEEZZNS1_16scan_by_key_implILNS1_25lookback_scan_determinismE0ELb0ES3_N6thrust23THRUST_200600_302600_NS6detail15normal_iteratorINS9_10device_ptrIxEEEESE_SE_xNS9_4plusIvEENS9_8equal_toIxEExEE10hipError_tPvRmT2_T3_T4_T5_mT6_T7_P12ihipStream_tbENKUlT_T0_E_clISt17integral_constantIbLb0EESZ_EEDaSU_SV_EUlSU_E_NS1_11comp_targetILNS1_3genE5ELNS1_11target_archE942ELNS1_3gpuE9ELNS1_3repE0EEENS1_30default_config_static_selectorELNS0_4arch9wavefront6targetE1EEEvT1_,comdat
	.protected	_ZN7rocprim17ROCPRIM_400000_NS6detail17trampoline_kernelINS0_14default_configENS1_27scan_by_key_config_selectorIxxEEZZNS1_16scan_by_key_implILNS1_25lookback_scan_determinismE0ELb0ES3_N6thrust23THRUST_200600_302600_NS6detail15normal_iteratorINS9_10device_ptrIxEEEESE_SE_xNS9_4plusIvEENS9_8equal_toIxEExEE10hipError_tPvRmT2_T3_T4_T5_mT6_T7_P12ihipStream_tbENKUlT_T0_E_clISt17integral_constantIbLb0EESZ_EEDaSU_SV_EUlSU_E_NS1_11comp_targetILNS1_3genE5ELNS1_11target_archE942ELNS1_3gpuE9ELNS1_3repE0EEENS1_30default_config_static_selectorELNS0_4arch9wavefront6targetE1EEEvT1_ ; -- Begin function _ZN7rocprim17ROCPRIM_400000_NS6detail17trampoline_kernelINS0_14default_configENS1_27scan_by_key_config_selectorIxxEEZZNS1_16scan_by_key_implILNS1_25lookback_scan_determinismE0ELb0ES3_N6thrust23THRUST_200600_302600_NS6detail15normal_iteratorINS9_10device_ptrIxEEEESE_SE_xNS9_4plusIvEENS9_8equal_toIxEExEE10hipError_tPvRmT2_T3_T4_T5_mT6_T7_P12ihipStream_tbENKUlT_T0_E_clISt17integral_constantIbLb0EESZ_EEDaSU_SV_EUlSU_E_NS1_11comp_targetILNS1_3genE5ELNS1_11target_archE942ELNS1_3gpuE9ELNS1_3repE0EEENS1_30default_config_static_selectorELNS0_4arch9wavefront6targetE1EEEvT1_
	.globl	_ZN7rocprim17ROCPRIM_400000_NS6detail17trampoline_kernelINS0_14default_configENS1_27scan_by_key_config_selectorIxxEEZZNS1_16scan_by_key_implILNS1_25lookback_scan_determinismE0ELb0ES3_N6thrust23THRUST_200600_302600_NS6detail15normal_iteratorINS9_10device_ptrIxEEEESE_SE_xNS9_4plusIvEENS9_8equal_toIxEExEE10hipError_tPvRmT2_T3_T4_T5_mT6_T7_P12ihipStream_tbENKUlT_T0_E_clISt17integral_constantIbLb0EESZ_EEDaSU_SV_EUlSU_E_NS1_11comp_targetILNS1_3genE5ELNS1_11target_archE942ELNS1_3gpuE9ELNS1_3repE0EEENS1_30default_config_static_selectorELNS0_4arch9wavefront6targetE1EEEvT1_
	.p2align	8
	.type	_ZN7rocprim17ROCPRIM_400000_NS6detail17trampoline_kernelINS0_14default_configENS1_27scan_by_key_config_selectorIxxEEZZNS1_16scan_by_key_implILNS1_25lookback_scan_determinismE0ELb0ES3_N6thrust23THRUST_200600_302600_NS6detail15normal_iteratorINS9_10device_ptrIxEEEESE_SE_xNS9_4plusIvEENS9_8equal_toIxEExEE10hipError_tPvRmT2_T3_T4_T5_mT6_T7_P12ihipStream_tbENKUlT_T0_E_clISt17integral_constantIbLb0EESZ_EEDaSU_SV_EUlSU_E_NS1_11comp_targetILNS1_3genE5ELNS1_11target_archE942ELNS1_3gpuE9ELNS1_3repE0EEENS1_30default_config_static_selectorELNS0_4arch9wavefront6targetE1EEEvT1_,@function
_ZN7rocprim17ROCPRIM_400000_NS6detail17trampoline_kernelINS0_14default_configENS1_27scan_by_key_config_selectorIxxEEZZNS1_16scan_by_key_implILNS1_25lookback_scan_determinismE0ELb0ES3_N6thrust23THRUST_200600_302600_NS6detail15normal_iteratorINS9_10device_ptrIxEEEESE_SE_xNS9_4plusIvEENS9_8equal_toIxEExEE10hipError_tPvRmT2_T3_T4_T5_mT6_T7_P12ihipStream_tbENKUlT_T0_E_clISt17integral_constantIbLb0EESZ_EEDaSU_SV_EUlSU_E_NS1_11comp_targetILNS1_3genE5ELNS1_11target_archE942ELNS1_3gpuE9ELNS1_3repE0EEENS1_30default_config_static_selectorELNS0_4arch9wavefront6targetE1EEEvT1_: ; @_ZN7rocprim17ROCPRIM_400000_NS6detail17trampoline_kernelINS0_14default_configENS1_27scan_by_key_config_selectorIxxEEZZNS1_16scan_by_key_implILNS1_25lookback_scan_determinismE0ELb0ES3_N6thrust23THRUST_200600_302600_NS6detail15normal_iteratorINS9_10device_ptrIxEEEESE_SE_xNS9_4plusIvEENS9_8equal_toIxEExEE10hipError_tPvRmT2_T3_T4_T5_mT6_T7_P12ihipStream_tbENKUlT_T0_E_clISt17integral_constantIbLb0EESZ_EEDaSU_SV_EUlSU_E_NS1_11comp_targetILNS1_3genE5ELNS1_11target_archE942ELNS1_3gpuE9ELNS1_3repE0EEENS1_30default_config_static_selectorELNS0_4arch9wavefront6targetE1EEEvT1_
; %bb.0:
	.section	.rodata,"a",@progbits
	.p2align	6, 0x0
	.amdhsa_kernel _ZN7rocprim17ROCPRIM_400000_NS6detail17trampoline_kernelINS0_14default_configENS1_27scan_by_key_config_selectorIxxEEZZNS1_16scan_by_key_implILNS1_25lookback_scan_determinismE0ELb0ES3_N6thrust23THRUST_200600_302600_NS6detail15normal_iteratorINS9_10device_ptrIxEEEESE_SE_xNS9_4plusIvEENS9_8equal_toIxEExEE10hipError_tPvRmT2_T3_T4_T5_mT6_T7_P12ihipStream_tbENKUlT_T0_E_clISt17integral_constantIbLb0EESZ_EEDaSU_SV_EUlSU_E_NS1_11comp_targetILNS1_3genE5ELNS1_11target_archE942ELNS1_3gpuE9ELNS1_3repE0EEENS1_30default_config_static_selectorELNS0_4arch9wavefront6targetE1EEEvT1_
		.amdhsa_group_segment_fixed_size 0
		.amdhsa_private_segment_fixed_size 0
		.amdhsa_kernarg_size 136
		.amdhsa_user_sgpr_count 6
		.amdhsa_user_sgpr_private_segment_buffer 1
		.amdhsa_user_sgpr_dispatch_ptr 0
		.amdhsa_user_sgpr_queue_ptr 0
		.amdhsa_user_sgpr_kernarg_segment_ptr 1
		.amdhsa_user_sgpr_dispatch_id 0
		.amdhsa_user_sgpr_flat_scratch_init 0
		.amdhsa_user_sgpr_kernarg_preload_length 0
		.amdhsa_user_sgpr_kernarg_preload_offset 0
		.amdhsa_user_sgpr_private_segment_size 0
		.amdhsa_uses_dynamic_stack 0
		.amdhsa_system_sgpr_private_segment_wavefront_offset 0
		.amdhsa_system_sgpr_workgroup_id_x 1
		.amdhsa_system_sgpr_workgroup_id_y 0
		.amdhsa_system_sgpr_workgroup_id_z 0
		.amdhsa_system_sgpr_workgroup_info 0
		.amdhsa_system_vgpr_workitem_id 0
		.amdhsa_next_free_vgpr 1
		.amdhsa_next_free_sgpr 0
		.amdhsa_accum_offset 4
		.amdhsa_reserve_vcc 0
		.amdhsa_reserve_flat_scratch 0
		.amdhsa_float_round_mode_32 0
		.amdhsa_float_round_mode_16_64 0
		.amdhsa_float_denorm_mode_32 3
		.amdhsa_float_denorm_mode_16_64 3
		.amdhsa_dx10_clamp 1
		.amdhsa_ieee_mode 1
		.amdhsa_fp16_overflow 0
		.amdhsa_tg_split 0
		.amdhsa_exception_fp_ieee_invalid_op 0
		.amdhsa_exception_fp_denorm_src 0
		.amdhsa_exception_fp_ieee_div_zero 0
		.amdhsa_exception_fp_ieee_overflow 0
		.amdhsa_exception_fp_ieee_underflow 0
		.amdhsa_exception_fp_ieee_inexact 0
		.amdhsa_exception_int_div_zero 0
	.end_amdhsa_kernel
	.section	.text._ZN7rocprim17ROCPRIM_400000_NS6detail17trampoline_kernelINS0_14default_configENS1_27scan_by_key_config_selectorIxxEEZZNS1_16scan_by_key_implILNS1_25lookback_scan_determinismE0ELb0ES3_N6thrust23THRUST_200600_302600_NS6detail15normal_iteratorINS9_10device_ptrIxEEEESE_SE_xNS9_4plusIvEENS9_8equal_toIxEExEE10hipError_tPvRmT2_T3_T4_T5_mT6_T7_P12ihipStream_tbENKUlT_T0_E_clISt17integral_constantIbLb0EESZ_EEDaSU_SV_EUlSU_E_NS1_11comp_targetILNS1_3genE5ELNS1_11target_archE942ELNS1_3gpuE9ELNS1_3repE0EEENS1_30default_config_static_selectorELNS0_4arch9wavefront6targetE1EEEvT1_,"axG",@progbits,_ZN7rocprim17ROCPRIM_400000_NS6detail17trampoline_kernelINS0_14default_configENS1_27scan_by_key_config_selectorIxxEEZZNS1_16scan_by_key_implILNS1_25lookback_scan_determinismE0ELb0ES3_N6thrust23THRUST_200600_302600_NS6detail15normal_iteratorINS9_10device_ptrIxEEEESE_SE_xNS9_4plusIvEENS9_8equal_toIxEExEE10hipError_tPvRmT2_T3_T4_T5_mT6_T7_P12ihipStream_tbENKUlT_T0_E_clISt17integral_constantIbLb0EESZ_EEDaSU_SV_EUlSU_E_NS1_11comp_targetILNS1_3genE5ELNS1_11target_archE942ELNS1_3gpuE9ELNS1_3repE0EEENS1_30default_config_static_selectorELNS0_4arch9wavefront6targetE1EEEvT1_,comdat
.Lfunc_end85:
	.size	_ZN7rocprim17ROCPRIM_400000_NS6detail17trampoline_kernelINS0_14default_configENS1_27scan_by_key_config_selectorIxxEEZZNS1_16scan_by_key_implILNS1_25lookback_scan_determinismE0ELb0ES3_N6thrust23THRUST_200600_302600_NS6detail15normal_iteratorINS9_10device_ptrIxEEEESE_SE_xNS9_4plusIvEENS9_8equal_toIxEExEE10hipError_tPvRmT2_T3_T4_T5_mT6_T7_P12ihipStream_tbENKUlT_T0_E_clISt17integral_constantIbLb0EESZ_EEDaSU_SV_EUlSU_E_NS1_11comp_targetILNS1_3genE5ELNS1_11target_archE942ELNS1_3gpuE9ELNS1_3repE0EEENS1_30default_config_static_selectorELNS0_4arch9wavefront6targetE1EEEvT1_, .Lfunc_end85-_ZN7rocprim17ROCPRIM_400000_NS6detail17trampoline_kernelINS0_14default_configENS1_27scan_by_key_config_selectorIxxEEZZNS1_16scan_by_key_implILNS1_25lookback_scan_determinismE0ELb0ES3_N6thrust23THRUST_200600_302600_NS6detail15normal_iteratorINS9_10device_ptrIxEEEESE_SE_xNS9_4plusIvEENS9_8equal_toIxEExEE10hipError_tPvRmT2_T3_T4_T5_mT6_T7_P12ihipStream_tbENKUlT_T0_E_clISt17integral_constantIbLb0EESZ_EEDaSU_SV_EUlSU_E_NS1_11comp_targetILNS1_3genE5ELNS1_11target_archE942ELNS1_3gpuE9ELNS1_3repE0EEENS1_30default_config_static_selectorELNS0_4arch9wavefront6targetE1EEEvT1_
                                        ; -- End function
	.section	.AMDGPU.csdata,"",@progbits
; Kernel info:
; codeLenInByte = 0
; NumSgprs: 4
; NumVgprs: 0
; NumAgprs: 0
; TotalNumVgprs: 0
; ScratchSize: 0
; MemoryBound: 0
; FloatMode: 240
; IeeeMode: 1
; LDSByteSize: 0 bytes/workgroup (compile time only)
; SGPRBlocks: 0
; VGPRBlocks: 0
; NumSGPRsForWavesPerEU: 4
; NumVGPRsForWavesPerEU: 1
; AccumOffset: 4
; Occupancy: 8
; WaveLimiterHint : 0
; COMPUTE_PGM_RSRC2:SCRATCH_EN: 0
; COMPUTE_PGM_RSRC2:USER_SGPR: 6
; COMPUTE_PGM_RSRC2:TRAP_HANDLER: 0
; COMPUTE_PGM_RSRC2:TGID_X_EN: 1
; COMPUTE_PGM_RSRC2:TGID_Y_EN: 0
; COMPUTE_PGM_RSRC2:TGID_Z_EN: 0
; COMPUTE_PGM_RSRC2:TIDIG_COMP_CNT: 0
; COMPUTE_PGM_RSRC3_GFX90A:ACCUM_OFFSET: 0
; COMPUTE_PGM_RSRC3_GFX90A:TG_SPLIT: 0
	.section	.text._ZN7rocprim17ROCPRIM_400000_NS6detail17trampoline_kernelINS0_14default_configENS1_27scan_by_key_config_selectorIxxEEZZNS1_16scan_by_key_implILNS1_25lookback_scan_determinismE0ELb0ES3_N6thrust23THRUST_200600_302600_NS6detail15normal_iteratorINS9_10device_ptrIxEEEESE_SE_xNS9_4plusIvEENS9_8equal_toIxEExEE10hipError_tPvRmT2_T3_T4_T5_mT6_T7_P12ihipStream_tbENKUlT_T0_E_clISt17integral_constantIbLb0EESZ_EEDaSU_SV_EUlSU_E_NS1_11comp_targetILNS1_3genE4ELNS1_11target_archE910ELNS1_3gpuE8ELNS1_3repE0EEENS1_30default_config_static_selectorELNS0_4arch9wavefront6targetE1EEEvT1_,"axG",@progbits,_ZN7rocprim17ROCPRIM_400000_NS6detail17trampoline_kernelINS0_14default_configENS1_27scan_by_key_config_selectorIxxEEZZNS1_16scan_by_key_implILNS1_25lookback_scan_determinismE0ELb0ES3_N6thrust23THRUST_200600_302600_NS6detail15normal_iteratorINS9_10device_ptrIxEEEESE_SE_xNS9_4plusIvEENS9_8equal_toIxEExEE10hipError_tPvRmT2_T3_T4_T5_mT6_T7_P12ihipStream_tbENKUlT_T0_E_clISt17integral_constantIbLb0EESZ_EEDaSU_SV_EUlSU_E_NS1_11comp_targetILNS1_3genE4ELNS1_11target_archE910ELNS1_3gpuE8ELNS1_3repE0EEENS1_30default_config_static_selectorELNS0_4arch9wavefront6targetE1EEEvT1_,comdat
	.protected	_ZN7rocprim17ROCPRIM_400000_NS6detail17trampoline_kernelINS0_14default_configENS1_27scan_by_key_config_selectorIxxEEZZNS1_16scan_by_key_implILNS1_25lookback_scan_determinismE0ELb0ES3_N6thrust23THRUST_200600_302600_NS6detail15normal_iteratorINS9_10device_ptrIxEEEESE_SE_xNS9_4plusIvEENS9_8equal_toIxEExEE10hipError_tPvRmT2_T3_T4_T5_mT6_T7_P12ihipStream_tbENKUlT_T0_E_clISt17integral_constantIbLb0EESZ_EEDaSU_SV_EUlSU_E_NS1_11comp_targetILNS1_3genE4ELNS1_11target_archE910ELNS1_3gpuE8ELNS1_3repE0EEENS1_30default_config_static_selectorELNS0_4arch9wavefront6targetE1EEEvT1_ ; -- Begin function _ZN7rocprim17ROCPRIM_400000_NS6detail17trampoline_kernelINS0_14default_configENS1_27scan_by_key_config_selectorIxxEEZZNS1_16scan_by_key_implILNS1_25lookback_scan_determinismE0ELb0ES3_N6thrust23THRUST_200600_302600_NS6detail15normal_iteratorINS9_10device_ptrIxEEEESE_SE_xNS9_4plusIvEENS9_8equal_toIxEExEE10hipError_tPvRmT2_T3_T4_T5_mT6_T7_P12ihipStream_tbENKUlT_T0_E_clISt17integral_constantIbLb0EESZ_EEDaSU_SV_EUlSU_E_NS1_11comp_targetILNS1_3genE4ELNS1_11target_archE910ELNS1_3gpuE8ELNS1_3repE0EEENS1_30default_config_static_selectorELNS0_4arch9wavefront6targetE1EEEvT1_
	.globl	_ZN7rocprim17ROCPRIM_400000_NS6detail17trampoline_kernelINS0_14default_configENS1_27scan_by_key_config_selectorIxxEEZZNS1_16scan_by_key_implILNS1_25lookback_scan_determinismE0ELb0ES3_N6thrust23THRUST_200600_302600_NS6detail15normal_iteratorINS9_10device_ptrIxEEEESE_SE_xNS9_4plusIvEENS9_8equal_toIxEExEE10hipError_tPvRmT2_T3_T4_T5_mT6_T7_P12ihipStream_tbENKUlT_T0_E_clISt17integral_constantIbLb0EESZ_EEDaSU_SV_EUlSU_E_NS1_11comp_targetILNS1_3genE4ELNS1_11target_archE910ELNS1_3gpuE8ELNS1_3repE0EEENS1_30default_config_static_selectorELNS0_4arch9wavefront6targetE1EEEvT1_
	.p2align	8
	.type	_ZN7rocprim17ROCPRIM_400000_NS6detail17trampoline_kernelINS0_14default_configENS1_27scan_by_key_config_selectorIxxEEZZNS1_16scan_by_key_implILNS1_25lookback_scan_determinismE0ELb0ES3_N6thrust23THRUST_200600_302600_NS6detail15normal_iteratorINS9_10device_ptrIxEEEESE_SE_xNS9_4plusIvEENS9_8equal_toIxEExEE10hipError_tPvRmT2_T3_T4_T5_mT6_T7_P12ihipStream_tbENKUlT_T0_E_clISt17integral_constantIbLb0EESZ_EEDaSU_SV_EUlSU_E_NS1_11comp_targetILNS1_3genE4ELNS1_11target_archE910ELNS1_3gpuE8ELNS1_3repE0EEENS1_30default_config_static_selectorELNS0_4arch9wavefront6targetE1EEEvT1_,@function
_ZN7rocprim17ROCPRIM_400000_NS6detail17trampoline_kernelINS0_14default_configENS1_27scan_by_key_config_selectorIxxEEZZNS1_16scan_by_key_implILNS1_25lookback_scan_determinismE0ELb0ES3_N6thrust23THRUST_200600_302600_NS6detail15normal_iteratorINS9_10device_ptrIxEEEESE_SE_xNS9_4plusIvEENS9_8equal_toIxEExEE10hipError_tPvRmT2_T3_T4_T5_mT6_T7_P12ihipStream_tbENKUlT_T0_E_clISt17integral_constantIbLb0EESZ_EEDaSU_SV_EUlSU_E_NS1_11comp_targetILNS1_3genE4ELNS1_11target_archE910ELNS1_3gpuE8ELNS1_3repE0EEENS1_30default_config_static_selectorELNS0_4arch9wavefront6targetE1EEEvT1_: ; @_ZN7rocprim17ROCPRIM_400000_NS6detail17trampoline_kernelINS0_14default_configENS1_27scan_by_key_config_selectorIxxEEZZNS1_16scan_by_key_implILNS1_25lookback_scan_determinismE0ELb0ES3_N6thrust23THRUST_200600_302600_NS6detail15normal_iteratorINS9_10device_ptrIxEEEESE_SE_xNS9_4plusIvEENS9_8equal_toIxEExEE10hipError_tPvRmT2_T3_T4_T5_mT6_T7_P12ihipStream_tbENKUlT_T0_E_clISt17integral_constantIbLb0EESZ_EEDaSU_SV_EUlSU_E_NS1_11comp_targetILNS1_3genE4ELNS1_11target_archE910ELNS1_3gpuE8ELNS1_3repE0EEENS1_30default_config_static_selectorELNS0_4arch9wavefront6targetE1EEEvT1_
; %bb.0:
	s_load_dwordx8 s[40:47], s[4:5], 0x0
	s_load_dwordx8 s[48:55], s[4:5], 0x30
	s_load_dwordx2 s[66:67], s[4:5], 0x50
	s_load_dword s0, s[4:5], 0x58
	s_load_dwordx8 s[56:63], s[4:5], 0x60
	s_waitcnt lgkmcnt(0)
	s_lshl_b64 s[64:65], s[42:43], 3
	s_add_u32 s2, s40, s64
	s_addc_u32 s3, s41, s65
	s_add_u32 s4, s44, s64
	s_mul_i32 s1, s67, s0
	s_mul_hi_u32 s7, s66, s0
	s_addc_u32 s5, s45, s65
	s_add_i32 s8, s7, s1
	s_mul_i32 s9, s66, s0
	s_cmp_lg_u64 s[60:61], 0
	s_mul_i32 s0, s6, 0x4c0
	s_mov_b32 s1, 0
	s_cselect_b64 s[68:69], -1, 0
	s_lshl_b64 s[60:61], s[0:1], 3
	s_add_u32 s44, s2, s60
	s_addc_u32 s45, s3, s61
	s_add_u32 s7, s4, s60
	s_addc_u32 s55, s5, s61
	;; [unrolled: 2-line block ×3, first 2 shown]
	s_add_u32 s2, s56, -1
	s_addc_u32 s3, s57, -1
	v_pk_mov_b32 v[2:3], s[2:3], s[2:3] op_sel:[0,1]
	v_cmp_ge_u64_e64 s[0:1], s[70:71], v[2:3]
	s_mov_b64 s[10:11], 0
	s_mov_b64 s[4:5], -1
	s_and_b64 vcc, exec, s[0:1]
	s_mul_i32 s33, s2, 0xfffffb40
	s_waitcnt lgkmcnt(0)
	; wave barrier
	s_cbranch_vccz .LBB86_102
; %bb.1:
	v_pk_mov_b32 v[2:3], s[44:45], s[44:45] op_sel:[0,1]
	flat_load_dwordx2 v[2:3], v[2:3]
	s_add_i32 s77, s33, s54
	v_cmp_gt_u32_e64 s[2:3], s77, v0
	s_waitcnt vmcnt(0) lgkmcnt(0)
	v_pk_mov_b32 v[4:5], v[2:3], v[2:3] op_sel:[0,1]
	s_and_saveexec_b64 s[4:5], s[2:3]
	s_cbranch_execz .LBB86_3
; %bb.2:
	v_lshlrev_b32_e32 v1, 3, v0
	v_mov_b32_e32 v5, s45
	v_add_co_u32_e32 v4, vcc, s44, v1
	v_addc_co_u32_e32 v5, vcc, 0, v5, vcc
	flat_load_dwordx2 v[4:5], v[4:5]
.LBB86_3:
	s_or_b64 exec, exec, s[4:5]
	v_or_b32_e32 v1, 64, v0
	v_cmp_gt_u32_e64 s[4:5], s77, v1
	v_pk_mov_b32 v[6:7], v[2:3], v[2:3] op_sel:[0,1]
	s_and_saveexec_b64 s[8:9], s[4:5]
	s_cbranch_execz .LBB86_5
; %bb.4:
	v_lshlrev_b32_e32 v1, 3, v0
	v_mov_b32_e32 v7, s45
	v_add_co_u32_e32 v6, vcc, s44, v1
	v_addc_co_u32_e32 v7, vcc, 0, v7, vcc
	flat_load_dwordx2 v[6:7], v[6:7] offset:512
.LBB86_5:
	s_or_b64 exec, exec, s[8:9]
	v_or_b32_e32 v1, 0x80, v0
	v_cmp_gt_u32_e64 s[42:43], s77, v1
	v_pk_mov_b32 v[8:9], v[2:3], v[2:3] op_sel:[0,1]
	s_and_saveexec_b64 s[8:9], s[42:43]
	s_cbranch_execz .LBB86_7
; %bb.6:
	v_lshlrev_b32_e32 v1, 3, v0
	v_mov_b32_e32 v9, s45
	v_add_co_u32_e32 v8, vcc, s44, v1
	v_addc_co_u32_e32 v9, vcc, 0, v9, vcc
	flat_load_dwordx2 v[8:9], v[8:9] offset:1024
.LBB86_7:
	;; [unrolled: 13-line block ×7, first 2 shown]
	s_or_b64 exec, exec, s[18:19]
	v_or_b32_e32 v1, 0x200, v0
	v_cmp_gt_u32_e64 s[18:19], s77, v1
	v_lshlrev_b32_e32 v1, 3, v1
	v_pk_mov_b32 v[20:21], v[2:3], v[2:3] op_sel:[0,1]
	s_and_saveexec_b64 s[20:21], s[18:19]
	s_cbranch_execz .LBB86_19
; %bb.18:
	v_mov_b32_e32 v21, s45
	v_add_co_u32_e32 v20, vcc, s44, v1
	v_addc_co_u32_e32 v21, vcc, 0, v21, vcc
	flat_load_dwordx2 v[20:21], v[20:21]
.LBB86_19:
	s_or_b64 exec, exec, s[20:21]
	v_or_b32_e32 v22, 0x240, v0
	v_cmp_gt_u32_e64 s[20:21], s77, v22
	v_lshlrev_b32_e32 v40, 3, v22
	v_pk_mov_b32 v[22:23], v[2:3], v[2:3] op_sel:[0,1]
	s_and_saveexec_b64 s[22:23], s[20:21]
	s_cbranch_execz .LBB86_21
; %bb.20:
	v_mov_b32_e32 v23, s45
	v_add_co_u32_e32 v22, vcc, s44, v40
	v_addc_co_u32_e32 v23, vcc, 0, v23, vcc
	flat_load_dwordx2 v[22:23], v[22:23]
.LBB86_21:
	;; [unrolled: 13-line block ×10, first 2 shown]
	s_or_b64 exec, exec, s[40:41]
	v_or_b32_e32 v48, 0x480, v0
	v_cmp_gt_u32_e64 s[40:41], s77, v48
	v_lshlrev_b32_e32 v51, 3, v48
	s_and_saveexec_b64 s[56:57], s[40:41]
	s_cbranch_execz .LBB86_39
; %bb.38:
	v_mov_b32_e32 v3, s45
	v_add_co_u32_e32 v2, vcc, s44, v51
	v_addc_co_u32_e32 v3, vcc, 0, v3, vcc
	flat_load_dwordx2 v[2:3], v[2:3]
.LBB86_39:
	s_or_b64 exec, exec, s[56:57]
	v_lshlrev_b32_e32 v50, 3, v0
	s_movk_i32 s56, 0x90
	v_mad_u32_u24 v48, v0, s56, v50
	s_waitcnt vmcnt(0) lgkmcnt(0)
	ds_write2st64_b64 v50, v[4:5], v[6:7] offset1:1
	ds_write2st64_b64 v50, v[8:9], v[10:11] offset0:2 offset1:3
	ds_write2st64_b64 v50, v[12:13], v[14:15] offset0:4 offset1:5
	;; [unrolled: 1-line block ×8, first 2 shown]
	ds_write_b64 v50, v[2:3] offset:9216
	s_waitcnt lgkmcnt(0)
	; wave barrier
	s_waitcnt lgkmcnt(0)
	ds_read2_b64 v[106:109], v48 offset1:1
	ds_read2_b64 v[102:105], v48 offset0:2 offset1:3
	ds_read2_b64 v[98:101], v48 offset0:4 offset1:5
	;; [unrolled: 1-line block ×8, first 2 shown]
	ds_read_b64 v[4:5], v48 offset:144
	s_cmp_eq_u64 s[70:71], 0
	s_mov_b64 s[56:57], s[44:45]
	s_cbranch_scc1 .LBB86_43
; %bb.40:
	s_andn2_b64 vcc, exec, s[68:69]
	s_cbranch_vccnz .LBB86_255
; %bb.41:
	s_lshl_b64 s[56:57], s[70:71], 3
	s_add_u32 s56, s62, s56
	s_addc_u32 s57, s63, s57
	s_add_u32 s56, s56, -8
	s_addc_u32 s57, s57, -1
	s_cbranch_execnz .LBB86_43
.LBB86_42:
	s_add_u32 s56, s44, -8
	s_addc_u32 s57, s45, -1
.LBB86_43:
	v_pk_mov_b32 v[2:3], s[56:57], s[56:57] op_sel:[0,1]
	flat_load_dwordx2 v[8:9], v[2:3]
	s_movk_i32 s56, 0xff70
	v_mad_i32_i24 v2, v0, s56, v48
	v_cmp_ne_u32_e32 vcc, 0, v0
	s_waitcnt lgkmcnt(0)
	ds_write_b64 v2, v[4:5] offset:9728
	s_waitcnt lgkmcnt(0)
	; wave barrier
	s_waitcnt lgkmcnt(0)
	s_and_saveexec_b64 s[56:57], vcc
	s_cbranch_execz .LBB86_45
; %bb.44:
	v_mul_i32_i24_e32 v2, 0xffffff70, v0
	v_add_u32_e32 v2, v48, v2
	s_waitcnt vmcnt(0)
	ds_read_b64 v[8:9], v2 offset:9720
.LBB86_45:
	s_or_b64 exec, exec, s[56:57]
	s_waitcnt lgkmcnt(0)
	; wave barrier
	s_waitcnt lgkmcnt(0)
                                        ; implicit-def: $vgpr2_vgpr3
	s_and_saveexec_b64 s[56:57], s[2:3]
	s_cbranch_execnz .LBB86_237
; %bb.46:
	s_or_b64 exec, exec, s[56:57]
                                        ; implicit-def: $vgpr6_vgpr7
	s_and_saveexec_b64 s[2:3], s[4:5]
	s_cbranch_execnz .LBB86_238
.LBB86_47:
	s_or_b64 exec, exec, s[2:3]
                                        ; implicit-def: $vgpr10_vgpr11
	s_and_saveexec_b64 s[2:3], s[42:43]
	s_cbranch_execnz .LBB86_239
.LBB86_48:
	s_or_b64 exec, exec, s[2:3]
                                        ; implicit-def: $vgpr12_vgpr13
	s_and_saveexec_b64 s[2:3], s[8:9]
	s_cbranch_execnz .LBB86_240
.LBB86_49:
	s_or_b64 exec, exec, s[2:3]
                                        ; implicit-def: $vgpr14_vgpr15
	s_and_saveexec_b64 s[2:3], s[10:11]
	s_cbranch_execnz .LBB86_241
.LBB86_50:
	s_or_b64 exec, exec, s[2:3]
                                        ; implicit-def: $vgpr16_vgpr17
	s_and_saveexec_b64 s[2:3], s[12:13]
	s_cbranch_execnz .LBB86_242
.LBB86_51:
	s_or_b64 exec, exec, s[2:3]
                                        ; implicit-def: $vgpr18_vgpr19
	s_and_saveexec_b64 s[2:3], s[14:15]
	s_cbranch_execnz .LBB86_243
.LBB86_52:
	s_or_b64 exec, exec, s[2:3]
                                        ; implicit-def: $vgpr20_vgpr21
	s_and_saveexec_b64 s[2:3], s[16:17]
	s_cbranch_execnz .LBB86_244
.LBB86_53:
	s_or_b64 exec, exec, s[2:3]
                                        ; implicit-def: $vgpr22_vgpr23
	s_and_saveexec_b64 s[2:3], s[18:19]
	s_cbranch_execnz .LBB86_245
.LBB86_54:
	s_or_b64 exec, exec, s[2:3]
                                        ; implicit-def: $vgpr24_vgpr25
	s_and_saveexec_b64 s[2:3], s[20:21]
	s_cbranch_execnz .LBB86_246
.LBB86_55:
	s_or_b64 exec, exec, s[2:3]
                                        ; implicit-def: $vgpr26_vgpr27
	s_and_saveexec_b64 s[2:3], s[22:23]
	s_cbranch_execnz .LBB86_247
.LBB86_56:
	s_or_b64 exec, exec, s[2:3]
                                        ; implicit-def: $vgpr28_vgpr29
	s_and_saveexec_b64 s[2:3], s[24:25]
	s_cbranch_execnz .LBB86_248
.LBB86_57:
	s_or_b64 exec, exec, s[2:3]
                                        ; implicit-def: $vgpr30_vgpr31
	s_and_saveexec_b64 s[2:3], s[26:27]
	s_cbranch_execnz .LBB86_249
.LBB86_58:
	s_or_b64 exec, exec, s[2:3]
                                        ; implicit-def: $vgpr32_vgpr33
	s_and_saveexec_b64 s[2:3], s[28:29]
	s_cbranch_execnz .LBB86_250
.LBB86_59:
	s_or_b64 exec, exec, s[2:3]
                                        ; implicit-def: $vgpr34_vgpr35
	s_and_saveexec_b64 s[2:3], s[30:31]
	s_cbranch_execnz .LBB86_251
.LBB86_60:
	s_or_b64 exec, exec, s[2:3]
                                        ; implicit-def: $vgpr36_vgpr37
	s_and_saveexec_b64 s[2:3], s[34:35]
	s_cbranch_execnz .LBB86_252
.LBB86_61:
	s_or_b64 exec, exec, s[2:3]
                                        ; implicit-def: $vgpr38_vgpr39
	s_and_saveexec_b64 s[2:3], s[36:37]
	s_cbranch_execnz .LBB86_253
.LBB86_62:
	s_or_b64 exec, exec, s[2:3]
                                        ; implicit-def: $vgpr40_vgpr41
	s_and_saveexec_b64 s[2:3], s[38:39]
	s_cbranch_execnz .LBB86_254
.LBB86_63:
	s_or_b64 exec, exec, s[2:3]
                                        ; implicit-def: $vgpr42_vgpr43
	s_and_saveexec_b64 s[2:3], s[40:41]
	s_cbranch_execz .LBB86_65
.LBB86_64:
	v_mov_b32_e32 v1, s55
	v_add_co_u32_e32 v42, vcc, s7, v51
	v_addc_co_u32_e32 v43, vcc, 0, v1, vcc
	flat_load_dwordx2 v[42:43], v[42:43]
.LBB86_65:
	s_or_b64 exec, exec, s[2:3]
	v_mul_u32_u24_e32 v49, 19, v0
	s_waitcnt vmcnt(0) lgkmcnt(0)
	ds_write2st64_b64 v50, v[2:3], v[6:7] offset1:1
	ds_write2st64_b64 v50, v[10:11], v[12:13] offset0:2 offset1:3
	ds_write2st64_b64 v50, v[14:15], v[16:17] offset0:4 offset1:5
	ds_write2st64_b64 v50, v[18:19], v[20:21] offset0:6 offset1:7
	ds_write2st64_b64 v50, v[22:23], v[24:25] offset0:8 offset1:9
	ds_write2st64_b64 v50, v[26:27], v[28:29] offset0:10 offset1:11
	ds_write2st64_b64 v50, v[30:31], v[32:33] offset0:12 offset1:13
	ds_write2st64_b64 v50, v[34:35], v[36:37] offset0:14 offset1:15
	ds_write2st64_b64 v50, v[38:39], v[40:41] offset0:16 offset1:17
	ds_write_b64 v50, v[42:43] offset:9216
	v_pk_mov_b32 v[6:7], 0, 0
	v_cmp_gt_u32_e32 vcc, s77, v49
	s_mov_b64 s[10:11], 0
	s_mov_b64 s[4:5], 0
	s_mov_b32 s76, 0
	v_mov_b32_e32 v110, 0
	v_mov_b32_e32 v126, 0
	v_pk_mov_b32 v[62:63], v[6:7], v[6:7] op_sel:[0,1]
	v_mov_b32_e32 v125, 0
	v_pk_mov_b32 v[70:71], v[6:7], v[6:7] op_sel:[0,1]
	;; [unrolled: 2-line block ×17, first 2 shown]
	s_waitcnt lgkmcnt(0)
	; wave barrier
	s_waitcnt lgkmcnt(0)
                                        ; implicit-def: $sgpr2_sgpr3
	s_and_saveexec_b64 s[8:9], vcc
	s_cbranch_execz .LBB86_101
; %bb.66:
	ds_read_b64 v[2:3], v48
	v_cmp_ne_u64_e32 vcc, v[8:9], v[106:107]
	v_add_u32_e32 v6, 1, v49
	v_cndmask_b32_e64 v1, 0, 1, vcc
	v_cmp_gt_u32_e32 vcc, s77, v6
	v_pk_mov_b32 v[6:7], 0, 0
	s_mov_b64 s[12:13], 0
	s_mov_b64 s[2:3], 0
	v_mov_b32_e32 v110, 0
	v_mov_b32_e32 v126, 0
	v_pk_mov_b32 v[62:63], v[6:7], v[6:7] op_sel:[0,1]
	v_mov_b32_e32 v125, 0
	v_pk_mov_b32 v[70:71], v[6:7], v[6:7] op_sel:[0,1]
	;; [unrolled: 2-line block ×16, first 2 shown]
                                        ; implicit-def: $sgpr14_sgpr15
	s_and_saveexec_b64 s[10:11], vcc
	s_cbranch_execz .LBB86_100
; %bb.67:
	ds_read2_b64 v[14:17], v48 offset0:1 offset1:2
	v_cmp_ne_u64_e32 vcc, v[106:107], v[108:109]
	v_add_u32_e32 v6, 2, v49
	v_cndmask_b32_e64 v112, 0, 1, vcc
	v_cmp_gt_u32_e32 vcc, s77, v6
	v_pk_mov_b32 v[6:7], 0, 0
	s_mov_b64 s[16:17], 0
	v_mov_b32_e32 v110, 0
	v_mov_b32_e32 v126, 0
	v_pk_mov_b32 v[62:63], v[6:7], v[6:7] op_sel:[0,1]
	v_mov_b32_e32 v125, 0
	v_pk_mov_b32 v[70:71], v[6:7], v[6:7] op_sel:[0,1]
	;; [unrolled: 2-line block ×15, first 2 shown]
                                        ; implicit-def: $sgpr14_sgpr15
	s_and_saveexec_b64 s[12:13], vcc
	s_cbranch_execz .LBB86_99
; %bb.68:
	v_cmp_ne_u64_e32 vcc, v[108:109], v[102:103]
	v_add_u32_e32 v6, 3, v49
	v_cndmask_b32_e64 v111, 0, 1, vcc
	v_cmp_gt_u32_e32 vcc, s77, v6
	v_pk_mov_b32 v[6:7], 0, 0
	s_waitcnt lgkmcnt(0)
	v_mov_b32_e32 v10, v16
	v_mov_b32_e32 v11, v17
	;; [unrolled: 1-line block ×4, first 2 shown]
	v_pk_mov_b32 v[62:63], v[6:7], v[6:7] op_sel:[0,1]
	v_mov_b32_e32 v125, 0
	v_pk_mov_b32 v[70:71], v[6:7], v[6:7] op_sel:[0,1]
	v_mov_b32_e32 v124, 0
	;; [unrolled: 2-line block ×13, first 2 shown]
	v_pk_mov_b32 v[22:23], v[6:7], v[6:7] op_sel:[0,1]
                                        ; implicit-def: $sgpr18_sgpr19
	s_and_saveexec_b64 s[14:15], vcc
	s_cbranch_execz .LBB86_98
; %bb.69:
	ds_read2_b64 v[22:25], v48 offset0:3 offset1:4
	v_cmp_ne_u64_e32 vcc, v[102:103], v[104:105]
	v_add_u32_e32 v6, 4, v49
	v_cndmask_b32_e64 v113, 0, 1, vcc
	v_cmp_gt_u32_e32 vcc, s77, v6
	v_pk_mov_b32 v[6:7], 0, 0
	s_mov_b64 s[20:21], 0
	v_mov_b32_e32 v110, 0
	v_mov_b32_e32 v126, 0
	v_pk_mov_b32 v[62:63], v[6:7], v[6:7] op_sel:[0,1]
	v_mov_b32_e32 v125, 0
	v_pk_mov_b32 v[70:71], v[6:7], v[6:7] op_sel:[0,1]
	v_mov_b32_e32 v124, 0
	v_pk_mov_b32 v[54:55], v[6:7], v[6:7] op_sel:[0,1]
	v_mov_b32_e32 v123, 0
	v_pk_mov_b32 v[66:67], v[6:7], v[6:7] op_sel:[0,1]
	v_mov_b32_e32 v122, 0
	v_pk_mov_b32 v[46:47], v[6:7], v[6:7] op_sel:[0,1]
	v_mov_b32_e32 v121, 0
	v_pk_mov_b32 v[58:59], v[6:7], v[6:7] op_sel:[0,1]
	v_mov_b32_e32 v120, 0
	v_pk_mov_b32 v[38:39], v[6:7], v[6:7] op_sel:[0,1]
	v_mov_b32_e32 v119, 0
	v_pk_mov_b32 v[50:51], v[6:7], v[6:7] op_sel:[0,1]
	v_mov_b32_e32 v118, 0
	v_pk_mov_b32 v[30:31], v[6:7], v[6:7] op_sel:[0,1]
	v_mov_b32_e32 v117, 0
	v_pk_mov_b32 v[42:43], v[6:7], v[6:7] op_sel:[0,1]
	v_mov_b32_e32 v116, 0
	v_pk_mov_b32 v[26:27], v[6:7], v[6:7] op_sel:[0,1]
	v_mov_b32_e32 v115, 0
	v_pk_mov_b32 v[34:35], v[6:7], v[6:7] op_sel:[0,1]
	v_mov_b32_e32 v114, 0
	v_pk_mov_b32 v[18:19], v[6:7], v[6:7] op_sel:[0,1]
                                        ; implicit-def: $sgpr18_sgpr19
	s_and_saveexec_b64 s[16:17], vcc
	s_cbranch_execz .LBB86_97
; %bb.70:
	v_cmp_ne_u64_e32 vcc, v[104:105], v[98:99]
	v_add_u32_e32 v6, 5, v49
	v_cndmask_b32_e64 v114, 0, 1, vcc
	v_cmp_gt_u32_e32 vcc, s77, v6
	v_pk_mov_b32 v[6:7], 0, 0
	s_waitcnt lgkmcnt(0)
	v_mov_b32_e32 v18, v24
	v_mov_b32_e32 v19, v25
	;; [unrolled: 1-line block ×4, first 2 shown]
	v_pk_mov_b32 v[62:63], v[6:7], v[6:7] op_sel:[0,1]
	v_mov_b32_e32 v125, 0
	v_pk_mov_b32 v[70:71], v[6:7], v[6:7] op_sel:[0,1]
	v_mov_b32_e32 v124, 0
	;; [unrolled: 2-line block ×11, first 2 shown]
	v_pk_mov_b32 v[34:35], v[6:7], v[6:7] op_sel:[0,1]
                                        ; implicit-def: $sgpr22_sgpr23
	s_and_saveexec_b64 s[18:19], vcc
	s_cbranch_execz .LBB86_96
; %bb.71:
	ds_read2_b64 v[34:37], v48 offset0:5 offset1:6
	v_cmp_ne_u64_e32 vcc, v[98:99], v[100:101]
	v_add_u32_e32 v6, 6, v49
	v_cndmask_b32_e64 v115, 0, 1, vcc
	v_cmp_gt_u32_e32 vcc, s77, v6
	v_pk_mov_b32 v[6:7], 0, 0
	s_mov_b64 s[24:25], 0
	v_mov_b32_e32 v110, 0
	v_mov_b32_e32 v126, 0
	v_pk_mov_b32 v[62:63], v[6:7], v[6:7] op_sel:[0,1]
	v_mov_b32_e32 v125, 0
	v_pk_mov_b32 v[70:71], v[6:7], v[6:7] op_sel:[0,1]
	;; [unrolled: 2-line block ×11, first 2 shown]
                                        ; implicit-def: $sgpr22_sgpr23
	s_and_saveexec_b64 s[20:21], vcc
	s_cbranch_execz .LBB86_95
; %bb.72:
	v_cmp_ne_u64_e32 vcc, v[100:101], v[94:95]
	v_add_u32_e32 v6, 7, v49
	v_cndmask_b32_e64 v116, 0, 1, vcc
	v_cmp_gt_u32_e32 vcc, s77, v6
	v_pk_mov_b32 v[6:7], 0, 0
	s_waitcnt lgkmcnt(0)
	v_mov_b32_e32 v26, v36
	v_mov_b32_e32 v27, v37
	;; [unrolled: 1-line block ×4, first 2 shown]
	v_pk_mov_b32 v[62:63], v[6:7], v[6:7] op_sel:[0,1]
	v_mov_b32_e32 v125, 0
	v_pk_mov_b32 v[70:71], v[6:7], v[6:7] op_sel:[0,1]
	v_mov_b32_e32 v124, 0
	;; [unrolled: 2-line block ×9, first 2 shown]
	v_pk_mov_b32 v[42:43], v[6:7], v[6:7] op_sel:[0,1]
                                        ; implicit-def: $sgpr26_sgpr27
	s_and_saveexec_b64 s[22:23], vcc
	s_cbranch_execz .LBB86_94
; %bb.73:
	ds_read2_b64 v[42:45], v48 offset0:7 offset1:8
	v_cmp_ne_u64_e32 vcc, v[94:95], v[96:97]
	v_add_u32_e32 v6, 8, v49
	v_cndmask_b32_e64 v117, 0, 1, vcc
	v_cmp_gt_u32_e32 vcc, s77, v6
	v_pk_mov_b32 v[6:7], 0, 0
	s_mov_b64 s[28:29], 0
	v_mov_b32_e32 v110, 0
	v_mov_b32_e32 v126, 0
	v_pk_mov_b32 v[62:63], v[6:7], v[6:7] op_sel:[0,1]
	v_mov_b32_e32 v125, 0
	v_pk_mov_b32 v[70:71], v[6:7], v[6:7] op_sel:[0,1]
	;; [unrolled: 2-line block ×9, first 2 shown]
                                        ; implicit-def: $sgpr26_sgpr27
	s_and_saveexec_b64 s[24:25], vcc
	s_cbranch_execz .LBB86_93
; %bb.74:
	v_cmp_ne_u64_e32 vcc, v[96:97], v[90:91]
	v_add_u32_e32 v6, 9, v49
	v_cndmask_b32_e64 v118, 0, 1, vcc
	v_cmp_gt_u32_e32 vcc, s77, v6
	v_pk_mov_b32 v[6:7], 0, 0
	s_waitcnt lgkmcnt(0)
	v_mov_b32_e32 v30, v44
	v_mov_b32_e32 v31, v45
	;; [unrolled: 1-line block ×4, first 2 shown]
	v_pk_mov_b32 v[62:63], v[6:7], v[6:7] op_sel:[0,1]
	v_mov_b32_e32 v125, 0
	v_pk_mov_b32 v[70:71], v[6:7], v[6:7] op_sel:[0,1]
	v_mov_b32_e32 v124, 0
	;; [unrolled: 2-line block ×7, first 2 shown]
	v_pk_mov_b32 v[50:51], v[6:7], v[6:7] op_sel:[0,1]
                                        ; implicit-def: $sgpr30_sgpr31
	s_and_saveexec_b64 s[26:27], vcc
	s_cbranch_execz .LBB86_92
; %bb.75:
	ds_read2_b64 v[50:53], v48 offset0:9 offset1:10
	v_cmp_ne_u64_e32 vcc, v[90:91], v[92:93]
	v_add_u32_e32 v6, 10, v49
	v_cndmask_b32_e64 v119, 0, 1, vcc
	v_cmp_gt_u32_e32 vcc, s77, v6
	v_pk_mov_b32 v[6:7], 0, 0
	s_mov_b64 s[34:35], 0
	v_mov_b32_e32 v110, 0
	v_mov_b32_e32 v126, 0
	v_pk_mov_b32 v[62:63], v[6:7], v[6:7] op_sel:[0,1]
	v_mov_b32_e32 v125, 0
	v_pk_mov_b32 v[70:71], v[6:7], v[6:7] op_sel:[0,1]
	v_mov_b32_e32 v124, 0
	v_pk_mov_b32 v[54:55], v[6:7], v[6:7] op_sel:[0,1]
	v_mov_b32_e32 v123, 0
	v_pk_mov_b32 v[66:67], v[6:7], v[6:7] op_sel:[0,1]
	v_mov_b32_e32 v122, 0
	v_pk_mov_b32 v[46:47], v[6:7], v[6:7] op_sel:[0,1]
	v_mov_b32_e32 v121, 0
	v_pk_mov_b32 v[58:59], v[6:7], v[6:7] op_sel:[0,1]
	v_mov_b32_e32 v120, 0
	v_pk_mov_b32 v[38:39], v[6:7], v[6:7] op_sel:[0,1]
                                        ; implicit-def: $sgpr30_sgpr31
	s_and_saveexec_b64 s[28:29], vcc
	s_cbranch_execz .LBB86_91
; %bb.76:
	v_cmp_ne_u64_e32 vcc, v[92:93], v[86:87]
	v_add_u32_e32 v6, 11, v49
	v_cndmask_b32_e64 v120, 0, 1, vcc
	v_cmp_gt_u32_e32 vcc, s77, v6
	v_pk_mov_b32 v[6:7], 0, 0
	s_waitcnt lgkmcnt(0)
	v_mov_b32_e32 v38, v52
	v_mov_b32_e32 v39, v53
	;; [unrolled: 1-line block ×4, first 2 shown]
	v_pk_mov_b32 v[62:63], v[6:7], v[6:7] op_sel:[0,1]
	v_mov_b32_e32 v125, 0
	v_pk_mov_b32 v[70:71], v[6:7], v[6:7] op_sel:[0,1]
	v_mov_b32_e32 v124, 0
	;; [unrolled: 2-line block ×5, first 2 shown]
	v_pk_mov_b32 v[58:59], v[6:7], v[6:7] op_sel:[0,1]
                                        ; implicit-def: $sgpr36_sgpr37
	s_and_saveexec_b64 s[30:31], vcc
	s_cbranch_execz .LBB86_90
; %bb.77:
	ds_read2_b64 v[58:61], v48 offset0:11 offset1:12
	v_cmp_ne_u64_e32 vcc, v[86:87], v[88:89]
	v_add_u32_e32 v6, 12, v49
	v_cndmask_b32_e64 v121, 0, 1, vcc
	v_cmp_gt_u32_e32 vcc, s77, v6
	v_pk_mov_b32 v[6:7], 0, 0
	s_mov_b64 s[38:39], 0
	v_mov_b32_e32 v110, 0
	v_mov_b32_e32 v126, 0
	v_pk_mov_b32 v[62:63], v[6:7], v[6:7] op_sel:[0,1]
	v_mov_b32_e32 v125, 0
	v_pk_mov_b32 v[70:71], v[6:7], v[6:7] op_sel:[0,1]
	;; [unrolled: 2-line block ×5, first 2 shown]
                                        ; implicit-def: $sgpr36_sgpr37
	s_and_saveexec_b64 s[34:35], vcc
	s_cbranch_execz .LBB86_89
; %bb.78:
	v_cmp_ne_u64_e32 vcc, v[88:89], v[82:83]
	v_add_u32_e32 v6, 13, v49
	v_cndmask_b32_e64 v122, 0, 1, vcc
	v_cmp_gt_u32_e32 vcc, s77, v6
	v_pk_mov_b32 v[6:7], 0, 0
	s_waitcnt lgkmcnt(0)
	v_mov_b32_e32 v46, v60
	v_mov_b32_e32 v47, v61
	;; [unrolled: 1-line block ×4, first 2 shown]
	v_pk_mov_b32 v[62:63], v[6:7], v[6:7] op_sel:[0,1]
	v_mov_b32_e32 v125, 0
	v_pk_mov_b32 v[70:71], v[6:7], v[6:7] op_sel:[0,1]
	v_mov_b32_e32 v124, 0
	;; [unrolled: 2-line block ×3, first 2 shown]
	v_pk_mov_b32 v[66:67], v[6:7], v[6:7] op_sel:[0,1]
                                        ; implicit-def: $sgpr40_sgpr41
	s_and_saveexec_b64 s[36:37], vcc
	s_cbranch_execz .LBB86_88
; %bb.79:
	ds_read2_b64 v[66:69], v48 offset0:13 offset1:14
	v_cmp_ne_u64_e32 vcc, v[82:83], v[84:85]
	v_add_u32_e32 v6, 14, v49
	v_cndmask_b32_e64 v123, 0, 1, vcc
	v_cmp_gt_u32_e32 vcc, s77, v6
	v_pk_mov_b32 v[6:7], 0, 0
	s_mov_b64 s[42:43], 0
	v_mov_b32_e32 v110, 0
	v_mov_b32_e32 v126, 0
	v_pk_mov_b32 v[62:63], v[6:7], v[6:7] op_sel:[0,1]
	v_mov_b32_e32 v125, 0
	v_pk_mov_b32 v[70:71], v[6:7], v[6:7] op_sel:[0,1]
	;; [unrolled: 2-line block ×3, first 2 shown]
                                        ; implicit-def: $sgpr40_sgpr41
	s_and_saveexec_b64 s[38:39], vcc
	s_cbranch_execz .LBB86_87
; %bb.80:
	v_cmp_ne_u64_e32 vcc, v[84:85], v[78:79]
	v_add_u32_e32 v6, 15, v49
	v_cndmask_b32_e64 v124, 0, 1, vcc
	v_cmp_gt_u32_e32 vcc, s77, v6
	v_pk_mov_b32 v[6:7], 0, 0
	s_waitcnt lgkmcnt(0)
	v_mov_b32_e32 v54, v68
	v_mov_b32_e32 v55, v69
	;; [unrolled: 1-line block ×4, first 2 shown]
	v_pk_mov_b32 v[62:63], v[6:7], v[6:7] op_sel:[0,1]
	v_mov_b32_e32 v125, 0
	v_pk_mov_b32 v[70:71], v[6:7], v[6:7] op_sel:[0,1]
                                        ; implicit-def: $sgpr56_sgpr57
	s_and_saveexec_b64 s[40:41], vcc
	s_cbranch_execz .LBB86_86
; %bb.81:
	ds_read2_b64 v[70:73], v48 offset0:15 offset1:16
	v_cmp_ne_u64_e32 vcc, v[78:79], v[80:81]
	v_add_u32_e32 v6, 16, v49
	v_cndmask_b32_e64 v125, 0, 1, vcc
	v_cmp_gt_u32_e32 vcc, s77, v6
	v_pk_mov_b32 v[6:7], 0, 0
	s_mov_b64 s[56:57], 0
	v_mov_b32_e32 v110, 0
	v_mov_b32_e32 v126, 0
	v_pk_mov_b32 v[62:63], v[6:7], v[6:7] op_sel:[0,1]
                                        ; implicit-def: $sgpr72_sgpr73
	s_and_saveexec_b64 s[42:43], vcc
	s_cbranch_execz .LBB86_85
; %bb.82:
	v_cmp_ne_u64_e32 vcc, v[80:81], v[74:75]
	v_add_u32_e32 v6, 17, v49
	s_waitcnt lgkmcnt(0)
	v_mov_b32_e32 v62, v72
	v_mov_b32_e32 v63, v73
	v_cndmask_b32_e64 v126, 0, 1, vcc
	v_cmp_gt_u32_e32 vcc, s77, v6
	v_mov_b32_e32 v110, 0
	v_pk_mov_b32 v[6:7], 0, 0
                                        ; implicit-def: $sgpr72_sgpr73
	s_and_saveexec_b64 s[2:3], vcc
	s_xor_b64 s[74:75], exec, s[2:3]
	s_cbranch_execz .LBB86_84
; %bb.83:
	ds_read2_b64 v[6:9], v48 offset0:17 offset1:18
	v_cmp_ne_u64_e32 vcc, v[76:77], v[4:5]
	v_cmp_ne_u64_e64 s[2:3], v[74:75], v[76:77]
	v_add_u32_e32 v4, 18, v49
	v_cndmask_b32_e64 v110, 0, 1, s[2:3]
	v_cmp_gt_u32_e64 s[2:3], s77, v4
	s_and_b64 s[72:73], vcc, exec
	s_and_b64 s[56:57], s[2:3], exec
	s_waitcnt lgkmcnt(0)
	v_pk_mov_b32 v[64:65], v[6:7], v[6:7] op_sel:[0,1]
.LBB86_84:
	s_or_b64 exec, exec, s[74:75]
	s_and_b64 s[72:73], s[72:73], exec
	s_and_b64 s[2:3], s[56:57], exec
.LBB86_85:
	s_or_b64 exec, exec, s[42:43]
	s_and_b64 s[56:57], s[72:73], exec
	s_and_b64 s[42:43], s[2:3], exec
	s_waitcnt lgkmcnt(0)
	v_pk_mov_b32 v[56:57], v[70:71], v[70:71] op_sel:[0,1]
	v_pk_mov_b32 v[48:49], v[66:67], v[66:67] op_sel:[0,1]
	;; [unrolled: 1-line block ×8, first 2 shown]
.LBB86_86:
	s_or_b64 exec, exec, s[40:41]
	s_and_b64 s[40:41], s[56:57], exec
	s_and_b64 s[2:3], s[42:43], exec
.LBB86_87:
	s_or_b64 exec, exec, s[38:39]
	s_and_b64 s[40:41], s[40:41], exec
	s_and_b64 s[38:39], s[2:3], exec
.LBB86_88:
	s_or_b64 exec, exec, s[36:37]
	s_and_b64 s[36:37], s[40:41], exec
	s_and_b64 s[2:3], s[38:39], exec
.LBB86_89:
	s_or_b64 exec, exec, s[34:35]
	s_and_b64 s[36:37], s[36:37], exec
	s_and_b64 s[34:35], s[2:3], exec
.LBB86_90:
	s_or_b64 exec, exec, s[30:31]
	s_and_b64 s[30:31], s[36:37], exec
	s_and_b64 s[2:3], s[34:35], exec
.LBB86_91:
	s_or_b64 exec, exec, s[28:29]
	s_and_b64 s[30:31], s[30:31], exec
	s_and_b64 s[28:29], s[2:3], exec
.LBB86_92:
	s_or_b64 exec, exec, s[26:27]
	s_and_b64 s[26:27], s[30:31], exec
	s_and_b64 s[2:3], s[28:29], exec
.LBB86_93:
	s_or_b64 exec, exec, s[24:25]
	s_and_b64 s[26:27], s[26:27], exec
	s_and_b64 s[24:25], s[2:3], exec
.LBB86_94:
	s_or_b64 exec, exec, s[22:23]
	s_and_b64 s[22:23], s[26:27], exec
	s_and_b64 s[2:3], s[24:25], exec
.LBB86_95:
	s_or_b64 exec, exec, s[20:21]
	s_and_b64 s[22:23], s[22:23], exec
	s_and_b64 s[20:21], s[2:3], exec
.LBB86_96:
	s_or_b64 exec, exec, s[18:19]
	s_and_b64 s[18:19], s[22:23], exec
	s_and_b64 s[2:3], s[20:21], exec
.LBB86_97:
	s_or_b64 exec, exec, s[16:17]
	s_and_b64 s[18:19], s[18:19], exec
	s_and_b64 s[16:17], s[2:3], exec
.LBB86_98:
	s_or_b64 exec, exec, s[14:15]
	s_and_b64 s[14:15], s[18:19], exec
	s_and_b64 s[2:3], s[16:17], exec
.LBB86_99:
	s_or_b64 exec, exec, s[12:13]
	s_and_b64 s[14:15], s[14:15], exec
	s_and_b64 s[12:13], s[2:3], exec
.LBB86_100:
	s_or_b64 exec, exec, s[10:11]
	s_and_b64 s[2:3], s[14:15], exec
	s_and_b64 s[10:11], s[12:13], exec
.LBB86_101:
	s_or_b64 exec, exec, s[8:9]
	s_mov_b64 s[8:9], 0
	s_and_b64 vcc, exec, s[4:5]
	v_lshlrev_b32_e32 v127, 3, v0
	s_cbranch_vccnz .LBB86_103
	s_branch .LBB86_111
.LBB86_102:
                                        ; implicit-def: $sgpr2_sgpr3
                                        ; implicit-def: $vgpr8_vgpr9
                                        ; implicit-def: $vgpr110
                                        ; implicit-def: $vgpr64_vgpr65
                                        ; implicit-def: $vgpr126
                                        ; implicit-def: $vgpr125
                                        ; implicit-def: $vgpr56_vgpr57
                                        ; implicit-def: $vgpr124
                                        ; implicit-def: $vgpr123
                                        ; implicit-def: $vgpr48_vgpr49
                                        ; implicit-def: $vgpr122
                                        ; implicit-def: $vgpr121
                                        ; implicit-def: $vgpr40_vgpr41
                                        ; implicit-def: $vgpr120
                                        ; implicit-def: $vgpr119
                                        ; implicit-def: $vgpr32_vgpr33
                                        ; implicit-def: $vgpr118
                                        ; implicit-def: $vgpr117
                                        ; implicit-def: $vgpr28_vgpr29
                                        ; implicit-def: $vgpr116
                                        ; implicit-def: $vgpr115
                                        ; implicit-def: $vgpr20_vgpr21
                                        ; implicit-def: $vgpr114
                                        ; implicit-def: $vgpr113
                                        ; implicit-def: $vgpr12_vgpr13
                                        ; implicit-def: $vgpr111
                                        ; implicit-def: $vgpr112
                                        ; implicit-def: $vgpr4_vgpr5
                                        ; implicit-def: $vgpr1
                                        ; implicit-def: $sgpr76
                                        ; implicit-def: $sgpr8_sgpr9
                                        ; implicit-def: $vgpr70_vgpr71
                                        ; implicit-def: $vgpr66_vgpr67
                                        ; implicit-def: $vgpr58_vgpr59
                                        ; implicit-def: $vgpr50_vgpr51
                                        ; implicit-def: $vgpr42_vgpr43
                                        ; implicit-def: $vgpr34_vgpr35
                                        ; implicit-def: $vgpr22_vgpr23
                                        ; implicit-def: $vgpr14_vgpr15
	s_and_b64 vcc, exec, s[4:5]
	v_lshlrev_b32_e32 v127, 3, v0
	s_cbranch_vccz .LBB86_111
.LBB86_103:
	v_mov_b32_e32 v1, s45
	s_waitcnt lgkmcnt(0)
	v_add_co_u32_e32 v2, vcc, s44, v127
	v_addc_co_u32_e32 v3, vcc, 0, v1, vcc
	v_add_co_u32_e32 v20, vcc, 0x1000, v2
	v_addc_co_u32_e32 v21, vcc, 0, v3, vcc
	flat_load_dwordx2 v[4:5], v[2:3]
	flat_load_dwordx2 v[6:7], v[2:3] offset:512
	flat_load_dwordx2 v[8:9], v[2:3] offset:1024
	;; [unrolled: 1-line block ×7, first 2 shown]
	v_add_co_u32_e32 v2, vcc, 0x2000, v2
	v_addc_co_u32_e32 v3, vcc, 0, v3, vcc
	flat_load_dwordx2 v[22:23], v[20:21]
	flat_load_dwordx2 v[24:25], v[20:21] offset:512
	flat_load_dwordx2 v[26:27], v[20:21] offset:1024
	;; [unrolled: 1-line block ×7, first 2 shown]
	s_nop 0
	flat_load_dwordx2 v[20:21], v[2:3]
	flat_load_dwordx2 v[38:39], v[2:3] offset:512
	flat_load_dwordx2 v[40:41], v[2:3] offset:1024
	s_movk_i32 s2, 0x90
	v_mad_u32_u24 v1, v0, s2, v127
	s_cmp_eq_u64 s[70:71], 0
	s_waitcnt vmcnt(0) lgkmcnt(0)
	ds_write2st64_b64 v127, v[4:5], v[6:7] offset1:1
	ds_write2st64_b64 v127, v[8:9], v[10:11] offset0:2 offset1:3
	ds_write2st64_b64 v127, v[12:13], v[14:15] offset0:4 offset1:5
	;; [unrolled: 1-line block ×8, first 2 shown]
	ds_write_b64 v127, v[40:41] offset:9216
	s_waitcnt lgkmcnt(0)
	; wave barrier
	s_waitcnt lgkmcnt(0)
	ds_read2_b64 v[14:17], v1 offset1:1
	ds_read2_b64 v[2:5], v1 offset0:2 offset1:3
	ds_read2_b64 v[6:9], v1 offset0:4 offset1:5
	;; [unrolled: 1-line block ×8, first 2 shown]
	ds_read_b64 v[38:39], v1 offset:144
	s_cbranch_scc1 .LBB86_108
; %bb.104:
	s_andn2_b64 vcc, exec, s[68:69]
	s_cbranch_vccnz .LBB86_256
; %bb.105:
	s_lshl_b64 s[2:3], s[70:71], 3
	s_add_u32 s2, s62, s2
	s_addc_u32 s3, s63, s3
	s_add_u32 s2, s2, -8
	s_addc_u32 s3, s3, -1
	s_cbranch_execnz .LBB86_107
.LBB86_106:
	s_add_u32 s2, s44, -8
	s_addc_u32 s3, s45, -1
.LBB86_107:
	s_mov_b64 s[44:45], s[2:3]
.LBB86_108:
	v_pk_mov_b32 v[40:41], s[44:45], s[44:45] op_sel:[0,1]
	flat_load_dwordx2 v[42:43], v[40:41]
	s_movk_i32 s2, 0xff70
	v_mad_i32_i24 v40, v0, s2, v1
	v_cmp_ne_u32_e32 vcc, 0, v0
	s_waitcnt lgkmcnt(0)
	ds_write_b64 v40, v[38:39] offset:9728
	s_waitcnt lgkmcnt(0)
	; wave barrier
	s_waitcnt lgkmcnt(0)
	s_and_saveexec_b64 s[2:3], vcc
	s_cbranch_execz .LBB86_110
; %bb.109:
	v_mul_i32_i24_e32 v40, 0xffffff70, v0
	v_add_u32_e32 v40, v1, v40
	s_waitcnt vmcnt(0)
	ds_read_b64 v[42:43], v40 offset:9720
.LBB86_110:
	s_or_b64 exec, exec, s[2:3]
	v_mov_b32_e32 v41, s55
	v_add_co_u32_e32 v40, vcc, s7, v127
	v_addc_co_u32_e32 v41, vcc, 0, v41, vcc
	s_movk_i32 s2, 0x1000
	v_add_co_u32_e32 v60, vcc, s2, v40
	v_addc_co_u32_e32 v61, vcc, 0, v41, vcc
	s_movk_i32 s2, 0x2000
	s_waitcnt lgkmcnt(0)
	; wave barrier
	s_waitcnt lgkmcnt(0)
	flat_load_dwordx2 v[44:45], v[40:41]
	flat_load_dwordx2 v[46:47], v[40:41] offset:512
	flat_load_dwordx2 v[48:49], v[40:41] offset:1024
	;; [unrolled: 1-line block ×7, first 2 shown]
	v_add_co_u32_e32 v40, vcc, s2, v40
	v_addc_co_u32_e32 v41, vcc, 0, v41, vcc
	flat_load_dwordx2 v[62:63], v[60:61]
	flat_load_dwordx2 v[64:65], v[60:61] offset:512
	flat_load_dwordx2 v[66:67], v[60:61] offset:1024
	;; [unrolled: 1-line block ×7, first 2 shown]
	s_nop 0
	flat_load_dwordx2 v[60:61], v[40:41]
	flat_load_dwordx2 v[78:79], v[40:41] offset:512
	flat_load_dwordx2 v[80:81], v[40:41] offset:1024
	v_cmp_ne_u64_e32 vcc, v[34:35], v[36:37]
	v_cndmask_b32_e64 v110, 0, 1, vcc
	v_cmp_ne_u64_e32 vcc, v[32:33], v[34:35]
	v_cndmask_b32_e64 v126, 0, 1, vcc
	;; [unrolled: 2-line block ×14, first 2 shown]
	v_cmp_ne_u64_e32 vcc, v[2:3], v[4:5]
	v_cmp_ne_u64_e64 s[2:3], v[36:37], v[38:39]
	v_cndmask_b32_e64 v113, 0, 1, vcc
	v_cmp_ne_u64_e32 vcc, v[16:17], v[2:3]
	v_cndmask_b32_e64 v111, 0, 1, vcc
	v_cmp_ne_u64_e32 vcc, v[14:15], v[16:17]
	v_cndmask_b32_e64 v112, 0, 1, vcc
	s_waitcnt vmcnt(0)
	v_cmp_ne_u64_e32 vcc, v[42:43], v[14:15]
	s_mov_b64 s[10:11], -1
                                        ; implicit-def: $sgpr76
                                        ; implicit-def: $sgpr8_sgpr9
                                        ; implicit-def: $vgpr42_vgpr43
                                        ; implicit-def: $vgpr34_vgpr35
                                        ; implicit-def: $vgpr22_vgpr23
                                        ; implicit-def: $vgpr14_vgpr15
	s_waitcnt lgkmcnt(0)
	ds_write2st64_b64 v127, v[44:45], v[46:47] offset1:1
	ds_write2st64_b64 v127, v[48:49], v[50:51] offset0:2 offset1:3
	ds_write2st64_b64 v127, v[52:53], v[54:55] offset0:4 offset1:5
	;; [unrolled: 1-line block ×8, first 2 shown]
	ds_write_b64 v127, v[80:81] offset:9216
	s_waitcnt lgkmcnt(0)
	; wave barrier
	s_waitcnt lgkmcnt(0)
	ds_read2_b64 v[2:5], v1 offset1:1
	ds_read2_b64 v[10:13], v1 offset0:2 offset1:3
	ds_read2_b64 v[18:21], v1 offset0:4 offset1:5
	;; [unrolled: 1-line block ×8, first 2 shown]
	ds_read_b64 v[8:9], v1 offset:144
	v_cndmask_b32_e64 v1, 0, 1, vcc
                                        ; implicit-def: $vgpr70_vgpr71
                                        ; implicit-def: $vgpr66_vgpr67
                                        ; implicit-def: $vgpr58_vgpr59
                                        ; implicit-def: $vgpr50_vgpr51
.LBB86_111:
	s_waitcnt lgkmcnt(0)
	v_pk_mov_b32 v[16:17], s[8:9], s[8:9] op_sel:[0,1]
	v_mov_b32_e32 v36, s76
	s_and_saveexec_b64 s[4:5], s[10:11]
; %bb.112:
	v_cndmask_b32_e64 v36, 0, 1, s[2:3]
	v_pk_mov_b32 v[14:15], v[4:5], v[4:5] op_sel:[0,1]
	v_pk_mov_b32 v[22:23], v[12:13], v[12:13] op_sel:[0,1]
	;; [unrolled: 1-line block ×10, first 2 shown]
; %bb.113:
	s_or_b64 exec, exec, s[4:5]
	v_or_b32_e32 v4, v36, v110
	s_cmp_lg_u32 s6, 0
	v_or_b32_e32 v29, v4, v126
	v_mbcnt_lo_u32_b32 v28, -1, 0
	s_waitcnt lgkmcnt(0)
	; wave barrier
	s_cbranch_scc0 .LBB86_172
; %bb.114:
	v_mov_b32_e32 v4, 0
	v_cmp_eq_u16_sdwa s[38:39], v112, v4 src0_sel:BYTE_0 src1_sel:DWORD
	v_cndmask_b32_e64 v9, 0, v2, s[38:39]
	v_cndmask_b32_e64 v5, 0, v3, s[38:39]
	v_add_co_u32_e32 v9, vcc, v9, v14
	v_cmp_eq_u16_sdwa s[36:37], v111, v4 src0_sel:BYTE_0 src1_sel:DWORD
	v_addc_co_u32_e32 v5, vcc, v5, v15, vcc
	v_cndmask_b32_e64 v9, 0, v9, s[36:37]
	v_cndmask_b32_e64 v5, 0, v5, s[36:37]
	v_add_co_u32_e32 v9, vcc, v9, v10
	v_cmp_eq_u16_sdwa s[34:35], v113, v4 src0_sel:BYTE_0 src1_sel:DWORD
	v_addc_co_u32_e32 v5, vcc, v5, v11, vcc
	;; [unrolled: 5-line block ×16, first 2 shown]
	v_cndmask_b32_e64 v9, 0, v9, s[4:5]
	v_add_co_u32_e32 v9, vcc, v9, v6
	v_cmp_eq_u16_sdwa s[2:3], v36, v4 src0_sel:BYTE_0 src1_sel:DWORD
	v_cndmask_b32_e64 v4, 0, v9, s[2:3]
	v_or_b32_e32 v9, v29, v125
	v_or_b32_e32 v9, v9, v124
	;; [unrolled: 1-line block ×12, first 2 shown]
	v_cndmask_b32_e64 v5, 0, v5, s[4:5]
	v_or_b32_e32 v9, v9, v113
	v_addc_co_u32_e32 v5, vcc, v5, v7, vcc
	v_or_b32_e32 v9, v9, v111
	v_cndmask_b32_e64 v5, 0, v5, s[2:3]
	v_add_co_u32_e32 v4, vcc, v4, v16
	v_or_b32_e32 v9, v9, v112
	v_addc_co_u32_e32 v5, vcc, v5, v17, vcc
	v_and_b32_e32 v9, 1, v9
	v_and_b32_e32 v8, 0xff, v1
	v_cmp_eq_u32_e32 vcc, 1, v9
	v_mbcnt_hi_u32_b32 v9, -1, v28
	v_cndmask_b32_e64 v8, v8, 1, vcc
	v_and_b32_e32 v12, 15, v9
	v_mov_b32_dpp v20, v4 row_shr:1 row_mask:0xf bank_mask:0xf
	v_mov_b32_dpp v21, v5 row_shr:1 row_mask:0xf bank_mask:0xf
	v_mov_b32_dpp v13, v8 row_shr:1 row_mask:0xf bank_mask:0xf
	v_cmp_ne_u32_e32 vcc, 0, v12
	s_and_saveexec_b64 s[40:41], vcc
; %bb.115:
	v_cmp_eq_u32_e32 vcc, 0, v8
	v_cndmask_b32_e32 v20, 0, v20, vcc
	v_cndmask_b32_e32 v21, 0, v21, vcc
	v_add_co_u32_e32 v4, vcc, v20, v4
	v_addc_co_u32_e32 v5, vcc, v21, v5, vcc
	v_and_or_b32 v8, v13, 1, v8
; %bb.116:
	s_or_b64 exec, exec, s[40:41]
	v_mov_b32_dpp v20, v4 row_shr:2 row_mask:0xf bank_mask:0xf
	v_mov_b32_dpp v21, v5 row_shr:2 row_mask:0xf bank_mask:0xf
	v_mov_b32_dpp v13, v8 row_shr:2 row_mask:0xf bank_mask:0xf
	v_cmp_lt_u32_e32 vcc, 1, v12
	s_and_saveexec_b64 s[40:41], vcc
; %bb.117:
	v_cmp_eq_u32_e32 vcc, 0, v8
	v_cndmask_b32_e32 v20, 0, v20, vcc
	v_cndmask_b32_e32 v21, 0, v21, vcc
	v_add_co_u32_e32 v4, vcc, v20, v4
	v_or_b32_e32 v8, v13, v8
	v_addc_co_u32_e32 v5, vcc, v21, v5, vcc
	v_and_b32_e32 v8, 1, v8
; %bb.118:
	s_or_b64 exec, exec, s[40:41]
	v_mov_b32_dpp v20, v4 row_shr:4 row_mask:0xf bank_mask:0xf
	v_mov_b32_dpp v21, v5 row_shr:4 row_mask:0xf bank_mask:0xf
	v_mov_b32_dpp v13, v8 row_shr:4 row_mask:0xf bank_mask:0xf
	v_cmp_lt_u32_e32 vcc, 3, v12
	s_and_saveexec_b64 s[40:41], vcc
; %bb.119:
	v_cmp_eq_u32_e32 vcc, 0, v8
	v_cndmask_b32_e32 v20, 0, v20, vcc
	v_cndmask_b32_e32 v21, 0, v21, vcc
	v_add_co_u32_e32 v4, vcc, v20, v4
	v_or_b32_e32 v8, v13, v8
	v_addc_co_u32_e32 v5, vcc, v21, v5, vcc
	v_and_b32_e32 v8, 1, v8
	;; [unrolled: 15-line block ×3, first 2 shown]
; %bb.122:
	s_or_b64 exec, exec, s[40:41]
	v_and_b32_e32 v21, 16, v9
	v_mov_b32_dpp v13, v4 row_bcast:15 row_mask:0xf bank_mask:0xf
	v_mov_b32_dpp v20, v5 row_bcast:15 row_mask:0xf bank_mask:0xf
	;; [unrolled: 1-line block ×3, first 2 shown]
	v_cmp_ne_u32_e32 vcc, 0, v21
	s_and_saveexec_b64 s[40:41], vcc
; %bb.123:
	v_cmp_eq_u32_e32 vcc, 0, v8
	v_cndmask_b32_e32 v13, 0, v13, vcc
	v_cndmask_b32_e32 v20, 0, v20, vcc
	v_add_co_u32_e32 v4, vcc, v13, v4
	v_or_b32_e32 v8, v12, v8
	v_addc_co_u32_e32 v5, vcc, v20, v5, vcc
	v_and_b32_e32 v8, 1, v8
; %bb.124:
	s_or_b64 exec, exec, s[40:41]
	v_mov_b32_dpp v20, v4 row_bcast:31 row_mask:0xf bank_mask:0xf
	v_mov_b32_dpp v21, v5 row_bcast:31 row_mask:0xf bank_mask:0xf
	;; [unrolled: 1-line block ×3, first 2 shown]
	v_cmp_lt_u32_e32 vcc, 31, v9
	v_mov_b32_e32 v12, v8
	s_and_saveexec_b64 s[40:41], vcc
; %bb.125:
	v_cmp_eq_u32_e32 vcc, 0, v8
	v_cndmask_b32_e32 v20, 0, v20, vcc
	v_cndmask_b32_e32 v12, 0, v21, vcc
	v_add_co_u32_e32 v4, vcc, v20, v4
	v_or_b32_e32 v8, v13, v8
	v_addc_co_u32_e32 v5, vcc, v12, v5, vcc
	v_and_b32_e32 v12, 1, v8
	v_and_b32_e32 v8, 1, v8
; %bb.126:
	s_or_b64 exec, exec, s[40:41]
	v_cmp_eq_u32_e32 vcc, 63, v0
	s_and_saveexec_b64 s[40:41], vcc
	s_cbranch_execz .LBB86_128
; %bb.127:
	v_mov_b32_e32 v13, 0
	ds_write_b64 v13, v[4:5]
	ds_write_b8 v13, v12 offset:8
.LBB86_128:
	s_or_b64 exec, exec, s[40:41]
	v_add_u32_e32 v12, -1, v9
	v_and_b32_e32 v13, 64, v9
	v_cmp_lt_i32_e32 vcc, v12, v13
	v_cndmask_b32_e32 v12, v12, v9, vcc
	v_lshlrev_b32_e32 v12, 2, v12
	ds_bpermute_b32 v33, v12, v4
	ds_bpermute_b32 v37, v12, v5
	;; [unrolled: 1-line block ×3, first 2 shown]
	v_cmp_gt_u32_e32 vcc, 64, v0
	s_waitcnt lgkmcnt(0)
	; wave barrier
	s_waitcnt lgkmcnt(0)
	s_and_saveexec_b64 s[56:57], vcc
	s_cbranch_execz .LBB86_171
; %bb.129:
	v_mov_b32_e32 v13, 0
	ds_read_b64 v[4:5], v13
	ds_read_u8 v40, v13 offset:8
	s_mov_b32 s63, 0
	v_cmp_eq_u32_e64 s[40:41], 0, v9
	s_and_saveexec_b64 s[44:45], s[40:41]
	s_cbranch_execz .LBB86_131
; %bb.130:
	s_add_i32 s62, s6, 64
	s_lshl_b64 s[68:69], s[62:63], 4
	s_add_u32 s68, s48, s68
	s_addc_u32 s69, s49, s69
	v_mov_b32_e32 v8, s62
	v_mov_b32_e32 v12, 1
	s_waitcnt lgkmcnt(1)
	global_store_dwordx2 v13, v[4:5], s[68:69]
	s_waitcnt lgkmcnt(0)
	global_store_byte v13, v40, s[68:69] offset:8
	s_waitcnt vmcnt(0)
	buffer_wbinvl1_vol
	global_store_byte v8, v12, s[52:53]
.LBB86_131:
	s_or_b64 exec, exec, s[44:45]
	v_xad_u32 v8, v9, -1, s6
	v_add_u32_e32 v12, 64, v8
	global_load_ubyte v41, v12, s[52:53] glc
	s_waitcnt vmcnt(0)
	v_cmp_eq_u16_e32 vcc, 0, v41
	s_and_saveexec_b64 s[44:45], vcc
	s_cbranch_execz .LBB86_135
; %bb.132:
	v_mov_b32_e32 v21, s53
	v_add_co_u32_e32 v20, vcc, s52, v12
	v_addc_co_u32_e32 v21, vcc, 0, v21, vcc
	s_mov_b64 s[62:63], 0
.LBB86_133:                             ; =>This Inner Loop Header: Depth=1
	global_load_ubyte v41, v[20:21], off glc
	s_waitcnt vmcnt(0)
	v_cmp_ne_u16_e32 vcc, 0, v41
	s_or_b64 s[62:63], vcc, s[62:63]
	s_andn2_b64 exec, exec, s[62:63]
	s_cbranch_execnz .LBB86_133
; %bb.134:
	s_or_b64 exec, exec, s[62:63]
.LBB86_135:
	s_or_b64 exec, exec, s[44:45]
	v_mov_b32_e32 v20, s51
	v_mov_b32_e32 v21, s49
	v_cmp_eq_u16_e32 vcc, 1, v41
	v_cndmask_b32_e32 v20, v20, v21, vcc
	v_mov_b32_e32 v21, s50
	v_mov_b32_e32 v24, s48
	v_cndmask_b32_e32 v21, v21, v24, vcc
	v_lshlrev_b64 v[12:13], 4, v[12:13]
	v_add_co_u32_e32 v12, vcc, v21, v12
	v_addc_co_u32_e32 v13, vcc, v20, v13, vcc
	s_waitcnt lgkmcnt(0)
	buffer_wbinvl1_vol
	global_load_dwordx2 v[24:25], v[12:13], off
	global_load_ubyte v72, v[12:13], off offset:8
	v_cmp_eq_u16_e32 vcc, 2, v41
	v_lshlrev_b64 v[12:13], v9, -1
	v_and_b32_e32 v44, 63, v9
	v_and_b32_e32 v20, vcc_hi, v13
	v_and_b32_e32 v53, vcc_lo, v12
	v_cmp_ne_u32_e32 vcc, 63, v44
	v_addc_co_u32_e32 v21, vcc, 0, v9, vcc
	v_lshlrev_b32_e32 v45, 2, v21
	v_or_b32_e32 v20, 0x80000000, v20
	v_ffbl_b32_e32 v20, v20
	v_add_u32_e32 v20, 32, v20
	v_ffbl_b32_e32 v53, v53
	v_min_u32_e32 v20, v53, v20
	v_cmp_lt_u32_e32 vcc, v44, v20
	s_waitcnt vmcnt(1)
	ds_bpermute_b32 v49, v45, v24
	s_waitcnt vmcnt(0)
	v_and_b32_e32 v21, 1, v72
	ds_bpermute_b32 v52, v45, v25
	ds_bpermute_b32 v48, v45, v21
	s_and_saveexec_b64 s[44:45], vcc
	s_cbranch_execz .LBB86_137
; %bb.136:
	v_mov_b32_e32 v21, 0
	v_cmp_eq_u16_sdwa vcc, v72, v21 src0_sel:BYTE_0 src1_sel:DWORD
	s_waitcnt lgkmcnt(2)
	v_cndmask_b32_e32 v49, 0, v49, vcc
	s_waitcnt lgkmcnt(1)
	v_cndmask_b32_e32 v21, 0, v52, vcc
	v_add_co_u32_e32 v24, vcc, v49, v24
	v_addc_co_u32_e32 v25, vcc, v21, v25, vcc
	s_waitcnt lgkmcnt(0)
	v_and_b32_e32 v21, 1, v48
	v_or_b32_e32 v72, v21, v72
	v_and_b32_e32 v21, 0xff, v72
.LBB86_137:
	s_or_b64 exec, exec, s[44:45]
	v_cmp_gt_u32_e32 vcc, 62, v44
	s_waitcnt lgkmcnt(0)
	v_cndmask_b32_e64 v48, 0, 1, vcc
	v_lshlrev_b32_e32 v48, 1, v48
	v_add_lshl_u32 v48, v48, v9, 2
	ds_bpermute_b32 v53, v48, v24
	ds_bpermute_b32 v56, v48, v25
	ds_bpermute_b32 v52, v48, v21
	v_add_u32_e32 v49, 2, v44
	v_cmp_le_u32_e32 vcc, v49, v20
	s_and_saveexec_b64 s[62:63], vcc
	s_cbranch_execz .LBB86_139
; %bb.138:
	v_mov_b32_e32 v21, 0
	v_cmp_eq_u16_sdwa vcc, v72, v21 src0_sel:BYTE_0 src1_sel:DWORD
	s_waitcnt lgkmcnt(2)
	v_cndmask_b32_e32 v53, 0, v53, vcc
	s_waitcnt lgkmcnt(1)
	v_cndmask_b32_e32 v21, 0, v56, vcc
	v_add_co_u32_e32 v24, vcc, v53, v24
	v_addc_co_u32_e32 v25, vcc, v21, v25, vcc
	v_and_b32_e32 v21, 1, v72
	v_cmp_eq_u32_e32 vcc, 1, v21
	s_waitcnt lgkmcnt(0)
	v_and_b32_e32 v21, 1, v52
	v_cmp_eq_u32_e64 s[44:45], 1, v21
	s_or_b64 s[44:45], vcc, s[44:45]
	v_cndmask_b32_e64 v72, 0, 1, s[44:45]
	v_cndmask_b32_e64 v21, 0, 1, s[44:45]
.LBB86_139:
	s_or_b64 exec, exec, s[62:63]
	v_cmp_gt_u32_e32 vcc, 60, v44
	s_waitcnt lgkmcnt(0)
	v_cndmask_b32_e64 v52, 0, 1, vcc
	v_lshlrev_b32_e32 v52, 2, v52
	v_add_lshl_u32 v52, v52, v9, 2
	ds_bpermute_b32 v57, v52, v24
	ds_bpermute_b32 v60, v52, v25
	ds_bpermute_b32 v56, v52, v21
	v_add_u32_e32 v53, 4, v44
	v_cmp_le_u32_e32 vcc, v53, v20
	s_and_saveexec_b64 s[62:63], vcc
	s_cbranch_execz .LBB86_141
; %bb.140:
	v_mov_b32_e32 v21, 0
	v_cmp_eq_u16_sdwa vcc, v72, v21 src0_sel:BYTE_0 src1_sel:DWORD
	s_waitcnt lgkmcnt(2)
	v_cndmask_b32_e32 v57, 0, v57, vcc
	s_waitcnt lgkmcnt(1)
	v_cndmask_b32_e32 v21, 0, v60, vcc
	v_add_co_u32_e32 v24, vcc, v57, v24
	v_addc_co_u32_e32 v25, vcc, v21, v25, vcc
	v_and_b32_e32 v21, 1, v72
	v_cmp_eq_u32_e32 vcc, 1, v21
	s_waitcnt lgkmcnt(0)
	v_and_b32_e32 v21, 1, v56
	v_cmp_eq_u32_e64 s[44:45], 1, v21
	s_or_b64 s[44:45], vcc, s[44:45]
	v_cndmask_b32_e64 v72, 0, 1, s[44:45]
	v_cndmask_b32_e64 v21, 0, 1, s[44:45]
.LBB86_141:
	;; [unrolled: 31-line block ×4, first 2 shown]
	s_or_b64 exec, exec, s[62:63]
	v_cmp_gt_u32_e32 vcc, 32, v44
	s_waitcnt lgkmcnt(0)
	v_cndmask_b32_e64 v64, 0, 1, vcc
	v_lshlrev_b32_e32 v64, 5, v64
	v_add_lshl_u32 v65, v64, v9, 2
	ds_bpermute_b32 v64, v65, v24
	ds_bpermute_b32 v69, v65, v25
	;; [unrolled: 1-line block ×3, first 2 shown]
	v_add_u32_e32 v68, 32, v44
	v_cmp_le_u32_e32 vcc, v68, v20
	s_and_saveexec_b64 s[62:63], vcc
	s_cbranch_execz .LBB86_147
; %bb.146:
	v_mov_b32_e32 v20, 0
	v_cmp_eq_u16_sdwa vcc, v72, v20 src0_sel:BYTE_0 src1_sel:DWORD
	s_waitcnt lgkmcnt(2)
	v_cndmask_b32_e32 v21, 0, v64, vcc
	s_waitcnt lgkmcnt(1)
	v_cndmask_b32_e32 v20, 0, v69, vcc
	v_add_co_u32_e32 v24, vcc, v21, v24
	v_addc_co_u32_e32 v25, vcc, v20, v25, vcc
	v_and_b32_e32 v20, 1, v72
	s_waitcnt lgkmcnt(0)
	v_and_b32_e32 v9, 1, v9
	v_cmp_eq_u32_e32 vcc, 1, v20
	v_cmp_eq_u32_e64 s[44:45], 1, v9
	s_or_b64 s[44:45], vcc, s[44:45]
	v_cndmask_b32_e64 v72, 0, 1, s[44:45]
.LBB86_147:
	s_or_b64 exec, exec, s[62:63]
	s_waitcnt lgkmcnt(0)
	v_mov_b32_e32 v9, 0
	v_mov_b32_e32 v69, 2
	s_branch .LBB86_149
.LBB86_148:                             ;   in Loop: Header=BB86_149 Depth=1
	s_or_b64 exec, exec, s[68:69]
	v_cmp_eq_u16_sdwa vcc, v64, v9 src0_sel:BYTE_0 src1_sel:DWORD
	v_cndmask_b32_e32 v24, 0, v24, vcc
	v_cndmask_b32_e32 v25, 0, v25, vcc
	v_add_co_u32_e32 v24, vcc, v24, v20
	v_addc_co_u32_e32 v25, vcc, v25, v21, vcc
	v_and_b32_e32 v72, 1, v64
	v_cmp_eq_u32_e32 vcc, 1, v72
	s_or_b64 s[44:45], vcc, s[62:63]
	v_subrev_u32_e32 v8, 64, v8
	v_cndmask_b32_e64 v72, 0, 1, s[44:45]
.LBB86_149:                             ; =>This Loop Header: Depth=1
                                        ;     Child Loop BB86_152 Depth 2
	v_cmp_ne_u16_sdwa s[44:45], v41, v69 src0_sel:BYTE_0 src1_sel:DWORD
	v_cndmask_b32_e64 v20, 0, 1, s[44:45]
	;;#ASMSTART
	;;#ASMEND
	v_cmp_ne_u32_e32 vcc, 0, v20
	v_mov_b32_e32 v64, v72
	s_cmp_lg_u64 vcc, exec
	v_pk_mov_b32 v[20:21], v[24:25], v[24:25] op_sel:[0,1]
	s_cbranch_scc1 .LBB86_166
; %bb.150:                              ;   in Loop: Header=BB86_149 Depth=1
	global_load_ubyte v41, v8, s[52:53] glc
	s_waitcnt vmcnt(0)
	v_cmp_eq_u16_e32 vcc, 0, v41
	s_and_saveexec_b64 s[44:45], vcc
	s_cbranch_execz .LBB86_154
; %bb.151:                              ;   in Loop: Header=BB86_149 Depth=1
	v_mov_b32_e32 v25, s53
	v_add_co_u32_e32 v24, vcc, s52, v8
	v_addc_co_u32_e32 v25, vcc, 0, v25, vcc
	s_mov_b64 s[62:63], 0
.LBB86_152:                             ;   Parent Loop BB86_149 Depth=1
                                        ; =>  This Inner Loop Header: Depth=2
	global_load_ubyte v41, v[24:25], off glc
	s_waitcnt vmcnt(0)
	v_cmp_ne_u16_e32 vcc, 0, v41
	s_or_b64 s[62:63], vcc, s[62:63]
	s_andn2_b64 exec, exec, s[62:63]
	s_cbranch_execnz .LBB86_152
; %bb.153:                              ;   in Loop: Header=BB86_149 Depth=1
	s_or_b64 exec, exec, s[62:63]
.LBB86_154:                             ;   in Loop: Header=BB86_149 Depth=1
	s_or_b64 exec, exec, s[44:45]
	v_mov_b32_e32 v24, s51
	v_mov_b32_e32 v25, s49
	v_cmp_eq_u16_e32 vcc, 1, v41
	v_cndmask_b32_e32 v73, v24, v25, vcc
	v_mov_b32_e32 v24, s50
	v_mov_b32_e32 v25, s48
	v_cndmask_b32_e32 v72, v24, v25, vcc
	v_lshlrev_b64 v[24:25], 4, v[8:9]
	v_add_co_u32_e32 v72, vcc, v72, v24
	v_addc_co_u32_e32 v73, vcc, v73, v25, vcc
	buffer_wbinvl1_vol
	global_load_dwordx2 v[24:25], v[72:73], off
	s_nop 0
	global_load_ubyte v72, v[72:73], off offset:8
	v_cmp_eq_u16_e32 vcc, 2, v41
	v_and_b32_e32 v73, vcc_hi, v13
	v_or_b32_e32 v73, 0x80000000, v73
	v_and_b32_e32 v78, vcc_lo, v12
	v_ffbl_b32_e32 v73, v73
	v_add_u32_e32 v73, 32, v73
	v_ffbl_b32_e32 v78, v78
	v_min_u32_e32 v73, v78, v73
	v_cmp_lt_u32_e32 vcc, v44, v73
	s_waitcnt vmcnt(1) lgkmcnt(1)
	ds_bpermute_b32 v76, v45, v24
	s_waitcnt vmcnt(0) lgkmcnt(1)
	v_and_b32_e32 v74, 1, v72
	ds_bpermute_b32 v77, v45, v25
	ds_bpermute_b32 v75, v45, v74
	s_and_saveexec_b64 s[44:45], vcc
	s_cbranch_execz .LBB86_156
; %bb.155:                              ;   in Loop: Header=BB86_149 Depth=1
	v_cmp_eq_u16_sdwa vcc, v72, v9 src0_sel:BYTE_0 src1_sel:DWORD
	s_waitcnt lgkmcnt(2)
	v_cndmask_b32_e32 v76, 0, v76, vcc
	s_waitcnt lgkmcnt(1)
	v_cndmask_b32_e32 v74, 0, v77, vcc
	v_add_co_u32_e32 v24, vcc, v76, v24
	v_addc_co_u32_e32 v25, vcc, v74, v25, vcc
	s_waitcnt lgkmcnt(0)
	v_and_b32_e32 v74, 1, v75
	v_or_b32_e32 v72, v74, v72
	v_and_b32_e32 v74, 0xff, v72
.LBB86_156:                             ;   in Loop: Header=BB86_149 Depth=1
	s_or_b64 exec, exec, s[44:45]
	s_waitcnt lgkmcnt(2)
	ds_bpermute_b32 v76, v48, v24
	s_waitcnt lgkmcnt(2)
	ds_bpermute_b32 v77, v48, v25
	;; [unrolled: 2-line block ×3, first 2 shown]
	v_and_b32_e32 v78, 1, v72
	v_cmp_le_u32_e32 vcc, v49, v73
	v_cmp_eq_u32_e64 s[62:63], 1, v78
	s_and_saveexec_b64 s[44:45], vcc
	s_cbranch_execz .LBB86_158
; %bb.157:                              ;   in Loop: Header=BB86_149 Depth=1
	v_cmp_eq_u16_sdwa vcc, v72, v9 src0_sel:BYTE_0 src1_sel:DWORD
	s_waitcnt lgkmcnt(2)
	v_cndmask_b32_e32 v74, 0, v76, vcc
	s_waitcnt lgkmcnt(1)
	v_cndmask_b32_e32 v72, 0, v77, vcc
	v_add_co_u32_e32 v24, vcc, v74, v24
	v_addc_co_u32_e32 v25, vcc, v72, v25, vcc
	s_waitcnt lgkmcnt(0)
	v_and_b32_e32 v72, 1, v75
	v_cmp_eq_u32_e32 vcc, 1, v72
	s_or_b64 s[68:69], s[62:63], vcc
	v_cndmask_b32_e64 v72, 0, 1, s[68:69]
	v_cndmask_b32_e64 v74, 0, 1, s[68:69]
	s_andn2_b64 s[62:63], s[62:63], exec
	s_and_b64 s[68:69], s[68:69], exec
	s_or_b64 s[62:63], s[62:63], s[68:69]
.LBB86_158:                             ;   in Loop: Header=BB86_149 Depth=1
	s_or_b64 exec, exec, s[44:45]
	s_waitcnt lgkmcnt(2)
	ds_bpermute_b32 v76, v52, v24
	s_waitcnt lgkmcnt(2)
	ds_bpermute_b32 v77, v52, v25
	s_waitcnt lgkmcnt(2)
	ds_bpermute_b32 v75, v52, v74
	v_cmp_le_u32_e32 vcc, v53, v73
	s_and_saveexec_b64 s[68:69], vcc
	s_cbranch_execz .LBB86_160
; %bb.159:                              ;   in Loop: Header=BB86_149 Depth=1
	v_cmp_eq_u16_sdwa vcc, v72, v9 src0_sel:BYTE_0 src1_sel:DWORD
	s_waitcnt lgkmcnt(2)
	v_cndmask_b32_e32 v76, 0, v76, vcc
	s_waitcnt lgkmcnt(1)
	v_cndmask_b32_e32 v74, 0, v77, vcc
	v_add_co_u32_e32 v24, vcc, v76, v24
	v_addc_co_u32_e32 v25, vcc, v74, v25, vcc
	v_and_b32_e32 v72, 1, v72
	v_cmp_eq_u32_e32 vcc, 1, v72
	s_waitcnt lgkmcnt(0)
	v_and_b32_e32 v72, 1, v75
	v_cmp_eq_u32_e64 s[44:45], 1, v72
	s_or_b64 s[44:45], vcc, s[44:45]
	v_cndmask_b32_e64 v72, 0, 1, s[44:45]
	v_cndmask_b32_e64 v74, 0, 1, s[44:45]
	s_andn2_b64 s[62:63], s[62:63], exec
	s_and_b64 s[44:45], s[44:45], exec
	s_or_b64 s[62:63], s[62:63], s[44:45]
.LBB86_160:                             ;   in Loop: Header=BB86_149 Depth=1
	s_or_b64 exec, exec, s[68:69]
	s_waitcnt lgkmcnt(2)
	ds_bpermute_b32 v76, v56, v24
	s_waitcnt lgkmcnt(2)
	ds_bpermute_b32 v77, v56, v25
	s_waitcnt lgkmcnt(2)
	ds_bpermute_b32 v75, v56, v74
	v_cmp_le_u32_e32 vcc, v57, v73
	s_and_saveexec_b64 s[68:69], vcc
	s_cbranch_execz .LBB86_162
; %bb.161:                              ;   in Loop: Header=BB86_149 Depth=1
	v_cmp_eq_u16_sdwa vcc, v72, v9 src0_sel:BYTE_0 src1_sel:DWORD
	s_waitcnt lgkmcnt(2)
	v_cndmask_b32_e32 v76, 0, v76, vcc
	s_waitcnt lgkmcnt(1)
	v_cndmask_b32_e32 v74, 0, v77, vcc
	v_add_co_u32_e32 v24, vcc, v76, v24
	v_addc_co_u32_e32 v25, vcc, v74, v25, vcc
	v_and_b32_e32 v72, 1, v72
	v_cmp_eq_u32_e32 vcc, 1, v72
	s_waitcnt lgkmcnt(0)
	v_and_b32_e32 v72, 1, v75
	v_cmp_eq_u32_e64 s[44:45], 1, v72
	s_or_b64 s[44:45], vcc, s[44:45]
	v_cndmask_b32_e64 v72, 0, 1, s[44:45]
	v_cndmask_b32_e64 v74, 0, 1, s[44:45]
	s_andn2_b64 s[62:63], s[62:63], exec
	s_and_b64 s[44:45], s[44:45], exec
	s_or_b64 s[62:63], s[62:63], s[44:45]
.LBB86_162:                             ;   in Loop: Header=BB86_149 Depth=1
	;; [unrolled: 30-line block ×3, first 2 shown]
	s_or_b64 exec, exec, s[68:69]
	s_waitcnt lgkmcnt(0)
	ds_bpermute_b32 v75, v65, v24
	ds_bpermute_b32 v76, v65, v25
	;; [unrolled: 1-line block ×3, first 2 shown]
	v_cmp_le_u32_e32 vcc, v68, v73
	s_and_saveexec_b64 s[68:69], vcc
	s_cbranch_execz .LBB86_148
; %bb.165:                              ;   in Loop: Header=BB86_149 Depth=1
	v_cmp_eq_u16_sdwa vcc, v72, v9 src0_sel:BYTE_0 src1_sel:DWORD
	s_waitcnt lgkmcnt(2)
	v_cndmask_b32_e32 v75, 0, v75, vcc
	s_waitcnt lgkmcnt(1)
	v_cndmask_b32_e32 v73, 0, v76, vcc
	v_add_co_u32_e32 v24, vcc, v75, v24
	v_addc_co_u32_e32 v25, vcc, v73, v25, vcc
	v_and_b32_e32 v72, 1, v72
	v_cmp_eq_u32_e32 vcc, 1, v72
	s_waitcnt lgkmcnt(0)
	v_and_b32_e32 v72, 1, v74
	v_cmp_eq_u32_e64 s[44:45], 1, v72
	s_or_b64 s[44:45], vcc, s[44:45]
	s_andn2_b64 s[62:63], s[62:63], exec
	s_and_b64 s[44:45], s[44:45], exec
	s_or_b64 s[62:63], s[62:63], s[44:45]
	s_branch .LBB86_148
.LBB86_166:                             ;   in Loop: Header=BB86_149 Depth=1
                                        ; implicit-def: $vgpr72
                                        ; implicit-def: $vgpr24_vgpr25
                                        ; implicit-def: $vgpr41
	s_cbranch_execz .LBB86_149
; %bb.167:
	s_and_saveexec_b64 s[44:45], s[40:41]
	s_cbranch_execz .LBB86_169
; %bb.168:
	v_mov_b32_e32 v8, 0
	s_mov_b32 s7, 0
	v_cmp_eq_u16_sdwa vcc, v40, v8 src0_sel:BYTE_0 src1_sel:DWORD
	s_add_i32 s6, s6, 64
	v_cndmask_b32_e32 v12, 0, v20, vcc
	s_lshl_b64 s[40:41], s[6:7], 4
	v_cndmask_b32_e32 v9, 0, v21, vcc
	v_add_co_u32_e32 v4, vcc, v12, v4
	s_add_u32 s40, s50, s40
	v_addc_co_u32_e32 v5, vcc, v9, v5, vcc
	v_or_b32_e32 v9, v40, v64
	s_addc_u32 s41, s51, s41
	v_and_b32_e32 v9, 1, v9
	global_store_dwordx2 v8, v[4:5], s[40:41]
	global_store_byte v8, v9, s[40:41] offset:8
	v_mov_b32_e32 v4, s6
	v_mov_b32_e32 v5, 2
	s_waitcnt vmcnt(0) lgkmcnt(0)
	buffer_wbinvl1_vol
	global_store_byte v4, v5, s[52:53]
.LBB86_169:
	s_or_b64 exec, exec, s[44:45]
	v_cmp_eq_u32_e32 vcc, 0, v0
	s_and_b64 exec, exec, vcc
	s_cbranch_execz .LBB86_171
; %bb.170:
	v_mov_b32_e32 v4, 0
	ds_write_b64 v4, v[20:21]
	ds_write_b8 v4, v64 offset:8
.LBB86_171:
	s_or_b64 exec, exec, s[56:57]
	v_mov_b32_e32 v8, 0
	v_cmp_eq_u16_sdwa vcc, v1, v8 src0_sel:BYTE_0 src1_sel:DWORD
	v_and_b32_e32 v13, 1, v1
	v_cndmask_b32_e32 v9, 0, v33, vcc
	v_cndmask_b32_e32 v12, 0, v37, vcc
	v_cmp_eq_u32_e32 vcc, 1, v13
	v_and_b32_e32 v13, 1, v32
	v_cmp_eq_u32_e64 s[6:7], 1, v13
	s_waitcnt lgkmcnt(0)
	; wave barrier
	s_waitcnt lgkmcnt(0)
	ds_read_b64 v[4:5], v8
	s_or_b64 s[6:7], vcc, s[6:7]
	v_cmp_eq_u32_e32 vcc, 0, v0
	v_cndmask_b32_e64 v13, 0, 1, s[6:7]
	v_cndmask_b32_e64 v9, v9, 0, vcc
	v_cndmask_b32_e32 v13, v13, v1, vcc
	v_cndmask_b32_e64 v12, v12, 0, vcc
	v_add_co_u32_e32 v9, vcc, v9, v2
	v_addc_co_u32_e32 v12, vcc, v12, v3, vcc
	v_cmp_eq_u16_sdwa vcc, v13, v8 src0_sel:BYTE_0 src1_sel:DWORD
	s_waitcnt lgkmcnt(0)
	v_cndmask_b32_e32 v4, 0, v4, vcc
	v_cndmask_b32_e32 v5, 0, v5, vcc
	v_add_co_u32_e32 v102, vcc, v9, v4
	v_addc_co_u32_e32 v103, vcc, v12, v5, vcc
	v_cndmask_b32_e64 v5, 0, v102, s[38:39]
	v_cndmask_b32_e64 v4, 0, v103, s[38:39]
	v_add_co_u32_e32 v40, vcc, v5, v14
	v_addc_co_u32_e32 v41, vcc, v4, v15, vcc
	v_cndmask_b32_e64 v5, 0, v40, s[36:37]
	v_cndmask_b32_e64 v4, 0, v41, s[36:37]
	;; [unrolled: 4-line block ×18, first 2 shown]
	v_add_co_u32_e32 v108, vcc, v5, v16
	v_addc_co_u32_e32 v109, vcc, v4, v17, vcc
	s_branch .LBB86_194
.LBB86_172:
                                        ; implicit-def: $vgpr100_vgpr101_vgpr102_vgpr103
                                        ; implicit-def: $vgpr108_vgpr109
                                        ; implicit-def: $vgpr106_vgpr107
                                        ; implicit-def: $vgpr68_vgpr69
                                        ; implicit-def: $vgpr64_vgpr65
                                        ; implicit-def: $vgpr60_vgpr61
                                        ; implicit-def: $vgpr56_vgpr57
                                        ; implicit-def: $vgpr52_vgpr53
                                        ; implicit-def: $vgpr48_vgpr49
                                        ; implicit-def: $vgpr44_vgpr45
                                        ; implicit-def: $vgpr40_vgpr41
                                        ; implicit-def: $vgpr96_vgpr97_vgpr98_vgpr99
                                        ; implicit-def: $vgpr92_vgpr93_vgpr94_vgpr95
                                        ; implicit-def: $vgpr88_vgpr89_vgpr90_vgpr91
                                        ; implicit-def: $vgpr84_vgpr85_vgpr86_vgpr87
                                        ; implicit-def: $vgpr80_vgpr81_vgpr82_vgpr83
                                        ; implicit-def: $vgpr76_vgpr77_vgpr78_vgpr79
                                        ; implicit-def: $vgpr72_vgpr73_vgpr74_vgpr75
                                        ; implicit-def: $vgpr102_vgpr103_vgpr104_vgpr105
	s_cbranch_execz .LBB86_194
; %bb.173:
	s_cmp_lg_u64 s[66:67], 0
	s_cselect_b32 s5, s59, 0
	s_cselect_b32 s4, s58, 0
	s_cmp_lg_u64 s[4:5], 0
	s_cselect_b64 s[6:7], -1, 0
	v_cmp_eq_u32_e32 vcc, 0, v0
	v_cmp_ne_u32_e64 s[2:3], 0, v0
	s_and_b64 s[8:9], vcc, s[6:7]
	s_and_saveexec_b64 s[6:7], s[8:9]
	s_cbranch_execz .LBB86_175
; %bb.174:
	v_mov_b32_e32 v8, 0
	global_load_dwordx2 v[4:5], v8, s[4:5]
	global_load_ubyte v9, v8, s[4:5] offset:8
	v_cmp_eq_u16_sdwa s[4:5], v1, v8 src0_sel:BYTE_0 src1_sel:DWORD
	s_waitcnt vmcnt(1)
	v_cndmask_b32_e64 v4, 0, v4, s[4:5]
	v_cndmask_b32_e64 v5, 0, v5, s[4:5]
	s_waitcnt vmcnt(0)
	v_or_b32_e32 v1, v1, v9
	v_add_co_u32_e64 v2, s[4:5], v4, v2
	v_addc_co_u32_e64 v3, s[4:5], v5, v3, s[4:5]
	v_and_b32_e32 v1, 1, v1
.LBB86_175:
	s_or_b64 exec, exec, s[6:7]
	v_mov_b32_e32 v5, 0
	v_cmp_eq_u16_sdwa s[4:5], v112, v5 src0_sel:BYTE_0 src1_sel:DWORD
	v_cndmask_b32_e64 v9, 0, v2, s[4:5]
	v_cndmask_b32_e64 v8, 0, v3, s[4:5]
	v_add_co_u32_e64 v40, s[6:7], v9, v14
	v_addc_co_u32_e64 v41, s[6:7], v8, v15, s[6:7]
	v_cmp_eq_u16_sdwa s[6:7], v111, v5 src0_sel:BYTE_0 src1_sel:DWORD
	v_cndmask_b32_e64 v9, 0, v40, s[6:7]
	v_cndmask_b32_e64 v8, 0, v41, s[6:7]
	v_add_co_u32_e64 v72, s[8:9], v9, v10
	v_addc_co_u32_e64 v73, s[8:9], v8, v11, s[8:9]
	;; [unrolled: 5-line block ×18, first 2 shown]
	v_or_b32_e32 v5, v29, v125
	v_or_b32_e32 v5, v5, v124
	v_or_b32_e32 v5, v5, v123
	v_or_b32_e32 v5, v5, v122
	v_or_b32_e32 v5, v5, v121
	v_or_b32_e32 v5, v5, v120
	v_or_b32_e32 v5, v5, v119
	v_or_b32_e32 v5, v5, v118
	v_or_b32_e32 v5, v5, v117
	v_or_b32_e32 v5, v5, v116
	v_or_b32_e32 v5, v5, v115
	v_or_b32_e32 v5, v5, v114
	v_or_b32_e32 v5, v5, v113
	v_or_b32_e32 v5, v5, v111
	v_or_b32_e32 v5, v5, v112
	v_and_b32_e32 v5, 1, v5
	v_and_b32_e32 v4, 0xff, v1
	v_cmp_eq_u32_e64 s[42:43], 1, v5
	v_mbcnt_hi_u32_b32 v12, -1, v28
	v_cndmask_b32_e64 v13, v4, 1, s[42:43]
	v_and_b32_e32 v20, 15, v12
	v_mov_b32_dpp v24, v108 row_shr:1 row_mask:0xf bank_mask:0xf
	v_mov_b32_dpp v25, v109 row_shr:1 row_mask:0xf bank_mask:0xf
	;; [unrolled: 1-line block ×3, first 2 shown]
	v_cmp_ne_u32_e64 s[42:43], 0, v20
	v_pk_mov_b32 v[4:5], v[108:109], v[108:109] op_sel:[0,1]
	v_mov_b32_e32 v9, v109
	v_mov_b32_e32 v8, v108
	s_and_saveexec_b64 s[44:45], s[42:43]
; %bb.176:
	v_cmp_eq_u32_e64 s[42:43], 0, v13
	v_cndmask_b32_e64 v4, 0, v24, s[42:43]
	v_cndmask_b32_e64 v5, 0, v25, s[42:43]
	v_add_co_u32_e64 v4, s[42:43], v108, v4
	v_addc_co_u32_e64 v5, s[42:43], v109, v5, s[42:43]
	v_and_or_b32 v13, v21, 1, v13
	v_mov_b32_e32 v9, v5
	v_mov_b32_e32 v8, v4
; %bb.177:
	s_or_b64 exec, exec, s[44:45]
	s_nop 0
	v_mov_b32_dpp v24, v8 row_shr:2 row_mask:0xf bank_mask:0xf
	v_mov_b32_dpp v25, v9 row_shr:2 row_mask:0xf bank_mask:0xf
	v_mov_b32_dpp v21, v13 row_shr:2 row_mask:0xf bank_mask:0xf
	v_cmp_lt_u32_e64 s[42:43], 1, v20
	s_and_saveexec_b64 s[44:45], s[42:43]
; %bb.178:
	v_cmp_eq_u32_e64 s[42:43], 0, v13
	v_cndmask_b32_e64 v8, 0, v24, s[42:43]
	v_cndmask_b32_e64 v9, 0, v25, s[42:43]
	v_add_co_u32_e64 v8, s[42:43], v8, v4
	v_addc_co_u32_e64 v9, s[42:43], v9, v5, s[42:43]
	v_or_b32_e32 v4, v21, v13
	v_and_b32_e32 v13, 1, v4
	v_pk_mov_b32 v[4:5], v[8:9], v[8:9] op_sel:[0,1]
; %bb.179:
	s_or_b64 exec, exec, s[44:45]
	v_mov_b32_dpp v24, v8 row_shr:4 row_mask:0xf bank_mask:0xf
	v_mov_b32_dpp v25, v9 row_shr:4 row_mask:0xf bank_mask:0xf
	v_mov_b32_dpp v21, v13 row_shr:4 row_mask:0xf bank_mask:0xf
	v_cmp_lt_u32_e64 s[42:43], 3, v20
	s_and_saveexec_b64 s[44:45], s[42:43]
; %bb.180:
	v_cmp_eq_u32_e64 s[42:43], 0, v13
	v_cndmask_b32_e64 v8, 0, v24, s[42:43]
	v_cndmask_b32_e64 v9, 0, v25, s[42:43]
	v_add_co_u32_e64 v8, s[42:43], v8, v4
	v_addc_co_u32_e64 v9, s[42:43], v9, v5, s[42:43]
	v_or_b32_e32 v4, v21, v13
	v_and_b32_e32 v13, 1, v4
	v_pk_mov_b32 v[4:5], v[8:9], v[8:9] op_sel:[0,1]
; %bb.181:
	s_or_b64 exec, exec, s[44:45]
	;; [unrolled: 16-line block ×3, first 2 shown]
	v_and_b32_e32 v25, 16, v12
	v_mov_b32_dpp v21, v8 row_bcast:15 row_mask:0xf bank_mask:0xf
	v_mov_b32_dpp v24, v9 row_bcast:15 row_mask:0xf bank_mask:0xf
	;; [unrolled: 1-line block ×3, first 2 shown]
	v_cmp_ne_u32_e64 s[42:43], 0, v25
	s_and_saveexec_b64 s[44:45], s[42:43]
; %bb.184:
	v_cmp_eq_u32_e64 s[42:43], 0, v13
	v_cndmask_b32_e64 v9, 0, v21, s[42:43]
	v_cndmask_b32_e64 v8, 0, v24, s[42:43]
	v_add_co_u32_e64 v4, s[42:43], v9, v4
	v_addc_co_u32_e64 v5, s[42:43], v8, v5, s[42:43]
	v_or_b32_e32 v8, v20, v13
	v_and_b32_e32 v13, 1, v8
	v_mov_b32_e32 v9, v5
	v_mov_b32_e32 v8, v4
; %bb.185:
	s_or_b64 exec, exec, s[44:45]
	s_nop 0
	v_mov_b32_dpp v20, v8 row_bcast:31 row_mask:0xf bank_mask:0xf
	v_mov_b32_dpp v9, v9 row_bcast:31 row_mask:0xf bank_mask:0xf
	;; [unrolled: 1-line block ×3, first 2 shown]
	v_cmp_lt_u32_e64 s[42:43], 31, v12
	s_and_saveexec_b64 s[44:45], s[42:43]
; %bb.186:
	v_cmp_eq_u32_e64 s[42:43], 0, v13
	v_cndmask_b32_e64 v20, 0, v20, s[42:43]
	v_cndmask_b32_e64 v9, 0, v9, s[42:43]
	v_add_co_u32_e64 v4, s[42:43], v20, v4
	v_or_b32_e32 v8, v8, v13
	v_addc_co_u32_e64 v5, s[42:43], v9, v5, s[42:43]
	v_and_b32_e32 v13, 1, v8
; %bb.187:
	s_or_b64 exec, exec, s[44:45]
	v_cmp_eq_u32_e64 s[42:43], 63, v0
	s_and_saveexec_b64 s[44:45], s[42:43]
	s_cbranch_execz .LBB86_189
; %bb.188:
	v_mov_b32_e32 v8, 0
	ds_write_b64 v8, v[4:5]
	ds_write_b8 v8, v13 offset:8
.LBB86_189:
	s_or_b64 exec, exec, s[44:45]
	v_add_u32_e32 v8, -1, v12
	v_and_b32_e32 v9, 64, v12
	v_cmp_lt_i32_e64 s[42:43], v8, v9
	v_cndmask_b32_e64 v8, v8, v12, s[42:43]
	v_lshlrev_b32_e32 v8, 2, v8
	ds_bpermute_b32 v4, v8, v4
	ds_bpermute_b32 v5, v8, v5
	s_waitcnt lgkmcnt(0)
	; wave barrier
	s_waitcnt lgkmcnt(0)
	s_and_saveexec_b64 s[42:43], s[2:3]
	s_cbranch_execz .LBB86_191
; %bb.190:
	v_mov_b32_e32 v8, 0
	v_cmp_eq_u16_sdwa s[2:3], v1, v8 src0_sel:BYTE_0 src1_sel:DWORD
	v_cndmask_b32_e64 v4, 0, v4, s[2:3]
	v_cndmask_b32_e64 v1, 0, v5, s[2:3]
	v_add_co_u32_e64 v2, s[2:3], v4, v2
	v_addc_co_u32_e64 v3, s[2:3], v1, v3, s[2:3]
	v_cndmask_b32_e64 v4, 0, v2, s[4:5]
	v_cndmask_b32_e64 v1, 0, v3, s[4:5]
	v_add_co_u32_e64 v40, s[2:3], v4, v14
	v_addc_co_u32_e64 v41, s[2:3], v1, v15, s[2:3]
	;; [unrolled: 4-line block ×19, first 2 shown]
	;;#ASMSTART
	;;#ASMEND
.LBB86_191:
	s_or_b64 exec, exec, s[42:43]
	s_and_saveexec_b64 s[2:3], vcc
	s_cbranch_execz .LBB86_193
; %bb.192:
	v_mov_b32_e32 v1, 0
	ds_read_b64 v[4:5], v1
	ds_read_u8 v6, v1 offset:8
	v_mov_b32_e32 v7, 2
	s_waitcnt lgkmcnt(1)
	global_store_dwordx2 v1, v[4:5], s[50:51] offset:1024
	s_waitcnt lgkmcnt(0)
	global_store_byte v1, v6, s[50:51] offset:1032
	s_waitcnt vmcnt(0)
	buffer_wbinvl1_vol
	global_store_byte v1, v7, s[52:53] offset:64
.LBB86_193:
	s_or_b64 exec, exec, s[2:3]
	v_pk_mov_b32 v[102:103], v[2:3], v[2:3] op_sel:[0,1]
.LBB86_194:
	s_add_u32 s2, s46, s64
	s_addc_u32 s3, s47, s65
	s_add_u32 s4, s2, s60
	s_addc_u32 s5, s3, s61
	s_and_b64 vcc, exec, s[0:1]
	s_cbranch_vccz .LBB86_232
; %bb.195:
	s_movk_i32 s0, 0x98
	v_mul_i32_i24_e32 v43, 0xffffff70, v0
	v_mul_u32_u24_e32 v42, 0x98, v0
	v_mad_u32_u24 v2, v0, s0, v43
	s_waitcnt lgkmcnt(0)
	; wave barrier
	ds_write2_b64 v42, v[102:103], v[40:41] offset1:1
	ds_write2_b64 v42, v[72:73], v[44:45] offset0:2 offset1:3
	ds_write2_b64 v42, v[76:77], v[48:49] offset0:4 offset1:5
	;; [unrolled: 1-line block ×8, first 2 shown]
	ds_write_b64 v42, v[108:109] offset:144
	s_waitcnt lgkmcnt(0)
	; wave barrier
	s_waitcnt lgkmcnt(0)
	ds_read2st64_b64 v[34:37], v2 offset0:1 offset1:2
	ds_read2st64_b64 v[30:33], v2 offset0:3 offset1:4
	;; [unrolled: 1-line block ×9, first 2 shown]
	v_mov_b32_e32 v39, s5
	v_add_co_u32_e32 v38, vcc, s4, v127
	s_add_i32 s33, s33, s54
	v_addc_co_u32_e32 v39, vcc, 0, v39, vcc
	v_mov_b32_e32 v1, 0
	v_cmp_gt_u32_e32 vcc, s33, v0
	s_and_saveexec_b64 s[0:1], vcc
	s_cbranch_execz .LBB86_197
; %bb.196:
	v_add_u32_e32 v42, v42, v43
	ds_read_b64 v[42:43], v42
	s_waitcnt lgkmcnt(0)
	flat_store_dwordx2 v[38:39], v[42:43]
.LBB86_197:
	s_or_b64 exec, exec, s[0:1]
	v_or_b32_e32 v42, 64, v0
	v_cmp_gt_u32_e32 vcc, s33, v42
	s_and_saveexec_b64 s[0:1], vcc
	s_cbranch_execz .LBB86_199
; %bb.198:
	s_waitcnt lgkmcnt(0)
	flat_store_dwordx2 v[38:39], v[34:35] offset:512
.LBB86_199:
	s_or_b64 exec, exec, s[0:1]
	s_waitcnt lgkmcnt(0)
	v_or_b32_e32 v34, 0x80, v0
	v_cmp_gt_u32_e32 vcc, s33, v34
	s_and_saveexec_b64 s[0:1], vcc
	s_cbranch_execz .LBB86_201
; %bb.200:
	flat_store_dwordx2 v[38:39], v[36:37] offset:1024
.LBB86_201:
	s_or_b64 exec, exec, s[0:1]
	v_or_b32_e32 v34, 0xc0, v0
	v_cmp_gt_u32_e32 vcc, s33, v34
	s_and_saveexec_b64 s[0:1], vcc
	s_cbranch_execz .LBB86_203
; %bb.202:
	flat_store_dwordx2 v[38:39], v[30:31] offset:1536
.LBB86_203:
	s_or_b64 exec, exec, s[0:1]
	;; [unrolled: 8-line block ×6, first 2 shown]
	v_or_b32_e32 v22, 0x200, v0
	v_cmp_gt_u32_e32 vcc, s33, v22
	s_and_saveexec_b64 s[0:1], vcc
	s_cbranch_execz .LBB86_213
; %bb.212:
	v_add_co_u32_e32 v22, vcc, 0x1000, v38
	v_addc_co_u32_e32 v23, vcc, 0, v39, vcc
	flat_store_dwordx2 v[22:23], v[24:25]
.LBB86_213:
	s_or_b64 exec, exec, s[0:1]
	v_or_b32_e32 v22, 0x240, v0
	v_cmp_gt_u32_e32 vcc, s33, v22
	s_and_saveexec_b64 s[0:1], vcc
	s_cbranch_execz .LBB86_215
; %bb.214:
	v_add_co_u32_e32 v22, vcc, 0x1000, v38
	v_addc_co_u32_e32 v23, vcc, 0, v39, vcc
	flat_store_dwordx2 v[22:23], v[18:19] offset:512
.LBB86_215:
	s_or_b64 exec, exec, s[0:1]
	v_or_b32_e32 v18, 0x280, v0
	v_cmp_gt_u32_e32 vcc, s33, v18
	s_and_saveexec_b64 s[0:1], vcc
	s_cbranch_execz .LBB86_217
; %bb.216:
	v_add_co_u32_e32 v18, vcc, 0x1000, v38
	v_addc_co_u32_e32 v19, vcc, 0, v39, vcc
	flat_store_dwordx2 v[18:19], v[20:21] offset:1024
.LBB86_217:
	;; [unrolled: 10-line block ×7, first 2 shown]
	s_or_b64 exec, exec, s[0:1]
	v_or_b32_e32 v6, 0x400, v0
	v_cmp_gt_u32_e32 vcc, s33, v6
	s_and_saveexec_b64 s[0:1], vcc
	s_cbranch_execz .LBB86_229
; %bb.228:
	v_add_co_u32_e32 v6, vcc, 0x2000, v38
	v_addc_co_u32_e32 v7, vcc, 0, v39, vcc
	flat_store_dwordx2 v[6:7], v[8:9]
.LBB86_229:
	s_or_b64 exec, exec, s[0:1]
	v_or_b32_e32 v6, 0x440, v0
	v_cmp_gt_u32_e32 vcc, s33, v6
	s_and_saveexec_b64 s[0:1], vcc
	s_cbranch_execz .LBB86_231
; %bb.230:
	v_add_co_u32_e32 v6, vcc, 0x2000, v38
	v_addc_co_u32_e32 v7, vcc, 0, v39, vcc
	flat_store_dwordx2 v[6:7], v[2:3] offset:512
.LBB86_231:
	s_or_b64 exec, exec, s[0:1]
	v_or_b32_e32 v2, 0x480, v0
	v_cmp_gt_u32_e64 s[0:1], s33, v2
	s_branch .LBB86_234
.LBB86_232:
	s_mov_b64 s[0:1], 0
                                        ; implicit-def: $vgpr4_vgpr5
	s_cbranch_execz .LBB86_234
; %bb.233:
	s_movk_i32 s2, 0x98
	v_mul_i32_i24_e32 v2, 0xffffff70, v0
	v_mul_u32_u24_e32 v1, 0x98, v0
	v_mad_u32_u24 v2, v0, s2, v2
	s_waitcnt lgkmcnt(0)
	; wave barrier
	s_waitcnt lgkmcnt(0)
	ds_write2_b64 v1, v[102:103], v[40:41] offset1:1
	ds_write2_b64 v1, v[72:73], v[44:45] offset0:2 offset1:3
	ds_write2_b64 v1, v[76:77], v[48:49] offset0:4 offset1:5
	;; [unrolled: 1-line block ×8, first 2 shown]
	ds_write_b64 v1, v[108:109] offset:144
	s_waitcnt lgkmcnt(0)
	; wave barrier
	s_waitcnt lgkmcnt(0)
	ds_read2st64_b64 v[6:9], v2 offset1:1
	ds_read2st64_b64 v[10:13], v2 offset0:2 offset1:3
	ds_read2st64_b64 v[14:17], v2 offset0:4 offset1:5
	;; [unrolled: 1-line block ×8, first 2 shown]
	ds_read_b64 v[4:5], v2 offset:9216
	v_mov_b32_e32 v3, s5
	v_add_co_u32_e32 v2, vcc, s4, v127
	v_addc_co_u32_e32 v3, vcc, 0, v3, vcc
	s_movk_i32 s2, 0x1000
	s_waitcnt lgkmcnt(0)
	flat_store_dwordx2 v[2:3], v[6:7]
	flat_store_dwordx2 v[2:3], v[8:9] offset:512
	flat_store_dwordx2 v[2:3], v[10:11] offset:1024
	;; [unrolled: 1-line block ×7, first 2 shown]
	v_add_co_u32_e32 v6, vcc, s2, v2
	v_addc_co_u32_e32 v7, vcc, 0, v3, vcc
	v_add_co_u32_e32 v2, vcc, 0x2000, v2
	v_mov_b32_e32 v1, 0
	v_addc_co_u32_e32 v3, vcc, 0, v3, vcc
	s_or_b64 s[0:1], s[0:1], exec
	flat_store_dwordx2 v[6:7], v[22:23]
	flat_store_dwordx2 v[6:7], v[24:25] offset:512
	flat_store_dwordx2 v[6:7], v[26:27] offset:1024
	;; [unrolled: 1-line block ×7, first 2 shown]
	flat_store_dwordx2 v[2:3], v[38:39]
	flat_store_dwordx2 v[2:3], v[40:41] offset:512
.LBB86_234:
	s_and_saveexec_b64 s[2:3], s[0:1]
	s_cbranch_execnz .LBB86_236
; %bb.235:
	s_endpgm
.LBB86_236:
	v_lshlrev_b64 v[0:1], 3, v[0:1]
	v_mov_b32_e32 v2, s5
	v_add_co_u32_e32 v0, vcc, s4, v0
	v_addc_co_u32_e32 v1, vcc, v2, v1, vcc
	v_add_co_u32_e32 v0, vcc, 0x2000, v0
	v_addc_co_u32_e32 v1, vcc, 0, v1, vcc
	flat_store_dwordx2 v[0:1], v[4:5] offset:1024
	s_endpgm
.LBB86_237:
	v_mov_b32_e32 v3, s55
	v_add_co_u32_e32 v2, vcc, s7, v50
	v_addc_co_u32_e32 v3, vcc, 0, v3, vcc
	flat_load_dwordx2 v[2:3], v[2:3]
	s_or_b64 exec, exec, s[56:57]
                                        ; implicit-def: $vgpr6_vgpr7
	s_and_saveexec_b64 s[2:3], s[4:5]
	s_cbranch_execz .LBB86_47
.LBB86_238:
	v_mov_b32_e32 v7, s55
	v_add_co_u32_e32 v6, vcc, s7, v50
	v_addc_co_u32_e32 v7, vcc, 0, v7, vcc
	flat_load_dwordx2 v[6:7], v[6:7] offset:512
	s_or_b64 exec, exec, s[2:3]
                                        ; implicit-def: $vgpr10_vgpr11
	s_and_saveexec_b64 s[2:3], s[42:43]
	s_cbranch_execz .LBB86_48
.LBB86_239:
	v_mov_b32_e32 v11, s55
	v_add_co_u32_e32 v10, vcc, s7, v50
	v_addc_co_u32_e32 v11, vcc, 0, v11, vcc
	flat_load_dwordx2 v[10:11], v[10:11] offset:1024
	s_or_b64 exec, exec, s[2:3]
                                        ; implicit-def: $vgpr12_vgpr13
	s_and_saveexec_b64 s[2:3], s[8:9]
	s_cbranch_execz .LBB86_49
.LBB86_240:
	v_mov_b32_e32 v13, s55
	v_add_co_u32_e32 v12, vcc, s7, v50
	v_addc_co_u32_e32 v13, vcc, 0, v13, vcc
	flat_load_dwordx2 v[12:13], v[12:13] offset:1536
	s_or_b64 exec, exec, s[2:3]
                                        ; implicit-def: $vgpr14_vgpr15
	s_and_saveexec_b64 s[2:3], s[10:11]
	s_cbranch_execz .LBB86_50
.LBB86_241:
	v_mov_b32_e32 v15, s55
	v_add_co_u32_e32 v14, vcc, s7, v50
	v_addc_co_u32_e32 v15, vcc, 0, v15, vcc
	flat_load_dwordx2 v[14:15], v[14:15] offset:2048
	s_or_b64 exec, exec, s[2:3]
                                        ; implicit-def: $vgpr16_vgpr17
	s_and_saveexec_b64 s[2:3], s[12:13]
	s_cbranch_execz .LBB86_51
.LBB86_242:
	v_mov_b32_e32 v17, s55
	v_add_co_u32_e32 v16, vcc, s7, v50
	v_addc_co_u32_e32 v17, vcc, 0, v17, vcc
	flat_load_dwordx2 v[16:17], v[16:17] offset:2560
	s_or_b64 exec, exec, s[2:3]
                                        ; implicit-def: $vgpr18_vgpr19
	s_and_saveexec_b64 s[2:3], s[14:15]
	s_cbranch_execz .LBB86_52
.LBB86_243:
	v_mov_b32_e32 v19, s55
	v_add_co_u32_e32 v18, vcc, s7, v50
	v_addc_co_u32_e32 v19, vcc, 0, v19, vcc
	flat_load_dwordx2 v[18:19], v[18:19] offset:3072
	s_or_b64 exec, exec, s[2:3]
                                        ; implicit-def: $vgpr20_vgpr21
	s_and_saveexec_b64 s[2:3], s[16:17]
	s_cbranch_execz .LBB86_53
.LBB86_244:
	v_mov_b32_e32 v21, s55
	v_add_co_u32_e32 v20, vcc, s7, v50
	v_addc_co_u32_e32 v21, vcc, 0, v21, vcc
	flat_load_dwordx2 v[20:21], v[20:21] offset:3584
	s_or_b64 exec, exec, s[2:3]
                                        ; implicit-def: $vgpr22_vgpr23
	s_and_saveexec_b64 s[2:3], s[18:19]
	s_cbranch_execz .LBB86_54
.LBB86_245:
	v_mov_b32_e32 v23, s55
	v_add_co_u32_e32 v22, vcc, s7, v1
	v_addc_co_u32_e32 v23, vcc, 0, v23, vcc
	flat_load_dwordx2 v[22:23], v[22:23]
	s_or_b64 exec, exec, s[2:3]
                                        ; implicit-def: $vgpr24_vgpr25
	s_and_saveexec_b64 s[2:3], s[20:21]
	s_cbranch_execz .LBB86_55
.LBB86_246:
	v_mov_b32_e32 v1, s55
	v_add_co_u32_e32 v24, vcc, s7, v40
	v_addc_co_u32_e32 v25, vcc, 0, v1, vcc
	flat_load_dwordx2 v[24:25], v[24:25]
	s_or_b64 exec, exec, s[2:3]
                                        ; implicit-def: $vgpr26_vgpr27
	s_and_saveexec_b64 s[2:3], s[22:23]
	s_cbranch_execz .LBB86_56
.LBB86_247:
	v_mov_b32_e32 v1, s55
	v_add_co_u32_e32 v26, vcc, s7, v41
	v_addc_co_u32_e32 v27, vcc, 0, v1, vcc
	flat_load_dwordx2 v[26:27], v[26:27]
	s_or_b64 exec, exec, s[2:3]
                                        ; implicit-def: $vgpr28_vgpr29
	s_and_saveexec_b64 s[2:3], s[24:25]
	s_cbranch_execz .LBB86_57
.LBB86_248:
	v_mov_b32_e32 v1, s55
	v_add_co_u32_e32 v28, vcc, s7, v42
	v_addc_co_u32_e32 v29, vcc, 0, v1, vcc
	flat_load_dwordx2 v[28:29], v[28:29]
	s_or_b64 exec, exec, s[2:3]
                                        ; implicit-def: $vgpr30_vgpr31
	s_and_saveexec_b64 s[2:3], s[26:27]
	s_cbranch_execz .LBB86_58
.LBB86_249:
	v_mov_b32_e32 v1, s55
	v_add_co_u32_e32 v30, vcc, s7, v43
	v_addc_co_u32_e32 v31, vcc, 0, v1, vcc
	flat_load_dwordx2 v[30:31], v[30:31]
	s_or_b64 exec, exec, s[2:3]
                                        ; implicit-def: $vgpr32_vgpr33
	s_and_saveexec_b64 s[2:3], s[28:29]
	s_cbranch_execz .LBB86_59
.LBB86_250:
	v_mov_b32_e32 v1, s55
	v_add_co_u32_e32 v32, vcc, s7, v44
	v_addc_co_u32_e32 v33, vcc, 0, v1, vcc
	flat_load_dwordx2 v[32:33], v[32:33]
	s_or_b64 exec, exec, s[2:3]
                                        ; implicit-def: $vgpr34_vgpr35
	s_and_saveexec_b64 s[2:3], s[30:31]
	s_cbranch_execz .LBB86_60
.LBB86_251:
	v_mov_b32_e32 v1, s55
	v_add_co_u32_e32 v34, vcc, s7, v45
	v_addc_co_u32_e32 v35, vcc, 0, v1, vcc
	flat_load_dwordx2 v[34:35], v[34:35]
	s_or_b64 exec, exec, s[2:3]
                                        ; implicit-def: $vgpr36_vgpr37
	s_and_saveexec_b64 s[2:3], s[34:35]
	s_cbranch_execz .LBB86_61
.LBB86_252:
	v_mov_b32_e32 v1, s55
	v_add_co_u32_e32 v36, vcc, s7, v46
	v_addc_co_u32_e32 v37, vcc, 0, v1, vcc
	flat_load_dwordx2 v[36:37], v[36:37]
	s_or_b64 exec, exec, s[2:3]
                                        ; implicit-def: $vgpr38_vgpr39
	s_and_saveexec_b64 s[2:3], s[36:37]
	s_cbranch_execz .LBB86_62
.LBB86_253:
	v_mov_b32_e32 v1, s55
	v_add_co_u32_e32 v38, vcc, s7, v47
	v_addc_co_u32_e32 v39, vcc, 0, v1, vcc
	flat_load_dwordx2 v[38:39], v[38:39]
	s_or_b64 exec, exec, s[2:3]
                                        ; implicit-def: $vgpr40_vgpr41
	s_and_saveexec_b64 s[2:3], s[38:39]
	s_cbranch_execz .LBB86_63
.LBB86_254:
	v_mov_b32_e32 v1, s55
	v_add_co_u32_e32 v40, vcc, s7, v49
	v_addc_co_u32_e32 v41, vcc, 0, v1, vcc
	flat_load_dwordx2 v[40:41], v[40:41]
	s_or_b64 exec, exec, s[2:3]
                                        ; implicit-def: $vgpr42_vgpr43
	s_and_saveexec_b64 s[2:3], s[40:41]
	s_cbranch_execnz .LBB86_64
	s_branch .LBB86_65
.LBB86_255:
                                        ; implicit-def: $sgpr56_sgpr57
	s_branch .LBB86_42
.LBB86_256:
                                        ; implicit-def: $sgpr2_sgpr3
	s_branch .LBB86_106
	.section	.rodata,"a",@progbits
	.p2align	6, 0x0
	.amdhsa_kernel _ZN7rocprim17ROCPRIM_400000_NS6detail17trampoline_kernelINS0_14default_configENS1_27scan_by_key_config_selectorIxxEEZZNS1_16scan_by_key_implILNS1_25lookback_scan_determinismE0ELb0ES3_N6thrust23THRUST_200600_302600_NS6detail15normal_iteratorINS9_10device_ptrIxEEEESE_SE_xNS9_4plusIvEENS9_8equal_toIxEExEE10hipError_tPvRmT2_T3_T4_T5_mT6_T7_P12ihipStream_tbENKUlT_T0_E_clISt17integral_constantIbLb0EESZ_EEDaSU_SV_EUlSU_E_NS1_11comp_targetILNS1_3genE4ELNS1_11target_archE910ELNS1_3gpuE8ELNS1_3repE0EEENS1_30default_config_static_selectorELNS0_4arch9wavefront6targetE1EEEvT1_
		.amdhsa_group_segment_fixed_size 10752
		.amdhsa_private_segment_fixed_size 0
		.amdhsa_kernarg_size 136
		.amdhsa_user_sgpr_count 6
		.amdhsa_user_sgpr_private_segment_buffer 1
		.amdhsa_user_sgpr_dispatch_ptr 0
		.amdhsa_user_sgpr_queue_ptr 0
		.amdhsa_user_sgpr_kernarg_segment_ptr 1
		.amdhsa_user_sgpr_dispatch_id 0
		.amdhsa_user_sgpr_flat_scratch_init 0
		.amdhsa_user_sgpr_kernarg_preload_length 0
		.amdhsa_user_sgpr_kernarg_preload_offset 0
		.amdhsa_user_sgpr_private_segment_size 0
		.amdhsa_uses_dynamic_stack 0
		.amdhsa_system_sgpr_private_segment_wavefront_offset 0
		.amdhsa_system_sgpr_workgroup_id_x 1
		.amdhsa_system_sgpr_workgroup_id_y 0
		.amdhsa_system_sgpr_workgroup_id_z 0
		.amdhsa_system_sgpr_workgroup_info 0
		.amdhsa_system_vgpr_workitem_id 0
		.amdhsa_next_free_vgpr 128
		.amdhsa_next_free_sgpr 78
		.amdhsa_accum_offset 128
		.amdhsa_reserve_vcc 1
		.amdhsa_reserve_flat_scratch 0
		.amdhsa_float_round_mode_32 0
		.amdhsa_float_round_mode_16_64 0
		.amdhsa_float_denorm_mode_32 3
		.amdhsa_float_denorm_mode_16_64 3
		.amdhsa_dx10_clamp 1
		.amdhsa_ieee_mode 1
		.amdhsa_fp16_overflow 0
		.amdhsa_tg_split 0
		.amdhsa_exception_fp_ieee_invalid_op 0
		.amdhsa_exception_fp_denorm_src 0
		.amdhsa_exception_fp_ieee_div_zero 0
		.amdhsa_exception_fp_ieee_overflow 0
		.amdhsa_exception_fp_ieee_underflow 0
		.amdhsa_exception_fp_ieee_inexact 0
		.amdhsa_exception_int_div_zero 0
	.end_amdhsa_kernel
	.section	.text._ZN7rocprim17ROCPRIM_400000_NS6detail17trampoline_kernelINS0_14default_configENS1_27scan_by_key_config_selectorIxxEEZZNS1_16scan_by_key_implILNS1_25lookback_scan_determinismE0ELb0ES3_N6thrust23THRUST_200600_302600_NS6detail15normal_iteratorINS9_10device_ptrIxEEEESE_SE_xNS9_4plusIvEENS9_8equal_toIxEExEE10hipError_tPvRmT2_T3_T4_T5_mT6_T7_P12ihipStream_tbENKUlT_T0_E_clISt17integral_constantIbLb0EESZ_EEDaSU_SV_EUlSU_E_NS1_11comp_targetILNS1_3genE4ELNS1_11target_archE910ELNS1_3gpuE8ELNS1_3repE0EEENS1_30default_config_static_selectorELNS0_4arch9wavefront6targetE1EEEvT1_,"axG",@progbits,_ZN7rocprim17ROCPRIM_400000_NS6detail17trampoline_kernelINS0_14default_configENS1_27scan_by_key_config_selectorIxxEEZZNS1_16scan_by_key_implILNS1_25lookback_scan_determinismE0ELb0ES3_N6thrust23THRUST_200600_302600_NS6detail15normal_iteratorINS9_10device_ptrIxEEEESE_SE_xNS9_4plusIvEENS9_8equal_toIxEExEE10hipError_tPvRmT2_T3_T4_T5_mT6_T7_P12ihipStream_tbENKUlT_T0_E_clISt17integral_constantIbLb0EESZ_EEDaSU_SV_EUlSU_E_NS1_11comp_targetILNS1_3genE4ELNS1_11target_archE910ELNS1_3gpuE8ELNS1_3repE0EEENS1_30default_config_static_selectorELNS0_4arch9wavefront6targetE1EEEvT1_,comdat
.Lfunc_end86:
	.size	_ZN7rocprim17ROCPRIM_400000_NS6detail17trampoline_kernelINS0_14default_configENS1_27scan_by_key_config_selectorIxxEEZZNS1_16scan_by_key_implILNS1_25lookback_scan_determinismE0ELb0ES3_N6thrust23THRUST_200600_302600_NS6detail15normal_iteratorINS9_10device_ptrIxEEEESE_SE_xNS9_4plusIvEENS9_8equal_toIxEExEE10hipError_tPvRmT2_T3_T4_T5_mT6_T7_P12ihipStream_tbENKUlT_T0_E_clISt17integral_constantIbLb0EESZ_EEDaSU_SV_EUlSU_E_NS1_11comp_targetILNS1_3genE4ELNS1_11target_archE910ELNS1_3gpuE8ELNS1_3repE0EEENS1_30default_config_static_selectorELNS0_4arch9wavefront6targetE1EEEvT1_, .Lfunc_end86-_ZN7rocprim17ROCPRIM_400000_NS6detail17trampoline_kernelINS0_14default_configENS1_27scan_by_key_config_selectorIxxEEZZNS1_16scan_by_key_implILNS1_25lookback_scan_determinismE0ELb0ES3_N6thrust23THRUST_200600_302600_NS6detail15normal_iteratorINS9_10device_ptrIxEEEESE_SE_xNS9_4plusIvEENS9_8equal_toIxEExEE10hipError_tPvRmT2_T3_T4_T5_mT6_T7_P12ihipStream_tbENKUlT_T0_E_clISt17integral_constantIbLb0EESZ_EEDaSU_SV_EUlSU_E_NS1_11comp_targetILNS1_3genE4ELNS1_11target_archE910ELNS1_3gpuE8ELNS1_3repE0EEENS1_30default_config_static_selectorELNS0_4arch9wavefront6targetE1EEEvT1_
                                        ; -- End function
	.section	.AMDGPU.csdata,"",@progbits
; Kernel info:
; codeLenInByte = 14924
; NumSgprs: 82
; NumVgprs: 128
; NumAgprs: 0
; TotalNumVgprs: 128
; ScratchSize: 0
; MemoryBound: 0
; FloatMode: 240
; IeeeMode: 1
; LDSByteSize: 10752 bytes/workgroup (compile time only)
; SGPRBlocks: 10
; VGPRBlocks: 15
; NumSGPRsForWavesPerEU: 82
; NumVGPRsForWavesPerEU: 128
; AccumOffset: 128
; Occupancy: 2
; WaveLimiterHint : 1
; COMPUTE_PGM_RSRC2:SCRATCH_EN: 0
; COMPUTE_PGM_RSRC2:USER_SGPR: 6
; COMPUTE_PGM_RSRC2:TRAP_HANDLER: 0
; COMPUTE_PGM_RSRC2:TGID_X_EN: 1
; COMPUTE_PGM_RSRC2:TGID_Y_EN: 0
; COMPUTE_PGM_RSRC2:TGID_Z_EN: 0
; COMPUTE_PGM_RSRC2:TIDIG_COMP_CNT: 0
; COMPUTE_PGM_RSRC3_GFX90A:ACCUM_OFFSET: 31
; COMPUTE_PGM_RSRC3_GFX90A:TG_SPLIT: 0
	.section	.text._ZN7rocprim17ROCPRIM_400000_NS6detail17trampoline_kernelINS0_14default_configENS1_27scan_by_key_config_selectorIxxEEZZNS1_16scan_by_key_implILNS1_25lookback_scan_determinismE0ELb0ES3_N6thrust23THRUST_200600_302600_NS6detail15normal_iteratorINS9_10device_ptrIxEEEESE_SE_xNS9_4plusIvEENS9_8equal_toIxEExEE10hipError_tPvRmT2_T3_T4_T5_mT6_T7_P12ihipStream_tbENKUlT_T0_E_clISt17integral_constantIbLb0EESZ_EEDaSU_SV_EUlSU_E_NS1_11comp_targetILNS1_3genE3ELNS1_11target_archE908ELNS1_3gpuE7ELNS1_3repE0EEENS1_30default_config_static_selectorELNS0_4arch9wavefront6targetE1EEEvT1_,"axG",@progbits,_ZN7rocprim17ROCPRIM_400000_NS6detail17trampoline_kernelINS0_14default_configENS1_27scan_by_key_config_selectorIxxEEZZNS1_16scan_by_key_implILNS1_25lookback_scan_determinismE0ELb0ES3_N6thrust23THRUST_200600_302600_NS6detail15normal_iteratorINS9_10device_ptrIxEEEESE_SE_xNS9_4plusIvEENS9_8equal_toIxEExEE10hipError_tPvRmT2_T3_T4_T5_mT6_T7_P12ihipStream_tbENKUlT_T0_E_clISt17integral_constantIbLb0EESZ_EEDaSU_SV_EUlSU_E_NS1_11comp_targetILNS1_3genE3ELNS1_11target_archE908ELNS1_3gpuE7ELNS1_3repE0EEENS1_30default_config_static_selectorELNS0_4arch9wavefront6targetE1EEEvT1_,comdat
	.protected	_ZN7rocprim17ROCPRIM_400000_NS6detail17trampoline_kernelINS0_14default_configENS1_27scan_by_key_config_selectorIxxEEZZNS1_16scan_by_key_implILNS1_25lookback_scan_determinismE0ELb0ES3_N6thrust23THRUST_200600_302600_NS6detail15normal_iteratorINS9_10device_ptrIxEEEESE_SE_xNS9_4plusIvEENS9_8equal_toIxEExEE10hipError_tPvRmT2_T3_T4_T5_mT6_T7_P12ihipStream_tbENKUlT_T0_E_clISt17integral_constantIbLb0EESZ_EEDaSU_SV_EUlSU_E_NS1_11comp_targetILNS1_3genE3ELNS1_11target_archE908ELNS1_3gpuE7ELNS1_3repE0EEENS1_30default_config_static_selectorELNS0_4arch9wavefront6targetE1EEEvT1_ ; -- Begin function _ZN7rocprim17ROCPRIM_400000_NS6detail17trampoline_kernelINS0_14default_configENS1_27scan_by_key_config_selectorIxxEEZZNS1_16scan_by_key_implILNS1_25lookback_scan_determinismE0ELb0ES3_N6thrust23THRUST_200600_302600_NS6detail15normal_iteratorINS9_10device_ptrIxEEEESE_SE_xNS9_4plusIvEENS9_8equal_toIxEExEE10hipError_tPvRmT2_T3_T4_T5_mT6_T7_P12ihipStream_tbENKUlT_T0_E_clISt17integral_constantIbLb0EESZ_EEDaSU_SV_EUlSU_E_NS1_11comp_targetILNS1_3genE3ELNS1_11target_archE908ELNS1_3gpuE7ELNS1_3repE0EEENS1_30default_config_static_selectorELNS0_4arch9wavefront6targetE1EEEvT1_
	.globl	_ZN7rocprim17ROCPRIM_400000_NS6detail17trampoline_kernelINS0_14default_configENS1_27scan_by_key_config_selectorIxxEEZZNS1_16scan_by_key_implILNS1_25lookback_scan_determinismE0ELb0ES3_N6thrust23THRUST_200600_302600_NS6detail15normal_iteratorINS9_10device_ptrIxEEEESE_SE_xNS9_4plusIvEENS9_8equal_toIxEExEE10hipError_tPvRmT2_T3_T4_T5_mT6_T7_P12ihipStream_tbENKUlT_T0_E_clISt17integral_constantIbLb0EESZ_EEDaSU_SV_EUlSU_E_NS1_11comp_targetILNS1_3genE3ELNS1_11target_archE908ELNS1_3gpuE7ELNS1_3repE0EEENS1_30default_config_static_selectorELNS0_4arch9wavefront6targetE1EEEvT1_
	.p2align	8
	.type	_ZN7rocprim17ROCPRIM_400000_NS6detail17trampoline_kernelINS0_14default_configENS1_27scan_by_key_config_selectorIxxEEZZNS1_16scan_by_key_implILNS1_25lookback_scan_determinismE0ELb0ES3_N6thrust23THRUST_200600_302600_NS6detail15normal_iteratorINS9_10device_ptrIxEEEESE_SE_xNS9_4plusIvEENS9_8equal_toIxEExEE10hipError_tPvRmT2_T3_T4_T5_mT6_T7_P12ihipStream_tbENKUlT_T0_E_clISt17integral_constantIbLb0EESZ_EEDaSU_SV_EUlSU_E_NS1_11comp_targetILNS1_3genE3ELNS1_11target_archE908ELNS1_3gpuE7ELNS1_3repE0EEENS1_30default_config_static_selectorELNS0_4arch9wavefront6targetE1EEEvT1_,@function
_ZN7rocprim17ROCPRIM_400000_NS6detail17trampoline_kernelINS0_14default_configENS1_27scan_by_key_config_selectorIxxEEZZNS1_16scan_by_key_implILNS1_25lookback_scan_determinismE0ELb0ES3_N6thrust23THRUST_200600_302600_NS6detail15normal_iteratorINS9_10device_ptrIxEEEESE_SE_xNS9_4plusIvEENS9_8equal_toIxEExEE10hipError_tPvRmT2_T3_T4_T5_mT6_T7_P12ihipStream_tbENKUlT_T0_E_clISt17integral_constantIbLb0EESZ_EEDaSU_SV_EUlSU_E_NS1_11comp_targetILNS1_3genE3ELNS1_11target_archE908ELNS1_3gpuE7ELNS1_3repE0EEENS1_30default_config_static_selectorELNS0_4arch9wavefront6targetE1EEEvT1_: ; @_ZN7rocprim17ROCPRIM_400000_NS6detail17trampoline_kernelINS0_14default_configENS1_27scan_by_key_config_selectorIxxEEZZNS1_16scan_by_key_implILNS1_25lookback_scan_determinismE0ELb0ES3_N6thrust23THRUST_200600_302600_NS6detail15normal_iteratorINS9_10device_ptrIxEEEESE_SE_xNS9_4plusIvEENS9_8equal_toIxEExEE10hipError_tPvRmT2_T3_T4_T5_mT6_T7_P12ihipStream_tbENKUlT_T0_E_clISt17integral_constantIbLb0EESZ_EEDaSU_SV_EUlSU_E_NS1_11comp_targetILNS1_3genE3ELNS1_11target_archE908ELNS1_3gpuE7ELNS1_3repE0EEENS1_30default_config_static_selectorELNS0_4arch9wavefront6targetE1EEEvT1_
; %bb.0:
	.section	.rodata,"a",@progbits
	.p2align	6, 0x0
	.amdhsa_kernel _ZN7rocprim17ROCPRIM_400000_NS6detail17trampoline_kernelINS0_14default_configENS1_27scan_by_key_config_selectorIxxEEZZNS1_16scan_by_key_implILNS1_25lookback_scan_determinismE0ELb0ES3_N6thrust23THRUST_200600_302600_NS6detail15normal_iteratorINS9_10device_ptrIxEEEESE_SE_xNS9_4plusIvEENS9_8equal_toIxEExEE10hipError_tPvRmT2_T3_T4_T5_mT6_T7_P12ihipStream_tbENKUlT_T0_E_clISt17integral_constantIbLb0EESZ_EEDaSU_SV_EUlSU_E_NS1_11comp_targetILNS1_3genE3ELNS1_11target_archE908ELNS1_3gpuE7ELNS1_3repE0EEENS1_30default_config_static_selectorELNS0_4arch9wavefront6targetE1EEEvT1_
		.amdhsa_group_segment_fixed_size 0
		.amdhsa_private_segment_fixed_size 0
		.amdhsa_kernarg_size 136
		.amdhsa_user_sgpr_count 6
		.amdhsa_user_sgpr_private_segment_buffer 1
		.amdhsa_user_sgpr_dispatch_ptr 0
		.amdhsa_user_sgpr_queue_ptr 0
		.amdhsa_user_sgpr_kernarg_segment_ptr 1
		.amdhsa_user_sgpr_dispatch_id 0
		.amdhsa_user_sgpr_flat_scratch_init 0
		.amdhsa_user_sgpr_kernarg_preload_length 0
		.amdhsa_user_sgpr_kernarg_preload_offset 0
		.amdhsa_user_sgpr_private_segment_size 0
		.amdhsa_uses_dynamic_stack 0
		.amdhsa_system_sgpr_private_segment_wavefront_offset 0
		.amdhsa_system_sgpr_workgroup_id_x 1
		.amdhsa_system_sgpr_workgroup_id_y 0
		.amdhsa_system_sgpr_workgroup_id_z 0
		.amdhsa_system_sgpr_workgroup_info 0
		.amdhsa_system_vgpr_workitem_id 0
		.amdhsa_next_free_vgpr 1
		.amdhsa_next_free_sgpr 0
		.amdhsa_accum_offset 4
		.amdhsa_reserve_vcc 0
		.amdhsa_reserve_flat_scratch 0
		.amdhsa_float_round_mode_32 0
		.amdhsa_float_round_mode_16_64 0
		.amdhsa_float_denorm_mode_32 3
		.amdhsa_float_denorm_mode_16_64 3
		.amdhsa_dx10_clamp 1
		.amdhsa_ieee_mode 1
		.amdhsa_fp16_overflow 0
		.amdhsa_tg_split 0
		.amdhsa_exception_fp_ieee_invalid_op 0
		.amdhsa_exception_fp_denorm_src 0
		.amdhsa_exception_fp_ieee_div_zero 0
		.amdhsa_exception_fp_ieee_overflow 0
		.amdhsa_exception_fp_ieee_underflow 0
		.amdhsa_exception_fp_ieee_inexact 0
		.amdhsa_exception_int_div_zero 0
	.end_amdhsa_kernel
	.section	.text._ZN7rocprim17ROCPRIM_400000_NS6detail17trampoline_kernelINS0_14default_configENS1_27scan_by_key_config_selectorIxxEEZZNS1_16scan_by_key_implILNS1_25lookback_scan_determinismE0ELb0ES3_N6thrust23THRUST_200600_302600_NS6detail15normal_iteratorINS9_10device_ptrIxEEEESE_SE_xNS9_4plusIvEENS9_8equal_toIxEExEE10hipError_tPvRmT2_T3_T4_T5_mT6_T7_P12ihipStream_tbENKUlT_T0_E_clISt17integral_constantIbLb0EESZ_EEDaSU_SV_EUlSU_E_NS1_11comp_targetILNS1_3genE3ELNS1_11target_archE908ELNS1_3gpuE7ELNS1_3repE0EEENS1_30default_config_static_selectorELNS0_4arch9wavefront6targetE1EEEvT1_,"axG",@progbits,_ZN7rocprim17ROCPRIM_400000_NS6detail17trampoline_kernelINS0_14default_configENS1_27scan_by_key_config_selectorIxxEEZZNS1_16scan_by_key_implILNS1_25lookback_scan_determinismE0ELb0ES3_N6thrust23THRUST_200600_302600_NS6detail15normal_iteratorINS9_10device_ptrIxEEEESE_SE_xNS9_4plusIvEENS9_8equal_toIxEExEE10hipError_tPvRmT2_T3_T4_T5_mT6_T7_P12ihipStream_tbENKUlT_T0_E_clISt17integral_constantIbLb0EESZ_EEDaSU_SV_EUlSU_E_NS1_11comp_targetILNS1_3genE3ELNS1_11target_archE908ELNS1_3gpuE7ELNS1_3repE0EEENS1_30default_config_static_selectorELNS0_4arch9wavefront6targetE1EEEvT1_,comdat
.Lfunc_end87:
	.size	_ZN7rocprim17ROCPRIM_400000_NS6detail17trampoline_kernelINS0_14default_configENS1_27scan_by_key_config_selectorIxxEEZZNS1_16scan_by_key_implILNS1_25lookback_scan_determinismE0ELb0ES3_N6thrust23THRUST_200600_302600_NS6detail15normal_iteratorINS9_10device_ptrIxEEEESE_SE_xNS9_4plusIvEENS9_8equal_toIxEExEE10hipError_tPvRmT2_T3_T4_T5_mT6_T7_P12ihipStream_tbENKUlT_T0_E_clISt17integral_constantIbLb0EESZ_EEDaSU_SV_EUlSU_E_NS1_11comp_targetILNS1_3genE3ELNS1_11target_archE908ELNS1_3gpuE7ELNS1_3repE0EEENS1_30default_config_static_selectorELNS0_4arch9wavefront6targetE1EEEvT1_, .Lfunc_end87-_ZN7rocprim17ROCPRIM_400000_NS6detail17trampoline_kernelINS0_14default_configENS1_27scan_by_key_config_selectorIxxEEZZNS1_16scan_by_key_implILNS1_25lookback_scan_determinismE0ELb0ES3_N6thrust23THRUST_200600_302600_NS6detail15normal_iteratorINS9_10device_ptrIxEEEESE_SE_xNS9_4plusIvEENS9_8equal_toIxEExEE10hipError_tPvRmT2_T3_T4_T5_mT6_T7_P12ihipStream_tbENKUlT_T0_E_clISt17integral_constantIbLb0EESZ_EEDaSU_SV_EUlSU_E_NS1_11comp_targetILNS1_3genE3ELNS1_11target_archE908ELNS1_3gpuE7ELNS1_3repE0EEENS1_30default_config_static_selectorELNS0_4arch9wavefront6targetE1EEEvT1_
                                        ; -- End function
	.section	.AMDGPU.csdata,"",@progbits
; Kernel info:
; codeLenInByte = 0
; NumSgprs: 4
; NumVgprs: 0
; NumAgprs: 0
; TotalNumVgprs: 0
; ScratchSize: 0
; MemoryBound: 0
; FloatMode: 240
; IeeeMode: 1
; LDSByteSize: 0 bytes/workgroup (compile time only)
; SGPRBlocks: 0
; VGPRBlocks: 0
; NumSGPRsForWavesPerEU: 4
; NumVGPRsForWavesPerEU: 1
; AccumOffset: 4
; Occupancy: 8
; WaveLimiterHint : 0
; COMPUTE_PGM_RSRC2:SCRATCH_EN: 0
; COMPUTE_PGM_RSRC2:USER_SGPR: 6
; COMPUTE_PGM_RSRC2:TRAP_HANDLER: 0
; COMPUTE_PGM_RSRC2:TGID_X_EN: 1
; COMPUTE_PGM_RSRC2:TGID_Y_EN: 0
; COMPUTE_PGM_RSRC2:TGID_Z_EN: 0
; COMPUTE_PGM_RSRC2:TIDIG_COMP_CNT: 0
; COMPUTE_PGM_RSRC3_GFX90A:ACCUM_OFFSET: 0
; COMPUTE_PGM_RSRC3_GFX90A:TG_SPLIT: 0
	.section	.text._ZN7rocprim17ROCPRIM_400000_NS6detail17trampoline_kernelINS0_14default_configENS1_27scan_by_key_config_selectorIxxEEZZNS1_16scan_by_key_implILNS1_25lookback_scan_determinismE0ELb0ES3_N6thrust23THRUST_200600_302600_NS6detail15normal_iteratorINS9_10device_ptrIxEEEESE_SE_xNS9_4plusIvEENS9_8equal_toIxEExEE10hipError_tPvRmT2_T3_T4_T5_mT6_T7_P12ihipStream_tbENKUlT_T0_E_clISt17integral_constantIbLb0EESZ_EEDaSU_SV_EUlSU_E_NS1_11comp_targetILNS1_3genE2ELNS1_11target_archE906ELNS1_3gpuE6ELNS1_3repE0EEENS1_30default_config_static_selectorELNS0_4arch9wavefront6targetE1EEEvT1_,"axG",@progbits,_ZN7rocprim17ROCPRIM_400000_NS6detail17trampoline_kernelINS0_14default_configENS1_27scan_by_key_config_selectorIxxEEZZNS1_16scan_by_key_implILNS1_25lookback_scan_determinismE0ELb0ES3_N6thrust23THRUST_200600_302600_NS6detail15normal_iteratorINS9_10device_ptrIxEEEESE_SE_xNS9_4plusIvEENS9_8equal_toIxEExEE10hipError_tPvRmT2_T3_T4_T5_mT6_T7_P12ihipStream_tbENKUlT_T0_E_clISt17integral_constantIbLb0EESZ_EEDaSU_SV_EUlSU_E_NS1_11comp_targetILNS1_3genE2ELNS1_11target_archE906ELNS1_3gpuE6ELNS1_3repE0EEENS1_30default_config_static_selectorELNS0_4arch9wavefront6targetE1EEEvT1_,comdat
	.protected	_ZN7rocprim17ROCPRIM_400000_NS6detail17trampoline_kernelINS0_14default_configENS1_27scan_by_key_config_selectorIxxEEZZNS1_16scan_by_key_implILNS1_25lookback_scan_determinismE0ELb0ES3_N6thrust23THRUST_200600_302600_NS6detail15normal_iteratorINS9_10device_ptrIxEEEESE_SE_xNS9_4plusIvEENS9_8equal_toIxEExEE10hipError_tPvRmT2_T3_T4_T5_mT6_T7_P12ihipStream_tbENKUlT_T0_E_clISt17integral_constantIbLb0EESZ_EEDaSU_SV_EUlSU_E_NS1_11comp_targetILNS1_3genE2ELNS1_11target_archE906ELNS1_3gpuE6ELNS1_3repE0EEENS1_30default_config_static_selectorELNS0_4arch9wavefront6targetE1EEEvT1_ ; -- Begin function _ZN7rocprim17ROCPRIM_400000_NS6detail17trampoline_kernelINS0_14default_configENS1_27scan_by_key_config_selectorIxxEEZZNS1_16scan_by_key_implILNS1_25lookback_scan_determinismE0ELb0ES3_N6thrust23THRUST_200600_302600_NS6detail15normal_iteratorINS9_10device_ptrIxEEEESE_SE_xNS9_4plusIvEENS9_8equal_toIxEExEE10hipError_tPvRmT2_T3_T4_T5_mT6_T7_P12ihipStream_tbENKUlT_T0_E_clISt17integral_constantIbLb0EESZ_EEDaSU_SV_EUlSU_E_NS1_11comp_targetILNS1_3genE2ELNS1_11target_archE906ELNS1_3gpuE6ELNS1_3repE0EEENS1_30default_config_static_selectorELNS0_4arch9wavefront6targetE1EEEvT1_
	.globl	_ZN7rocprim17ROCPRIM_400000_NS6detail17trampoline_kernelINS0_14default_configENS1_27scan_by_key_config_selectorIxxEEZZNS1_16scan_by_key_implILNS1_25lookback_scan_determinismE0ELb0ES3_N6thrust23THRUST_200600_302600_NS6detail15normal_iteratorINS9_10device_ptrIxEEEESE_SE_xNS9_4plusIvEENS9_8equal_toIxEExEE10hipError_tPvRmT2_T3_T4_T5_mT6_T7_P12ihipStream_tbENKUlT_T0_E_clISt17integral_constantIbLb0EESZ_EEDaSU_SV_EUlSU_E_NS1_11comp_targetILNS1_3genE2ELNS1_11target_archE906ELNS1_3gpuE6ELNS1_3repE0EEENS1_30default_config_static_selectorELNS0_4arch9wavefront6targetE1EEEvT1_
	.p2align	8
	.type	_ZN7rocprim17ROCPRIM_400000_NS6detail17trampoline_kernelINS0_14default_configENS1_27scan_by_key_config_selectorIxxEEZZNS1_16scan_by_key_implILNS1_25lookback_scan_determinismE0ELb0ES3_N6thrust23THRUST_200600_302600_NS6detail15normal_iteratorINS9_10device_ptrIxEEEESE_SE_xNS9_4plusIvEENS9_8equal_toIxEExEE10hipError_tPvRmT2_T3_T4_T5_mT6_T7_P12ihipStream_tbENKUlT_T0_E_clISt17integral_constantIbLb0EESZ_EEDaSU_SV_EUlSU_E_NS1_11comp_targetILNS1_3genE2ELNS1_11target_archE906ELNS1_3gpuE6ELNS1_3repE0EEENS1_30default_config_static_selectorELNS0_4arch9wavefront6targetE1EEEvT1_,@function
_ZN7rocprim17ROCPRIM_400000_NS6detail17trampoline_kernelINS0_14default_configENS1_27scan_by_key_config_selectorIxxEEZZNS1_16scan_by_key_implILNS1_25lookback_scan_determinismE0ELb0ES3_N6thrust23THRUST_200600_302600_NS6detail15normal_iteratorINS9_10device_ptrIxEEEESE_SE_xNS9_4plusIvEENS9_8equal_toIxEExEE10hipError_tPvRmT2_T3_T4_T5_mT6_T7_P12ihipStream_tbENKUlT_T0_E_clISt17integral_constantIbLb0EESZ_EEDaSU_SV_EUlSU_E_NS1_11comp_targetILNS1_3genE2ELNS1_11target_archE906ELNS1_3gpuE6ELNS1_3repE0EEENS1_30default_config_static_selectorELNS0_4arch9wavefront6targetE1EEEvT1_: ; @_ZN7rocprim17ROCPRIM_400000_NS6detail17trampoline_kernelINS0_14default_configENS1_27scan_by_key_config_selectorIxxEEZZNS1_16scan_by_key_implILNS1_25lookback_scan_determinismE0ELb0ES3_N6thrust23THRUST_200600_302600_NS6detail15normal_iteratorINS9_10device_ptrIxEEEESE_SE_xNS9_4plusIvEENS9_8equal_toIxEExEE10hipError_tPvRmT2_T3_T4_T5_mT6_T7_P12ihipStream_tbENKUlT_T0_E_clISt17integral_constantIbLb0EESZ_EEDaSU_SV_EUlSU_E_NS1_11comp_targetILNS1_3genE2ELNS1_11target_archE906ELNS1_3gpuE6ELNS1_3repE0EEENS1_30default_config_static_selectorELNS0_4arch9wavefront6targetE1EEEvT1_
; %bb.0:
	.section	.rodata,"a",@progbits
	.p2align	6, 0x0
	.amdhsa_kernel _ZN7rocprim17ROCPRIM_400000_NS6detail17trampoline_kernelINS0_14default_configENS1_27scan_by_key_config_selectorIxxEEZZNS1_16scan_by_key_implILNS1_25lookback_scan_determinismE0ELb0ES3_N6thrust23THRUST_200600_302600_NS6detail15normal_iteratorINS9_10device_ptrIxEEEESE_SE_xNS9_4plusIvEENS9_8equal_toIxEExEE10hipError_tPvRmT2_T3_T4_T5_mT6_T7_P12ihipStream_tbENKUlT_T0_E_clISt17integral_constantIbLb0EESZ_EEDaSU_SV_EUlSU_E_NS1_11comp_targetILNS1_3genE2ELNS1_11target_archE906ELNS1_3gpuE6ELNS1_3repE0EEENS1_30default_config_static_selectorELNS0_4arch9wavefront6targetE1EEEvT1_
		.amdhsa_group_segment_fixed_size 0
		.amdhsa_private_segment_fixed_size 0
		.amdhsa_kernarg_size 136
		.amdhsa_user_sgpr_count 6
		.amdhsa_user_sgpr_private_segment_buffer 1
		.amdhsa_user_sgpr_dispatch_ptr 0
		.amdhsa_user_sgpr_queue_ptr 0
		.amdhsa_user_sgpr_kernarg_segment_ptr 1
		.amdhsa_user_sgpr_dispatch_id 0
		.amdhsa_user_sgpr_flat_scratch_init 0
		.amdhsa_user_sgpr_kernarg_preload_length 0
		.amdhsa_user_sgpr_kernarg_preload_offset 0
		.amdhsa_user_sgpr_private_segment_size 0
		.amdhsa_uses_dynamic_stack 0
		.amdhsa_system_sgpr_private_segment_wavefront_offset 0
		.amdhsa_system_sgpr_workgroup_id_x 1
		.amdhsa_system_sgpr_workgroup_id_y 0
		.amdhsa_system_sgpr_workgroup_id_z 0
		.amdhsa_system_sgpr_workgroup_info 0
		.amdhsa_system_vgpr_workitem_id 0
		.amdhsa_next_free_vgpr 1
		.amdhsa_next_free_sgpr 0
		.amdhsa_accum_offset 4
		.amdhsa_reserve_vcc 0
		.amdhsa_reserve_flat_scratch 0
		.amdhsa_float_round_mode_32 0
		.amdhsa_float_round_mode_16_64 0
		.amdhsa_float_denorm_mode_32 3
		.amdhsa_float_denorm_mode_16_64 3
		.amdhsa_dx10_clamp 1
		.amdhsa_ieee_mode 1
		.amdhsa_fp16_overflow 0
		.amdhsa_tg_split 0
		.amdhsa_exception_fp_ieee_invalid_op 0
		.amdhsa_exception_fp_denorm_src 0
		.amdhsa_exception_fp_ieee_div_zero 0
		.amdhsa_exception_fp_ieee_overflow 0
		.amdhsa_exception_fp_ieee_underflow 0
		.amdhsa_exception_fp_ieee_inexact 0
		.amdhsa_exception_int_div_zero 0
	.end_amdhsa_kernel
	.section	.text._ZN7rocprim17ROCPRIM_400000_NS6detail17trampoline_kernelINS0_14default_configENS1_27scan_by_key_config_selectorIxxEEZZNS1_16scan_by_key_implILNS1_25lookback_scan_determinismE0ELb0ES3_N6thrust23THRUST_200600_302600_NS6detail15normal_iteratorINS9_10device_ptrIxEEEESE_SE_xNS9_4plusIvEENS9_8equal_toIxEExEE10hipError_tPvRmT2_T3_T4_T5_mT6_T7_P12ihipStream_tbENKUlT_T0_E_clISt17integral_constantIbLb0EESZ_EEDaSU_SV_EUlSU_E_NS1_11comp_targetILNS1_3genE2ELNS1_11target_archE906ELNS1_3gpuE6ELNS1_3repE0EEENS1_30default_config_static_selectorELNS0_4arch9wavefront6targetE1EEEvT1_,"axG",@progbits,_ZN7rocprim17ROCPRIM_400000_NS6detail17trampoline_kernelINS0_14default_configENS1_27scan_by_key_config_selectorIxxEEZZNS1_16scan_by_key_implILNS1_25lookback_scan_determinismE0ELb0ES3_N6thrust23THRUST_200600_302600_NS6detail15normal_iteratorINS9_10device_ptrIxEEEESE_SE_xNS9_4plusIvEENS9_8equal_toIxEExEE10hipError_tPvRmT2_T3_T4_T5_mT6_T7_P12ihipStream_tbENKUlT_T0_E_clISt17integral_constantIbLb0EESZ_EEDaSU_SV_EUlSU_E_NS1_11comp_targetILNS1_3genE2ELNS1_11target_archE906ELNS1_3gpuE6ELNS1_3repE0EEENS1_30default_config_static_selectorELNS0_4arch9wavefront6targetE1EEEvT1_,comdat
.Lfunc_end88:
	.size	_ZN7rocprim17ROCPRIM_400000_NS6detail17trampoline_kernelINS0_14default_configENS1_27scan_by_key_config_selectorIxxEEZZNS1_16scan_by_key_implILNS1_25lookback_scan_determinismE0ELb0ES3_N6thrust23THRUST_200600_302600_NS6detail15normal_iteratorINS9_10device_ptrIxEEEESE_SE_xNS9_4plusIvEENS9_8equal_toIxEExEE10hipError_tPvRmT2_T3_T4_T5_mT6_T7_P12ihipStream_tbENKUlT_T0_E_clISt17integral_constantIbLb0EESZ_EEDaSU_SV_EUlSU_E_NS1_11comp_targetILNS1_3genE2ELNS1_11target_archE906ELNS1_3gpuE6ELNS1_3repE0EEENS1_30default_config_static_selectorELNS0_4arch9wavefront6targetE1EEEvT1_, .Lfunc_end88-_ZN7rocprim17ROCPRIM_400000_NS6detail17trampoline_kernelINS0_14default_configENS1_27scan_by_key_config_selectorIxxEEZZNS1_16scan_by_key_implILNS1_25lookback_scan_determinismE0ELb0ES3_N6thrust23THRUST_200600_302600_NS6detail15normal_iteratorINS9_10device_ptrIxEEEESE_SE_xNS9_4plusIvEENS9_8equal_toIxEExEE10hipError_tPvRmT2_T3_T4_T5_mT6_T7_P12ihipStream_tbENKUlT_T0_E_clISt17integral_constantIbLb0EESZ_EEDaSU_SV_EUlSU_E_NS1_11comp_targetILNS1_3genE2ELNS1_11target_archE906ELNS1_3gpuE6ELNS1_3repE0EEENS1_30default_config_static_selectorELNS0_4arch9wavefront6targetE1EEEvT1_
                                        ; -- End function
	.section	.AMDGPU.csdata,"",@progbits
; Kernel info:
; codeLenInByte = 0
; NumSgprs: 4
; NumVgprs: 0
; NumAgprs: 0
; TotalNumVgprs: 0
; ScratchSize: 0
; MemoryBound: 0
; FloatMode: 240
; IeeeMode: 1
; LDSByteSize: 0 bytes/workgroup (compile time only)
; SGPRBlocks: 0
; VGPRBlocks: 0
; NumSGPRsForWavesPerEU: 4
; NumVGPRsForWavesPerEU: 1
; AccumOffset: 4
; Occupancy: 8
; WaveLimiterHint : 0
; COMPUTE_PGM_RSRC2:SCRATCH_EN: 0
; COMPUTE_PGM_RSRC2:USER_SGPR: 6
; COMPUTE_PGM_RSRC2:TRAP_HANDLER: 0
; COMPUTE_PGM_RSRC2:TGID_X_EN: 1
; COMPUTE_PGM_RSRC2:TGID_Y_EN: 0
; COMPUTE_PGM_RSRC2:TGID_Z_EN: 0
; COMPUTE_PGM_RSRC2:TIDIG_COMP_CNT: 0
; COMPUTE_PGM_RSRC3_GFX90A:ACCUM_OFFSET: 0
; COMPUTE_PGM_RSRC3_GFX90A:TG_SPLIT: 0
	.section	.text._ZN7rocprim17ROCPRIM_400000_NS6detail17trampoline_kernelINS0_14default_configENS1_27scan_by_key_config_selectorIxxEEZZNS1_16scan_by_key_implILNS1_25lookback_scan_determinismE0ELb0ES3_N6thrust23THRUST_200600_302600_NS6detail15normal_iteratorINS9_10device_ptrIxEEEESE_SE_xNS9_4plusIvEENS9_8equal_toIxEExEE10hipError_tPvRmT2_T3_T4_T5_mT6_T7_P12ihipStream_tbENKUlT_T0_E_clISt17integral_constantIbLb0EESZ_EEDaSU_SV_EUlSU_E_NS1_11comp_targetILNS1_3genE10ELNS1_11target_archE1200ELNS1_3gpuE4ELNS1_3repE0EEENS1_30default_config_static_selectorELNS0_4arch9wavefront6targetE1EEEvT1_,"axG",@progbits,_ZN7rocprim17ROCPRIM_400000_NS6detail17trampoline_kernelINS0_14default_configENS1_27scan_by_key_config_selectorIxxEEZZNS1_16scan_by_key_implILNS1_25lookback_scan_determinismE0ELb0ES3_N6thrust23THRUST_200600_302600_NS6detail15normal_iteratorINS9_10device_ptrIxEEEESE_SE_xNS9_4plusIvEENS9_8equal_toIxEExEE10hipError_tPvRmT2_T3_T4_T5_mT6_T7_P12ihipStream_tbENKUlT_T0_E_clISt17integral_constantIbLb0EESZ_EEDaSU_SV_EUlSU_E_NS1_11comp_targetILNS1_3genE10ELNS1_11target_archE1200ELNS1_3gpuE4ELNS1_3repE0EEENS1_30default_config_static_selectorELNS0_4arch9wavefront6targetE1EEEvT1_,comdat
	.protected	_ZN7rocprim17ROCPRIM_400000_NS6detail17trampoline_kernelINS0_14default_configENS1_27scan_by_key_config_selectorIxxEEZZNS1_16scan_by_key_implILNS1_25lookback_scan_determinismE0ELb0ES3_N6thrust23THRUST_200600_302600_NS6detail15normal_iteratorINS9_10device_ptrIxEEEESE_SE_xNS9_4plusIvEENS9_8equal_toIxEExEE10hipError_tPvRmT2_T3_T4_T5_mT6_T7_P12ihipStream_tbENKUlT_T0_E_clISt17integral_constantIbLb0EESZ_EEDaSU_SV_EUlSU_E_NS1_11comp_targetILNS1_3genE10ELNS1_11target_archE1200ELNS1_3gpuE4ELNS1_3repE0EEENS1_30default_config_static_selectorELNS0_4arch9wavefront6targetE1EEEvT1_ ; -- Begin function _ZN7rocprim17ROCPRIM_400000_NS6detail17trampoline_kernelINS0_14default_configENS1_27scan_by_key_config_selectorIxxEEZZNS1_16scan_by_key_implILNS1_25lookback_scan_determinismE0ELb0ES3_N6thrust23THRUST_200600_302600_NS6detail15normal_iteratorINS9_10device_ptrIxEEEESE_SE_xNS9_4plusIvEENS9_8equal_toIxEExEE10hipError_tPvRmT2_T3_T4_T5_mT6_T7_P12ihipStream_tbENKUlT_T0_E_clISt17integral_constantIbLb0EESZ_EEDaSU_SV_EUlSU_E_NS1_11comp_targetILNS1_3genE10ELNS1_11target_archE1200ELNS1_3gpuE4ELNS1_3repE0EEENS1_30default_config_static_selectorELNS0_4arch9wavefront6targetE1EEEvT1_
	.globl	_ZN7rocprim17ROCPRIM_400000_NS6detail17trampoline_kernelINS0_14default_configENS1_27scan_by_key_config_selectorIxxEEZZNS1_16scan_by_key_implILNS1_25lookback_scan_determinismE0ELb0ES3_N6thrust23THRUST_200600_302600_NS6detail15normal_iteratorINS9_10device_ptrIxEEEESE_SE_xNS9_4plusIvEENS9_8equal_toIxEExEE10hipError_tPvRmT2_T3_T4_T5_mT6_T7_P12ihipStream_tbENKUlT_T0_E_clISt17integral_constantIbLb0EESZ_EEDaSU_SV_EUlSU_E_NS1_11comp_targetILNS1_3genE10ELNS1_11target_archE1200ELNS1_3gpuE4ELNS1_3repE0EEENS1_30default_config_static_selectorELNS0_4arch9wavefront6targetE1EEEvT1_
	.p2align	8
	.type	_ZN7rocprim17ROCPRIM_400000_NS6detail17trampoline_kernelINS0_14default_configENS1_27scan_by_key_config_selectorIxxEEZZNS1_16scan_by_key_implILNS1_25lookback_scan_determinismE0ELb0ES3_N6thrust23THRUST_200600_302600_NS6detail15normal_iteratorINS9_10device_ptrIxEEEESE_SE_xNS9_4plusIvEENS9_8equal_toIxEExEE10hipError_tPvRmT2_T3_T4_T5_mT6_T7_P12ihipStream_tbENKUlT_T0_E_clISt17integral_constantIbLb0EESZ_EEDaSU_SV_EUlSU_E_NS1_11comp_targetILNS1_3genE10ELNS1_11target_archE1200ELNS1_3gpuE4ELNS1_3repE0EEENS1_30default_config_static_selectorELNS0_4arch9wavefront6targetE1EEEvT1_,@function
_ZN7rocprim17ROCPRIM_400000_NS6detail17trampoline_kernelINS0_14default_configENS1_27scan_by_key_config_selectorIxxEEZZNS1_16scan_by_key_implILNS1_25lookback_scan_determinismE0ELb0ES3_N6thrust23THRUST_200600_302600_NS6detail15normal_iteratorINS9_10device_ptrIxEEEESE_SE_xNS9_4plusIvEENS9_8equal_toIxEExEE10hipError_tPvRmT2_T3_T4_T5_mT6_T7_P12ihipStream_tbENKUlT_T0_E_clISt17integral_constantIbLb0EESZ_EEDaSU_SV_EUlSU_E_NS1_11comp_targetILNS1_3genE10ELNS1_11target_archE1200ELNS1_3gpuE4ELNS1_3repE0EEENS1_30default_config_static_selectorELNS0_4arch9wavefront6targetE1EEEvT1_: ; @_ZN7rocprim17ROCPRIM_400000_NS6detail17trampoline_kernelINS0_14default_configENS1_27scan_by_key_config_selectorIxxEEZZNS1_16scan_by_key_implILNS1_25lookback_scan_determinismE0ELb0ES3_N6thrust23THRUST_200600_302600_NS6detail15normal_iteratorINS9_10device_ptrIxEEEESE_SE_xNS9_4plusIvEENS9_8equal_toIxEExEE10hipError_tPvRmT2_T3_T4_T5_mT6_T7_P12ihipStream_tbENKUlT_T0_E_clISt17integral_constantIbLb0EESZ_EEDaSU_SV_EUlSU_E_NS1_11comp_targetILNS1_3genE10ELNS1_11target_archE1200ELNS1_3gpuE4ELNS1_3repE0EEENS1_30default_config_static_selectorELNS0_4arch9wavefront6targetE1EEEvT1_
; %bb.0:
	.section	.rodata,"a",@progbits
	.p2align	6, 0x0
	.amdhsa_kernel _ZN7rocprim17ROCPRIM_400000_NS6detail17trampoline_kernelINS0_14default_configENS1_27scan_by_key_config_selectorIxxEEZZNS1_16scan_by_key_implILNS1_25lookback_scan_determinismE0ELb0ES3_N6thrust23THRUST_200600_302600_NS6detail15normal_iteratorINS9_10device_ptrIxEEEESE_SE_xNS9_4plusIvEENS9_8equal_toIxEExEE10hipError_tPvRmT2_T3_T4_T5_mT6_T7_P12ihipStream_tbENKUlT_T0_E_clISt17integral_constantIbLb0EESZ_EEDaSU_SV_EUlSU_E_NS1_11comp_targetILNS1_3genE10ELNS1_11target_archE1200ELNS1_3gpuE4ELNS1_3repE0EEENS1_30default_config_static_selectorELNS0_4arch9wavefront6targetE1EEEvT1_
		.amdhsa_group_segment_fixed_size 0
		.amdhsa_private_segment_fixed_size 0
		.amdhsa_kernarg_size 136
		.amdhsa_user_sgpr_count 6
		.amdhsa_user_sgpr_private_segment_buffer 1
		.amdhsa_user_sgpr_dispatch_ptr 0
		.amdhsa_user_sgpr_queue_ptr 0
		.amdhsa_user_sgpr_kernarg_segment_ptr 1
		.amdhsa_user_sgpr_dispatch_id 0
		.amdhsa_user_sgpr_flat_scratch_init 0
		.amdhsa_user_sgpr_kernarg_preload_length 0
		.amdhsa_user_sgpr_kernarg_preload_offset 0
		.amdhsa_user_sgpr_private_segment_size 0
		.amdhsa_uses_dynamic_stack 0
		.amdhsa_system_sgpr_private_segment_wavefront_offset 0
		.amdhsa_system_sgpr_workgroup_id_x 1
		.amdhsa_system_sgpr_workgroup_id_y 0
		.amdhsa_system_sgpr_workgroup_id_z 0
		.amdhsa_system_sgpr_workgroup_info 0
		.amdhsa_system_vgpr_workitem_id 0
		.amdhsa_next_free_vgpr 1
		.amdhsa_next_free_sgpr 0
		.amdhsa_accum_offset 4
		.amdhsa_reserve_vcc 0
		.amdhsa_reserve_flat_scratch 0
		.amdhsa_float_round_mode_32 0
		.amdhsa_float_round_mode_16_64 0
		.amdhsa_float_denorm_mode_32 3
		.amdhsa_float_denorm_mode_16_64 3
		.amdhsa_dx10_clamp 1
		.amdhsa_ieee_mode 1
		.amdhsa_fp16_overflow 0
		.amdhsa_tg_split 0
		.amdhsa_exception_fp_ieee_invalid_op 0
		.amdhsa_exception_fp_denorm_src 0
		.amdhsa_exception_fp_ieee_div_zero 0
		.amdhsa_exception_fp_ieee_overflow 0
		.amdhsa_exception_fp_ieee_underflow 0
		.amdhsa_exception_fp_ieee_inexact 0
		.amdhsa_exception_int_div_zero 0
	.end_amdhsa_kernel
	.section	.text._ZN7rocprim17ROCPRIM_400000_NS6detail17trampoline_kernelINS0_14default_configENS1_27scan_by_key_config_selectorIxxEEZZNS1_16scan_by_key_implILNS1_25lookback_scan_determinismE0ELb0ES3_N6thrust23THRUST_200600_302600_NS6detail15normal_iteratorINS9_10device_ptrIxEEEESE_SE_xNS9_4plusIvEENS9_8equal_toIxEExEE10hipError_tPvRmT2_T3_T4_T5_mT6_T7_P12ihipStream_tbENKUlT_T0_E_clISt17integral_constantIbLb0EESZ_EEDaSU_SV_EUlSU_E_NS1_11comp_targetILNS1_3genE10ELNS1_11target_archE1200ELNS1_3gpuE4ELNS1_3repE0EEENS1_30default_config_static_selectorELNS0_4arch9wavefront6targetE1EEEvT1_,"axG",@progbits,_ZN7rocprim17ROCPRIM_400000_NS6detail17trampoline_kernelINS0_14default_configENS1_27scan_by_key_config_selectorIxxEEZZNS1_16scan_by_key_implILNS1_25lookback_scan_determinismE0ELb0ES3_N6thrust23THRUST_200600_302600_NS6detail15normal_iteratorINS9_10device_ptrIxEEEESE_SE_xNS9_4plusIvEENS9_8equal_toIxEExEE10hipError_tPvRmT2_T3_T4_T5_mT6_T7_P12ihipStream_tbENKUlT_T0_E_clISt17integral_constantIbLb0EESZ_EEDaSU_SV_EUlSU_E_NS1_11comp_targetILNS1_3genE10ELNS1_11target_archE1200ELNS1_3gpuE4ELNS1_3repE0EEENS1_30default_config_static_selectorELNS0_4arch9wavefront6targetE1EEEvT1_,comdat
.Lfunc_end89:
	.size	_ZN7rocprim17ROCPRIM_400000_NS6detail17trampoline_kernelINS0_14default_configENS1_27scan_by_key_config_selectorIxxEEZZNS1_16scan_by_key_implILNS1_25lookback_scan_determinismE0ELb0ES3_N6thrust23THRUST_200600_302600_NS6detail15normal_iteratorINS9_10device_ptrIxEEEESE_SE_xNS9_4plusIvEENS9_8equal_toIxEExEE10hipError_tPvRmT2_T3_T4_T5_mT6_T7_P12ihipStream_tbENKUlT_T0_E_clISt17integral_constantIbLb0EESZ_EEDaSU_SV_EUlSU_E_NS1_11comp_targetILNS1_3genE10ELNS1_11target_archE1200ELNS1_3gpuE4ELNS1_3repE0EEENS1_30default_config_static_selectorELNS0_4arch9wavefront6targetE1EEEvT1_, .Lfunc_end89-_ZN7rocprim17ROCPRIM_400000_NS6detail17trampoline_kernelINS0_14default_configENS1_27scan_by_key_config_selectorIxxEEZZNS1_16scan_by_key_implILNS1_25lookback_scan_determinismE0ELb0ES3_N6thrust23THRUST_200600_302600_NS6detail15normal_iteratorINS9_10device_ptrIxEEEESE_SE_xNS9_4plusIvEENS9_8equal_toIxEExEE10hipError_tPvRmT2_T3_T4_T5_mT6_T7_P12ihipStream_tbENKUlT_T0_E_clISt17integral_constantIbLb0EESZ_EEDaSU_SV_EUlSU_E_NS1_11comp_targetILNS1_3genE10ELNS1_11target_archE1200ELNS1_3gpuE4ELNS1_3repE0EEENS1_30default_config_static_selectorELNS0_4arch9wavefront6targetE1EEEvT1_
                                        ; -- End function
	.section	.AMDGPU.csdata,"",@progbits
; Kernel info:
; codeLenInByte = 0
; NumSgprs: 4
; NumVgprs: 0
; NumAgprs: 0
; TotalNumVgprs: 0
; ScratchSize: 0
; MemoryBound: 0
; FloatMode: 240
; IeeeMode: 1
; LDSByteSize: 0 bytes/workgroup (compile time only)
; SGPRBlocks: 0
; VGPRBlocks: 0
; NumSGPRsForWavesPerEU: 4
; NumVGPRsForWavesPerEU: 1
; AccumOffset: 4
; Occupancy: 8
; WaveLimiterHint : 0
; COMPUTE_PGM_RSRC2:SCRATCH_EN: 0
; COMPUTE_PGM_RSRC2:USER_SGPR: 6
; COMPUTE_PGM_RSRC2:TRAP_HANDLER: 0
; COMPUTE_PGM_RSRC2:TGID_X_EN: 1
; COMPUTE_PGM_RSRC2:TGID_Y_EN: 0
; COMPUTE_PGM_RSRC2:TGID_Z_EN: 0
; COMPUTE_PGM_RSRC2:TIDIG_COMP_CNT: 0
; COMPUTE_PGM_RSRC3_GFX90A:ACCUM_OFFSET: 0
; COMPUTE_PGM_RSRC3_GFX90A:TG_SPLIT: 0
	.section	.text._ZN7rocprim17ROCPRIM_400000_NS6detail17trampoline_kernelINS0_14default_configENS1_27scan_by_key_config_selectorIxxEEZZNS1_16scan_by_key_implILNS1_25lookback_scan_determinismE0ELb0ES3_N6thrust23THRUST_200600_302600_NS6detail15normal_iteratorINS9_10device_ptrIxEEEESE_SE_xNS9_4plusIvEENS9_8equal_toIxEExEE10hipError_tPvRmT2_T3_T4_T5_mT6_T7_P12ihipStream_tbENKUlT_T0_E_clISt17integral_constantIbLb0EESZ_EEDaSU_SV_EUlSU_E_NS1_11comp_targetILNS1_3genE9ELNS1_11target_archE1100ELNS1_3gpuE3ELNS1_3repE0EEENS1_30default_config_static_selectorELNS0_4arch9wavefront6targetE1EEEvT1_,"axG",@progbits,_ZN7rocprim17ROCPRIM_400000_NS6detail17trampoline_kernelINS0_14default_configENS1_27scan_by_key_config_selectorIxxEEZZNS1_16scan_by_key_implILNS1_25lookback_scan_determinismE0ELb0ES3_N6thrust23THRUST_200600_302600_NS6detail15normal_iteratorINS9_10device_ptrIxEEEESE_SE_xNS9_4plusIvEENS9_8equal_toIxEExEE10hipError_tPvRmT2_T3_T4_T5_mT6_T7_P12ihipStream_tbENKUlT_T0_E_clISt17integral_constantIbLb0EESZ_EEDaSU_SV_EUlSU_E_NS1_11comp_targetILNS1_3genE9ELNS1_11target_archE1100ELNS1_3gpuE3ELNS1_3repE0EEENS1_30default_config_static_selectorELNS0_4arch9wavefront6targetE1EEEvT1_,comdat
	.protected	_ZN7rocprim17ROCPRIM_400000_NS6detail17trampoline_kernelINS0_14default_configENS1_27scan_by_key_config_selectorIxxEEZZNS1_16scan_by_key_implILNS1_25lookback_scan_determinismE0ELb0ES3_N6thrust23THRUST_200600_302600_NS6detail15normal_iteratorINS9_10device_ptrIxEEEESE_SE_xNS9_4plusIvEENS9_8equal_toIxEExEE10hipError_tPvRmT2_T3_T4_T5_mT6_T7_P12ihipStream_tbENKUlT_T0_E_clISt17integral_constantIbLb0EESZ_EEDaSU_SV_EUlSU_E_NS1_11comp_targetILNS1_3genE9ELNS1_11target_archE1100ELNS1_3gpuE3ELNS1_3repE0EEENS1_30default_config_static_selectorELNS0_4arch9wavefront6targetE1EEEvT1_ ; -- Begin function _ZN7rocprim17ROCPRIM_400000_NS6detail17trampoline_kernelINS0_14default_configENS1_27scan_by_key_config_selectorIxxEEZZNS1_16scan_by_key_implILNS1_25lookback_scan_determinismE0ELb0ES3_N6thrust23THRUST_200600_302600_NS6detail15normal_iteratorINS9_10device_ptrIxEEEESE_SE_xNS9_4plusIvEENS9_8equal_toIxEExEE10hipError_tPvRmT2_T3_T4_T5_mT6_T7_P12ihipStream_tbENKUlT_T0_E_clISt17integral_constantIbLb0EESZ_EEDaSU_SV_EUlSU_E_NS1_11comp_targetILNS1_3genE9ELNS1_11target_archE1100ELNS1_3gpuE3ELNS1_3repE0EEENS1_30default_config_static_selectorELNS0_4arch9wavefront6targetE1EEEvT1_
	.globl	_ZN7rocprim17ROCPRIM_400000_NS6detail17trampoline_kernelINS0_14default_configENS1_27scan_by_key_config_selectorIxxEEZZNS1_16scan_by_key_implILNS1_25lookback_scan_determinismE0ELb0ES3_N6thrust23THRUST_200600_302600_NS6detail15normal_iteratorINS9_10device_ptrIxEEEESE_SE_xNS9_4plusIvEENS9_8equal_toIxEExEE10hipError_tPvRmT2_T3_T4_T5_mT6_T7_P12ihipStream_tbENKUlT_T0_E_clISt17integral_constantIbLb0EESZ_EEDaSU_SV_EUlSU_E_NS1_11comp_targetILNS1_3genE9ELNS1_11target_archE1100ELNS1_3gpuE3ELNS1_3repE0EEENS1_30default_config_static_selectorELNS0_4arch9wavefront6targetE1EEEvT1_
	.p2align	8
	.type	_ZN7rocprim17ROCPRIM_400000_NS6detail17trampoline_kernelINS0_14default_configENS1_27scan_by_key_config_selectorIxxEEZZNS1_16scan_by_key_implILNS1_25lookback_scan_determinismE0ELb0ES3_N6thrust23THRUST_200600_302600_NS6detail15normal_iteratorINS9_10device_ptrIxEEEESE_SE_xNS9_4plusIvEENS9_8equal_toIxEExEE10hipError_tPvRmT2_T3_T4_T5_mT6_T7_P12ihipStream_tbENKUlT_T0_E_clISt17integral_constantIbLb0EESZ_EEDaSU_SV_EUlSU_E_NS1_11comp_targetILNS1_3genE9ELNS1_11target_archE1100ELNS1_3gpuE3ELNS1_3repE0EEENS1_30default_config_static_selectorELNS0_4arch9wavefront6targetE1EEEvT1_,@function
_ZN7rocprim17ROCPRIM_400000_NS6detail17trampoline_kernelINS0_14default_configENS1_27scan_by_key_config_selectorIxxEEZZNS1_16scan_by_key_implILNS1_25lookback_scan_determinismE0ELb0ES3_N6thrust23THRUST_200600_302600_NS6detail15normal_iteratorINS9_10device_ptrIxEEEESE_SE_xNS9_4plusIvEENS9_8equal_toIxEExEE10hipError_tPvRmT2_T3_T4_T5_mT6_T7_P12ihipStream_tbENKUlT_T0_E_clISt17integral_constantIbLb0EESZ_EEDaSU_SV_EUlSU_E_NS1_11comp_targetILNS1_3genE9ELNS1_11target_archE1100ELNS1_3gpuE3ELNS1_3repE0EEENS1_30default_config_static_selectorELNS0_4arch9wavefront6targetE1EEEvT1_: ; @_ZN7rocprim17ROCPRIM_400000_NS6detail17trampoline_kernelINS0_14default_configENS1_27scan_by_key_config_selectorIxxEEZZNS1_16scan_by_key_implILNS1_25lookback_scan_determinismE0ELb0ES3_N6thrust23THRUST_200600_302600_NS6detail15normal_iteratorINS9_10device_ptrIxEEEESE_SE_xNS9_4plusIvEENS9_8equal_toIxEExEE10hipError_tPvRmT2_T3_T4_T5_mT6_T7_P12ihipStream_tbENKUlT_T0_E_clISt17integral_constantIbLb0EESZ_EEDaSU_SV_EUlSU_E_NS1_11comp_targetILNS1_3genE9ELNS1_11target_archE1100ELNS1_3gpuE3ELNS1_3repE0EEENS1_30default_config_static_selectorELNS0_4arch9wavefront6targetE1EEEvT1_
; %bb.0:
	.section	.rodata,"a",@progbits
	.p2align	6, 0x0
	.amdhsa_kernel _ZN7rocprim17ROCPRIM_400000_NS6detail17trampoline_kernelINS0_14default_configENS1_27scan_by_key_config_selectorIxxEEZZNS1_16scan_by_key_implILNS1_25lookback_scan_determinismE0ELb0ES3_N6thrust23THRUST_200600_302600_NS6detail15normal_iteratorINS9_10device_ptrIxEEEESE_SE_xNS9_4plusIvEENS9_8equal_toIxEExEE10hipError_tPvRmT2_T3_T4_T5_mT6_T7_P12ihipStream_tbENKUlT_T0_E_clISt17integral_constantIbLb0EESZ_EEDaSU_SV_EUlSU_E_NS1_11comp_targetILNS1_3genE9ELNS1_11target_archE1100ELNS1_3gpuE3ELNS1_3repE0EEENS1_30default_config_static_selectorELNS0_4arch9wavefront6targetE1EEEvT1_
		.amdhsa_group_segment_fixed_size 0
		.amdhsa_private_segment_fixed_size 0
		.amdhsa_kernarg_size 136
		.amdhsa_user_sgpr_count 6
		.amdhsa_user_sgpr_private_segment_buffer 1
		.amdhsa_user_sgpr_dispatch_ptr 0
		.amdhsa_user_sgpr_queue_ptr 0
		.amdhsa_user_sgpr_kernarg_segment_ptr 1
		.amdhsa_user_sgpr_dispatch_id 0
		.amdhsa_user_sgpr_flat_scratch_init 0
		.amdhsa_user_sgpr_kernarg_preload_length 0
		.amdhsa_user_sgpr_kernarg_preload_offset 0
		.amdhsa_user_sgpr_private_segment_size 0
		.amdhsa_uses_dynamic_stack 0
		.amdhsa_system_sgpr_private_segment_wavefront_offset 0
		.amdhsa_system_sgpr_workgroup_id_x 1
		.amdhsa_system_sgpr_workgroup_id_y 0
		.amdhsa_system_sgpr_workgroup_id_z 0
		.amdhsa_system_sgpr_workgroup_info 0
		.amdhsa_system_vgpr_workitem_id 0
		.amdhsa_next_free_vgpr 1
		.amdhsa_next_free_sgpr 0
		.amdhsa_accum_offset 4
		.amdhsa_reserve_vcc 0
		.amdhsa_reserve_flat_scratch 0
		.amdhsa_float_round_mode_32 0
		.amdhsa_float_round_mode_16_64 0
		.amdhsa_float_denorm_mode_32 3
		.amdhsa_float_denorm_mode_16_64 3
		.amdhsa_dx10_clamp 1
		.amdhsa_ieee_mode 1
		.amdhsa_fp16_overflow 0
		.amdhsa_tg_split 0
		.amdhsa_exception_fp_ieee_invalid_op 0
		.amdhsa_exception_fp_denorm_src 0
		.amdhsa_exception_fp_ieee_div_zero 0
		.amdhsa_exception_fp_ieee_overflow 0
		.amdhsa_exception_fp_ieee_underflow 0
		.amdhsa_exception_fp_ieee_inexact 0
		.amdhsa_exception_int_div_zero 0
	.end_amdhsa_kernel
	.section	.text._ZN7rocprim17ROCPRIM_400000_NS6detail17trampoline_kernelINS0_14default_configENS1_27scan_by_key_config_selectorIxxEEZZNS1_16scan_by_key_implILNS1_25lookback_scan_determinismE0ELb0ES3_N6thrust23THRUST_200600_302600_NS6detail15normal_iteratorINS9_10device_ptrIxEEEESE_SE_xNS9_4plusIvEENS9_8equal_toIxEExEE10hipError_tPvRmT2_T3_T4_T5_mT6_T7_P12ihipStream_tbENKUlT_T0_E_clISt17integral_constantIbLb0EESZ_EEDaSU_SV_EUlSU_E_NS1_11comp_targetILNS1_3genE9ELNS1_11target_archE1100ELNS1_3gpuE3ELNS1_3repE0EEENS1_30default_config_static_selectorELNS0_4arch9wavefront6targetE1EEEvT1_,"axG",@progbits,_ZN7rocprim17ROCPRIM_400000_NS6detail17trampoline_kernelINS0_14default_configENS1_27scan_by_key_config_selectorIxxEEZZNS1_16scan_by_key_implILNS1_25lookback_scan_determinismE0ELb0ES3_N6thrust23THRUST_200600_302600_NS6detail15normal_iteratorINS9_10device_ptrIxEEEESE_SE_xNS9_4plusIvEENS9_8equal_toIxEExEE10hipError_tPvRmT2_T3_T4_T5_mT6_T7_P12ihipStream_tbENKUlT_T0_E_clISt17integral_constantIbLb0EESZ_EEDaSU_SV_EUlSU_E_NS1_11comp_targetILNS1_3genE9ELNS1_11target_archE1100ELNS1_3gpuE3ELNS1_3repE0EEENS1_30default_config_static_selectorELNS0_4arch9wavefront6targetE1EEEvT1_,comdat
.Lfunc_end90:
	.size	_ZN7rocprim17ROCPRIM_400000_NS6detail17trampoline_kernelINS0_14default_configENS1_27scan_by_key_config_selectorIxxEEZZNS1_16scan_by_key_implILNS1_25lookback_scan_determinismE0ELb0ES3_N6thrust23THRUST_200600_302600_NS6detail15normal_iteratorINS9_10device_ptrIxEEEESE_SE_xNS9_4plusIvEENS9_8equal_toIxEExEE10hipError_tPvRmT2_T3_T4_T5_mT6_T7_P12ihipStream_tbENKUlT_T0_E_clISt17integral_constantIbLb0EESZ_EEDaSU_SV_EUlSU_E_NS1_11comp_targetILNS1_3genE9ELNS1_11target_archE1100ELNS1_3gpuE3ELNS1_3repE0EEENS1_30default_config_static_selectorELNS0_4arch9wavefront6targetE1EEEvT1_, .Lfunc_end90-_ZN7rocprim17ROCPRIM_400000_NS6detail17trampoline_kernelINS0_14default_configENS1_27scan_by_key_config_selectorIxxEEZZNS1_16scan_by_key_implILNS1_25lookback_scan_determinismE0ELb0ES3_N6thrust23THRUST_200600_302600_NS6detail15normal_iteratorINS9_10device_ptrIxEEEESE_SE_xNS9_4plusIvEENS9_8equal_toIxEExEE10hipError_tPvRmT2_T3_T4_T5_mT6_T7_P12ihipStream_tbENKUlT_T0_E_clISt17integral_constantIbLb0EESZ_EEDaSU_SV_EUlSU_E_NS1_11comp_targetILNS1_3genE9ELNS1_11target_archE1100ELNS1_3gpuE3ELNS1_3repE0EEENS1_30default_config_static_selectorELNS0_4arch9wavefront6targetE1EEEvT1_
                                        ; -- End function
	.section	.AMDGPU.csdata,"",@progbits
; Kernel info:
; codeLenInByte = 0
; NumSgprs: 4
; NumVgprs: 0
; NumAgprs: 0
; TotalNumVgprs: 0
; ScratchSize: 0
; MemoryBound: 0
; FloatMode: 240
; IeeeMode: 1
; LDSByteSize: 0 bytes/workgroup (compile time only)
; SGPRBlocks: 0
; VGPRBlocks: 0
; NumSGPRsForWavesPerEU: 4
; NumVGPRsForWavesPerEU: 1
; AccumOffset: 4
; Occupancy: 8
; WaveLimiterHint : 0
; COMPUTE_PGM_RSRC2:SCRATCH_EN: 0
; COMPUTE_PGM_RSRC2:USER_SGPR: 6
; COMPUTE_PGM_RSRC2:TRAP_HANDLER: 0
; COMPUTE_PGM_RSRC2:TGID_X_EN: 1
; COMPUTE_PGM_RSRC2:TGID_Y_EN: 0
; COMPUTE_PGM_RSRC2:TGID_Z_EN: 0
; COMPUTE_PGM_RSRC2:TIDIG_COMP_CNT: 0
; COMPUTE_PGM_RSRC3_GFX90A:ACCUM_OFFSET: 0
; COMPUTE_PGM_RSRC3_GFX90A:TG_SPLIT: 0
	.section	.text._ZN7rocprim17ROCPRIM_400000_NS6detail17trampoline_kernelINS0_14default_configENS1_27scan_by_key_config_selectorIxxEEZZNS1_16scan_by_key_implILNS1_25lookback_scan_determinismE0ELb0ES3_N6thrust23THRUST_200600_302600_NS6detail15normal_iteratorINS9_10device_ptrIxEEEESE_SE_xNS9_4plusIvEENS9_8equal_toIxEExEE10hipError_tPvRmT2_T3_T4_T5_mT6_T7_P12ihipStream_tbENKUlT_T0_E_clISt17integral_constantIbLb0EESZ_EEDaSU_SV_EUlSU_E_NS1_11comp_targetILNS1_3genE8ELNS1_11target_archE1030ELNS1_3gpuE2ELNS1_3repE0EEENS1_30default_config_static_selectorELNS0_4arch9wavefront6targetE1EEEvT1_,"axG",@progbits,_ZN7rocprim17ROCPRIM_400000_NS6detail17trampoline_kernelINS0_14default_configENS1_27scan_by_key_config_selectorIxxEEZZNS1_16scan_by_key_implILNS1_25lookback_scan_determinismE0ELb0ES3_N6thrust23THRUST_200600_302600_NS6detail15normal_iteratorINS9_10device_ptrIxEEEESE_SE_xNS9_4plusIvEENS9_8equal_toIxEExEE10hipError_tPvRmT2_T3_T4_T5_mT6_T7_P12ihipStream_tbENKUlT_T0_E_clISt17integral_constantIbLb0EESZ_EEDaSU_SV_EUlSU_E_NS1_11comp_targetILNS1_3genE8ELNS1_11target_archE1030ELNS1_3gpuE2ELNS1_3repE0EEENS1_30default_config_static_selectorELNS0_4arch9wavefront6targetE1EEEvT1_,comdat
	.protected	_ZN7rocprim17ROCPRIM_400000_NS6detail17trampoline_kernelINS0_14default_configENS1_27scan_by_key_config_selectorIxxEEZZNS1_16scan_by_key_implILNS1_25lookback_scan_determinismE0ELb0ES3_N6thrust23THRUST_200600_302600_NS6detail15normal_iteratorINS9_10device_ptrIxEEEESE_SE_xNS9_4plusIvEENS9_8equal_toIxEExEE10hipError_tPvRmT2_T3_T4_T5_mT6_T7_P12ihipStream_tbENKUlT_T0_E_clISt17integral_constantIbLb0EESZ_EEDaSU_SV_EUlSU_E_NS1_11comp_targetILNS1_3genE8ELNS1_11target_archE1030ELNS1_3gpuE2ELNS1_3repE0EEENS1_30default_config_static_selectorELNS0_4arch9wavefront6targetE1EEEvT1_ ; -- Begin function _ZN7rocprim17ROCPRIM_400000_NS6detail17trampoline_kernelINS0_14default_configENS1_27scan_by_key_config_selectorIxxEEZZNS1_16scan_by_key_implILNS1_25lookback_scan_determinismE0ELb0ES3_N6thrust23THRUST_200600_302600_NS6detail15normal_iteratorINS9_10device_ptrIxEEEESE_SE_xNS9_4plusIvEENS9_8equal_toIxEExEE10hipError_tPvRmT2_T3_T4_T5_mT6_T7_P12ihipStream_tbENKUlT_T0_E_clISt17integral_constantIbLb0EESZ_EEDaSU_SV_EUlSU_E_NS1_11comp_targetILNS1_3genE8ELNS1_11target_archE1030ELNS1_3gpuE2ELNS1_3repE0EEENS1_30default_config_static_selectorELNS0_4arch9wavefront6targetE1EEEvT1_
	.globl	_ZN7rocprim17ROCPRIM_400000_NS6detail17trampoline_kernelINS0_14default_configENS1_27scan_by_key_config_selectorIxxEEZZNS1_16scan_by_key_implILNS1_25lookback_scan_determinismE0ELb0ES3_N6thrust23THRUST_200600_302600_NS6detail15normal_iteratorINS9_10device_ptrIxEEEESE_SE_xNS9_4plusIvEENS9_8equal_toIxEExEE10hipError_tPvRmT2_T3_T4_T5_mT6_T7_P12ihipStream_tbENKUlT_T0_E_clISt17integral_constantIbLb0EESZ_EEDaSU_SV_EUlSU_E_NS1_11comp_targetILNS1_3genE8ELNS1_11target_archE1030ELNS1_3gpuE2ELNS1_3repE0EEENS1_30default_config_static_selectorELNS0_4arch9wavefront6targetE1EEEvT1_
	.p2align	8
	.type	_ZN7rocprim17ROCPRIM_400000_NS6detail17trampoline_kernelINS0_14default_configENS1_27scan_by_key_config_selectorIxxEEZZNS1_16scan_by_key_implILNS1_25lookback_scan_determinismE0ELb0ES3_N6thrust23THRUST_200600_302600_NS6detail15normal_iteratorINS9_10device_ptrIxEEEESE_SE_xNS9_4plusIvEENS9_8equal_toIxEExEE10hipError_tPvRmT2_T3_T4_T5_mT6_T7_P12ihipStream_tbENKUlT_T0_E_clISt17integral_constantIbLb0EESZ_EEDaSU_SV_EUlSU_E_NS1_11comp_targetILNS1_3genE8ELNS1_11target_archE1030ELNS1_3gpuE2ELNS1_3repE0EEENS1_30default_config_static_selectorELNS0_4arch9wavefront6targetE1EEEvT1_,@function
_ZN7rocprim17ROCPRIM_400000_NS6detail17trampoline_kernelINS0_14default_configENS1_27scan_by_key_config_selectorIxxEEZZNS1_16scan_by_key_implILNS1_25lookback_scan_determinismE0ELb0ES3_N6thrust23THRUST_200600_302600_NS6detail15normal_iteratorINS9_10device_ptrIxEEEESE_SE_xNS9_4plusIvEENS9_8equal_toIxEExEE10hipError_tPvRmT2_T3_T4_T5_mT6_T7_P12ihipStream_tbENKUlT_T0_E_clISt17integral_constantIbLb0EESZ_EEDaSU_SV_EUlSU_E_NS1_11comp_targetILNS1_3genE8ELNS1_11target_archE1030ELNS1_3gpuE2ELNS1_3repE0EEENS1_30default_config_static_selectorELNS0_4arch9wavefront6targetE1EEEvT1_: ; @_ZN7rocprim17ROCPRIM_400000_NS6detail17trampoline_kernelINS0_14default_configENS1_27scan_by_key_config_selectorIxxEEZZNS1_16scan_by_key_implILNS1_25lookback_scan_determinismE0ELb0ES3_N6thrust23THRUST_200600_302600_NS6detail15normal_iteratorINS9_10device_ptrIxEEEESE_SE_xNS9_4plusIvEENS9_8equal_toIxEExEE10hipError_tPvRmT2_T3_T4_T5_mT6_T7_P12ihipStream_tbENKUlT_T0_E_clISt17integral_constantIbLb0EESZ_EEDaSU_SV_EUlSU_E_NS1_11comp_targetILNS1_3genE8ELNS1_11target_archE1030ELNS1_3gpuE2ELNS1_3repE0EEENS1_30default_config_static_selectorELNS0_4arch9wavefront6targetE1EEEvT1_
; %bb.0:
	.section	.rodata,"a",@progbits
	.p2align	6, 0x0
	.amdhsa_kernel _ZN7rocprim17ROCPRIM_400000_NS6detail17trampoline_kernelINS0_14default_configENS1_27scan_by_key_config_selectorIxxEEZZNS1_16scan_by_key_implILNS1_25lookback_scan_determinismE0ELb0ES3_N6thrust23THRUST_200600_302600_NS6detail15normal_iteratorINS9_10device_ptrIxEEEESE_SE_xNS9_4plusIvEENS9_8equal_toIxEExEE10hipError_tPvRmT2_T3_T4_T5_mT6_T7_P12ihipStream_tbENKUlT_T0_E_clISt17integral_constantIbLb0EESZ_EEDaSU_SV_EUlSU_E_NS1_11comp_targetILNS1_3genE8ELNS1_11target_archE1030ELNS1_3gpuE2ELNS1_3repE0EEENS1_30default_config_static_selectorELNS0_4arch9wavefront6targetE1EEEvT1_
		.amdhsa_group_segment_fixed_size 0
		.amdhsa_private_segment_fixed_size 0
		.amdhsa_kernarg_size 136
		.amdhsa_user_sgpr_count 6
		.amdhsa_user_sgpr_private_segment_buffer 1
		.amdhsa_user_sgpr_dispatch_ptr 0
		.amdhsa_user_sgpr_queue_ptr 0
		.amdhsa_user_sgpr_kernarg_segment_ptr 1
		.amdhsa_user_sgpr_dispatch_id 0
		.amdhsa_user_sgpr_flat_scratch_init 0
		.amdhsa_user_sgpr_kernarg_preload_length 0
		.amdhsa_user_sgpr_kernarg_preload_offset 0
		.amdhsa_user_sgpr_private_segment_size 0
		.amdhsa_uses_dynamic_stack 0
		.amdhsa_system_sgpr_private_segment_wavefront_offset 0
		.amdhsa_system_sgpr_workgroup_id_x 1
		.amdhsa_system_sgpr_workgroup_id_y 0
		.amdhsa_system_sgpr_workgroup_id_z 0
		.amdhsa_system_sgpr_workgroup_info 0
		.amdhsa_system_vgpr_workitem_id 0
		.amdhsa_next_free_vgpr 1
		.amdhsa_next_free_sgpr 0
		.amdhsa_accum_offset 4
		.amdhsa_reserve_vcc 0
		.amdhsa_reserve_flat_scratch 0
		.amdhsa_float_round_mode_32 0
		.amdhsa_float_round_mode_16_64 0
		.amdhsa_float_denorm_mode_32 3
		.amdhsa_float_denorm_mode_16_64 3
		.amdhsa_dx10_clamp 1
		.amdhsa_ieee_mode 1
		.amdhsa_fp16_overflow 0
		.amdhsa_tg_split 0
		.amdhsa_exception_fp_ieee_invalid_op 0
		.amdhsa_exception_fp_denorm_src 0
		.amdhsa_exception_fp_ieee_div_zero 0
		.amdhsa_exception_fp_ieee_overflow 0
		.amdhsa_exception_fp_ieee_underflow 0
		.amdhsa_exception_fp_ieee_inexact 0
		.amdhsa_exception_int_div_zero 0
	.end_amdhsa_kernel
	.section	.text._ZN7rocprim17ROCPRIM_400000_NS6detail17trampoline_kernelINS0_14default_configENS1_27scan_by_key_config_selectorIxxEEZZNS1_16scan_by_key_implILNS1_25lookback_scan_determinismE0ELb0ES3_N6thrust23THRUST_200600_302600_NS6detail15normal_iteratorINS9_10device_ptrIxEEEESE_SE_xNS9_4plusIvEENS9_8equal_toIxEExEE10hipError_tPvRmT2_T3_T4_T5_mT6_T7_P12ihipStream_tbENKUlT_T0_E_clISt17integral_constantIbLb0EESZ_EEDaSU_SV_EUlSU_E_NS1_11comp_targetILNS1_3genE8ELNS1_11target_archE1030ELNS1_3gpuE2ELNS1_3repE0EEENS1_30default_config_static_selectorELNS0_4arch9wavefront6targetE1EEEvT1_,"axG",@progbits,_ZN7rocprim17ROCPRIM_400000_NS6detail17trampoline_kernelINS0_14default_configENS1_27scan_by_key_config_selectorIxxEEZZNS1_16scan_by_key_implILNS1_25lookback_scan_determinismE0ELb0ES3_N6thrust23THRUST_200600_302600_NS6detail15normal_iteratorINS9_10device_ptrIxEEEESE_SE_xNS9_4plusIvEENS9_8equal_toIxEExEE10hipError_tPvRmT2_T3_T4_T5_mT6_T7_P12ihipStream_tbENKUlT_T0_E_clISt17integral_constantIbLb0EESZ_EEDaSU_SV_EUlSU_E_NS1_11comp_targetILNS1_3genE8ELNS1_11target_archE1030ELNS1_3gpuE2ELNS1_3repE0EEENS1_30default_config_static_selectorELNS0_4arch9wavefront6targetE1EEEvT1_,comdat
.Lfunc_end91:
	.size	_ZN7rocprim17ROCPRIM_400000_NS6detail17trampoline_kernelINS0_14default_configENS1_27scan_by_key_config_selectorIxxEEZZNS1_16scan_by_key_implILNS1_25lookback_scan_determinismE0ELb0ES3_N6thrust23THRUST_200600_302600_NS6detail15normal_iteratorINS9_10device_ptrIxEEEESE_SE_xNS9_4plusIvEENS9_8equal_toIxEExEE10hipError_tPvRmT2_T3_T4_T5_mT6_T7_P12ihipStream_tbENKUlT_T0_E_clISt17integral_constantIbLb0EESZ_EEDaSU_SV_EUlSU_E_NS1_11comp_targetILNS1_3genE8ELNS1_11target_archE1030ELNS1_3gpuE2ELNS1_3repE0EEENS1_30default_config_static_selectorELNS0_4arch9wavefront6targetE1EEEvT1_, .Lfunc_end91-_ZN7rocprim17ROCPRIM_400000_NS6detail17trampoline_kernelINS0_14default_configENS1_27scan_by_key_config_selectorIxxEEZZNS1_16scan_by_key_implILNS1_25lookback_scan_determinismE0ELb0ES3_N6thrust23THRUST_200600_302600_NS6detail15normal_iteratorINS9_10device_ptrIxEEEESE_SE_xNS9_4plusIvEENS9_8equal_toIxEExEE10hipError_tPvRmT2_T3_T4_T5_mT6_T7_P12ihipStream_tbENKUlT_T0_E_clISt17integral_constantIbLb0EESZ_EEDaSU_SV_EUlSU_E_NS1_11comp_targetILNS1_3genE8ELNS1_11target_archE1030ELNS1_3gpuE2ELNS1_3repE0EEENS1_30default_config_static_selectorELNS0_4arch9wavefront6targetE1EEEvT1_
                                        ; -- End function
	.section	.AMDGPU.csdata,"",@progbits
; Kernel info:
; codeLenInByte = 0
; NumSgprs: 4
; NumVgprs: 0
; NumAgprs: 0
; TotalNumVgprs: 0
; ScratchSize: 0
; MemoryBound: 0
; FloatMode: 240
; IeeeMode: 1
; LDSByteSize: 0 bytes/workgroup (compile time only)
; SGPRBlocks: 0
; VGPRBlocks: 0
; NumSGPRsForWavesPerEU: 4
; NumVGPRsForWavesPerEU: 1
; AccumOffset: 4
; Occupancy: 8
; WaveLimiterHint : 0
; COMPUTE_PGM_RSRC2:SCRATCH_EN: 0
; COMPUTE_PGM_RSRC2:USER_SGPR: 6
; COMPUTE_PGM_RSRC2:TRAP_HANDLER: 0
; COMPUTE_PGM_RSRC2:TGID_X_EN: 1
; COMPUTE_PGM_RSRC2:TGID_Y_EN: 0
; COMPUTE_PGM_RSRC2:TGID_Z_EN: 0
; COMPUTE_PGM_RSRC2:TIDIG_COMP_CNT: 0
; COMPUTE_PGM_RSRC3_GFX90A:ACCUM_OFFSET: 0
; COMPUTE_PGM_RSRC3_GFX90A:TG_SPLIT: 0
	.section	.text._ZN7rocprim17ROCPRIM_400000_NS6detail17trampoline_kernelINS0_14default_configENS1_27scan_by_key_config_selectorIxxEEZZNS1_16scan_by_key_implILNS1_25lookback_scan_determinismE0ELb0ES3_N6thrust23THRUST_200600_302600_NS6detail15normal_iteratorINS9_10device_ptrIxEEEESE_SE_xNS9_4plusIvEENS9_8equal_toIxEExEE10hipError_tPvRmT2_T3_T4_T5_mT6_T7_P12ihipStream_tbENKUlT_T0_E_clISt17integral_constantIbLb1EESZ_EEDaSU_SV_EUlSU_E_NS1_11comp_targetILNS1_3genE0ELNS1_11target_archE4294967295ELNS1_3gpuE0ELNS1_3repE0EEENS1_30default_config_static_selectorELNS0_4arch9wavefront6targetE1EEEvT1_,"axG",@progbits,_ZN7rocprim17ROCPRIM_400000_NS6detail17trampoline_kernelINS0_14default_configENS1_27scan_by_key_config_selectorIxxEEZZNS1_16scan_by_key_implILNS1_25lookback_scan_determinismE0ELb0ES3_N6thrust23THRUST_200600_302600_NS6detail15normal_iteratorINS9_10device_ptrIxEEEESE_SE_xNS9_4plusIvEENS9_8equal_toIxEExEE10hipError_tPvRmT2_T3_T4_T5_mT6_T7_P12ihipStream_tbENKUlT_T0_E_clISt17integral_constantIbLb1EESZ_EEDaSU_SV_EUlSU_E_NS1_11comp_targetILNS1_3genE0ELNS1_11target_archE4294967295ELNS1_3gpuE0ELNS1_3repE0EEENS1_30default_config_static_selectorELNS0_4arch9wavefront6targetE1EEEvT1_,comdat
	.protected	_ZN7rocprim17ROCPRIM_400000_NS6detail17trampoline_kernelINS0_14default_configENS1_27scan_by_key_config_selectorIxxEEZZNS1_16scan_by_key_implILNS1_25lookback_scan_determinismE0ELb0ES3_N6thrust23THRUST_200600_302600_NS6detail15normal_iteratorINS9_10device_ptrIxEEEESE_SE_xNS9_4plusIvEENS9_8equal_toIxEExEE10hipError_tPvRmT2_T3_T4_T5_mT6_T7_P12ihipStream_tbENKUlT_T0_E_clISt17integral_constantIbLb1EESZ_EEDaSU_SV_EUlSU_E_NS1_11comp_targetILNS1_3genE0ELNS1_11target_archE4294967295ELNS1_3gpuE0ELNS1_3repE0EEENS1_30default_config_static_selectorELNS0_4arch9wavefront6targetE1EEEvT1_ ; -- Begin function _ZN7rocprim17ROCPRIM_400000_NS6detail17trampoline_kernelINS0_14default_configENS1_27scan_by_key_config_selectorIxxEEZZNS1_16scan_by_key_implILNS1_25lookback_scan_determinismE0ELb0ES3_N6thrust23THRUST_200600_302600_NS6detail15normal_iteratorINS9_10device_ptrIxEEEESE_SE_xNS9_4plusIvEENS9_8equal_toIxEExEE10hipError_tPvRmT2_T3_T4_T5_mT6_T7_P12ihipStream_tbENKUlT_T0_E_clISt17integral_constantIbLb1EESZ_EEDaSU_SV_EUlSU_E_NS1_11comp_targetILNS1_3genE0ELNS1_11target_archE4294967295ELNS1_3gpuE0ELNS1_3repE0EEENS1_30default_config_static_selectorELNS0_4arch9wavefront6targetE1EEEvT1_
	.globl	_ZN7rocprim17ROCPRIM_400000_NS6detail17trampoline_kernelINS0_14default_configENS1_27scan_by_key_config_selectorIxxEEZZNS1_16scan_by_key_implILNS1_25lookback_scan_determinismE0ELb0ES3_N6thrust23THRUST_200600_302600_NS6detail15normal_iteratorINS9_10device_ptrIxEEEESE_SE_xNS9_4plusIvEENS9_8equal_toIxEExEE10hipError_tPvRmT2_T3_T4_T5_mT6_T7_P12ihipStream_tbENKUlT_T0_E_clISt17integral_constantIbLb1EESZ_EEDaSU_SV_EUlSU_E_NS1_11comp_targetILNS1_3genE0ELNS1_11target_archE4294967295ELNS1_3gpuE0ELNS1_3repE0EEENS1_30default_config_static_selectorELNS0_4arch9wavefront6targetE1EEEvT1_
	.p2align	8
	.type	_ZN7rocprim17ROCPRIM_400000_NS6detail17trampoline_kernelINS0_14default_configENS1_27scan_by_key_config_selectorIxxEEZZNS1_16scan_by_key_implILNS1_25lookback_scan_determinismE0ELb0ES3_N6thrust23THRUST_200600_302600_NS6detail15normal_iteratorINS9_10device_ptrIxEEEESE_SE_xNS9_4plusIvEENS9_8equal_toIxEExEE10hipError_tPvRmT2_T3_T4_T5_mT6_T7_P12ihipStream_tbENKUlT_T0_E_clISt17integral_constantIbLb1EESZ_EEDaSU_SV_EUlSU_E_NS1_11comp_targetILNS1_3genE0ELNS1_11target_archE4294967295ELNS1_3gpuE0ELNS1_3repE0EEENS1_30default_config_static_selectorELNS0_4arch9wavefront6targetE1EEEvT1_,@function
_ZN7rocprim17ROCPRIM_400000_NS6detail17trampoline_kernelINS0_14default_configENS1_27scan_by_key_config_selectorIxxEEZZNS1_16scan_by_key_implILNS1_25lookback_scan_determinismE0ELb0ES3_N6thrust23THRUST_200600_302600_NS6detail15normal_iteratorINS9_10device_ptrIxEEEESE_SE_xNS9_4plusIvEENS9_8equal_toIxEExEE10hipError_tPvRmT2_T3_T4_T5_mT6_T7_P12ihipStream_tbENKUlT_T0_E_clISt17integral_constantIbLb1EESZ_EEDaSU_SV_EUlSU_E_NS1_11comp_targetILNS1_3genE0ELNS1_11target_archE4294967295ELNS1_3gpuE0ELNS1_3repE0EEENS1_30default_config_static_selectorELNS0_4arch9wavefront6targetE1EEEvT1_: ; @_ZN7rocprim17ROCPRIM_400000_NS6detail17trampoline_kernelINS0_14default_configENS1_27scan_by_key_config_selectorIxxEEZZNS1_16scan_by_key_implILNS1_25lookback_scan_determinismE0ELb0ES3_N6thrust23THRUST_200600_302600_NS6detail15normal_iteratorINS9_10device_ptrIxEEEESE_SE_xNS9_4plusIvEENS9_8equal_toIxEExEE10hipError_tPvRmT2_T3_T4_T5_mT6_T7_P12ihipStream_tbENKUlT_T0_E_clISt17integral_constantIbLb1EESZ_EEDaSU_SV_EUlSU_E_NS1_11comp_targetILNS1_3genE0ELNS1_11target_archE4294967295ELNS1_3gpuE0ELNS1_3repE0EEENS1_30default_config_static_selectorELNS0_4arch9wavefront6targetE1EEEvT1_
; %bb.0:
	.section	.rodata,"a",@progbits
	.p2align	6, 0x0
	.amdhsa_kernel _ZN7rocprim17ROCPRIM_400000_NS6detail17trampoline_kernelINS0_14default_configENS1_27scan_by_key_config_selectorIxxEEZZNS1_16scan_by_key_implILNS1_25lookback_scan_determinismE0ELb0ES3_N6thrust23THRUST_200600_302600_NS6detail15normal_iteratorINS9_10device_ptrIxEEEESE_SE_xNS9_4plusIvEENS9_8equal_toIxEExEE10hipError_tPvRmT2_T3_T4_T5_mT6_T7_P12ihipStream_tbENKUlT_T0_E_clISt17integral_constantIbLb1EESZ_EEDaSU_SV_EUlSU_E_NS1_11comp_targetILNS1_3genE0ELNS1_11target_archE4294967295ELNS1_3gpuE0ELNS1_3repE0EEENS1_30default_config_static_selectorELNS0_4arch9wavefront6targetE1EEEvT1_
		.amdhsa_group_segment_fixed_size 0
		.amdhsa_private_segment_fixed_size 0
		.amdhsa_kernarg_size 136
		.amdhsa_user_sgpr_count 6
		.amdhsa_user_sgpr_private_segment_buffer 1
		.amdhsa_user_sgpr_dispatch_ptr 0
		.amdhsa_user_sgpr_queue_ptr 0
		.amdhsa_user_sgpr_kernarg_segment_ptr 1
		.amdhsa_user_sgpr_dispatch_id 0
		.amdhsa_user_sgpr_flat_scratch_init 0
		.amdhsa_user_sgpr_kernarg_preload_length 0
		.amdhsa_user_sgpr_kernarg_preload_offset 0
		.amdhsa_user_sgpr_private_segment_size 0
		.amdhsa_uses_dynamic_stack 0
		.amdhsa_system_sgpr_private_segment_wavefront_offset 0
		.amdhsa_system_sgpr_workgroup_id_x 1
		.amdhsa_system_sgpr_workgroup_id_y 0
		.amdhsa_system_sgpr_workgroup_id_z 0
		.amdhsa_system_sgpr_workgroup_info 0
		.amdhsa_system_vgpr_workitem_id 0
		.amdhsa_next_free_vgpr 1
		.amdhsa_next_free_sgpr 0
		.amdhsa_accum_offset 4
		.amdhsa_reserve_vcc 0
		.amdhsa_reserve_flat_scratch 0
		.amdhsa_float_round_mode_32 0
		.amdhsa_float_round_mode_16_64 0
		.amdhsa_float_denorm_mode_32 3
		.amdhsa_float_denorm_mode_16_64 3
		.amdhsa_dx10_clamp 1
		.amdhsa_ieee_mode 1
		.amdhsa_fp16_overflow 0
		.amdhsa_tg_split 0
		.amdhsa_exception_fp_ieee_invalid_op 0
		.amdhsa_exception_fp_denorm_src 0
		.amdhsa_exception_fp_ieee_div_zero 0
		.amdhsa_exception_fp_ieee_overflow 0
		.amdhsa_exception_fp_ieee_underflow 0
		.amdhsa_exception_fp_ieee_inexact 0
		.amdhsa_exception_int_div_zero 0
	.end_amdhsa_kernel
	.section	.text._ZN7rocprim17ROCPRIM_400000_NS6detail17trampoline_kernelINS0_14default_configENS1_27scan_by_key_config_selectorIxxEEZZNS1_16scan_by_key_implILNS1_25lookback_scan_determinismE0ELb0ES3_N6thrust23THRUST_200600_302600_NS6detail15normal_iteratorINS9_10device_ptrIxEEEESE_SE_xNS9_4plusIvEENS9_8equal_toIxEExEE10hipError_tPvRmT2_T3_T4_T5_mT6_T7_P12ihipStream_tbENKUlT_T0_E_clISt17integral_constantIbLb1EESZ_EEDaSU_SV_EUlSU_E_NS1_11comp_targetILNS1_3genE0ELNS1_11target_archE4294967295ELNS1_3gpuE0ELNS1_3repE0EEENS1_30default_config_static_selectorELNS0_4arch9wavefront6targetE1EEEvT1_,"axG",@progbits,_ZN7rocprim17ROCPRIM_400000_NS6detail17trampoline_kernelINS0_14default_configENS1_27scan_by_key_config_selectorIxxEEZZNS1_16scan_by_key_implILNS1_25lookback_scan_determinismE0ELb0ES3_N6thrust23THRUST_200600_302600_NS6detail15normal_iteratorINS9_10device_ptrIxEEEESE_SE_xNS9_4plusIvEENS9_8equal_toIxEExEE10hipError_tPvRmT2_T3_T4_T5_mT6_T7_P12ihipStream_tbENKUlT_T0_E_clISt17integral_constantIbLb1EESZ_EEDaSU_SV_EUlSU_E_NS1_11comp_targetILNS1_3genE0ELNS1_11target_archE4294967295ELNS1_3gpuE0ELNS1_3repE0EEENS1_30default_config_static_selectorELNS0_4arch9wavefront6targetE1EEEvT1_,comdat
.Lfunc_end92:
	.size	_ZN7rocprim17ROCPRIM_400000_NS6detail17trampoline_kernelINS0_14default_configENS1_27scan_by_key_config_selectorIxxEEZZNS1_16scan_by_key_implILNS1_25lookback_scan_determinismE0ELb0ES3_N6thrust23THRUST_200600_302600_NS6detail15normal_iteratorINS9_10device_ptrIxEEEESE_SE_xNS9_4plusIvEENS9_8equal_toIxEExEE10hipError_tPvRmT2_T3_T4_T5_mT6_T7_P12ihipStream_tbENKUlT_T0_E_clISt17integral_constantIbLb1EESZ_EEDaSU_SV_EUlSU_E_NS1_11comp_targetILNS1_3genE0ELNS1_11target_archE4294967295ELNS1_3gpuE0ELNS1_3repE0EEENS1_30default_config_static_selectorELNS0_4arch9wavefront6targetE1EEEvT1_, .Lfunc_end92-_ZN7rocprim17ROCPRIM_400000_NS6detail17trampoline_kernelINS0_14default_configENS1_27scan_by_key_config_selectorIxxEEZZNS1_16scan_by_key_implILNS1_25lookback_scan_determinismE0ELb0ES3_N6thrust23THRUST_200600_302600_NS6detail15normal_iteratorINS9_10device_ptrIxEEEESE_SE_xNS9_4plusIvEENS9_8equal_toIxEExEE10hipError_tPvRmT2_T3_T4_T5_mT6_T7_P12ihipStream_tbENKUlT_T0_E_clISt17integral_constantIbLb1EESZ_EEDaSU_SV_EUlSU_E_NS1_11comp_targetILNS1_3genE0ELNS1_11target_archE4294967295ELNS1_3gpuE0ELNS1_3repE0EEENS1_30default_config_static_selectorELNS0_4arch9wavefront6targetE1EEEvT1_
                                        ; -- End function
	.section	.AMDGPU.csdata,"",@progbits
; Kernel info:
; codeLenInByte = 0
; NumSgprs: 4
; NumVgprs: 0
; NumAgprs: 0
; TotalNumVgprs: 0
; ScratchSize: 0
; MemoryBound: 0
; FloatMode: 240
; IeeeMode: 1
; LDSByteSize: 0 bytes/workgroup (compile time only)
; SGPRBlocks: 0
; VGPRBlocks: 0
; NumSGPRsForWavesPerEU: 4
; NumVGPRsForWavesPerEU: 1
; AccumOffset: 4
; Occupancy: 8
; WaveLimiterHint : 0
; COMPUTE_PGM_RSRC2:SCRATCH_EN: 0
; COMPUTE_PGM_RSRC2:USER_SGPR: 6
; COMPUTE_PGM_RSRC2:TRAP_HANDLER: 0
; COMPUTE_PGM_RSRC2:TGID_X_EN: 1
; COMPUTE_PGM_RSRC2:TGID_Y_EN: 0
; COMPUTE_PGM_RSRC2:TGID_Z_EN: 0
; COMPUTE_PGM_RSRC2:TIDIG_COMP_CNT: 0
; COMPUTE_PGM_RSRC3_GFX90A:ACCUM_OFFSET: 0
; COMPUTE_PGM_RSRC3_GFX90A:TG_SPLIT: 0
	.section	.text._ZN7rocprim17ROCPRIM_400000_NS6detail17trampoline_kernelINS0_14default_configENS1_27scan_by_key_config_selectorIxxEEZZNS1_16scan_by_key_implILNS1_25lookback_scan_determinismE0ELb0ES3_N6thrust23THRUST_200600_302600_NS6detail15normal_iteratorINS9_10device_ptrIxEEEESE_SE_xNS9_4plusIvEENS9_8equal_toIxEExEE10hipError_tPvRmT2_T3_T4_T5_mT6_T7_P12ihipStream_tbENKUlT_T0_E_clISt17integral_constantIbLb1EESZ_EEDaSU_SV_EUlSU_E_NS1_11comp_targetILNS1_3genE10ELNS1_11target_archE1201ELNS1_3gpuE5ELNS1_3repE0EEENS1_30default_config_static_selectorELNS0_4arch9wavefront6targetE1EEEvT1_,"axG",@progbits,_ZN7rocprim17ROCPRIM_400000_NS6detail17trampoline_kernelINS0_14default_configENS1_27scan_by_key_config_selectorIxxEEZZNS1_16scan_by_key_implILNS1_25lookback_scan_determinismE0ELb0ES3_N6thrust23THRUST_200600_302600_NS6detail15normal_iteratorINS9_10device_ptrIxEEEESE_SE_xNS9_4plusIvEENS9_8equal_toIxEExEE10hipError_tPvRmT2_T3_T4_T5_mT6_T7_P12ihipStream_tbENKUlT_T0_E_clISt17integral_constantIbLb1EESZ_EEDaSU_SV_EUlSU_E_NS1_11comp_targetILNS1_3genE10ELNS1_11target_archE1201ELNS1_3gpuE5ELNS1_3repE0EEENS1_30default_config_static_selectorELNS0_4arch9wavefront6targetE1EEEvT1_,comdat
	.protected	_ZN7rocprim17ROCPRIM_400000_NS6detail17trampoline_kernelINS0_14default_configENS1_27scan_by_key_config_selectorIxxEEZZNS1_16scan_by_key_implILNS1_25lookback_scan_determinismE0ELb0ES3_N6thrust23THRUST_200600_302600_NS6detail15normal_iteratorINS9_10device_ptrIxEEEESE_SE_xNS9_4plusIvEENS9_8equal_toIxEExEE10hipError_tPvRmT2_T3_T4_T5_mT6_T7_P12ihipStream_tbENKUlT_T0_E_clISt17integral_constantIbLb1EESZ_EEDaSU_SV_EUlSU_E_NS1_11comp_targetILNS1_3genE10ELNS1_11target_archE1201ELNS1_3gpuE5ELNS1_3repE0EEENS1_30default_config_static_selectorELNS0_4arch9wavefront6targetE1EEEvT1_ ; -- Begin function _ZN7rocprim17ROCPRIM_400000_NS6detail17trampoline_kernelINS0_14default_configENS1_27scan_by_key_config_selectorIxxEEZZNS1_16scan_by_key_implILNS1_25lookback_scan_determinismE0ELb0ES3_N6thrust23THRUST_200600_302600_NS6detail15normal_iteratorINS9_10device_ptrIxEEEESE_SE_xNS9_4plusIvEENS9_8equal_toIxEExEE10hipError_tPvRmT2_T3_T4_T5_mT6_T7_P12ihipStream_tbENKUlT_T0_E_clISt17integral_constantIbLb1EESZ_EEDaSU_SV_EUlSU_E_NS1_11comp_targetILNS1_3genE10ELNS1_11target_archE1201ELNS1_3gpuE5ELNS1_3repE0EEENS1_30default_config_static_selectorELNS0_4arch9wavefront6targetE1EEEvT1_
	.globl	_ZN7rocprim17ROCPRIM_400000_NS6detail17trampoline_kernelINS0_14default_configENS1_27scan_by_key_config_selectorIxxEEZZNS1_16scan_by_key_implILNS1_25lookback_scan_determinismE0ELb0ES3_N6thrust23THRUST_200600_302600_NS6detail15normal_iteratorINS9_10device_ptrIxEEEESE_SE_xNS9_4plusIvEENS9_8equal_toIxEExEE10hipError_tPvRmT2_T3_T4_T5_mT6_T7_P12ihipStream_tbENKUlT_T0_E_clISt17integral_constantIbLb1EESZ_EEDaSU_SV_EUlSU_E_NS1_11comp_targetILNS1_3genE10ELNS1_11target_archE1201ELNS1_3gpuE5ELNS1_3repE0EEENS1_30default_config_static_selectorELNS0_4arch9wavefront6targetE1EEEvT1_
	.p2align	8
	.type	_ZN7rocprim17ROCPRIM_400000_NS6detail17trampoline_kernelINS0_14default_configENS1_27scan_by_key_config_selectorIxxEEZZNS1_16scan_by_key_implILNS1_25lookback_scan_determinismE0ELb0ES3_N6thrust23THRUST_200600_302600_NS6detail15normal_iteratorINS9_10device_ptrIxEEEESE_SE_xNS9_4plusIvEENS9_8equal_toIxEExEE10hipError_tPvRmT2_T3_T4_T5_mT6_T7_P12ihipStream_tbENKUlT_T0_E_clISt17integral_constantIbLb1EESZ_EEDaSU_SV_EUlSU_E_NS1_11comp_targetILNS1_3genE10ELNS1_11target_archE1201ELNS1_3gpuE5ELNS1_3repE0EEENS1_30default_config_static_selectorELNS0_4arch9wavefront6targetE1EEEvT1_,@function
_ZN7rocprim17ROCPRIM_400000_NS6detail17trampoline_kernelINS0_14default_configENS1_27scan_by_key_config_selectorIxxEEZZNS1_16scan_by_key_implILNS1_25lookback_scan_determinismE0ELb0ES3_N6thrust23THRUST_200600_302600_NS6detail15normal_iteratorINS9_10device_ptrIxEEEESE_SE_xNS9_4plusIvEENS9_8equal_toIxEExEE10hipError_tPvRmT2_T3_T4_T5_mT6_T7_P12ihipStream_tbENKUlT_T0_E_clISt17integral_constantIbLb1EESZ_EEDaSU_SV_EUlSU_E_NS1_11comp_targetILNS1_3genE10ELNS1_11target_archE1201ELNS1_3gpuE5ELNS1_3repE0EEENS1_30default_config_static_selectorELNS0_4arch9wavefront6targetE1EEEvT1_: ; @_ZN7rocprim17ROCPRIM_400000_NS6detail17trampoline_kernelINS0_14default_configENS1_27scan_by_key_config_selectorIxxEEZZNS1_16scan_by_key_implILNS1_25lookback_scan_determinismE0ELb0ES3_N6thrust23THRUST_200600_302600_NS6detail15normal_iteratorINS9_10device_ptrIxEEEESE_SE_xNS9_4plusIvEENS9_8equal_toIxEExEE10hipError_tPvRmT2_T3_T4_T5_mT6_T7_P12ihipStream_tbENKUlT_T0_E_clISt17integral_constantIbLb1EESZ_EEDaSU_SV_EUlSU_E_NS1_11comp_targetILNS1_3genE10ELNS1_11target_archE1201ELNS1_3gpuE5ELNS1_3repE0EEENS1_30default_config_static_selectorELNS0_4arch9wavefront6targetE1EEEvT1_
; %bb.0:
	.section	.rodata,"a",@progbits
	.p2align	6, 0x0
	.amdhsa_kernel _ZN7rocprim17ROCPRIM_400000_NS6detail17trampoline_kernelINS0_14default_configENS1_27scan_by_key_config_selectorIxxEEZZNS1_16scan_by_key_implILNS1_25lookback_scan_determinismE0ELb0ES3_N6thrust23THRUST_200600_302600_NS6detail15normal_iteratorINS9_10device_ptrIxEEEESE_SE_xNS9_4plusIvEENS9_8equal_toIxEExEE10hipError_tPvRmT2_T3_T4_T5_mT6_T7_P12ihipStream_tbENKUlT_T0_E_clISt17integral_constantIbLb1EESZ_EEDaSU_SV_EUlSU_E_NS1_11comp_targetILNS1_3genE10ELNS1_11target_archE1201ELNS1_3gpuE5ELNS1_3repE0EEENS1_30default_config_static_selectorELNS0_4arch9wavefront6targetE1EEEvT1_
		.amdhsa_group_segment_fixed_size 0
		.amdhsa_private_segment_fixed_size 0
		.amdhsa_kernarg_size 136
		.amdhsa_user_sgpr_count 6
		.amdhsa_user_sgpr_private_segment_buffer 1
		.amdhsa_user_sgpr_dispatch_ptr 0
		.amdhsa_user_sgpr_queue_ptr 0
		.amdhsa_user_sgpr_kernarg_segment_ptr 1
		.amdhsa_user_sgpr_dispatch_id 0
		.amdhsa_user_sgpr_flat_scratch_init 0
		.amdhsa_user_sgpr_kernarg_preload_length 0
		.amdhsa_user_sgpr_kernarg_preload_offset 0
		.amdhsa_user_sgpr_private_segment_size 0
		.amdhsa_uses_dynamic_stack 0
		.amdhsa_system_sgpr_private_segment_wavefront_offset 0
		.amdhsa_system_sgpr_workgroup_id_x 1
		.amdhsa_system_sgpr_workgroup_id_y 0
		.amdhsa_system_sgpr_workgroup_id_z 0
		.amdhsa_system_sgpr_workgroup_info 0
		.amdhsa_system_vgpr_workitem_id 0
		.amdhsa_next_free_vgpr 1
		.amdhsa_next_free_sgpr 0
		.amdhsa_accum_offset 4
		.amdhsa_reserve_vcc 0
		.amdhsa_reserve_flat_scratch 0
		.amdhsa_float_round_mode_32 0
		.amdhsa_float_round_mode_16_64 0
		.amdhsa_float_denorm_mode_32 3
		.amdhsa_float_denorm_mode_16_64 3
		.amdhsa_dx10_clamp 1
		.amdhsa_ieee_mode 1
		.amdhsa_fp16_overflow 0
		.amdhsa_tg_split 0
		.amdhsa_exception_fp_ieee_invalid_op 0
		.amdhsa_exception_fp_denorm_src 0
		.amdhsa_exception_fp_ieee_div_zero 0
		.amdhsa_exception_fp_ieee_overflow 0
		.amdhsa_exception_fp_ieee_underflow 0
		.amdhsa_exception_fp_ieee_inexact 0
		.amdhsa_exception_int_div_zero 0
	.end_amdhsa_kernel
	.section	.text._ZN7rocprim17ROCPRIM_400000_NS6detail17trampoline_kernelINS0_14default_configENS1_27scan_by_key_config_selectorIxxEEZZNS1_16scan_by_key_implILNS1_25lookback_scan_determinismE0ELb0ES3_N6thrust23THRUST_200600_302600_NS6detail15normal_iteratorINS9_10device_ptrIxEEEESE_SE_xNS9_4plusIvEENS9_8equal_toIxEExEE10hipError_tPvRmT2_T3_T4_T5_mT6_T7_P12ihipStream_tbENKUlT_T0_E_clISt17integral_constantIbLb1EESZ_EEDaSU_SV_EUlSU_E_NS1_11comp_targetILNS1_3genE10ELNS1_11target_archE1201ELNS1_3gpuE5ELNS1_3repE0EEENS1_30default_config_static_selectorELNS0_4arch9wavefront6targetE1EEEvT1_,"axG",@progbits,_ZN7rocprim17ROCPRIM_400000_NS6detail17trampoline_kernelINS0_14default_configENS1_27scan_by_key_config_selectorIxxEEZZNS1_16scan_by_key_implILNS1_25lookback_scan_determinismE0ELb0ES3_N6thrust23THRUST_200600_302600_NS6detail15normal_iteratorINS9_10device_ptrIxEEEESE_SE_xNS9_4plusIvEENS9_8equal_toIxEExEE10hipError_tPvRmT2_T3_T4_T5_mT6_T7_P12ihipStream_tbENKUlT_T0_E_clISt17integral_constantIbLb1EESZ_EEDaSU_SV_EUlSU_E_NS1_11comp_targetILNS1_3genE10ELNS1_11target_archE1201ELNS1_3gpuE5ELNS1_3repE0EEENS1_30default_config_static_selectorELNS0_4arch9wavefront6targetE1EEEvT1_,comdat
.Lfunc_end93:
	.size	_ZN7rocprim17ROCPRIM_400000_NS6detail17trampoline_kernelINS0_14default_configENS1_27scan_by_key_config_selectorIxxEEZZNS1_16scan_by_key_implILNS1_25lookback_scan_determinismE0ELb0ES3_N6thrust23THRUST_200600_302600_NS6detail15normal_iteratorINS9_10device_ptrIxEEEESE_SE_xNS9_4plusIvEENS9_8equal_toIxEExEE10hipError_tPvRmT2_T3_T4_T5_mT6_T7_P12ihipStream_tbENKUlT_T0_E_clISt17integral_constantIbLb1EESZ_EEDaSU_SV_EUlSU_E_NS1_11comp_targetILNS1_3genE10ELNS1_11target_archE1201ELNS1_3gpuE5ELNS1_3repE0EEENS1_30default_config_static_selectorELNS0_4arch9wavefront6targetE1EEEvT1_, .Lfunc_end93-_ZN7rocprim17ROCPRIM_400000_NS6detail17trampoline_kernelINS0_14default_configENS1_27scan_by_key_config_selectorIxxEEZZNS1_16scan_by_key_implILNS1_25lookback_scan_determinismE0ELb0ES3_N6thrust23THRUST_200600_302600_NS6detail15normal_iteratorINS9_10device_ptrIxEEEESE_SE_xNS9_4plusIvEENS9_8equal_toIxEExEE10hipError_tPvRmT2_T3_T4_T5_mT6_T7_P12ihipStream_tbENKUlT_T0_E_clISt17integral_constantIbLb1EESZ_EEDaSU_SV_EUlSU_E_NS1_11comp_targetILNS1_3genE10ELNS1_11target_archE1201ELNS1_3gpuE5ELNS1_3repE0EEENS1_30default_config_static_selectorELNS0_4arch9wavefront6targetE1EEEvT1_
                                        ; -- End function
	.section	.AMDGPU.csdata,"",@progbits
; Kernel info:
; codeLenInByte = 0
; NumSgprs: 4
; NumVgprs: 0
; NumAgprs: 0
; TotalNumVgprs: 0
; ScratchSize: 0
; MemoryBound: 0
; FloatMode: 240
; IeeeMode: 1
; LDSByteSize: 0 bytes/workgroup (compile time only)
; SGPRBlocks: 0
; VGPRBlocks: 0
; NumSGPRsForWavesPerEU: 4
; NumVGPRsForWavesPerEU: 1
; AccumOffset: 4
; Occupancy: 8
; WaveLimiterHint : 0
; COMPUTE_PGM_RSRC2:SCRATCH_EN: 0
; COMPUTE_PGM_RSRC2:USER_SGPR: 6
; COMPUTE_PGM_RSRC2:TRAP_HANDLER: 0
; COMPUTE_PGM_RSRC2:TGID_X_EN: 1
; COMPUTE_PGM_RSRC2:TGID_Y_EN: 0
; COMPUTE_PGM_RSRC2:TGID_Z_EN: 0
; COMPUTE_PGM_RSRC2:TIDIG_COMP_CNT: 0
; COMPUTE_PGM_RSRC3_GFX90A:ACCUM_OFFSET: 0
; COMPUTE_PGM_RSRC3_GFX90A:TG_SPLIT: 0
	.section	.text._ZN7rocprim17ROCPRIM_400000_NS6detail17trampoline_kernelINS0_14default_configENS1_27scan_by_key_config_selectorIxxEEZZNS1_16scan_by_key_implILNS1_25lookback_scan_determinismE0ELb0ES3_N6thrust23THRUST_200600_302600_NS6detail15normal_iteratorINS9_10device_ptrIxEEEESE_SE_xNS9_4plusIvEENS9_8equal_toIxEExEE10hipError_tPvRmT2_T3_T4_T5_mT6_T7_P12ihipStream_tbENKUlT_T0_E_clISt17integral_constantIbLb1EESZ_EEDaSU_SV_EUlSU_E_NS1_11comp_targetILNS1_3genE5ELNS1_11target_archE942ELNS1_3gpuE9ELNS1_3repE0EEENS1_30default_config_static_selectorELNS0_4arch9wavefront6targetE1EEEvT1_,"axG",@progbits,_ZN7rocprim17ROCPRIM_400000_NS6detail17trampoline_kernelINS0_14default_configENS1_27scan_by_key_config_selectorIxxEEZZNS1_16scan_by_key_implILNS1_25lookback_scan_determinismE0ELb0ES3_N6thrust23THRUST_200600_302600_NS6detail15normal_iteratorINS9_10device_ptrIxEEEESE_SE_xNS9_4plusIvEENS9_8equal_toIxEExEE10hipError_tPvRmT2_T3_T4_T5_mT6_T7_P12ihipStream_tbENKUlT_T0_E_clISt17integral_constantIbLb1EESZ_EEDaSU_SV_EUlSU_E_NS1_11comp_targetILNS1_3genE5ELNS1_11target_archE942ELNS1_3gpuE9ELNS1_3repE0EEENS1_30default_config_static_selectorELNS0_4arch9wavefront6targetE1EEEvT1_,comdat
	.protected	_ZN7rocprim17ROCPRIM_400000_NS6detail17trampoline_kernelINS0_14default_configENS1_27scan_by_key_config_selectorIxxEEZZNS1_16scan_by_key_implILNS1_25lookback_scan_determinismE0ELb0ES3_N6thrust23THRUST_200600_302600_NS6detail15normal_iteratorINS9_10device_ptrIxEEEESE_SE_xNS9_4plusIvEENS9_8equal_toIxEExEE10hipError_tPvRmT2_T3_T4_T5_mT6_T7_P12ihipStream_tbENKUlT_T0_E_clISt17integral_constantIbLb1EESZ_EEDaSU_SV_EUlSU_E_NS1_11comp_targetILNS1_3genE5ELNS1_11target_archE942ELNS1_3gpuE9ELNS1_3repE0EEENS1_30default_config_static_selectorELNS0_4arch9wavefront6targetE1EEEvT1_ ; -- Begin function _ZN7rocprim17ROCPRIM_400000_NS6detail17trampoline_kernelINS0_14default_configENS1_27scan_by_key_config_selectorIxxEEZZNS1_16scan_by_key_implILNS1_25lookback_scan_determinismE0ELb0ES3_N6thrust23THRUST_200600_302600_NS6detail15normal_iteratorINS9_10device_ptrIxEEEESE_SE_xNS9_4plusIvEENS9_8equal_toIxEExEE10hipError_tPvRmT2_T3_T4_T5_mT6_T7_P12ihipStream_tbENKUlT_T0_E_clISt17integral_constantIbLb1EESZ_EEDaSU_SV_EUlSU_E_NS1_11comp_targetILNS1_3genE5ELNS1_11target_archE942ELNS1_3gpuE9ELNS1_3repE0EEENS1_30default_config_static_selectorELNS0_4arch9wavefront6targetE1EEEvT1_
	.globl	_ZN7rocprim17ROCPRIM_400000_NS6detail17trampoline_kernelINS0_14default_configENS1_27scan_by_key_config_selectorIxxEEZZNS1_16scan_by_key_implILNS1_25lookback_scan_determinismE0ELb0ES3_N6thrust23THRUST_200600_302600_NS6detail15normal_iteratorINS9_10device_ptrIxEEEESE_SE_xNS9_4plusIvEENS9_8equal_toIxEExEE10hipError_tPvRmT2_T3_T4_T5_mT6_T7_P12ihipStream_tbENKUlT_T0_E_clISt17integral_constantIbLb1EESZ_EEDaSU_SV_EUlSU_E_NS1_11comp_targetILNS1_3genE5ELNS1_11target_archE942ELNS1_3gpuE9ELNS1_3repE0EEENS1_30default_config_static_selectorELNS0_4arch9wavefront6targetE1EEEvT1_
	.p2align	8
	.type	_ZN7rocprim17ROCPRIM_400000_NS6detail17trampoline_kernelINS0_14default_configENS1_27scan_by_key_config_selectorIxxEEZZNS1_16scan_by_key_implILNS1_25lookback_scan_determinismE0ELb0ES3_N6thrust23THRUST_200600_302600_NS6detail15normal_iteratorINS9_10device_ptrIxEEEESE_SE_xNS9_4plusIvEENS9_8equal_toIxEExEE10hipError_tPvRmT2_T3_T4_T5_mT6_T7_P12ihipStream_tbENKUlT_T0_E_clISt17integral_constantIbLb1EESZ_EEDaSU_SV_EUlSU_E_NS1_11comp_targetILNS1_3genE5ELNS1_11target_archE942ELNS1_3gpuE9ELNS1_3repE0EEENS1_30default_config_static_selectorELNS0_4arch9wavefront6targetE1EEEvT1_,@function
_ZN7rocprim17ROCPRIM_400000_NS6detail17trampoline_kernelINS0_14default_configENS1_27scan_by_key_config_selectorIxxEEZZNS1_16scan_by_key_implILNS1_25lookback_scan_determinismE0ELb0ES3_N6thrust23THRUST_200600_302600_NS6detail15normal_iteratorINS9_10device_ptrIxEEEESE_SE_xNS9_4plusIvEENS9_8equal_toIxEExEE10hipError_tPvRmT2_T3_T4_T5_mT6_T7_P12ihipStream_tbENKUlT_T0_E_clISt17integral_constantIbLb1EESZ_EEDaSU_SV_EUlSU_E_NS1_11comp_targetILNS1_3genE5ELNS1_11target_archE942ELNS1_3gpuE9ELNS1_3repE0EEENS1_30default_config_static_selectorELNS0_4arch9wavefront6targetE1EEEvT1_: ; @_ZN7rocprim17ROCPRIM_400000_NS6detail17trampoline_kernelINS0_14default_configENS1_27scan_by_key_config_selectorIxxEEZZNS1_16scan_by_key_implILNS1_25lookback_scan_determinismE0ELb0ES3_N6thrust23THRUST_200600_302600_NS6detail15normal_iteratorINS9_10device_ptrIxEEEESE_SE_xNS9_4plusIvEENS9_8equal_toIxEExEE10hipError_tPvRmT2_T3_T4_T5_mT6_T7_P12ihipStream_tbENKUlT_T0_E_clISt17integral_constantIbLb1EESZ_EEDaSU_SV_EUlSU_E_NS1_11comp_targetILNS1_3genE5ELNS1_11target_archE942ELNS1_3gpuE9ELNS1_3repE0EEENS1_30default_config_static_selectorELNS0_4arch9wavefront6targetE1EEEvT1_
; %bb.0:
	.section	.rodata,"a",@progbits
	.p2align	6, 0x0
	.amdhsa_kernel _ZN7rocprim17ROCPRIM_400000_NS6detail17trampoline_kernelINS0_14default_configENS1_27scan_by_key_config_selectorIxxEEZZNS1_16scan_by_key_implILNS1_25lookback_scan_determinismE0ELb0ES3_N6thrust23THRUST_200600_302600_NS6detail15normal_iteratorINS9_10device_ptrIxEEEESE_SE_xNS9_4plusIvEENS9_8equal_toIxEExEE10hipError_tPvRmT2_T3_T4_T5_mT6_T7_P12ihipStream_tbENKUlT_T0_E_clISt17integral_constantIbLb1EESZ_EEDaSU_SV_EUlSU_E_NS1_11comp_targetILNS1_3genE5ELNS1_11target_archE942ELNS1_3gpuE9ELNS1_3repE0EEENS1_30default_config_static_selectorELNS0_4arch9wavefront6targetE1EEEvT1_
		.amdhsa_group_segment_fixed_size 0
		.amdhsa_private_segment_fixed_size 0
		.amdhsa_kernarg_size 136
		.amdhsa_user_sgpr_count 6
		.amdhsa_user_sgpr_private_segment_buffer 1
		.amdhsa_user_sgpr_dispatch_ptr 0
		.amdhsa_user_sgpr_queue_ptr 0
		.amdhsa_user_sgpr_kernarg_segment_ptr 1
		.amdhsa_user_sgpr_dispatch_id 0
		.amdhsa_user_sgpr_flat_scratch_init 0
		.amdhsa_user_sgpr_kernarg_preload_length 0
		.amdhsa_user_sgpr_kernarg_preload_offset 0
		.amdhsa_user_sgpr_private_segment_size 0
		.amdhsa_uses_dynamic_stack 0
		.amdhsa_system_sgpr_private_segment_wavefront_offset 0
		.amdhsa_system_sgpr_workgroup_id_x 1
		.amdhsa_system_sgpr_workgroup_id_y 0
		.amdhsa_system_sgpr_workgroup_id_z 0
		.amdhsa_system_sgpr_workgroup_info 0
		.amdhsa_system_vgpr_workitem_id 0
		.amdhsa_next_free_vgpr 1
		.amdhsa_next_free_sgpr 0
		.amdhsa_accum_offset 4
		.amdhsa_reserve_vcc 0
		.amdhsa_reserve_flat_scratch 0
		.amdhsa_float_round_mode_32 0
		.amdhsa_float_round_mode_16_64 0
		.amdhsa_float_denorm_mode_32 3
		.amdhsa_float_denorm_mode_16_64 3
		.amdhsa_dx10_clamp 1
		.amdhsa_ieee_mode 1
		.amdhsa_fp16_overflow 0
		.amdhsa_tg_split 0
		.amdhsa_exception_fp_ieee_invalid_op 0
		.amdhsa_exception_fp_denorm_src 0
		.amdhsa_exception_fp_ieee_div_zero 0
		.amdhsa_exception_fp_ieee_overflow 0
		.amdhsa_exception_fp_ieee_underflow 0
		.amdhsa_exception_fp_ieee_inexact 0
		.amdhsa_exception_int_div_zero 0
	.end_amdhsa_kernel
	.section	.text._ZN7rocprim17ROCPRIM_400000_NS6detail17trampoline_kernelINS0_14default_configENS1_27scan_by_key_config_selectorIxxEEZZNS1_16scan_by_key_implILNS1_25lookback_scan_determinismE0ELb0ES3_N6thrust23THRUST_200600_302600_NS6detail15normal_iteratorINS9_10device_ptrIxEEEESE_SE_xNS9_4plusIvEENS9_8equal_toIxEExEE10hipError_tPvRmT2_T3_T4_T5_mT6_T7_P12ihipStream_tbENKUlT_T0_E_clISt17integral_constantIbLb1EESZ_EEDaSU_SV_EUlSU_E_NS1_11comp_targetILNS1_3genE5ELNS1_11target_archE942ELNS1_3gpuE9ELNS1_3repE0EEENS1_30default_config_static_selectorELNS0_4arch9wavefront6targetE1EEEvT1_,"axG",@progbits,_ZN7rocprim17ROCPRIM_400000_NS6detail17trampoline_kernelINS0_14default_configENS1_27scan_by_key_config_selectorIxxEEZZNS1_16scan_by_key_implILNS1_25lookback_scan_determinismE0ELb0ES3_N6thrust23THRUST_200600_302600_NS6detail15normal_iteratorINS9_10device_ptrIxEEEESE_SE_xNS9_4plusIvEENS9_8equal_toIxEExEE10hipError_tPvRmT2_T3_T4_T5_mT6_T7_P12ihipStream_tbENKUlT_T0_E_clISt17integral_constantIbLb1EESZ_EEDaSU_SV_EUlSU_E_NS1_11comp_targetILNS1_3genE5ELNS1_11target_archE942ELNS1_3gpuE9ELNS1_3repE0EEENS1_30default_config_static_selectorELNS0_4arch9wavefront6targetE1EEEvT1_,comdat
.Lfunc_end94:
	.size	_ZN7rocprim17ROCPRIM_400000_NS6detail17trampoline_kernelINS0_14default_configENS1_27scan_by_key_config_selectorIxxEEZZNS1_16scan_by_key_implILNS1_25lookback_scan_determinismE0ELb0ES3_N6thrust23THRUST_200600_302600_NS6detail15normal_iteratorINS9_10device_ptrIxEEEESE_SE_xNS9_4plusIvEENS9_8equal_toIxEExEE10hipError_tPvRmT2_T3_T4_T5_mT6_T7_P12ihipStream_tbENKUlT_T0_E_clISt17integral_constantIbLb1EESZ_EEDaSU_SV_EUlSU_E_NS1_11comp_targetILNS1_3genE5ELNS1_11target_archE942ELNS1_3gpuE9ELNS1_3repE0EEENS1_30default_config_static_selectorELNS0_4arch9wavefront6targetE1EEEvT1_, .Lfunc_end94-_ZN7rocprim17ROCPRIM_400000_NS6detail17trampoline_kernelINS0_14default_configENS1_27scan_by_key_config_selectorIxxEEZZNS1_16scan_by_key_implILNS1_25lookback_scan_determinismE0ELb0ES3_N6thrust23THRUST_200600_302600_NS6detail15normal_iteratorINS9_10device_ptrIxEEEESE_SE_xNS9_4plusIvEENS9_8equal_toIxEExEE10hipError_tPvRmT2_T3_T4_T5_mT6_T7_P12ihipStream_tbENKUlT_T0_E_clISt17integral_constantIbLb1EESZ_EEDaSU_SV_EUlSU_E_NS1_11comp_targetILNS1_3genE5ELNS1_11target_archE942ELNS1_3gpuE9ELNS1_3repE0EEENS1_30default_config_static_selectorELNS0_4arch9wavefront6targetE1EEEvT1_
                                        ; -- End function
	.section	.AMDGPU.csdata,"",@progbits
; Kernel info:
; codeLenInByte = 0
; NumSgprs: 4
; NumVgprs: 0
; NumAgprs: 0
; TotalNumVgprs: 0
; ScratchSize: 0
; MemoryBound: 0
; FloatMode: 240
; IeeeMode: 1
; LDSByteSize: 0 bytes/workgroup (compile time only)
; SGPRBlocks: 0
; VGPRBlocks: 0
; NumSGPRsForWavesPerEU: 4
; NumVGPRsForWavesPerEU: 1
; AccumOffset: 4
; Occupancy: 8
; WaveLimiterHint : 0
; COMPUTE_PGM_RSRC2:SCRATCH_EN: 0
; COMPUTE_PGM_RSRC2:USER_SGPR: 6
; COMPUTE_PGM_RSRC2:TRAP_HANDLER: 0
; COMPUTE_PGM_RSRC2:TGID_X_EN: 1
; COMPUTE_PGM_RSRC2:TGID_Y_EN: 0
; COMPUTE_PGM_RSRC2:TGID_Z_EN: 0
; COMPUTE_PGM_RSRC2:TIDIG_COMP_CNT: 0
; COMPUTE_PGM_RSRC3_GFX90A:ACCUM_OFFSET: 0
; COMPUTE_PGM_RSRC3_GFX90A:TG_SPLIT: 0
	.section	.text._ZN7rocprim17ROCPRIM_400000_NS6detail17trampoline_kernelINS0_14default_configENS1_27scan_by_key_config_selectorIxxEEZZNS1_16scan_by_key_implILNS1_25lookback_scan_determinismE0ELb0ES3_N6thrust23THRUST_200600_302600_NS6detail15normal_iteratorINS9_10device_ptrIxEEEESE_SE_xNS9_4plusIvEENS9_8equal_toIxEExEE10hipError_tPvRmT2_T3_T4_T5_mT6_T7_P12ihipStream_tbENKUlT_T0_E_clISt17integral_constantIbLb1EESZ_EEDaSU_SV_EUlSU_E_NS1_11comp_targetILNS1_3genE4ELNS1_11target_archE910ELNS1_3gpuE8ELNS1_3repE0EEENS1_30default_config_static_selectorELNS0_4arch9wavefront6targetE1EEEvT1_,"axG",@progbits,_ZN7rocprim17ROCPRIM_400000_NS6detail17trampoline_kernelINS0_14default_configENS1_27scan_by_key_config_selectorIxxEEZZNS1_16scan_by_key_implILNS1_25lookback_scan_determinismE0ELb0ES3_N6thrust23THRUST_200600_302600_NS6detail15normal_iteratorINS9_10device_ptrIxEEEESE_SE_xNS9_4plusIvEENS9_8equal_toIxEExEE10hipError_tPvRmT2_T3_T4_T5_mT6_T7_P12ihipStream_tbENKUlT_T0_E_clISt17integral_constantIbLb1EESZ_EEDaSU_SV_EUlSU_E_NS1_11comp_targetILNS1_3genE4ELNS1_11target_archE910ELNS1_3gpuE8ELNS1_3repE0EEENS1_30default_config_static_selectorELNS0_4arch9wavefront6targetE1EEEvT1_,comdat
	.protected	_ZN7rocprim17ROCPRIM_400000_NS6detail17trampoline_kernelINS0_14default_configENS1_27scan_by_key_config_selectorIxxEEZZNS1_16scan_by_key_implILNS1_25lookback_scan_determinismE0ELb0ES3_N6thrust23THRUST_200600_302600_NS6detail15normal_iteratorINS9_10device_ptrIxEEEESE_SE_xNS9_4plusIvEENS9_8equal_toIxEExEE10hipError_tPvRmT2_T3_T4_T5_mT6_T7_P12ihipStream_tbENKUlT_T0_E_clISt17integral_constantIbLb1EESZ_EEDaSU_SV_EUlSU_E_NS1_11comp_targetILNS1_3genE4ELNS1_11target_archE910ELNS1_3gpuE8ELNS1_3repE0EEENS1_30default_config_static_selectorELNS0_4arch9wavefront6targetE1EEEvT1_ ; -- Begin function _ZN7rocprim17ROCPRIM_400000_NS6detail17trampoline_kernelINS0_14default_configENS1_27scan_by_key_config_selectorIxxEEZZNS1_16scan_by_key_implILNS1_25lookback_scan_determinismE0ELb0ES3_N6thrust23THRUST_200600_302600_NS6detail15normal_iteratorINS9_10device_ptrIxEEEESE_SE_xNS9_4plusIvEENS9_8equal_toIxEExEE10hipError_tPvRmT2_T3_T4_T5_mT6_T7_P12ihipStream_tbENKUlT_T0_E_clISt17integral_constantIbLb1EESZ_EEDaSU_SV_EUlSU_E_NS1_11comp_targetILNS1_3genE4ELNS1_11target_archE910ELNS1_3gpuE8ELNS1_3repE0EEENS1_30default_config_static_selectorELNS0_4arch9wavefront6targetE1EEEvT1_
	.globl	_ZN7rocprim17ROCPRIM_400000_NS6detail17trampoline_kernelINS0_14default_configENS1_27scan_by_key_config_selectorIxxEEZZNS1_16scan_by_key_implILNS1_25lookback_scan_determinismE0ELb0ES3_N6thrust23THRUST_200600_302600_NS6detail15normal_iteratorINS9_10device_ptrIxEEEESE_SE_xNS9_4plusIvEENS9_8equal_toIxEExEE10hipError_tPvRmT2_T3_T4_T5_mT6_T7_P12ihipStream_tbENKUlT_T0_E_clISt17integral_constantIbLb1EESZ_EEDaSU_SV_EUlSU_E_NS1_11comp_targetILNS1_3genE4ELNS1_11target_archE910ELNS1_3gpuE8ELNS1_3repE0EEENS1_30default_config_static_selectorELNS0_4arch9wavefront6targetE1EEEvT1_
	.p2align	8
	.type	_ZN7rocprim17ROCPRIM_400000_NS6detail17trampoline_kernelINS0_14default_configENS1_27scan_by_key_config_selectorIxxEEZZNS1_16scan_by_key_implILNS1_25lookback_scan_determinismE0ELb0ES3_N6thrust23THRUST_200600_302600_NS6detail15normal_iteratorINS9_10device_ptrIxEEEESE_SE_xNS9_4plusIvEENS9_8equal_toIxEExEE10hipError_tPvRmT2_T3_T4_T5_mT6_T7_P12ihipStream_tbENKUlT_T0_E_clISt17integral_constantIbLb1EESZ_EEDaSU_SV_EUlSU_E_NS1_11comp_targetILNS1_3genE4ELNS1_11target_archE910ELNS1_3gpuE8ELNS1_3repE0EEENS1_30default_config_static_selectorELNS0_4arch9wavefront6targetE1EEEvT1_,@function
_ZN7rocprim17ROCPRIM_400000_NS6detail17trampoline_kernelINS0_14default_configENS1_27scan_by_key_config_selectorIxxEEZZNS1_16scan_by_key_implILNS1_25lookback_scan_determinismE0ELb0ES3_N6thrust23THRUST_200600_302600_NS6detail15normal_iteratorINS9_10device_ptrIxEEEESE_SE_xNS9_4plusIvEENS9_8equal_toIxEExEE10hipError_tPvRmT2_T3_T4_T5_mT6_T7_P12ihipStream_tbENKUlT_T0_E_clISt17integral_constantIbLb1EESZ_EEDaSU_SV_EUlSU_E_NS1_11comp_targetILNS1_3genE4ELNS1_11target_archE910ELNS1_3gpuE8ELNS1_3repE0EEENS1_30default_config_static_selectorELNS0_4arch9wavefront6targetE1EEEvT1_: ; @_ZN7rocprim17ROCPRIM_400000_NS6detail17trampoline_kernelINS0_14default_configENS1_27scan_by_key_config_selectorIxxEEZZNS1_16scan_by_key_implILNS1_25lookback_scan_determinismE0ELb0ES3_N6thrust23THRUST_200600_302600_NS6detail15normal_iteratorINS9_10device_ptrIxEEEESE_SE_xNS9_4plusIvEENS9_8equal_toIxEExEE10hipError_tPvRmT2_T3_T4_T5_mT6_T7_P12ihipStream_tbENKUlT_T0_E_clISt17integral_constantIbLb1EESZ_EEDaSU_SV_EUlSU_E_NS1_11comp_targetILNS1_3genE4ELNS1_11target_archE910ELNS1_3gpuE8ELNS1_3repE0EEENS1_30default_config_static_selectorELNS0_4arch9wavefront6targetE1EEEvT1_
; %bb.0:
	s_load_dwordx8 s[48:55], s[4:5], 0x30
	s_load_dwordx2 s[72:73], s[4:5], 0x50
	v_cmp_ne_u32_e64 s[46:47], 0, v0
	v_cmp_eq_u32_e64 s[0:1], 0, v0
	s_and_saveexec_b64 s[2:3], s[0:1]
	s_cbranch_execz .LBB95_4
; %bb.1:
	s_mov_b64 s[8:9], exec
	v_mbcnt_lo_u32_b32 v1, s8, 0
	v_mbcnt_hi_u32_b32 v1, s9, v1
	v_cmp_eq_u32_e32 vcc, 0, v1
                                        ; implicit-def: $vgpr2
	s_and_saveexec_b64 s[6:7], vcc
	s_cbranch_execz .LBB95_3
; %bb.2:
	s_load_dwordx2 s[10:11], s[4:5], 0x80
	s_bcnt1_i32_b64 s8, s[8:9]
	v_mov_b32_e32 v2, 0
	v_mov_b32_e32 v3, s8
	s_waitcnt lgkmcnt(0)
	global_atomic_add v2, v2, v3, s[10:11] glc
.LBB95_3:
	s_or_b64 exec, exec, s[6:7]
	s_waitcnt vmcnt(0)
	v_readfirstlane_b32 s6, v2
	v_add_u32_e32 v1, s6, v1
	v_mov_b32_e32 v2, 0
	ds_write_b32 v2, v1
.LBB95_4:
	s_or_b64 exec, exec, s[2:3]
	s_load_dwordx8 s[56:63], s[4:5], 0x0
	s_load_dword s2, s[4:5], 0x58
	s_load_dwordx8 s[64:71], s[4:5], 0x60
	v_mov_b32_e32 v1, 0
	s_waitcnt lgkmcnt(0)
	; wave barrier
	s_waitcnt lgkmcnt(0)
	ds_read_b32 v1, v1
	s_lshl_b64 s[58:59], s[58:59], 3
	s_add_u32 s4, s56, s58
	s_addc_u32 s5, s57, s59
	s_add_u32 s6, s60, s58
	s_mul_i32 s3, s73, s2
	s_mul_hi_u32 s8, s72, s2
	s_addc_u32 s7, s61, s59
	s_add_i32 s8, s8, s3
	s_waitcnt lgkmcnt(0)
	v_readfirstlane_b32 s55, v1
	s_mul_i32 s9, s72, s2
	s_cmp_lg_u64 s[68:69], 0
	s_mov_b32 s3, 0
	s_mul_i32 s2, s55, 0x4c0
	s_cselect_b64 s[68:69], -1, 0
	s_lshl_b64 s[56:57], s[2:3], 3
	s_add_u32 s60, s4, s56
	s_addc_u32 s61, s5, s57
	s_add_u32 s78, s6, s56
	s_addc_u32 s79, s7, s57
	;; [unrolled: 2-line block ×3, first 2 shown]
	s_add_u32 s4, s64, -1
	s_addc_u32 s5, s65, -1
	v_pk_mov_b32 v[2:3], s[4:5], s[4:5] op_sel:[0,1]
	v_cmp_ge_u64_e64 s[2:3], s[74:75], v[2:3]
	s_mov_b64 s[10:11], 0
	s_mov_b64 s[6:7], -1
	s_and_b64 vcc, exec, s[2:3]
	s_mul_i32 s33, s4, 0xfffffb40
	s_waitcnt lgkmcnt(0)
	; wave barrier
	s_waitcnt lgkmcnt(0)
	s_waitcnt lgkmcnt(0)
	; wave barrier
	s_cbranch_vccz .LBB95_106
; %bb.5:
	v_pk_mov_b32 v[2:3], s[60:61], s[60:61] op_sel:[0,1]
	flat_load_dwordx2 v[2:3], v[2:3]
	s_add_i32 s81, s33, s54
	v_cmp_gt_u32_e64 s[6:7], s81, v0
	s_waitcnt vmcnt(0) lgkmcnt(0)
	v_pk_mov_b32 v[4:5], v[2:3], v[2:3] op_sel:[0,1]
	s_and_saveexec_b64 s[4:5], s[6:7]
	s_cbranch_execz .LBB95_7
; %bb.6:
	v_lshlrev_b32_e32 v1, 3, v0
	v_mov_b32_e32 v5, s61
	v_add_co_u32_e32 v4, vcc, s60, v1
	v_addc_co_u32_e32 v5, vcc, 0, v5, vcc
	flat_load_dwordx2 v[4:5], v[4:5]
.LBB95_7:
	s_or_b64 exec, exec, s[4:5]
	v_or_b32_e32 v1, 64, v0
	v_cmp_gt_u32_e64 s[8:9], s81, v1
	v_pk_mov_b32 v[6:7], v[2:3], v[2:3] op_sel:[0,1]
	s_and_saveexec_b64 s[4:5], s[8:9]
	s_cbranch_execz .LBB95_9
; %bb.8:
	v_lshlrev_b32_e32 v1, 3, v0
	v_mov_b32_e32 v7, s61
	v_add_co_u32_e32 v6, vcc, s60, v1
	v_addc_co_u32_e32 v7, vcc, 0, v7, vcc
	flat_load_dwordx2 v[6:7], v[6:7] offset:512
.LBB95_9:
	s_or_b64 exec, exec, s[4:5]
	v_or_b32_e32 v1, 0x80, v0
	v_cmp_gt_u32_e64 s[10:11], s81, v1
	v_pk_mov_b32 v[8:9], v[2:3], v[2:3] op_sel:[0,1]
	s_and_saveexec_b64 s[4:5], s[10:11]
	s_cbranch_execz .LBB95_11
; %bb.10:
	v_lshlrev_b32_e32 v1, 3, v0
	v_mov_b32_e32 v9, s61
	v_add_co_u32_e32 v8, vcc, s60, v1
	v_addc_co_u32_e32 v9, vcc, 0, v9, vcc
	flat_load_dwordx2 v[8:9], v[8:9] offset:1024
.LBB95_11:
	;; [unrolled: 13-line block ×7, first 2 shown]
	s_or_b64 exec, exec, s[4:5]
	v_or_b32_e32 v1, 0x200, v0
	v_cmp_gt_u32_e64 s[22:23], s81, v1
	v_pk_mov_b32 v[20:21], v[2:3], v[2:3] op_sel:[0,1]
	s_and_saveexec_b64 s[4:5], s[22:23]
	s_cbranch_execz .LBB95_23
; %bb.22:
	v_lshlrev_b32_e32 v20, 3, v1
	v_mov_b32_e32 v21, s61
	v_add_co_u32_e32 v20, vcc, s60, v20
	v_addc_co_u32_e32 v21, vcc, 0, v21, vcc
	flat_load_dwordx2 v[20:21], v[20:21]
.LBB95_23:
	s_or_b64 exec, exec, s[4:5]
	v_or_b32_e32 v40, 0x240, v0
	v_cmp_gt_u32_e64 s[24:25], s81, v40
	v_pk_mov_b32 v[22:23], v[2:3], v[2:3] op_sel:[0,1]
	s_and_saveexec_b64 s[4:5], s[24:25]
	s_cbranch_execz .LBB95_25
; %bb.24:
	v_lshlrev_b32_e32 v22, 3, v40
	v_mov_b32_e32 v23, s61
	v_add_co_u32_e32 v22, vcc, s60, v22
	v_addc_co_u32_e32 v23, vcc, 0, v23, vcc
	flat_load_dwordx2 v[22:23], v[22:23]
.LBB95_25:
	;; [unrolled: 13-line block ×10, first 2 shown]
	s_or_b64 exec, exec, s[4:5]
	v_or_b32_e32 v51, 0x480, v0
	v_cmp_gt_u32_e64 s[44:45], s81, v51
	s_and_saveexec_b64 s[4:5], s[44:45]
	s_cbranch_execz .LBB95_43
; %bb.42:
	v_lshlrev_b32_e32 v2, 3, v51
	v_mov_b32_e32 v3, s61
	v_add_co_u32_e32 v2, vcc, s60, v2
	v_addc_co_u32_e32 v3, vcc, 0, v3, vcc
	flat_load_dwordx2 v[2:3], v[2:3]
.LBB95_43:
	s_or_b64 exec, exec, s[4:5]
	v_lshlrev_b32_e32 v50, 3, v0
	s_movk_i32 s4, 0x90
	v_mad_u32_u24 v48, v0, s4, v50
	s_waitcnt vmcnt(0) lgkmcnt(0)
	ds_write2st64_b64 v50, v[4:5], v[6:7] offset1:1
	ds_write2st64_b64 v50, v[8:9], v[10:11] offset0:2 offset1:3
	ds_write2st64_b64 v50, v[12:13], v[14:15] offset0:4 offset1:5
	;; [unrolled: 1-line block ×8, first 2 shown]
	ds_write_b64 v50, v[2:3] offset:9216
	s_waitcnt lgkmcnt(0)
	; wave barrier
	s_waitcnt lgkmcnt(0)
	ds_read2_b64 v[106:109], v48 offset1:1
	ds_read2_b64 v[102:105], v48 offset0:2 offset1:3
	ds_read2_b64 v[98:101], v48 offset0:4 offset1:5
	;; [unrolled: 1-line block ×8, first 2 shown]
	ds_read_b64 v[4:5], v48 offset:144
	s_cmp_eq_u64 s[74:75], 0
	s_mov_b64 s[4:5], s[60:61]
	s_cbranch_scc1 .LBB95_47
; %bb.44:
	s_andn2_b64 vcc, exec, s[68:69]
	s_cbranch_vccnz .LBB95_263
; %bb.45:
	s_lshl_b64 s[4:5], s[74:75], 3
	s_add_u32 s4, s70, s4
	s_addc_u32 s5, s71, s5
	s_add_u32 s4, s4, -8
	s_addc_u32 s5, s5, -1
	s_cbranch_execnz .LBB95_47
.LBB95_46:
	s_add_u32 s4, s60, -8
	s_addc_u32 s5, s61, -1
.LBB95_47:
	v_pk_mov_b32 v[2:3], s[4:5], s[4:5] op_sel:[0,1]
	flat_load_dwordx2 v[8:9], v[2:3]
	s_movk_i32 s4, 0xff70
	v_mad_i32_i24 v2, v0, s4, v48
	s_waitcnt lgkmcnt(0)
	ds_write_b64 v2, v[4:5] offset:9728
	s_waitcnt lgkmcnt(0)
	; wave barrier
	s_waitcnt lgkmcnt(0)
	s_and_saveexec_b64 s[4:5], s[46:47]
	s_cbranch_execz .LBB95_49
; %bb.48:
	v_mul_i32_i24_e32 v2, 0xffffff70, v0
	v_add_u32_e32 v2, v48, v2
	s_waitcnt vmcnt(0)
	ds_read_b64 v[8:9], v2 offset:9720
.LBB95_49:
	s_or_b64 exec, exec, s[4:5]
	s_waitcnt lgkmcnt(0)
	; wave barrier
	s_waitcnt lgkmcnt(0)
                                        ; implicit-def: $vgpr2_vgpr3
	s_and_saveexec_b64 s[4:5], s[6:7]
	s_cbranch_execnz .LBB95_245
; %bb.50:
	s_or_b64 exec, exec, s[4:5]
                                        ; implicit-def: $vgpr6_vgpr7
	s_and_saveexec_b64 s[4:5], s[8:9]
	s_cbranch_execnz .LBB95_246
.LBB95_51:
	s_or_b64 exec, exec, s[4:5]
                                        ; implicit-def: $vgpr10_vgpr11
	s_and_saveexec_b64 s[4:5], s[10:11]
	s_cbranch_execnz .LBB95_247
.LBB95_52:
	s_or_b64 exec, exec, s[4:5]
                                        ; implicit-def: $vgpr12_vgpr13
	s_and_saveexec_b64 s[4:5], s[12:13]
	s_cbranch_execnz .LBB95_248
.LBB95_53:
	s_or_b64 exec, exec, s[4:5]
                                        ; implicit-def: $vgpr14_vgpr15
	s_and_saveexec_b64 s[4:5], s[14:15]
	s_cbranch_execnz .LBB95_249
.LBB95_54:
	s_or_b64 exec, exec, s[4:5]
                                        ; implicit-def: $vgpr16_vgpr17
	s_and_saveexec_b64 s[4:5], s[16:17]
	s_cbranch_execnz .LBB95_250
.LBB95_55:
	s_or_b64 exec, exec, s[4:5]
                                        ; implicit-def: $vgpr18_vgpr19
	s_and_saveexec_b64 s[4:5], s[18:19]
	s_cbranch_execnz .LBB95_251
.LBB95_56:
	s_or_b64 exec, exec, s[4:5]
                                        ; implicit-def: $vgpr20_vgpr21
	s_and_saveexec_b64 s[4:5], s[20:21]
	s_cbranch_execnz .LBB95_252
.LBB95_57:
	s_or_b64 exec, exec, s[4:5]
                                        ; implicit-def: $vgpr22_vgpr23
	s_and_saveexec_b64 s[4:5], s[22:23]
	s_cbranch_execnz .LBB95_253
.LBB95_58:
	s_or_b64 exec, exec, s[4:5]
                                        ; implicit-def: $vgpr24_vgpr25
	s_and_saveexec_b64 s[4:5], s[24:25]
	s_cbranch_execnz .LBB95_254
.LBB95_59:
	s_or_b64 exec, exec, s[4:5]
                                        ; implicit-def: $vgpr26_vgpr27
	s_and_saveexec_b64 s[4:5], s[26:27]
	s_cbranch_execnz .LBB95_255
.LBB95_60:
	s_or_b64 exec, exec, s[4:5]
                                        ; implicit-def: $vgpr28_vgpr29
	s_and_saveexec_b64 s[4:5], s[28:29]
	s_cbranch_execnz .LBB95_256
.LBB95_61:
	s_or_b64 exec, exec, s[4:5]
                                        ; implicit-def: $vgpr30_vgpr31
	s_and_saveexec_b64 s[4:5], s[30:31]
	s_cbranch_execnz .LBB95_257
.LBB95_62:
	s_or_b64 exec, exec, s[4:5]
                                        ; implicit-def: $vgpr32_vgpr33
	s_and_saveexec_b64 s[4:5], s[34:35]
	s_cbranch_execnz .LBB95_258
.LBB95_63:
	s_or_b64 exec, exec, s[4:5]
                                        ; implicit-def: $vgpr34_vgpr35
	s_and_saveexec_b64 s[4:5], s[36:37]
	s_cbranch_execnz .LBB95_259
.LBB95_64:
	s_or_b64 exec, exec, s[4:5]
                                        ; implicit-def: $vgpr36_vgpr37
	s_and_saveexec_b64 s[4:5], s[38:39]
	s_cbranch_execnz .LBB95_260
.LBB95_65:
	s_or_b64 exec, exec, s[4:5]
                                        ; implicit-def: $vgpr38_vgpr39
	s_and_saveexec_b64 s[4:5], s[40:41]
	s_cbranch_execnz .LBB95_261
.LBB95_66:
	s_or_b64 exec, exec, s[4:5]
                                        ; implicit-def: $vgpr40_vgpr41
	s_and_saveexec_b64 s[4:5], s[42:43]
	s_cbranch_execnz .LBB95_262
.LBB95_67:
	s_or_b64 exec, exec, s[4:5]
                                        ; implicit-def: $vgpr42_vgpr43
	s_and_saveexec_b64 s[4:5], s[44:45]
	s_cbranch_execz .LBB95_69
.LBB95_68:
	v_lshlrev_b32_e32 v1, 3, v51
	v_mov_b32_e32 v43, s79
	v_add_co_u32_e32 v42, vcc, s78, v1
	v_addc_co_u32_e32 v43, vcc, 0, v43, vcc
	flat_load_dwordx2 v[42:43], v[42:43]
.LBB95_69:
	s_or_b64 exec, exec, s[4:5]
	v_mul_u32_u24_e32 v49, 19, v0
	s_waitcnt vmcnt(0) lgkmcnt(0)
	ds_write2st64_b64 v50, v[2:3], v[6:7] offset1:1
	ds_write2st64_b64 v50, v[10:11], v[12:13] offset0:2 offset1:3
	ds_write2st64_b64 v50, v[14:15], v[16:17] offset0:4 offset1:5
	;; [unrolled: 1-line block ×8, first 2 shown]
	ds_write_b64 v50, v[42:43] offset:9216
	v_pk_mov_b32 v[6:7], 0, 0
	v_cmp_gt_u32_e32 vcc, s81, v49
	s_mov_b64 s[10:11], 0
	s_mov_b64 s[6:7], 0
	s_mov_b32 s80, 0
	v_mov_b32_e32 v110, 0
	v_mov_b32_e32 v126, 0
	v_pk_mov_b32 v[62:63], v[6:7], v[6:7] op_sel:[0,1]
	v_mov_b32_e32 v125, 0
	v_pk_mov_b32 v[70:71], v[6:7], v[6:7] op_sel:[0,1]
	v_mov_b32_e32 v124, 0
	v_pk_mov_b32 v[54:55], v[6:7], v[6:7] op_sel:[0,1]
	v_mov_b32_e32 v123, 0
	v_pk_mov_b32 v[66:67], v[6:7], v[6:7] op_sel:[0,1]
	v_mov_b32_e32 v122, 0
	v_pk_mov_b32 v[46:47], v[6:7], v[6:7] op_sel:[0,1]
	v_mov_b32_e32 v121, 0
	v_pk_mov_b32 v[58:59], v[6:7], v[6:7] op_sel:[0,1]
	v_mov_b32_e32 v120, 0
	v_pk_mov_b32 v[38:39], v[6:7], v[6:7] op_sel:[0,1]
	v_mov_b32_e32 v119, 0
	v_pk_mov_b32 v[50:51], v[6:7], v[6:7] op_sel:[0,1]
	v_mov_b32_e32 v118, 0
	v_pk_mov_b32 v[30:31], v[6:7], v[6:7] op_sel:[0,1]
	v_mov_b32_e32 v117, 0
	v_pk_mov_b32 v[42:43], v[6:7], v[6:7] op_sel:[0,1]
	v_mov_b32_e32 v116, 0
	v_pk_mov_b32 v[26:27], v[6:7], v[6:7] op_sel:[0,1]
	v_mov_b32_e32 v115, 0
	v_pk_mov_b32 v[34:35], v[6:7], v[6:7] op_sel:[0,1]
	v_mov_b32_e32 v114, 0
	v_pk_mov_b32 v[18:19], v[6:7], v[6:7] op_sel:[0,1]
	v_mov_b32_e32 v113, 0
	v_pk_mov_b32 v[22:23], v[6:7], v[6:7] op_sel:[0,1]
	v_mov_b32_e32 v111, 0
	v_pk_mov_b32 v[10:11], v[6:7], v[6:7] op_sel:[0,1]
	v_mov_b32_e32 v112, 0
	v_pk_mov_b32 v[14:15], v[6:7], v[6:7] op_sel:[0,1]
	v_mov_b32_e32 v1, 0
	v_pk_mov_b32 v[2:3], v[6:7], v[6:7] op_sel:[0,1]
	s_waitcnt lgkmcnt(0)
	; wave barrier
	s_waitcnt lgkmcnt(0)
                                        ; implicit-def: $sgpr4_sgpr5
	s_and_saveexec_b64 s[8:9], vcc
	s_cbranch_execz .LBB95_105
; %bb.70:
	ds_read_b64 v[2:3], v48
	v_cmp_ne_u64_e32 vcc, v[8:9], v[106:107]
	v_add_u32_e32 v6, 1, v49
	v_cndmask_b32_e64 v1, 0, 1, vcc
	v_cmp_gt_u32_e32 vcc, s81, v6
	v_pk_mov_b32 v[6:7], 0, 0
	s_mov_b64 s[12:13], 0
	s_mov_b64 s[4:5], 0
	v_mov_b32_e32 v110, 0
	v_mov_b32_e32 v126, 0
	v_pk_mov_b32 v[62:63], v[6:7], v[6:7] op_sel:[0,1]
	v_mov_b32_e32 v125, 0
	v_pk_mov_b32 v[70:71], v[6:7], v[6:7] op_sel:[0,1]
	;; [unrolled: 2-line block ×16, first 2 shown]
                                        ; implicit-def: $sgpr14_sgpr15
	s_and_saveexec_b64 s[10:11], vcc
	s_cbranch_execz .LBB95_104
; %bb.71:
	ds_read2_b64 v[14:17], v48 offset0:1 offset1:2
	v_cmp_ne_u64_e32 vcc, v[106:107], v[108:109]
	v_add_u32_e32 v6, 2, v49
	v_cndmask_b32_e64 v112, 0, 1, vcc
	v_cmp_gt_u32_e32 vcc, s81, v6
	v_pk_mov_b32 v[6:7], 0, 0
	s_mov_b64 s[16:17], 0
	v_mov_b32_e32 v110, 0
	v_mov_b32_e32 v126, 0
	v_pk_mov_b32 v[62:63], v[6:7], v[6:7] op_sel:[0,1]
	v_mov_b32_e32 v125, 0
	v_pk_mov_b32 v[70:71], v[6:7], v[6:7] op_sel:[0,1]
	;; [unrolled: 2-line block ×15, first 2 shown]
                                        ; implicit-def: $sgpr14_sgpr15
	s_and_saveexec_b64 s[12:13], vcc
	s_cbranch_execz .LBB95_103
; %bb.72:
	v_cmp_ne_u64_e32 vcc, v[108:109], v[102:103]
	v_add_u32_e32 v6, 3, v49
	v_cndmask_b32_e64 v111, 0, 1, vcc
	v_cmp_gt_u32_e32 vcc, s81, v6
	v_pk_mov_b32 v[6:7], 0, 0
	s_waitcnt lgkmcnt(0)
	v_mov_b32_e32 v10, v16
	v_mov_b32_e32 v11, v17
	;; [unrolled: 1-line block ×4, first 2 shown]
	v_pk_mov_b32 v[62:63], v[6:7], v[6:7] op_sel:[0,1]
	v_mov_b32_e32 v125, 0
	v_pk_mov_b32 v[70:71], v[6:7], v[6:7] op_sel:[0,1]
	v_mov_b32_e32 v124, 0
	v_pk_mov_b32 v[54:55], v[6:7], v[6:7] op_sel:[0,1]
	v_mov_b32_e32 v123, 0
	v_pk_mov_b32 v[66:67], v[6:7], v[6:7] op_sel:[0,1]
	v_mov_b32_e32 v122, 0
	v_pk_mov_b32 v[46:47], v[6:7], v[6:7] op_sel:[0,1]
	v_mov_b32_e32 v121, 0
	v_pk_mov_b32 v[58:59], v[6:7], v[6:7] op_sel:[0,1]
	v_mov_b32_e32 v120, 0
	v_pk_mov_b32 v[38:39], v[6:7], v[6:7] op_sel:[0,1]
	v_mov_b32_e32 v119, 0
	v_pk_mov_b32 v[50:51], v[6:7], v[6:7] op_sel:[0,1]
	v_mov_b32_e32 v118, 0
	v_pk_mov_b32 v[30:31], v[6:7], v[6:7] op_sel:[0,1]
	v_mov_b32_e32 v117, 0
	v_pk_mov_b32 v[42:43], v[6:7], v[6:7] op_sel:[0,1]
	v_mov_b32_e32 v116, 0
	v_pk_mov_b32 v[26:27], v[6:7], v[6:7] op_sel:[0,1]
	v_mov_b32_e32 v115, 0
	v_pk_mov_b32 v[34:35], v[6:7], v[6:7] op_sel:[0,1]
	v_mov_b32_e32 v114, 0
	v_pk_mov_b32 v[18:19], v[6:7], v[6:7] op_sel:[0,1]
	v_mov_b32_e32 v113, 0
	v_pk_mov_b32 v[22:23], v[6:7], v[6:7] op_sel:[0,1]
                                        ; implicit-def: $sgpr18_sgpr19
	s_and_saveexec_b64 s[14:15], vcc
	s_cbranch_execz .LBB95_102
; %bb.73:
	ds_read2_b64 v[22:25], v48 offset0:3 offset1:4
	v_cmp_ne_u64_e32 vcc, v[102:103], v[104:105]
	v_add_u32_e32 v6, 4, v49
	v_cndmask_b32_e64 v113, 0, 1, vcc
	v_cmp_gt_u32_e32 vcc, s81, v6
	v_pk_mov_b32 v[6:7], 0, 0
	s_mov_b64 s[20:21], 0
	v_mov_b32_e32 v110, 0
	v_mov_b32_e32 v126, 0
	v_pk_mov_b32 v[62:63], v[6:7], v[6:7] op_sel:[0,1]
	v_mov_b32_e32 v125, 0
	v_pk_mov_b32 v[70:71], v[6:7], v[6:7] op_sel:[0,1]
	;; [unrolled: 2-line block ×13, first 2 shown]
                                        ; implicit-def: $sgpr18_sgpr19
	s_and_saveexec_b64 s[16:17], vcc
	s_cbranch_execz .LBB95_101
; %bb.74:
	v_cmp_ne_u64_e32 vcc, v[104:105], v[98:99]
	v_add_u32_e32 v6, 5, v49
	v_cndmask_b32_e64 v114, 0, 1, vcc
	v_cmp_gt_u32_e32 vcc, s81, v6
	v_pk_mov_b32 v[6:7], 0, 0
	s_waitcnt lgkmcnt(0)
	v_mov_b32_e32 v18, v24
	v_mov_b32_e32 v19, v25
	;; [unrolled: 1-line block ×4, first 2 shown]
	v_pk_mov_b32 v[62:63], v[6:7], v[6:7] op_sel:[0,1]
	v_mov_b32_e32 v125, 0
	v_pk_mov_b32 v[70:71], v[6:7], v[6:7] op_sel:[0,1]
	v_mov_b32_e32 v124, 0
	;; [unrolled: 2-line block ×11, first 2 shown]
	v_pk_mov_b32 v[34:35], v[6:7], v[6:7] op_sel:[0,1]
                                        ; implicit-def: $sgpr22_sgpr23
	s_and_saveexec_b64 s[18:19], vcc
	s_cbranch_execz .LBB95_100
; %bb.75:
	ds_read2_b64 v[34:37], v48 offset0:5 offset1:6
	v_cmp_ne_u64_e32 vcc, v[98:99], v[100:101]
	v_add_u32_e32 v6, 6, v49
	v_cndmask_b32_e64 v115, 0, 1, vcc
	v_cmp_gt_u32_e32 vcc, s81, v6
	v_pk_mov_b32 v[6:7], 0, 0
	s_mov_b64 s[24:25], 0
	v_mov_b32_e32 v110, 0
	v_mov_b32_e32 v126, 0
	v_pk_mov_b32 v[62:63], v[6:7], v[6:7] op_sel:[0,1]
	v_mov_b32_e32 v125, 0
	v_pk_mov_b32 v[70:71], v[6:7], v[6:7] op_sel:[0,1]
	;; [unrolled: 2-line block ×11, first 2 shown]
                                        ; implicit-def: $sgpr22_sgpr23
	s_and_saveexec_b64 s[20:21], vcc
	s_cbranch_execz .LBB95_99
; %bb.76:
	v_cmp_ne_u64_e32 vcc, v[100:101], v[94:95]
	v_add_u32_e32 v6, 7, v49
	v_cndmask_b32_e64 v116, 0, 1, vcc
	v_cmp_gt_u32_e32 vcc, s81, v6
	v_pk_mov_b32 v[6:7], 0, 0
	s_waitcnt lgkmcnt(0)
	v_mov_b32_e32 v26, v36
	v_mov_b32_e32 v27, v37
	;; [unrolled: 1-line block ×4, first 2 shown]
	v_pk_mov_b32 v[62:63], v[6:7], v[6:7] op_sel:[0,1]
	v_mov_b32_e32 v125, 0
	v_pk_mov_b32 v[70:71], v[6:7], v[6:7] op_sel:[0,1]
	v_mov_b32_e32 v124, 0
	;; [unrolled: 2-line block ×9, first 2 shown]
	v_pk_mov_b32 v[42:43], v[6:7], v[6:7] op_sel:[0,1]
                                        ; implicit-def: $sgpr26_sgpr27
	s_and_saveexec_b64 s[22:23], vcc
	s_cbranch_execz .LBB95_98
; %bb.77:
	ds_read2_b64 v[42:45], v48 offset0:7 offset1:8
	v_cmp_ne_u64_e32 vcc, v[94:95], v[96:97]
	v_add_u32_e32 v6, 8, v49
	v_cndmask_b32_e64 v117, 0, 1, vcc
	v_cmp_gt_u32_e32 vcc, s81, v6
	v_pk_mov_b32 v[6:7], 0, 0
	s_mov_b64 s[28:29], 0
	v_mov_b32_e32 v110, 0
	v_mov_b32_e32 v126, 0
	v_pk_mov_b32 v[62:63], v[6:7], v[6:7] op_sel:[0,1]
	v_mov_b32_e32 v125, 0
	v_pk_mov_b32 v[70:71], v[6:7], v[6:7] op_sel:[0,1]
	v_mov_b32_e32 v124, 0
	v_pk_mov_b32 v[54:55], v[6:7], v[6:7] op_sel:[0,1]
	v_mov_b32_e32 v123, 0
	v_pk_mov_b32 v[66:67], v[6:7], v[6:7] op_sel:[0,1]
	v_mov_b32_e32 v122, 0
	v_pk_mov_b32 v[46:47], v[6:7], v[6:7] op_sel:[0,1]
	v_mov_b32_e32 v121, 0
	v_pk_mov_b32 v[58:59], v[6:7], v[6:7] op_sel:[0,1]
	v_mov_b32_e32 v120, 0
	v_pk_mov_b32 v[38:39], v[6:7], v[6:7] op_sel:[0,1]
	v_mov_b32_e32 v119, 0
	v_pk_mov_b32 v[50:51], v[6:7], v[6:7] op_sel:[0,1]
	v_mov_b32_e32 v118, 0
	v_pk_mov_b32 v[30:31], v[6:7], v[6:7] op_sel:[0,1]
                                        ; implicit-def: $sgpr26_sgpr27
	s_and_saveexec_b64 s[24:25], vcc
	s_cbranch_execz .LBB95_97
; %bb.78:
	v_cmp_ne_u64_e32 vcc, v[96:97], v[90:91]
	v_add_u32_e32 v6, 9, v49
	v_cndmask_b32_e64 v118, 0, 1, vcc
	v_cmp_gt_u32_e32 vcc, s81, v6
	v_pk_mov_b32 v[6:7], 0, 0
	s_waitcnt lgkmcnt(0)
	v_mov_b32_e32 v30, v44
	v_mov_b32_e32 v31, v45
	;; [unrolled: 1-line block ×4, first 2 shown]
	v_pk_mov_b32 v[62:63], v[6:7], v[6:7] op_sel:[0,1]
	v_mov_b32_e32 v125, 0
	v_pk_mov_b32 v[70:71], v[6:7], v[6:7] op_sel:[0,1]
	v_mov_b32_e32 v124, 0
	;; [unrolled: 2-line block ×7, first 2 shown]
	v_pk_mov_b32 v[50:51], v[6:7], v[6:7] op_sel:[0,1]
                                        ; implicit-def: $sgpr30_sgpr31
	s_and_saveexec_b64 s[26:27], vcc
	s_cbranch_execz .LBB95_96
; %bb.79:
	ds_read2_b64 v[50:53], v48 offset0:9 offset1:10
	v_cmp_ne_u64_e32 vcc, v[90:91], v[92:93]
	v_add_u32_e32 v6, 10, v49
	v_cndmask_b32_e64 v119, 0, 1, vcc
	v_cmp_gt_u32_e32 vcc, s81, v6
	v_pk_mov_b32 v[6:7], 0, 0
	s_mov_b64 s[34:35], 0
	v_mov_b32_e32 v110, 0
	v_mov_b32_e32 v126, 0
	v_pk_mov_b32 v[62:63], v[6:7], v[6:7] op_sel:[0,1]
	v_mov_b32_e32 v125, 0
	v_pk_mov_b32 v[70:71], v[6:7], v[6:7] op_sel:[0,1]
	;; [unrolled: 2-line block ×7, first 2 shown]
                                        ; implicit-def: $sgpr30_sgpr31
	s_and_saveexec_b64 s[28:29], vcc
	s_cbranch_execz .LBB95_95
; %bb.80:
	v_cmp_ne_u64_e32 vcc, v[92:93], v[86:87]
	v_add_u32_e32 v6, 11, v49
	v_cndmask_b32_e64 v120, 0, 1, vcc
	v_cmp_gt_u32_e32 vcc, s81, v6
	v_pk_mov_b32 v[6:7], 0, 0
	s_waitcnt lgkmcnt(0)
	v_mov_b32_e32 v38, v52
	v_mov_b32_e32 v39, v53
	v_mov_b32_e32 v110, 0
	v_mov_b32_e32 v126, 0
	v_pk_mov_b32 v[62:63], v[6:7], v[6:7] op_sel:[0,1]
	v_mov_b32_e32 v125, 0
	v_pk_mov_b32 v[70:71], v[6:7], v[6:7] op_sel:[0,1]
	v_mov_b32_e32 v124, 0
	;; [unrolled: 2-line block ×5, first 2 shown]
	v_pk_mov_b32 v[58:59], v[6:7], v[6:7] op_sel:[0,1]
                                        ; implicit-def: $sgpr36_sgpr37
	s_and_saveexec_b64 s[30:31], vcc
	s_cbranch_execz .LBB95_94
; %bb.81:
	ds_read2_b64 v[58:61], v48 offset0:11 offset1:12
	v_cmp_ne_u64_e32 vcc, v[86:87], v[88:89]
	v_add_u32_e32 v6, 12, v49
	v_cndmask_b32_e64 v121, 0, 1, vcc
	v_cmp_gt_u32_e32 vcc, s81, v6
	v_pk_mov_b32 v[6:7], 0, 0
	s_mov_b64 s[38:39], 0
	v_mov_b32_e32 v110, 0
	v_mov_b32_e32 v126, 0
	v_pk_mov_b32 v[62:63], v[6:7], v[6:7] op_sel:[0,1]
	v_mov_b32_e32 v125, 0
	v_pk_mov_b32 v[70:71], v[6:7], v[6:7] op_sel:[0,1]
	;; [unrolled: 2-line block ×5, first 2 shown]
                                        ; implicit-def: $sgpr36_sgpr37
	s_and_saveexec_b64 s[34:35], vcc
	s_cbranch_execz .LBB95_93
; %bb.82:
	v_cmp_ne_u64_e32 vcc, v[88:89], v[82:83]
	v_add_u32_e32 v6, 13, v49
	v_cndmask_b32_e64 v122, 0, 1, vcc
	v_cmp_gt_u32_e32 vcc, s81, v6
	v_pk_mov_b32 v[6:7], 0, 0
	s_waitcnt lgkmcnt(0)
	v_mov_b32_e32 v46, v60
	v_mov_b32_e32 v47, v61
	v_mov_b32_e32 v110, 0
	v_mov_b32_e32 v126, 0
	v_pk_mov_b32 v[62:63], v[6:7], v[6:7] op_sel:[0,1]
	v_mov_b32_e32 v125, 0
	v_pk_mov_b32 v[70:71], v[6:7], v[6:7] op_sel:[0,1]
	v_mov_b32_e32 v124, 0
	;; [unrolled: 2-line block ×3, first 2 shown]
	v_pk_mov_b32 v[66:67], v[6:7], v[6:7] op_sel:[0,1]
                                        ; implicit-def: $sgpr40_sgpr41
	s_and_saveexec_b64 s[36:37], vcc
	s_cbranch_execz .LBB95_92
; %bb.83:
	ds_read2_b64 v[66:69], v48 offset0:13 offset1:14
	v_cmp_ne_u64_e32 vcc, v[82:83], v[84:85]
	v_add_u32_e32 v6, 14, v49
	v_cndmask_b32_e64 v123, 0, 1, vcc
	v_cmp_gt_u32_e32 vcc, s81, v6
	v_pk_mov_b32 v[6:7], 0, 0
	s_mov_b64 s[42:43], 0
	v_mov_b32_e32 v110, 0
	v_mov_b32_e32 v126, 0
	v_pk_mov_b32 v[62:63], v[6:7], v[6:7] op_sel:[0,1]
	v_mov_b32_e32 v125, 0
	v_pk_mov_b32 v[70:71], v[6:7], v[6:7] op_sel:[0,1]
	;; [unrolled: 2-line block ×3, first 2 shown]
                                        ; implicit-def: $sgpr40_sgpr41
	s_and_saveexec_b64 s[38:39], vcc
	s_cbranch_execz .LBB95_91
; %bb.84:
	v_cmp_ne_u64_e32 vcc, v[84:85], v[78:79]
	v_add_u32_e32 v6, 15, v49
	v_cndmask_b32_e64 v124, 0, 1, vcc
	v_cmp_gt_u32_e32 vcc, s81, v6
	v_pk_mov_b32 v[6:7], 0, 0
	s_waitcnt lgkmcnt(0)
	v_mov_b32_e32 v54, v68
	v_mov_b32_e32 v55, v69
	;; [unrolled: 1-line block ×4, first 2 shown]
	v_pk_mov_b32 v[62:63], v[6:7], v[6:7] op_sel:[0,1]
	v_mov_b32_e32 v125, 0
	v_pk_mov_b32 v[70:71], v[6:7], v[6:7] op_sel:[0,1]
                                        ; implicit-def: $sgpr44_sgpr45
	s_and_saveexec_b64 s[40:41], vcc
	s_cbranch_execz .LBB95_90
; %bb.85:
	ds_read2_b64 v[70:73], v48 offset0:15 offset1:16
	v_cmp_ne_u64_e32 vcc, v[78:79], v[80:81]
	v_add_u32_e32 v6, 16, v49
	v_cndmask_b32_e64 v125, 0, 1, vcc
	v_cmp_gt_u32_e32 vcc, s81, v6
	v_pk_mov_b32 v[6:7], 0, 0
	s_mov_b64 s[44:45], 0
	v_mov_b32_e32 v110, 0
	v_mov_b32_e32 v126, 0
	v_pk_mov_b32 v[62:63], v[6:7], v[6:7] op_sel:[0,1]
                                        ; implicit-def: $sgpr64_sgpr65
	s_and_saveexec_b64 s[42:43], vcc
	s_cbranch_execz .LBB95_89
; %bb.86:
	v_cmp_ne_u64_e32 vcc, v[80:81], v[74:75]
	v_add_u32_e32 v6, 17, v49
	s_waitcnt lgkmcnt(0)
	v_mov_b32_e32 v62, v72
	v_mov_b32_e32 v63, v73
	v_cndmask_b32_e64 v126, 0, 1, vcc
	v_cmp_gt_u32_e32 vcc, s81, v6
	v_mov_b32_e32 v110, 0
	v_pk_mov_b32 v[6:7], 0, 0
                                        ; implicit-def: $sgpr64_sgpr65
	s_and_saveexec_b64 s[4:5], vcc
	s_xor_b64 s[76:77], exec, s[4:5]
	s_cbranch_execz .LBB95_88
; %bb.87:
	ds_read2_b64 v[6:9], v48 offset0:17 offset1:18
	v_cmp_ne_u64_e32 vcc, v[76:77], v[4:5]
	v_cmp_ne_u64_e64 s[4:5], v[74:75], v[76:77]
	v_add_u32_e32 v4, 18, v49
	v_cndmask_b32_e64 v110, 0, 1, s[4:5]
	v_cmp_gt_u32_e64 s[4:5], s81, v4
	s_and_b64 s[64:65], vcc, exec
	s_and_b64 s[44:45], s[4:5], exec
	s_waitcnt lgkmcnt(0)
	v_pk_mov_b32 v[64:65], v[6:7], v[6:7] op_sel:[0,1]
.LBB95_88:
	s_or_b64 exec, exec, s[76:77]
	s_and_b64 s[64:65], s[64:65], exec
	s_and_b64 s[4:5], s[44:45], exec
.LBB95_89:
	s_or_b64 exec, exec, s[42:43]
	s_and_b64 s[44:45], s[64:65], exec
	s_and_b64 s[42:43], s[4:5], exec
	s_waitcnt lgkmcnt(0)
	v_pk_mov_b32 v[56:57], v[70:71], v[70:71] op_sel:[0,1]
	v_pk_mov_b32 v[48:49], v[66:67], v[66:67] op_sel:[0,1]
	;; [unrolled: 1-line block ×8, first 2 shown]
.LBB95_90:
	s_or_b64 exec, exec, s[40:41]
	s_and_b64 s[40:41], s[44:45], exec
	s_and_b64 s[4:5], s[42:43], exec
.LBB95_91:
	s_or_b64 exec, exec, s[38:39]
	s_and_b64 s[40:41], s[40:41], exec
	s_and_b64 s[38:39], s[4:5], exec
.LBB95_92:
	s_or_b64 exec, exec, s[36:37]
	s_and_b64 s[36:37], s[40:41], exec
	s_and_b64 s[4:5], s[38:39], exec
.LBB95_93:
	s_or_b64 exec, exec, s[34:35]
	s_and_b64 s[36:37], s[36:37], exec
	s_and_b64 s[34:35], s[4:5], exec
.LBB95_94:
	s_or_b64 exec, exec, s[30:31]
	s_and_b64 s[30:31], s[36:37], exec
	s_and_b64 s[4:5], s[34:35], exec
.LBB95_95:
	s_or_b64 exec, exec, s[28:29]
	s_and_b64 s[30:31], s[30:31], exec
	s_and_b64 s[28:29], s[4:5], exec
.LBB95_96:
	s_or_b64 exec, exec, s[26:27]
	s_and_b64 s[26:27], s[30:31], exec
	s_and_b64 s[4:5], s[28:29], exec
.LBB95_97:
	s_or_b64 exec, exec, s[24:25]
	s_and_b64 s[26:27], s[26:27], exec
	s_and_b64 s[24:25], s[4:5], exec
.LBB95_98:
	s_or_b64 exec, exec, s[22:23]
	s_and_b64 s[22:23], s[26:27], exec
	s_and_b64 s[4:5], s[24:25], exec
.LBB95_99:
	s_or_b64 exec, exec, s[20:21]
	s_and_b64 s[22:23], s[22:23], exec
	s_and_b64 s[20:21], s[4:5], exec
.LBB95_100:
	s_or_b64 exec, exec, s[18:19]
	s_and_b64 s[18:19], s[22:23], exec
	s_and_b64 s[4:5], s[20:21], exec
.LBB95_101:
	s_or_b64 exec, exec, s[16:17]
	s_and_b64 s[18:19], s[18:19], exec
	s_and_b64 s[16:17], s[4:5], exec
.LBB95_102:
	s_or_b64 exec, exec, s[14:15]
	s_and_b64 s[14:15], s[18:19], exec
	s_and_b64 s[4:5], s[16:17], exec
.LBB95_103:
	s_or_b64 exec, exec, s[12:13]
	s_and_b64 s[14:15], s[14:15], exec
	s_and_b64 s[12:13], s[4:5], exec
.LBB95_104:
	s_or_b64 exec, exec, s[10:11]
	s_and_b64 s[4:5], s[14:15], exec
	s_and_b64 s[10:11], s[12:13], exec
.LBB95_105:
	s_or_b64 exec, exec, s[8:9]
	s_mov_b64 s[8:9], 0
	s_and_b64 vcc, exec, s[6:7]
	v_lshlrev_b32_e32 v127, 3, v0
	s_cbranch_vccnz .LBB95_107
	s_branch .LBB95_115
.LBB95_106:
                                        ; implicit-def: $sgpr4_sgpr5
                                        ; implicit-def: $vgpr8_vgpr9
                                        ; implicit-def: $vgpr110
                                        ; implicit-def: $vgpr64_vgpr65
                                        ; implicit-def: $vgpr126
                                        ; implicit-def: $vgpr125
                                        ; implicit-def: $vgpr56_vgpr57
                                        ; implicit-def: $vgpr124
                                        ; implicit-def: $vgpr123
                                        ; implicit-def: $vgpr48_vgpr49
                                        ; implicit-def: $vgpr122
                                        ; implicit-def: $vgpr121
                                        ; implicit-def: $vgpr40_vgpr41
                                        ; implicit-def: $vgpr120
                                        ; implicit-def: $vgpr119
                                        ; implicit-def: $vgpr32_vgpr33
                                        ; implicit-def: $vgpr118
                                        ; implicit-def: $vgpr117
                                        ; implicit-def: $vgpr28_vgpr29
                                        ; implicit-def: $vgpr116
                                        ; implicit-def: $vgpr115
                                        ; implicit-def: $vgpr20_vgpr21
                                        ; implicit-def: $vgpr114
                                        ; implicit-def: $vgpr113
                                        ; implicit-def: $vgpr12_vgpr13
                                        ; implicit-def: $vgpr111
                                        ; implicit-def: $vgpr112
                                        ; implicit-def: $vgpr4_vgpr5
                                        ; implicit-def: $vgpr1
                                        ; implicit-def: $sgpr80
                                        ; implicit-def: $sgpr8_sgpr9
                                        ; implicit-def: $vgpr70_vgpr71
                                        ; implicit-def: $vgpr66_vgpr67
                                        ; implicit-def: $vgpr58_vgpr59
                                        ; implicit-def: $vgpr50_vgpr51
                                        ; implicit-def: $vgpr42_vgpr43
                                        ; implicit-def: $vgpr34_vgpr35
                                        ; implicit-def: $vgpr22_vgpr23
                                        ; implicit-def: $vgpr14_vgpr15
	s_and_b64 vcc, exec, s[6:7]
	v_lshlrev_b32_e32 v127, 3, v0
	s_cbranch_vccz .LBB95_115
.LBB95_107:
	v_mov_b32_e32 v1, s61
	s_waitcnt lgkmcnt(0)
	v_add_co_u32_e32 v2, vcc, s60, v127
	v_addc_co_u32_e32 v3, vcc, 0, v1, vcc
	v_add_co_u32_e32 v20, vcc, 0x1000, v2
	v_addc_co_u32_e32 v21, vcc, 0, v3, vcc
	flat_load_dwordx2 v[4:5], v[2:3]
	flat_load_dwordx2 v[6:7], v[2:3] offset:512
	flat_load_dwordx2 v[8:9], v[2:3] offset:1024
	;; [unrolled: 1-line block ×7, first 2 shown]
	v_add_co_u32_e32 v2, vcc, 0x2000, v2
	v_addc_co_u32_e32 v3, vcc, 0, v3, vcc
	flat_load_dwordx2 v[22:23], v[20:21]
	flat_load_dwordx2 v[24:25], v[20:21] offset:512
	flat_load_dwordx2 v[26:27], v[20:21] offset:1024
	;; [unrolled: 1-line block ×7, first 2 shown]
	s_nop 0
	flat_load_dwordx2 v[20:21], v[2:3]
	flat_load_dwordx2 v[38:39], v[2:3] offset:512
	flat_load_dwordx2 v[40:41], v[2:3] offset:1024
	s_movk_i32 s4, 0x90
	v_mad_u32_u24 v1, v0, s4, v127
	s_cmp_eq_u64 s[74:75], 0
	s_waitcnt vmcnt(0) lgkmcnt(0)
	ds_write2st64_b64 v127, v[4:5], v[6:7] offset1:1
	ds_write2st64_b64 v127, v[8:9], v[10:11] offset0:2 offset1:3
	ds_write2st64_b64 v127, v[12:13], v[14:15] offset0:4 offset1:5
	;; [unrolled: 1-line block ×8, first 2 shown]
	ds_write_b64 v127, v[40:41] offset:9216
	s_waitcnt lgkmcnt(0)
	; wave barrier
	s_waitcnt lgkmcnt(0)
	ds_read2_b64 v[14:17], v1 offset1:1
	ds_read2_b64 v[2:5], v1 offset0:2 offset1:3
	ds_read2_b64 v[6:9], v1 offset0:4 offset1:5
	;; [unrolled: 1-line block ×8, first 2 shown]
	ds_read_b64 v[38:39], v1 offset:144
	s_cbranch_scc1 .LBB95_112
; %bb.108:
	s_andn2_b64 vcc, exec, s[68:69]
	s_cbranch_vccnz .LBB95_264
; %bb.109:
	s_lshl_b64 s[4:5], s[74:75], 3
	s_add_u32 s4, s70, s4
	s_addc_u32 s5, s71, s5
	s_add_u32 s4, s4, -8
	s_addc_u32 s5, s5, -1
	s_cbranch_execnz .LBB95_111
.LBB95_110:
	s_add_u32 s4, s60, -8
	s_addc_u32 s5, s61, -1
.LBB95_111:
	s_mov_b64 s[60:61], s[4:5]
.LBB95_112:
	v_pk_mov_b32 v[40:41], s[60:61], s[60:61] op_sel:[0,1]
	flat_load_dwordx2 v[42:43], v[40:41]
	s_movk_i32 s4, 0xff70
	v_mad_i32_i24 v40, v0, s4, v1
	s_waitcnt lgkmcnt(0)
	ds_write_b64 v40, v[38:39] offset:9728
	s_waitcnt lgkmcnt(0)
	; wave barrier
	s_waitcnt lgkmcnt(0)
	s_and_saveexec_b64 s[4:5], s[46:47]
	s_cbranch_execz .LBB95_114
; %bb.113:
	v_mul_i32_i24_e32 v40, 0xffffff70, v0
	v_add_u32_e32 v40, v1, v40
	s_waitcnt vmcnt(0)
	ds_read_b64 v[42:43], v40 offset:9720
.LBB95_114:
	s_or_b64 exec, exec, s[4:5]
	v_mov_b32_e32 v41, s79
	v_add_co_u32_e32 v40, vcc, s78, v127
	v_addc_co_u32_e32 v41, vcc, 0, v41, vcc
	s_movk_i32 s4, 0x1000
	v_add_co_u32_e32 v60, vcc, s4, v40
	v_addc_co_u32_e32 v61, vcc, 0, v41, vcc
	s_movk_i32 s4, 0x2000
	s_waitcnt lgkmcnt(0)
	; wave barrier
	s_waitcnt lgkmcnt(0)
	flat_load_dwordx2 v[44:45], v[40:41]
	flat_load_dwordx2 v[46:47], v[40:41] offset:512
	flat_load_dwordx2 v[48:49], v[40:41] offset:1024
	;; [unrolled: 1-line block ×7, first 2 shown]
	v_add_co_u32_e32 v40, vcc, s4, v40
	v_addc_co_u32_e32 v41, vcc, 0, v41, vcc
	flat_load_dwordx2 v[62:63], v[60:61]
	flat_load_dwordx2 v[64:65], v[60:61] offset:512
	flat_load_dwordx2 v[66:67], v[60:61] offset:1024
	;; [unrolled: 1-line block ×7, first 2 shown]
	s_nop 0
	flat_load_dwordx2 v[60:61], v[40:41]
	flat_load_dwordx2 v[78:79], v[40:41] offset:512
	flat_load_dwordx2 v[80:81], v[40:41] offset:1024
	v_cmp_ne_u64_e32 vcc, v[34:35], v[36:37]
	v_cndmask_b32_e64 v110, 0, 1, vcc
	v_cmp_ne_u64_e32 vcc, v[32:33], v[34:35]
	v_cndmask_b32_e64 v126, 0, 1, vcc
	;; [unrolled: 2-line block ×14, first 2 shown]
	v_cmp_ne_u64_e32 vcc, v[2:3], v[4:5]
	v_cmp_ne_u64_e64 s[4:5], v[36:37], v[38:39]
	v_cndmask_b32_e64 v113, 0, 1, vcc
	v_cmp_ne_u64_e32 vcc, v[16:17], v[2:3]
	v_cndmask_b32_e64 v111, 0, 1, vcc
	v_cmp_ne_u64_e32 vcc, v[14:15], v[16:17]
	v_cndmask_b32_e64 v112, 0, 1, vcc
	s_waitcnt vmcnt(0)
	v_cmp_ne_u64_e32 vcc, v[42:43], v[14:15]
	s_mov_b64 s[10:11], -1
                                        ; implicit-def: $sgpr80
                                        ; implicit-def: $sgpr8_sgpr9
                                        ; implicit-def: $vgpr42_vgpr43
                                        ; implicit-def: $vgpr34_vgpr35
                                        ; implicit-def: $vgpr22_vgpr23
                                        ; implicit-def: $vgpr14_vgpr15
	s_waitcnt lgkmcnt(0)
	ds_write2st64_b64 v127, v[44:45], v[46:47] offset1:1
	ds_write2st64_b64 v127, v[48:49], v[50:51] offset0:2 offset1:3
	ds_write2st64_b64 v127, v[52:53], v[54:55] offset0:4 offset1:5
	;; [unrolled: 1-line block ×8, first 2 shown]
	ds_write_b64 v127, v[80:81] offset:9216
	s_waitcnt lgkmcnt(0)
	; wave barrier
	s_waitcnt lgkmcnt(0)
	ds_read2_b64 v[2:5], v1 offset1:1
	ds_read2_b64 v[10:13], v1 offset0:2 offset1:3
	ds_read2_b64 v[18:21], v1 offset0:4 offset1:5
	;; [unrolled: 1-line block ×8, first 2 shown]
	ds_read_b64 v[8:9], v1 offset:144
	v_cndmask_b32_e64 v1, 0, 1, vcc
                                        ; implicit-def: $vgpr70_vgpr71
                                        ; implicit-def: $vgpr66_vgpr67
                                        ; implicit-def: $vgpr58_vgpr59
                                        ; implicit-def: $vgpr50_vgpr51
.LBB95_115:
	s_waitcnt lgkmcnt(0)
	v_pk_mov_b32 v[16:17], s[8:9], s[8:9] op_sel:[0,1]
	v_mov_b32_e32 v36, s80
	s_and_saveexec_b64 s[6:7], s[10:11]
; %bb.116:
	v_cndmask_b32_e64 v36, 0, 1, s[4:5]
	v_pk_mov_b32 v[14:15], v[4:5], v[4:5] op_sel:[0,1]
	v_pk_mov_b32 v[22:23], v[12:13], v[12:13] op_sel:[0,1]
	v_pk_mov_b32 v[34:35], v[20:21], v[20:21] op_sel:[0,1]
	v_pk_mov_b32 v[42:43], v[28:29], v[28:29] op_sel:[0,1]
	v_pk_mov_b32 v[50:51], v[32:33], v[32:33] op_sel:[0,1]
	v_pk_mov_b32 v[58:59], v[40:41], v[40:41] op_sel:[0,1]
	v_pk_mov_b32 v[66:67], v[48:49], v[48:49] op_sel:[0,1]
	v_pk_mov_b32 v[70:71], v[56:57], v[56:57] op_sel:[0,1]
	v_pk_mov_b32 v[6:7], v[64:65], v[64:65] op_sel:[0,1]
	v_pk_mov_b32 v[16:17], v[8:9], v[8:9] op_sel:[0,1]
; %bb.117:
	s_or_b64 exec, exec, s[6:7]
	v_or_b32_e32 v4, v36, v110
	s_cmp_lg_u32 s55, 0
	v_or_b32_e32 v29, v4, v126
	v_mbcnt_lo_u32_b32 v28, -1, 0
	s_waitcnt lgkmcnt(0)
	; wave barrier
	s_cbranch_scc0 .LBB95_180
; %bb.118:
	v_mov_b32_e32 v4, 0
	v_cmp_eq_u16_sdwa s[42:43], v112, v4 src0_sel:BYTE_0 src1_sel:DWORD
	v_cndmask_b32_e64 v9, 0, v2, s[42:43]
	v_cndmask_b32_e64 v5, 0, v3, s[42:43]
	v_add_co_u32_e32 v9, vcc, v9, v14
	v_cmp_eq_u16_sdwa s[40:41], v111, v4 src0_sel:BYTE_0 src1_sel:DWORD
	v_addc_co_u32_e32 v5, vcc, v5, v15, vcc
	v_cndmask_b32_e64 v9, 0, v9, s[40:41]
	v_cndmask_b32_e64 v5, 0, v5, s[40:41]
	v_add_co_u32_e32 v9, vcc, v9, v10
	v_cmp_eq_u16_sdwa s[38:39], v113, v4 src0_sel:BYTE_0 src1_sel:DWORD
	v_addc_co_u32_e32 v5, vcc, v5, v11, vcc
	;; [unrolled: 5-line block ×16, first 2 shown]
	v_cndmask_b32_e64 v9, 0, v9, s[8:9]
	v_add_co_u32_e32 v9, vcc, v9, v6
	v_cmp_eq_u16_sdwa s[6:7], v36, v4 src0_sel:BYTE_0 src1_sel:DWORD
	v_cndmask_b32_e64 v4, 0, v9, s[6:7]
	v_or_b32_e32 v9, v29, v125
	v_or_b32_e32 v9, v9, v124
	;; [unrolled: 1-line block ×12, first 2 shown]
	v_cndmask_b32_e64 v5, 0, v5, s[8:9]
	v_or_b32_e32 v9, v9, v113
	v_addc_co_u32_e32 v5, vcc, v5, v7, vcc
	v_or_b32_e32 v9, v9, v111
	v_cndmask_b32_e64 v5, 0, v5, s[6:7]
	v_add_co_u32_e32 v4, vcc, v4, v16
	v_or_b32_e32 v9, v9, v112
	v_addc_co_u32_e32 v5, vcc, v5, v17, vcc
	v_and_b32_e32 v9, 1, v9
	v_and_b32_e32 v8, 0xff, v1
	v_cmp_eq_u32_e32 vcc, 1, v9
	v_mbcnt_hi_u32_b32 v9, -1, v28
	v_cndmask_b32_e64 v8, v8, 1, vcc
	v_and_b32_e32 v12, 15, v9
	v_mov_b32_dpp v20, v4 row_shr:1 row_mask:0xf bank_mask:0xf
	v_mov_b32_dpp v21, v5 row_shr:1 row_mask:0xf bank_mask:0xf
	;; [unrolled: 1-line block ×3, first 2 shown]
	v_cmp_ne_u32_e32 vcc, 0, v12
	s_and_saveexec_b64 s[4:5], vcc
; %bb.119:
	v_cmp_eq_u32_e32 vcc, 0, v8
	v_cndmask_b32_e32 v20, 0, v20, vcc
	v_cndmask_b32_e32 v21, 0, v21, vcc
	v_add_co_u32_e32 v4, vcc, v20, v4
	v_addc_co_u32_e32 v5, vcc, v21, v5, vcc
	v_and_or_b32 v8, v13, 1, v8
; %bb.120:
	s_or_b64 exec, exec, s[4:5]
	v_mov_b32_dpp v20, v4 row_shr:2 row_mask:0xf bank_mask:0xf
	v_mov_b32_dpp v21, v5 row_shr:2 row_mask:0xf bank_mask:0xf
	v_mov_b32_dpp v13, v8 row_shr:2 row_mask:0xf bank_mask:0xf
	v_cmp_lt_u32_e32 vcc, 1, v12
	s_and_saveexec_b64 s[4:5], vcc
; %bb.121:
	v_cmp_eq_u32_e32 vcc, 0, v8
	v_cndmask_b32_e32 v20, 0, v20, vcc
	v_cndmask_b32_e32 v21, 0, v21, vcc
	v_add_co_u32_e32 v4, vcc, v20, v4
	v_or_b32_e32 v8, v13, v8
	v_addc_co_u32_e32 v5, vcc, v21, v5, vcc
	v_and_b32_e32 v8, 1, v8
; %bb.122:
	s_or_b64 exec, exec, s[4:5]
	v_mov_b32_dpp v20, v4 row_shr:4 row_mask:0xf bank_mask:0xf
	v_mov_b32_dpp v21, v5 row_shr:4 row_mask:0xf bank_mask:0xf
	v_mov_b32_dpp v13, v8 row_shr:4 row_mask:0xf bank_mask:0xf
	v_cmp_lt_u32_e32 vcc, 3, v12
	s_and_saveexec_b64 s[4:5], vcc
; %bb.123:
	v_cmp_eq_u32_e32 vcc, 0, v8
	v_cndmask_b32_e32 v20, 0, v20, vcc
	v_cndmask_b32_e32 v21, 0, v21, vcc
	v_add_co_u32_e32 v4, vcc, v20, v4
	v_or_b32_e32 v8, v13, v8
	v_addc_co_u32_e32 v5, vcc, v21, v5, vcc
	v_and_b32_e32 v8, 1, v8
	;; [unrolled: 15-line block ×3, first 2 shown]
; %bb.126:
	s_or_b64 exec, exec, s[4:5]
	v_and_b32_e32 v21, 16, v9
	v_mov_b32_dpp v13, v4 row_bcast:15 row_mask:0xf bank_mask:0xf
	v_mov_b32_dpp v20, v5 row_bcast:15 row_mask:0xf bank_mask:0xf
	;; [unrolled: 1-line block ×3, first 2 shown]
	v_cmp_ne_u32_e32 vcc, 0, v21
	s_and_saveexec_b64 s[4:5], vcc
; %bb.127:
	v_cmp_eq_u32_e32 vcc, 0, v8
	v_cndmask_b32_e32 v13, 0, v13, vcc
	v_cndmask_b32_e32 v20, 0, v20, vcc
	v_add_co_u32_e32 v4, vcc, v13, v4
	v_or_b32_e32 v8, v12, v8
	v_addc_co_u32_e32 v5, vcc, v20, v5, vcc
	v_and_b32_e32 v8, 1, v8
; %bb.128:
	s_or_b64 exec, exec, s[4:5]
	v_mov_b32_dpp v20, v4 row_bcast:31 row_mask:0xf bank_mask:0xf
	v_mov_b32_dpp v21, v5 row_bcast:31 row_mask:0xf bank_mask:0xf
	;; [unrolled: 1-line block ×3, first 2 shown]
	v_cmp_lt_u32_e32 vcc, 31, v9
	v_mov_b32_e32 v12, v8
	s_and_saveexec_b64 s[4:5], vcc
; %bb.129:
	v_cmp_eq_u32_e32 vcc, 0, v8
	v_cndmask_b32_e32 v20, 0, v20, vcc
	v_cndmask_b32_e32 v12, 0, v21, vcc
	v_add_co_u32_e32 v4, vcc, v20, v4
	v_or_b32_e32 v8, v13, v8
	v_addc_co_u32_e32 v5, vcc, v12, v5, vcc
	v_and_b32_e32 v12, 1, v8
	v_and_b32_e32 v8, 1, v8
; %bb.130:
	s_or_b64 exec, exec, s[4:5]
	v_cmp_eq_u32_e32 vcc, 63, v0
	s_and_saveexec_b64 s[4:5], vcc
	s_cbranch_execz .LBB95_132
; %bb.131:
	v_mov_b32_e32 v13, 0
	ds_write_b64 v13, v[4:5]
	ds_write_b8 v13, v12 offset:8
.LBB95_132:
	s_or_b64 exec, exec, s[4:5]
	v_add_u32_e32 v12, -1, v9
	v_and_b32_e32 v13, 64, v9
	v_cmp_lt_i32_e32 vcc, v12, v13
	v_cndmask_b32_e32 v12, v12, v9, vcc
	v_lshlrev_b32_e32 v12, 2, v12
	ds_bpermute_b32 v33, v12, v4
	ds_bpermute_b32 v37, v12, v5
	;; [unrolled: 1-line block ×3, first 2 shown]
	v_cmp_gt_u32_e32 vcc, 64, v0
	s_waitcnt lgkmcnt(0)
	; wave barrier
	s_waitcnt lgkmcnt(0)
	s_and_saveexec_b64 s[60:61], vcc
	s_cbranch_execz .LBB95_179
; %bb.133:
	v_mov_b32_e32 v13, 0
	ds_read_b64 v[4:5], v13
	ds_read_u8 v40, v13 offset:8
	s_mov_b32 s65, 0
	v_cmp_eq_u32_e64 s[44:45], 0, v9
	s_and_saveexec_b64 s[4:5], s[44:45]
	s_cbranch_execz .LBB95_135
; %bb.134:
	s_add_i32 s64, s55, 64
	s_lshl_b64 s[68:69], s[64:65], 4
	s_add_u32 s68, s48, s68
	s_addc_u32 s69, s49, s69
	v_mov_b32_e32 v8, s64
	v_mov_b32_e32 v12, 1
	s_waitcnt lgkmcnt(1)
	global_store_dwordx2 v13, v[4:5], s[68:69]
	s_waitcnt lgkmcnt(0)
	global_store_byte v13, v40, s[68:69] offset:8
	s_waitcnt vmcnt(0)
	buffer_wbinvl1_vol
	global_store_byte v8, v12, s[52:53]
.LBB95_135:
	s_or_b64 exec, exec, s[4:5]
	v_xad_u32 v8, v9, -1, s55
	v_add_u32_e32 v12, 64, v8
	global_load_ubyte v41, v12, s[52:53] glc
	s_waitcnt vmcnt(0)
	v_cmp_eq_u16_e32 vcc, 0, v41
	s_and_saveexec_b64 s[4:5], vcc
	s_cbranch_execz .LBB95_141
; %bb.136:
	v_mov_b32_e32 v21, s53
	v_add_co_u32_e32 v20, vcc, s52, v12
	v_addc_co_u32_e32 v21, vcc, 0, v21, vcc
	s_mov_b32 s68, 1
	s_mov_b64 s[64:65], 0
.LBB95_137:                             ; =>This Loop Header: Depth=1
                                        ;     Child Loop BB95_138 Depth 2
	s_max_u32 s69, s68, 1
.LBB95_138:                             ;   Parent Loop BB95_137 Depth=1
                                        ; =>  This Inner Loop Header: Depth=2
	s_add_i32 s69, s69, -1
	s_cmp_eq_u32 s69, 0
	s_sleep 1
	s_cbranch_scc0 .LBB95_138
; %bb.139:                              ;   in Loop: Header=BB95_137 Depth=1
	global_load_ubyte v41, v[20:21], off glc
	s_cmp_lt_u32 s68, 32
	s_cselect_b64 s[70:71], -1, 0
	s_cmp_lg_u64 s[70:71], 0
	s_addc_u32 s68, s68, 0
	s_waitcnt vmcnt(0)
	v_cmp_ne_u16_e32 vcc, 0, v41
	s_or_b64 s[64:65], vcc, s[64:65]
	s_andn2_b64 exec, exec, s[64:65]
	s_cbranch_execnz .LBB95_137
; %bb.140:
	s_or_b64 exec, exec, s[64:65]
.LBB95_141:
	s_or_b64 exec, exec, s[4:5]
	v_mov_b32_e32 v20, s51
	v_mov_b32_e32 v21, s49
	v_cmp_eq_u16_e32 vcc, 1, v41
	v_cndmask_b32_e32 v20, v20, v21, vcc
	v_mov_b32_e32 v21, s50
	v_mov_b32_e32 v24, s48
	v_cndmask_b32_e32 v21, v21, v24, vcc
	v_lshlrev_b64 v[12:13], 4, v[12:13]
	v_add_co_u32_e32 v12, vcc, v21, v12
	v_addc_co_u32_e32 v13, vcc, v20, v13, vcc
	s_waitcnt lgkmcnt(0)
	buffer_wbinvl1_vol
	global_load_dwordx2 v[24:25], v[12:13], off
	global_load_ubyte v72, v[12:13], off offset:8
	v_cmp_eq_u16_e32 vcc, 2, v41
	v_lshlrev_b64 v[12:13], v9, -1
	v_and_b32_e32 v44, 63, v9
	v_and_b32_e32 v20, vcc_hi, v13
	v_and_b32_e32 v53, vcc_lo, v12
	v_cmp_ne_u32_e32 vcc, 63, v44
	v_addc_co_u32_e32 v21, vcc, 0, v9, vcc
	v_lshlrev_b32_e32 v45, 2, v21
	v_or_b32_e32 v20, 0x80000000, v20
	v_ffbl_b32_e32 v20, v20
	v_add_u32_e32 v20, 32, v20
	v_ffbl_b32_e32 v53, v53
	v_min_u32_e32 v20, v53, v20
	v_cmp_lt_u32_e32 vcc, v44, v20
	s_waitcnt vmcnt(1)
	ds_bpermute_b32 v49, v45, v24
	s_waitcnt vmcnt(0)
	v_and_b32_e32 v21, 1, v72
	ds_bpermute_b32 v52, v45, v25
	ds_bpermute_b32 v48, v45, v21
	s_and_saveexec_b64 s[4:5], vcc
	s_cbranch_execz .LBB95_143
; %bb.142:
	v_mov_b32_e32 v21, 0
	v_cmp_eq_u16_sdwa vcc, v72, v21 src0_sel:BYTE_0 src1_sel:DWORD
	s_waitcnt lgkmcnt(2)
	v_cndmask_b32_e32 v49, 0, v49, vcc
	s_waitcnt lgkmcnt(1)
	v_cndmask_b32_e32 v21, 0, v52, vcc
	v_add_co_u32_e32 v24, vcc, v49, v24
	v_addc_co_u32_e32 v25, vcc, v21, v25, vcc
	s_waitcnt lgkmcnt(0)
	v_and_b32_e32 v21, 1, v48
	v_or_b32_e32 v72, v21, v72
	v_and_b32_e32 v21, 0xff, v72
.LBB95_143:
	s_or_b64 exec, exec, s[4:5]
	v_cmp_gt_u32_e32 vcc, 62, v44
	s_waitcnt lgkmcnt(0)
	v_cndmask_b32_e64 v48, 0, 1, vcc
	v_lshlrev_b32_e32 v48, 1, v48
	v_add_lshl_u32 v48, v48, v9, 2
	ds_bpermute_b32 v53, v48, v24
	ds_bpermute_b32 v56, v48, v25
	ds_bpermute_b32 v52, v48, v21
	v_add_u32_e32 v49, 2, v44
	v_cmp_le_u32_e32 vcc, v49, v20
	s_and_saveexec_b64 s[64:65], vcc
	s_cbranch_execz .LBB95_145
; %bb.144:
	v_mov_b32_e32 v21, 0
	v_cmp_eq_u16_sdwa vcc, v72, v21 src0_sel:BYTE_0 src1_sel:DWORD
	s_waitcnt lgkmcnt(2)
	v_cndmask_b32_e32 v53, 0, v53, vcc
	s_waitcnt lgkmcnt(1)
	v_cndmask_b32_e32 v21, 0, v56, vcc
	v_add_co_u32_e32 v24, vcc, v53, v24
	v_addc_co_u32_e32 v25, vcc, v21, v25, vcc
	v_and_b32_e32 v21, 1, v72
	v_cmp_eq_u32_e32 vcc, 1, v21
	s_waitcnt lgkmcnt(0)
	v_and_b32_e32 v21, 1, v52
	v_cmp_eq_u32_e64 s[4:5], 1, v21
	s_or_b64 s[4:5], vcc, s[4:5]
	v_cndmask_b32_e64 v72, 0, 1, s[4:5]
	v_cndmask_b32_e64 v21, 0, 1, s[4:5]
.LBB95_145:
	s_or_b64 exec, exec, s[64:65]
	v_cmp_gt_u32_e32 vcc, 60, v44
	s_waitcnt lgkmcnt(0)
	v_cndmask_b32_e64 v52, 0, 1, vcc
	v_lshlrev_b32_e32 v52, 2, v52
	v_add_lshl_u32 v52, v52, v9, 2
	ds_bpermute_b32 v57, v52, v24
	ds_bpermute_b32 v60, v52, v25
	ds_bpermute_b32 v56, v52, v21
	v_add_u32_e32 v53, 4, v44
	v_cmp_le_u32_e32 vcc, v53, v20
	s_and_saveexec_b64 s[64:65], vcc
	s_cbranch_execz .LBB95_147
; %bb.146:
	v_mov_b32_e32 v21, 0
	v_cmp_eq_u16_sdwa vcc, v72, v21 src0_sel:BYTE_0 src1_sel:DWORD
	s_waitcnt lgkmcnt(2)
	v_cndmask_b32_e32 v57, 0, v57, vcc
	s_waitcnt lgkmcnt(1)
	v_cndmask_b32_e32 v21, 0, v60, vcc
	v_add_co_u32_e32 v24, vcc, v57, v24
	v_addc_co_u32_e32 v25, vcc, v21, v25, vcc
	v_and_b32_e32 v21, 1, v72
	v_cmp_eq_u32_e32 vcc, 1, v21
	s_waitcnt lgkmcnt(0)
	v_and_b32_e32 v21, 1, v56
	v_cmp_eq_u32_e64 s[4:5], 1, v21
	s_or_b64 s[4:5], vcc, s[4:5]
	v_cndmask_b32_e64 v72, 0, 1, s[4:5]
	v_cndmask_b32_e64 v21, 0, 1, s[4:5]
.LBB95_147:
	;; [unrolled: 31-line block ×4, first 2 shown]
	s_or_b64 exec, exec, s[64:65]
	v_cmp_gt_u32_e32 vcc, 32, v44
	s_waitcnt lgkmcnt(0)
	v_cndmask_b32_e64 v64, 0, 1, vcc
	v_lshlrev_b32_e32 v64, 5, v64
	v_add_lshl_u32 v65, v64, v9, 2
	ds_bpermute_b32 v64, v65, v24
	ds_bpermute_b32 v69, v65, v25
	;; [unrolled: 1-line block ×3, first 2 shown]
	v_add_u32_e32 v68, 32, v44
	v_cmp_le_u32_e32 vcc, v68, v20
	s_and_saveexec_b64 s[64:65], vcc
	s_cbranch_execz .LBB95_153
; %bb.152:
	v_mov_b32_e32 v20, 0
	v_cmp_eq_u16_sdwa vcc, v72, v20 src0_sel:BYTE_0 src1_sel:DWORD
	s_waitcnt lgkmcnt(2)
	v_cndmask_b32_e32 v21, 0, v64, vcc
	s_waitcnt lgkmcnt(1)
	v_cndmask_b32_e32 v20, 0, v69, vcc
	v_add_co_u32_e32 v24, vcc, v21, v24
	v_addc_co_u32_e32 v25, vcc, v20, v25, vcc
	v_and_b32_e32 v20, 1, v72
	s_waitcnt lgkmcnt(0)
	v_and_b32_e32 v9, 1, v9
	v_cmp_eq_u32_e32 vcc, 1, v20
	v_cmp_eq_u32_e64 s[4:5], 1, v9
	s_or_b64 s[4:5], vcc, s[4:5]
	v_cndmask_b32_e64 v72, 0, 1, s[4:5]
.LBB95_153:
	s_or_b64 exec, exec, s[64:65]
	s_waitcnt lgkmcnt(0)
	v_mov_b32_e32 v9, 0
	v_mov_b32_e32 v69, 2
	s_branch .LBB95_155
.LBB95_154:                             ;   in Loop: Header=BB95_155 Depth=1
	s_or_b64 exec, exec, s[68:69]
	v_cmp_eq_u16_sdwa vcc, v64, v9 src0_sel:BYTE_0 src1_sel:DWORD
	v_cndmask_b32_e32 v24, 0, v24, vcc
	v_cndmask_b32_e32 v25, 0, v25, vcc
	v_add_co_u32_e32 v24, vcc, v24, v20
	v_addc_co_u32_e32 v25, vcc, v25, v21, vcc
	v_and_b32_e32 v72, 1, v64
	v_cmp_eq_u32_e32 vcc, 1, v72
	s_or_b64 s[4:5], vcc, s[64:65]
	v_subrev_u32_e32 v8, 64, v8
	v_cndmask_b32_e64 v72, 0, 1, s[4:5]
.LBB95_155:                             ; =>This Loop Header: Depth=1
                                        ;     Child Loop BB95_158 Depth 2
                                        ;       Child Loop BB95_159 Depth 3
	v_cmp_ne_u16_sdwa s[4:5], v41, v69 src0_sel:BYTE_0 src1_sel:DWORD
	v_cndmask_b32_e64 v20, 0, 1, s[4:5]
	;;#ASMSTART
	;;#ASMEND
	v_cmp_ne_u32_e32 vcc, 0, v20
	v_mov_b32_e32 v64, v72
	s_cmp_lg_u64 vcc, exec
	v_pk_mov_b32 v[20:21], v[24:25], v[24:25] op_sel:[0,1]
	s_cbranch_scc1 .LBB95_174
; %bb.156:                              ;   in Loop: Header=BB95_155 Depth=1
	global_load_ubyte v41, v8, s[52:53] glc
	s_waitcnt vmcnt(0)
	v_cmp_eq_u16_e32 vcc, 0, v41
	s_and_saveexec_b64 s[4:5], vcc
	s_cbranch_execz .LBB95_162
; %bb.157:                              ;   in Loop: Header=BB95_155 Depth=1
	v_mov_b32_e32 v25, s53
	v_add_co_u32_e32 v24, vcc, s52, v8
	v_addc_co_u32_e32 v25, vcc, 0, v25, vcc
	s_mov_b32 s68, 1
	s_mov_b64 s[64:65], 0
.LBB95_158:                             ;   Parent Loop BB95_155 Depth=1
                                        ; =>  This Loop Header: Depth=2
                                        ;       Child Loop BB95_159 Depth 3
	s_max_u32 s69, s68, 1
.LBB95_159:                             ;   Parent Loop BB95_155 Depth=1
                                        ;     Parent Loop BB95_158 Depth=2
                                        ; =>    This Inner Loop Header: Depth=3
	s_add_i32 s69, s69, -1
	s_cmp_eq_u32 s69, 0
	s_sleep 1
	s_cbranch_scc0 .LBB95_159
; %bb.160:                              ;   in Loop: Header=BB95_158 Depth=2
	global_load_ubyte v41, v[24:25], off glc
	s_cmp_lt_u32 s68, 32
	s_cselect_b64 s[70:71], -1, 0
	s_cmp_lg_u64 s[70:71], 0
	s_addc_u32 s68, s68, 0
	s_waitcnt vmcnt(0)
	v_cmp_ne_u16_e32 vcc, 0, v41
	s_or_b64 s[64:65], vcc, s[64:65]
	s_andn2_b64 exec, exec, s[64:65]
	s_cbranch_execnz .LBB95_158
; %bb.161:                              ;   in Loop: Header=BB95_155 Depth=1
	s_or_b64 exec, exec, s[64:65]
.LBB95_162:                             ;   in Loop: Header=BB95_155 Depth=1
	s_or_b64 exec, exec, s[4:5]
	v_mov_b32_e32 v24, s51
	v_mov_b32_e32 v25, s49
	v_cmp_eq_u16_e32 vcc, 1, v41
	v_cndmask_b32_e32 v73, v24, v25, vcc
	v_mov_b32_e32 v24, s50
	v_mov_b32_e32 v25, s48
	v_cndmask_b32_e32 v72, v24, v25, vcc
	v_lshlrev_b64 v[24:25], 4, v[8:9]
	v_add_co_u32_e32 v72, vcc, v72, v24
	v_addc_co_u32_e32 v73, vcc, v73, v25, vcc
	buffer_wbinvl1_vol
	global_load_dwordx2 v[24:25], v[72:73], off
	s_nop 0
	global_load_ubyte v72, v[72:73], off offset:8
	v_cmp_eq_u16_e32 vcc, 2, v41
	v_and_b32_e32 v73, vcc_hi, v13
	v_or_b32_e32 v73, 0x80000000, v73
	v_and_b32_e32 v78, vcc_lo, v12
	v_ffbl_b32_e32 v73, v73
	v_add_u32_e32 v73, 32, v73
	v_ffbl_b32_e32 v78, v78
	v_min_u32_e32 v73, v78, v73
	v_cmp_lt_u32_e32 vcc, v44, v73
	s_waitcnt vmcnt(1) lgkmcnt(1)
	ds_bpermute_b32 v76, v45, v24
	s_waitcnt vmcnt(0) lgkmcnt(1)
	v_and_b32_e32 v74, 1, v72
	ds_bpermute_b32 v77, v45, v25
	ds_bpermute_b32 v75, v45, v74
	s_and_saveexec_b64 s[4:5], vcc
	s_cbranch_execz .LBB95_164
; %bb.163:                              ;   in Loop: Header=BB95_155 Depth=1
	v_cmp_eq_u16_sdwa vcc, v72, v9 src0_sel:BYTE_0 src1_sel:DWORD
	s_waitcnt lgkmcnt(2)
	v_cndmask_b32_e32 v76, 0, v76, vcc
	s_waitcnt lgkmcnt(1)
	v_cndmask_b32_e32 v74, 0, v77, vcc
	v_add_co_u32_e32 v24, vcc, v76, v24
	v_addc_co_u32_e32 v25, vcc, v74, v25, vcc
	s_waitcnt lgkmcnt(0)
	v_and_b32_e32 v74, 1, v75
	v_or_b32_e32 v72, v74, v72
	v_and_b32_e32 v74, 0xff, v72
.LBB95_164:                             ;   in Loop: Header=BB95_155 Depth=1
	s_or_b64 exec, exec, s[4:5]
	s_waitcnt lgkmcnt(2)
	ds_bpermute_b32 v76, v48, v24
	s_waitcnt lgkmcnt(2)
	ds_bpermute_b32 v77, v48, v25
	;; [unrolled: 2-line block ×3, first 2 shown]
	v_and_b32_e32 v78, 1, v72
	v_cmp_le_u32_e32 vcc, v49, v73
	v_cmp_eq_u32_e64 s[64:65], 1, v78
	s_and_saveexec_b64 s[4:5], vcc
	s_cbranch_execz .LBB95_166
; %bb.165:                              ;   in Loop: Header=BB95_155 Depth=1
	v_cmp_eq_u16_sdwa vcc, v72, v9 src0_sel:BYTE_0 src1_sel:DWORD
	s_waitcnt lgkmcnt(2)
	v_cndmask_b32_e32 v74, 0, v76, vcc
	s_waitcnt lgkmcnt(1)
	v_cndmask_b32_e32 v72, 0, v77, vcc
	v_add_co_u32_e32 v24, vcc, v74, v24
	v_addc_co_u32_e32 v25, vcc, v72, v25, vcc
	s_waitcnt lgkmcnt(0)
	v_and_b32_e32 v72, 1, v75
	v_cmp_eq_u32_e32 vcc, 1, v72
	s_or_b64 s[68:69], s[64:65], vcc
	v_cndmask_b32_e64 v72, 0, 1, s[68:69]
	v_cndmask_b32_e64 v74, 0, 1, s[68:69]
	s_andn2_b64 s[64:65], s[64:65], exec
	s_and_b64 s[68:69], s[68:69], exec
	s_or_b64 s[64:65], s[64:65], s[68:69]
.LBB95_166:                             ;   in Loop: Header=BB95_155 Depth=1
	s_or_b64 exec, exec, s[4:5]
	s_waitcnt lgkmcnt(2)
	ds_bpermute_b32 v76, v52, v24
	s_waitcnt lgkmcnt(2)
	ds_bpermute_b32 v77, v52, v25
	s_waitcnt lgkmcnt(2)
	ds_bpermute_b32 v75, v52, v74
	v_cmp_le_u32_e32 vcc, v53, v73
	s_and_saveexec_b64 s[68:69], vcc
	s_cbranch_execz .LBB95_168
; %bb.167:                              ;   in Loop: Header=BB95_155 Depth=1
	v_cmp_eq_u16_sdwa vcc, v72, v9 src0_sel:BYTE_0 src1_sel:DWORD
	s_waitcnt lgkmcnt(2)
	v_cndmask_b32_e32 v76, 0, v76, vcc
	s_waitcnt lgkmcnt(1)
	v_cndmask_b32_e32 v74, 0, v77, vcc
	v_add_co_u32_e32 v24, vcc, v76, v24
	v_addc_co_u32_e32 v25, vcc, v74, v25, vcc
	v_and_b32_e32 v72, 1, v72
	v_cmp_eq_u32_e32 vcc, 1, v72
	s_waitcnt lgkmcnt(0)
	v_and_b32_e32 v72, 1, v75
	v_cmp_eq_u32_e64 s[4:5], 1, v72
	s_or_b64 s[4:5], vcc, s[4:5]
	v_cndmask_b32_e64 v72, 0, 1, s[4:5]
	v_cndmask_b32_e64 v74, 0, 1, s[4:5]
	s_andn2_b64 s[64:65], s[64:65], exec
	s_and_b64 s[4:5], s[4:5], exec
	s_or_b64 s[64:65], s[64:65], s[4:5]
.LBB95_168:                             ;   in Loop: Header=BB95_155 Depth=1
	s_or_b64 exec, exec, s[68:69]
	s_waitcnt lgkmcnt(2)
	ds_bpermute_b32 v76, v56, v24
	s_waitcnt lgkmcnt(2)
	ds_bpermute_b32 v77, v56, v25
	s_waitcnt lgkmcnt(2)
	ds_bpermute_b32 v75, v56, v74
	v_cmp_le_u32_e32 vcc, v57, v73
	s_and_saveexec_b64 s[68:69], vcc
	s_cbranch_execz .LBB95_170
; %bb.169:                              ;   in Loop: Header=BB95_155 Depth=1
	v_cmp_eq_u16_sdwa vcc, v72, v9 src0_sel:BYTE_0 src1_sel:DWORD
	s_waitcnt lgkmcnt(2)
	v_cndmask_b32_e32 v76, 0, v76, vcc
	s_waitcnt lgkmcnt(1)
	v_cndmask_b32_e32 v74, 0, v77, vcc
	v_add_co_u32_e32 v24, vcc, v76, v24
	v_addc_co_u32_e32 v25, vcc, v74, v25, vcc
	v_and_b32_e32 v72, 1, v72
	v_cmp_eq_u32_e32 vcc, 1, v72
	s_waitcnt lgkmcnt(0)
	v_and_b32_e32 v72, 1, v75
	v_cmp_eq_u32_e64 s[4:5], 1, v72
	s_or_b64 s[4:5], vcc, s[4:5]
	v_cndmask_b32_e64 v72, 0, 1, s[4:5]
	v_cndmask_b32_e64 v74, 0, 1, s[4:5]
	s_andn2_b64 s[64:65], s[64:65], exec
	s_and_b64 s[4:5], s[4:5], exec
	s_or_b64 s[64:65], s[64:65], s[4:5]
.LBB95_170:                             ;   in Loop: Header=BB95_155 Depth=1
	;; [unrolled: 30-line block ×3, first 2 shown]
	s_or_b64 exec, exec, s[68:69]
	s_waitcnt lgkmcnt(0)
	ds_bpermute_b32 v75, v65, v24
	ds_bpermute_b32 v76, v65, v25
	;; [unrolled: 1-line block ×3, first 2 shown]
	v_cmp_le_u32_e32 vcc, v68, v73
	s_and_saveexec_b64 s[68:69], vcc
	s_cbranch_execz .LBB95_154
; %bb.173:                              ;   in Loop: Header=BB95_155 Depth=1
	v_cmp_eq_u16_sdwa vcc, v72, v9 src0_sel:BYTE_0 src1_sel:DWORD
	s_waitcnt lgkmcnt(2)
	v_cndmask_b32_e32 v75, 0, v75, vcc
	s_waitcnt lgkmcnt(1)
	v_cndmask_b32_e32 v73, 0, v76, vcc
	v_add_co_u32_e32 v24, vcc, v75, v24
	v_addc_co_u32_e32 v25, vcc, v73, v25, vcc
	v_and_b32_e32 v72, 1, v72
	v_cmp_eq_u32_e32 vcc, 1, v72
	s_waitcnt lgkmcnt(0)
	v_and_b32_e32 v72, 1, v74
	v_cmp_eq_u32_e64 s[4:5], 1, v72
	s_or_b64 s[4:5], vcc, s[4:5]
	s_andn2_b64 s[64:65], s[64:65], exec
	s_and_b64 s[4:5], s[4:5], exec
	s_or_b64 s[64:65], s[64:65], s[4:5]
	s_branch .LBB95_154
.LBB95_174:                             ;   in Loop: Header=BB95_155 Depth=1
                                        ; implicit-def: $vgpr72
                                        ; implicit-def: $vgpr24_vgpr25
                                        ; implicit-def: $vgpr41
	s_cbranch_execz .LBB95_155
; %bb.175:
	s_and_saveexec_b64 s[4:5], s[44:45]
	s_cbranch_execz .LBB95_177
; %bb.176:
	v_mov_b32_e32 v8, 0
	s_mov_b32 s45, 0
	v_cmp_eq_u16_sdwa vcc, v40, v8 src0_sel:BYTE_0 src1_sel:DWORD
	s_add_i32 s44, s55, 64
	v_cndmask_b32_e32 v12, 0, v20, vcc
	s_lshl_b64 s[48:49], s[44:45], 4
	v_cndmask_b32_e32 v9, 0, v21, vcc
	v_add_co_u32_e32 v4, vcc, v12, v4
	s_add_u32 s48, s50, s48
	v_addc_co_u32_e32 v5, vcc, v9, v5, vcc
	v_or_b32_e32 v9, v40, v64
	s_addc_u32 s49, s51, s49
	v_and_b32_e32 v9, 1, v9
	global_store_dwordx2 v8, v[4:5], s[48:49]
	global_store_byte v8, v9, s[48:49] offset:8
	v_mov_b32_e32 v4, s44
	v_mov_b32_e32 v5, 2
	s_waitcnt vmcnt(0) lgkmcnt(0)
	buffer_wbinvl1_vol
	global_store_byte v4, v5, s[52:53]
.LBB95_177:
	s_or_b64 exec, exec, s[4:5]
	s_and_b64 exec, exec, s[0:1]
	s_cbranch_execz .LBB95_179
; %bb.178:
	v_mov_b32_e32 v4, 0
	ds_write_b64 v4, v[20:21]
	ds_write_b8 v4, v64 offset:8
.LBB95_179:
	s_or_b64 exec, exec, s[60:61]
	v_mov_b32_e32 v8, 0
	v_cmp_eq_u16_sdwa vcc, v1, v8 src0_sel:BYTE_0 src1_sel:DWORD
	v_and_b32_e32 v13, 1, v1
	v_cndmask_b32_e32 v9, 0, v33, vcc
	v_cndmask_b32_e32 v12, 0, v37, vcc
	v_cmp_eq_u32_e32 vcc, 1, v13
	v_and_b32_e32 v13, 1, v32
	s_waitcnt lgkmcnt(0)
	; wave barrier
	s_waitcnt lgkmcnt(0)
	ds_read_b64 v[4:5], v8
	v_cmp_eq_u32_e64 s[4:5], 1, v13
	s_or_b64 s[4:5], vcc, s[4:5]
	v_cndmask_b32_e64 v9, v9, 0, s[0:1]
	v_cndmask_b32_e64 v13, 0, 1, s[4:5]
	;; [unrolled: 1-line block ×3, first 2 shown]
	v_add_co_u32_e32 v9, vcc, v9, v2
	v_cndmask_b32_e64 v13, v13, v1, s[0:1]
	v_addc_co_u32_e32 v12, vcc, v12, v3, vcc
	v_cmp_eq_u16_sdwa vcc, v13, v8 src0_sel:BYTE_0 src1_sel:DWORD
	s_waitcnt lgkmcnt(0)
	v_cndmask_b32_e32 v4, 0, v4, vcc
	v_cndmask_b32_e32 v5, 0, v5, vcc
	v_add_co_u32_e32 v102, vcc, v9, v4
	v_addc_co_u32_e32 v103, vcc, v12, v5, vcc
	v_cndmask_b32_e64 v5, 0, v102, s[42:43]
	v_cndmask_b32_e64 v4, 0, v103, s[42:43]
	v_add_co_u32_e32 v40, vcc, v5, v14
	v_addc_co_u32_e32 v41, vcc, v4, v15, vcc
	v_cndmask_b32_e64 v5, 0, v40, s[40:41]
	v_cndmask_b32_e64 v4, 0, v41, s[40:41]
	;; [unrolled: 4-line block ×18, first 2 shown]
	v_add_co_u32_e32 v108, vcc, v5, v16
	v_addc_co_u32_e32 v109, vcc, v4, v17, vcc
	s_branch .LBB95_202
.LBB95_180:
                                        ; implicit-def: $vgpr100_vgpr101_vgpr102_vgpr103
                                        ; implicit-def: $vgpr108_vgpr109
                                        ; implicit-def: $vgpr106_vgpr107
                                        ; implicit-def: $vgpr68_vgpr69
                                        ; implicit-def: $vgpr64_vgpr65
                                        ; implicit-def: $vgpr60_vgpr61
                                        ; implicit-def: $vgpr56_vgpr57
                                        ; implicit-def: $vgpr52_vgpr53
                                        ; implicit-def: $vgpr48_vgpr49
                                        ; implicit-def: $vgpr44_vgpr45
                                        ; implicit-def: $vgpr40_vgpr41
                                        ; implicit-def: $vgpr96_vgpr97_vgpr98_vgpr99
                                        ; implicit-def: $vgpr92_vgpr93_vgpr94_vgpr95
                                        ; implicit-def: $vgpr88_vgpr89_vgpr90_vgpr91
                                        ; implicit-def: $vgpr84_vgpr85_vgpr86_vgpr87
                                        ; implicit-def: $vgpr80_vgpr81_vgpr82_vgpr83
                                        ; implicit-def: $vgpr76_vgpr77_vgpr78_vgpr79
                                        ; implicit-def: $vgpr72_vgpr73_vgpr74_vgpr75
                                        ; implicit-def: $vgpr102_vgpr103_vgpr104_vgpr105
	s_cbranch_execz .LBB95_202
; %bb.181:
	s_cmp_lg_u64 s[72:73], 0
	s_cselect_b32 s7, s67, 0
	s_cselect_b32 s6, s66, 0
	s_cmp_lg_u64 s[6:7], 0
	s_cselect_b64 s[4:5], -1, 0
	s_and_b64 s[8:9], s[0:1], s[4:5]
	s_and_saveexec_b64 s[4:5], s[8:9]
	s_cbranch_execz .LBB95_183
; %bb.182:
	v_mov_b32_e32 v8, 0
	global_load_dwordx2 v[4:5], v8, s[6:7]
	global_load_ubyte v9, v8, s[6:7] offset:8
	v_cmp_eq_u16_sdwa vcc, v1, v8 src0_sel:BYTE_0 src1_sel:DWORD
	s_waitcnt vmcnt(1)
	v_cndmask_b32_e32 v4, 0, v4, vcc
	v_cndmask_b32_e32 v5, 0, v5, vcc
	s_waitcnt vmcnt(0)
	v_or_b32_e32 v1, v1, v9
	v_add_co_u32_e32 v2, vcc, v4, v2
	v_addc_co_u32_e32 v3, vcc, v5, v3, vcc
	v_and_b32_e32 v1, 1, v1
.LBB95_183:
	s_or_b64 exec, exec, s[4:5]
	v_mov_b32_e32 v5, 0
	v_cmp_eq_u16_sdwa vcc, v112, v5 src0_sel:BYTE_0 src1_sel:DWORD
	v_cndmask_b32_e32 v9, 0, v2, vcc
	v_cndmask_b32_e32 v8, 0, v3, vcc
	v_add_co_u32_e64 v40, s[4:5], v9, v14
	v_cmp_eq_u16_sdwa s[6:7], v111, v5 src0_sel:BYTE_0 src1_sel:DWORD
	v_addc_co_u32_e64 v41, s[4:5], v8, v15, s[4:5]
	v_cndmask_b32_e64 v9, 0, v40, s[6:7]
	v_cndmask_b32_e64 v8, 0, v41, s[6:7]
	v_add_co_u32_e64 v72, s[4:5], v9, v10
	v_cmp_eq_u16_sdwa s[8:9], v113, v5 src0_sel:BYTE_0 src1_sel:DWORD
	v_addc_co_u32_e64 v73, s[4:5], v8, v11, s[4:5]
	v_cndmask_b32_e64 v9, 0, v72, s[8:9]
	v_cndmask_b32_e64 v8, 0, v73, s[8:9]
	;; [unrolled: 5-line block ×17, first 2 shown]
	v_add_co_u32_e64 v108, s[4:5], v8, v16
	v_addc_co_u32_e64 v109, s[4:5], v5, v17, s[4:5]
	v_or_b32_e32 v5, v29, v125
	v_or_b32_e32 v5, v5, v124
	;; [unrolled: 1-line block ×15, first 2 shown]
	v_and_b32_e32 v5, 1, v5
	v_and_b32_e32 v4, 0xff, v1
	v_cmp_eq_u32_e64 s[4:5], 1, v5
	v_mbcnt_hi_u32_b32 v12, -1, v28
	v_cndmask_b32_e64 v13, v4, 1, s[4:5]
	v_and_b32_e32 v20, 15, v12
	v_mov_b32_dpp v24, v108 row_shr:1 row_mask:0xf bank_mask:0xf
	v_mov_b32_dpp v25, v109 row_shr:1 row_mask:0xf bank_mask:0xf
	;; [unrolled: 1-line block ×3, first 2 shown]
	v_cmp_ne_u32_e64 s[4:5], 0, v20
	v_pk_mov_b32 v[4:5], v[108:109], v[108:109] op_sel:[0,1]
	v_mov_b32_e32 v9, v109
	v_mov_b32_e32 v8, v108
	s_and_saveexec_b64 s[42:43], s[4:5]
; %bb.184:
	v_cmp_eq_u32_e64 s[4:5], 0, v13
	v_cndmask_b32_e64 v4, 0, v24, s[4:5]
	v_cndmask_b32_e64 v5, 0, v25, s[4:5]
	v_add_co_u32_e64 v4, s[4:5], v108, v4
	v_addc_co_u32_e64 v5, s[4:5], v109, v5, s[4:5]
	v_and_or_b32 v13, v21, 1, v13
	v_mov_b32_e32 v9, v5
	v_mov_b32_e32 v8, v4
; %bb.185:
	s_or_b64 exec, exec, s[42:43]
	s_nop 0
	v_mov_b32_dpp v24, v8 row_shr:2 row_mask:0xf bank_mask:0xf
	v_mov_b32_dpp v25, v9 row_shr:2 row_mask:0xf bank_mask:0xf
	v_mov_b32_dpp v21, v13 row_shr:2 row_mask:0xf bank_mask:0xf
	v_cmp_lt_u32_e64 s[4:5], 1, v20
	s_and_saveexec_b64 s[42:43], s[4:5]
; %bb.186:
	v_cmp_eq_u32_e64 s[4:5], 0, v13
	v_cndmask_b32_e64 v8, 0, v24, s[4:5]
	v_cndmask_b32_e64 v9, 0, v25, s[4:5]
	v_add_co_u32_e64 v8, s[4:5], v8, v4
	v_addc_co_u32_e64 v9, s[4:5], v9, v5, s[4:5]
	v_or_b32_e32 v4, v21, v13
	v_and_b32_e32 v13, 1, v4
	v_pk_mov_b32 v[4:5], v[8:9], v[8:9] op_sel:[0,1]
; %bb.187:
	s_or_b64 exec, exec, s[42:43]
	v_mov_b32_dpp v24, v8 row_shr:4 row_mask:0xf bank_mask:0xf
	v_mov_b32_dpp v25, v9 row_shr:4 row_mask:0xf bank_mask:0xf
	v_mov_b32_dpp v21, v13 row_shr:4 row_mask:0xf bank_mask:0xf
	v_cmp_lt_u32_e64 s[4:5], 3, v20
	s_and_saveexec_b64 s[42:43], s[4:5]
; %bb.188:
	v_cmp_eq_u32_e64 s[4:5], 0, v13
	v_cndmask_b32_e64 v8, 0, v24, s[4:5]
	v_cndmask_b32_e64 v9, 0, v25, s[4:5]
	v_add_co_u32_e64 v8, s[4:5], v8, v4
	v_addc_co_u32_e64 v9, s[4:5], v9, v5, s[4:5]
	v_or_b32_e32 v4, v21, v13
	v_and_b32_e32 v13, 1, v4
	v_pk_mov_b32 v[4:5], v[8:9], v[8:9] op_sel:[0,1]
; %bb.189:
	s_or_b64 exec, exec, s[42:43]
	;; [unrolled: 16-line block ×3, first 2 shown]
	v_and_b32_e32 v25, 16, v12
	v_mov_b32_dpp v21, v8 row_bcast:15 row_mask:0xf bank_mask:0xf
	v_mov_b32_dpp v24, v9 row_bcast:15 row_mask:0xf bank_mask:0xf
	;; [unrolled: 1-line block ×3, first 2 shown]
	v_cmp_ne_u32_e64 s[4:5], 0, v25
	s_and_saveexec_b64 s[42:43], s[4:5]
; %bb.192:
	v_cmp_eq_u32_e64 s[4:5], 0, v13
	v_cndmask_b32_e64 v9, 0, v21, s[4:5]
	v_cndmask_b32_e64 v8, 0, v24, s[4:5]
	v_add_co_u32_e64 v4, s[4:5], v9, v4
	v_addc_co_u32_e64 v5, s[4:5], v8, v5, s[4:5]
	v_or_b32_e32 v8, v20, v13
	v_and_b32_e32 v13, 1, v8
	v_mov_b32_e32 v9, v5
	v_mov_b32_e32 v8, v4
; %bb.193:
	s_or_b64 exec, exec, s[42:43]
	s_nop 0
	v_mov_b32_dpp v20, v8 row_bcast:31 row_mask:0xf bank_mask:0xf
	v_mov_b32_dpp v9, v9 row_bcast:31 row_mask:0xf bank_mask:0xf
	;; [unrolled: 1-line block ×3, first 2 shown]
	v_cmp_lt_u32_e64 s[4:5], 31, v12
	s_and_saveexec_b64 s[42:43], s[4:5]
; %bb.194:
	v_cmp_eq_u32_e64 s[4:5], 0, v13
	v_cndmask_b32_e64 v20, 0, v20, s[4:5]
	v_cndmask_b32_e64 v9, 0, v9, s[4:5]
	v_add_co_u32_e64 v4, s[4:5], v20, v4
	v_or_b32_e32 v8, v8, v13
	v_addc_co_u32_e64 v5, s[4:5], v9, v5, s[4:5]
	v_and_b32_e32 v13, 1, v8
; %bb.195:
	s_or_b64 exec, exec, s[42:43]
	v_cmp_eq_u32_e64 s[4:5], 63, v0
	s_and_saveexec_b64 s[42:43], s[4:5]
	s_cbranch_execz .LBB95_197
; %bb.196:
	v_mov_b32_e32 v8, 0
	ds_write_b64 v8, v[4:5]
	ds_write_b8 v8, v13 offset:8
.LBB95_197:
	s_or_b64 exec, exec, s[42:43]
	v_add_u32_e32 v8, -1, v12
	v_and_b32_e32 v9, 64, v12
	v_cmp_lt_i32_e64 s[4:5], v8, v9
	v_cndmask_b32_e64 v8, v8, v12, s[4:5]
	v_lshlrev_b32_e32 v8, 2, v8
	ds_bpermute_b32 v4, v8, v4
	ds_bpermute_b32 v5, v8, v5
	s_waitcnt lgkmcnt(0)
	; wave barrier
	s_waitcnt lgkmcnt(0)
	s_and_saveexec_b64 s[42:43], s[46:47]
	s_cbranch_execz .LBB95_199
; %bb.198:
	v_mov_b32_e32 v8, 0
	v_cmp_eq_u16_sdwa s[4:5], v1, v8 src0_sel:BYTE_0 src1_sel:DWORD
	v_cndmask_b32_e64 v4, 0, v4, s[4:5]
	v_cndmask_b32_e64 v1, 0, v5, s[4:5]
	v_add_co_u32_e64 v2, s[4:5], v4, v2
	v_addc_co_u32_e64 v3, s[4:5], v1, v3, s[4:5]
	v_cndmask_b32_e32 v4, 0, v2, vcc
	v_cndmask_b32_e32 v1, 0, v3, vcc
	v_add_co_u32_e32 v40, vcc, v4, v14
	v_addc_co_u32_e32 v41, vcc, v1, v15, vcc
	v_cndmask_b32_e64 v4, 0, v40, s[6:7]
	v_cndmask_b32_e64 v1, 0, v41, s[6:7]
	v_add_co_u32_e32 v72, vcc, v4, v10
	v_addc_co_u32_e32 v73, vcc, v1, v11, vcc
	v_cndmask_b32_e64 v4, 0, v72, s[8:9]
	v_cndmask_b32_e64 v1, 0, v73, s[8:9]
	;; [unrolled: 4-line block ×17, first 2 shown]
	v_add_co_u32_e32 v108, vcc, v4, v16
	v_addc_co_u32_e32 v109, vcc, v1, v17, vcc
	;;#ASMSTART
	;;#ASMEND
.LBB95_199:
	s_or_b64 exec, exec, s[42:43]
	s_and_saveexec_b64 s[4:5], s[0:1]
	s_cbranch_execz .LBB95_201
; %bb.200:
	v_mov_b32_e32 v1, 0
	ds_read_b64 v[4:5], v1
	ds_read_u8 v6, v1 offset:8
	v_mov_b32_e32 v7, 2
	s_waitcnt lgkmcnt(1)
	global_store_dwordx2 v1, v[4:5], s[50:51] offset:1024
	s_waitcnt lgkmcnt(0)
	global_store_byte v1, v6, s[50:51] offset:1032
	s_waitcnt vmcnt(0)
	buffer_wbinvl1_vol
	global_store_byte v1, v7, s[52:53] offset:64
.LBB95_201:
	s_or_b64 exec, exec, s[4:5]
	v_pk_mov_b32 v[102:103], v[2:3], v[2:3] op_sel:[0,1]
.LBB95_202:
	s_add_u32 s0, s62, s58
	s_addc_u32 s1, s63, s59
	s_add_u32 s4, s0, s56
	s_addc_u32 s5, s1, s57
	s_and_b64 vcc, exec, s[2:3]
	s_cbranch_vccz .LBB95_240
; %bb.203:
	s_movk_i32 s0, 0x98
	v_mul_i32_i24_e32 v43, 0xffffff70, v0
	v_mul_u32_u24_e32 v42, 0x98, v0
	v_mad_u32_u24 v2, v0, s0, v43
	s_waitcnt lgkmcnt(0)
	; wave barrier
	ds_write2_b64 v42, v[102:103], v[40:41] offset1:1
	ds_write2_b64 v42, v[72:73], v[44:45] offset0:2 offset1:3
	ds_write2_b64 v42, v[76:77], v[48:49] offset0:4 offset1:5
	;; [unrolled: 1-line block ×8, first 2 shown]
	ds_write_b64 v42, v[108:109] offset:144
	s_waitcnt lgkmcnt(0)
	; wave barrier
	s_waitcnt lgkmcnt(0)
	ds_read2st64_b64 v[34:37], v2 offset0:1 offset1:2
	ds_read2st64_b64 v[30:33], v2 offset0:3 offset1:4
	;; [unrolled: 1-line block ×9, first 2 shown]
	v_mov_b32_e32 v39, s5
	v_add_co_u32_e32 v38, vcc, s4, v127
	s_add_i32 s33, s33, s54
	v_addc_co_u32_e32 v39, vcc, 0, v39, vcc
	v_mov_b32_e32 v1, 0
	v_cmp_gt_u32_e32 vcc, s33, v0
	s_and_saveexec_b64 s[0:1], vcc
	s_cbranch_execz .LBB95_205
; %bb.204:
	v_add_u32_e32 v42, v42, v43
	ds_read_b64 v[42:43], v42
	s_waitcnt lgkmcnt(0)
	flat_store_dwordx2 v[38:39], v[42:43]
.LBB95_205:
	s_or_b64 exec, exec, s[0:1]
	v_or_b32_e32 v42, 64, v0
	v_cmp_gt_u32_e32 vcc, s33, v42
	s_and_saveexec_b64 s[0:1], vcc
	s_cbranch_execz .LBB95_207
; %bb.206:
	s_waitcnt lgkmcnt(0)
	flat_store_dwordx2 v[38:39], v[34:35] offset:512
.LBB95_207:
	s_or_b64 exec, exec, s[0:1]
	s_waitcnt lgkmcnt(0)
	v_or_b32_e32 v34, 0x80, v0
	v_cmp_gt_u32_e32 vcc, s33, v34
	s_and_saveexec_b64 s[0:1], vcc
	s_cbranch_execz .LBB95_209
; %bb.208:
	flat_store_dwordx2 v[38:39], v[36:37] offset:1024
.LBB95_209:
	s_or_b64 exec, exec, s[0:1]
	v_or_b32_e32 v34, 0xc0, v0
	v_cmp_gt_u32_e32 vcc, s33, v34
	s_and_saveexec_b64 s[0:1], vcc
	s_cbranch_execz .LBB95_211
; %bb.210:
	flat_store_dwordx2 v[38:39], v[30:31] offset:1536
.LBB95_211:
	s_or_b64 exec, exec, s[0:1]
	;; [unrolled: 8-line block ×6, first 2 shown]
	v_or_b32_e32 v22, 0x200, v0
	v_cmp_gt_u32_e32 vcc, s33, v22
	s_and_saveexec_b64 s[0:1], vcc
	s_cbranch_execz .LBB95_221
; %bb.220:
	v_add_co_u32_e32 v22, vcc, 0x1000, v38
	v_addc_co_u32_e32 v23, vcc, 0, v39, vcc
	flat_store_dwordx2 v[22:23], v[24:25]
.LBB95_221:
	s_or_b64 exec, exec, s[0:1]
	v_or_b32_e32 v22, 0x240, v0
	v_cmp_gt_u32_e32 vcc, s33, v22
	s_and_saveexec_b64 s[0:1], vcc
	s_cbranch_execz .LBB95_223
; %bb.222:
	v_add_co_u32_e32 v22, vcc, 0x1000, v38
	v_addc_co_u32_e32 v23, vcc, 0, v39, vcc
	flat_store_dwordx2 v[22:23], v[18:19] offset:512
.LBB95_223:
	s_or_b64 exec, exec, s[0:1]
	v_or_b32_e32 v18, 0x280, v0
	v_cmp_gt_u32_e32 vcc, s33, v18
	s_and_saveexec_b64 s[0:1], vcc
	s_cbranch_execz .LBB95_225
; %bb.224:
	v_add_co_u32_e32 v18, vcc, 0x1000, v38
	v_addc_co_u32_e32 v19, vcc, 0, v39, vcc
	flat_store_dwordx2 v[18:19], v[20:21] offset:1024
.LBB95_225:
	;; [unrolled: 10-line block ×7, first 2 shown]
	s_or_b64 exec, exec, s[0:1]
	v_or_b32_e32 v6, 0x400, v0
	v_cmp_gt_u32_e32 vcc, s33, v6
	s_and_saveexec_b64 s[0:1], vcc
	s_cbranch_execz .LBB95_237
; %bb.236:
	v_add_co_u32_e32 v6, vcc, 0x2000, v38
	v_addc_co_u32_e32 v7, vcc, 0, v39, vcc
	flat_store_dwordx2 v[6:7], v[8:9]
.LBB95_237:
	s_or_b64 exec, exec, s[0:1]
	v_or_b32_e32 v6, 0x440, v0
	v_cmp_gt_u32_e32 vcc, s33, v6
	s_and_saveexec_b64 s[0:1], vcc
	s_cbranch_execz .LBB95_239
; %bb.238:
	v_add_co_u32_e32 v6, vcc, 0x2000, v38
	v_addc_co_u32_e32 v7, vcc, 0, v39, vcc
	flat_store_dwordx2 v[6:7], v[2:3] offset:512
.LBB95_239:
	s_or_b64 exec, exec, s[0:1]
	v_or_b32_e32 v2, 0x480, v0
	v_cmp_gt_u32_e64 s[0:1], s33, v2
	s_branch .LBB95_242
.LBB95_240:
	s_mov_b64 s[0:1], 0
                                        ; implicit-def: $vgpr4_vgpr5
	s_cbranch_execz .LBB95_242
; %bb.241:
	s_movk_i32 s2, 0x98
	v_mul_i32_i24_e32 v2, 0xffffff70, v0
	v_mul_u32_u24_e32 v1, 0x98, v0
	v_mad_u32_u24 v2, v0, s2, v2
	s_waitcnt lgkmcnt(0)
	; wave barrier
	s_waitcnt lgkmcnt(0)
	ds_write2_b64 v1, v[102:103], v[40:41] offset1:1
	ds_write2_b64 v1, v[72:73], v[44:45] offset0:2 offset1:3
	ds_write2_b64 v1, v[76:77], v[48:49] offset0:4 offset1:5
	;; [unrolled: 1-line block ×8, first 2 shown]
	ds_write_b64 v1, v[108:109] offset:144
	s_waitcnt lgkmcnt(0)
	; wave barrier
	s_waitcnt lgkmcnt(0)
	ds_read2st64_b64 v[6:9], v2 offset1:1
	ds_read2st64_b64 v[10:13], v2 offset0:2 offset1:3
	ds_read2st64_b64 v[14:17], v2 offset0:4 offset1:5
	;; [unrolled: 1-line block ×8, first 2 shown]
	ds_read_b64 v[4:5], v2 offset:9216
	v_mov_b32_e32 v3, s5
	v_add_co_u32_e32 v2, vcc, s4, v127
	v_addc_co_u32_e32 v3, vcc, 0, v3, vcc
	s_movk_i32 s2, 0x1000
	s_waitcnt lgkmcnt(0)
	flat_store_dwordx2 v[2:3], v[6:7]
	flat_store_dwordx2 v[2:3], v[8:9] offset:512
	flat_store_dwordx2 v[2:3], v[10:11] offset:1024
	;; [unrolled: 1-line block ×7, first 2 shown]
	v_add_co_u32_e32 v6, vcc, s2, v2
	v_addc_co_u32_e32 v7, vcc, 0, v3, vcc
	v_add_co_u32_e32 v2, vcc, 0x2000, v2
	v_mov_b32_e32 v1, 0
	v_addc_co_u32_e32 v3, vcc, 0, v3, vcc
	s_or_b64 s[0:1], s[0:1], exec
	flat_store_dwordx2 v[6:7], v[22:23]
	flat_store_dwordx2 v[6:7], v[24:25] offset:512
	flat_store_dwordx2 v[6:7], v[26:27] offset:1024
	;; [unrolled: 1-line block ×7, first 2 shown]
	flat_store_dwordx2 v[2:3], v[38:39]
	flat_store_dwordx2 v[2:3], v[40:41] offset:512
.LBB95_242:
	s_and_saveexec_b64 s[2:3], s[0:1]
	s_cbranch_execnz .LBB95_244
; %bb.243:
	s_endpgm
.LBB95_244:
	v_lshlrev_b64 v[0:1], 3, v[0:1]
	v_mov_b32_e32 v2, s5
	v_add_co_u32_e32 v0, vcc, s4, v0
	v_addc_co_u32_e32 v1, vcc, v2, v1, vcc
	v_add_co_u32_e32 v0, vcc, 0x2000, v0
	v_addc_co_u32_e32 v1, vcc, 0, v1, vcc
	flat_store_dwordx2 v[0:1], v[4:5] offset:1024
	s_endpgm
.LBB95_245:
	v_mov_b32_e32 v3, s79
	v_add_co_u32_e32 v2, vcc, s78, v50
	v_addc_co_u32_e32 v3, vcc, 0, v3, vcc
	flat_load_dwordx2 v[2:3], v[2:3]
	s_or_b64 exec, exec, s[4:5]
                                        ; implicit-def: $vgpr6_vgpr7
	s_and_saveexec_b64 s[4:5], s[8:9]
	s_cbranch_execz .LBB95_51
.LBB95_246:
	v_mov_b32_e32 v7, s79
	v_add_co_u32_e32 v6, vcc, s78, v50
	v_addc_co_u32_e32 v7, vcc, 0, v7, vcc
	flat_load_dwordx2 v[6:7], v[6:7] offset:512
	s_or_b64 exec, exec, s[4:5]
                                        ; implicit-def: $vgpr10_vgpr11
	s_and_saveexec_b64 s[4:5], s[10:11]
	s_cbranch_execz .LBB95_52
.LBB95_247:
	v_mov_b32_e32 v11, s79
	v_add_co_u32_e32 v10, vcc, s78, v50
	v_addc_co_u32_e32 v11, vcc, 0, v11, vcc
	flat_load_dwordx2 v[10:11], v[10:11] offset:1024
	s_or_b64 exec, exec, s[4:5]
                                        ; implicit-def: $vgpr12_vgpr13
	s_and_saveexec_b64 s[4:5], s[12:13]
	s_cbranch_execz .LBB95_53
.LBB95_248:
	v_mov_b32_e32 v13, s79
	v_add_co_u32_e32 v12, vcc, s78, v50
	v_addc_co_u32_e32 v13, vcc, 0, v13, vcc
	flat_load_dwordx2 v[12:13], v[12:13] offset:1536
	s_or_b64 exec, exec, s[4:5]
                                        ; implicit-def: $vgpr14_vgpr15
	s_and_saveexec_b64 s[4:5], s[14:15]
	s_cbranch_execz .LBB95_54
.LBB95_249:
	v_mov_b32_e32 v15, s79
	v_add_co_u32_e32 v14, vcc, s78, v50
	v_addc_co_u32_e32 v15, vcc, 0, v15, vcc
	flat_load_dwordx2 v[14:15], v[14:15] offset:2048
	s_or_b64 exec, exec, s[4:5]
                                        ; implicit-def: $vgpr16_vgpr17
	s_and_saveexec_b64 s[4:5], s[16:17]
	s_cbranch_execz .LBB95_55
.LBB95_250:
	v_mov_b32_e32 v17, s79
	v_add_co_u32_e32 v16, vcc, s78, v50
	v_addc_co_u32_e32 v17, vcc, 0, v17, vcc
	flat_load_dwordx2 v[16:17], v[16:17] offset:2560
	s_or_b64 exec, exec, s[4:5]
                                        ; implicit-def: $vgpr18_vgpr19
	s_and_saveexec_b64 s[4:5], s[18:19]
	s_cbranch_execz .LBB95_56
.LBB95_251:
	v_mov_b32_e32 v19, s79
	v_add_co_u32_e32 v18, vcc, s78, v50
	v_addc_co_u32_e32 v19, vcc, 0, v19, vcc
	flat_load_dwordx2 v[18:19], v[18:19] offset:3072
	s_or_b64 exec, exec, s[4:5]
                                        ; implicit-def: $vgpr20_vgpr21
	s_and_saveexec_b64 s[4:5], s[20:21]
	s_cbranch_execz .LBB95_57
.LBB95_252:
	v_mov_b32_e32 v21, s79
	v_add_co_u32_e32 v20, vcc, s78, v50
	v_addc_co_u32_e32 v21, vcc, 0, v21, vcc
	flat_load_dwordx2 v[20:21], v[20:21] offset:3584
	s_or_b64 exec, exec, s[4:5]
                                        ; implicit-def: $vgpr22_vgpr23
	s_and_saveexec_b64 s[4:5], s[22:23]
	s_cbranch_execz .LBB95_58
.LBB95_253:
	v_lshlrev_b32_e32 v1, 3, v1
	v_mov_b32_e32 v23, s79
	v_add_co_u32_e32 v22, vcc, s78, v1
	v_addc_co_u32_e32 v23, vcc, 0, v23, vcc
	flat_load_dwordx2 v[22:23], v[22:23]
	s_or_b64 exec, exec, s[4:5]
                                        ; implicit-def: $vgpr24_vgpr25
	s_and_saveexec_b64 s[4:5], s[24:25]
	s_cbranch_execz .LBB95_59
.LBB95_254:
	v_lshlrev_b32_e32 v1, 3, v40
	v_mov_b32_e32 v25, s79
	v_add_co_u32_e32 v24, vcc, s78, v1
	v_addc_co_u32_e32 v25, vcc, 0, v25, vcc
	flat_load_dwordx2 v[24:25], v[24:25]
	s_or_b64 exec, exec, s[4:5]
                                        ; implicit-def: $vgpr26_vgpr27
	s_and_saveexec_b64 s[4:5], s[26:27]
	s_cbranch_execz .LBB95_60
.LBB95_255:
	v_lshlrev_b32_e32 v1, 3, v41
	v_mov_b32_e32 v27, s79
	v_add_co_u32_e32 v26, vcc, s78, v1
	v_addc_co_u32_e32 v27, vcc, 0, v27, vcc
	flat_load_dwordx2 v[26:27], v[26:27]
	s_or_b64 exec, exec, s[4:5]
                                        ; implicit-def: $vgpr28_vgpr29
	s_and_saveexec_b64 s[4:5], s[28:29]
	s_cbranch_execz .LBB95_61
.LBB95_256:
	v_lshlrev_b32_e32 v1, 3, v42
	v_mov_b32_e32 v29, s79
	v_add_co_u32_e32 v28, vcc, s78, v1
	v_addc_co_u32_e32 v29, vcc, 0, v29, vcc
	flat_load_dwordx2 v[28:29], v[28:29]
	s_or_b64 exec, exec, s[4:5]
                                        ; implicit-def: $vgpr30_vgpr31
	s_and_saveexec_b64 s[4:5], s[30:31]
	s_cbranch_execz .LBB95_62
.LBB95_257:
	v_lshlrev_b32_e32 v1, 3, v43
	v_mov_b32_e32 v31, s79
	v_add_co_u32_e32 v30, vcc, s78, v1
	v_addc_co_u32_e32 v31, vcc, 0, v31, vcc
	flat_load_dwordx2 v[30:31], v[30:31]
	s_or_b64 exec, exec, s[4:5]
                                        ; implicit-def: $vgpr32_vgpr33
	s_and_saveexec_b64 s[4:5], s[34:35]
	s_cbranch_execz .LBB95_63
.LBB95_258:
	v_lshlrev_b32_e32 v1, 3, v44
	v_mov_b32_e32 v33, s79
	v_add_co_u32_e32 v32, vcc, s78, v1
	v_addc_co_u32_e32 v33, vcc, 0, v33, vcc
	flat_load_dwordx2 v[32:33], v[32:33]
	s_or_b64 exec, exec, s[4:5]
                                        ; implicit-def: $vgpr34_vgpr35
	s_and_saveexec_b64 s[4:5], s[36:37]
	s_cbranch_execz .LBB95_64
.LBB95_259:
	v_lshlrev_b32_e32 v1, 3, v45
	v_mov_b32_e32 v35, s79
	v_add_co_u32_e32 v34, vcc, s78, v1
	v_addc_co_u32_e32 v35, vcc, 0, v35, vcc
	flat_load_dwordx2 v[34:35], v[34:35]
	s_or_b64 exec, exec, s[4:5]
                                        ; implicit-def: $vgpr36_vgpr37
	s_and_saveexec_b64 s[4:5], s[38:39]
	s_cbranch_execz .LBB95_65
.LBB95_260:
	v_lshlrev_b32_e32 v1, 3, v46
	v_mov_b32_e32 v37, s79
	v_add_co_u32_e32 v36, vcc, s78, v1
	v_addc_co_u32_e32 v37, vcc, 0, v37, vcc
	flat_load_dwordx2 v[36:37], v[36:37]
	s_or_b64 exec, exec, s[4:5]
                                        ; implicit-def: $vgpr38_vgpr39
	s_and_saveexec_b64 s[4:5], s[40:41]
	s_cbranch_execz .LBB95_66
.LBB95_261:
	v_lshlrev_b32_e32 v1, 3, v47
	v_mov_b32_e32 v39, s79
	v_add_co_u32_e32 v38, vcc, s78, v1
	v_addc_co_u32_e32 v39, vcc, 0, v39, vcc
	flat_load_dwordx2 v[38:39], v[38:39]
	s_or_b64 exec, exec, s[4:5]
                                        ; implicit-def: $vgpr40_vgpr41
	s_and_saveexec_b64 s[4:5], s[42:43]
	s_cbranch_execz .LBB95_67
.LBB95_262:
	v_lshlrev_b32_e32 v1, 3, v49
	v_mov_b32_e32 v41, s79
	v_add_co_u32_e32 v40, vcc, s78, v1
	v_addc_co_u32_e32 v41, vcc, 0, v41, vcc
	flat_load_dwordx2 v[40:41], v[40:41]
	s_or_b64 exec, exec, s[4:5]
                                        ; implicit-def: $vgpr42_vgpr43
	s_and_saveexec_b64 s[4:5], s[44:45]
	s_cbranch_execnz .LBB95_68
	s_branch .LBB95_69
.LBB95_263:
                                        ; implicit-def: $sgpr4_sgpr5
	s_branch .LBB95_46
.LBB95_264:
                                        ; implicit-def: $sgpr4_sgpr5
	s_branch .LBB95_110
	.section	.rodata,"a",@progbits
	.p2align	6, 0x0
	.amdhsa_kernel _ZN7rocprim17ROCPRIM_400000_NS6detail17trampoline_kernelINS0_14default_configENS1_27scan_by_key_config_selectorIxxEEZZNS1_16scan_by_key_implILNS1_25lookback_scan_determinismE0ELb0ES3_N6thrust23THRUST_200600_302600_NS6detail15normal_iteratorINS9_10device_ptrIxEEEESE_SE_xNS9_4plusIvEENS9_8equal_toIxEExEE10hipError_tPvRmT2_T3_T4_T5_mT6_T7_P12ihipStream_tbENKUlT_T0_E_clISt17integral_constantIbLb1EESZ_EEDaSU_SV_EUlSU_E_NS1_11comp_targetILNS1_3genE4ELNS1_11target_archE910ELNS1_3gpuE8ELNS1_3repE0EEENS1_30default_config_static_selectorELNS0_4arch9wavefront6targetE1EEEvT1_
		.amdhsa_group_segment_fixed_size 10752
		.amdhsa_private_segment_fixed_size 0
		.amdhsa_kernarg_size 136
		.amdhsa_user_sgpr_count 6
		.amdhsa_user_sgpr_private_segment_buffer 1
		.amdhsa_user_sgpr_dispatch_ptr 0
		.amdhsa_user_sgpr_queue_ptr 0
		.amdhsa_user_sgpr_kernarg_segment_ptr 1
		.amdhsa_user_sgpr_dispatch_id 0
		.amdhsa_user_sgpr_flat_scratch_init 0
		.amdhsa_user_sgpr_kernarg_preload_length 0
		.amdhsa_user_sgpr_kernarg_preload_offset 0
		.amdhsa_user_sgpr_private_segment_size 0
		.amdhsa_uses_dynamic_stack 0
		.amdhsa_system_sgpr_private_segment_wavefront_offset 0
		.amdhsa_system_sgpr_workgroup_id_x 1
		.amdhsa_system_sgpr_workgroup_id_y 0
		.amdhsa_system_sgpr_workgroup_id_z 0
		.amdhsa_system_sgpr_workgroup_info 0
		.amdhsa_system_vgpr_workitem_id 0
		.amdhsa_next_free_vgpr 128
		.amdhsa_next_free_sgpr 82
		.amdhsa_accum_offset 128
		.amdhsa_reserve_vcc 1
		.amdhsa_reserve_flat_scratch 0
		.amdhsa_float_round_mode_32 0
		.amdhsa_float_round_mode_16_64 0
		.amdhsa_float_denorm_mode_32 3
		.amdhsa_float_denorm_mode_16_64 3
		.amdhsa_dx10_clamp 1
		.amdhsa_ieee_mode 1
		.amdhsa_fp16_overflow 0
		.amdhsa_tg_split 0
		.amdhsa_exception_fp_ieee_invalid_op 0
		.amdhsa_exception_fp_denorm_src 0
		.amdhsa_exception_fp_ieee_div_zero 0
		.amdhsa_exception_fp_ieee_overflow 0
		.amdhsa_exception_fp_ieee_underflow 0
		.amdhsa_exception_fp_ieee_inexact 0
		.amdhsa_exception_int_div_zero 0
	.end_amdhsa_kernel
	.section	.text._ZN7rocprim17ROCPRIM_400000_NS6detail17trampoline_kernelINS0_14default_configENS1_27scan_by_key_config_selectorIxxEEZZNS1_16scan_by_key_implILNS1_25lookback_scan_determinismE0ELb0ES3_N6thrust23THRUST_200600_302600_NS6detail15normal_iteratorINS9_10device_ptrIxEEEESE_SE_xNS9_4plusIvEENS9_8equal_toIxEExEE10hipError_tPvRmT2_T3_T4_T5_mT6_T7_P12ihipStream_tbENKUlT_T0_E_clISt17integral_constantIbLb1EESZ_EEDaSU_SV_EUlSU_E_NS1_11comp_targetILNS1_3genE4ELNS1_11target_archE910ELNS1_3gpuE8ELNS1_3repE0EEENS1_30default_config_static_selectorELNS0_4arch9wavefront6targetE1EEEvT1_,"axG",@progbits,_ZN7rocprim17ROCPRIM_400000_NS6detail17trampoline_kernelINS0_14default_configENS1_27scan_by_key_config_selectorIxxEEZZNS1_16scan_by_key_implILNS1_25lookback_scan_determinismE0ELb0ES3_N6thrust23THRUST_200600_302600_NS6detail15normal_iteratorINS9_10device_ptrIxEEEESE_SE_xNS9_4plusIvEENS9_8equal_toIxEExEE10hipError_tPvRmT2_T3_T4_T5_mT6_T7_P12ihipStream_tbENKUlT_T0_E_clISt17integral_constantIbLb1EESZ_EEDaSU_SV_EUlSU_E_NS1_11comp_targetILNS1_3genE4ELNS1_11target_archE910ELNS1_3gpuE8ELNS1_3repE0EEENS1_30default_config_static_selectorELNS0_4arch9wavefront6targetE1EEEvT1_,comdat
.Lfunc_end95:
	.size	_ZN7rocprim17ROCPRIM_400000_NS6detail17trampoline_kernelINS0_14default_configENS1_27scan_by_key_config_selectorIxxEEZZNS1_16scan_by_key_implILNS1_25lookback_scan_determinismE0ELb0ES3_N6thrust23THRUST_200600_302600_NS6detail15normal_iteratorINS9_10device_ptrIxEEEESE_SE_xNS9_4plusIvEENS9_8equal_toIxEExEE10hipError_tPvRmT2_T3_T4_T5_mT6_T7_P12ihipStream_tbENKUlT_T0_E_clISt17integral_constantIbLb1EESZ_EEDaSU_SV_EUlSU_E_NS1_11comp_targetILNS1_3genE4ELNS1_11target_archE910ELNS1_3gpuE8ELNS1_3repE0EEENS1_30default_config_static_selectorELNS0_4arch9wavefront6targetE1EEEvT1_, .Lfunc_end95-_ZN7rocprim17ROCPRIM_400000_NS6detail17trampoline_kernelINS0_14default_configENS1_27scan_by_key_config_selectorIxxEEZZNS1_16scan_by_key_implILNS1_25lookback_scan_determinismE0ELb0ES3_N6thrust23THRUST_200600_302600_NS6detail15normal_iteratorINS9_10device_ptrIxEEEESE_SE_xNS9_4plusIvEENS9_8equal_toIxEExEE10hipError_tPvRmT2_T3_T4_T5_mT6_T7_P12ihipStream_tbENKUlT_T0_E_clISt17integral_constantIbLb1EESZ_EEDaSU_SV_EUlSU_E_NS1_11comp_targetILNS1_3genE4ELNS1_11target_archE910ELNS1_3gpuE8ELNS1_3repE0EEENS1_30default_config_static_selectorELNS0_4arch9wavefront6targetE1EEEvT1_
                                        ; -- End function
	.section	.AMDGPU.csdata,"",@progbits
; Kernel info:
; codeLenInByte = 15000
; NumSgprs: 86
; NumVgprs: 128
; NumAgprs: 0
; TotalNumVgprs: 128
; ScratchSize: 0
; MemoryBound: 0
; FloatMode: 240
; IeeeMode: 1
; LDSByteSize: 10752 bytes/workgroup (compile time only)
; SGPRBlocks: 10
; VGPRBlocks: 15
; NumSGPRsForWavesPerEU: 86
; NumVGPRsForWavesPerEU: 128
; AccumOffset: 128
; Occupancy: 2
; WaveLimiterHint : 1
; COMPUTE_PGM_RSRC2:SCRATCH_EN: 0
; COMPUTE_PGM_RSRC2:USER_SGPR: 6
; COMPUTE_PGM_RSRC2:TRAP_HANDLER: 0
; COMPUTE_PGM_RSRC2:TGID_X_EN: 1
; COMPUTE_PGM_RSRC2:TGID_Y_EN: 0
; COMPUTE_PGM_RSRC2:TGID_Z_EN: 0
; COMPUTE_PGM_RSRC2:TIDIG_COMP_CNT: 0
; COMPUTE_PGM_RSRC3_GFX90A:ACCUM_OFFSET: 31
; COMPUTE_PGM_RSRC3_GFX90A:TG_SPLIT: 0
	.section	.text._ZN7rocprim17ROCPRIM_400000_NS6detail17trampoline_kernelINS0_14default_configENS1_27scan_by_key_config_selectorIxxEEZZNS1_16scan_by_key_implILNS1_25lookback_scan_determinismE0ELb0ES3_N6thrust23THRUST_200600_302600_NS6detail15normal_iteratorINS9_10device_ptrIxEEEESE_SE_xNS9_4plusIvEENS9_8equal_toIxEExEE10hipError_tPvRmT2_T3_T4_T5_mT6_T7_P12ihipStream_tbENKUlT_T0_E_clISt17integral_constantIbLb1EESZ_EEDaSU_SV_EUlSU_E_NS1_11comp_targetILNS1_3genE3ELNS1_11target_archE908ELNS1_3gpuE7ELNS1_3repE0EEENS1_30default_config_static_selectorELNS0_4arch9wavefront6targetE1EEEvT1_,"axG",@progbits,_ZN7rocprim17ROCPRIM_400000_NS6detail17trampoline_kernelINS0_14default_configENS1_27scan_by_key_config_selectorIxxEEZZNS1_16scan_by_key_implILNS1_25lookback_scan_determinismE0ELb0ES3_N6thrust23THRUST_200600_302600_NS6detail15normal_iteratorINS9_10device_ptrIxEEEESE_SE_xNS9_4plusIvEENS9_8equal_toIxEExEE10hipError_tPvRmT2_T3_T4_T5_mT6_T7_P12ihipStream_tbENKUlT_T0_E_clISt17integral_constantIbLb1EESZ_EEDaSU_SV_EUlSU_E_NS1_11comp_targetILNS1_3genE3ELNS1_11target_archE908ELNS1_3gpuE7ELNS1_3repE0EEENS1_30default_config_static_selectorELNS0_4arch9wavefront6targetE1EEEvT1_,comdat
	.protected	_ZN7rocprim17ROCPRIM_400000_NS6detail17trampoline_kernelINS0_14default_configENS1_27scan_by_key_config_selectorIxxEEZZNS1_16scan_by_key_implILNS1_25lookback_scan_determinismE0ELb0ES3_N6thrust23THRUST_200600_302600_NS6detail15normal_iteratorINS9_10device_ptrIxEEEESE_SE_xNS9_4plusIvEENS9_8equal_toIxEExEE10hipError_tPvRmT2_T3_T4_T5_mT6_T7_P12ihipStream_tbENKUlT_T0_E_clISt17integral_constantIbLb1EESZ_EEDaSU_SV_EUlSU_E_NS1_11comp_targetILNS1_3genE3ELNS1_11target_archE908ELNS1_3gpuE7ELNS1_3repE0EEENS1_30default_config_static_selectorELNS0_4arch9wavefront6targetE1EEEvT1_ ; -- Begin function _ZN7rocprim17ROCPRIM_400000_NS6detail17trampoline_kernelINS0_14default_configENS1_27scan_by_key_config_selectorIxxEEZZNS1_16scan_by_key_implILNS1_25lookback_scan_determinismE0ELb0ES3_N6thrust23THRUST_200600_302600_NS6detail15normal_iteratorINS9_10device_ptrIxEEEESE_SE_xNS9_4plusIvEENS9_8equal_toIxEExEE10hipError_tPvRmT2_T3_T4_T5_mT6_T7_P12ihipStream_tbENKUlT_T0_E_clISt17integral_constantIbLb1EESZ_EEDaSU_SV_EUlSU_E_NS1_11comp_targetILNS1_3genE3ELNS1_11target_archE908ELNS1_3gpuE7ELNS1_3repE0EEENS1_30default_config_static_selectorELNS0_4arch9wavefront6targetE1EEEvT1_
	.globl	_ZN7rocprim17ROCPRIM_400000_NS6detail17trampoline_kernelINS0_14default_configENS1_27scan_by_key_config_selectorIxxEEZZNS1_16scan_by_key_implILNS1_25lookback_scan_determinismE0ELb0ES3_N6thrust23THRUST_200600_302600_NS6detail15normal_iteratorINS9_10device_ptrIxEEEESE_SE_xNS9_4plusIvEENS9_8equal_toIxEExEE10hipError_tPvRmT2_T3_T4_T5_mT6_T7_P12ihipStream_tbENKUlT_T0_E_clISt17integral_constantIbLb1EESZ_EEDaSU_SV_EUlSU_E_NS1_11comp_targetILNS1_3genE3ELNS1_11target_archE908ELNS1_3gpuE7ELNS1_3repE0EEENS1_30default_config_static_selectorELNS0_4arch9wavefront6targetE1EEEvT1_
	.p2align	8
	.type	_ZN7rocprim17ROCPRIM_400000_NS6detail17trampoline_kernelINS0_14default_configENS1_27scan_by_key_config_selectorIxxEEZZNS1_16scan_by_key_implILNS1_25lookback_scan_determinismE0ELb0ES3_N6thrust23THRUST_200600_302600_NS6detail15normal_iteratorINS9_10device_ptrIxEEEESE_SE_xNS9_4plusIvEENS9_8equal_toIxEExEE10hipError_tPvRmT2_T3_T4_T5_mT6_T7_P12ihipStream_tbENKUlT_T0_E_clISt17integral_constantIbLb1EESZ_EEDaSU_SV_EUlSU_E_NS1_11comp_targetILNS1_3genE3ELNS1_11target_archE908ELNS1_3gpuE7ELNS1_3repE0EEENS1_30default_config_static_selectorELNS0_4arch9wavefront6targetE1EEEvT1_,@function
_ZN7rocprim17ROCPRIM_400000_NS6detail17trampoline_kernelINS0_14default_configENS1_27scan_by_key_config_selectorIxxEEZZNS1_16scan_by_key_implILNS1_25lookback_scan_determinismE0ELb0ES3_N6thrust23THRUST_200600_302600_NS6detail15normal_iteratorINS9_10device_ptrIxEEEESE_SE_xNS9_4plusIvEENS9_8equal_toIxEExEE10hipError_tPvRmT2_T3_T4_T5_mT6_T7_P12ihipStream_tbENKUlT_T0_E_clISt17integral_constantIbLb1EESZ_EEDaSU_SV_EUlSU_E_NS1_11comp_targetILNS1_3genE3ELNS1_11target_archE908ELNS1_3gpuE7ELNS1_3repE0EEENS1_30default_config_static_selectorELNS0_4arch9wavefront6targetE1EEEvT1_: ; @_ZN7rocprim17ROCPRIM_400000_NS6detail17trampoline_kernelINS0_14default_configENS1_27scan_by_key_config_selectorIxxEEZZNS1_16scan_by_key_implILNS1_25lookback_scan_determinismE0ELb0ES3_N6thrust23THRUST_200600_302600_NS6detail15normal_iteratorINS9_10device_ptrIxEEEESE_SE_xNS9_4plusIvEENS9_8equal_toIxEExEE10hipError_tPvRmT2_T3_T4_T5_mT6_T7_P12ihipStream_tbENKUlT_T0_E_clISt17integral_constantIbLb1EESZ_EEDaSU_SV_EUlSU_E_NS1_11comp_targetILNS1_3genE3ELNS1_11target_archE908ELNS1_3gpuE7ELNS1_3repE0EEENS1_30default_config_static_selectorELNS0_4arch9wavefront6targetE1EEEvT1_
; %bb.0:
	.section	.rodata,"a",@progbits
	.p2align	6, 0x0
	.amdhsa_kernel _ZN7rocprim17ROCPRIM_400000_NS6detail17trampoline_kernelINS0_14default_configENS1_27scan_by_key_config_selectorIxxEEZZNS1_16scan_by_key_implILNS1_25lookback_scan_determinismE0ELb0ES3_N6thrust23THRUST_200600_302600_NS6detail15normal_iteratorINS9_10device_ptrIxEEEESE_SE_xNS9_4plusIvEENS9_8equal_toIxEExEE10hipError_tPvRmT2_T3_T4_T5_mT6_T7_P12ihipStream_tbENKUlT_T0_E_clISt17integral_constantIbLb1EESZ_EEDaSU_SV_EUlSU_E_NS1_11comp_targetILNS1_3genE3ELNS1_11target_archE908ELNS1_3gpuE7ELNS1_3repE0EEENS1_30default_config_static_selectorELNS0_4arch9wavefront6targetE1EEEvT1_
		.amdhsa_group_segment_fixed_size 0
		.amdhsa_private_segment_fixed_size 0
		.amdhsa_kernarg_size 136
		.amdhsa_user_sgpr_count 6
		.amdhsa_user_sgpr_private_segment_buffer 1
		.amdhsa_user_sgpr_dispatch_ptr 0
		.amdhsa_user_sgpr_queue_ptr 0
		.amdhsa_user_sgpr_kernarg_segment_ptr 1
		.amdhsa_user_sgpr_dispatch_id 0
		.amdhsa_user_sgpr_flat_scratch_init 0
		.amdhsa_user_sgpr_kernarg_preload_length 0
		.amdhsa_user_sgpr_kernarg_preload_offset 0
		.amdhsa_user_sgpr_private_segment_size 0
		.amdhsa_uses_dynamic_stack 0
		.amdhsa_system_sgpr_private_segment_wavefront_offset 0
		.amdhsa_system_sgpr_workgroup_id_x 1
		.amdhsa_system_sgpr_workgroup_id_y 0
		.amdhsa_system_sgpr_workgroup_id_z 0
		.amdhsa_system_sgpr_workgroup_info 0
		.amdhsa_system_vgpr_workitem_id 0
		.amdhsa_next_free_vgpr 1
		.amdhsa_next_free_sgpr 0
		.amdhsa_accum_offset 4
		.amdhsa_reserve_vcc 0
		.amdhsa_reserve_flat_scratch 0
		.amdhsa_float_round_mode_32 0
		.amdhsa_float_round_mode_16_64 0
		.amdhsa_float_denorm_mode_32 3
		.amdhsa_float_denorm_mode_16_64 3
		.amdhsa_dx10_clamp 1
		.amdhsa_ieee_mode 1
		.amdhsa_fp16_overflow 0
		.amdhsa_tg_split 0
		.amdhsa_exception_fp_ieee_invalid_op 0
		.amdhsa_exception_fp_denorm_src 0
		.amdhsa_exception_fp_ieee_div_zero 0
		.amdhsa_exception_fp_ieee_overflow 0
		.amdhsa_exception_fp_ieee_underflow 0
		.amdhsa_exception_fp_ieee_inexact 0
		.amdhsa_exception_int_div_zero 0
	.end_amdhsa_kernel
	.section	.text._ZN7rocprim17ROCPRIM_400000_NS6detail17trampoline_kernelINS0_14default_configENS1_27scan_by_key_config_selectorIxxEEZZNS1_16scan_by_key_implILNS1_25lookback_scan_determinismE0ELb0ES3_N6thrust23THRUST_200600_302600_NS6detail15normal_iteratorINS9_10device_ptrIxEEEESE_SE_xNS9_4plusIvEENS9_8equal_toIxEExEE10hipError_tPvRmT2_T3_T4_T5_mT6_T7_P12ihipStream_tbENKUlT_T0_E_clISt17integral_constantIbLb1EESZ_EEDaSU_SV_EUlSU_E_NS1_11comp_targetILNS1_3genE3ELNS1_11target_archE908ELNS1_3gpuE7ELNS1_3repE0EEENS1_30default_config_static_selectorELNS0_4arch9wavefront6targetE1EEEvT1_,"axG",@progbits,_ZN7rocprim17ROCPRIM_400000_NS6detail17trampoline_kernelINS0_14default_configENS1_27scan_by_key_config_selectorIxxEEZZNS1_16scan_by_key_implILNS1_25lookback_scan_determinismE0ELb0ES3_N6thrust23THRUST_200600_302600_NS6detail15normal_iteratorINS9_10device_ptrIxEEEESE_SE_xNS9_4plusIvEENS9_8equal_toIxEExEE10hipError_tPvRmT2_T3_T4_T5_mT6_T7_P12ihipStream_tbENKUlT_T0_E_clISt17integral_constantIbLb1EESZ_EEDaSU_SV_EUlSU_E_NS1_11comp_targetILNS1_3genE3ELNS1_11target_archE908ELNS1_3gpuE7ELNS1_3repE0EEENS1_30default_config_static_selectorELNS0_4arch9wavefront6targetE1EEEvT1_,comdat
.Lfunc_end96:
	.size	_ZN7rocprim17ROCPRIM_400000_NS6detail17trampoline_kernelINS0_14default_configENS1_27scan_by_key_config_selectorIxxEEZZNS1_16scan_by_key_implILNS1_25lookback_scan_determinismE0ELb0ES3_N6thrust23THRUST_200600_302600_NS6detail15normal_iteratorINS9_10device_ptrIxEEEESE_SE_xNS9_4plusIvEENS9_8equal_toIxEExEE10hipError_tPvRmT2_T3_T4_T5_mT6_T7_P12ihipStream_tbENKUlT_T0_E_clISt17integral_constantIbLb1EESZ_EEDaSU_SV_EUlSU_E_NS1_11comp_targetILNS1_3genE3ELNS1_11target_archE908ELNS1_3gpuE7ELNS1_3repE0EEENS1_30default_config_static_selectorELNS0_4arch9wavefront6targetE1EEEvT1_, .Lfunc_end96-_ZN7rocprim17ROCPRIM_400000_NS6detail17trampoline_kernelINS0_14default_configENS1_27scan_by_key_config_selectorIxxEEZZNS1_16scan_by_key_implILNS1_25lookback_scan_determinismE0ELb0ES3_N6thrust23THRUST_200600_302600_NS6detail15normal_iteratorINS9_10device_ptrIxEEEESE_SE_xNS9_4plusIvEENS9_8equal_toIxEExEE10hipError_tPvRmT2_T3_T4_T5_mT6_T7_P12ihipStream_tbENKUlT_T0_E_clISt17integral_constantIbLb1EESZ_EEDaSU_SV_EUlSU_E_NS1_11comp_targetILNS1_3genE3ELNS1_11target_archE908ELNS1_3gpuE7ELNS1_3repE0EEENS1_30default_config_static_selectorELNS0_4arch9wavefront6targetE1EEEvT1_
                                        ; -- End function
	.section	.AMDGPU.csdata,"",@progbits
; Kernel info:
; codeLenInByte = 0
; NumSgprs: 4
; NumVgprs: 0
; NumAgprs: 0
; TotalNumVgprs: 0
; ScratchSize: 0
; MemoryBound: 0
; FloatMode: 240
; IeeeMode: 1
; LDSByteSize: 0 bytes/workgroup (compile time only)
; SGPRBlocks: 0
; VGPRBlocks: 0
; NumSGPRsForWavesPerEU: 4
; NumVGPRsForWavesPerEU: 1
; AccumOffset: 4
; Occupancy: 8
; WaveLimiterHint : 0
; COMPUTE_PGM_RSRC2:SCRATCH_EN: 0
; COMPUTE_PGM_RSRC2:USER_SGPR: 6
; COMPUTE_PGM_RSRC2:TRAP_HANDLER: 0
; COMPUTE_PGM_RSRC2:TGID_X_EN: 1
; COMPUTE_PGM_RSRC2:TGID_Y_EN: 0
; COMPUTE_PGM_RSRC2:TGID_Z_EN: 0
; COMPUTE_PGM_RSRC2:TIDIG_COMP_CNT: 0
; COMPUTE_PGM_RSRC3_GFX90A:ACCUM_OFFSET: 0
; COMPUTE_PGM_RSRC3_GFX90A:TG_SPLIT: 0
	.section	.text._ZN7rocprim17ROCPRIM_400000_NS6detail17trampoline_kernelINS0_14default_configENS1_27scan_by_key_config_selectorIxxEEZZNS1_16scan_by_key_implILNS1_25lookback_scan_determinismE0ELb0ES3_N6thrust23THRUST_200600_302600_NS6detail15normal_iteratorINS9_10device_ptrIxEEEESE_SE_xNS9_4plusIvEENS9_8equal_toIxEExEE10hipError_tPvRmT2_T3_T4_T5_mT6_T7_P12ihipStream_tbENKUlT_T0_E_clISt17integral_constantIbLb1EESZ_EEDaSU_SV_EUlSU_E_NS1_11comp_targetILNS1_3genE2ELNS1_11target_archE906ELNS1_3gpuE6ELNS1_3repE0EEENS1_30default_config_static_selectorELNS0_4arch9wavefront6targetE1EEEvT1_,"axG",@progbits,_ZN7rocprim17ROCPRIM_400000_NS6detail17trampoline_kernelINS0_14default_configENS1_27scan_by_key_config_selectorIxxEEZZNS1_16scan_by_key_implILNS1_25lookback_scan_determinismE0ELb0ES3_N6thrust23THRUST_200600_302600_NS6detail15normal_iteratorINS9_10device_ptrIxEEEESE_SE_xNS9_4plusIvEENS9_8equal_toIxEExEE10hipError_tPvRmT2_T3_T4_T5_mT6_T7_P12ihipStream_tbENKUlT_T0_E_clISt17integral_constantIbLb1EESZ_EEDaSU_SV_EUlSU_E_NS1_11comp_targetILNS1_3genE2ELNS1_11target_archE906ELNS1_3gpuE6ELNS1_3repE0EEENS1_30default_config_static_selectorELNS0_4arch9wavefront6targetE1EEEvT1_,comdat
	.protected	_ZN7rocprim17ROCPRIM_400000_NS6detail17trampoline_kernelINS0_14default_configENS1_27scan_by_key_config_selectorIxxEEZZNS1_16scan_by_key_implILNS1_25lookback_scan_determinismE0ELb0ES3_N6thrust23THRUST_200600_302600_NS6detail15normal_iteratorINS9_10device_ptrIxEEEESE_SE_xNS9_4plusIvEENS9_8equal_toIxEExEE10hipError_tPvRmT2_T3_T4_T5_mT6_T7_P12ihipStream_tbENKUlT_T0_E_clISt17integral_constantIbLb1EESZ_EEDaSU_SV_EUlSU_E_NS1_11comp_targetILNS1_3genE2ELNS1_11target_archE906ELNS1_3gpuE6ELNS1_3repE0EEENS1_30default_config_static_selectorELNS0_4arch9wavefront6targetE1EEEvT1_ ; -- Begin function _ZN7rocprim17ROCPRIM_400000_NS6detail17trampoline_kernelINS0_14default_configENS1_27scan_by_key_config_selectorIxxEEZZNS1_16scan_by_key_implILNS1_25lookback_scan_determinismE0ELb0ES3_N6thrust23THRUST_200600_302600_NS6detail15normal_iteratorINS9_10device_ptrIxEEEESE_SE_xNS9_4plusIvEENS9_8equal_toIxEExEE10hipError_tPvRmT2_T3_T4_T5_mT6_T7_P12ihipStream_tbENKUlT_T0_E_clISt17integral_constantIbLb1EESZ_EEDaSU_SV_EUlSU_E_NS1_11comp_targetILNS1_3genE2ELNS1_11target_archE906ELNS1_3gpuE6ELNS1_3repE0EEENS1_30default_config_static_selectorELNS0_4arch9wavefront6targetE1EEEvT1_
	.globl	_ZN7rocprim17ROCPRIM_400000_NS6detail17trampoline_kernelINS0_14default_configENS1_27scan_by_key_config_selectorIxxEEZZNS1_16scan_by_key_implILNS1_25lookback_scan_determinismE0ELb0ES3_N6thrust23THRUST_200600_302600_NS6detail15normal_iteratorINS9_10device_ptrIxEEEESE_SE_xNS9_4plusIvEENS9_8equal_toIxEExEE10hipError_tPvRmT2_T3_T4_T5_mT6_T7_P12ihipStream_tbENKUlT_T0_E_clISt17integral_constantIbLb1EESZ_EEDaSU_SV_EUlSU_E_NS1_11comp_targetILNS1_3genE2ELNS1_11target_archE906ELNS1_3gpuE6ELNS1_3repE0EEENS1_30default_config_static_selectorELNS0_4arch9wavefront6targetE1EEEvT1_
	.p2align	8
	.type	_ZN7rocprim17ROCPRIM_400000_NS6detail17trampoline_kernelINS0_14default_configENS1_27scan_by_key_config_selectorIxxEEZZNS1_16scan_by_key_implILNS1_25lookback_scan_determinismE0ELb0ES3_N6thrust23THRUST_200600_302600_NS6detail15normal_iteratorINS9_10device_ptrIxEEEESE_SE_xNS9_4plusIvEENS9_8equal_toIxEExEE10hipError_tPvRmT2_T3_T4_T5_mT6_T7_P12ihipStream_tbENKUlT_T0_E_clISt17integral_constantIbLb1EESZ_EEDaSU_SV_EUlSU_E_NS1_11comp_targetILNS1_3genE2ELNS1_11target_archE906ELNS1_3gpuE6ELNS1_3repE0EEENS1_30default_config_static_selectorELNS0_4arch9wavefront6targetE1EEEvT1_,@function
_ZN7rocprim17ROCPRIM_400000_NS6detail17trampoline_kernelINS0_14default_configENS1_27scan_by_key_config_selectorIxxEEZZNS1_16scan_by_key_implILNS1_25lookback_scan_determinismE0ELb0ES3_N6thrust23THRUST_200600_302600_NS6detail15normal_iteratorINS9_10device_ptrIxEEEESE_SE_xNS9_4plusIvEENS9_8equal_toIxEExEE10hipError_tPvRmT2_T3_T4_T5_mT6_T7_P12ihipStream_tbENKUlT_T0_E_clISt17integral_constantIbLb1EESZ_EEDaSU_SV_EUlSU_E_NS1_11comp_targetILNS1_3genE2ELNS1_11target_archE906ELNS1_3gpuE6ELNS1_3repE0EEENS1_30default_config_static_selectorELNS0_4arch9wavefront6targetE1EEEvT1_: ; @_ZN7rocprim17ROCPRIM_400000_NS6detail17trampoline_kernelINS0_14default_configENS1_27scan_by_key_config_selectorIxxEEZZNS1_16scan_by_key_implILNS1_25lookback_scan_determinismE0ELb0ES3_N6thrust23THRUST_200600_302600_NS6detail15normal_iteratorINS9_10device_ptrIxEEEESE_SE_xNS9_4plusIvEENS9_8equal_toIxEExEE10hipError_tPvRmT2_T3_T4_T5_mT6_T7_P12ihipStream_tbENKUlT_T0_E_clISt17integral_constantIbLb1EESZ_EEDaSU_SV_EUlSU_E_NS1_11comp_targetILNS1_3genE2ELNS1_11target_archE906ELNS1_3gpuE6ELNS1_3repE0EEENS1_30default_config_static_selectorELNS0_4arch9wavefront6targetE1EEEvT1_
; %bb.0:
	.section	.rodata,"a",@progbits
	.p2align	6, 0x0
	.amdhsa_kernel _ZN7rocprim17ROCPRIM_400000_NS6detail17trampoline_kernelINS0_14default_configENS1_27scan_by_key_config_selectorIxxEEZZNS1_16scan_by_key_implILNS1_25lookback_scan_determinismE0ELb0ES3_N6thrust23THRUST_200600_302600_NS6detail15normal_iteratorINS9_10device_ptrIxEEEESE_SE_xNS9_4plusIvEENS9_8equal_toIxEExEE10hipError_tPvRmT2_T3_T4_T5_mT6_T7_P12ihipStream_tbENKUlT_T0_E_clISt17integral_constantIbLb1EESZ_EEDaSU_SV_EUlSU_E_NS1_11comp_targetILNS1_3genE2ELNS1_11target_archE906ELNS1_3gpuE6ELNS1_3repE0EEENS1_30default_config_static_selectorELNS0_4arch9wavefront6targetE1EEEvT1_
		.amdhsa_group_segment_fixed_size 0
		.amdhsa_private_segment_fixed_size 0
		.amdhsa_kernarg_size 136
		.amdhsa_user_sgpr_count 6
		.amdhsa_user_sgpr_private_segment_buffer 1
		.amdhsa_user_sgpr_dispatch_ptr 0
		.amdhsa_user_sgpr_queue_ptr 0
		.amdhsa_user_sgpr_kernarg_segment_ptr 1
		.amdhsa_user_sgpr_dispatch_id 0
		.amdhsa_user_sgpr_flat_scratch_init 0
		.amdhsa_user_sgpr_kernarg_preload_length 0
		.amdhsa_user_sgpr_kernarg_preload_offset 0
		.amdhsa_user_sgpr_private_segment_size 0
		.amdhsa_uses_dynamic_stack 0
		.amdhsa_system_sgpr_private_segment_wavefront_offset 0
		.amdhsa_system_sgpr_workgroup_id_x 1
		.amdhsa_system_sgpr_workgroup_id_y 0
		.amdhsa_system_sgpr_workgroup_id_z 0
		.amdhsa_system_sgpr_workgroup_info 0
		.amdhsa_system_vgpr_workitem_id 0
		.amdhsa_next_free_vgpr 1
		.amdhsa_next_free_sgpr 0
		.amdhsa_accum_offset 4
		.amdhsa_reserve_vcc 0
		.amdhsa_reserve_flat_scratch 0
		.amdhsa_float_round_mode_32 0
		.amdhsa_float_round_mode_16_64 0
		.amdhsa_float_denorm_mode_32 3
		.amdhsa_float_denorm_mode_16_64 3
		.amdhsa_dx10_clamp 1
		.amdhsa_ieee_mode 1
		.amdhsa_fp16_overflow 0
		.amdhsa_tg_split 0
		.amdhsa_exception_fp_ieee_invalid_op 0
		.amdhsa_exception_fp_denorm_src 0
		.amdhsa_exception_fp_ieee_div_zero 0
		.amdhsa_exception_fp_ieee_overflow 0
		.amdhsa_exception_fp_ieee_underflow 0
		.amdhsa_exception_fp_ieee_inexact 0
		.amdhsa_exception_int_div_zero 0
	.end_amdhsa_kernel
	.section	.text._ZN7rocprim17ROCPRIM_400000_NS6detail17trampoline_kernelINS0_14default_configENS1_27scan_by_key_config_selectorIxxEEZZNS1_16scan_by_key_implILNS1_25lookback_scan_determinismE0ELb0ES3_N6thrust23THRUST_200600_302600_NS6detail15normal_iteratorINS9_10device_ptrIxEEEESE_SE_xNS9_4plusIvEENS9_8equal_toIxEExEE10hipError_tPvRmT2_T3_T4_T5_mT6_T7_P12ihipStream_tbENKUlT_T0_E_clISt17integral_constantIbLb1EESZ_EEDaSU_SV_EUlSU_E_NS1_11comp_targetILNS1_3genE2ELNS1_11target_archE906ELNS1_3gpuE6ELNS1_3repE0EEENS1_30default_config_static_selectorELNS0_4arch9wavefront6targetE1EEEvT1_,"axG",@progbits,_ZN7rocprim17ROCPRIM_400000_NS6detail17trampoline_kernelINS0_14default_configENS1_27scan_by_key_config_selectorIxxEEZZNS1_16scan_by_key_implILNS1_25lookback_scan_determinismE0ELb0ES3_N6thrust23THRUST_200600_302600_NS6detail15normal_iteratorINS9_10device_ptrIxEEEESE_SE_xNS9_4plusIvEENS9_8equal_toIxEExEE10hipError_tPvRmT2_T3_T4_T5_mT6_T7_P12ihipStream_tbENKUlT_T0_E_clISt17integral_constantIbLb1EESZ_EEDaSU_SV_EUlSU_E_NS1_11comp_targetILNS1_3genE2ELNS1_11target_archE906ELNS1_3gpuE6ELNS1_3repE0EEENS1_30default_config_static_selectorELNS0_4arch9wavefront6targetE1EEEvT1_,comdat
.Lfunc_end97:
	.size	_ZN7rocprim17ROCPRIM_400000_NS6detail17trampoline_kernelINS0_14default_configENS1_27scan_by_key_config_selectorIxxEEZZNS1_16scan_by_key_implILNS1_25lookback_scan_determinismE0ELb0ES3_N6thrust23THRUST_200600_302600_NS6detail15normal_iteratorINS9_10device_ptrIxEEEESE_SE_xNS9_4plusIvEENS9_8equal_toIxEExEE10hipError_tPvRmT2_T3_T4_T5_mT6_T7_P12ihipStream_tbENKUlT_T0_E_clISt17integral_constantIbLb1EESZ_EEDaSU_SV_EUlSU_E_NS1_11comp_targetILNS1_3genE2ELNS1_11target_archE906ELNS1_3gpuE6ELNS1_3repE0EEENS1_30default_config_static_selectorELNS0_4arch9wavefront6targetE1EEEvT1_, .Lfunc_end97-_ZN7rocprim17ROCPRIM_400000_NS6detail17trampoline_kernelINS0_14default_configENS1_27scan_by_key_config_selectorIxxEEZZNS1_16scan_by_key_implILNS1_25lookback_scan_determinismE0ELb0ES3_N6thrust23THRUST_200600_302600_NS6detail15normal_iteratorINS9_10device_ptrIxEEEESE_SE_xNS9_4plusIvEENS9_8equal_toIxEExEE10hipError_tPvRmT2_T3_T4_T5_mT6_T7_P12ihipStream_tbENKUlT_T0_E_clISt17integral_constantIbLb1EESZ_EEDaSU_SV_EUlSU_E_NS1_11comp_targetILNS1_3genE2ELNS1_11target_archE906ELNS1_3gpuE6ELNS1_3repE0EEENS1_30default_config_static_selectorELNS0_4arch9wavefront6targetE1EEEvT1_
                                        ; -- End function
	.section	.AMDGPU.csdata,"",@progbits
; Kernel info:
; codeLenInByte = 0
; NumSgprs: 4
; NumVgprs: 0
; NumAgprs: 0
; TotalNumVgprs: 0
; ScratchSize: 0
; MemoryBound: 0
; FloatMode: 240
; IeeeMode: 1
; LDSByteSize: 0 bytes/workgroup (compile time only)
; SGPRBlocks: 0
; VGPRBlocks: 0
; NumSGPRsForWavesPerEU: 4
; NumVGPRsForWavesPerEU: 1
; AccumOffset: 4
; Occupancy: 8
; WaveLimiterHint : 0
; COMPUTE_PGM_RSRC2:SCRATCH_EN: 0
; COMPUTE_PGM_RSRC2:USER_SGPR: 6
; COMPUTE_PGM_RSRC2:TRAP_HANDLER: 0
; COMPUTE_PGM_RSRC2:TGID_X_EN: 1
; COMPUTE_PGM_RSRC2:TGID_Y_EN: 0
; COMPUTE_PGM_RSRC2:TGID_Z_EN: 0
; COMPUTE_PGM_RSRC2:TIDIG_COMP_CNT: 0
; COMPUTE_PGM_RSRC3_GFX90A:ACCUM_OFFSET: 0
; COMPUTE_PGM_RSRC3_GFX90A:TG_SPLIT: 0
	.section	.text._ZN7rocprim17ROCPRIM_400000_NS6detail17trampoline_kernelINS0_14default_configENS1_27scan_by_key_config_selectorIxxEEZZNS1_16scan_by_key_implILNS1_25lookback_scan_determinismE0ELb0ES3_N6thrust23THRUST_200600_302600_NS6detail15normal_iteratorINS9_10device_ptrIxEEEESE_SE_xNS9_4plusIvEENS9_8equal_toIxEExEE10hipError_tPvRmT2_T3_T4_T5_mT6_T7_P12ihipStream_tbENKUlT_T0_E_clISt17integral_constantIbLb1EESZ_EEDaSU_SV_EUlSU_E_NS1_11comp_targetILNS1_3genE10ELNS1_11target_archE1200ELNS1_3gpuE4ELNS1_3repE0EEENS1_30default_config_static_selectorELNS0_4arch9wavefront6targetE1EEEvT1_,"axG",@progbits,_ZN7rocprim17ROCPRIM_400000_NS6detail17trampoline_kernelINS0_14default_configENS1_27scan_by_key_config_selectorIxxEEZZNS1_16scan_by_key_implILNS1_25lookback_scan_determinismE0ELb0ES3_N6thrust23THRUST_200600_302600_NS6detail15normal_iteratorINS9_10device_ptrIxEEEESE_SE_xNS9_4plusIvEENS9_8equal_toIxEExEE10hipError_tPvRmT2_T3_T4_T5_mT6_T7_P12ihipStream_tbENKUlT_T0_E_clISt17integral_constantIbLb1EESZ_EEDaSU_SV_EUlSU_E_NS1_11comp_targetILNS1_3genE10ELNS1_11target_archE1200ELNS1_3gpuE4ELNS1_3repE0EEENS1_30default_config_static_selectorELNS0_4arch9wavefront6targetE1EEEvT1_,comdat
	.protected	_ZN7rocprim17ROCPRIM_400000_NS6detail17trampoline_kernelINS0_14default_configENS1_27scan_by_key_config_selectorIxxEEZZNS1_16scan_by_key_implILNS1_25lookback_scan_determinismE0ELb0ES3_N6thrust23THRUST_200600_302600_NS6detail15normal_iteratorINS9_10device_ptrIxEEEESE_SE_xNS9_4plusIvEENS9_8equal_toIxEExEE10hipError_tPvRmT2_T3_T4_T5_mT6_T7_P12ihipStream_tbENKUlT_T0_E_clISt17integral_constantIbLb1EESZ_EEDaSU_SV_EUlSU_E_NS1_11comp_targetILNS1_3genE10ELNS1_11target_archE1200ELNS1_3gpuE4ELNS1_3repE0EEENS1_30default_config_static_selectorELNS0_4arch9wavefront6targetE1EEEvT1_ ; -- Begin function _ZN7rocprim17ROCPRIM_400000_NS6detail17trampoline_kernelINS0_14default_configENS1_27scan_by_key_config_selectorIxxEEZZNS1_16scan_by_key_implILNS1_25lookback_scan_determinismE0ELb0ES3_N6thrust23THRUST_200600_302600_NS6detail15normal_iteratorINS9_10device_ptrIxEEEESE_SE_xNS9_4plusIvEENS9_8equal_toIxEExEE10hipError_tPvRmT2_T3_T4_T5_mT6_T7_P12ihipStream_tbENKUlT_T0_E_clISt17integral_constantIbLb1EESZ_EEDaSU_SV_EUlSU_E_NS1_11comp_targetILNS1_3genE10ELNS1_11target_archE1200ELNS1_3gpuE4ELNS1_3repE0EEENS1_30default_config_static_selectorELNS0_4arch9wavefront6targetE1EEEvT1_
	.globl	_ZN7rocprim17ROCPRIM_400000_NS6detail17trampoline_kernelINS0_14default_configENS1_27scan_by_key_config_selectorIxxEEZZNS1_16scan_by_key_implILNS1_25lookback_scan_determinismE0ELb0ES3_N6thrust23THRUST_200600_302600_NS6detail15normal_iteratorINS9_10device_ptrIxEEEESE_SE_xNS9_4plusIvEENS9_8equal_toIxEExEE10hipError_tPvRmT2_T3_T4_T5_mT6_T7_P12ihipStream_tbENKUlT_T0_E_clISt17integral_constantIbLb1EESZ_EEDaSU_SV_EUlSU_E_NS1_11comp_targetILNS1_3genE10ELNS1_11target_archE1200ELNS1_3gpuE4ELNS1_3repE0EEENS1_30default_config_static_selectorELNS0_4arch9wavefront6targetE1EEEvT1_
	.p2align	8
	.type	_ZN7rocprim17ROCPRIM_400000_NS6detail17trampoline_kernelINS0_14default_configENS1_27scan_by_key_config_selectorIxxEEZZNS1_16scan_by_key_implILNS1_25lookback_scan_determinismE0ELb0ES3_N6thrust23THRUST_200600_302600_NS6detail15normal_iteratorINS9_10device_ptrIxEEEESE_SE_xNS9_4plusIvEENS9_8equal_toIxEExEE10hipError_tPvRmT2_T3_T4_T5_mT6_T7_P12ihipStream_tbENKUlT_T0_E_clISt17integral_constantIbLb1EESZ_EEDaSU_SV_EUlSU_E_NS1_11comp_targetILNS1_3genE10ELNS1_11target_archE1200ELNS1_3gpuE4ELNS1_3repE0EEENS1_30default_config_static_selectorELNS0_4arch9wavefront6targetE1EEEvT1_,@function
_ZN7rocprim17ROCPRIM_400000_NS6detail17trampoline_kernelINS0_14default_configENS1_27scan_by_key_config_selectorIxxEEZZNS1_16scan_by_key_implILNS1_25lookback_scan_determinismE0ELb0ES3_N6thrust23THRUST_200600_302600_NS6detail15normal_iteratorINS9_10device_ptrIxEEEESE_SE_xNS9_4plusIvEENS9_8equal_toIxEExEE10hipError_tPvRmT2_T3_T4_T5_mT6_T7_P12ihipStream_tbENKUlT_T0_E_clISt17integral_constantIbLb1EESZ_EEDaSU_SV_EUlSU_E_NS1_11comp_targetILNS1_3genE10ELNS1_11target_archE1200ELNS1_3gpuE4ELNS1_3repE0EEENS1_30default_config_static_selectorELNS0_4arch9wavefront6targetE1EEEvT1_: ; @_ZN7rocprim17ROCPRIM_400000_NS6detail17trampoline_kernelINS0_14default_configENS1_27scan_by_key_config_selectorIxxEEZZNS1_16scan_by_key_implILNS1_25lookback_scan_determinismE0ELb0ES3_N6thrust23THRUST_200600_302600_NS6detail15normal_iteratorINS9_10device_ptrIxEEEESE_SE_xNS9_4plusIvEENS9_8equal_toIxEExEE10hipError_tPvRmT2_T3_T4_T5_mT6_T7_P12ihipStream_tbENKUlT_T0_E_clISt17integral_constantIbLb1EESZ_EEDaSU_SV_EUlSU_E_NS1_11comp_targetILNS1_3genE10ELNS1_11target_archE1200ELNS1_3gpuE4ELNS1_3repE0EEENS1_30default_config_static_selectorELNS0_4arch9wavefront6targetE1EEEvT1_
; %bb.0:
	.section	.rodata,"a",@progbits
	.p2align	6, 0x0
	.amdhsa_kernel _ZN7rocprim17ROCPRIM_400000_NS6detail17trampoline_kernelINS0_14default_configENS1_27scan_by_key_config_selectorIxxEEZZNS1_16scan_by_key_implILNS1_25lookback_scan_determinismE0ELb0ES3_N6thrust23THRUST_200600_302600_NS6detail15normal_iteratorINS9_10device_ptrIxEEEESE_SE_xNS9_4plusIvEENS9_8equal_toIxEExEE10hipError_tPvRmT2_T3_T4_T5_mT6_T7_P12ihipStream_tbENKUlT_T0_E_clISt17integral_constantIbLb1EESZ_EEDaSU_SV_EUlSU_E_NS1_11comp_targetILNS1_3genE10ELNS1_11target_archE1200ELNS1_3gpuE4ELNS1_3repE0EEENS1_30default_config_static_selectorELNS0_4arch9wavefront6targetE1EEEvT1_
		.amdhsa_group_segment_fixed_size 0
		.amdhsa_private_segment_fixed_size 0
		.amdhsa_kernarg_size 136
		.amdhsa_user_sgpr_count 6
		.amdhsa_user_sgpr_private_segment_buffer 1
		.amdhsa_user_sgpr_dispatch_ptr 0
		.amdhsa_user_sgpr_queue_ptr 0
		.amdhsa_user_sgpr_kernarg_segment_ptr 1
		.amdhsa_user_sgpr_dispatch_id 0
		.amdhsa_user_sgpr_flat_scratch_init 0
		.amdhsa_user_sgpr_kernarg_preload_length 0
		.amdhsa_user_sgpr_kernarg_preload_offset 0
		.amdhsa_user_sgpr_private_segment_size 0
		.amdhsa_uses_dynamic_stack 0
		.amdhsa_system_sgpr_private_segment_wavefront_offset 0
		.amdhsa_system_sgpr_workgroup_id_x 1
		.amdhsa_system_sgpr_workgroup_id_y 0
		.amdhsa_system_sgpr_workgroup_id_z 0
		.amdhsa_system_sgpr_workgroup_info 0
		.amdhsa_system_vgpr_workitem_id 0
		.amdhsa_next_free_vgpr 1
		.amdhsa_next_free_sgpr 0
		.amdhsa_accum_offset 4
		.amdhsa_reserve_vcc 0
		.amdhsa_reserve_flat_scratch 0
		.amdhsa_float_round_mode_32 0
		.amdhsa_float_round_mode_16_64 0
		.amdhsa_float_denorm_mode_32 3
		.amdhsa_float_denorm_mode_16_64 3
		.amdhsa_dx10_clamp 1
		.amdhsa_ieee_mode 1
		.amdhsa_fp16_overflow 0
		.amdhsa_tg_split 0
		.amdhsa_exception_fp_ieee_invalid_op 0
		.amdhsa_exception_fp_denorm_src 0
		.amdhsa_exception_fp_ieee_div_zero 0
		.amdhsa_exception_fp_ieee_overflow 0
		.amdhsa_exception_fp_ieee_underflow 0
		.amdhsa_exception_fp_ieee_inexact 0
		.amdhsa_exception_int_div_zero 0
	.end_amdhsa_kernel
	.section	.text._ZN7rocprim17ROCPRIM_400000_NS6detail17trampoline_kernelINS0_14default_configENS1_27scan_by_key_config_selectorIxxEEZZNS1_16scan_by_key_implILNS1_25lookback_scan_determinismE0ELb0ES3_N6thrust23THRUST_200600_302600_NS6detail15normal_iteratorINS9_10device_ptrIxEEEESE_SE_xNS9_4plusIvEENS9_8equal_toIxEExEE10hipError_tPvRmT2_T3_T4_T5_mT6_T7_P12ihipStream_tbENKUlT_T0_E_clISt17integral_constantIbLb1EESZ_EEDaSU_SV_EUlSU_E_NS1_11comp_targetILNS1_3genE10ELNS1_11target_archE1200ELNS1_3gpuE4ELNS1_3repE0EEENS1_30default_config_static_selectorELNS0_4arch9wavefront6targetE1EEEvT1_,"axG",@progbits,_ZN7rocprim17ROCPRIM_400000_NS6detail17trampoline_kernelINS0_14default_configENS1_27scan_by_key_config_selectorIxxEEZZNS1_16scan_by_key_implILNS1_25lookback_scan_determinismE0ELb0ES3_N6thrust23THRUST_200600_302600_NS6detail15normal_iteratorINS9_10device_ptrIxEEEESE_SE_xNS9_4plusIvEENS9_8equal_toIxEExEE10hipError_tPvRmT2_T3_T4_T5_mT6_T7_P12ihipStream_tbENKUlT_T0_E_clISt17integral_constantIbLb1EESZ_EEDaSU_SV_EUlSU_E_NS1_11comp_targetILNS1_3genE10ELNS1_11target_archE1200ELNS1_3gpuE4ELNS1_3repE0EEENS1_30default_config_static_selectorELNS0_4arch9wavefront6targetE1EEEvT1_,comdat
.Lfunc_end98:
	.size	_ZN7rocprim17ROCPRIM_400000_NS6detail17trampoline_kernelINS0_14default_configENS1_27scan_by_key_config_selectorIxxEEZZNS1_16scan_by_key_implILNS1_25lookback_scan_determinismE0ELb0ES3_N6thrust23THRUST_200600_302600_NS6detail15normal_iteratorINS9_10device_ptrIxEEEESE_SE_xNS9_4plusIvEENS9_8equal_toIxEExEE10hipError_tPvRmT2_T3_T4_T5_mT6_T7_P12ihipStream_tbENKUlT_T0_E_clISt17integral_constantIbLb1EESZ_EEDaSU_SV_EUlSU_E_NS1_11comp_targetILNS1_3genE10ELNS1_11target_archE1200ELNS1_3gpuE4ELNS1_3repE0EEENS1_30default_config_static_selectorELNS0_4arch9wavefront6targetE1EEEvT1_, .Lfunc_end98-_ZN7rocprim17ROCPRIM_400000_NS6detail17trampoline_kernelINS0_14default_configENS1_27scan_by_key_config_selectorIxxEEZZNS1_16scan_by_key_implILNS1_25lookback_scan_determinismE0ELb0ES3_N6thrust23THRUST_200600_302600_NS6detail15normal_iteratorINS9_10device_ptrIxEEEESE_SE_xNS9_4plusIvEENS9_8equal_toIxEExEE10hipError_tPvRmT2_T3_T4_T5_mT6_T7_P12ihipStream_tbENKUlT_T0_E_clISt17integral_constantIbLb1EESZ_EEDaSU_SV_EUlSU_E_NS1_11comp_targetILNS1_3genE10ELNS1_11target_archE1200ELNS1_3gpuE4ELNS1_3repE0EEENS1_30default_config_static_selectorELNS0_4arch9wavefront6targetE1EEEvT1_
                                        ; -- End function
	.section	.AMDGPU.csdata,"",@progbits
; Kernel info:
; codeLenInByte = 0
; NumSgprs: 4
; NumVgprs: 0
; NumAgprs: 0
; TotalNumVgprs: 0
; ScratchSize: 0
; MemoryBound: 0
; FloatMode: 240
; IeeeMode: 1
; LDSByteSize: 0 bytes/workgroup (compile time only)
; SGPRBlocks: 0
; VGPRBlocks: 0
; NumSGPRsForWavesPerEU: 4
; NumVGPRsForWavesPerEU: 1
; AccumOffset: 4
; Occupancy: 8
; WaveLimiterHint : 0
; COMPUTE_PGM_RSRC2:SCRATCH_EN: 0
; COMPUTE_PGM_RSRC2:USER_SGPR: 6
; COMPUTE_PGM_RSRC2:TRAP_HANDLER: 0
; COMPUTE_PGM_RSRC2:TGID_X_EN: 1
; COMPUTE_PGM_RSRC2:TGID_Y_EN: 0
; COMPUTE_PGM_RSRC2:TGID_Z_EN: 0
; COMPUTE_PGM_RSRC2:TIDIG_COMP_CNT: 0
; COMPUTE_PGM_RSRC3_GFX90A:ACCUM_OFFSET: 0
; COMPUTE_PGM_RSRC3_GFX90A:TG_SPLIT: 0
	.section	.text._ZN7rocprim17ROCPRIM_400000_NS6detail17trampoline_kernelINS0_14default_configENS1_27scan_by_key_config_selectorIxxEEZZNS1_16scan_by_key_implILNS1_25lookback_scan_determinismE0ELb0ES3_N6thrust23THRUST_200600_302600_NS6detail15normal_iteratorINS9_10device_ptrIxEEEESE_SE_xNS9_4plusIvEENS9_8equal_toIxEExEE10hipError_tPvRmT2_T3_T4_T5_mT6_T7_P12ihipStream_tbENKUlT_T0_E_clISt17integral_constantIbLb1EESZ_EEDaSU_SV_EUlSU_E_NS1_11comp_targetILNS1_3genE9ELNS1_11target_archE1100ELNS1_3gpuE3ELNS1_3repE0EEENS1_30default_config_static_selectorELNS0_4arch9wavefront6targetE1EEEvT1_,"axG",@progbits,_ZN7rocprim17ROCPRIM_400000_NS6detail17trampoline_kernelINS0_14default_configENS1_27scan_by_key_config_selectorIxxEEZZNS1_16scan_by_key_implILNS1_25lookback_scan_determinismE0ELb0ES3_N6thrust23THRUST_200600_302600_NS6detail15normal_iteratorINS9_10device_ptrIxEEEESE_SE_xNS9_4plusIvEENS9_8equal_toIxEExEE10hipError_tPvRmT2_T3_T4_T5_mT6_T7_P12ihipStream_tbENKUlT_T0_E_clISt17integral_constantIbLb1EESZ_EEDaSU_SV_EUlSU_E_NS1_11comp_targetILNS1_3genE9ELNS1_11target_archE1100ELNS1_3gpuE3ELNS1_3repE0EEENS1_30default_config_static_selectorELNS0_4arch9wavefront6targetE1EEEvT1_,comdat
	.protected	_ZN7rocprim17ROCPRIM_400000_NS6detail17trampoline_kernelINS0_14default_configENS1_27scan_by_key_config_selectorIxxEEZZNS1_16scan_by_key_implILNS1_25lookback_scan_determinismE0ELb0ES3_N6thrust23THRUST_200600_302600_NS6detail15normal_iteratorINS9_10device_ptrIxEEEESE_SE_xNS9_4plusIvEENS9_8equal_toIxEExEE10hipError_tPvRmT2_T3_T4_T5_mT6_T7_P12ihipStream_tbENKUlT_T0_E_clISt17integral_constantIbLb1EESZ_EEDaSU_SV_EUlSU_E_NS1_11comp_targetILNS1_3genE9ELNS1_11target_archE1100ELNS1_3gpuE3ELNS1_3repE0EEENS1_30default_config_static_selectorELNS0_4arch9wavefront6targetE1EEEvT1_ ; -- Begin function _ZN7rocprim17ROCPRIM_400000_NS6detail17trampoline_kernelINS0_14default_configENS1_27scan_by_key_config_selectorIxxEEZZNS1_16scan_by_key_implILNS1_25lookback_scan_determinismE0ELb0ES3_N6thrust23THRUST_200600_302600_NS6detail15normal_iteratorINS9_10device_ptrIxEEEESE_SE_xNS9_4plusIvEENS9_8equal_toIxEExEE10hipError_tPvRmT2_T3_T4_T5_mT6_T7_P12ihipStream_tbENKUlT_T0_E_clISt17integral_constantIbLb1EESZ_EEDaSU_SV_EUlSU_E_NS1_11comp_targetILNS1_3genE9ELNS1_11target_archE1100ELNS1_3gpuE3ELNS1_3repE0EEENS1_30default_config_static_selectorELNS0_4arch9wavefront6targetE1EEEvT1_
	.globl	_ZN7rocprim17ROCPRIM_400000_NS6detail17trampoline_kernelINS0_14default_configENS1_27scan_by_key_config_selectorIxxEEZZNS1_16scan_by_key_implILNS1_25lookback_scan_determinismE0ELb0ES3_N6thrust23THRUST_200600_302600_NS6detail15normal_iteratorINS9_10device_ptrIxEEEESE_SE_xNS9_4plusIvEENS9_8equal_toIxEExEE10hipError_tPvRmT2_T3_T4_T5_mT6_T7_P12ihipStream_tbENKUlT_T0_E_clISt17integral_constantIbLb1EESZ_EEDaSU_SV_EUlSU_E_NS1_11comp_targetILNS1_3genE9ELNS1_11target_archE1100ELNS1_3gpuE3ELNS1_3repE0EEENS1_30default_config_static_selectorELNS0_4arch9wavefront6targetE1EEEvT1_
	.p2align	8
	.type	_ZN7rocprim17ROCPRIM_400000_NS6detail17trampoline_kernelINS0_14default_configENS1_27scan_by_key_config_selectorIxxEEZZNS1_16scan_by_key_implILNS1_25lookback_scan_determinismE0ELb0ES3_N6thrust23THRUST_200600_302600_NS6detail15normal_iteratorINS9_10device_ptrIxEEEESE_SE_xNS9_4plusIvEENS9_8equal_toIxEExEE10hipError_tPvRmT2_T3_T4_T5_mT6_T7_P12ihipStream_tbENKUlT_T0_E_clISt17integral_constantIbLb1EESZ_EEDaSU_SV_EUlSU_E_NS1_11comp_targetILNS1_3genE9ELNS1_11target_archE1100ELNS1_3gpuE3ELNS1_3repE0EEENS1_30default_config_static_selectorELNS0_4arch9wavefront6targetE1EEEvT1_,@function
_ZN7rocprim17ROCPRIM_400000_NS6detail17trampoline_kernelINS0_14default_configENS1_27scan_by_key_config_selectorIxxEEZZNS1_16scan_by_key_implILNS1_25lookback_scan_determinismE0ELb0ES3_N6thrust23THRUST_200600_302600_NS6detail15normal_iteratorINS9_10device_ptrIxEEEESE_SE_xNS9_4plusIvEENS9_8equal_toIxEExEE10hipError_tPvRmT2_T3_T4_T5_mT6_T7_P12ihipStream_tbENKUlT_T0_E_clISt17integral_constantIbLb1EESZ_EEDaSU_SV_EUlSU_E_NS1_11comp_targetILNS1_3genE9ELNS1_11target_archE1100ELNS1_3gpuE3ELNS1_3repE0EEENS1_30default_config_static_selectorELNS0_4arch9wavefront6targetE1EEEvT1_: ; @_ZN7rocprim17ROCPRIM_400000_NS6detail17trampoline_kernelINS0_14default_configENS1_27scan_by_key_config_selectorIxxEEZZNS1_16scan_by_key_implILNS1_25lookback_scan_determinismE0ELb0ES3_N6thrust23THRUST_200600_302600_NS6detail15normal_iteratorINS9_10device_ptrIxEEEESE_SE_xNS9_4plusIvEENS9_8equal_toIxEExEE10hipError_tPvRmT2_T3_T4_T5_mT6_T7_P12ihipStream_tbENKUlT_T0_E_clISt17integral_constantIbLb1EESZ_EEDaSU_SV_EUlSU_E_NS1_11comp_targetILNS1_3genE9ELNS1_11target_archE1100ELNS1_3gpuE3ELNS1_3repE0EEENS1_30default_config_static_selectorELNS0_4arch9wavefront6targetE1EEEvT1_
; %bb.0:
	.section	.rodata,"a",@progbits
	.p2align	6, 0x0
	.amdhsa_kernel _ZN7rocprim17ROCPRIM_400000_NS6detail17trampoline_kernelINS0_14default_configENS1_27scan_by_key_config_selectorIxxEEZZNS1_16scan_by_key_implILNS1_25lookback_scan_determinismE0ELb0ES3_N6thrust23THRUST_200600_302600_NS6detail15normal_iteratorINS9_10device_ptrIxEEEESE_SE_xNS9_4plusIvEENS9_8equal_toIxEExEE10hipError_tPvRmT2_T3_T4_T5_mT6_T7_P12ihipStream_tbENKUlT_T0_E_clISt17integral_constantIbLb1EESZ_EEDaSU_SV_EUlSU_E_NS1_11comp_targetILNS1_3genE9ELNS1_11target_archE1100ELNS1_3gpuE3ELNS1_3repE0EEENS1_30default_config_static_selectorELNS0_4arch9wavefront6targetE1EEEvT1_
		.amdhsa_group_segment_fixed_size 0
		.amdhsa_private_segment_fixed_size 0
		.amdhsa_kernarg_size 136
		.amdhsa_user_sgpr_count 6
		.amdhsa_user_sgpr_private_segment_buffer 1
		.amdhsa_user_sgpr_dispatch_ptr 0
		.amdhsa_user_sgpr_queue_ptr 0
		.amdhsa_user_sgpr_kernarg_segment_ptr 1
		.amdhsa_user_sgpr_dispatch_id 0
		.amdhsa_user_sgpr_flat_scratch_init 0
		.amdhsa_user_sgpr_kernarg_preload_length 0
		.amdhsa_user_sgpr_kernarg_preload_offset 0
		.amdhsa_user_sgpr_private_segment_size 0
		.amdhsa_uses_dynamic_stack 0
		.amdhsa_system_sgpr_private_segment_wavefront_offset 0
		.amdhsa_system_sgpr_workgroup_id_x 1
		.amdhsa_system_sgpr_workgroup_id_y 0
		.amdhsa_system_sgpr_workgroup_id_z 0
		.amdhsa_system_sgpr_workgroup_info 0
		.amdhsa_system_vgpr_workitem_id 0
		.amdhsa_next_free_vgpr 1
		.amdhsa_next_free_sgpr 0
		.amdhsa_accum_offset 4
		.amdhsa_reserve_vcc 0
		.amdhsa_reserve_flat_scratch 0
		.amdhsa_float_round_mode_32 0
		.amdhsa_float_round_mode_16_64 0
		.amdhsa_float_denorm_mode_32 3
		.amdhsa_float_denorm_mode_16_64 3
		.amdhsa_dx10_clamp 1
		.amdhsa_ieee_mode 1
		.amdhsa_fp16_overflow 0
		.amdhsa_tg_split 0
		.amdhsa_exception_fp_ieee_invalid_op 0
		.amdhsa_exception_fp_denorm_src 0
		.amdhsa_exception_fp_ieee_div_zero 0
		.amdhsa_exception_fp_ieee_overflow 0
		.amdhsa_exception_fp_ieee_underflow 0
		.amdhsa_exception_fp_ieee_inexact 0
		.amdhsa_exception_int_div_zero 0
	.end_amdhsa_kernel
	.section	.text._ZN7rocprim17ROCPRIM_400000_NS6detail17trampoline_kernelINS0_14default_configENS1_27scan_by_key_config_selectorIxxEEZZNS1_16scan_by_key_implILNS1_25lookback_scan_determinismE0ELb0ES3_N6thrust23THRUST_200600_302600_NS6detail15normal_iteratorINS9_10device_ptrIxEEEESE_SE_xNS9_4plusIvEENS9_8equal_toIxEExEE10hipError_tPvRmT2_T3_T4_T5_mT6_T7_P12ihipStream_tbENKUlT_T0_E_clISt17integral_constantIbLb1EESZ_EEDaSU_SV_EUlSU_E_NS1_11comp_targetILNS1_3genE9ELNS1_11target_archE1100ELNS1_3gpuE3ELNS1_3repE0EEENS1_30default_config_static_selectorELNS0_4arch9wavefront6targetE1EEEvT1_,"axG",@progbits,_ZN7rocprim17ROCPRIM_400000_NS6detail17trampoline_kernelINS0_14default_configENS1_27scan_by_key_config_selectorIxxEEZZNS1_16scan_by_key_implILNS1_25lookback_scan_determinismE0ELb0ES3_N6thrust23THRUST_200600_302600_NS6detail15normal_iteratorINS9_10device_ptrIxEEEESE_SE_xNS9_4plusIvEENS9_8equal_toIxEExEE10hipError_tPvRmT2_T3_T4_T5_mT6_T7_P12ihipStream_tbENKUlT_T0_E_clISt17integral_constantIbLb1EESZ_EEDaSU_SV_EUlSU_E_NS1_11comp_targetILNS1_3genE9ELNS1_11target_archE1100ELNS1_3gpuE3ELNS1_3repE0EEENS1_30default_config_static_selectorELNS0_4arch9wavefront6targetE1EEEvT1_,comdat
.Lfunc_end99:
	.size	_ZN7rocprim17ROCPRIM_400000_NS6detail17trampoline_kernelINS0_14default_configENS1_27scan_by_key_config_selectorIxxEEZZNS1_16scan_by_key_implILNS1_25lookback_scan_determinismE0ELb0ES3_N6thrust23THRUST_200600_302600_NS6detail15normal_iteratorINS9_10device_ptrIxEEEESE_SE_xNS9_4plusIvEENS9_8equal_toIxEExEE10hipError_tPvRmT2_T3_T4_T5_mT6_T7_P12ihipStream_tbENKUlT_T0_E_clISt17integral_constantIbLb1EESZ_EEDaSU_SV_EUlSU_E_NS1_11comp_targetILNS1_3genE9ELNS1_11target_archE1100ELNS1_3gpuE3ELNS1_3repE0EEENS1_30default_config_static_selectorELNS0_4arch9wavefront6targetE1EEEvT1_, .Lfunc_end99-_ZN7rocprim17ROCPRIM_400000_NS6detail17trampoline_kernelINS0_14default_configENS1_27scan_by_key_config_selectorIxxEEZZNS1_16scan_by_key_implILNS1_25lookback_scan_determinismE0ELb0ES3_N6thrust23THRUST_200600_302600_NS6detail15normal_iteratorINS9_10device_ptrIxEEEESE_SE_xNS9_4plusIvEENS9_8equal_toIxEExEE10hipError_tPvRmT2_T3_T4_T5_mT6_T7_P12ihipStream_tbENKUlT_T0_E_clISt17integral_constantIbLb1EESZ_EEDaSU_SV_EUlSU_E_NS1_11comp_targetILNS1_3genE9ELNS1_11target_archE1100ELNS1_3gpuE3ELNS1_3repE0EEENS1_30default_config_static_selectorELNS0_4arch9wavefront6targetE1EEEvT1_
                                        ; -- End function
	.section	.AMDGPU.csdata,"",@progbits
; Kernel info:
; codeLenInByte = 0
; NumSgprs: 4
; NumVgprs: 0
; NumAgprs: 0
; TotalNumVgprs: 0
; ScratchSize: 0
; MemoryBound: 0
; FloatMode: 240
; IeeeMode: 1
; LDSByteSize: 0 bytes/workgroup (compile time only)
; SGPRBlocks: 0
; VGPRBlocks: 0
; NumSGPRsForWavesPerEU: 4
; NumVGPRsForWavesPerEU: 1
; AccumOffset: 4
; Occupancy: 8
; WaveLimiterHint : 0
; COMPUTE_PGM_RSRC2:SCRATCH_EN: 0
; COMPUTE_PGM_RSRC2:USER_SGPR: 6
; COMPUTE_PGM_RSRC2:TRAP_HANDLER: 0
; COMPUTE_PGM_RSRC2:TGID_X_EN: 1
; COMPUTE_PGM_RSRC2:TGID_Y_EN: 0
; COMPUTE_PGM_RSRC2:TGID_Z_EN: 0
; COMPUTE_PGM_RSRC2:TIDIG_COMP_CNT: 0
; COMPUTE_PGM_RSRC3_GFX90A:ACCUM_OFFSET: 0
; COMPUTE_PGM_RSRC3_GFX90A:TG_SPLIT: 0
	.section	.text._ZN7rocprim17ROCPRIM_400000_NS6detail17trampoline_kernelINS0_14default_configENS1_27scan_by_key_config_selectorIxxEEZZNS1_16scan_by_key_implILNS1_25lookback_scan_determinismE0ELb0ES3_N6thrust23THRUST_200600_302600_NS6detail15normal_iteratorINS9_10device_ptrIxEEEESE_SE_xNS9_4plusIvEENS9_8equal_toIxEExEE10hipError_tPvRmT2_T3_T4_T5_mT6_T7_P12ihipStream_tbENKUlT_T0_E_clISt17integral_constantIbLb1EESZ_EEDaSU_SV_EUlSU_E_NS1_11comp_targetILNS1_3genE8ELNS1_11target_archE1030ELNS1_3gpuE2ELNS1_3repE0EEENS1_30default_config_static_selectorELNS0_4arch9wavefront6targetE1EEEvT1_,"axG",@progbits,_ZN7rocprim17ROCPRIM_400000_NS6detail17trampoline_kernelINS0_14default_configENS1_27scan_by_key_config_selectorIxxEEZZNS1_16scan_by_key_implILNS1_25lookback_scan_determinismE0ELb0ES3_N6thrust23THRUST_200600_302600_NS6detail15normal_iteratorINS9_10device_ptrIxEEEESE_SE_xNS9_4plusIvEENS9_8equal_toIxEExEE10hipError_tPvRmT2_T3_T4_T5_mT6_T7_P12ihipStream_tbENKUlT_T0_E_clISt17integral_constantIbLb1EESZ_EEDaSU_SV_EUlSU_E_NS1_11comp_targetILNS1_3genE8ELNS1_11target_archE1030ELNS1_3gpuE2ELNS1_3repE0EEENS1_30default_config_static_selectorELNS0_4arch9wavefront6targetE1EEEvT1_,comdat
	.protected	_ZN7rocprim17ROCPRIM_400000_NS6detail17trampoline_kernelINS0_14default_configENS1_27scan_by_key_config_selectorIxxEEZZNS1_16scan_by_key_implILNS1_25lookback_scan_determinismE0ELb0ES3_N6thrust23THRUST_200600_302600_NS6detail15normal_iteratorINS9_10device_ptrIxEEEESE_SE_xNS9_4plusIvEENS9_8equal_toIxEExEE10hipError_tPvRmT2_T3_T4_T5_mT6_T7_P12ihipStream_tbENKUlT_T0_E_clISt17integral_constantIbLb1EESZ_EEDaSU_SV_EUlSU_E_NS1_11comp_targetILNS1_3genE8ELNS1_11target_archE1030ELNS1_3gpuE2ELNS1_3repE0EEENS1_30default_config_static_selectorELNS0_4arch9wavefront6targetE1EEEvT1_ ; -- Begin function _ZN7rocprim17ROCPRIM_400000_NS6detail17trampoline_kernelINS0_14default_configENS1_27scan_by_key_config_selectorIxxEEZZNS1_16scan_by_key_implILNS1_25lookback_scan_determinismE0ELb0ES3_N6thrust23THRUST_200600_302600_NS6detail15normal_iteratorINS9_10device_ptrIxEEEESE_SE_xNS9_4plusIvEENS9_8equal_toIxEExEE10hipError_tPvRmT2_T3_T4_T5_mT6_T7_P12ihipStream_tbENKUlT_T0_E_clISt17integral_constantIbLb1EESZ_EEDaSU_SV_EUlSU_E_NS1_11comp_targetILNS1_3genE8ELNS1_11target_archE1030ELNS1_3gpuE2ELNS1_3repE0EEENS1_30default_config_static_selectorELNS0_4arch9wavefront6targetE1EEEvT1_
	.globl	_ZN7rocprim17ROCPRIM_400000_NS6detail17trampoline_kernelINS0_14default_configENS1_27scan_by_key_config_selectorIxxEEZZNS1_16scan_by_key_implILNS1_25lookback_scan_determinismE0ELb0ES3_N6thrust23THRUST_200600_302600_NS6detail15normal_iteratorINS9_10device_ptrIxEEEESE_SE_xNS9_4plusIvEENS9_8equal_toIxEExEE10hipError_tPvRmT2_T3_T4_T5_mT6_T7_P12ihipStream_tbENKUlT_T0_E_clISt17integral_constantIbLb1EESZ_EEDaSU_SV_EUlSU_E_NS1_11comp_targetILNS1_3genE8ELNS1_11target_archE1030ELNS1_3gpuE2ELNS1_3repE0EEENS1_30default_config_static_selectorELNS0_4arch9wavefront6targetE1EEEvT1_
	.p2align	8
	.type	_ZN7rocprim17ROCPRIM_400000_NS6detail17trampoline_kernelINS0_14default_configENS1_27scan_by_key_config_selectorIxxEEZZNS1_16scan_by_key_implILNS1_25lookback_scan_determinismE0ELb0ES3_N6thrust23THRUST_200600_302600_NS6detail15normal_iteratorINS9_10device_ptrIxEEEESE_SE_xNS9_4plusIvEENS9_8equal_toIxEExEE10hipError_tPvRmT2_T3_T4_T5_mT6_T7_P12ihipStream_tbENKUlT_T0_E_clISt17integral_constantIbLb1EESZ_EEDaSU_SV_EUlSU_E_NS1_11comp_targetILNS1_3genE8ELNS1_11target_archE1030ELNS1_3gpuE2ELNS1_3repE0EEENS1_30default_config_static_selectorELNS0_4arch9wavefront6targetE1EEEvT1_,@function
_ZN7rocprim17ROCPRIM_400000_NS6detail17trampoline_kernelINS0_14default_configENS1_27scan_by_key_config_selectorIxxEEZZNS1_16scan_by_key_implILNS1_25lookback_scan_determinismE0ELb0ES3_N6thrust23THRUST_200600_302600_NS6detail15normal_iteratorINS9_10device_ptrIxEEEESE_SE_xNS9_4plusIvEENS9_8equal_toIxEExEE10hipError_tPvRmT2_T3_T4_T5_mT6_T7_P12ihipStream_tbENKUlT_T0_E_clISt17integral_constantIbLb1EESZ_EEDaSU_SV_EUlSU_E_NS1_11comp_targetILNS1_3genE8ELNS1_11target_archE1030ELNS1_3gpuE2ELNS1_3repE0EEENS1_30default_config_static_selectorELNS0_4arch9wavefront6targetE1EEEvT1_: ; @_ZN7rocprim17ROCPRIM_400000_NS6detail17trampoline_kernelINS0_14default_configENS1_27scan_by_key_config_selectorIxxEEZZNS1_16scan_by_key_implILNS1_25lookback_scan_determinismE0ELb0ES3_N6thrust23THRUST_200600_302600_NS6detail15normal_iteratorINS9_10device_ptrIxEEEESE_SE_xNS9_4plusIvEENS9_8equal_toIxEExEE10hipError_tPvRmT2_T3_T4_T5_mT6_T7_P12ihipStream_tbENKUlT_T0_E_clISt17integral_constantIbLb1EESZ_EEDaSU_SV_EUlSU_E_NS1_11comp_targetILNS1_3genE8ELNS1_11target_archE1030ELNS1_3gpuE2ELNS1_3repE0EEENS1_30default_config_static_selectorELNS0_4arch9wavefront6targetE1EEEvT1_
; %bb.0:
	.section	.rodata,"a",@progbits
	.p2align	6, 0x0
	.amdhsa_kernel _ZN7rocprim17ROCPRIM_400000_NS6detail17trampoline_kernelINS0_14default_configENS1_27scan_by_key_config_selectorIxxEEZZNS1_16scan_by_key_implILNS1_25lookback_scan_determinismE0ELb0ES3_N6thrust23THRUST_200600_302600_NS6detail15normal_iteratorINS9_10device_ptrIxEEEESE_SE_xNS9_4plusIvEENS9_8equal_toIxEExEE10hipError_tPvRmT2_T3_T4_T5_mT6_T7_P12ihipStream_tbENKUlT_T0_E_clISt17integral_constantIbLb1EESZ_EEDaSU_SV_EUlSU_E_NS1_11comp_targetILNS1_3genE8ELNS1_11target_archE1030ELNS1_3gpuE2ELNS1_3repE0EEENS1_30default_config_static_selectorELNS0_4arch9wavefront6targetE1EEEvT1_
		.amdhsa_group_segment_fixed_size 0
		.amdhsa_private_segment_fixed_size 0
		.amdhsa_kernarg_size 136
		.amdhsa_user_sgpr_count 6
		.amdhsa_user_sgpr_private_segment_buffer 1
		.amdhsa_user_sgpr_dispatch_ptr 0
		.amdhsa_user_sgpr_queue_ptr 0
		.amdhsa_user_sgpr_kernarg_segment_ptr 1
		.amdhsa_user_sgpr_dispatch_id 0
		.amdhsa_user_sgpr_flat_scratch_init 0
		.amdhsa_user_sgpr_kernarg_preload_length 0
		.amdhsa_user_sgpr_kernarg_preload_offset 0
		.amdhsa_user_sgpr_private_segment_size 0
		.amdhsa_uses_dynamic_stack 0
		.amdhsa_system_sgpr_private_segment_wavefront_offset 0
		.amdhsa_system_sgpr_workgroup_id_x 1
		.amdhsa_system_sgpr_workgroup_id_y 0
		.amdhsa_system_sgpr_workgroup_id_z 0
		.amdhsa_system_sgpr_workgroup_info 0
		.amdhsa_system_vgpr_workitem_id 0
		.amdhsa_next_free_vgpr 1
		.amdhsa_next_free_sgpr 0
		.amdhsa_accum_offset 4
		.amdhsa_reserve_vcc 0
		.amdhsa_reserve_flat_scratch 0
		.amdhsa_float_round_mode_32 0
		.amdhsa_float_round_mode_16_64 0
		.amdhsa_float_denorm_mode_32 3
		.amdhsa_float_denorm_mode_16_64 3
		.amdhsa_dx10_clamp 1
		.amdhsa_ieee_mode 1
		.amdhsa_fp16_overflow 0
		.amdhsa_tg_split 0
		.amdhsa_exception_fp_ieee_invalid_op 0
		.amdhsa_exception_fp_denorm_src 0
		.amdhsa_exception_fp_ieee_div_zero 0
		.amdhsa_exception_fp_ieee_overflow 0
		.amdhsa_exception_fp_ieee_underflow 0
		.amdhsa_exception_fp_ieee_inexact 0
		.amdhsa_exception_int_div_zero 0
	.end_amdhsa_kernel
	.section	.text._ZN7rocprim17ROCPRIM_400000_NS6detail17trampoline_kernelINS0_14default_configENS1_27scan_by_key_config_selectorIxxEEZZNS1_16scan_by_key_implILNS1_25lookback_scan_determinismE0ELb0ES3_N6thrust23THRUST_200600_302600_NS6detail15normal_iteratorINS9_10device_ptrIxEEEESE_SE_xNS9_4plusIvEENS9_8equal_toIxEExEE10hipError_tPvRmT2_T3_T4_T5_mT6_T7_P12ihipStream_tbENKUlT_T0_E_clISt17integral_constantIbLb1EESZ_EEDaSU_SV_EUlSU_E_NS1_11comp_targetILNS1_3genE8ELNS1_11target_archE1030ELNS1_3gpuE2ELNS1_3repE0EEENS1_30default_config_static_selectorELNS0_4arch9wavefront6targetE1EEEvT1_,"axG",@progbits,_ZN7rocprim17ROCPRIM_400000_NS6detail17trampoline_kernelINS0_14default_configENS1_27scan_by_key_config_selectorIxxEEZZNS1_16scan_by_key_implILNS1_25lookback_scan_determinismE0ELb0ES3_N6thrust23THRUST_200600_302600_NS6detail15normal_iteratorINS9_10device_ptrIxEEEESE_SE_xNS9_4plusIvEENS9_8equal_toIxEExEE10hipError_tPvRmT2_T3_T4_T5_mT6_T7_P12ihipStream_tbENKUlT_T0_E_clISt17integral_constantIbLb1EESZ_EEDaSU_SV_EUlSU_E_NS1_11comp_targetILNS1_3genE8ELNS1_11target_archE1030ELNS1_3gpuE2ELNS1_3repE0EEENS1_30default_config_static_selectorELNS0_4arch9wavefront6targetE1EEEvT1_,comdat
.Lfunc_end100:
	.size	_ZN7rocprim17ROCPRIM_400000_NS6detail17trampoline_kernelINS0_14default_configENS1_27scan_by_key_config_selectorIxxEEZZNS1_16scan_by_key_implILNS1_25lookback_scan_determinismE0ELb0ES3_N6thrust23THRUST_200600_302600_NS6detail15normal_iteratorINS9_10device_ptrIxEEEESE_SE_xNS9_4plusIvEENS9_8equal_toIxEExEE10hipError_tPvRmT2_T3_T4_T5_mT6_T7_P12ihipStream_tbENKUlT_T0_E_clISt17integral_constantIbLb1EESZ_EEDaSU_SV_EUlSU_E_NS1_11comp_targetILNS1_3genE8ELNS1_11target_archE1030ELNS1_3gpuE2ELNS1_3repE0EEENS1_30default_config_static_selectorELNS0_4arch9wavefront6targetE1EEEvT1_, .Lfunc_end100-_ZN7rocprim17ROCPRIM_400000_NS6detail17trampoline_kernelINS0_14default_configENS1_27scan_by_key_config_selectorIxxEEZZNS1_16scan_by_key_implILNS1_25lookback_scan_determinismE0ELb0ES3_N6thrust23THRUST_200600_302600_NS6detail15normal_iteratorINS9_10device_ptrIxEEEESE_SE_xNS9_4plusIvEENS9_8equal_toIxEExEE10hipError_tPvRmT2_T3_T4_T5_mT6_T7_P12ihipStream_tbENKUlT_T0_E_clISt17integral_constantIbLb1EESZ_EEDaSU_SV_EUlSU_E_NS1_11comp_targetILNS1_3genE8ELNS1_11target_archE1030ELNS1_3gpuE2ELNS1_3repE0EEENS1_30default_config_static_selectorELNS0_4arch9wavefront6targetE1EEEvT1_
                                        ; -- End function
	.section	.AMDGPU.csdata,"",@progbits
; Kernel info:
; codeLenInByte = 0
; NumSgprs: 4
; NumVgprs: 0
; NumAgprs: 0
; TotalNumVgprs: 0
; ScratchSize: 0
; MemoryBound: 0
; FloatMode: 240
; IeeeMode: 1
; LDSByteSize: 0 bytes/workgroup (compile time only)
; SGPRBlocks: 0
; VGPRBlocks: 0
; NumSGPRsForWavesPerEU: 4
; NumVGPRsForWavesPerEU: 1
; AccumOffset: 4
; Occupancy: 8
; WaveLimiterHint : 0
; COMPUTE_PGM_RSRC2:SCRATCH_EN: 0
; COMPUTE_PGM_RSRC2:USER_SGPR: 6
; COMPUTE_PGM_RSRC2:TRAP_HANDLER: 0
; COMPUTE_PGM_RSRC2:TGID_X_EN: 1
; COMPUTE_PGM_RSRC2:TGID_Y_EN: 0
; COMPUTE_PGM_RSRC2:TGID_Z_EN: 0
; COMPUTE_PGM_RSRC2:TIDIG_COMP_CNT: 0
; COMPUTE_PGM_RSRC3_GFX90A:ACCUM_OFFSET: 0
; COMPUTE_PGM_RSRC3_GFX90A:TG_SPLIT: 0
	.section	.text._ZN7rocprim17ROCPRIM_400000_NS6detail17trampoline_kernelINS0_14default_configENS1_27scan_by_key_config_selectorIxxEEZZNS1_16scan_by_key_implILNS1_25lookback_scan_determinismE0ELb0ES3_N6thrust23THRUST_200600_302600_NS6detail15normal_iteratorINS9_10device_ptrIxEEEESE_SE_xNS9_4plusIvEENS9_8equal_toIxEExEE10hipError_tPvRmT2_T3_T4_T5_mT6_T7_P12ihipStream_tbENKUlT_T0_E_clISt17integral_constantIbLb1EESY_IbLb0EEEEDaSU_SV_EUlSU_E_NS1_11comp_targetILNS1_3genE0ELNS1_11target_archE4294967295ELNS1_3gpuE0ELNS1_3repE0EEENS1_30default_config_static_selectorELNS0_4arch9wavefront6targetE1EEEvT1_,"axG",@progbits,_ZN7rocprim17ROCPRIM_400000_NS6detail17trampoline_kernelINS0_14default_configENS1_27scan_by_key_config_selectorIxxEEZZNS1_16scan_by_key_implILNS1_25lookback_scan_determinismE0ELb0ES3_N6thrust23THRUST_200600_302600_NS6detail15normal_iteratorINS9_10device_ptrIxEEEESE_SE_xNS9_4plusIvEENS9_8equal_toIxEExEE10hipError_tPvRmT2_T3_T4_T5_mT6_T7_P12ihipStream_tbENKUlT_T0_E_clISt17integral_constantIbLb1EESY_IbLb0EEEEDaSU_SV_EUlSU_E_NS1_11comp_targetILNS1_3genE0ELNS1_11target_archE4294967295ELNS1_3gpuE0ELNS1_3repE0EEENS1_30default_config_static_selectorELNS0_4arch9wavefront6targetE1EEEvT1_,comdat
	.protected	_ZN7rocprim17ROCPRIM_400000_NS6detail17trampoline_kernelINS0_14default_configENS1_27scan_by_key_config_selectorIxxEEZZNS1_16scan_by_key_implILNS1_25lookback_scan_determinismE0ELb0ES3_N6thrust23THRUST_200600_302600_NS6detail15normal_iteratorINS9_10device_ptrIxEEEESE_SE_xNS9_4plusIvEENS9_8equal_toIxEExEE10hipError_tPvRmT2_T3_T4_T5_mT6_T7_P12ihipStream_tbENKUlT_T0_E_clISt17integral_constantIbLb1EESY_IbLb0EEEEDaSU_SV_EUlSU_E_NS1_11comp_targetILNS1_3genE0ELNS1_11target_archE4294967295ELNS1_3gpuE0ELNS1_3repE0EEENS1_30default_config_static_selectorELNS0_4arch9wavefront6targetE1EEEvT1_ ; -- Begin function _ZN7rocprim17ROCPRIM_400000_NS6detail17trampoline_kernelINS0_14default_configENS1_27scan_by_key_config_selectorIxxEEZZNS1_16scan_by_key_implILNS1_25lookback_scan_determinismE0ELb0ES3_N6thrust23THRUST_200600_302600_NS6detail15normal_iteratorINS9_10device_ptrIxEEEESE_SE_xNS9_4plusIvEENS9_8equal_toIxEExEE10hipError_tPvRmT2_T3_T4_T5_mT6_T7_P12ihipStream_tbENKUlT_T0_E_clISt17integral_constantIbLb1EESY_IbLb0EEEEDaSU_SV_EUlSU_E_NS1_11comp_targetILNS1_3genE0ELNS1_11target_archE4294967295ELNS1_3gpuE0ELNS1_3repE0EEENS1_30default_config_static_selectorELNS0_4arch9wavefront6targetE1EEEvT1_
	.globl	_ZN7rocprim17ROCPRIM_400000_NS6detail17trampoline_kernelINS0_14default_configENS1_27scan_by_key_config_selectorIxxEEZZNS1_16scan_by_key_implILNS1_25lookback_scan_determinismE0ELb0ES3_N6thrust23THRUST_200600_302600_NS6detail15normal_iteratorINS9_10device_ptrIxEEEESE_SE_xNS9_4plusIvEENS9_8equal_toIxEExEE10hipError_tPvRmT2_T3_T4_T5_mT6_T7_P12ihipStream_tbENKUlT_T0_E_clISt17integral_constantIbLb1EESY_IbLb0EEEEDaSU_SV_EUlSU_E_NS1_11comp_targetILNS1_3genE0ELNS1_11target_archE4294967295ELNS1_3gpuE0ELNS1_3repE0EEENS1_30default_config_static_selectorELNS0_4arch9wavefront6targetE1EEEvT1_
	.p2align	8
	.type	_ZN7rocprim17ROCPRIM_400000_NS6detail17trampoline_kernelINS0_14default_configENS1_27scan_by_key_config_selectorIxxEEZZNS1_16scan_by_key_implILNS1_25lookback_scan_determinismE0ELb0ES3_N6thrust23THRUST_200600_302600_NS6detail15normal_iteratorINS9_10device_ptrIxEEEESE_SE_xNS9_4plusIvEENS9_8equal_toIxEExEE10hipError_tPvRmT2_T3_T4_T5_mT6_T7_P12ihipStream_tbENKUlT_T0_E_clISt17integral_constantIbLb1EESY_IbLb0EEEEDaSU_SV_EUlSU_E_NS1_11comp_targetILNS1_3genE0ELNS1_11target_archE4294967295ELNS1_3gpuE0ELNS1_3repE0EEENS1_30default_config_static_selectorELNS0_4arch9wavefront6targetE1EEEvT1_,@function
_ZN7rocprim17ROCPRIM_400000_NS6detail17trampoline_kernelINS0_14default_configENS1_27scan_by_key_config_selectorIxxEEZZNS1_16scan_by_key_implILNS1_25lookback_scan_determinismE0ELb0ES3_N6thrust23THRUST_200600_302600_NS6detail15normal_iteratorINS9_10device_ptrIxEEEESE_SE_xNS9_4plusIvEENS9_8equal_toIxEExEE10hipError_tPvRmT2_T3_T4_T5_mT6_T7_P12ihipStream_tbENKUlT_T0_E_clISt17integral_constantIbLb1EESY_IbLb0EEEEDaSU_SV_EUlSU_E_NS1_11comp_targetILNS1_3genE0ELNS1_11target_archE4294967295ELNS1_3gpuE0ELNS1_3repE0EEENS1_30default_config_static_selectorELNS0_4arch9wavefront6targetE1EEEvT1_: ; @_ZN7rocprim17ROCPRIM_400000_NS6detail17trampoline_kernelINS0_14default_configENS1_27scan_by_key_config_selectorIxxEEZZNS1_16scan_by_key_implILNS1_25lookback_scan_determinismE0ELb0ES3_N6thrust23THRUST_200600_302600_NS6detail15normal_iteratorINS9_10device_ptrIxEEEESE_SE_xNS9_4plusIvEENS9_8equal_toIxEExEE10hipError_tPvRmT2_T3_T4_T5_mT6_T7_P12ihipStream_tbENKUlT_T0_E_clISt17integral_constantIbLb1EESY_IbLb0EEEEDaSU_SV_EUlSU_E_NS1_11comp_targetILNS1_3genE0ELNS1_11target_archE4294967295ELNS1_3gpuE0ELNS1_3repE0EEENS1_30default_config_static_selectorELNS0_4arch9wavefront6targetE1EEEvT1_
; %bb.0:
	.section	.rodata,"a",@progbits
	.p2align	6, 0x0
	.amdhsa_kernel _ZN7rocprim17ROCPRIM_400000_NS6detail17trampoline_kernelINS0_14default_configENS1_27scan_by_key_config_selectorIxxEEZZNS1_16scan_by_key_implILNS1_25lookback_scan_determinismE0ELb0ES3_N6thrust23THRUST_200600_302600_NS6detail15normal_iteratorINS9_10device_ptrIxEEEESE_SE_xNS9_4plusIvEENS9_8equal_toIxEExEE10hipError_tPvRmT2_T3_T4_T5_mT6_T7_P12ihipStream_tbENKUlT_T0_E_clISt17integral_constantIbLb1EESY_IbLb0EEEEDaSU_SV_EUlSU_E_NS1_11comp_targetILNS1_3genE0ELNS1_11target_archE4294967295ELNS1_3gpuE0ELNS1_3repE0EEENS1_30default_config_static_selectorELNS0_4arch9wavefront6targetE1EEEvT1_
		.amdhsa_group_segment_fixed_size 0
		.amdhsa_private_segment_fixed_size 0
		.amdhsa_kernarg_size 136
		.amdhsa_user_sgpr_count 6
		.amdhsa_user_sgpr_private_segment_buffer 1
		.amdhsa_user_sgpr_dispatch_ptr 0
		.amdhsa_user_sgpr_queue_ptr 0
		.amdhsa_user_sgpr_kernarg_segment_ptr 1
		.amdhsa_user_sgpr_dispatch_id 0
		.amdhsa_user_sgpr_flat_scratch_init 0
		.amdhsa_user_sgpr_kernarg_preload_length 0
		.amdhsa_user_sgpr_kernarg_preload_offset 0
		.amdhsa_user_sgpr_private_segment_size 0
		.amdhsa_uses_dynamic_stack 0
		.amdhsa_system_sgpr_private_segment_wavefront_offset 0
		.amdhsa_system_sgpr_workgroup_id_x 1
		.amdhsa_system_sgpr_workgroup_id_y 0
		.amdhsa_system_sgpr_workgroup_id_z 0
		.amdhsa_system_sgpr_workgroup_info 0
		.amdhsa_system_vgpr_workitem_id 0
		.amdhsa_next_free_vgpr 1
		.amdhsa_next_free_sgpr 0
		.amdhsa_accum_offset 4
		.amdhsa_reserve_vcc 0
		.amdhsa_reserve_flat_scratch 0
		.amdhsa_float_round_mode_32 0
		.amdhsa_float_round_mode_16_64 0
		.amdhsa_float_denorm_mode_32 3
		.amdhsa_float_denorm_mode_16_64 3
		.amdhsa_dx10_clamp 1
		.amdhsa_ieee_mode 1
		.amdhsa_fp16_overflow 0
		.amdhsa_tg_split 0
		.amdhsa_exception_fp_ieee_invalid_op 0
		.amdhsa_exception_fp_denorm_src 0
		.amdhsa_exception_fp_ieee_div_zero 0
		.amdhsa_exception_fp_ieee_overflow 0
		.amdhsa_exception_fp_ieee_underflow 0
		.amdhsa_exception_fp_ieee_inexact 0
		.amdhsa_exception_int_div_zero 0
	.end_amdhsa_kernel
	.section	.text._ZN7rocprim17ROCPRIM_400000_NS6detail17trampoline_kernelINS0_14default_configENS1_27scan_by_key_config_selectorIxxEEZZNS1_16scan_by_key_implILNS1_25lookback_scan_determinismE0ELb0ES3_N6thrust23THRUST_200600_302600_NS6detail15normal_iteratorINS9_10device_ptrIxEEEESE_SE_xNS9_4plusIvEENS9_8equal_toIxEExEE10hipError_tPvRmT2_T3_T4_T5_mT6_T7_P12ihipStream_tbENKUlT_T0_E_clISt17integral_constantIbLb1EESY_IbLb0EEEEDaSU_SV_EUlSU_E_NS1_11comp_targetILNS1_3genE0ELNS1_11target_archE4294967295ELNS1_3gpuE0ELNS1_3repE0EEENS1_30default_config_static_selectorELNS0_4arch9wavefront6targetE1EEEvT1_,"axG",@progbits,_ZN7rocprim17ROCPRIM_400000_NS6detail17trampoline_kernelINS0_14default_configENS1_27scan_by_key_config_selectorIxxEEZZNS1_16scan_by_key_implILNS1_25lookback_scan_determinismE0ELb0ES3_N6thrust23THRUST_200600_302600_NS6detail15normal_iteratorINS9_10device_ptrIxEEEESE_SE_xNS9_4plusIvEENS9_8equal_toIxEExEE10hipError_tPvRmT2_T3_T4_T5_mT6_T7_P12ihipStream_tbENKUlT_T0_E_clISt17integral_constantIbLb1EESY_IbLb0EEEEDaSU_SV_EUlSU_E_NS1_11comp_targetILNS1_3genE0ELNS1_11target_archE4294967295ELNS1_3gpuE0ELNS1_3repE0EEENS1_30default_config_static_selectorELNS0_4arch9wavefront6targetE1EEEvT1_,comdat
.Lfunc_end101:
	.size	_ZN7rocprim17ROCPRIM_400000_NS6detail17trampoline_kernelINS0_14default_configENS1_27scan_by_key_config_selectorIxxEEZZNS1_16scan_by_key_implILNS1_25lookback_scan_determinismE0ELb0ES3_N6thrust23THRUST_200600_302600_NS6detail15normal_iteratorINS9_10device_ptrIxEEEESE_SE_xNS9_4plusIvEENS9_8equal_toIxEExEE10hipError_tPvRmT2_T3_T4_T5_mT6_T7_P12ihipStream_tbENKUlT_T0_E_clISt17integral_constantIbLb1EESY_IbLb0EEEEDaSU_SV_EUlSU_E_NS1_11comp_targetILNS1_3genE0ELNS1_11target_archE4294967295ELNS1_3gpuE0ELNS1_3repE0EEENS1_30default_config_static_selectorELNS0_4arch9wavefront6targetE1EEEvT1_, .Lfunc_end101-_ZN7rocprim17ROCPRIM_400000_NS6detail17trampoline_kernelINS0_14default_configENS1_27scan_by_key_config_selectorIxxEEZZNS1_16scan_by_key_implILNS1_25lookback_scan_determinismE0ELb0ES3_N6thrust23THRUST_200600_302600_NS6detail15normal_iteratorINS9_10device_ptrIxEEEESE_SE_xNS9_4plusIvEENS9_8equal_toIxEExEE10hipError_tPvRmT2_T3_T4_T5_mT6_T7_P12ihipStream_tbENKUlT_T0_E_clISt17integral_constantIbLb1EESY_IbLb0EEEEDaSU_SV_EUlSU_E_NS1_11comp_targetILNS1_3genE0ELNS1_11target_archE4294967295ELNS1_3gpuE0ELNS1_3repE0EEENS1_30default_config_static_selectorELNS0_4arch9wavefront6targetE1EEEvT1_
                                        ; -- End function
	.section	.AMDGPU.csdata,"",@progbits
; Kernel info:
; codeLenInByte = 0
; NumSgprs: 4
; NumVgprs: 0
; NumAgprs: 0
; TotalNumVgprs: 0
; ScratchSize: 0
; MemoryBound: 0
; FloatMode: 240
; IeeeMode: 1
; LDSByteSize: 0 bytes/workgroup (compile time only)
; SGPRBlocks: 0
; VGPRBlocks: 0
; NumSGPRsForWavesPerEU: 4
; NumVGPRsForWavesPerEU: 1
; AccumOffset: 4
; Occupancy: 8
; WaveLimiterHint : 0
; COMPUTE_PGM_RSRC2:SCRATCH_EN: 0
; COMPUTE_PGM_RSRC2:USER_SGPR: 6
; COMPUTE_PGM_RSRC2:TRAP_HANDLER: 0
; COMPUTE_PGM_RSRC2:TGID_X_EN: 1
; COMPUTE_PGM_RSRC2:TGID_Y_EN: 0
; COMPUTE_PGM_RSRC2:TGID_Z_EN: 0
; COMPUTE_PGM_RSRC2:TIDIG_COMP_CNT: 0
; COMPUTE_PGM_RSRC3_GFX90A:ACCUM_OFFSET: 0
; COMPUTE_PGM_RSRC3_GFX90A:TG_SPLIT: 0
	.section	.text._ZN7rocprim17ROCPRIM_400000_NS6detail17trampoline_kernelINS0_14default_configENS1_27scan_by_key_config_selectorIxxEEZZNS1_16scan_by_key_implILNS1_25lookback_scan_determinismE0ELb0ES3_N6thrust23THRUST_200600_302600_NS6detail15normal_iteratorINS9_10device_ptrIxEEEESE_SE_xNS9_4plusIvEENS9_8equal_toIxEExEE10hipError_tPvRmT2_T3_T4_T5_mT6_T7_P12ihipStream_tbENKUlT_T0_E_clISt17integral_constantIbLb1EESY_IbLb0EEEEDaSU_SV_EUlSU_E_NS1_11comp_targetILNS1_3genE10ELNS1_11target_archE1201ELNS1_3gpuE5ELNS1_3repE0EEENS1_30default_config_static_selectorELNS0_4arch9wavefront6targetE1EEEvT1_,"axG",@progbits,_ZN7rocprim17ROCPRIM_400000_NS6detail17trampoline_kernelINS0_14default_configENS1_27scan_by_key_config_selectorIxxEEZZNS1_16scan_by_key_implILNS1_25lookback_scan_determinismE0ELb0ES3_N6thrust23THRUST_200600_302600_NS6detail15normal_iteratorINS9_10device_ptrIxEEEESE_SE_xNS9_4plusIvEENS9_8equal_toIxEExEE10hipError_tPvRmT2_T3_T4_T5_mT6_T7_P12ihipStream_tbENKUlT_T0_E_clISt17integral_constantIbLb1EESY_IbLb0EEEEDaSU_SV_EUlSU_E_NS1_11comp_targetILNS1_3genE10ELNS1_11target_archE1201ELNS1_3gpuE5ELNS1_3repE0EEENS1_30default_config_static_selectorELNS0_4arch9wavefront6targetE1EEEvT1_,comdat
	.protected	_ZN7rocprim17ROCPRIM_400000_NS6detail17trampoline_kernelINS0_14default_configENS1_27scan_by_key_config_selectorIxxEEZZNS1_16scan_by_key_implILNS1_25lookback_scan_determinismE0ELb0ES3_N6thrust23THRUST_200600_302600_NS6detail15normal_iteratorINS9_10device_ptrIxEEEESE_SE_xNS9_4plusIvEENS9_8equal_toIxEExEE10hipError_tPvRmT2_T3_T4_T5_mT6_T7_P12ihipStream_tbENKUlT_T0_E_clISt17integral_constantIbLb1EESY_IbLb0EEEEDaSU_SV_EUlSU_E_NS1_11comp_targetILNS1_3genE10ELNS1_11target_archE1201ELNS1_3gpuE5ELNS1_3repE0EEENS1_30default_config_static_selectorELNS0_4arch9wavefront6targetE1EEEvT1_ ; -- Begin function _ZN7rocprim17ROCPRIM_400000_NS6detail17trampoline_kernelINS0_14default_configENS1_27scan_by_key_config_selectorIxxEEZZNS1_16scan_by_key_implILNS1_25lookback_scan_determinismE0ELb0ES3_N6thrust23THRUST_200600_302600_NS6detail15normal_iteratorINS9_10device_ptrIxEEEESE_SE_xNS9_4plusIvEENS9_8equal_toIxEExEE10hipError_tPvRmT2_T3_T4_T5_mT6_T7_P12ihipStream_tbENKUlT_T0_E_clISt17integral_constantIbLb1EESY_IbLb0EEEEDaSU_SV_EUlSU_E_NS1_11comp_targetILNS1_3genE10ELNS1_11target_archE1201ELNS1_3gpuE5ELNS1_3repE0EEENS1_30default_config_static_selectorELNS0_4arch9wavefront6targetE1EEEvT1_
	.globl	_ZN7rocprim17ROCPRIM_400000_NS6detail17trampoline_kernelINS0_14default_configENS1_27scan_by_key_config_selectorIxxEEZZNS1_16scan_by_key_implILNS1_25lookback_scan_determinismE0ELb0ES3_N6thrust23THRUST_200600_302600_NS6detail15normal_iteratorINS9_10device_ptrIxEEEESE_SE_xNS9_4plusIvEENS9_8equal_toIxEExEE10hipError_tPvRmT2_T3_T4_T5_mT6_T7_P12ihipStream_tbENKUlT_T0_E_clISt17integral_constantIbLb1EESY_IbLb0EEEEDaSU_SV_EUlSU_E_NS1_11comp_targetILNS1_3genE10ELNS1_11target_archE1201ELNS1_3gpuE5ELNS1_3repE0EEENS1_30default_config_static_selectorELNS0_4arch9wavefront6targetE1EEEvT1_
	.p2align	8
	.type	_ZN7rocprim17ROCPRIM_400000_NS6detail17trampoline_kernelINS0_14default_configENS1_27scan_by_key_config_selectorIxxEEZZNS1_16scan_by_key_implILNS1_25lookback_scan_determinismE0ELb0ES3_N6thrust23THRUST_200600_302600_NS6detail15normal_iteratorINS9_10device_ptrIxEEEESE_SE_xNS9_4plusIvEENS9_8equal_toIxEExEE10hipError_tPvRmT2_T3_T4_T5_mT6_T7_P12ihipStream_tbENKUlT_T0_E_clISt17integral_constantIbLb1EESY_IbLb0EEEEDaSU_SV_EUlSU_E_NS1_11comp_targetILNS1_3genE10ELNS1_11target_archE1201ELNS1_3gpuE5ELNS1_3repE0EEENS1_30default_config_static_selectorELNS0_4arch9wavefront6targetE1EEEvT1_,@function
_ZN7rocprim17ROCPRIM_400000_NS6detail17trampoline_kernelINS0_14default_configENS1_27scan_by_key_config_selectorIxxEEZZNS1_16scan_by_key_implILNS1_25lookback_scan_determinismE0ELb0ES3_N6thrust23THRUST_200600_302600_NS6detail15normal_iteratorINS9_10device_ptrIxEEEESE_SE_xNS9_4plusIvEENS9_8equal_toIxEExEE10hipError_tPvRmT2_T3_T4_T5_mT6_T7_P12ihipStream_tbENKUlT_T0_E_clISt17integral_constantIbLb1EESY_IbLb0EEEEDaSU_SV_EUlSU_E_NS1_11comp_targetILNS1_3genE10ELNS1_11target_archE1201ELNS1_3gpuE5ELNS1_3repE0EEENS1_30default_config_static_selectorELNS0_4arch9wavefront6targetE1EEEvT1_: ; @_ZN7rocprim17ROCPRIM_400000_NS6detail17trampoline_kernelINS0_14default_configENS1_27scan_by_key_config_selectorIxxEEZZNS1_16scan_by_key_implILNS1_25lookback_scan_determinismE0ELb0ES3_N6thrust23THRUST_200600_302600_NS6detail15normal_iteratorINS9_10device_ptrIxEEEESE_SE_xNS9_4plusIvEENS9_8equal_toIxEExEE10hipError_tPvRmT2_T3_T4_T5_mT6_T7_P12ihipStream_tbENKUlT_T0_E_clISt17integral_constantIbLb1EESY_IbLb0EEEEDaSU_SV_EUlSU_E_NS1_11comp_targetILNS1_3genE10ELNS1_11target_archE1201ELNS1_3gpuE5ELNS1_3repE0EEENS1_30default_config_static_selectorELNS0_4arch9wavefront6targetE1EEEvT1_
; %bb.0:
	.section	.rodata,"a",@progbits
	.p2align	6, 0x0
	.amdhsa_kernel _ZN7rocprim17ROCPRIM_400000_NS6detail17trampoline_kernelINS0_14default_configENS1_27scan_by_key_config_selectorIxxEEZZNS1_16scan_by_key_implILNS1_25lookback_scan_determinismE0ELb0ES3_N6thrust23THRUST_200600_302600_NS6detail15normal_iteratorINS9_10device_ptrIxEEEESE_SE_xNS9_4plusIvEENS9_8equal_toIxEExEE10hipError_tPvRmT2_T3_T4_T5_mT6_T7_P12ihipStream_tbENKUlT_T0_E_clISt17integral_constantIbLb1EESY_IbLb0EEEEDaSU_SV_EUlSU_E_NS1_11comp_targetILNS1_3genE10ELNS1_11target_archE1201ELNS1_3gpuE5ELNS1_3repE0EEENS1_30default_config_static_selectorELNS0_4arch9wavefront6targetE1EEEvT1_
		.amdhsa_group_segment_fixed_size 0
		.amdhsa_private_segment_fixed_size 0
		.amdhsa_kernarg_size 136
		.amdhsa_user_sgpr_count 6
		.amdhsa_user_sgpr_private_segment_buffer 1
		.amdhsa_user_sgpr_dispatch_ptr 0
		.amdhsa_user_sgpr_queue_ptr 0
		.amdhsa_user_sgpr_kernarg_segment_ptr 1
		.amdhsa_user_sgpr_dispatch_id 0
		.amdhsa_user_sgpr_flat_scratch_init 0
		.amdhsa_user_sgpr_kernarg_preload_length 0
		.amdhsa_user_sgpr_kernarg_preload_offset 0
		.amdhsa_user_sgpr_private_segment_size 0
		.amdhsa_uses_dynamic_stack 0
		.amdhsa_system_sgpr_private_segment_wavefront_offset 0
		.amdhsa_system_sgpr_workgroup_id_x 1
		.amdhsa_system_sgpr_workgroup_id_y 0
		.amdhsa_system_sgpr_workgroup_id_z 0
		.amdhsa_system_sgpr_workgroup_info 0
		.amdhsa_system_vgpr_workitem_id 0
		.amdhsa_next_free_vgpr 1
		.amdhsa_next_free_sgpr 0
		.amdhsa_accum_offset 4
		.amdhsa_reserve_vcc 0
		.amdhsa_reserve_flat_scratch 0
		.amdhsa_float_round_mode_32 0
		.amdhsa_float_round_mode_16_64 0
		.amdhsa_float_denorm_mode_32 3
		.amdhsa_float_denorm_mode_16_64 3
		.amdhsa_dx10_clamp 1
		.amdhsa_ieee_mode 1
		.amdhsa_fp16_overflow 0
		.amdhsa_tg_split 0
		.amdhsa_exception_fp_ieee_invalid_op 0
		.amdhsa_exception_fp_denorm_src 0
		.amdhsa_exception_fp_ieee_div_zero 0
		.amdhsa_exception_fp_ieee_overflow 0
		.amdhsa_exception_fp_ieee_underflow 0
		.amdhsa_exception_fp_ieee_inexact 0
		.amdhsa_exception_int_div_zero 0
	.end_amdhsa_kernel
	.section	.text._ZN7rocprim17ROCPRIM_400000_NS6detail17trampoline_kernelINS0_14default_configENS1_27scan_by_key_config_selectorIxxEEZZNS1_16scan_by_key_implILNS1_25lookback_scan_determinismE0ELb0ES3_N6thrust23THRUST_200600_302600_NS6detail15normal_iteratorINS9_10device_ptrIxEEEESE_SE_xNS9_4plusIvEENS9_8equal_toIxEExEE10hipError_tPvRmT2_T3_T4_T5_mT6_T7_P12ihipStream_tbENKUlT_T0_E_clISt17integral_constantIbLb1EESY_IbLb0EEEEDaSU_SV_EUlSU_E_NS1_11comp_targetILNS1_3genE10ELNS1_11target_archE1201ELNS1_3gpuE5ELNS1_3repE0EEENS1_30default_config_static_selectorELNS0_4arch9wavefront6targetE1EEEvT1_,"axG",@progbits,_ZN7rocprim17ROCPRIM_400000_NS6detail17trampoline_kernelINS0_14default_configENS1_27scan_by_key_config_selectorIxxEEZZNS1_16scan_by_key_implILNS1_25lookback_scan_determinismE0ELb0ES3_N6thrust23THRUST_200600_302600_NS6detail15normal_iteratorINS9_10device_ptrIxEEEESE_SE_xNS9_4plusIvEENS9_8equal_toIxEExEE10hipError_tPvRmT2_T3_T4_T5_mT6_T7_P12ihipStream_tbENKUlT_T0_E_clISt17integral_constantIbLb1EESY_IbLb0EEEEDaSU_SV_EUlSU_E_NS1_11comp_targetILNS1_3genE10ELNS1_11target_archE1201ELNS1_3gpuE5ELNS1_3repE0EEENS1_30default_config_static_selectorELNS0_4arch9wavefront6targetE1EEEvT1_,comdat
.Lfunc_end102:
	.size	_ZN7rocprim17ROCPRIM_400000_NS6detail17trampoline_kernelINS0_14default_configENS1_27scan_by_key_config_selectorIxxEEZZNS1_16scan_by_key_implILNS1_25lookback_scan_determinismE0ELb0ES3_N6thrust23THRUST_200600_302600_NS6detail15normal_iteratorINS9_10device_ptrIxEEEESE_SE_xNS9_4plusIvEENS9_8equal_toIxEExEE10hipError_tPvRmT2_T3_T4_T5_mT6_T7_P12ihipStream_tbENKUlT_T0_E_clISt17integral_constantIbLb1EESY_IbLb0EEEEDaSU_SV_EUlSU_E_NS1_11comp_targetILNS1_3genE10ELNS1_11target_archE1201ELNS1_3gpuE5ELNS1_3repE0EEENS1_30default_config_static_selectorELNS0_4arch9wavefront6targetE1EEEvT1_, .Lfunc_end102-_ZN7rocprim17ROCPRIM_400000_NS6detail17trampoline_kernelINS0_14default_configENS1_27scan_by_key_config_selectorIxxEEZZNS1_16scan_by_key_implILNS1_25lookback_scan_determinismE0ELb0ES3_N6thrust23THRUST_200600_302600_NS6detail15normal_iteratorINS9_10device_ptrIxEEEESE_SE_xNS9_4plusIvEENS9_8equal_toIxEExEE10hipError_tPvRmT2_T3_T4_T5_mT6_T7_P12ihipStream_tbENKUlT_T0_E_clISt17integral_constantIbLb1EESY_IbLb0EEEEDaSU_SV_EUlSU_E_NS1_11comp_targetILNS1_3genE10ELNS1_11target_archE1201ELNS1_3gpuE5ELNS1_3repE0EEENS1_30default_config_static_selectorELNS0_4arch9wavefront6targetE1EEEvT1_
                                        ; -- End function
	.section	.AMDGPU.csdata,"",@progbits
; Kernel info:
; codeLenInByte = 0
; NumSgprs: 4
; NumVgprs: 0
; NumAgprs: 0
; TotalNumVgprs: 0
; ScratchSize: 0
; MemoryBound: 0
; FloatMode: 240
; IeeeMode: 1
; LDSByteSize: 0 bytes/workgroup (compile time only)
; SGPRBlocks: 0
; VGPRBlocks: 0
; NumSGPRsForWavesPerEU: 4
; NumVGPRsForWavesPerEU: 1
; AccumOffset: 4
; Occupancy: 8
; WaveLimiterHint : 0
; COMPUTE_PGM_RSRC2:SCRATCH_EN: 0
; COMPUTE_PGM_RSRC2:USER_SGPR: 6
; COMPUTE_PGM_RSRC2:TRAP_HANDLER: 0
; COMPUTE_PGM_RSRC2:TGID_X_EN: 1
; COMPUTE_PGM_RSRC2:TGID_Y_EN: 0
; COMPUTE_PGM_RSRC2:TGID_Z_EN: 0
; COMPUTE_PGM_RSRC2:TIDIG_COMP_CNT: 0
; COMPUTE_PGM_RSRC3_GFX90A:ACCUM_OFFSET: 0
; COMPUTE_PGM_RSRC3_GFX90A:TG_SPLIT: 0
	.section	.text._ZN7rocprim17ROCPRIM_400000_NS6detail17trampoline_kernelINS0_14default_configENS1_27scan_by_key_config_selectorIxxEEZZNS1_16scan_by_key_implILNS1_25lookback_scan_determinismE0ELb0ES3_N6thrust23THRUST_200600_302600_NS6detail15normal_iteratorINS9_10device_ptrIxEEEESE_SE_xNS9_4plusIvEENS9_8equal_toIxEExEE10hipError_tPvRmT2_T3_T4_T5_mT6_T7_P12ihipStream_tbENKUlT_T0_E_clISt17integral_constantIbLb1EESY_IbLb0EEEEDaSU_SV_EUlSU_E_NS1_11comp_targetILNS1_3genE5ELNS1_11target_archE942ELNS1_3gpuE9ELNS1_3repE0EEENS1_30default_config_static_selectorELNS0_4arch9wavefront6targetE1EEEvT1_,"axG",@progbits,_ZN7rocprim17ROCPRIM_400000_NS6detail17trampoline_kernelINS0_14default_configENS1_27scan_by_key_config_selectorIxxEEZZNS1_16scan_by_key_implILNS1_25lookback_scan_determinismE0ELb0ES3_N6thrust23THRUST_200600_302600_NS6detail15normal_iteratorINS9_10device_ptrIxEEEESE_SE_xNS9_4plusIvEENS9_8equal_toIxEExEE10hipError_tPvRmT2_T3_T4_T5_mT6_T7_P12ihipStream_tbENKUlT_T0_E_clISt17integral_constantIbLb1EESY_IbLb0EEEEDaSU_SV_EUlSU_E_NS1_11comp_targetILNS1_3genE5ELNS1_11target_archE942ELNS1_3gpuE9ELNS1_3repE0EEENS1_30default_config_static_selectorELNS0_4arch9wavefront6targetE1EEEvT1_,comdat
	.protected	_ZN7rocprim17ROCPRIM_400000_NS6detail17trampoline_kernelINS0_14default_configENS1_27scan_by_key_config_selectorIxxEEZZNS1_16scan_by_key_implILNS1_25lookback_scan_determinismE0ELb0ES3_N6thrust23THRUST_200600_302600_NS6detail15normal_iteratorINS9_10device_ptrIxEEEESE_SE_xNS9_4plusIvEENS9_8equal_toIxEExEE10hipError_tPvRmT2_T3_T4_T5_mT6_T7_P12ihipStream_tbENKUlT_T0_E_clISt17integral_constantIbLb1EESY_IbLb0EEEEDaSU_SV_EUlSU_E_NS1_11comp_targetILNS1_3genE5ELNS1_11target_archE942ELNS1_3gpuE9ELNS1_3repE0EEENS1_30default_config_static_selectorELNS0_4arch9wavefront6targetE1EEEvT1_ ; -- Begin function _ZN7rocprim17ROCPRIM_400000_NS6detail17trampoline_kernelINS0_14default_configENS1_27scan_by_key_config_selectorIxxEEZZNS1_16scan_by_key_implILNS1_25lookback_scan_determinismE0ELb0ES3_N6thrust23THRUST_200600_302600_NS6detail15normal_iteratorINS9_10device_ptrIxEEEESE_SE_xNS9_4plusIvEENS9_8equal_toIxEExEE10hipError_tPvRmT2_T3_T4_T5_mT6_T7_P12ihipStream_tbENKUlT_T0_E_clISt17integral_constantIbLb1EESY_IbLb0EEEEDaSU_SV_EUlSU_E_NS1_11comp_targetILNS1_3genE5ELNS1_11target_archE942ELNS1_3gpuE9ELNS1_3repE0EEENS1_30default_config_static_selectorELNS0_4arch9wavefront6targetE1EEEvT1_
	.globl	_ZN7rocprim17ROCPRIM_400000_NS6detail17trampoline_kernelINS0_14default_configENS1_27scan_by_key_config_selectorIxxEEZZNS1_16scan_by_key_implILNS1_25lookback_scan_determinismE0ELb0ES3_N6thrust23THRUST_200600_302600_NS6detail15normal_iteratorINS9_10device_ptrIxEEEESE_SE_xNS9_4plusIvEENS9_8equal_toIxEExEE10hipError_tPvRmT2_T3_T4_T5_mT6_T7_P12ihipStream_tbENKUlT_T0_E_clISt17integral_constantIbLb1EESY_IbLb0EEEEDaSU_SV_EUlSU_E_NS1_11comp_targetILNS1_3genE5ELNS1_11target_archE942ELNS1_3gpuE9ELNS1_3repE0EEENS1_30default_config_static_selectorELNS0_4arch9wavefront6targetE1EEEvT1_
	.p2align	8
	.type	_ZN7rocprim17ROCPRIM_400000_NS6detail17trampoline_kernelINS0_14default_configENS1_27scan_by_key_config_selectorIxxEEZZNS1_16scan_by_key_implILNS1_25lookback_scan_determinismE0ELb0ES3_N6thrust23THRUST_200600_302600_NS6detail15normal_iteratorINS9_10device_ptrIxEEEESE_SE_xNS9_4plusIvEENS9_8equal_toIxEExEE10hipError_tPvRmT2_T3_T4_T5_mT6_T7_P12ihipStream_tbENKUlT_T0_E_clISt17integral_constantIbLb1EESY_IbLb0EEEEDaSU_SV_EUlSU_E_NS1_11comp_targetILNS1_3genE5ELNS1_11target_archE942ELNS1_3gpuE9ELNS1_3repE0EEENS1_30default_config_static_selectorELNS0_4arch9wavefront6targetE1EEEvT1_,@function
_ZN7rocprim17ROCPRIM_400000_NS6detail17trampoline_kernelINS0_14default_configENS1_27scan_by_key_config_selectorIxxEEZZNS1_16scan_by_key_implILNS1_25lookback_scan_determinismE0ELb0ES3_N6thrust23THRUST_200600_302600_NS6detail15normal_iteratorINS9_10device_ptrIxEEEESE_SE_xNS9_4plusIvEENS9_8equal_toIxEExEE10hipError_tPvRmT2_T3_T4_T5_mT6_T7_P12ihipStream_tbENKUlT_T0_E_clISt17integral_constantIbLb1EESY_IbLb0EEEEDaSU_SV_EUlSU_E_NS1_11comp_targetILNS1_3genE5ELNS1_11target_archE942ELNS1_3gpuE9ELNS1_3repE0EEENS1_30default_config_static_selectorELNS0_4arch9wavefront6targetE1EEEvT1_: ; @_ZN7rocprim17ROCPRIM_400000_NS6detail17trampoline_kernelINS0_14default_configENS1_27scan_by_key_config_selectorIxxEEZZNS1_16scan_by_key_implILNS1_25lookback_scan_determinismE0ELb0ES3_N6thrust23THRUST_200600_302600_NS6detail15normal_iteratorINS9_10device_ptrIxEEEESE_SE_xNS9_4plusIvEENS9_8equal_toIxEExEE10hipError_tPvRmT2_T3_T4_T5_mT6_T7_P12ihipStream_tbENKUlT_T0_E_clISt17integral_constantIbLb1EESY_IbLb0EEEEDaSU_SV_EUlSU_E_NS1_11comp_targetILNS1_3genE5ELNS1_11target_archE942ELNS1_3gpuE9ELNS1_3repE0EEENS1_30default_config_static_selectorELNS0_4arch9wavefront6targetE1EEEvT1_
; %bb.0:
	.section	.rodata,"a",@progbits
	.p2align	6, 0x0
	.amdhsa_kernel _ZN7rocprim17ROCPRIM_400000_NS6detail17trampoline_kernelINS0_14default_configENS1_27scan_by_key_config_selectorIxxEEZZNS1_16scan_by_key_implILNS1_25lookback_scan_determinismE0ELb0ES3_N6thrust23THRUST_200600_302600_NS6detail15normal_iteratorINS9_10device_ptrIxEEEESE_SE_xNS9_4plusIvEENS9_8equal_toIxEExEE10hipError_tPvRmT2_T3_T4_T5_mT6_T7_P12ihipStream_tbENKUlT_T0_E_clISt17integral_constantIbLb1EESY_IbLb0EEEEDaSU_SV_EUlSU_E_NS1_11comp_targetILNS1_3genE5ELNS1_11target_archE942ELNS1_3gpuE9ELNS1_3repE0EEENS1_30default_config_static_selectorELNS0_4arch9wavefront6targetE1EEEvT1_
		.amdhsa_group_segment_fixed_size 0
		.amdhsa_private_segment_fixed_size 0
		.amdhsa_kernarg_size 136
		.amdhsa_user_sgpr_count 6
		.amdhsa_user_sgpr_private_segment_buffer 1
		.amdhsa_user_sgpr_dispatch_ptr 0
		.amdhsa_user_sgpr_queue_ptr 0
		.amdhsa_user_sgpr_kernarg_segment_ptr 1
		.amdhsa_user_sgpr_dispatch_id 0
		.amdhsa_user_sgpr_flat_scratch_init 0
		.amdhsa_user_sgpr_kernarg_preload_length 0
		.amdhsa_user_sgpr_kernarg_preload_offset 0
		.amdhsa_user_sgpr_private_segment_size 0
		.amdhsa_uses_dynamic_stack 0
		.amdhsa_system_sgpr_private_segment_wavefront_offset 0
		.amdhsa_system_sgpr_workgroup_id_x 1
		.amdhsa_system_sgpr_workgroup_id_y 0
		.amdhsa_system_sgpr_workgroup_id_z 0
		.amdhsa_system_sgpr_workgroup_info 0
		.amdhsa_system_vgpr_workitem_id 0
		.amdhsa_next_free_vgpr 1
		.amdhsa_next_free_sgpr 0
		.amdhsa_accum_offset 4
		.amdhsa_reserve_vcc 0
		.amdhsa_reserve_flat_scratch 0
		.amdhsa_float_round_mode_32 0
		.amdhsa_float_round_mode_16_64 0
		.amdhsa_float_denorm_mode_32 3
		.amdhsa_float_denorm_mode_16_64 3
		.amdhsa_dx10_clamp 1
		.amdhsa_ieee_mode 1
		.amdhsa_fp16_overflow 0
		.amdhsa_tg_split 0
		.amdhsa_exception_fp_ieee_invalid_op 0
		.amdhsa_exception_fp_denorm_src 0
		.amdhsa_exception_fp_ieee_div_zero 0
		.amdhsa_exception_fp_ieee_overflow 0
		.amdhsa_exception_fp_ieee_underflow 0
		.amdhsa_exception_fp_ieee_inexact 0
		.amdhsa_exception_int_div_zero 0
	.end_amdhsa_kernel
	.section	.text._ZN7rocprim17ROCPRIM_400000_NS6detail17trampoline_kernelINS0_14default_configENS1_27scan_by_key_config_selectorIxxEEZZNS1_16scan_by_key_implILNS1_25lookback_scan_determinismE0ELb0ES3_N6thrust23THRUST_200600_302600_NS6detail15normal_iteratorINS9_10device_ptrIxEEEESE_SE_xNS9_4plusIvEENS9_8equal_toIxEExEE10hipError_tPvRmT2_T3_T4_T5_mT6_T7_P12ihipStream_tbENKUlT_T0_E_clISt17integral_constantIbLb1EESY_IbLb0EEEEDaSU_SV_EUlSU_E_NS1_11comp_targetILNS1_3genE5ELNS1_11target_archE942ELNS1_3gpuE9ELNS1_3repE0EEENS1_30default_config_static_selectorELNS0_4arch9wavefront6targetE1EEEvT1_,"axG",@progbits,_ZN7rocprim17ROCPRIM_400000_NS6detail17trampoline_kernelINS0_14default_configENS1_27scan_by_key_config_selectorIxxEEZZNS1_16scan_by_key_implILNS1_25lookback_scan_determinismE0ELb0ES3_N6thrust23THRUST_200600_302600_NS6detail15normal_iteratorINS9_10device_ptrIxEEEESE_SE_xNS9_4plusIvEENS9_8equal_toIxEExEE10hipError_tPvRmT2_T3_T4_T5_mT6_T7_P12ihipStream_tbENKUlT_T0_E_clISt17integral_constantIbLb1EESY_IbLb0EEEEDaSU_SV_EUlSU_E_NS1_11comp_targetILNS1_3genE5ELNS1_11target_archE942ELNS1_3gpuE9ELNS1_3repE0EEENS1_30default_config_static_selectorELNS0_4arch9wavefront6targetE1EEEvT1_,comdat
.Lfunc_end103:
	.size	_ZN7rocprim17ROCPRIM_400000_NS6detail17trampoline_kernelINS0_14default_configENS1_27scan_by_key_config_selectorIxxEEZZNS1_16scan_by_key_implILNS1_25lookback_scan_determinismE0ELb0ES3_N6thrust23THRUST_200600_302600_NS6detail15normal_iteratorINS9_10device_ptrIxEEEESE_SE_xNS9_4plusIvEENS9_8equal_toIxEExEE10hipError_tPvRmT2_T3_T4_T5_mT6_T7_P12ihipStream_tbENKUlT_T0_E_clISt17integral_constantIbLb1EESY_IbLb0EEEEDaSU_SV_EUlSU_E_NS1_11comp_targetILNS1_3genE5ELNS1_11target_archE942ELNS1_3gpuE9ELNS1_3repE0EEENS1_30default_config_static_selectorELNS0_4arch9wavefront6targetE1EEEvT1_, .Lfunc_end103-_ZN7rocprim17ROCPRIM_400000_NS6detail17trampoline_kernelINS0_14default_configENS1_27scan_by_key_config_selectorIxxEEZZNS1_16scan_by_key_implILNS1_25lookback_scan_determinismE0ELb0ES3_N6thrust23THRUST_200600_302600_NS6detail15normal_iteratorINS9_10device_ptrIxEEEESE_SE_xNS9_4plusIvEENS9_8equal_toIxEExEE10hipError_tPvRmT2_T3_T4_T5_mT6_T7_P12ihipStream_tbENKUlT_T0_E_clISt17integral_constantIbLb1EESY_IbLb0EEEEDaSU_SV_EUlSU_E_NS1_11comp_targetILNS1_3genE5ELNS1_11target_archE942ELNS1_3gpuE9ELNS1_3repE0EEENS1_30default_config_static_selectorELNS0_4arch9wavefront6targetE1EEEvT1_
                                        ; -- End function
	.section	.AMDGPU.csdata,"",@progbits
; Kernel info:
; codeLenInByte = 0
; NumSgprs: 4
; NumVgprs: 0
; NumAgprs: 0
; TotalNumVgprs: 0
; ScratchSize: 0
; MemoryBound: 0
; FloatMode: 240
; IeeeMode: 1
; LDSByteSize: 0 bytes/workgroup (compile time only)
; SGPRBlocks: 0
; VGPRBlocks: 0
; NumSGPRsForWavesPerEU: 4
; NumVGPRsForWavesPerEU: 1
; AccumOffset: 4
; Occupancy: 8
; WaveLimiterHint : 0
; COMPUTE_PGM_RSRC2:SCRATCH_EN: 0
; COMPUTE_PGM_RSRC2:USER_SGPR: 6
; COMPUTE_PGM_RSRC2:TRAP_HANDLER: 0
; COMPUTE_PGM_RSRC2:TGID_X_EN: 1
; COMPUTE_PGM_RSRC2:TGID_Y_EN: 0
; COMPUTE_PGM_RSRC2:TGID_Z_EN: 0
; COMPUTE_PGM_RSRC2:TIDIG_COMP_CNT: 0
; COMPUTE_PGM_RSRC3_GFX90A:ACCUM_OFFSET: 0
; COMPUTE_PGM_RSRC3_GFX90A:TG_SPLIT: 0
	.section	.text._ZN7rocprim17ROCPRIM_400000_NS6detail17trampoline_kernelINS0_14default_configENS1_27scan_by_key_config_selectorIxxEEZZNS1_16scan_by_key_implILNS1_25lookback_scan_determinismE0ELb0ES3_N6thrust23THRUST_200600_302600_NS6detail15normal_iteratorINS9_10device_ptrIxEEEESE_SE_xNS9_4plusIvEENS9_8equal_toIxEExEE10hipError_tPvRmT2_T3_T4_T5_mT6_T7_P12ihipStream_tbENKUlT_T0_E_clISt17integral_constantIbLb1EESY_IbLb0EEEEDaSU_SV_EUlSU_E_NS1_11comp_targetILNS1_3genE4ELNS1_11target_archE910ELNS1_3gpuE8ELNS1_3repE0EEENS1_30default_config_static_selectorELNS0_4arch9wavefront6targetE1EEEvT1_,"axG",@progbits,_ZN7rocprim17ROCPRIM_400000_NS6detail17trampoline_kernelINS0_14default_configENS1_27scan_by_key_config_selectorIxxEEZZNS1_16scan_by_key_implILNS1_25lookback_scan_determinismE0ELb0ES3_N6thrust23THRUST_200600_302600_NS6detail15normal_iteratorINS9_10device_ptrIxEEEESE_SE_xNS9_4plusIvEENS9_8equal_toIxEExEE10hipError_tPvRmT2_T3_T4_T5_mT6_T7_P12ihipStream_tbENKUlT_T0_E_clISt17integral_constantIbLb1EESY_IbLb0EEEEDaSU_SV_EUlSU_E_NS1_11comp_targetILNS1_3genE4ELNS1_11target_archE910ELNS1_3gpuE8ELNS1_3repE0EEENS1_30default_config_static_selectorELNS0_4arch9wavefront6targetE1EEEvT1_,comdat
	.protected	_ZN7rocprim17ROCPRIM_400000_NS6detail17trampoline_kernelINS0_14default_configENS1_27scan_by_key_config_selectorIxxEEZZNS1_16scan_by_key_implILNS1_25lookback_scan_determinismE0ELb0ES3_N6thrust23THRUST_200600_302600_NS6detail15normal_iteratorINS9_10device_ptrIxEEEESE_SE_xNS9_4plusIvEENS9_8equal_toIxEExEE10hipError_tPvRmT2_T3_T4_T5_mT6_T7_P12ihipStream_tbENKUlT_T0_E_clISt17integral_constantIbLb1EESY_IbLb0EEEEDaSU_SV_EUlSU_E_NS1_11comp_targetILNS1_3genE4ELNS1_11target_archE910ELNS1_3gpuE8ELNS1_3repE0EEENS1_30default_config_static_selectorELNS0_4arch9wavefront6targetE1EEEvT1_ ; -- Begin function _ZN7rocprim17ROCPRIM_400000_NS6detail17trampoline_kernelINS0_14default_configENS1_27scan_by_key_config_selectorIxxEEZZNS1_16scan_by_key_implILNS1_25lookback_scan_determinismE0ELb0ES3_N6thrust23THRUST_200600_302600_NS6detail15normal_iteratorINS9_10device_ptrIxEEEESE_SE_xNS9_4plusIvEENS9_8equal_toIxEExEE10hipError_tPvRmT2_T3_T4_T5_mT6_T7_P12ihipStream_tbENKUlT_T0_E_clISt17integral_constantIbLb1EESY_IbLb0EEEEDaSU_SV_EUlSU_E_NS1_11comp_targetILNS1_3genE4ELNS1_11target_archE910ELNS1_3gpuE8ELNS1_3repE0EEENS1_30default_config_static_selectorELNS0_4arch9wavefront6targetE1EEEvT1_
	.globl	_ZN7rocprim17ROCPRIM_400000_NS6detail17trampoline_kernelINS0_14default_configENS1_27scan_by_key_config_selectorIxxEEZZNS1_16scan_by_key_implILNS1_25lookback_scan_determinismE0ELb0ES3_N6thrust23THRUST_200600_302600_NS6detail15normal_iteratorINS9_10device_ptrIxEEEESE_SE_xNS9_4plusIvEENS9_8equal_toIxEExEE10hipError_tPvRmT2_T3_T4_T5_mT6_T7_P12ihipStream_tbENKUlT_T0_E_clISt17integral_constantIbLb1EESY_IbLb0EEEEDaSU_SV_EUlSU_E_NS1_11comp_targetILNS1_3genE4ELNS1_11target_archE910ELNS1_3gpuE8ELNS1_3repE0EEENS1_30default_config_static_selectorELNS0_4arch9wavefront6targetE1EEEvT1_
	.p2align	8
	.type	_ZN7rocprim17ROCPRIM_400000_NS6detail17trampoline_kernelINS0_14default_configENS1_27scan_by_key_config_selectorIxxEEZZNS1_16scan_by_key_implILNS1_25lookback_scan_determinismE0ELb0ES3_N6thrust23THRUST_200600_302600_NS6detail15normal_iteratorINS9_10device_ptrIxEEEESE_SE_xNS9_4plusIvEENS9_8equal_toIxEExEE10hipError_tPvRmT2_T3_T4_T5_mT6_T7_P12ihipStream_tbENKUlT_T0_E_clISt17integral_constantIbLb1EESY_IbLb0EEEEDaSU_SV_EUlSU_E_NS1_11comp_targetILNS1_3genE4ELNS1_11target_archE910ELNS1_3gpuE8ELNS1_3repE0EEENS1_30default_config_static_selectorELNS0_4arch9wavefront6targetE1EEEvT1_,@function
_ZN7rocprim17ROCPRIM_400000_NS6detail17trampoline_kernelINS0_14default_configENS1_27scan_by_key_config_selectorIxxEEZZNS1_16scan_by_key_implILNS1_25lookback_scan_determinismE0ELb0ES3_N6thrust23THRUST_200600_302600_NS6detail15normal_iteratorINS9_10device_ptrIxEEEESE_SE_xNS9_4plusIvEENS9_8equal_toIxEExEE10hipError_tPvRmT2_T3_T4_T5_mT6_T7_P12ihipStream_tbENKUlT_T0_E_clISt17integral_constantIbLb1EESY_IbLb0EEEEDaSU_SV_EUlSU_E_NS1_11comp_targetILNS1_3genE4ELNS1_11target_archE910ELNS1_3gpuE8ELNS1_3repE0EEENS1_30default_config_static_selectorELNS0_4arch9wavefront6targetE1EEEvT1_: ; @_ZN7rocprim17ROCPRIM_400000_NS6detail17trampoline_kernelINS0_14default_configENS1_27scan_by_key_config_selectorIxxEEZZNS1_16scan_by_key_implILNS1_25lookback_scan_determinismE0ELb0ES3_N6thrust23THRUST_200600_302600_NS6detail15normal_iteratorINS9_10device_ptrIxEEEESE_SE_xNS9_4plusIvEENS9_8equal_toIxEExEE10hipError_tPvRmT2_T3_T4_T5_mT6_T7_P12ihipStream_tbENKUlT_T0_E_clISt17integral_constantIbLb1EESY_IbLb0EEEEDaSU_SV_EUlSU_E_NS1_11comp_targetILNS1_3genE4ELNS1_11target_archE910ELNS1_3gpuE8ELNS1_3repE0EEENS1_30default_config_static_selectorELNS0_4arch9wavefront6targetE1EEEvT1_
; %bb.0:
	s_load_dwordx8 s[40:47], s[4:5], 0x0
	s_load_dwordx8 s[48:55], s[4:5], 0x30
	s_load_dwordx2 s[66:67], s[4:5], 0x50
	s_load_dword s0, s[4:5], 0x58
	s_load_dwordx8 s[56:63], s[4:5], 0x60
	s_waitcnt lgkmcnt(0)
	s_lshl_b64 s[64:65], s[42:43], 3
	s_add_u32 s2, s40, s64
	s_addc_u32 s3, s41, s65
	s_add_u32 s4, s44, s64
	s_mul_i32 s1, s67, s0
	s_mul_hi_u32 s7, s66, s0
	s_addc_u32 s5, s45, s65
	s_add_i32 s8, s7, s1
	s_mul_i32 s9, s66, s0
	s_cmp_lg_u64 s[60:61], 0
	s_mul_i32 s0, s6, 0x4c0
	s_mov_b32 s1, 0
	s_cselect_b64 s[68:69], -1, 0
	s_lshl_b64 s[60:61], s[0:1], 3
	s_add_u32 s44, s2, s60
	s_addc_u32 s45, s3, s61
	s_add_u32 s7, s4, s60
	s_addc_u32 s55, s5, s61
	;; [unrolled: 2-line block ×3, first 2 shown]
	s_add_u32 s2, s56, -1
	s_addc_u32 s3, s57, -1
	v_pk_mov_b32 v[2:3], s[2:3], s[2:3] op_sel:[0,1]
	v_cmp_ge_u64_e64 s[0:1], s[70:71], v[2:3]
	s_mov_b64 s[10:11], 0
	s_mov_b64 s[4:5], -1
	s_and_b64 vcc, exec, s[0:1]
	s_mul_i32 s33, s2, 0xfffffb40
	s_waitcnt lgkmcnt(0)
	; wave barrier
	s_cbranch_vccz .LBB104_102
; %bb.1:
	v_pk_mov_b32 v[2:3], s[44:45], s[44:45] op_sel:[0,1]
	flat_load_dwordx2 v[2:3], v[2:3]
	s_add_i32 s77, s33, s54
	v_cmp_gt_u32_e64 s[2:3], s77, v0
	s_waitcnt vmcnt(0) lgkmcnt(0)
	v_pk_mov_b32 v[4:5], v[2:3], v[2:3] op_sel:[0,1]
	s_and_saveexec_b64 s[4:5], s[2:3]
	s_cbranch_execz .LBB104_3
; %bb.2:
	v_lshlrev_b32_e32 v1, 3, v0
	v_mov_b32_e32 v5, s45
	v_add_co_u32_e32 v4, vcc, s44, v1
	v_addc_co_u32_e32 v5, vcc, 0, v5, vcc
	flat_load_dwordx2 v[4:5], v[4:5]
.LBB104_3:
	s_or_b64 exec, exec, s[4:5]
	v_or_b32_e32 v1, 64, v0
	v_cmp_gt_u32_e64 s[4:5], s77, v1
	v_pk_mov_b32 v[6:7], v[2:3], v[2:3] op_sel:[0,1]
	s_and_saveexec_b64 s[8:9], s[4:5]
	s_cbranch_execz .LBB104_5
; %bb.4:
	v_lshlrev_b32_e32 v1, 3, v0
	v_mov_b32_e32 v7, s45
	v_add_co_u32_e32 v6, vcc, s44, v1
	v_addc_co_u32_e32 v7, vcc, 0, v7, vcc
	flat_load_dwordx2 v[6:7], v[6:7] offset:512
.LBB104_5:
	s_or_b64 exec, exec, s[8:9]
	v_or_b32_e32 v1, 0x80, v0
	v_cmp_gt_u32_e64 s[42:43], s77, v1
	v_pk_mov_b32 v[8:9], v[2:3], v[2:3] op_sel:[0,1]
	s_and_saveexec_b64 s[8:9], s[42:43]
	s_cbranch_execz .LBB104_7
; %bb.6:
	v_lshlrev_b32_e32 v1, 3, v0
	v_mov_b32_e32 v9, s45
	v_add_co_u32_e32 v8, vcc, s44, v1
	v_addc_co_u32_e32 v9, vcc, 0, v9, vcc
	flat_load_dwordx2 v[8:9], v[8:9] offset:1024
.LBB104_7:
	;; [unrolled: 13-line block ×7, first 2 shown]
	s_or_b64 exec, exec, s[18:19]
	v_or_b32_e32 v1, 0x200, v0
	v_cmp_gt_u32_e64 s[18:19], s77, v1
	v_pk_mov_b32 v[20:21], v[2:3], v[2:3] op_sel:[0,1]
	s_and_saveexec_b64 s[20:21], s[18:19]
	s_cbranch_execz .LBB104_19
; %bb.18:
	v_lshlrev_b32_e32 v20, 3, v1
	v_mov_b32_e32 v21, s45
	v_add_co_u32_e32 v20, vcc, s44, v20
	v_addc_co_u32_e32 v21, vcc, 0, v21, vcc
	flat_load_dwordx2 v[20:21], v[20:21]
.LBB104_19:
	s_or_b64 exec, exec, s[20:21]
	v_or_b32_e32 v40, 0x240, v0
	v_cmp_gt_u32_e64 s[20:21], s77, v40
	v_pk_mov_b32 v[22:23], v[2:3], v[2:3] op_sel:[0,1]
	s_and_saveexec_b64 s[22:23], s[20:21]
	s_cbranch_execz .LBB104_21
; %bb.20:
	v_lshlrev_b32_e32 v22, 3, v40
	v_mov_b32_e32 v23, s45
	v_add_co_u32_e32 v22, vcc, s44, v22
	v_addc_co_u32_e32 v23, vcc, 0, v23, vcc
	flat_load_dwordx2 v[22:23], v[22:23]
.LBB104_21:
	s_or_b64 exec, exec, s[22:23]
	v_or_b32_e32 v41, 0x280, v0
	v_cmp_gt_u32_e64 s[22:23], s77, v41
	v_pk_mov_b32 v[24:25], v[2:3], v[2:3] op_sel:[0,1]
	s_and_saveexec_b64 s[24:25], s[22:23]
	s_cbranch_execz .LBB104_23
; %bb.22:
	v_lshlrev_b32_e32 v24, 3, v41
	v_mov_b32_e32 v25, s45
	v_add_co_u32_e32 v24, vcc, s44, v24
	v_addc_co_u32_e32 v25, vcc, 0, v25, vcc
	flat_load_dwordx2 v[24:25], v[24:25]
.LBB104_23:
	s_or_b64 exec, exec, s[24:25]
	v_or_b32_e32 v42, 0x2c0, v0
	v_cmp_gt_u32_e64 s[24:25], s77, v42
	v_pk_mov_b32 v[26:27], v[2:3], v[2:3] op_sel:[0,1]
	s_and_saveexec_b64 s[26:27], s[24:25]
	s_cbranch_execz .LBB104_25
; %bb.24:
	v_lshlrev_b32_e32 v26, 3, v42
	v_mov_b32_e32 v27, s45
	v_add_co_u32_e32 v26, vcc, s44, v26
	v_addc_co_u32_e32 v27, vcc, 0, v27, vcc
	flat_load_dwordx2 v[26:27], v[26:27]
.LBB104_25:
	s_or_b64 exec, exec, s[26:27]
	v_or_b32_e32 v43, 0x300, v0
	v_cmp_gt_u32_e64 s[26:27], s77, v43
	v_pk_mov_b32 v[28:29], v[2:3], v[2:3] op_sel:[0,1]
	s_and_saveexec_b64 s[28:29], s[26:27]
	s_cbranch_execz .LBB104_27
; %bb.26:
	v_lshlrev_b32_e32 v28, 3, v43
	v_mov_b32_e32 v29, s45
	v_add_co_u32_e32 v28, vcc, s44, v28
	v_addc_co_u32_e32 v29, vcc, 0, v29, vcc
	flat_load_dwordx2 v[28:29], v[28:29]
.LBB104_27:
	s_or_b64 exec, exec, s[28:29]
	v_or_b32_e32 v44, 0x340, v0
	v_cmp_gt_u32_e64 s[28:29], s77, v44
	v_pk_mov_b32 v[30:31], v[2:3], v[2:3] op_sel:[0,1]
	s_and_saveexec_b64 s[30:31], s[28:29]
	s_cbranch_execz .LBB104_29
; %bb.28:
	v_lshlrev_b32_e32 v30, 3, v44
	v_mov_b32_e32 v31, s45
	v_add_co_u32_e32 v30, vcc, s44, v30
	v_addc_co_u32_e32 v31, vcc, 0, v31, vcc
	flat_load_dwordx2 v[30:31], v[30:31]
.LBB104_29:
	s_or_b64 exec, exec, s[30:31]
	v_or_b32_e32 v45, 0x380, v0
	v_cmp_gt_u32_e64 s[30:31], s77, v45
	v_pk_mov_b32 v[32:33], v[2:3], v[2:3] op_sel:[0,1]
	s_and_saveexec_b64 s[34:35], s[30:31]
	s_cbranch_execz .LBB104_31
; %bb.30:
	v_lshlrev_b32_e32 v32, 3, v45
	v_mov_b32_e32 v33, s45
	v_add_co_u32_e32 v32, vcc, s44, v32
	v_addc_co_u32_e32 v33, vcc, 0, v33, vcc
	flat_load_dwordx2 v[32:33], v[32:33]
.LBB104_31:
	s_or_b64 exec, exec, s[34:35]
	v_or_b32_e32 v46, 0x3c0, v0
	v_cmp_gt_u32_e64 s[34:35], s77, v46
	v_pk_mov_b32 v[34:35], v[2:3], v[2:3] op_sel:[0,1]
	s_and_saveexec_b64 s[36:37], s[34:35]
	s_cbranch_execz .LBB104_33
; %bb.32:
	v_lshlrev_b32_e32 v34, 3, v46
	v_mov_b32_e32 v35, s45
	v_add_co_u32_e32 v34, vcc, s44, v34
	v_addc_co_u32_e32 v35, vcc, 0, v35, vcc
	flat_load_dwordx2 v[34:35], v[34:35]
.LBB104_33:
	s_or_b64 exec, exec, s[36:37]
	v_or_b32_e32 v47, 0x400, v0
	v_cmp_gt_u32_e64 s[36:37], s77, v47
	v_pk_mov_b32 v[36:37], v[2:3], v[2:3] op_sel:[0,1]
	s_and_saveexec_b64 s[38:39], s[36:37]
	s_cbranch_execz .LBB104_35
; %bb.34:
	v_lshlrev_b32_e32 v36, 3, v47
	v_mov_b32_e32 v37, s45
	v_add_co_u32_e32 v36, vcc, s44, v36
	v_addc_co_u32_e32 v37, vcc, 0, v37, vcc
	flat_load_dwordx2 v[36:37], v[36:37]
.LBB104_35:
	s_or_b64 exec, exec, s[38:39]
	v_or_b32_e32 v49, 0x440, v0
	v_cmp_gt_u32_e64 s[38:39], s77, v49
	v_pk_mov_b32 v[38:39], v[2:3], v[2:3] op_sel:[0,1]
	s_and_saveexec_b64 s[40:41], s[38:39]
	s_cbranch_execz .LBB104_37
; %bb.36:
	v_lshlrev_b32_e32 v38, 3, v49
	v_mov_b32_e32 v39, s45
	v_add_co_u32_e32 v38, vcc, s44, v38
	v_addc_co_u32_e32 v39, vcc, 0, v39, vcc
	flat_load_dwordx2 v[38:39], v[38:39]
.LBB104_37:
	s_or_b64 exec, exec, s[40:41]
	v_or_b32_e32 v51, 0x480, v0
	v_cmp_gt_u32_e64 s[40:41], s77, v51
	s_and_saveexec_b64 s[56:57], s[40:41]
	s_cbranch_execz .LBB104_39
; %bb.38:
	v_lshlrev_b32_e32 v2, 3, v51
	v_mov_b32_e32 v3, s45
	v_add_co_u32_e32 v2, vcc, s44, v2
	v_addc_co_u32_e32 v3, vcc, 0, v3, vcc
	flat_load_dwordx2 v[2:3], v[2:3]
.LBB104_39:
	s_or_b64 exec, exec, s[56:57]
	v_lshlrev_b32_e32 v50, 3, v0
	s_movk_i32 s56, 0x90
	v_mad_u32_u24 v48, v0, s56, v50
	s_waitcnt vmcnt(0) lgkmcnt(0)
	ds_write2st64_b64 v50, v[4:5], v[6:7] offset1:1
	ds_write2st64_b64 v50, v[8:9], v[10:11] offset0:2 offset1:3
	ds_write2st64_b64 v50, v[12:13], v[14:15] offset0:4 offset1:5
	;; [unrolled: 1-line block ×8, first 2 shown]
	ds_write_b64 v50, v[2:3] offset:9216
	s_waitcnt lgkmcnt(0)
	; wave barrier
	s_waitcnt lgkmcnt(0)
	ds_read2_b64 v[106:109], v48 offset1:1
	ds_read2_b64 v[102:105], v48 offset0:2 offset1:3
	ds_read2_b64 v[98:101], v48 offset0:4 offset1:5
	ds_read2_b64 v[94:97], v48 offset0:6 offset1:7
	ds_read2_b64 v[90:93], v48 offset0:8 offset1:9
	ds_read2_b64 v[86:89], v48 offset0:10 offset1:11
	ds_read2_b64 v[82:85], v48 offset0:12 offset1:13
	ds_read2_b64 v[78:81], v48 offset0:14 offset1:15
	ds_read2_b64 v[74:77], v48 offset0:16 offset1:17
	ds_read_b64 v[4:5], v48 offset:144
	s_cmp_eq_u64 s[70:71], 0
	s_mov_b64 s[56:57], s[44:45]
	s_cbranch_scc1 .LBB104_43
; %bb.40:
	s_andn2_b64 vcc, exec, s[68:69]
	s_cbranch_vccnz .LBB104_259
; %bb.41:
	s_lshl_b64 s[56:57], s[70:71], 3
	s_add_u32 s56, s62, s56
	s_addc_u32 s57, s63, s57
	s_add_u32 s56, s56, -8
	s_addc_u32 s57, s57, -1
	s_cbranch_execnz .LBB104_43
.LBB104_42:
	s_add_u32 s56, s44, -8
	s_addc_u32 s57, s45, -1
.LBB104_43:
	v_pk_mov_b32 v[2:3], s[56:57], s[56:57] op_sel:[0,1]
	flat_load_dwordx2 v[8:9], v[2:3]
	s_movk_i32 s56, 0xff70
	v_mad_i32_i24 v2, v0, s56, v48
	v_cmp_ne_u32_e32 vcc, 0, v0
	s_waitcnt lgkmcnt(0)
	ds_write_b64 v2, v[4:5] offset:9728
	s_waitcnt lgkmcnt(0)
	; wave barrier
	s_waitcnt lgkmcnt(0)
	s_and_saveexec_b64 s[56:57], vcc
	s_cbranch_execz .LBB104_45
; %bb.44:
	v_mul_i32_i24_e32 v2, 0xffffff70, v0
	v_add_u32_e32 v2, v48, v2
	s_waitcnt vmcnt(0)
	ds_read_b64 v[8:9], v2 offset:9720
.LBB104_45:
	s_or_b64 exec, exec, s[56:57]
	s_waitcnt lgkmcnt(0)
	; wave barrier
	s_waitcnt lgkmcnt(0)
                                        ; implicit-def: $vgpr2_vgpr3
	s_and_saveexec_b64 s[56:57], s[2:3]
	s_cbranch_execnz .LBB104_241
; %bb.46:
	s_or_b64 exec, exec, s[56:57]
                                        ; implicit-def: $vgpr6_vgpr7
	s_and_saveexec_b64 s[2:3], s[4:5]
	s_cbranch_execnz .LBB104_242
.LBB104_47:
	s_or_b64 exec, exec, s[2:3]
                                        ; implicit-def: $vgpr10_vgpr11
	s_and_saveexec_b64 s[2:3], s[42:43]
	s_cbranch_execnz .LBB104_243
.LBB104_48:
	s_or_b64 exec, exec, s[2:3]
                                        ; implicit-def: $vgpr12_vgpr13
	s_and_saveexec_b64 s[2:3], s[8:9]
	s_cbranch_execnz .LBB104_244
.LBB104_49:
	s_or_b64 exec, exec, s[2:3]
                                        ; implicit-def: $vgpr14_vgpr15
	s_and_saveexec_b64 s[2:3], s[10:11]
	s_cbranch_execnz .LBB104_245
.LBB104_50:
	s_or_b64 exec, exec, s[2:3]
                                        ; implicit-def: $vgpr16_vgpr17
	s_and_saveexec_b64 s[2:3], s[12:13]
	s_cbranch_execnz .LBB104_246
.LBB104_51:
	s_or_b64 exec, exec, s[2:3]
                                        ; implicit-def: $vgpr18_vgpr19
	s_and_saveexec_b64 s[2:3], s[14:15]
	s_cbranch_execnz .LBB104_247
.LBB104_52:
	s_or_b64 exec, exec, s[2:3]
                                        ; implicit-def: $vgpr20_vgpr21
	s_and_saveexec_b64 s[2:3], s[16:17]
	s_cbranch_execnz .LBB104_248
.LBB104_53:
	s_or_b64 exec, exec, s[2:3]
                                        ; implicit-def: $vgpr22_vgpr23
	s_and_saveexec_b64 s[2:3], s[18:19]
	s_cbranch_execnz .LBB104_249
.LBB104_54:
	s_or_b64 exec, exec, s[2:3]
                                        ; implicit-def: $vgpr24_vgpr25
	s_and_saveexec_b64 s[2:3], s[20:21]
	s_cbranch_execnz .LBB104_250
.LBB104_55:
	s_or_b64 exec, exec, s[2:3]
                                        ; implicit-def: $vgpr26_vgpr27
	s_and_saveexec_b64 s[2:3], s[22:23]
	s_cbranch_execnz .LBB104_251
.LBB104_56:
	s_or_b64 exec, exec, s[2:3]
                                        ; implicit-def: $vgpr28_vgpr29
	s_and_saveexec_b64 s[2:3], s[24:25]
	s_cbranch_execnz .LBB104_252
.LBB104_57:
	s_or_b64 exec, exec, s[2:3]
                                        ; implicit-def: $vgpr30_vgpr31
	s_and_saveexec_b64 s[2:3], s[26:27]
	s_cbranch_execnz .LBB104_253
.LBB104_58:
	s_or_b64 exec, exec, s[2:3]
                                        ; implicit-def: $vgpr32_vgpr33
	s_and_saveexec_b64 s[2:3], s[28:29]
	s_cbranch_execnz .LBB104_254
.LBB104_59:
	s_or_b64 exec, exec, s[2:3]
                                        ; implicit-def: $vgpr34_vgpr35
	s_and_saveexec_b64 s[2:3], s[30:31]
	s_cbranch_execnz .LBB104_255
.LBB104_60:
	s_or_b64 exec, exec, s[2:3]
                                        ; implicit-def: $vgpr36_vgpr37
	s_and_saveexec_b64 s[2:3], s[34:35]
	s_cbranch_execnz .LBB104_256
.LBB104_61:
	s_or_b64 exec, exec, s[2:3]
                                        ; implicit-def: $vgpr38_vgpr39
	s_and_saveexec_b64 s[2:3], s[36:37]
	s_cbranch_execnz .LBB104_257
.LBB104_62:
	s_or_b64 exec, exec, s[2:3]
                                        ; implicit-def: $vgpr40_vgpr41
	s_and_saveexec_b64 s[2:3], s[38:39]
	s_cbranch_execnz .LBB104_258
.LBB104_63:
	s_or_b64 exec, exec, s[2:3]
                                        ; implicit-def: $vgpr42_vgpr43
	s_and_saveexec_b64 s[2:3], s[40:41]
	s_cbranch_execz .LBB104_65
.LBB104_64:
	v_lshlrev_b32_e32 v1, 3, v51
	v_mov_b32_e32 v43, s55
	v_add_co_u32_e32 v42, vcc, s7, v1
	v_addc_co_u32_e32 v43, vcc, 0, v43, vcc
	flat_load_dwordx2 v[42:43], v[42:43]
.LBB104_65:
	s_or_b64 exec, exec, s[2:3]
	v_mul_u32_u24_e32 v49, 19, v0
	s_waitcnt vmcnt(0) lgkmcnt(0)
	ds_write2st64_b64 v50, v[2:3], v[6:7] offset1:1
	ds_write2st64_b64 v50, v[10:11], v[12:13] offset0:2 offset1:3
	ds_write2st64_b64 v50, v[14:15], v[16:17] offset0:4 offset1:5
	;; [unrolled: 1-line block ×8, first 2 shown]
	ds_write_b64 v50, v[42:43] offset:9216
	v_pk_mov_b32 v[6:7], 0, 0
	v_cmp_gt_u32_e32 vcc, s77, v49
	s_mov_b64 s[10:11], 0
	s_mov_b64 s[4:5], 0
	s_mov_b32 s76, 0
	v_mov_b32_e32 v110, 0
	v_mov_b32_e32 v126, 0
	v_pk_mov_b32 v[62:63], v[6:7], v[6:7] op_sel:[0,1]
	v_mov_b32_e32 v125, 0
	v_pk_mov_b32 v[70:71], v[6:7], v[6:7] op_sel:[0,1]
	;; [unrolled: 2-line block ×17, first 2 shown]
	s_waitcnt lgkmcnt(0)
	; wave barrier
	s_waitcnt lgkmcnt(0)
                                        ; implicit-def: $sgpr2_sgpr3
	s_and_saveexec_b64 s[8:9], vcc
	s_cbranch_execz .LBB104_101
; %bb.66:
	ds_read_b64 v[2:3], v48
	v_cmp_ne_u64_e32 vcc, v[8:9], v[106:107]
	v_add_u32_e32 v6, 1, v49
	v_cndmask_b32_e64 v1, 0, 1, vcc
	v_cmp_gt_u32_e32 vcc, s77, v6
	v_pk_mov_b32 v[6:7], 0, 0
	s_mov_b64 s[12:13], 0
	s_mov_b64 s[2:3], 0
	v_mov_b32_e32 v110, 0
	v_mov_b32_e32 v126, 0
	v_pk_mov_b32 v[62:63], v[6:7], v[6:7] op_sel:[0,1]
	v_mov_b32_e32 v125, 0
	v_pk_mov_b32 v[70:71], v[6:7], v[6:7] op_sel:[0,1]
	;; [unrolled: 2-line block ×16, first 2 shown]
                                        ; implicit-def: $sgpr14_sgpr15
	s_and_saveexec_b64 s[10:11], vcc
	s_cbranch_execz .LBB104_100
; %bb.67:
	ds_read2_b64 v[14:17], v48 offset0:1 offset1:2
	v_cmp_ne_u64_e32 vcc, v[106:107], v[108:109]
	v_add_u32_e32 v6, 2, v49
	v_cndmask_b32_e64 v112, 0, 1, vcc
	v_cmp_gt_u32_e32 vcc, s77, v6
	v_pk_mov_b32 v[6:7], 0, 0
	s_mov_b64 s[16:17], 0
	v_mov_b32_e32 v110, 0
	v_mov_b32_e32 v126, 0
	v_pk_mov_b32 v[62:63], v[6:7], v[6:7] op_sel:[0,1]
	v_mov_b32_e32 v125, 0
	v_pk_mov_b32 v[70:71], v[6:7], v[6:7] op_sel:[0,1]
	;; [unrolled: 2-line block ×15, first 2 shown]
                                        ; implicit-def: $sgpr14_sgpr15
	s_and_saveexec_b64 s[12:13], vcc
	s_cbranch_execz .LBB104_99
; %bb.68:
	v_cmp_ne_u64_e32 vcc, v[108:109], v[102:103]
	v_add_u32_e32 v6, 3, v49
	v_cndmask_b32_e64 v111, 0, 1, vcc
	v_cmp_gt_u32_e32 vcc, s77, v6
	v_pk_mov_b32 v[6:7], 0, 0
	s_waitcnt lgkmcnt(0)
	v_mov_b32_e32 v10, v16
	v_mov_b32_e32 v11, v17
	;; [unrolled: 1-line block ×4, first 2 shown]
	v_pk_mov_b32 v[62:63], v[6:7], v[6:7] op_sel:[0,1]
	v_mov_b32_e32 v125, 0
	v_pk_mov_b32 v[70:71], v[6:7], v[6:7] op_sel:[0,1]
	v_mov_b32_e32 v124, 0
	;; [unrolled: 2-line block ×13, first 2 shown]
	v_pk_mov_b32 v[22:23], v[6:7], v[6:7] op_sel:[0,1]
                                        ; implicit-def: $sgpr18_sgpr19
	s_and_saveexec_b64 s[14:15], vcc
	s_cbranch_execz .LBB104_98
; %bb.69:
	ds_read2_b64 v[22:25], v48 offset0:3 offset1:4
	v_cmp_ne_u64_e32 vcc, v[102:103], v[104:105]
	v_add_u32_e32 v6, 4, v49
	v_cndmask_b32_e64 v113, 0, 1, vcc
	v_cmp_gt_u32_e32 vcc, s77, v6
	v_pk_mov_b32 v[6:7], 0, 0
	s_mov_b64 s[20:21], 0
	v_mov_b32_e32 v110, 0
	v_mov_b32_e32 v126, 0
	v_pk_mov_b32 v[62:63], v[6:7], v[6:7] op_sel:[0,1]
	v_mov_b32_e32 v125, 0
	v_pk_mov_b32 v[70:71], v[6:7], v[6:7] op_sel:[0,1]
	;; [unrolled: 2-line block ×13, first 2 shown]
                                        ; implicit-def: $sgpr18_sgpr19
	s_and_saveexec_b64 s[16:17], vcc
	s_cbranch_execz .LBB104_97
; %bb.70:
	v_cmp_ne_u64_e32 vcc, v[104:105], v[98:99]
	v_add_u32_e32 v6, 5, v49
	v_cndmask_b32_e64 v114, 0, 1, vcc
	v_cmp_gt_u32_e32 vcc, s77, v6
	v_pk_mov_b32 v[6:7], 0, 0
	s_waitcnt lgkmcnt(0)
	v_mov_b32_e32 v18, v24
	v_mov_b32_e32 v19, v25
	;; [unrolled: 1-line block ×4, first 2 shown]
	v_pk_mov_b32 v[62:63], v[6:7], v[6:7] op_sel:[0,1]
	v_mov_b32_e32 v125, 0
	v_pk_mov_b32 v[70:71], v[6:7], v[6:7] op_sel:[0,1]
	v_mov_b32_e32 v124, 0
	;; [unrolled: 2-line block ×11, first 2 shown]
	v_pk_mov_b32 v[34:35], v[6:7], v[6:7] op_sel:[0,1]
                                        ; implicit-def: $sgpr22_sgpr23
	s_and_saveexec_b64 s[18:19], vcc
	s_cbranch_execz .LBB104_96
; %bb.71:
	ds_read2_b64 v[34:37], v48 offset0:5 offset1:6
	v_cmp_ne_u64_e32 vcc, v[98:99], v[100:101]
	v_add_u32_e32 v6, 6, v49
	v_cndmask_b32_e64 v115, 0, 1, vcc
	v_cmp_gt_u32_e32 vcc, s77, v6
	v_pk_mov_b32 v[6:7], 0, 0
	s_mov_b64 s[24:25], 0
	v_mov_b32_e32 v110, 0
	v_mov_b32_e32 v126, 0
	v_pk_mov_b32 v[62:63], v[6:7], v[6:7] op_sel:[0,1]
	v_mov_b32_e32 v125, 0
	v_pk_mov_b32 v[70:71], v[6:7], v[6:7] op_sel:[0,1]
	;; [unrolled: 2-line block ×11, first 2 shown]
                                        ; implicit-def: $sgpr22_sgpr23
	s_and_saveexec_b64 s[20:21], vcc
	s_cbranch_execz .LBB104_95
; %bb.72:
	v_cmp_ne_u64_e32 vcc, v[100:101], v[94:95]
	v_add_u32_e32 v6, 7, v49
	v_cndmask_b32_e64 v116, 0, 1, vcc
	v_cmp_gt_u32_e32 vcc, s77, v6
	v_pk_mov_b32 v[6:7], 0, 0
	s_waitcnt lgkmcnt(0)
	v_mov_b32_e32 v26, v36
	v_mov_b32_e32 v27, v37
	;; [unrolled: 1-line block ×4, first 2 shown]
	v_pk_mov_b32 v[62:63], v[6:7], v[6:7] op_sel:[0,1]
	v_mov_b32_e32 v125, 0
	v_pk_mov_b32 v[70:71], v[6:7], v[6:7] op_sel:[0,1]
	v_mov_b32_e32 v124, 0
	v_pk_mov_b32 v[54:55], v[6:7], v[6:7] op_sel:[0,1]
	v_mov_b32_e32 v123, 0
	v_pk_mov_b32 v[66:67], v[6:7], v[6:7] op_sel:[0,1]
	v_mov_b32_e32 v122, 0
	v_pk_mov_b32 v[46:47], v[6:7], v[6:7] op_sel:[0,1]
	v_mov_b32_e32 v121, 0
	v_pk_mov_b32 v[58:59], v[6:7], v[6:7] op_sel:[0,1]
	v_mov_b32_e32 v120, 0
	v_pk_mov_b32 v[38:39], v[6:7], v[6:7] op_sel:[0,1]
	v_mov_b32_e32 v119, 0
	v_pk_mov_b32 v[50:51], v[6:7], v[6:7] op_sel:[0,1]
	v_mov_b32_e32 v118, 0
	v_pk_mov_b32 v[30:31], v[6:7], v[6:7] op_sel:[0,1]
	v_mov_b32_e32 v117, 0
	v_pk_mov_b32 v[42:43], v[6:7], v[6:7] op_sel:[0,1]
                                        ; implicit-def: $sgpr26_sgpr27
	s_and_saveexec_b64 s[22:23], vcc
	s_cbranch_execz .LBB104_94
; %bb.73:
	ds_read2_b64 v[42:45], v48 offset0:7 offset1:8
	v_cmp_ne_u64_e32 vcc, v[94:95], v[96:97]
	v_add_u32_e32 v6, 8, v49
	v_cndmask_b32_e64 v117, 0, 1, vcc
	v_cmp_gt_u32_e32 vcc, s77, v6
	v_pk_mov_b32 v[6:7], 0, 0
	s_mov_b64 s[28:29], 0
	v_mov_b32_e32 v110, 0
	v_mov_b32_e32 v126, 0
	v_pk_mov_b32 v[62:63], v[6:7], v[6:7] op_sel:[0,1]
	v_mov_b32_e32 v125, 0
	v_pk_mov_b32 v[70:71], v[6:7], v[6:7] op_sel:[0,1]
	;; [unrolled: 2-line block ×9, first 2 shown]
                                        ; implicit-def: $sgpr26_sgpr27
	s_and_saveexec_b64 s[24:25], vcc
	s_cbranch_execz .LBB104_93
; %bb.74:
	v_cmp_ne_u64_e32 vcc, v[96:97], v[90:91]
	v_add_u32_e32 v6, 9, v49
	v_cndmask_b32_e64 v118, 0, 1, vcc
	v_cmp_gt_u32_e32 vcc, s77, v6
	v_pk_mov_b32 v[6:7], 0, 0
	s_waitcnt lgkmcnt(0)
	v_mov_b32_e32 v30, v44
	v_mov_b32_e32 v31, v45
	;; [unrolled: 1-line block ×4, first 2 shown]
	v_pk_mov_b32 v[62:63], v[6:7], v[6:7] op_sel:[0,1]
	v_mov_b32_e32 v125, 0
	v_pk_mov_b32 v[70:71], v[6:7], v[6:7] op_sel:[0,1]
	v_mov_b32_e32 v124, 0
	;; [unrolled: 2-line block ×7, first 2 shown]
	v_pk_mov_b32 v[50:51], v[6:7], v[6:7] op_sel:[0,1]
                                        ; implicit-def: $sgpr30_sgpr31
	s_and_saveexec_b64 s[26:27], vcc
	s_cbranch_execz .LBB104_92
; %bb.75:
	ds_read2_b64 v[50:53], v48 offset0:9 offset1:10
	v_cmp_ne_u64_e32 vcc, v[90:91], v[92:93]
	v_add_u32_e32 v6, 10, v49
	v_cndmask_b32_e64 v119, 0, 1, vcc
	v_cmp_gt_u32_e32 vcc, s77, v6
	v_pk_mov_b32 v[6:7], 0, 0
	s_mov_b64 s[34:35], 0
	v_mov_b32_e32 v110, 0
	v_mov_b32_e32 v126, 0
	v_pk_mov_b32 v[62:63], v[6:7], v[6:7] op_sel:[0,1]
	v_mov_b32_e32 v125, 0
	v_pk_mov_b32 v[70:71], v[6:7], v[6:7] op_sel:[0,1]
	;; [unrolled: 2-line block ×7, first 2 shown]
                                        ; implicit-def: $sgpr30_sgpr31
	s_and_saveexec_b64 s[28:29], vcc
	s_cbranch_execz .LBB104_91
; %bb.76:
	v_cmp_ne_u64_e32 vcc, v[92:93], v[86:87]
	v_add_u32_e32 v6, 11, v49
	v_cndmask_b32_e64 v120, 0, 1, vcc
	v_cmp_gt_u32_e32 vcc, s77, v6
	v_pk_mov_b32 v[6:7], 0, 0
	s_waitcnt lgkmcnt(0)
	v_mov_b32_e32 v38, v52
	v_mov_b32_e32 v39, v53
	;; [unrolled: 1-line block ×4, first 2 shown]
	v_pk_mov_b32 v[62:63], v[6:7], v[6:7] op_sel:[0,1]
	v_mov_b32_e32 v125, 0
	v_pk_mov_b32 v[70:71], v[6:7], v[6:7] op_sel:[0,1]
	v_mov_b32_e32 v124, 0
	;; [unrolled: 2-line block ×5, first 2 shown]
	v_pk_mov_b32 v[58:59], v[6:7], v[6:7] op_sel:[0,1]
                                        ; implicit-def: $sgpr36_sgpr37
	s_and_saveexec_b64 s[30:31], vcc
	s_cbranch_execz .LBB104_90
; %bb.77:
	ds_read2_b64 v[58:61], v48 offset0:11 offset1:12
	v_cmp_ne_u64_e32 vcc, v[86:87], v[88:89]
	v_add_u32_e32 v6, 12, v49
	v_cndmask_b32_e64 v121, 0, 1, vcc
	v_cmp_gt_u32_e32 vcc, s77, v6
	v_pk_mov_b32 v[6:7], 0, 0
	s_mov_b64 s[38:39], 0
	v_mov_b32_e32 v110, 0
	v_mov_b32_e32 v126, 0
	v_pk_mov_b32 v[62:63], v[6:7], v[6:7] op_sel:[0,1]
	v_mov_b32_e32 v125, 0
	v_pk_mov_b32 v[70:71], v[6:7], v[6:7] op_sel:[0,1]
	;; [unrolled: 2-line block ×5, first 2 shown]
                                        ; implicit-def: $sgpr36_sgpr37
	s_and_saveexec_b64 s[34:35], vcc
	s_cbranch_execz .LBB104_89
; %bb.78:
	v_cmp_ne_u64_e32 vcc, v[88:89], v[82:83]
	v_add_u32_e32 v6, 13, v49
	v_cndmask_b32_e64 v122, 0, 1, vcc
	v_cmp_gt_u32_e32 vcc, s77, v6
	v_pk_mov_b32 v[6:7], 0, 0
	s_waitcnt lgkmcnt(0)
	v_mov_b32_e32 v46, v60
	v_mov_b32_e32 v47, v61
	;; [unrolled: 1-line block ×4, first 2 shown]
	v_pk_mov_b32 v[62:63], v[6:7], v[6:7] op_sel:[0,1]
	v_mov_b32_e32 v125, 0
	v_pk_mov_b32 v[70:71], v[6:7], v[6:7] op_sel:[0,1]
	v_mov_b32_e32 v124, 0
	;; [unrolled: 2-line block ×3, first 2 shown]
	v_pk_mov_b32 v[66:67], v[6:7], v[6:7] op_sel:[0,1]
                                        ; implicit-def: $sgpr40_sgpr41
	s_and_saveexec_b64 s[36:37], vcc
	s_cbranch_execz .LBB104_88
; %bb.79:
	ds_read2_b64 v[66:69], v48 offset0:13 offset1:14
	v_cmp_ne_u64_e32 vcc, v[82:83], v[84:85]
	v_add_u32_e32 v6, 14, v49
	v_cndmask_b32_e64 v123, 0, 1, vcc
	v_cmp_gt_u32_e32 vcc, s77, v6
	v_pk_mov_b32 v[6:7], 0, 0
	s_mov_b64 s[42:43], 0
	v_mov_b32_e32 v110, 0
	v_mov_b32_e32 v126, 0
	v_pk_mov_b32 v[62:63], v[6:7], v[6:7] op_sel:[0,1]
	v_mov_b32_e32 v125, 0
	v_pk_mov_b32 v[70:71], v[6:7], v[6:7] op_sel:[0,1]
	;; [unrolled: 2-line block ×3, first 2 shown]
                                        ; implicit-def: $sgpr40_sgpr41
	s_and_saveexec_b64 s[38:39], vcc
	s_cbranch_execz .LBB104_87
; %bb.80:
	v_cmp_ne_u64_e32 vcc, v[84:85], v[78:79]
	v_add_u32_e32 v6, 15, v49
	v_cndmask_b32_e64 v124, 0, 1, vcc
	v_cmp_gt_u32_e32 vcc, s77, v6
	v_pk_mov_b32 v[6:7], 0, 0
	s_waitcnt lgkmcnt(0)
	v_mov_b32_e32 v54, v68
	v_mov_b32_e32 v55, v69
	;; [unrolled: 1-line block ×4, first 2 shown]
	v_pk_mov_b32 v[62:63], v[6:7], v[6:7] op_sel:[0,1]
	v_mov_b32_e32 v125, 0
	v_pk_mov_b32 v[70:71], v[6:7], v[6:7] op_sel:[0,1]
                                        ; implicit-def: $sgpr56_sgpr57
	s_and_saveexec_b64 s[40:41], vcc
	s_cbranch_execz .LBB104_86
; %bb.81:
	ds_read2_b64 v[70:73], v48 offset0:15 offset1:16
	v_cmp_ne_u64_e32 vcc, v[78:79], v[80:81]
	v_add_u32_e32 v6, 16, v49
	v_cndmask_b32_e64 v125, 0, 1, vcc
	v_cmp_gt_u32_e32 vcc, s77, v6
	v_pk_mov_b32 v[6:7], 0, 0
	s_mov_b64 s[56:57], 0
	v_mov_b32_e32 v110, 0
	v_mov_b32_e32 v126, 0
	v_pk_mov_b32 v[62:63], v[6:7], v[6:7] op_sel:[0,1]
                                        ; implicit-def: $sgpr72_sgpr73
	s_and_saveexec_b64 s[42:43], vcc
	s_cbranch_execz .LBB104_85
; %bb.82:
	v_cmp_ne_u64_e32 vcc, v[80:81], v[74:75]
	v_add_u32_e32 v6, 17, v49
	s_waitcnt lgkmcnt(0)
	v_mov_b32_e32 v62, v72
	v_mov_b32_e32 v63, v73
	v_cndmask_b32_e64 v126, 0, 1, vcc
	v_cmp_gt_u32_e32 vcc, s77, v6
	v_mov_b32_e32 v110, 0
	v_pk_mov_b32 v[6:7], 0, 0
                                        ; implicit-def: $sgpr72_sgpr73
	s_and_saveexec_b64 s[2:3], vcc
	s_xor_b64 s[74:75], exec, s[2:3]
	s_cbranch_execz .LBB104_84
; %bb.83:
	ds_read2_b64 v[6:9], v48 offset0:17 offset1:18
	v_cmp_ne_u64_e32 vcc, v[76:77], v[4:5]
	v_cmp_ne_u64_e64 s[2:3], v[74:75], v[76:77]
	v_add_u32_e32 v4, 18, v49
	v_cndmask_b32_e64 v110, 0, 1, s[2:3]
	v_cmp_gt_u32_e64 s[2:3], s77, v4
	s_and_b64 s[72:73], vcc, exec
	s_and_b64 s[56:57], s[2:3], exec
	s_waitcnt lgkmcnt(0)
	v_pk_mov_b32 v[64:65], v[6:7], v[6:7] op_sel:[0,1]
.LBB104_84:
	s_or_b64 exec, exec, s[74:75]
	s_and_b64 s[72:73], s[72:73], exec
	s_and_b64 s[2:3], s[56:57], exec
.LBB104_85:
	s_or_b64 exec, exec, s[42:43]
	s_and_b64 s[56:57], s[72:73], exec
	s_and_b64 s[42:43], s[2:3], exec
	s_waitcnt lgkmcnt(0)
	v_pk_mov_b32 v[56:57], v[70:71], v[70:71] op_sel:[0,1]
	v_pk_mov_b32 v[48:49], v[66:67], v[66:67] op_sel:[0,1]
	;; [unrolled: 1-line block ×8, first 2 shown]
.LBB104_86:
	s_or_b64 exec, exec, s[40:41]
	s_and_b64 s[40:41], s[56:57], exec
	s_and_b64 s[2:3], s[42:43], exec
.LBB104_87:
	s_or_b64 exec, exec, s[38:39]
	s_and_b64 s[40:41], s[40:41], exec
	s_and_b64 s[38:39], s[2:3], exec
.LBB104_88:
	s_or_b64 exec, exec, s[36:37]
	s_and_b64 s[36:37], s[40:41], exec
	s_and_b64 s[2:3], s[38:39], exec
.LBB104_89:
	s_or_b64 exec, exec, s[34:35]
	s_and_b64 s[36:37], s[36:37], exec
	s_and_b64 s[34:35], s[2:3], exec
.LBB104_90:
	s_or_b64 exec, exec, s[30:31]
	s_and_b64 s[30:31], s[36:37], exec
	s_and_b64 s[2:3], s[34:35], exec
.LBB104_91:
	s_or_b64 exec, exec, s[28:29]
	s_and_b64 s[30:31], s[30:31], exec
	s_and_b64 s[28:29], s[2:3], exec
.LBB104_92:
	s_or_b64 exec, exec, s[26:27]
	s_and_b64 s[26:27], s[30:31], exec
	s_and_b64 s[2:3], s[28:29], exec
.LBB104_93:
	s_or_b64 exec, exec, s[24:25]
	s_and_b64 s[26:27], s[26:27], exec
	s_and_b64 s[24:25], s[2:3], exec
.LBB104_94:
	s_or_b64 exec, exec, s[22:23]
	s_and_b64 s[22:23], s[26:27], exec
	s_and_b64 s[2:3], s[24:25], exec
.LBB104_95:
	s_or_b64 exec, exec, s[20:21]
	s_and_b64 s[22:23], s[22:23], exec
	s_and_b64 s[20:21], s[2:3], exec
.LBB104_96:
	s_or_b64 exec, exec, s[18:19]
	s_and_b64 s[18:19], s[22:23], exec
	s_and_b64 s[2:3], s[20:21], exec
.LBB104_97:
	s_or_b64 exec, exec, s[16:17]
	s_and_b64 s[18:19], s[18:19], exec
	s_and_b64 s[16:17], s[2:3], exec
.LBB104_98:
	s_or_b64 exec, exec, s[14:15]
	s_and_b64 s[14:15], s[18:19], exec
	s_and_b64 s[2:3], s[16:17], exec
.LBB104_99:
	s_or_b64 exec, exec, s[12:13]
	s_and_b64 s[14:15], s[14:15], exec
	s_and_b64 s[12:13], s[2:3], exec
.LBB104_100:
	s_or_b64 exec, exec, s[10:11]
	s_and_b64 s[2:3], s[14:15], exec
	s_and_b64 s[10:11], s[12:13], exec
.LBB104_101:
	s_or_b64 exec, exec, s[8:9]
	s_mov_b64 s[8:9], 0
	s_and_b64 vcc, exec, s[4:5]
	v_lshlrev_b32_e32 v127, 3, v0
	s_cbranch_vccnz .LBB104_103
	s_branch .LBB104_111
.LBB104_102:
                                        ; implicit-def: $sgpr2_sgpr3
                                        ; implicit-def: $vgpr8_vgpr9
                                        ; implicit-def: $vgpr110
                                        ; implicit-def: $vgpr64_vgpr65
                                        ; implicit-def: $vgpr126
                                        ; implicit-def: $vgpr125
                                        ; implicit-def: $vgpr56_vgpr57
                                        ; implicit-def: $vgpr124
                                        ; implicit-def: $vgpr123
                                        ; implicit-def: $vgpr48_vgpr49
                                        ; implicit-def: $vgpr122
                                        ; implicit-def: $vgpr121
                                        ; implicit-def: $vgpr40_vgpr41
                                        ; implicit-def: $vgpr120
                                        ; implicit-def: $vgpr119
                                        ; implicit-def: $vgpr32_vgpr33
                                        ; implicit-def: $vgpr118
                                        ; implicit-def: $vgpr117
                                        ; implicit-def: $vgpr28_vgpr29
                                        ; implicit-def: $vgpr116
                                        ; implicit-def: $vgpr115
                                        ; implicit-def: $vgpr20_vgpr21
                                        ; implicit-def: $vgpr114
                                        ; implicit-def: $vgpr113
                                        ; implicit-def: $vgpr12_vgpr13
                                        ; implicit-def: $vgpr111
                                        ; implicit-def: $vgpr112
                                        ; implicit-def: $vgpr4_vgpr5
                                        ; implicit-def: $vgpr1
                                        ; implicit-def: $sgpr76
                                        ; implicit-def: $sgpr8_sgpr9
                                        ; implicit-def: $vgpr70_vgpr71
                                        ; implicit-def: $vgpr66_vgpr67
                                        ; implicit-def: $vgpr58_vgpr59
                                        ; implicit-def: $vgpr50_vgpr51
                                        ; implicit-def: $vgpr42_vgpr43
                                        ; implicit-def: $vgpr34_vgpr35
                                        ; implicit-def: $vgpr22_vgpr23
                                        ; implicit-def: $vgpr14_vgpr15
	s_and_b64 vcc, exec, s[4:5]
	v_lshlrev_b32_e32 v127, 3, v0
	s_cbranch_vccz .LBB104_111
.LBB104_103:
	v_mov_b32_e32 v1, s45
	s_waitcnt lgkmcnt(0)
	v_add_co_u32_e32 v2, vcc, s44, v127
	v_addc_co_u32_e32 v3, vcc, 0, v1, vcc
	v_add_co_u32_e32 v20, vcc, 0x1000, v2
	v_addc_co_u32_e32 v21, vcc, 0, v3, vcc
	flat_load_dwordx2 v[4:5], v[2:3]
	flat_load_dwordx2 v[6:7], v[2:3] offset:512
	flat_load_dwordx2 v[8:9], v[2:3] offset:1024
	;; [unrolled: 1-line block ×7, first 2 shown]
	v_add_co_u32_e32 v2, vcc, 0x2000, v2
	v_addc_co_u32_e32 v3, vcc, 0, v3, vcc
	flat_load_dwordx2 v[22:23], v[20:21]
	flat_load_dwordx2 v[24:25], v[20:21] offset:512
	flat_load_dwordx2 v[26:27], v[20:21] offset:1024
	;; [unrolled: 1-line block ×7, first 2 shown]
	s_nop 0
	flat_load_dwordx2 v[20:21], v[2:3]
	flat_load_dwordx2 v[38:39], v[2:3] offset:512
	flat_load_dwordx2 v[40:41], v[2:3] offset:1024
	s_movk_i32 s2, 0x90
	v_mad_u32_u24 v1, v0, s2, v127
	s_cmp_eq_u64 s[70:71], 0
	s_waitcnt vmcnt(0) lgkmcnt(0)
	ds_write2st64_b64 v127, v[4:5], v[6:7] offset1:1
	ds_write2st64_b64 v127, v[8:9], v[10:11] offset0:2 offset1:3
	ds_write2st64_b64 v127, v[12:13], v[14:15] offset0:4 offset1:5
	;; [unrolled: 1-line block ×8, first 2 shown]
	ds_write_b64 v127, v[40:41] offset:9216
	s_waitcnt lgkmcnt(0)
	; wave barrier
	s_waitcnt lgkmcnt(0)
	ds_read2_b64 v[14:17], v1 offset1:1
	ds_read2_b64 v[2:5], v1 offset0:2 offset1:3
	ds_read2_b64 v[6:9], v1 offset0:4 offset1:5
	ds_read2_b64 v[10:13], v1 offset0:6 offset1:7
	ds_read2_b64 v[18:21], v1 offset0:8 offset1:9
	ds_read2_b64 v[22:25], v1 offset0:10 offset1:11
	ds_read2_b64 v[26:29], v1 offset0:12 offset1:13
	ds_read2_b64 v[30:33], v1 offset0:14 offset1:15
	ds_read2_b64 v[34:37], v1 offset0:16 offset1:17
	ds_read_b64 v[38:39], v1 offset:144
	s_cbranch_scc1 .LBB104_108
; %bb.104:
	s_andn2_b64 vcc, exec, s[68:69]
	s_cbranch_vccnz .LBB104_260
; %bb.105:
	s_lshl_b64 s[2:3], s[70:71], 3
	s_add_u32 s2, s62, s2
	s_addc_u32 s3, s63, s3
	s_add_u32 s2, s2, -8
	s_addc_u32 s3, s3, -1
	s_cbranch_execnz .LBB104_107
.LBB104_106:
	s_add_u32 s2, s44, -8
	s_addc_u32 s3, s45, -1
.LBB104_107:
	s_mov_b64 s[44:45], s[2:3]
.LBB104_108:
	v_pk_mov_b32 v[40:41], s[44:45], s[44:45] op_sel:[0,1]
	flat_load_dwordx2 v[42:43], v[40:41]
	s_movk_i32 s2, 0xff70
	v_mad_i32_i24 v40, v0, s2, v1
	v_cmp_ne_u32_e32 vcc, 0, v0
	s_waitcnt lgkmcnt(0)
	ds_write_b64 v40, v[38:39] offset:9728
	s_waitcnt lgkmcnt(0)
	; wave barrier
	s_waitcnt lgkmcnt(0)
	s_and_saveexec_b64 s[2:3], vcc
	s_cbranch_execz .LBB104_110
; %bb.109:
	v_mul_i32_i24_e32 v40, 0xffffff70, v0
	v_add_u32_e32 v40, v1, v40
	s_waitcnt vmcnt(0)
	ds_read_b64 v[42:43], v40 offset:9720
.LBB104_110:
	s_or_b64 exec, exec, s[2:3]
	v_mov_b32_e32 v41, s55
	v_add_co_u32_e32 v40, vcc, s7, v127
	v_addc_co_u32_e32 v41, vcc, 0, v41, vcc
	s_movk_i32 s2, 0x1000
	v_add_co_u32_e32 v60, vcc, s2, v40
	v_addc_co_u32_e32 v61, vcc, 0, v41, vcc
	s_movk_i32 s2, 0x2000
	s_waitcnt lgkmcnt(0)
	; wave barrier
	s_waitcnt lgkmcnt(0)
	flat_load_dwordx2 v[44:45], v[40:41]
	flat_load_dwordx2 v[46:47], v[40:41] offset:512
	flat_load_dwordx2 v[48:49], v[40:41] offset:1024
	;; [unrolled: 1-line block ×7, first 2 shown]
	v_add_co_u32_e32 v40, vcc, s2, v40
	v_addc_co_u32_e32 v41, vcc, 0, v41, vcc
	flat_load_dwordx2 v[62:63], v[60:61]
	flat_load_dwordx2 v[64:65], v[60:61] offset:512
	flat_load_dwordx2 v[66:67], v[60:61] offset:1024
	;; [unrolled: 1-line block ×7, first 2 shown]
	s_nop 0
	flat_load_dwordx2 v[60:61], v[40:41]
	flat_load_dwordx2 v[78:79], v[40:41] offset:512
	flat_load_dwordx2 v[80:81], v[40:41] offset:1024
	v_cmp_ne_u64_e32 vcc, v[34:35], v[36:37]
	v_cndmask_b32_e64 v110, 0, 1, vcc
	v_cmp_ne_u64_e32 vcc, v[32:33], v[34:35]
	v_cndmask_b32_e64 v126, 0, 1, vcc
	;; [unrolled: 2-line block ×14, first 2 shown]
	v_cmp_ne_u64_e32 vcc, v[2:3], v[4:5]
	v_cmp_ne_u64_e64 s[2:3], v[36:37], v[38:39]
	v_cndmask_b32_e64 v113, 0, 1, vcc
	v_cmp_ne_u64_e32 vcc, v[16:17], v[2:3]
	v_cndmask_b32_e64 v111, 0, 1, vcc
	v_cmp_ne_u64_e32 vcc, v[14:15], v[16:17]
	v_cndmask_b32_e64 v112, 0, 1, vcc
	s_waitcnt vmcnt(0)
	v_cmp_ne_u64_e32 vcc, v[42:43], v[14:15]
	s_mov_b64 s[10:11], -1
                                        ; implicit-def: $sgpr76
                                        ; implicit-def: $sgpr8_sgpr9
                                        ; implicit-def: $vgpr42_vgpr43
                                        ; implicit-def: $vgpr34_vgpr35
                                        ; implicit-def: $vgpr22_vgpr23
                                        ; implicit-def: $vgpr14_vgpr15
	s_waitcnt lgkmcnt(0)
	ds_write2st64_b64 v127, v[44:45], v[46:47] offset1:1
	ds_write2st64_b64 v127, v[48:49], v[50:51] offset0:2 offset1:3
	ds_write2st64_b64 v127, v[52:53], v[54:55] offset0:4 offset1:5
	;; [unrolled: 1-line block ×8, first 2 shown]
	ds_write_b64 v127, v[80:81] offset:9216
	s_waitcnt lgkmcnt(0)
	; wave barrier
	s_waitcnt lgkmcnt(0)
	ds_read2_b64 v[2:5], v1 offset1:1
	ds_read2_b64 v[10:13], v1 offset0:2 offset1:3
	ds_read2_b64 v[18:21], v1 offset0:4 offset1:5
	ds_read2_b64 v[26:29], v1 offset0:6 offset1:7
	ds_read2_b64 v[30:33], v1 offset0:8 offset1:9
	ds_read2_b64 v[38:41], v1 offset0:10 offset1:11
	ds_read2_b64 v[46:49], v1 offset0:12 offset1:13
	ds_read2_b64 v[54:57], v1 offset0:14 offset1:15
	ds_read2_b64 v[62:65], v1 offset0:16 offset1:17
	ds_read_b64 v[8:9], v1 offset:144
	v_cndmask_b32_e64 v1, 0, 1, vcc
                                        ; implicit-def: $vgpr70_vgpr71
                                        ; implicit-def: $vgpr66_vgpr67
                                        ; implicit-def: $vgpr58_vgpr59
                                        ; implicit-def: $vgpr50_vgpr51
.LBB104_111:
	s_waitcnt lgkmcnt(0)
	v_pk_mov_b32 v[16:17], s[8:9], s[8:9] op_sel:[0,1]
	v_mov_b32_e32 v36, s76
	s_and_saveexec_b64 s[4:5], s[10:11]
; %bb.112:
	v_cndmask_b32_e64 v36, 0, 1, s[2:3]
	v_pk_mov_b32 v[14:15], v[4:5], v[4:5] op_sel:[0,1]
	v_pk_mov_b32 v[22:23], v[12:13], v[12:13] op_sel:[0,1]
	;; [unrolled: 1-line block ×10, first 2 shown]
; %bb.113:
	s_or_b64 exec, exec, s[4:5]
	v_or_b32_e32 v4, v36, v110
	s_cmp_lg_u32 s6, 0
	v_or_b32_e32 v29, v4, v126
	v_mbcnt_lo_u32_b32 v28, -1, 0
	s_waitcnt lgkmcnt(0)
	; wave barrier
	s_cbranch_scc0 .LBB104_176
; %bb.114:
	v_mov_b32_e32 v4, 0
	v_cmp_eq_u16_sdwa s[38:39], v112, v4 src0_sel:BYTE_0 src1_sel:DWORD
	v_cndmask_b32_e64 v9, 0, v2, s[38:39]
	v_cndmask_b32_e64 v5, 0, v3, s[38:39]
	v_add_co_u32_e32 v9, vcc, v9, v14
	v_cmp_eq_u16_sdwa s[36:37], v111, v4 src0_sel:BYTE_0 src1_sel:DWORD
	v_addc_co_u32_e32 v5, vcc, v5, v15, vcc
	v_cndmask_b32_e64 v9, 0, v9, s[36:37]
	v_cndmask_b32_e64 v5, 0, v5, s[36:37]
	v_add_co_u32_e32 v9, vcc, v9, v10
	v_cmp_eq_u16_sdwa s[34:35], v113, v4 src0_sel:BYTE_0 src1_sel:DWORD
	v_addc_co_u32_e32 v5, vcc, v5, v11, vcc
	;; [unrolled: 5-line block ×16, first 2 shown]
	v_cndmask_b32_e64 v9, 0, v9, s[4:5]
	v_add_co_u32_e32 v9, vcc, v9, v6
	v_cmp_eq_u16_sdwa s[2:3], v36, v4 src0_sel:BYTE_0 src1_sel:DWORD
	v_cndmask_b32_e64 v4, 0, v9, s[2:3]
	v_or_b32_e32 v9, v29, v125
	v_or_b32_e32 v9, v9, v124
	;; [unrolled: 1-line block ×12, first 2 shown]
	v_cndmask_b32_e64 v5, 0, v5, s[4:5]
	v_or_b32_e32 v9, v9, v113
	v_addc_co_u32_e32 v5, vcc, v5, v7, vcc
	v_or_b32_e32 v9, v9, v111
	v_cndmask_b32_e64 v5, 0, v5, s[2:3]
	v_add_co_u32_e32 v4, vcc, v4, v16
	v_or_b32_e32 v9, v9, v112
	v_addc_co_u32_e32 v5, vcc, v5, v17, vcc
	v_and_b32_e32 v9, 1, v9
	v_and_b32_e32 v8, 0xff, v1
	v_cmp_eq_u32_e32 vcc, 1, v9
	v_mbcnt_hi_u32_b32 v9, -1, v28
	v_cndmask_b32_e64 v8, v8, 1, vcc
	v_and_b32_e32 v12, 15, v9
	v_mov_b32_dpp v20, v4 row_shr:1 row_mask:0xf bank_mask:0xf
	v_mov_b32_dpp v21, v5 row_shr:1 row_mask:0xf bank_mask:0xf
	;; [unrolled: 1-line block ×3, first 2 shown]
	v_cmp_ne_u32_e32 vcc, 0, v12
	s_and_saveexec_b64 s[40:41], vcc
; %bb.115:
	v_cmp_eq_u32_e32 vcc, 0, v8
	v_cndmask_b32_e32 v20, 0, v20, vcc
	v_cndmask_b32_e32 v21, 0, v21, vcc
	v_add_co_u32_e32 v4, vcc, v20, v4
	v_addc_co_u32_e32 v5, vcc, v21, v5, vcc
	v_and_or_b32 v8, v13, 1, v8
; %bb.116:
	s_or_b64 exec, exec, s[40:41]
	v_mov_b32_dpp v20, v4 row_shr:2 row_mask:0xf bank_mask:0xf
	v_mov_b32_dpp v21, v5 row_shr:2 row_mask:0xf bank_mask:0xf
	v_mov_b32_dpp v13, v8 row_shr:2 row_mask:0xf bank_mask:0xf
	v_cmp_lt_u32_e32 vcc, 1, v12
	s_and_saveexec_b64 s[40:41], vcc
; %bb.117:
	v_cmp_eq_u32_e32 vcc, 0, v8
	v_cndmask_b32_e32 v20, 0, v20, vcc
	v_cndmask_b32_e32 v21, 0, v21, vcc
	v_add_co_u32_e32 v4, vcc, v20, v4
	v_or_b32_e32 v8, v13, v8
	v_addc_co_u32_e32 v5, vcc, v21, v5, vcc
	v_and_b32_e32 v8, 1, v8
; %bb.118:
	s_or_b64 exec, exec, s[40:41]
	v_mov_b32_dpp v20, v4 row_shr:4 row_mask:0xf bank_mask:0xf
	v_mov_b32_dpp v21, v5 row_shr:4 row_mask:0xf bank_mask:0xf
	v_mov_b32_dpp v13, v8 row_shr:4 row_mask:0xf bank_mask:0xf
	v_cmp_lt_u32_e32 vcc, 3, v12
	s_and_saveexec_b64 s[40:41], vcc
; %bb.119:
	v_cmp_eq_u32_e32 vcc, 0, v8
	v_cndmask_b32_e32 v20, 0, v20, vcc
	v_cndmask_b32_e32 v21, 0, v21, vcc
	v_add_co_u32_e32 v4, vcc, v20, v4
	v_or_b32_e32 v8, v13, v8
	v_addc_co_u32_e32 v5, vcc, v21, v5, vcc
	v_and_b32_e32 v8, 1, v8
	;; [unrolled: 15-line block ×3, first 2 shown]
; %bb.122:
	s_or_b64 exec, exec, s[40:41]
	v_and_b32_e32 v21, 16, v9
	v_mov_b32_dpp v13, v4 row_bcast:15 row_mask:0xf bank_mask:0xf
	v_mov_b32_dpp v20, v5 row_bcast:15 row_mask:0xf bank_mask:0xf
	;; [unrolled: 1-line block ×3, first 2 shown]
	v_cmp_ne_u32_e32 vcc, 0, v21
	s_and_saveexec_b64 s[40:41], vcc
; %bb.123:
	v_cmp_eq_u32_e32 vcc, 0, v8
	v_cndmask_b32_e32 v13, 0, v13, vcc
	v_cndmask_b32_e32 v20, 0, v20, vcc
	v_add_co_u32_e32 v4, vcc, v13, v4
	v_or_b32_e32 v8, v12, v8
	v_addc_co_u32_e32 v5, vcc, v20, v5, vcc
	v_and_b32_e32 v8, 1, v8
; %bb.124:
	s_or_b64 exec, exec, s[40:41]
	v_mov_b32_dpp v20, v4 row_bcast:31 row_mask:0xf bank_mask:0xf
	v_mov_b32_dpp v21, v5 row_bcast:31 row_mask:0xf bank_mask:0xf
	;; [unrolled: 1-line block ×3, first 2 shown]
	v_cmp_lt_u32_e32 vcc, 31, v9
	v_mov_b32_e32 v12, v8
	s_and_saveexec_b64 s[40:41], vcc
; %bb.125:
	v_cmp_eq_u32_e32 vcc, 0, v8
	v_cndmask_b32_e32 v20, 0, v20, vcc
	v_cndmask_b32_e32 v12, 0, v21, vcc
	v_add_co_u32_e32 v4, vcc, v20, v4
	v_or_b32_e32 v8, v13, v8
	v_addc_co_u32_e32 v5, vcc, v12, v5, vcc
	v_and_b32_e32 v12, 1, v8
	v_and_b32_e32 v8, 1, v8
; %bb.126:
	s_or_b64 exec, exec, s[40:41]
	v_cmp_eq_u32_e32 vcc, 63, v0
	s_and_saveexec_b64 s[40:41], vcc
	s_cbranch_execz .LBB104_128
; %bb.127:
	v_mov_b32_e32 v13, 0
	ds_write_b64 v13, v[4:5]
	ds_write_b8 v13, v12 offset:8
.LBB104_128:
	s_or_b64 exec, exec, s[40:41]
	v_add_u32_e32 v12, -1, v9
	v_and_b32_e32 v13, 64, v9
	v_cmp_lt_i32_e32 vcc, v12, v13
	v_cndmask_b32_e32 v12, v12, v9, vcc
	v_lshlrev_b32_e32 v12, 2, v12
	ds_bpermute_b32 v33, v12, v4
	ds_bpermute_b32 v37, v12, v5
	;; [unrolled: 1-line block ×3, first 2 shown]
	v_cmp_gt_u32_e32 vcc, 64, v0
	s_waitcnt lgkmcnt(0)
	; wave barrier
	s_waitcnt lgkmcnt(0)
	s_and_saveexec_b64 s[56:57], vcc
	s_cbranch_execz .LBB104_175
; %bb.129:
	v_mov_b32_e32 v13, 0
	ds_read_b64 v[4:5], v13
	ds_read_u8 v40, v13 offset:8
	s_mov_b32 s63, 0
	v_cmp_eq_u32_e64 s[40:41], 0, v9
	s_and_saveexec_b64 s[44:45], s[40:41]
	s_cbranch_execz .LBB104_131
; %bb.130:
	s_add_i32 s62, s6, 64
	s_lshl_b64 s[68:69], s[62:63], 4
	s_add_u32 s68, s48, s68
	s_addc_u32 s69, s49, s69
	v_mov_b32_e32 v8, s62
	v_mov_b32_e32 v12, 1
	s_waitcnt lgkmcnt(1)
	global_store_dwordx2 v13, v[4:5], s[68:69]
	s_waitcnt lgkmcnt(0)
	global_store_byte v13, v40, s[68:69] offset:8
	s_waitcnt vmcnt(0)
	buffer_wbinvl1_vol
	global_store_byte v8, v12, s[52:53]
.LBB104_131:
	s_or_b64 exec, exec, s[44:45]
	v_xad_u32 v8, v9, -1, s6
	v_add_u32_e32 v12, 64, v8
	global_load_ubyte v41, v12, s[52:53] glc
	s_waitcnt vmcnt(0)
	v_cmp_eq_u16_e32 vcc, 0, v41
	s_and_saveexec_b64 s[44:45], vcc
	s_cbranch_execz .LBB104_137
; %bb.132:
	v_mov_b32_e32 v21, s53
	v_add_co_u32_e32 v20, vcc, s52, v12
	v_addc_co_u32_e32 v21, vcc, 0, v21, vcc
	s_mov_b32 s7, 1
	s_mov_b64 s[62:63], 0
.LBB104_133:                            ; =>This Loop Header: Depth=1
                                        ;     Child Loop BB104_134 Depth 2
	s_max_u32 s55, s7, 1
.LBB104_134:                            ;   Parent Loop BB104_133 Depth=1
                                        ; =>  This Inner Loop Header: Depth=2
	s_add_i32 s55, s55, -1
	s_cmp_eq_u32 s55, 0
	s_sleep 1
	s_cbranch_scc0 .LBB104_134
; %bb.135:                              ;   in Loop: Header=BB104_133 Depth=1
	global_load_ubyte v41, v[20:21], off glc
	s_cmp_lt_u32 s7, 32
	s_cselect_b64 s[68:69], -1, 0
	s_cmp_lg_u64 s[68:69], 0
	s_addc_u32 s7, s7, 0
	s_waitcnt vmcnt(0)
	v_cmp_ne_u16_e32 vcc, 0, v41
	s_or_b64 s[62:63], vcc, s[62:63]
	s_andn2_b64 exec, exec, s[62:63]
	s_cbranch_execnz .LBB104_133
; %bb.136:
	s_or_b64 exec, exec, s[62:63]
.LBB104_137:
	s_or_b64 exec, exec, s[44:45]
	v_mov_b32_e32 v20, s51
	v_mov_b32_e32 v21, s49
	v_cmp_eq_u16_e32 vcc, 1, v41
	v_cndmask_b32_e32 v20, v20, v21, vcc
	v_mov_b32_e32 v21, s50
	v_mov_b32_e32 v24, s48
	v_cndmask_b32_e32 v21, v21, v24, vcc
	v_lshlrev_b64 v[12:13], 4, v[12:13]
	v_add_co_u32_e32 v12, vcc, v21, v12
	v_addc_co_u32_e32 v13, vcc, v20, v13, vcc
	s_waitcnt lgkmcnt(0)
	buffer_wbinvl1_vol
	global_load_dwordx2 v[24:25], v[12:13], off
	global_load_ubyte v72, v[12:13], off offset:8
	v_cmp_eq_u16_e32 vcc, 2, v41
	v_lshlrev_b64 v[12:13], v9, -1
	v_and_b32_e32 v44, 63, v9
	v_and_b32_e32 v20, vcc_hi, v13
	v_and_b32_e32 v53, vcc_lo, v12
	v_cmp_ne_u32_e32 vcc, 63, v44
	v_addc_co_u32_e32 v21, vcc, 0, v9, vcc
	v_lshlrev_b32_e32 v45, 2, v21
	v_or_b32_e32 v20, 0x80000000, v20
	v_ffbl_b32_e32 v20, v20
	v_add_u32_e32 v20, 32, v20
	v_ffbl_b32_e32 v53, v53
	v_min_u32_e32 v20, v53, v20
	v_cmp_lt_u32_e32 vcc, v44, v20
	s_waitcnt vmcnt(1)
	ds_bpermute_b32 v49, v45, v24
	s_waitcnt vmcnt(0)
	v_and_b32_e32 v21, 1, v72
	ds_bpermute_b32 v52, v45, v25
	ds_bpermute_b32 v48, v45, v21
	s_and_saveexec_b64 s[44:45], vcc
	s_cbranch_execz .LBB104_139
; %bb.138:
	v_mov_b32_e32 v21, 0
	v_cmp_eq_u16_sdwa vcc, v72, v21 src0_sel:BYTE_0 src1_sel:DWORD
	s_waitcnt lgkmcnt(2)
	v_cndmask_b32_e32 v49, 0, v49, vcc
	s_waitcnt lgkmcnt(1)
	v_cndmask_b32_e32 v21, 0, v52, vcc
	v_add_co_u32_e32 v24, vcc, v49, v24
	v_addc_co_u32_e32 v25, vcc, v21, v25, vcc
	s_waitcnt lgkmcnt(0)
	v_and_b32_e32 v21, 1, v48
	v_or_b32_e32 v72, v21, v72
	v_and_b32_e32 v21, 0xff, v72
.LBB104_139:
	s_or_b64 exec, exec, s[44:45]
	v_cmp_gt_u32_e32 vcc, 62, v44
	s_waitcnt lgkmcnt(0)
	v_cndmask_b32_e64 v48, 0, 1, vcc
	v_lshlrev_b32_e32 v48, 1, v48
	v_add_lshl_u32 v48, v48, v9, 2
	ds_bpermute_b32 v53, v48, v24
	ds_bpermute_b32 v56, v48, v25
	ds_bpermute_b32 v52, v48, v21
	v_add_u32_e32 v49, 2, v44
	v_cmp_le_u32_e32 vcc, v49, v20
	s_and_saveexec_b64 s[62:63], vcc
	s_cbranch_execz .LBB104_141
; %bb.140:
	v_mov_b32_e32 v21, 0
	v_cmp_eq_u16_sdwa vcc, v72, v21 src0_sel:BYTE_0 src1_sel:DWORD
	s_waitcnt lgkmcnt(2)
	v_cndmask_b32_e32 v53, 0, v53, vcc
	s_waitcnt lgkmcnt(1)
	v_cndmask_b32_e32 v21, 0, v56, vcc
	v_add_co_u32_e32 v24, vcc, v53, v24
	v_addc_co_u32_e32 v25, vcc, v21, v25, vcc
	v_and_b32_e32 v21, 1, v72
	v_cmp_eq_u32_e32 vcc, 1, v21
	s_waitcnt lgkmcnt(0)
	v_and_b32_e32 v21, 1, v52
	v_cmp_eq_u32_e64 s[44:45], 1, v21
	s_or_b64 s[44:45], vcc, s[44:45]
	v_cndmask_b32_e64 v72, 0, 1, s[44:45]
	v_cndmask_b32_e64 v21, 0, 1, s[44:45]
.LBB104_141:
	s_or_b64 exec, exec, s[62:63]
	v_cmp_gt_u32_e32 vcc, 60, v44
	s_waitcnt lgkmcnt(0)
	v_cndmask_b32_e64 v52, 0, 1, vcc
	v_lshlrev_b32_e32 v52, 2, v52
	v_add_lshl_u32 v52, v52, v9, 2
	ds_bpermute_b32 v57, v52, v24
	ds_bpermute_b32 v60, v52, v25
	ds_bpermute_b32 v56, v52, v21
	v_add_u32_e32 v53, 4, v44
	v_cmp_le_u32_e32 vcc, v53, v20
	s_and_saveexec_b64 s[62:63], vcc
	s_cbranch_execz .LBB104_143
; %bb.142:
	v_mov_b32_e32 v21, 0
	v_cmp_eq_u16_sdwa vcc, v72, v21 src0_sel:BYTE_0 src1_sel:DWORD
	s_waitcnt lgkmcnt(2)
	v_cndmask_b32_e32 v57, 0, v57, vcc
	s_waitcnt lgkmcnt(1)
	v_cndmask_b32_e32 v21, 0, v60, vcc
	v_add_co_u32_e32 v24, vcc, v57, v24
	v_addc_co_u32_e32 v25, vcc, v21, v25, vcc
	v_and_b32_e32 v21, 1, v72
	v_cmp_eq_u32_e32 vcc, 1, v21
	s_waitcnt lgkmcnt(0)
	v_and_b32_e32 v21, 1, v56
	v_cmp_eq_u32_e64 s[44:45], 1, v21
	s_or_b64 s[44:45], vcc, s[44:45]
	v_cndmask_b32_e64 v72, 0, 1, s[44:45]
	v_cndmask_b32_e64 v21, 0, 1, s[44:45]
.LBB104_143:
	;; [unrolled: 31-line block ×4, first 2 shown]
	s_or_b64 exec, exec, s[62:63]
	v_cmp_gt_u32_e32 vcc, 32, v44
	s_waitcnt lgkmcnt(0)
	v_cndmask_b32_e64 v64, 0, 1, vcc
	v_lshlrev_b32_e32 v64, 5, v64
	v_add_lshl_u32 v65, v64, v9, 2
	ds_bpermute_b32 v64, v65, v24
	ds_bpermute_b32 v69, v65, v25
	ds_bpermute_b32 v9, v65, v21
	v_add_u32_e32 v68, 32, v44
	v_cmp_le_u32_e32 vcc, v68, v20
	s_and_saveexec_b64 s[62:63], vcc
	s_cbranch_execz .LBB104_149
; %bb.148:
	v_mov_b32_e32 v20, 0
	v_cmp_eq_u16_sdwa vcc, v72, v20 src0_sel:BYTE_0 src1_sel:DWORD
	s_waitcnt lgkmcnt(2)
	v_cndmask_b32_e32 v21, 0, v64, vcc
	s_waitcnt lgkmcnt(1)
	v_cndmask_b32_e32 v20, 0, v69, vcc
	v_add_co_u32_e32 v24, vcc, v21, v24
	v_addc_co_u32_e32 v25, vcc, v20, v25, vcc
	v_and_b32_e32 v20, 1, v72
	s_waitcnt lgkmcnt(0)
	v_and_b32_e32 v9, 1, v9
	v_cmp_eq_u32_e32 vcc, 1, v20
	v_cmp_eq_u32_e64 s[44:45], 1, v9
	s_or_b64 s[44:45], vcc, s[44:45]
	v_cndmask_b32_e64 v72, 0, 1, s[44:45]
.LBB104_149:
	s_or_b64 exec, exec, s[62:63]
	s_waitcnt lgkmcnt(0)
	v_mov_b32_e32 v9, 0
	v_mov_b32_e32 v69, 2
	s_branch .LBB104_151
.LBB104_150:                            ;   in Loop: Header=BB104_151 Depth=1
	s_or_b64 exec, exec, s[68:69]
	v_cmp_eq_u16_sdwa vcc, v64, v9 src0_sel:BYTE_0 src1_sel:DWORD
	v_cndmask_b32_e32 v24, 0, v24, vcc
	v_cndmask_b32_e32 v25, 0, v25, vcc
	v_add_co_u32_e32 v24, vcc, v24, v20
	v_addc_co_u32_e32 v25, vcc, v25, v21, vcc
	v_and_b32_e32 v72, 1, v64
	v_cmp_eq_u32_e32 vcc, 1, v72
	s_or_b64 s[44:45], vcc, s[62:63]
	v_subrev_u32_e32 v8, 64, v8
	v_cndmask_b32_e64 v72, 0, 1, s[44:45]
.LBB104_151:                            ; =>This Loop Header: Depth=1
                                        ;     Child Loop BB104_154 Depth 2
                                        ;       Child Loop BB104_155 Depth 3
	v_cmp_ne_u16_sdwa s[44:45], v41, v69 src0_sel:BYTE_0 src1_sel:DWORD
	v_cndmask_b32_e64 v20, 0, 1, s[44:45]
	;;#ASMSTART
	;;#ASMEND
	v_cmp_ne_u32_e32 vcc, 0, v20
	v_mov_b32_e32 v64, v72
	s_cmp_lg_u64 vcc, exec
	v_pk_mov_b32 v[20:21], v[24:25], v[24:25] op_sel:[0,1]
	s_cbranch_scc1 .LBB104_170
; %bb.152:                              ;   in Loop: Header=BB104_151 Depth=1
	global_load_ubyte v41, v8, s[52:53] glc
	s_waitcnt vmcnt(0)
	v_cmp_eq_u16_e32 vcc, 0, v41
	s_and_saveexec_b64 s[44:45], vcc
	s_cbranch_execz .LBB104_158
; %bb.153:                              ;   in Loop: Header=BB104_151 Depth=1
	v_mov_b32_e32 v25, s53
	v_add_co_u32_e32 v24, vcc, s52, v8
	v_addc_co_u32_e32 v25, vcc, 0, v25, vcc
	s_mov_b32 s7, 1
	s_mov_b64 s[62:63], 0
.LBB104_154:                            ;   Parent Loop BB104_151 Depth=1
                                        ; =>  This Loop Header: Depth=2
                                        ;       Child Loop BB104_155 Depth 3
	s_max_u32 s55, s7, 1
.LBB104_155:                            ;   Parent Loop BB104_151 Depth=1
                                        ;     Parent Loop BB104_154 Depth=2
                                        ; =>    This Inner Loop Header: Depth=3
	s_add_i32 s55, s55, -1
	s_cmp_eq_u32 s55, 0
	s_sleep 1
	s_cbranch_scc0 .LBB104_155
; %bb.156:                              ;   in Loop: Header=BB104_154 Depth=2
	global_load_ubyte v41, v[24:25], off glc
	s_cmp_lt_u32 s7, 32
	s_cselect_b64 s[68:69], -1, 0
	s_cmp_lg_u64 s[68:69], 0
	s_addc_u32 s7, s7, 0
	s_waitcnt vmcnt(0)
	v_cmp_ne_u16_e32 vcc, 0, v41
	s_or_b64 s[62:63], vcc, s[62:63]
	s_andn2_b64 exec, exec, s[62:63]
	s_cbranch_execnz .LBB104_154
; %bb.157:                              ;   in Loop: Header=BB104_151 Depth=1
	s_or_b64 exec, exec, s[62:63]
.LBB104_158:                            ;   in Loop: Header=BB104_151 Depth=1
	s_or_b64 exec, exec, s[44:45]
	v_mov_b32_e32 v24, s51
	v_mov_b32_e32 v25, s49
	v_cmp_eq_u16_e32 vcc, 1, v41
	v_cndmask_b32_e32 v73, v24, v25, vcc
	v_mov_b32_e32 v24, s50
	v_mov_b32_e32 v25, s48
	v_cndmask_b32_e32 v72, v24, v25, vcc
	v_lshlrev_b64 v[24:25], 4, v[8:9]
	v_add_co_u32_e32 v72, vcc, v72, v24
	v_addc_co_u32_e32 v73, vcc, v73, v25, vcc
	buffer_wbinvl1_vol
	global_load_dwordx2 v[24:25], v[72:73], off
	s_nop 0
	global_load_ubyte v72, v[72:73], off offset:8
	v_cmp_eq_u16_e32 vcc, 2, v41
	v_and_b32_e32 v73, vcc_hi, v13
	v_or_b32_e32 v73, 0x80000000, v73
	v_and_b32_e32 v78, vcc_lo, v12
	v_ffbl_b32_e32 v73, v73
	v_add_u32_e32 v73, 32, v73
	v_ffbl_b32_e32 v78, v78
	v_min_u32_e32 v73, v78, v73
	v_cmp_lt_u32_e32 vcc, v44, v73
	s_waitcnt vmcnt(1) lgkmcnt(1)
	ds_bpermute_b32 v76, v45, v24
	s_waitcnt vmcnt(0) lgkmcnt(1)
	v_and_b32_e32 v74, 1, v72
	ds_bpermute_b32 v77, v45, v25
	ds_bpermute_b32 v75, v45, v74
	s_and_saveexec_b64 s[44:45], vcc
	s_cbranch_execz .LBB104_160
; %bb.159:                              ;   in Loop: Header=BB104_151 Depth=1
	v_cmp_eq_u16_sdwa vcc, v72, v9 src0_sel:BYTE_0 src1_sel:DWORD
	s_waitcnt lgkmcnt(2)
	v_cndmask_b32_e32 v76, 0, v76, vcc
	s_waitcnt lgkmcnt(1)
	v_cndmask_b32_e32 v74, 0, v77, vcc
	v_add_co_u32_e32 v24, vcc, v76, v24
	v_addc_co_u32_e32 v25, vcc, v74, v25, vcc
	s_waitcnt lgkmcnt(0)
	v_and_b32_e32 v74, 1, v75
	v_or_b32_e32 v72, v74, v72
	v_and_b32_e32 v74, 0xff, v72
.LBB104_160:                            ;   in Loop: Header=BB104_151 Depth=1
	s_or_b64 exec, exec, s[44:45]
	s_waitcnt lgkmcnt(2)
	ds_bpermute_b32 v76, v48, v24
	s_waitcnt lgkmcnt(2)
	ds_bpermute_b32 v77, v48, v25
	;; [unrolled: 2-line block ×3, first 2 shown]
	v_and_b32_e32 v78, 1, v72
	v_cmp_le_u32_e32 vcc, v49, v73
	v_cmp_eq_u32_e64 s[62:63], 1, v78
	s_and_saveexec_b64 s[44:45], vcc
	s_cbranch_execz .LBB104_162
; %bb.161:                              ;   in Loop: Header=BB104_151 Depth=1
	v_cmp_eq_u16_sdwa vcc, v72, v9 src0_sel:BYTE_0 src1_sel:DWORD
	s_waitcnt lgkmcnt(2)
	v_cndmask_b32_e32 v74, 0, v76, vcc
	s_waitcnt lgkmcnt(1)
	v_cndmask_b32_e32 v72, 0, v77, vcc
	v_add_co_u32_e32 v24, vcc, v74, v24
	v_addc_co_u32_e32 v25, vcc, v72, v25, vcc
	s_waitcnt lgkmcnt(0)
	v_and_b32_e32 v72, 1, v75
	v_cmp_eq_u32_e32 vcc, 1, v72
	s_or_b64 s[68:69], s[62:63], vcc
	v_cndmask_b32_e64 v72, 0, 1, s[68:69]
	v_cndmask_b32_e64 v74, 0, 1, s[68:69]
	s_andn2_b64 s[62:63], s[62:63], exec
	s_and_b64 s[68:69], s[68:69], exec
	s_or_b64 s[62:63], s[62:63], s[68:69]
.LBB104_162:                            ;   in Loop: Header=BB104_151 Depth=1
	s_or_b64 exec, exec, s[44:45]
	s_waitcnt lgkmcnt(2)
	ds_bpermute_b32 v76, v52, v24
	s_waitcnt lgkmcnt(2)
	ds_bpermute_b32 v77, v52, v25
	s_waitcnt lgkmcnt(2)
	ds_bpermute_b32 v75, v52, v74
	v_cmp_le_u32_e32 vcc, v53, v73
	s_and_saveexec_b64 s[68:69], vcc
	s_cbranch_execz .LBB104_164
; %bb.163:                              ;   in Loop: Header=BB104_151 Depth=1
	v_cmp_eq_u16_sdwa vcc, v72, v9 src0_sel:BYTE_0 src1_sel:DWORD
	s_waitcnt lgkmcnt(2)
	v_cndmask_b32_e32 v76, 0, v76, vcc
	s_waitcnt lgkmcnt(1)
	v_cndmask_b32_e32 v74, 0, v77, vcc
	v_add_co_u32_e32 v24, vcc, v76, v24
	v_addc_co_u32_e32 v25, vcc, v74, v25, vcc
	v_and_b32_e32 v72, 1, v72
	v_cmp_eq_u32_e32 vcc, 1, v72
	s_waitcnt lgkmcnt(0)
	v_and_b32_e32 v72, 1, v75
	v_cmp_eq_u32_e64 s[44:45], 1, v72
	s_or_b64 s[44:45], vcc, s[44:45]
	v_cndmask_b32_e64 v72, 0, 1, s[44:45]
	v_cndmask_b32_e64 v74, 0, 1, s[44:45]
	s_andn2_b64 s[62:63], s[62:63], exec
	s_and_b64 s[44:45], s[44:45], exec
	s_or_b64 s[62:63], s[62:63], s[44:45]
.LBB104_164:                            ;   in Loop: Header=BB104_151 Depth=1
	s_or_b64 exec, exec, s[68:69]
	s_waitcnt lgkmcnt(2)
	ds_bpermute_b32 v76, v56, v24
	s_waitcnt lgkmcnt(2)
	ds_bpermute_b32 v77, v56, v25
	s_waitcnt lgkmcnt(2)
	ds_bpermute_b32 v75, v56, v74
	v_cmp_le_u32_e32 vcc, v57, v73
	s_and_saveexec_b64 s[68:69], vcc
	s_cbranch_execz .LBB104_166
; %bb.165:                              ;   in Loop: Header=BB104_151 Depth=1
	v_cmp_eq_u16_sdwa vcc, v72, v9 src0_sel:BYTE_0 src1_sel:DWORD
	s_waitcnt lgkmcnt(2)
	v_cndmask_b32_e32 v76, 0, v76, vcc
	s_waitcnt lgkmcnt(1)
	v_cndmask_b32_e32 v74, 0, v77, vcc
	v_add_co_u32_e32 v24, vcc, v76, v24
	v_addc_co_u32_e32 v25, vcc, v74, v25, vcc
	v_and_b32_e32 v72, 1, v72
	v_cmp_eq_u32_e32 vcc, 1, v72
	s_waitcnt lgkmcnt(0)
	v_and_b32_e32 v72, 1, v75
	v_cmp_eq_u32_e64 s[44:45], 1, v72
	s_or_b64 s[44:45], vcc, s[44:45]
	v_cndmask_b32_e64 v72, 0, 1, s[44:45]
	v_cndmask_b32_e64 v74, 0, 1, s[44:45]
	s_andn2_b64 s[62:63], s[62:63], exec
	s_and_b64 s[44:45], s[44:45], exec
	s_or_b64 s[62:63], s[62:63], s[44:45]
.LBB104_166:                            ;   in Loop: Header=BB104_151 Depth=1
	;; [unrolled: 30-line block ×3, first 2 shown]
	s_or_b64 exec, exec, s[68:69]
	s_waitcnt lgkmcnt(0)
	ds_bpermute_b32 v75, v65, v24
	ds_bpermute_b32 v76, v65, v25
	;; [unrolled: 1-line block ×3, first 2 shown]
	v_cmp_le_u32_e32 vcc, v68, v73
	s_and_saveexec_b64 s[68:69], vcc
	s_cbranch_execz .LBB104_150
; %bb.169:                              ;   in Loop: Header=BB104_151 Depth=1
	v_cmp_eq_u16_sdwa vcc, v72, v9 src0_sel:BYTE_0 src1_sel:DWORD
	s_waitcnt lgkmcnt(2)
	v_cndmask_b32_e32 v75, 0, v75, vcc
	s_waitcnt lgkmcnt(1)
	v_cndmask_b32_e32 v73, 0, v76, vcc
	v_add_co_u32_e32 v24, vcc, v75, v24
	v_addc_co_u32_e32 v25, vcc, v73, v25, vcc
	v_and_b32_e32 v72, 1, v72
	v_cmp_eq_u32_e32 vcc, 1, v72
	s_waitcnt lgkmcnt(0)
	v_and_b32_e32 v72, 1, v74
	v_cmp_eq_u32_e64 s[44:45], 1, v72
	s_or_b64 s[44:45], vcc, s[44:45]
	s_andn2_b64 s[62:63], s[62:63], exec
	s_and_b64 s[44:45], s[44:45], exec
	s_or_b64 s[62:63], s[62:63], s[44:45]
	s_branch .LBB104_150
.LBB104_170:                            ;   in Loop: Header=BB104_151 Depth=1
                                        ; implicit-def: $vgpr72
                                        ; implicit-def: $vgpr24_vgpr25
                                        ; implicit-def: $vgpr41
	s_cbranch_execz .LBB104_151
; %bb.171:
	s_and_saveexec_b64 s[44:45], s[40:41]
	s_cbranch_execz .LBB104_173
; %bb.172:
	v_mov_b32_e32 v8, 0
	s_mov_b32 s7, 0
	v_cmp_eq_u16_sdwa vcc, v40, v8 src0_sel:BYTE_0 src1_sel:DWORD
	s_add_i32 s6, s6, 64
	v_cndmask_b32_e32 v12, 0, v20, vcc
	s_lshl_b64 s[40:41], s[6:7], 4
	v_cndmask_b32_e32 v9, 0, v21, vcc
	v_add_co_u32_e32 v4, vcc, v12, v4
	s_add_u32 s40, s50, s40
	v_addc_co_u32_e32 v5, vcc, v9, v5, vcc
	v_or_b32_e32 v9, v40, v64
	s_addc_u32 s41, s51, s41
	v_and_b32_e32 v9, 1, v9
	global_store_dwordx2 v8, v[4:5], s[40:41]
	global_store_byte v8, v9, s[40:41] offset:8
	v_mov_b32_e32 v4, s6
	v_mov_b32_e32 v5, 2
	s_waitcnt vmcnt(0) lgkmcnt(0)
	buffer_wbinvl1_vol
	global_store_byte v4, v5, s[52:53]
.LBB104_173:
	s_or_b64 exec, exec, s[44:45]
	v_cmp_eq_u32_e32 vcc, 0, v0
	s_and_b64 exec, exec, vcc
	s_cbranch_execz .LBB104_175
; %bb.174:
	v_mov_b32_e32 v4, 0
	ds_write_b64 v4, v[20:21]
	ds_write_b8 v4, v64 offset:8
.LBB104_175:
	s_or_b64 exec, exec, s[56:57]
	v_mov_b32_e32 v8, 0
	v_cmp_eq_u16_sdwa vcc, v1, v8 src0_sel:BYTE_0 src1_sel:DWORD
	v_and_b32_e32 v13, 1, v1
	v_cndmask_b32_e32 v9, 0, v33, vcc
	v_cndmask_b32_e32 v12, 0, v37, vcc
	v_cmp_eq_u32_e32 vcc, 1, v13
	v_and_b32_e32 v13, 1, v32
	v_cmp_eq_u32_e64 s[6:7], 1, v13
	s_waitcnt lgkmcnt(0)
	; wave barrier
	s_waitcnt lgkmcnt(0)
	ds_read_b64 v[4:5], v8
	s_or_b64 s[6:7], vcc, s[6:7]
	v_cmp_eq_u32_e32 vcc, 0, v0
	v_cndmask_b32_e64 v13, 0, 1, s[6:7]
	v_cndmask_b32_e64 v9, v9, 0, vcc
	v_cndmask_b32_e32 v13, v13, v1, vcc
	v_cndmask_b32_e64 v12, v12, 0, vcc
	v_add_co_u32_e32 v9, vcc, v9, v2
	v_addc_co_u32_e32 v12, vcc, v12, v3, vcc
	v_cmp_eq_u16_sdwa vcc, v13, v8 src0_sel:BYTE_0 src1_sel:DWORD
	s_waitcnt lgkmcnt(0)
	v_cndmask_b32_e32 v4, 0, v4, vcc
	v_cndmask_b32_e32 v5, 0, v5, vcc
	v_add_co_u32_e32 v102, vcc, v9, v4
	v_addc_co_u32_e32 v103, vcc, v12, v5, vcc
	v_cndmask_b32_e64 v5, 0, v102, s[38:39]
	v_cndmask_b32_e64 v4, 0, v103, s[38:39]
	v_add_co_u32_e32 v40, vcc, v5, v14
	v_addc_co_u32_e32 v41, vcc, v4, v15, vcc
	v_cndmask_b32_e64 v5, 0, v40, s[36:37]
	v_cndmask_b32_e64 v4, 0, v41, s[36:37]
	v_add_co_u32_e32 v72, vcc, v5, v10
	v_addc_co_u32_e32 v73, vcc, v4, v11, vcc
	v_cndmask_b32_e64 v5, 0, v72, s[34:35]
	v_cndmask_b32_e64 v4, 0, v73, s[34:35]
	v_add_co_u32_e32 v44, vcc, v5, v22
	v_addc_co_u32_e32 v45, vcc, v4, v23, vcc
	v_cndmask_b32_e64 v5, 0, v44, s[30:31]
	v_cndmask_b32_e64 v4, 0, v45, s[30:31]
	v_add_co_u32_e32 v76, vcc, v5, v18
	v_addc_co_u32_e32 v77, vcc, v4, v19, vcc
	v_cndmask_b32_e64 v5, 0, v76, s[28:29]
	v_cndmask_b32_e64 v4, 0, v77, s[28:29]
	v_add_co_u32_e32 v48, vcc, v5, v34
	v_addc_co_u32_e32 v49, vcc, v4, v35, vcc
	v_cndmask_b32_e64 v5, 0, v48, s[26:27]
	v_cndmask_b32_e64 v4, 0, v49, s[26:27]
	v_add_co_u32_e32 v80, vcc, v5, v26
	v_addc_co_u32_e32 v81, vcc, v4, v27, vcc
	v_cndmask_b32_e64 v5, 0, v80, s[24:25]
	v_cndmask_b32_e64 v4, 0, v81, s[24:25]
	v_add_co_u32_e32 v52, vcc, v5, v42
	v_addc_co_u32_e32 v53, vcc, v4, v43, vcc
	v_cndmask_b32_e64 v5, 0, v52, s[22:23]
	v_cndmask_b32_e64 v4, 0, v53, s[22:23]
	v_add_co_u32_e32 v84, vcc, v5, v30
	v_addc_co_u32_e32 v85, vcc, v4, v31, vcc
	v_cndmask_b32_e64 v5, 0, v84, s[20:21]
	v_cndmask_b32_e64 v4, 0, v85, s[20:21]
	v_add_co_u32_e32 v56, vcc, v5, v50
	v_addc_co_u32_e32 v57, vcc, v4, v51, vcc
	v_cndmask_b32_e64 v5, 0, v56, s[18:19]
	v_cndmask_b32_e64 v4, 0, v57, s[18:19]
	v_add_co_u32_e32 v88, vcc, v5, v38
	v_addc_co_u32_e32 v89, vcc, v4, v39, vcc
	v_cndmask_b32_e64 v5, 0, v88, s[16:17]
	v_cndmask_b32_e64 v4, 0, v89, s[16:17]
	v_add_co_u32_e32 v60, vcc, v5, v58
	v_addc_co_u32_e32 v61, vcc, v4, v59, vcc
	v_cndmask_b32_e64 v5, 0, v60, s[14:15]
	v_cndmask_b32_e64 v4, 0, v61, s[14:15]
	v_add_co_u32_e32 v92, vcc, v5, v46
	v_addc_co_u32_e32 v93, vcc, v4, v47, vcc
	v_cndmask_b32_e64 v5, 0, v92, s[12:13]
	v_cndmask_b32_e64 v4, 0, v93, s[12:13]
	v_add_co_u32_e32 v64, vcc, v5, v66
	v_addc_co_u32_e32 v65, vcc, v4, v67, vcc
	v_cndmask_b32_e64 v5, 0, v64, s[10:11]
	v_cndmask_b32_e64 v4, 0, v65, s[10:11]
	v_add_co_u32_e32 v96, vcc, v5, v54
	v_addc_co_u32_e32 v97, vcc, v4, v55, vcc
	v_cndmask_b32_e64 v5, 0, v96, s[8:9]
	v_cndmask_b32_e64 v4, 0, v97, s[8:9]
	v_add_co_u32_e32 v68, vcc, v5, v70
	v_addc_co_u32_e32 v69, vcc, v4, v71, vcc
	v_cndmask_b32_e64 v5, 0, v68, s[42:43]
	v_cndmask_b32_e64 v4, 0, v69, s[42:43]
	v_add_co_u32_e32 v100, vcc, v5, v62
	v_addc_co_u32_e32 v101, vcc, v4, v63, vcc
	v_cndmask_b32_e64 v5, 0, v100, s[4:5]
	v_cndmask_b32_e64 v4, 0, v101, s[4:5]
	v_add_co_u32_e32 v106, vcc, v5, v6
	v_addc_co_u32_e32 v107, vcc, v4, v7, vcc
	v_cndmask_b32_e64 v5, 0, v106, s[2:3]
	v_cndmask_b32_e64 v4, 0, v107, s[2:3]
	v_add_co_u32_e32 v108, vcc, v5, v16
	v_addc_co_u32_e32 v109, vcc, v4, v17, vcc
	s_branch .LBB104_198
.LBB104_176:
                                        ; implicit-def: $vgpr100_vgpr101_vgpr102_vgpr103
                                        ; implicit-def: $vgpr108_vgpr109
                                        ; implicit-def: $vgpr106_vgpr107
                                        ; implicit-def: $vgpr68_vgpr69
                                        ; implicit-def: $vgpr64_vgpr65
                                        ; implicit-def: $vgpr60_vgpr61
                                        ; implicit-def: $vgpr56_vgpr57
                                        ; implicit-def: $vgpr52_vgpr53
                                        ; implicit-def: $vgpr48_vgpr49
                                        ; implicit-def: $vgpr44_vgpr45
                                        ; implicit-def: $vgpr40_vgpr41
                                        ; implicit-def: $vgpr96_vgpr97_vgpr98_vgpr99
                                        ; implicit-def: $vgpr92_vgpr93_vgpr94_vgpr95
                                        ; implicit-def: $vgpr88_vgpr89_vgpr90_vgpr91
                                        ; implicit-def: $vgpr84_vgpr85_vgpr86_vgpr87
                                        ; implicit-def: $vgpr80_vgpr81_vgpr82_vgpr83
                                        ; implicit-def: $vgpr76_vgpr77_vgpr78_vgpr79
                                        ; implicit-def: $vgpr72_vgpr73_vgpr74_vgpr75
                                        ; implicit-def: $vgpr102_vgpr103_vgpr104_vgpr105
	s_cbranch_execz .LBB104_198
; %bb.177:
	s_cmp_lg_u64 s[66:67], 0
	s_cselect_b32 s5, s59, 0
	s_cselect_b32 s4, s58, 0
	s_cmp_lg_u64 s[4:5], 0
	s_cselect_b64 s[6:7], -1, 0
	v_cmp_eq_u32_e32 vcc, 0, v0
	v_cmp_ne_u32_e64 s[2:3], 0, v0
	s_and_b64 s[8:9], vcc, s[6:7]
	s_and_saveexec_b64 s[6:7], s[8:9]
	s_cbranch_execz .LBB104_179
; %bb.178:
	v_mov_b32_e32 v8, 0
	global_load_dwordx2 v[4:5], v8, s[4:5]
	global_load_ubyte v9, v8, s[4:5] offset:8
	v_cmp_eq_u16_sdwa s[4:5], v1, v8 src0_sel:BYTE_0 src1_sel:DWORD
	s_waitcnt vmcnt(1)
	v_cndmask_b32_e64 v4, 0, v4, s[4:5]
	v_cndmask_b32_e64 v5, 0, v5, s[4:5]
	s_waitcnt vmcnt(0)
	v_or_b32_e32 v1, v1, v9
	v_add_co_u32_e64 v2, s[4:5], v4, v2
	v_addc_co_u32_e64 v3, s[4:5], v5, v3, s[4:5]
	v_and_b32_e32 v1, 1, v1
.LBB104_179:
	s_or_b64 exec, exec, s[6:7]
	v_mov_b32_e32 v5, 0
	v_cmp_eq_u16_sdwa s[4:5], v112, v5 src0_sel:BYTE_0 src1_sel:DWORD
	v_cndmask_b32_e64 v9, 0, v2, s[4:5]
	v_cndmask_b32_e64 v8, 0, v3, s[4:5]
	v_add_co_u32_e64 v40, s[6:7], v9, v14
	v_addc_co_u32_e64 v41, s[6:7], v8, v15, s[6:7]
	v_cmp_eq_u16_sdwa s[6:7], v111, v5 src0_sel:BYTE_0 src1_sel:DWORD
	v_cndmask_b32_e64 v9, 0, v40, s[6:7]
	v_cndmask_b32_e64 v8, 0, v41, s[6:7]
	v_add_co_u32_e64 v72, s[8:9], v9, v10
	v_addc_co_u32_e64 v73, s[8:9], v8, v11, s[8:9]
	;; [unrolled: 5-line block ×18, first 2 shown]
	v_or_b32_e32 v5, v29, v125
	v_or_b32_e32 v5, v5, v124
	v_or_b32_e32 v5, v5, v123
	v_or_b32_e32 v5, v5, v122
	v_or_b32_e32 v5, v5, v121
	v_or_b32_e32 v5, v5, v120
	v_or_b32_e32 v5, v5, v119
	v_or_b32_e32 v5, v5, v118
	v_or_b32_e32 v5, v5, v117
	v_or_b32_e32 v5, v5, v116
	v_or_b32_e32 v5, v5, v115
	v_or_b32_e32 v5, v5, v114
	v_or_b32_e32 v5, v5, v113
	v_or_b32_e32 v5, v5, v111
	v_or_b32_e32 v5, v5, v112
	v_and_b32_e32 v5, 1, v5
	v_and_b32_e32 v4, 0xff, v1
	v_cmp_eq_u32_e64 s[42:43], 1, v5
	v_mbcnt_hi_u32_b32 v12, -1, v28
	v_cndmask_b32_e64 v13, v4, 1, s[42:43]
	v_and_b32_e32 v20, 15, v12
	v_mov_b32_dpp v24, v108 row_shr:1 row_mask:0xf bank_mask:0xf
	v_mov_b32_dpp v25, v109 row_shr:1 row_mask:0xf bank_mask:0xf
	;; [unrolled: 1-line block ×3, first 2 shown]
	v_cmp_ne_u32_e64 s[42:43], 0, v20
	v_pk_mov_b32 v[4:5], v[108:109], v[108:109] op_sel:[0,1]
	v_mov_b32_e32 v9, v109
	v_mov_b32_e32 v8, v108
	s_and_saveexec_b64 s[44:45], s[42:43]
; %bb.180:
	v_cmp_eq_u32_e64 s[42:43], 0, v13
	v_cndmask_b32_e64 v4, 0, v24, s[42:43]
	v_cndmask_b32_e64 v5, 0, v25, s[42:43]
	v_add_co_u32_e64 v4, s[42:43], v108, v4
	v_addc_co_u32_e64 v5, s[42:43], v109, v5, s[42:43]
	v_and_or_b32 v13, v21, 1, v13
	v_mov_b32_e32 v9, v5
	v_mov_b32_e32 v8, v4
; %bb.181:
	s_or_b64 exec, exec, s[44:45]
	s_nop 0
	v_mov_b32_dpp v24, v8 row_shr:2 row_mask:0xf bank_mask:0xf
	v_mov_b32_dpp v25, v9 row_shr:2 row_mask:0xf bank_mask:0xf
	v_mov_b32_dpp v21, v13 row_shr:2 row_mask:0xf bank_mask:0xf
	v_cmp_lt_u32_e64 s[42:43], 1, v20
	s_and_saveexec_b64 s[44:45], s[42:43]
; %bb.182:
	v_cmp_eq_u32_e64 s[42:43], 0, v13
	v_cndmask_b32_e64 v8, 0, v24, s[42:43]
	v_cndmask_b32_e64 v9, 0, v25, s[42:43]
	v_add_co_u32_e64 v8, s[42:43], v8, v4
	v_addc_co_u32_e64 v9, s[42:43], v9, v5, s[42:43]
	v_or_b32_e32 v4, v21, v13
	v_and_b32_e32 v13, 1, v4
	v_pk_mov_b32 v[4:5], v[8:9], v[8:9] op_sel:[0,1]
; %bb.183:
	s_or_b64 exec, exec, s[44:45]
	v_mov_b32_dpp v24, v8 row_shr:4 row_mask:0xf bank_mask:0xf
	v_mov_b32_dpp v25, v9 row_shr:4 row_mask:0xf bank_mask:0xf
	v_mov_b32_dpp v21, v13 row_shr:4 row_mask:0xf bank_mask:0xf
	v_cmp_lt_u32_e64 s[42:43], 3, v20
	s_and_saveexec_b64 s[44:45], s[42:43]
; %bb.184:
	v_cmp_eq_u32_e64 s[42:43], 0, v13
	v_cndmask_b32_e64 v8, 0, v24, s[42:43]
	v_cndmask_b32_e64 v9, 0, v25, s[42:43]
	v_add_co_u32_e64 v8, s[42:43], v8, v4
	v_addc_co_u32_e64 v9, s[42:43], v9, v5, s[42:43]
	v_or_b32_e32 v4, v21, v13
	v_and_b32_e32 v13, 1, v4
	v_pk_mov_b32 v[4:5], v[8:9], v[8:9] op_sel:[0,1]
; %bb.185:
	s_or_b64 exec, exec, s[44:45]
	;; [unrolled: 16-line block ×3, first 2 shown]
	v_and_b32_e32 v25, 16, v12
	v_mov_b32_dpp v21, v8 row_bcast:15 row_mask:0xf bank_mask:0xf
	v_mov_b32_dpp v24, v9 row_bcast:15 row_mask:0xf bank_mask:0xf
	;; [unrolled: 1-line block ×3, first 2 shown]
	v_cmp_ne_u32_e64 s[42:43], 0, v25
	s_and_saveexec_b64 s[44:45], s[42:43]
; %bb.188:
	v_cmp_eq_u32_e64 s[42:43], 0, v13
	v_cndmask_b32_e64 v9, 0, v21, s[42:43]
	v_cndmask_b32_e64 v8, 0, v24, s[42:43]
	v_add_co_u32_e64 v4, s[42:43], v9, v4
	v_addc_co_u32_e64 v5, s[42:43], v8, v5, s[42:43]
	v_or_b32_e32 v8, v20, v13
	v_and_b32_e32 v13, 1, v8
	v_mov_b32_e32 v9, v5
	v_mov_b32_e32 v8, v4
; %bb.189:
	s_or_b64 exec, exec, s[44:45]
	s_nop 0
	v_mov_b32_dpp v20, v8 row_bcast:31 row_mask:0xf bank_mask:0xf
	v_mov_b32_dpp v9, v9 row_bcast:31 row_mask:0xf bank_mask:0xf
	;; [unrolled: 1-line block ×3, first 2 shown]
	v_cmp_lt_u32_e64 s[42:43], 31, v12
	s_and_saveexec_b64 s[44:45], s[42:43]
; %bb.190:
	v_cmp_eq_u32_e64 s[42:43], 0, v13
	v_cndmask_b32_e64 v20, 0, v20, s[42:43]
	v_cndmask_b32_e64 v9, 0, v9, s[42:43]
	v_add_co_u32_e64 v4, s[42:43], v20, v4
	v_or_b32_e32 v8, v8, v13
	v_addc_co_u32_e64 v5, s[42:43], v9, v5, s[42:43]
	v_and_b32_e32 v13, 1, v8
; %bb.191:
	s_or_b64 exec, exec, s[44:45]
	v_cmp_eq_u32_e64 s[42:43], 63, v0
	s_and_saveexec_b64 s[44:45], s[42:43]
	s_cbranch_execz .LBB104_193
; %bb.192:
	v_mov_b32_e32 v8, 0
	ds_write_b64 v8, v[4:5]
	ds_write_b8 v8, v13 offset:8
.LBB104_193:
	s_or_b64 exec, exec, s[44:45]
	v_add_u32_e32 v8, -1, v12
	v_and_b32_e32 v9, 64, v12
	v_cmp_lt_i32_e64 s[42:43], v8, v9
	v_cndmask_b32_e64 v8, v8, v12, s[42:43]
	v_lshlrev_b32_e32 v8, 2, v8
	ds_bpermute_b32 v4, v8, v4
	ds_bpermute_b32 v5, v8, v5
	s_waitcnt lgkmcnt(0)
	; wave barrier
	s_waitcnt lgkmcnt(0)
	s_and_saveexec_b64 s[42:43], s[2:3]
	s_cbranch_execz .LBB104_195
; %bb.194:
	v_mov_b32_e32 v8, 0
	v_cmp_eq_u16_sdwa s[2:3], v1, v8 src0_sel:BYTE_0 src1_sel:DWORD
	v_cndmask_b32_e64 v4, 0, v4, s[2:3]
	v_cndmask_b32_e64 v1, 0, v5, s[2:3]
	v_add_co_u32_e64 v2, s[2:3], v4, v2
	v_addc_co_u32_e64 v3, s[2:3], v1, v3, s[2:3]
	v_cndmask_b32_e64 v4, 0, v2, s[4:5]
	v_cndmask_b32_e64 v1, 0, v3, s[4:5]
	v_add_co_u32_e64 v40, s[2:3], v4, v14
	v_addc_co_u32_e64 v41, s[2:3], v1, v15, s[2:3]
	;; [unrolled: 4-line block ×19, first 2 shown]
	;;#ASMSTART
	;;#ASMEND
.LBB104_195:
	s_or_b64 exec, exec, s[42:43]
	s_and_saveexec_b64 s[2:3], vcc
	s_cbranch_execz .LBB104_197
; %bb.196:
	v_mov_b32_e32 v1, 0
	ds_read_b64 v[4:5], v1
	ds_read_u8 v6, v1 offset:8
	v_mov_b32_e32 v7, 2
	s_waitcnt lgkmcnt(1)
	global_store_dwordx2 v1, v[4:5], s[50:51] offset:1024
	s_waitcnt lgkmcnt(0)
	global_store_byte v1, v6, s[50:51] offset:1032
	s_waitcnt vmcnt(0)
	buffer_wbinvl1_vol
	global_store_byte v1, v7, s[52:53] offset:64
.LBB104_197:
	s_or_b64 exec, exec, s[2:3]
	v_pk_mov_b32 v[102:103], v[2:3], v[2:3] op_sel:[0,1]
.LBB104_198:
	s_add_u32 s2, s46, s64
	s_addc_u32 s3, s47, s65
	s_add_u32 s4, s2, s60
	s_addc_u32 s5, s3, s61
	s_and_b64 vcc, exec, s[0:1]
	s_cbranch_vccz .LBB104_236
; %bb.199:
	s_movk_i32 s0, 0x98
	v_mul_i32_i24_e32 v43, 0xffffff70, v0
	v_mul_u32_u24_e32 v42, 0x98, v0
	v_mad_u32_u24 v2, v0, s0, v43
	s_waitcnt lgkmcnt(0)
	; wave barrier
	ds_write2_b64 v42, v[102:103], v[40:41] offset1:1
	ds_write2_b64 v42, v[72:73], v[44:45] offset0:2 offset1:3
	ds_write2_b64 v42, v[76:77], v[48:49] offset0:4 offset1:5
	;; [unrolled: 1-line block ×8, first 2 shown]
	ds_write_b64 v42, v[108:109] offset:144
	s_waitcnt lgkmcnt(0)
	; wave barrier
	s_waitcnt lgkmcnt(0)
	ds_read2st64_b64 v[34:37], v2 offset0:1 offset1:2
	ds_read2st64_b64 v[30:33], v2 offset0:3 offset1:4
	;; [unrolled: 1-line block ×9, first 2 shown]
	v_mov_b32_e32 v39, s5
	v_add_co_u32_e32 v38, vcc, s4, v127
	s_add_i32 s33, s33, s54
	v_addc_co_u32_e32 v39, vcc, 0, v39, vcc
	v_mov_b32_e32 v1, 0
	v_cmp_gt_u32_e32 vcc, s33, v0
	s_and_saveexec_b64 s[0:1], vcc
	s_cbranch_execz .LBB104_201
; %bb.200:
	v_add_u32_e32 v42, v42, v43
	ds_read_b64 v[42:43], v42
	s_waitcnt lgkmcnt(0)
	flat_store_dwordx2 v[38:39], v[42:43]
.LBB104_201:
	s_or_b64 exec, exec, s[0:1]
	v_or_b32_e32 v42, 64, v0
	v_cmp_gt_u32_e32 vcc, s33, v42
	s_and_saveexec_b64 s[0:1], vcc
	s_cbranch_execz .LBB104_203
; %bb.202:
	s_waitcnt lgkmcnt(0)
	flat_store_dwordx2 v[38:39], v[34:35] offset:512
.LBB104_203:
	s_or_b64 exec, exec, s[0:1]
	s_waitcnt lgkmcnt(0)
	v_or_b32_e32 v34, 0x80, v0
	v_cmp_gt_u32_e32 vcc, s33, v34
	s_and_saveexec_b64 s[0:1], vcc
	s_cbranch_execz .LBB104_205
; %bb.204:
	flat_store_dwordx2 v[38:39], v[36:37] offset:1024
.LBB104_205:
	s_or_b64 exec, exec, s[0:1]
	v_or_b32_e32 v34, 0xc0, v0
	v_cmp_gt_u32_e32 vcc, s33, v34
	s_and_saveexec_b64 s[0:1], vcc
	s_cbranch_execz .LBB104_207
; %bb.206:
	flat_store_dwordx2 v[38:39], v[30:31] offset:1536
.LBB104_207:
	s_or_b64 exec, exec, s[0:1]
	;; [unrolled: 8-line block ×6, first 2 shown]
	v_or_b32_e32 v22, 0x200, v0
	v_cmp_gt_u32_e32 vcc, s33, v22
	s_and_saveexec_b64 s[0:1], vcc
	s_cbranch_execz .LBB104_217
; %bb.216:
	v_add_co_u32_e32 v22, vcc, 0x1000, v38
	v_addc_co_u32_e32 v23, vcc, 0, v39, vcc
	flat_store_dwordx2 v[22:23], v[24:25]
.LBB104_217:
	s_or_b64 exec, exec, s[0:1]
	v_or_b32_e32 v22, 0x240, v0
	v_cmp_gt_u32_e32 vcc, s33, v22
	s_and_saveexec_b64 s[0:1], vcc
	s_cbranch_execz .LBB104_219
; %bb.218:
	v_add_co_u32_e32 v22, vcc, 0x1000, v38
	v_addc_co_u32_e32 v23, vcc, 0, v39, vcc
	flat_store_dwordx2 v[22:23], v[18:19] offset:512
.LBB104_219:
	s_or_b64 exec, exec, s[0:1]
	v_or_b32_e32 v18, 0x280, v0
	v_cmp_gt_u32_e32 vcc, s33, v18
	s_and_saveexec_b64 s[0:1], vcc
	s_cbranch_execz .LBB104_221
; %bb.220:
	v_add_co_u32_e32 v18, vcc, 0x1000, v38
	v_addc_co_u32_e32 v19, vcc, 0, v39, vcc
	flat_store_dwordx2 v[18:19], v[20:21] offset:1024
.LBB104_221:
	;; [unrolled: 10-line block ×7, first 2 shown]
	s_or_b64 exec, exec, s[0:1]
	v_or_b32_e32 v6, 0x400, v0
	v_cmp_gt_u32_e32 vcc, s33, v6
	s_and_saveexec_b64 s[0:1], vcc
	s_cbranch_execz .LBB104_233
; %bb.232:
	v_add_co_u32_e32 v6, vcc, 0x2000, v38
	v_addc_co_u32_e32 v7, vcc, 0, v39, vcc
	flat_store_dwordx2 v[6:7], v[8:9]
.LBB104_233:
	s_or_b64 exec, exec, s[0:1]
	v_or_b32_e32 v6, 0x440, v0
	v_cmp_gt_u32_e32 vcc, s33, v6
	s_and_saveexec_b64 s[0:1], vcc
	s_cbranch_execz .LBB104_235
; %bb.234:
	v_add_co_u32_e32 v6, vcc, 0x2000, v38
	v_addc_co_u32_e32 v7, vcc, 0, v39, vcc
	flat_store_dwordx2 v[6:7], v[2:3] offset:512
.LBB104_235:
	s_or_b64 exec, exec, s[0:1]
	v_or_b32_e32 v2, 0x480, v0
	v_cmp_gt_u32_e64 s[0:1], s33, v2
	s_branch .LBB104_238
.LBB104_236:
	s_mov_b64 s[0:1], 0
                                        ; implicit-def: $vgpr4_vgpr5
	s_cbranch_execz .LBB104_238
; %bb.237:
	s_movk_i32 s2, 0x98
	v_mul_i32_i24_e32 v2, 0xffffff70, v0
	v_mul_u32_u24_e32 v1, 0x98, v0
	v_mad_u32_u24 v2, v0, s2, v2
	s_waitcnt lgkmcnt(0)
	; wave barrier
	s_waitcnt lgkmcnt(0)
	ds_write2_b64 v1, v[102:103], v[40:41] offset1:1
	ds_write2_b64 v1, v[72:73], v[44:45] offset0:2 offset1:3
	ds_write2_b64 v1, v[76:77], v[48:49] offset0:4 offset1:5
	;; [unrolled: 1-line block ×8, first 2 shown]
	ds_write_b64 v1, v[108:109] offset:144
	s_waitcnt lgkmcnt(0)
	; wave barrier
	s_waitcnt lgkmcnt(0)
	ds_read2st64_b64 v[6:9], v2 offset1:1
	ds_read2st64_b64 v[10:13], v2 offset0:2 offset1:3
	ds_read2st64_b64 v[14:17], v2 offset0:4 offset1:5
	;; [unrolled: 1-line block ×8, first 2 shown]
	ds_read_b64 v[4:5], v2 offset:9216
	v_mov_b32_e32 v3, s5
	v_add_co_u32_e32 v2, vcc, s4, v127
	v_addc_co_u32_e32 v3, vcc, 0, v3, vcc
	s_movk_i32 s2, 0x1000
	s_waitcnt lgkmcnt(0)
	flat_store_dwordx2 v[2:3], v[6:7]
	flat_store_dwordx2 v[2:3], v[8:9] offset:512
	flat_store_dwordx2 v[2:3], v[10:11] offset:1024
	;; [unrolled: 1-line block ×7, first 2 shown]
	v_add_co_u32_e32 v6, vcc, s2, v2
	v_addc_co_u32_e32 v7, vcc, 0, v3, vcc
	v_add_co_u32_e32 v2, vcc, 0x2000, v2
	v_mov_b32_e32 v1, 0
	v_addc_co_u32_e32 v3, vcc, 0, v3, vcc
	s_or_b64 s[0:1], s[0:1], exec
	flat_store_dwordx2 v[6:7], v[22:23]
	flat_store_dwordx2 v[6:7], v[24:25] offset:512
	flat_store_dwordx2 v[6:7], v[26:27] offset:1024
	;; [unrolled: 1-line block ×7, first 2 shown]
	flat_store_dwordx2 v[2:3], v[38:39]
	flat_store_dwordx2 v[2:3], v[40:41] offset:512
.LBB104_238:
	s_and_saveexec_b64 s[2:3], s[0:1]
	s_cbranch_execnz .LBB104_240
; %bb.239:
	s_endpgm
.LBB104_240:
	v_lshlrev_b64 v[0:1], 3, v[0:1]
	v_mov_b32_e32 v2, s5
	v_add_co_u32_e32 v0, vcc, s4, v0
	v_addc_co_u32_e32 v1, vcc, v2, v1, vcc
	v_add_co_u32_e32 v0, vcc, 0x2000, v0
	v_addc_co_u32_e32 v1, vcc, 0, v1, vcc
	flat_store_dwordx2 v[0:1], v[4:5] offset:1024
	s_endpgm
.LBB104_241:
	v_mov_b32_e32 v3, s55
	v_add_co_u32_e32 v2, vcc, s7, v50
	v_addc_co_u32_e32 v3, vcc, 0, v3, vcc
	flat_load_dwordx2 v[2:3], v[2:3]
	s_or_b64 exec, exec, s[56:57]
                                        ; implicit-def: $vgpr6_vgpr7
	s_and_saveexec_b64 s[2:3], s[4:5]
	s_cbranch_execz .LBB104_47
.LBB104_242:
	v_mov_b32_e32 v7, s55
	v_add_co_u32_e32 v6, vcc, s7, v50
	v_addc_co_u32_e32 v7, vcc, 0, v7, vcc
	flat_load_dwordx2 v[6:7], v[6:7] offset:512
	s_or_b64 exec, exec, s[2:3]
                                        ; implicit-def: $vgpr10_vgpr11
	s_and_saveexec_b64 s[2:3], s[42:43]
	s_cbranch_execz .LBB104_48
.LBB104_243:
	v_mov_b32_e32 v11, s55
	v_add_co_u32_e32 v10, vcc, s7, v50
	v_addc_co_u32_e32 v11, vcc, 0, v11, vcc
	flat_load_dwordx2 v[10:11], v[10:11] offset:1024
	s_or_b64 exec, exec, s[2:3]
                                        ; implicit-def: $vgpr12_vgpr13
	s_and_saveexec_b64 s[2:3], s[8:9]
	s_cbranch_execz .LBB104_49
.LBB104_244:
	v_mov_b32_e32 v13, s55
	v_add_co_u32_e32 v12, vcc, s7, v50
	v_addc_co_u32_e32 v13, vcc, 0, v13, vcc
	flat_load_dwordx2 v[12:13], v[12:13] offset:1536
	s_or_b64 exec, exec, s[2:3]
                                        ; implicit-def: $vgpr14_vgpr15
	s_and_saveexec_b64 s[2:3], s[10:11]
	s_cbranch_execz .LBB104_50
.LBB104_245:
	v_mov_b32_e32 v15, s55
	v_add_co_u32_e32 v14, vcc, s7, v50
	v_addc_co_u32_e32 v15, vcc, 0, v15, vcc
	flat_load_dwordx2 v[14:15], v[14:15] offset:2048
	s_or_b64 exec, exec, s[2:3]
                                        ; implicit-def: $vgpr16_vgpr17
	s_and_saveexec_b64 s[2:3], s[12:13]
	s_cbranch_execz .LBB104_51
.LBB104_246:
	v_mov_b32_e32 v17, s55
	v_add_co_u32_e32 v16, vcc, s7, v50
	v_addc_co_u32_e32 v17, vcc, 0, v17, vcc
	flat_load_dwordx2 v[16:17], v[16:17] offset:2560
	s_or_b64 exec, exec, s[2:3]
                                        ; implicit-def: $vgpr18_vgpr19
	s_and_saveexec_b64 s[2:3], s[14:15]
	s_cbranch_execz .LBB104_52
.LBB104_247:
	v_mov_b32_e32 v19, s55
	v_add_co_u32_e32 v18, vcc, s7, v50
	v_addc_co_u32_e32 v19, vcc, 0, v19, vcc
	flat_load_dwordx2 v[18:19], v[18:19] offset:3072
	s_or_b64 exec, exec, s[2:3]
                                        ; implicit-def: $vgpr20_vgpr21
	s_and_saveexec_b64 s[2:3], s[16:17]
	s_cbranch_execz .LBB104_53
.LBB104_248:
	v_mov_b32_e32 v21, s55
	v_add_co_u32_e32 v20, vcc, s7, v50
	v_addc_co_u32_e32 v21, vcc, 0, v21, vcc
	flat_load_dwordx2 v[20:21], v[20:21] offset:3584
	s_or_b64 exec, exec, s[2:3]
                                        ; implicit-def: $vgpr22_vgpr23
	s_and_saveexec_b64 s[2:3], s[18:19]
	s_cbranch_execz .LBB104_54
.LBB104_249:
	v_lshlrev_b32_e32 v1, 3, v1
	v_mov_b32_e32 v23, s55
	v_add_co_u32_e32 v22, vcc, s7, v1
	v_addc_co_u32_e32 v23, vcc, 0, v23, vcc
	flat_load_dwordx2 v[22:23], v[22:23]
	s_or_b64 exec, exec, s[2:3]
                                        ; implicit-def: $vgpr24_vgpr25
	s_and_saveexec_b64 s[2:3], s[20:21]
	s_cbranch_execz .LBB104_55
.LBB104_250:
	v_lshlrev_b32_e32 v1, 3, v40
	v_mov_b32_e32 v25, s55
	v_add_co_u32_e32 v24, vcc, s7, v1
	v_addc_co_u32_e32 v25, vcc, 0, v25, vcc
	flat_load_dwordx2 v[24:25], v[24:25]
	s_or_b64 exec, exec, s[2:3]
                                        ; implicit-def: $vgpr26_vgpr27
	s_and_saveexec_b64 s[2:3], s[22:23]
	s_cbranch_execz .LBB104_56
.LBB104_251:
	v_lshlrev_b32_e32 v1, 3, v41
	v_mov_b32_e32 v27, s55
	v_add_co_u32_e32 v26, vcc, s7, v1
	v_addc_co_u32_e32 v27, vcc, 0, v27, vcc
	flat_load_dwordx2 v[26:27], v[26:27]
	s_or_b64 exec, exec, s[2:3]
                                        ; implicit-def: $vgpr28_vgpr29
	s_and_saveexec_b64 s[2:3], s[24:25]
	s_cbranch_execz .LBB104_57
.LBB104_252:
	v_lshlrev_b32_e32 v1, 3, v42
	v_mov_b32_e32 v29, s55
	v_add_co_u32_e32 v28, vcc, s7, v1
	v_addc_co_u32_e32 v29, vcc, 0, v29, vcc
	flat_load_dwordx2 v[28:29], v[28:29]
	s_or_b64 exec, exec, s[2:3]
                                        ; implicit-def: $vgpr30_vgpr31
	s_and_saveexec_b64 s[2:3], s[26:27]
	s_cbranch_execz .LBB104_58
.LBB104_253:
	v_lshlrev_b32_e32 v1, 3, v43
	v_mov_b32_e32 v31, s55
	v_add_co_u32_e32 v30, vcc, s7, v1
	v_addc_co_u32_e32 v31, vcc, 0, v31, vcc
	flat_load_dwordx2 v[30:31], v[30:31]
	s_or_b64 exec, exec, s[2:3]
                                        ; implicit-def: $vgpr32_vgpr33
	s_and_saveexec_b64 s[2:3], s[28:29]
	s_cbranch_execz .LBB104_59
.LBB104_254:
	v_lshlrev_b32_e32 v1, 3, v44
	v_mov_b32_e32 v33, s55
	v_add_co_u32_e32 v32, vcc, s7, v1
	v_addc_co_u32_e32 v33, vcc, 0, v33, vcc
	flat_load_dwordx2 v[32:33], v[32:33]
	s_or_b64 exec, exec, s[2:3]
                                        ; implicit-def: $vgpr34_vgpr35
	s_and_saveexec_b64 s[2:3], s[30:31]
	s_cbranch_execz .LBB104_60
.LBB104_255:
	v_lshlrev_b32_e32 v1, 3, v45
	v_mov_b32_e32 v35, s55
	v_add_co_u32_e32 v34, vcc, s7, v1
	v_addc_co_u32_e32 v35, vcc, 0, v35, vcc
	flat_load_dwordx2 v[34:35], v[34:35]
	s_or_b64 exec, exec, s[2:3]
                                        ; implicit-def: $vgpr36_vgpr37
	s_and_saveexec_b64 s[2:3], s[34:35]
	s_cbranch_execz .LBB104_61
.LBB104_256:
	v_lshlrev_b32_e32 v1, 3, v46
	v_mov_b32_e32 v37, s55
	v_add_co_u32_e32 v36, vcc, s7, v1
	v_addc_co_u32_e32 v37, vcc, 0, v37, vcc
	flat_load_dwordx2 v[36:37], v[36:37]
	s_or_b64 exec, exec, s[2:3]
                                        ; implicit-def: $vgpr38_vgpr39
	s_and_saveexec_b64 s[2:3], s[36:37]
	s_cbranch_execz .LBB104_62
.LBB104_257:
	v_lshlrev_b32_e32 v1, 3, v47
	v_mov_b32_e32 v39, s55
	v_add_co_u32_e32 v38, vcc, s7, v1
	v_addc_co_u32_e32 v39, vcc, 0, v39, vcc
	flat_load_dwordx2 v[38:39], v[38:39]
	s_or_b64 exec, exec, s[2:3]
                                        ; implicit-def: $vgpr40_vgpr41
	s_and_saveexec_b64 s[2:3], s[38:39]
	s_cbranch_execz .LBB104_63
.LBB104_258:
	v_lshlrev_b32_e32 v1, 3, v49
	v_mov_b32_e32 v41, s55
	v_add_co_u32_e32 v40, vcc, s7, v1
	v_addc_co_u32_e32 v41, vcc, 0, v41, vcc
	flat_load_dwordx2 v[40:41], v[40:41]
	s_or_b64 exec, exec, s[2:3]
                                        ; implicit-def: $vgpr42_vgpr43
	s_and_saveexec_b64 s[2:3], s[40:41]
	s_cbranch_execnz .LBB104_64
	s_branch .LBB104_65
.LBB104_259:
                                        ; implicit-def: $sgpr56_sgpr57
	s_branch .LBB104_42
.LBB104_260:
                                        ; implicit-def: $sgpr2_sgpr3
	s_branch .LBB104_106
	.section	.rodata,"a",@progbits
	.p2align	6, 0x0
	.amdhsa_kernel _ZN7rocprim17ROCPRIM_400000_NS6detail17trampoline_kernelINS0_14default_configENS1_27scan_by_key_config_selectorIxxEEZZNS1_16scan_by_key_implILNS1_25lookback_scan_determinismE0ELb0ES3_N6thrust23THRUST_200600_302600_NS6detail15normal_iteratorINS9_10device_ptrIxEEEESE_SE_xNS9_4plusIvEENS9_8equal_toIxEExEE10hipError_tPvRmT2_T3_T4_T5_mT6_T7_P12ihipStream_tbENKUlT_T0_E_clISt17integral_constantIbLb1EESY_IbLb0EEEEDaSU_SV_EUlSU_E_NS1_11comp_targetILNS1_3genE4ELNS1_11target_archE910ELNS1_3gpuE8ELNS1_3repE0EEENS1_30default_config_static_selectorELNS0_4arch9wavefront6targetE1EEEvT1_
		.amdhsa_group_segment_fixed_size 10752
		.amdhsa_private_segment_fixed_size 0
		.amdhsa_kernarg_size 136
		.amdhsa_user_sgpr_count 6
		.amdhsa_user_sgpr_private_segment_buffer 1
		.amdhsa_user_sgpr_dispatch_ptr 0
		.amdhsa_user_sgpr_queue_ptr 0
		.amdhsa_user_sgpr_kernarg_segment_ptr 1
		.amdhsa_user_sgpr_dispatch_id 0
		.amdhsa_user_sgpr_flat_scratch_init 0
		.amdhsa_user_sgpr_kernarg_preload_length 0
		.amdhsa_user_sgpr_kernarg_preload_offset 0
		.amdhsa_user_sgpr_private_segment_size 0
		.amdhsa_uses_dynamic_stack 0
		.amdhsa_system_sgpr_private_segment_wavefront_offset 0
		.amdhsa_system_sgpr_workgroup_id_x 1
		.amdhsa_system_sgpr_workgroup_id_y 0
		.amdhsa_system_sgpr_workgroup_id_z 0
		.amdhsa_system_sgpr_workgroup_info 0
		.amdhsa_system_vgpr_workitem_id 0
		.amdhsa_next_free_vgpr 128
		.amdhsa_next_free_sgpr 78
		.amdhsa_accum_offset 128
		.amdhsa_reserve_vcc 1
		.amdhsa_reserve_flat_scratch 0
		.amdhsa_float_round_mode_32 0
		.amdhsa_float_round_mode_16_64 0
		.amdhsa_float_denorm_mode_32 3
		.amdhsa_float_denorm_mode_16_64 3
		.amdhsa_dx10_clamp 1
		.amdhsa_ieee_mode 1
		.amdhsa_fp16_overflow 0
		.amdhsa_tg_split 0
		.amdhsa_exception_fp_ieee_invalid_op 0
		.amdhsa_exception_fp_denorm_src 0
		.amdhsa_exception_fp_ieee_div_zero 0
		.amdhsa_exception_fp_ieee_overflow 0
		.amdhsa_exception_fp_ieee_underflow 0
		.amdhsa_exception_fp_ieee_inexact 0
		.amdhsa_exception_int_div_zero 0
	.end_amdhsa_kernel
	.section	.text._ZN7rocprim17ROCPRIM_400000_NS6detail17trampoline_kernelINS0_14default_configENS1_27scan_by_key_config_selectorIxxEEZZNS1_16scan_by_key_implILNS1_25lookback_scan_determinismE0ELb0ES3_N6thrust23THRUST_200600_302600_NS6detail15normal_iteratorINS9_10device_ptrIxEEEESE_SE_xNS9_4plusIvEENS9_8equal_toIxEExEE10hipError_tPvRmT2_T3_T4_T5_mT6_T7_P12ihipStream_tbENKUlT_T0_E_clISt17integral_constantIbLb1EESY_IbLb0EEEEDaSU_SV_EUlSU_E_NS1_11comp_targetILNS1_3genE4ELNS1_11target_archE910ELNS1_3gpuE8ELNS1_3repE0EEENS1_30default_config_static_selectorELNS0_4arch9wavefront6targetE1EEEvT1_,"axG",@progbits,_ZN7rocprim17ROCPRIM_400000_NS6detail17trampoline_kernelINS0_14default_configENS1_27scan_by_key_config_selectorIxxEEZZNS1_16scan_by_key_implILNS1_25lookback_scan_determinismE0ELb0ES3_N6thrust23THRUST_200600_302600_NS6detail15normal_iteratorINS9_10device_ptrIxEEEESE_SE_xNS9_4plusIvEENS9_8equal_toIxEExEE10hipError_tPvRmT2_T3_T4_T5_mT6_T7_P12ihipStream_tbENKUlT_T0_E_clISt17integral_constantIbLb1EESY_IbLb0EEEEDaSU_SV_EUlSU_E_NS1_11comp_targetILNS1_3genE4ELNS1_11target_archE910ELNS1_3gpuE8ELNS1_3repE0EEENS1_30default_config_static_selectorELNS0_4arch9wavefront6targetE1EEEvT1_,comdat
.Lfunc_end104:
	.size	_ZN7rocprim17ROCPRIM_400000_NS6detail17trampoline_kernelINS0_14default_configENS1_27scan_by_key_config_selectorIxxEEZZNS1_16scan_by_key_implILNS1_25lookback_scan_determinismE0ELb0ES3_N6thrust23THRUST_200600_302600_NS6detail15normal_iteratorINS9_10device_ptrIxEEEESE_SE_xNS9_4plusIvEENS9_8equal_toIxEExEE10hipError_tPvRmT2_T3_T4_T5_mT6_T7_P12ihipStream_tbENKUlT_T0_E_clISt17integral_constantIbLb1EESY_IbLb0EEEEDaSU_SV_EUlSU_E_NS1_11comp_targetILNS1_3genE4ELNS1_11target_archE910ELNS1_3gpuE8ELNS1_3repE0EEENS1_30default_config_static_selectorELNS0_4arch9wavefront6targetE1EEEvT1_, .Lfunc_end104-_ZN7rocprim17ROCPRIM_400000_NS6detail17trampoline_kernelINS0_14default_configENS1_27scan_by_key_config_selectorIxxEEZZNS1_16scan_by_key_implILNS1_25lookback_scan_determinismE0ELb0ES3_N6thrust23THRUST_200600_302600_NS6detail15normal_iteratorINS9_10device_ptrIxEEEESE_SE_xNS9_4plusIvEENS9_8equal_toIxEExEE10hipError_tPvRmT2_T3_T4_T5_mT6_T7_P12ihipStream_tbENKUlT_T0_E_clISt17integral_constantIbLb1EESY_IbLb0EEEEDaSU_SV_EUlSU_E_NS1_11comp_targetILNS1_3genE4ELNS1_11target_archE910ELNS1_3gpuE8ELNS1_3repE0EEENS1_30default_config_static_selectorELNS0_4arch9wavefront6targetE1EEEvT1_
                                        ; -- End function
	.section	.AMDGPU.csdata,"",@progbits
; Kernel info:
; codeLenInByte = 15048
; NumSgprs: 82
; NumVgprs: 128
; NumAgprs: 0
; TotalNumVgprs: 128
; ScratchSize: 0
; MemoryBound: 0
; FloatMode: 240
; IeeeMode: 1
; LDSByteSize: 10752 bytes/workgroup (compile time only)
; SGPRBlocks: 10
; VGPRBlocks: 15
; NumSGPRsForWavesPerEU: 82
; NumVGPRsForWavesPerEU: 128
; AccumOffset: 128
; Occupancy: 2
; WaveLimiterHint : 1
; COMPUTE_PGM_RSRC2:SCRATCH_EN: 0
; COMPUTE_PGM_RSRC2:USER_SGPR: 6
; COMPUTE_PGM_RSRC2:TRAP_HANDLER: 0
; COMPUTE_PGM_RSRC2:TGID_X_EN: 1
; COMPUTE_PGM_RSRC2:TGID_Y_EN: 0
; COMPUTE_PGM_RSRC2:TGID_Z_EN: 0
; COMPUTE_PGM_RSRC2:TIDIG_COMP_CNT: 0
; COMPUTE_PGM_RSRC3_GFX90A:ACCUM_OFFSET: 31
; COMPUTE_PGM_RSRC3_GFX90A:TG_SPLIT: 0
	.section	.text._ZN7rocprim17ROCPRIM_400000_NS6detail17trampoline_kernelINS0_14default_configENS1_27scan_by_key_config_selectorIxxEEZZNS1_16scan_by_key_implILNS1_25lookback_scan_determinismE0ELb0ES3_N6thrust23THRUST_200600_302600_NS6detail15normal_iteratorINS9_10device_ptrIxEEEESE_SE_xNS9_4plusIvEENS9_8equal_toIxEExEE10hipError_tPvRmT2_T3_T4_T5_mT6_T7_P12ihipStream_tbENKUlT_T0_E_clISt17integral_constantIbLb1EESY_IbLb0EEEEDaSU_SV_EUlSU_E_NS1_11comp_targetILNS1_3genE3ELNS1_11target_archE908ELNS1_3gpuE7ELNS1_3repE0EEENS1_30default_config_static_selectorELNS0_4arch9wavefront6targetE1EEEvT1_,"axG",@progbits,_ZN7rocprim17ROCPRIM_400000_NS6detail17trampoline_kernelINS0_14default_configENS1_27scan_by_key_config_selectorIxxEEZZNS1_16scan_by_key_implILNS1_25lookback_scan_determinismE0ELb0ES3_N6thrust23THRUST_200600_302600_NS6detail15normal_iteratorINS9_10device_ptrIxEEEESE_SE_xNS9_4plusIvEENS9_8equal_toIxEExEE10hipError_tPvRmT2_T3_T4_T5_mT6_T7_P12ihipStream_tbENKUlT_T0_E_clISt17integral_constantIbLb1EESY_IbLb0EEEEDaSU_SV_EUlSU_E_NS1_11comp_targetILNS1_3genE3ELNS1_11target_archE908ELNS1_3gpuE7ELNS1_3repE0EEENS1_30default_config_static_selectorELNS0_4arch9wavefront6targetE1EEEvT1_,comdat
	.protected	_ZN7rocprim17ROCPRIM_400000_NS6detail17trampoline_kernelINS0_14default_configENS1_27scan_by_key_config_selectorIxxEEZZNS1_16scan_by_key_implILNS1_25lookback_scan_determinismE0ELb0ES3_N6thrust23THRUST_200600_302600_NS6detail15normal_iteratorINS9_10device_ptrIxEEEESE_SE_xNS9_4plusIvEENS9_8equal_toIxEExEE10hipError_tPvRmT2_T3_T4_T5_mT6_T7_P12ihipStream_tbENKUlT_T0_E_clISt17integral_constantIbLb1EESY_IbLb0EEEEDaSU_SV_EUlSU_E_NS1_11comp_targetILNS1_3genE3ELNS1_11target_archE908ELNS1_3gpuE7ELNS1_3repE0EEENS1_30default_config_static_selectorELNS0_4arch9wavefront6targetE1EEEvT1_ ; -- Begin function _ZN7rocprim17ROCPRIM_400000_NS6detail17trampoline_kernelINS0_14default_configENS1_27scan_by_key_config_selectorIxxEEZZNS1_16scan_by_key_implILNS1_25lookback_scan_determinismE0ELb0ES3_N6thrust23THRUST_200600_302600_NS6detail15normal_iteratorINS9_10device_ptrIxEEEESE_SE_xNS9_4plusIvEENS9_8equal_toIxEExEE10hipError_tPvRmT2_T3_T4_T5_mT6_T7_P12ihipStream_tbENKUlT_T0_E_clISt17integral_constantIbLb1EESY_IbLb0EEEEDaSU_SV_EUlSU_E_NS1_11comp_targetILNS1_3genE3ELNS1_11target_archE908ELNS1_3gpuE7ELNS1_3repE0EEENS1_30default_config_static_selectorELNS0_4arch9wavefront6targetE1EEEvT1_
	.globl	_ZN7rocprim17ROCPRIM_400000_NS6detail17trampoline_kernelINS0_14default_configENS1_27scan_by_key_config_selectorIxxEEZZNS1_16scan_by_key_implILNS1_25lookback_scan_determinismE0ELb0ES3_N6thrust23THRUST_200600_302600_NS6detail15normal_iteratorINS9_10device_ptrIxEEEESE_SE_xNS9_4plusIvEENS9_8equal_toIxEExEE10hipError_tPvRmT2_T3_T4_T5_mT6_T7_P12ihipStream_tbENKUlT_T0_E_clISt17integral_constantIbLb1EESY_IbLb0EEEEDaSU_SV_EUlSU_E_NS1_11comp_targetILNS1_3genE3ELNS1_11target_archE908ELNS1_3gpuE7ELNS1_3repE0EEENS1_30default_config_static_selectorELNS0_4arch9wavefront6targetE1EEEvT1_
	.p2align	8
	.type	_ZN7rocprim17ROCPRIM_400000_NS6detail17trampoline_kernelINS0_14default_configENS1_27scan_by_key_config_selectorIxxEEZZNS1_16scan_by_key_implILNS1_25lookback_scan_determinismE0ELb0ES3_N6thrust23THRUST_200600_302600_NS6detail15normal_iteratorINS9_10device_ptrIxEEEESE_SE_xNS9_4plusIvEENS9_8equal_toIxEExEE10hipError_tPvRmT2_T3_T4_T5_mT6_T7_P12ihipStream_tbENKUlT_T0_E_clISt17integral_constantIbLb1EESY_IbLb0EEEEDaSU_SV_EUlSU_E_NS1_11comp_targetILNS1_3genE3ELNS1_11target_archE908ELNS1_3gpuE7ELNS1_3repE0EEENS1_30default_config_static_selectorELNS0_4arch9wavefront6targetE1EEEvT1_,@function
_ZN7rocprim17ROCPRIM_400000_NS6detail17trampoline_kernelINS0_14default_configENS1_27scan_by_key_config_selectorIxxEEZZNS1_16scan_by_key_implILNS1_25lookback_scan_determinismE0ELb0ES3_N6thrust23THRUST_200600_302600_NS6detail15normal_iteratorINS9_10device_ptrIxEEEESE_SE_xNS9_4plusIvEENS9_8equal_toIxEExEE10hipError_tPvRmT2_T3_T4_T5_mT6_T7_P12ihipStream_tbENKUlT_T0_E_clISt17integral_constantIbLb1EESY_IbLb0EEEEDaSU_SV_EUlSU_E_NS1_11comp_targetILNS1_3genE3ELNS1_11target_archE908ELNS1_3gpuE7ELNS1_3repE0EEENS1_30default_config_static_selectorELNS0_4arch9wavefront6targetE1EEEvT1_: ; @_ZN7rocprim17ROCPRIM_400000_NS6detail17trampoline_kernelINS0_14default_configENS1_27scan_by_key_config_selectorIxxEEZZNS1_16scan_by_key_implILNS1_25lookback_scan_determinismE0ELb0ES3_N6thrust23THRUST_200600_302600_NS6detail15normal_iteratorINS9_10device_ptrIxEEEESE_SE_xNS9_4plusIvEENS9_8equal_toIxEExEE10hipError_tPvRmT2_T3_T4_T5_mT6_T7_P12ihipStream_tbENKUlT_T0_E_clISt17integral_constantIbLb1EESY_IbLb0EEEEDaSU_SV_EUlSU_E_NS1_11comp_targetILNS1_3genE3ELNS1_11target_archE908ELNS1_3gpuE7ELNS1_3repE0EEENS1_30default_config_static_selectorELNS0_4arch9wavefront6targetE1EEEvT1_
; %bb.0:
	.section	.rodata,"a",@progbits
	.p2align	6, 0x0
	.amdhsa_kernel _ZN7rocprim17ROCPRIM_400000_NS6detail17trampoline_kernelINS0_14default_configENS1_27scan_by_key_config_selectorIxxEEZZNS1_16scan_by_key_implILNS1_25lookback_scan_determinismE0ELb0ES3_N6thrust23THRUST_200600_302600_NS6detail15normal_iteratorINS9_10device_ptrIxEEEESE_SE_xNS9_4plusIvEENS9_8equal_toIxEExEE10hipError_tPvRmT2_T3_T4_T5_mT6_T7_P12ihipStream_tbENKUlT_T0_E_clISt17integral_constantIbLb1EESY_IbLb0EEEEDaSU_SV_EUlSU_E_NS1_11comp_targetILNS1_3genE3ELNS1_11target_archE908ELNS1_3gpuE7ELNS1_3repE0EEENS1_30default_config_static_selectorELNS0_4arch9wavefront6targetE1EEEvT1_
		.amdhsa_group_segment_fixed_size 0
		.amdhsa_private_segment_fixed_size 0
		.amdhsa_kernarg_size 136
		.amdhsa_user_sgpr_count 6
		.amdhsa_user_sgpr_private_segment_buffer 1
		.amdhsa_user_sgpr_dispatch_ptr 0
		.amdhsa_user_sgpr_queue_ptr 0
		.amdhsa_user_sgpr_kernarg_segment_ptr 1
		.amdhsa_user_sgpr_dispatch_id 0
		.amdhsa_user_sgpr_flat_scratch_init 0
		.amdhsa_user_sgpr_kernarg_preload_length 0
		.amdhsa_user_sgpr_kernarg_preload_offset 0
		.amdhsa_user_sgpr_private_segment_size 0
		.amdhsa_uses_dynamic_stack 0
		.amdhsa_system_sgpr_private_segment_wavefront_offset 0
		.amdhsa_system_sgpr_workgroup_id_x 1
		.amdhsa_system_sgpr_workgroup_id_y 0
		.amdhsa_system_sgpr_workgroup_id_z 0
		.amdhsa_system_sgpr_workgroup_info 0
		.amdhsa_system_vgpr_workitem_id 0
		.amdhsa_next_free_vgpr 1
		.amdhsa_next_free_sgpr 0
		.amdhsa_accum_offset 4
		.amdhsa_reserve_vcc 0
		.amdhsa_reserve_flat_scratch 0
		.amdhsa_float_round_mode_32 0
		.amdhsa_float_round_mode_16_64 0
		.amdhsa_float_denorm_mode_32 3
		.amdhsa_float_denorm_mode_16_64 3
		.amdhsa_dx10_clamp 1
		.amdhsa_ieee_mode 1
		.amdhsa_fp16_overflow 0
		.amdhsa_tg_split 0
		.amdhsa_exception_fp_ieee_invalid_op 0
		.amdhsa_exception_fp_denorm_src 0
		.amdhsa_exception_fp_ieee_div_zero 0
		.amdhsa_exception_fp_ieee_overflow 0
		.amdhsa_exception_fp_ieee_underflow 0
		.amdhsa_exception_fp_ieee_inexact 0
		.amdhsa_exception_int_div_zero 0
	.end_amdhsa_kernel
	.section	.text._ZN7rocprim17ROCPRIM_400000_NS6detail17trampoline_kernelINS0_14default_configENS1_27scan_by_key_config_selectorIxxEEZZNS1_16scan_by_key_implILNS1_25lookback_scan_determinismE0ELb0ES3_N6thrust23THRUST_200600_302600_NS6detail15normal_iteratorINS9_10device_ptrIxEEEESE_SE_xNS9_4plusIvEENS9_8equal_toIxEExEE10hipError_tPvRmT2_T3_T4_T5_mT6_T7_P12ihipStream_tbENKUlT_T0_E_clISt17integral_constantIbLb1EESY_IbLb0EEEEDaSU_SV_EUlSU_E_NS1_11comp_targetILNS1_3genE3ELNS1_11target_archE908ELNS1_3gpuE7ELNS1_3repE0EEENS1_30default_config_static_selectorELNS0_4arch9wavefront6targetE1EEEvT1_,"axG",@progbits,_ZN7rocprim17ROCPRIM_400000_NS6detail17trampoline_kernelINS0_14default_configENS1_27scan_by_key_config_selectorIxxEEZZNS1_16scan_by_key_implILNS1_25lookback_scan_determinismE0ELb0ES3_N6thrust23THRUST_200600_302600_NS6detail15normal_iteratorINS9_10device_ptrIxEEEESE_SE_xNS9_4plusIvEENS9_8equal_toIxEExEE10hipError_tPvRmT2_T3_T4_T5_mT6_T7_P12ihipStream_tbENKUlT_T0_E_clISt17integral_constantIbLb1EESY_IbLb0EEEEDaSU_SV_EUlSU_E_NS1_11comp_targetILNS1_3genE3ELNS1_11target_archE908ELNS1_3gpuE7ELNS1_3repE0EEENS1_30default_config_static_selectorELNS0_4arch9wavefront6targetE1EEEvT1_,comdat
.Lfunc_end105:
	.size	_ZN7rocprim17ROCPRIM_400000_NS6detail17trampoline_kernelINS0_14default_configENS1_27scan_by_key_config_selectorIxxEEZZNS1_16scan_by_key_implILNS1_25lookback_scan_determinismE0ELb0ES3_N6thrust23THRUST_200600_302600_NS6detail15normal_iteratorINS9_10device_ptrIxEEEESE_SE_xNS9_4plusIvEENS9_8equal_toIxEExEE10hipError_tPvRmT2_T3_T4_T5_mT6_T7_P12ihipStream_tbENKUlT_T0_E_clISt17integral_constantIbLb1EESY_IbLb0EEEEDaSU_SV_EUlSU_E_NS1_11comp_targetILNS1_3genE3ELNS1_11target_archE908ELNS1_3gpuE7ELNS1_3repE0EEENS1_30default_config_static_selectorELNS0_4arch9wavefront6targetE1EEEvT1_, .Lfunc_end105-_ZN7rocprim17ROCPRIM_400000_NS6detail17trampoline_kernelINS0_14default_configENS1_27scan_by_key_config_selectorIxxEEZZNS1_16scan_by_key_implILNS1_25lookback_scan_determinismE0ELb0ES3_N6thrust23THRUST_200600_302600_NS6detail15normal_iteratorINS9_10device_ptrIxEEEESE_SE_xNS9_4plusIvEENS9_8equal_toIxEExEE10hipError_tPvRmT2_T3_T4_T5_mT6_T7_P12ihipStream_tbENKUlT_T0_E_clISt17integral_constantIbLb1EESY_IbLb0EEEEDaSU_SV_EUlSU_E_NS1_11comp_targetILNS1_3genE3ELNS1_11target_archE908ELNS1_3gpuE7ELNS1_3repE0EEENS1_30default_config_static_selectorELNS0_4arch9wavefront6targetE1EEEvT1_
                                        ; -- End function
	.section	.AMDGPU.csdata,"",@progbits
; Kernel info:
; codeLenInByte = 0
; NumSgprs: 4
; NumVgprs: 0
; NumAgprs: 0
; TotalNumVgprs: 0
; ScratchSize: 0
; MemoryBound: 0
; FloatMode: 240
; IeeeMode: 1
; LDSByteSize: 0 bytes/workgroup (compile time only)
; SGPRBlocks: 0
; VGPRBlocks: 0
; NumSGPRsForWavesPerEU: 4
; NumVGPRsForWavesPerEU: 1
; AccumOffset: 4
; Occupancy: 8
; WaveLimiterHint : 0
; COMPUTE_PGM_RSRC2:SCRATCH_EN: 0
; COMPUTE_PGM_RSRC2:USER_SGPR: 6
; COMPUTE_PGM_RSRC2:TRAP_HANDLER: 0
; COMPUTE_PGM_RSRC2:TGID_X_EN: 1
; COMPUTE_PGM_RSRC2:TGID_Y_EN: 0
; COMPUTE_PGM_RSRC2:TGID_Z_EN: 0
; COMPUTE_PGM_RSRC2:TIDIG_COMP_CNT: 0
; COMPUTE_PGM_RSRC3_GFX90A:ACCUM_OFFSET: 0
; COMPUTE_PGM_RSRC3_GFX90A:TG_SPLIT: 0
	.section	.text._ZN7rocprim17ROCPRIM_400000_NS6detail17trampoline_kernelINS0_14default_configENS1_27scan_by_key_config_selectorIxxEEZZNS1_16scan_by_key_implILNS1_25lookback_scan_determinismE0ELb0ES3_N6thrust23THRUST_200600_302600_NS6detail15normal_iteratorINS9_10device_ptrIxEEEESE_SE_xNS9_4plusIvEENS9_8equal_toIxEExEE10hipError_tPvRmT2_T3_T4_T5_mT6_T7_P12ihipStream_tbENKUlT_T0_E_clISt17integral_constantIbLb1EESY_IbLb0EEEEDaSU_SV_EUlSU_E_NS1_11comp_targetILNS1_3genE2ELNS1_11target_archE906ELNS1_3gpuE6ELNS1_3repE0EEENS1_30default_config_static_selectorELNS0_4arch9wavefront6targetE1EEEvT1_,"axG",@progbits,_ZN7rocprim17ROCPRIM_400000_NS6detail17trampoline_kernelINS0_14default_configENS1_27scan_by_key_config_selectorIxxEEZZNS1_16scan_by_key_implILNS1_25lookback_scan_determinismE0ELb0ES3_N6thrust23THRUST_200600_302600_NS6detail15normal_iteratorINS9_10device_ptrIxEEEESE_SE_xNS9_4plusIvEENS9_8equal_toIxEExEE10hipError_tPvRmT2_T3_T4_T5_mT6_T7_P12ihipStream_tbENKUlT_T0_E_clISt17integral_constantIbLb1EESY_IbLb0EEEEDaSU_SV_EUlSU_E_NS1_11comp_targetILNS1_3genE2ELNS1_11target_archE906ELNS1_3gpuE6ELNS1_3repE0EEENS1_30default_config_static_selectorELNS0_4arch9wavefront6targetE1EEEvT1_,comdat
	.protected	_ZN7rocprim17ROCPRIM_400000_NS6detail17trampoline_kernelINS0_14default_configENS1_27scan_by_key_config_selectorIxxEEZZNS1_16scan_by_key_implILNS1_25lookback_scan_determinismE0ELb0ES3_N6thrust23THRUST_200600_302600_NS6detail15normal_iteratorINS9_10device_ptrIxEEEESE_SE_xNS9_4plusIvEENS9_8equal_toIxEExEE10hipError_tPvRmT2_T3_T4_T5_mT6_T7_P12ihipStream_tbENKUlT_T0_E_clISt17integral_constantIbLb1EESY_IbLb0EEEEDaSU_SV_EUlSU_E_NS1_11comp_targetILNS1_3genE2ELNS1_11target_archE906ELNS1_3gpuE6ELNS1_3repE0EEENS1_30default_config_static_selectorELNS0_4arch9wavefront6targetE1EEEvT1_ ; -- Begin function _ZN7rocprim17ROCPRIM_400000_NS6detail17trampoline_kernelINS0_14default_configENS1_27scan_by_key_config_selectorIxxEEZZNS1_16scan_by_key_implILNS1_25lookback_scan_determinismE0ELb0ES3_N6thrust23THRUST_200600_302600_NS6detail15normal_iteratorINS9_10device_ptrIxEEEESE_SE_xNS9_4plusIvEENS9_8equal_toIxEExEE10hipError_tPvRmT2_T3_T4_T5_mT6_T7_P12ihipStream_tbENKUlT_T0_E_clISt17integral_constantIbLb1EESY_IbLb0EEEEDaSU_SV_EUlSU_E_NS1_11comp_targetILNS1_3genE2ELNS1_11target_archE906ELNS1_3gpuE6ELNS1_3repE0EEENS1_30default_config_static_selectorELNS0_4arch9wavefront6targetE1EEEvT1_
	.globl	_ZN7rocprim17ROCPRIM_400000_NS6detail17trampoline_kernelINS0_14default_configENS1_27scan_by_key_config_selectorIxxEEZZNS1_16scan_by_key_implILNS1_25lookback_scan_determinismE0ELb0ES3_N6thrust23THRUST_200600_302600_NS6detail15normal_iteratorINS9_10device_ptrIxEEEESE_SE_xNS9_4plusIvEENS9_8equal_toIxEExEE10hipError_tPvRmT2_T3_T4_T5_mT6_T7_P12ihipStream_tbENKUlT_T0_E_clISt17integral_constantIbLb1EESY_IbLb0EEEEDaSU_SV_EUlSU_E_NS1_11comp_targetILNS1_3genE2ELNS1_11target_archE906ELNS1_3gpuE6ELNS1_3repE0EEENS1_30default_config_static_selectorELNS0_4arch9wavefront6targetE1EEEvT1_
	.p2align	8
	.type	_ZN7rocprim17ROCPRIM_400000_NS6detail17trampoline_kernelINS0_14default_configENS1_27scan_by_key_config_selectorIxxEEZZNS1_16scan_by_key_implILNS1_25lookback_scan_determinismE0ELb0ES3_N6thrust23THRUST_200600_302600_NS6detail15normal_iteratorINS9_10device_ptrIxEEEESE_SE_xNS9_4plusIvEENS9_8equal_toIxEExEE10hipError_tPvRmT2_T3_T4_T5_mT6_T7_P12ihipStream_tbENKUlT_T0_E_clISt17integral_constantIbLb1EESY_IbLb0EEEEDaSU_SV_EUlSU_E_NS1_11comp_targetILNS1_3genE2ELNS1_11target_archE906ELNS1_3gpuE6ELNS1_3repE0EEENS1_30default_config_static_selectorELNS0_4arch9wavefront6targetE1EEEvT1_,@function
_ZN7rocprim17ROCPRIM_400000_NS6detail17trampoline_kernelINS0_14default_configENS1_27scan_by_key_config_selectorIxxEEZZNS1_16scan_by_key_implILNS1_25lookback_scan_determinismE0ELb0ES3_N6thrust23THRUST_200600_302600_NS6detail15normal_iteratorINS9_10device_ptrIxEEEESE_SE_xNS9_4plusIvEENS9_8equal_toIxEExEE10hipError_tPvRmT2_T3_T4_T5_mT6_T7_P12ihipStream_tbENKUlT_T0_E_clISt17integral_constantIbLb1EESY_IbLb0EEEEDaSU_SV_EUlSU_E_NS1_11comp_targetILNS1_3genE2ELNS1_11target_archE906ELNS1_3gpuE6ELNS1_3repE0EEENS1_30default_config_static_selectorELNS0_4arch9wavefront6targetE1EEEvT1_: ; @_ZN7rocprim17ROCPRIM_400000_NS6detail17trampoline_kernelINS0_14default_configENS1_27scan_by_key_config_selectorIxxEEZZNS1_16scan_by_key_implILNS1_25lookback_scan_determinismE0ELb0ES3_N6thrust23THRUST_200600_302600_NS6detail15normal_iteratorINS9_10device_ptrIxEEEESE_SE_xNS9_4plusIvEENS9_8equal_toIxEExEE10hipError_tPvRmT2_T3_T4_T5_mT6_T7_P12ihipStream_tbENKUlT_T0_E_clISt17integral_constantIbLb1EESY_IbLb0EEEEDaSU_SV_EUlSU_E_NS1_11comp_targetILNS1_3genE2ELNS1_11target_archE906ELNS1_3gpuE6ELNS1_3repE0EEENS1_30default_config_static_selectorELNS0_4arch9wavefront6targetE1EEEvT1_
; %bb.0:
	.section	.rodata,"a",@progbits
	.p2align	6, 0x0
	.amdhsa_kernel _ZN7rocprim17ROCPRIM_400000_NS6detail17trampoline_kernelINS0_14default_configENS1_27scan_by_key_config_selectorIxxEEZZNS1_16scan_by_key_implILNS1_25lookback_scan_determinismE0ELb0ES3_N6thrust23THRUST_200600_302600_NS6detail15normal_iteratorINS9_10device_ptrIxEEEESE_SE_xNS9_4plusIvEENS9_8equal_toIxEExEE10hipError_tPvRmT2_T3_T4_T5_mT6_T7_P12ihipStream_tbENKUlT_T0_E_clISt17integral_constantIbLb1EESY_IbLb0EEEEDaSU_SV_EUlSU_E_NS1_11comp_targetILNS1_3genE2ELNS1_11target_archE906ELNS1_3gpuE6ELNS1_3repE0EEENS1_30default_config_static_selectorELNS0_4arch9wavefront6targetE1EEEvT1_
		.amdhsa_group_segment_fixed_size 0
		.amdhsa_private_segment_fixed_size 0
		.amdhsa_kernarg_size 136
		.amdhsa_user_sgpr_count 6
		.amdhsa_user_sgpr_private_segment_buffer 1
		.amdhsa_user_sgpr_dispatch_ptr 0
		.amdhsa_user_sgpr_queue_ptr 0
		.amdhsa_user_sgpr_kernarg_segment_ptr 1
		.amdhsa_user_sgpr_dispatch_id 0
		.amdhsa_user_sgpr_flat_scratch_init 0
		.amdhsa_user_sgpr_kernarg_preload_length 0
		.amdhsa_user_sgpr_kernarg_preload_offset 0
		.amdhsa_user_sgpr_private_segment_size 0
		.amdhsa_uses_dynamic_stack 0
		.amdhsa_system_sgpr_private_segment_wavefront_offset 0
		.amdhsa_system_sgpr_workgroup_id_x 1
		.amdhsa_system_sgpr_workgroup_id_y 0
		.amdhsa_system_sgpr_workgroup_id_z 0
		.amdhsa_system_sgpr_workgroup_info 0
		.amdhsa_system_vgpr_workitem_id 0
		.amdhsa_next_free_vgpr 1
		.amdhsa_next_free_sgpr 0
		.amdhsa_accum_offset 4
		.amdhsa_reserve_vcc 0
		.amdhsa_reserve_flat_scratch 0
		.amdhsa_float_round_mode_32 0
		.amdhsa_float_round_mode_16_64 0
		.amdhsa_float_denorm_mode_32 3
		.amdhsa_float_denorm_mode_16_64 3
		.amdhsa_dx10_clamp 1
		.amdhsa_ieee_mode 1
		.amdhsa_fp16_overflow 0
		.amdhsa_tg_split 0
		.amdhsa_exception_fp_ieee_invalid_op 0
		.amdhsa_exception_fp_denorm_src 0
		.amdhsa_exception_fp_ieee_div_zero 0
		.amdhsa_exception_fp_ieee_overflow 0
		.amdhsa_exception_fp_ieee_underflow 0
		.amdhsa_exception_fp_ieee_inexact 0
		.amdhsa_exception_int_div_zero 0
	.end_amdhsa_kernel
	.section	.text._ZN7rocprim17ROCPRIM_400000_NS6detail17trampoline_kernelINS0_14default_configENS1_27scan_by_key_config_selectorIxxEEZZNS1_16scan_by_key_implILNS1_25lookback_scan_determinismE0ELb0ES3_N6thrust23THRUST_200600_302600_NS6detail15normal_iteratorINS9_10device_ptrIxEEEESE_SE_xNS9_4plusIvEENS9_8equal_toIxEExEE10hipError_tPvRmT2_T3_T4_T5_mT6_T7_P12ihipStream_tbENKUlT_T0_E_clISt17integral_constantIbLb1EESY_IbLb0EEEEDaSU_SV_EUlSU_E_NS1_11comp_targetILNS1_3genE2ELNS1_11target_archE906ELNS1_3gpuE6ELNS1_3repE0EEENS1_30default_config_static_selectorELNS0_4arch9wavefront6targetE1EEEvT1_,"axG",@progbits,_ZN7rocprim17ROCPRIM_400000_NS6detail17trampoline_kernelINS0_14default_configENS1_27scan_by_key_config_selectorIxxEEZZNS1_16scan_by_key_implILNS1_25lookback_scan_determinismE0ELb0ES3_N6thrust23THRUST_200600_302600_NS6detail15normal_iteratorINS9_10device_ptrIxEEEESE_SE_xNS9_4plusIvEENS9_8equal_toIxEExEE10hipError_tPvRmT2_T3_T4_T5_mT6_T7_P12ihipStream_tbENKUlT_T0_E_clISt17integral_constantIbLb1EESY_IbLb0EEEEDaSU_SV_EUlSU_E_NS1_11comp_targetILNS1_3genE2ELNS1_11target_archE906ELNS1_3gpuE6ELNS1_3repE0EEENS1_30default_config_static_selectorELNS0_4arch9wavefront6targetE1EEEvT1_,comdat
.Lfunc_end106:
	.size	_ZN7rocprim17ROCPRIM_400000_NS6detail17trampoline_kernelINS0_14default_configENS1_27scan_by_key_config_selectorIxxEEZZNS1_16scan_by_key_implILNS1_25lookback_scan_determinismE0ELb0ES3_N6thrust23THRUST_200600_302600_NS6detail15normal_iteratorINS9_10device_ptrIxEEEESE_SE_xNS9_4plusIvEENS9_8equal_toIxEExEE10hipError_tPvRmT2_T3_T4_T5_mT6_T7_P12ihipStream_tbENKUlT_T0_E_clISt17integral_constantIbLb1EESY_IbLb0EEEEDaSU_SV_EUlSU_E_NS1_11comp_targetILNS1_3genE2ELNS1_11target_archE906ELNS1_3gpuE6ELNS1_3repE0EEENS1_30default_config_static_selectorELNS0_4arch9wavefront6targetE1EEEvT1_, .Lfunc_end106-_ZN7rocprim17ROCPRIM_400000_NS6detail17trampoline_kernelINS0_14default_configENS1_27scan_by_key_config_selectorIxxEEZZNS1_16scan_by_key_implILNS1_25lookback_scan_determinismE0ELb0ES3_N6thrust23THRUST_200600_302600_NS6detail15normal_iteratorINS9_10device_ptrIxEEEESE_SE_xNS9_4plusIvEENS9_8equal_toIxEExEE10hipError_tPvRmT2_T3_T4_T5_mT6_T7_P12ihipStream_tbENKUlT_T0_E_clISt17integral_constantIbLb1EESY_IbLb0EEEEDaSU_SV_EUlSU_E_NS1_11comp_targetILNS1_3genE2ELNS1_11target_archE906ELNS1_3gpuE6ELNS1_3repE0EEENS1_30default_config_static_selectorELNS0_4arch9wavefront6targetE1EEEvT1_
                                        ; -- End function
	.section	.AMDGPU.csdata,"",@progbits
; Kernel info:
; codeLenInByte = 0
; NumSgprs: 4
; NumVgprs: 0
; NumAgprs: 0
; TotalNumVgprs: 0
; ScratchSize: 0
; MemoryBound: 0
; FloatMode: 240
; IeeeMode: 1
; LDSByteSize: 0 bytes/workgroup (compile time only)
; SGPRBlocks: 0
; VGPRBlocks: 0
; NumSGPRsForWavesPerEU: 4
; NumVGPRsForWavesPerEU: 1
; AccumOffset: 4
; Occupancy: 8
; WaveLimiterHint : 0
; COMPUTE_PGM_RSRC2:SCRATCH_EN: 0
; COMPUTE_PGM_RSRC2:USER_SGPR: 6
; COMPUTE_PGM_RSRC2:TRAP_HANDLER: 0
; COMPUTE_PGM_RSRC2:TGID_X_EN: 1
; COMPUTE_PGM_RSRC2:TGID_Y_EN: 0
; COMPUTE_PGM_RSRC2:TGID_Z_EN: 0
; COMPUTE_PGM_RSRC2:TIDIG_COMP_CNT: 0
; COMPUTE_PGM_RSRC3_GFX90A:ACCUM_OFFSET: 0
; COMPUTE_PGM_RSRC3_GFX90A:TG_SPLIT: 0
	.section	.text._ZN7rocprim17ROCPRIM_400000_NS6detail17trampoline_kernelINS0_14default_configENS1_27scan_by_key_config_selectorIxxEEZZNS1_16scan_by_key_implILNS1_25lookback_scan_determinismE0ELb0ES3_N6thrust23THRUST_200600_302600_NS6detail15normal_iteratorINS9_10device_ptrIxEEEESE_SE_xNS9_4plusIvEENS9_8equal_toIxEExEE10hipError_tPvRmT2_T3_T4_T5_mT6_T7_P12ihipStream_tbENKUlT_T0_E_clISt17integral_constantIbLb1EESY_IbLb0EEEEDaSU_SV_EUlSU_E_NS1_11comp_targetILNS1_3genE10ELNS1_11target_archE1200ELNS1_3gpuE4ELNS1_3repE0EEENS1_30default_config_static_selectorELNS0_4arch9wavefront6targetE1EEEvT1_,"axG",@progbits,_ZN7rocprim17ROCPRIM_400000_NS6detail17trampoline_kernelINS0_14default_configENS1_27scan_by_key_config_selectorIxxEEZZNS1_16scan_by_key_implILNS1_25lookback_scan_determinismE0ELb0ES3_N6thrust23THRUST_200600_302600_NS6detail15normal_iteratorINS9_10device_ptrIxEEEESE_SE_xNS9_4plusIvEENS9_8equal_toIxEExEE10hipError_tPvRmT2_T3_T4_T5_mT6_T7_P12ihipStream_tbENKUlT_T0_E_clISt17integral_constantIbLb1EESY_IbLb0EEEEDaSU_SV_EUlSU_E_NS1_11comp_targetILNS1_3genE10ELNS1_11target_archE1200ELNS1_3gpuE4ELNS1_3repE0EEENS1_30default_config_static_selectorELNS0_4arch9wavefront6targetE1EEEvT1_,comdat
	.protected	_ZN7rocprim17ROCPRIM_400000_NS6detail17trampoline_kernelINS0_14default_configENS1_27scan_by_key_config_selectorIxxEEZZNS1_16scan_by_key_implILNS1_25lookback_scan_determinismE0ELb0ES3_N6thrust23THRUST_200600_302600_NS6detail15normal_iteratorINS9_10device_ptrIxEEEESE_SE_xNS9_4plusIvEENS9_8equal_toIxEExEE10hipError_tPvRmT2_T3_T4_T5_mT6_T7_P12ihipStream_tbENKUlT_T0_E_clISt17integral_constantIbLb1EESY_IbLb0EEEEDaSU_SV_EUlSU_E_NS1_11comp_targetILNS1_3genE10ELNS1_11target_archE1200ELNS1_3gpuE4ELNS1_3repE0EEENS1_30default_config_static_selectorELNS0_4arch9wavefront6targetE1EEEvT1_ ; -- Begin function _ZN7rocprim17ROCPRIM_400000_NS6detail17trampoline_kernelINS0_14default_configENS1_27scan_by_key_config_selectorIxxEEZZNS1_16scan_by_key_implILNS1_25lookback_scan_determinismE0ELb0ES3_N6thrust23THRUST_200600_302600_NS6detail15normal_iteratorINS9_10device_ptrIxEEEESE_SE_xNS9_4plusIvEENS9_8equal_toIxEExEE10hipError_tPvRmT2_T3_T4_T5_mT6_T7_P12ihipStream_tbENKUlT_T0_E_clISt17integral_constantIbLb1EESY_IbLb0EEEEDaSU_SV_EUlSU_E_NS1_11comp_targetILNS1_3genE10ELNS1_11target_archE1200ELNS1_3gpuE4ELNS1_3repE0EEENS1_30default_config_static_selectorELNS0_4arch9wavefront6targetE1EEEvT1_
	.globl	_ZN7rocprim17ROCPRIM_400000_NS6detail17trampoline_kernelINS0_14default_configENS1_27scan_by_key_config_selectorIxxEEZZNS1_16scan_by_key_implILNS1_25lookback_scan_determinismE0ELb0ES3_N6thrust23THRUST_200600_302600_NS6detail15normal_iteratorINS9_10device_ptrIxEEEESE_SE_xNS9_4plusIvEENS9_8equal_toIxEExEE10hipError_tPvRmT2_T3_T4_T5_mT6_T7_P12ihipStream_tbENKUlT_T0_E_clISt17integral_constantIbLb1EESY_IbLb0EEEEDaSU_SV_EUlSU_E_NS1_11comp_targetILNS1_3genE10ELNS1_11target_archE1200ELNS1_3gpuE4ELNS1_3repE0EEENS1_30default_config_static_selectorELNS0_4arch9wavefront6targetE1EEEvT1_
	.p2align	8
	.type	_ZN7rocprim17ROCPRIM_400000_NS6detail17trampoline_kernelINS0_14default_configENS1_27scan_by_key_config_selectorIxxEEZZNS1_16scan_by_key_implILNS1_25lookback_scan_determinismE0ELb0ES3_N6thrust23THRUST_200600_302600_NS6detail15normal_iteratorINS9_10device_ptrIxEEEESE_SE_xNS9_4plusIvEENS9_8equal_toIxEExEE10hipError_tPvRmT2_T3_T4_T5_mT6_T7_P12ihipStream_tbENKUlT_T0_E_clISt17integral_constantIbLb1EESY_IbLb0EEEEDaSU_SV_EUlSU_E_NS1_11comp_targetILNS1_3genE10ELNS1_11target_archE1200ELNS1_3gpuE4ELNS1_3repE0EEENS1_30default_config_static_selectorELNS0_4arch9wavefront6targetE1EEEvT1_,@function
_ZN7rocprim17ROCPRIM_400000_NS6detail17trampoline_kernelINS0_14default_configENS1_27scan_by_key_config_selectorIxxEEZZNS1_16scan_by_key_implILNS1_25lookback_scan_determinismE0ELb0ES3_N6thrust23THRUST_200600_302600_NS6detail15normal_iteratorINS9_10device_ptrIxEEEESE_SE_xNS9_4plusIvEENS9_8equal_toIxEExEE10hipError_tPvRmT2_T3_T4_T5_mT6_T7_P12ihipStream_tbENKUlT_T0_E_clISt17integral_constantIbLb1EESY_IbLb0EEEEDaSU_SV_EUlSU_E_NS1_11comp_targetILNS1_3genE10ELNS1_11target_archE1200ELNS1_3gpuE4ELNS1_3repE0EEENS1_30default_config_static_selectorELNS0_4arch9wavefront6targetE1EEEvT1_: ; @_ZN7rocprim17ROCPRIM_400000_NS6detail17trampoline_kernelINS0_14default_configENS1_27scan_by_key_config_selectorIxxEEZZNS1_16scan_by_key_implILNS1_25lookback_scan_determinismE0ELb0ES3_N6thrust23THRUST_200600_302600_NS6detail15normal_iteratorINS9_10device_ptrIxEEEESE_SE_xNS9_4plusIvEENS9_8equal_toIxEExEE10hipError_tPvRmT2_T3_T4_T5_mT6_T7_P12ihipStream_tbENKUlT_T0_E_clISt17integral_constantIbLb1EESY_IbLb0EEEEDaSU_SV_EUlSU_E_NS1_11comp_targetILNS1_3genE10ELNS1_11target_archE1200ELNS1_3gpuE4ELNS1_3repE0EEENS1_30default_config_static_selectorELNS0_4arch9wavefront6targetE1EEEvT1_
; %bb.0:
	.section	.rodata,"a",@progbits
	.p2align	6, 0x0
	.amdhsa_kernel _ZN7rocprim17ROCPRIM_400000_NS6detail17trampoline_kernelINS0_14default_configENS1_27scan_by_key_config_selectorIxxEEZZNS1_16scan_by_key_implILNS1_25lookback_scan_determinismE0ELb0ES3_N6thrust23THRUST_200600_302600_NS6detail15normal_iteratorINS9_10device_ptrIxEEEESE_SE_xNS9_4plusIvEENS9_8equal_toIxEExEE10hipError_tPvRmT2_T3_T4_T5_mT6_T7_P12ihipStream_tbENKUlT_T0_E_clISt17integral_constantIbLb1EESY_IbLb0EEEEDaSU_SV_EUlSU_E_NS1_11comp_targetILNS1_3genE10ELNS1_11target_archE1200ELNS1_3gpuE4ELNS1_3repE0EEENS1_30default_config_static_selectorELNS0_4arch9wavefront6targetE1EEEvT1_
		.amdhsa_group_segment_fixed_size 0
		.amdhsa_private_segment_fixed_size 0
		.amdhsa_kernarg_size 136
		.amdhsa_user_sgpr_count 6
		.amdhsa_user_sgpr_private_segment_buffer 1
		.amdhsa_user_sgpr_dispatch_ptr 0
		.amdhsa_user_sgpr_queue_ptr 0
		.amdhsa_user_sgpr_kernarg_segment_ptr 1
		.amdhsa_user_sgpr_dispatch_id 0
		.amdhsa_user_sgpr_flat_scratch_init 0
		.amdhsa_user_sgpr_kernarg_preload_length 0
		.amdhsa_user_sgpr_kernarg_preload_offset 0
		.amdhsa_user_sgpr_private_segment_size 0
		.amdhsa_uses_dynamic_stack 0
		.amdhsa_system_sgpr_private_segment_wavefront_offset 0
		.amdhsa_system_sgpr_workgroup_id_x 1
		.amdhsa_system_sgpr_workgroup_id_y 0
		.amdhsa_system_sgpr_workgroup_id_z 0
		.amdhsa_system_sgpr_workgroup_info 0
		.amdhsa_system_vgpr_workitem_id 0
		.amdhsa_next_free_vgpr 1
		.amdhsa_next_free_sgpr 0
		.amdhsa_accum_offset 4
		.amdhsa_reserve_vcc 0
		.amdhsa_reserve_flat_scratch 0
		.amdhsa_float_round_mode_32 0
		.amdhsa_float_round_mode_16_64 0
		.amdhsa_float_denorm_mode_32 3
		.amdhsa_float_denorm_mode_16_64 3
		.amdhsa_dx10_clamp 1
		.amdhsa_ieee_mode 1
		.amdhsa_fp16_overflow 0
		.amdhsa_tg_split 0
		.amdhsa_exception_fp_ieee_invalid_op 0
		.amdhsa_exception_fp_denorm_src 0
		.amdhsa_exception_fp_ieee_div_zero 0
		.amdhsa_exception_fp_ieee_overflow 0
		.amdhsa_exception_fp_ieee_underflow 0
		.amdhsa_exception_fp_ieee_inexact 0
		.amdhsa_exception_int_div_zero 0
	.end_amdhsa_kernel
	.section	.text._ZN7rocprim17ROCPRIM_400000_NS6detail17trampoline_kernelINS0_14default_configENS1_27scan_by_key_config_selectorIxxEEZZNS1_16scan_by_key_implILNS1_25lookback_scan_determinismE0ELb0ES3_N6thrust23THRUST_200600_302600_NS6detail15normal_iteratorINS9_10device_ptrIxEEEESE_SE_xNS9_4plusIvEENS9_8equal_toIxEExEE10hipError_tPvRmT2_T3_T4_T5_mT6_T7_P12ihipStream_tbENKUlT_T0_E_clISt17integral_constantIbLb1EESY_IbLb0EEEEDaSU_SV_EUlSU_E_NS1_11comp_targetILNS1_3genE10ELNS1_11target_archE1200ELNS1_3gpuE4ELNS1_3repE0EEENS1_30default_config_static_selectorELNS0_4arch9wavefront6targetE1EEEvT1_,"axG",@progbits,_ZN7rocprim17ROCPRIM_400000_NS6detail17trampoline_kernelINS0_14default_configENS1_27scan_by_key_config_selectorIxxEEZZNS1_16scan_by_key_implILNS1_25lookback_scan_determinismE0ELb0ES3_N6thrust23THRUST_200600_302600_NS6detail15normal_iteratorINS9_10device_ptrIxEEEESE_SE_xNS9_4plusIvEENS9_8equal_toIxEExEE10hipError_tPvRmT2_T3_T4_T5_mT6_T7_P12ihipStream_tbENKUlT_T0_E_clISt17integral_constantIbLb1EESY_IbLb0EEEEDaSU_SV_EUlSU_E_NS1_11comp_targetILNS1_3genE10ELNS1_11target_archE1200ELNS1_3gpuE4ELNS1_3repE0EEENS1_30default_config_static_selectorELNS0_4arch9wavefront6targetE1EEEvT1_,comdat
.Lfunc_end107:
	.size	_ZN7rocprim17ROCPRIM_400000_NS6detail17trampoline_kernelINS0_14default_configENS1_27scan_by_key_config_selectorIxxEEZZNS1_16scan_by_key_implILNS1_25lookback_scan_determinismE0ELb0ES3_N6thrust23THRUST_200600_302600_NS6detail15normal_iteratorINS9_10device_ptrIxEEEESE_SE_xNS9_4plusIvEENS9_8equal_toIxEExEE10hipError_tPvRmT2_T3_T4_T5_mT6_T7_P12ihipStream_tbENKUlT_T0_E_clISt17integral_constantIbLb1EESY_IbLb0EEEEDaSU_SV_EUlSU_E_NS1_11comp_targetILNS1_3genE10ELNS1_11target_archE1200ELNS1_3gpuE4ELNS1_3repE0EEENS1_30default_config_static_selectorELNS0_4arch9wavefront6targetE1EEEvT1_, .Lfunc_end107-_ZN7rocprim17ROCPRIM_400000_NS6detail17trampoline_kernelINS0_14default_configENS1_27scan_by_key_config_selectorIxxEEZZNS1_16scan_by_key_implILNS1_25lookback_scan_determinismE0ELb0ES3_N6thrust23THRUST_200600_302600_NS6detail15normal_iteratorINS9_10device_ptrIxEEEESE_SE_xNS9_4plusIvEENS9_8equal_toIxEExEE10hipError_tPvRmT2_T3_T4_T5_mT6_T7_P12ihipStream_tbENKUlT_T0_E_clISt17integral_constantIbLb1EESY_IbLb0EEEEDaSU_SV_EUlSU_E_NS1_11comp_targetILNS1_3genE10ELNS1_11target_archE1200ELNS1_3gpuE4ELNS1_3repE0EEENS1_30default_config_static_selectorELNS0_4arch9wavefront6targetE1EEEvT1_
                                        ; -- End function
	.section	.AMDGPU.csdata,"",@progbits
; Kernel info:
; codeLenInByte = 0
; NumSgprs: 4
; NumVgprs: 0
; NumAgprs: 0
; TotalNumVgprs: 0
; ScratchSize: 0
; MemoryBound: 0
; FloatMode: 240
; IeeeMode: 1
; LDSByteSize: 0 bytes/workgroup (compile time only)
; SGPRBlocks: 0
; VGPRBlocks: 0
; NumSGPRsForWavesPerEU: 4
; NumVGPRsForWavesPerEU: 1
; AccumOffset: 4
; Occupancy: 8
; WaveLimiterHint : 0
; COMPUTE_PGM_RSRC2:SCRATCH_EN: 0
; COMPUTE_PGM_RSRC2:USER_SGPR: 6
; COMPUTE_PGM_RSRC2:TRAP_HANDLER: 0
; COMPUTE_PGM_RSRC2:TGID_X_EN: 1
; COMPUTE_PGM_RSRC2:TGID_Y_EN: 0
; COMPUTE_PGM_RSRC2:TGID_Z_EN: 0
; COMPUTE_PGM_RSRC2:TIDIG_COMP_CNT: 0
; COMPUTE_PGM_RSRC3_GFX90A:ACCUM_OFFSET: 0
; COMPUTE_PGM_RSRC3_GFX90A:TG_SPLIT: 0
	.section	.text._ZN7rocprim17ROCPRIM_400000_NS6detail17trampoline_kernelINS0_14default_configENS1_27scan_by_key_config_selectorIxxEEZZNS1_16scan_by_key_implILNS1_25lookback_scan_determinismE0ELb0ES3_N6thrust23THRUST_200600_302600_NS6detail15normal_iteratorINS9_10device_ptrIxEEEESE_SE_xNS9_4plusIvEENS9_8equal_toIxEExEE10hipError_tPvRmT2_T3_T4_T5_mT6_T7_P12ihipStream_tbENKUlT_T0_E_clISt17integral_constantIbLb1EESY_IbLb0EEEEDaSU_SV_EUlSU_E_NS1_11comp_targetILNS1_3genE9ELNS1_11target_archE1100ELNS1_3gpuE3ELNS1_3repE0EEENS1_30default_config_static_selectorELNS0_4arch9wavefront6targetE1EEEvT1_,"axG",@progbits,_ZN7rocprim17ROCPRIM_400000_NS6detail17trampoline_kernelINS0_14default_configENS1_27scan_by_key_config_selectorIxxEEZZNS1_16scan_by_key_implILNS1_25lookback_scan_determinismE0ELb0ES3_N6thrust23THRUST_200600_302600_NS6detail15normal_iteratorINS9_10device_ptrIxEEEESE_SE_xNS9_4plusIvEENS9_8equal_toIxEExEE10hipError_tPvRmT2_T3_T4_T5_mT6_T7_P12ihipStream_tbENKUlT_T0_E_clISt17integral_constantIbLb1EESY_IbLb0EEEEDaSU_SV_EUlSU_E_NS1_11comp_targetILNS1_3genE9ELNS1_11target_archE1100ELNS1_3gpuE3ELNS1_3repE0EEENS1_30default_config_static_selectorELNS0_4arch9wavefront6targetE1EEEvT1_,comdat
	.protected	_ZN7rocprim17ROCPRIM_400000_NS6detail17trampoline_kernelINS0_14default_configENS1_27scan_by_key_config_selectorIxxEEZZNS1_16scan_by_key_implILNS1_25lookback_scan_determinismE0ELb0ES3_N6thrust23THRUST_200600_302600_NS6detail15normal_iteratorINS9_10device_ptrIxEEEESE_SE_xNS9_4plusIvEENS9_8equal_toIxEExEE10hipError_tPvRmT2_T3_T4_T5_mT6_T7_P12ihipStream_tbENKUlT_T0_E_clISt17integral_constantIbLb1EESY_IbLb0EEEEDaSU_SV_EUlSU_E_NS1_11comp_targetILNS1_3genE9ELNS1_11target_archE1100ELNS1_3gpuE3ELNS1_3repE0EEENS1_30default_config_static_selectorELNS0_4arch9wavefront6targetE1EEEvT1_ ; -- Begin function _ZN7rocprim17ROCPRIM_400000_NS6detail17trampoline_kernelINS0_14default_configENS1_27scan_by_key_config_selectorIxxEEZZNS1_16scan_by_key_implILNS1_25lookback_scan_determinismE0ELb0ES3_N6thrust23THRUST_200600_302600_NS6detail15normal_iteratorINS9_10device_ptrIxEEEESE_SE_xNS9_4plusIvEENS9_8equal_toIxEExEE10hipError_tPvRmT2_T3_T4_T5_mT6_T7_P12ihipStream_tbENKUlT_T0_E_clISt17integral_constantIbLb1EESY_IbLb0EEEEDaSU_SV_EUlSU_E_NS1_11comp_targetILNS1_3genE9ELNS1_11target_archE1100ELNS1_3gpuE3ELNS1_3repE0EEENS1_30default_config_static_selectorELNS0_4arch9wavefront6targetE1EEEvT1_
	.globl	_ZN7rocprim17ROCPRIM_400000_NS6detail17trampoline_kernelINS0_14default_configENS1_27scan_by_key_config_selectorIxxEEZZNS1_16scan_by_key_implILNS1_25lookback_scan_determinismE0ELb0ES3_N6thrust23THRUST_200600_302600_NS6detail15normal_iteratorINS9_10device_ptrIxEEEESE_SE_xNS9_4plusIvEENS9_8equal_toIxEExEE10hipError_tPvRmT2_T3_T4_T5_mT6_T7_P12ihipStream_tbENKUlT_T0_E_clISt17integral_constantIbLb1EESY_IbLb0EEEEDaSU_SV_EUlSU_E_NS1_11comp_targetILNS1_3genE9ELNS1_11target_archE1100ELNS1_3gpuE3ELNS1_3repE0EEENS1_30default_config_static_selectorELNS0_4arch9wavefront6targetE1EEEvT1_
	.p2align	8
	.type	_ZN7rocprim17ROCPRIM_400000_NS6detail17trampoline_kernelINS0_14default_configENS1_27scan_by_key_config_selectorIxxEEZZNS1_16scan_by_key_implILNS1_25lookback_scan_determinismE0ELb0ES3_N6thrust23THRUST_200600_302600_NS6detail15normal_iteratorINS9_10device_ptrIxEEEESE_SE_xNS9_4plusIvEENS9_8equal_toIxEExEE10hipError_tPvRmT2_T3_T4_T5_mT6_T7_P12ihipStream_tbENKUlT_T0_E_clISt17integral_constantIbLb1EESY_IbLb0EEEEDaSU_SV_EUlSU_E_NS1_11comp_targetILNS1_3genE9ELNS1_11target_archE1100ELNS1_3gpuE3ELNS1_3repE0EEENS1_30default_config_static_selectorELNS0_4arch9wavefront6targetE1EEEvT1_,@function
_ZN7rocprim17ROCPRIM_400000_NS6detail17trampoline_kernelINS0_14default_configENS1_27scan_by_key_config_selectorIxxEEZZNS1_16scan_by_key_implILNS1_25lookback_scan_determinismE0ELb0ES3_N6thrust23THRUST_200600_302600_NS6detail15normal_iteratorINS9_10device_ptrIxEEEESE_SE_xNS9_4plusIvEENS9_8equal_toIxEExEE10hipError_tPvRmT2_T3_T4_T5_mT6_T7_P12ihipStream_tbENKUlT_T0_E_clISt17integral_constantIbLb1EESY_IbLb0EEEEDaSU_SV_EUlSU_E_NS1_11comp_targetILNS1_3genE9ELNS1_11target_archE1100ELNS1_3gpuE3ELNS1_3repE0EEENS1_30default_config_static_selectorELNS0_4arch9wavefront6targetE1EEEvT1_: ; @_ZN7rocprim17ROCPRIM_400000_NS6detail17trampoline_kernelINS0_14default_configENS1_27scan_by_key_config_selectorIxxEEZZNS1_16scan_by_key_implILNS1_25lookback_scan_determinismE0ELb0ES3_N6thrust23THRUST_200600_302600_NS6detail15normal_iteratorINS9_10device_ptrIxEEEESE_SE_xNS9_4plusIvEENS9_8equal_toIxEExEE10hipError_tPvRmT2_T3_T4_T5_mT6_T7_P12ihipStream_tbENKUlT_T0_E_clISt17integral_constantIbLb1EESY_IbLb0EEEEDaSU_SV_EUlSU_E_NS1_11comp_targetILNS1_3genE9ELNS1_11target_archE1100ELNS1_3gpuE3ELNS1_3repE0EEENS1_30default_config_static_selectorELNS0_4arch9wavefront6targetE1EEEvT1_
; %bb.0:
	.section	.rodata,"a",@progbits
	.p2align	6, 0x0
	.amdhsa_kernel _ZN7rocprim17ROCPRIM_400000_NS6detail17trampoline_kernelINS0_14default_configENS1_27scan_by_key_config_selectorIxxEEZZNS1_16scan_by_key_implILNS1_25lookback_scan_determinismE0ELb0ES3_N6thrust23THRUST_200600_302600_NS6detail15normal_iteratorINS9_10device_ptrIxEEEESE_SE_xNS9_4plusIvEENS9_8equal_toIxEExEE10hipError_tPvRmT2_T3_T4_T5_mT6_T7_P12ihipStream_tbENKUlT_T0_E_clISt17integral_constantIbLb1EESY_IbLb0EEEEDaSU_SV_EUlSU_E_NS1_11comp_targetILNS1_3genE9ELNS1_11target_archE1100ELNS1_3gpuE3ELNS1_3repE0EEENS1_30default_config_static_selectorELNS0_4arch9wavefront6targetE1EEEvT1_
		.amdhsa_group_segment_fixed_size 0
		.amdhsa_private_segment_fixed_size 0
		.amdhsa_kernarg_size 136
		.amdhsa_user_sgpr_count 6
		.amdhsa_user_sgpr_private_segment_buffer 1
		.amdhsa_user_sgpr_dispatch_ptr 0
		.amdhsa_user_sgpr_queue_ptr 0
		.amdhsa_user_sgpr_kernarg_segment_ptr 1
		.amdhsa_user_sgpr_dispatch_id 0
		.amdhsa_user_sgpr_flat_scratch_init 0
		.amdhsa_user_sgpr_kernarg_preload_length 0
		.amdhsa_user_sgpr_kernarg_preload_offset 0
		.amdhsa_user_sgpr_private_segment_size 0
		.amdhsa_uses_dynamic_stack 0
		.amdhsa_system_sgpr_private_segment_wavefront_offset 0
		.amdhsa_system_sgpr_workgroup_id_x 1
		.amdhsa_system_sgpr_workgroup_id_y 0
		.amdhsa_system_sgpr_workgroup_id_z 0
		.amdhsa_system_sgpr_workgroup_info 0
		.amdhsa_system_vgpr_workitem_id 0
		.amdhsa_next_free_vgpr 1
		.amdhsa_next_free_sgpr 0
		.amdhsa_accum_offset 4
		.amdhsa_reserve_vcc 0
		.amdhsa_reserve_flat_scratch 0
		.amdhsa_float_round_mode_32 0
		.amdhsa_float_round_mode_16_64 0
		.amdhsa_float_denorm_mode_32 3
		.amdhsa_float_denorm_mode_16_64 3
		.amdhsa_dx10_clamp 1
		.amdhsa_ieee_mode 1
		.amdhsa_fp16_overflow 0
		.amdhsa_tg_split 0
		.amdhsa_exception_fp_ieee_invalid_op 0
		.amdhsa_exception_fp_denorm_src 0
		.amdhsa_exception_fp_ieee_div_zero 0
		.amdhsa_exception_fp_ieee_overflow 0
		.amdhsa_exception_fp_ieee_underflow 0
		.amdhsa_exception_fp_ieee_inexact 0
		.amdhsa_exception_int_div_zero 0
	.end_amdhsa_kernel
	.section	.text._ZN7rocprim17ROCPRIM_400000_NS6detail17trampoline_kernelINS0_14default_configENS1_27scan_by_key_config_selectorIxxEEZZNS1_16scan_by_key_implILNS1_25lookback_scan_determinismE0ELb0ES3_N6thrust23THRUST_200600_302600_NS6detail15normal_iteratorINS9_10device_ptrIxEEEESE_SE_xNS9_4plusIvEENS9_8equal_toIxEExEE10hipError_tPvRmT2_T3_T4_T5_mT6_T7_P12ihipStream_tbENKUlT_T0_E_clISt17integral_constantIbLb1EESY_IbLb0EEEEDaSU_SV_EUlSU_E_NS1_11comp_targetILNS1_3genE9ELNS1_11target_archE1100ELNS1_3gpuE3ELNS1_3repE0EEENS1_30default_config_static_selectorELNS0_4arch9wavefront6targetE1EEEvT1_,"axG",@progbits,_ZN7rocprim17ROCPRIM_400000_NS6detail17trampoline_kernelINS0_14default_configENS1_27scan_by_key_config_selectorIxxEEZZNS1_16scan_by_key_implILNS1_25lookback_scan_determinismE0ELb0ES3_N6thrust23THRUST_200600_302600_NS6detail15normal_iteratorINS9_10device_ptrIxEEEESE_SE_xNS9_4plusIvEENS9_8equal_toIxEExEE10hipError_tPvRmT2_T3_T4_T5_mT6_T7_P12ihipStream_tbENKUlT_T0_E_clISt17integral_constantIbLb1EESY_IbLb0EEEEDaSU_SV_EUlSU_E_NS1_11comp_targetILNS1_3genE9ELNS1_11target_archE1100ELNS1_3gpuE3ELNS1_3repE0EEENS1_30default_config_static_selectorELNS0_4arch9wavefront6targetE1EEEvT1_,comdat
.Lfunc_end108:
	.size	_ZN7rocprim17ROCPRIM_400000_NS6detail17trampoline_kernelINS0_14default_configENS1_27scan_by_key_config_selectorIxxEEZZNS1_16scan_by_key_implILNS1_25lookback_scan_determinismE0ELb0ES3_N6thrust23THRUST_200600_302600_NS6detail15normal_iteratorINS9_10device_ptrIxEEEESE_SE_xNS9_4plusIvEENS9_8equal_toIxEExEE10hipError_tPvRmT2_T3_T4_T5_mT6_T7_P12ihipStream_tbENKUlT_T0_E_clISt17integral_constantIbLb1EESY_IbLb0EEEEDaSU_SV_EUlSU_E_NS1_11comp_targetILNS1_3genE9ELNS1_11target_archE1100ELNS1_3gpuE3ELNS1_3repE0EEENS1_30default_config_static_selectorELNS0_4arch9wavefront6targetE1EEEvT1_, .Lfunc_end108-_ZN7rocprim17ROCPRIM_400000_NS6detail17trampoline_kernelINS0_14default_configENS1_27scan_by_key_config_selectorIxxEEZZNS1_16scan_by_key_implILNS1_25lookback_scan_determinismE0ELb0ES3_N6thrust23THRUST_200600_302600_NS6detail15normal_iteratorINS9_10device_ptrIxEEEESE_SE_xNS9_4plusIvEENS9_8equal_toIxEExEE10hipError_tPvRmT2_T3_T4_T5_mT6_T7_P12ihipStream_tbENKUlT_T0_E_clISt17integral_constantIbLb1EESY_IbLb0EEEEDaSU_SV_EUlSU_E_NS1_11comp_targetILNS1_3genE9ELNS1_11target_archE1100ELNS1_3gpuE3ELNS1_3repE0EEENS1_30default_config_static_selectorELNS0_4arch9wavefront6targetE1EEEvT1_
                                        ; -- End function
	.section	.AMDGPU.csdata,"",@progbits
; Kernel info:
; codeLenInByte = 0
; NumSgprs: 4
; NumVgprs: 0
; NumAgprs: 0
; TotalNumVgprs: 0
; ScratchSize: 0
; MemoryBound: 0
; FloatMode: 240
; IeeeMode: 1
; LDSByteSize: 0 bytes/workgroup (compile time only)
; SGPRBlocks: 0
; VGPRBlocks: 0
; NumSGPRsForWavesPerEU: 4
; NumVGPRsForWavesPerEU: 1
; AccumOffset: 4
; Occupancy: 8
; WaveLimiterHint : 0
; COMPUTE_PGM_RSRC2:SCRATCH_EN: 0
; COMPUTE_PGM_RSRC2:USER_SGPR: 6
; COMPUTE_PGM_RSRC2:TRAP_HANDLER: 0
; COMPUTE_PGM_RSRC2:TGID_X_EN: 1
; COMPUTE_PGM_RSRC2:TGID_Y_EN: 0
; COMPUTE_PGM_RSRC2:TGID_Z_EN: 0
; COMPUTE_PGM_RSRC2:TIDIG_COMP_CNT: 0
; COMPUTE_PGM_RSRC3_GFX90A:ACCUM_OFFSET: 0
; COMPUTE_PGM_RSRC3_GFX90A:TG_SPLIT: 0
	.section	.text._ZN7rocprim17ROCPRIM_400000_NS6detail17trampoline_kernelINS0_14default_configENS1_27scan_by_key_config_selectorIxxEEZZNS1_16scan_by_key_implILNS1_25lookback_scan_determinismE0ELb0ES3_N6thrust23THRUST_200600_302600_NS6detail15normal_iteratorINS9_10device_ptrIxEEEESE_SE_xNS9_4plusIvEENS9_8equal_toIxEExEE10hipError_tPvRmT2_T3_T4_T5_mT6_T7_P12ihipStream_tbENKUlT_T0_E_clISt17integral_constantIbLb1EESY_IbLb0EEEEDaSU_SV_EUlSU_E_NS1_11comp_targetILNS1_3genE8ELNS1_11target_archE1030ELNS1_3gpuE2ELNS1_3repE0EEENS1_30default_config_static_selectorELNS0_4arch9wavefront6targetE1EEEvT1_,"axG",@progbits,_ZN7rocprim17ROCPRIM_400000_NS6detail17trampoline_kernelINS0_14default_configENS1_27scan_by_key_config_selectorIxxEEZZNS1_16scan_by_key_implILNS1_25lookback_scan_determinismE0ELb0ES3_N6thrust23THRUST_200600_302600_NS6detail15normal_iteratorINS9_10device_ptrIxEEEESE_SE_xNS9_4plusIvEENS9_8equal_toIxEExEE10hipError_tPvRmT2_T3_T4_T5_mT6_T7_P12ihipStream_tbENKUlT_T0_E_clISt17integral_constantIbLb1EESY_IbLb0EEEEDaSU_SV_EUlSU_E_NS1_11comp_targetILNS1_3genE8ELNS1_11target_archE1030ELNS1_3gpuE2ELNS1_3repE0EEENS1_30default_config_static_selectorELNS0_4arch9wavefront6targetE1EEEvT1_,comdat
	.protected	_ZN7rocprim17ROCPRIM_400000_NS6detail17trampoline_kernelINS0_14default_configENS1_27scan_by_key_config_selectorIxxEEZZNS1_16scan_by_key_implILNS1_25lookback_scan_determinismE0ELb0ES3_N6thrust23THRUST_200600_302600_NS6detail15normal_iteratorINS9_10device_ptrIxEEEESE_SE_xNS9_4plusIvEENS9_8equal_toIxEExEE10hipError_tPvRmT2_T3_T4_T5_mT6_T7_P12ihipStream_tbENKUlT_T0_E_clISt17integral_constantIbLb1EESY_IbLb0EEEEDaSU_SV_EUlSU_E_NS1_11comp_targetILNS1_3genE8ELNS1_11target_archE1030ELNS1_3gpuE2ELNS1_3repE0EEENS1_30default_config_static_selectorELNS0_4arch9wavefront6targetE1EEEvT1_ ; -- Begin function _ZN7rocprim17ROCPRIM_400000_NS6detail17trampoline_kernelINS0_14default_configENS1_27scan_by_key_config_selectorIxxEEZZNS1_16scan_by_key_implILNS1_25lookback_scan_determinismE0ELb0ES3_N6thrust23THRUST_200600_302600_NS6detail15normal_iteratorINS9_10device_ptrIxEEEESE_SE_xNS9_4plusIvEENS9_8equal_toIxEExEE10hipError_tPvRmT2_T3_T4_T5_mT6_T7_P12ihipStream_tbENKUlT_T0_E_clISt17integral_constantIbLb1EESY_IbLb0EEEEDaSU_SV_EUlSU_E_NS1_11comp_targetILNS1_3genE8ELNS1_11target_archE1030ELNS1_3gpuE2ELNS1_3repE0EEENS1_30default_config_static_selectorELNS0_4arch9wavefront6targetE1EEEvT1_
	.globl	_ZN7rocprim17ROCPRIM_400000_NS6detail17trampoline_kernelINS0_14default_configENS1_27scan_by_key_config_selectorIxxEEZZNS1_16scan_by_key_implILNS1_25lookback_scan_determinismE0ELb0ES3_N6thrust23THRUST_200600_302600_NS6detail15normal_iteratorINS9_10device_ptrIxEEEESE_SE_xNS9_4plusIvEENS9_8equal_toIxEExEE10hipError_tPvRmT2_T3_T4_T5_mT6_T7_P12ihipStream_tbENKUlT_T0_E_clISt17integral_constantIbLb1EESY_IbLb0EEEEDaSU_SV_EUlSU_E_NS1_11comp_targetILNS1_3genE8ELNS1_11target_archE1030ELNS1_3gpuE2ELNS1_3repE0EEENS1_30default_config_static_selectorELNS0_4arch9wavefront6targetE1EEEvT1_
	.p2align	8
	.type	_ZN7rocprim17ROCPRIM_400000_NS6detail17trampoline_kernelINS0_14default_configENS1_27scan_by_key_config_selectorIxxEEZZNS1_16scan_by_key_implILNS1_25lookback_scan_determinismE0ELb0ES3_N6thrust23THRUST_200600_302600_NS6detail15normal_iteratorINS9_10device_ptrIxEEEESE_SE_xNS9_4plusIvEENS9_8equal_toIxEExEE10hipError_tPvRmT2_T3_T4_T5_mT6_T7_P12ihipStream_tbENKUlT_T0_E_clISt17integral_constantIbLb1EESY_IbLb0EEEEDaSU_SV_EUlSU_E_NS1_11comp_targetILNS1_3genE8ELNS1_11target_archE1030ELNS1_3gpuE2ELNS1_3repE0EEENS1_30default_config_static_selectorELNS0_4arch9wavefront6targetE1EEEvT1_,@function
_ZN7rocprim17ROCPRIM_400000_NS6detail17trampoline_kernelINS0_14default_configENS1_27scan_by_key_config_selectorIxxEEZZNS1_16scan_by_key_implILNS1_25lookback_scan_determinismE0ELb0ES3_N6thrust23THRUST_200600_302600_NS6detail15normal_iteratorINS9_10device_ptrIxEEEESE_SE_xNS9_4plusIvEENS9_8equal_toIxEExEE10hipError_tPvRmT2_T3_T4_T5_mT6_T7_P12ihipStream_tbENKUlT_T0_E_clISt17integral_constantIbLb1EESY_IbLb0EEEEDaSU_SV_EUlSU_E_NS1_11comp_targetILNS1_3genE8ELNS1_11target_archE1030ELNS1_3gpuE2ELNS1_3repE0EEENS1_30default_config_static_selectorELNS0_4arch9wavefront6targetE1EEEvT1_: ; @_ZN7rocprim17ROCPRIM_400000_NS6detail17trampoline_kernelINS0_14default_configENS1_27scan_by_key_config_selectorIxxEEZZNS1_16scan_by_key_implILNS1_25lookback_scan_determinismE0ELb0ES3_N6thrust23THRUST_200600_302600_NS6detail15normal_iteratorINS9_10device_ptrIxEEEESE_SE_xNS9_4plusIvEENS9_8equal_toIxEExEE10hipError_tPvRmT2_T3_T4_T5_mT6_T7_P12ihipStream_tbENKUlT_T0_E_clISt17integral_constantIbLb1EESY_IbLb0EEEEDaSU_SV_EUlSU_E_NS1_11comp_targetILNS1_3genE8ELNS1_11target_archE1030ELNS1_3gpuE2ELNS1_3repE0EEENS1_30default_config_static_selectorELNS0_4arch9wavefront6targetE1EEEvT1_
; %bb.0:
	.section	.rodata,"a",@progbits
	.p2align	6, 0x0
	.amdhsa_kernel _ZN7rocprim17ROCPRIM_400000_NS6detail17trampoline_kernelINS0_14default_configENS1_27scan_by_key_config_selectorIxxEEZZNS1_16scan_by_key_implILNS1_25lookback_scan_determinismE0ELb0ES3_N6thrust23THRUST_200600_302600_NS6detail15normal_iteratorINS9_10device_ptrIxEEEESE_SE_xNS9_4plusIvEENS9_8equal_toIxEExEE10hipError_tPvRmT2_T3_T4_T5_mT6_T7_P12ihipStream_tbENKUlT_T0_E_clISt17integral_constantIbLb1EESY_IbLb0EEEEDaSU_SV_EUlSU_E_NS1_11comp_targetILNS1_3genE8ELNS1_11target_archE1030ELNS1_3gpuE2ELNS1_3repE0EEENS1_30default_config_static_selectorELNS0_4arch9wavefront6targetE1EEEvT1_
		.amdhsa_group_segment_fixed_size 0
		.amdhsa_private_segment_fixed_size 0
		.amdhsa_kernarg_size 136
		.amdhsa_user_sgpr_count 6
		.amdhsa_user_sgpr_private_segment_buffer 1
		.amdhsa_user_sgpr_dispatch_ptr 0
		.amdhsa_user_sgpr_queue_ptr 0
		.amdhsa_user_sgpr_kernarg_segment_ptr 1
		.amdhsa_user_sgpr_dispatch_id 0
		.amdhsa_user_sgpr_flat_scratch_init 0
		.amdhsa_user_sgpr_kernarg_preload_length 0
		.amdhsa_user_sgpr_kernarg_preload_offset 0
		.amdhsa_user_sgpr_private_segment_size 0
		.amdhsa_uses_dynamic_stack 0
		.amdhsa_system_sgpr_private_segment_wavefront_offset 0
		.amdhsa_system_sgpr_workgroup_id_x 1
		.amdhsa_system_sgpr_workgroup_id_y 0
		.amdhsa_system_sgpr_workgroup_id_z 0
		.amdhsa_system_sgpr_workgroup_info 0
		.amdhsa_system_vgpr_workitem_id 0
		.amdhsa_next_free_vgpr 1
		.amdhsa_next_free_sgpr 0
		.amdhsa_accum_offset 4
		.amdhsa_reserve_vcc 0
		.amdhsa_reserve_flat_scratch 0
		.amdhsa_float_round_mode_32 0
		.amdhsa_float_round_mode_16_64 0
		.amdhsa_float_denorm_mode_32 3
		.amdhsa_float_denorm_mode_16_64 3
		.amdhsa_dx10_clamp 1
		.amdhsa_ieee_mode 1
		.amdhsa_fp16_overflow 0
		.amdhsa_tg_split 0
		.amdhsa_exception_fp_ieee_invalid_op 0
		.amdhsa_exception_fp_denorm_src 0
		.amdhsa_exception_fp_ieee_div_zero 0
		.amdhsa_exception_fp_ieee_overflow 0
		.amdhsa_exception_fp_ieee_underflow 0
		.amdhsa_exception_fp_ieee_inexact 0
		.amdhsa_exception_int_div_zero 0
	.end_amdhsa_kernel
	.section	.text._ZN7rocprim17ROCPRIM_400000_NS6detail17trampoline_kernelINS0_14default_configENS1_27scan_by_key_config_selectorIxxEEZZNS1_16scan_by_key_implILNS1_25lookback_scan_determinismE0ELb0ES3_N6thrust23THRUST_200600_302600_NS6detail15normal_iteratorINS9_10device_ptrIxEEEESE_SE_xNS9_4plusIvEENS9_8equal_toIxEExEE10hipError_tPvRmT2_T3_T4_T5_mT6_T7_P12ihipStream_tbENKUlT_T0_E_clISt17integral_constantIbLb1EESY_IbLb0EEEEDaSU_SV_EUlSU_E_NS1_11comp_targetILNS1_3genE8ELNS1_11target_archE1030ELNS1_3gpuE2ELNS1_3repE0EEENS1_30default_config_static_selectorELNS0_4arch9wavefront6targetE1EEEvT1_,"axG",@progbits,_ZN7rocprim17ROCPRIM_400000_NS6detail17trampoline_kernelINS0_14default_configENS1_27scan_by_key_config_selectorIxxEEZZNS1_16scan_by_key_implILNS1_25lookback_scan_determinismE0ELb0ES3_N6thrust23THRUST_200600_302600_NS6detail15normal_iteratorINS9_10device_ptrIxEEEESE_SE_xNS9_4plusIvEENS9_8equal_toIxEExEE10hipError_tPvRmT2_T3_T4_T5_mT6_T7_P12ihipStream_tbENKUlT_T0_E_clISt17integral_constantIbLb1EESY_IbLb0EEEEDaSU_SV_EUlSU_E_NS1_11comp_targetILNS1_3genE8ELNS1_11target_archE1030ELNS1_3gpuE2ELNS1_3repE0EEENS1_30default_config_static_selectorELNS0_4arch9wavefront6targetE1EEEvT1_,comdat
.Lfunc_end109:
	.size	_ZN7rocprim17ROCPRIM_400000_NS6detail17trampoline_kernelINS0_14default_configENS1_27scan_by_key_config_selectorIxxEEZZNS1_16scan_by_key_implILNS1_25lookback_scan_determinismE0ELb0ES3_N6thrust23THRUST_200600_302600_NS6detail15normal_iteratorINS9_10device_ptrIxEEEESE_SE_xNS9_4plusIvEENS9_8equal_toIxEExEE10hipError_tPvRmT2_T3_T4_T5_mT6_T7_P12ihipStream_tbENKUlT_T0_E_clISt17integral_constantIbLb1EESY_IbLb0EEEEDaSU_SV_EUlSU_E_NS1_11comp_targetILNS1_3genE8ELNS1_11target_archE1030ELNS1_3gpuE2ELNS1_3repE0EEENS1_30default_config_static_selectorELNS0_4arch9wavefront6targetE1EEEvT1_, .Lfunc_end109-_ZN7rocprim17ROCPRIM_400000_NS6detail17trampoline_kernelINS0_14default_configENS1_27scan_by_key_config_selectorIxxEEZZNS1_16scan_by_key_implILNS1_25lookback_scan_determinismE0ELb0ES3_N6thrust23THRUST_200600_302600_NS6detail15normal_iteratorINS9_10device_ptrIxEEEESE_SE_xNS9_4plusIvEENS9_8equal_toIxEExEE10hipError_tPvRmT2_T3_T4_T5_mT6_T7_P12ihipStream_tbENKUlT_T0_E_clISt17integral_constantIbLb1EESY_IbLb0EEEEDaSU_SV_EUlSU_E_NS1_11comp_targetILNS1_3genE8ELNS1_11target_archE1030ELNS1_3gpuE2ELNS1_3repE0EEENS1_30default_config_static_selectorELNS0_4arch9wavefront6targetE1EEEvT1_
                                        ; -- End function
	.section	.AMDGPU.csdata,"",@progbits
; Kernel info:
; codeLenInByte = 0
; NumSgprs: 4
; NumVgprs: 0
; NumAgprs: 0
; TotalNumVgprs: 0
; ScratchSize: 0
; MemoryBound: 0
; FloatMode: 240
; IeeeMode: 1
; LDSByteSize: 0 bytes/workgroup (compile time only)
; SGPRBlocks: 0
; VGPRBlocks: 0
; NumSGPRsForWavesPerEU: 4
; NumVGPRsForWavesPerEU: 1
; AccumOffset: 4
; Occupancy: 8
; WaveLimiterHint : 0
; COMPUTE_PGM_RSRC2:SCRATCH_EN: 0
; COMPUTE_PGM_RSRC2:USER_SGPR: 6
; COMPUTE_PGM_RSRC2:TRAP_HANDLER: 0
; COMPUTE_PGM_RSRC2:TGID_X_EN: 1
; COMPUTE_PGM_RSRC2:TGID_Y_EN: 0
; COMPUTE_PGM_RSRC2:TGID_Z_EN: 0
; COMPUTE_PGM_RSRC2:TIDIG_COMP_CNT: 0
; COMPUTE_PGM_RSRC3_GFX90A:ACCUM_OFFSET: 0
; COMPUTE_PGM_RSRC3_GFX90A:TG_SPLIT: 0
	.section	.text._ZN7rocprim17ROCPRIM_400000_NS6detail17trampoline_kernelINS0_14default_configENS1_27scan_by_key_config_selectorIxxEEZZNS1_16scan_by_key_implILNS1_25lookback_scan_determinismE0ELb0ES3_N6thrust23THRUST_200600_302600_NS6detail15normal_iteratorINS9_10device_ptrIxEEEESE_SE_xNS9_4plusIvEENS9_8equal_toIxEExEE10hipError_tPvRmT2_T3_T4_T5_mT6_T7_P12ihipStream_tbENKUlT_T0_E_clISt17integral_constantIbLb0EESY_IbLb1EEEEDaSU_SV_EUlSU_E_NS1_11comp_targetILNS1_3genE0ELNS1_11target_archE4294967295ELNS1_3gpuE0ELNS1_3repE0EEENS1_30default_config_static_selectorELNS0_4arch9wavefront6targetE1EEEvT1_,"axG",@progbits,_ZN7rocprim17ROCPRIM_400000_NS6detail17trampoline_kernelINS0_14default_configENS1_27scan_by_key_config_selectorIxxEEZZNS1_16scan_by_key_implILNS1_25lookback_scan_determinismE0ELb0ES3_N6thrust23THRUST_200600_302600_NS6detail15normal_iteratorINS9_10device_ptrIxEEEESE_SE_xNS9_4plusIvEENS9_8equal_toIxEExEE10hipError_tPvRmT2_T3_T4_T5_mT6_T7_P12ihipStream_tbENKUlT_T0_E_clISt17integral_constantIbLb0EESY_IbLb1EEEEDaSU_SV_EUlSU_E_NS1_11comp_targetILNS1_3genE0ELNS1_11target_archE4294967295ELNS1_3gpuE0ELNS1_3repE0EEENS1_30default_config_static_selectorELNS0_4arch9wavefront6targetE1EEEvT1_,comdat
	.protected	_ZN7rocprim17ROCPRIM_400000_NS6detail17trampoline_kernelINS0_14default_configENS1_27scan_by_key_config_selectorIxxEEZZNS1_16scan_by_key_implILNS1_25lookback_scan_determinismE0ELb0ES3_N6thrust23THRUST_200600_302600_NS6detail15normal_iteratorINS9_10device_ptrIxEEEESE_SE_xNS9_4plusIvEENS9_8equal_toIxEExEE10hipError_tPvRmT2_T3_T4_T5_mT6_T7_P12ihipStream_tbENKUlT_T0_E_clISt17integral_constantIbLb0EESY_IbLb1EEEEDaSU_SV_EUlSU_E_NS1_11comp_targetILNS1_3genE0ELNS1_11target_archE4294967295ELNS1_3gpuE0ELNS1_3repE0EEENS1_30default_config_static_selectorELNS0_4arch9wavefront6targetE1EEEvT1_ ; -- Begin function _ZN7rocprim17ROCPRIM_400000_NS6detail17trampoline_kernelINS0_14default_configENS1_27scan_by_key_config_selectorIxxEEZZNS1_16scan_by_key_implILNS1_25lookback_scan_determinismE0ELb0ES3_N6thrust23THRUST_200600_302600_NS6detail15normal_iteratorINS9_10device_ptrIxEEEESE_SE_xNS9_4plusIvEENS9_8equal_toIxEExEE10hipError_tPvRmT2_T3_T4_T5_mT6_T7_P12ihipStream_tbENKUlT_T0_E_clISt17integral_constantIbLb0EESY_IbLb1EEEEDaSU_SV_EUlSU_E_NS1_11comp_targetILNS1_3genE0ELNS1_11target_archE4294967295ELNS1_3gpuE0ELNS1_3repE0EEENS1_30default_config_static_selectorELNS0_4arch9wavefront6targetE1EEEvT1_
	.globl	_ZN7rocprim17ROCPRIM_400000_NS6detail17trampoline_kernelINS0_14default_configENS1_27scan_by_key_config_selectorIxxEEZZNS1_16scan_by_key_implILNS1_25lookback_scan_determinismE0ELb0ES3_N6thrust23THRUST_200600_302600_NS6detail15normal_iteratorINS9_10device_ptrIxEEEESE_SE_xNS9_4plusIvEENS9_8equal_toIxEExEE10hipError_tPvRmT2_T3_T4_T5_mT6_T7_P12ihipStream_tbENKUlT_T0_E_clISt17integral_constantIbLb0EESY_IbLb1EEEEDaSU_SV_EUlSU_E_NS1_11comp_targetILNS1_3genE0ELNS1_11target_archE4294967295ELNS1_3gpuE0ELNS1_3repE0EEENS1_30default_config_static_selectorELNS0_4arch9wavefront6targetE1EEEvT1_
	.p2align	8
	.type	_ZN7rocprim17ROCPRIM_400000_NS6detail17trampoline_kernelINS0_14default_configENS1_27scan_by_key_config_selectorIxxEEZZNS1_16scan_by_key_implILNS1_25lookback_scan_determinismE0ELb0ES3_N6thrust23THRUST_200600_302600_NS6detail15normal_iteratorINS9_10device_ptrIxEEEESE_SE_xNS9_4plusIvEENS9_8equal_toIxEExEE10hipError_tPvRmT2_T3_T4_T5_mT6_T7_P12ihipStream_tbENKUlT_T0_E_clISt17integral_constantIbLb0EESY_IbLb1EEEEDaSU_SV_EUlSU_E_NS1_11comp_targetILNS1_3genE0ELNS1_11target_archE4294967295ELNS1_3gpuE0ELNS1_3repE0EEENS1_30default_config_static_selectorELNS0_4arch9wavefront6targetE1EEEvT1_,@function
_ZN7rocprim17ROCPRIM_400000_NS6detail17trampoline_kernelINS0_14default_configENS1_27scan_by_key_config_selectorIxxEEZZNS1_16scan_by_key_implILNS1_25lookback_scan_determinismE0ELb0ES3_N6thrust23THRUST_200600_302600_NS6detail15normal_iteratorINS9_10device_ptrIxEEEESE_SE_xNS9_4plusIvEENS9_8equal_toIxEExEE10hipError_tPvRmT2_T3_T4_T5_mT6_T7_P12ihipStream_tbENKUlT_T0_E_clISt17integral_constantIbLb0EESY_IbLb1EEEEDaSU_SV_EUlSU_E_NS1_11comp_targetILNS1_3genE0ELNS1_11target_archE4294967295ELNS1_3gpuE0ELNS1_3repE0EEENS1_30default_config_static_selectorELNS0_4arch9wavefront6targetE1EEEvT1_: ; @_ZN7rocprim17ROCPRIM_400000_NS6detail17trampoline_kernelINS0_14default_configENS1_27scan_by_key_config_selectorIxxEEZZNS1_16scan_by_key_implILNS1_25lookback_scan_determinismE0ELb0ES3_N6thrust23THRUST_200600_302600_NS6detail15normal_iteratorINS9_10device_ptrIxEEEESE_SE_xNS9_4plusIvEENS9_8equal_toIxEExEE10hipError_tPvRmT2_T3_T4_T5_mT6_T7_P12ihipStream_tbENKUlT_T0_E_clISt17integral_constantIbLb0EESY_IbLb1EEEEDaSU_SV_EUlSU_E_NS1_11comp_targetILNS1_3genE0ELNS1_11target_archE4294967295ELNS1_3gpuE0ELNS1_3repE0EEENS1_30default_config_static_selectorELNS0_4arch9wavefront6targetE1EEEvT1_
; %bb.0:
	.section	.rodata,"a",@progbits
	.p2align	6, 0x0
	.amdhsa_kernel _ZN7rocprim17ROCPRIM_400000_NS6detail17trampoline_kernelINS0_14default_configENS1_27scan_by_key_config_selectorIxxEEZZNS1_16scan_by_key_implILNS1_25lookback_scan_determinismE0ELb0ES3_N6thrust23THRUST_200600_302600_NS6detail15normal_iteratorINS9_10device_ptrIxEEEESE_SE_xNS9_4plusIvEENS9_8equal_toIxEExEE10hipError_tPvRmT2_T3_T4_T5_mT6_T7_P12ihipStream_tbENKUlT_T0_E_clISt17integral_constantIbLb0EESY_IbLb1EEEEDaSU_SV_EUlSU_E_NS1_11comp_targetILNS1_3genE0ELNS1_11target_archE4294967295ELNS1_3gpuE0ELNS1_3repE0EEENS1_30default_config_static_selectorELNS0_4arch9wavefront6targetE1EEEvT1_
		.amdhsa_group_segment_fixed_size 0
		.amdhsa_private_segment_fixed_size 0
		.amdhsa_kernarg_size 136
		.amdhsa_user_sgpr_count 6
		.amdhsa_user_sgpr_private_segment_buffer 1
		.amdhsa_user_sgpr_dispatch_ptr 0
		.amdhsa_user_sgpr_queue_ptr 0
		.amdhsa_user_sgpr_kernarg_segment_ptr 1
		.amdhsa_user_sgpr_dispatch_id 0
		.amdhsa_user_sgpr_flat_scratch_init 0
		.amdhsa_user_sgpr_kernarg_preload_length 0
		.amdhsa_user_sgpr_kernarg_preload_offset 0
		.amdhsa_user_sgpr_private_segment_size 0
		.amdhsa_uses_dynamic_stack 0
		.amdhsa_system_sgpr_private_segment_wavefront_offset 0
		.amdhsa_system_sgpr_workgroup_id_x 1
		.amdhsa_system_sgpr_workgroup_id_y 0
		.amdhsa_system_sgpr_workgroup_id_z 0
		.amdhsa_system_sgpr_workgroup_info 0
		.amdhsa_system_vgpr_workitem_id 0
		.amdhsa_next_free_vgpr 1
		.amdhsa_next_free_sgpr 0
		.amdhsa_accum_offset 4
		.amdhsa_reserve_vcc 0
		.amdhsa_reserve_flat_scratch 0
		.amdhsa_float_round_mode_32 0
		.amdhsa_float_round_mode_16_64 0
		.amdhsa_float_denorm_mode_32 3
		.amdhsa_float_denorm_mode_16_64 3
		.amdhsa_dx10_clamp 1
		.amdhsa_ieee_mode 1
		.amdhsa_fp16_overflow 0
		.amdhsa_tg_split 0
		.amdhsa_exception_fp_ieee_invalid_op 0
		.amdhsa_exception_fp_denorm_src 0
		.amdhsa_exception_fp_ieee_div_zero 0
		.amdhsa_exception_fp_ieee_overflow 0
		.amdhsa_exception_fp_ieee_underflow 0
		.amdhsa_exception_fp_ieee_inexact 0
		.amdhsa_exception_int_div_zero 0
	.end_amdhsa_kernel
	.section	.text._ZN7rocprim17ROCPRIM_400000_NS6detail17trampoline_kernelINS0_14default_configENS1_27scan_by_key_config_selectorIxxEEZZNS1_16scan_by_key_implILNS1_25lookback_scan_determinismE0ELb0ES3_N6thrust23THRUST_200600_302600_NS6detail15normal_iteratorINS9_10device_ptrIxEEEESE_SE_xNS9_4plusIvEENS9_8equal_toIxEExEE10hipError_tPvRmT2_T3_T4_T5_mT6_T7_P12ihipStream_tbENKUlT_T0_E_clISt17integral_constantIbLb0EESY_IbLb1EEEEDaSU_SV_EUlSU_E_NS1_11comp_targetILNS1_3genE0ELNS1_11target_archE4294967295ELNS1_3gpuE0ELNS1_3repE0EEENS1_30default_config_static_selectorELNS0_4arch9wavefront6targetE1EEEvT1_,"axG",@progbits,_ZN7rocprim17ROCPRIM_400000_NS6detail17trampoline_kernelINS0_14default_configENS1_27scan_by_key_config_selectorIxxEEZZNS1_16scan_by_key_implILNS1_25lookback_scan_determinismE0ELb0ES3_N6thrust23THRUST_200600_302600_NS6detail15normal_iteratorINS9_10device_ptrIxEEEESE_SE_xNS9_4plusIvEENS9_8equal_toIxEExEE10hipError_tPvRmT2_T3_T4_T5_mT6_T7_P12ihipStream_tbENKUlT_T0_E_clISt17integral_constantIbLb0EESY_IbLb1EEEEDaSU_SV_EUlSU_E_NS1_11comp_targetILNS1_3genE0ELNS1_11target_archE4294967295ELNS1_3gpuE0ELNS1_3repE0EEENS1_30default_config_static_selectorELNS0_4arch9wavefront6targetE1EEEvT1_,comdat
.Lfunc_end110:
	.size	_ZN7rocprim17ROCPRIM_400000_NS6detail17trampoline_kernelINS0_14default_configENS1_27scan_by_key_config_selectorIxxEEZZNS1_16scan_by_key_implILNS1_25lookback_scan_determinismE0ELb0ES3_N6thrust23THRUST_200600_302600_NS6detail15normal_iteratorINS9_10device_ptrIxEEEESE_SE_xNS9_4plusIvEENS9_8equal_toIxEExEE10hipError_tPvRmT2_T3_T4_T5_mT6_T7_P12ihipStream_tbENKUlT_T0_E_clISt17integral_constantIbLb0EESY_IbLb1EEEEDaSU_SV_EUlSU_E_NS1_11comp_targetILNS1_3genE0ELNS1_11target_archE4294967295ELNS1_3gpuE0ELNS1_3repE0EEENS1_30default_config_static_selectorELNS0_4arch9wavefront6targetE1EEEvT1_, .Lfunc_end110-_ZN7rocprim17ROCPRIM_400000_NS6detail17trampoline_kernelINS0_14default_configENS1_27scan_by_key_config_selectorIxxEEZZNS1_16scan_by_key_implILNS1_25lookback_scan_determinismE0ELb0ES3_N6thrust23THRUST_200600_302600_NS6detail15normal_iteratorINS9_10device_ptrIxEEEESE_SE_xNS9_4plusIvEENS9_8equal_toIxEExEE10hipError_tPvRmT2_T3_T4_T5_mT6_T7_P12ihipStream_tbENKUlT_T0_E_clISt17integral_constantIbLb0EESY_IbLb1EEEEDaSU_SV_EUlSU_E_NS1_11comp_targetILNS1_3genE0ELNS1_11target_archE4294967295ELNS1_3gpuE0ELNS1_3repE0EEENS1_30default_config_static_selectorELNS0_4arch9wavefront6targetE1EEEvT1_
                                        ; -- End function
	.section	.AMDGPU.csdata,"",@progbits
; Kernel info:
; codeLenInByte = 0
; NumSgprs: 4
; NumVgprs: 0
; NumAgprs: 0
; TotalNumVgprs: 0
; ScratchSize: 0
; MemoryBound: 0
; FloatMode: 240
; IeeeMode: 1
; LDSByteSize: 0 bytes/workgroup (compile time only)
; SGPRBlocks: 0
; VGPRBlocks: 0
; NumSGPRsForWavesPerEU: 4
; NumVGPRsForWavesPerEU: 1
; AccumOffset: 4
; Occupancy: 8
; WaveLimiterHint : 0
; COMPUTE_PGM_RSRC2:SCRATCH_EN: 0
; COMPUTE_PGM_RSRC2:USER_SGPR: 6
; COMPUTE_PGM_RSRC2:TRAP_HANDLER: 0
; COMPUTE_PGM_RSRC2:TGID_X_EN: 1
; COMPUTE_PGM_RSRC2:TGID_Y_EN: 0
; COMPUTE_PGM_RSRC2:TGID_Z_EN: 0
; COMPUTE_PGM_RSRC2:TIDIG_COMP_CNT: 0
; COMPUTE_PGM_RSRC3_GFX90A:ACCUM_OFFSET: 0
; COMPUTE_PGM_RSRC3_GFX90A:TG_SPLIT: 0
	.section	.text._ZN7rocprim17ROCPRIM_400000_NS6detail17trampoline_kernelINS0_14default_configENS1_27scan_by_key_config_selectorIxxEEZZNS1_16scan_by_key_implILNS1_25lookback_scan_determinismE0ELb0ES3_N6thrust23THRUST_200600_302600_NS6detail15normal_iteratorINS9_10device_ptrIxEEEESE_SE_xNS9_4plusIvEENS9_8equal_toIxEExEE10hipError_tPvRmT2_T3_T4_T5_mT6_T7_P12ihipStream_tbENKUlT_T0_E_clISt17integral_constantIbLb0EESY_IbLb1EEEEDaSU_SV_EUlSU_E_NS1_11comp_targetILNS1_3genE10ELNS1_11target_archE1201ELNS1_3gpuE5ELNS1_3repE0EEENS1_30default_config_static_selectorELNS0_4arch9wavefront6targetE1EEEvT1_,"axG",@progbits,_ZN7rocprim17ROCPRIM_400000_NS6detail17trampoline_kernelINS0_14default_configENS1_27scan_by_key_config_selectorIxxEEZZNS1_16scan_by_key_implILNS1_25lookback_scan_determinismE0ELb0ES3_N6thrust23THRUST_200600_302600_NS6detail15normal_iteratorINS9_10device_ptrIxEEEESE_SE_xNS9_4plusIvEENS9_8equal_toIxEExEE10hipError_tPvRmT2_T3_T4_T5_mT6_T7_P12ihipStream_tbENKUlT_T0_E_clISt17integral_constantIbLb0EESY_IbLb1EEEEDaSU_SV_EUlSU_E_NS1_11comp_targetILNS1_3genE10ELNS1_11target_archE1201ELNS1_3gpuE5ELNS1_3repE0EEENS1_30default_config_static_selectorELNS0_4arch9wavefront6targetE1EEEvT1_,comdat
	.protected	_ZN7rocprim17ROCPRIM_400000_NS6detail17trampoline_kernelINS0_14default_configENS1_27scan_by_key_config_selectorIxxEEZZNS1_16scan_by_key_implILNS1_25lookback_scan_determinismE0ELb0ES3_N6thrust23THRUST_200600_302600_NS6detail15normal_iteratorINS9_10device_ptrIxEEEESE_SE_xNS9_4plusIvEENS9_8equal_toIxEExEE10hipError_tPvRmT2_T3_T4_T5_mT6_T7_P12ihipStream_tbENKUlT_T0_E_clISt17integral_constantIbLb0EESY_IbLb1EEEEDaSU_SV_EUlSU_E_NS1_11comp_targetILNS1_3genE10ELNS1_11target_archE1201ELNS1_3gpuE5ELNS1_3repE0EEENS1_30default_config_static_selectorELNS0_4arch9wavefront6targetE1EEEvT1_ ; -- Begin function _ZN7rocprim17ROCPRIM_400000_NS6detail17trampoline_kernelINS0_14default_configENS1_27scan_by_key_config_selectorIxxEEZZNS1_16scan_by_key_implILNS1_25lookback_scan_determinismE0ELb0ES3_N6thrust23THRUST_200600_302600_NS6detail15normal_iteratorINS9_10device_ptrIxEEEESE_SE_xNS9_4plusIvEENS9_8equal_toIxEExEE10hipError_tPvRmT2_T3_T4_T5_mT6_T7_P12ihipStream_tbENKUlT_T0_E_clISt17integral_constantIbLb0EESY_IbLb1EEEEDaSU_SV_EUlSU_E_NS1_11comp_targetILNS1_3genE10ELNS1_11target_archE1201ELNS1_3gpuE5ELNS1_3repE0EEENS1_30default_config_static_selectorELNS0_4arch9wavefront6targetE1EEEvT1_
	.globl	_ZN7rocprim17ROCPRIM_400000_NS6detail17trampoline_kernelINS0_14default_configENS1_27scan_by_key_config_selectorIxxEEZZNS1_16scan_by_key_implILNS1_25lookback_scan_determinismE0ELb0ES3_N6thrust23THRUST_200600_302600_NS6detail15normal_iteratorINS9_10device_ptrIxEEEESE_SE_xNS9_4plusIvEENS9_8equal_toIxEExEE10hipError_tPvRmT2_T3_T4_T5_mT6_T7_P12ihipStream_tbENKUlT_T0_E_clISt17integral_constantIbLb0EESY_IbLb1EEEEDaSU_SV_EUlSU_E_NS1_11comp_targetILNS1_3genE10ELNS1_11target_archE1201ELNS1_3gpuE5ELNS1_3repE0EEENS1_30default_config_static_selectorELNS0_4arch9wavefront6targetE1EEEvT1_
	.p2align	8
	.type	_ZN7rocprim17ROCPRIM_400000_NS6detail17trampoline_kernelINS0_14default_configENS1_27scan_by_key_config_selectorIxxEEZZNS1_16scan_by_key_implILNS1_25lookback_scan_determinismE0ELb0ES3_N6thrust23THRUST_200600_302600_NS6detail15normal_iteratorINS9_10device_ptrIxEEEESE_SE_xNS9_4plusIvEENS9_8equal_toIxEExEE10hipError_tPvRmT2_T3_T4_T5_mT6_T7_P12ihipStream_tbENKUlT_T0_E_clISt17integral_constantIbLb0EESY_IbLb1EEEEDaSU_SV_EUlSU_E_NS1_11comp_targetILNS1_3genE10ELNS1_11target_archE1201ELNS1_3gpuE5ELNS1_3repE0EEENS1_30default_config_static_selectorELNS0_4arch9wavefront6targetE1EEEvT1_,@function
_ZN7rocprim17ROCPRIM_400000_NS6detail17trampoline_kernelINS0_14default_configENS1_27scan_by_key_config_selectorIxxEEZZNS1_16scan_by_key_implILNS1_25lookback_scan_determinismE0ELb0ES3_N6thrust23THRUST_200600_302600_NS6detail15normal_iteratorINS9_10device_ptrIxEEEESE_SE_xNS9_4plusIvEENS9_8equal_toIxEExEE10hipError_tPvRmT2_T3_T4_T5_mT6_T7_P12ihipStream_tbENKUlT_T0_E_clISt17integral_constantIbLb0EESY_IbLb1EEEEDaSU_SV_EUlSU_E_NS1_11comp_targetILNS1_3genE10ELNS1_11target_archE1201ELNS1_3gpuE5ELNS1_3repE0EEENS1_30default_config_static_selectorELNS0_4arch9wavefront6targetE1EEEvT1_: ; @_ZN7rocprim17ROCPRIM_400000_NS6detail17trampoline_kernelINS0_14default_configENS1_27scan_by_key_config_selectorIxxEEZZNS1_16scan_by_key_implILNS1_25lookback_scan_determinismE0ELb0ES3_N6thrust23THRUST_200600_302600_NS6detail15normal_iteratorINS9_10device_ptrIxEEEESE_SE_xNS9_4plusIvEENS9_8equal_toIxEExEE10hipError_tPvRmT2_T3_T4_T5_mT6_T7_P12ihipStream_tbENKUlT_T0_E_clISt17integral_constantIbLb0EESY_IbLb1EEEEDaSU_SV_EUlSU_E_NS1_11comp_targetILNS1_3genE10ELNS1_11target_archE1201ELNS1_3gpuE5ELNS1_3repE0EEENS1_30default_config_static_selectorELNS0_4arch9wavefront6targetE1EEEvT1_
; %bb.0:
	.section	.rodata,"a",@progbits
	.p2align	6, 0x0
	.amdhsa_kernel _ZN7rocprim17ROCPRIM_400000_NS6detail17trampoline_kernelINS0_14default_configENS1_27scan_by_key_config_selectorIxxEEZZNS1_16scan_by_key_implILNS1_25lookback_scan_determinismE0ELb0ES3_N6thrust23THRUST_200600_302600_NS6detail15normal_iteratorINS9_10device_ptrIxEEEESE_SE_xNS9_4plusIvEENS9_8equal_toIxEExEE10hipError_tPvRmT2_T3_T4_T5_mT6_T7_P12ihipStream_tbENKUlT_T0_E_clISt17integral_constantIbLb0EESY_IbLb1EEEEDaSU_SV_EUlSU_E_NS1_11comp_targetILNS1_3genE10ELNS1_11target_archE1201ELNS1_3gpuE5ELNS1_3repE0EEENS1_30default_config_static_selectorELNS0_4arch9wavefront6targetE1EEEvT1_
		.amdhsa_group_segment_fixed_size 0
		.amdhsa_private_segment_fixed_size 0
		.amdhsa_kernarg_size 136
		.amdhsa_user_sgpr_count 6
		.amdhsa_user_sgpr_private_segment_buffer 1
		.amdhsa_user_sgpr_dispatch_ptr 0
		.amdhsa_user_sgpr_queue_ptr 0
		.amdhsa_user_sgpr_kernarg_segment_ptr 1
		.amdhsa_user_sgpr_dispatch_id 0
		.amdhsa_user_sgpr_flat_scratch_init 0
		.amdhsa_user_sgpr_kernarg_preload_length 0
		.amdhsa_user_sgpr_kernarg_preload_offset 0
		.amdhsa_user_sgpr_private_segment_size 0
		.amdhsa_uses_dynamic_stack 0
		.amdhsa_system_sgpr_private_segment_wavefront_offset 0
		.amdhsa_system_sgpr_workgroup_id_x 1
		.amdhsa_system_sgpr_workgroup_id_y 0
		.amdhsa_system_sgpr_workgroup_id_z 0
		.amdhsa_system_sgpr_workgroup_info 0
		.amdhsa_system_vgpr_workitem_id 0
		.amdhsa_next_free_vgpr 1
		.amdhsa_next_free_sgpr 0
		.amdhsa_accum_offset 4
		.amdhsa_reserve_vcc 0
		.amdhsa_reserve_flat_scratch 0
		.amdhsa_float_round_mode_32 0
		.amdhsa_float_round_mode_16_64 0
		.amdhsa_float_denorm_mode_32 3
		.amdhsa_float_denorm_mode_16_64 3
		.amdhsa_dx10_clamp 1
		.amdhsa_ieee_mode 1
		.amdhsa_fp16_overflow 0
		.amdhsa_tg_split 0
		.amdhsa_exception_fp_ieee_invalid_op 0
		.amdhsa_exception_fp_denorm_src 0
		.amdhsa_exception_fp_ieee_div_zero 0
		.amdhsa_exception_fp_ieee_overflow 0
		.amdhsa_exception_fp_ieee_underflow 0
		.amdhsa_exception_fp_ieee_inexact 0
		.amdhsa_exception_int_div_zero 0
	.end_amdhsa_kernel
	.section	.text._ZN7rocprim17ROCPRIM_400000_NS6detail17trampoline_kernelINS0_14default_configENS1_27scan_by_key_config_selectorIxxEEZZNS1_16scan_by_key_implILNS1_25lookback_scan_determinismE0ELb0ES3_N6thrust23THRUST_200600_302600_NS6detail15normal_iteratorINS9_10device_ptrIxEEEESE_SE_xNS9_4plusIvEENS9_8equal_toIxEExEE10hipError_tPvRmT2_T3_T4_T5_mT6_T7_P12ihipStream_tbENKUlT_T0_E_clISt17integral_constantIbLb0EESY_IbLb1EEEEDaSU_SV_EUlSU_E_NS1_11comp_targetILNS1_3genE10ELNS1_11target_archE1201ELNS1_3gpuE5ELNS1_3repE0EEENS1_30default_config_static_selectorELNS0_4arch9wavefront6targetE1EEEvT1_,"axG",@progbits,_ZN7rocprim17ROCPRIM_400000_NS6detail17trampoline_kernelINS0_14default_configENS1_27scan_by_key_config_selectorIxxEEZZNS1_16scan_by_key_implILNS1_25lookback_scan_determinismE0ELb0ES3_N6thrust23THRUST_200600_302600_NS6detail15normal_iteratorINS9_10device_ptrIxEEEESE_SE_xNS9_4plusIvEENS9_8equal_toIxEExEE10hipError_tPvRmT2_T3_T4_T5_mT6_T7_P12ihipStream_tbENKUlT_T0_E_clISt17integral_constantIbLb0EESY_IbLb1EEEEDaSU_SV_EUlSU_E_NS1_11comp_targetILNS1_3genE10ELNS1_11target_archE1201ELNS1_3gpuE5ELNS1_3repE0EEENS1_30default_config_static_selectorELNS0_4arch9wavefront6targetE1EEEvT1_,comdat
.Lfunc_end111:
	.size	_ZN7rocprim17ROCPRIM_400000_NS6detail17trampoline_kernelINS0_14default_configENS1_27scan_by_key_config_selectorIxxEEZZNS1_16scan_by_key_implILNS1_25lookback_scan_determinismE0ELb0ES3_N6thrust23THRUST_200600_302600_NS6detail15normal_iteratorINS9_10device_ptrIxEEEESE_SE_xNS9_4plusIvEENS9_8equal_toIxEExEE10hipError_tPvRmT2_T3_T4_T5_mT6_T7_P12ihipStream_tbENKUlT_T0_E_clISt17integral_constantIbLb0EESY_IbLb1EEEEDaSU_SV_EUlSU_E_NS1_11comp_targetILNS1_3genE10ELNS1_11target_archE1201ELNS1_3gpuE5ELNS1_3repE0EEENS1_30default_config_static_selectorELNS0_4arch9wavefront6targetE1EEEvT1_, .Lfunc_end111-_ZN7rocprim17ROCPRIM_400000_NS6detail17trampoline_kernelINS0_14default_configENS1_27scan_by_key_config_selectorIxxEEZZNS1_16scan_by_key_implILNS1_25lookback_scan_determinismE0ELb0ES3_N6thrust23THRUST_200600_302600_NS6detail15normal_iteratorINS9_10device_ptrIxEEEESE_SE_xNS9_4plusIvEENS9_8equal_toIxEExEE10hipError_tPvRmT2_T3_T4_T5_mT6_T7_P12ihipStream_tbENKUlT_T0_E_clISt17integral_constantIbLb0EESY_IbLb1EEEEDaSU_SV_EUlSU_E_NS1_11comp_targetILNS1_3genE10ELNS1_11target_archE1201ELNS1_3gpuE5ELNS1_3repE0EEENS1_30default_config_static_selectorELNS0_4arch9wavefront6targetE1EEEvT1_
                                        ; -- End function
	.section	.AMDGPU.csdata,"",@progbits
; Kernel info:
; codeLenInByte = 0
; NumSgprs: 4
; NumVgprs: 0
; NumAgprs: 0
; TotalNumVgprs: 0
; ScratchSize: 0
; MemoryBound: 0
; FloatMode: 240
; IeeeMode: 1
; LDSByteSize: 0 bytes/workgroup (compile time only)
; SGPRBlocks: 0
; VGPRBlocks: 0
; NumSGPRsForWavesPerEU: 4
; NumVGPRsForWavesPerEU: 1
; AccumOffset: 4
; Occupancy: 8
; WaveLimiterHint : 0
; COMPUTE_PGM_RSRC2:SCRATCH_EN: 0
; COMPUTE_PGM_RSRC2:USER_SGPR: 6
; COMPUTE_PGM_RSRC2:TRAP_HANDLER: 0
; COMPUTE_PGM_RSRC2:TGID_X_EN: 1
; COMPUTE_PGM_RSRC2:TGID_Y_EN: 0
; COMPUTE_PGM_RSRC2:TGID_Z_EN: 0
; COMPUTE_PGM_RSRC2:TIDIG_COMP_CNT: 0
; COMPUTE_PGM_RSRC3_GFX90A:ACCUM_OFFSET: 0
; COMPUTE_PGM_RSRC3_GFX90A:TG_SPLIT: 0
	.section	.text._ZN7rocprim17ROCPRIM_400000_NS6detail17trampoline_kernelINS0_14default_configENS1_27scan_by_key_config_selectorIxxEEZZNS1_16scan_by_key_implILNS1_25lookback_scan_determinismE0ELb0ES3_N6thrust23THRUST_200600_302600_NS6detail15normal_iteratorINS9_10device_ptrIxEEEESE_SE_xNS9_4plusIvEENS9_8equal_toIxEExEE10hipError_tPvRmT2_T3_T4_T5_mT6_T7_P12ihipStream_tbENKUlT_T0_E_clISt17integral_constantIbLb0EESY_IbLb1EEEEDaSU_SV_EUlSU_E_NS1_11comp_targetILNS1_3genE5ELNS1_11target_archE942ELNS1_3gpuE9ELNS1_3repE0EEENS1_30default_config_static_selectorELNS0_4arch9wavefront6targetE1EEEvT1_,"axG",@progbits,_ZN7rocprim17ROCPRIM_400000_NS6detail17trampoline_kernelINS0_14default_configENS1_27scan_by_key_config_selectorIxxEEZZNS1_16scan_by_key_implILNS1_25lookback_scan_determinismE0ELb0ES3_N6thrust23THRUST_200600_302600_NS6detail15normal_iteratorINS9_10device_ptrIxEEEESE_SE_xNS9_4plusIvEENS9_8equal_toIxEExEE10hipError_tPvRmT2_T3_T4_T5_mT6_T7_P12ihipStream_tbENKUlT_T0_E_clISt17integral_constantIbLb0EESY_IbLb1EEEEDaSU_SV_EUlSU_E_NS1_11comp_targetILNS1_3genE5ELNS1_11target_archE942ELNS1_3gpuE9ELNS1_3repE0EEENS1_30default_config_static_selectorELNS0_4arch9wavefront6targetE1EEEvT1_,comdat
	.protected	_ZN7rocprim17ROCPRIM_400000_NS6detail17trampoline_kernelINS0_14default_configENS1_27scan_by_key_config_selectorIxxEEZZNS1_16scan_by_key_implILNS1_25lookback_scan_determinismE0ELb0ES3_N6thrust23THRUST_200600_302600_NS6detail15normal_iteratorINS9_10device_ptrIxEEEESE_SE_xNS9_4plusIvEENS9_8equal_toIxEExEE10hipError_tPvRmT2_T3_T4_T5_mT6_T7_P12ihipStream_tbENKUlT_T0_E_clISt17integral_constantIbLb0EESY_IbLb1EEEEDaSU_SV_EUlSU_E_NS1_11comp_targetILNS1_3genE5ELNS1_11target_archE942ELNS1_3gpuE9ELNS1_3repE0EEENS1_30default_config_static_selectorELNS0_4arch9wavefront6targetE1EEEvT1_ ; -- Begin function _ZN7rocprim17ROCPRIM_400000_NS6detail17trampoline_kernelINS0_14default_configENS1_27scan_by_key_config_selectorIxxEEZZNS1_16scan_by_key_implILNS1_25lookback_scan_determinismE0ELb0ES3_N6thrust23THRUST_200600_302600_NS6detail15normal_iteratorINS9_10device_ptrIxEEEESE_SE_xNS9_4plusIvEENS9_8equal_toIxEExEE10hipError_tPvRmT2_T3_T4_T5_mT6_T7_P12ihipStream_tbENKUlT_T0_E_clISt17integral_constantIbLb0EESY_IbLb1EEEEDaSU_SV_EUlSU_E_NS1_11comp_targetILNS1_3genE5ELNS1_11target_archE942ELNS1_3gpuE9ELNS1_3repE0EEENS1_30default_config_static_selectorELNS0_4arch9wavefront6targetE1EEEvT1_
	.globl	_ZN7rocprim17ROCPRIM_400000_NS6detail17trampoline_kernelINS0_14default_configENS1_27scan_by_key_config_selectorIxxEEZZNS1_16scan_by_key_implILNS1_25lookback_scan_determinismE0ELb0ES3_N6thrust23THRUST_200600_302600_NS6detail15normal_iteratorINS9_10device_ptrIxEEEESE_SE_xNS9_4plusIvEENS9_8equal_toIxEExEE10hipError_tPvRmT2_T3_T4_T5_mT6_T7_P12ihipStream_tbENKUlT_T0_E_clISt17integral_constantIbLb0EESY_IbLb1EEEEDaSU_SV_EUlSU_E_NS1_11comp_targetILNS1_3genE5ELNS1_11target_archE942ELNS1_3gpuE9ELNS1_3repE0EEENS1_30default_config_static_selectorELNS0_4arch9wavefront6targetE1EEEvT1_
	.p2align	8
	.type	_ZN7rocprim17ROCPRIM_400000_NS6detail17trampoline_kernelINS0_14default_configENS1_27scan_by_key_config_selectorIxxEEZZNS1_16scan_by_key_implILNS1_25lookback_scan_determinismE0ELb0ES3_N6thrust23THRUST_200600_302600_NS6detail15normal_iteratorINS9_10device_ptrIxEEEESE_SE_xNS9_4plusIvEENS9_8equal_toIxEExEE10hipError_tPvRmT2_T3_T4_T5_mT6_T7_P12ihipStream_tbENKUlT_T0_E_clISt17integral_constantIbLb0EESY_IbLb1EEEEDaSU_SV_EUlSU_E_NS1_11comp_targetILNS1_3genE5ELNS1_11target_archE942ELNS1_3gpuE9ELNS1_3repE0EEENS1_30default_config_static_selectorELNS0_4arch9wavefront6targetE1EEEvT1_,@function
_ZN7rocprim17ROCPRIM_400000_NS6detail17trampoline_kernelINS0_14default_configENS1_27scan_by_key_config_selectorIxxEEZZNS1_16scan_by_key_implILNS1_25lookback_scan_determinismE0ELb0ES3_N6thrust23THRUST_200600_302600_NS6detail15normal_iteratorINS9_10device_ptrIxEEEESE_SE_xNS9_4plusIvEENS9_8equal_toIxEExEE10hipError_tPvRmT2_T3_T4_T5_mT6_T7_P12ihipStream_tbENKUlT_T0_E_clISt17integral_constantIbLb0EESY_IbLb1EEEEDaSU_SV_EUlSU_E_NS1_11comp_targetILNS1_3genE5ELNS1_11target_archE942ELNS1_3gpuE9ELNS1_3repE0EEENS1_30default_config_static_selectorELNS0_4arch9wavefront6targetE1EEEvT1_: ; @_ZN7rocprim17ROCPRIM_400000_NS6detail17trampoline_kernelINS0_14default_configENS1_27scan_by_key_config_selectorIxxEEZZNS1_16scan_by_key_implILNS1_25lookback_scan_determinismE0ELb0ES3_N6thrust23THRUST_200600_302600_NS6detail15normal_iteratorINS9_10device_ptrIxEEEESE_SE_xNS9_4plusIvEENS9_8equal_toIxEExEE10hipError_tPvRmT2_T3_T4_T5_mT6_T7_P12ihipStream_tbENKUlT_T0_E_clISt17integral_constantIbLb0EESY_IbLb1EEEEDaSU_SV_EUlSU_E_NS1_11comp_targetILNS1_3genE5ELNS1_11target_archE942ELNS1_3gpuE9ELNS1_3repE0EEENS1_30default_config_static_selectorELNS0_4arch9wavefront6targetE1EEEvT1_
; %bb.0:
	.section	.rodata,"a",@progbits
	.p2align	6, 0x0
	.amdhsa_kernel _ZN7rocprim17ROCPRIM_400000_NS6detail17trampoline_kernelINS0_14default_configENS1_27scan_by_key_config_selectorIxxEEZZNS1_16scan_by_key_implILNS1_25lookback_scan_determinismE0ELb0ES3_N6thrust23THRUST_200600_302600_NS6detail15normal_iteratorINS9_10device_ptrIxEEEESE_SE_xNS9_4plusIvEENS9_8equal_toIxEExEE10hipError_tPvRmT2_T3_T4_T5_mT6_T7_P12ihipStream_tbENKUlT_T0_E_clISt17integral_constantIbLb0EESY_IbLb1EEEEDaSU_SV_EUlSU_E_NS1_11comp_targetILNS1_3genE5ELNS1_11target_archE942ELNS1_3gpuE9ELNS1_3repE0EEENS1_30default_config_static_selectorELNS0_4arch9wavefront6targetE1EEEvT1_
		.amdhsa_group_segment_fixed_size 0
		.amdhsa_private_segment_fixed_size 0
		.amdhsa_kernarg_size 136
		.amdhsa_user_sgpr_count 6
		.amdhsa_user_sgpr_private_segment_buffer 1
		.amdhsa_user_sgpr_dispatch_ptr 0
		.amdhsa_user_sgpr_queue_ptr 0
		.amdhsa_user_sgpr_kernarg_segment_ptr 1
		.amdhsa_user_sgpr_dispatch_id 0
		.amdhsa_user_sgpr_flat_scratch_init 0
		.amdhsa_user_sgpr_kernarg_preload_length 0
		.amdhsa_user_sgpr_kernarg_preload_offset 0
		.amdhsa_user_sgpr_private_segment_size 0
		.amdhsa_uses_dynamic_stack 0
		.amdhsa_system_sgpr_private_segment_wavefront_offset 0
		.amdhsa_system_sgpr_workgroup_id_x 1
		.amdhsa_system_sgpr_workgroup_id_y 0
		.amdhsa_system_sgpr_workgroup_id_z 0
		.amdhsa_system_sgpr_workgroup_info 0
		.amdhsa_system_vgpr_workitem_id 0
		.amdhsa_next_free_vgpr 1
		.amdhsa_next_free_sgpr 0
		.amdhsa_accum_offset 4
		.amdhsa_reserve_vcc 0
		.amdhsa_reserve_flat_scratch 0
		.amdhsa_float_round_mode_32 0
		.amdhsa_float_round_mode_16_64 0
		.amdhsa_float_denorm_mode_32 3
		.amdhsa_float_denorm_mode_16_64 3
		.amdhsa_dx10_clamp 1
		.amdhsa_ieee_mode 1
		.amdhsa_fp16_overflow 0
		.amdhsa_tg_split 0
		.amdhsa_exception_fp_ieee_invalid_op 0
		.amdhsa_exception_fp_denorm_src 0
		.amdhsa_exception_fp_ieee_div_zero 0
		.amdhsa_exception_fp_ieee_overflow 0
		.amdhsa_exception_fp_ieee_underflow 0
		.amdhsa_exception_fp_ieee_inexact 0
		.amdhsa_exception_int_div_zero 0
	.end_amdhsa_kernel
	.section	.text._ZN7rocprim17ROCPRIM_400000_NS6detail17trampoline_kernelINS0_14default_configENS1_27scan_by_key_config_selectorIxxEEZZNS1_16scan_by_key_implILNS1_25lookback_scan_determinismE0ELb0ES3_N6thrust23THRUST_200600_302600_NS6detail15normal_iteratorINS9_10device_ptrIxEEEESE_SE_xNS9_4plusIvEENS9_8equal_toIxEExEE10hipError_tPvRmT2_T3_T4_T5_mT6_T7_P12ihipStream_tbENKUlT_T0_E_clISt17integral_constantIbLb0EESY_IbLb1EEEEDaSU_SV_EUlSU_E_NS1_11comp_targetILNS1_3genE5ELNS1_11target_archE942ELNS1_3gpuE9ELNS1_3repE0EEENS1_30default_config_static_selectorELNS0_4arch9wavefront6targetE1EEEvT1_,"axG",@progbits,_ZN7rocprim17ROCPRIM_400000_NS6detail17trampoline_kernelINS0_14default_configENS1_27scan_by_key_config_selectorIxxEEZZNS1_16scan_by_key_implILNS1_25lookback_scan_determinismE0ELb0ES3_N6thrust23THRUST_200600_302600_NS6detail15normal_iteratorINS9_10device_ptrIxEEEESE_SE_xNS9_4plusIvEENS9_8equal_toIxEExEE10hipError_tPvRmT2_T3_T4_T5_mT6_T7_P12ihipStream_tbENKUlT_T0_E_clISt17integral_constantIbLb0EESY_IbLb1EEEEDaSU_SV_EUlSU_E_NS1_11comp_targetILNS1_3genE5ELNS1_11target_archE942ELNS1_3gpuE9ELNS1_3repE0EEENS1_30default_config_static_selectorELNS0_4arch9wavefront6targetE1EEEvT1_,comdat
.Lfunc_end112:
	.size	_ZN7rocprim17ROCPRIM_400000_NS6detail17trampoline_kernelINS0_14default_configENS1_27scan_by_key_config_selectorIxxEEZZNS1_16scan_by_key_implILNS1_25lookback_scan_determinismE0ELb0ES3_N6thrust23THRUST_200600_302600_NS6detail15normal_iteratorINS9_10device_ptrIxEEEESE_SE_xNS9_4plusIvEENS9_8equal_toIxEExEE10hipError_tPvRmT2_T3_T4_T5_mT6_T7_P12ihipStream_tbENKUlT_T0_E_clISt17integral_constantIbLb0EESY_IbLb1EEEEDaSU_SV_EUlSU_E_NS1_11comp_targetILNS1_3genE5ELNS1_11target_archE942ELNS1_3gpuE9ELNS1_3repE0EEENS1_30default_config_static_selectorELNS0_4arch9wavefront6targetE1EEEvT1_, .Lfunc_end112-_ZN7rocprim17ROCPRIM_400000_NS6detail17trampoline_kernelINS0_14default_configENS1_27scan_by_key_config_selectorIxxEEZZNS1_16scan_by_key_implILNS1_25lookback_scan_determinismE0ELb0ES3_N6thrust23THRUST_200600_302600_NS6detail15normal_iteratorINS9_10device_ptrIxEEEESE_SE_xNS9_4plusIvEENS9_8equal_toIxEExEE10hipError_tPvRmT2_T3_T4_T5_mT6_T7_P12ihipStream_tbENKUlT_T0_E_clISt17integral_constantIbLb0EESY_IbLb1EEEEDaSU_SV_EUlSU_E_NS1_11comp_targetILNS1_3genE5ELNS1_11target_archE942ELNS1_3gpuE9ELNS1_3repE0EEENS1_30default_config_static_selectorELNS0_4arch9wavefront6targetE1EEEvT1_
                                        ; -- End function
	.section	.AMDGPU.csdata,"",@progbits
; Kernel info:
; codeLenInByte = 0
; NumSgprs: 4
; NumVgprs: 0
; NumAgprs: 0
; TotalNumVgprs: 0
; ScratchSize: 0
; MemoryBound: 0
; FloatMode: 240
; IeeeMode: 1
; LDSByteSize: 0 bytes/workgroup (compile time only)
; SGPRBlocks: 0
; VGPRBlocks: 0
; NumSGPRsForWavesPerEU: 4
; NumVGPRsForWavesPerEU: 1
; AccumOffset: 4
; Occupancy: 8
; WaveLimiterHint : 0
; COMPUTE_PGM_RSRC2:SCRATCH_EN: 0
; COMPUTE_PGM_RSRC2:USER_SGPR: 6
; COMPUTE_PGM_RSRC2:TRAP_HANDLER: 0
; COMPUTE_PGM_RSRC2:TGID_X_EN: 1
; COMPUTE_PGM_RSRC2:TGID_Y_EN: 0
; COMPUTE_PGM_RSRC2:TGID_Z_EN: 0
; COMPUTE_PGM_RSRC2:TIDIG_COMP_CNT: 0
; COMPUTE_PGM_RSRC3_GFX90A:ACCUM_OFFSET: 0
; COMPUTE_PGM_RSRC3_GFX90A:TG_SPLIT: 0
	.section	.text._ZN7rocprim17ROCPRIM_400000_NS6detail17trampoline_kernelINS0_14default_configENS1_27scan_by_key_config_selectorIxxEEZZNS1_16scan_by_key_implILNS1_25lookback_scan_determinismE0ELb0ES3_N6thrust23THRUST_200600_302600_NS6detail15normal_iteratorINS9_10device_ptrIxEEEESE_SE_xNS9_4plusIvEENS9_8equal_toIxEExEE10hipError_tPvRmT2_T3_T4_T5_mT6_T7_P12ihipStream_tbENKUlT_T0_E_clISt17integral_constantIbLb0EESY_IbLb1EEEEDaSU_SV_EUlSU_E_NS1_11comp_targetILNS1_3genE4ELNS1_11target_archE910ELNS1_3gpuE8ELNS1_3repE0EEENS1_30default_config_static_selectorELNS0_4arch9wavefront6targetE1EEEvT1_,"axG",@progbits,_ZN7rocprim17ROCPRIM_400000_NS6detail17trampoline_kernelINS0_14default_configENS1_27scan_by_key_config_selectorIxxEEZZNS1_16scan_by_key_implILNS1_25lookback_scan_determinismE0ELb0ES3_N6thrust23THRUST_200600_302600_NS6detail15normal_iteratorINS9_10device_ptrIxEEEESE_SE_xNS9_4plusIvEENS9_8equal_toIxEExEE10hipError_tPvRmT2_T3_T4_T5_mT6_T7_P12ihipStream_tbENKUlT_T0_E_clISt17integral_constantIbLb0EESY_IbLb1EEEEDaSU_SV_EUlSU_E_NS1_11comp_targetILNS1_3genE4ELNS1_11target_archE910ELNS1_3gpuE8ELNS1_3repE0EEENS1_30default_config_static_selectorELNS0_4arch9wavefront6targetE1EEEvT1_,comdat
	.protected	_ZN7rocprim17ROCPRIM_400000_NS6detail17trampoline_kernelINS0_14default_configENS1_27scan_by_key_config_selectorIxxEEZZNS1_16scan_by_key_implILNS1_25lookback_scan_determinismE0ELb0ES3_N6thrust23THRUST_200600_302600_NS6detail15normal_iteratorINS9_10device_ptrIxEEEESE_SE_xNS9_4plusIvEENS9_8equal_toIxEExEE10hipError_tPvRmT2_T3_T4_T5_mT6_T7_P12ihipStream_tbENKUlT_T0_E_clISt17integral_constantIbLb0EESY_IbLb1EEEEDaSU_SV_EUlSU_E_NS1_11comp_targetILNS1_3genE4ELNS1_11target_archE910ELNS1_3gpuE8ELNS1_3repE0EEENS1_30default_config_static_selectorELNS0_4arch9wavefront6targetE1EEEvT1_ ; -- Begin function _ZN7rocprim17ROCPRIM_400000_NS6detail17trampoline_kernelINS0_14default_configENS1_27scan_by_key_config_selectorIxxEEZZNS1_16scan_by_key_implILNS1_25lookback_scan_determinismE0ELb0ES3_N6thrust23THRUST_200600_302600_NS6detail15normal_iteratorINS9_10device_ptrIxEEEESE_SE_xNS9_4plusIvEENS9_8equal_toIxEExEE10hipError_tPvRmT2_T3_T4_T5_mT6_T7_P12ihipStream_tbENKUlT_T0_E_clISt17integral_constantIbLb0EESY_IbLb1EEEEDaSU_SV_EUlSU_E_NS1_11comp_targetILNS1_3genE4ELNS1_11target_archE910ELNS1_3gpuE8ELNS1_3repE0EEENS1_30default_config_static_selectorELNS0_4arch9wavefront6targetE1EEEvT1_
	.globl	_ZN7rocprim17ROCPRIM_400000_NS6detail17trampoline_kernelINS0_14default_configENS1_27scan_by_key_config_selectorIxxEEZZNS1_16scan_by_key_implILNS1_25lookback_scan_determinismE0ELb0ES3_N6thrust23THRUST_200600_302600_NS6detail15normal_iteratorINS9_10device_ptrIxEEEESE_SE_xNS9_4plusIvEENS9_8equal_toIxEExEE10hipError_tPvRmT2_T3_T4_T5_mT6_T7_P12ihipStream_tbENKUlT_T0_E_clISt17integral_constantIbLb0EESY_IbLb1EEEEDaSU_SV_EUlSU_E_NS1_11comp_targetILNS1_3genE4ELNS1_11target_archE910ELNS1_3gpuE8ELNS1_3repE0EEENS1_30default_config_static_selectorELNS0_4arch9wavefront6targetE1EEEvT1_
	.p2align	8
	.type	_ZN7rocprim17ROCPRIM_400000_NS6detail17trampoline_kernelINS0_14default_configENS1_27scan_by_key_config_selectorIxxEEZZNS1_16scan_by_key_implILNS1_25lookback_scan_determinismE0ELb0ES3_N6thrust23THRUST_200600_302600_NS6detail15normal_iteratorINS9_10device_ptrIxEEEESE_SE_xNS9_4plusIvEENS9_8equal_toIxEExEE10hipError_tPvRmT2_T3_T4_T5_mT6_T7_P12ihipStream_tbENKUlT_T0_E_clISt17integral_constantIbLb0EESY_IbLb1EEEEDaSU_SV_EUlSU_E_NS1_11comp_targetILNS1_3genE4ELNS1_11target_archE910ELNS1_3gpuE8ELNS1_3repE0EEENS1_30default_config_static_selectorELNS0_4arch9wavefront6targetE1EEEvT1_,@function
_ZN7rocprim17ROCPRIM_400000_NS6detail17trampoline_kernelINS0_14default_configENS1_27scan_by_key_config_selectorIxxEEZZNS1_16scan_by_key_implILNS1_25lookback_scan_determinismE0ELb0ES3_N6thrust23THRUST_200600_302600_NS6detail15normal_iteratorINS9_10device_ptrIxEEEESE_SE_xNS9_4plusIvEENS9_8equal_toIxEExEE10hipError_tPvRmT2_T3_T4_T5_mT6_T7_P12ihipStream_tbENKUlT_T0_E_clISt17integral_constantIbLb0EESY_IbLb1EEEEDaSU_SV_EUlSU_E_NS1_11comp_targetILNS1_3genE4ELNS1_11target_archE910ELNS1_3gpuE8ELNS1_3repE0EEENS1_30default_config_static_selectorELNS0_4arch9wavefront6targetE1EEEvT1_: ; @_ZN7rocprim17ROCPRIM_400000_NS6detail17trampoline_kernelINS0_14default_configENS1_27scan_by_key_config_selectorIxxEEZZNS1_16scan_by_key_implILNS1_25lookback_scan_determinismE0ELb0ES3_N6thrust23THRUST_200600_302600_NS6detail15normal_iteratorINS9_10device_ptrIxEEEESE_SE_xNS9_4plusIvEENS9_8equal_toIxEExEE10hipError_tPvRmT2_T3_T4_T5_mT6_T7_P12ihipStream_tbENKUlT_T0_E_clISt17integral_constantIbLb0EESY_IbLb1EEEEDaSU_SV_EUlSU_E_NS1_11comp_targetILNS1_3genE4ELNS1_11target_archE910ELNS1_3gpuE8ELNS1_3repE0EEENS1_30default_config_static_selectorELNS0_4arch9wavefront6targetE1EEEvT1_
; %bb.0:
	s_load_dwordx8 s[48:55], s[4:5], 0x30
	s_load_dwordx2 s[72:73], s[4:5], 0x50
	v_cmp_ne_u32_e64 s[46:47], 0, v0
	v_cmp_eq_u32_e64 s[0:1], 0, v0
	s_and_saveexec_b64 s[2:3], s[0:1]
	s_cbranch_execz .LBB113_4
; %bb.1:
	s_mov_b64 s[8:9], exec
	v_mbcnt_lo_u32_b32 v1, s8, 0
	v_mbcnt_hi_u32_b32 v1, s9, v1
	v_cmp_eq_u32_e32 vcc, 0, v1
                                        ; implicit-def: $vgpr2
	s_and_saveexec_b64 s[6:7], vcc
	s_cbranch_execz .LBB113_3
; %bb.2:
	s_load_dwordx2 s[10:11], s[4:5], 0x80
	s_bcnt1_i32_b64 s8, s[8:9]
	v_mov_b32_e32 v2, 0
	v_mov_b32_e32 v3, s8
	s_waitcnt lgkmcnt(0)
	global_atomic_add v2, v2, v3, s[10:11] glc
.LBB113_3:
	s_or_b64 exec, exec, s[6:7]
	s_waitcnt vmcnt(0)
	v_readfirstlane_b32 s6, v2
	v_add_u32_e32 v1, s6, v1
	v_mov_b32_e32 v2, 0
	ds_write_b32 v2, v1
.LBB113_4:
	s_or_b64 exec, exec, s[2:3]
	s_load_dwordx8 s[56:63], s[4:5], 0x0
	s_load_dword s2, s[4:5], 0x58
	s_load_dwordx8 s[64:71], s[4:5], 0x60
	v_mov_b32_e32 v1, 0
	s_waitcnt lgkmcnt(0)
	; wave barrier
	s_waitcnt lgkmcnt(0)
	ds_read_b32 v1, v1
	s_lshl_b64 s[58:59], s[58:59], 3
	s_add_u32 s4, s56, s58
	s_addc_u32 s5, s57, s59
	s_add_u32 s6, s60, s58
	s_mul_i32 s3, s73, s2
	s_mul_hi_u32 s8, s72, s2
	s_addc_u32 s7, s61, s59
	s_add_i32 s8, s8, s3
	s_waitcnt lgkmcnt(0)
	v_readfirstlane_b32 s55, v1
	s_mul_i32 s9, s72, s2
	s_cmp_lg_u64 s[68:69], 0
	s_mov_b32 s3, 0
	s_mul_i32 s2, s55, 0x4c0
	s_cselect_b64 s[68:69], -1, 0
	s_lshl_b64 s[56:57], s[2:3], 3
	s_add_u32 s60, s4, s56
	s_addc_u32 s61, s5, s57
	s_add_u32 s78, s6, s56
	s_addc_u32 s79, s7, s57
	s_add_u32 s74, s9, s55
	s_addc_u32 s75, s8, 0
	s_add_u32 s4, s64, -1
	s_addc_u32 s5, s65, -1
	v_pk_mov_b32 v[2:3], s[4:5], s[4:5] op_sel:[0,1]
	v_cmp_ge_u64_e64 s[2:3], s[74:75], v[2:3]
	s_mov_b64 s[10:11], 0
	s_mov_b64 s[6:7], -1
	s_and_b64 vcc, exec, s[2:3]
	s_mul_i32 s33, s4, 0xfffffb40
	s_waitcnt lgkmcnt(0)
	; wave barrier
	s_waitcnt lgkmcnt(0)
	s_waitcnt lgkmcnt(0)
	; wave barrier
	s_cbranch_vccz .LBB113_106
; %bb.5:
	v_pk_mov_b32 v[2:3], s[60:61], s[60:61] op_sel:[0,1]
	flat_load_dwordx2 v[2:3], v[2:3]
	s_add_i32 s81, s33, s54
	v_cmp_gt_u32_e64 s[6:7], s81, v0
	s_waitcnt vmcnt(0) lgkmcnt(0)
	v_pk_mov_b32 v[4:5], v[2:3], v[2:3] op_sel:[0,1]
	s_and_saveexec_b64 s[4:5], s[6:7]
	s_cbranch_execz .LBB113_7
; %bb.6:
	v_lshlrev_b32_e32 v1, 3, v0
	v_mov_b32_e32 v5, s61
	v_add_co_u32_e32 v4, vcc, s60, v1
	v_addc_co_u32_e32 v5, vcc, 0, v5, vcc
	flat_load_dwordx2 v[4:5], v[4:5]
.LBB113_7:
	s_or_b64 exec, exec, s[4:5]
	v_or_b32_e32 v1, 64, v0
	v_cmp_gt_u32_e64 s[8:9], s81, v1
	v_pk_mov_b32 v[6:7], v[2:3], v[2:3] op_sel:[0,1]
	s_and_saveexec_b64 s[4:5], s[8:9]
	s_cbranch_execz .LBB113_9
; %bb.8:
	v_lshlrev_b32_e32 v1, 3, v0
	v_mov_b32_e32 v7, s61
	v_add_co_u32_e32 v6, vcc, s60, v1
	v_addc_co_u32_e32 v7, vcc, 0, v7, vcc
	flat_load_dwordx2 v[6:7], v[6:7] offset:512
.LBB113_9:
	s_or_b64 exec, exec, s[4:5]
	v_or_b32_e32 v1, 0x80, v0
	v_cmp_gt_u32_e64 s[10:11], s81, v1
	v_pk_mov_b32 v[8:9], v[2:3], v[2:3] op_sel:[0,1]
	s_and_saveexec_b64 s[4:5], s[10:11]
	s_cbranch_execz .LBB113_11
; %bb.10:
	v_lshlrev_b32_e32 v1, 3, v0
	v_mov_b32_e32 v9, s61
	v_add_co_u32_e32 v8, vcc, s60, v1
	v_addc_co_u32_e32 v9, vcc, 0, v9, vcc
	flat_load_dwordx2 v[8:9], v[8:9] offset:1024
.LBB113_11:
	;; [unrolled: 13-line block ×7, first 2 shown]
	s_or_b64 exec, exec, s[4:5]
	v_or_b32_e32 v1, 0x200, v0
	v_cmp_gt_u32_e64 s[22:23], s81, v1
	v_lshlrev_b32_e32 v1, 3, v1
	v_pk_mov_b32 v[20:21], v[2:3], v[2:3] op_sel:[0,1]
	s_and_saveexec_b64 s[4:5], s[22:23]
	s_cbranch_execz .LBB113_23
; %bb.22:
	v_mov_b32_e32 v21, s61
	v_add_co_u32_e32 v20, vcc, s60, v1
	v_addc_co_u32_e32 v21, vcc, 0, v21, vcc
	flat_load_dwordx2 v[20:21], v[20:21]
.LBB113_23:
	s_or_b64 exec, exec, s[4:5]
	v_or_b32_e32 v22, 0x240, v0
	v_cmp_gt_u32_e64 s[24:25], s81, v22
	v_lshlrev_b32_e32 v40, 3, v22
	v_pk_mov_b32 v[22:23], v[2:3], v[2:3] op_sel:[0,1]
	s_and_saveexec_b64 s[4:5], s[24:25]
	s_cbranch_execz .LBB113_25
; %bb.24:
	v_mov_b32_e32 v23, s61
	v_add_co_u32_e32 v22, vcc, s60, v40
	v_addc_co_u32_e32 v23, vcc, 0, v23, vcc
	flat_load_dwordx2 v[22:23], v[22:23]
.LBB113_25:
	s_or_b64 exec, exec, s[4:5]
	v_or_b32_e32 v24, 0x280, v0
	v_cmp_gt_u32_e64 s[26:27], s81, v24
	v_lshlrev_b32_e32 v41, 3, v24
	v_pk_mov_b32 v[24:25], v[2:3], v[2:3] op_sel:[0,1]
	s_and_saveexec_b64 s[4:5], s[26:27]
	s_cbranch_execz .LBB113_27
; %bb.26:
	v_mov_b32_e32 v25, s61
	v_add_co_u32_e32 v24, vcc, s60, v41
	v_addc_co_u32_e32 v25, vcc, 0, v25, vcc
	flat_load_dwordx2 v[24:25], v[24:25]
.LBB113_27:
	s_or_b64 exec, exec, s[4:5]
	v_or_b32_e32 v26, 0x2c0, v0
	v_cmp_gt_u32_e64 s[28:29], s81, v26
	v_lshlrev_b32_e32 v42, 3, v26
	v_pk_mov_b32 v[26:27], v[2:3], v[2:3] op_sel:[0,1]
	s_and_saveexec_b64 s[4:5], s[28:29]
	s_cbranch_execz .LBB113_29
; %bb.28:
	v_mov_b32_e32 v27, s61
	v_add_co_u32_e32 v26, vcc, s60, v42
	v_addc_co_u32_e32 v27, vcc, 0, v27, vcc
	flat_load_dwordx2 v[26:27], v[26:27]
.LBB113_29:
	s_or_b64 exec, exec, s[4:5]
	v_or_b32_e32 v28, 0x300, v0
	v_cmp_gt_u32_e64 s[30:31], s81, v28
	v_lshlrev_b32_e32 v43, 3, v28
	v_pk_mov_b32 v[28:29], v[2:3], v[2:3] op_sel:[0,1]
	s_and_saveexec_b64 s[4:5], s[30:31]
	s_cbranch_execz .LBB113_31
; %bb.30:
	v_mov_b32_e32 v29, s61
	v_add_co_u32_e32 v28, vcc, s60, v43
	v_addc_co_u32_e32 v29, vcc, 0, v29, vcc
	flat_load_dwordx2 v[28:29], v[28:29]
.LBB113_31:
	s_or_b64 exec, exec, s[4:5]
	v_or_b32_e32 v30, 0x340, v0
	v_cmp_gt_u32_e64 s[34:35], s81, v30
	v_lshlrev_b32_e32 v44, 3, v30
	v_pk_mov_b32 v[30:31], v[2:3], v[2:3] op_sel:[0,1]
	s_and_saveexec_b64 s[4:5], s[34:35]
	s_cbranch_execz .LBB113_33
; %bb.32:
	v_mov_b32_e32 v31, s61
	v_add_co_u32_e32 v30, vcc, s60, v44
	v_addc_co_u32_e32 v31, vcc, 0, v31, vcc
	flat_load_dwordx2 v[30:31], v[30:31]
.LBB113_33:
	s_or_b64 exec, exec, s[4:5]
	v_or_b32_e32 v32, 0x380, v0
	v_cmp_gt_u32_e64 s[36:37], s81, v32
	v_lshlrev_b32_e32 v45, 3, v32
	v_pk_mov_b32 v[32:33], v[2:3], v[2:3] op_sel:[0,1]
	s_and_saveexec_b64 s[4:5], s[36:37]
	s_cbranch_execz .LBB113_35
; %bb.34:
	v_mov_b32_e32 v33, s61
	v_add_co_u32_e32 v32, vcc, s60, v45
	v_addc_co_u32_e32 v33, vcc, 0, v33, vcc
	flat_load_dwordx2 v[32:33], v[32:33]
.LBB113_35:
	s_or_b64 exec, exec, s[4:5]
	v_or_b32_e32 v34, 0x3c0, v0
	v_cmp_gt_u32_e64 s[38:39], s81, v34
	v_lshlrev_b32_e32 v46, 3, v34
	v_pk_mov_b32 v[34:35], v[2:3], v[2:3] op_sel:[0,1]
	s_and_saveexec_b64 s[4:5], s[38:39]
	s_cbranch_execz .LBB113_37
; %bb.36:
	v_mov_b32_e32 v35, s61
	v_add_co_u32_e32 v34, vcc, s60, v46
	v_addc_co_u32_e32 v35, vcc, 0, v35, vcc
	flat_load_dwordx2 v[34:35], v[34:35]
.LBB113_37:
	s_or_b64 exec, exec, s[4:5]
	v_or_b32_e32 v36, 0x400, v0
	v_cmp_gt_u32_e64 s[40:41], s81, v36
	v_lshlrev_b32_e32 v47, 3, v36
	v_pk_mov_b32 v[36:37], v[2:3], v[2:3] op_sel:[0,1]
	s_and_saveexec_b64 s[4:5], s[40:41]
	s_cbranch_execz .LBB113_39
; %bb.38:
	v_mov_b32_e32 v37, s61
	v_add_co_u32_e32 v36, vcc, s60, v47
	v_addc_co_u32_e32 v37, vcc, 0, v37, vcc
	flat_load_dwordx2 v[36:37], v[36:37]
.LBB113_39:
	s_or_b64 exec, exec, s[4:5]
	v_or_b32_e32 v38, 0x440, v0
	v_cmp_gt_u32_e64 s[42:43], s81, v38
	v_lshlrev_b32_e32 v49, 3, v38
	v_pk_mov_b32 v[38:39], v[2:3], v[2:3] op_sel:[0,1]
	s_and_saveexec_b64 s[4:5], s[42:43]
	s_cbranch_execz .LBB113_41
; %bb.40:
	v_mov_b32_e32 v39, s61
	v_add_co_u32_e32 v38, vcc, s60, v49
	v_addc_co_u32_e32 v39, vcc, 0, v39, vcc
	flat_load_dwordx2 v[38:39], v[38:39]
.LBB113_41:
	s_or_b64 exec, exec, s[4:5]
	v_or_b32_e32 v48, 0x480, v0
	v_cmp_gt_u32_e64 s[44:45], s81, v48
	v_lshlrev_b32_e32 v51, 3, v48
	s_and_saveexec_b64 s[4:5], s[44:45]
	s_cbranch_execz .LBB113_43
; %bb.42:
	v_mov_b32_e32 v3, s61
	v_add_co_u32_e32 v2, vcc, s60, v51
	v_addc_co_u32_e32 v3, vcc, 0, v3, vcc
	flat_load_dwordx2 v[2:3], v[2:3]
.LBB113_43:
	s_or_b64 exec, exec, s[4:5]
	v_lshlrev_b32_e32 v50, 3, v0
	s_movk_i32 s4, 0x90
	v_mad_u32_u24 v48, v0, s4, v50
	s_waitcnt vmcnt(0) lgkmcnt(0)
	ds_write2st64_b64 v50, v[4:5], v[6:7] offset1:1
	ds_write2st64_b64 v50, v[8:9], v[10:11] offset0:2 offset1:3
	ds_write2st64_b64 v50, v[12:13], v[14:15] offset0:4 offset1:5
	;; [unrolled: 1-line block ×8, first 2 shown]
	ds_write_b64 v50, v[2:3] offset:9216
	s_waitcnt lgkmcnt(0)
	; wave barrier
	s_waitcnt lgkmcnt(0)
	ds_read2_b64 v[106:109], v48 offset1:1
	ds_read2_b64 v[102:105], v48 offset0:2 offset1:3
	ds_read2_b64 v[98:101], v48 offset0:4 offset1:5
	;; [unrolled: 1-line block ×8, first 2 shown]
	ds_read_b64 v[4:5], v48 offset:144
	s_cmp_eq_u64 s[74:75], 0
	s_mov_b64 s[4:5], s[60:61]
	s_cbranch_scc1 .LBB113_47
; %bb.44:
	s_andn2_b64 vcc, exec, s[68:69]
	s_cbranch_vccnz .LBB113_259
; %bb.45:
	s_lshl_b64 s[4:5], s[74:75], 3
	s_add_u32 s4, s70, s4
	s_addc_u32 s5, s71, s5
	s_add_u32 s4, s4, -8
	s_addc_u32 s5, s5, -1
	s_cbranch_execnz .LBB113_47
.LBB113_46:
	s_add_u32 s4, s60, -8
	s_addc_u32 s5, s61, -1
.LBB113_47:
	v_pk_mov_b32 v[2:3], s[4:5], s[4:5] op_sel:[0,1]
	flat_load_dwordx2 v[8:9], v[2:3]
	s_movk_i32 s4, 0xff70
	v_mad_i32_i24 v2, v0, s4, v48
	s_waitcnt lgkmcnt(0)
	ds_write_b64 v2, v[4:5] offset:9728
	s_waitcnt lgkmcnt(0)
	; wave barrier
	s_waitcnt lgkmcnt(0)
	s_and_saveexec_b64 s[4:5], s[46:47]
	s_cbranch_execz .LBB113_49
; %bb.48:
	v_mul_i32_i24_e32 v2, 0xffffff70, v0
	v_add_u32_e32 v2, v48, v2
	s_waitcnt vmcnt(0)
	ds_read_b64 v[8:9], v2 offset:9720
.LBB113_49:
	s_or_b64 exec, exec, s[4:5]
	s_waitcnt lgkmcnt(0)
	; wave barrier
	s_waitcnt lgkmcnt(0)
                                        ; implicit-def: $vgpr2_vgpr3
	s_and_saveexec_b64 s[4:5], s[6:7]
	s_cbranch_execnz .LBB113_241
; %bb.50:
	s_or_b64 exec, exec, s[4:5]
                                        ; implicit-def: $vgpr6_vgpr7
	s_and_saveexec_b64 s[4:5], s[8:9]
	s_cbranch_execnz .LBB113_242
.LBB113_51:
	s_or_b64 exec, exec, s[4:5]
                                        ; implicit-def: $vgpr10_vgpr11
	s_and_saveexec_b64 s[4:5], s[10:11]
	s_cbranch_execnz .LBB113_243
.LBB113_52:
	s_or_b64 exec, exec, s[4:5]
                                        ; implicit-def: $vgpr12_vgpr13
	s_and_saveexec_b64 s[4:5], s[12:13]
	s_cbranch_execnz .LBB113_244
.LBB113_53:
	s_or_b64 exec, exec, s[4:5]
                                        ; implicit-def: $vgpr14_vgpr15
	s_and_saveexec_b64 s[4:5], s[14:15]
	s_cbranch_execnz .LBB113_245
.LBB113_54:
	s_or_b64 exec, exec, s[4:5]
                                        ; implicit-def: $vgpr16_vgpr17
	s_and_saveexec_b64 s[4:5], s[16:17]
	s_cbranch_execnz .LBB113_246
.LBB113_55:
	s_or_b64 exec, exec, s[4:5]
                                        ; implicit-def: $vgpr18_vgpr19
	s_and_saveexec_b64 s[4:5], s[18:19]
	s_cbranch_execnz .LBB113_247
.LBB113_56:
	s_or_b64 exec, exec, s[4:5]
                                        ; implicit-def: $vgpr20_vgpr21
	s_and_saveexec_b64 s[4:5], s[20:21]
	s_cbranch_execnz .LBB113_248
.LBB113_57:
	s_or_b64 exec, exec, s[4:5]
                                        ; implicit-def: $vgpr22_vgpr23
	s_and_saveexec_b64 s[4:5], s[22:23]
	s_cbranch_execnz .LBB113_249
.LBB113_58:
	s_or_b64 exec, exec, s[4:5]
                                        ; implicit-def: $vgpr24_vgpr25
	s_and_saveexec_b64 s[4:5], s[24:25]
	s_cbranch_execnz .LBB113_250
.LBB113_59:
	s_or_b64 exec, exec, s[4:5]
                                        ; implicit-def: $vgpr26_vgpr27
	s_and_saveexec_b64 s[4:5], s[26:27]
	s_cbranch_execnz .LBB113_251
.LBB113_60:
	s_or_b64 exec, exec, s[4:5]
                                        ; implicit-def: $vgpr28_vgpr29
	s_and_saveexec_b64 s[4:5], s[28:29]
	s_cbranch_execnz .LBB113_252
.LBB113_61:
	s_or_b64 exec, exec, s[4:5]
                                        ; implicit-def: $vgpr30_vgpr31
	s_and_saveexec_b64 s[4:5], s[30:31]
	s_cbranch_execnz .LBB113_253
.LBB113_62:
	s_or_b64 exec, exec, s[4:5]
                                        ; implicit-def: $vgpr32_vgpr33
	s_and_saveexec_b64 s[4:5], s[34:35]
	s_cbranch_execnz .LBB113_254
.LBB113_63:
	s_or_b64 exec, exec, s[4:5]
                                        ; implicit-def: $vgpr34_vgpr35
	s_and_saveexec_b64 s[4:5], s[36:37]
	s_cbranch_execnz .LBB113_255
.LBB113_64:
	s_or_b64 exec, exec, s[4:5]
                                        ; implicit-def: $vgpr36_vgpr37
	s_and_saveexec_b64 s[4:5], s[38:39]
	s_cbranch_execnz .LBB113_256
.LBB113_65:
	s_or_b64 exec, exec, s[4:5]
                                        ; implicit-def: $vgpr38_vgpr39
	s_and_saveexec_b64 s[4:5], s[40:41]
	s_cbranch_execnz .LBB113_257
.LBB113_66:
	s_or_b64 exec, exec, s[4:5]
                                        ; implicit-def: $vgpr40_vgpr41
	s_and_saveexec_b64 s[4:5], s[42:43]
	s_cbranch_execnz .LBB113_258
.LBB113_67:
	s_or_b64 exec, exec, s[4:5]
                                        ; implicit-def: $vgpr42_vgpr43
	s_and_saveexec_b64 s[4:5], s[44:45]
	s_cbranch_execz .LBB113_69
.LBB113_68:
	v_mov_b32_e32 v1, s79
	v_add_co_u32_e32 v42, vcc, s78, v51
	v_addc_co_u32_e32 v43, vcc, 0, v1, vcc
	flat_load_dwordx2 v[42:43], v[42:43]
.LBB113_69:
	s_or_b64 exec, exec, s[4:5]
	v_mul_u32_u24_e32 v49, 19, v0
	s_waitcnt vmcnt(0) lgkmcnt(0)
	ds_write2st64_b64 v50, v[2:3], v[6:7] offset1:1
	ds_write2st64_b64 v50, v[10:11], v[12:13] offset0:2 offset1:3
	ds_write2st64_b64 v50, v[14:15], v[16:17] offset0:4 offset1:5
	;; [unrolled: 1-line block ×8, first 2 shown]
	ds_write_b64 v50, v[42:43] offset:9216
	v_pk_mov_b32 v[6:7], 0, 0
	v_cmp_gt_u32_e32 vcc, s81, v49
	s_mov_b64 s[10:11], 0
	s_mov_b64 s[6:7], 0
	s_mov_b32 s80, 0
	v_mov_b32_e32 v110, 0
	v_mov_b32_e32 v126, 0
	v_pk_mov_b32 v[62:63], v[6:7], v[6:7] op_sel:[0,1]
	v_mov_b32_e32 v125, 0
	v_pk_mov_b32 v[70:71], v[6:7], v[6:7] op_sel:[0,1]
	;; [unrolled: 2-line block ×17, first 2 shown]
	s_waitcnt lgkmcnt(0)
	; wave barrier
	s_waitcnt lgkmcnt(0)
                                        ; implicit-def: $sgpr4_sgpr5
	s_and_saveexec_b64 s[8:9], vcc
	s_cbranch_execz .LBB113_105
; %bb.70:
	ds_read_b64 v[2:3], v48
	v_cmp_ne_u64_e32 vcc, v[8:9], v[106:107]
	v_add_u32_e32 v6, 1, v49
	v_cndmask_b32_e64 v1, 0, 1, vcc
	v_cmp_gt_u32_e32 vcc, s81, v6
	v_pk_mov_b32 v[6:7], 0, 0
	s_mov_b64 s[12:13], 0
	s_mov_b64 s[4:5], 0
	v_mov_b32_e32 v110, 0
	v_mov_b32_e32 v126, 0
	v_pk_mov_b32 v[62:63], v[6:7], v[6:7] op_sel:[0,1]
	v_mov_b32_e32 v125, 0
	v_pk_mov_b32 v[70:71], v[6:7], v[6:7] op_sel:[0,1]
	;; [unrolled: 2-line block ×16, first 2 shown]
                                        ; implicit-def: $sgpr14_sgpr15
	s_and_saveexec_b64 s[10:11], vcc
	s_cbranch_execz .LBB113_104
; %bb.71:
	ds_read2_b64 v[14:17], v48 offset0:1 offset1:2
	v_cmp_ne_u64_e32 vcc, v[106:107], v[108:109]
	v_add_u32_e32 v6, 2, v49
	v_cndmask_b32_e64 v112, 0, 1, vcc
	v_cmp_gt_u32_e32 vcc, s81, v6
	v_pk_mov_b32 v[6:7], 0, 0
	s_mov_b64 s[16:17], 0
	v_mov_b32_e32 v110, 0
	v_mov_b32_e32 v126, 0
	v_pk_mov_b32 v[62:63], v[6:7], v[6:7] op_sel:[0,1]
	v_mov_b32_e32 v125, 0
	v_pk_mov_b32 v[70:71], v[6:7], v[6:7] op_sel:[0,1]
	v_mov_b32_e32 v124, 0
	v_pk_mov_b32 v[54:55], v[6:7], v[6:7] op_sel:[0,1]
	v_mov_b32_e32 v123, 0
	v_pk_mov_b32 v[66:67], v[6:7], v[6:7] op_sel:[0,1]
	v_mov_b32_e32 v122, 0
	v_pk_mov_b32 v[46:47], v[6:7], v[6:7] op_sel:[0,1]
	v_mov_b32_e32 v121, 0
	v_pk_mov_b32 v[58:59], v[6:7], v[6:7] op_sel:[0,1]
	v_mov_b32_e32 v120, 0
	v_pk_mov_b32 v[38:39], v[6:7], v[6:7] op_sel:[0,1]
	v_mov_b32_e32 v119, 0
	v_pk_mov_b32 v[50:51], v[6:7], v[6:7] op_sel:[0,1]
	v_mov_b32_e32 v118, 0
	v_pk_mov_b32 v[30:31], v[6:7], v[6:7] op_sel:[0,1]
	v_mov_b32_e32 v117, 0
	v_pk_mov_b32 v[42:43], v[6:7], v[6:7] op_sel:[0,1]
	v_mov_b32_e32 v116, 0
	v_pk_mov_b32 v[26:27], v[6:7], v[6:7] op_sel:[0,1]
	v_mov_b32_e32 v115, 0
	v_pk_mov_b32 v[34:35], v[6:7], v[6:7] op_sel:[0,1]
	v_mov_b32_e32 v114, 0
	v_pk_mov_b32 v[18:19], v[6:7], v[6:7] op_sel:[0,1]
	v_mov_b32_e32 v113, 0
	v_pk_mov_b32 v[22:23], v[6:7], v[6:7] op_sel:[0,1]
	v_mov_b32_e32 v111, 0
	v_pk_mov_b32 v[10:11], v[6:7], v[6:7] op_sel:[0,1]
                                        ; implicit-def: $sgpr14_sgpr15
	s_and_saveexec_b64 s[12:13], vcc
	s_cbranch_execz .LBB113_103
; %bb.72:
	v_cmp_ne_u64_e32 vcc, v[108:109], v[102:103]
	v_add_u32_e32 v6, 3, v49
	v_cndmask_b32_e64 v111, 0, 1, vcc
	v_cmp_gt_u32_e32 vcc, s81, v6
	v_pk_mov_b32 v[6:7], 0, 0
	s_waitcnt lgkmcnt(0)
	v_mov_b32_e32 v10, v16
	v_mov_b32_e32 v11, v17
	;; [unrolled: 1-line block ×4, first 2 shown]
	v_pk_mov_b32 v[62:63], v[6:7], v[6:7] op_sel:[0,1]
	v_mov_b32_e32 v125, 0
	v_pk_mov_b32 v[70:71], v[6:7], v[6:7] op_sel:[0,1]
	v_mov_b32_e32 v124, 0
	;; [unrolled: 2-line block ×13, first 2 shown]
	v_pk_mov_b32 v[22:23], v[6:7], v[6:7] op_sel:[0,1]
                                        ; implicit-def: $sgpr18_sgpr19
	s_and_saveexec_b64 s[14:15], vcc
	s_cbranch_execz .LBB113_102
; %bb.73:
	ds_read2_b64 v[22:25], v48 offset0:3 offset1:4
	v_cmp_ne_u64_e32 vcc, v[102:103], v[104:105]
	v_add_u32_e32 v6, 4, v49
	v_cndmask_b32_e64 v113, 0, 1, vcc
	v_cmp_gt_u32_e32 vcc, s81, v6
	v_pk_mov_b32 v[6:7], 0, 0
	s_mov_b64 s[20:21], 0
	v_mov_b32_e32 v110, 0
	v_mov_b32_e32 v126, 0
	v_pk_mov_b32 v[62:63], v[6:7], v[6:7] op_sel:[0,1]
	v_mov_b32_e32 v125, 0
	v_pk_mov_b32 v[70:71], v[6:7], v[6:7] op_sel:[0,1]
	;; [unrolled: 2-line block ×13, first 2 shown]
                                        ; implicit-def: $sgpr18_sgpr19
	s_and_saveexec_b64 s[16:17], vcc
	s_cbranch_execz .LBB113_101
; %bb.74:
	v_cmp_ne_u64_e32 vcc, v[104:105], v[98:99]
	v_add_u32_e32 v6, 5, v49
	v_cndmask_b32_e64 v114, 0, 1, vcc
	v_cmp_gt_u32_e32 vcc, s81, v6
	v_pk_mov_b32 v[6:7], 0, 0
	s_waitcnt lgkmcnt(0)
	v_mov_b32_e32 v18, v24
	v_mov_b32_e32 v19, v25
	;; [unrolled: 1-line block ×4, first 2 shown]
	v_pk_mov_b32 v[62:63], v[6:7], v[6:7] op_sel:[0,1]
	v_mov_b32_e32 v125, 0
	v_pk_mov_b32 v[70:71], v[6:7], v[6:7] op_sel:[0,1]
	v_mov_b32_e32 v124, 0
	;; [unrolled: 2-line block ×11, first 2 shown]
	v_pk_mov_b32 v[34:35], v[6:7], v[6:7] op_sel:[0,1]
                                        ; implicit-def: $sgpr22_sgpr23
	s_and_saveexec_b64 s[18:19], vcc
	s_cbranch_execz .LBB113_100
; %bb.75:
	ds_read2_b64 v[34:37], v48 offset0:5 offset1:6
	v_cmp_ne_u64_e32 vcc, v[98:99], v[100:101]
	v_add_u32_e32 v6, 6, v49
	v_cndmask_b32_e64 v115, 0, 1, vcc
	v_cmp_gt_u32_e32 vcc, s81, v6
	v_pk_mov_b32 v[6:7], 0, 0
	s_mov_b64 s[24:25], 0
	v_mov_b32_e32 v110, 0
	v_mov_b32_e32 v126, 0
	v_pk_mov_b32 v[62:63], v[6:7], v[6:7] op_sel:[0,1]
	v_mov_b32_e32 v125, 0
	v_pk_mov_b32 v[70:71], v[6:7], v[6:7] op_sel:[0,1]
	;; [unrolled: 2-line block ×11, first 2 shown]
                                        ; implicit-def: $sgpr22_sgpr23
	s_and_saveexec_b64 s[20:21], vcc
	s_cbranch_execz .LBB113_99
; %bb.76:
	v_cmp_ne_u64_e32 vcc, v[100:101], v[94:95]
	v_add_u32_e32 v6, 7, v49
	v_cndmask_b32_e64 v116, 0, 1, vcc
	v_cmp_gt_u32_e32 vcc, s81, v6
	v_pk_mov_b32 v[6:7], 0, 0
	s_waitcnt lgkmcnt(0)
	v_mov_b32_e32 v26, v36
	v_mov_b32_e32 v27, v37
	;; [unrolled: 1-line block ×4, first 2 shown]
	v_pk_mov_b32 v[62:63], v[6:7], v[6:7] op_sel:[0,1]
	v_mov_b32_e32 v125, 0
	v_pk_mov_b32 v[70:71], v[6:7], v[6:7] op_sel:[0,1]
	v_mov_b32_e32 v124, 0
	;; [unrolled: 2-line block ×9, first 2 shown]
	v_pk_mov_b32 v[42:43], v[6:7], v[6:7] op_sel:[0,1]
                                        ; implicit-def: $sgpr26_sgpr27
	s_and_saveexec_b64 s[22:23], vcc
	s_cbranch_execz .LBB113_98
; %bb.77:
	ds_read2_b64 v[42:45], v48 offset0:7 offset1:8
	v_cmp_ne_u64_e32 vcc, v[94:95], v[96:97]
	v_add_u32_e32 v6, 8, v49
	v_cndmask_b32_e64 v117, 0, 1, vcc
	v_cmp_gt_u32_e32 vcc, s81, v6
	v_pk_mov_b32 v[6:7], 0, 0
	s_mov_b64 s[28:29], 0
	v_mov_b32_e32 v110, 0
	v_mov_b32_e32 v126, 0
	v_pk_mov_b32 v[62:63], v[6:7], v[6:7] op_sel:[0,1]
	v_mov_b32_e32 v125, 0
	v_pk_mov_b32 v[70:71], v[6:7], v[6:7] op_sel:[0,1]
	;; [unrolled: 2-line block ×9, first 2 shown]
                                        ; implicit-def: $sgpr26_sgpr27
	s_and_saveexec_b64 s[24:25], vcc
	s_cbranch_execz .LBB113_97
; %bb.78:
	v_cmp_ne_u64_e32 vcc, v[96:97], v[90:91]
	v_add_u32_e32 v6, 9, v49
	v_cndmask_b32_e64 v118, 0, 1, vcc
	v_cmp_gt_u32_e32 vcc, s81, v6
	v_pk_mov_b32 v[6:7], 0, 0
	s_waitcnt lgkmcnt(0)
	v_mov_b32_e32 v30, v44
	v_mov_b32_e32 v31, v45
	v_mov_b32_e32 v110, 0
	v_mov_b32_e32 v126, 0
	v_pk_mov_b32 v[62:63], v[6:7], v[6:7] op_sel:[0,1]
	v_mov_b32_e32 v125, 0
	v_pk_mov_b32 v[70:71], v[6:7], v[6:7] op_sel:[0,1]
	v_mov_b32_e32 v124, 0
	;; [unrolled: 2-line block ×7, first 2 shown]
	v_pk_mov_b32 v[50:51], v[6:7], v[6:7] op_sel:[0,1]
                                        ; implicit-def: $sgpr30_sgpr31
	s_and_saveexec_b64 s[26:27], vcc
	s_cbranch_execz .LBB113_96
; %bb.79:
	ds_read2_b64 v[50:53], v48 offset0:9 offset1:10
	v_cmp_ne_u64_e32 vcc, v[90:91], v[92:93]
	v_add_u32_e32 v6, 10, v49
	v_cndmask_b32_e64 v119, 0, 1, vcc
	v_cmp_gt_u32_e32 vcc, s81, v6
	v_pk_mov_b32 v[6:7], 0, 0
	s_mov_b64 s[34:35], 0
	v_mov_b32_e32 v110, 0
	v_mov_b32_e32 v126, 0
	v_pk_mov_b32 v[62:63], v[6:7], v[6:7] op_sel:[0,1]
	v_mov_b32_e32 v125, 0
	v_pk_mov_b32 v[70:71], v[6:7], v[6:7] op_sel:[0,1]
	v_mov_b32_e32 v124, 0
	v_pk_mov_b32 v[54:55], v[6:7], v[6:7] op_sel:[0,1]
	v_mov_b32_e32 v123, 0
	v_pk_mov_b32 v[66:67], v[6:7], v[6:7] op_sel:[0,1]
	v_mov_b32_e32 v122, 0
	v_pk_mov_b32 v[46:47], v[6:7], v[6:7] op_sel:[0,1]
	v_mov_b32_e32 v121, 0
	v_pk_mov_b32 v[58:59], v[6:7], v[6:7] op_sel:[0,1]
	v_mov_b32_e32 v120, 0
	v_pk_mov_b32 v[38:39], v[6:7], v[6:7] op_sel:[0,1]
                                        ; implicit-def: $sgpr30_sgpr31
	s_and_saveexec_b64 s[28:29], vcc
	s_cbranch_execz .LBB113_95
; %bb.80:
	v_cmp_ne_u64_e32 vcc, v[92:93], v[86:87]
	v_add_u32_e32 v6, 11, v49
	v_cndmask_b32_e64 v120, 0, 1, vcc
	v_cmp_gt_u32_e32 vcc, s81, v6
	v_pk_mov_b32 v[6:7], 0, 0
	s_waitcnt lgkmcnt(0)
	v_mov_b32_e32 v38, v52
	v_mov_b32_e32 v39, v53
	;; [unrolled: 1-line block ×4, first 2 shown]
	v_pk_mov_b32 v[62:63], v[6:7], v[6:7] op_sel:[0,1]
	v_mov_b32_e32 v125, 0
	v_pk_mov_b32 v[70:71], v[6:7], v[6:7] op_sel:[0,1]
	v_mov_b32_e32 v124, 0
	;; [unrolled: 2-line block ×5, first 2 shown]
	v_pk_mov_b32 v[58:59], v[6:7], v[6:7] op_sel:[0,1]
                                        ; implicit-def: $sgpr36_sgpr37
	s_and_saveexec_b64 s[30:31], vcc
	s_cbranch_execz .LBB113_94
; %bb.81:
	ds_read2_b64 v[58:61], v48 offset0:11 offset1:12
	v_cmp_ne_u64_e32 vcc, v[86:87], v[88:89]
	v_add_u32_e32 v6, 12, v49
	v_cndmask_b32_e64 v121, 0, 1, vcc
	v_cmp_gt_u32_e32 vcc, s81, v6
	v_pk_mov_b32 v[6:7], 0, 0
	s_mov_b64 s[38:39], 0
	v_mov_b32_e32 v110, 0
	v_mov_b32_e32 v126, 0
	v_pk_mov_b32 v[62:63], v[6:7], v[6:7] op_sel:[0,1]
	v_mov_b32_e32 v125, 0
	v_pk_mov_b32 v[70:71], v[6:7], v[6:7] op_sel:[0,1]
	;; [unrolled: 2-line block ×5, first 2 shown]
                                        ; implicit-def: $sgpr36_sgpr37
	s_and_saveexec_b64 s[34:35], vcc
	s_cbranch_execz .LBB113_93
; %bb.82:
	v_cmp_ne_u64_e32 vcc, v[88:89], v[82:83]
	v_add_u32_e32 v6, 13, v49
	v_cndmask_b32_e64 v122, 0, 1, vcc
	v_cmp_gt_u32_e32 vcc, s81, v6
	v_pk_mov_b32 v[6:7], 0, 0
	s_waitcnt lgkmcnt(0)
	v_mov_b32_e32 v46, v60
	v_mov_b32_e32 v47, v61
	;; [unrolled: 1-line block ×4, first 2 shown]
	v_pk_mov_b32 v[62:63], v[6:7], v[6:7] op_sel:[0,1]
	v_mov_b32_e32 v125, 0
	v_pk_mov_b32 v[70:71], v[6:7], v[6:7] op_sel:[0,1]
	v_mov_b32_e32 v124, 0
	;; [unrolled: 2-line block ×3, first 2 shown]
	v_pk_mov_b32 v[66:67], v[6:7], v[6:7] op_sel:[0,1]
                                        ; implicit-def: $sgpr40_sgpr41
	s_and_saveexec_b64 s[36:37], vcc
	s_cbranch_execz .LBB113_92
; %bb.83:
	ds_read2_b64 v[66:69], v48 offset0:13 offset1:14
	v_cmp_ne_u64_e32 vcc, v[82:83], v[84:85]
	v_add_u32_e32 v6, 14, v49
	v_cndmask_b32_e64 v123, 0, 1, vcc
	v_cmp_gt_u32_e32 vcc, s81, v6
	v_pk_mov_b32 v[6:7], 0, 0
	s_mov_b64 s[42:43], 0
	v_mov_b32_e32 v110, 0
	v_mov_b32_e32 v126, 0
	v_pk_mov_b32 v[62:63], v[6:7], v[6:7] op_sel:[0,1]
	v_mov_b32_e32 v125, 0
	v_pk_mov_b32 v[70:71], v[6:7], v[6:7] op_sel:[0,1]
	;; [unrolled: 2-line block ×3, first 2 shown]
                                        ; implicit-def: $sgpr40_sgpr41
	s_and_saveexec_b64 s[38:39], vcc
	s_cbranch_execz .LBB113_91
; %bb.84:
	v_cmp_ne_u64_e32 vcc, v[84:85], v[78:79]
	v_add_u32_e32 v6, 15, v49
	v_cndmask_b32_e64 v124, 0, 1, vcc
	v_cmp_gt_u32_e32 vcc, s81, v6
	v_pk_mov_b32 v[6:7], 0, 0
	s_waitcnt lgkmcnt(0)
	v_mov_b32_e32 v54, v68
	v_mov_b32_e32 v55, v69
	;; [unrolled: 1-line block ×4, first 2 shown]
	v_pk_mov_b32 v[62:63], v[6:7], v[6:7] op_sel:[0,1]
	v_mov_b32_e32 v125, 0
	v_pk_mov_b32 v[70:71], v[6:7], v[6:7] op_sel:[0,1]
                                        ; implicit-def: $sgpr44_sgpr45
	s_and_saveexec_b64 s[40:41], vcc
	s_cbranch_execz .LBB113_90
; %bb.85:
	ds_read2_b64 v[70:73], v48 offset0:15 offset1:16
	v_cmp_ne_u64_e32 vcc, v[78:79], v[80:81]
	v_add_u32_e32 v6, 16, v49
	v_cndmask_b32_e64 v125, 0, 1, vcc
	v_cmp_gt_u32_e32 vcc, s81, v6
	v_pk_mov_b32 v[6:7], 0, 0
	s_mov_b64 s[44:45], 0
	v_mov_b32_e32 v110, 0
	v_mov_b32_e32 v126, 0
	v_pk_mov_b32 v[62:63], v[6:7], v[6:7] op_sel:[0,1]
                                        ; implicit-def: $sgpr64_sgpr65
	s_and_saveexec_b64 s[42:43], vcc
	s_cbranch_execz .LBB113_89
; %bb.86:
	v_cmp_ne_u64_e32 vcc, v[80:81], v[74:75]
	v_add_u32_e32 v6, 17, v49
	s_waitcnt lgkmcnt(0)
	v_mov_b32_e32 v62, v72
	v_mov_b32_e32 v63, v73
	v_cndmask_b32_e64 v126, 0, 1, vcc
	v_cmp_gt_u32_e32 vcc, s81, v6
	v_mov_b32_e32 v110, 0
	v_pk_mov_b32 v[6:7], 0, 0
                                        ; implicit-def: $sgpr64_sgpr65
	s_and_saveexec_b64 s[4:5], vcc
	s_xor_b64 s[76:77], exec, s[4:5]
	s_cbranch_execz .LBB113_88
; %bb.87:
	ds_read2_b64 v[6:9], v48 offset0:17 offset1:18
	v_cmp_ne_u64_e32 vcc, v[76:77], v[4:5]
	v_cmp_ne_u64_e64 s[4:5], v[74:75], v[76:77]
	v_add_u32_e32 v4, 18, v49
	v_cndmask_b32_e64 v110, 0, 1, s[4:5]
	v_cmp_gt_u32_e64 s[4:5], s81, v4
	s_and_b64 s[64:65], vcc, exec
	s_and_b64 s[44:45], s[4:5], exec
	s_waitcnt lgkmcnt(0)
	v_pk_mov_b32 v[64:65], v[6:7], v[6:7] op_sel:[0,1]
.LBB113_88:
	s_or_b64 exec, exec, s[76:77]
	s_and_b64 s[64:65], s[64:65], exec
	s_and_b64 s[4:5], s[44:45], exec
.LBB113_89:
	s_or_b64 exec, exec, s[42:43]
	s_and_b64 s[44:45], s[64:65], exec
	s_and_b64 s[42:43], s[4:5], exec
	s_waitcnt lgkmcnt(0)
	v_pk_mov_b32 v[56:57], v[70:71], v[70:71] op_sel:[0,1]
	v_pk_mov_b32 v[48:49], v[66:67], v[66:67] op_sel:[0,1]
	;; [unrolled: 1-line block ×8, first 2 shown]
.LBB113_90:
	s_or_b64 exec, exec, s[40:41]
	s_and_b64 s[40:41], s[44:45], exec
	s_and_b64 s[4:5], s[42:43], exec
.LBB113_91:
	s_or_b64 exec, exec, s[38:39]
	s_and_b64 s[40:41], s[40:41], exec
	s_and_b64 s[38:39], s[4:5], exec
.LBB113_92:
	s_or_b64 exec, exec, s[36:37]
	s_and_b64 s[36:37], s[40:41], exec
	s_and_b64 s[4:5], s[38:39], exec
.LBB113_93:
	s_or_b64 exec, exec, s[34:35]
	s_and_b64 s[36:37], s[36:37], exec
	s_and_b64 s[34:35], s[4:5], exec
.LBB113_94:
	s_or_b64 exec, exec, s[30:31]
	s_and_b64 s[30:31], s[36:37], exec
	s_and_b64 s[4:5], s[34:35], exec
.LBB113_95:
	s_or_b64 exec, exec, s[28:29]
	s_and_b64 s[30:31], s[30:31], exec
	s_and_b64 s[28:29], s[4:5], exec
.LBB113_96:
	s_or_b64 exec, exec, s[26:27]
	s_and_b64 s[26:27], s[30:31], exec
	s_and_b64 s[4:5], s[28:29], exec
.LBB113_97:
	s_or_b64 exec, exec, s[24:25]
	s_and_b64 s[26:27], s[26:27], exec
	s_and_b64 s[24:25], s[4:5], exec
.LBB113_98:
	s_or_b64 exec, exec, s[22:23]
	s_and_b64 s[22:23], s[26:27], exec
	s_and_b64 s[4:5], s[24:25], exec
.LBB113_99:
	s_or_b64 exec, exec, s[20:21]
	s_and_b64 s[22:23], s[22:23], exec
	s_and_b64 s[20:21], s[4:5], exec
.LBB113_100:
	s_or_b64 exec, exec, s[18:19]
	s_and_b64 s[18:19], s[22:23], exec
	s_and_b64 s[4:5], s[20:21], exec
.LBB113_101:
	s_or_b64 exec, exec, s[16:17]
	s_and_b64 s[18:19], s[18:19], exec
	s_and_b64 s[16:17], s[4:5], exec
.LBB113_102:
	s_or_b64 exec, exec, s[14:15]
	s_and_b64 s[14:15], s[18:19], exec
	s_and_b64 s[4:5], s[16:17], exec
.LBB113_103:
	s_or_b64 exec, exec, s[12:13]
	s_and_b64 s[14:15], s[14:15], exec
	s_and_b64 s[12:13], s[4:5], exec
.LBB113_104:
	s_or_b64 exec, exec, s[10:11]
	s_and_b64 s[4:5], s[14:15], exec
	s_and_b64 s[10:11], s[12:13], exec
.LBB113_105:
	s_or_b64 exec, exec, s[8:9]
	s_mov_b64 s[8:9], 0
	s_and_b64 vcc, exec, s[6:7]
	v_lshlrev_b32_e32 v127, 3, v0
	s_cbranch_vccnz .LBB113_107
	s_branch .LBB113_115
.LBB113_106:
                                        ; implicit-def: $sgpr4_sgpr5
                                        ; implicit-def: $vgpr8_vgpr9
                                        ; implicit-def: $vgpr110
                                        ; implicit-def: $vgpr64_vgpr65
                                        ; implicit-def: $vgpr126
                                        ; implicit-def: $vgpr125
                                        ; implicit-def: $vgpr56_vgpr57
                                        ; implicit-def: $vgpr124
                                        ; implicit-def: $vgpr123
                                        ; implicit-def: $vgpr48_vgpr49
                                        ; implicit-def: $vgpr122
                                        ; implicit-def: $vgpr121
                                        ; implicit-def: $vgpr40_vgpr41
                                        ; implicit-def: $vgpr120
                                        ; implicit-def: $vgpr119
                                        ; implicit-def: $vgpr32_vgpr33
                                        ; implicit-def: $vgpr118
                                        ; implicit-def: $vgpr117
                                        ; implicit-def: $vgpr28_vgpr29
                                        ; implicit-def: $vgpr116
                                        ; implicit-def: $vgpr115
                                        ; implicit-def: $vgpr20_vgpr21
                                        ; implicit-def: $vgpr114
                                        ; implicit-def: $vgpr113
                                        ; implicit-def: $vgpr12_vgpr13
                                        ; implicit-def: $vgpr111
                                        ; implicit-def: $vgpr112
                                        ; implicit-def: $vgpr4_vgpr5
                                        ; implicit-def: $vgpr1
                                        ; implicit-def: $sgpr80
                                        ; implicit-def: $sgpr8_sgpr9
                                        ; implicit-def: $vgpr70_vgpr71
                                        ; implicit-def: $vgpr66_vgpr67
                                        ; implicit-def: $vgpr58_vgpr59
                                        ; implicit-def: $vgpr50_vgpr51
                                        ; implicit-def: $vgpr42_vgpr43
                                        ; implicit-def: $vgpr34_vgpr35
                                        ; implicit-def: $vgpr22_vgpr23
                                        ; implicit-def: $vgpr14_vgpr15
	s_and_b64 vcc, exec, s[6:7]
	v_lshlrev_b32_e32 v127, 3, v0
	s_cbranch_vccz .LBB113_115
.LBB113_107:
	v_mov_b32_e32 v1, s61
	s_waitcnt lgkmcnt(0)
	v_add_co_u32_e32 v2, vcc, s60, v127
	v_addc_co_u32_e32 v3, vcc, 0, v1, vcc
	v_add_co_u32_e32 v20, vcc, 0x1000, v2
	v_addc_co_u32_e32 v21, vcc, 0, v3, vcc
	flat_load_dwordx2 v[4:5], v[2:3]
	flat_load_dwordx2 v[6:7], v[2:3] offset:512
	flat_load_dwordx2 v[8:9], v[2:3] offset:1024
	;; [unrolled: 1-line block ×7, first 2 shown]
	v_add_co_u32_e32 v2, vcc, 0x2000, v2
	v_addc_co_u32_e32 v3, vcc, 0, v3, vcc
	flat_load_dwordx2 v[22:23], v[20:21]
	flat_load_dwordx2 v[24:25], v[20:21] offset:512
	flat_load_dwordx2 v[26:27], v[20:21] offset:1024
	;; [unrolled: 1-line block ×7, first 2 shown]
	s_nop 0
	flat_load_dwordx2 v[20:21], v[2:3]
	flat_load_dwordx2 v[38:39], v[2:3] offset:512
	flat_load_dwordx2 v[40:41], v[2:3] offset:1024
	s_movk_i32 s4, 0x90
	v_mad_u32_u24 v1, v0, s4, v127
	s_cmp_eq_u64 s[74:75], 0
	s_waitcnt vmcnt(0) lgkmcnt(0)
	ds_write2st64_b64 v127, v[4:5], v[6:7] offset1:1
	ds_write2st64_b64 v127, v[8:9], v[10:11] offset0:2 offset1:3
	ds_write2st64_b64 v127, v[12:13], v[14:15] offset0:4 offset1:5
	ds_write2st64_b64 v127, v[16:17], v[18:19] offset0:6 offset1:7
	ds_write2st64_b64 v127, v[22:23], v[24:25] offset0:8 offset1:9
	ds_write2st64_b64 v127, v[26:27], v[28:29] offset0:10 offset1:11
	ds_write2st64_b64 v127, v[30:31], v[32:33] offset0:12 offset1:13
	ds_write2st64_b64 v127, v[34:35], v[36:37] offset0:14 offset1:15
	ds_write2st64_b64 v127, v[20:21], v[38:39] offset0:16 offset1:17
	ds_write_b64 v127, v[40:41] offset:9216
	s_waitcnt lgkmcnt(0)
	; wave barrier
	s_waitcnt lgkmcnt(0)
	ds_read2_b64 v[14:17], v1 offset1:1
	ds_read2_b64 v[2:5], v1 offset0:2 offset1:3
	ds_read2_b64 v[6:9], v1 offset0:4 offset1:5
	;; [unrolled: 1-line block ×8, first 2 shown]
	ds_read_b64 v[38:39], v1 offset:144
	s_cbranch_scc1 .LBB113_112
; %bb.108:
	s_andn2_b64 vcc, exec, s[68:69]
	s_cbranch_vccnz .LBB113_260
; %bb.109:
	s_lshl_b64 s[4:5], s[74:75], 3
	s_add_u32 s4, s70, s4
	s_addc_u32 s5, s71, s5
	s_add_u32 s4, s4, -8
	s_addc_u32 s5, s5, -1
	s_cbranch_execnz .LBB113_111
.LBB113_110:
	s_add_u32 s4, s60, -8
	s_addc_u32 s5, s61, -1
.LBB113_111:
	s_mov_b64 s[60:61], s[4:5]
.LBB113_112:
	v_pk_mov_b32 v[40:41], s[60:61], s[60:61] op_sel:[0,1]
	flat_load_dwordx2 v[42:43], v[40:41]
	s_movk_i32 s4, 0xff70
	v_mad_i32_i24 v40, v0, s4, v1
	s_waitcnt lgkmcnt(0)
	ds_write_b64 v40, v[38:39] offset:9728
	s_waitcnt lgkmcnt(0)
	; wave barrier
	s_waitcnt lgkmcnt(0)
	s_and_saveexec_b64 s[4:5], s[46:47]
	s_cbranch_execz .LBB113_114
; %bb.113:
	v_mul_i32_i24_e32 v40, 0xffffff70, v0
	v_add_u32_e32 v40, v1, v40
	s_waitcnt vmcnt(0)
	ds_read_b64 v[42:43], v40 offset:9720
.LBB113_114:
	s_or_b64 exec, exec, s[4:5]
	v_mov_b32_e32 v41, s79
	v_add_co_u32_e32 v40, vcc, s78, v127
	v_addc_co_u32_e32 v41, vcc, 0, v41, vcc
	s_movk_i32 s4, 0x1000
	v_add_co_u32_e32 v60, vcc, s4, v40
	v_addc_co_u32_e32 v61, vcc, 0, v41, vcc
	s_movk_i32 s4, 0x2000
	s_waitcnt lgkmcnt(0)
	; wave barrier
	s_waitcnt lgkmcnt(0)
	flat_load_dwordx2 v[44:45], v[40:41]
	flat_load_dwordx2 v[46:47], v[40:41] offset:512
	flat_load_dwordx2 v[48:49], v[40:41] offset:1024
	;; [unrolled: 1-line block ×7, first 2 shown]
	v_add_co_u32_e32 v40, vcc, s4, v40
	v_addc_co_u32_e32 v41, vcc, 0, v41, vcc
	flat_load_dwordx2 v[62:63], v[60:61]
	flat_load_dwordx2 v[64:65], v[60:61] offset:512
	flat_load_dwordx2 v[66:67], v[60:61] offset:1024
	;; [unrolled: 1-line block ×7, first 2 shown]
	s_nop 0
	flat_load_dwordx2 v[60:61], v[40:41]
	flat_load_dwordx2 v[78:79], v[40:41] offset:512
	flat_load_dwordx2 v[80:81], v[40:41] offset:1024
	v_cmp_ne_u64_e32 vcc, v[34:35], v[36:37]
	v_cndmask_b32_e64 v110, 0, 1, vcc
	v_cmp_ne_u64_e32 vcc, v[32:33], v[34:35]
	v_cndmask_b32_e64 v126, 0, 1, vcc
	;; [unrolled: 2-line block ×14, first 2 shown]
	v_cmp_ne_u64_e32 vcc, v[2:3], v[4:5]
	v_cmp_ne_u64_e64 s[4:5], v[36:37], v[38:39]
	v_cndmask_b32_e64 v113, 0, 1, vcc
	v_cmp_ne_u64_e32 vcc, v[16:17], v[2:3]
	v_cndmask_b32_e64 v111, 0, 1, vcc
	v_cmp_ne_u64_e32 vcc, v[14:15], v[16:17]
	v_cndmask_b32_e64 v112, 0, 1, vcc
	s_waitcnt vmcnt(0)
	v_cmp_ne_u64_e32 vcc, v[42:43], v[14:15]
	s_mov_b64 s[10:11], -1
                                        ; implicit-def: $sgpr80
                                        ; implicit-def: $sgpr8_sgpr9
                                        ; implicit-def: $vgpr42_vgpr43
                                        ; implicit-def: $vgpr34_vgpr35
                                        ; implicit-def: $vgpr22_vgpr23
                                        ; implicit-def: $vgpr14_vgpr15
	s_waitcnt lgkmcnt(0)
	ds_write2st64_b64 v127, v[44:45], v[46:47] offset1:1
	ds_write2st64_b64 v127, v[48:49], v[50:51] offset0:2 offset1:3
	ds_write2st64_b64 v127, v[52:53], v[54:55] offset0:4 offset1:5
	;; [unrolled: 1-line block ×8, first 2 shown]
	ds_write_b64 v127, v[80:81] offset:9216
	s_waitcnt lgkmcnt(0)
	; wave barrier
	s_waitcnt lgkmcnt(0)
	ds_read2_b64 v[2:5], v1 offset1:1
	ds_read2_b64 v[10:13], v1 offset0:2 offset1:3
	ds_read2_b64 v[18:21], v1 offset0:4 offset1:5
	;; [unrolled: 1-line block ×8, first 2 shown]
	ds_read_b64 v[8:9], v1 offset:144
	v_cndmask_b32_e64 v1, 0, 1, vcc
                                        ; implicit-def: $vgpr70_vgpr71
                                        ; implicit-def: $vgpr66_vgpr67
                                        ; implicit-def: $vgpr58_vgpr59
                                        ; implicit-def: $vgpr50_vgpr51
.LBB113_115:
	s_waitcnt lgkmcnt(0)
	v_pk_mov_b32 v[16:17], s[8:9], s[8:9] op_sel:[0,1]
	v_mov_b32_e32 v36, s80
	s_and_saveexec_b64 s[6:7], s[10:11]
; %bb.116:
	v_cndmask_b32_e64 v36, 0, 1, s[4:5]
	v_pk_mov_b32 v[14:15], v[4:5], v[4:5] op_sel:[0,1]
	v_pk_mov_b32 v[22:23], v[12:13], v[12:13] op_sel:[0,1]
	;; [unrolled: 1-line block ×10, first 2 shown]
; %bb.117:
	s_or_b64 exec, exec, s[6:7]
	v_or_b32_e32 v4, v36, v110
	s_cmp_lg_u32 s55, 0
	v_or_b32_e32 v29, v4, v126
	v_mbcnt_lo_u32_b32 v28, -1, 0
	s_waitcnt lgkmcnt(0)
	; wave barrier
	s_cbranch_scc0 .LBB113_176
; %bb.118:
	v_mov_b32_e32 v4, 0
	v_cmp_eq_u16_sdwa s[42:43], v112, v4 src0_sel:BYTE_0 src1_sel:DWORD
	v_cndmask_b32_e64 v9, 0, v2, s[42:43]
	v_cndmask_b32_e64 v5, 0, v3, s[42:43]
	v_add_co_u32_e32 v9, vcc, v9, v14
	v_cmp_eq_u16_sdwa s[40:41], v111, v4 src0_sel:BYTE_0 src1_sel:DWORD
	v_addc_co_u32_e32 v5, vcc, v5, v15, vcc
	v_cndmask_b32_e64 v9, 0, v9, s[40:41]
	v_cndmask_b32_e64 v5, 0, v5, s[40:41]
	v_add_co_u32_e32 v9, vcc, v9, v10
	v_cmp_eq_u16_sdwa s[38:39], v113, v4 src0_sel:BYTE_0 src1_sel:DWORD
	v_addc_co_u32_e32 v5, vcc, v5, v11, vcc
	v_cndmask_b32_e64 v9, 0, v9, s[38:39]
	v_cndmask_b32_e64 v5, 0, v5, s[38:39]
	v_add_co_u32_e32 v9, vcc, v9, v22
	v_cmp_eq_u16_sdwa s[36:37], v114, v4 src0_sel:BYTE_0 src1_sel:DWORD
	v_addc_co_u32_e32 v5, vcc, v5, v23, vcc
	v_cndmask_b32_e64 v9, 0, v9, s[36:37]
	v_cndmask_b32_e64 v5, 0, v5, s[36:37]
	v_add_co_u32_e32 v9, vcc, v9, v18
	v_cmp_eq_u16_sdwa s[34:35], v115, v4 src0_sel:BYTE_0 src1_sel:DWORD
	v_addc_co_u32_e32 v5, vcc, v5, v19, vcc
	v_cndmask_b32_e64 v9, 0, v9, s[34:35]
	v_cndmask_b32_e64 v5, 0, v5, s[34:35]
	v_add_co_u32_e32 v9, vcc, v9, v34
	v_cmp_eq_u16_sdwa s[30:31], v116, v4 src0_sel:BYTE_0 src1_sel:DWORD
	v_addc_co_u32_e32 v5, vcc, v5, v35, vcc
	v_cndmask_b32_e64 v9, 0, v9, s[30:31]
	v_cndmask_b32_e64 v5, 0, v5, s[30:31]
	v_add_co_u32_e32 v9, vcc, v9, v26
	v_cmp_eq_u16_sdwa s[28:29], v117, v4 src0_sel:BYTE_0 src1_sel:DWORD
	v_addc_co_u32_e32 v5, vcc, v5, v27, vcc
	v_cndmask_b32_e64 v9, 0, v9, s[28:29]
	v_cndmask_b32_e64 v5, 0, v5, s[28:29]
	v_add_co_u32_e32 v9, vcc, v9, v42
	v_cmp_eq_u16_sdwa s[26:27], v118, v4 src0_sel:BYTE_0 src1_sel:DWORD
	v_addc_co_u32_e32 v5, vcc, v5, v43, vcc
	v_cndmask_b32_e64 v9, 0, v9, s[26:27]
	v_cndmask_b32_e64 v5, 0, v5, s[26:27]
	v_add_co_u32_e32 v9, vcc, v9, v30
	v_cmp_eq_u16_sdwa s[24:25], v119, v4 src0_sel:BYTE_0 src1_sel:DWORD
	v_addc_co_u32_e32 v5, vcc, v5, v31, vcc
	v_cndmask_b32_e64 v9, 0, v9, s[24:25]
	v_cndmask_b32_e64 v5, 0, v5, s[24:25]
	v_add_co_u32_e32 v9, vcc, v9, v50
	v_cmp_eq_u16_sdwa s[22:23], v120, v4 src0_sel:BYTE_0 src1_sel:DWORD
	v_addc_co_u32_e32 v5, vcc, v5, v51, vcc
	v_cndmask_b32_e64 v9, 0, v9, s[22:23]
	v_cndmask_b32_e64 v5, 0, v5, s[22:23]
	v_add_co_u32_e32 v9, vcc, v9, v38
	v_cmp_eq_u16_sdwa s[20:21], v121, v4 src0_sel:BYTE_0 src1_sel:DWORD
	v_addc_co_u32_e32 v5, vcc, v5, v39, vcc
	v_cndmask_b32_e64 v9, 0, v9, s[20:21]
	v_cndmask_b32_e64 v5, 0, v5, s[20:21]
	v_add_co_u32_e32 v9, vcc, v9, v58
	v_cmp_eq_u16_sdwa s[18:19], v122, v4 src0_sel:BYTE_0 src1_sel:DWORD
	v_addc_co_u32_e32 v5, vcc, v5, v59, vcc
	v_cndmask_b32_e64 v9, 0, v9, s[18:19]
	v_cndmask_b32_e64 v5, 0, v5, s[18:19]
	v_add_co_u32_e32 v9, vcc, v9, v46
	v_cmp_eq_u16_sdwa s[16:17], v123, v4 src0_sel:BYTE_0 src1_sel:DWORD
	v_addc_co_u32_e32 v5, vcc, v5, v47, vcc
	v_cndmask_b32_e64 v9, 0, v9, s[16:17]
	v_cndmask_b32_e64 v5, 0, v5, s[16:17]
	v_add_co_u32_e32 v9, vcc, v9, v66
	v_cmp_eq_u16_sdwa s[14:15], v124, v4 src0_sel:BYTE_0 src1_sel:DWORD
	v_addc_co_u32_e32 v5, vcc, v5, v67, vcc
	v_cndmask_b32_e64 v9, 0, v9, s[14:15]
	v_cndmask_b32_e64 v5, 0, v5, s[14:15]
	v_add_co_u32_e32 v9, vcc, v9, v54
	v_cmp_eq_u16_sdwa s[12:13], v125, v4 src0_sel:BYTE_0 src1_sel:DWORD
	v_addc_co_u32_e32 v5, vcc, v5, v55, vcc
	v_cndmask_b32_e64 v9, 0, v9, s[12:13]
	v_cndmask_b32_e64 v5, 0, v5, s[12:13]
	v_add_co_u32_e32 v9, vcc, v9, v70
	v_cmp_eq_u16_sdwa s[10:11], v126, v4 src0_sel:BYTE_0 src1_sel:DWORD
	v_addc_co_u32_e32 v5, vcc, v5, v71, vcc
	v_cndmask_b32_e64 v9, 0, v9, s[10:11]
	v_cndmask_b32_e64 v5, 0, v5, s[10:11]
	v_add_co_u32_e32 v9, vcc, v9, v62
	v_cmp_eq_u16_sdwa s[8:9], v110, v4 src0_sel:BYTE_0 src1_sel:DWORD
	v_addc_co_u32_e32 v5, vcc, v5, v63, vcc
	v_cndmask_b32_e64 v9, 0, v9, s[8:9]
	v_add_co_u32_e32 v9, vcc, v9, v6
	v_cmp_eq_u16_sdwa s[6:7], v36, v4 src0_sel:BYTE_0 src1_sel:DWORD
	v_cndmask_b32_e64 v4, 0, v9, s[6:7]
	v_or_b32_e32 v9, v29, v125
	v_or_b32_e32 v9, v9, v124
	;; [unrolled: 1-line block ×12, first 2 shown]
	v_cndmask_b32_e64 v5, 0, v5, s[8:9]
	v_or_b32_e32 v9, v9, v113
	v_addc_co_u32_e32 v5, vcc, v5, v7, vcc
	v_or_b32_e32 v9, v9, v111
	v_cndmask_b32_e64 v5, 0, v5, s[6:7]
	v_add_co_u32_e32 v4, vcc, v4, v16
	v_or_b32_e32 v9, v9, v112
	v_addc_co_u32_e32 v5, vcc, v5, v17, vcc
	v_and_b32_e32 v9, 1, v9
	v_and_b32_e32 v8, 0xff, v1
	v_cmp_eq_u32_e32 vcc, 1, v9
	v_mbcnt_hi_u32_b32 v9, -1, v28
	v_cndmask_b32_e64 v8, v8, 1, vcc
	v_and_b32_e32 v12, 15, v9
	v_mov_b32_dpp v20, v4 row_shr:1 row_mask:0xf bank_mask:0xf
	v_mov_b32_dpp v21, v5 row_shr:1 row_mask:0xf bank_mask:0xf
	;; [unrolled: 1-line block ×3, first 2 shown]
	v_cmp_ne_u32_e32 vcc, 0, v12
	s_and_saveexec_b64 s[4:5], vcc
; %bb.119:
	v_cmp_eq_u32_e32 vcc, 0, v8
	v_cndmask_b32_e32 v20, 0, v20, vcc
	v_cndmask_b32_e32 v21, 0, v21, vcc
	v_add_co_u32_e32 v4, vcc, v20, v4
	v_addc_co_u32_e32 v5, vcc, v21, v5, vcc
	v_and_or_b32 v8, v13, 1, v8
; %bb.120:
	s_or_b64 exec, exec, s[4:5]
	v_mov_b32_dpp v20, v4 row_shr:2 row_mask:0xf bank_mask:0xf
	v_mov_b32_dpp v21, v5 row_shr:2 row_mask:0xf bank_mask:0xf
	v_mov_b32_dpp v13, v8 row_shr:2 row_mask:0xf bank_mask:0xf
	v_cmp_lt_u32_e32 vcc, 1, v12
	s_and_saveexec_b64 s[4:5], vcc
; %bb.121:
	v_cmp_eq_u32_e32 vcc, 0, v8
	v_cndmask_b32_e32 v20, 0, v20, vcc
	v_cndmask_b32_e32 v21, 0, v21, vcc
	v_add_co_u32_e32 v4, vcc, v20, v4
	v_or_b32_e32 v8, v13, v8
	v_addc_co_u32_e32 v5, vcc, v21, v5, vcc
	v_and_b32_e32 v8, 1, v8
; %bb.122:
	s_or_b64 exec, exec, s[4:5]
	v_mov_b32_dpp v20, v4 row_shr:4 row_mask:0xf bank_mask:0xf
	v_mov_b32_dpp v21, v5 row_shr:4 row_mask:0xf bank_mask:0xf
	v_mov_b32_dpp v13, v8 row_shr:4 row_mask:0xf bank_mask:0xf
	v_cmp_lt_u32_e32 vcc, 3, v12
	s_and_saveexec_b64 s[4:5], vcc
; %bb.123:
	v_cmp_eq_u32_e32 vcc, 0, v8
	v_cndmask_b32_e32 v20, 0, v20, vcc
	v_cndmask_b32_e32 v21, 0, v21, vcc
	v_add_co_u32_e32 v4, vcc, v20, v4
	v_or_b32_e32 v8, v13, v8
	v_addc_co_u32_e32 v5, vcc, v21, v5, vcc
	v_and_b32_e32 v8, 1, v8
	;; [unrolled: 15-line block ×3, first 2 shown]
; %bb.126:
	s_or_b64 exec, exec, s[4:5]
	v_and_b32_e32 v21, 16, v9
	v_mov_b32_dpp v13, v4 row_bcast:15 row_mask:0xf bank_mask:0xf
	v_mov_b32_dpp v20, v5 row_bcast:15 row_mask:0xf bank_mask:0xf
	;; [unrolled: 1-line block ×3, first 2 shown]
	v_cmp_ne_u32_e32 vcc, 0, v21
	s_and_saveexec_b64 s[4:5], vcc
; %bb.127:
	v_cmp_eq_u32_e32 vcc, 0, v8
	v_cndmask_b32_e32 v13, 0, v13, vcc
	v_cndmask_b32_e32 v20, 0, v20, vcc
	v_add_co_u32_e32 v4, vcc, v13, v4
	v_or_b32_e32 v8, v12, v8
	v_addc_co_u32_e32 v5, vcc, v20, v5, vcc
	v_and_b32_e32 v8, 1, v8
; %bb.128:
	s_or_b64 exec, exec, s[4:5]
	v_mov_b32_dpp v20, v4 row_bcast:31 row_mask:0xf bank_mask:0xf
	v_mov_b32_dpp v21, v5 row_bcast:31 row_mask:0xf bank_mask:0xf
	;; [unrolled: 1-line block ×3, first 2 shown]
	v_cmp_lt_u32_e32 vcc, 31, v9
	v_mov_b32_e32 v12, v8
	s_and_saveexec_b64 s[4:5], vcc
; %bb.129:
	v_cmp_eq_u32_e32 vcc, 0, v8
	v_cndmask_b32_e32 v20, 0, v20, vcc
	v_cndmask_b32_e32 v12, 0, v21, vcc
	v_add_co_u32_e32 v4, vcc, v20, v4
	v_or_b32_e32 v8, v13, v8
	v_addc_co_u32_e32 v5, vcc, v12, v5, vcc
	v_and_b32_e32 v12, 1, v8
	v_and_b32_e32 v8, 1, v8
; %bb.130:
	s_or_b64 exec, exec, s[4:5]
	v_cmp_eq_u32_e32 vcc, 63, v0
	s_and_saveexec_b64 s[4:5], vcc
	s_cbranch_execz .LBB113_132
; %bb.131:
	v_mov_b32_e32 v13, 0
	ds_write_b64 v13, v[4:5]
	ds_write_b8 v13, v12 offset:8
.LBB113_132:
	s_or_b64 exec, exec, s[4:5]
	v_add_u32_e32 v12, -1, v9
	v_and_b32_e32 v13, 64, v9
	v_cmp_lt_i32_e32 vcc, v12, v13
	v_cndmask_b32_e32 v12, v12, v9, vcc
	v_lshlrev_b32_e32 v12, 2, v12
	ds_bpermute_b32 v33, v12, v4
	ds_bpermute_b32 v37, v12, v5
	;; [unrolled: 1-line block ×3, first 2 shown]
	v_cmp_gt_u32_e32 vcc, 64, v0
	s_waitcnt lgkmcnt(0)
	; wave barrier
	s_waitcnt lgkmcnt(0)
	s_and_saveexec_b64 s[60:61], vcc
	s_cbranch_execz .LBB113_175
; %bb.133:
	v_mov_b32_e32 v13, 0
	ds_read_b64 v[4:5], v13
	ds_read_u8 v40, v13 offset:8
	s_mov_b32 s65, 0
	v_cmp_eq_u32_e64 s[44:45], 0, v9
	s_and_saveexec_b64 s[4:5], s[44:45]
	s_cbranch_execz .LBB113_135
; %bb.134:
	s_add_i32 s64, s55, 64
	s_lshl_b64 s[68:69], s[64:65], 4
	s_add_u32 s68, s48, s68
	s_addc_u32 s69, s49, s69
	v_mov_b32_e32 v8, s64
	v_mov_b32_e32 v12, 1
	s_waitcnt lgkmcnt(1)
	global_store_dwordx2 v13, v[4:5], s[68:69]
	s_waitcnt lgkmcnt(0)
	global_store_byte v13, v40, s[68:69] offset:8
	s_waitcnt vmcnt(0)
	buffer_wbinvl1_vol
	global_store_byte v8, v12, s[52:53]
.LBB113_135:
	s_or_b64 exec, exec, s[4:5]
	v_xad_u32 v8, v9, -1, s55
	v_add_u32_e32 v12, 64, v8
	global_load_ubyte v41, v12, s[52:53] glc
	s_waitcnt vmcnt(0)
	v_cmp_eq_u16_e32 vcc, 0, v41
	s_and_saveexec_b64 s[4:5], vcc
	s_cbranch_execz .LBB113_139
; %bb.136:
	v_mov_b32_e32 v21, s53
	v_add_co_u32_e32 v20, vcc, s52, v12
	v_addc_co_u32_e32 v21, vcc, 0, v21, vcc
	s_mov_b64 s[64:65], 0
.LBB113_137:                            ; =>This Inner Loop Header: Depth=1
	global_load_ubyte v41, v[20:21], off glc
	s_waitcnt vmcnt(0)
	v_cmp_ne_u16_e32 vcc, 0, v41
	s_or_b64 s[64:65], vcc, s[64:65]
	s_andn2_b64 exec, exec, s[64:65]
	s_cbranch_execnz .LBB113_137
; %bb.138:
	s_or_b64 exec, exec, s[64:65]
.LBB113_139:
	s_or_b64 exec, exec, s[4:5]
	v_mov_b32_e32 v20, s51
	v_mov_b32_e32 v21, s49
	v_cmp_eq_u16_e32 vcc, 1, v41
	v_cndmask_b32_e32 v20, v20, v21, vcc
	v_mov_b32_e32 v21, s50
	v_mov_b32_e32 v24, s48
	v_cndmask_b32_e32 v21, v21, v24, vcc
	v_lshlrev_b64 v[12:13], 4, v[12:13]
	v_add_co_u32_e32 v12, vcc, v21, v12
	v_addc_co_u32_e32 v13, vcc, v20, v13, vcc
	s_waitcnt lgkmcnt(0)
	buffer_wbinvl1_vol
	global_load_dwordx2 v[24:25], v[12:13], off
	global_load_ubyte v72, v[12:13], off offset:8
	v_cmp_eq_u16_e32 vcc, 2, v41
	v_lshlrev_b64 v[12:13], v9, -1
	v_and_b32_e32 v44, 63, v9
	v_and_b32_e32 v20, vcc_hi, v13
	v_and_b32_e32 v53, vcc_lo, v12
	v_cmp_ne_u32_e32 vcc, 63, v44
	v_addc_co_u32_e32 v21, vcc, 0, v9, vcc
	v_lshlrev_b32_e32 v45, 2, v21
	v_or_b32_e32 v20, 0x80000000, v20
	v_ffbl_b32_e32 v20, v20
	v_add_u32_e32 v20, 32, v20
	v_ffbl_b32_e32 v53, v53
	v_min_u32_e32 v20, v53, v20
	v_cmp_lt_u32_e32 vcc, v44, v20
	s_waitcnt vmcnt(1)
	ds_bpermute_b32 v49, v45, v24
	s_waitcnt vmcnt(0)
	v_and_b32_e32 v21, 1, v72
	ds_bpermute_b32 v52, v45, v25
	ds_bpermute_b32 v48, v45, v21
	s_and_saveexec_b64 s[4:5], vcc
	s_cbranch_execz .LBB113_141
; %bb.140:
	v_mov_b32_e32 v21, 0
	v_cmp_eq_u16_sdwa vcc, v72, v21 src0_sel:BYTE_0 src1_sel:DWORD
	s_waitcnt lgkmcnt(2)
	v_cndmask_b32_e32 v49, 0, v49, vcc
	s_waitcnt lgkmcnt(1)
	v_cndmask_b32_e32 v21, 0, v52, vcc
	v_add_co_u32_e32 v24, vcc, v49, v24
	v_addc_co_u32_e32 v25, vcc, v21, v25, vcc
	s_waitcnt lgkmcnt(0)
	v_and_b32_e32 v21, 1, v48
	v_or_b32_e32 v72, v21, v72
	v_and_b32_e32 v21, 0xff, v72
.LBB113_141:
	s_or_b64 exec, exec, s[4:5]
	v_cmp_gt_u32_e32 vcc, 62, v44
	s_waitcnt lgkmcnt(0)
	v_cndmask_b32_e64 v48, 0, 1, vcc
	v_lshlrev_b32_e32 v48, 1, v48
	v_add_lshl_u32 v48, v48, v9, 2
	ds_bpermute_b32 v53, v48, v24
	ds_bpermute_b32 v56, v48, v25
	ds_bpermute_b32 v52, v48, v21
	v_add_u32_e32 v49, 2, v44
	v_cmp_le_u32_e32 vcc, v49, v20
	s_and_saveexec_b64 s[64:65], vcc
	s_cbranch_execz .LBB113_143
; %bb.142:
	v_mov_b32_e32 v21, 0
	v_cmp_eq_u16_sdwa vcc, v72, v21 src0_sel:BYTE_0 src1_sel:DWORD
	s_waitcnt lgkmcnt(2)
	v_cndmask_b32_e32 v53, 0, v53, vcc
	s_waitcnt lgkmcnt(1)
	v_cndmask_b32_e32 v21, 0, v56, vcc
	v_add_co_u32_e32 v24, vcc, v53, v24
	v_addc_co_u32_e32 v25, vcc, v21, v25, vcc
	v_and_b32_e32 v21, 1, v72
	v_cmp_eq_u32_e32 vcc, 1, v21
	s_waitcnt lgkmcnt(0)
	v_and_b32_e32 v21, 1, v52
	v_cmp_eq_u32_e64 s[4:5], 1, v21
	s_or_b64 s[4:5], vcc, s[4:5]
	v_cndmask_b32_e64 v72, 0, 1, s[4:5]
	v_cndmask_b32_e64 v21, 0, 1, s[4:5]
.LBB113_143:
	s_or_b64 exec, exec, s[64:65]
	v_cmp_gt_u32_e32 vcc, 60, v44
	s_waitcnt lgkmcnt(0)
	v_cndmask_b32_e64 v52, 0, 1, vcc
	v_lshlrev_b32_e32 v52, 2, v52
	v_add_lshl_u32 v52, v52, v9, 2
	ds_bpermute_b32 v57, v52, v24
	ds_bpermute_b32 v60, v52, v25
	ds_bpermute_b32 v56, v52, v21
	v_add_u32_e32 v53, 4, v44
	v_cmp_le_u32_e32 vcc, v53, v20
	s_and_saveexec_b64 s[64:65], vcc
	s_cbranch_execz .LBB113_145
; %bb.144:
	v_mov_b32_e32 v21, 0
	v_cmp_eq_u16_sdwa vcc, v72, v21 src0_sel:BYTE_0 src1_sel:DWORD
	s_waitcnt lgkmcnt(2)
	v_cndmask_b32_e32 v57, 0, v57, vcc
	s_waitcnt lgkmcnt(1)
	v_cndmask_b32_e32 v21, 0, v60, vcc
	v_add_co_u32_e32 v24, vcc, v57, v24
	v_addc_co_u32_e32 v25, vcc, v21, v25, vcc
	v_and_b32_e32 v21, 1, v72
	v_cmp_eq_u32_e32 vcc, 1, v21
	s_waitcnt lgkmcnt(0)
	v_and_b32_e32 v21, 1, v56
	v_cmp_eq_u32_e64 s[4:5], 1, v21
	s_or_b64 s[4:5], vcc, s[4:5]
	v_cndmask_b32_e64 v72, 0, 1, s[4:5]
	v_cndmask_b32_e64 v21, 0, 1, s[4:5]
.LBB113_145:
	;; [unrolled: 31-line block ×4, first 2 shown]
	s_or_b64 exec, exec, s[64:65]
	v_cmp_gt_u32_e32 vcc, 32, v44
	s_waitcnt lgkmcnt(0)
	v_cndmask_b32_e64 v64, 0, 1, vcc
	v_lshlrev_b32_e32 v64, 5, v64
	v_add_lshl_u32 v65, v64, v9, 2
	ds_bpermute_b32 v64, v65, v24
	ds_bpermute_b32 v69, v65, v25
	;; [unrolled: 1-line block ×3, first 2 shown]
	v_add_u32_e32 v68, 32, v44
	v_cmp_le_u32_e32 vcc, v68, v20
	s_and_saveexec_b64 s[64:65], vcc
	s_cbranch_execz .LBB113_151
; %bb.150:
	v_mov_b32_e32 v20, 0
	v_cmp_eq_u16_sdwa vcc, v72, v20 src0_sel:BYTE_0 src1_sel:DWORD
	s_waitcnt lgkmcnt(2)
	v_cndmask_b32_e32 v21, 0, v64, vcc
	s_waitcnt lgkmcnt(1)
	v_cndmask_b32_e32 v20, 0, v69, vcc
	v_add_co_u32_e32 v24, vcc, v21, v24
	v_addc_co_u32_e32 v25, vcc, v20, v25, vcc
	v_and_b32_e32 v20, 1, v72
	s_waitcnt lgkmcnt(0)
	v_and_b32_e32 v9, 1, v9
	v_cmp_eq_u32_e32 vcc, 1, v20
	v_cmp_eq_u32_e64 s[4:5], 1, v9
	s_or_b64 s[4:5], vcc, s[4:5]
	v_cndmask_b32_e64 v72, 0, 1, s[4:5]
.LBB113_151:
	s_or_b64 exec, exec, s[64:65]
	s_waitcnt lgkmcnt(0)
	v_mov_b32_e32 v9, 0
	v_mov_b32_e32 v69, 2
	s_branch .LBB113_153
.LBB113_152:                            ;   in Loop: Header=BB113_153 Depth=1
	s_or_b64 exec, exec, s[68:69]
	v_cmp_eq_u16_sdwa vcc, v64, v9 src0_sel:BYTE_0 src1_sel:DWORD
	v_cndmask_b32_e32 v24, 0, v24, vcc
	v_cndmask_b32_e32 v25, 0, v25, vcc
	v_add_co_u32_e32 v24, vcc, v24, v20
	v_addc_co_u32_e32 v25, vcc, v25, v21, vcc
	v_and_b32_e32 v72, 1, v64
	v_cmp_eq_u32_e32 vcc, 1, v72
	s_or_b64 s[4:5], vcc, s[64:65]
	v_subrev_u32_e32 v8, 64, v8
	v_cndmask_b32_e64 v72, 0, 1, s[4:5]
.LBB113_153:                            ; =>This Loop Header: Depth=1
                                        ;     Child Loop BB113_156 Depth 2
	v_cmp_ne_u16_sdwa s[4:5], v41, v69 src0_sel:BYTE_0 src1_sel:DWORD
	v_cndmask_b32_e64 v20, 0, 1, s[4:5]
	;;#ASMSTART
	;;#ASMEND
	v_cmp_ne_u32_e32 vcc, 0, v20
	v_mov_b32_e32 v64, v72
	s_cmp_lg_u64 vcc, exec
	v_pk_mov_b32 v[20:21], v[24:25], v[24:25] op_sel:[0,1]
	s_cbranch_scc1 .LBB113_170
; %bb.154:                              ;   in Loop: Header=BB113_153 Depth=1
	global_load_ubyte v41, v8, s[52:53] glc
	s_waitcnt vmcnt(0)
	v_cmp_eq_u16_e32 vcc, 0, v41
	s_and_saveexec_b64 s[4:5], vcc
	s_cbranch_execz .LBB113_158
; %bb.155:                              ;   in Loop: Header=BB113_153 Depth=1
	v_mov_b32_e32 v25, s53
	v_add_co_u32_e32 v24, vcc, s52, v8
	v_addc_co_u32_e32 v25, vcc, 0, v25, vcc
	s_mov_b64 s[64:65], 0
.LBB113_156:                            ;   Parent Loop BB113_153 Depth=1
                                        ; =>  This Inner Loop Header: Depth=2
	global_load_ubyte v41, v[24:25], off glc
	s_waitcnt vmcnt(0)
	v_cmp_ne_u16_e32 vcc, 0, v41
	s_or_b64 s[64:65], vcc, s[64:65]
	s_andn2_b64 exec, exec, s[64:65]
	s_cbranch_execnz .LBB113_156
; %bb.157:                              ;   in Loop: Header=BB113_153 Depth=1
	s_or_b64 exec, exec, s[64:65]
.LBB113_158:                            ;   in Loop: Header=BB113_153 Depth=1
	s_or_b64 exec, exec, s[4:5]
	v_mov_b32_e32 v24, s51
	v_mov_b32_e32 v25, s49
	v_cmp_eq_u16_e32 vcc, 1, v41
	v_cndmask_b32_e32 v73, v24, v25, vcc
	v_mov_b32_e32 v24, s50
	v_mov_b32_e32 v25, s48
	v_cndmask_b32_e32 v72, v24, v25, vcc
	v_lshlrev_b64 v[24:25], 4, v[8:9]
	v_add_co_u32_e32 v72, vcc, v72, v24
	v_addc_co_u32_e32 v73, vcc, v73, v25, vcc
	buffer_wbinvl1_vol
	global_load_dwordx2 v[24:25], v[72:73], off
	s_nop 0
	global_load_ubyte v72, v[72:73], off offset:8
	v_cmp_eq_u16_e32 vcc, 2, v41
	v_and_b32_e32 v73, vcc_hi, v13
	v_or_b32_e32 v73, 0x80000000, v73
	v_and_b32_e32 v78, vcc_lo, v12
	v_ffbl_b32_e32 v73, v73
	v_add_u32_e32 v73, 32, v73
	v_ffbl_b32_e32 v78, v78
	v_min_u32_e32 v73, v78, v73
	v_cmp_lt_u32_e32 vcc, v44, v73
	s_waitcnt vmcnt(1) lgkmcnt(1)
	ds_bpermute_b32 v76, v45, v24
	s_waitcnt vmcnt(0) lgkmcnt(1)
	v_and_b32_e32 v74, 1, v72
	ds_bpermute_b32 v77, v45, v25
	ds_bpermute_b32 v75, v45, v74
	s_and_saveexec_b64 s[4:5], vcc
	s_cbranch_execz .LBB113_160
; %bb.159:                              ;   in Loop: Header=BB113_153 Depth=1
	v_cmp_eq_u16_sdwa vcc, v72, v9 src0_sel:BYTE_0 src1_sel:DWORD
	s_waitcnt lgkmcnt(2)
	v_cndmask_b32_e32 v76, 0, v76, vcc
	s_waitcnt lgkmcnt(1)
	v_cndmask_b32_e32 v74, 0, v77, vcc
	v_add_co_u32_e32 v24, vcc, v76, v24
	v_addc_co_u32_e32 v25, vcc, v74, v25, vcc
	s_waitcnt lgkmcnt(0)
	v_and_b32_e32 v74, 1, v75
	v_or_b32_e32 v72, v74, v72
	v_and_b32_e32 v74, 0xff, v72
.LBB113_160:                            ;   in Loop: Header=BB113_153 Depth=1
	s_or_b64 exec, exec, s[4:5]
	s_waitcnt lgkmcnt(2)
	ds_bpermute_b32 v76, v48, v24
	s_waitcnt lgkmcnt(2)
	ds_bpermute_b32 v77, v48, v25
	;; [unrolled: 2-line block ×3, first 2 shown]
	v_and_b32_e32 v78, 1, v72
	v_cmp_le_u32_e32 vcc, v49, v73
	v_cmp_eq_u32_e64 s[64:65], 1, v78
	s_and_saveexec_b64 s[4:5], vcc
	s_cbranch_execz .LBB113_162
; %bb.161:                              ;   in Loop: Header=BB113_153 Depth=1
	v_cmp_eq_u16_sdwa vcc, v72, v9 src0_sel:BYTE_0 src1_sel:DWORD
	s_waitcnt lgkmcnt(2)
	v_cndmask_b32_e32 v74, 0, v76, vcc
	s_waitcnt lgkmcnt(1)
	v_cndmask_b32_e32 v72, 0, v77, vcc
	v_add_co_u32_e32 v24, vcc, v74, v24
	v_addc_co_u32_e32 v25, vcc, v72, v25, vcc
	s_waitcnt lgkmcnt(0)
	v_and_b32_e32 v72, 1, v75
	v_cmp_eq_u32_e32 vcc, 1, v72
	s_or_b64 s[68:69], s[64:65], vcc
	v_cndmask_b32_e64 v72, 0, 1, s[68:69]
	v_cndmask_b32_e64 v74, 0, 1, s[68:69]
	s_andn2_b64 s[64:65], s[64:65], exec
	s_and_b64 s[68:69], s[68:69], exec
	s_or_b64 s[64:65], s[64:65], s[68:69]
.LBB113_162:                            ;   in Loop: Header=BB113_153 Depth=1
	s_or_b64 exec, exec, s[4:5]
	s_waitcnt lgkmcnt(2)
	ds_bpermute_b32 v76, v52, v24
	s_waitcnt lgkmcnt(2)
	ds_bpermute_b32 v77, v52, v25
	s_waitcnt lgkmcnt(2)
	ds_bpermute_b32 v75, v52, v74
	v_cmp_le_u32_e32 vcc, v53, v73
	s_and_saveexec_b64 s[68:69], vcc
	s_cbranch_execz .LBB113_164
; %bb.163:                              ;   in Loop: Header=BB113_153 Depth=1
	v_cmp_eq_u16_sdwa vcc, v72, v9 src0_sel:BYTE_0 src1_sel:DWORD
	s_waitcnt lgkmcnt(2)
	v_cndmask_b32_e32 v76, 0, v76, vcc
	s_waitcnt lgkmcnt(1)
	v_cndmask_b32_e32 v74, 0, v77, vcc
	v_add_co_u32_e32 v24, vcc, v76, v24
	v_addc_co_u32_e32 v25, vcc, v74, v25, vcc
	v_and_b32_e32 v72, 1, v72
	v_cmp_eq_u32_e32 vcc, 1, v72
	s_waitcnt lgkmcnt(0)
	v_and_b32_e32 v72, 1, v75
	v_cmp_eq_u32_e64 s[4:5], 1, v72
	s_or_b64 s[4:5], vcc, s[4:5]
	v_cndmask_b32_e64 v72, 0, 1, s[4:5]
	v_cndmask_b32_e64 v74, 0, 1, s[4:5]
	s_andn2_b64 s[64:65], s[64:65], exec
	s_and_b64 s[4:5], s[4:5], exec
	s_or_b64 s[64:65], s[64:65], s[4:5]
.LBB113_164:                            ;   in Loop: Header=BB113_153 Depth=1
	s_or_b64 exec, exec, s[68:69]
	s_waitcnt lgkmcnt(2)
	ds_bpermute_b32 v76, v56, v24
	s_waitcnt lgkmcnt(2)
	ds_bpermute_b32 v77, v56, v25
	s_waitcnt lgkmcnt(2)
	ds_bpermute_b32 v75, v56, v74
	v_cmp_le_u32_e32 vcc, v57, v73
	s_and_saveexec_b64 s[68:69], vcc
	s_cbranch_execz .LBB113_166
; %bb.165:                              ;   in Loop: Header=BB113_153 Depth=1
	v_cmp_eq_u16_sdwa vcc, v72, v9 src0_sel:BYTE_0 src1_sel:DWORD
	s_waitcnt lgkmcnt(2)
	v_cndmask_b32_e32 v76, 0, v76, vcc
	s_waitcnt lgkmcnt(1)
	v_cndmask_b32_e32 v74, 0, v77, vcc
	v_add_co_u32_e32 v24, vcc, v76, v24
	v_addc_co_u32_e32 v25, vcc, v74, v25, vcc
	v_and_b32_e32 v72, 1, v72
	v_cmp_eq_u32_e32 vcc, 1, v72
	s_waitcnt lgkmcnt(0)
	v_and_b32_e32 v72, 1, v75
	v_cmp_eq_u32_e64 s[4:5], 1, v72
	s_or_b64 s[4:5], vcc, s[4:5]
	v_cndmask_b32_e64 v72, 0, 1, s[4:5]
	v_cndmask_b32_e64 v74, 0, 1, s[4:5]
	s_andn2_b64 s[64:65], s[64:65], exec
	s_and_b64 s[4:5], s[4:5], exec
	s_or_b64 s[64:65], s[64:65], s[4:5]
.LBB113_166:                            ;   in Loop: Header=BB113_153 Depth=1
	;; [unrolled: 30-line block ×3, first 2 shown]
	s_or_b64 exec, exec, s[68:69]
	s_waitcnt lgkmcnt(0)
	ds_bpermute_b32 v75, v65, v24
	ds_bpermute_b32 v76, v65, v25
	;; [unrolled: 1-line block ×3, first 2 shown]
	v_cmp_le_u32_e32 vcc, v68, v73
	s_and_saveexec_b64 s[68:69], vcc
	s_cbranch_execz .LBB113_152
; %bb.169:                              ;   in Loop: Header=BB113_153 Depth=1
	v_cmp_eq_u16_sdwa vcc, v72, v9 src0_sel:BYTE_0 src1_sel:DWORD
	s_waitcnt lgkmcnt(2)
	v_cndmask_b32_e32 v75, 0, v75, vcc
	s_waitcnt lgkmcnt(1)
	v_cndmask_b32_e32 v73, 0, v76, vcc
	v_add_co_u32_e32 v24, vcc, v75, v24
	v_addc_co_u32_e32 v25, vcc, v73, v25, vcc
	v_and_b32_e32 v72, 1, v72
	v_cmp_eq_u32_e32 vcc, 1, v72
	s_waitcnt lgkmcnt(0)
	v_and_b32_e32 v72, 1, v74
	v_cmp_eq_u32_e64 s[4:5], 1, v72
	s_or_b64 s[4:5], vcc, s[4:5]
	s_andn2_b64 s[64:65], s[64:65], exec
	s_and_b64 s[4:5], s[4:5], exec
	s_or_b64 s[64:65], s[64:65], s[4:5]
	s_branch .LBB113_152
.LBB113_170:                            ;   in Loop: Header=BB113_153 Depth=1
                                        ; implicit-def: $vgpr72
                                        ; implicit-def: $vgpr24_vgpr25
                                        ; implicit-def: $vgpr41
	s_cbranch_execz .LBB113_153
; %bb.171:
	s_and_saveexec_b64 s[4:5], s[44:45]
	s_cbranch_execz .LBB113_173
; %bb.172:
	v_mov_b32_e32 v8, 0
	s_mov_b32 s45, 0
	v_cmp_eq_u16_sdwa vcc, v40, v8 src0_sel:BYTE_0 src1_sel:DWORD
	s_add_i32 s44, s55, 64
	v_cndmask_b32_e32 v12, 0, v20, vcc
	s_lshl_b64 s[48:49], s[44:45], 4
	v_cndmask_b32_e32 v9, 0, v21, vcc
	v_add_co_u32_e32 v4, vcc, v12, v4
	s_add_u32 s48, s50, s48
	v_addc_co_u32_e32 v5, vcc, v9, v5, vcc
	v_or_b32_e32 v9, v40, v64
	s_addc_u32 s49, s51, s49
	v_and_b32_e32 v9, 1, v9
	global_store_dwordx2 v8, v[4:5], s[48:49]
	global_store_byte v8, v9, s[48:49] offset:8
	v_mov_b32_e32 v4, s44
	v_mov_b32_e32 v5, 2
	s_waitcnt vmcnt(0) lgkmcnt(0)
	buffer_wbinvl1_vol
	global_store_byte v4, v5, s[52:53]
.LBB113_173:
	s_or_b64 exec, exec, s[4:5]
	s_and_b64 exec, exec, s[0:1]
	s_cbranch_execz .LBB113_175
; %bb.174:
	v_mov_b32_e32 v4, 0
	ds_write_b64 v4, v[20:21]
	ds_write_b8 v4, v64 offset:8
.LBB113_175:
	s_or_b64 exec, exec, s[60:61]
	v_mov_b32_e32 v8, 0
	v_cmp_eq_u16_sdwa vcc, v1, v8 src0_sel:BYTE_0 src1_sel:DWORD
	v_and_b32_e32 v13, 1, v1
	v_cndmask_b32_e32 v9, 0, v33, vcc
	v_cndmask_b32_e32 v12, 0, v37, vcc
	v_cmp_eq_u32_e32 vcc, 1, v13
	v_and_b32_e32 v13, 1, v32
	s_waitcnt lgkmcnt(0)
	; wave barrier
	s_waitcnt lgkmcnt(0)
	ds_read_b64 v[4:5], v8
	v_cmp_eq_u32_e64 s[4:5], 1, v13
	s_or_b64 s[4:5], vcc, s[4:5]
	v_cndmask_b32_e64 v9, v9, 0, s[0:1]
	v_cndmask_b32_e64 v13, 0, 1, s[4:5]
	;; [unrolled: 1-line block ×3, first 2 shown]
	v_add_co_u32_e32 v9, vcc, v9, v2
	v_cndmask_b32_e64 v13, v13, v1, s[0:1]
	v_addc_co_u32_e32 v12, vcc, v12, v3, vcc
	v_cmp_eq_u16_sdwa vcc, v13, v8 src0_sel:BYTE_0 src1_sel:DWORD
	s_waitcnt lgkmcnt(0)
	v_cndmask_b32_e32 v4, 0, v4, vcc
	v_cndmask_b32_e32 v5, 0, v5, vcc
	v_add_co_u32_e32 v102, vcc, v9, v4
	v_addc_co_u32_e32 v103, vcc, v12, v5, vcc
	v_cndmask_b32_e64 v5, 0, v102, s[42:43]
	v_cndmask_b32_e64 v4, 0, v103, s[42:43]
	v_add_co_u32_e32 v40, vcc, v5, v14
	v_addc_co_u32_e32 v41, vcc, v4, v15, vcc
	v_cndmask_b32_e64 v5, 0, v40, s[40:41]
	v_cndmask_b32_e64 v4, 0, v41, s[40:41]
	;; [unrolled: 4-line block ×18, first 2 shown]
	v_add_co_u32_e32 v108, vcc, v5, v16
	v_addc_co_u32_e32 v109, vcc, v4, v17, vcc
	s_branch .LBB113_198
.LBB113_176:
                                        ; implicit-def: $vgpr100_vgpr101_vgpr102_vgpr103
                                        ; implicit-def: $vgpr108_vgpr109
                                        ; implicit-def: $vgpr106_vgpr107
                                        ; implicit-def: $vgpr68_vgpr69
                                        ; implicit-def: $vgpr64_vgpr65
                                        ; implicit-def: $vgpr60_vgpr61
                                        ; implicit-def: $vgpr56_vgpr57
                                        ; implicit-def: $vgpr52_vgpr53
                                        ; implicit-def: $vgpr48_vgpr49
                                        ; implicit-def: $vgpr44_vgpr45
                                        ; implicit-def: $vgpr40_vgpr41
                                        ; implicit-def: $vgpr96_vgpr97_vgpr98_vgpr99
                                        ; implicit-def: $vgpr92_vgpr93_vgpr94_vgpr95
                                        ; implicit-def: $vgpr88_vgpr89_vgpr90_vgpr91
                                        ; implicit-def: $vgpr84_vgpr85_vgpr86_vgpr87
                                        ; implicit-def: $vgpr80_vgpr81_vgpr82_vgpr83
                                        ; implicit-def: $vgpr76_vgpr77_vgpr78_vgpr79
                                        ; implicit-def: $vgpr72_vgpr73_vgpr74_vgpr75
                                        ; implicit-def: $vgpr102_vgpr103_vgpr104_vgpr105
	s_cbranch_execz .LBB113_198
; %bb.177:
	s_cmp_lg_u64 s[72:73], 0
	s_cselect_b32 s7, s67, 0
	s_cselect_b32 s6, s66, 0
	s_cmp_lg_u64 s[6:7], 0
	s_cselect_b64 s[4:5], -1, 0
	s_and_b64 s[8:9], s[0:1], s[4:5]
	s_and_saveexec_b64 s[4:5], s[8:9]
	s_cbranch_execz .LBB113_179
; %bb.178:
	v_mov_b32_e32 v8, 0
	global_load_dwordx2 v[4:5], v8, s[6:7]
	global_load_ubyte v9, v8, s[6:7] offset:8
	v_cmp_eq_u16_sdwa vcc, v1, v8 src0_sel:BYTE_0 src1_sel:DWORD
	s_waitcnt vmcnt(1)
	v_cndmask_b32_e32 v4, 0, v4, vcc
	v_cndmask_b32_e32 v5, 0, v5, vcc
	s_waitcnt vmcnt(0)
	v_or_b32_e32 v1, v1, v9
	v_add_co_u32_e32 v2, vcc, v4, v2
	v_addc_co_u32_e32 v3, vcc, v5, v3, vcc
	v_and_b32_e32 v1, 1, v1
.LBB113_179:
	s_or_b64 exec, exec, s[4:5]
	v_mov_b32_e32 v5, 0
	v_cmp_eq_u16_sdwa vcc, v112, v5 src0_sel:BYTE_0 src1_sel:DWORD
	v_cndmask_b32_e32 v9, 0, v2, vcc
	v_cndmask_b32_e32 v8, 0, v3, vcc
	v_add_co_u32_e64 v40, s[4:5], v9, v14
	v_cmp_eq_u16_sdwa s[6:7], v111, v5 src0_sel:BYTE_0 src1_sel:DWORD
	v_addc_co_u32_e64 v41, s[4:5], v8, v15, s[4:5]
	v_cndmask_b32_e64 v9, 0, v40, s[6:7]
	v_cndmask_b32_e64 v8, 0, v41, s[6:7]
	v_add_co_u32_e64 v72, s[4:5], v9, v10
	v_cmp_eq_u16_sdwa s[8:9], v113, v5 src0_sel:BYTE_0 src1_sel:DWORD
	v_addc_co_u32_e64 v73, s[4:5], v8, v11, s[4:5]
	v_cndmask_b32_e64 v9, 0, v72, s[8:9]
	v_cndmask_b32_e64 v8, 0, v73, s[8:9]
	;; [unrolled: 5-line block ×17, first 2 shown]
	v_add_co_u32_e64 v108, s[4:5], v8, v16
	v_addc_co_u32_e64 v109, s[4:5], v5, v17, s[4:5]
	v_or_b32_e32 v5, v29, v125
	v_or_b32_e32 v5, v5, v124
	;; [unrolled: 1-line block ×15, first 2 shown]
	v_and_b32_e32 v5, 1, v5
	v_and_b32_e32 v4, 0xff, v1
	v_cmp_eq_u32_e64 s[4:5], 1, v5
	v_mbcnt_hi_u32_b32 v12, -1, v28
	v_cndmask_b32_e64 v13, v4, 1, s[4:5]
	v_and_b32_e32 v20, 15, v12
	v_mov_b32_dpp v24, v108 row_shr:1 row_mask:0xf bank_mask:0xf
	v_mov_b32_dpp v25, v109 row_shr:1 row_mask:0xf bank_mask:0xf
	v_mov_b32_dpp v21, v13 row_shr:1 row_mask:0xf bank_mask:0xf
	v_cmp_ne_u32_e64 s[4:5], 0, v20
	v_pk_mov_b32 v[4:5], v[108:109], v[108:109] op_sel:[0,1]
	v_mov_b32_e32 v9, v109
	v_mov_b32_e32 v8, v108
	s_and_saveexec_b64 s[42:43], s[4:5]
; %bb.180:
	v_cmp_eq_u32_e64 s[4:5], 0, v13
	v_cndmask_b32_e64 v4, 0, v24, s[4:5]
	v_cndmask_b32_e64 v5, 0, v25, s[4:5]
	v_add_co_u32_e64 v4, s[4:5], v108, v4
	v_addc_co_u32_e64 v5, s[4:5], v109, v5, s[4:5]
	v_and_or_b32 v13, v21, 1, v13
	v_mov_b32_e32 v9, v5
	v_mov_b32_e32 v8, v4
; %bb.181:
	s_or_b64 exec, exec, s[42:43]
	s_nop 0
	v_mov_b32_dpp v24, v8 row_shr:2 row_mask:0xf bank_mask:0xf
	v_mov_b32_dpp v25, v9 row_shr:2 row_mask:0xf bank_mask:0xf
	v_mov_b32_dpp v21, v13 row_shr:2 row_mask:0xf bank_mask:0xf
	v_cmp_lt_u32_e64 s[4:5], 1, v20
	s_and_saveexec_b64 s[42:43], s[4:5]
; %bb.182:
	v_cmp_eq_u32_e64 s[4:5], 0, v13
	v_cndmask_b32_e64 v8, 0, v24, s[4:5]
	v_cndmask_b32_e64 v9, 0, v25, s[4:5]
	v_add_co_u32_e64 v8, s[4:5], v8, v4
	v_addc_co_u32_e64 v9, s[4:5], v9, v5, s[4:5]
	v_or_b32_e32 v4, v21, v13
	v_and_b32_e32 v13, 1, v4
	v_pk_mov_b32 v[4:5], v[8:9], v[8:9] op_sel:[0,1]
; %bb.183:
	s_or_b64 exec, exec, s[42:43]
	v_mov_b32_dpp v24, v8 row_shr:4 row_mask:0xf bank_mask:0xf
	v_mov_b32_dpp v25, v9 row_shr:4 row_mask:0xf bank_mask:0xf
	v_mov_b32_dpp v21, v13 row_shr:4 row_mask:0xf bank_mask:0xf
	v_cmp_lt_u32_e64 s[4:5], 3, v20
	s_and_saveexec_b64 s[42:43], s[4:5]
; %bb.184:
	v_cmp_eq_u32_e64 s[4:5], 0, v13
	v_cndmask_b32_e64 v8, 0, v24, s[4:5]
	v_cndmask_b32_e64 v9, 0, v25, s[4:5]
	v_add_co_u32_e64 v8, s[4:5], v8, v4
	v_addc_co_u32_e64 v9, s[4:5], v9, v5, s[4:5]
	v_or_b32_e32 v4, v21, v13
	v_and_b32_e32 v13, 1, v4
	v_pk_mov_b32 v[4:5], v[8:9], v[8:9] op_sel:[0,1]
; %bb.185:
	s_or_b64 exec, exec, s[42:43]
	;; [unrolled: 16-line block ×3, first 2 shown]
	v_and_b32_e32 v25, 16, v12
	v_mov_b32_dpp v21, v8 row_bcast:15 row_mask:0xf bank_mask:0xf
	v_mov_b32_dpp v24, v9 row_bcast:15 row_mask:0xf bank_mask:0xf
	;; [unrolled: 1-line block ×3, first 2 shown]
	v_cmp_ne_u32_e64 s[4:5], 0, v25
	s_and_saveexec_b64 s[42:43], s[4:5]
; %bb.188:
	v_cmp_eq_u32_e64 s[4:5], 0, v13
	v_cndmask_b32_e64 v9, 0, v21, s[4:5]
	v_cndmask_b32_e64 v8, 0, v24, s[4:5]
	v_add_co_u32_e64 v4, s[4:5], v9, v4
	v_addc_co_u32_e64 v5, s[4:5], v8, v5, s[4:5]
	v_or_b32_e32 v8, v20, v13
	v_and_b32_e32 v13, 1, v8
	v_mov_b32_e32 v9, v5
	v_mov_b32_e32 v8, v4
; %bb.189:
	s_or_b64 exec, exec, s[42:43]
	s_nop 0
	v_mov_b32_dpp v20, v8 row_bcast:31 row_mask:0xf bank_mask:0xf
	v_mov_b32_dpp v9, v9 row_bcast:31 row_mask:0xf bank_mask:0xf
	;; [unrolled: 1-line block ×3, first 2 shown]
	v_cmp_lt_u32_e64 s[4:5], 31, v12
	s_and_saveexec_b64 s[42:43], s[4:5]
; %bb.190:
	v_cmp_eq_u32_e64 s[4:5], 0, v13
	v_cndmask_b32_e64 v20, 0, v20, s[4:5]
	v_cndmask_b32_e64 v9, 0, v9, s[4:5]
	v_add_co_u32_e64 v4, s[4:5], v20, v4
	v_or_b32_e32 v8, v8, v13
	v_addc_co_u32_e64 v5, s[4:5], v9, v5, s[4:5]
	v_and_b32_e32 v13, 1, v8
; %bb.191:
	s_or_b64 exec, exec, s[42:43]
	v_cmp_eq_u32_e64 s[4:5], 63, v0
	s_and_saveexec_b64 s[42:43], s[4:5]
	s_cbranch_execz .LBB113_193
; %bb.192:
	v_mov_b32_e32 v8, 0
	ds_write_b64 v8, v[4:5]
	ds_write_b8 v8, v13 offset:8
.LBB113_193:
	s_or_b64 exec, exec, s[42:43]
	v_add_u32_e32 v8, -1, v12
	v_and_b32_e32 v9, 64, v12
	v_cmp_lt_i32_e64 s[4:5], v8, v9
	v_cndmask_b32_e64 v8, v8, v12, s[4:5]
	v_lshlrev_b32_e32 v8, 2, v8
	ds_bpermute_b32 v4, v8, v4
	ds_bpermute_b32 v5, v8, v5
	s_waitcnt lgkmcnt(0)
	; wave barrier
	s_waitcnt lgkmcnt(0)
	s_and_saveexec_b64 s[42:43], s[46:47]
	s_cbranch_execz .LBB113_195
; %bb.194:
	v_mov_b32_e32 v8, 0
	v_cmp_eq_u16_sdwa s[4:5], v1, v8 src0_sel:BYTE_0 src1_sel:DWORD
	v_cndmask_b32_e64 v4, 0, v4, s[4:5]
	v_cndmask_b32_e64 v1, 0, v5, s[4:5]
	v_add_co_u32_e64 v2, s[4:5], v4, v2
	v_addc_co_u32_e64 v3, s[4:5], v1, v3, s[4:5]
	v_cndmask_b32_e32 v4, 0, v2, vcc
	v_cndmask_b32_e32 v1, 0, v3, vcc
	v_add_co_u32_e32 v40, vcc, v4, v14
	v_addc_co_u32_e32 v41, vcc, v1, v15, vcc
	v_cndmask_b32_e64 v4, 0, v40, s[6:7]
	v_cndmask_b32_e64 v1, 0, v41, s[6:7]
	v_add_co_u32_e32 v72, vcc, v4, v10
	v_addc_co_u32_e32 v73, vcc, v1, v11, vcc
	v_cndmask_b32_e64 v4, 0, v72, s[8:9]
	v_cndmask_b32_e64 v1, 0, v73, s[8:9]
	;; [unrolled: 4-line block ×17, first 2 shown]
	v_add_co_u32_e32 v108, vcc, v4, v16
	v_addc_co_u32_e32 v109, vcc, v1, v17, vcc
	;;#ASMSTART
	;;#ASMEND
.LBB113_195:
	s_or_b64 exec, exec, s[42:43]
	s_and_saveexec_b64 s[4:5], s[0:1]
	s_cbranch_execz .LBB113_197
; %bb.196:
	v_mov_b32_e32 v1, 0
	ds_read_b64 v[4:5], v1
	ds_read_u8 v6, v1 offset:8
	v_mov_b32_e32 v7, 2
	s_waitcnt lgkmcnt(1)
	global_store_dwordx2 v1, v[4:5], s[50:51] offset:1024
	s_waitcnt lgkmcnt(0)
	global_store_byte v1, v6, s[50:51] offset:1032
	s_waitcnt vmcnt(0)
	buffer_wbinvl1_vol
	global_store_byte v1, v7, s[52:53] offset:64
.LBB113_197:
	s_or_b64 exec, exec, s[4:5]
	v_pk_mov_b32 v[102:103], v[2:3], v[2:3] op_sel:[0,1]
.LBB113_198:
	s_add_u32 s0, s62, s58
	s_addc_u32 s1, s63, s59
	s_add_u32 s4, s0, s56
	s_addc_u32 s5, s1, s57
	s_and_b64 vcc, exec, s[2:3]
	s_cbranch_vccz .LBB113_236
; %bb.199:
	s_movk_i32 s0, 0x98
	v_mul_i32_i24_e32 v43, 0xffffff70, v0
	v_mul_u32_u24_e32 v42, 0x98, v0
	v_mad_u32_u24 v2, v0, s0, v43
	s_waitcnt lgkmcnt(0)
	; wave barrier
	ds_write2_b64 v42, v[102:103], v[40:41] offset1:1
	ds_write2_b64 v42, v[72:73], v[44:45] offset0:2 offset1:3
	ds_write2_b64 v42, v[76:77], v[48:49] offset0:4 offset1:5
	;; [unrolled: 1-line block ×8, first 2 shown]
	ds_write_b64 v42, v[108:109] offset:144
	s_waitcnt lgkmcnt(0)
	; wave barrier
	s_waitcnt lgkmcnt(0)
	ds_read2st64_b64 v[34:37], v2 offset0:1 offset1:2
	ds_read2st64_b64 v[30:33], v2 offset0:3 offset1:4
	;; [unrolled: 1-line block ×9, first 2 shown]
	v_mov_b32_e32 v39, s5
	v_add_co_u32_e32 v38, vcc, s4, v127
	s_add_i32 s33, s33, s54
	v_addc_co_u32_e32 v39, vcc, 0, v39, vcc
	v_mov_b32_e32 v1, 0
	v_cmp_gt_u32_e32 vcc, s33, v0
	s_and_saveexec_b64 s[0:1], vcc
	s_cbranch_execz .LBB113_201
; %bb.200:
	v_add_u32_e32 v42, v42, v43
	ds_read_b64 v[42:43], v42
	s_waitcnt lgkmcnt(0)
	flat_store_dwordx2 v[38:39], v[42:43]
.LBB113_201:
	s_or_b64 exec, exec, s[0:1]
	v_or_b32_e32 v42, 64, v0
	v_cmp_gt_u32_e32 vcc, s33, v42
	s_and_saveexec_b64 s[0:1], vcc
	s_cbranch_execz .LBB113_203
; %bb.202:
	s_waitcnt lgkmcnt(0)
	flat_store_dwordx2 v[38:39], v[34:35] offset:512
.LBB113_203:
	s_or_b64 exec, exec, s[0:1]
	s_waitcnt lgkmcnt(0)
	v_or_b32_e32 v34, 0x80, v0
	v_cmp_gt_u32_e32 vcc, s33, v34
	s_and_saveexec_b64 s[0:1], vcc
	s_cbranch_execz .LBB113_205
; %bb.204:
	flat_store_dwordx2 v[38:39], v[36:37] offset:1024
.LBB113_205:
	s_or_b64 exec, exec, s[0:1]
	v_or_b32_e32 v34, 0xc0, v0
	v_cmp_gt_u32_e32 vcc, s33, v34
	s_and_saveexec_b64 s[0:1], vcc
	s_cbranch_execz .LBB113_207
; %bb.206:
	flat_store_dwordx2 v[38:39], v[30:31] offset:1536
.LBB113_207:
	s_or_b64 exec, exec, s[0:1]
	;; [unrolled: 8-line block ×6, first 2 shown]
	v_or_b32_e32 v22, 0x200, v0
	v_cmp_gt_u32_e32 vcc, s33, v22
	s_and_saveexec_b64 s[0:1], vcc
	s_cbranch_execz .LBB113_217
; %bb.216:
	v_add_co_u32_e32 v22, vcc, 0x1000, v38
	v_addc_co_u32_e32 v23, vcc, 0, v39, vcc
	flat_store_dwordx2 v[22:23], v[24:25]
.LBB113_217:
	s_or_b64 exec, exec, s[0:1]
	v_or_b32_e32 v22, 0x240, v0
	v_cmp_gt_u32_e32 vcc, s33, v22
	s_and_saveexec_b64 s[0:1], vcc
	s_cbranch_execz .LBB113_219
; %bb.218:
	v_add_co_u32_e32 v22, vcc, 0x1000, v38
	v_addc_co_u32_e32 v23, vcc, 0, v39, vcc
	flat_store_dwordx2 v[22:23], v[18:19] offset:512
.LBB113_219:
	s_or_b64 exec, exec, s[0:1]
	v_or_b32_e32 v18, 0x280, v0
	v_cmp_gt_u32_e32 vcc, s33, v18
	s_and_saveexec_b64 s[0:1], vcc
	s_cbranch_execz .LBB113_221
; %bb.220:
	v_add_co_u32_e32 v18, vcc, 0x1000, v38
	v_addc_co_u32_e32 v19, vcc, 0, v39, vcc
	flat_store_dwordx2 v[18:19], v[20:21] offset:1024
.LBB113_221:
	;; [unrolled: 10-line block ×7, first 2 shown]
	s_or_b64 exec, exec, s[0:1]
	v_or_b32_e32 v6, 0x400, v0
	v_cmp_gt_u32_e32 vcc, s33, v6
	s_and_saveexec_b64 s[0:1], vcc
	s_cbranch_execz .LBB113_233
; %bb.232:
	v_add_co_u32_e32 v6, vcc, 0x2000, v38
	v_addc_co_u32_e32 v7, vcc, 0, v39, vcc
	flat_store_dwordx2 v[6:7], v[8:9]
.LBB113_233:
	s_or_b64 exec, exec, s[0:1]
	v_or_b32_e32 v6, 0x440, v0
	v_cmp_gt_u32_e32 vcc, s33, v6
	s_and_saveexec_b64 s[0:1], vcc
	s_cbranch_execz .LBB113_235
; %bb.234:
	v_add_co_u32_e32 v6, vcc, 0x2000, v38
	v_addc_co_u32_e32 v7, vcc, 0, v39, vcc
	flat_store_dwordx2 v[6:7], v[2:3] offset:512
.LBB113_235:
	s_or_b64 exec, exec, s[0:1]
	v_or_b32_e32 v2, 0x480, v0
	v_cmp_gt_u32_e64 s[0:1], s33, v2
	s_branch .LBB113_238
.LBB113_236:
	s_mov_b64 s[0:1], 0
                                        ; implicit-def: $vgpr4_vgpr5
	s_cbranch_execz .LBB113_238
; %bb.237:
	s_movk_i32 s2, 0x98
	v_mul_i32_i24_e32 v2, 0xffffff70, v0
	v_mul_u32_u24_e32 v1, 0x98, v0
	v_mad_u32_u24 v2, v0, s2, v2
	s_waitcnt lgkmcnt(0)
	; wave barrier
	s_waitcnt lgkmcnt(0)
	ds_write2_b64 v1, v[102:103], v[40:41] offset1:1
	ds_write2_b64 v1, v[72:73], v[44:45] offset0:2 offset1:3
	ds_write2_b64 v1, v[76:77], v[48:49] offset0:4 offset1:5
	;; [unrolled: 1-line block ×8, first 2 shown]
	ds_write_b64 v1, v[108:109] offset:144
	s_waitcnt lgkmcnt(0)
	; wave barrier
	s_waitcnt lgkmcnt(0)
	ds_read2st64_b64 v[6:9], v2 offset1:1
	ds_read2st64_b64 v[10:13], v2 offset0:2 offset1:3
	ds_read2st64_b64 v[14:17], v2 offset0:4 offset1:5
	;; [unrolled: 1-line block ×8, first 2 shown]
	ds_read_b64 v[4:5], v2 offset:9216
	v_mov_b32_e32 v3, s5
	v_add_co_u32_e32 v2, vcc, s4, v127
	v_addc_co_u32_e32 v3, vcc, 0, v3, vcc
	s_movk_i32 s2, 0x1000
	s_waitcnt lgkmcnt(0)
	flat_store_dwordx2 v[2:3], v[6:7]
	flat_store_dwordx2 v[2:3], v[8:9] offset:512
	flat_store_dwordx2 v[2:3], v[10:11] offset:1024
	;; [unrolled: 1-line block ×7, first 2 shown]
	v_add_co_u32_e32 v6, vcc, s2, v2
	v_addc_co_u32_e32 v7, vcc, 0, v3, vcc
	v_add_co_u32_e32 v2, vcc, 0x2000, v2
	v_mov_b32_e32 v1, 0
	v_addc_co_u32_e32 v3, vcc, 0, v3, vcc
	s_or_b64 s[0:1], s[0:1], exec
	flat_store_dwordx2 v[6:7], v[22:23]
	flat_store_dwordx2 v[6:7], v[24:25] offset:512
	flat_store_dwordx2 v[6:7], v[26:27] offset:1024
	;; [unrolled: 1-line block ×7, first 2 shown]
	flat_store_dwordx2 v[2:3], v[38:39]
	flat_store_dwordx2 v[2:3], v[40:41] offset:512
.LBB113_238:
	s_and_saveexec_b64 s[2:3], s[0:1]
	s_cbranch_execnz .LBB113_240
; %bb.239:
	s_endpgm
.LBB113_240:
	v_lshlrev_b64 v[0:1], 3, v[0:1]
	v_mov_b32_e32 v2, s5
	v_add_co_u32_e32 v0, vcc, s4, v0
	v_addc_co_u32_e32 v1, vcc, v2, v1, vcc
	v_add_co_u32_e32 v0, vcc, 0x2000, v0
	v_addc_co_u32_e32 v1, vcc, 0, v1, vcc
	flat_store_dwordx2 v[0:1], v[4:5] offset:1024
	s_endpgm
.LBB113_241:
	v_mov_b32_e32 v3, s79
	v_add_co_u32_e32 v2, vcc, s78, v50
	v_addc_co_u32_e32 v3, vcc, 0, v3, vcc
	flat_load_dwordx2 v[2:3], v[2:3]
	s_or_b64 exec, exec, s[4:5]
                                        ; implicit-def: $vgpr6_vgpr7
	s_and_saveexec_b64 s[4:5], s[8:9]
	s_cbranch_execz .LBB113_51
.LBB113_242:
	v_mov_b32_e32 v7, s79
	v_add_co_u32_e32 v6, vcc, s78, v50
	v_addc_co_u32_e32 v7, vcc, 0, v7, vcc
	flat_load_dwordx2 v[6:7], v[6:7] offset:512
	s_or_b64 exec, exec, s[4:5]
                                        ; implicit-def: $vgpr10_vgpr11
	s_and_saveexec_b64 s[4:5], s[10:11]
	s_cbranch_execz .LBB113_52
.LBB113_243:
	v_mov_b32_e32 v11, s79
	v_add_co_u32_e32 v10, vcc, s78, v50
	v_addc_co_u32_e32 v11, vcc, 0, v11, vcc
	flat_load_dwordx2 v[10:11], v[10:11] offset:1024
	s_or_b64 exec, exec, s[4:5]
                                        ; implicit-def: $vgpr12_vgpr13
	s_and_saveexec_b64 s[4:5], s[12:13]
	s_cbranch_execz .LBB113_53
.LBB113_244:
	v_mov_b32_e32 v13, s79
	v_add_co_u32_e32 v12, vcc, s78, v50
	v_addc_co_u32_e32 v13, vcc, 0, v13, vcc
	flat_load_dwordx2 v[12:13], v[12:13] offset:1536
	s_or_b64 exec, exec, s[4:5]
                                        ; implicit-def: $vgpr14_vgpr15
	s_and_saveexec_b64 s[4:5], s[14:15]
	s_cbranch_execz .LBB113_54
.LBB113_245:
	v_mov_b32_e32 v15, s79
	v_add_co_u32_e32 v14, vcc, s78, v50
	v_addc_co_u32_e32 v15, vcc, 0, v15, vcc
	flat_load_dwordx2 v[14:15], v[14:15] offset:2048
	s_or_b64 exec, exec, s[4:5]
                                        ; implicit-def: $vgpr16_vgpr17
	s_and_saveexec_b64 s[4:5], s[16:17]
	s_cbranch_execz .LBB113_55
.LBB113_246:
	v_mov_b32_e32 v17, s79
	v_add_co_u32_e32 v16, vcc, s78, v50
	v_addc_co_u32_e32 v17, vcc, 0, v17, vcc
	flat_load_dwordx2 v[16:17], v[16:17] offset:2560
	s_or_b64 exec, exec, s[4:5]
                                        ; implicit-def: $vgpr18_vgpr19
	s_and_saveexec_b64 s[4:5], s[18:19]
	s_cbranch_execz .LBB113_56
.LBB113_247:
	v_mov_b32_e32 v19, s79
	v_add_co_u32_e32 v18, vcc, s78, v50
	v_addc_co_u32_e32 v19, vcc, 0, v19, vcc
	flat_load_dwordx2 v[18:19], v[18:19] offset:3072
	s_or_b64 exec, exec, s[4:5]
                                        ; implicit-def: $vgpr20_vgpr21
	s_and_saveexec_b64 s[4:5], s[20:21]
	s_cbranch_execz .LBB113_57
.LBB113_248:
	v_mov_b32_e32 v21, s79
	v_add_co_u32_e32 v20, vcc, s78, v50
	v_addc_co_u32_e32 v21, vcc, 0, v21, vcc
	flat_load_dwordx2 v[20:21], v[20:21] offset:3584
	s_or_b64 exec, exec, s[4:5]
                                        ; implicit-def: $vgpr22_vgpr23
	s_and_saveexec_b64 s[4:5], s[22:23]
	s_cbranch_execz .LBB113_58
.LBB113_249:
	v_mov_b32_e32 v23, s79
	v_add_co_u32_e32 v22, vcc, s78, v1
	v_addc_co_u32_e32 v23, vcc, 0, v23, vcc
	flat_load_dwordx2 v[22:23], v[22:23]
	s_or_b64 exec, exec, s[4:5]
                                        ; implicit-def: $vgpr24_vgpr25
	s_and_saveexec_b64 s[4:5], s[24:25]
	s_cbranch_execz .LBB113_59
.LBB113_250:
	v_mov_b32_e32 v1, s79
	v_add_co_u32_e32 v24, vcc, s78, v40
	v_addc_co_u32_e32 v25, vcc, 0, v1, vcc
	flat_load_dwordx2 v[24:25], v[24:25]
	s_or_b64 exec, exec, s[4:5]
                                        ; implicit-def: $vgpr26_vgpr27
	s_and_saveexec_b64 s[4:5], s[26:27]
	s_cbranch_execz .LBB113_60
.LBB113_251:
	v_mov_b32_e32 v1, s79
	v_add_co_u32_e32 v26, vcc, s78, v41
	v_addc_co_u32_e32 v27, vcc, 0, v1, vcc
	flat_load_dwordx2 v[26:27], v[26:27]
	s_or_b64 exec, exec, s[4:5]
                                        ; implicit-def: $vgpr28_vgpr29
	s_and_saveexec_b64 s[4:5], s[28:29]
	s_cbranch_execz .LBB113_61
.LBB113_252:
	v_mov_b32_e32 v1, s79
	v_add_co_u32_e32 v28, vcc, s78, v42
	v_addc_co_u32_e32 v29, vcc, 0, v1, vcc
	flat_load_dwordx2 v[28:29], v[28:29]
	s_or_b64 exec, exec, s[4:5]
                                        ; implicit-def: $vgpr30_vgpr31
	s_and_saveexec_b64 s[4:5], s[30:31]
	s_cbranch_execz .LBB113_62
.LBB113_253:
	v_mov_b32_e32 v1, s79
	v_add_co_u32_e32 v30, vcc, s78, v43
	v_addc_co_u32_e32 v31, vcc, 0, v1, vcc
	flat_load_dwordx2 v[30:31], v[30:31]
	s_or_b64 exec, exec, s[4:5]
                                        ; implicit-def: $vgpr32_vgpr33
	s_and_saveexec_b64 s[4:5], s[34:35]
	s_cbranch_execz .LBB113_63
.LBB113_254:
	v_mov_b32_e32 v1, s79
	v_add_co_u32_e32 v32, vcc, s78, v44
	v_addc_co_u32_e32 v33, vcc, 0, v1, vcc
	flat_load_dwordx2 v[32:33], v[32:33]
	s_or_b64 exec, exec, s[4:5]
                                        ; implicit-def: $vgpr34_vgpr35
	s_and_saveexec_b64 s[4:5], s[36:37]
	s_cbranch_execz .LBB113_64
.LBB113_255:
	v_mov_b32_e32 v1, s79
	v_add_co_u32_e32 v34, vcc, s78, v45
	v_addc_co_u32_e32 v35, vcc, 0, v1, vcc
	flat_load_dwordx2 v[34:35], v[34:35]
	s_or_b64 exec, exec, s[4:5]
                                        ; implicit-def: $vgpr36_vgpr37
	s_and_saveexec_b64 s[4:5], s[38:39]
	s_cbranch_execz .LBB113_65
.LBB113_256:
	v_mov_b32_e32 v1, s79
	v_add_co_u32_e32 v36, vcc, s78, v46
	v_addc_co_u32_e32 v37, vcc, 0, v1, vcc
	flat_load_dwordx2 v[36:37], v[36:37]
	s_or_b64 exec, exec, s[4:5]
                                        ; implicit-def: $vgpr38_vgpr39
	s_and_saveexec_b64 s[4:5], s[40:41]
	s_cbranch_execz .LBB113_66
.LBB113_257:
	v_mov_b32_e32 v1, s79
	v_add_co_u32_e32 v38, vcc, s78, v47
	v_addc_co_u32_e32 v39, vcc, 0, v1, vcc
	flat_load_dwordx2 v[38:39], v[38:39]
	s_or_b64 exec, exec, s[4:5]
                                        ; implicit-def: $vgpr40_vgpr41
	s_and_saveexec_b64 s[4:5], s[42:43]
	s_cbranch_execz .LBB113_67
.LBB113_258:
	v_mov_b32_e32 v1, s79
	v_add_co_u32_e32 v40, vcc, s78, v49
	v_addc_co_u32_e32 v41, vcc, 0, v1, vcc
	flat_load_dwordx2 v[40:41], v[40:41]
	s_or_b64 exec, exec, s[4:5]
                                        ; implicit-def: $vgpr42_vgpr43
	s_and_saveexec_b64 s[4:5], s[44:45]
	s_cbranch_execnz .LBB113_68
	s_branch .LBB113_69
.LBB113_259:
                                        ; implicit-def: $sgpr4_sgpr5
	s_branch .LBB113_46
.LBB113_260:
                                        ; implicit-def: $sgpr4_sgpr5
	s_branch .LBB113_110
	.section	.rodata,"a",@progbits
	.p2align	6, 0x0
	.amdhsa_kernel _ZN7rocprim17ROCPRIM_400000_NS6detail17trampoline_kernelINS0_14default_configENS1_27scan_by_key_config_selectorIxxEEZZNS1_16scan_by_key_implILNS1_25lookback_scan_determinismE0ELb0ES3_N6thrust23THRUST_200600_302600_NS6detail15normal_iteratorINS9_10device_ptrIxEEEESE_SE_xNS9_4plusIvEENS9_8equal_toIxEExEE10hipError_tPvRmT2_T3_T4_T5_mT6_T7_P12ihipStream_tbENKUlT_T0_E_clISt17integral_constantIbLb0EESY_IbLb1EEEEDaSU_SV_EUlSU_E_NS1_11comp_targetILNS1_3genE4ELNS1_11target_archE910ELNS1_3gpuE8ELNS1_3repE0EEENS1_30default_config_static_selectorELNS0_4arch9wavefront6targetE1EEEvT1_
		.amdhsa_group_segment_fixed_size 10752
		.amdhsa_private_segment_fixed_size 0
		.amdhsa_kernarg_size 136
		.amdhsa_user_sgpr_count 6
		.amdhsa_user_sgpr_private_segment_buffer 1
		.amdhsa_user_sgpr_dispatch_ptr 0
		.amdhsa_user_sgpr_queue_ptr 0
		.amdhsa_user_sgpr_kernarg_segment_ptr 1
		.amdhsa_user_sgpr_dispatch_id 0
		.amdhsa_user_sgpr_flat_scratch_init 0
		.amdhsa_user_sgpr_kernarg_preload_length 0
		.amdhsa_user_sgpr_kernarg_preload_offset 0
		.amdhsa_user_sgpr_private_segment_size 0
		.amdhsa_uses_dynamic_stack 0
		.amdhsa_system_sgpr_private_segment_wavefront_offset 0
		.amdhsa_system_sgpr_workgroup_id_x 1
		.amdhsa_system_sgpr_workgroup_id_y 0
		.amdhsa_system_sgpr_workgroup_id_z 0
		.amdhsa_system_sgpr_workgroup_info 0
		.amdhsa_system_vgpr_workitem_id 0
		.amdhsa_next_free_vgpr 128
		.amdhsa_next_free_sgpr 82
		.amdhsa_accum_offset 128
		.amdhsa_reserve_vcc 1
		.amdhsa_reserve_flat_scratch 0
		.amdhsa_float_round_mode_32 0
		.amdhsa_float_round_mode_16_64 0
		.amdhsa_float_denorm_mode_32 3
		.amdhsa_float_denorm_mode_16_64 3
		.amdhsa_dx10_clamp 1
		.amdhsa_ieee_mode 1
		.amdhsa_fp16_overflow 0
		.amdhsa_tg_split 0
		.amdhsa_exception_fp_ieee_invalid_op 0
		.amdhsa_exception_fp_denorm_src 0
		.amdhsa_exception_fp_ieee_div_zero 0
		.amdhsa_exception_fp_ieee_overflow 0
		.amdhsa_exception_fp_ieee_underflow 0
		.amdhsa_exception_fp_ieee_inexact 0
		.amdhsa_exception_int_div_zero 0
	.end_amdhsa_kernel
	.section	.text._ZN7rocprim17ROCPRIM_400000_NS6detail17trampoline_kernelINS0_14default_configENS1_27scan_by_key_config_selectorIxxEEZZNS1_16scan_by_key_implILNS1_25lookback_scan_determinismE0ELb0ES3_N6thrust23THRUST_200600_302600_NS6detail15normal_iteratorINS9_10device_ptrIxEEEESE_SE_xNS9_4plusIvEENS9_8equal_toIxEExEE10hipError_tPvRmT2_T3_T4_T5_mT6_T7_P12ihipStream_tbENKUlT_T0_E_clISt17integral_constantIbLb0EESY_IbLb1EEEEDaSU_SV_EUlSU_E_NS1_11comp_targetILNS1_3genE4ELNS1_11target_archE910ELNS1_3gpuE8ELNS1_3repE0EEENS1_30default_config_static_selectorELNS0_4arch9wavefront6targetE1EEEvT1_,"axG",@progbits,_ZN7rocprim17ROCPRIM_400000_NS6detail17trampoline_kernelINS0_14default_configENS1_27scan_by_key_config_selectorIxxEEZZNS1_16scan_by_key_implILNS1_25lookback_scan_determinismE0ELb0ES3_N6thrust23THRUST_200600_302600_NS6detail15normal_iteratorINS9_10device_ptrIxEEEESE_SE_xNS9_4plusIvEENS9_8equal_toIxEExEE10hipError_tPvRmT2_T3_T4_T5_mT6_T7_P12ihipStream_tbENKUlT_T0_E_clISt17integral_constantIbLb0EESY_IbLb1EEEEDaSU_SV_EUlSU_E_NS1_11comp_targetILNS1_3genE4ELNS1_11target_archE910ELNS1_3gpuE8ELNS1_3repE0EEENS1_30default_config_static_selectorELNS0_4arch9wavefront6targetE1EEEvT1_,comdat
.Lfunc_end113:
	.size	_ZN7rocprim17ROCPRIM_400000_NS6detail17trampoline_kernelINS0_14default_configENS1_27scan_by_key_config_selectorIxxEEZZNS1_16scan_by_key_implILNS1_25lookback_scan_determinismE0ELb0ES3_N6thrust23THRUST_200600_302600_NS6detail15normal_iteratorINS9_10device_ptrIxEEEESE_SE_xNS9_4plusIvEENS9_8equal_toIxEExEE10hipError_tPvRmT2_T3_T4_T5_mT6_T7_P12ihipStream_tbENKUlT_T0_E_clISt17integral_constantIbLb0EESY_IbLb1EEEEDaSU_SV_EUlSU_E_NS1_11comp_targetILNS1_3genE4ELNS1_11target_archE910ELNS1_3gpuE8ELNS1_3repE0EEENS1_30default_config_static_selectorELNS0_4arch9wavefront6targetE1EEEvT1_, .Lfunc_end113-_ZN7rocprim17ROCPRIM_400000_NS6detail17trampoline_kernelINS0_14default_configENS1_27scan_by_key_config_selectorIxxEEZZNS1_16scan_by_key_implILNS1_25lookback_scan_determinismE0ELb0ES3_N6thrust23THRUST_200600_302600_NS6detail15normal_iteratorINS9_10device_ptrIxEEEESE_SE_xNS9_4plusIvEENS9_8equal_toIxEExEE10hipError_tPvRmT2_T3_T4_T5_mT6_T7_P12ihipStream_tbENKUlT_T0_E_clISt17integral_constantIbLb0EESY_IbLb1EEEEDaSU_SV_EUlSU_E_NS1_11comp_targetILNS1_3genE4ELNS1_11target_archE910ELNS1_3gpuE8ELNS1_3repE0EEENS1_30default_config_static_selectorELNS0_4arch9wavefront6targetE1EEEvT1_
                                        ; -- End function
	.section	.AMDGPU.csdata,"",@progbits
; Kernel info:
; codeLenInByte = 14876
; NumSgprs: 86
; NumVgprs: 128
; NumAgprs: 0
; TotalNumVgprs: 128
; ScratchSize: 0
; MemoryBound: 0
; FloatMode: 240
; IeeeMode: 1
; LDSByteSize: 10752 bytes/workgroup (compile time only)
; SGPRBlocks: 10
; VGPRBlocks: 15
; NumSGPRsForWavesPerEU: 86
; NumVGPRsForWavesPerEU: 128
; AccumOffset: 128
; Occupancy: 2
; WaveLimiterHint : 1
; COMPUTE_PGM_RSRC2:SCRATCH_EN: 0
; COMPUTE_PGM_RSRC2:USER_SGPR: 6
; COMPUTE_PGM_RSRC2:TRAP_HANDLER: 0
; COMPUTE_PGM_RSRC2:TGID_X_EN: 1
; COMPUTE_PGM_RSRC2:TGID_Y_EN: 0
; COMPUTE_PGM_RSRC2:TGID_Z_EN: 0
; COMPUTE_PGM_RSRC2:TIDIG_COMP_CNT: 0
; COMPUTE_PGM_RSRC3_GFX90A:ACCUM_OFFSET: 31
; COMPUTE_PGM_RSRC3_GFX90A:TG_SPLIT: 0
	.section	.text._ZN7rocprim17ROCPRIM_400000_NS6detail17trampoline_kernelINS0_14default_configENS1_27scan_by_key_config_selectorIxxEEZZNS1_16scan_by_key_implILNS1_25lookback_scan_determinismE0ELb0ES3_N6thrust23THRUST_200600_302600_NS6detail15normal_iteratorINS9_10device_ptrIxEEEESE_SE_xNS9_4plusIvEENS9_8equal_toIxEExEE10hipError_tPvRmT2_T3_T4_T5_mT6_T7_P12ihipStream_tbENKUlT_T0_E_clISt17integral_constantIbLb0EESY_IbLb1EEEEDaSU_SV_EUlSU_E_NS1_11comp_targetILNS1_3genE3ELNS1_11target_archE908ELNS1_3gpuE7ELNS1_3repE0EEENS1_30default_config_static_selectorELNS0_4arch9wavefront6targetE1EEEvT1_,"axG",@progbits,_ZN7rocprim17ROCPRIM_400000_NS6detail17trampoline_kernelINS0_14default_configENS1_27scan_by_key_config_selectorIxxEEZZNS1_16scan_by_key_implILNS1_25lookback_scan_determinismE0ELb0ES3_N6thrust23THRUST_200600_302600_NS6detail15normal_iteratorINS9_10device_ptrIxEEEESE_SE_xNS9_4plusIvEENS9_8equal_toIxEExEE10hipError_tPvRmT2_T3_T4_T5_mT6_T7_P12ihipStream_tbENKUlT_T0_E_clISt17integral_constantIbLb0EESY_IbLb1EEEEDaSU_SV_EUlSU_E_NS1_11comp_targetILNS1_3genE3ELNS1_11target_archE908ELNS1_3gpuE7ELNS1_3repE0EEENS1_30default_config_static_selectorELNS0_4arch9wavefront6targetE1EEEvT1_,comdat
	.protected	_ZN7rocprim17ROCPRIM_400000_NS6detail17trampoline_kernelINS0_14default_configENS1_27scan_by_key_config_selectorIxxEEZZNS1_16scan_by_key_implILNS1_25lookback_scan_determinismE0ELb0ES3_N6thrust23THRUST_200600_302600_NS6detail15normal_iteratorINS9_10device_ptrIxEEEESE_SE_xNS9_4plusIvEENS9_8equal_toIxEExEE10hipError_tPvRmT2_T3_T4_T5_mT6_T7_P12ihipStream_tbENKUlT_T0_E_clISt17integral_constantIbLb0EESY_IbLb1EEEEDaSU_SV_EUlSU_E_NS1_11comp_targetILNS1_3genE3ELNS1_11target_archE908ELNS1_3gpuE7ELNS1_3repE0EEENS1_30default_config_static_selectorELNS0_4arch9wavefront6targetE1EEEvT1_ ; -- Begin function _ZN7rocprim17ROCPRIM_400000_NS6detail17trampoline_kernelINS0_14default_configENS1_27scan_by_key_config_selectorIxxEEZZNS1_16scan_by_key_implILNS1_25lookback_scan_determinismE0ELb0ES3_N6thrust23THRUST_200600_302600_NS6detail15normal_iteratorINS9_10device_ptrIxEEEESE_SE_xNS9_4plusIvEENS9_8equal_toIxEExEE10hipError_tPvRmT2_T3_T4_T5_mT6_T7_P12ihipStream_tbENKUlT_T0_E_clISt17integral_constantIbLb0EESY_IbLb1EEEEDaSU_SV_EUlSU_E_NS1_11comp_targetILNS1_3genE3ELNS1_11target_archE908ELNS1_3gpuE7ELNS1_3repE0EEENS1_30default_config_static_selectorELNS0_4arch9wavefront6targetE1EEEvT1_
	.globl	_ZN7rocprim17ROCPRIM_400000_NS6detail17trampoline_kernelINS0_14default_configENS1_27scan_by_key_config_selectorIxxEEZZNS1_16scan_by_key_implILNS1_25lookback_scan_determinismE0ELb0ES3_N6thrust23THRUST_200600_302600_NS6detail15normal_iteratorINS9_10device_ptrIxEEEESE_SE_xNS9_4plusIvEENS9_8equal_toIxEExEE10hipError_tPvRmT2_T3_T4_T5_mT6_T7_P12ihipStream_tbENKUlT_T0_E_clISt17integral_constantIbLb0EESY_IbLb1EEEEDaSU_SV_EUlSU_E_NS1_11comp_targetILNS1_3genE3ELNS1_11target_archE908ELNS1_3gpuE7ELNS1_3repE0EEENS1_30default_config_static_selectorELNS0_4arch9wavefront6targetE1EEEvT1_
	.p2align	8
	.type	_ZN7rocprim17ROCPRIM_400000_NS6detail17trampoline_kernelINS0_14default_configENS1_27scan_by_key_config_selectorIxxEEZZNS1_16scan_by_key_implILNS1_25lookback_scan_determinismE0ELb0ES3_N6thrust23THRUST_200600_302600_NS6detail15normal_iteratorINS9_10device_ptrIxEEEESE_SE_xNS9_4plusIvEENS9_8equal_toIxEExEE10hipError_tPvRmT2_T3_T4_T5_mT6_T7_P12ihipStream_tbENKUlT_T0_E_clISt17integral_constantIbLb0EESY_IbLb1EEEEDaSU_SV_EUlSU_E_NS1_11comp_targetILNS1_3genE3ELNS1_11target_archE908ELNS1_3gpuE7ELNS1_3repE0EEENS1_30default_config_static_selectorELNS0_4arch9wavefront6targetE1EEEvT1_,@function
_ZN7rocprim17ROCPRIM_400000_NS6detail17trampoline_kernelINS0_14default_configENS1_27scan_by_key_config_selectorIxxEEZZNS1_16scan_by_key_implILNS1_25lookback_scan_determinismE0ELb0ES3_N6thrust23THRUST_200600_302600_NS6detail15normal_iteratorINS9_10device_ptrIxEEEESE_SE_xNS9_4plusIvEENS9_8equal_toIxEExEE10hipError_tPvRmT2_T3_T4_T5_mT6_T7_P12ihipStream_tbENKUlT_T0_E_clISt17integral_constantIbLb0EESY_IbLb1EEEEDaSU_SV_EUlSU_E_NS1_11comp_targetILNS1_3genE3ELNS1_11target_archE908ELNS1_3gpuE7ELNS1_3repE0EEENS1_30default_config_static_selectorELNS0_4arch9wavefront6targetE1EEEvT1_: ; @_ZN7rocprim17ROCPRIM_400000_NS6detail17trampoline_kernelINS0_14default_configENS1_27scan_by_key_config_selectorIxxEEZZNS1_16scan_by_key_implILNS1_25lookback_scan_determinismE0ELb0ES3_N6thrust23THRUST_200600_302600_NS6detail15normal_iteratorINS9_10device_ptrIxEEEESE_SE_xNS9_4plusIvEENS9_8equal_toIxEExEE10hipError_tPvRmT2_T3_T4_T5_mT6_T7_P12ihipStream_tbENKUlT_T0_E_clISt17integral_constantIbLb0EESY_IbLb1EEEEDaSU_SV_EUlSU_E_NS1_11comp_targetILNS1_3genE3ELNS1_11target_archE908ELNS1_3gpuE7ELNS1_3repE0EEENS1_30default_config_static_selectorELNS0_4arch9wavefront6targetE1EEEvT1_
; %bb.0:
	.section	.rodata,"a",@progbits
	.p2align	6, 0x0
	.amdhsa_kernel _ZN7rocprim17ROCPRIM_400000_NS6detail17trampoline_kernelINS0_14default_configENS1_27scan_by_key_config_selectorIxxEEZZNS1_16scan_by_key_implILNS1_25lookback_scan_determinismE0ELb0ES3_N6thrust23THRUST_200600_302600_NS6detail15normal_iteratorINS9_10device_ptrIxEEEESE_SE_xNS9_4plusIvEENS9_8equal_toIxEExEE10hipError_tPvRmT2_T3_T4_T5_mT6_T7_P12ihipStream_tbENKUlT_T0_E_clISt17integral_constantIbLb0EESY_IbLb1EEEEDaSU_SV_EUlSU_E_NS1_11comp_targetILNS1_3genE3ELNS1_11target_archE908ELNS1_3gpuE7ELNS1_3repE0EEENS1_30default_config_static_selectorELNS0_4arch9wavefront6targetE1EEEvT1_
		.amdhsa_group_segment_fixed_size 0
		.amdhsa_private_segment_fixed_size 0
		.amdhsa_kernarg_size 136
		.amdhsa_user_sgpr_count 6
		.amdhsa_user_sgpr_private_segment_buffer 1
		.amdhsa_user_sgpr_dispatch_ptr 0
		.amdhsa_user_sgpr_queue_ptr 0
		.amdhsa_user_sgpr_kernarg_segment_ptr 1
		.amdhsa_user_sgpr_dispatch_id 0
		.amdhsa_user_sgpr_flat_scratch_init 0
		.amdhsa_user_sgpr_kernarg_preload_length 0
		.amdhsa_user_sgpr_kernarg_preload_offset 0
		.amdhsa_user_sgpr_private_segment_size 0
		.amdhsa_uses_dynamic_stack 0
		.amdhsa_system_sgpr_private_segment_wavefront_offset 0
		.amdhsa_system_sgpr_workgroup_id_x 1
		.amdhsa_system_sgpr_workgroup_id_y 0
		.amdhsa_system_sgpr_workgroup_id_z 0
		.amdhsa_system_sgpr_workgroup_info 0
		.amdhsa_system_vgpr_workitem_id 0
		.amdhsa_next_free_vgpr 1
		.amdhsa_next_free_sgpr 0
		.amdhsa_accum_offset 4
		.amdhsa_reserve_vcc 0
		.amdhsa_reserve_flat_scratch 0
		.amdhsa_float_round_mode_32 0
		.amdhsa_float_round_mode_16_64 0
		.amdhsa_float_denorm_mode_32 3
		.amdhsa_float_denorm_mode_16_64 3
		.amdhsa_dx10_clamp 1
		.amdhsa_ieee_mode 1
		.amdhsa_fp16_overflow 0
		.amdhsa_tg_split 0
		.amdhsa_exception_fp_ieee_invalid_op 0
		.amdhsa_exception_fp_denorm_src 0
		.amdhsa_exception_fp_ieee_div_zero 0
		.amdhsa_exception_fp_ieee_overflow 0
		.amdhsa_exception_fp_ieee_underflow 0
		.amdhsa_exception_fp_ieee_inexact 0
		.amdhsa_exception_int_div_zero 0
	.end_amdhsa_kernel
	.section	.text._ZN7rocprim17ROCPRIM_400000_NS6detail17trampoline_kernelINS0_14default_configENS1_27scan_by_key_config_selectorIxxEEZZNS1_16scan_by_key_implILNS1_25lookback_scan_determinismE0ELb0ES3_N6thrust23THRUST_200600_302600_NS6detail15normal_iteratorINS9_10device_ptrIxEEEESE_SE_xNS9_4plusIvEENS9_8equal_toIxEExEE10hipError_tPvRmT2_T3_T4_T5_mT6_T7_P12ihipStream_tbENKUlT_T0_E_clISt17integral_constantIbLb0EESY_IbLb1EEEEDaSU_SV_EUlSU_E_NS1_11comp_targetILNS1_3genE3ELNS1_11target_archE908ELNS1_3gpuE7ELNS1_3repE0EEENS1_30default_config_static_selectorELNS0_4arch9wavefront6targetE1EEEvT1_,"axG",@progbits,_ZN7rocprim17ROCPRIM_400000_NS6detail17trampoline_kernelINS0_14default_configENS1_27scan_by_key_config_selectorIxxEEZZNS1_16scan_by_key_implILNS1_25lookback_scan_determinismE0ELb0ES3_N6thrust23THRUST_200600_302600_NS6detail15normal_iteratorINS9_10device_ptrIxEEEESE_SE_xNS9_4plusIvEENS9_8equal_toIxEExEE10hipError_tPvRmT2_T3_T4_T5_mT6_T7_P12ihipStream_tbENKUlT_T0_E_clISt17integral_constantIbLb0EESY_IbLb1EEEEDaSU_SV_EUlSU_E_NS1_11comp_targetILNS1_3genE3ELNS1_11target_archE908ELNS1_3gpuE7ELNS1_3repE0EEENS1_30default_config_static_selectorELNS0_4arch9wavefront6targetE1EEEvT1_,comdat
.Lfunc_end114:
	.size	_ZN7rocprim17ROCPRIM_400000_NS6detail17trampoline_kernelINS0_14default_configENS1_27scan_by_key_config_selectorIxxEEZZNS1_16scan_by_key_implILNS1_25lookback_scan_determinismE0ELb0ES3_N6thrust23THRUST_200600_302600_NS6detail15normal_iteratorINS9_10device_ptrIxEEEESE_SE_xNS9_4plusIvEENS9_8equal_toIxEExEE10hipError_tPvRmT2_T3_T4_T5_mT6_T7_P12ihipStream_tbENKUlT_T0_E_clISt17integral_constantIbLb0EESY_IbLb1EEEEDaSU_SV_EUlSU_E_NS1_11comp_targetILNS1_3genE3ELNS1_11target_archE908ELNS1_3gpuE7ELNS1_3repE0EEENS1_30default_config_static_selectorELNS0_4arch9wavefront6targetE1EEEvT1_, .Lfunc_end114-_ZN7rocprim17ROCPRIM_400000_NS6detail17trampoline_kernelINS0_14default_configENS1_27scan_by_key_config_selectorIxxEEZZNS1_16scan_by_key_implILNS1_25lookback_scan_determinismE0ELb0ES3_N6thrust23THRUST_200600_302600_NS6detail15normal_iteratorINS9_10device_ptrIxEEEESE_SE_xNS9_4plusIvEENS9_8equal_toIxEExEE10hipError_tPvRmT2_T3_T4_T5_mT6_T7_P12ihipStream_tbENKUlT_T0_E_clISt17integral_constantIbLb0EESY_IbLb1EEEEDaSU_SV_EUlSU_E_NS1_11comp_targetILNS1_3genE3ELNS1_11target_archE908ELNS1_3gpuE7ELNS1_3repE0EEENS1_30default_config_static_selectorELNS0_4arch9wavefront6targetE1EEEvT1_
                                        ; -- End function
	.section	.AMDGPU.csdata,"",@progbits
; Kernel info:
; codeLenInByte = 0
; NumSgprs: 4
; NumVgprs: 0
; NumAgprs: 0
; TotalNumVgprs: 0
; ScratchSize: 0
; MemoryBound: 0
; FloatMode: 240
; IeeeMode: 1
; LDSByteSize: 0 bytes/workgroup (compile time only)
; SGPRBlocks: 0
; VGPRBlocks: 0
; NumSGPRsForWavesPerEU: 4
; NumVGPRsForWavesPerEU: 1
; AccumOffset: 4
; Occupancy: 8
; WaveLimiterHint : 0
; COMPUTE_PGM_RSRC2:SCRATCH_EN: 0
; COMPUTE_PGM_RSRC2:USER_SGPR: 6
; COMPUTE_PGM_RSRC2:TRAP_HANDLER: 0
; COMPUTE_PGM_RSRC2:TGID_X_EN: 1
; COMPUTE_PGM_RSRC2:TGID_Y_EN: 0
; COMPUTE_PGM_RSRC2:TGID_Z_EN: 0
; COMPUTE_PGM_RSRC2:TIDIG_COMP_CNT: 0
; COMPUTE_PGM_RSRC3_GFX90A:ACCUM_OFFSET: 0
; COMPUTE_PGM_RSRC3_GFX90A:TG_SPLIT: 0
	.section	.text._ZN7rocprim17ROCPRIM_400000_NS6detail17trampoline_kernelINS0_14default_configENS1_27scan_by_key_config_selectorIxxEEZZNS1_16scan_by_key_implILNS1_25lookback_scan_determinismE0ELb0ES3_N6thrust23THRUST_200600_302600_NS6detail15normal_iteratorINS9_10device_ptrIxEEEESE_SE_xNS9_4plusIvEENS9_8equal_toIxEExEE10hipError_tPvRmT2_T3_T4_T5_mT6_T7_P12ihipStream_tbENKUlT_T0_E_clISt17integral_constantIbLb0EESY_IbLb1EEEEDaSU_SV_EUlSU_E_NS1_11comp_targetILNS1_3genE2ELNS1_11target_archE906ELNS1_3gpuE6ELNS1_3repE0EEENS1_30default_config_static_selectorELNS0_4arch9wavefront6targetE1EEEvT1_,"axG",@progbits,_ZN7rocprim17ROCPRIM_400000_NS6detail17trampoline_kernelINS0_14default_configENS1_27scan_by_key_config_selectorIxxEEZZNS1_16scan_by_key_implILNS1_25lookback_scan_determinismE0ELb0ES3_N6thrust23THRUST_200600_302600_NS6detail15normal_iteratorINS9_10device_ptrIxEEEESE_SE_xNS9_4plusIvEENS9_8equal_toIxEExEE10hipError_tPvRmT2_T3_T4_T5_mT6_T7_P12ihipStream_tbENKUlT_T0_E_clISt17integral_constantIbLb0EESY_IbLb1EEEEDaSU_SV_EUlSU_E_NS1_11comp_targetILNS1_3genE2ELNS1_11target_archE906ELNS1_3gpuE6ELNS1_3repE0EEENS1_30default_config_static_selectorELNS0_4arch9wavefront6targetE1EEEvT1_,comdat
	.protected	_ZN7rocprim17ROCPRIM_400000_NS6detail17trampoline_kernelINS0_14default_configENS1_27scan_by_key_config_selectorIxxEEZZNS1_16scan_by_key_implILNS1_25lookback_scan_determinismE0ELb0ES3_N6thrust23THRUST_200600_302600_NS6detail15normal_iteratorINS9_10device_ptrIxEEEESE_SE_xNS9_4plusIvEENS9_8equal_toIxEExEE10hipError_tPvRmT2_T3_T4_T5_mT6_T7_P12ihipStream_tbENKUlT_T0_E_clISt17integral_constantIbLb0EESY_IbLb1EEEEDaSU_SV_EUlSU_E_NS1_11comp_targetILNS1_3genE2ELNS1_11target_archE906ELNS1_3gpuE6ELNS1_3repE0EEENS1_30default_config_static_selectorELNS0_4arch9wavefront6targetE1EEEvT1_ ; -- Begin function _ZN7rocprim17ROCPRIM_400000_NS6detail17trampoline_kernelINS0_14default_configENS1_27scan_by_key_config_selectorIxxEEZZNS1_16scan_by_key_implILNS1_25lookback_scan_determinismE0ELb0ES3_N6thrust23THRUST_200600_302600_NS6detail15normal_iteratorINS9_10device_ptrIxEEEESE_SE_xNS9_4plusIvEENS9_8equal_toIxEExEE10hipError_tPvRmT2_T3_T4_T5_mT6_T7_P12ihipStream_tbENKUlT_T0_E_clISt17integral_constantIbLb0EESY_IbLb1EEEEDaSU_SV_EUlSU_E_NS1_11comp_targetILNS1_3genE2ELNS1_11target_archE906ELNS1_3gpuE6ELNS1_3repE0EEENS1_30default_config_static_selectorELNS0_4arch9wavefront6targetE1EEEvT1_
	.globl	_ZN7rocprim17ROCPRIM_400000_NS6detail17trampoline_kernelINS0_14default_configENS1_27scan_by_key_config_selectorIxxEEZZNS1_16scan_by_key_implILNS1_25lookback_scan_determinismE0ELb0ES3_N6thrust23THRUST_200600_302600_NS6detail15normal_iteratorINS9_10device_ptrIxEEEESE_SE_xNS9_4plusIvEENS9_8equal_toIxEExEE10hipError_tPvRmT2_T3_T4_T5_mT6_T7_P12ihipStream_tbENKUlT_T0_E_clISt17integral_constantIbLb0EESY_IbLb1EEEEDaSU_SV_EUlSU_E_NS1_11comp_targetILNS1_3genE2ELNS1_11target_archE906ELNS1_3gpuE6ELNS1_3repE0EEENS1_30default_config_static_selectorELNS0_4arch9wavefront6targetE1EEEvT1_
	.p2align	8
	.type	_ZN7rocprim17ROCPRIM_400000_NS6detail17trampoline_kernelINS0_14default_configENS1_27scan_by_key_config_selectorIxxEEZZNS1_16scan_by_key_implILNS1_25lookback_scan_determinismE0ELb0ES3_N6thrust23THRUST_200600_302600_NS6detail15normal_iteratorINS9_10device_ptrIxEEEESE_SE_xNS9_4plusIvEENS9_8equal_toIxEExEE10hipError_tPvRmT2_T3_T4_T5_mT6_T7_P12ihipStream_tbENKUlT_T0_E_clISt17integral_constantIbLb0EESY_IbLb1EEEEDaSU_SV_EUlSU_E_NS1_11comp_targetILNS1_3genE2ELNS1_11target_archE906ELNS1_3gpuE6ELNS1_3repE0EEENS1_30default_config_static_selectorELNS0_4arch9wavefront6targetE1EEEvT1_,@function
_ZN7rocprim17ROCPRIM_400000_NS6detail17trampoline_kernelINS0_14default_configENS1_27scan_by_key_config_selectorIxxEEZZNS1_16scan_by_key_implILNS1_25lookback_scan_determinismE0ELb0ES3_N6thrust23THRUST_200600_302600_NS6detail15normal_iteratorINS9_10device_ptrIxEEEESE_SE_xNS9_4plusIvEENS9_8equal_toIxEExEE10hipError_tPvRmT2_T3_T4_T5_mT6_T7_P12ihipStream_tbENKUlT_T0_E_clISt17integral_constantIbLb0EESY_IbLb1EEEEDaSU_SV_EUlSU_E_NS1_11comp_targetILNS1_3genE2ELNS1_11target_archE906ELNS1_3gpuE6ELNS1_3repE0EEENS1_30default_config_static_selectorELNS0_4arch9wavefront6targetE1EEEvT1_: ; @_ZN7rocprim17ROCPRIM_400000_NS6detail17trampoline_kernelINS0_14default_configENS1_27scan_by_key_config_selectorIxxEEZZNS1_16scan_by_key_implILNS1_25lookback_scan_determinismE0ELb0ES3_N6thrust23THRUST_200600_302600_NS6detail15normal_iteratorINS9_10device_ptrIxEEEESE_SE_xNS9_4plusIvEENS9_8equal_toIxEExEE10hipError_tPvRmT2_T3_T4_T5_mT6_T7_P12ihipStream_tbENKUlT_T0_E_clISt17integral_constantIbLb0EESY_IbLb1EEEEDaSU_SV_EUlSU_E_NS1_11comp_targetILNS1_3genE2ELNS1_11target_archE906ELNS1_3gpuE6ELNS1_3repE0EEENS1_30default_config_static_selectorELNS0_4arch9wavefront6targetE1EEEvT1_
; %bb.0:
	.section	.rodata,"a",@progbits
	.p2align	6, 0x0
	.amdhsa_kernel _ZN7rocprim17ROCPRIM_400000_NS6detail17trampoline_kernelINS0_14default_configENS1_27scan_by_key_config_selectorIxxEEZZNS1_16scan_by_key_implILNS1_25lookback_scan_determinismE0ELb0ES3_N6thrust23THRUST_200600_302600_NS6detail15normal_iteratorINS9_10device_ptrIxEEEESE_SE_xNS9_4plusIvEENS9_8equal_toIxEExEE10hipError_tPvRmT2_T3_T4_T5_mT6_T7_P12ihipStream_tbENKUlT_T0_E_clISt17integral_constantIbLb0EESY_IbLb1EEEEDaSU_SV_EUlSU_E_NS1_11comp_targetILNS1_3genE2ELNS1_11target_archE906ELNS1_3gpuE6ELNS1_3repE0EEENS1_30default_config_static_selectorELNS0_4arch9wavefront6targetE1EEEvT1_
		.amdhsa_group_segment_fixed_size 0
		.amdhsa_private_segment_fixed_size 0
		.amdhsa_kernarg_size 136
		.amdhsa_user_sgpr_count 6
		.amdhsa_user_sgpr_private_segment_buffer 1
		.amdhsa_user_sgpr_dispatch_ptr 0
		.amdhsa_user_sgpr_queue_ptr 0
		.amdhsa_user_sgpr_kernarg_segment_ptr 1
		.amdhsa_user_sgpr_dispatch_id 0
		.amdhsa_user_sgpr_flat_scratch_init 0
		.amdhsa_user_sgpr_kernarg_preload_length 0
		.amdhsa_user_sgpr_kernarg_preload_offset 0
		.amdhsa_user_sgpr_private_segment_size 0
		.amdhsa_uses_dynamic_stack 0
		.amdhsa_system_sgpr_private_segment_wavefront_offset 0
		.amdhsa_system_sgpr_workgroup_id_x 1
		.amdhsa_system_sgpr_workgroup_id_y 0
		.amdhsa_system_sgpr_workgroup_id_z 0
		.amdhsa_system_sgpr_workgroup_info 0
		.amdhsa_system_vgpr_workitem_id 0
		.amdhsa_next_free_vgpr 1
		.amdhsa_next_free_sgpr 0
		.amdhsa_accum_offset 4
		.amdhsa_reserve_vcc 0
		.amdhsa_reserve_flat_scratch 0
		.amdhsa_float_round_mode_32 0
		.amdhsa_float_round_mode_16_64 0
		.amdhsa_float_denorm_mode_32 3
		.amdhsa_float_denorm_mode_16_64 3
		.amdhsa_dx10_clamp 1
		.amdhsa_ieee_mode 1
		.amdhsa_fp16_overflow 0
		.amdhsa_tg_split 0
		.amdhsa_exception_fp_ieee_invalid_op 0
		.amdhsa_exception_fp_denorm_src 0
		.amdhsa_exception_fp_ieee_div_zero 0
		.amdhsa_exception_fp_ieee_overflow 0
		.amdhsa_exception_fp_ieee_underflow 0
		.amdhsa_exception_fp_ieee_inexact 0
		.amdhsa_exception_int_div_zero 0
	.end_amdhsa_kernel
	.section	.text._ZN7rocprim17ROCPRIM_400000_NS6detail17trampoline_kernelINS0_14default_configENS1_27scan_by_key_config_selectorIxxEEZZNS1_16scan_by_key_implILNS1_25lookback_scan_determinismE0ELb0ES3_N6thrust23THRUST_200600_302600_NS6detail15normal_iteratorINS9_10device_ptrIxEEEESE_SE_xNS9_4plusIvEENS9_8equal_toIxEExEE10hipError_tPvRmT2_T3_T4_T5_mT6_T7_P12ihipStream_tbENKUlT_T0_E_clISt17integral_constantIbLb0EESY_IbLb1EEEEDaSU_SV_EUlSU_E_NS1_11comp_targetILNS1_3genE2ELNS1_11target_archE906ELNS1_3gpuE6ELNS1_3repE0EEENS1_30default_config_static_selectorELNS0_4arch9wavefront6targetE1EEEvT1_,"axG",@progbits,_ZN7rocprim17ROCPRIM_400000_NS6detail17trampoline_kernelINS0_14default_configENS1_27scan_by_key_config_selectorIxxEEZZNS1_16scan_by_key_implILNS1_25lookback_scan_determinismE0ELb0ES3_N6thrust23THRUST_200600_302600_NS6detail15normal_iteratorINS9_10device_ptrIxEEEESE_SE_xNS9_4plusIvEENS9_8equal_toIxEExEE10hipError_tPvRmT2_T3_T4_T5_mT6_T7_P12ihipStream_tbENKUlT_T0_E_clISt17integral_constantIbLb0EESY_IbLb1EEEEDaSU_SV_EUlSU_E_NS1_11comp_targetILNS1_3genE2ELNS1_11target_archE906ELNS1_3gpuE6ELNS1_3repE0EEENS1_30default_config_static_selectorELNS0_4arch9wavefront6targetE1EEEvT1_,comdat
.Lfunc_end115:
	.size	_ZN7rocprim17ROCPRIM_400000_NS6detail17trampoline_kernelINS0_14default_configENS1_27scan_by_key_config_selectorIxxEEZZNS1_16scan_by_key_implILNS1_25lookback_scan_determinismE0ELb0ES3_N6thrust23THRUST_200600_302600_NS6detail15normal_iteratorINS9_10device_ptrIxEEEESE_SE_xNS9_4plusIvEENS9_8equal_toIxEExEE10hipError_tPvRmT2_T3_T4_T5_mT6_T7_P12ihipStream_tbENKUlT_T0_E_clISt17integral_constantIbLb0EESY_IbLb1EEEEDaSU_SV_EUlSU_E_NS1_11comp_targetILNS1_3genE2ELNS1_11target_archE906ELNS1_3gpuE6ELNS1_3repE0EEENS1_30default_config_static_selectorELNS0_4arch9wavefront6targetE1EEEvT1_, .Lfunc_end115-_ZN7rocprim17ROCPRIM_400000_NS6detail17trampoline_kernelINS0_14default_configENS1_27scan_by_key_config_selectorIxxEEZZNS1_16scan_by_key_implILNS1_25lookback_scan_determinismE0ELb0ES3_N6thrust23THRUST_200600_302600_NS6detail15normal_iteratorINS9_10device_ptrIxEEEESE_SE_xNS9_4plusIvEENS9_8equal_toIxEExEE10hipError_tPvRmT2_T3_T4_T5_mT6_T7_P12ihipStream_tbENKUlT_T0_E_clISt17integral_constantIbLb0EESY_IbLb1EEEEDaSU_SV_EUlSU_E_NS1_11comp_targetILNS1_3genE2ELNS1_11target_archE906ELNS1_3gpuE6ELNS1_3repE0EEENS1_30default_config_static_selectorELNS0_4arch9wavefront6targetE1EEEvT1_
                                        ; -- End function
	.section	.AMDGPU.csdata,"",@progbits
; Kernel info:
; codeLenInByte = 0
; NumSgprs: 4
; NumVgprs: 0
; NumAgprs: 0
; TotalNumVgprs: 0
; ScratchSize: 0
; MemoryBound: 0
; FloatMode: 240
; IeeeMode: 1
; LDSByteSize: 0 bytes/workgroup (compile time only)
; SGPRBlocks: 0
; VGPRBlocks: 0
; NumSGPRsForWavesPerEU: 4
; NumVGPRsForWavesPerEU: 1
; AccumOffset: 4
; Occupancy: 8
; WaveLimiterHint : 0
; COMPUTE_PGM_RSRC2:SCRATCH_EN: 0
; COMPUTE_PGM_RSRC2:USER_SGPR: 6
; COMPUTE_PGM_RSRC2:TRAP_HANDLER: 0
; COMPUTE_PGM_RSRC2:TGID_X_EN: 1
; COMPUTE_PGM_RSRC2:TGID_Y_EN: 0
; COMPUTE_PGM_RSRC2:TGID_Z_EN: 0
; COMPUTE_PGM_RSRC2:TIDIG_COMP_CNT: 0
; COMPUTE_PGM_RSRC3_GFX90A:ACCUM_OFFSET: 0
; COMPUTE_PGM_RSRC3_GFX90A:TG_SPLIT: 0
	.section	.text._ZN7rocprim17ROCPRIM_400000_NS6detail17trampoline_kernelINS0_14default_configENS1_27scan_by_key_config_selectorIxxEEZZNS1_16scan_by_key_implILNS1_25lookback_scan_determinismE0ELb0ES3_N6thrust23THRUST_200600_302600_NS6detail15normal_iteratorINS9_10device_ptrIxEEEESE_SE_xNS9_4plusIvEENS9_8equal_toIxEExEE10hipError_tPvRmT2_T3_T4_T5_mT6_T7_P12ihipStream_tbENKUlT_T0_E_clISt17integral_constantIbLb0EESY_IbLb1EEEEDaSU_SV_EUlSU_E_NS1_11comp_targetILNS1_3genE10ELNS1_11target_archE1200ELNS1_3gpuE4ELNS1_3repE0EEENS1_30default_config_static_selectorELNS0_4arch9wavefront6targetE1EEEvT1_,"axG",@progbits,_ZN7rocprim17ROCPRIM_400000_NS6detail17trampoline_kernelINS0_14default_configENS1_27scan_by_key_config_selectorIxxEEZZNS1_16scan_by_key_implILNS1_25lookback_scan_determinismE0ELb0ES3_N6thrust23THRUST_200600_302600_NS6detail15normal_iteratorINS9_10device_ptrIxEEEESE_SE_xNS9_4plusIvEENS9_8equal_toIxEExEE10hipError_tPvRmT2_T3_T4_T5_mT6_T7_P12ihipStream_tbENKUlT_T0_E_clISt17integral_constantIbLb0EESY_IbLb1EEEEDaSU_SV_EUlSU_E_NS1_11comp_targetILNS1_3genE10ELNS1_11target_archE1200ELNS1_3gpuE4ELNS1_3repE0EEENS1_30default_config_static_selectorELNS0_4arch9wavefront6targetE1EEEvT1_,comdat
	.protected	_ZN7rocprim17ROCPRIM_400000_NS6detail17trampoline_kernelINS0_14default_configENS1_27scan_by_key_config_selectorIxxEEZZNS1_16scan_by_key_implILNS1_25lookback_scan_determinismE0ELb0ES3_N6thrust23THRUST_200600_302600_NS6detail15normal_iteratorINS9_10device_ptrIxEEEESE_SE_xNS9_4plusIvEENS9_8equal_toIxEExEE10hipError_tPvRmT2_T3_T4_T5_mT6_T7_P12ihipStream_tbENKUlT_T0_E_clISt17integral_constantIbLb0EESY_IbLb1EEEEDaSU_SV_EUlSU_E_NS1_11comp_targetILNS1_3genE10ELNS1_11target_archE1200ELNS1_3gpuE4ELNS1_3repE0EEENS1_30default_config_static_selectorELNS0_4arch9wavefront6targetE1EEEvT1_ ; -- Begin function _ZN7rocprim17ROCPRIM_400000_NS6detail17trampoline_kernelINS0_14default_configENS1_27scan_by_key_config_selectorIxxEEZZNS1_16scan_by_key_implILNS1_25lookback_scan_determinismE0ELb0ES3_N6thrust23THRUST_200600_302600_NS6detail15normal_iteratorINS9_10device_ptrIxEEEESE_SE_xNS9_4plusIvEENS9_8equal_toIxEExEE10hipError_tPvRmT2_T3_T4_T5_mT6_T7_P12ihipStream_tbENKUlT_T0_E_clISt17integral_constantIbLb0EESY_IbLb1EEEEDaSU_SV_EUlSU_E_NS1_11comp_targetILNS1_3genE10ELNS1_11target_archE1200ELNS1_3gpuE4ELNS1_3repE0EEENS1_30default_config_static_selectorELNS0_4arch9wavefront6targetE1EEEvT1_
	.globl	_ZN7rocprim17ROCPRIM_400000_NS6detail17trampoline_kernelINS0_14default_configENS1_27scan_by_key_config_selectorIxxEEZZNS1_16scan_by_key_implILNS1_25lookback_scan_determinismE0ELb0ES3_N6thrust23THRUST_200600_302600_NS6detail15normal_iteratorINS9_10device_ptrIxEEEESE_SE_xNS9_4plusIvEENS9_8equal_toIxEExEE10hipError_tPvRmT2_T3_T4_T5_mT6_T7_P12ihipStream_tbENKUlT_T0_E_clISt17integral_constantIbLb0EESY_IbLb1EEEEDaSU_SV_EUlSU_E_NS1_11comp_targetILNS1_3genE10ELNS1_11target_archE1200ELNS1_3gpuE4ELNS1_3repE0EEENS1_30default_config_static_selectorELNS0_4arch9wavefront6targetE1EEEvT1_
	.p2align	8
	.type	_ZN7rocprim17ROCPRIM_400000_NS6detail17trampoline_kernelINS0_14default_configENS1_27scan_by_key_config_selectorIxxEEZZNS1_16scan_by_key_implILNS1_25lookback_scan_determinismE0ELb0ES3_N6thrust23THRUST_200600_302600_NS6detail15normal_iteratorINS9_10device_ptrIxEEEESE_SE_xNS9_4plusIvEENS9_8equal_toIxEExEE10hipError_tPvRmT2_T3_T4_T5_mT6_T7_P12ihipStream_tbENKUlT_T0_E_clISt17integral_constantIbLb0EESY_IbLb1EEEEDaSU_SV_EUlSU_E_NS1_11comp_targetILNS1_3genE10ELNS1_11target_archE1200ELNS1_3gpuE4ELNS1_3repE0EEENS1_30default_config_static_selectorELNS0_4arch9wavefront6targetE1EEEvT1_,@function
_ZN7rocprim17ROCPRIM_400000_NS6detail17trampoline_kernelINS0_14default_configENS1_27scan_by_key_config_selectorIxxEEZZNS1_16scan_by_key_implILNS1_25lookback_scan_determinismE0ELb0ES3_N6thrust23THRUST_200600_302600_NS6detail15normal_iteratorINS9_10device_ptrIxEEEESE_SE_xNS9_4plusIvEENS9_8equal_toIxEExEE10hipError_tPvRmT2_T3_T4_T5_mT6_T7_P12ihipStream_tbENKUlT_T0_E_clISt17integral_constantIbLb0EESY_IbLb1EEEEDaSU_SV_EUlSU_E_NS1_11comp_targetILNS1_3genE10ELNS1_11target_archE1200ELNS1_3gpuE4ELNS1_3repE0EEENS1_30default_config_static_selectorELNS0_4arch9wavefront6targetE1EEEvT1_: ; @_ZN7rocprim17ROCPRIM_400000_NS6detail17trampoline_kernelINS0_14default_configENS1_27scan_by_key_config_selectorIxxEEZZNS1_16scan_by_key_implILNS1_25lookback_scan_determinismE0ELb0ES3_N6thrust23THRUST_200600_302600_NS6detail15normal_iteratorINS9_10device_ptrIxEEEESE_SE_xNS9_4plusIvEENS9_8equal_toIxEExEE10hipError_tPvRmT2_T3_T4_T5_mT6_T7_P12ihipStream_tbENKUlT_T0_E_clISt17integral_constantIbLb0EESY_IbLb1EEEEDaSU_SV_EUlSU_E_NS1_11comp_targetILNS1_3genE10ELNS1_11target_archE1200ELNS1_3gpuE4ELNS1_3repE0EEENS1_30default_config_static_selectorELNS0_4arch9wavefront6targetE1EEEvT1_
; %bb.0:
	.section	.rodata,"a",@progbits
	.p2align	6, 0x0
	.amdhsa_kernel _ZN7rocprim17ROCPRIM_400000_NS6detail17trampoline_kernelINS0_14default_configENS1_27scan_by_key_config_selectorIxxEEZZNS1_16scan_by_key_implILNS1_25lookback_scan_determinismE0ELb0ES3_N6thrust23THRUST_200600_302600_NS6detail15normal_iteratorINS9_10device_ptrIxEEEESE_SE_xNS9_4plusIvEENS9_8equal_toIxEExEE10hipError_tPvRmT2_T3_T4_T5_mT6_T7_P12ihipStream_tbENKUlT_T0_E_clISt17integral_constantIbLb0EESY_IbLb1EEEEDaSU_SV_EUlSU_E_NS1_11comp_targetILNS1_3genE10ELNS1_11target_archE1200ELNS1_3gpuE4ELNS1_3repE0EEENS1_30default_config_static_selectorELNS0_4arch9wavefront6targetE1EEEvT1_
		.amdhsa_group_segment_fixed_size 0
		.amdhsa_private_segment_fixed_size 0
		.amdhsa_kernarg_size 136
		.amdhsa_user_sgpr_count 6
		.amdhsa_user_sgpr_private_segment_buffer 1
		.amdhsa_user_sgpr_dispatch_ptr 0
		.amdhsa_user_sgpr_queue_ptr 0
		.amdhsa_user_sgpr_kernarg_segment_ptr 1
		.amdhsa_user_sgpr_dispatch_id 0
		.amdhsa_user_sgpr_flat_scratch_init 0
		.amdhsa_user_sgpr_kernarg_preload_length 0
		.amdhsa_user_sgpr_kernarg_preload_offset 0
		.amdhsa_user_sgpr_private_segment_size 0
		.amdhsa_uses_dynamic_stack 0
		.amdhsa_system_sgpr_private_segment_wavefront_offset 0
		.amdhsa_system_sgpr_workgroup_id_x 1
		.amdhsa_system_sgpr_workgroup_id_y 0
		.amdhsa_system_sgpr_workgroup_id_z 0
		.amdhsa_system_sgpr_workgroup_info 0
		.amdhsa_system_vgpr_workitem_id 0
		.amdhsa_next_free_vgpr 1
		.amdhsa_next_free_sgpr 0
		.amdhsa_accum_offset 4
		.amdhsa_reserve_vcc 0
		.amdhsa_reserve_flat_scratch 0
		.amdhsa_float_round_mode_32 0
		.amdhsa_float_round_mode_16_64 0
		.amdhsa_float_denorm_mode_32 3
		.amdhsa_float_denorm_mode_16_64 3
		.amdhsa_dx10_clamp 1
		.amdhsa_ieee_mode 1
		.amdhsa_fp16_overflow 0
		.amdhsa_tg_split 0
		.amdhsa_exception_fp_ieee_invalid_op 0
		.amdhsa_exception_fp_denorm_src 0
		.amdhsa_exception_fp_ieee_div_zero 0
		.amdhsa_exception_fp_ieee_overflow 0
		.amdhsa_exception_fp_ieee_underflow 0
		.amdhsa_exception_fp_ieee_inexact 0
		.amdhsa_exception_int_div_zero 0
	.end_amdhsa_kernel
	.section	.text._ZN7rocprim17ROCPRIM_400000_NS6detail17trampoline_kernelINS0_14default_configENS1_27scan_by_key_config_selectorIxxEEZZNS1_16scan_by_key_implILNS1_25lookback_scan_determinismE0ELb0ES3_N6thrust23THRUST_200600_302600_NS6detail15normal_iteratorINS9_10device_ptrIxEEEESE_SE_xNS9_4plusIvEENS9_8equal_toIxEExEE10hipError_tPvRmT2_T3_T4_T5_mT6_T7_P12ihipStream_tbENKUlT_T0_E_clISt17integral_constantIbLb0EESY_IbLb1EEEEDaSU_SV_EUlSU_E_NS1_11comp_targetILNS1_3genE10ELNS1_11target_archE1200ELNS1_3gpuE4ELNS1_3repE0EEENS1_30default_config_static_selectorELNS0_4arch9wavefront6targetE1EEEvT1_,"axG",@progbits,_ZN7rocprim17ROCPRIM_400000_NS6detail17trampoline_kernelINS0_14default_configENS1_27scan_by_key_config_selectorIxxEEZZNS1_16scan_by_key_implILNS1_25lookback_scan_determinismE0ELb0ES3_N6thrust23THRUST_200600_302600_NS6detail15normal_iteratorINS9_10device_ptrIxEEEESE_SE_xNS9_4plusIvEENS9_8equal_toIxEExEE10hipError_tPvRmT2_T3_T4_T5_mT6_T7_P12ihipStream_tbENKUlT_T0_E_clISt17integral_constantIbLb0EESY_IbLb1EEEEDaSU_SV_EUlSU_E_NS1_11comp_targetILNS1_3genE10ELNS1_11target_archE1200ELNS1_3gpuE4ELNS1_3repE0EEENS1_30default_config_static_selectorELNS0_4arch9wavefront6targetE1EEEvT1_,comdat
.Lfunc_end116:
	.size	_ZN7rocprim17ROCPRIM_400000_NS6detail17trampoline_kernelINS0_14default_configENS1_27scan_by_key_config_selectorIxxEEZZNS1_16scan_by_key_implILNS1_25lookback_scan_determinismE0ELb0ES3_N6thrust23THRUST_200600_302600_NS6detail15normal_iteratorINS9_10device_ptrIxEEEESE_SE_xNS9_4plusIvEENS9_8equal_toIxEExEE10hipError_tPvRmT2_T3_T4_T5_mT6_T7_P12ihipStream_tbENKUlT_T0_E_clISt17integral_constantIbLb0EESY_IbLb1EEEEDaSU_SV_EUlSU_E_NS1_11comp_targetILNS1_3genE10ELNS1_11target_archE1200ELNS1_3gpuE4ELNS1_3repE0EEENS1_30default_config_static_selectorELNS0_4arch9wavefront6targetE1EEEvT1_, .Lfunc_end116-_ZN7rocprim17ROCPRIM_400000_NS6detail17trampoline_kernelINS0_14default_configENS1_27scan_by_key_config_selectorIxxEEZZNS1_16scan_by_key_implILNS1_25lookback_scan_determinismE0ELb0ES3_N6thrust23THRUST_200600_302600_NS6detail15normal_iteratorINS9_10device_ptrIxEEEESE_SE_xNS9_4plusIvEENS9_8equal_toIxEExEE10hipError_tPvRmT2_T3_T4_T5_mT6_T7_P12ihipStream_tbENKUlT_T0_E_clISt17integral_constantIbLb0EESY_IbLb1EEEEDaSU_SV_EUlSU_E_NS1_11comp_targetILNS1_3genE10ELNS1_11target_archE1200ELNS1_3gpuE4ELNS1_3repE0EEENS1_30default_config_static_selectorELNS0_4arch9wavefront6targetE1EEEvT1_
                                        ; -- End function
	.section	.AMDGPU.csdata,"",@progbits
; Kernel info:
; codeLenInByte = 0
; NumSgprs: 4
; NumVgprs: 0
; NumAgprs: 0
; TotalNumVgprs: 0
; ScratchSize: 0
; MemoryBound: 0
; FloatMode: 240
; IeeeMode: 1
; LDSByteSize: 0 bytes/workgroup (compile time only)
; SGPRBlocks: 0
; VGPRBlocks: 0
; NumSGPRsForWavesPerEU: 4
; NumVGPRsForWavesPerEU: 1
; AccumOffset: 4
; Occupancy: 8
; WaveLimiterHint : 0
; COMPUTE_PGM_RSRC2:SCRATCH_EN: 0
; COMPUTE_PGM_RSRC2:USER_SGPR: 6
; COMPUTE_PGM_RSRC2:TRAP_HANDLER: 0
; COMPUTE_PGM_RSRC2:TGID_X_EN: 1
; COMPUTE_PGM_RSRC2:TGID_Y_EN: 0
; COMPUTE_PGM_RSRC2:TGID_Z_EN: 0
; COMPUTE_PGM_RSRC2:TIDIG_COMP_CNT: 0
; COMPUTE_PGM_RSRC3_GFX90A:ACCUM_OFFSET: 0
; COMPUTE_PGM_RSRC3_GFX90A:TG_SPLIT: 0
	.section	.text._ZN7rocprim17ROCPRIM_400000_NS6detail17trampoline_kernelINS0_14default_configENS1_27scan_by_key_config_selectorIxxEEZZNS1_16scan_by_key_implILNS1_25lookback_scan_determinismE0ELb0ES3_N6thrust23THRUST_200600_302600_NS6detail15normal_iteratorINS9_10device_ptrIxEEEESE_SE_xNS9_4plusIvEENS9_8equal_toIxEExEE10hipError_tPvRmT2_T3_T4_T5_mT6_T7_P12ihipStream_tbENKUlT_T0_E_clISt17integral_constantIbLb0EESY_IbLb1EEEEDaSU_SV_EUlSU_E_NS1_11comp_targetILNS1_3genE9ELNS1_11target_archE1100ELNS1_3gpuE3ELNS1_3repE0EEENS1_30default_config_static_selectorELNS0_4arch9wavefront6targetE1EEEvT1_,"axG",@progbits,_ZN7rocprim17ROCPRIM_400000_NS6detail17trampoline_kernelINS0_14default_configENS1_27scan_by_key_config_selectorIxxEEZZNS1_16scan_by_key_implILNS1_25lookback_scan_determinismE0ELb0ES3_N6thrust23THRUST_200600_302600_NS6detail15normal_iteratorINS9_10device_ptrIxEEEESE_SE_xNS9_4plusIvEENS9_8equal_toIxEExEE10hipError_tPvRmT2_T3_T4_T5_mT6_T7_P12ihipStream_tbENKUlT_T0_E_clISt17integral_constantIbLb0EESY_IbLb1EEEEDaSU_SV_EUlSU_E_NS1_11comp_targetILNS1_3genE9ELNS1_11target_archE1100ELNS1_3gpuE3ELNS1_3repE0EEENS1_30default_config_static_selectorELNS0_4arch9wavefront6targetE1EEEvT1_,comdat
	.protected	_ZN7rocprim17ROCPRIM_400000_NS6detail17trampoline_kernelINS0_14default_configENS1_27scan_by_key_config_selectorIxxEEZZNS1_16scan_by_key_implILNS1_25lookback_scan_determinismE0ELb0ES3_N6thrust23THRUST_200600_302600_NS6detail15normal_iteratorINS9_10device_ptrIxEEEESE_SE_xNS9_4plusIvEENS9_8equal_toIxEExEE10hipError_tPvRmT2_T3_T4_T5_mT6_T7_P12ihipStream_tbENKUlT_T0_E_clISt17integral_constantIbLb0EESY_IbLb1EEEEDaSU_SV_EUlSU_E_NS1_11comp_targetILNS1_3genE9ELNS1_11target_archE1100ELNS1_3gpuE3ELNS1_3repE0EEENS1_30default_config_static_selectorELNS0_4arch9wavefront6targetE1EEEvT1_ ; -- Begin function _ZN7rocprim17ROCPRIM_400000_NS6detail17trampoline_kernelINS0_14default_configENS1_27scan_by_key_config_selectorIxxEEZZNS1_16scan_by_key_implILNS1_25lookback_scan_determinismE0ELb0ES3_N6thrust23THRUST_200600_302600_NS6detail15normal_iteratorINS9_10device_ptrIxEEEESE_SE_xNS9_4plusIvEENS9_8equal_toIxEExEE10hipError_tPvRmT2_T3_T4_T5_mT6_T7_P12ihipStream_tbENKUlT_T0_E_clISt17integral_constantIbLb0EESY_IbLb1EEEEDaSU_SV_EUlSU_E_NS1_11comp_targetILNS1_3genE9ELNS1_11target_archE1100ELNS1_3gpuE3ELNS1_3repE0EEENS1_30default_config_static_selectorELNS0_4arch9wavefront6targetE1EEEvT1_
	.globl	_ZN7rocprim17ROCPRIM_400000_NS6detail17trampoline_kernelINS0_14default_configENS1_27scan_by_key_config_selectorIxxEEZZNS1_16scan_by_key_implILNS1_25lookback_scan_determinismE0ELb0ES3_N6thrust23THRUST_200600_302600_NS6detail15normal_iteratorINS9_10device_ptrIxEEEESE_SE_xNS9_4plusIvEENS9_8equal_toIxEExEE10hipError_tPvRmT2_T3_T4_T5_mT6_T7_P12ihipStream_tbENKUlT_T0_E_clISt17integral_constantIbLb0EESY_IbLb1EEEEDaSU_SV_EUlSU_E_NS1_11comp_targetILNS1_3genE9ELNS1_11target_archE1100ELNS1_3gpuE3ELNS1_3repE0EEENS1_30default_config_static_selectorELNS0_4arch9wavefront6targetE1EEEvT1_
	.p2align	8
	.type	_ZN7rocprim17ROCPRIM_400000_NS6detail17trampoline_kernelINS0_14default_configENS1_27scan_by_key_config_selectorIxxEEZZNS1_16scan_by_key_implILNS1_25lookback_scan_determinismE0ELb0ES3_N6thrust23THRUST_200600_302600_NS6detail15normal_iteratorINS9_10device_ptrIxEEEESE_SE_xNS9_4plusIvEENS9_8equal_toIxEExEE10hipError_tPvRmT2_T3_T4_T5_mT6_T7_P12ihipStream_tbENKUlT_T0_E_clISt17integral_constantIbLb0EESY_IbLb1EEEEDaSU_SV_EUlSU_E_NS1_11comp_targetILNS1_3genE9ELNS1_11target_archE1100ELNS1_3gpuE3ELNS1_3repE0EEENS1_30default_config_static_selectorELNS0_4arch9wavefront6targetE1EEEvT1_,@function
_ZN7rocprim17ROCPRIM_400000_NS6detail17trampoline_kernelINS0_14default_configENS1_27scan_by_key_config_selectorIxxEEZZNS1_16scan_by_key_implILNS1_25lookback_scan_determinismE0ELb0ES3_N6thrust23THRUST_200600_302600_NS6detail15normal_iteratorINS9_10device_ptrIxEEEESE_SE_xNS9_4plusIvEENS9_8equal_toIxEExEE10hipError_tPvRmT2_T3_T4_T5_mT6_T7_P12ihipStream_tbENKUlT_T0_E_clISt17integral_constantIbLb0EESY_IbLb1EEEEDaSU_SV_EUlSU_E_NS1_11comp_targetILNS1_3genE9ELNS1_11target_archE1100ELNS1_3gpuE3ELNS1_3repE0EEENS1_30default_config_static_selectorELNS0_4arch9wavefront6targetE1EEEvT1_: ; @_ZN7rocprim17ROCPRIM_400000_NS6detail17trampoline_kernelINS0_14default_configENS1_27scan_by_key_config_selectorIxxEEZZNS1_16scan_by_key_implILNS1_25lookback_scan_determinismE0ELb0ES3_N6thrust23THRUST_200600_302600_NS6detail15normal_iteratorINS9_10device_ptrIxEEEESE_SE_xNS9_4plusIvEENS9_8equal_toIxEExEE10hipError_tPvRmT2_T3_T4_T5_mT6_T7_P12ihipStream_tbENKUlT_T0_E_clISt17integral_constantIbLb0EESY_IbLb1EEEEDaSU_SV_EUlSU_E_NS1_11comp_targetILNS1_3genE9ELNS1_11target_archE1100ELNS1_3gpuE3ELNS1_3repE0EEENS1_30default_config_static_selectorELNS0_4arch9wavefront6targetE1EEEvT1_
; %bb.0:
	.section	.rodata,"a",@progbits
	.p2align	6, 0x0
	.amdhsa_kernel _ZN7rocprim17ROCPRIM_400000_NS6detail17trampoline_kernelINS0_14default_configENS1_27scan_by_key_config_selectorIxxEEZZNS1_16scan_by_key_implILNS1_25lookback_scan_determinismE0ELb0ES3_N6thrust23THRUST_200600_302600_NS6detail15normal_iteratorINS9_10device_ptrIxEEEESE_SE_xNS9_4plusIvEENS9_8equal_toIxEExEE10hipError_tPvRmT2_T3_T4_T5_mT6_T7_P12ihipStream_tbENKUlT_T0_E_clISt17integral_constantIbLb0EESY_IbLb1EEEEDaSU_SV_EUlSU_E_NS1_11comp_targetILNS1_3genE9ELNS1_11target_archE1100ELNS1_3gpuE3ELNS1_3repE0EEENS1_30default_config_static_selectorELNS0_4arch9wavefront6targetE1EEEvT1_
		.amdhsa_group_segment_fixed_size 0
		.amdhsa_private_segment_fixed_size 0
		.amdhsa_kernarg_size 136
		.amdhsa_user_sgpr_count 6
		.amdhsa_user_sgpr_private_segment_buffer 1
		.amdhsa_user_sgpr_dispatch_ptr 0
		.amdhsa_user_sgpr_queue_ptr 0
		.amdhsa_user_sgpr_kernarg_segment_ptr 1
		.amdhsa_user_sgpr_dispatch_id 0
		.amdhsa_user_sgpr_flat_scratch_init 0
		.amdhsa_user_sgpr_kernarg_preload_length 0
		.amdhsa_user_sgpr_kernarg_preload_offset 0
		.amdhsa_user_sgpr_private_segment_size 0
		.amdhsa_uses_dynamic_stack 0
		.amdhsa_system_sgpr_private_segment_wavefront_offset 0
		.amdhsa_system_sgpr_workgroup_id_x 1
		.amdhsa_system_sgpr_workgroup_id_y 0
		.amdhsa_system_sgpr_workgroup_id_z 0
		.amdhsa_system_sgpr_workgroup_info 0
		.amdhsa_system_vgpr_workitem_id 0
		.amdhsa_next_free_vgpr 1
		.amdhsa_next_free_sgpr 0
		.amdhsa_accum_offset 4
		.amdhsa_reserve_vcc 0
		.amdhsa_reserve_flat_scratch 0
		.amdhsa_float_round_mode_32 0
		.amdhsa_float_round_mode_16_64 0
		.amdhsa_float_denorm_mode_32 3
		.amdhsa_float_denorm_mode_16_64 3
		.amdhsa_dx10_clamp 1
		.amdhsa_ieee_mode 1
		.amdhsa_fp16_overflow 0
		.amdhsa_tg_split 0
		.amdhsa_exception_fp_ieee_invalid_op 0
		.amdhsa_exception_fp_denorm_src 0
		.amdhsa_exception_fp_ieee_div_zero 0
		.amdhsa_exception_fp_ieee_overflow 0
		.amdhsa_exception_fp_ieee_underflow 0
		.amdhsa_exception_fp_ieee_inexact 0
		.amdhsa_exception_int_div_zero 0
	.end_amdhsa_kernel
	.section	.text._ZN7rocprim17ROCPRIM_400000_NS6detail17trampoline_kernelINS0_14default_configENS1_27scan_by_key_config_selectorIxxEEZZNS1_16scan_by_key_implILNS1_25lookback_scan_determinismE0ELb0ES3_N6thrust23THRUST_200600_302600_NS6detail15normal_iteratorINS9_10device_ptrIxEEEESE_SE_xNS9_4plusIvEENS9_8equal_toIxEExEE10hipError_tPvRmT2_T3_T4_T5_mT6_T7_P12ihipStream_tbENKUlT_T0_E_clISt17integral_constantIbLb0EESY_IbLb1EEEEDaSU_SV_EUlSU_E_NS1_11comp_targetILNS1_3genE9ELNS1_11target_archE1100ELNS1_3gpuE3ELNS1_3repE0EEENS1_30default_config_static_selectorELNS0_4arch9wavefront6targetE1EEEvT1_,"axG",@progbits,_ZN7rocprim17ROCPRIM_400000_NS6detail17trampoline_kernelINS0_14default_configENS1_27scan_by_key_config_selectorIxxEEZZNS1_16scan_by_key_implILNS1_25lookback_scan_determinismE0ELb0ES3_N6thrust23THRUST_200600_302600_NS6detail15normal_iteratorINS9_10device_ptrIxEEEESE_SE_xNS9_4plusIvEENS9_8equal_toIxEExEE10hipError_tPvRmT2_T3_T4_T5_mT6_T7_P12ihipStream_tbENKUlT_T0_E_clISt17integral_constantIbLb0EESY_IbLb1EEEEDaSU_SV_EUlSU_E_NS1_11comp_targetILNS1_3genE9ELNS1_11target_archE1100ELNS1_3gpuE3ELNS1_3repE0EEENS1_30default_config_static_selectorELNS0_4arch9wavefront6targetE1EEEvT1_,comdat
.Lfunc_end117:
	.size	_ZN7rocprim17ROCPRIM_400000_NS6detail17trampoline_kernelINS0_14default_configENS1_27scan_by_key_config_selectorIxxEEZZNS1_16scan_by_key_implILNS1_25lookback_scan_determinismE0ELb0ES3_N6thrust23THRUST_200600_302600_NS6detail15normal_iteratorINS9_10device_ptrIxEEEESE_SE_xNS9_4plusIvEENS9_8equal_toIxEExEE10hipError_tPvRmT2_T3_T4_T5_mT6_T7_P12ihipStream_tbENKUlT_T0_E_clISt17integral_constantIbLb0EESY_IbLb1EEEEDaSU_SV_EUlSU_E_NS1_11comp_targetILNS1_3genE9ELNS1_11target_archE1100ELNS1_3gpuE3ELNS1_3repE0EEENS1_30default_config_static_selectorELNS0_4arch9wavefront6targetE1EEEvT1_, .Lfunc_end117-_ZN7rocprim17ROCPRIM_400000_NS6detail17trampoline_kernelINS0_14default_configENS1_27scan_by_key_config_selectorIxxEEZZNS1_16scan_by_key_implILNS1_25lookback_scan_determinismE0ELb0ES3_N6thrust23THRUST_200600_302600_NS6detail15normal_iteratorINS9_10device_ptrIxEEEESE_SE_xNS9_4plusIvEENS9_8equal_toIxEExEE10hipError_tPvRmT2_T3_T4_T5_mT6_T7_P12ihipStream_tbENKUlT_T0_E_clISt17integral_constantIbLb0EESY_IbLb1EEEEDaSU_SV_EUlSU_E_NS1_11comp_targetILNS1_3genE9ELNS1_11target_archE1100ELNS1_3gpuE3ELNS1_3repE0EEENS1_30default_config_static_selectorELNS0_4arch9wavefront6targetE1EEEvT1_
                                        ; -- End function
	.section	.AMDGPU.csdata,"",@progbits
; Kernel info:
; codeLenInByte = 0
; NumSgprs: 4
; NumVgprs: 0
; NumAgprs: 0
; TotalNumVgprs: 0
; ScratchSize: 0
; MemoryBound: 0
; FloatMode: 240
; IeeeMode: 1
; LDSByteSize: 0 bytes/workgroup (compile time only)
; SGPRBlocks: 0
; VGPRBlocks: 0
; NumSGPRsForWavesPerEU: 4
; NumVGPRsForWavesPerEU: 1
; AccumOffset: 4
; Occupancy: 8
; WaveLimiterHint : 0
; COMPUTE_PGM_RSRC2:SCRATCH_EN: 0
; COMPUTE_PGM_RSRC2:USER_SGPR: 6
; COMPUTE_PGM_RSRC2:TRAP_HANDLER: 0
; COMPUTE_PGM_RSRC2:TGID_X_EN: 1
; COMPUTE_PGM_RSRC2:TGID_Y_EN: 0
; COMPUTE_PGM_RSRC2:TGID_Z_EN: 0
; COMPUTE_PGM_RSRC2:TIDIG_COMP_CNT: 0
; COMPUTE_PGM_RSRC3_GFX90A:ACCUM_OFFSET: 0
; COMPUTE_PGM_RSRC3_GFX90A:TG_SPLIT: 0
	.section	.text._ZN7rocprim17ROCPRIM_400000_NS6detail17trampoline_kernelINS0_14default_configENS1_27scan_by_key_config_selectorIxxEEZZNS1_16scan_by_key_implILNS1_25lookback_scan_determinismE0ELb0ES3_N6thrust23THRUST_200600_302600_NS6detail15normal_iteratorINS9_10device_ptrIxEEEESE_SE_xNS9_4plusIvEENS9_8equal_toIxEExEE10hipError_tPvRmT2_T3_T4_T5_mT6_T7_P12ihipStream_tbENKUlT_T0_E_clISt17integral_constantIbLb0EESY_IbLb1EEEEDaSU_SV_EUlSU_E_NS1_11comp_targetILNS1_3genE8ELNS1_11target_archE1030ELNS1_3gpuE2ELNS1_3repE0EEENS1_30default_config_static_selectorELNS0_4arch9wavefront6targetE1EEEvT1_,"axG",@progbits,_ZN7rocprim17ROCPRIM_400000_NS6detail17trampoline_kernelINS0_14default_configENS1_27scan_by_key_config_selectorIxxEEZZNS1_16scan_by_key_implILNS1_25lookback_scan_determinismE0ELb0ES3_N6thrust23THRUST_200600_302600_NS6detail15normal_iteratorINS9_10device_ptrIxEEEESE_SE_xNS9_4plusIvEENS9_8equal_toIxEExEE10hipError_tPvRmT2_T3_T4_T5_mT6_T7_P12ihipStream_tbENKUlT_T0_E_clISt17integral_constantIbLb0EESY_IbLb1EEEEDaSU_SV_EUlSU_E_NS1_11comp_targetILNS1_3genE8ELNS1_11target_archE1030ELNS1_3gpuE2ELNS1_3repE0EEENS1_30default_config_static_selectorELNS0_4arch9wavefront6targetE1EEEvT1_,comdat
	.protected	_ZN7rocprim17ROCPRIM_400000_NS6detail17trampoline_kernelINS0_14default_configENS1_27scan_by_key_config_selectorIxxEEZZNS1_16scan_by_key_implILNS1_25lookback_scan_determinismE0ELb0ES3_N6thrust23THRUST_200600_302600_NS6detail15normal_iteratorINS9_10device_ptrIxEEEESE_SE_xNS9_4plusIvEENS9_8equal_toIxEExEE10hipError_tPvRmT2_T3_T4_T5_mT6_T7_P12ihipStream_tbENKUlT_T0_E_clISt17integral_constantIbLb0EESY_IbLb1EEEEDaSU_SV_EUlSU_E_NS1_11comp_targetILNS1_3genE8ELNS1_11target_archE1030ELNS1_3gpuE2ELNS1_3repE0EEENS1_30default_config_static_selectorELNS0_4arch9wavefront6targetE1EEEvT1_ ; -- Begin function _ZN7rocprim17ROCPRIM_400000_NS6detail17trampoline_kernelINS0_14default_configENS1_27scan_by_key_config_selectorIxxEEZZNS1_16scan_by_key_implILNS1_25lookback_scan_determinismE0ELb0ES3_N6thrust23THRUST_200600_302600_NS6detail15normal_iteratorINS9_10device_ptrIxEEEESE_SE_xNS9_4plusIvEENS9_8equal_toIxEExEE10hipError_tPvRmT2_T3_T4_T5_mT6_T7_P12ihipStream_tbENKUlT_T0_E_clISt17integral_constantIbLb0EESY_IbLb1EEEEDaSU_SV_EUlSU_E_NS1_11comp_targetILNS1_3genE8ELNS1_11target_archE1030ELNS1_3gpuE2ELNS1_3repE0EEENS1_30default_config_static_selectorELNS0_4arch9wavefront6targetE1EEEvT1_
	.globl	_ZN7rocprim17ROCPRIM_400000_NS6detail17trampoline_kernelINS0_14default_configENS1_27scan_by_key_config_selectorIxxEEZZNS1_16scan_by_key_implILNS1_25lookback_scan_determinismE0ELb0ES3_N6thrust23THRUST_200600_302600_NS6detail15normal_iteratorINS9_10device_ptrIxEEEESE_SE_xNS9_4plusIvEENS9_8equal_toIxEExEE10hipError_tPvRmT2_T3_T4_T5_mT6_T7_P12ihipStream_tbENKUlT_T0_E_clISt17integral_constantIbLb0EESY_IbLb1EEEEDaSU_SV_EUlSU_E_NS1_11comp_targetILNS1_3genE8ELNS1_11target_archE1030ELNS1_3gpuE2ELNS1_3repE0EEENS1_30default_config_static_selectorELNS0_4arch9wavefront6targetE1EEEvT1_
	.p2align	8
	.type	_ZN7rocprim17ROCPRIM_400000_NS6detail17trampoline_kernelINS0_14default_configENS1_27scan_by_key_config_selectorIxxEEZZNS1_16scan_by_key_implILNS1_25lookback_scan_determinismE0ELb0ES3_N6thrust23THRUST_200600_302600_NS6detail15normal_iteratorINS9_10device_ptrIxEEEESE_SE_xNS9_4plusIvEENS9_8equal_toIxEExEE10hipError_tPvRmT2_T3_T4_T5_mT6_T7_P12ihipStream_tbENKUlT_T0_E_clISt17integral_constantIbLb0EESY_IbLb1EEEEDaSU_SV_EUlSU_E_NS1_11comp_targetILNS1_3genE8ELNS1_11target_archE1030ELNS1_3gpuE2ELNS1_3repE0EEENS1_30default_config_static_selectorELNS0_4arch9wavefront6targetE1EEEvT1_,@function
_ZN7rocprim17ROCPRIM_400000_NS6detail17trampoline_kernelINS0_14default_configENS1_27scan_by_key_config_selectorIxxEEZZNS1_16scan_by_key_implILNS1_25lookback_scan_determinismE0ELb0ES3_N6thrust23THRUST_200600_302600_NS6detail15normal_iteratorINS9_10device_ptrIxEEEESE_SE_xNS9_4plusIvEENS9_8equal_toIxEExEE10hipError_tPvRmT2_T3_T4_T5_mT6_T7_P12ihipStream_tbENKUlT_T0_E_clISt17integral_constantIbLb0EESY_IbLb1EEEEDaSU_SV_EUlSU_E_NS1_11comp_targetILNS1_3genE8ELNS1_11target_archE1030ELNS1_3gpuE2ELNS1_3repE0EEENS1_30default_config_static_selectorELNS0_4arch9wavefront6targetE1EEEvT1_: ; @_ZN7rocprim17ROCPRIM_400000_NS6detail17trampoline_kernelINS0_14default_configENS1_27scan_by_key_config_selectorIxxEEZZNS1_16scan_by_key_implILNS1_25lookback_scan_determinismE0ELb0ES3_N6thrust23THRUST_200600_302600_NS6detail15normal_iteratorINS9_10device_ptrIxEEEESE_SE_xNS9_4plusIvEENS9_8equal_toIxEExEE10hipError_tPvRmT2_T3_T4_T5_mT6_T7_P12ihipStream_tbENKUlT_T0_E_clISt17integral_constantIbLb0EESY_IbLb1EEEEDaSU_SV_EUlSU_E_NS1_11comp_targetILNS1_3genE8ELNS1_11target_archE1030ELNS1_3gpuE2ELNS1_3repE0EEENS1_30default_config_static_selectorELNS0_4arch9wavefront6targetE1EEEvT1_
; %bb.0:
	.section	.rodata,"a",@progbits
	.p2align	6, 0x0
	.amdhsa_kernel _ZN7rocprim17ROCPRIM_400000_NS6detail17trampoline_kernelINS0_14default_configENS1_27scan_by_key_config_selectorIxxEEZZNS1_16scan_by_key_implILNS1_25lookback_scan_determinismE0ELb0ES3_N6thrust23THRUST_200600_302600_NS6detail15normal_iteratorINS9_10device_ptrIxEEEESE_SE_xNS9_4plusIvEENS9_8equal_toIxEExEE10hipError_tPvRmT2_T3_T4_T5_mT6_T7_P12ihipStream_tbENKUlT_T0_E_clISt17integral_constantIbLb0EESY_IbLb1EEEEDaSU_SV_EUlSU_E_NS1_11comp_targetILNS1_3genE8ELNS1_11target_archE1030ELNS1_3gpuE2ELNS1_3repE0EEENS1_30default_config_static_selectorELNS0_4arch9wavefront6targetE1EEEvT1_
		.amdhsa_group_segment_fixed_size 0
		.amdhsa_private_segment_fixed_size 0
		.amdhsa_kernarg_size 136
		.amdhsa_user_sgpr_count 6
		.amdhsa_user_sgpr_private_segment_buffer 1
		.amdhsa_user_sgpr_dispatch_ptr 0
		.amdhsa_user_sgpr_queue_ptr 0
		.amdhsa_user_sgpr_kernarg_segment_ptr 1
		.amdhsa_user_sgpr_dispatch_id 0
		.amdhsa_user_sgpr_flat_scratch_init 0
		.amdhsa_user_sgpr_kernarg_preload_length 0
		.amdhsa_user_sgpr_kernarg_preload_offset 0
		.amdhsa_user_sgpr_private_segment_size 0
		.amdhsa_uses_dynamic_stack 0
		.amdhsa_system_sgpr_private_segment_wavefront_offset 0
		.amdhsa_system_sgpr_workgroup_id_x 1
		.amdhsa_system_sgpr_workgroup_id_y 0
		.amdhsa_system_sgpr_workgroup_id_z 0
		.amdhsa_system_sgpr_workgroup_info 0
		.amdhsa_system_vgpr_workitem_id 0
		.amdhsa_next_free_vgpr 1
		.amdhsa_next_free_sgpr 0
		.amdhsa_accum_offset 4
		.amdhsa_reserve_vcc 0
		.amdhsa_reserve_flat_scratch 0
		.amdhsa_float_round_mode_32 0
		.amdhsa_float_round_mode_16_64 0
		.amdhsa_float_denorm_mode_32 3
		.amdhsa_float_denorm_mode_16_64 3
		.amdhsa_dx10_clamp 1
		.amdhsa_ieee_mode 1
		.amdhsa_fp16_overflow 0
		.amdhsa_tg_split 0
		.amdhsa_exception_fp_ieee_invalid_op 0
		.amdhsa_exception_fp_denorm_src 0
		.amdhsa_exception_fp_ieee_div_zero 0
		.amdhsa_exception_fp_ieee_overflow 0
		.amdhsa_exception_fp_ieee_underflow 0
		.amdhsa_exception_fp_ieee_inexact 0
		.amdhsa_exception_int_div_zero 0
	.end_amdhsa_kernel
	.section	.text._ZN7rocprim17ROCPRIM_400000_NS6detail17trampoline_kernelINS0_14default_configENS1_27scan_by_key_config_selectorIxxEEZZNS1_16scan_by_key_implILNS1_25lookback_scan_determinismE0ELb0ES3_N6thrust23THRUST_200600_302600_NS6detail15normal_iteratorINS9_10device_ptrIxEEEESE_SE_xNS9_4plusIvEENS9_8equal_toIxEExEE10hipError_tPvRmT2_T3_T4_T5_mT6_T7_P12ihipStream_tbENKUlT_T0_E_clISt17integral_constantIbLb0EESY_IbLb1EEEEDaSU_SV_EUlSU_E_NS1_11comp_targetILNS1_3genE8ELNS1_11target_archE1030ELNS1_3gpuE2ELNS1_3repE0EEENS1_30default_config_static_selectorELNS0_4arch9wavefront6targetE1EEEvT1_,"axG",@progbits,_ZN7rocprim17ROCPRIM_400000_NS6detail17trampoline_kernelINS0_14default_configENS1_27scan_by_key_config_selectorIxxEEZZNS1_16scan_by_key_implILNS1_25lookback_scan_determinismE0ELb0ES3_N6thrust23THRUST_200600_302600_NS6detail15normal_iteratorINS9_10device_ptrIxEEEESE_SE_xNS9_4plusIvEENS9_8equal_toIxEExEE10hipError_tPvRmT2_T3_T4_T5_mT6_T7_P12ihipStream_tbENKUlT_T0_E_clISt17integral_constantIbLb0EESY_IbLb1EEEEDaSU_SV_EUlSU_E_NS1_11comp_targetILNS1_3genE8ELNS1_11target_archE1030ELNS1_3gpuE2ELNS1_3repE0EEENS1_30default_config_static_selectorELNS0_4arch9wavefront6targetE1EEEvT1_,comdat
.Lfunc_end118:
	.size	_ZN7rocprim17ROCPRIM_400000_NS6detail17trampoline_kernelINS0_14default_configENS1_27scan_by_key_config_selectorIxxEEZZNS1_16scan_by_key_implILNS1_25lookback_scan_determinismE0ELb0ES3_N6thrust23THRUST_200600_302600_NS6detail15normal_iteratorINS9_10device_ptrIxEEEESE_SE_xNS9_4plusIvEENS9_8equal_toIxEExEE10hipError_tPvRmT2_T3_T4_T5_mT6_T7_P12ihipStream_tbENKUlT_T0_E_clISt17integral_constantIbLb0EESY_IbLb1EEEEDaSU_SV_EUlSU_E_NS1_11comp_targetILNS1_3genE8ELNS1_11target_archE1030ELNS1_3gpuE2ELNS1_3repE0EEENS1_30default_config_static_selectorELNS0_4arch9wavefront6targetE1EEEvT1_, .Lfunc_end118-_ZN7rocprim17ROCPRIM_400000_NS6detail17trampoline_kernelINS0_14default_configENS1_27scan_by_key_config_selectorIxxEEZZNS1_16scan_by_key_implILNS1_25lookback_scan_determinismE0ELb0ES3_N6thrust23THRUST_200600_302600_NS6detail15normal_iteratorINS9_10device_ptrIxEEEESE_SE_xNS9_4plusIvEENS9_8equal_toIxEExEE10hipError_tPvRmT2_T3_T4_T5_mT6_T7_P12ihipStream_tbENKUlT_T0_E_clISt17integral_constantIbLb0EESY_IbLb1EEEEDaSU_SV_EUlSU_E_NS1_11comp_targetILNS1_3genE8ELNS1_11target_archE1030ELNS1_3gpuE2ELNS1_3repE0EEENS1_30default_config_static_selectorELNS0_4arch9wavefront6targetE1EEEvT1_
                                        ; -- End function
	.section	.AMDGPU.csdata,"",@progbits
; Kernel info:
; codeLenInByte = 0
; NumSgprs: 4
; NumVgprs: 0
; NumAgprs: 0
; TotalNumVgprs: 0
; ScratchSize: 0
; MemoryBound: 0
; FloatMode: 240
; IeeeMode: 1
; LDSByteSize: 0 bytes/workgroup (compile time only)
; SGPRBlocks: 0
; VGPRBlocks: 0
; NumSGPRsForWavesPerEU: 4
; NumVGPRsForWavesPerEU: 1
; AccumOffset: 4
; Occupancy: 8
; WaveLimiterHint : 0
; COMPUTE_PGM_RSRC2:SCRATCH_EN: 0
; COMPUTE_PGM_RSRC2:USER_SGPR: 6
; COMPUTE_PGM_RSRC2:TRAP_HANDLER: 0
; COMPUTE_PGM_RSRC2:TGID_X_EN: 1
; COMPUTE_PGM_RSRC2:TGID_Y_EN: 0
; COMPUTE_PGM_RSRC2:TGID_Z_EN: 0
; COMPUTE_PGM_RSRC2:TIDIG_COMP_CNT: 0
; COMPUTE_PGM_RSRC3_GFX90A:ACCUM_OFFSET: 0
; COMPUTE_PGM_RSRC3_GFX90A:TG_SPLIT: 0
	.section	.text._ZN6thrust23THRUST_200600_302600_NS11hip_rocprim14__parallel_for6kernelILj256ENS1_20__uninitialized_fill7functorINS0_10device_ptrIiEEiEEmLj1EEEvT0_T1_SA_,"axG",@progbits,_ZN6thrust23THRUST_200600_302600_NS11hip_rocprim14__parallel_for6kernelILj256ENS1_20__uninitialized_fill7functorINS0_10device_ptrIiEEiEEmLj1EEEvT0_T1_SA_,comdat
	.protected	_ZN6thrust23THRUST_200600_302600_NS11hip_rocprim14__parallel_for6kernelILj256ENS1_20__uninitialized_fill7functorINS0_10device_ptrIiEEiEEmLj1EEEvT0_T1_SA_ ; -- Begin function _ZN6thrust23THRUST_200600_302600_NS11hip_rocprim14__parallel_for6kernelILj256ENS1_20__uninitialized_fill7functorINS0_10device_ptrIiEEiEEmLj1EEEvT0_T1_SA_
	.globl	_ZN6thrust23THRUST_200600_302600_NS11hip_rocprim14__parallel_for6kernelILj256ENS1_20__uninitialized_fill7functorINS0_10device_ptrIiEEiEEmLj1EEEvT0_T1_SA_
	.p2align	8
	.type	_ZN6thrust23THRUST_200600_302600_NS11hip_rocprim14__parallel_for6kernelILj256ENS1_20__uninitialized_fill7functorINS0_10device_ptrIiEEiEEmLj1EEEvT0_T1_SA_,@function
_ZN6thrust23THRUST_200600_302600_NS11hip_rocprim14__parallel_for6kernelILj256ENS1_20__uninitialized_fill7functorINS0_10device_ptrIiEEiEEmLj1EEEvT0_T1_SA_: ; @_ZN6thrust23THRUST_200600_302600_NS11hip_rocprim14__parallel_for6kernelILj256ENS1_20__uninitialized_fill7functorINS0_10device_ptrIiEEiEEmLj1EEEvT0_T1_SA_
; %bb.0:
	s_load_dwordx4 s[8:11], s[4:5], 0x10
	s_lshl_b32 s0, s6, 8
	v_mov_b32_e32 v2, 0x100
	v_mov_b32_e32 v3, 0
	s_waitcnt lgkmcnt(0)
	s_add_u32 s0, s0, s10
	s_addc_u32 s1, 0, s11
	s_sub_u32 s2, s8, s0
	s_subb_u32 s3, s9, s1
	v_cmp_lt_u64_e32 vcc, s[2:3], v[2:3]
	s_cbranch_vccz .LBB119_2
; %bb.1:
	v_cmp_gt_u32_e32 vcc, s2, v0
	s_and_b64 s[2:3], vcc, exec
	s_cbranch_execz .LBB119_3
	s_branch .LBB119_4
.LBB119_2:
	s_mov_b64 s[2:3], 0
.LBB119_3:
	s_or_b64 s[2:3], s[2:3], exec
.LBB119_4:
	s_and_saveexec_b64 s[6:7], s[2:3]
	s_cbranch_execnz .LBB119_6
; %bb.5:
	s_endpgm
.LBB119_6:
	s_load_dwordx2 s[2:3], s[4:5], 0x0
	s_load_dword s6, s[4:5], 0x8
	s_lshl_b64 s[0:1], s[0:1], 2
	v_mov_b32_e32 v1, 0
	v_lshlrev_b64 v[0:1], 2, v[0:1]
	s_waitcnt lgkmcnt(0)
	s_add_u32 s0, s2, s0
	s_addc_u32 s1, s3, s1
	v_mov_b32_e32 v2, s1
	v_add_co_u32_e32 v0, vcc, s0, v0
	v_addc_co_u32_e32 v1, vcc, v2, v1, vcc
	v_mov_b32_e32 v2, s6
	flat_store_dword v[0:1], v2
	s_endpgm
	.section	.rodata,"a",@progbits
	.p2align	6, 0x0
	.amdhsa_kernel _ZN6thrust23THRUST_200600_302600_NS11hip_rocprim14__parallel_for6kernelILj256ENS1_20__uninitialized_fill7functorINS0_10device_ptrIiEEiEEmLj1EEEvT0_T1_SA_
		.amdhsa_group_segment_fixed_size 0
		.amdhsa_private_segment_fixed_size 0
		.amdhsa_kernarg_size 32
		.amdhsa_user_sgpr_count 6
		.amdhsa_user_sgpr_private_segment_buffer 1
		.amdhsa_user_sgpr_dispatch_ptr 0
		.amdhsa_user_sgpr_queue_ptr 0
		.amdhsa_user_sgpr_kernarg_segment_ptr 1
		.amdhsa_user_sgpr_dispatch_id 0
		.amdhsa_user_sgpr_flat_scratch_init 0
		.amdhsa_user_sgpr_kernarg_preload_length 0
		.amdhsa_user_sgpr_kernarg_preload_offset 0
		.amdhsa_user_sgpr_private_segment_size 0
		.amdhsa_uses_dynamic_stack 0
		.amdhsa_system_sgpr_private_segment_wavefront_offset 0
		.amdhsa_system_sgpr_workgroup_id_x 1
		.amdhsa_system_sgpr_workgroup_id_y 0
		.amdhsa_system_sgpr_workgroup_id_z 0
		.amdhsa_system_sgpr_workgroup_info 0
		.amdhsa_system_vgpr_workitem_id 0
		.amdhsa_next_free_vgpr 4
		.amdhsa_next_free_sgpr 12
		.amdhsa_accum_offset 4
		.amdhsa_reserve_vcc 1
		.amdhsa_reserve_flat_scratch 0
		.amdhsa_float_round_mode_32 0
		.amdhsa_float_round_mode_16_64 0
		.amdhsa_float_denorm_mode_32 3
		.amdhsa_float_denorm_mode_16_64 3
		.amdhsa_dx10_clamp 1
		.amdhsa_ieee_mode 1
		.amdhsa_fp16_overflow 0
		.amdhsa_tg_split 0
		.amdhsa_exception_fp_ieee_invalid_op 0
		.amdhsa_exception_fp_denorm_src 0
		.amdhsa_exception_fp_ieee_div_zero 0
		.amdhsa_exception_fp_ieee_overflow 0
		.amdhsa_exception_fp_ieee_underflow 0
		.amdhsa_exception_fp_ieee_inexact 0
		.amdhsa_exception_int_div_zero 0
	.end_amdhsa_kernel
	.section	.text._ZN6thrust23THRUST_200600_302600_NS11hip_rocprim14__parallel_for6kernelILj256ENS1_20__uninitialized_fill7functorINS0_10device_ptrIiEEiEEmLj1EEEvT0_T1_SA_,"axG",@progbits,_ZN6thrust23THRUST_200600_302600_NS11hip_rocprim14__parallel_for6kernelILj256ENS1_20__uninitialized_fill7functorINS0_10device_ptrIiEEiEEmLj1EEEvT0_T1_SA_,comdat
.Lfunc_end119:
	.size	_ZN6thrust23THRUST_200600_302600_NS11hip_rocprim14__parallel_for6kernelILj256ENS1_20__uninitialized_fill7functorINS0_10device_ptrIiEEiEEmLj1EEEvT0_T1_SA_, .Lfunc_end119-_ZN6thrust23THRUST_200600_302600_NS11hip_rocprim14__parallel_for6kernelILj256ENS1_20__uninitialized_fill7functorINS0_10device_ptrIiEEiEEmLj1EEEvT0_T1_SA_
                                        ; -- End function
	.section	.AMDGPU.csdata,"",@progbits
; Kernel info:
; codeLenInByte = 160
; NumSgprs: 16
; NumVgprs: 4
; NumAgprs: 0
; TotalNumVgprs: 4
; ScratchSize: 0
; MemoryBound: 0
; FloatMode: 240
; IeeeMode: 1
; LDSByteSize: 0 bytes/workgroup (compile time only)
; SGPRBlocks: 1
; VGPRBlocks: 0
; NumSGPRsForWavesPerEU: 16
; NumVGPRsForWavesPerEU: 4
; AccumOffset: 4
; Occupancy: 8
; WaveLimiterHint : 0
; COMPUTE_PGM_RSRC2:SCRATCH_EN: 0
; COMPUTE_PGM_RSRC2:USER_SGPR: 6
; COMPUTE_PGM_RSRC2:TRAP_HANDLER: 0
; COMPUTE_PGM_RSRC2:TGID_X_EN: 1
; COMPUTE_PGM_RSRC2:TGID_Y_EN: 0
; COMPUTE_PGM_RSRC2:TGID_Z_EN: 0
; COMPUTE_PGM_RSRC2:TIDIG_COMP_CNT: 0
; COMPUTE_PGM_RSRC3_GFX90A:ACCUM_OFFSET: 0
; COMPUTE_PGM_RSRC3_GFX90A:TG_SPLIT: 0
	.section	.text._ZN7rocprim17ROCPRIM_400000_NS6detail30init_device_scan_by_key_kernelINS1_19lookback_scan_stateINS0_5tupleIJibEEELb0ELb1EEEN6thrust23THRUST_200600_302600_NS6detail15normal_iteratorINS8_10device_ptrIiEEEEjNS1_16block_id_wrapperIjLb0EEEEEvT_jjPNSG_10value_typeET0_PNSt15iterator_traitsISJ_E10value_typeEmT1_T2_,"axG",@progbits,_ZN7rocprim17ROCPRIM_400000_NS6detail30init_device_scan_by_key_kernelINS1_19lookback_scan_stateINS0_5tupleIJibEEELb0ELb1EEEN6thrust23THRUST_200600_302600_NS6detail15normal_iteratorINS8_10device_ptrIiEEEEjNS1_16block_id_wrapperIjLb0EEEEEvT_jjPNSG_10value_typeET0_PNSt15iterator_traitsISJ_E10value_typeEmT1_T2_,comdat
	.protected	_ZN7rocprim17ROCPRIM_400000_NS6detail30init_device_scan_by_key_kernelINS1_19lookback_scan_stateINS0_5tupleIJibEEELb0ELb1EEEN6thrust23THRUST_200600_302600_NS6detail15normal_iteratorINS8_10device_ptrIiEEEEjNS1_16block_id_wrapperIjLb0EEEEEvT_jjPNSG_10value_typeET0_PNSt15iterator_traitsISJ_E10value_typeEmT1_T2_ ; -- Begin function _ZN7rocprim17ROCPRIM_400000_NS6detail30init_device_scan_by_key_kernelINS1_19lookback_scan_stateINS0_5tupleIJibEEELb0ELb1EEEN6thrust23THRUST_200600_302600_NS6detail15normal_iteratorINS8_10device_ptrIiEEEEjNS1_16block_id_wrapperIjLb0EEEEEvT_jjPNSG_10value_typeET0_PNSt15iterator_traitsISJ_E10value_typeEmT1_T2_
	.globl	_ZN7rocprim17ROCPRIM_400000_NS6detail30init_device_scan_by_key_kernelINS1_19lookback_scan_stateINS0_5tupleIJibEEELb0ELb1EEEN6thrust23THRUST_200600_302600_NS6detail15normal_iteratorINS8_10device_ptrIiEEEEjNS1_16block_id_wrapperIjLb0EEEEEvT_jjPNSG_10value_typeET0_PNSt15iterator_traitsISJ_E10value_typeEmT1_T2_
	.p2align	8
	.type	_ZN7rocprim17ROCPRIM_400000_NS6detail30init_device_scan_by_key_kernelINS1_19lookback_scan_stateINS0_5tupleIJibEEELb0ELb1EEEN6thrust23THRUST_200600_302600_NS6detail15normal_iteratorINS8_10device_ptrIiEEEEjNS1_16block_id_wrapperIjLb0EEEEEvT_jjPNSG_10value_typeET0_PNSt15iterator_traitsISJ_E10value_typeEmT1_T2_,@function
_ZN7rocprim17ROCPRIM_400000_NS6detail30init_device_scan_by_key_kernelINS1_19lookback_scan_stateINS0_5tupleIJibEEELb0ELb1EEEN6thrust23THRUST_200600_302600_NS6detail15normal_iteratorINS8_10device_ptrIiEEEEjNS1_16block_id_wrapperIjLb0EEEEEvT_jjPNSG_10value_typeET0_PNSt15iterator_traitsISJ_E10value_typeEmT1_T2_: ; @_ZN7rocprim17ROCPRIM_400000_NS6detail30init_device_scan_by_key_kernelINS1_19lookback_scan_stateINS0_5tupleIJibEEELb0ELb1EEEN6thrust23THRUST_200600_302600_NS6detail15normal_iteratorINS8_10device_ptrIiEEEEjNS1_16block_id_wrapperIjLb0EEEEEvT_jjPNSG_10value_typeET0_PNSt15iterator_traitsISJ_E10value_typeEmT1_T2_
; %bb.0:
	s_load_dword s0, s[4:5], 0x44
	s_load_dwordx8 s[8:15], s[4:5], 0x0
	s_load_dword s18, s[4:5], 0x38
	s_waitcnt lgkmcnt(0)
	s_and_b32 s19, s0, 0xffff
	s_mul_i32 s6, s6, s19
	s_cmp_eq_u64 s[12:13], 0
	v_add_u32_e32 v4, s6, v0
	s_cbranch_scc1 .LBB120_8
; %bb.1:
	s_cmp_lt_u32 s11, s10
	s_cselect_b32 s0, s11, 0
	s_mov_b32 s3, 0
	v_cmp_eq_u32_e32 vcc, s0, v4
	s_and_saveexec_b64 s[0:1], vcc
	s_cbranch_execz .LBB120_7
; %bb.2:
	s_add_i32 s2, s11, 64
	s_lshl_b64 s[2:3], s[2:3], 4
	s_add_u32 s16, s8, s2
	s_addc_u32 s17, s9, s3
	v_pk_mov_b32 v[0:1], s[16:17], s[16:17] op_sel:[0,1]
	;;#ASMSTART
	global_load_dwordx4 v[0:3], v[0:1] off glc	
s_waitcnt vmcnt(0)
	;;#ASMEND
	v_mov_b32_e32 v7, 0
	v_and_b32_e32 v6, 0xff, v2
	s_mov_b64 s[6:7], 0
	v_cmp_eq_u64_e32 vcc, 0, v[6:7]
	s_and_saveexec_b64 s[2:3], vcc
	s_cbranch_execz .LBB120_6
; %bb.3:
	v_pk_mov_b32 v[8:9], s[16:17], s[16:17] op_sel:[0,1]
.LBB120_4:                              ; =>This Inner Loop Header: Depth=1
	;;#ASMSTART
	global_load_dwordx4 v[0:3], v[8:9] off glc	
s_waitcnt vmcnt(0)
	;;#ASMEND
	v_and_b32_e32 v6, 0xff, v2
	v_cmp_ne_u64_e32 vcc, 0, v[6:7]
	s_or_b64 s[6:7], vcc, s[6:7]
	s_andn2_b64 exec, exec, s[6:7]
	s_cbranch_execnz .LBB120_4
; %bb.5:
	s_or_b64 exec, exec, s[6:7]
.LBB120_6:
	s_or_b64 exec, exec, s[2:3]
	v_mov_b32_e32 v2, 0
	global_store_dword v2, v0, s[12:13]
	global_store_byte v2, v1, s[12:13] offset:4
.LBB120_7:
	s_or_b64 exec, exec, s[0:1]
.LBB120_8:
	v_cmp_gt_u32_e32 vcc, s10, v4
	s_and_saveexec_b64 s[0:1], vcc
	s_cbranch_execz .LBB120_10
; %bb.9:
	v_add_u32_e32 v0, 64, v4
	v_mov_b32_e32 v1, 0
	v_lshlrev_b64 v[2:3], 4, v[0:1]
	v_mov_b32_e32 v0, s9
	v_add_co_u32_e32 v6, vcc, s8, v2
	v_addc_co_u32_e32 v7, vcc, v0, v3, vcc
	v_mov_b32_e32 v0, v1
	v_mov_b32_e32 v2, v1
	;; [unrolled: 1-line block ×3, first 2 shown]
	global_store_dwordx4 v[6:7], v[0:3], off
.LBB120_10:
	s_or_b64 exec, exec, s[0:1]
	v_cmp_gt_u32_e32 vcc, 64, v4
	v_mov_b32_e32 v5, 0
	s_and_saveexec_b64 s[0:1], vcc
	s_cbranch_execz .LBB120_12
; %bb.11:
	v_lshlrev_b64 v[0:1], 4, v[4:5]
	v_mov_b32_e32 v2, s9
	v_add_co_u32_e32 v6, vcc, s8, v0
	v_addc_co_u32_e32 v7, vcc, v2, v1, vcc
	v_mov_b32_e32 v2, 0xff
	v_mov_b32_e32 v0, v5
	;; [unrolled: 1-line block ×4, first 2 shown]
	global_store_dwordx4 v[6:7], v[0:3], off
.LBB120_12:
	s_or_b64 exec, exec, s[0:1]
	s_load_dwordx2 s[0:1], s[4:5], 0x28
	s_waitcnt lgkmcnt(0)
	v_cmp_gt_u64_e32 vcc, s[0:1], v[4:5]
	s_and_saveexec_b64 s[2:3], vcc
	s_cbranch_execz .LBB120_15
; %bb.13:
	s_load_dword s10, s[4:5], 0x30
	s_load_dwordx2 s[6:7], s[4:5], 0x20
	s_mov_b32 s5, 0
	s_mov_b32 s3, s5
	s_mul_i32 s2, s18, s19
	s_waitcnt lgkmcnt(0)
	s_add_i32 s4, s10, -1
	s_lshl_b64 s[4:5], s[4:5], 2
	v_mad_u64_u32 v[0:1], s[8:9], s10, v4, 0
	s_add_u32 s4, s14, s4
	v_lshlrev_b64 v[0:1], 2, v[0:1]
	s_addc_u32 s5, s15, s5
	v_mov_b32_e32 v2, s5
	v_add_co_u32_e32 v0, vcc, s4, v0
	v_addc_co_u32_e32 v1, vcc, v2, v1, vcc
	s_mul_hi_u32 s5, s10, s2
	s_mul_i32 s4, s10, s2
	v_lshlrev_b64 v[2:3], 2, v[4:5]
	s_lshl_b64 s[4:5], s[4:5], 2
	v_mov_b32_e32 v6, s7
	v_add_co_u32_e32 v2, vcc, s6, v2
	s_lshl_b64 s[6:7], s[2:3], 2
	v_addc_co_u32_e32 v3, vcc, v6, v3, vcc
	s_mov_b64 s[8:9], 0
	v_mov_b32_e32 v6, s3
	v_mov_b32_e32 v7, s5
	;; [unrolled: 1-line block ×3, first 2 shown]
.LBB120_14:                             ; =>This Inner Loop Header: Depth=1
	global_load_dword v9, v[0:1], off
	v_add_co_u32_e32 v4, vcc, s2, v4
	v_addc_co_u32_e32 v5, vcc, v5, v6, vcc
	v_add_co_u32_e32 v0, vcc, s4, v0
	v_addc_co_u32_e32 v1, vcc, v1, v7, vcc
	v_cmp_le_u64_e32 vcc, s[0:1], v[4:5]
	s_or_b64 s[8:9], vcc, s[8:9]
	s_waitcnt vmcnt(0)
	global_store_dword v[2:3], v9, off
	v_add_co_u32_e32 v2, vcc, s6, v2
	v_addc_co_u32_e32 v3, vcc, v3, v8, vcc
	s_andn2_b64 exec, exec, s[8:9]
	s_cbranch_execnz .LBB120_14
.LBB120_15:
	s_endpgm
	.section	.rodata,"a",@progbits
	.p2align	6, 0x0
	.amdhsa_kernel _ZN7rocprim17ROCPRIM_400000_NS6detail30init_device_scan_by_key_kernelINS1_19lookback_scan_stateINS0_5tupleIJibEEELb0ELb1EEEN6thrust23THRUST_200600_302600_NS6detail15normal_iteratorINS8_10device_ptrIiEEEEjNS1_16block_id_wrapperIjLb0EEEEEvT_jjPNSG_10value_typeET0_PNSt15iterator_traitsISJ_E10value_typeEmT1_T2_
		.amdhsa_group_segment_fixed_size 0
		.amdhsa_private_segment_fixed_size 0
		.amdhsa_kernarg_size 312
		.amdhsa_user_sgpr_count 6
		.amdhsa_user_sgpr_private_segment_buffer 1
		.amdhsa_user_sgpr_dispatch_ptr 0
		.amdhsa_user_sgpr_queue_ptr 0
		.amdhsa_user_sgpr_kernarg_segment_ptr 1
		.amdhsa_user_sgpr_dispatch_id 0
		.amdhsa_user_sgpr_flat_scratch_init 0
		.amdhsa_user_sgpr_kernarg_preload_length 0
		.amdhsa_user_sgpr_kernarg_preload_offset 0
		.amdhsa_user_sgpr_private_segment_size 0
		.amdhsa_uses_dynamic_stack 0
		.amdhsa_system_sgpr_private_segment_wavefront_offset 0
		.amdhsa_system_sgpr_workgroup_id_x 1
		.amdhsa_system_sgpr_workgroup_id_y 0
		.amdhsa_system_sgpr_workgroup_id_z 0
		.amdhsa_system_sgpr_workgroup_info 0
		.amdhsa_system_vgpr_workitem_id 0
		.amdhsa_next_free_vgpr 10
		.amdhsa_next_free_sgpr 20
		.amdhsa_accum_offset 12
		.amdhsa_reserve_vcc 1
		.amdhsa_reserve_flat_scratch 0
		.amdhsa_float_round_mode_32 0
		.amdhsa_float_round_mode_16_64 0
		.amdhsa_float_denorm_mode_32 3
		.amdhsa_float_denorm_mode_16_64 3
		.amdhsa_dx10_clamp 1
		.amdhsa_ieee_mode 1
		.amdhsa_fp16_overflow 0
		.amdhsa_tg_split 0
		.amdhsa_exception_fp_ieee_invalid_op 0
		.amdhsa_exception_fp_denorm_src 0
		.amdhsa_exception_fp_ieee_div_zero 0
		.amdhsa_exception_fp_ieee_overflow 0
		.amdhsa_exception_fp_ieee_underflow 0
		.amdhsa_exception_fp_ieee_inexact 0
		.amdhsa_exception_int_div_zero 0
	.end_amdhsa_kernel
	.section	.text._ZN7rocprim17ROCPRIM_400000_NS6detail30init_device_scan_by_key_kernelINS1_19lookback_scan_stateINS0_5tupleIJibEEELb0ELb1EEEN6thrust23THRUST_200600_302600_NS6detail15normal_iteratorINS8_10device_ptrIiEEEEjNS1_16block_id_wrapperIjLb0EEEEEvT_jjPNSG_10value_typeET0_PNSt15iterator_traitsISJ_E10value_typeEmT1_T2_,"axG",@progbits,_ZN7rocprim17ROCPRIM_400000_NS6detail30init_device_scan_by_key_kernelINS1_19lookback_scan_stateINS0_5tupleIJibEEELb0ELb1EEEN6thrust23THRUST_200600_302600_NS6detail15normal_iteratorINS8_10device_ptrIiEEEEjNS1_16block_id_wrapperIjLb0EEEEEvT_jjPNSG_10value_typeET0_PNSt15iterator_traitsISJ_E10value_typeEmT1_T2_,comdat
.Lfunc_end120:
	.size	_ZN7rocprim17ROCPRIM_400000_NS6detail30init_device_scan_by_key_kernelINS1_19lookback_scan_stateINS0_5tupleIJibEEELb0ELb1EEEN6thrust23THRUST_200600_302600_NS6detail15normal_iteratorINS8_10device_ptrIiEEEEjNS1_16block_id_wrapperIjLb0EEEEEvT_jjPNSG_10value_typeET0_PNSt15iterator_traitsISJ_E10value_typeEmT1_T2_, .Lfunc_end120-_ZN7rocprim17ROCPRIM_400000_NS6detail30init_device_scan_by_key_kernelINS1_19lookback_scan_stateINS0_5tupleIJibEEELb0ELb1EEEN6thrust23THRUST_200600_302600_NS6detail15normal_iteratorINS8_10device_ptrIiEEEEjNS1_16block_id_wrapperIjLb0EEEEEvT_jjPNSG_10value_typeET0_PNSt15iterator_traitsISJ_E10value_typeEmT1_T2_
                                        ; -- End function
	.section	.AMDGPU.csdata,"",@progbits
; Kernel info:
; codeLenInByte = 572
; NumSgprs: 24
; NumVgprs: 10
; NumAgprs: 0
; TotalNumVgprs: 10
; ScratchSize: 0
; MemoryBound: 0
; FloatMode: 240
; IeeeMode: 1
; LDSByteSize: 0 bytes/workgroup (compile time only)
; SGPRBlocks: 2
; VGPRBlocks: 1
; NumSGPRsForWavesPerEU: 24
; NumVGPRsForWavesPerEU: 10
; AccumOffset: 12
; Occupancy: 8
; WaveLimiterHint : 0
; COMPUTE_PGM_RSRC2:SCRATCH_EN: 0
; COMPUTE_PGM_RSRC2:USER_SGPR: 6
; COMPUTE_PGM_RSRC2:TRAP_HANDLER: 0
; COMPUTE_PGM_RSRC2:TGID_X_EN: 1
; COMPUTE_PGM_RSRC2:TGID_Y_EN: 0
; COMPUTE_PGM_RSRC2:TGID_Z_EN: 0
; COMPUTE_PGM_RSRC2:TIDIG_COMP_CNT: 0
; COMPUTE_PGM_RSRC3_GFX90A:ACCUM_OFFSET: 2
; COMPUTE_PGM_RSRC3_GFX90A:TG_SPLIT: 0
	.section	.text._ZN7rocprim17ROCPRIM_400000_NS6detail30init_device_scan_by_key_kernelINS1_19lookback_scan_stateINS0_5tupleIJibEEELb0ELb1EEENS1_16block_id_wrapperIjLb0EEEEEvT_jjPNS9_10value_typeET0_,"axG",@progbits,_ZN7rocprim17ROCPRIM_400000_NS6detail30init_device_scan_by_key_kernelINS1_19lookback_scan_stateINS0_5tupleIJibEEELb0ELb1EEENS1_16block_id_wrapperIjLb0EEEEEvT_jjPNS9_10value_typeET0_,comdat
	.protected	_ZN7rocprim17ROCPRIM_400000_NS6detail30init_device_scan_by_key_kernelINS1_19lookback_scan_stateINS0_5tupleIJibEEELb0ELb1EEENS1_16block_id_wrapperIjLb0EEEEEvT_jjPNS9_10value_typeET0_ ; -- Begin function _ZN7rocprim17ROCPRIM_400000_NS6detail30init_device_scan_by_key_kernelINS1_19lookback_scan_stateINS0_5tupleIJibEEELb0ELb1EEENS1_16block_id_wrapperIjLb0EEEEEvT_jjPNS9_10value_typeET0_
	.globl	_ZN7rocprim17ROCPRIM_400000_NS6detail30init_device_scan_by_key_kernelINS1_19lookback_scan_stateINS0_5tupleIJibEEELb0ELb1EEENS1_16block_id_wrapperIjLb0EEEEEvT_jjPNS9_10value_typeET0_
	.p2align	8
	.type	_ZN7rocprim17ROCPRIM_400000_NS6detail30init_device_scan_by_key_kernelINS1_19lookback_scan_stateINS0_5tupleIJibEEELb0ELb1EEENS1_16block_id_wrapperIjLb0EEEEEvT_jjPNS9_10value_typeET0_,@function
_ZN7rocprim17ROCPRIM_400000_NS6detail30init_device_scan_by_key_kernelINS1_19lookback_scan_stateINS0_5tupleIJibEEELb0ELb1EEENS1_16block_id_wrapperIjLb0EEEEEvT_jjPNS9_10value_typeET0_: ; @_ZN7rocprim17ROCPRIM_400000_NS6detail30init_device_scan_by_key_kernelINS1_19lookback_scan_stateINS0_5tupleIJibEEELb0ELb1EEENS1_16block_id_wrapperIjLb0EEEEEvT_jjPNS9_10value_typeET0_
; %bb.0:
	s_load_dword s7, s[4:5], 0x2c
	s_load_dwordx2 s[8:9], s[4:5], 0x10
	s_load_dwordx4 s[0:3], s[4:5], 0x0
	s_waitcnt lgkmcnt(0)
	s_and_b32 s4, s7, 0xffff
	s_mul_i32 s6, s6, s4
	s_cmp_eq_u64 s[8:9], 0
	v_add_u32_e32 v0, s6, v0
	s_cbranch_scc1 .LBB121_8
; %bb.1:
	s_cmp_lt_u32 s3, s2
	s_cselect_b32 s4, s3, 0
	s_mov_b32 s7, 0
	v_cmp_eq_u32_e32 vcc, s4, v0
	s_and_saveexec_b64 s[4:5], vcc
	s_cbranch_execz .LBB121_7
; %bb.2:
	s_add_i32 s6, s3, 64
	s_lshl_b64 s[6:7], s[6:7], 4
	s_add_u32 s12, s0, s6
	s_addc_u32 s13, s1, s7
	v_pk_mov_b32 v[2:3], s[12:13], s[12:13] op_sel:[0,1]
	;;#ASMSTART
	global_load_dwordx4 v[2:5], v[2:3] off glc	
s_waitcnt vmcnt(0)
	;;#ASMEND
	v_mov_b32_e32 v7, 0
	v_and_b32_e32 v6, 0xff, v4
	s_mov_b64 s[10:11], 0
	v_cmp_eq_u64_e32 vcc, 0, v[6:7]
	s_and_saveexec_b64 s[6:7], vcc
	s_cbranch_execz .LBB121_6
; %bb.3:
	v_pk_mov_b32 v[8:9], s[12:13], s[12:13] op_sel:[0,1]
.LBB121_4:                              ; =>This Inner Loop Header: Depth=1
	;;#ASMSTART
	global_load_dwordx4 v[2:5], v[8:9] off glc	
s_waitcnt vmcnt(0)
	;;#ASMEND
	v_and_b32_e32 v6, 0xff, v4
	v_cmp_ne_u64_e32 vcc, 0, v[6:7]
	s_or_b64 s[10:11], vcc, s[10:11]
	s_andn2_b64 exec, exec, s[10:11]
	s_cbranch_execnz .LBB121_4
; %bb.5:
	s_or_b64 exec, exec, s[10:11]
.LBB121_6:
	s_or_b64 exec, exec, s[6:7]
	v_mov_b32_e32 v1, 0
	global_store_dword v1, v2, s[8:9]
	global_store_byte v1, v3, s[8:9] offset:4
.LBB121_7:
	s_or_b64 exec, exec, s[4:5]
.LBB121_8:
	v_cmp_gt_u32_e32 vcc, s2, v0
	s_and_saveexec_b64 s[2:3], vcc
	s_cbranch_execnz .LBB121_11
; %bb.9:
	s_or_b64 exec, exec, s[2:3]
	v_cmp_gt_u32_e32 vcc, 64, v0
	s_and_saveexec_b64 s[2:3], vcc
	s_cbranch_execnz .LBB121_12
.LBB121_10:
	s_endpgm
.LBB121_11:
	v_add_u32_e32 v2, 64, v0
	v_mov_b32_e32 v3, 0
	v_lshlrev_b64 v[4:5], 4, v[2:3]
	v_mov_b32_e32 v1, s1
	v_add_co_u32_e32 v6, vcc, s0, v4
	v_addc_co_u32_e32 v7, vcc, v1, v5, vcc
	v_mov_b32_e32 v2, v3
	v_mov_b32_e32 v4, v3
	;; [unrolled: 1-line block ×3, first 2 shown]
	global_store_dwordx4 v[6:7], v[2:5], off
	s_or_b64 exec, exec, s[2:3]
	v_cmp_gt_u32_e32 vcc, 64, v0
	s_and_saveexec_b64 s[2:3], vcc
	s_cbranch_execz .LBB121_10
.LBB121_12:
	v_mov_b32_e32 v1, 0
	v_lshlrev_b64 v[2:3], 4, v[0:1]
	v_mov_b32_e32 v0, s1
	v_add_co_u32_e32 v4, vcc, s0, v2
	v_addc_co_u32_e32 v5, vcc, v0, v3, vcc
	v_mov_b32_e32 v2, 0xff
	v_mov_b32_e32 v0, v1
	;; [unrolled: 1-line block ×3, first 2 shown]
	global_store_dwordx4 v[4:5], v[0:3], off
	s_endpgm
	.section	.rodata,"a",@progbits
	.p2align	6, 0x0
	.amdhsa_kernel _ZN7rocprim17ROCPRIM_400000_NS6detail30init_device_scan_by_key_kernelINS1_19lookback_scan_stateINS0_5tupleIJibEEELb0ELb1EEENS1_16block_id_wrapperIjLb0EEEEEvT_jjPNS9_10value_typeET0_
		.amdhsa_group_segment_fixed_size 0
		.amdhsa_private_segment_fixed_size 0
		.amdhsa_kernarg_size 288
		.amdhsa_user_sgpr_count 6
		.amdhsa_user_sgpr_private_segment_buffer 1
		.amdhsa_user_sgpr_dispatch_ptr 0
		.amdhsa_user_sgpr_queue_ptr 0
		.amdhsa_user_sgpr_kernarg_segment_ptr 1
		.amdhsa_user_sgpr_dispatch_id 0
		.amdhsa_user_sgpr_flat_scratch_init 0
		.amdhsa_user_sgpr_kernarg_preload_length 0
		.amdhsa_user_sgpr_kernarg_preload_offset 0
		.amdhsa_user_sgpr_private_segment_size 0
		.amdhsa_uses_dynamic_stack 0
		.amdhsa_system_sgpr_private_segment_wavefront_offset 0
		.amdhsa_system_sgpr_workgroup_id_x 1
		.amdhsa_system_sgpr_workgroup_id_y 0
		.amdhsa_system_sgpr_workgroup_id_z 0
		.amdhsa_system_sgpr_workgroup_info 0
		.amdhsa_system_vgpr_workitem_id 0
		.amdhsa_next_free_vgpr 10
		.amdhsa_next_free_sgpr 14
		.amdhsa_accum_offset 12
		.amdhsa_reserve_vcc 1
		.amdhsa_reserve_flat_scratch 0
		.amdhsa_float_round_mode_32 0
		.amdhsa_float_round_mode_16_64 0
		.amdhsa_float_denorm_mode_32 3
		.amdhsa_float_denorm_mode_16_64 3
		.amdhsa_dx10_clamp 1
		.amdhsa_ieee_mode 1
		.amdhsa_fp16_overflow 0
		.amdhsa_tg_split 0
		.amdhsa_exception_fp_ieee_invalid_op 0
		.amdhsa_exception_fp_denorm_src 0
		.amdhsa_exception_fp_ieee_div_zero 0
		.amdhsa_exception_fp_ieee_overflow 0
		.amdhsa_exception_fp_ieee_underflow 0
		.amdhsa_exception_fp_ieee_inexact 0
		.amdhsa_exception_int_div_zero 0
	.end_amdhsa_kernel
	.section	.text._ZN7rocprim17ROCPRIM_400000_NS6detail30init_device_scan_by_key_kernelINS1_19lookback_scan_stateINS0_5tupleIJibEEELb0ELb1EEENS1_16block_id_wrapperIjLb0EEEEEvT_jjPNS9_10value_typeET0_,"axG",@progbits,_ZN7rocprim17ROCPRIM_400000_NS6detail30init_device_scan_by_key_kernelINS1_19lookback_scan_stateINS0_5tupleIJibEEELb0ELb1EEENS1_16block_id_wrapperIjLb0EEEEEvT_jjPNS9_10value_typeET0_,comdat
.Lfunc_end121:
	.size	_ZN7rocprim17ROCPRIM_400000_NS6detail30init_device_scan_by_key_kernelINS1_19lookback_scan_stateINS0_5tupleIJibEEELb0ELb1EEENS1_16block_id_wrapperIjLb0EEEEEvT_jjPNS9_10value_typeET0_, .Lfunc_end121-_ZN7rocprim17ROCPRIM_400000_NS6detail30init_device_scan_by_key_kernelINS1_19lookback_scan_stateINS0_5tupleIJibEEELb0ELb1EEENS1_16block_id_wrapperIjLb0EEEEEvT_jjPNS9_10value_typeET0_
                                        ; -- End function
	.section	.AMDGPU.csdata,"",@progbits
; Kernel info:
; codeLenInByte = 372
; NumSgprs: 18
; NumVgprs: 10
; NumAgprs: 0
; TotalNumVgprs: 10
; ScratchSize: 0
; MemoryBound: 0
; FloatMode: 240
; IeeeMode: 1
; LDSByteSize: 0 bytes/workgroup (compile time only)
; SGPRBlocks: 2
; VGPRBlocks: 1
; NumSGPRsForWavesPerEU: 18
; NumVGPRsForWavesPerEU: 10
; AccumOffset: 12
; Occupancy: 8
; WaveLimiterHint : 0
; COMPUTE_PGM_RSRC2:SCRATCH_EN: 0
; COMPUTE_PGM_RSRC2:USER_SGPR: 6
; COMPUTE_PGM_RSRC2:TRAP_HANDLER: 0
; COMPUTE_PGM_RSRC2:TGID_X_EN: 1
; COMPUTE_PGM_RSRC2:TGID_Y_EN: 0
; COMPUTE_PGM_RSRC2:TGID_Z_EN: 0
; COMPUTE_PGM_RSRC2:TIDIG_COMP_CNT: 0
; COMPUTE_PGM_RSRC3_GFX90A:ACCUM_OFFSET: 2
; COMPUTE_PGM_RSRC3_GFX90A:TG_SPLIT: 0
	.section	.text._ZN7rocprim17ROCPRIM_400000_NS6detail17trampoline_kernelINS0_14default_configENS1_27scan_by_key_config_selectorIiiEEZZNS1_16scan_by_key_implILNS1_25lookback_scan_determinismE0ELb0ES3_N6thrust23THRUST_200600_302600_NS6detail15normal_iteratorINS9_10device_ptrIiEEEESE_SE_iNS9_4plusIvEENS9_8equal_toIvEEiEE10hipError_tPvRmT2_T3_T4_T5_mT6_T7_P12ihipStream_tbENKUlT_T0_E_clISt17integral_constantIbLb0EESZ_EEDaSU_SV_EUlSU_E_NS1_11comp_targetILNS1_3genE0ELNS1_11target_archE4294967295ELNS1_3gpuE0ELNS1_3repE0EEENS1_30default_config_static_selectorELNS0_4arch9wavefront6targetE1EEEvT1_,"axG",@progbits,_ZN7rocprim17ROCPRIM_400000_NS6detail17trampoline_kernelINS0_14default_configENS1_27scan_by_key_config_selectorIiiEEZZNS1_16scan_by_key_implILNS1_25lookback_scan_determinismE0ELb0ES3_N6thrust23THRUST_200600_302600_NS6detail15normal_iteratorINS9_10device_ptrIiEEEESE_SE_iNS9_4plusIvEENS9_8equal_toIvEEiEE10hipError_tPvRmT2_T3_T4_T5_mT6_T7_P12ihipStream_tbENKUlT_T0_E_clISt17integral_constantIbLb0EESZ_EEDaSU_SV_EUlSU_E_NS1_11comp_targetILNS1_3genE0ELNS1_11target_archE4294967295ELNS1_3gpuE0ELNS1_3repE0EEENS1_30default_config_static_selectorELNS0_4arch9wavefront6targetE1EEEvT1_,comdat
	.protected	_ZN7rocprim17ROCPRIM_400000_NS6detail17trampoline_kernelINS0_14default_configENS1_27scan_by_key_config_selectorIiiEEZZNS1_16scan_by_key_implILNS1_25lookback_scan_determinismE0ELb0ES3_N6thrust23THRUST_200600_302600_NS6detail15normal_iteratorINS9_10device_ptrIiEEEESE_SE_iNS9_4plusIvEENS9_8equal_toIvEEiEE10hipError_tPvRmT2_T3_T4_T5_mT6_T7_P12ihipStream_tbENKUlT_T0_E_clISt17integral_constantIbLb0EESZ_EEDaSU_SV_EUlSU_E_NS1_11comp_targetILNS1_3genE0ELNS1_11target_archE4294967295ELNS1_3gpuE0ELNS1_3repE0EEENS1_30default_config_static_selectorELNS0_4arch9wavefront6targetE1EEEvT1_ ; -- Begin function _ZN7rocprim17ROCPRIM_400000_NS6detail17trampoline_kernelINS0_14default_configENS1_27scan_by_key_config_selectorIiiEEZZNS1_16scan_by_key_implILNS1_25lookback_scan_determinismE0ELb0ES3_N6thrust23THRUST_200600_302600_NS6detail15normal_iteratorINS9_10device_ptrIiEEEESE_SE_iNS9_4plusIvEENS9_8equal_toIvEEiEE10hipError_tPvRmT2_T3_T4_T5_mT6_T7_P12ihipStream_tbENKUlT_T0_E_clISt17integral_constantIbLb0EESZ_EEDaSU_SV_EUlSU_E_NS1_11comp_targetILNS1_3genE0ELNS1_11target_archE4294967295ELNS1_3gpuE0ELNS1_3repE0EEENS1_30default_config_static_selectorELNS0_4arch9wavefront6targetE1EEEvT1_
	.globl	_ZN7rocprim17ROCPRIM_400000_NS6detail17trampoline_kernelINS0_14default_configENS1_27scan_by_key_config_selectorIiiEEZZNS1_16scan_by_key_implILNS1_25lookback_scan_determinismE0ELb0ES3_N6thrust23THRUST_200600_302600_NS6detail15normal_iteratorINS9_10device_ptrIiEEEESE_SE_iNS9_4plusIvEENS9_8equal_toIvEEiEE10hipError_tPvRmT2_T3_T4_T5_mT6_T7_P12ihipStream_tbENKUlT_T0_E_clISt17integral_constantIbLb0EESZ_EEDaSU_SV_EUlSU_E_NS1_11comp_targetILNS1_3genE0ELNS1_11target_archE4294967295ELNS1_3gpuE0ELNS1_3repE0EEENS1_30default_config_static_selectorELNS0_4arch9wavefront6targetE1EEEvT1_
	.p2align	8
	.type	_ZN7rocprim17ROCPRIM_400000_NS6detail17trampoline_kernelINS0_14default_configENS1_27scan_by_key_config_selectorIiiEEZZNS1_16scan_by_key_implILNS1_25lookback_scan_determinismE0ELb0ES3_N6thrust23THRUST_200600_302600_NS6detail15normal_iteratorINS9_10device_ptrIiEEEESE_SE_iNS9_4plusIvEENS9_8equal_toIvEEiEE10hipError_tPvRmT2_T3_T4_T5_mT6_T7_P12ihipStream_tbENKUlT_T0_E_clISt17integral_constantIbLb0EESZ_EEDaSU_SV_EUlSU_E_NS1_11comp_targetILNS1_3genE0ELNS1_11target_archE4294967295ELNS1_3gpuE0ELNS1_3repE0EEENS1_30default_config_static_selectorELNS0_4arch9wavefront6targetE1EEEvT1_,@function
_ZN7rocprim17ROCPRIM_400000_NS6detail17trampoline_kernelINS0_14default_configENS1_27scan_by_key_config_selectorIiiEEZZNS1_16scan_by_key_implILNS1_25lookback_scan_determinismE0ELb0ES3_N6thrust23THRUST_200600_302600_NS6detail15normal_iteratorINS9_10device_ptrIiEEEESE_SE_iNS9_4plusIvEENS9_8equal_toIvEEiEE10hipError_tPvRmT2_T3_T4_T5_mT6_T7_P12ihipStream_tbENKUlT_T0_E_clISt17integral_constantIbLb0EESZ_EEDaSU_SV_EUlSU_E_NS1_11comp_targetILNS1_3genE0ELNS1_11target_archE4294967295ELNS1_3gpuE0ELNS1_3repE0EEENS1_30default_config_static_selectorELNS0_4arch9wavefront6targetE1EEEvT1_: ; @_ZN7rocprim17ROCPRIM_400000_NS6detail17trampoline_kernelINS0_14default_configENS1_27scan_by_key_config_selectorIiiEEZZNS1_16scan_by_key_implILNS1_25lookback_scan_determinismE0ELb0ES3_N6thrust23THRUST_200600_302600_NS6detail15normal_iteratorINS9_10device_ptrIiEEEESE_SE_iNS9_4plusIvEENS9_8equal_toIvEEiEE10hipError_tPvRmT2_T3_T4_T5_mT6_T7_P12ihipStream_tbENKUlT_T0_E_clISt17integral_constantIbLb0EESZ_EEDaSU_SV_EUlSU_E_NS1_11comp_targetILNS1_3genE0ELNS1_11target_archE4294967295ELNS1_3gpuE0ELNS1_3repE0EEENS1_30default_config_static_selectorELNS0_4arch9wavefront6targetE1EEEvT1_
; %bb.0:
	.section	.rodata,"a",@progbits
	.p2align	6, 0x0
	.amdhsa_kernel _ZN7rocprim17ROCPRIM_400000_NS6detail17trampoline_kernelINS0_14default_configENS1_27scan_by_key_config_selectorIiiEEZZNS1_16scan_by_key_implILNS1_25lookback_scan_determinismE0ELb0ES3_N6thrust23THRUST_200600_302600_NS6detail15normal_iteratorINS9_10device_ptrIiEEEESE_SE_iNS9_4plusIvEENS9_8equal_toIvEEiEE10hipError_tPvRmT2_T3_T4_T5_mT6_T7_P12ihipStream_tbENKUlT_T0_E_clISt17integral_constantIbLb0EESZ_EEDaSU_SV_EUlSU_E_NS1_11comp_targetILNS1_3genE0ELNS1_11target_archE4294967295ELNS1_3gpuE0ELNS1_3repE0EEENS1_30default_config_static_selectorELNS0_4arch9wavefront6targetE1EEEvT1_
		.amdhsa_group_segment_fixed_size 0
		.amdhsa_private_segment_fixed_size 0
		.amdhsa_kernarg_size 112
		.amdhsa_user_sgpr_count 6
		.amdhsa_user_sgpr_private_segment_buffer 1
		.amdhsa_user_sgpr_dispatch_ptr 0
		.amdhsa_user_sgpr_queue_ptr 0
		.amdhsa_user_sgpr_kernarg_segment_ptr 1
		.amdhsa_user_sgpr_dispatch_id 0
		.amdhsa_user_sgpr_flat_scratch_init 0
		.amdhsa_user_sgpr_kernarg_preload_length 0
		.amdhsa_user_sgpr_kernarg_preload_offset 0
		.amdhsa_user_sgpr_private_segment_size 0
		.amdhsa_uses_dynamic_stack 0
		.amdhsa_system_sgpr_private_segment_wavefront_offset 0
		.amdhsa_system_sgpr_workgroup_id_x 1
		.amdhsa_system_sgpr_workgroup_id_y 0
		.amdhsa_system_sgpr_workgroup_id_z 0
		.amdhsa_system_sgpr_workgroup_info 0
		.amdhsa_system_vgpr_workitem_id 0
		.amdhsa_next_free_vgpr 1
		.amdhsa_next_free_sgpr 0
		.amdhsa_accum_offset 4
		.amdhsa_reserve_vcc 0
		.amdhsa_reserve_flat_scratch 0
		.amdhsa_float_round_mode_32 0
		.amdhsa_float_round_mode_16_64 0
		.amdhsa_float_denorm_mode_32 3
		.amdhsa_float_denorm_mode_16_64 3
		.amdhsa_dx10_clamp 1
		.amdhsa_ieee_mode 1
		.amdhsa_fp16_overflow 0
		.amdhsa_tg_split 0
		.amdhsa_exception_fp_ieee_invalid_op 0
		.amdhsa_exception_fp_denorm_src 0
		.amdhsa_exception_fp_ieee_div_zero 0
		.amdhsa_exception_fp_ieee_overflow 0
		.amdhsa_exception_fp_ieee_underflow 0
		.amdhsa_exception_fp_ieee_inexact 0
		.amdhsa_exception_int_div_zero 0
	.end_amdhsa_kernel
	.section	.text._ZN7rocprim17ROCPRIM_400000_NS6detail17trampoline_kernelINS0_14default_configENS1_27scan_by_key_config_selectorIiiEEZZNS1_16scan_by_key_implILNS1_25lookback_scan_determinismE0ELb0ES3_N6thrust23THRUST_200600_302600_NS6detail15normal_iteratorINS9_10device_ptrIiEEEESE_SE_iNS9_4plusIvEENS9_8equal_toIvEEiEE10hipError_tPvRmT2_T3_T4_T5_mT6_T7_P12ihipStream_tbENKUlT_T0_E_clISt17integral_constantIbLb0EESZ_EEDaSU_SV_EUlSU_E_NS1_11comp_targetILNS1_3genE0ELNS1_11target_archE4294967295ELNS1_3gpuE0ELNS1_3repE0EEENS1_30default_config_static_selectorELNS0_4arch9wavefront6targetE1EEEvT1_,"axG",@progbits,_ZN7rocprim17ROCPRIM_400000_NS6detail17trampoline_kernelINS0_14default_configENS1_27scan_by_key_config_selectorIiiEEZZNS1_16scan_by_key_implILNS1_25lookback_scan_determinismE0ELb0ES3_N6thrust23THRUST_200600_302600_NS6detail15normal_iteratorINS9_10device_ptrIiEEEESE_SE_iNS9_4plusIvEENS9_8equal_toIvEEiEE10hipError_tPvRmT2_T3_T4_T5_mT6_T7_P12ihipStream_tbENKUlT_T0_E_clISt17integral_constantIbLb0EESZ_EEDaSU_SV_EUlSU_E_NS1_11comp_targetILNS1_3genE0ELNS1_11target_archE4294967295ELNS1_3gpuE0ELNS1_3repE0EEENS1_30default_config_static_selectorELNS0_4arch9wavefront6targetE1EEEvT1_,comdat
.Lfunc_end122:
	.size	_ZN7rocprim17ROCPRIM_400000_NS6detail17trampoline_kernelINS0_14default_configENS1_27scan_by_key_config_selectorIiiEEZZNS1_16scan_by_key_implILNS1_25lookback_scan_determinismE0ELb0ES3_N6thrust23THRUST_200600_302600_NS6detail15normal_iteratorINS9_10device_ptrIiEEEESE_SE_iNS9_4plusIvEENS9_8equal_toIvEEiEE10hipError_tPvRmT2_T3_T4_T5_mT6_T7_P12ihipStream_tbENKUlT_T0_E_clISt17integral_constantIbLb0EESZ_EEDaSU_SV_EUlSU_E_NS1_11comp_targetILNS1_3genE0ELNS1_11target_archE4294967295ELNS1_3gpuE0ELNS1_3repE0EEENS1_30default_config_static_selectorELNS0_4arch9wavefront6targetE1EEEvT1_, .Lfunc_end122-_ZN7rocprim17ROCPRIM_400000_NS6detail17trampoline_kernelINS0_14default_configENS1_27scan_by_key_config_selectorIiiEEZZNS1_16scan_by_key_implILNS1_25lookback_scan_determinismE0ELb0ES3_N6thrust23THRUST_200600_302600_NS6detail15normal_iteratorINS9_10device_ptrIiEEEESE_SE_iNS9_4plusIvEENS9_8equal_toIvEEiEE10hipError_tPvRmT2_T3_T4_T5_mT6_T7_P12ihipStream_tbENKUlT_T0_E_clISt17integral_constantIbLb0EESZ_EEDaSU_SV_EUlSU_E_NS1_11comp_targetILNS1_3genE0ELNS1_11target_archE4294967295ELNS1_3gpuE0ELNS1_3repE0EEENS1_30default_config_static_selectorELNS0_4arch9wavefront6targetE1EEEvT1_
                                        ; -- End function
	.section	.AMDGPU.csdata,"",@progbits
; Kernel info:
; codeLenInByte = 0
; NumSgprs: 4
; NumVgprs: 0
; NumAgprs: 0
; TotalNumVgprs: 0
; ScratchSize: 0
; MemoryBound: 0
; FloatMode: 240
; IeeeMode: 1
; LDSByteSize: 0 bytes/workgroup (compile time only)
; SGPRBlocks: 0
; VGPRBlocks: 0
; NumSGPRsForWavesPerEU: 4
; NumVGPRsForWavesPerEU: 1
; AccumOffset: 4
; Occupancy: 8
; WaveLimiterHint : 0
; COMPUTE_PGM_RSRC2:SCRATCH_EN: 0
; COMPUTE_PGM_RSRC2:USER_SGPR: 6
; COMPUTE_PGM_RSRC2:TRAP_HANDLER: 0
; COMPUTE_PGM_RSRC2:TGID_X_EN: 1
; COMPUTE_PGM_RSRC2:TGID_Y_EN: 0
; COMPUTE_PGM_RSRC2:TGID_Z_EN: 0
; COMPUTE_PGM_RSRC2:TIDIG_COMP_CNT: 0
; COMPUTE_PGM_RSRC3_GFX90A:ACCUM_OFFSET: 0
; COMPUTE_PGM_RSRC3_GFX90A:TG_SPLIT: 0
	.section	.text._ZN7rocprim17ROCPRIM_400000_NS6detail17trampoline_kernelINS0_14default_configENS1_27scan_by_key_config_selectorIiiEEZZNS1_16scan_by_key_implILNS1_25lookback_scan_determinismE0ELb0ES3_N6thrust23THRUST_200600_302600_NS6detail15normal_iteratorINS9_10device_ptrIiEEEESE_SE_iNS9_4plusIvEENS9_8equal_toIvEEiEE10hipError_tPvRmT2_T3_T4_T5_mT6_T7_P12ihipStream_tbENKUlT_T0_E_clISt17integral_constantIbLb0EESZ_EEDaSU_SV_EUlSU_E_NS1_11comp_targetILNS1_3genE10ELNS1_11target_archE1201ELNS1_3gpuE5ELNS1_3repE0EEENS1_30default_config_static_selectorELNS0_4arch9wavefront6targetE1EEEvT1_,"axG",@progbits,_ZN7rocprim17ROCPRIM_400000_NS6detail17trampoline_kernelINS0_14default_configENS1_27scan_by_key_config_selectorIiiEEZZNS1_16scan_by_key_implILNS1_25lookback_scan_determinismE0ELb0ES3_N6thrust23THRUST_200600_302600_NS6detail15normal_iteratorINS9_10device_ptrIiEEEESE_SE_iNS9_4plusIvEENS9_8equal_toIvEEiEE10hipError_tPvRmT2_T3_T4_T5_mT6_T7_P12ihipStream_tbENKUlT_T0_E_clISt17integral_constantIbLb0EESZ_EEDaSU_SV_EUlSU_E_NS1_11comp_targetILNS1_3genE10ELNS1_11target_archE1201ELNS1_3gpuE5ELNS1_3repE0EEENS1_30default_config_static_selectorELNS0_4arch9wavefront6targetE1EEEvT1_,comdat
	.protected	_ZN7rocprim17ROCPRIM_400000_NS6detail17trampoline_kernelINS0_14default_configENS1_27scan_by_key_config_selectorIiiEEZZNS1_16scan_by_key_implILNS1_25lookback_scan_determinismE0ELb0ES3_N6thrust23THRUST_200600_302600_NS6detail15normal_iteratorINS9_10device_ptrIiEEEESE_SE_iNS9_4plusIvEENS9_8equal_toIvEEiEE10hipError_tPvRmT2_T3_T4_T5_mT6_T7_P12ihipStream_tbENKUlT_T0_E_clISt17integral_constantIbLb0EESZ_EEDaSU_SV_EUlSU_E_NS1_11comp_targetILNS1_3genE10ELNS1_11target_archE1201ELNS1_3gpuE5ELNS1_3repE0EEENS1_30default_config_static_selectorELNS0_4arch9wavefront6targetE1EEEvT1_ ; -- Begin function _ZN7rocprim17ROCPRIM_400000_NS6detail17trampoline_kernelINS0_14default_configENS1_27scan_by_key_config_selectorIiiEEZZNS1_16scan_by_key_implILNS1_25lookback_scan_determinismE0ELb0ES3_N6thrust23THRUST_200600_302600_NS6detail15normal_iteratorINS9_10device_ptrIiEEEESE_SE_iNS9_4plusIvEENS9_8equal_toIvEEiEE10hipError_tPvRmT2_T3_T4_T5_mT6_T7_P12ihipStream_tbENKUlT_T0_E_clISt17integral_constantIbLb0EESZ_EEDaSU_SV_EUlSU_E_NS1_11comp_targetILNS1_3genE10ELNS1_11target_archE1201ELNS1_3gpuE5ELNS1_3repE0EEENS1_30default_config_static_selectorELNS0_4arch9wavefront6targetE1EEEvT1_
	.globl	_ZN7rocprim17ROCPRIM_400000_NS6detail17trampoline_kernelINS0_14default_configENS1_27scan_by_key_config_selectorIiiEEZZNS1_16scan_by_key_implILNS1_25lookback_scan_determinismE0ELb0ES3_N6thrust23THRUST_200600_302600_NS6detail15normal_iteratorINS9_10device_ptrIiEEEESE_SE_iNS9_4plusIvEENS9_8equal_toIvEEiEE10hipError_tPvRmT2_T3_T4_T5_mT6_T7_P12ihipStream_tbENKUlT_T0_E_clISt17integral_constantIbLb0EESZ_EEDaSU_SV_EUlSU_E_NS1_11comp_targetILNS1_3genE10ELNS1_11target_archE1201ELNS1_3gpuE5ELNS1_3repE0EEENS1_30default_config_static_selectorELNS0_4arch9wavefront6targetE1EEEvT1_
	.p2align	8
	.type	_ZN7rocprim17ROCPRIM_400000_NS6detail17trampoline_kernelINS0_14default_configENS1_27scan_by_key_config_selectorIiiEEZZNS1_16scan_by_key_implILNS1_25lookback_scan_determinismE0ELb0ES3_N6thrust23THRUST_200600_302600_NS6detail15normal_iteratorINS9_10device_ptrIiEEEESE_SE_iNS9_4plusIvEENS9_8equal_toIvEEiEE10hipError_tPvRmT2_T3_T4_T5_mT6_T7_P12ihipStream_tbENKUlT_T0_E_clISt17integral_constantIbLb0EESZ_EEDaSU_SV_EUlSU_E_NS1_11comp_targetILNS1_3genE10ELNS1_11target_archE1201ELNS1_3gpuE5ELNS1_3repE0EEENS1_30default_config_static_selectorELNS0_4arch9wavefront6targetE1EEEvT1_,@function
_ZN7rocprim17ROCPRIM_400000_NS6detail17trampoline_kernelINS0_14default_configENS1_27scan_by_key_config_selectorIiiEEZZNS1_16scan_by_key_implILNS1_25lookback_scan_determinismE0ELb0ES3_N6thrust23THRUST_200600_302600_NS6detail15normal_iteratorINS9_10device_ptrIiEEEESE_SE_iNS9_4plusIvEENS9_8equal_toIvEEiEE10hipError_tPvRmT2_T3_T4_T5_mT6_T7_P12ihipStream_tbENKUlT_T0_E_clISt17integral_constantIbLb0EESZ_EEDaSU_SV_EUlSU_E_NS1_11comp_targetILNS1_3genE10ELNS1_11target_archE1201ELNS1_3gpuE5ELNS1_3repE0EEENS1_30default_config_static_selectorELNS0_4arch9wavefront6targetE1EEEvT1_: ; @_ZN7rocprim17ROCPRIM_400000_NS6detail17trampoline_kernelINS0_14default_configENS1_27scan_by_key_config_selectorIiiEEZZNS1_16scan_by_key_implILNS1_25lookback_scan_determinismE0ELb0ES3_N6thrust23THRUST_200600_302600_NS6detail15normal_iteratorINS9_10device_ptrIiEEEESE_SE_iNS9_4plusIvEENS9_8equal_toIvEEiEE10hipError_tPvRmT2_T3_T4_T5_mT6_T7_P12ihipStream_tbENKUlT_T0_E_clISt17integral_constantIbLb0EESZ_EEDaSU_SV_EUlSU_E_NS1_11comp_targetILNS1_3genE10ELNS1_11target_archE1201ELNS1_3gpuE5ELNS1_3repE0EEENS1_30default_config_static_selectorELNS0_4arch9wavefront6targetE1EEEvT1_
; %bb.0:
	.section	.rodata,"a",@progbits
	.p2align	6, 0x0
	.amdhsa_kernel _ZN7rocprim17ROCPRIM_400000_NS6detail17trampoline_kernelINS0_14default_configENS1_27scan_by_key_config_selectorIiiEEZZNS1_16scan_by_key_implILNS1_25lookback_scan_determinismE0ELb0ES3_N6thrust23THRUST_200600_302600_NS6detail15normal_iteratorINS9_10device_ptrIiEEEESE_SE_iNS9_4plusIvEENS9_8equal_toIvEEiEE10hipError_tPvRmT2_T3_T4_T5_mT6_T7_P12ihipStream_tbENKUlT_T0_E_clISt17integral_constantIbLb0EESZ_EEDaSU_SV_EUlSU_E_NS1_11comp_targetILNS1_3genE10ELNS1_11target_archE1201ELNS1_3gpuE5ELNS1_3repE0EEENS1_30default_config_static_selectorELNS0_4arch9wavefront6targetE1EEEvT1_
		.amdhsa_group_segment_fixed_size 0
		.amdhsa_private_segment_fixed_size 0
		.amdhsa_kernarg_size 112
		.amdhsa_user_sgpr_count 6
		.amdhsa_user_sgpr_private_segment_buffer 1
		.amdhsa_user_sgpr_dispatch_ptr 0
		.amdhsa_user_sgpr_queue_ptr 0
		.amdhsa_user_sgpr_kernarg_segment_ptr 1
		.amdhsa_user_sgpr_dispatch_id 0
		.amdhsa_user_sgpr_flat_scratch_init 0
		.amdhsa_user_sgpr_kernarg_preload_length 0
		.amdhsa_user_sgpr_kernarg_preload_offset 0
		.amdhsa_user_sgpr_private_segment_size 0
		.amdhsa_uses_dynamic_stack 0
		.amdhsa_system_sgpr_private_segment_wavefront_offset 0
		.amdhsa_system_sgpr_workgroup_id_x 1
		.amdhsa_system_sgpr_workgroup_id_y 0
		.amdhsa_system_sgpr_workgroup_id_z 0
		.amdhsa_system_sgpr_workgroup_info 0
		.amdhsa_system_vgpr_workitem_id 0
		.amdhsa_next_free_vgpr 1
		.amdhsa_next_free_sgpr 0
		.amdhsa_accum_offset 4
		.amdhsa_reserve_vcc 0
		.amdhsa_reserve_flat_scratch 0
		.amdhsa_float_round_mode_32 0
		.amdhsa_float_round_mode_16_64 0
		.amdhsa_float_denorm_mode_32 3
		.amdhsa_float_denorm_mode_16_64 3
		.amdhsa_dx10_clamp 1
		.amdhsa_ieee_mode 1
		.amdhsa_fp16_overflow 0
		.amdhsa_tg_split 0
		.amdhsa_exception_fp_ieee_invalid_op 0
		.amdhsa_exception_fp_denorm_src 0
		.amdhsa_exception_fp_ieee_div_zero 0
		.amdhsa_exception_fp_ieee_overflow 0
		.amdhsa_exception_fp_ieee_underflow 0
		.amdhsa_exception_fp_ieee_inexact 0
		.amdhsa_exception_int_div_zero 0
	.end_amdhsa_kernel
	.section	.text._ZN7rocprim17ROCPRIM_400000_NS6detail17trampoline_kernelINS0_14default_configENS1_27scan_by_key_config_selectorIiiEEZZNS1_16scan_by_key_implILNS1_25lookback_scan_determinismE0ELb0ES3_N6thrust23THRUST_200600_302600_NS6detail15normal_iteratorINS9_10device_ptrIiEEEESE_SE_iNS9_4plusIvEENS9_8equal_toIvEEiEE10hipError_tPvRmT2_T3_T4_T5_mT6_T7_P12ihipStream_tbENKUlT_T0_E_clISt17integral_constantIbLb0EESZ_EEDaSU_SV_EUlSU_E_NS1_11comp_targetILNS1_3genE10ELNS1_11target_archE1201ELNS1_3gpuE5ELNS1_3repE0EEENS1_30default_config_static_selectorELNS0_4arch9wavefront6targetE1EEEvT1_,"axG",@progbits,_ZN7rocprim17ROCPRIM_400000_NS6detail17trampoline_kernelINS0_14default_configENS1_27scan_by_key_config_selectorIiiEEZZNS1_16scan_by_key_implILNS1_25lookback_scan_determinismE0ELb0ES3_N6thrust23THRUST_200600_302600_NS6detail15normal_iteratorINS9_10device_ptrIiEEEESE_SE_iNS9_4plusIvEENS9_8equal_toIvEEiEE10hipError_tPvRmT2_T3_T4_T5_mT6_T7_P12ihipStream_tbENKUlT_T0_E_clISt17integral_constantIbLb0EESZ_EEDaSU_SV_EUlSU_E_NS1_11comp_targetILNS1_3genE10ELNS1_11target_archE1201ELNS1_3gpuE5ELNS1_3repE0EEENS1_30default_config_static_selectorELNS0_4arch9wavefront6targetE1EEEvT1_,comdat
.Lfunc_end123:
	.size	_ZN7rocprim17ROCPRIM_400000_NS6detail17trampoline_kernelINS0_14default_configENS1_27scan_by_key_config_selectorIiiEEZZNS1_16scan_by_key_implILNS1_25lookback_scan_determinismE0ELb0ES3_N6thrust23THRUST_200600_302600_NS6detail15normal_iteratorINS9_10device_ptrIiEEEESE_SE_iNS9_4plusIvEENS9_8equal_toIvEEiEE10hipError_tPvRmT2_T3_T4_T5_mT6_T7_P12ihipStream_tbENKUlT_T0_E_clISt17integral_constantIbLb0EESZ_EEDaSU_SV_EUlSU_E_NS1_11comp_targetILNS1_3genE10ELNS1_11target_archE1201ELNS1_3gpuE5ELNS1_3repE0EEENS1_30default_config_static_selectorELNS0_4arch9wavefront6targetE1EEEvT1_, .Lfunc_end123-_ZN7rocprim17ROCPRIM_400000_NS6detail17trampoline_kernelINS0_14default_configENS1_27scan_by_key_config_selectorIiiEEZZNS1_16scan_by_key_implILNS1_25lookback_scan_determinismE0ELb0ES3_N6thrust23THRUST_200600_302600_NS6detail15normal_iteratorINS9_10device_ptrIiEEEESE_SE_iNS9_4plusIvEENS9_8equal_toIvEEiEE10hipError_tPvRmT2_T3_T4_T5_mT6_T7_P12ihipStream_tbENKUlT_T0_E_clISt17integral_constantIbLb0EESZ_EEDaSU_SV_EUlSU_E_NS1_11comp_targetILNS1_3genE10ELNS1_11target_archE1201ELNS1_3gpuE5ELNS1_3repE0EEENS1_30default_config_static_selectorELNS0_4arch9wavefront6targetE1EEEvT1_
                                        ; -- End function
	.section	.AMDGPU.csdata,"",@progbits
; Kernel info:
; codeLenInByte = 0
; NumSgprs: 4
; NumVgprs: 0
; NumAgprs: 0
; TotalNumVgprs: 0
; ScratchSize: 0
; MemoryBound: 0
; FloatMode: 240
; IeeeMode: 1
; LDSByteSize: 0 bytes/workgroup (compile time only)
; SGPRBlocks: 0
; VGPRBlocks: 0
; NumSGPRsForWavesPerEU: 4
; NumVGPRsForWavesPerEU: 1
; AccumOffset: 4
; Occupancy: 8
; WaveLimiterHint : 0
; COMPUTE_PGM_RSRC2:SCRATCH_EN: 0
; COMPUTE_PGM_RSRC2:USER_SGPR: 6
; COMPUTE_PGM_RSRC2:TRAP_HANDLER: 0
; COMPUTE_PGM_RSRC2:TGID_X_EN: 1
; COMPUTE_PGM_RSRC2:TGID_Y_EN: 0
; COMPUTE_PGM_RSRC2:TGID_Z_EN: 0
; COMPUTE_PGM_RSRC2:TIDIG_COMP_CNT: 0
; COMPUTE_PGM_RSRC3_GFX90A:ACCUM_OFFSET: 0
; COMPUTE_PGM_RSRC3_GFX90A:TG_SPLIT: 0
	.section	.text._ZN7rocprim17ROCPRIM_400000_NS6detail17trampoline_kernelINS0_14default_configENS1_27scan_by_key_config_selectorIiiEEZZNS1_16scan_by_key_implILNS1_25lookback_scan_determinismE0ELb0ES3_N6thrust23THRUST_200600_302600_NS6detail15normal_iteratorINS9_10device_ptrIiEEEESE_SE_iNS9_4plusIvEENS9_8equal_toIvEEiEE10hipError_tPvRmT2_T3_T4_T5_mT6_T7_P12ihipStream_tbENKUlT_T0_E_clISt17integral_constantIbLb0EESZ_EEDaSU_SV_EUlSU_E_NS1_11comp_targetILNS1_3genE5ELNS1_11target_archE942ELNS1_3gpuE9ELNS1_3repE0EEENS1_30default_config_static_selectorELNS0_4arch9wavefront6targetE1EEEvT1_,"axG",@progbits,_ZN7rocprim17ROCPRIM_400000_NS6detail17trampoline_kernelINS0_14default_configENS1_27scan_by_key_config_selectorIiiEEZZNS1_16scan_by_key_implILNS1_25lookback_scan_determinismE0ELb0ES3_N6thrust23THRUST_200600_302600_NS6detail15normal_iteratorINS9_10device_ptrIiEEEESE_SE_iNS9_4plusIvEENS9_8equal_toIvEEiEE10hipError_tPvRmT2_T3_T4_T5_mT6_T7_P12ihipStream_tbENKUlT_T0_E_clISt17integral_constantIbLb0EESZ_EEDaSU_SV_EUlSU_E_NS1_11comp_targetILNS1_3genE5ELNS1_11target_archE942ELNS1_3gpuE9ELNS1_3repE0EEENS1_30default_config_static_selectorELNS0_4arch9wavefront6targetE1EEEvT1_,comdat
	.protected	_ZN7rocprim17ROCPRIM_400000_NS6detail17trampoline_kernelINS0_14default_configENS1_27scan_by_key_config_selectorIiiEEZZNS1_16scan_by_key_implILNS1_25lookback_scan_determinismE0ELb0ES3_N6thrust23THRUST_200600_302600_NS6detail15normal_iteratorINS9_10device_ptrIiEEEESE_SE_iNS9_4plusIvEENS9_8equal_toIvEEiEE10hipError_tPvRmT2_T3_T4_T5_mT6_T7_P12ihipStream_tbENKUlT_T0_E_clISt17integral_constantIbLb0EESZ_EEDaSU_SV_EUlSU_E_NS1_11comp_targetILNS1_3genE5ELNS1_11target_archE942ELNS1_3gpuE9ELNS1_3repE0EEENS1_30default_config_static_selectorELNS0_4arch9wavefront6targetE1EEEvT1_ ; -- Begin function _ZN7rocprim17ROCPRIM_400000_NS6detail17trampoline_kernelINS0_14default_configENS1_27scan_by_key_config_selectorIiiEEZZNS1_16scan_by_key_implILNS1_25lookback_scan_determinismE0ELb0ES3_N6thrust23THRUST_200600_302600_NS6detail15normal_iteratorINS9_10device_ptrIiEEEESE_SE_iNS9_4plusIvEENS9_8equal_toIvEEiEE10hipError_tPvRmT2_T3_T4_T5_mT6_T7_P12ihipStream_tbENKUlT_T0_E_clISt17integral_constantIbLb0EESZ_EEDaSU_SV_EUlSU_E_NS1_11comp_targetILNS1_3genE5ELNS1_11target_archE942ELNS1_3gpuE9ELNS1_3repE0EEENS1_30default_config_static_selectorELNS0_4arch9wavefront6targetE1EEEvT1_
	.globl	_ZN7rocprim17ROCPRIM_400000_NS6detail17trampoline_kernelINS0_14default_configENS1_27scan_by_key_config_selectorIiiEEZZNS1_16scan_by_key_implILNS1_25lookback_scan_determinismE0ELb0ES3_N6thrust23THRUST_200600_302600_NS6detail15normal_iteratorINS9_10device_ptrIiEEEESE_SE_iNS9_4plusIvEENS9_8equal_toIvEEiEE10hipError_tPvRmT2_T3_T4_T5_mT6_T7_P12ihipStream_tbENKUlT_T0_E_clISt17integral_constantIbLb0EESZ_EEDaSU_SV_EUlSU_E_NS1_11comp_targetILNS1_3genE5ELNS1_11target_archE942ELNS1_3gpuE9ELNS1_3repE0EEENS1_30default_config_static_selectorELNS0_4arch9wavefront6targetE1EEEvT1_
	.p2align	8
	.type	_ZN7rocprim17ROCPRIM_400000_NS6detail17trampoline_kernelINS0_14default_configENS1_27scan_by_key_config_selectorIiiEEZZNS1_16scan_by_key_implILNS1_25lookback_scan_determinismE0ELb0ES3_N6thrust23THRUST_200600_302600_NS6detail15normal_iteratorINS9_10device_ptrIiEEEESE_SE_iNS9_4plusIvEENS9_8equal_toIvEEiEE10hipError_tPvRmT2_T3_T4_T5_mT6_T7_P12ihipStream_tbENKUlT_T0_E_clISt17integral_constantIbLb0EESZ_EEDaSU_SV_EUlSU_E_NS1_11comp_targetILNS1_3genE5ELNS1_11target_archE942ELNS1_3gpuE9ELNS1_3repE0EEENS1_30default_config_static_selectorELNS0_4arch9wavefront6targetE1EEEvT1_,@function
_ZN7rocprim17ROCPRIM_400000_NS6detail17trampoline_kernelINS0_14default_configENS1_27scan_by_key_config_selectorIiiEEZZNS1_16scan_by_key_implILNS1_25lookback_scan_determinismE0ELb0ES3_N6thrust23THRUST_200600_302600_NS6detail15normal_iteratorINS9_10device_ptrIiEEEESE_SE_iNS9_4plusIvEENS9_8equal_toIvEEiEE10hipError_tPvRmT2_T3_T4_T5_mT6_T7_P12ihipStream_tbENKUlT_T0_E_clISt17integral_constantIbLb0EESZ_EEDaSU_SV_EUlSU_E_NS1_11comp_targetILNS1_3genE5ELNS1_11target_archE942ELNS1_3gpuE9ELNS1_3repE0EEENS1_30default_config_static_selectorELNS0_4arch9wavefront6targetE1EEEvT1_: ; @_ZN7rocprim17ROCPRIM_400000_NS6detail17trampoline_kernelINS0_14default_configENS1_27scan_by_key_config_selectorIiiEEZZNS1_16scan_by_key_implILNS1_25lookback_scan_determinismE0ELb0ES3_N6thrust23THRUST_200600_302600_NS6detail15normal_iteratorINS9_10device_ptrIiEEEESE_SE_iNS9_4plusIvEENS9_8equal_toIvEEiEE10hipError_tPvRmT2_T3_T4_T5_mT6_T7_P12ihipStream_tbENKUlT_T0_E_clISt17integral_constantIbLb0EESZ_EEDaSU_SV_EUlSU_E_NS1_11comp_targetILNS1_3genE5ELNS1_11target_archE942ELNS1_3gpuE9ELNS1_3repE0EEENS1_30default_config_static_selectorELNS0_4arch9wavefront6targetE1EEEvT1_
; %bb.0:
	.section	.rodata,"a",@progbits
	.p2align	6, 0x0
	.amdhsa_kernel _ZN7rocprim17ROCPRIM_400000_NS6detail17trampoline_kernelINS0_14default_configENS1_27scan_by_key_config_selectorIiiEEZZNS1_16scan_by_key_implILNS1_25lookback_scan_determinismE0ELb0ES3_N6thrust23THRUST_200600_302600_NS6detail15normal_iteratorINS9_10device_ptrIiEEEESE_SE_iNS9_4plusIvEENS9_8equal_toIvEEiEE10hipError_tPvRmT2_T3_T4_T5_mT6_T7_P12ihipStream_tbENKUlT_T0_E_clISt17integral_constantIbLb0EESZ_EEDaSU_SV_EUlSU_E_NS1_11comp_targetILNS1_3genE5ELNS1_11target_archE942ELNS1_3gpuE9ELNS1_3repE0EEENS1_30default_config_static_selectorELNS0_4arch9wavefront6targetE1EEEvT1_
		.amdhsa_group_segment_fixed_size 0
		.amdhsa_private_segment_fixed_size 0
		.amdhsa_kernarg_size 112
		.amdhsa_user_sgpr_count 6
		.amdhsa_user_sgpr_private_segment_buffer 1
		.amdhsa_user_sgpr_dispatch_ptr 0
		.amdhsa_user_sgpr_queue_ptr 0
		.amdhsa_user_sgpr_kernarg_segment_ptr 1
		.amdhsa_user_sgpr_dispatch_id 0
		.amdhsa_user_sgpr_flat_scratch_init 0
		.amdhsa_user_sgpr_kernarg_preload_length 0
		.amdhsa_user_sgpr_kernarg_preload_offset 0
		.amdhsa_user_sgpr_private_segment_size 0
		.amdhsa_uses_dynamic_stack 0
		.amdhsa_system_sgpr_private_segment_wavefront_offset 0
		.amdhsa_system_sgpr_workgroup_id_x 1
		.amdhsa_system_sgpr_workgroup_id_y 0
		.amdhsa_system_sgpr_workgroup_id_z 0
		.amdhsa_system_sgpr_workgroup_info 0
		.amdhsa_system_vgpr_workitem_id 0
		.amdhsa_next_free_vgpr 1
		.amdhsa_next_free_sgpr 0
		.amdhsa_accum_offset 4
		.amdhsa_reserve_vcc 0
		.amdhsa_reserve_flat_scratch 0
		.amdhsa_float_round_mode_32 0
		.amdhsa_float_round_mode_16_64 0
		.amdhsa_float_denorm_mode_32 3
		.amdhsa_float_denorm_mode_16_64 3
		.amdhsa_dx10_clamp 1
		.amdhsa_ieee_mode 1
		.amdhsa_fp16_overflow 0
		.amdhsa_tg_split 0
		.amdhsa_exception_fp_ieee_invalid_op 0
		.amdhsa_exception_fp_denorm_src 0
		.amdhsa_exception_fp_ieee_div_zero 0
		.amdhsa_exception_fp_ieee_overflow 0
		.amdhsa_exception_fp_ieee_underflow 0
		.amdhsa_exception_fp_ieee_inexact 0
		.amdhsa_exception_int_div_zero 0
	.end_amdhsa_kernel
	.section	.text._ZN7rocprim17ROCPRIM_400000_NS6detail17trampoline_kernelINS0_14default_configENS1_27scan_by_key_config_selectorIiiEEZZNS1_16scan_by_key_implILNS1_25lookback_scan_determinismE0ELb0ES3_N6thrust23THRUST_200600_302600_NS6detail15normal_iteratorINS9_10device_ptrIiEEEESE_SE_iNS9_4plusIvEENS9_8equal_toIvEEiEE10hipError_tPvRmT2_T3_T4_T5_mT6_T7_P12ihipStream_tbENKUlT_T0_E_clISt17integral_constantIbLb0EESZ_EEDaSU_SV_EUlSU_E_NS1_11comp_targetILNS1_3genE5ELNS1_11target_archE942ELNS1_3gpuE9ELNS1_3repE0EEENS1_30default_config_static_selectorELNS0_4arch9wavefront6targetE1EEEvT1_,"axG",@progbits,_ZN7rocprim17ROCPRIM_400000_NS6detail17trampoline_kernelINS0_14default_configENS1_27scan_by_key_config_selectorIiiEEZZNS1_16scan_by_key_implILNS1_25lookback_scan_determinismE0ELb0ES3_N6thrust23THRUST_200600_302600_NS6detail15normal_iteratorINS9_10device_ptrIiEEEESE_SE_iNS9_4plusIvEENS9_8equal_toIvEEiEE10hipError_tPvRmT2_T3_T4_T5_mT6_T7_P12ihipStream_tbENKUlT_T0_E_clISt17integral_constantIbLb0EESZ_EEDaSU_SV_EUlSU_E_NS1_11comp_targetILNS1_3genE5ELNS1_11target_archE942ELNS1_3gpuE9ELNS1_3repE0EEENS1_30default_config_static_selectorELNS0_4arch9wavefront6targetE1EEEvT1_,comdat
.Lfunc_end124:
	.size	_ZN7rocprim17ROCPRIM_400000_NS6detail17trampoline_kernelINS0_14default_configENS1_27scan_by_key_config_selectorIiiEEZZNS1_16scan_by_key_implILNS1_25lookback_scan_determinismE0ELb0ES3_N6thrust23THRUST_200600_302600_NS6detail15normal_iteratorINS9_10device_ptrIiEEEESE_SE_iNS9_4plusIvEENS9_8equal_toIvEEiEE10hipError_tPvRmT2_T3_T4_T5_mT6_T7_P12ihipStream_tbENKUlT_T0_E_clISt17integral_constantIbLb0EESZ_EEDaSU_SV_EUlSU_E_NS1_11comp_targetILNS1_3genE5ELNS1_11target_archE942ELNS1_3gpuE9ELNS1_3repE0EEENS1_30default_config_static_selectorELNS0_4arch9wavefront6targetE1EEEvT1_, .Lfunc_end124-_ZN7rocprim17ROCPRIM_400000_NS6detail17trampoline_kernelINS0_14default_configENS1_27scan_by_key_config_selectorIiiEEZZNS1_16scan_by_key_implILNS1_25lookback_scan_determinismE0ELb0ES3_N6thrust23THRUST_200600_302600_NS6detail15normal_iteratorINS9_10device_ptrIiEEEESE_SE_iNS9_4plusIvEENS9_8equal_toIvEEiEE10hipError_tPvRmT2_T3_T4_T5_mT6_T7_P12ihipStream_tbENKUlT_T0_E_clISt17integral_constantIbLb0EESZ_EEDaSU_SV_EUlSU_E_NS1_11comp_targetILNS1_3genE5ELNS1_11target_archE942ELNS1_3gpuE9ELNS1_3repE0EEENS1_30default_config_static_selectorELNS0_4arch9wavefront6targetE1EEEvT1_
                                        ; -- End function
	.section	.AMDGPU.csdata,"",@progbits
; Kernel info:
; codeLenInByte = 0
; NumSgprs: 4
; NumVgprs: 0
; NumAgprs: 0
; TotalNumVgprs: 0
; ScratchSize: 0
; MemoryBound: 0
; FloatMode: 240
; IeeeMode: 1
; LDSByteSize: 0 bytes/workgroup (compile time only)
; SGPRBlocks: 0
; VGPRBlocks: 0
; NumSGPRsForWavesPerEU: 4
; NumVGPRsForWavesPerEU: 1
; AccumOffset: 4
; Occupancy: 8
; WaveLimiterHint : 0
; COMPUTE_PGM_RSRC2:SCRATCH_EN: 0
; COMPUTE_PGM_RSRC2:USER_SGPR: 6
; COMPUTE_PGM_RSRC2:TRAP_HANDLER: 0
; COMPUTE_PGM_RSRC2:TGID_X_EN: 1
; COMPUTE_PGM_RSRC2:TGID_Y_EN: 0
; COMPUTE_PGM_RSRC2:TGID_Z_EN: 0
; COMPUTE_PGM_RSRC2:TIDIG_COMP_CNT: 0
; COMPUTE_PGM_RSRC3_GFX90A:ACCUM_OFFSET: 0
; COMPUTE_PGM_RSRC3_GFX90A:TG_SPLIT: 0
	.section	.text._ZN7rocprim17ROCPRIM_400000_NS6detail17trampoline_kernelINS0_14default_configENS1_27scan_by_key_config_selectorIiiEEZZNS1_16scan_by_key_implILNS1_25lookback_scan_determinismE0ELb0ES3_N6thrust23THRUST_200600_302600_NS6detail15normal_iteratorINS9_10device_ptrIiEEEESE_SE_iNS9_4plusIvEENS9_8equal_toIvEEiEE10hipError_tPvRmT2_T3_T4_T5_mT6_T7_P12ihipStream_tbENKUlT_T0_E_clISt17integral_constantIbLb0EESZ_EEDaSU_SV_EUlSU_E_NS1_11comp_targetILNS1_3genE4ELNS1_11target_archE910ELNS1_3gpuE8ELNS1_3repE0EEENS1_30default_config_static_selectorELNS0_4arch9wavefront6targetE1EEEvT1_,"axG",@progbits,_ZN7rocprim17ROCPRIM_400000_NS6detail17trampoline_kernelINS0_14default_configENS1_27scan_by_key_config_selectorIiiEEZZNS1_16scan_by_key_implILNS1_25lookback_scan_determinismE0ELb0ES3_N6thrust23THRUST_200600_302600_NS6detail15normal_iteratorINS9_10device_ptrIiEEEESE_SE_iNS9_4plusIvEENS9_8equal_toIvEEiEE10hipError_tPvRmT2_T3_T4_T5_mT6_T7_P12ihipStream_tbENKUlT_T0_E_clISt17integral_constantIbLb0EESZ_EEDaSU_SV_EUlSU_E_NS1_11comp_targetILNS1_3genE4ELNS1_11target_archE910ELNS1_3gpuE8ELNS1_3repE0EEENS1_30default_config_static_selectorELNS0_4arch9wavefront6targetE1EEEvT1_,comdat
	.protected	_ZN7rocprim17ROCPRIM_400000_NS6detail17trampoline_kernelINS0_14default_configENS1_27scan_by_key_config_selectorIiiEEZZNS1_16scan_by_key_implILNS1_25lookback_scan_determinismE0ELb0ES3_N6thrust23THRUST_200600_302600_NS6detail15normal_iteratorINS9_10device_ptrIiEEEESE_SE_iNS9_4plusIvEENS9_8equal_toIvEEiEE10hipError_tPvRmT2_T3_T4_T5_mT6_T7_P12ihipStream_tbENKUlT_T0_E_clISt17integral_constantIbLb0EESZ_EEDaSU_SV_EUlSU_E_NS1_11comp_targetILNS1_3genE4ELNS1_11target_archE910ELNS1_3gpuE8ELNS1_3repE0EEENS1_30default_config_static_selectorELNS0_4arch9wavefront6targetE1EEEvT1_ ; -- Begin function _ZN7rocprim17ROCPRIM_400000_NS6detail17trampoline_kernelINS0_14default_configENS1_27scan_by_key_config_selectorIiiEEZZNS1_16scan_by_key_implILNS1_25lookback_scan_determinismE0ELb0ES3_N6thrust23THRUST_200600_302600_NS6detail15normal_iteratorINS9_10device_ptrIiEEEESE_SE_iNS9_4plusIvEENS9_8equal_toIvEEiEE10hipError_tPvRmT2_T3_T4_T5_mT6_T7_P12ihipStream_tbENKUlT_T0_E_clISt17integral_constantIbLb0EESZ_EEDaSU_SV_EUlSU_E_NS1_11comp_targetILNS1_3genE4ELNS1_11target_archE910ELNS1_3gpuE8ELNS1_3repE0EEENS1_30default_config_static_selectorELNS0_4arch9wavefront6targetE1EEEvT1_
	.globl	_ZN7rocprim17ROCPRIM_400000_NS6detail17trampoline_kernelINS0_14default_configENS1_27scan_by_key_config_selectorIiiEEZZNS1_16scan_by_key_implILNS1_25lookback_scan_determinismE0ELb0ES3_N6thrust23THRUST_200600_302600_NS6detail15normal_iteratorINS9_10device_ptrIiEEEESE_SE_iNS9_4plusIvEENS9_8equal_toIvEEiEE10hipError_tPvRmT2_T3_T4_T5_mT6_T7_P12ihipStream_tbENKUlT_T0_E_clISt17integral_constantIbLb0EESZ_EEDaSU_SV_EUlSU_E_NS1_11comp_targetILNS1_3genE4ELNS1_11target_archE910ELNS1_3gpuE8ELNS1_3repE0EEENS1_30default_config_static_selectorELNS0_4arch9wavefront6targetE1EEEvT1_
	.p2align	8
	.type	_ZN7rocprim17ROCPRIM_400000_NS6detail17trampoline_kernelINS0_14default_configENS1_27scan_by_key_config_selectorIiiEEZZNS1_16scan_by_key_implILNS1_25lookback_scan_determinismE0ELb0ES3_N6thrust23THRUST_200600_302600_NS6detail15normal_iteratorINS9_10device_ptrIiEEEESE_SE_iNS9_4plusIvEENS9_8equal_toIvEEiEE10hipError_tPvRmT2_T3_T4_T5_mT6_T7_P12ihipStream_tbENKUlT_T0_E_clISt17integral_constantIbLb0EESZ_EEDaSU_SV_EUlSU_E_NS1_11comp_targetILNS1_3genE4ELNS1_11target_archE910ELNS1_3gpuE8ELNS1_3repE0EEENS1_30default_config_static_selectorELNS0_4arch9wavefront6targetE1EEEvT1_,@function
_ZN7rocprim17ROCPRIM_400000_NS6detail17trampoline_kernelINS0_14default_configENS1_27scan_by_key_config_selectorIiiEEZZNS1_16scan_by_key_implILNS1_25lookback_scan_determinismE0ELb0ES3_N6thrust23THRUST_200600_302600_NS6detail15normal_iteratorINS9_10device_ptrIiEEEESE_SE_iNS9_4plusIvEENS9_8equal_toIvEEiEE10hipError_tPvRmT2_T3_T4_T5_mT6_T7_P12ihipStream_tbENKUlT_T0_E_clISt17integral_constantIbLb0EESZ_EEDaSU_SV_EUlSU_E_NS1_11comp_targetILNS1_3genE4ELNS1_11target_archE910ELNS1_3gpuE8ELNS1_3repE0EEENS1_30default_config_static_selectorELNS0_4arch9wavefront6targetE1EEEvT1_: ; @_ZN7rocprim17ROCPRIM_400000_NS6detail17trampoline_kernelINS0_14default_configENS1_27scan_by_key_config_selectorIiiEEZZNS1_16scan_by_key_implILNS1_25lookback_scan_determinismE0ELb0ES3_N6thrust23THRUST_200600_302600_NS6detail15normal_iteratorINS9_10device_ptrIiEEEESE_SE_iNS9_4plusIvEENS9_8equal_toIvEEiEE10hipError_tPvRmT2_T3_T4_T5_mT6_T7_P12ihipStream_tbENKUlT_T0_E_clISt17integral_constantIbLb0EESZ_EEDaSU_SV_EUlSU_E_NS1_11comp_targetILNS1_3genE4ELNS1_11target_archE910ELNS1_3gpuE8ELNS1_3repE0EEENS1_30default_config_static_selectorELNS0_4arch9wavefront6targetE1EEEvT1_
; %bb.0:
	s_load_dwordx8 s[36:43], s[4:5], 0x0
	s_load_dwordx4 s[52:55], s[4:5], 0x28
	s_load_dwordx2 s[56:57], s[4:5], 0x38
	s_load_dword s0, s[4:5], 0x40
	s_load_dwordx8 s[44:51], s[4:5], 0x48
	s_waitcnt lgkmcnt(0)
	s_lshl_b64 s[38:39], s[38:39], 2
	s_add_u32 s2, s36, s38
	s_addc_u32 s3, s37, s39
	s_add_u32 s4, s40, s38
	s_mul_i32 s1, s57, s0
	s_mul_hi_u32 s7, s56, s0
	s_addc_u32 s5, s41, s39
	s_add_i32 s8, s7, s1
	s_mul_i32 s9, s56, s0
	s_cmp_lg_u64 s[48:49], 0
	s_mul_i32 s0, s6, 0xe00
	s_mov_b32 s1, 0
	s_cselect_b64 s[40:41], -1, 0
	s_lshl_b64 s[36:37], s[0:1], 2
	s_add_u32 s34, s2, s36
	s_addc_u32 s35, s3, s37
	s_add_u32 s7, s4, s36
	s_addc_u32 s55, s5, s37
	;; [unrolled: 2-line block ×3, first 2 shown]
	s_add_u32 s2, s44, -1
	s_addc_u32 s3, s45, -1
	v_pk_mov_b32 v[2:3], s[2:3], s[2:3] op_sel:[0,1]
	v_cmp_ge_u64_e64 s[0:1], s[48:49], v[2:3]
	s_mov_b64 s[18:19], 0
	s_mov_b64 s[4:5], -1
	s_and_b64 vcc, exec, s[0:1]
	s_mul_i32 s33, s2, 0xfffff200
	s_barrier
	s_cbranch_vccz .LBB125_77
; %bb.1:
	v_pk_mov_b32 v[2:3], s[34:35], s[34:35] op_sel:[0,1]
	flat_load_dword v1, v[2:3]
	s_add_i32 s60, s33, s54
	v_cmp_gt_u32_e64 s[2:3], s60, v0
	s_waitcnt vmcnt(0) lgkmcnt(0)
	v_mov_b32_e32 v13, v1
	s_and_saveexec_b64 s[4:5], s[2:3]
	s_cbranch_execz .LBB125_3
; %bb.2:
	v_lshlrev_b32_e32 v2, 2, v0
	v_mov_b32_e32 v3, s35
	v_add_co_u32_e32 v2, vcc, s34, v2
	v_addc_co_u32_e32 v3, vcc, 0, v3, vcc
	flat_load_dword v13, v[2:3]
.LBB125_3:
	s_or_b64 exec, exec, s[4:5]
	v_or_b32_e32 v2, 0x100, v0
	v_cmp_gt_u32_e64 s[4:5], s60, v2
	v_mov_b32_e32 v14, v1
	s_and_saveexec_b64 s[8:9], s[4:5]
	s_cbranch_execz .LBB125_5
; %bb.4:
	v_lshlrev_b32_e32 v2, 2, v0
	v_mov_b32_e32 v3, s35
	v_add_co_u32_e32 v2, vcc, s34, v2
	v_addc_co_u32_e32 v3, vcc, 0, v3, vcc
	flat_load_dword v14, v[2:3] offset:1024
.LBB125_5:
	s_or_b64 exec, exec, s[8:9]
	v_or_b32_e32 v2, 0x200, v0
	v_cmp_gt_u32_e64 s[30:31], s60, v2
	v_mov_b32_e32 v15, v1
	s_and_saveexec_b64 s[8:9], s[30:31]
	s_cbranch_execz .LBB125_7
; %bb.6:
	v_lshlrev_b32_e32 v2, 2, v0
	v_mov_b32_e32 v3, s35
	v_add_co_u32_e32 v2, vcc, s34, v2
	v_addc_co_u32_e32 v3, vcc, 0, v3, vcc
	flat_load_dword v15, v[2:3] offset:2048
.LBB125_7:
	;; [unrolled: 13-line block ×3, first 2 shown]
	s_or_b64 exec, exec, s[10:11]
	v_or_b32_e32 v2, 0x400, v0
	v_cmp_gt_u32_e64 s[10:11], s60, v2
	v_lshlrev_b32_e32 v2, 2, v2
	v_mov_b32_e32 v17, v1
	s_and_saveexec_b64 s[12:13], s[10:11]
	s_cbranch_execz .LBB125_11
; %bb.10:
	v_mov_b32_e32 v3, s35
	v_add_co_u32_e32 v4, vcc, s34, v2
	v_addc_co_u32_e32 v5, vcc, 0, v3, vcc
	flat_load_dword v17, v[4:5]
.LBB125_11:
	s_or_b64 exec, exec, s[12:13]
	v_or_b32_e32 v3, 0x500, v0
	v_cmp_gt_u32_e64 s[12:13], s60, v3
	v_lshlrev_b32_e32 v3, 2, v3
	v_mov_b32_e32 v18, v1
	s_and_saveexec_b64 s[14:15], s[12:13]
	s_cbranch_execz .LBB125_13
; %bb.12:
	v_mov_b32_e32 v5, s35
	v_add_co_u32_e32 v4, vcc, s34, v3
	v_addc_co_u32_e32 v5, vcc, 0, v5, vcc
	flat_load_dword v18, v[4:5]
.LBB125_13:
	;; [unrolled: 13-line block ×9, first 2 shown]
	s_or_b64 exec, exec, s[28:29]
	v_or_b32_e32 v11, 0xd00, v0
	v_cmp_gt_u32_e64 s[28:29], s60, v11
	v_lshlrev_b32_e32 v11, 2, v11
	s_and_saveexec_b64 s[44:45], s[28:29]
	s_cbranch_execz .LBB125_29
; %bb.28:
	v_mov_b32_e32 v1, s35
	v_add_co_u32_e32 v26, vcc, s34, v11
	v_addc_co_u32_e32 v27, vcc, 0, v1, vcc
	flat_load_dword v1, v[26:27]
.LBB125_29:
	s_or_b64 exec, exec, s[44:45]
	v_lshlrev_b32_e32 v12, 2, v0
	s_waitcnt vmcnt(0) lgkmcnt(0)
	ds_write2st64_b32 v12, v13, v14 offset1:4
	ds_write2st64_b32 v12, v15, v16 offset0:8 offset1:12
	ds_write2st64_b32 v12, v17, v18 offset0:16 offset1:20
	ds_write2st64_b32 v12, v19, v20 offset0:24 offset1:28
	ds_write2st64_b32 v12, v21, v22 offset0:32 offset1:36
	ds_write2st64_b32 v12, v23, v24 offset0:40 offset1:44
	ds_write2st64_b32 v12, v25, v1 offset0:48 offset1:52
	v_mad_u32_u24 v1, v0, 52, v12
	s_waitcnt lgkmcnt(0)
	s_barrier
	ds_read2_b64 v[34:37], v1 offset1:1
	ds_read2_b64 v[30:33], v1 offset0:2 offset1:3
	ds_read2_b64 v[26:29], v1 offset0:4 offset1:5
	ds_read_b64 v[40:41], v1 offset:48
	s_cmp_eq_u64 s[48:49], 0
	s_mov_b64 s[44:45], s[34:35]
	s_cbranch_scc1 .LBB125_33
; %bb.30:
	s_andn2_b64 vcc, exec, s[40:41]
	s_cbranch_vccnz .LBB125_179
; %bb.31:
	s_lshl_b64 s[44:45], s[48:49], 2
	s_add_u32 s44, s50, s44
	s_addc_u32 s45, s51, s45
	s_add_u32 s44, s44, -4
	s_addc_u32 s45, s45, -1
	s_cbranch_execnz .LBB125_33
.LBB125_32:
	s_add_u32 s44, s34, -4
	s_addc_u32 s45, s35, -1
.LBB125_33:
	v_pk_mov_b32 v[14:15], s[44:45], s[44:45] op_sel:[0,1]
	flat_load_dword v44, v[14:15]
	s_movk_i32 s44, 0xffcc
	v_mad_i32_i24 v13, v0, s44, v1
	v_cmp_ne_u32_e32 vcc, 0, v0
	s_waitcnt lgkmcnt(0)
	ds_write_b32 v13, v41 offset:14336
	s_waitcnt lgkmcnt(0)
	s_barrier
	s_and_saveexec_b64 s[44:45], vcc
	s_cbranch_execz .LBB125_35
; %bb.34:
	v_mul_i32_i24_e32 v13, 0xffffffcc, v0
	v_add_u32_e32 v13, v1, v13
	s_waitcnt vmcnt(0)
	ds_read_b32 v44, v13 offset:14332
.LBB125_35:
	s_or_b64 exec, exec, s[44:45]
	s_waitcnt lgkmcnt(0)
	s_barrier
	s_waitcnt lgkmcnt(0)
                                        ; implicit-def: $vgpr13
	s_and_saveexec_b64 s[44:45], s[2:3]
	s_cbranch_execnz .LBB125_166
; %bb.36:
	s_or_b64 exec, exec, s[44:45]
                                        ; implicit-def: $vgpr14
	s_and_saveexec_b64 s[2:3], s[4:5]
	s_cbranch_execnz .LBB125_167
.LBB125_37:
	s_or_b64 exec, exec, s[2:3]
                                        ; implicit-def: $vgpr15
	s_and_saveexec_b64 s[2:3], s[30:31]
	s_cbranch_execnz .LBB125_168
.LBB125_38:
	s_or_b64 exec, exec, s[2:3]
                                        ; implicit-def: $vgpr16
	s_and_saveexec_b64 s[2:3], s[8:9]
	s_cbranch_execnz .LBB125_169
.LBB125_39:
	s_or_b64 exec, exec, s[2:3]
                                        ; implicit-def: $vgpr17
	s_and_saveexec_b64 s[2:3], s[10:11]
	s_cbranch_execnz .LBB125_170
.LBB125_40:
	s_or_b64 exec, exec, s[2:3]
                                        ; implicit-def: $vgpr2
	s_and_saveexec_b64 s[2:3], s[12:13]
	s_cbranch_execnz .LBB125_171
.LBB125_41:
	s_or_b64 exec, exec, s[2:3]
                                        ; implicit-def: $vgpr3
	s_and_saveexec_b64 s[2:3], s[14:15]
	s_cbranch_execnz .LBB125_172
.LBB125_42:
	s_or_b64 exec, exec, s[2:3]
                                        ; implicit-def: $vgpr4
	s_and_saveexec_b64 s[2:3], s[16:17]
	s_cbranch_execnz .LBB125_173
.LBB125_43:
	s_or_b64 exec, exec, s[2:3]
                                        ; implicit-def: $vgpr5
	s_and_saveexec_b64 s[2:3], s[18:19]
	s_cbranch_execnz .LBB125_174
.LBB125_44:
	s_or_b64 exec, exec, s[2:3]
                                        ; implicit-def: $vgpr6
	s_and_saveexec_b64 s[2:3], s[20:21]
	s_cbranch_execnz .LBB125_175
.LBB125_45:
	s_or_b64 exec, exec, s[2:3]
                                        ; implicit-def: $vgpr7
	s_and_saveexec_b64 s[2:3], s[22:23]
	s_cbranch_execnz .LBB125_176
.LBB125_46:
	s_or_b64 exec, exec, s[2:3]
                                        ; implicit-def: $vgpr8
	s_and_saveexec_b64 s[2:3], s[24:25]
	s_cbranch_execnz .LBB125_177
.LBB125_47:
	s_or_b64 exec, exec, s[2:3]
                                        ; implicit-def: $vgpr9
	s_and_saveexec_b64 s[2:3], s[26:27]
	s_cbranch_execnz .LBB125_178
.LBB125_48:
	s_or_b64 exec, exec, s[2:3]
                                        ; implicit-def: $vgpr10
	s_and_saveexec_b64 s[2:3], s[28:29]
	s_cbranch_execz .LBB125_50
.LBB125_49:
	v_mov_b32_e32 v18, s55
	v_add_co_u32_e32 v10, vcc, s7, v11
	v_addc_co_u32_e32 v11, vcc, 0, v18, vcc
	flat_load_dword v10, v[10:11]
.LBB125_50:
	s_or_b64 exec, exec, s[2:3]
	s_mov_b32 s8, 0
	s_mov_b32 s9, s8
	s_waitcnt vmcnt(0) lgkmcnt(0)
	ds_write2st64_b32 v12, v13, v14 offset1:4
	ds_write2st64_b32 v12, v15, v16 offset0:8 offset1:12
	ds_write2st64_b32 v12, v17, v2 offset0:16 offset1:20
	;; [unrolled: 1-line block ×6, first 2 shown]
	s_mov_b32 s10, s8
	s_mov_b32 s11, s8
	;; [unrolled: 1-line block ×6, first 2 shown]
	v_pk_mov_b32 v[2:3], s[8:9], s[8:9] op_sel:[0,1]
	v_pk_mov_b32 v[8:9], s[14:15], s[14:15] op_sel:[0,1]
	v_mul_u32_u24_e32 v42, 14, v0
	v_pk_mov_b32 v[4:5], s[10:11], s[10:11] op_sel:[0,1]
	v_pk_mov_b32 v[6:7], s[12:13], s[12:13] op_sel:[0,1]
	;; [unrolled: 1-line block ×4, first 2 shown]
	v_cmp_gt_u32_e32 vcc, s60, v42
	s_mov_b64 s[4:5], 0
	v_pk_mov_b32 v[38:39], 0, 0
	s_mov_b64 s[18:19], 0
	v_pk_mov_b32 v[14:15], v[6:7], v[6:7] op_sel:[0,1]
	v_pk_mov_b32 v[12:13], v[4:5], v[4:5] op_sel:[0,1]
	;; [unrolled: 1-line block ×6, first 2 shown]
	s_waitcnt lgkmcnt(0)
	s_barrier
	s_waitcnt lgkmcnt(0)
                                        ; implicit-def: $sgpr2_sgpr3
                                        ; implicit-def: $vgpr43
	s_and_saveexec_b64 s[16:17], vcc
	s_cbranch_execz .LBB125_76
; %bb.51:
	v_or_b32_e32 v2, 1, v42
	ds_read_b32 v38, v1
	v_cmp_ne_u32_e32 vcc, v44, v34
	v_cndmask_b32_e64 v39, 0, 1, vcc
	v_cmp_gt_u32_e32 vcc, s60, v2
	v_pk_mov_b32 v[2:3], s[8:9], s[8:9] op_sel:[0,1]
	v_pk_mov_b32 v[8:9], s[14:15], s[14:15] op_sel:[0,1]
	;; [unrolled: 1-line block ×6, first 2 shown]
	s_mov_b64 s[20:21], 0
	v_pk_mov_b32 v[14:15], v[6:7], v[6:7] op_sel:[0,1]
	v_pk_mov_b32 v[12:13], v[4:5], v[4:5] op_sel:[0,1]
	;; [unrolled: 1-line block ×6, first 2 shown]
                                        ; implicit-def: $sgpr8_sgpr9
                                        ; implicit-def: $vgpr43
	s_and_saveexec_b64 s[18:19], vcc
	s_cbranch_execz .LBB125_75
; %bb.52:
	ds_read2_b32 v[44:45], v1 offset0:1 offset1:2
	s_mov_b32 s8, 0
	s_mov_b32 s14, s8
	;; [unrolled: 1-line block ×8, first 2 shown]
	v_pk_mov_b32 v[16:17], s[14:15], s[14:15] op_sel:[0,1]
	v_add_u32_e32 v2, 2, v42
	v_cmp_ne_u32_e32 vcc, v34, v35
	v_mov_b32_e32 v6, 0
	v_pk_mov_b32 v[14:15], s[12:13], s[12:13] op_sel:[0,1]
	v_pk_mov_b32 v[12:13], s[10:11], s[10:11] op_sel:[0,1]
	;; [unrolled: 1-line block ×4, first 2 shown]
	v_cndmask_b32_e64 v3, 0, 1, vcc
	v_cmp_gt_u32_e32 vcc, s60, v2
	s_waitcnt lgkmcnt(0)
	v_mov_b32_e32 v2, v44
	v_mov_b32_e32 v4, v6
	;; [unrolled: 1-line block ×6, first 2 shown]
	s_mov_b64 s[2:3], 0
	v_pk_mov_b32 v[22:23], v[14:15], v[14:15] op_sel:[0,1]
	v_pk_mov_b32 v[20:21], v[12:13], v[12:13] op_sel:[0,1]
	;; [unrolled: 1-line block ×3, first 2 shown]
                                        ; implicit-def: $sgpr22_sgpr23
                                        ; implicit-def: $vgpr43
	s_and_saveexec_b64 s[20:21], vcc
	s_cbranch_execz .LBB125_74
; %bb.53:
	v_pk_mov_b32 v[16:17], s[14:15], s[14:15] op_sel:[0,1]
	v_add_u32_e32 v2, 3, v42
	v_cmp_ne_u32_e32 vcc, v35, v36
	v_pk_mov_b32 v[14:15], s[12:13], s[12:13] op_sel:[0,1]
	v_pk_mov_b32 v[12:13], s[10:11], s[10:11] op_sel:[0,1]
	;; [unrolled: 1-line block ×4, first 2 shown]
	v_cndmask_b32_e64 v5, 0, 1, vcc
	v_cmp_gt_u32_e32 vcc, s60, v2
	v_mov_b32_e32 v2, v44
	v_mov_b32_e32 v4, v45
	;; [unrolled: 1-line block ×5, first 2 shown]
	v_pk_mov_b32 v[22:23], v[14:15], v[14:15] op_sel:[0,1]
	v_pk_mov_b32 v[20:21], v[12:13], v[12:13] op_sel:[0,1]
	;; [unrolled: 1-line block ×3, first 2 shown]
                                        ; implicit-def: $sgpr8_sgpr9
                                        ; implicit-def: $vgpr43
	s_and_saveexec_b64 s[22:23], vcc
	s_cbranch_execz .LBB125_73
; %bb.54:
	ds_read2_b32 v[34:35], v1 offset0:3 offset1:4
	s_mov_b32 s8, 0
	s_mov_b32 s14, s8
	;; [unrolled: 1-line block ×8, first 2 shown]
	v_pk_mov_b32 v[16:17], s[14:15], s[14:15] op_sel:[0,1]
	v_add_u32_e32 v6, 4, v42
	v_cmp_ne_u32_e32 vcc, v36, v37
	v_pk_mov_b32 v[14:15], s[12:13], s[12:13] op_sel:[0,1]
	v_pk_mov_b32 v[12:13], s[10:11], s[10:11] op_sel:[0,1]
	;; [unrolled: 1-line block ×4, first 2 shown]
	v_cndmask_b32_e64 v7, 0, 1, vcc
	v_cmp_gt_u32_e32 vcc, s60, v6
	s_waitcnt lgkmcnt(0)
	v_mov_b32_e32 v6, v34
	v_mov_b32_e32 v8, s8
	;; [unrolled: 1-line block ×3, first 2 shown]
	v_pk_mov_b32 v[22:23], v[14:15], v[14:15] op_sel:[0,1]
	v_pk_mov_b32 v[20:21], v[12:13], v[12:13] op_sel:[0,1]
	;; [unrolled: 1-line block ×3, first 2 shown]
                                        ; implicit-def: $sgpr26_sgpr27
                                        ; implicit-def: $vgpr43
	s_and_saveexec_b64 s[24:25], vcc
	s_cbranch_execz .LBB125_72
; %bb.55:
	v_pk_mov_b32 v[16:17], s[14:15], s[14:15] op_sel:[0,1]
	v_add_u32_e32 v8, 5, v42
	v_cmp_ne_u32_e32 vcc, v37, v30
	v_pk_mov_b32 v[14:15], s[12:13], s[12:13] op_sel:[0,1]
	v_pk_mov_b32 v[12:13], s[10:11], s[10:11] op_sel:[0,1]
	;; [unrolled: 1-line block ×4, first 2 shown]
	v_cndmask_b32_e64 v9, 0, 1, vcc
	v_cmp_gt_u32_e32 vcc, s60, v8
	v_mov_b32_e32 v8, v35
	v_pk_mov_b32 v[22:23], v[14:15], v[14:15] op_sel:[0,1]
	v_pk_mov_b32 v[20:21], v[12:13], v[12:13] op_sel:[0,1]
	;; [unrolled: 1-line block ×3, first 2 shown]
                                        ; implicit-def: $sgpr8_sgpr9
                                        ; implicit-def: $vgpr43
	s_and_saveexec_b64 s[26:27], vcc
	s_cbranch_execz .LBB125_71
; %bb.56:
	ds_read2_b32 v[34:35], v1 offset0:5 offset1:6
	s_mov_b32 s8, 0
	s_mov_b32 s14, s8
	;; [unrolled: 1-line block ×3, first 2 shown]
	v_add_u32_e32 v10, 6, v42
	v_cmp_ne_u32_e32 vcc, v30, v31
	v_mov_b32_e32 v14, 0
	s_mov_b32 s9, s8
	s_mov_b32 s10, s8
	;; [unrolled: 1-line block ×5, first 2 shown]
	v_pk_mov_b32 v[24:25], s[14:15], s[14:15] op_sel:[0,1]
	v_cndmask_b32_e64 v11, 0, 1, vcc
	v_cmp_gt_u32_e32 vcc, s60, v10
	s_waitcnt lgkmcnt(0)
	v_mov_b32_e32 v10, v34
	v_mov_b32_e32 v12, v14
	;; [unrolled: 1-line block ×6, first 2 shown]
	v_pk_mov_b32 v[22:23], s[12:13], s[12:13] op_sel:[0,1]
	v_pk_mov_b32 v[20:21], s[10:11], s[10:11] op_sel:[0,1]
	;; [unrolled: 1-line block ×3, first 2 shown]
                                        ; implicit-def: $sgpr30_sgpr31
                                        ; implicit-def: $vgpr43
	s_and_saveexec_b64 s[28:29], vcc
	s_cbranch_execz .LBB125_70
; %bb.57:
	v_add_u32_e32 v10, 7, v42
	v_cmp_ne_u32_e32 vcc, v31, v32
	v_pk_mov_b32 v[24:25], s[14:15], s[14:15] op_sel:[0,1]
	v_cndmask_b32_e64 v13, 0, 1, vcc
	v_cmp_gt_u32_e32 vcc, s60, v10
	v_mov_b32_e32 v10, v34
	v_mov_b32_e32 v12, v35
	;; [unrolled: 1-line block ×5, first 2 shown]
	v_pk_mov_b32 v[22:23], s[12:13], s[12:13] op_sel:[0,1]
	v_pk_mov_b32 v[20:21], s[10:11], s[10:11] op_sel:[0,1]
	;; [unrolled: 1-line block ×3, first 2 shown]
                                        ; implicit-def: $sgpr8_sgpr9
                                        ; implicit-def: $vgpr43
	s_and_saveexec_b64 s[30:31], vcc
	s_cbranch_execz .LBB125_69
; %bb.58:
	ds_read2_b32 v[30:31], v1 offset0:7 offset1:8
	s_mov_b32 s8, 0
	s_mov_b32 s14, s8
	;; [unrolled: 1-line block ×3, first 2 shown]
	v_add_u32_e32 v14, 8, v42
	v_cmp_ne_u32_e32 vcc, v32, v33
	s_mov_b32 s9, s8
	s_mov_b32 s10, s8
	s_mov_b32 s11, s8
	s_mov_b32 s12, s8
	s_mov_b32 s13, s8
	v_pk_mov_b32 v[24:25], s[14:15], s[14:15] op_sel:[0,1]
	v_cndmask_b32_e64 v15, 0, 1, vcc
	v_cmp_gt_u32_e32 vcc, s60, v14
	s_waitcnt lgkmcnt(0)
	v_mov_b32_e32 v14, v30
	v_mov_b32_e32 v16, s8
	;; [unrolled: 1-line block ×3, first 2 shown]
	v_pk_mov_b32 v[22:23], s[12:13], s[12:13] op_sel:[0,1]
	v_pk_mov_b32 v[20:21], s[10:11], s[10:11] op_sel:[0,1]
	;; [unrolled: 1-line block ×3, first 2 shown]
                                        ; implicit-def: $sgpr58_sgpr59
                                        ; implicit-def: $vgpr43
	s_and_saveexec_b64 s[44:45], vcc
	s_cbranch_execz .LBB125_68
; %bb.59:
	v_add_u32_e32 v16, 9, v42
	v_cmp_ne_u32_e32 vcc, v33, v26
	v_pk_mov_b32 v[24:25], s[14:15], s[14:15] op_sel:[0,1]
	v_cndmask_b32_e64 v17, 0, 1, vcc
	v_cmp_gt_u32_e32 vcc, s60, v16
	v_mov_b32_e32 v16, v31
	v_pk_mov_b32 v[22:23], s[12:13], s[12:13] op_sel:[0,1]
	v_pk_mov_b32 v[20:21], s[10:11], s[10:11] op_sel:[0,1]
	;; [unrolled: 1-line block ×3, first 2 shown]
                                        ; implicit-def: $sgpr10_sgpr11
                                        ; implicit-def: $vgpr43
	s_and_saveexec_b64 s[8:9], vcc
	s_cbranch_execz .LBB125_67
; %bb.60:
	ds_read2_b32 v[30:31], v1 offset0:9 offset1:10
	v_add_u32_e32 v18, 10, v42
	v_cmp_ne_u32_e32 vcc, v26, v27
	v_mov_b32_e32 v22, 0
	v_cndmask_b32_e64 v19, 0, 1, vcc
	v_cmp_gt_u32_e32 vcc, s60, v18
	s_waitcnt lgkmcnt(0)
	v_mov_b32_e32 v18, v30
	v_mov_b32_e32 v20, v22
	;; [unrolled: 1-line block ×6, first 2 shown]
                                        ; implicit-def: $sgpr12_sgpr13
                                        ; implicit-def: $vgpr43
	s_and_saveexec_b64 s[10:11], vcc
	s_cbranch_execz .LBB125_66
; %bb.61:
	v_add_u32_e32 v18, 11, v42
	v_cmp_ne_u32_e32 vcc, v27, v28
	v_cndmask_b32_e64 v21, 0, 1, vcc
	v_cmp_gt_u32_e32 vcc, s60, v18
	s_mov_b32 s58, 0
	v_mov_b32_e32 v18, v30
	v_mov_b32_e32 v20, v31
	;; [unrolled: 1-line block ×5, first 2 shown]
                                        ; implicit-def: $sgpr14_sgpr15
                                        ; implicit-def: $vgpr43
	s_and_saveexec_b64 s[12:13], vcc
	s_cbranch_execz .LBB125_65
; %bb.62:
	ds_read2_b32 v[26:27], v1 offset0:11 offset1:12
	v_add_u32_e32 v22, 12, v42
	v_cmp_ne_u32_e32 vcc, v28, v29
	v_cndmask_b32_e64 v23, 0, 1, vcc
	v_cmp_gt_u32_e32 vcc, s60, v22
	s_waitcnt lgkmcnt(0)
	v_mov_b32_e32 v22, v26
	v_mov_b32_e32 v24, s58
	v_mov_b32_e32 v25, s58
                                        ; implicit-def: $sgpr14_sgpr15
                                        ; implicit-def: $vgpr43
	s_and_saveexec_b64 s[58:59], vcc
	s_xor_b64 s[58:59], exec, s[58:59]
	s_cbranch_execz .LBB125_64
; %bb.63:
	ds_read_b32 v43, v1 offset:52
	v_add_u32_e32 v1, 13, v42
	v_cmp_ne_u32_e64 s[2:3], v29, v40
	v_cmp_ne_u32_e32 vcc, v40, v41
	v_cndmask_b32_e64 v25, 0, 1, s[2:3]
	v_cmp_gt_u32_e64 s[2:3], s60, v1
	v_mov_b32_e32 v24, v27
	s_and_b64 s[14:15], vcc, exec
	s_and_b64 s[2:3], s[2:3], exec
.LBB125_64:
	s_or_b64 exec, exec, s[58:59]
	s_and_b64 s[14:15], s[14:15], exec
	s_and_b64 s[2:3], s[2:3], exec
.LBB125_65:
	s_or_b64 exec, exec, s[12:13]
	s_and_b64 s[12:13], s[14:15], exec
	s_and_b64 s[2:3], s[2:3], exec
.LBB125_66:
	s_or_b64 exec, exec, s[10:11]
	s_and_b64 s[10:11], s[12:13], exec
	s_and_b64 s[2:3], s[2:3], exec
.LBB125_67:
	s_or_b64 exec, exec, s[8:9]
	s_and_b64 s[58:59], s[10:11], exec
	s_and_b64 s[2:3], s[2:3], exec
.LBB125_68:
	s_or_b64 exec, exec, s[44:45]
	s_and_b64 s[8:9], s[58:59], exec
	s_and_b64 s[2:3], s[2:3], exec
.LBB125_69:
	s_or_b64 exec, exec, s[30:31]
	s_and_b64 s[30:31], s[8:9], exec
	s_and_b64 s[2:3], s[2:3], exec
.LBB125_70:
	s_or_b64 exec, exec, s[28:29]
	s_and_b64 s[8:9], s[30:31], exec
	s_and_b64 s[2:3], s[2:3], exec
.LBB125_71:
	s_or_b64 exec, exec, s[26:27]
	s_and_b64 s[26:27], s[8:9], exec
	s_and_b64 s[2:3], s[2:3], exec
.LBB125_72:
	s_or_b64 exec, exec, s[24:25]
	s_and_b64 s[8:9], s[26:27], exec
	s_and_b64 s[2:3], s[2:3], exec
.LBB125_73:
	s_or_b64 exec, exec, s[22:23]
	s_and_b64 s[22:23], s[8:9], exec
	s_and_b64 s[2:3], s[2:3], exec
.LBB125_74:
	s_or_b64 exec, exec, s[20:21]
	s_and_b64 s[8:9], s[22:23], exec
	s_and_b64 s[20:21], s[2:3], exec
.LBB125_75:
	s_or_b64 exec, exec, s[18:19]
	s_and_b64 s[2:3], s[8:9], exec
	s_and_b64 s[18:19], s[20:21], exec
.LBB125_76:
	s_or_b64 exec, exec, s[16:17]
	s_and_b64 vcc, exec, s[4:5]
	v_lshlrev_b32_e32 v50, 2, v0
	s_cbranch_vccnz .LBB125_78
	s_branch .LBB125_86
.LBB125_77:
                                        ; implicit-def: $sgpr2_sgpr3
                                        ; implicit-def: $vgpr2_vgpr3_vgpr4_vgpr5_vgpr6_vgpr7_vgpr8_vgpr9
                                        ; implicit-def: $vgpr10_vgpr11_vgpr12_vgpr13_vgpr14_vgpr15_vgpr16_vgpr17
                                        ; implicit-def: $vgpr18_vgpr19_vgpr20_vgpr21_vgpr22_vgpr23_vgpr24_vgpr25
                                        ; implicit-def: $vgpr43
                                        ; implicit-def: $vgpr38_vgpr39
	s_and_b64 vcc, exec, s[4:5]
	v_lshlrev_b32_e32 v50, 2, v0
	s_cbranch_vccz .LBB125_86
.LBB125_78:
	v_mov_b32_e32 v1, s35
	v_add_co_u32_e32 v2, vcc, s34, v50
	v_addc_co_u32_e32 v3, vcc, 0, v1, vcc
	v_add_co_u32_e32 v4, vcc, 0x1000, v2
	v_addc_co_u32_e32 v5, vcc, 0, v3, vcc
	flat_load_dword v6, v[2:3]
	flat_load_dword v7, v[2:3] offset:1024
	flat_load_dword v8, v[2:3] offset:2048
	;; [unrolled: 1-line block ×3, first 2 shown]
	flat_load_dword v10, v[4:5]
	flat_load_dword v11, v[4:5] offset:1024
	flat_load_dword v12, v[4:5] offset:2048
	;; [unrolled: 1-line block ×3, first 2 shown]
	v_add_co_u32_e32 v4, vcc, 0x2000, v2
	v_addc_co_u32_e32 v5, vcc, 0, v3, vcc
	v_add_co_u32_e32 v2, vcc, 0x3000, v2
	v_addc_co_u32_e32 v3, vcc, 0, v3, vcc
	flat_load_dword v14, v[4:5]
	flat_load_dword v15, v[4:5] offset:1024
	flat_load_dword v16, v[4:5] offset:2048
	;; [unrolled: 1-line block ×3, first 2 shown]
	flat_load_dword v18, v[2:3]
	flat_load_dword v19, v[2:3] offset:1024
	v_mad_u32_u24 v1, v0, 52, v50
	s_cmp_eq_u64 s[48:49], 0
	s_waitcnt vmcnt(0) lgkmcnt(0)
	ds_write2st64_b32 v50, v6, v7 offset1:4
	ds_write2st64_b32 v50, v8, v9 offset0:8 offset1:12
	ds_write2st64_b32 v50, v10, v11 offset0:16 offset1:20
	;; [unrolled: 1-line block ×6, first 2 shown]
	s_waitcnt lgkmcnt(0)
	s_barrier
	ds_read2_b64 v[2:5], v1 offset1:1
	ds_read2_b64 v[10:13], v1 offset0:2 offset1:3
	ds_read2_b64 v[18:21], v1 offset0:4 offset1:5
	ds_read_b64 v[6:7], v1 offset:48
	s_cbranch_scc1 .LBB125_83
; %bb.79:
	s_andn2_b64 vcc, exec, s[40:41]
	s_cbranch_vccnz .LBB125_180
; %bb.80:
	s_lshl_b64 s[2:3], s[48:49], 2
	s_add_u32 s2, s50, s2
	s_addc_u32 s3, s51, s3
	s_add_u32 s2, s2, -4
	s_addc_u32 s3, s3, -1
	s_cbranch_execnz .LBB125_82
.LBB125_81:
	s_add_u32 s2, s34, -4
	s_addc_u32 s3, s35, -1
.LBB125_82:
	s_mov_b64 s[34:35], s[2:3]
.LBB125_83:
	v_pk_mov_b32 v[8:9], s[34:35], s[34:35] op_sel:[0,1]
	flat_load_dword v8, v[8:9]
	s_movk_i32 s2, 0xffcc
	v_mad_i32_i24 v9, v0, s2, v1
	v_cmp_ne_u32_e32 vcc, 0, v0
	s_waitcnt lgkmcnt(0)
	ds_write_b32 v9, v7 offset:14336
	s_waitcnt lgkmcnt(0)
	s_barrier
	s_and_saveexec_b64 s[2:3], vcc
	s_cbranch_execz .LBB125_85
; %bb.84:
	s_waitcnt vmcnt(0)
	v_mul_i32_i24_e32 v8, 0xffffffcc, v0
	v_add_u32_e32 v8, v1, v8
	ds_read_b32 v8, v8 offset:14332
.LBB125_85:
	s_or_b64 exec, exec, s[2:3]
	v_mov_b32_e32 v9, s55
	v_add_co_u32_e32 v14, vcc, s7, v50
	v_addc_co_u32_e32 v15, vcc, 0, v9, vcc
	s_movk_i32 s2, 0x1000
	v_add_co_u32_e32 v16, vcc, s2, v14
	v_addc_co_u32_e32 v17, vcc, 0, v15, vcc
	s_movk_i32 s2, 0x2000
	s_waitcnt lgkmcnt(0)
	s_barrier
	flat_load_dword v22, v[14:15]
	flat_load_dword v24, v[14:15] offset:1024
	flat_load_dword v26, v[14:15] offset:2048
	flat_load_dword v27, v[14:15] offset:3072
	flat_load_dword v28, v[16:17]
	flat_load_dword v29, v[16:17] offset:1024
	flat_load_dword v30, v[16:17] offset:2048
	;; [unrolled: 1-line block ×3, first 2 shown]
	v_add_co_u32_e32 v16, vcc, s2, v14
	v_addc_co_u32_e32 v17, vcc, 0, v15, vcc
	s_movk_i32 s2, 0x3000
	v_add_co_u32_e32 v14, vcc, s2, v14
	v_addc_co_u32_e32 v15, vcc, 0, v15, vcc
	flat_load_dword v32, v[16:17]
	flat_load_dword v33, v[16:17] offset:1024
	flat_load_dword v34, v[16:17] offset:2048
	flat_load_dword v35, v[16:17] offset:3072
	flat_load_dword v36, v[14:15]
	flat_load_dword v37, v[14:15] offset:1024
	s_waitcnt vmcnt(0)
	v_cmp_ne_u32_e32 vcc, v8, v2
	v_cndmask_b32_e64 v39, 0, 1, vcc
	v_cmp_ne_u32_e32 vcc, v5, v10
	v_cndmask_b32_e64 v9, 0, 1, vcc
	v_cmp_ne_u32_e32 vcc, v4, v5
	v_cmp_ne_u32_e64 s[2:3], v6, v7
	v_cndmask_b32_e64 v7, 0, 1, vcc
	v_cmp_ne_u32_e32 vcc, v3, v4
	v_cndmask_b32_e64 v5, 0, 1, vcc
	v_cmp_ne_u32_e32 vcc, v2, v3
	;; [unrolled: 2-line block ×10, first 2 shown]
	v_cndmask_b32_e64 v19, 0, 1, vcc
	s_mov_b64 s[18:19], -1
                                        ; implicit-def: $sgpr4_sgpr5
	s_waitcnt lgkmcnt(0)
	ds_write2st64_b32 v50, v22, v24 offset1:4
	ds_write2st64_b32 v50, v26, v27 offset0:8 offset1:12
	ds_write2st64_b32 v50, v28, v29 offset0:16 offset1:20
	;; [unrolled: 1-line block ×6, first 2 shown]
	s_waitcnt lgkmcnt(0)
	s_barrier
	ds_read2_b32 v[42:43], v1 offset1:13
	ds_read2_b32 v[26:27], v1 offset0:7 offset1:8
	ds_read2_b32 v[28:29], v1 offset0:5 offset1:6
	;; [unrolled: 1-line block ×6, first 2 shown]
	s_waitcnt lgkmcnt(6)
	v_mov_b32_e32 v38, v42
	s_waitcnt lgkmcnt(4)
	v_mov_b32_e32 v10, v28
	;; [unrolled: 2-line block ×4, first 2 shown]
	v_mov_b32_e32 v4, v33
	v_mov_b32_e32 v8, v31
	;; [unrolled: 1-line block ×5, first 2 shown]
	s_waitcnt lgkmcnt(0)
	v_mov_b32_e32 v18, v36
	v_mov_b32_e32 v20, v37
	v_mov_b32_e32 v22, v34
	v_mov_b32_e32 v24, v35
.LBB125_86:
	v_pk_mov_b32 v[40:41], s[4:5], s[4:5] op_sel:[0,1]
	s_and_saveexec_b64 s[4:5], s[18:19]
	s_cbranch_execz .LBB125_88
; %bb.87:
	v_cndmask_b32_e64 v41, 0, 1, s[2:3]
	s_waitcnt lgkmcnt(0)
	v_mov_b32_e32 v40, v43
.LBB125_88:
	s_or_b64 exec, exec, s[4:5]
	s_mov_b32 s26, 0
	s_cmp_lg_u32 s6, 0
	v_mbcnt_lo_u32_b32 v52, -1, 0
	v_lshrrev_b32_e32 v1, 6, v0
	v_or_b32_e32 v51, 63, v0
	s_waitcnt lgkmcnt(0)
	s_barrier
	s_cbranch_scc0 .LBB125_117
; %bb.89:
	s_mov_b32 s27, 1
	v_cmp_gt_u64_e64 s[2:3], s[26:27], v[2:3]
	v_cndmask_b32_e64 v27, 0, v38, s[2:3]
	v_add_u32_e32 v27, v27, v2
	v_cmp_gt_u64_e64 s[4:5], s[26:27], v[4:5]
	v_cndmask_b32_e64 v27, 0, v27, s[4:5]
	v_add_u32_e32 v27, v27, v4
	;; [unrolled: 3-line block ×13, first 2 shown]
	v_or3_b32 v27, v41, v25, v23
	v_or3_b32 v27, v27, v21, v19
	;; [unrolled: 1-line block ×6, first 2 shown]
	v_mov_b32_e32 v26, 0
	v_and_b32_e32 v27, 1, v27
	v_cmp_eq_u64_e32 vcc, 0, v[26:27]
	v_cndmask_b32_e32 v26, 1, v39, vcc
	v_mbcnt_hi_u32_b32 v46, -1, v52
	v_mov_b32_dpp v29, v28 row_shr:1 row_mask:0xf bank_mask:0xf
	v_mov_b32_dpp v30, v26 row_shr:1 row_mask:0xf bank_mask:0xf
	v_cmp_eq_u32_e32 vcc, 0, v26
	v_and_b32_e32 v31, 1, v26
	v_and_b32_e32 v27, 15, v46
	v_cndmask_b32_e32 v29, 0, v29, vcc
	v_and_b32_e32 v30, 1, v30
	v_cmp_eq_u32_e32 vcc, 1, v31
	v_cndmask_b32_e64 v30, v30, 1, vcc
	v_cmp_eq_u32_e32 vcc, 0, v27
	v_cndmask_b32_e32 v26, v30, v26, vcc
	v_and_b32_e32 v31, 1, v26
	v_cmp_eq_u32_e64 s[28:29], 1, v31
	v_mov_b32_dpp v30, v26 row_shr:2 row_mask:0xf bank_mask:0xf
	v_and_b32_e32 v30, 1, v30
	v_cndmask_b32_e64 v30, v30, 1, s[28:29]
	v_cmp_lt_u32_e64 s[28:29], 1, v27
	v_cndmask_b32_e64 v29, v29, 0, vcc
	v_cmp_eq_u32_e32 vcc, 0, v26
	v_cndmask_b32_e64 v26, v26, v30, s[28:29]
	v_add_u32_e32 v28, v29, v28
	v_and_b32_e32 v31, 1, v26
	v_mov_b32_dpp v30, v26 row_shr:4 row_mask:0xf bank_mask:0xf
	v_mov_b32_dpp v29, v28 row_shr:2 row_mask:0xf bank_mask:0xf
	s_and_b64 vcc, s[28:29], vcc
	v_and_b32_e32 v30, 1, v30
	v_cmp_eq_u32_e64 s[28:29], 1, v31
	v_cndmask_b32_e32 v29, 0, v29, vcc
	v_cndmask_b32_e64 v30, v30, 1, s[28:29]
	v_cmp_lt_u32_e64 s[28:29], 3, v27
	v_add_u32_e32 v28, v29, v28
	v_cmp_eq_u32_e32 vcc, 0, v26
	v_cndmask_b32_e64 v26, v26, v30, s[28:29]
	v_mov_b32_dpp v29, v28 row_shr:4 row_mask:0xf bank_mask:0xf
	s_and_b64 vcc, s[28:29], vcc
	v_mov_b32_dpp v30, v26 row_shr:8 row_mask:0xf bank_mask:0xf
	v_and_b32_e32 v31, 1, v26
	v_cndmask_b32_e32 v29, 0, v29, vcc
	v_and_b32_e32 v30, 1, v30
	v_cmp_eq_u32_e64 s[28:29], 1, v31
	v_add_u32_e32 v28, v29, v28
	v_cmp_eq_u32_e32 vcc, 0, v26
	v_cndmask_b32_e64 v30, v30, 1, s[28:29]
	v_cmp_lt_u32_e64 s[28:29], 7, v27
	v_mov_b32_dpp v29, v28 row_shr:8 row_mask:0xf bank_mask:0xf
	s_and_b64 vcc, s[28:29], vcc
	v_cndmask_b32_e32 v27, 0, v29, vcc
	v_cndmask_b32_e64 v26, v26, v30, s[28:29]
	v_add_u32_e32 v27, v27, v28
	v_cmp_eq_u32_e32 vcc, 0, v26
	v_mov_b32_dpp v29, v26 row_bcast:15 row_mask:0xf bank_mask:0xf
	v_mov_b32_dpp v28, v27 row_bcast:15 row_mask:0xf bank_mask:0xf
	v_and_b32_e32 v32, 1, v26
	v_and_b32_e32 v31, 16, v46
	v_cndmask_b32_e32 v28, 0, v28, vcc
	v_and_b32_e32 v29, 1, v29
	v_cmp_eq_u32_e32 vcc, 1, v32
	v_bfe_i32 v30, v46, 4, 1
	v_cndmask_b32_e64 v29, v29, 1, vcc
	v_cmp_eq_u32_e32 vcc, 0, v31
	v_and_b32_e32 v28, v30, v28
	v_cndmask_b32_e32 v26, v29, v26, vcc
	v_add_u32_e32 v27, v28, v27
	v_and_b32_e32 v30, 1, v26
	v_mov_b32_dpp v28, v26 row_bcast:31 row_mask:0xf bank_mask:0xf
	v_and_b32_e32 v28, 1, v28
	v_cmp_eq_u32_e64 s[28:29], 1, v30
	v_cmp_eq_u32_e32 vcc, 0, v26
	v_cndmask_b32_e64 v28, v28, 1, s[28:29]
	v_cmp_lt_u32_e64 s[28:29], 31, v46
	v_mov_b32_dpp v29, v27 row_bcast:31 row_mask:0xf bank_mask:0xf
	s_and_b64 vcc, s[28:29], vcc
	v_cndmask_b32_e64 v28, v26, v28, s[28:29]
	v_cndmask_b32_e32 v26, 0, v29, vcc
	v_add_u32_e32 v29, v26, v27
	v_cmp_eq_u32_e32 vcc, v51, v0
	s_and_saveexec_b64 s[28:29], vcc
	s_cbranch_execz .LBB125_91
; %bb.90:
	v_lshlrev_b32_e32 v26, 3, v1
	ds_write_b32 v26, v29
	ds_write_b8 v26, v28 offset:4
.LBB125_91:
	s_or_b64 exec, exec, s[28:29]
	v_cmp_gt_u32_e32 vcc, 4, v0
	s_waitcnt lgkmcnt(0)
	s_barrier
	s_and_saveexec_b64 s[28:29], vcc
	s_cbranch_execz .LBB125_95
; %bb.92:
	v_lshlrev_b32_e32 v30, 3, v0
	ds_read_b64 v[26:27], v30
	v_and_b32_e32 v31, 3, v46
	v_cmp_ne_u32_e32 vcc, 0, v31
	s_waitcnt lgkmcnt(0)
	v_mov_b32_dpp v32, v26 row_shr:1 row_mask:0xf bank_mask:0xf
	v_mov_b32_dpp v34, v27 row_shr:1 row_mask:0xf bank_mask:0xf
	v_mov_b32_e32 v33, v27
	s_and_saveexec_b64 s[34:35], vcc
	s_cbranch_execz .LBB125_94
; %bb.93:
	v_and_b32_e32 v33, 1, v27
	v_and_b32_e32 v34, 1, v34
	v_cmp_eq_u32_e32 vcc, 1, v33
	v_mov_b32_e32 v33, 0
	v_cndmask_b32_e64 v34, v34, 1, vcc
	v_cmp_eq_u16_sdwa vcc, v27, v33 src0_sel:BYTE_0 src1_sel:DWORD
	v_cndmask_b32_e32 v32, 0, v32, vcc
	v_add_u32_e32 v26, v32, v26
	v_and_b32_e32 v32, 0xffff, v34
	s_movk_i32 s7, 0xff00
	v_and_or_b32 v33, v27, s7, v32
	v_mov_b32_e32 v27, v34
.LBB125_94:
	s_or_b64 exec, exec, s[34:35]
	v_mov_b32_dpp v33, v33 row_shr:2 row_mask:0xf bank_mask:0xf
	v_and_b32_e32 v34, 1, v27
	v_and_b32_e32 v33, 1, v33
	v_cmp_eq_u32_e32 vcc, 1, v34
	v_mov_b32_e32 v34, 0
	v_cndmask_b32_e64 v33, v33, 1, vcc
	v_cmp_eq_u16_sdwa s[34:35], v27, v34 src0_sel:BYTE_0 src1_sel:DWORD
	v_cmp_lt_u32_e32 vcc, 1, v31
	v_mov_b32_dpp v32, v26 row_shr:2 row_mask:0xf bank_mask:0xf
	v_cndmask_b32_e32 v27, v27, v33, vcc
	s_and_b64 vcc, vcc, s[34:35]
	v_cndmask_b32_e32 v31, 0, v32, vcc
	v_add_u32_e32 v26, v31, v26
	ds_write_b32 v30, v26
	ds_write_b8 v30, v27 offset:4
.LBB125_95:
	s_or_b64 exec, exec, s[28:29]
	v_cmp_gt_u32_e32 vcc, 64, v0
	v_cmp_lt_u32_e64 s[28:29], 63, v0
	v_mov_b32_e32 v42, 0
	v_mov_b32_e32 v43, 0
	s_waitcnt lgkmcnt(0)
	s_barrier
	s_and_saveexec_b64 s[34:35], s[28:29]
	s_cbranch_execz .LBB125_97
; %bb.96:
	v_lshl_add_u32 v26, v1, 3, -8
	ds_read_b32 v42, v26
	ds_read_u8 v43, v26 offset:4
	v_and_b32_e32 v27, 1, v28
	v_cmp_eq_u32_e64 s[28:29], 0, v28
	s_waitcnt lgkmcnt(1)
	v_cndmask_b32_e64 v26, 0, v42, s[28:29]
	v_cmp_eq_u32_e64 s[28:29], 1, v27
	v_add_u32_e32 v29, v26, v29
	s_waitcnt lgkmcnt(0)
	v_cndmask_b32_e64 v28, v43, 1, s[28:29]
.LBB125_97:
	s_or_b64 exec, exec, s[34:35]
	v_add_u32_e32 v26, -1, v46
	v_and_b32_e32 v27, 64, v46
	v_cmp_lt_i32_e64 s[28:29], v26, v27
	v_cndmask_b32_e64 v26, v26, v46, s[28:29]
	v_lshlrev_b32_e32 v26, 2, v26
	ds_bpermute_b32 v44, v26, v29
	ds_bpermute_b32 v45, v26, v28
	v_cmp_eq_u32_e64 s[28:29], 0, v46
	s_and_saveexec_b64 s[40:41], vcc
	s_cbranch_execz .LBB125_116
; %bb.98:
	v_mov_b32_e32 v29, 0
	ds_read_b64 v[26:27], v29 offset:24
	s_waitcnt lgkmcnt(0)
	v_readfirstlane_b32 s7, v27
	s_and_saveexec_b64 s[34:35], s[28:29]
	s_cbranch_execz .LBB125_100
; %bb.99:
	s_add_i32 s44, s6, 64
	s_mov_b32 s45, 0
	s_lshl_b64 s[48:49], s[44:45], 4
	s_add_u32 s48, s52, s48
	s_addc_u32 s49, s53, s49
	s_and_b32 s51, s7, 0xff000000
	s_mov_b32 s50, s45
	s_and_b32 s59, s7, 0xff0000
	s_mov_b32 s58, s45
	s_or_b64 s[50:51], s[58:59], s[50:51]
	s_and_b32 s59, s7, 0xff00
	s_or_b64 s[50:51], s[50:51], s[58:59]
	s_and_b32 s59, s7, 0xff
	s_or_b64 s[44:45], s[50:51], s[58:59]
	v_mov_b32_e32 v27, s45
	v_mov_b32_e32 v28, 1
	v_pk_mov_b32 v[30:31], s[48:49], s[48:49] op_sel:[0,1]
	;;#ASMSTART
	global_store_dwordx4 v[30:31], v[26:29] off	
s_waitcnt vmcnt(0)
	;;#ASMEND
.LBB125_100:
	s_or_b64 exec, exec, s[34:35]
	v_xad_u32 v34, v46, -1, s6
	v_add_u32_e32 v28, 64, v34
	v_lshlrev_b64 v[30:31], 4, v[28:29]
	v_mov_b32_e32 v27, s53
	v_add_co_u32_e32 v36, vcc, s52, v30
	v_addc_co_u32_e32 v37, vcc, v27, v31, vcc
	;;#ASMSTART
	global_load_dwordx4 v[30:33], v[36:37] off glc	
s_waitcnt vmcnt(0)
	;;#ASMEND
	v_and_b32_e32 v27, 0xff0000, v30
	v_or_b32_sdwa v27, v30, v27 dst_sel:DWORD dst_unused:UNUSED_PAD src0_sel:WORD_0 src1_sel:DWORD
	v_and_b32_e32 v28, 0xff000000, v30
	v_and_b32_e32 v30, 0xff, v31
	v_or3_b32 v31, 0, 0, v30
	v_or3_b32 v30, v27, v28, 0
	v_cmp_eq_u16_sdwa s[44:45], v32, v29 src0_sel:BYTE_0 src1_sel:DWORD
	s_and_saveexec_b64 s[34:35], s[44:45]
	s_cbranch_execz .LBB125_104
; %bb.101:
	s_mov_b64 s[44:45], 0
	v_mov_b32_e32 v27, 0
.LBB125_102:                            ; =>This Inner Loop Header: Depth=1
	;;#ASMSTART
	global_load_dwordx4 v[30:33], v[36:37] off glc	
s_waitcnt vmcnt(0)
	;;#ASMEND
	v_cmp_ne_u16_sdwa s[48:49], v32, v27 src0_sel:BYTE_0 src1_sel:DWORD
	s_or_b64 s[44:45], s[48:49], s[44:45]
	s_andn2_b64 exec, exec, s[44:45]
	s_cbranch_execnz .LBB125_102
; %bb.103:
	s_or_b64 exec, exec, s[44:45]
	v_and_b32_e32 v31, 0xff, v31
.LBB125_104:
	s_or_b64 exec, exec, s[34:35]
	v_mov_b32_e32 v27, 2
	v_cmp_eq_u16_sdwa s[34:35], v32, v27 src0_sel:BYTE_0 src1_sel:DWORD
	v_lshlrev_b64 v[28:29], v46, -1
	v_and_b32_e32 v33, s35, v29
	v_or_b32_e32 v33, 0x80000000, v33
	v_and_b32_e32 v35, s34, v28
	v_ffbl_b32_e32 v33, v33
	v_and_b32_e32 v47, 63, v46
	v_add_u32_e32 v33, 32, v33
	v_ffbl_b32_e32 v35, v35
	v_cmp_ne_u32_e32 vcc, 63, v47
	v_min_u32_e32 v33, v35, v33
	v_addc_co_u32_e32 v35, vcc, 0, v46, vcc
	v_lshlrev_b32_e32 v48, 2, v35
	ds_bpermute_b32 v35, v48, v31
	ds_bpermute_b32 v36, v48, v30
	s_mov_b32 s44, 0
	v_and_b32_e32 v37, 1, v31
	s_mov_b32 s45, 1
	s_waitcnt lgkmcnt(1)
	v_and_b32_e32 v35, 1, v35
	v_cmp_eq_u32_e32 vcc, 1, v37
	v_cndmask_b32_e64 v35, v35, 1, vcc
	v_cmp_gt_u64_e32 vcc, s[44:45], v[30:31]
	v_cmp_lt_u32_e64 s[34:35], v47, v33
	s_and_b64 vcc, s[34:35], vcc
	v_and_b32_e32 v37, 0xffff, v35
	v_cndmask_b32_e64 v54, v31, v35, s[34:35]
	s_waitcnt lgkmcnt(0)
	v_cndmask_b32_e32 v35, 0, v36, vcc
	v_cmp_gt_u32_e32 vcc, 62, v47
	v_cndmask_b32_e64 v36, 0, 1, vcc
	v_lshlrev_b32_e32 v36, 1, v36
	v_cndmask_b32_e64 v31, v31, v37, s[34:35]
	v_add_lshl_u32 v49, v36, v46, 2
	ds_bpermute_b32 v36, v49, v31
	v_add_u32_e32 v30, v35, v30
	ds_bpermute_b32 v37, v49, v30
	v_and_b32_e32 v35, 1, v54
	v_cmp_eq_u32_e32 vcc, 1, v35
	s_waitcnt lgkmcnt(1)
	v_and_b32_e32 v36, 1, v36
	v_mov_b32_e32 v35, 0
	v_add_u32_e32 v53, 2, v47
	v_cndmask_b32_e64 v36, v36, 1, vcc
	v_cmp_eq_u16_sdwa vcc, v54, v35 src0_sel:BYTE_0 src1_sel:DWORD
	v_and_b32_e32 v55, 0xffff, v36
	s_waitcnt lgkmcnt(0)
	v_cndmask_b32_e32 v37, 0, v37, vcc
	v_cmp_gt_u32_e32 vcc, v53, v33
	v_cndmask_b32_e32 v36, v36, v54, vcc
	v_cndmask_b32_e64 v37, v37, 0, vcc
	v_cndmask_b32_e32 v31, v55, v31, vcc
	v_cmp_gt_u32_e32 vcc, 60, v47
	v_cndmask_b32_e64 v54, 0, 1, vcc
	v_lshlrev_b32_e32 v54, 2, v54
	v_add_lshl_u32 v54, v54, v46, 2
	ds_bpermute_b32 v56, v54, v31
	v_add_u32_e32 v30, v37, v30
	ds_bpermute_b32 v37, v54, v30
	v_and_b32_e32 v57, 1, v36
	v_cmp_eq_u32_e32 vcc, 1, v57
	s_waitcnt lgkmcnt(1)
	v_and_b32_e32 v56, 1, v56
	v_add_u32_e32 v55, 4, v47
	v_cndmask_b32_e64 v56, v56, 1, vcc
	v_cmp_eq_u16_sdwa vcc, v36, v35 src0_sel:BYTE_0 src1_sel:DWORD
	v_and_b32_e32 v57, 0xffff, v56
	s_waitcnt lgkmcnt(0)
	v_cndmask_b32_e32 v37, 0, v37, vcc
	v_cmp_gt_u32_e32 vcc, v55, v33
	v_cndmask_b32_e32 v36, v56, v36, vcc
	v_cndmask_b32_e64 v37, v37, 0, vcc
	v_cndmask_b32_e32 v31, v57, v31, vcc
	v_cmp_gt_u32_e32 vcc, 56, v47
	v_cndmask_b32_e64 v56, 0, 1, vcc
	v_lshlrev_b32_e32 v56, 3, v56
	v_add_lshl_u32 v56, v56, v46, 2
	ds_bpermute_b32 v58, v56, v31
	v_add_u32_e32 v30, v37, v30
	ds_bpermute_b32 v37, v56, v30
	v_and_b32_e32 v59, 1, v36
	v_cmp_eq_u32_e32 vcc, 1, v59
	s_waitcnt lgkmcnt(1)
	v_and_b32_e32 v58, 1, v58
	;; [unrolled: 21-line block ×4, first 2 shown]
	v_add_u32_e32 v62, 32, v47
	v_cndmask_b32_e64 v31, v31, 1, vcc
	v_cmp_eq_u16_sdwa vcc, v36, v35 src0_sel:BYTE_0 src1_sel:DWORD
	s_waitcnt lgkmcnt(0)
	v_cndmask_b32_e32 v37, 0, v37, vcc
	v_cmp_gt_u32_e32 vcc, v62, v33
	v_cndmask_b32_e64 v33, v37, 0, vcc
	v_cndmask_b32_e32 v31, v31, v36, vcc
	v_add_u32_e32 v30, v33, v30
	s_branch .LBB125_106
.LBB125_105:                            ;   in Loop: Header=BB125_106 Depth=1
	s_or_b64 exec, exec, s[34:35]
	v_cmp_eq_u16_sdwa s[34:35], v32, v27 src0_sel:BYTE_0 src1_sel:DWORD
	v_and_b32_e32 v33, s35, v29
	ds_bpermute_b32 v37, v48, v31
	v_or_b32_e32 v33, 0x80000000, v33
	v_and_b32_e32 v36, s34, v28
	v_ffbl_b32_e32 v33, v33
	v_add_u32_e32 v33, 32, v33
	v_ffbl_b32_e32 v36, v36
	v_min_u32_e32 v33, v36, v33
	ds_bpermute_b32 v36, v48, v30
	v_and_b32_e32 v63, 1, v31
	s_waitcnt lgkmcnt(1)
	v_and_b32_e32 v37, 1, v37
	v_cmp_eq_u32_e32 vcc, 1, v63
	v_cndmask_b32_e64 v37, v37, 1, vcc
	v_cmp_gt_u64_e32 vcc, s[44:45], v[30:31]
	v_and_b32_e32 v63, 0xffff, v37
	v_cmp_lt_u32_e64 s[34:35], v47, v33
	v_cndmask_b32_e64 v37, v31, v37, s[34:35]
	v_cndmask_b32_e64 v31, v31, v63, s[34:35]
	s_and_b64 vcc, s[34:35], vcc
	ds_bpermute_b32 v63, v49, v31
	s_waitcnt lgkmcnt(1)
	v_cndmask_b32_e32 v36, 0, v36, vcc
	v_add_u32_e32 v30, v36, v30
	ds_bpermute_b32 v36, v49, v30
	v_and_b32_e32 v64, 1, v37
	s_waitcnt lgkmcnt(1)
	v_and_b32_e32 v63, 1, v63
	v_cmp_eq_u32_e32 vcc, 1, v64
	v_cndmask_b32_e64 v63, v63, 1, vcc
	v_cmp_eq_u16_sdwa vcc, v37, v35 src0_sel:BYTE_0 src1_sel:DWORD
	v_and_b32_e32 v64, 0xffff, v63
	s_waitcnt lgkmcnt(0)
	v_cndmask_b32_e32 v36, 0, v36, vcc
	v_cmp_gt_u32_e32 vcc, v53, v33
	v_cndmask_b32_e32 v31, v64, v31, vcc
	v_cndmask_b32_e32 v37, v63, v37, vcc
	ds_bpermute_b32 v63, v54, v31
	v_cndmask_b32_e64 v36, v36, 0, vcc
	v_add_u32_e32 v30, v36, v30
	ds_bpermute_b32 v36, v54, v30
	v_and_b32_e32 v64, 1, v37
	s_waitcnt lgkmcnt(1)
	v_and_b32_e32 v63, 1, v63
	v_cmp_eq_u32_e32 vcc, 1, v64
	v_cndmask_b32_e64 v63, v63, 1, vcc
	v_cmp_eq_u16_sdwa vcc, v37, v35 src0_sel:BYTE_0 src1_sel:DWORD
	v_and_b32_e32 v64, 0xffff, v63
	s_waitcnt lgkmcnt(0)
	v_cndmask_b32_e32 v36, 0, v36, vcc
	v_cmp_gt_u32_e32 vcc, v55, v33
	v_cndmask_b32_e32 v31, v64, v31, vcc
	v_cndmask_b32_e32 v37, v63, v37, vcc
	ds_bpermute_b32 v63, v56, v31
	v_cndmask_b32_e64 v36, v36, 0, vcc
	;; [unrolled: 16-line block ×3, first 2 shown]
	v_add_u32_e32 v30, v36, v30
	ds_bpermute_b32 v36, v58, v30
	v_and_b32_e32 v64, 1, v37
	s_waitcnt lgkmcnt(1)
	v_and_b32_e32 v63, 1, v63
	v_cmp_eq_u32_e32 vcc, 1, v64
	v_cndmask_b32_e64 v63, v63, 1, vcc
	v_cmp_eq_u16_sdwa vcc, v37, v35 src0_sel:BYTE_0 src1_sel:DWORD
	v_and_b32_e32 v64, 0xffff, v63
	s_waitcnt lgkmcnt(0)
	v_cndmask_b32_e32 v36, 0, v36, vcc
	v_cmp_gt_u32_e32 vcc, v59, v33
	v_cndmask_b32_e64 v36, v36, 0, vcc
	v_cndmask_b32_e32 v31, v64, v31, vcc
	ds_bpermute_b32 v31, v61, v31
	v_add_u32_e32 v30, v36, v30
	ds_bpermute_b32 v36, v61, v30
	v_cndmask_b32_e32 v37, v63, v37, vcc
	v_and_b32_e32 v63, 1, v37
	v_cmp_eq_u32_e32 vcc, 1, v63
	s_waitcnt lgkmcnt(1)
	v_cndmask_b32_e64 v31, v31, 1, vcc
	v_cmp_eq_u16_sdwa vcc, v37, v35 src0_sel:BYTE_0 src1_sel:DWORD
	s_waitcnt lgkmcnt(0)
	v_cndmask_b32_e32 v36, 0, v36, vcc
	v_cmp_gt_u32_e32 vcc, v62, v33
	v_cndmask_b32_e64 v33, v36, 0, vcc
	v_cndmask_b32_e32 v31, v31, v37, vcc
	v_add_u32_e32 v30, v33, v30
	v_cmp_eq_u16_sdwa vcc, v46, v35 src0_sel:BYTE_0 src1_sel:DWORD
	v_and_b32_e32 v33, 1, v46
	v_cndmask_b32_e32 v30, 0, v30, vcc
	v_and_b32_e32 v31, 1, v31
	v_cmp_eq_u32_e32 vcc, 1, v33
	v_subrev_u32_e32 v34, 64, v34
	v_add_u32_e32 v30, v30, v60
	v_cndmask_b32_e64 v31, v31, 1, vcc
.LBB125_106:                            ; =>This Loop Header: Depth=1
                                        ;     Child Loop BB125_109 Depth 2
	v_cmp_ne_u16_sdwa s[34:35], v32, v27 src0_sel:BYTE_0 src1_sel:DWORD
	v_mov_b32_e32 v46, v31
	v_cndmask_b32_e64 v31, 0, 1, s[34:35]
	;;#ASMSTART
	;;#ASMEND
	v_cmp_ne_u32_e32 vcc, 0, v31
	s_cmp_lg_u64 vcc, exec
	v_mov_b32_e32 v60, v30
	s_cbranch_scc1 .LBB125_111
; %bb.107:                              ;   in Loop: Header=BB125_106 Depth=1
	v_lshlrev_b64 v[30:31], 4, v[34:35]
	v_mov_b32_e32 v32, s53
	v_add_co_u32_e32 v36, vcc, s52, v30
	v_addc_co_u32_e32 v37, vcc, v32, v31, vcc
	;;#ASMSTART
	global_load_dwordx4 v[30:33], v[36:37] off glc	
s_waitcnt vmcnt(0)
	;;#ASMEND
	v_and_b32_e32 v33, 0xff0000, v30
	v_or_b32_sdwa v33, v30, v33 dst_sel:DWORD dst_unused:UNUSED_PAD src0_sel:WORD_0 src1_sel:DWORD
	v_and_b32_e32 v30, 0xff000000, v30
	v_and_b32_e32 v31, 0xff, v31
	v_or3_b32 v31, 0, 0, v31
	v_or3_b32 v30, v33, v30, 0
	v_cmp_eq_u16_sdwa s[48:49], v32, v35 src0_sel:BYTE_0 src1_sel:DWORD
	s_and_saveexec_b64 s[34:35], s[48:49]
	s_cbranch_execz .LBB125_105
; %bb.108:                              ;   in Loop: Header=BB125_106 Depth=1
	s_mov_b64 s[48:49], 0
.LBB125_109:                            ;   Parent Loop BB125_106 Depth=1
                                        ; =>  This Inner Loop Header: Depth=2
	;;#ASMSTART
	global_load_dwordx4 v[30:33], v[36:37] off glc	
s_waitcnt vmcnt(0)
	;;#ASMEND
	v_cmp_ne_u16_sdwa s[50:51], v32, v35 src0_sel:BYTE_0 src1_sel:DWORD
	s_or_b64 s[48:49], s[50:51], s[48:49]
	s_andn2_b64 exec, exec, s[48:49]
	s_cbranch_execnz .LBB125_109
; %bb.110:                              ;   in Loop: Header=BB125_106 Depth=1
	s_or_b64 exec, exec, s[48:49]
	v_and_b32_e32 v31, 0xff, v31
	s_branch .LBB125_105
.LBB125_111:                            ;   in Loop: Header=BB125_106 Depth=1
                                        ; implicit-def: $vgpr31
                                        ; implicit-def: $vgpr30
                                        ; implicit-def: $vgpr32
	s_cbranch_execz .LBB125_106
; %bb.112:
	s_and_saveexec_b64 s[34:35], s[28:29]
	s_cbranch_execz .LBB125_114
; %bb.113:
	s_and_b32 s44, s7, 0xff
	s_cmp_eq_u32 s44, 0
	s_cselect_b64 vcc, -1, 0
	s_bitcmp1_b32 s7, 0
	s_mov_b32 s45, 0
	s_cselect_b64 s[48:49], -1, 0
	s_add_i32 s44, s6, 64
	s_lshl_b64 s[6:7], s[44:45], 4
	v_cndmask_b32_e32 v27, 0, v60, vcc
	s_add_u32 s6, s52, s6
	v_add_u32_e32 v26, v27, v26
	v_and_b32_e32 v27, 1, v46
	s_addc_u32 s7, s53, s7
	v_mov_b32_e32 v29, 0
	v_cndmask_b32_e64 v27, v27, 1, s[48:49]
	v_mov_b32_e32 v28, 2
	v_pk_mov_b32 v[30:31], s[6:7], s[6:7] op_sel:[0,1]
	;;#ASMSTART
	global_store_dwordx4 v[30:31], v[26:29] off	
s_waitcnt vmcnt(0)
	;;#ASMEND
.LBB125_114:
	s_or_b64 exec, exec, s[34:35]
	v_cmp_eq_u32_e32 vcc, 0, v0
	s_and_b64 exec, exec, vcc
	s_cbranch_execz .LBB125_116
; %bb.115:
	v_mov_b32_e32 v26, 0
	ds_write_b32 v26, v60 offset:24
	ds_write_b8 v26, v46 offset:28
.LBB125_116:
	s_or_b64 exec, exec, s[40:41]
	s_mov_b32 s6, 0
	v_mov_b32_e32 v28, 0
	s_mov_b32 s7, 1
	s_waitcnt lgkmcnt(0)
	v_cndmask_b32_e64 v26, v45, v43, s[28:29]
	v_cndmask_b32_e64 v27, v44, v42, s[28:29]
	s_barrier
	ds_read_b32 v29, v28 offset:24
	v_cmp_gt_u64_e32 vcc, s[6:7], v[38:39]
	v_and_b32_e32 v30, 1, v39
	v_cndmask_b32_e32 v27, 0, v27, vcc
	v_and_b32_e32 v26, 1, v26
	v_cmp_eq_u32_e32 vcc, 1, v30
	v_cndmask_b32_e64 v26, v26, 1, vcc
	v_cmp_eq_u32_e32 vcc, 0, v0
	v_cndmask_b32_e32 v26, v26, v39, vcc
	v_cndmask_b32_e64 v27, v27, 0, vcc
	v_cmp_eq_u16_sdwa vcc, v26, v28 src0_sel:BYTE_0 src1_sel:DWORD
	s_waitcnt lgkmcnt(0)
	v_cndmask_b32_e32 v26, 0, v29, vcc
	v_add3_u32 v26, v27, v38, v26
	v_cndmask_b32_e64 v27, 0, v26, s[2:3]
	v_add_u32_e32 v27, v27, v2
	v_cndmask_b32_e64 v28, 0, v27, s[4:5]
	v_add_u32_e32 v42, v28, v4
	v_cndmask_b32_e64 v28, 0, v42, s[30:31]
	v_add_u32_e32 v43, v28, v6
	v_cndmask_b32_e64 v28, 0, v43, s[8:9]
	v_add_u32_e32 v30, v28, v8
	v_cndmask_b32_e64 v28, 0, v30, s[10:11]
	v_add_u32_e32 v31, v28, v10
	v_cndmask_b32_e64 v28, 0, v31, s[12:13]
	v_add_u32_e32 v44, v28, v12
	v_cndmask_b32_e64 v28, 0, v44, s[14:15]
	v_add_u32_e32 v45, v28, v14
	v_cndmask_b32_e64 v28, 0, v45, s[16:17]
	v_add_u32_e32 v34, v28, v16
	v_cndmask_b32_e64 v28, 0, v34, s[18:19]
	v_add_u32_e32 v35, v28, v18
	v_cndmask_b32_e64 v28, 0, v35, s[20:21]
	v_add_u32_e32 v46, v28, v20
	v_cndmask_b32_e64 v28, 0, v46, s[22:23]
	v_add_u32_e32 v47, v28, v22
	v_cndmask_b32_e64 v28, 0, v47, s[24:25]
	v_add_u32_e32 v48, v28, v24
	v_cndmask_b32_e64 v28, 0, v48, s[26:27]
	v_add_u32_e32 v49, v28, v40
	s_branch .LBB125_133
.LBB125_117:
                                        ; implicit-def: $vgpr49
                                        ; implicit-def: $vgpr47
                                        ; implicit-def: $vgpr45
                                        ; implicit-def: $vgpr43
                                        ; implicit-def: $vgpr34_vgpr35_vgpr36_vgpr37
                                        ; implicit-def: $vgpr30_vgpr31_vgpr32_vgpr33
                                        ; implicit-def: $vgpr26_vgpr27_vgpr28_vgpr29
	s_cbranch_execz .LBB125_133
; %bb.118:
	s_cmp_lg_u64 s[56:57], 0
	s_cselect_b32 s5, s47, 0
	s_cselect_b32 s4, s46, 0
	s_cmp_lg_u64 s[4:5], 0
	s_cselect_b64 s[6:7], -1, 0
	v_cmp_eq_u32_e32 vcc, 0, v0
	s_mov_b32 s28, 0
	v_cmp_ne_u32_e64 s[2:3], 0, v0
	s_and_b64 s[8:9], vcc, s[6:7]
	s_and_saveexec_b64 s[6:7], s[8:9]
	s_cbranch_execz .LBB125_120
; %bb.119:
	v_mov_b32_e32 v26, 0
	global_load_dword v28, v26, s[4:5]
	global_load_ubyte v29, v26, s[4:5] offset:4
	s_mov_b32 s29, 1
	v_and_b32_e32 v27, 1, v39
	v_cmp_gt_u64_e64 s[4:5], s[28:29], v[38:39]
	s_waitcnt vmcnt(1)
	v_cndmask_b32_e64 v28, 0, v28, s[4:5]
	s_waitcnt vmcnt(0)
	v_and_b32_e32 v29, 1, v29
	v_cmp_eq_u64_e64 s[4:5], 0, v[26:27]
	v_add_u32_e32 v38, v28, v38
	v_cndmask_b32_e64 v39, 1, v29, s[4:5]
.LBB125_120:
	s_or_b64 exec, exec, s[6:7]
	s_mov_b32 s29, 1
	v_cmp_gt_u64_e64 s[4:5], s[28:29], v[2:3]
	v_cndmask_b32_e64 v26, 0, v38, s[4:5]
	v_add_u32_e32 v27, v26, v2
	v_cmp_gt_u64_e64 s[6:7], s[28:29], v[4:5]
	v_cndmask_b32_e64 v26, 0, v27, s[6:7]
	v_add_u32_e32 v42, v26, v4
	v_cmp_gt_u64_e64 s[8:9], s[28:29], v[6:7]
	v_cndmask_b32_e64 v26, 0, v42, s[8:9]
	v_add_u32_e32 v43, v26, v6
	v_cmp_gt_u64_e64 s[10:11], s[28:29], v[8:9]
	v_cndmask_b32_e64 v26, 0, v43, s[10:11]
	v_add_u32_e32 v30, v26, v8
	v_cmp_gt_u64_e64 s[12:13], s[28:29], v[10:11]
	v_cndmask_b32_e64 v26, 0, v30, s[12:13]
	v_add_u32_e32 v31, v26, v10
	v_cmp_gt_u64_e64 s[14:15], s[28:29], v[12:13]
	v_cndmask_b32_e64 v26, 0, v31, s[14:15]
	v_add_u32_e32 v44, v26, v12
	v_cmp_gt_u64_e64 s[16:17], s[28:29], v[14:15]
	v_cndmask_b32_e64 v26, 0, v44, s[16:17]
	v_add_u32_e32 v45, v26, v14
	v_cmp_gt_u64_e64 s[18:19], s[28:29], v[16:17]
	v_mov_b32_e32 v28, 0
	v_cndmask_b32_e64 v26, 0, v45, s[18:19]
	v_or3_b32 v7, v23, v15, v7
	v_add_u32_e32 v34, v26, v16
	v_cmp_gt_u64_e64 s[20:21], s[28:29], v[18:19]
	v_or3_b32 v9, v25, v17, v9
	v_and_b32_e32 v55, 1, v7
	v_mov_b32_e32 v54, v28
	v_cndmask_b32_e64 v26, 0, v34, s[20:21]
	v_or3_b32 v3, v19, v11, v3
	v_and_b32_e32 v37, 1, v9
	v_mov_b32_e32 v36, v28
	v_cmp_ne_u64_e64 s[34:35], 0, v[54:55]
	v_add_u32_e32 v35, v26, v18
	v_cmp_gt_u64_e64 s[22:23], s[28:29], v[20:21]
	v_or3_b32 v5, v21, v13, v5
	v_and_b32_e32 v29, 1, v3
	v_cndmask_b32_e64 v3, 0, 1, s[34:35]
	v_cmp_ne_u64_e64 s[34:35], 0, v[36:37]
	v_cndmask_b32_e64 v26, 0, v35, s[22:23]
	v_and_b32_e32 v33, 1, v5
	v_mov_b32_e32 v32, v28
	v_cndmask_b32_e64 v5, 0, 1, s[34:35]
	v_add_u32_e32 v46, v26, v20
	v_cmp_gt_u64_e64 s[24:25], s[28:29], v[22:23]
	v_lshlrev_b16_e32 v3, 2, v3
	v_lshlrev_b16_e32 v5, 3, v5
	v_cmp_ne_u64_e64 s[34:35], 0, v[32:33]
	v_cndmask_b32_e64 v26, 0, v46, s[24:25]
	v_or_b32_e32 v3, v5, v3
	v_cndmask_b32_e64 v5, 0, 1, s[34:35]
	v_cmp_ne_u64_e64 s[34:35], 0, v[28:29]
	v_add_u32_e32 v47, v26, v22
	v_cmp_gt_u64_e64 s[26:27], s[28:29], v[24:25]
	v_lshlrev_b16_e32 v5, 1, v5
	v_cndmask_b32_e64 v7, 0, 1, s[34:35]
	v_cndmask_b32_e64 v26, 0, v47, s[26:27]
	v_or_b32_e32 v5, v7, v5
	v_add_u32_e32 v48, v26, v24
	v_cmp_gt_u64_e64 s[28:29], s[28:29], v[40:41]
	v_and_b32_e32 v5, 3, v5
	v_cndmask_b32_e64 v26, 0, v48, s[28:29]
	v_or_b32_e32 v3, v5, v3
	v_add_u32_e32 v49, v26, v40
	v_and_b32_e32 v26, 1, v41
	v_and_b32_e32 v3, 15, v3
	v_cmp_eq_u32_e64 s[30:31], 1, v26
	v_cmp_ne_u16_e64 s[34:35], 0, v3
	s_or_b64 s[30:31], s[30:31], s[34:35]
	v_cndmask_b32_e64 v5, v39, 1, s[30:31]
	v_mbcnt_hi_u32_b32 v3, -1, v52
	v_mov_b32_dpp v9, v49 row_shr:1 row_mask:0xf bank_mask:0xf
	v_mov_b32_dpp v11, v5 row_shr:1 row_mask:0xf bank_mask:0xf
	v_cmp_eq_u32_e64 s[30:31], 0, v5
	v_and_b32_e32 v13, 1, v5
	v_and_b32_e32 v7, 15, v3
	v_cndmask_b32_e64 v9, 0, v9, s[30:31]
	v_and_b32_e32 v11, 1, v11
	v_cmp_eq_u32_e64 s[30:31], 1, v13
	v_cndmask_b32_e64 v11, v11, 1, s[30:31]
	v_cmp_eq_u32_e64 s[30:31], 0, v7
	v_cndmask_b32_e64 v5, v11, v5, s[30:31]
	v_and_b32_e32 v15, 1, v5
	v_cmp_eq_u32_e64 s[34:35], 1, v15
	v_mov_b32_dpp v13, v5 row_shr:2 row_mask:0xf bank_mask:0xf
	v_and_b32_e32 v13, 1, v13
	v_cndmask_b32_e64 v13, v13, 1, s[34:35]
	v_cmp_lt_u32_e64 s[34:35], 1, v7
	v_cndmask_b32_e64 v9, v9, 0, s[30:31]
	v_cmp_eq_u32_e64 s[30:31], 0, v5
	v_cndmask_b32_e64 v5, v5, v13, s[34:35]
	v_add_u32_e32 v9, v49, v9
	v_and_b32_e32 v15, 1, v5
	v_mov_b32_dpp v13, v5 row_shr:4 row_mask:0xf bank_mask:0xf
	v_mov_b32_dpp v11, v9 row_shr:2 row_mask:0xf bank_mask:0xf
	s_and_b64 s[30:31], s[34:35], s[30:31]
	v_and_b32_e32 v13, 1, v13
	v_cmp_eq_u32_e64 s[34:35], 1, v15
	v_cndmask_b32_e64 v11, 0, v11, s[30:31]
	v_cndmask_b32_e64 v13, v13, 1, s[34:35]
	v_cmp_lt_u32_e64 s[34:35], 3, v7
	v_add_u32_e32 v9, v9, v11
	v_cmp_eq_u32_e64 s[30:31], 0, v5
	v_cndmask_b32_e64 v5, v5, v13, s[34:35]
	v_mov_b32_dpp v11, v9 row_shr:4 row_mask:0xf bank_mask:0xf
	s_and_b64 s[30:31], s[34:35], s[30:31]
	v_mov_b32_dpp v13, v5 row_shr:8 row_mask:0xf bank_mask:0xf
	v_and_b32_e32 v15, 1, v5
	v_cndmask_b32_e64 v11, 0, v11, s[30:31]
	v_and_b32_e32 v13, 1, v13
	v_cmp_eq_u32_e64 s[34:35], 1, v15
	v_add_u32_e32 v9, v9, v11
	v_cmp_eq_u32_e64 s[30:31], 0, v5
	v_cndmask_b32_e64 v13, v13, 1, s[34:35]
	v_cmp_lt_u32_e64 s[34:35], 7, v7
	v_mov_b32_dpp v11, v9 row_shr:8 row_mask:0xf bank_mask:0xf
	s_and_b64 s[30:31], s[34:35], s[30:31]
	v_cndmask_b32_e64 v7, 0, v11, s[30:31]
	v_cndmask_b32_e64 v5, v5, v13, s[34:35]
	v_add_u32_e32 v7, v9, v7
	v_cmp_eq_u32_e64 s[30:31], 0, v5
	v_mov_b32_dpp v11, v5 row_bcast:15 row_mask:0xf bank_mask:0xf
	v_mov_b32_dpp v9, v7 row_bcast:15 row_mask:0xf bank_mask:0xf
	v_and_b32_e32 v17, 1, v5
	v_and_b32_e32 v15, 16, v3
	v_cndmask_b32_e64 v9, 0, v9, s[30:31]
	v_and_b32_e32 v11, 1, v11
	v_cmp_eq_u32_e64 s[30:31], 1, v17
	v_bfe_i32 v13, v3, 4, 1
	v_cndmask_b32_e64 v11, v11, 1, s[30:31]
	v_cmp_eq_u32_e64 s[30:31], 0, v15
	v_and_b32_e32 v9, v13, v9
	v_cndmask_b32_e64 v5, v11, v5, s[30:31]
	v_add_u32_e32 v9, v7, v9
	v_and_b32_e32 v13, 1, v5
	v_mov_b32_dpp v7, v5 row_bcast:31 row_mask:0xf bank_mask:0xf
	v_and_b32_e32 v7, 1, v7
	v_cmp_eq_u32_e64 s[34:35], 1, v13
	v_cmp_eq_u32_e64 s[30:31], 0, v5
	v_cndmask_b32_e64 v7, v7, 1, s[34:35]
	v_cmp_lt_u32_e64 s[34:35], 31, v3
	v_mov_b32_dpp v11, v9 row_bcast:31 row_mask:0xf bank_mask:0xf
	s_and_b64 s[30:31], s[34:35], s[30:31]
	v_cndmask_b32_e64 v7, v5, v7, s[34:35]
	v_cndmask_b32_e64 v5, 0, v11, s[30:31]
	v_add_u32_e32 v5, v9, v5
	v_cmp_eq_u32_e64 s[30:31], v51, v0
	s_and_saveexec_b64 s[34:35], s[30:31]
	s_cbranch_execz .LBB125_122
; %bb.121:
	v_lshlrev_b32_e32 v9, 3, v1
	ds_write_b32 v9, v5
	ds_write_b8 v9, v7 offset:4
.LBB125_122:
	s_or_b64 exec, exec, s[34:35]
	v_cmp_gt_u32_e64 s[30:31], 4, v0
	s_waitcnt lgkmcnt(0)
	s_barrier
	s_and_saveexec_b64 s[34:35], s[30:31]
	s_cbranch_execz .LBB125_126
; %bb.123:
	v_lshlrev_b32_e32 v9, 3, v0
	ds_read_b64 v[28:29], v9
	v_and_b32_e32 v11, 3, v3
	v_cmp_ne_u32_e64 s[30:31], 0, v11
	s_waitcnt lgkmcnt(0)
	v_mov_b32_dpp v13, v28 row_shr:1 row_mask:0xf bank_mask:0xf
	v_mov_b32_dpp v17, v29 row_shr:1 row_mask:0xf bank_mask:0xf
	v_mov_b32_e32 v15, v29
	s_and_saveexec_b64 s[40:41], s[30:31]
	s_cbranch_execz .LBB125_125
; %bb.124:
	v_and_b32_e32 v15, 1, v29
	v_and_b32_e32 v17, 1, v17
	v_cmp_eq_u32_e64 s[30:31], 1, v15
	v_mov_b32_e32 v15, 0
	v_cndmask_b32_e64 v17, v17, 1, s[30:31]
	v_cmp_eq_u16_sdwa s[30:31], v29, v15 src0_sel:BYTE_0 src1_sel:DWORD
	v_cndmask_b32_e64 v13, 0, v13, s[30:31]
	v_add_u32_e32 v28, v13, v28
	v_and_b32_e32 v13, 0xffff, v17
	s_movk_i32 s30, 0xff00
	v_and_or_b32 v15, v29, s30, v13
	v_mov_b32_e32 v29, v17
.LBB125_125:
	s_or_b64 exec, exec, s[40:41]
	v_mov_b32_dpp v15, v15 row_shr:2 row_mask:0xf bank_mask:0xf
	v_and_b32_e32 v17, 1, v29
	v_and_b32_e32 v15, 1, v15
	v_cmp_eq_u32_e64 s[30:31], 1, v17
	v_mov_b32_e32 v17, 0
	v_cndmask_b32_e64 v15, v15, 1, s[30:31]
	v_cmp_eq_u16_sdwa s[40:41], v29, v17 src0_sel:BYTE_0 src1_sel:DWORD
	v_cmp_lt_u32_e64 s[30:31], 1, v11
	v_mov_b32_dpp v13, v28 row_shr:2 row_mask:0xf bank_mask:0xf
	v_cndmask_b32_e64 v11, v29, v15, s[30:31]
	s_and_b64 s[30:31], s[30:31], s[40:41]
	v_cndmask_b32_e64 v13, 0, v13, s[30:31]
	v_add_u32_e32 v13, v13, v28
	ds_write_b32 v9, v13
	ds_write_b8 v9, v11 offset:4
.LBB125_126:
	s_or_b64 exec, exec, s[34:35]
	v_cmp_lt_u32_e64 s[30:31], 63, v0
	v_mov_b32_e32 v9, 0
	s_waitcnt lgkmcnt(0)
	s_barrier
	s_and_saveexec_b64 s[34:35], s[30:31]
	s_cbranch_execz .LBB125_128
; %bb.127:
	v_lshl_add_u32 v1, v1, 3, -8
	ds_read_b32 v9, v1
	v_cmp_eq_u32_e64 s[30:31], 0, v7
	s_waitcnt lgkmcnt(0)
	v_cndmask_b32_e64 v1, 0, v9, s[30:31]
	v_add_u32_e32 v5, v1, v5
.LBB125_128:
	s_or_b64 exec, exec, s[34:35]
	v_add_u32_e32 v1, -1, v3
	v_and_b32_e32 v7, 64, v3
	v_cmp_lt_i32_e64 s[30:31], v1, v7
	v_cndmask_b32_e64 v1, v1, v3, s[30:31]
	v_lshlrev_b32_e32 v1, 2, v1
	ds_bpermute_b32 v1, v1, v5
	s_and_saveexec_b64 s[30:31], s[2:3]
	s_cbranch_execz .LBB125_130
; %bb.129:
	v_and_b32_e32 v27, 0xff, v39
	v_mov_b32_e32 v26, 0
	v_cmp_eq_u32_e64 s[2:3], 0, v3
	s_waitcnt lgkmcnt(0)
	v_cndmask_b32_e64 v1, v1, v9, s[2:3]
	v_cmp_eq_u64_e64 s[2:3], 0, v[26:27]
	v_cndmask_b32_e64 v1, 0, v1, s[2:3]
	v_add_u32_e32 v38, v1, v38
	v_cndmask_b32_e64 v1, 0, v38, s[4:5]
	v_add_u32_e32 v27, v1, v2
	;; [unrolled: 2-line block ×14, first 2 shown]
	;;#ASMSTART
	;;#ASMEND
.LBB125_130:
	s_or_b64 exec, exec, s[30:31]
	s_and_saveexec_b64 s[2:3], vcc
	s_cbranch_execz .LBB125_132
; %bb.131:
	v_mov_b32_e32 v5, 0
	ds_read_b32 v2, v5 offset:24
	ds_read_u8 v3, v5 offset:28
	s_add_u32 s4, s52, 0x400
	s_addc_u32 s5, s53, 0
	v_mov_b32_e32 v4, 2
	v_pk_mov_b32 v[6:7], s[4:5], s[4:5] op_sel:[0,1]
	s_waitcnt lgkmcnt(0)
	;;#ASMSTART
	global_store_dwordx4 v[6:7], v[2:5] off	
s_waitcnt vmcnt(0)
	;;#ASMEND
.LBB125_132:
	s_or_b64 exec, exec, s[2:3]
	v_mov_b32_e32 v26, v38
.LBB125_133:
	s_add_u32 s2, s42, s38
	s_addc_u32 s3, s43, s39
	s_add_u32 s4, s2, s36
	s_waitcnt lgkmcnt(0)
	v_mul_u32_u24_e32 v1, 14, v0
	s_addc_u32 s5, s3, s37
	s_and_b64 vcc, exec, s[0:1]
	v_lshlrev_b32_e32 v2, 2, v1
	s_cbranch_vccz .LBB125_161
; %bb.134:
	s_movk_i32 s0, 0xffcc
	v_mad_i32_i24 v3, v0, s0, v2
	s_barrier
	ds_write2_b64 v2, v[26:27], v[42:43] offset1:1
	ds_write2_b64 v2, v[30:31], v[44:45] offset0:2 offset1:3
	ds_write2_b64 v2, v[34:35], v[46:47] offset0:4 offset1:5
	ds_write_b64 v2, v[48:49] offset:48
	s_waitcnt lgkmcnt(0)
	s_barrier
	ds_read2st64_b32 v[16:17], v3 offset0:4 offset1:8
	ds_read2st64_b32 v[14:15], v3 offset0:12 offset1:16
	;; [unrolled: 1-line block ×6, first 2 shown]
	ds_read_b32 v3, v3 offset:13312
	v_mov_b32_e32 v7, s5
	v_add_co_u32_e32 v6, vcc, s4, v50
	s_add_i32 s33, s33, s54
	v_addc_co_u32_e32 v7, vcc, 0, v7, vcc
	v_mov_b32_e32 v1, 0
	v_cmp_gt_u32_e32 vcc, s33, v0
	s_and_saveexec_b64 s[0:1], vcc
	s_cbranch_execz .LBB125_136
; %bb.135:
	v_mul_i32_i24_e32 v18, 0xffffffcc, v0
	v_add_u32_e32 v18, v2, v18
	ds_read_b32 v18, v18
	s_waitcnt lgkmcnt(0)
	flat_store_dword v[6:7], v18
.LBB125_136:
	s_or_b64 exec, exec, s[0:1]
	v_or_b32_e32 v18, 0x100, v0
	v_cmp_gt_u32_e32 vcc, s33, v18
	s_and_saveexec_b64 s[0:1], vcc
	s_cbranch_execz .LBB125_138
; %bb.137:
	s_waitcnt lgkmcnt(0)
	flat_store_dword v[6:7], v16 offset:1024
.LBB125_138:
	s_or_b64 exec, exec, s[0:1]
	s_waitcnt lgkmcnt(0)
	v_or_b32_e32 v16, 0x200, v0
	v_cmp_gt_u32_e32 vcc, s33, v16
	s_and_saveexec_b64 s[0:1], vcc
	s_cbranch_execz .LBB125_140
; %bb.139:
	flat_store_dword v[6:7], v17 offset:2048
.LBB125_140:
	s_or_b64 exec, exec, s[0:1]
	v_or_b32_e32 v16, 0x300, v0
	v_cmp_gt_u32_e32 vcc, s33, v16
	s_and_saveexec_b64 s[0:1], vcc
	s_cbranch_execz .LBB125_142
; %bb.141:
	flat_store_dword v[6:7], v14 offset:3072
.LBB125_142:
	s_or_b64 exec, exec, s[0:1]
	v_or_b32_e32 v14, 0x400, v0
	v_cmp_gt_u32_e32 vcc, s33, v14
	s_and_saveexec_b64 s[0:1], vcc
	s_cbranch_execz .LBB125_144
; %bb.143:
	v_add_co_u32_e32 v16, vcc, 0x1000, v6
	v_addc_co_u32_e32 v17, vcc, 0, v7, vcc
	flat_store_dword v[16:17], v15
.LBB125_144:
	s_or_b64 exec, exec, s[0:1]
	v_or_b32_e32 v14, 0x500, v0
	v_cmp_gt_u32_e32 vcc, s33, v14
	s_and_saveexec_b64 s[0:1], vcc
	s_cbranch_execz .LBB125_146
; %bb.145:
	v_add_co_u32_e32 v14, vcc, 0x1000, v6
	v_addc_co_u32_e32 v15, vcc, 0, v7, vcc
	flat_store_dword v[14:15], v12 offset:1024
.LBB125_146:
	s_or_b64 exec, exec, s[0:1]
	v_or_b32_e32 v12, 0x600, v0
	v_cmp_gt_u32_e32 vcc, s33, v12
	s_and_saveexec_b64 s[0:1], vcc
	s_cbranch_execz .LBB125_148
; %bb.147:
	v_add_co_u32_e32 v14, vcc, 0x1000, v6
	v_addc_co_u32_e32 v15, vcc, 0, v7, vcc
	flat_store_dword v[14:15], v13 offset:2048
.LBB125_148:
	s_or_b64 exec, exec, s[0:1]
	v_or_b32_e32 v12, 0x700, v0
	v_cmp_gt_u32_e32 vcc, s33, v12
	s_and_saveexec_b64 s[0:1], vcc
	s_cbranch_execz .LBB125_150
; %bb.149:
	v_add_co_u32_e32 v12, vcc, 0x1000, v6
	v_addc_co_u32_e32 v13, vcc, 0, v7, vcc
	flat_store_dword v[12:13], v10 offset:3072
.LBB125_150:
	s_or_b64 exec, exec, s[0:1]
	v_or_b32_e32 v10, 0x800, v0
	v_cmp_gt_u32_e32 vcc, s33, v10
	s_and_saveexec_b64 s[0:1], vcc
	s_cbranch_execz .LBB125_152
; %bb.151:
	v_add_co_u32_e32 v12, vcc, 0x2000, v6
	v_addc_co_u32_e32 v13, vcc, 0, v7, vcc
	flat_store_dword v[12:13], v11
.LBB125_152:
	s_or_b64 exec, exec, s[0:1]
	v_or_b32_e32 v10, 0x900, v0
	v_cmp_gt_u32_e32 vcc, s33, v10
	s_and_saveexec_b64 s[0:1], vcc
	s_cbranch_execz .LBB125_154
; %bb.153:
	v_add_co_u32_e32 v10, vcc, 0x2000, v6
	v_addc_co_u32_e32 v11, vcc, 0, v7, vcc
	flat_store_dword v[10:11], v8 offset:1024
.LBB125_154:
	s_or_b64 exec, exec, s[0:1]
	v_or_b32_e32 v8, 0xa00, v0
	v_cmp_gt_u32_e32 vcc, s33, v8
	s_and_saveexec_b64 s[0:1], vcc
	s_cbranch_execz .LBB125_156
; %bb.155:
	v_add_co_u32_e32 v10, vcc, 0x2000, v6
	v_addc_co_u32_e32 v11, vcc, 0, v7, vcc
	flat_store_dword v[10:11], v9 offset:2048
.LBB125_156:
	;; [unrolled: 10-line block ×3, first 2 shown]
	s_or_b64 exec, exec, s[0:1]
	v_or_b32_e32 v4, 0xc00, v0
	v_cmp_gt_u32_e32 vcc, s33, v4
	s_and_saveexec_b64 s[0:1], vcc
	s_cbranch_execz .LBB125_160
; %bb.159:
	v_add_co_u32_e32 v6, vcc, 0x3000, v6
	v_addc_co_u32_e32 v7, vcc, 0, v7, vcc
	flat_store_dword v[6:7], v5
.LBB125_160:
	s_or_b64 exec, exec, s[0:1]
	v_or_b32_e32 v4, 0xd00, v0
	v_cmp_gt_u32_e64 s[0:1], s33, v4
	s_branch .LBB125_163
.LBB125_161:
	s_mov_b64 s[0:1], 0
                                        ; implicit-def: $vgpr3
	s_cbranch_execz .LBB125_163
; %bb.162:
	s_movk_i32 s2, 0xffcc
	s_waitcnt lgkmcnt(0)
	s_barrier
	ds_write2_b64 v2, v[26:27], v[42:43] offset1:1
	ds_write2_b64 v2, v[30:31], v[44:45] offset0:2 offset1:3
	ds_write2_b64 v2, v[34:35], v[46:47] offset0:4 offset1:5
	ds_write_b64 v2, v[48:49] offset:48
	v_mad_i32_i24 v2, v0, s2, v2
	v_mov_b32_e32 v17, s5
	v_add_co_u32_e32 v16, vcc, s4, v50
	s_waitcnt lgkmcnt(0)
	s_barrier
	ds_read2st64_b32 v[4:5], v2 offset1:4
	ds_read2st64_b32 v[6:7], v2 offset0:8 offset1:12
	ds_read2st64_b32 v[8:9], v2 offset0:16 offset1:20
	;; [unrolled: 1-line block ×6, first 2 shown]
	v_addc_co_u32_e32 v17, vcc, 0, v17, vcc
	s_movk_i32 s2, 0x1000
	s_waitcnt lgkmcnt(0)
	flat_store_dword v[16:17], v4
	flat_store_dword v[16:17], v5 offset:1024
	flat_store_dword v[16:17], v6 offset:2048
	;; [unrolled: 1-line block ×3, first 2 shown]
	v_add_co_u32_e32 v4, vcc, s2, v16
	v_addc_co_u32_e32 v5, vcc, 0, v17, vcc
	flat_store_dword v[4:5], v8
	flat_store_dword v[4:5], v9 offset:1024
	flat_store_dword v[4:5], v10 offset:2048
	;; [unrolled: 1-line block ×3, first 2 shown]
	v_add_co_u32_e32 v4, vcc, 0x2000, v16
	v_addc_co_u32_e32 v5, vcc, 0, v17, vcc
	flat_store_dword v[4:5], v12
	flat_store_dword v[4:5], v13 offset:1024
	flat_store_dword v[4:5], v14 offset:2048
	;; [unrolled: 1-line block ×3, first 2 shown]
	v_add_co_u32_e32 v4, vcc, 0x3000, v16
	v_mov_b32_e32 v1, 0
	v_addc_co_u32_e32 v5, vcc, 0, v17, vcc
	s_or_b64 s[0:1], s[0:1], exec
	flat_store_dword v[4:5], v2
.LBB125_163:
	s_and_saveexec_b64 s[2:3], s[0:1]
	s_cbranch_execnz .LBB125_165
; %bb.164:
	s_endpgm
.LBB125_165:
	v_lshlrev_b64 v[0:1], 2, v[0:1]
	v_mov_b32_e32 v2, s5
	v_add_co_u32_e32 v0, vcc, s4, v0
	v_addc_co_u32_e32 v1, vcc, v2, v1, vcc
	v_add_co_u32_e32 v0, vcc, 0x3000, v0
	v_addc_co_u32_e32 v1, vcc, 0, v1, vcc
	flat_store_dword v[0:1], v3 offset:1024
	s_endpgm
.LBB125_166:
	v_mov_b32_e32 v13, s55
	v_add_co_u32_e32 v14, vcc, s7, v12
	v_addc_co_u32_e32 v15, vcc, 0, v13, vcc
	flat_load_dword v13, v[14:15]
	s_or_b64 exec, exec, s[44:45]
                                        ; implicit-def: $vgpr14
	s_and_saveexec_b64 s[2:3], s[4:5]
	s_cbranch_execz .LBB125_37
.LBB125_167:
	v_mov_b32_e32 v15, s55
	v_add_co_u32_e32 v14, vcc, s7, v12
	v_addc_co_u32_e32 v15, vcc, 0, v15, vcc
	flat_load_dword v14, v[14:15] offset:1024
	s_or_b64 exec, exec, s[2:3]
                                        ; implicit-def: $vgpr15
	s_and_saveexec_b64 s[2:3], s[30:31]
	s_cbranch_execz .LBB125_38
.LBB125_168:
	v_mov_b32_e32 v15, s55
	v_add_co_u32_e32 v16, vcc, s7, v12
	v_addc_co_u32_e32 v17, vcc, 0, v15, vcc
	flat_load_dword v15, v[16:17] offset:2048
	s_or_b64 exec, exec, s[2:3]
                                        ; implicit-def: $vgpr16
	s_and_saveexec_b64 s[2:3], s[8:9]
	s_cbranch_execz .LBB125_39
.LBB125_169:
	v_mov_b32_e32 v17, s55
	v_add_co_u32_e32 v16, vcc, s7, v12
	v_addc_co_u32_e32 v17, vcc, 0, v17, vcc
	flat_load_dword v16, v[16:17] offset:3072
	s_or_b64 exec, exec, s[2:3]
                                        ; implicit-def: $vgpr17
	s_and_saveexec_b64 s[2:3], s[10:11]
	s_cbranch_execz .LBB125_40
.LBB125_170:
	v_mov_b32_e32 v17, s55
	v_add_co_u32_e32 v18, vcc, s7, v2
	v_addc_co_u32_e32 v19, vcc, 0, v17, vcc
	flat_load_dword v17, v[18:19]
	s_or_b64 exec, exec, s[2:3]
                                        ; implicit-def: $vgpr2
	s_and_saveexec_b64 s[2:3], s[12:13]
	s_cbranch_execz .LBB125_41
.LBB125_171:
	v_mov_b32_e32 v18, s55
	v_add_co_u32_e32 v2, vcc, s7, v3
	v_addc_co_u32_e32 v3, vcc, 0, v18, vcc
	flat_load_dword v2, v[2:3]
	s_or_b64 exec, exec, s[2:3]
                                        ; implicit-def: $vgpr3
	s_and_saveexec_b64 s[2:3], s[14:15]
	s_cbranch_execz .LBB125_42
.LBB125_172:
	v_mov_b32_e32 v3, s55
	v_add_co_u32_e32 v18, vcc, s7, v4
	v_addc_co_u32_e32 v19, vcc, 0, v3, vcc
	flat_load_dword v3, v[18:19]
	s_or_b64 exec, exec, s[2:3]
                                        ; implicit-def: $vgpr4
	s_and_saveexec_b64 s[2:3], s[16:17]
	s_cbranch_execz .LBB125_43
.LBB125_173:
	v_mov_b32_e32 v18, s55
	v_add_co_u32_e32 v4, vcc, s7, v5
	v_addc_co_u32_e32 v5, vcc, 0, v18, vcc
	flat_load_dword v4, v[4:5]
	s_or_b64 exec, exec, s[2:3]
                                        ; implicit-def: $vgpr5
	s_and_saveexec_b64 s[2:3], s[18:19]
	s_cbranch_execz .LBB125_44
.LBB125_174:
	v_mov_b32_e32 v5, s55
	v_add_co_u32_e32 v18, vcc, s7, v6
	v_addc_co_u32_e32 v19, vcc, 0, v5, vcc
	flat_load_dword v5, v[18:19]
	s_or_b64 exec, exec, s[2:3]
                                        ; implicit-def: $vgpr6
	s_and_saveexec_b64 s[2:3], s[20:21]
	s_cbranch_execz .LBB125_45
.LBB125_175:
	v_mov_b32_e32 v18, s55
	v_add_co_u32_e32 v6, vcc, s7, v7
	v_addc_co_u32_e32 v7, vcc, 0, v18, vcc
	flat_load_dword v6, v[6:7]
	s_or_b64 exec, exec, s[2:3]
                                        ; implicit-def: $vgpr7
	s_and_saveexec_b64 s[2:3], s[22:23]
	s_cbranch_execz .LBB125_46
.LBB125_176:
	v_mov_b32_e32 v7, s55
	v_add_co_u32_e32 v18, vcc, s7, v8
	v_addc_co_u32_e32 v19, vcc, 0, v7, vcc
	flat_load_dword v7, v[18:19]
	s_or_b64 exec, exec, s[2:3]
                                        ; implicit-def: $vgpr8
	s_and_saveexec_b64 s[2:3], s[24:25]
	s_cbranch_execz .LBB125_47
.LBB125_177:
	v_mov_b32_e32 v18, s55
	v_add_co_u32_e32 v8, vcc, s7, v9
	v_addc_co_u32_e32 v9, vcc, 0, v18, vcc
	flat_load_dword v8, v[8:9]
	s_or_b64 exec, exec, s[2:3]
                                        ; implicit-def: $vgpr9
	s_and_saveexec_b64 s[2:3], s[26:27]
	s_cbranch_execz .LBB125_48
.LBB125_178:
	v_mov_b32_e32 v9, s55
	v_add_co_u32_e32 v18, vcc, s7, v10
	v_addc_co_u32_e32 v19, vcc, 0, v9, vcc
	flat_load_dword v9, v[18:19]
	s_or_b64 exec, exec, s[2:3]
                                        ; implicit-def: $vgpr10
	s_and_saveexec_b64 s[2:3], s[28:29]
	s_cbranch_execnz .LBB125_49
	s_branch .LBB125_50
.LBB125_179:
                                        ; implicit-def: $sgpr44_sgpr45
	s_branch .LBB125_32
.LBB125_180:
                                        ; implicit-def: $sgpr2_sgpr3
	s_branch .LBB125_81
	.section	.rodata,"a",@progbits
	.p2align	6, 0x0
	.amdhsa_kernel _ZN7rocprim17ROCPRIM_400000_NS6detail17trampoline_kernelINS0_14default_configENS1_27scan_by_key_config_selectorIiiEEZZNS1_16scan_by_key_implILNS1_25lookback_scan_determinismE0ELb0ES3_N6thrust23THRUST_200600_302600_NS6detail15normal_iteratorINS9_10device_ptrIiEEEESE_SE_iNS9_4plusIvEENS9_8equal_toIvEEiEE10hipError_tPvRmT2_T3_T4_T5_mT6_T7_P12ihipStream_tbENKUlT_T0_E_clISt17integral_constantIbLb0EESZ_EEDaSU_SV_EUlSU_E_NS1_11comp_targetILNS1_3genE4ELNS1_11target_archE910ELNS1_3gpuE8ELNS1_3repE0EEENS1_30default_config_static_selectorELNS0_4arch9wavefront6targetE1EEEvT1_
		.amdhsa_group_segment_fixed_size 16384
		.amdhsa_private_segment_fixed_size 0
		.amdhsa_kernarg_size 112
		.amdhsa_user_sgpr_count 6
		.amdhsa_user_sgpr_private_segment_buffer 1
		.amdhsa_user_sgpr_dispatch_ptr 0
		.amdhsa_user_sgpr_queue_ptr 0
		.amdhsa_user_sgpr_kernarg_segment_ptr 1
		.amdhsa_user_sgpr_dispatch_id 0
		.amdhsa_user_sgpr_flat_scratch_init 0
		.amdhsa_user_sgpr_kernarg_preload_length 0
		.amdhsa_user_sgpr_kernarg_preload_offset 0
		.amdhsa_user_sgpr_private_segment_size 0
		.amdhsa_uses_dynamic_stack 0
		.amdhsa_system_sgpr_private_segment_wavefront_offset 0
		.amdhsa_system_sgpr_workgroup_id_x 1
		.amdhsa_system_sgpr_workgroup_id_y 0
		.amdhsa_system_sgpr_workgroup_id_z 0
		.amdhsa_system_sgpr_workgroup_info 0
		.amdhsa_system_vgpr_workitem_id 0
		.amdhsa_next_free_vgpr 65
		.amdhsa_next_free_sgpr 61
		.amdhsa_accum_offset 68
		.amdhsa_reserve_vcc 1
		.amdhsa_reserve_flat_scratch 0
		.amdhsa_float_round_mode_32 0
		.amdhsa_float_round_mode_16_64 0
		.amdhsa_float_denorm_mode_32 3
		.amdhsa_float_denorm_mode_16_64 3
		.amdhsa_dx10_clamp 1
		.amdhsa_ieee_mode 1
		.amdhsa_fp16_overflow 0
		.amdhsa_tg_split 0
		.amdhsa_exception_fp_ieee_invalid_op 0
		.amdhsa_exception_fp_denorm_src 0
		.amdhsa_exception_fp_ieee_div_zero 0
		.amdhsa_exception_fp_ieee_overflow 0
		.amdhsa_exception_fp_ieee_underflow 0
		.amdhsa_exception_fp_ieee_inexact 0
		.amdhsa_exception_int_div_zero 0
	.end_amdhsa_kernel
	.section	.text._ZN7rocprim17ROCPRIM_400000_NS6detail17trampoline_kernelINS0_14default_configENS1_27scan_by_key_config_selectorIiiEEZZNS1_16scan_by_key_implILNS1_25lookback_scan_determinismE0ELb0ES3_N6thrust23THRUST_200600_302600_NS6detail15normal_iteratorINS9_10device_ptrIiEEEESE_SE_iNS9_4plusIvEENS9_8equal_toIvEEiEE10hipError_tPvRmT2_T3_T4_T5_mT6_T7_P12ihipStream_tbENKUlT_T0_E_clISt17integral_constantIbLb0EESZ_EEDaSU_SV_EUlSU_E_NS1_11comp_targetILNS1_3genE4ELNS1_11target_archE910ELNS1_3gpuE8ELNS1_3repE0EEENS1_30default_config_static_selectorELNS0_4arch9wavefront6targetE1EEEvT1_,"axG",@progbits,_ZN7rocprim17ROCPRIM_400000_NS6detail17trampoline_kernelINS0_14default_configENS1_27scan_by_key_config_selectorIiiEEZZNS1_16scan_by_key_implILNS1_25lookback_scan_determinismE0ELb0ES3_N6thrust23THRUST_200600_302600_NS6detail15normal_iteratorINS9_10device_ptrIiEEEESE_SE_iNS9_4plusIvEENS9_8equal_toIvEEiEE10hipError_tPvRmT2_T3_T4_T5_mT6_T7_P12ihipStream_tbENKUlT_T0_E_clISt17integral_constantIbLb0EESZ_EEDaSU_SV_EUlSU_E_NS1_11comp_targetILNS1_3genE4ELNS1_11target_archE910ELNS1_3gpuE8ELNS1_3repE0EEENS1_30default_config_static_selectorELNS0_4arch9wavefront6targetE1EEEvT1_,comdat
.Lfunc_end125:
	.size	_ZN7rocprim17ROCPRIM_400000_NS6detail17trampoline_kernelINS0_14default_configENS1_27scan_by_key_config_selectorIiiEEZZNS1_16scan_by_key_implILNS1_25lookback_scan_determinismE0ELb0ES3_N6thrust23THRUST_200600_302600_NS6detail15normal_iteratorINS9_10device_ptrIiEEEESE_SE_iNS9_4plusIvEENS9_8equal_toIvEEiEE10hipError_tPvRmT2_T3_T4_T5_mT6_T7_P12ihipStream_tbENKUlT_T0_E_clISt17integral_constantIbLb0EESZ_EEDaSU_SV_EUlSU_E_NS1_11comp_targetILNS1_3genE4ELNS1_11target_archE910ELNS1_3gpuE8ELNS1_3repE0EEENS1_30default_config_static_selectorELNS0_4arch9wavefront6targetE1EEEvT1_, .Lfunc_end125-_ZN7rocprim17ROCPRIM_400000_NS6detail17trampoline_kernelINS0_14default_configENS1_27scan_by_key_config_selectorIiiEEZZNS1_16scan_by_key_implILNS1_25lookback_scan_determinismE0ELb0ES3_N6thrust23THRUST_200600_302600_NS6detail15normal_iteratorINS9_10device_ptrIiEEEESE_SE_iNS9_4plusIvEENS9_8equal_toIvEEiEE10hipError_tPvRmT2_T3_T4_T5_mT6_T7_P12ihipStream_tbENKUlT_T0_E_clISt17integral_constantIbLb0EESZ_EEDaSU_SV_EUlSU_E_NS1_11comp_targetILNS1_3genE4ELNS1_11target_archE910ELNS1_3gpuE8ELNS1_3repE0EEENS1_30default_config_static_selectorELNS0_4arch9wavefront6targetE1EEEvT1_
                                        ; -- End function
	.section	.AMDGPU.csdata,"",@progbits
; Kernel info:
; codeLenInByte = 10908
; NumSgprs: 65
; NumVgprs: 65
; NumAgprs: 0
; TotalNumVgprs: 65
; ScratchSize: 0
; MemoryBound: 0
; FloatMode: 240
; IeeeMode: 1
; LDSByteSize: 16384 bytes/workgroup (compile time only)
; SGPRBlocks: 8
; VGPRBlocks: 8
; NumSGPRsForWavesPerEU: 65
; NumVGPRsForWavesPerEU: 65
; AccumOffset: 68
; Occupancy: 4
; WaveLimiterHint : 1
; COMPUTE_PGM_RSRC2:SCRATCH_EN: 0
; COMPUTE_PGM_RSRC2:USER_SGPR: 6
; COMPUTE_PGM_RSRC2:TRAP_HANDLER: 0
; COMPUTE_PGM_RSRC2:TGID_X_EN: 1
; COMPUTE_PGM_RSRC2:TGID_Y_EN: 0
; COMPUTE_PGM_RSRC2:TGID_Z_EN: 0
; COMPUTE_PGM_RSRC2:TIDIG_COMP_CNT: 0
; COMPUTE_PGM_RSRC3_GFX90A:ACCUM_OFFSET: 16
; COMPUTE_PGM_RSRC3_GFX90A:TG_SPLIT: 0
	.section	.text._ZN7rocprim17ROCPRIM_400000_NS6detail17trampoline_kernelINS0_14default_configENS1_27scan_by_key_config_selectorIiiEEZZNS1_16scan_by_key_implILNS1_25lookback_scan_determinismE0ELb0ES3_N6thrust23THRUST_200600_302600_NS6detail15normal_iteratorINS9_10device_ptrIiEEEESE_SE_iNS9_4plusIvEENS9_8equal_toIvEEiEE10hipError_tPvRmT2_T3_T4_T5_mT6_T7_P12ihipStream_tbENKUlT_T0_E_clISt17integral_constantIbLb0EESZ_EEDaSU_SV_EUlSU_E_NS1_11comp_targetILNS1_3genE3ELNS1_11target_archE908ELNS1_3gpuE7ELNS1_3repE0EEENS1_30default_config_static_selectorELNS0_4arch9wavefront6targetE1EEEvT1_,"axG",@progbits,_ZN7rocprim17ROCPRIM_400000_NS6detail17trampoline_kernelINS0_14default_configENS1_27scan_by_key_config_selectorIiiEEZZNS1_16scan_by_key_implILNS1_25lookback_scan_determinismE0ELb0ES3_N6thrust23THRUST_200600_302600_NS6detail15normal_iteratorINS9_10device_ptrIiEEEESE_SE_iNS9_4plusIvEENS9_8equal_toIvEEiEE10hipError_tPvRmT2_T3_T4_T5_mT6_T7_P12ihipStream_tbENKUlT_T0_E_clISt17integral_constantIbLb0EESZ_EEDaSU_SV_EUlSU_E_NS1_11comp_targetILNS1_3genE3ELNS1_11target_archE908ELNS1_3gpuE7ELNS1_3repE0EEENS1_30default_config_static_selectorELNS0_4arch9wavefront6targetE1EEEvT1_,comdat
	.protected	_ZN7rocprim17ROCPRIM_400000_NS6detail17trampoline_kernelINS0_14default_configENS1_27scan_by_key_config_selectorIiiEEZZNS1_16scan_by_key_implILNS1_25lookback_scan_determinismE0ELb0ES3_N6thrust23THRUST_200600_302600_NS6detail15normal_iteratorINS9_10device_ptrIiEEEESE_SE_iNS9_4plusIvEENS9_8equal_toIvEEiEE10hipError_tPvRmT2_T3_T4_T5_mT6_T7_P12ihipStream_tbENKUlT_T0_E_clISt17integral_constantIbLb0EESZ_EEDaSU_SV_EUlSU_E_NS1_11comp_targetILNS1_3genE3ELNS1_11target_archE908ELNS1_3gpuE7ELNS1_3repE0EEENS1_30default_config_static_selectorELNS0_4arch9wavefront6targetE1EEEvT1_ ; -- Begin function _ZN7rocprim17ROCPRIM_400000_NS6detail17trampoline_kernelINS0_14default_configENS1_27scan_by_key_config_selectorIiiEEZZNS1_16scan_by_key_implILNS1_25lookback_scan_determinismE0ELb0ES3_N6thrust23THRUST_200600_302600_NS6detail15normal_iteratorINS9_10device_ptrIiEEEESE_SE_iNS9_4plusIvEENS9_8equal_toIvEEiEE10hipError_tPvRmT2_T3_T4_T5_mT6_T7_P12ihipStream_tbENKUlT_T0_E_clISt17integral_constantIbLb0EESZ_EEDaSU_SV_EUlSU_E_NS1_11comp_targetILNS1_3genE3ELNS1_11target_archE908ELNS1_3gpuE7ELNS1_3repE0EEENS1_30default_config_static_selectorELNS0_4arch9wavefront6targetE1EEEvT1_
	.globl	_ZN7rocprim17ROCPRIM_400000_NS6detail17trampoline_kernelINS0_14default_configENS1_27scan_by_key_config_selectorIiiEEZZNS1_16scan_by_key_implILNS1_25lookback_scan_determinismE0ELb0ES3_N6thrust23THRUST_200600_302600_NS6detail15normal_iteratorINS9_10device_ptrIiEEEESE_SE_iNS9_4plusIvEENS9_8equal_toIvEEiEE10hipError_tPvRmT2_T3_T4_T5_mT6_T7_P12ihipStream_tbENKUlT_T0_E_clISt17integral_constantIbLb0EESZ_EEDaSU_SV_EUlSU_E_NS1_11comp_targetILNS1_3genE3ELNS1_11target_archE908ELNS1_3gpuE7ELNS1_3repE0EEENS1_30default_config_static_selectorELNS0_4arch9wavefront6targetE1EEEvT1_
	.p2align	8
	.type	_ZN7rocprim17ROCPRIM_400000_NS6detail17trampoline_kernelINS0_14default_configENS1_27scan_by_key_config_selectorIiiEEZZNS1_16scan_by_key_implILNS1_25lookback_scan_determinismE0ELb0ES3_N6thrust23THRUST_200600_302600_NS6detail15normal_iteratorINS9_10device_ptrIiEEEESE_SE_iNS9_4plusIvEENS9_8equal_toIvEEiEE10hipError_tPvRmT2_T3_T4_T5_mT6_T7_P12ihipStream_tbENKUlT_T0_E_clISt17integral_constantIbLb0EESZ_EEDaSU_SV_EUlSU_E_NS1_11comp_targetILNS1_3genE3ELNS1_11target_archE908ELNS1_3gpuE7ELNS1_3repE0EEENS1_30default_config_static_selectorELNS0_4arch9wavefront6targetE1EEEvT1_,@function
_ZN7rocprim17ROCPRIM_400000_NS6detail17trampoline_kernelINS0_14default_configENS1_27scan_by_key_config_selectorIiiEEZZNS1_16scan_by_key_implILNS1_25lookback_scan_determinismE0ELb0ES3_N6thrust23THRUST_200600_302600_NS6detail15normal_iteratorINS9_10device_ptrIiEEEESE_SE_iNS9_4plusIvEENS9_8equal_toIvEEiEE10hipError_tPvRmT2_T3_T4_T5_mT6_T7_P12ihipStream_tbENKUlT_T0_E_clISt17integral_constantIbLb0EESZ_EEDaSU_SV_EUlSU_E_NS1_11comp_targetILNS1_3genE3ELNS1_11target_archE908ELNS1_3gpuE7ELNS1_3repE0EEENS1_30default_config_static_selectorELNS0_4arch9wavefront6targetE1EEEvT1_: ; @_ZN7rocprim17ROCPRIM_400000_NS6detail17trampoline_kernelINS0_14default_configENS1_27scan_by_key_config_selectorIiiEEZZNS1_16scan_by_key_implILNS1_25lookback_scan_determinismE0ELb0ES3_N6thrust23THRUST_200600_302600_NS6detail15normal_iteratorINS9_10device_ptrIiEEEESE_SE_iNS9_4plusIvEENS9_8equal_toIvEEiEE10hipError_tPvRmT2_T3_T4_T5_mT6_T7_P12ihipStream_tbENKUlT_T0_E_clISt17integral_constantIbLb0EESZ_EEDaSU_SV_EUlSU_E_NS1_11comp_targetILNS1_3genE3ELNS1_11target_archE908ELNS1_3gpuE7ELNS1_3repE0EEENS1_30default_config_static_selectorELNS0_4arch9wavefront6targetE1EEEvT1_
; %bb.0:
	.section	.rodata,"a",@progbits
	.p2align	6, 0x0
	.amdhsa_kernel _ZN7rocprim17ROCPRIM_400000_NS6detail17trampoline_kernelINS0_14default_configENS1_27scan_by_key_config_selectorIiiEEZZNS1_16scan_by_key_implILNS1_25lookback_scan_determinismE0ELb0ES3_N6thrust23THRUST_200600_302600_NS6detail15normal_iteratorINS9_10device_ptrIiEEEESE_SE_iNS9_4plusIvEENS9_8equal_toIvEEiEE10hipError_tPvRmT2_T3_T4_T5_mT6_T7_P12ihipStream_tbENKUlT_T0_E_clISt17integral_constantIbLb0EESZ_EEDaSU_SV_EUlSU_E_NS1_11comp_targetILNS1_3genE3ELNS1_11target_archE908ELNS1_3gpuE7ELNS1_3repE0EEENS1_30default_config_static_selectorELNS0_4arch9wavefront6targetE1EEEvT1_
		.amdhsa_group_segment_fixed_size 0
		.amdhsa_private_segment_fixed_size 0
		.amdhsa_kernarg_size 112
		.amdhsa_user_sgpr_count 6
		.amdhsa_user_sgpr_private_segment_buffer 1
		.amdhsa_user_sgpr_dispatch_ptr 0
		.amdhsa_user_sgpr_queue_ptr 0
		.amdhsa_user_sgpr_kernarg_segment_ptr 1
		.amdhsa_user_sgpr_dispatch_id 0
		.amdhsa_user_sgpr_flat_scratch_init 0
		.amdhsa_user_sgpr_kernarg_preload_length 0
		.amdhsa_user_sgpr_kernarg_preload_offset 0
		.amdhsa_user_sgpr_private_segment_size 0
		.amdhsa_uses_dynamic_stack 0
		.amdhsa_system_sgpr_private_segment_wavefront_offset 0
		.amdhsa_system_sgpr_workgroup_id_x 1
		.amdhsa_system_sgpr_workgroup_id_y 0
		.amdhsa_system_sgpr_workgroup_id_z 0
		.amdhsa_system_sgpr_workgroup_info 0
		.amdhsa_system_vgpr_workitem_id 0
		.amdhsa_next_free_vgpr 1
		.amdhsa_next_free_sgpr 0
		.amdhsa_accum_offset 4
		.amdhsa_reserve_vcc 0
		.amdhsa_reserve_flat_scratch 0
		.amdhsa_float_round_mode_32 0
		.amdhsa_float_round_mode_16_64 0
		.amdhsa_float_denorm_mode_32 3
		.amdhsa_float_denorm_mode_16_64 3
		.amdhsa_dx10_clamp 1
		.amdhsa_ieee_mode 1
		.amdhsa_fp16_overflow 0
		.amdhsa_tg_split 0
		.amdhsa_exception_fp_ieee_invalid_op 0
		.amdhsa_exception_fp_denorm_src 0
		.amdhsa_exception_fp_ieee_div_zero 0
		.amdhsa_exception_fp_ieee_overflow 0
		.amdhsa_exception_fp_ieee_underflow 0
		.amdhsa_exception_fp_ieee_inexact 0
		.amdhsa_exception_int_div_zero 0
	.end_amdhsa_kernel
	.section	.text._ZN7rocprim17ROCPRIM_400000_NS6detail17trampoline_kernelINS0_14default_configENS1_27scan_by_key_config_selectorIiiEEZZNS1_16scan_by_key_implILNS1_25lookback_scan_determinismE0ELb0ES3_N6thrust23THRUST_200600_302600_NS6detail15normal_iteratorINS9_10device_ptrIiEEEESE_SE_iNS9_4plusIvEENS9_8equal_toIvEEiEE10hipError_tPvRmT2_T3_T4_T5_mT6_T7_P12ihipStream_tbENKUlT_T0_E_clISt17integral_constantIbLb0EESZ_EEDaSU_SV_EUlSU_E_NS1_11comp_targetILNS1_3genE3ELNS1_11target_archE908ELNS1_3gpuE7ELNS1_3repE0EEENS1_30default_config_static_selectorELNS0_4arch9wavefront6targetE1EEEvT1_,"axG",@progbits,_ZN7rocprim17ROCPRIM_400000_NS6detail17trampoline_kernelINS0_14default_configENS1_27scan_by_key_config_selectorIiiEEZZNS1_16scan_by_key_implILNS1_25lookback_scan_determinismE0ELb0ES3_N6thrust23THRUST_200600_302600_NS6detail15normal_iteratorINS9_10device_ptrIiEEEESE_SE_iNS9_4plusIvEENS9_8equal_toIvEEiEE10hipError_tPvRmT2_T3_T4_T5_mT6_T7_P12ihipStream_tbENKUlT_T0_E_clISt17integral_constantIbLb0EESZ_EEDaSU_SV_EUlSU_E_NS1_11comp_targetILNS1_3genE3ELNS1_11target_archE908ELNS1_3gpuE7ELNS1_3repE0EEENS1_30default_config_static_selectorELNS0_4arch9wavefront6targetE1EEEvT1_,comdat
.Lfunc_end126:
	.size	_ZN7rocprim17ROCPRIM_400000_NS6detail17trampoline_kernelINS0_14default_configENS1_27scan_by_key_config_selectorIiiEEZZNS1_16scan_by_key_implILNS1_25lookback_scan_determinismE0ELb0ES3_N6thrust23THRUST_200600_302600_NS6detail15normal_iteratorINS9_10device_ptrIiEEEESE_SE_iNS9_4plusIvEENS9_8equal_toIvEEiEE10hipError_tPvRmT2_T3_T4_T5_mT6_T7_P12ihipStream_tbENKUlT_T0_E_clISt17integral_constantIbLb0EESZ_EEDaSU_SV_EUlSU_E_NS1_11comp_targetILNS1_3genE3ELNS1_11target_archE908ELNS1_3gpuE7ELNS1_3repE0EEENS1_30default_config_static_selectorELNS0_4arch9wavefront6targetE1EEEvT1_, .Lfunc_end126-_ZN7rocprim17ROCPRIM_400000_NS6detail17trampoline_kernelINS0_14default_configENS1_27scan_by_key_config_selectorIiiEEZZNS1_16scan_by_key_implILNS1_25lookback_scan_determinismE0ELb0ES3_N6thrust23THRUST_200600_302600_NS6detail15normal_iteratorINS9_10device_ptrIiEEEESE_SE_iNS9_4plusIvEENS9_8equal_toIvEEiEE10hipError_tPvRmT2_T3_T4_T5_mT6_T7_P12ihipStream_tbENKUlT_T0_E_clISt17integral_constantIbLb0EESZ_EEDaSU_SV_EUlSU_E_NS1_11comp_targetILNS1_3genE3ELNS1_11target_archE908ELNS1_3gpuE7ELNS1_3repE0EEENS1_30default_config_static_selectorELNS0_4arch9wavefront6targetE1EEEvT1_
                                        ; -- End function
	.section	.AMDGPU.csdata,"",@progbits
; Kernel info:
; codeLenInByte = 0
; NumSgprs: 4
; NumVgprs: 0
; NumAgprs: 0
; TotalNumVgprs: 0
; ScratchSize: 0
; MemoryBound: 0
; FloatMode: 240
; IeeeMode: 1
; LDSByteSize: 0 bytes/workgroup (compile time only)
; SGPRBlocks: 0
; VGPRBlocks: 0
; NumSGPRsForWavesPerEU: 4
; NumVGPRsForWavesPerEU: 1
; AccumOffset: 4
; Occupancy: 8
; WaveLimiterHint : 0
; COMPUTE_PGM_RSRC2:SCRATCH_EN: 0
; COMPUTE_PGM_RSRC2:USER_SGPR: 6
; COMPUTE_PGM_RSRC2:TRAP_HANDLER: 0
; COMPUTE_PGM_RSRC2:TGID_X_EN: 1
; COMPUTE_PGM_RSRC2:TGID_Y_EN: 0
; COMPUTE_PGM_RSRC2:TGID_Z_EN: 0
; COMPUTE_PGM_RSRC2:TIDIG_COMP_CNT: 0
; COMPUTE_PGM_RSRC3_GFX90A:ACCUM_OFFSET: 0
; COMPUTE_PGM_RSRC3_GFX90A:TG_SPLIT: 0
	.section	.text._ZN7rocprim17ROCPRIM_400000_NS6detail17trampoline_kernelINS0_14default_configENS1_27scan_by_key_config_selectorIiiEEZZNS1_16scan_by_key_implILNS1_25lookback_scan_determinismE0ELb0ES3_N6thrust23THRUST_200600_302600_NS6detail15normal_iteratorINS9_10device_ptrIiEEEESE_SE_iNS9_4plusIvEENS9_8equal_toIvEEiEE10hipError_tPvRmT2_T3_T4_T5_mT6_T7_P12ihipStream_tbENKUlT_T0_E_clISt17integral_constantIbLb0EESZ_EEDaSU_SV_EUlSU_E_NS1_11comp_targetILNS1_3genE2ELNS1_11target_archE906ELNS1_3gpuE6ELNS1_3repE0EEENS1_30default_config_static_selectorELNS0_4arch9wavefront6targetE1EEEvT1_,"axG",@progbits,_ZN7rocprim17ROCPRIM_400000_NS6detail17trampoline_kernelINS0_14default_configENS1_27scan_by_key_config_selectorIiiEEZZNS1_16scan_by_key_implILNS1_25lookback_scan_determinismE0ELb0ES3_N6thrust23THRUST_200600_302600_NS6detail15normal_iteratorINS9_10device_ptrIiEEEESE_SE_iNS9_4plusIvEENS9_8equal_toIvEEiEE10hipError_tPvRmT2_T3_T4_T5_mT6_T7_P12ihipStream_tbENKUlT_T0_E_clISt17integral_constantIbLb0EESZ_EEDaSU_SV_EUlSU_E_NS1_11comp_targetILNS1_3genE2ELNS1_11target_archE906ELNS1_3gpuE6ELNS1_3repE0EEENS1_30default_config_static_selectorELNS0_4arch9wavefront6targetE1EEEvT1_,comdat
	.protected	_ZN7rocprim17ROCPRIM_400000_NS6detail17trampoline_kernelINS0_14default_configENS1_27scan_by_key_config_selectorIiiEEZZNS1_16scan_by_key_implILNS1_25lookback_scan_determinismE0ELb0ES3_N6thrust23THRUST_200600_302600_NS6detail15normal_iteratorINS9_10device_ptrIiEEEESE_SE_iNS9_4plusIvEENS9_8equal_toIvEEiEE10hipError_tPvRmT2_T3_T4_T5_mT6_T7_P12ihipStream_tbENKUlT_T0_E_clISt17integral_constantIbLb0EESZ_EEDaSU_SV_EUlSU_E_NS1_11comp_targetILNS1_3genE2ELNS1_11target_archE906ELNS1_3gpuE6ELNS1_3repE0EEENS1_30default_config_static_selectorELNS0_4arch9wavefront6targetE1EEEvT1_ ; -- Begin function _ZN7rocprim17ROCPRIM_400000_NS6detail17trampoline_kernelINS0_14default_configENS1_27scan_by_key_config_selectorIiiEEZZNS1_16scan_by_key_implILNS1_25lookback_scan_determinismE0ELb0ES3_N6thrust23THRUST_200600_302600_NS6detail15normal_iteratorINS9_10device_ptrIiEEEESE_SE_iNS9_4plusIvEENS9_8equal_toIvEEiEE10hipError_tPvRmT2_T3_T4_T5_mT6_T7_P12ihipStream_tbENKUlT_T0_E_clISt17integral_constantIbLb0EESZ_EEDaSU_SV_EUlSU_E_NS1_11comp_targetILNS1_3genE2ELNS1_11target_archE906ELNS1_3gpuE6ELNS1_3repE0EEENS1_30default_config_static_selectorELNS0_4arch9wavefront6targetE1EEEvT1_
	.globl	_ZN7rocprim17ROCPRIM_400000_NS6detail17trampoline_kernelINS0_14default_configENS1_27scan_by_key_config_selectorIiiEEZZNS1_16scan_by_key_implILNS1_25lookback_scan_determinismE0ELb0ES3_N6thrust23THRUST_200600_302600_NS6detail15normal_iteratorINS9_10device_ptrIiEEEESE_SE_iNS9_4plusIvEENS9_8equal_toIvEEiEE10hipError_tPvRmT2_T3_T4_T5_mT6_T7_P12ihipStream_tbENKUlT_T0_E_clISt17integral_constantIbLb0EESZ_EEDaSU_SV_EUlSU_E_NS1_11comp_targetILNS1_3genE2ELNS1_11target_archE906ELNS1_3gpuE6ELNS1_3repE0EEENS1_30default_config_static_selectorELNS0_4arch9wavefront6targetE1EEEvT1_
	.p2align	8
	.type	_ZN7rocprim17ROCPRIM_400000_NS6detail17trampoline_kernelINS0_14default_configENS1_27scan_by_key_config_selectorIiiEEZZNS1_16scan_by_key_implILNS1_25lookback_scan_determinismE0ELb0ES3_N6thrust23THRUST_200600_302600_NS6detail15normal_iteratorINS9_10device_ptrIiEEEESE_SE_iNS9_4plusIvEENS9_8equal_toIvEEiEE10hipError_tPvRmT2_T3_T4_T5_mT6_T7_P12ihipStream_tbENKUlT_T0_E_clISt17integral_constantIbLb0EESZ_EEDaSU_SV_EUlSU_E_NS1_11comp_targetILNS1_3genE2ELNS1_11target_archE906ELNS1_3gpuE6ELNS1_3repE0EEENS1_30default_config_static_selectorELNS0_4arch9wavefront6targetE1EEEvT1_,@function
_ZN7rocprim17ROCPRIM_400000_NS6detail17trampoline_kernelINS0_14default_configENS1_27scan_by_key_config_selectorIiiEEZZNS1_16scan_by_key_implILNS1_25lookback_scan_determinismE0ELb0ES3_N6thrust23THRUST_200600_302600_NS6detail15normal_iteratorINS9_10device_ptrIiEEEESE_SE_iNS9_4plusIvEENS9_8equal_toIvEEiEE10hipError_tPvRmT2_T3_T4_T5_mT6_T7_P12ihipStream_tbENKUlT_T0_E_clISt17integral_constantIbLb0EESZ_EEDaSU_SV_EUlSU_E_NS1_11comp_targetILNS1_3genE2ELNS1_11target_archE906ELNS1_3gpuE6ELNS1_3repE0EEENS1_30default_config_static_selectorELNS0_4arch9wavefront6targetE1EEEvT1_: ; @_ZN7rocprim17ROCPRIM_400000_NS6detail17trampoline_kernelINS0_14default_configENS1_27scan_by_key_config_selectorIiiEEZZNS1_16scan_by_key_implILNS1_25lookback_scan_determinismE0ELb0ES3_N6thrust23THRUST_200600_302600_NS6detail15normal_iteratorINS9_10device_ptrIiEEEESE_SE_iNS9_4plusIvEENS9_8equal_toIvEEiEE10hipError_tPvRmT2_T3_T4_T5_mT6_T7_P12ihipStream_tbENKUlT_T0_E_clISt17integral_constantIbLb0EESZ_EEDaSU_SV_EUlSU_E_NS1_11comp_targetILNS1_3genE2ELNS1_11target_archE906ELNS1_3gpuE6ELNS1_3repE0EEENS1_30default_config_static_selectorELNS0_4arch9wavefront6targetE1EEEvT1_
; %bb.0:
	.section	.rodata,"a",@progbits
	.p2align	6, 0x0
	.amdhsa_kernel _ZN7rocprim17ROCPRIM_400000_NS6detail17trampoline_kernelINS0_14default_configENS1_27scan_by_key_config_selectorIiiEEZZNS1_16scan_by_key_implILNS1_25lookback_scan_determinismE0ELb0ES3_N6thrust23THRUST_200600_302600_NS6detail15normal_iteratorINS9_10device_ptrIiEEEESE_SE_iNS9_4plusIvEENS9_8equal_toIvEEiEE10hipError_tPvRmT2_T3_T4_T5_mT6_T7_P12ihipStream_tbENKUlT_T0_E_clISt17integral_constantIbLb0EESZ_EEDaSU_SV_EUlSU_E_NS1_11comp_targetILNS1_3genE2ELNS1_11target_archE906ELNS1_3gpuE6ELNS1_3repE0EEENS1_30default_config_static_selectorELNS0_4arch9wavefront6targetE1EEEvT1_
		.amdhsa_group_segment_fixed_size 0
		.amdhsa_private_segment_fixed_size 0
		.amdhsa_kernarg_size 112
		.amdhsa_user_sgpr_count 6
		.amdhsa_user_sgpr_private_segment_buffer 1
		.amdhsa_user_sgpr_dispatch_ptr 0
		.amdhsa_user_sgpr_queue_ptr 0
		.amdhsa_user_sgpr_kernarg_segment_ptr 1
		.amdhsa_user_sgpr_dispatch_id 0
		.amdhsa_user_sgpr_flat_scratch_init 0
		.amdhsa_user_sgpr_kernarg_preload_length 0
		.amdhsa_user_sgpr_kernarg_preload_offset 0
		.amdhsa_user_sgpr_private_segment_size 0
		.amdhsa_uses_dynamic_stack 0
		.amdhsa_system_sgpr_private_segment_wavefront_offset 0
		.amdhsa_system_sgpr_workgroup_id_x 1
		.amdhsa_system_sgpr_workgroup_id_y 0
		.amdhsa_system_sgpr_workgroup_id_z 0
		.amdhsa_system_sgpr_workgroup_info 0
		.amdhsa_system_vgpr_workitem_id 0
		.amdhsa_next_free_vgpr 1
		.amdhsa_next_free_sgpr 0
		.amdhsa_accum_offset 4
		.amdhsa_reserve_vcc 0
		.amdhsa_reserve_flat_scratch 0
		.amdhsa_float_round_mode_32 0
		.amdhsa_float_round_mode_16_64 0
		.amdhsa_float_denorm_mode_32 3
		.amdhsa_float_denorm_mode_16_64 3
		.amdhsa_dx10_clamp 1
		.amdhsa_ieee_mode 1
		.amdhsa_fp16_overflow 0
		.amdhsa_tg_split 0
		.amdhsa_exception_fp_ieee_invalid_op 0
		.amdhsa_exception_fp_denorm_src 0
		.amdhsa_exception_fp_ieee_div_zero 0
		.amdhsa_exception_fp_ieee_overflow 0
		.amdhsa_exception_fp_ieee_underflow 0
		.amdhsa_exception_fp_ieee_inexact 0
		.amdhsa_exception_int_div_zero 0
	.end_amdhsa_kernel
	.section	.text._ZN7rocprim17ROCPRIM_400000_NS6detail17trampoline_kernelINS0_14default_configENS1_27scan_by_key_config_selectorIiiEEZZNS1_16scan_by_key_implILNS1_25lookback_scan_determinismE0ELb0ES3_N6thrust23THRUST_200600_302600_NS6detail15normal_iteratorINS9_10device_ptrIiEEEESE_SE_iNS9_4plusIvEENS9_8equal_toIvEEiEE10hipError_tPvRmT2_T3_T4_T5_mT6_T7_P12ihipStream_tbENKUlT_T0_E_clISt17integral_constantIbLb0EESZ_EEDaSU_SV_EUlSU_E_NS1_11comp_targetILNS1_3genE2ELNS1_11target_archE906ELNS1_3gpuE6ELNS1_3repE0EEENS1_30default_config_static_selectorELNS0_4arch9wavefront6targetE1EEEvT1_,"axG",@progbits,_ZN7rocprim17ROCPRIM_400000_NS6detail17trampoline_kernelINS0_14default_configENS1_27scan_by_key_config_selectorIiiEEZZNS1_16scan_by_key_implILNS1_25lookback_scan_determinismE0ELb0ES3_N6thrust23THRUST_200600_302600_NS6detail15normal_iteratorINS9_10device_ptrIiEEEESE_SE_iNS9_4plusIvEENS9_8equal_toIvEEiEE10hipError_tPvRmT2_T3_T4_T5_mT6_T7_P12ihipStream_tbENKUlT_T0_E_clISt17integral_constantIbLb0EESZ_EEDaSU_SV_EUlSU_E_NS1_11comp_targetILNS1_3genE2ELNS1_11target_archE906ELNS1_3gpuE6ELNS1_3repE0EEENS1_30default_config_static_selectorELNS0_4arch9wavefront6targetE1EEEvT1_,comdat
.Lfunc_end127:
	.size	_ZN7rocprim17ROCPRIM_400000_NS6detail17trampoline_kernelINS0_14default_configENS1_27scan_by_key_config_selectorIiiEEZZNS1_16scan_by_key_implILNS1_25lookback_scan_determinismE0ELb0ES3_N6thrust23THRUST_200600_302600_NS6detail15normal_iteratorINS9_10device_ptrIiEEEESE_SE_iNS9_4plusIvEENS9_8equal_toIvEEiEE10hipError_tPvRmT2_T3_T4_T5_mT6_T7_P12ihipStream_tbENKUlT_T0_E_clISt17integral_constantIbLb0EESZ_EEDaSU_SV_EUlSU_E_NS1_11comp_targetILNS1_3genE2ELNS1_11target_archE906ELNS1_3gpuE6ELNS1_3repE0EEENS1_30default_config_static_selectorELNS0_4arch9wavefront6targetE1EEEvT1_, .Lfunc_end127-_ZN7rocprim17ROCPRIM_400000_NS6detail17trampoline_kernelINS0_14default_configENS1_27scan_by_key_config_selectorIiiEEZZNS1_16scan_by_key_implILNS1_25lookback_scan_determinismE0ELb0ES3_N6thrust23THRUST_200600_302600_NS6detail15normal_iteratorINS9_10device_ptrIiEEEESE_SE_iNS9_4plusIvEENS9_8equal_toIvEEiEE10hipError_tPvRmT2_T3_T4_T5_mT6_T7_P12ihipStream_tbENKUlT_T0_E_clISt17integral_constantIbLb0EESZ_EEDaSU_SV_EUlSU_E_NS1_11comp_targetILNS1_3genE2ELNS1_11target_archE906ELNS1_3gpuE6ELNS1_3repE0EEENS1_30default_config_static_selectorELNS0_4arch9wavefront6targetE1EEEvT1_
                                        ; -- End function
	.section	.AMDGPU.csdata,"",@progbits
; Kernel info:
; codeLenInByte = 0
; NumSgprs: 4
; NumVgprs: 0
; NumAgprs: 0
; TotalNumVgprs: 0
; ScratchSize: 0
; MemoryBound: 0
; FloatMode: 240
; IeeeMode: 1
; LDSByteSize: 0 bytes/workgroup (compile time only)
; SGPRBlocks: 0
; VGPRBlocks: 0
; NumSGPRsForWavesPerEU: 4
; NumVGPRsForWavesPerEU: 1
; AccumOffset: 4
; Occupancy: 8
; WaveLimiterHint : 0
; COMPUTE_PGM_RSRC2:SCRATCH_EN: 0
; COMPUTE_PGM_RSRC2:USER_SGPR: 6
; COMPUTE_PGM_RSRC2:TRAP_HANDLER: 0
; COMPUTE_PGM_RSRC2:TGID_X_EN: 1
; COMPUTE_PGM_RSRC2:TGID_Y_EN: 0
; COMPUTE_PGM_RSRC2:TGID_Z_EN: 0
; COMPUTE_PGM_RSRC2:TIDIG_COMP_CNT: 0
; COMPUTE_PGM_RSRC3_GFX90A:ACCUM_OFFSET: 0
; COMPUTE_PGM_RSRC3_GFX90A:TG_SPLIT: 0
	.section	.text._ZN7rocprim17ROCPRIM_400000_NS6detail17trampoline_kernelINS0_14default_configENS1_27scan_by_key_config_selectorIiiEEZZNS1_16scan_by_key_implILNS1_25lookback_scan_determinismE0ELb0ES3_N6thrust23THRUST_200600_302600_NS6detail15normal_iteratorINS9_10device_ptrIiEEEESE_SE_iNS9_4plusIvEENS9_8equal_toIvEEiEE10hipError_tPvRmT2_T3_T4_T5_mT6_T7_P12ihipStream_tbENKUlT_T0_E_clISt17integral_constantIbLb0EESZ_EEDaSU_SV_EUlSU_E_NS1_11comp_targetILNS1_3genE10ELNS1_11target_archE1200ELNS1_3gpuE4ELNS1_3repE0EEENS1_30default_config_static_selectorELNS0_4arch9wavefront6targetE1EEEvT1_,"axG",@progbits,_ZN7rocprim17ROCPRIM_400000_NS6detail17trampoline_kernelINS0_14default_configENS1_27scan_by_key_config_selectorIiiEEZZNS1_16scan_by_key_implILNS1_25lookback_scan_determinismE0ELb0ES3_N6thrust23THRUST_200600_302600_NS6detail15normal_iteratorINS9_10device_ptrIiEEEESE_SE_iNS9_4plusIvEENS9_8equal_toIvEEiEE10hipError_tPvRmT2_T3_T4_T5_mT6_T7_P12ihipStream_tbENKUlT_T0_E_clISt17integral_constantIbLb0EESZ_EEDaSU_SV_EUlSU_E_NS1_11comp_targetILNS1_3genE10ELNS1_11target_archE1200ELNS1_3gpuE4ELNS1_3repE0EEENS1_30default_config_static_selectorELNS0_4arch9wavefront6targetE1EEEvT1_,comdat
	.protected	_ZN7rocprim17ROCPRIM_400000_NS6detail17trampoline_kernelINS0_14default_configENS1_27scan_by_key_config_selectorIiiEEZZNS1_16scan_by_key_implILNS1_25lookback_scan_determinismE0ELb0ES3_N6thrust23THRUST_200600_302600_NS6detail15normal_iteratorINS9_10device_ptrIiEEEESE_SE_iNS9_4plusIvEENS9_8equal_toIvEEiEE10hipError_tPvRmT2_T3_T4_T5_mT6_T7_P12ihipStream_tbENKUlT_T0_E_clISt17integral_constantIbLb0EESZ_EEDaSU_SV_EUlSU_E_NS1_11comp_targetILNS1_3genE10ELNS1_11target_archE1200ELNS1_3gpuE4ELNS1_3repE0EEENS1_30default_config_static_selectorELNS0_4arch9wavefront6targetE1EEEvT1_ ; -- Begin function _ZN7rocprim17ROCPRIM_400000_NS6detail17trampoline_kernelINS0_14default_configENS1_27scan_by_key_config_selectorIiiEEZZNS1_16scan_by_key_implILNS1_25lookback_scan_determinismE0ELb0ES3_N6thrust23THRUST_200600_302600_NS6detail15normal_iteratorINS9_10device_ptrIiEEEESE_SE_iNS9_4plusIvEENS9_8equal_toIvEEiEE10hipError_tPvRmT2_T3_T4_T5_mT6_T7_P12ihipStream_tbENKUlT_T0_E_clISt17integral_constantIbLb0EESZ_EEDaSU_SV_EUlSU_E_NS1_11comp_targetILNS1_3genE10ELNS1_11target_archE1200ELNS1_3gpuE4ELNS1_3repE0EEENS1_30default_config_static_selectorELNS0_4arch9wavefront6targetE1EEEvT1_
	.globl	_ZN7rocprim17ROCPRIM_400000_NS6detail17trampoline_kernelINS0_14default_configENS1_27scan_by_key_config_selectorIiiEEZZNS1_16scan_by_key_implILNS1_25lookback_scan_determinismE0ELb0ES3_N6thrust23THRUST_200600_302600_NS6detail15normal_iteratorINS9_10device_ptrIiEEEESE_SE_iNS9_4plusIvEENS9_8equal_toIvEEiEE10hipError_tPvRmT2_T3_T4_T5_mT6_T7_P12ihipStream_tbENKUlT_T0_E_clISt17integral_constantIbLb0EESZ_EEDaSU_SV_EUlSU_E_NS1_11comp_targetILNS1_3genE10ELNS1_11target_archE1200ELNS1_3gpuE4ELNS1_3repE0EEENS1_30default_config_static_selectorELNS0_4arch9wavefront6targetE1EEEvT1_
	.p2align	8
	.type	_ZN7rocprim17ROCPRIM_400000_NS6detail17trampoline_kernelINS0_14default_configENS1_27scan_by_key_config_selectorIiiEEZZNS1_16scan_by_key_implILNS1_25lookback_scan_determinismE0ELb0ES3_N6thrust23THRUST_200600_302600_NS6detail15normal_iteratorINS9_10device_ptrIiEEEESE_SE_iNS9_4plusIvEENS9_8equal_toIvEEiEE10hipError_tPvRmT2_T3_T4_T5_mT6_T7_P12ihipStream_tbENKUlT_T0_E_clISt17integral_constantIbLb0EESZ_EEDaSU_SV_EUlSU_E_NS1_11comp_targetILNS1_3genE10ELNS1_11target_archE1200ELNS1_3gpuE4ELNS1_3repE0EEENS1_30default_config_static_selectorELNS0_4arch9wavefront6targetE1EEEvT1_,@function
_ZN7rocprim17ROCPRIM_400000_NS6detail17trampoline_kernelINS0_14default_configENS1_27scan_by_key_config_selectorIiiEEZZNS1_16scan_by_key_implILNS1_25lookback_scan_determinismE0ELb0ES3_N6thrust23THRUST_200600_302600_NS6detail15normal_iteratorINS9_10device_ptrIiEEEESE_SE_iNS9_4plusIvEENS9_8equal_toIvEEiEE10hipError_tPvRmT2_T3_T4_T5_mT6_T7_P12ihipStream_tbENKUlT_T0_E_clISt17integral_constantIbLb0EESZ_EEDaSU_SV_EUlSU_E_NS1_11comp_targetILNS1_3genE10ELNS1_11target_archE1200ELNS1_3gpuE4ELNS1_3repE0EEENS1_30default_config_static_selectorELNS0_4arch9wavefront6targetE1EEEvT1_: ; @_ZN7rocprim17ROCPRIM_400000_NS6detail17trampoline_kernelINS0_14default_configENS1_27scan_by_key_config_selectorIiiEEZZNS1_16scan_by_key_implILNS1_25lookback_scan_determinismE0ELb0ES3_N6thrust23THRUST_200600_302600_NS6detail15normal_iteratorINS9_10device_ptrIiEEEESE_SE_iNS9_4plusIvEENS9_8equal_toIvEEiEE10hipError_tPvRmT2_T3_T4_T5_mT6_T7_P12ihipStream_tbENKUlT_T0_E_clISt17integral_constantIbLb0EESZ_EEDaSU_SV_EUlSU_E_NS1_11comp_targetILNS1_3genE10ELNS1_11target_archE1200ELNS1_3gpuE4ELNS1_3repE0EEENS1_30default_config_static_selectorELNS0_4arch9wavefront6targetE1EEEvT1_
; %bb.0:
	.section	.rodata,"a",@progbits
	.p2align	6, 0x0
	.amdhsa_kernel _ZN7rocprim17ROCPRIM_400000_NS6detail17trampoline_kernelINS0_14default_configENS1_27scan_by_key_config_selectorIiiEEZZNS1_16scan_by_key_implILNS1_25lookback_scan_determinismE0ELb0ES3_N6thrust23THRUST_200600_302600_NS6detail15normal_iteratorINS9_10device_ptrIiEEEESE_SE_iNS9_4plusIvEENS9_8equal_toIvEEiEE10hipError_tPvRmT2_T3_T4_T5_mT6_T7_P12ihipStream_tbENKUlT_T0_E_clISt17integral_constantIbLb0EESZ_EEDaSU_SV_EUlSU_E_NS1_11comp_targetILNS1_3genE10ELNS1_11target_archE1200ELNS1_3gpuE4ELNS1_3repE0EEENS1_30default_config_static_selectorELNS0_4arch9wavefront6targetE1EEEvT1_
		.amdhsa_group_segment_fixed_size 0
		.amdhsa_private_segment_fixed_size 0
		.amdhsa_kernarg_size 112
		.amdhsa_user_sgpr_count 6
		.amdhsa_user_sgpr_private_segment_buffer 1
		.amdhsa_user_sgpr_dispatch_ptr 0
		.amdhsa_user_sgpr_queue_ptr 0
		.amdhsa_user_sgpr_kernarg_segment_ptr 1
		.amdhsa_user_sgpr_dispatch_id 0
		.amdhsa_user_sgpr_flat_scratch_init 0
		.amdhsa_user_sgpr_kernarg_preload_length 0
		.amdhsa_user_sgpr_kernarg_preload_offset 0
		.amdhsa_user_sgpr_private_segment_size 0
		.amdhsa_uses_dynamic_stack 0
		.amdhsa_system_sgpr_private_segment_wavefront_offset 0
		.amdhsa_system_sgpr_workgroup_id_x 1
		.amdhsa_system_sgpr_workgroup_id_y 0
		.amdhsa_system_sgpr_workgroup_id_z 0
		.amdhsa_system_sgpr_workgroup_info 0
		.amdhsa_system_vgpr_workitem_id 0
		.amdhsa_next_free_vgpr 1
		.amdhsa_next_free_sgpr 0
		.amdhsa_accum_offset 4
		.amdhsa_reserve_vcc 0
		.amdhsa_reserve_flat_scratch 0
		.amdhsa_float_round_mode_32 0
		.amdhsa_float_round_mode_16_64 0
		.amdhsa_float_denorm_mode_32 3
		.amdhsa_float_denorm_mode_16_64 3
		.amdhsa_dx10_clamp 1
		.amdhsa_ieee_mode 1
		.amdhsa_fp16_overflow 0
		.amdhsa_tg_split 0
		.amdhsa_exception_fp_ieee_invalid_op 0
		.amdhsa_exception_fp_denorm_src 0
		.amdhsa_exception_fp_ieee_div_zero 0
		.amdhsa_exception_fp_ieee_overflow 0
		.amdhsa_exception_fp_ieee_underflow 0
		.amdhsa_exception_fp_ieee_inexact 0
		.amdhsa_exception_int_div_zero 0
	.end_amdhsa_kernel
	.section	.text._ZN7rocprim17ROCPRIM_400000_NS6detail17trampoline_kernelINS0_14default_configENS1_27scan_by_key_config_selectorIiiEEZZNS1_16scan_by_key_implILNS1_25lookback_scan_determinismE0ELb0ES3_N6thrust23THRUST_200600_302600_NS6detail15normal_iteratorINS9_10device_ptrIiEEEESE_SE_iNS9_4plusIvEENS9_8equal_toIvEEiEE10hipError_tPvRmT2_T3_T4_T5_mT6_T7_P12ihipStream_tbENKUlT_T0_E_clISt17integral_constantIbLb0EESZ_EEDaSU_SV_EUlSU_E_NS1_11comp_targetILNS1_3genE10ELNS1_11target_archE1200ELNS1_3gpuE4ELNS1_3repE0EEENS1_30default_config_static_selectorELNS0_4arch9wavefront6targetE1EEEvT1_,"axG",@progbits,_ZN7rocprim17ROCPRIM_400000_NS6detail17trampoline_kernelINS0_14default_configENS1_27scan_by_key_config_selectorIiiEEZZNS1_16scan_by_key_implILNS1_25lookback_scan_determinismE0ELb0ES3_N6thrust23THRUST_200600_302600_NS6detail15normal_iteratorINS9_10device_ptrIiEEEESE_SE_iNS9_4plusIvEENS9_8equal_toIvEEiEE10hipError_tPvRmT2_T3_T4_T5_mT6_T7_P12ihipStream_tbENKUlT_T0_E_clISt17integral_constantIbLb0EESZ_EEDaSU_SV_EUlSU_E_NS1_11comp_targetILNS1_3genE10ELNS1_11target_archE1200ELNS1_3gpuE4ELNS1_3repE0EEENS1_30default_config_static_selectorELNS0_4arch9wavefront6targetE1EEEvT1_,comdat
.Lfunc_end128:
	.size	_ZN7rocprim17ROCPRIM_400000_NS6detail17trampoline_kernelINS0_14default_configENS1_27scan_by_key_config_selectorIiiEEZZNS1_16scan_by_key_implILNS1_25lookback_scan_determinismE0ELb0ES3_N6thrust23THRUST_200600_302600_NS6detail15normal_iteratorINS9_10device_ptrIiEEEESE_SE_iNS9_4plusIvEENS9_8equal_toIvEEiEE10hipError_tPvRmT2_T3_T4_T5_mT6_T7_P12ihipStream_tbENKUlT_T0_E_clISt17integral_constantIbLb0EESZ_EEDaSU_SV_EUlSU_E_NS1_11comp_targetILNS1_3genE10ELNS1_11target_archE1200ELNS1_3gpuE4ELNS1_3repE0EEENS1_30default_config_static_selectorELNS0_4arch9wavefront6targetE1EEEvT1_, .Lfunc_end128-_ZN7rocprim17ROCPRIM_400000_NS6detail17trampoline_kernelINS0_14default_configENS1_27scan_by_key_config_selectorIiiEEZZNS1_16scan_by_key_implILNS1_25lookback_scan_determinismE0ELb0ES3_N6thrust23THRUST_200600_302600_NS6detail15normal_iteratorINS9_10device_ptrIiEEEESE_SE_iNS9_4plusIvEENS9_8equal_toIvEEiEE10hipError_tPvRmT2_T3_T4_T5_mT6_T7_P12ihipStream_tbENKUlT_T0_E_clISt17integral_constantIbLb0EESZ_EEDaSU_SV_EUlSU_E_NS1_11comp_targetILNS1_3genE10ELNS1_11target_archE1200ELNS1_3gpuE4ELNS1_3repE0EEENS1_30default_config_static_selectorELNS0_4arch9wavefront6targetE1EEEvT1_
                                        ; -- End function
	.section	.AMDGPU.csdata,"",@progbits
; Kernel info:
; codeLenInByte = 0
; NumSgprs: 4
; NumVgprs: 0
; NumAgprs: 0
; TotalNumVgprs: 0
; ScratchSize: 0
; MemoryBound: 0
; FloatMode: 240
; IeeeMode: 1
; LDSByteSize: 0 bytes/workgroup (compile time only)
; SGPRBlocks: 0
; VGPRBlocks: 0
; NumSGPRsForWavesPerEU: 4
; NumVGPRsForWavesPerEU: 1
; AccumOffset: 4
; Occupancy: 8
; WaveLimiterHint : 0
; COMPUTE_PGM_RSRC2:SCRATCH_EN: 0
; COMPUTE_PGM_RSRC2:USER_SGPR: 6
; COMPUTE_PGM_RSRC2:TRAP_HANDLER: 0
; COMPUTE_PGM_RSRC2:TGID_X_EN: 1
; COMPUTE_PGM_RSRC2:TGID_Y_EN: 0
; COMPUTE_PGM_RSRC2:TGID_Z_EN: 0
; COMPUTE_PGM_RSRC2:TIDIG_COMP_CNT: 0
; COMPUTE_PGM_RSRC3_GFX90A:ACCUM_OFFSET: 0
; COMPUTE_PGM_RSRC3_GFX90A:TG_SPLIT: 0
	.section	.text._ZN7rocprim17ROCPRIM_400000_NS6detail17trampoline_kernelINS0_14default_configENS1_27scan_by_key_config_selectorIiiEEZZNS1_16scan_by_key_implILNS1_25lookback_scan_determinismE0ELb0ES3_N6thrust23THRUST_200600_302600_NS6detail15normal_iteratorINS9_10device_ptrIiEEEESE_SE_iNS9_4plusIvEENS9_8equal_toIvEEiEE10hipError_tPvRmT2_T3_T4_T5_mT6_T7_P12ihipStream_tbENKUlT_T0_E_clISt17integral_constantIbLb0EESZ_EEDaSU_SV_EUlSU_E_NS1_11comp_targetILNS1_3genE9ELNS1_11target_archE1100ELNS1_3gpuE3ELNS1_3repE0EEENS1_30default_config_static_selectorELNS0_4arch9wavefront6targetE1EEEvT1_,"axG",@progbits,_ZN7rocprim17ROCPRIM_400000_NS6detail17trampoline_kernelINS0_14default_configENS1_27scan_by_key_config_selectorIiiEEZZNS1_16scan_by_key_implILNS1_25lookback_scan_determinismE0ELb0ES3_N6thrust23THRUST_200600_302600_NS6detail15normal_iteratorINS9_10device_ptrIiEEEESE_SE_iNS9_4plusIvEENS9_8equal_toIvEEiEE10hipError_tPvRmT2_T3_T4_T5_mT6_T7_P12ihipStream_tbENKUlT_T0_E_clISt17integral_constantIbLb0EESZ_EEDaSU_SV_EUlSU_E_NS1_11comp_targetILNS1_3genE9ELNS1_11target_archE1100ELNS1_3gpuE3ELNS1_3repE0EEENS1_30default_config_static_selectorELNS0_4arch9wavefront6targetE1EEEvT1_,comdat
	.protected	_ZN7rocprim17ROCPRIM_400000_NS6detail17trampoline_kernelINS0_14default_configENS1_27scan_by_key_config_selectorIiiEEZZNS1_16scan_by_key_implILNS1_25lookback_scan_determinismE0ELb0ES3_N6thrust23THRUST_200600_302600_NS6detail15normal_iteratorINS9_10device_ptrIiEEEESE_SE_iNS9_4plusIvEENS9_8equal_toIvEEiEE10hipError_tPvRmT2_T3_T4_T5_mT6_T7_P12ihipStream_tbENKUlT_T0_E_clISt17integral_constantIbLb0EESZ_EEDaSU_SV_EUlSU_E_NS1_11comp_targetILNS1_3genE9ELNS1_11target_archE1100ELNS1_3gpuE3ELNS1_3repE0EEENS1_30default_config_static_selectorELNS0_4arch9wavefront6targetE1EEEvT1_ ; -- Begin function _ZN7rocprim17ROCPRIM_400000_NS6detail17trampoline_kernelINS0_14default_configENS1_27scan_by_key_config_selectorIiiEEZZNS1_16scan_by_key_implILNS1_25lookback_scan_determinismE0ELb0ES3_N6thrust23THRUST_200600_302600_NS6detail15normal_iteratorINS9_10device_ptrIiEEEESE_SE_iNS9_4plusIvEENS9_8equal_toIvEEiEE10hipError_tPvRmT2_T3_T4_T5_mT6_T7_P12ihipStream_tbENKUlT_T0_E_clISt17integral_constantIbLb0EESZ_EEDaSU_SV_EUlSU_E_NS1_11comp_targetILNS1_3genE9ELNS1_11target_archE1100ELNS1_3gpuE3ELNS1_3repE0EEENS1_30default_config_static_selectorELNS0_4arch9wavefront6targetE1EEEvT1_
	.globl	_ZN7rocprim17ROCPRIM_400000_NS6detail17trampoline_kernelINS0_14default_configENS1_27scan_by_key_config_selectorIiiEEZZNS1_16scan_by_key_implILNS1_25lookback_scan_determinismE0ELb0ES3_N6thrust23THRUST_200600_302600_NS6detail15normal_iteratorINS9_10device_ptrIiEEEESE_SE_iNS9_4plusIvEENS9_8equal_toIvEEiEE10hipError_tPvRmT2_T3_T4_T5_mT6_T7_P12ihipStream_tbENKUlT_T0_E_clISt17integral_constantIbLb0EESZ_EEDaSU_SV_EUlSU_E_NS1_11comp_targetILNS1_3genE9ELNS1_11target_archE1100ELNS1_3gpuE3ELNS1_3repE0EEENS1_30default_config_static_selectorELNS0_4arch9wavefront6targetE1EEEvT1_
	.p2align	8
	.type	_ZN7rocprim17ROCPRIM_400000_NS6detail17trampoline_kernelINS0_14default_configENS1_27scan_by_key_config_selectorIiiEEZZNS1_16scan_by_key_implILNS1_25lookback_scan_determinismE0ELb0ES3_N6thrust23THRUST_200600_302600_NS6detail15normal_iteratorINS9_10device_ptrIiEEEESE_SE_iNS9_4plusIvEENS9_8equal_toIvEEiEE10hipError_tPvRmT2_T3_T4_T5_mT6_T7_P12ihipStream_tbENKUlT_T0_E_clISt17integral_constantIbLb0EESZ_EEDaSU_SV_EUlSU_E_NS1_11comp_targetILNS1_3genE9ELNS1_11target_archE1100ELNS1_3gpuE3ELNS1_3repE0EEENS1_30default_config_static_selectorELNS0_4arch9wavefront6targetE1EEEvT1_,@function
_ZN7rocprim17ROCPRIM_400000_NS6detail17trampoline_kernelINS0_14default_configENS1_27scan_by_key_config_selectorIiiEEZZNS1_16scan_by_key_implILNS1_25lookback_scan_determinismE0ELb0ES3_N6thrust23THRUST_200600_302600_NS6detail15normal_iteratorINS9_10device_ptrIiEEEESE_SE_iNS9_4plusIvEENS9_8equal_toIvEEiEE10hipError_tPvRmT2_T3_T4_T5_mT6_T7_P12ihipStream_tbENKUlT_T0_E_clISt17integral_constantIbLb0EESZ_EEDaSU_SV_EUlSU_E_NS1_11comp_targetILNS1_3genE9ELNS1_11target_archE1100ELNS1_3gpuE3ELNS1_3repE0EEENS1_30default_config_static_selectorELNS0_4arch9wavefront6targetE1EEEvT1_: ; @_ZN7rocprim17ROCPRIM_400000_NS6detail17trampoline_kernelINS0_14default_configENS1_27scan_by_key_config_selectorIiiEEZZNS1_16scan_by_key_implILNS1_25lookback_scan_determinismE0ELb0ES3_N6thrust23THRUST_200600_302600_NS6detail15normal_iteratorINS9_10device_ptrIiEEEESE_SE_iNS9_4plusIvEENS9_8equal_toIvEEiEE10hipError_tPvRmT2_T3_T4_T5_mT6_T7_P12ihipStream_tbENKUlT_T0_E_clISt17integral_constantIbLb0EESZ_EEDaSU_SV_EUlSU_E_NS1_11comp_targetILNS1_3genE9ELNS1_11target_archE1100ELNS1_3gpuE3ELNS1_3repE0EEENS1_30default_config_static_selectorELNS0_4arch9wavefront6targetE1EEEvT1_
; %bb.0:
	.section	.rodata,"a",@progbits
	.p2align	6, 0x0
	.amdhsa_kernel _ZN7rocprim17ROCPRIM_400000_NS6detail17trampoline_kernelINS0_14default_configENS1_27scan_by_key_config_selectorIiiEEZZNS1_16scan_by_key_implILNS1_25lookback_scan_determinismE0ELb0ES3_N6thrust23THRUST_200600_302600_NS6detail15normal_iteratorINS9_10device_ptrIiEEEESE_SE_iNS9_4plusIvEENS9_8equal_toIvEEiEE10hipError_tPvRmT2_T3_T4_T5_mT6_T7_P12ihipStream_tbENKUlT_T0_E_clISt17integral_constantIbLb0EESZ_EEDaSU_SV_EUlSU_E_NS1_11comp_targetILNS1_3genE9ELNS1_11target_archE1100ELNS1_3gpuE3ELNS1_3repE0EEENS1_30default_config_static_selectorELNS0_4arch9wavefront6targetE1EEEvT1_
		.amdhsa_group_segment_fixed_size 0
		.amdhsa_private_segment_fixed_size 0
		.amdhsa_kernarg_size 112
		.amdhsa_user_sgpr_count 6
		.amdhsa_user_sgpr_private_segment_buffer 1
		.amdhsa_user_sgpr_dispatch_ptr 0
		.amdhsa_user_sgpr_queue_ptr 0
		.amdhsa_user_sgpr_kernarg_segment_ptr 1
		.amdhsa_user_sgpr_dispatch_id 0
		.amdhsa_user_sgpr_flat_scratch_init 0
		.amdhsa_user_sgpr_kernarg_preload_length 0
		.amdhsa_user_sgpr_kernarg_preload_offset 0
		.amdhsa_user_sgpr_private_segment_size 0
		.amdhsa_uses_dynamic_stack 0
		.amdhsa_system_sgpr_private_segment_wavefront_offset 0
		.amdhsa_system_sgpr_workgroup_id_x 1
		.amdhsa_system_sgpr_workgroup_id_y 0
		.amdhsa_system_sgpr_workgroup_id_z 0
		.amdhsa_system_sgpr_workgroup_info 0
		.amdhsa_system_vgpr_workitem_id 0
		.amdhsa_next_free_vgpr 1
		.amdhsa_next_free_sgpr 0
		.amdhsa_accum_offset 4
		.amdhsa_reserve_vcc 0
		.amdhsa_reserve_flat_scratch 0
		.amdhsa_float_round_mode_32 0
		.amdhsa_float_round_mode_16_64 0
		.amdhsa_float_denorm_mode_32 3
		.amdhsa_float_denorm_mode_16_64 3
		.amdhsa_dx10_clamp 1
		.amdhsa_ieee_mode 1
		.amdhsa_fp16_overflow 0
		.amdhsa_tg_split 0
		.amdhsa_exception_fp_ieee_invalid_op 0
		.amdhsa_exception_fp_denorm_src 0
		.amdhsa_exception_fp_ieee_div_zero 0
		.amdhsa_exception_fp_ieee_overflow 0
		.amdhsa_exception_fp_ieee_underflow 0
		.amdhsa_exception_fp_ieee_inexact 0
		.amdhsa_exception_int_div_zero 0
	.end_amdhsa_kernel
	.section	.text._ZN7rocprim17ROCPRIM_400000_NS6detail17trampoline_kernelINS0_14default_configENS1_27scan_by_key_config_selectorIiiEEZZNS1_16scan_by_key_implILNS1_25lookback_scan_determinismE0ELb0ES3_N6thrust23THRUST_200600_302600_NS6detail15normal_iteratorINS9_10device_ptrIiEEEESE_SE_iNS9_4plusIvEENS9_8equal_toIvEEiEE10hipError_tPvRmT2_T3_T4_T5_mT6_T7_P12ihipStream_tbENKUlT_T0_E_clISt17integral_constantIbLb0EESZ_EEDaSU_SV_EUlSU_E_NS1_11comp_targetILNS1_3genE9ELNS1_11target_archE1100ELNS1_3gpuE3ELNS1_3repE0EEENS1_30default_config_static_selectorELNS0_4arch9wavefront6targetE1EEEvT1_,"axG",@progbits,_ZN7rocprim17ROCPRIM_400000_NS6detail17trampoline_kernelINS0_14default_configENS1_27scan_by_key_config_selectorIiiEEZZNS1_16scan_by_key_implILNS1_25lookback_scan_determinismE0ELb0ES3_N6thrust23THRUST_200600_302600_NS6detail15normal_iteratorINS9_10device_ptrIiEEEESE_SE_iNS9_4plusIvEENS9_8equal_toIvEEiEE10hipError_tPvRmT2_T3_T4_T5_mT6_T7_P12ihipStream_tbENKUlT_T0_E_clISt17integral_constantIbLb0EESZ_EEDaSU_SV_EUlSU_E_NS1_11comp_targetILNS1_3genE9ELNS1_11target_archE1100ELNS1_3gpuE3ELNS1_3repE0EEENS1_30default_config_static_selectorELNS0_4arch9wavefront6targetE1EEEvT1_,comdat
.Lfunc_end129:
	.size	_ZN7rocprim17ROCPRIM_400000_NS6detail17trampoline_kernelINS0_14default_configENS1_27scan_by_key_config_selectorIiiEEZZNS1_16scan_by_key_implILNS1_25lookback_scan_determinismE0ELb0ES3_N6thrust23THRUST_200600_302600_NS6detail15normal_iteratorINS9_10device_ptrIiEEEESE_SE_iNS9_4plusIvEENS9_8equal_toIvEEiEE10hipError_tPvRmT2_T3_T4_T5_mT6_T7_P12ihipStream_tbENKUlT_T0_E_clISt17integral_constantIbLb0EESZ_EEDaSU_SV_EUlSU_E_NS1_11comp_targetILNS1_3genE9ELNS1_11target_archE1100ELNS1_3gpuE3ELNS1_3repE0EEENS1_30default_config_static_selectorELNS0_4arch9wavefront6targetE1EEEvT1_, .Lfunc_end129-_ZN7rocprim17ROCPRIM_400000_NS6detail17trampoline_kernelINS0_14default_configENS1_27scan_by_key_config_selectorIiiEEZZNS1_16scan_by_key_implILNS1_25lookback_scan_determinismE0ELb0ES3_N6thrust23THRUST_200600_302600_NS6detail15normal_iteratorINS9_10device_ptrIiEEEESE_SE_iNS9_4plusIvEENS9_8equal_toIvEEiEE10hipError_tPvRmT2_T3_T4_T5_mT6_T7_P12ihipStream_tbENKUlT_T0_E_clISt17integral_constantIbLb0EESZ_EEDaSU_SV_EUlSU_E_NS1_11comp_targetILNS1_3genE9ELNS1_11target_archE1100ELNS1_3gpuE3ELNS1_3repE0EEENS1_30default_config_static_selectorELNS0_4arch9wavefront6targetE1EEEvT1_
                                        ; -- End function
	.section	.AMDGPU.csdata,"",@progbits
; Kernel info:
; codeLenInByte = 0
; NumSgprs: 4
; NumVgprs: 0
; NumAgprs: 0
; TotalNumVgprs: 0
; ScratchSize: 0
; MemoryBound: 0
; FloatMode: 240
; IeeeMode: 1
; LDSByteSize: 0 bytes/workgroup (compile time only)
; SGPRBlocks: 0
; VGPRBlocks: 0
; NumSGPRsForWavesPerEU: 4
; NumVGPRsForWavesPerEU: 1
; AccumOffset: 4
; Occupancy: 8
; WaveLimiterHint : 0
; COMPUTE_PGM_RSRC2:SCRATCH_EN: 0
; COMPUTE_PGM_RSRC2:USER_SGPR: 6
; COMPUTE_PGM_RSRC2:TRAP_HANDLER: 0
; COMPUTE_PGM_RSRC2:TGID_X_EN: 1
; COMPUTE_PGM_RSRC2:TGID_Y_EN: 0
; COMPUTE_PGM_RSRC2:TGID_Z_EN: 0
; COMPUTE_PGM_RSRC2:TIDIG_COMP_CNT: 0
; COMPUTE_PGM_RSRC3_GFX90A:ACCUM_OFFSET: 0
; COMPUTE_PGM_RSRC3_GFX90A:TG_SPLIT: 0
	.section	.text._ZN7rocprim17ROCPRIM_400000_NS6detail17trampoline_kernelINS0_14default_configENS1_27scan_by_key_config_selectorIiiEEZZNS1_16scan_by_key_implILNS1_25lookback_scan_determinismE0ELb0ES3_N6thrust23THRUST_200600_302600_NS6detail15normal_iteratorINS9_10device_ptrIiEEEESE_SE_iNS9_4plusIvEENS9_8equal_toIvEEiEE10hipError_tPvRmT2_T3_T4_T5_mT6_T7_P12ihipStream_tbENKUlT_T0_E_clISt17integral_constantIbLb0EESZ_EEDaSU_SV_EUlSU_E_NS1_11comp_targetILNS1_3genE8ELNS1_11target_archE1030ELNS1_3gpuE2ELNS1_3repE0EEENS1_30default_config_static_selectorELNS0_4arch9wavefront6targetE1EEEvT1_,"axG",@progbits,_ZN7rocprim17ROCPRIM_400000_NS6detail17trampoline_kernelINS0_14default_configENS1_27scan_by_key_config_selectorIiiEEZZNS1_16scan_by_key_implILNS1_25lookback_scan_determinismE0ELb0ES3_N6thrust23THRUST_200600_302600_NS6detail15normal_iteratorINS9_10device_ptrIiEEEESE_SE_iNS9_4plusIvEENS9_8equal_toIvEEiEE10hipError_tPvRmT2_T3_T4_T5_mT6_T7_P12ihipStream_tbENKUlT_T0_E_clISt17integral_constantIbLb0EESZ_EEDaSU_SV_EUlSU_E_NS1_11comp_targetILNS1_3genE8ELNS1_11target_archE1030ELNS1_3gpuE2ELNS1_3repE0EEENS1_30default_config_static_selectorELNS0_4arch9wavefront6targetE1EEEvT1_,comdat
	.protected	_ZN7rocprim17ROCPRIM_400000_NS6detail17trampoline_kernelINS0_14default_configENS1_27scan_by_key_config_selectorIiiEEZZNS1_16scan_by_key_implILNS1_25lookback_scan_determinismE0ELb0ES3_N6thrust23THRUST_200600_302600_NS6detail15normal_iteratorINS9_10device_ptrIiEEEESE_SE_iNS9_4plusIvEENS9_8equal_toIvEEiEE10hipError_tPvRmT2_T3_T4_T5_mT6_T7_P12ihipStream_tbENKUlT_T0_E_clISt17integral_constantIbLb0EESZ_EEDaSU_SV_EUlSU_E_NS1_11comp_targetILNS1_3genE8ELNS1_11target_archE1030ELNS1_3gpuE2ELNS1_3repE0EEENS1_30default_config_static_selectorELNS0_4arch9wavefront6targetE1EEEvT1_ ; -- Begin function _ZN7rocprim17ROCPRIM_400000_NS6detail17trampoline_kernelINS0_14default_configENS1_27scan_by_key_config_selectorIiiEEZZNS1_16scan_by_key_implILNS1_25lookback_scan_determinismE0ELb0ES3_N6thrust23THRUST_200600_302600_NS6detail15normal_iteratorINS9_10device_ptrIiEEEESE_SE_iNS9_4plusIvEENS9_8equal_toIvEEiEE10hipError_tPvRmT2_T3_T4_T5_mT6_T7_P12ihipStream_tbENKUlT_T0_E_clISt17integral_constantIbLb0EESZ_EEDaSU_SV_EUlSU_E_NS1_11comp_targetILNS1_3genE8ELNS1_11target_archE1030ELNS1_3gpuE2ELNS1_3repE0EEENS1_30default_config_static_selectorELNS0_4arch9wavefront6targetE1EEEvT1_
	.globl	_ZN7rocprim17ROCPRIM_400000_NS6detail17trampoline_kernelINS0_14default_configENS1_27scan_by_key_config_selectorIiiEEZZNS1_16scan_by_key_implILNS1_25lookback_scan_determinismE0ELb0ES3_N6thrust23THRUST_200600_302600_NS6detail15normal_iteratorINS9_10device_ptrIiEEEESE_SE_iNS9_4plusIvEENS9_8equal_toIvEEiEE10hipError_tPvRmT2_T3_T4_T5_mT6_T7_P12ihipStream_tbENKUlT_T0_E_clISt17integral_constantIbLb0EESZ_EEDaSU_SV_EUlSU_E_NS1_11comp_targetILNS1_3genE8ELNS1_11target_archE1030ELNS1_3gpuE2ELNS1_3repE0EEENS1_30default_config_static_selectorELNS0_4arch9wavefront6targetE1EEEvT1_
	.p2align	8
	.type	_ZN7rocprim17ROCPRIM_400000_NS6detail17trampoline_kernelINS0_14default_configENS1_27scan_by_key_config_selectorIiiEEZZNS1_16scan_by_key_implILNS1_25lookback_scan_determinismE0ELb0ES3_N6thrust23THRUST_200600_302600_NS6detail15normal_iteratorINS9_10device_ptrIiEEEESE_SE_iNS9_4plusIvEENS9_8equal_toIvEEiEE10hipError_tPvRmT2_T3_T4_T5_mT6_T7_P12ihipStream_tbENKUlT_T0_E_clISt17integral_constantIbLb0EESZ_EEDaSU_SV_EUlSU_E_NS1_11comp_targetILNS1_3genE8ELNS1_11target_archE1030ELNS1_3gpuE2ELNS1_3repE0EEENS1_30default_config_static_selectorELNS0_4arch9wavefront6targetE1EEEvT1_,@function
_ZN7rocprim17ROCPRIM_400000_NS6detail17trampoline_kernelINS0_14default_configENS1_27scan_by_key_config_selectorIiiEEZZNS1_16scan_by_key_implILNS1_25lookback_scan_determinismE0ELb0ES3_N6thrust23THRUST_200600_302600_NS6detail15normal_iteratorINS9_10device_ptrIiEEEESE_SE_iNS9_4plusIvEENS9_8equal_toIvEEiEE10hipError_tPvRmT2_T3_T4_T5_mT6_T7_P12ihipStream_tbENKUlT_T0_E_clISt17integral_constantIbLb0EESZ_EEDaSU_SV_EUlSU_E_NS1_11comp_targetILNS1_3genE8ELNS1_11target_archE1030ELNS1_3gpuE2ELNS1_3repE0EEENS1_30default_config_static_selectorELNS0_4arch9wavefront6targetE1EEEvT1_: ; @_ZN7rocprim17ROCPRIM_400000_NS6detail17trampoline_kernelINS0_14default_configENS1_27scan_by_key_config_selectorIiiEEZZNS1_16scan_by_key_implILNS1_25lookback_scan_determinismE0ELb0ES3_N6thrust23THRUST_200600_302600_NS6detail15normal_iteratorINS9_10device_ptrIiEEEESE_SE_iNS9_4plusIvEENS9_8equal_toIvEEiEE10hipError_tPvRmT2_T3_T4_T5_mT6_T7_P12ihipStream_tbENKUlT_T0_E_clISt17integral_constantIbLb0EESZ_EEDaSU_SV_EUlSU_E_NS1_11comp_targetILNS1_3genE8ELNS1_11target_archE1030ELNS1_3gpuE2ELNS1_3repE0EEENS1_30default_config_static_selectorELNS0_4arch9wavefront6targetE1EEEvT1_
; %bb.0:
	.section	.rodata,"a",@progbits
	.p2align	6, 0x0
	.amdhsa_kernel _ZN7rocprim17ROCPRIM_400000_NS6detail17trampoline_kernelINS0_14default_configENS1_27scan_by_key_config_selectorIiiEEZZNS1_16scan_by_key_implILNS1_25lookback_scan_determinismE0ELb0ES3_N6thrust23THRUST_200600_302600_NS6detail15normal_iteratorINS9_10device_ptrIiEEEESE_SE_iNS9_4plusIvEENS9_8equal_toIvEEiEE10hipError_tPvRmT2_T3_T4_T5_mT6_T7_P12ihipStream_tbENKUlT_T0_E_clISt17integral_constantIbLb0EESZ_EEDaSU_SV_EUlSU_E_NS1_11comp_targetILNS1_3genE8ELNS1_11target_archE1030ELNS1_3gpuE2ELNS1_3repE0EEENS1_30default_config_static_selectorELNS0_4arch9wavefront6targetE1EEEvT1_
		.amdhsa_group_segment_fixed_size 0
		.amdhsa_private_segment_fixed_size 0
		.amdhsa_kernarg_size 112
		.amdhsa_user_sgpr_count 6
		.amdhsa_user_sgpr_private_segment_buffer 1
		.amdhsa_user_sgpr_dispatch_ptr 0
		.amdhsa_user_sgpr_queue_ptr 0
		.amdhsa_user_sgpr_kernarg_segment_ptr 1
		.amdhsa_user_sgpr_dispatch_id 0
		.amdhsa_user_sgpr_flat_scratch_init 0
		.amdhsa_user_sgpr_kernarg_preload_length 0
		.amdhsa_user_sgpr_kernarg_preload_offset 0
		.amdhsa_user_sgpr_private_segment_size 0
		.amdhsa_uses_dynamic_stack 0
		.amdhsa_system_sgpr_private_segment_wavefront_offset 0
		.amdhsa_system_sgpr_workgroup_id_x 1
		.amdhsa_system_sgpr_workgroup_id_y 0
		.amdhsa_system_sgpr_workgroup_id_z 0
		.amdhsa_system_sgpr_workgroup_info 0
		.amdhsa_system_vgpr_workitem_id 0
		.amdhsa_next_free_vgpr 1
		.amdhsa_next_free_sgpr 0
		.amdhsa_accum_offset 4
		.amdhsa_reserve_vcc 0
		.amdhsa_reserve_flat_scratch 0
		.amdhsa_float_round_mode_32 0
		.amdhsa_float_round_mode_16_64 0
		.amdhsa_float_denorm_mode_32 3
		.amdhsa_float_denorm_mode_16_64 3
		.amdhsa_dx10_clamp 1
		.amdhsa_ieee_mode 1
		.amdhsa_fp16_overflow 0
		.amdhsa_tg_split 0
		.amdhsa_exception_fp_ieee_invalid_op 0
		.amdhsa_exception_fp_denorm_src 0
		.amdhsa_exception_fp_ieee_div_zero 0
		.amdhsa_exception_fp_ieee_overflow 0
		.amdhsa_exception_fp_ieee_underflow 0
		.amdhsa_exception_fp_ieee_inexact 0
		.amdhsa_exception_int_div_zero 0
	.end_amdhsa_kernel
	.section	.text._ZN7rocprim17ROCPRIM_400000_NS6detail17trampoline_kernelINS0_14default_configENS1_27scan_by_key_config_selectorIiiEEZZNS1_16scan_by_key_implILNS1_25lookback_scan_determinismE0ELb0ES3_N6thrust23THRUST_200600_302600_NS6detail15normal_iteratorINS9_10device_ptrIiEEEESE_SE_iNS9_4plusIvEENS9_8equal_toIvEEiEE10hipError_tPvRmT2_T3_T4_T5_mT6_T7_P12ihipStream_tbENKUlT_T0_E_clISt17integral_constantIbLb0EESZ_EEDaSU_SV_EUlSU_E_NS1_11comp_targetILNS1_3genE8ELNS1_11target_archE1030ELNS1_3gpuE2ELNS1_3repE0EEENS1_30default_config_static_selectorELNS0_4arch9wavefront6targetE1EEEvT1_,"axG",@progbits,_ZN7rocprim17ROCPRIM_400000_NS6detail17trampoline_kernelINS0_14default_configENS1_27scan_by_key_config_selectorIiiEEZZNS1_16scan_by_key_implILNS1_25lookback_scan_determinismE0ELb0ES3_N6thrust23THRUST_200600_302600_NS6detail15normal_iteratorINS9_10device_ptrIiEEEESE_SE_iNS9_4plusIvEENS9_8equal_toIvEEiEE10hipError_tPvRmT2_T3_T4_T5_mT6_T7_P12ihipStream_tbENKUlT_T0_E_clISt17integral_constantIbLb0EESZ_EEDaSU_SV_EUlSU_E_NS1_11comp_targetILNS1_3genE8ELNS1_11target_archE1030ELNS1_3gpuE2ELNS1_3repE0EEENS1_30default_config_static_selectorELNS0_4arch9wavefront6targetE1EEEvT1_,comdat
.Lfunc_end130:
	.size	_ZN7rocprim17ROCPRIM_400000_NS6detail17trampoline_kernelINS0_14default_configENS1_27scan_by_key_config_selectorIiiEEZZNS1_16scan_by_key_implILNS1_25lookback_scan_determinismE0ELb0ES3_N6thrust23THRUST_200600_302600_NS6detail15normal_iteratorINS9_10device_ptrIiEEEESE_SE_iNS9_4plusIvEENS9_8equal_toIvEEiEE10hipError_tPvRmT2_T3_T4_T5_mT6_T7_P12ihipStream_tbENKUlT_T0_E_clISt17integral_constantIbLb0EESZ_EEDaSU_SV_EUlSU_E_NS1_11comp_targetILNS1_3genE8ELNS1_11target_archE1030ELNS1_3gpuE2ELNS1_3repE0EEENS1_30default_config_static_selectorELNS0_4arch9wavefront6targetE1EEEvT1_, .Lfunc_end130-_ZN7rocprim17ROCPRIM_400000_NS6detail17trampoline_kernelINS0_14default_configENS1_27scan_by_key_config_selectorIiiEEZZNS1_16scan_by_key_implILNS1_25lookback_scan_determinismE0ELb0ES3_N6thrust23THRUST_200600_302600_NS6detail15normal_iteratorINS9_10device_ptrIiEEEESE_SE_iNS9_4plusIvEENS9_8equal_toIvEEiEE10hipError_tPvRmT2_T3_T4_T5_mT6_T7_P12ihipStream_tbENKUlT_T0_E_clISt17integral_constantIbLb0EESZ_EEDaSU_SV_EUlSU_E_NS1_11comp_targetILNS1_3genE8ELNS1_11target_archE1030ELNS1_3gpuE2ELNS1_3repE0EEENS1_30default_config_static_selectorELNS0_4arch9wavefront6targetE1EEEvT1_
                                        ; -- End function
	.section	.AMDGPU.csdata,"",@progbits
; Kernel info:
; codeLenInByte = 0
; NumSgprs: 4
; NumVgprs: 0
; NumAgprs: 0
; TotalNumVgprs: 0
; ScratchSize: 0
; MemoryBound: 0
; FloatMode: 240
; IeeeMode: 1
; LDSByteSize: 0 bytes/workgroup (compile time only)
; SGPRBlocks: 0
; VGPRBlocks: 0
; NumSGPRsForWavesPerEU: 4
; NumVGPRsForWavesPerEU: 1
; AccumOffset: 4
; Occupancy: 8
; WaveLimiterHint : 0
; COMPUTE_PGM_RSRC2:SCRATCH_EN: 0
; COMPUTE_PGM_RSRC2:USER_SGPR: 6
; COMPUTE_PGM_RSRC2:TRAP_HANDLER: 0
; COMPUTE_PGM_RSRC2:TGID_X_EN: 1
; COMPUTE_PGM_RSRC2:TGID_Y_EN: 0
; COMPUTE_PGM_RSRC2:TGID_Z_EN: 0
; COMPUTE_PGM_RSRC2:TIDIG_COMP_CNT: 0
; COMPUTE_PGM_RSRC3_GFX90A:ACCUM_OFFSET: 0
; COMPUTE_PGM_RSRC3_GFX90A:TG_SPLIT: 0
	.section	.text._ZN7rocprim17ROCPRIM_400000_NS6detail30init_device_scan_by_key_kernelINS1_19lookback_scan_stateINS0_5tupleIJibEEELb1ELb1EEEN6thrust23THRUST_200600_302600_NS6detail15normal_iteratorINS8_10device_ptrIiEEEEjNS1_16block_id_wrapperIjLb1EEEEEvT_jjPNSG_10value_typeET0_PNSt15iterator_traitsISJ_E10value_typeEmT1_T2_,"axG",@progbits,_ZN7rocprim17ROCPRIM_400000_NS6detail30init_device_scan_by_key_kernelINS1_19lookback_scan_stateINS0_5tupleIJibEEELb1ELb1EEEN6thrust23THRUST_200600_302600_NS6detail15normal_iteratorINS8_10device_ptrIiEEEEjNS1_16block_id_wrapperIjLb1EEEEEvT_jjPNSG_10value_typeET0_PNSt15iterator_traitsISJ_E10value_typeEmT1_T2_,comdat
	.protected	_ZN7rocprim17ROCPRIM_400000_NS6detail30init_device_scan_by_key_kernelINS1_19lookback_scan_stateINS0_5tupleIJibEEELb1ELb1EEEN6thrust23THRUST_200600_302600_NS6detail15normal_iteratorINS8_10device_ptrIiEEEEjNS1_16block_id_wrapperIjLb1EEEEEvT_jjPNSG_10value_typeET0_PNSt15iterator_traitsISJ_E10value_typeEmT1_T2_ ; -- Begin function _ZN7rocprim17ROCPRIM_400000_NS6detail30init_device_scan_by_key_kernelINS1_19lookback_scan_stateINS0_5tupleIJibEEELb1ELb1EEEN6thrust23THRUST_200600_302600_NS6detail15normal_iteratorINS8_10device_ptrIiEEEEjNS1_16block_id_wrapperIjLb1EEEEEvT_jjPNSG_10value_typeET0_PNSt15iterator_traitsISJ_E10value_typeEmT1_T2_
	.globl	_ZN7rocprim17ROCPRIM_400000_NS6detail30init_device_scan_by_key_kernelINS1_19lookback_scan_stateINS0_5tupleIJibEEELb1ELb1EEEN6thrust23THRUST_200600_302600_NS6detail15normal_iteratorINS8_10device_ptrIiEEEEjNS1_16block_id_wrapperIjLb1EEEEEvT_jjPNSG_10value_typeET0_PNSt15iterator_traitsISJ_E10value_typeEmT1_T2_
	.p2align	8
	.type	_ZN7rocprim17ROCPRIM_400000_NS6detail30init_device_scan_by_key_kernelINS1_19lookback_scan_stateINS0_5tupleIJibEEELb1ELb1EEEN6thrust23THRUST_200600_302600_NS6detail15normal_iteratorINS8_10device_ptrIiEEEEjNS1_16block_id_wrapperIjLb1EEEEEvT_jjPNSG_10value_typeET0_PNSt15iterator_traitsISJ_E10value_typeEmT1_T2_,@function
_ZN7rocprim17ROCPRIM_400000_NS6detail30init_device_scan_by_key_kernelINS1_19lookback_scan_stateINS0_5tupleIJibEEELb1ELb1EEEN6thrust23THRUST_200600_302600_NS6detail15normal_iteratorINS8_10device_ptrIiEEEEjNS1_16block_id_wrapperIjLb1EEEEEvT_jjPNSG_10value_typeET0_PNSt15iterator_traitsISJ_E10value_typeEmT1_T2_: ; @_ZN7rocprim17ROCPRIM_400000_NS6detail30init_device_scan_by_key_kernelINS1_19lookback_scan_stateINS0_5tupleIJibEEELb1ELb1EEEN6thrust23THRUST_200600_302600_NS6detail15normal_iteratorINS8_10device_ptrIiEEEEjNS1_16block_id_wrapperIjLb1EEEEEvT_jjPNSG_10value_typeET0_PNSt15iterator_traitsISJ_E10value_typeEmT1_T2_
; %bb.0:
	s_load_dword s0, s[4:5], 0x4c
	s_load_dwordx8 s[8:15], s[4:5], 0x0
	s_load_dword s18, s[4:5], 0x40
	s_waitcnt lgkmcnt(0)
	s_and_b32 s19, s0, 0xffff
	s_mul_i32 s6, s6, s19
	s_cmp_eq_u64 s[12:13], 0
	v_add_u32_e32 v4, s6, v0
	s_cbranch_scc1 .LBB131_10
; %bb.1:
	s_cmp_lt_u32 s11, s10
	s_cselect_b32 s0, s11, 0
	s_mov_b32 s3, 0
	v_cmp_eq_u32_e32 vcc, s0, v4
	s_and_saveexec_b64 s[0:1], vcc
	s_cbranch_execz .LBB131_9
; %bb.2:
	s_add_i32 s2, s11, 64
	s_lshl_b64 s[2:3], s[2:3], 4
	s_add_u32 s16, s8, s2
	s_addc_u32 s17, s9, s3
	v_pk_mov_b32 v[0:1], s[16:17], s[16:17] op_sel:[0,1]
	;;#ASMSTART
	global_load_dwordx4 v[0:3], v[0:1] off glc	
s_waitcnt vmcnt(0)
	;;#ASMEND
	v_mov_b32_e32 v7, 0
	v_and_b32_e32 v6, 0xff, v2
	s_mov_b64 s[6:7], 0
	v_cmp_eq_u64_e32 vcc, 0, v[6:7]
	s_and_saveexec_b64 s[2:3], vcc
	s_cbranch_execz .LBB131_8
; %bb.3:
	s_mov_b32 s11, 1
	v_pk_mov_b32 v[8:9], s[16:17], s[16:17] op_sel:[0,1]
.LBB131_4:                              ; =>This Loop Header: Depth=1
                                        ;     Child Loop BB131_5 Depth 2
	s_max_u32 s16, s11, 1
.LBB131_5:                              ;   Parent Loop BB131_4 Depth=1
                                        ; =>  This Inner Loop Header: Depth=2
	s_add_i32 s16, s16, -1
	s_cmp_eq_u32 s16, 0
	s_sleep 1
	s_cbranch_scc0 .LBB131_5
; %bb.6:                                ;   in Loop: Header=BB131_4 Depth=1
	s_cmp_lt_u32 s11, 32
	s_cselect_b64 s[16:17], -1, 0
	s_cmp_lg_u64 s[16:17], 0
	;;#ASMSTART
	global_load_dwordx4 v[0:3], v[8:9] off glc	
s_waitcnt vmcnt(0)
	;;#ASMEND
	v_and_b32_e32 v6, 0xff, v2
	s_addc_u32 s11, s11, 0
	v_cmp_ne_u64_e32 vcc, 0, v[6:7]
	s_or_b64 s[6:7], vcc, s[6:7]
	s_andn2_b64 exec, exec, s[6:7]
	s_cbranch_execnz .LBB131_4
; %bb.7:
	s_or_b64 exec, exec, s[6:7]
.LBB131_8:
	s_or_b64 exec, exec, s[2:3]
	v_mov_b32_e32 v2, 0
	global_store_dword v2, v0, s[12:13]
	global_store_byte v2, v1, s[12:13] offset:4
.LBB131_9:
	s_or_b64 exec, exec, s[0:1]
.LBB131_10:
	v_cmp_eq_u32_e32 vcc, 0, v4
	s_and_saveexec_b64 s[0:1], vcc
	s_cbranch_execz .LBB131_12
; %bb.11:
	s_load_dwordx2 s[2:3], s[4:5], 0x38
	v_mov_b32_e32 v0, 0
	s_waitcnt lgkmcnt(0)
	global_store_dword v0, v0, s[2:3]
.LBB131_12:
	s_or_b64 exec, exec, s[0:1]
	v_cmp_gt_u32_e32 vcc, s10, v4
	s_and_saveexec_b64 s[0:1], vcc
	s_cbranch_execz .LBB131_14
; %bb.13:
	v_add_u32_e32 v0, 64, v4
	v_mov_b32_e32 v1, 0
	v_lshlrev_b64 v[2:3], 4, v[0:1]
	v_mov_b32_e32 v0, s9
	v_add_co_u32_e32 v6, vcc, s8, v2
	v_addc_co_u32_e32 v7, vcc, v0, v3, vcc
	v_mov_b32_e32 v0, v1
	v_mov_b32_e32 v2, v1
	;; [unrolled: 1-line block ×3, first 2 shown]
	global_store_dwordx4 v[6:7], v[0:3], off
.LBB131_14:
	s_or_b64 exec, exec, s[0:1]
	v_cmp_gt_u32_e32 vcc, 64, v4
	v_mov_b32_e32 v5, 0
	s_and_saveexec_b64 s[0:1], vcc
	s_cbranch_execz .LBB131_16
; %bb.15:
	v_lshlrev_b64 v[0:1], 4, v[4:5]
	v_mov_b32_e32 v2, s9
	v_add_co_u32_e32 v6, vcc, s8, v0
	v_addc_co_u32_e32 v7, vcc, v2, v1, vcc
	v_mov_b32_e32 v2, 0xff
	v_mov_b32_e32 v0, v5
	v_mov_b32_e32 v1, v5
	v_mov_b32_e32 v3, v5
	global_store_dwordx4 v[6:7], v[0:3], off
.LBB131_16:
	s_or_b64 exec, exec, s[0:1]
	s_load_dwordx2 s[0:1], s[4:5], 0x28
	s_waitcnt lgkmcnt(0)
	v_cmp_gt_u64_e32 vcc, s[0:1], v[4:5]
	s_and_saveexec_b64 s[2:3], vcc
	s_cbranch_execz .LBB131_19
; %bb.17:
	s_load_dword s10, s[4:5], 0x30
	s_load_dwordx2 s[6:7], s[4:5], 0x20
	s_mov_b32 s5, 0
	s_mov_b32 s3, s5
	s_mul_i32 s2, s18, s19
	s_waitcnt lgkmcnt(0)
	s_add_i32 s4, s10, -1
	s_lshl_b64 s[4:5], s[4:5], 2
	v_mad_u64_u32 v[0:1], s[8:9], s10, v4, 0
	s_add_u32 s4, s14, s4
	v_lshlrev_b64 v[0:1], 2, v[0:1]
	s_addc_u32 s5, s15, s5
	v_mov_b32_e32 v2, s5
	v_add_co_u32_e32 v0, vcc, s4, v0
	v_addc_co_u32_e32 v1, vcc, v2, v1, vcc
	s_mul_hi_u32 s5, s10, s2
	s_mul_i32 s4, s10, s2
	v_lshlrev_b64 v[2:3], 2, v[4:5]
	s_lshl_b64 s[4:5], s[4:5], 2
	v_mov_b32_e32 v6, s7
	v_add_co_u32_e32 v2, vcc, s6, v2
	s_lshl_b64 s[6:7], s[2:3], 2
	v_addc_co_u32_e32 v3, vcc, v6, v3, vcc
	s_mov_b64 s[8:9], 0
	v_mov_b32_e32 v6, s3
	v_mov_b32_e32 v7, s5
	;; [unrolled: 1-line block ×3, first 2 shown]
.LBB131_18:                             ; =>This Inner Loop Header: Depth=1
	global_load_dword v9, v[0:1], off
	v_add_co_u32_e32 v4, vcc, s2, v4
	v_addc_co_u32_e32 v5, vcc, v5, v6, vcc
	v_add_co_u32_e32 v0, vcc, s4, v0
	v_addc_co_u32_e32 v1, vcc, v1, v7, vcc
	v_cmp_le_u64_e32 vcc, s[0:1], v[4:5]
	s_or_b64 s[8:9], vcc, s[8:9]
	s_waitcnt vmcnt(0)
	global_store_dword v[2:3], v9, off
	v_add_co_u32_e32 v2, vcc, s6, v2
	v_addc_co_u32_e32 v3, vcc, v3, v8, vcc
	s_andn2_b64 exec, exec, s[8:9]
	s_cbranch_execnz .LBB131_18
.LBB131_19:
	s_endpgm
	.section	.rodata,"a",@progbits
	.p2align	6, 0x0
	.amdhsa_kernel _ZN7rocprim17ROCPRIM_400000_NS6detail30init_device_scan_by_key_kernelINS1_19lookback_scan_stateINS0_5tupleIJibEEELb1ELb1EEEN6thrust23THRUST_200600_302600_NS6detail15normal_iteratorINS8_10device_ptrIiEEEEjNS1_16block_id_wrapperIjLb1EEEEEvT_jjPNSG_10value_typeET0_PNSt15iterator_traitsISJ_E10value_typeEmT1_T2_
		.amdhsa_group_segment_fixed_size 0
		.amdhsa_private_segment_fixed_size 0
		.amdhsa_kernarg_size 320
		.amdhsa_user_sgpr_count 6
		.amdhsa_user_sgpr_private_segment_buffer 1
		.amdhsa_user_sgpr_dispatch_ptr 0
		.amdhsa_user_sgpr_queue_ptr 0
		.amdhsa_user_sgpr_kernarg_segment_ptr 1
		.amdhsa_user_sgpr_dispatch_id 0
		.amdhsa_user_sgpr_flat_scratch_init 0
		.amdhsa_user_sgpr_kernarg_preload_length 0
		.amdhsa_user_sgpr_kernarg_preload_offset 0
		.amdhsa_user_sgpr_private_segment_size 0
		.amdhsa_uses_dynamic_stack 0
		.amdhsa_system_sgpr_private_segment_wavefront_offset 0
		.amdhsa_system_sgpr_workgroup_id_x 1
		.amdhsa_system_sgpr_workgroup_id_y 0
		.amdhsa_system_sgpr_workgroup_id_z 0
		.amdhsa_system_sgpr_workgroup_info 0
		.amdhsa_system_vgpr_workitem_id 0
		.amdhsa_next_free_vgpr 10
		.amdhsa_next_free_sgpr 20
		.amdhsa_accum_offset 12
		.amdhsa_reserve_vcc 1
		.amdhsa_reserve_flat_scratch 0
		.amdhsa_float_round_mode_32 0
		.amdhsa_float_round_mode_16_64 0
		.amdhsa_float_denorm_mode_32 3
		.amdhsa_float_denorm_mode_16_64 3
		.amdhsa_dx10_clamp 1
		.amdhsa_ieee_mode 1
		.amdhsa_fp16_overflow 0
		.amdhsa_tg_split 0
		.amdhsa_exception_fp_ieee_invalid_op 0
		.amdhsa_exception_fp_denorm_src 0
		.amdhsa_exception_fp_ieee_div_zero 0
		.amdhsa_exception_fp_ieee_overflow 0
		.amdhsa_exception_fp_ieee_underflow 0
		.amdhsa_exception_fp_ieee_inexact 0
		.amdhsa_exception_int_div_zero 0
	.end_amdhsa_kernel
	.section	.text._ZN7rocprim17ROCPRIM_400000_NS6detail30init_device_scan_by_key_kernelINS1_19lookback_scan_stateINS0_5tupleIJibEEELb1ELb1EEEN6thrust23THRUST_200600_302600_NS6detail15normal_iteratorINS8_10device_ptrIiEEEEjNS1_16block_id_wrapperIjLb1EEEEEvT_jjPNSG_10value_typeET0_PNSt15iterator_traitsISJ_E10value_typeEmT1_T2_,"axG",@progbits,_ZN7rocprim17ROCPRIM_400000_NS6detail30init_device_scan_by_key_kernelINS1_19lookback_scan_stateINS0_5tupleIJibEEELb1ELb1EEEN6thrust23THRUST_200600_302600_NS6detail15normal_iteratorINS8_10device_ptrIiEEEEjNS1_16block_id_wrapperIjLb1EEEEEvT_jjPNSG_10value_typeET0_PNSt15iterator_traitsISJ_E10value_typeEmT1_T2_,comdat
.Lfunc_end131:
	.size	_ZN7rocprim17ROCPRIM_400000_NS6detail30init_device_scan_by_key_kernelINS1_19lookback_scan_stateINS0_5tupleIJibEEELb1ELb1EEEN6thrust23THRUST_200600_302600_NS6detail15normal_iteratorINS8_10device_ptrIiEEEEjNS1_16block_id_wrapperIjLb1EEEEEvT_jjPNSG_10value_typeET0_PNSt15iterator_traitsISJ_E10value_typeEmT1_T2_, .Lfunc_end131-_ZN7rocprim17ROCPRIM_400000_NS6detail30init_device_scan_by_key_kernelINS1_19lookback_scan_stateINS0_5tupleIJibEEELb1ELb1EEEN6thrust23THRUST_200600_302600_NS6detail15normal_iteratorINS8_10device_ptrIiEEEEjNS1_16block_id_wrapperIjLb1EEEEEvT_jjPNSG_10value_typeET0_PNSt15iterator_traitsISJ_E10value_typeEmT1_T2_
                                        ; -- End function
	.section	.AMDGPU.csdata,"",@progbits
; Kernel info:
; codeLenInByte = 652
; NumSgprs: 24
; NumVgprs: 10
; NumAgprs: 0
; TotalNumVgprs: 10
; ScratchSize: 0
; MemoryBound: 0
; FloatMode: 240
; IeeeMode: 1
; LDSByteSize: 0 bytes/workgroup (compile time only)
; SGPRBlocks: 2
; VGPRBlocks: 1
; NumSGPRsForWavesPerEU: 24
; NumVGPRsForWavesPerEU: 10
; AccumOffset: 12
; Occupancy: 8
; WaveLimiterHint : 0
; COMPUTE_PGM_RSRC2:SCRATCH_EN: 0
; COMPUTE_PGM_RSRC2:USER_SGPR: 6
; COMPUTE_PGM_RSRC2:TRAP_HANDLER: 0
; COMPUTE_PGM_RSRC2:TGID_X_EN: 1
; COMPUTE_PGM_RSRC2:TGID_Y_EN: 0
; COMPUTE_PGM_RSRC2:TGID_Z_EN: 0
; COMPUTE_PGM_RSRC2:TIDIG_COMP_CNT: 0
; COMPUTE_PGM_RSRC3_GFX90A:ACCUM_OFFSET: 2
; COMPUTE_PGM_RSRC3_GFX90A:TG_SPLIT: 0
	.section	.text._ZN7rocprim17ROCPRIM_400000_NS6detail30init_device_scan_by_key_kernelINS1_19lookback_scan_stateINS0_5tupleIJibEEELb1ELb1EEENS1_16block_id_wrapperIjLb1EEEEEvT_jjPNS9_10value_typeET0_,"axG",@progbits,_ZN7rocprim17ROCPRIM_400000_NS6detail30init_device_scan_by_key_kernelINS1_19lookback_scan_stateINS0_5tupleIJibEEELb1ELb1EEENS1_16block_id_wrapperIjLb1EEEEEvT_jjPNS9_10value_typeET0_,comdat
	.protected	_ZN7rocprim17ROCPRIM_400000_NS6detail30init_device_scan_by_key_kernelINS1_19lookback_scan_stateINS0_5tupleIJibEEELb1ELb1EEENS1_16block_id_wrapperIjLb1EEEEEvT_jjPNS9_10value_typeET0_ ; -- Begin function _ZN7rocprim17ROCPRIM_400000_NS6detail30init_device_scan_by_key_kernelINS1_19lookback_scan_stateINS0_5tupleIJibEEELb1ELb1EEENS1_16block_id_wrapperIjLb1EEEEEvT_jjPNS9_10value_typeET0_
	.globl	_ZN7rocprim17ROCPRIM_400000_NS6detail30init_device_scan_by_key_kernelINS1_19lookback_scan_stateINS0_5tupleIJibEEELb1ELb1EEENS1_16block_id_wrapperIjLb1EEEEEvT_jjPNS9_10value_typeET0_
	.p2align	8
	.type	_ZN7rocprim17ROCPRIM_400000_NS6detail30init_device_scan_by_key_kernelINS1_19lookback_scan_stateINS0_5tupleIJibEEELb1ELb1EEENS1_16block_id_wrapperIjLb1EEEEEvT_jjPNS9_10value_typeET0_,@function
_ZN7rocprim17ROCPRIM_400000_NS6detail30init_device_scan_by_key_kernelINS1_19lookback_scan_stateINS0_5tupleIJibEEELb1ELb1EEENS1_16block_id_wrapperIjLb1EEEEEvT_jjPNS9_10value_typeET0_: ; @_ZN7rocprim17ROCPRIM_400000_NS6detail30init_device_scan_by_key_kernelINS1_19lookback_scan_stateINS0_5tupleIJibEEELb1ELb1EEENS1_16block_id_wrapperIjLb1EEEEEvT_jjPNS9_10value_typeET0_
; %bb.0:
	s_load_dword s0, s[4:5], 0x2c
	s_load_dwordx8 s[8:15], s[4:5], 0x0
	s_waitcnt lgkmcnt(0)
	s_and_b32 s0, s0, 0xffff
	s_mul_i32 s6, s6, s0
	s_cmp_eq_u64 s[12:13], 0
	v_add_u32_e32 v0, s6, v0
	s_cbranch_scc1 .LBB132_10
; %bb.1:
	s_cmp_lt_u32 s11, s10
	s_cselect_b32 s0, s11, 0
	s_mov_b32 s3, 0
	v_cmp_eq_u32_e32 vcc, s0, v0
	s_and_saveexec_b64 s[0:1], vcc
	s_cbranch_execz .LBB132_9
; %bb.2:
	s_add_i32 s2, s11, 64
	s_lshl_b64 s[2:3], s[2:3], 4
	s_add_u32 s6, s8, s2
	s_addc_u32 s7, s9, s3
	v_pk_mov_b32 v[2:3], s[6:7], s[6:7] op_sel:[0,1]
	;;#ASMSTART
	global_load_dwordx4 v[2:5], v[2:3] off glc	
s_waitcnt vmcnt(0)
	;;#ASMEND
	v_mov_b32_e32 v7, 0
	v_and_b32_e32 v6, 0xff, v4
	s_mov_b64 s[4:5], 0
	v_cmp_eq_u64_e32 vcc, 0, v[6:7]
	s_and_saveexec_b64 s[2:3], vcc
	s_cbranch_execz .LBB132_8
; %bb.3:
	s_mov_b32 s11, 1
	v_pk_mov_b32 v[8:9], s[6:7], s[6:7] op_sel:[0,1]
.LBB132_4:                              ; =>This Loop Header: Depth=1
                                        ;     Child Loop BB132_5 Depth 2
	s_max_u32 s6, s11, 1
.LBB132_5:                              ;   Parent Loop BB132_4 Depth=1
                                        ; =>  This Inner Loop Header: Depth=2
	s_add_i32 s6, s6, -1
	s_cmp_eq_u32 s6, 0
	s_sleep 1
	s_cbranch_scc0 .LBB132_5
; %bb.6:                                ;   in Loop: Header=BB132_4 Depth=1
	s_cmp_lt_u32 s11, 32
	s_cselect_b64 s[6:7], -1, 0
	s_cmp_lg_u64 s[6:7], 0
	;;#ASMSTART
	global_load_dwordx4 v[2:5], v[8:9] off glc	
s_waitcnt vmcnt(0)
	;;#ASMEND
	v_and_b32_e32 v6, 0xff, v4
	s_addc_u32 s11, s11, 0
	v_cmp_ne_u64_e32 vcc, 0, v[6:7]
	s_or_b64 s[4:5], vcc, s[4:5]
	s_andn2_b64 exec, exec, s[4:5]
	s_cbranch_execnz .LBB132_4
; %bb.7:
	s_or_b64 exec, exec, s[4:5]
.LBB132_8:
	s_or_b64 exec, exec, s[2:3]
	v_mov_b32_e32 v1, 0
	global_store_dword v1, v2, s[12:13]
	global_store_byte v1, v3, s[12:13] offset:4
.LBB132_9:
	s_or_b64 exec, exec, s[0:1]
.LBB132_10:
	v_cmp_eq_u32_e32 vcc, 0, v0
	s_and_saveexec_b64 s[0:1], vcc
	s_cbranch_execnz .LBB132_14
; %bb.11:
	s_or_b64 exec, exec, s[0:1]
	v_cmp_gt_u32_e32 vcc, s10, v0
	s_and_saveexec_b64 s[0:1], vcc
	s_cbranch_execnz .LBB132_15
.LBB132_12:
	s_or_b64 exec, exec, s[0:1]
	v_cmp_gt_u32_e32 vcc, 64, v0
	s_and_saveexec_b64 s[0:1], vcc
	s_cbranch_execnz .LBB132_16
.LBB132_13:
	s_endpgm
.LBB132_14:
	v_mov_b32_e32 v1, 0
	global_store_dword v1, v1, s[14:15]
	s_or_b64 exec, exec, s[0:1]
	v_cmp_gt_u32_e32 vcc, s10, v0
	s_and_saveexec_b64 s[0:1], vcc
	s_cbranch_execz .LBB132_12
.LBB132_15:
	v_add_u32_e32 v2, 64, v0
	v_mov_b32_e32 v3, 0
	v_lshlrev_b64 v[4:5], 4, v[2:3]
	v_mov_b32_e32 v1, s9
	v_add_co_u32_e32 v6, vcc, s8, v4
	v_addc_co_u32_e32 v7, vcc, v1, v5, vcc
	v_mov_b32_e32 v2, v3
	v_mov_b32_e32 v4, v3
	;; [unrolled: 1-line block ×3, first 2 shown]
	global_store_dwordx4 v[6:7], v[2:5], off
	s_or_b64 exec, exec, s[0:1]
	v_cmp_gt_u32_e32 vcc, 64, v0
	s_and_saveexec_b64 s[0:1], vcc
	s_cbranch_execz .LBB132_13
.LBB132_16:
	v_mov_b32_e32 v1, 0
	v_lshlrev_b64 v[2:3], 4, v[0:1]
	v_mov_b32_e32 v0, s9
	v_add_co_u32_e32 v4, vcc, s8, v2
	v_addc_co_u32_e32 v5, vcc, v0, v3, vcc
	v_mov_b32_e32 v2, 0xff
	v_mov_b32_e32 v0, v1
	;; [unrolled: 1-line block ×3, first 2 shown]
	global_store_dwordx4 v[4:5], v[0:3], off
	s_endpgm
	.section	.rodata,"a",@progbits
	.p2align	6, 0x0
	.amdhsa_kernel _ZN7rocprim17ROCPRIM_400000_NS6detail30init_device_scan_by_key_kernelINS1_19lookback_scan_stateINS0_5tupleIJibEEELb1ELb1EEENS1_16block_id_wrapperIjLb1EEEEEvT_jjPNS9_10value_typeET0_
		.amdhsa_group_segment_fixed_size 0
		.amdhsa_private_segment_fixed_size 0
		.amdhsa_kernarg_size 288
		.amdhsa_user_sgpr_count 6
		.amdhsa_user_sgpr_private_segment_buffer 1
		.amdhsa_user_sgpr_dispatch_ptr 0
		.amdhsa_user_sgpr_queue_ptr 0
		.amdhsa_user_sgpr_kernarg_segment_ptr 1
		.amdhsa_user_sgpr_dispatch_id 0
		.amdhsa_user_sgpr_flat_scratch_init 0
		.amdhsa_user_sgpr_kernarg_preload_length 0
		.amdhsa_user_sgpr_kernarg_preload_offset 0
		.amdhsa_user_sgpr_private_segment_size 0
		.amdhsa_uses_dynamic_stack 0
		.amdhsa_system_sgpr_private_segment_wavefront_offset 0
		.amdhsa_system_sgpr_workgroup_id_x 1
		.amdhsa_system_sgpr_workgroup_id_y 0
		.amdhsa_system_sgpr_workgroup_id_z 0
		.amdhsa_system_sgpr_workgroup_info 0
		.amdhsa_system_vgpr_workitem_id 0
		.amdhsa_next_free_vgpr 10
		.amdhsa_next_free_sgpr 16
		.amdhsa_accum_offset 12
		.amdhsa_reserve_vcc 1
		.amdhsa_reserve_flat_scratch 0
		.amdhsa_float_round_mode_32 0
		.amdhsa_float_round_mode_16_64 0
		.amdhsa_float_denorm_mode_32 3
		.amdhsa_float_denorm_mode_16_64 3
		.amdhsa_dx10_clamp 1
		.amdhsa_ieee_mode 1
		.amdhsa_fp16_overflow 0
		.amdhsa_tg_split 0
		.amdhsa_exception_fp_ieee_invalid_op 0
		.amdhsa_exception_fp_denorm_src 0
		.amdhsa_exception_fp_ieee_div_zero 0
		.amdhsa_exception_fp_ieee_overflow 0
		.amdhsa_exception_fp_ieee_underflow 0
		.amdhsa_exception_fp_ieee_inexact 0
		.amdhsa_exception_int_div_zero 0
	.end_amdhsa_kernel
	.section	.text._ZN7rocprim17ROCPRIM_400000_NS6detail30init_device_scan_by_key_kernelINS1_19lookback_scan_stateINS0_5tupleIJibEEELb1ELb1EEENS1_16block_id_wrapperIjLb1EEEEEvT_jjPNS9_10value_typeET0_,"axG",@progbits,_ZN7rocprim17ROCPRIM_400000_NS6detail30init_device_scan_by_key_kernelINS1_19lookback_scan_stateINS0_5tupleIJibEEELb1ELb1EEENS1_16block_id_wrapperIjLb1EEEEEvT_jjPNS9_10value_typeET0_,comdat
.Lfunc_end132:
	.size	_ZN7rocprim17ROCPRIM_400000_NS6detail30init_device_scan_by_key_kernelINS1_19lookback_scan_stateINS0_5tupleIJibEEELb1ELb1EEENS1_16block_id_wrapperIjLb1EEEEEvT_jjPNS9_10value_typeET0_, .Lfunc_end132-_ZN7rocprim17ROCPRIM_400000_NS6detail30init_device_scan_by_key_kernelINS1_19lookback_scan_stateINS0_5tupleIJibEEELb1ELb1EEENS1_16block_id_wrapperIjLb1EEEEEvT_jjPNS9_10value_typeET0_
                                        ; -- End function
	.section	.AMDGPU.csdata,"",@progbits
; Kernel info:
; codeLenInByte = 448
; NumSgprs: 20
; NumVgprs: 10
; NumAgprs: 0
; TotalNumVgprs: 10
; ScratchSize: 0
; MemoryBound: 0
; FloatMode: 240
; IeeeMode: 1
; LDSByteSize: 0 bytes/workgroup (compile time only)
; SGPRBlocks: 2
; VGPRBlocks: 1
; NumSGPRsForWavesPerEU: 20
; NumVGPRsForWavesPerEU: 10
; AccumOffset: 12
; Occupancy: 8
; WaveLimiterHint : 0
; COMPUTE_PGM_RSRC2:SCRATCH_EN: 0
; COMPUTE_PGM_RSRC2:USER_SGPR: 6
; COMPUTE_PGM_RSRC2:TRAP_HANDLER: 0
; COMPUTE_PGM_RSRC2:TGID_X_EN: 1
; COMPUTE_PGM_RSRC2:TGID_Y_EN: 0
; COMPUTE_PGM_RSRC2:TGID_Z_EN: 0
; COMPUTE_PGM_RSRC2:TIDIG_COMP_CNT: 0
; COMPUTE_PGM_RSRC3_GFX90A:ACCUM_OFFSET: 2
; COMPUTE_PGM_RSRC3_GFX90A:TG_SPLIT: 0
	.section	.text._ZN7rocprim17ROCPRIM_400000_NS6detail17trampoline_kernelINS0_14default_configENS1_27scan_by_key_config_selectorIiiEEZZNS1_16scan_by_key_implILNS1_25lookback_scan_determinismE0ELb0ES3_N6thrust23THRUST_200600_302600_NS6detail15normal_iteratorINS9_10device_ptrIiEEEESE_SE_iNS9_4plusIvEENS9_8equal_toIvEEiEE10hipError_tPvRmT2_T3_T4_T5_mT6_T7_P12ihipStream_tbENKUlT_T0_E_clISt17integral_constantIbLb1EESZ_EEDaSU_SV_EUlSU_E_NS1_11comp_targetILNS1_3genE0ELNS1_11target_archE4294967295ELNS1_3gpuE0ELNS1_3repE0EEENS1_30default_config_static_selectorELNS0_4arch9wavefront6targetE1EEEvT1_,"axG",@progbits,_ZN7rocprim17ROCPRIM_400000_NS6detail17trampoline_kernelINS0_14default_configENS1_27scan_by_key_config_selectorIiiEEZZNS1_16scan_by_key_implILNS1_25lookback_scan_determinismE0ELb0ES3_N6thrust23THRUST_200600_302600_NS6detail15normal_iteratorINS9_10device_ptrIiEEEESE_SE_iNS9_4plusIvEENS9_8equal_toIvEEiEE10hipError_tPvRmT2_T3_T4_T5_mT6_T7_P12ihipStream_tbENKUlT_T0_E_clISt17integral_constantIbLb1EESZ_EEDaSU_SV_EUlSU_E_NS1_11comp_targetILNS1_3genE0ELNS1_11target_archE4294967295ELNS1_3gpuE0ELNS1_3repE0EEENS1_30default_config_static_selectorELNS0_4arch9wavefront6targetE1EEEvT1_,comdat
	.protected	_ZN7rocprim17ROCPRIM_400000_NS6detail17trampoline_kernelINS0_14default_configENS1_27scan_by_key_config_selectorIiiEEZZNS1_16scan_by_key_implILNS1_25lookback_scan_determinismE0ELb0ES3_N6thrust23THRUST_200600_302600_NS6detail15normal_iteratorINS9_10device_ptrIiEEEESE_SE_iNS9_4plusIvEENS9_8equal_toIvEEiEE10hipError_tPvRmT2_T3_T4_T5_mT6_T7_P12ihipStream_tbENKUlT_T0_E_clISt17integral_constantIbLb1EESZ_EEDaSU_SV_EUlSU_E_NS1_11comp_targetILNS1_3genE0ELNS1_11target_archE4294967295ELNS1_3gpuE0ELNS1_3repE0EEENS1_30default_config_static_selectorELNS0_4arch9wavefront6targetE1EEEvT1_ ; -- Begin function _ZN7rocprim17ROCPRIM_400000_NS6detail17trampoline_kernelINS0_14default_configENS1_27scan_by_key_config_selectorIiiEEZZNS1_16scan_by_key_implILNS1_25lookback_scan_determinismE0ELb0ES3_N6thrust23THRUST_200600_302600_NS6detail15normal_iteratorINS9_10device_ptrIiEEEESE_SE_iNS9_4plusIvEENS9_8equal_toIvEEiEE10hipError_tPvRmT2_T3_T4_T5_mT6_T7_P12ihipStream_tbENKUlT_T0_E_clISt17integral_constantIbLb1EESZ_EEDaSU_SV_EUlSU_E_NS1_11comp_targetILNS1_3genE0ELNS1_11target_archE4294967295ELNS1_3gpuE0ELNS1_3repE0EEENS1_30default_config_static_selectorELNS0_4arch9wavefront6targetE1EEEvT1_
	.globl	_ZN7rocprim17ROCPRIM_400000_NS6detail17trampoline_kernelINS0_14default_configENS1_27scan_by_key_config_selectorIiiEEZZNS1_16scan_by_key_implILNS1_25lookback_scan_determinismE0ELb0ES3_N6thrust23THRUST_200600_302600_NS6detail15normal_iteratorINS9_10device_ptrIiEEEESE_SE_iNS9_4plusIvEENS9_8equal_toIvEEiEE10hipError_tPvRmT2_T3_T4_T5_mT6_T7_P12ihipStream_tbENKUlT_T0_E_clISt17integral_constantIbLb1EESZ_EEDaSU_SV_EUlSU_E_NS1_11comp_targetILNS1_3genE0ELNS1_11target_archE4294967295ELNS1_3gpuE0ELNS1_3repE0EEENS1_30default_config_static_selectorELNS0_4arch9wavefront6targetE1EEEvT1_
	.p2align	8
	.type	_ZN7rocprim17ROCPRIM_400000_NS6detail17trampoline_kernelINS0_14default_configENS1_27scan_by_key_config_selectorIiiEEZZNS1_16scan_by_key_implILNS1_25lookback_scan_determinismE0ELb0ES3_N6thrust23THRUST_200600_302600_NS6detail15normal_iteratorINS9_10device_ptrIiEEEESE_SE_iNS9_4plusIvEENS9_8equal_toIvEEiEE10hipError_tPvRmT2_T3_T4_T5_mT6_T7_P12ihipStream_tbENKUlT_T0_E_clISt17integral_constantIbLb1EESZ_EEDaSU_SV_EUlSU_E_NS1_11comp_targetILNS1_3genE0ELNS1_11target_archE4294967295ELNS1_3gpuE0ELNS1_3repE0EEENS1_30default_config_static_selectorELNS0_4arch9wavefront6targetE1EEEvT1_,@function
_ZN7rocprim17ROCPRIM_400000_NS6detail17trampoline_kernelINS0_14default_configENS1_27scan_by_key_config_selectorIiiEEZZNS1_16scan_by_key_implILNS1_25lookback_scan_determinismE0ELb0ES3_N6thrust23THRUST_200600_302600_NS6detail15normal_iteratorINS9_10device_ptrIiEEEESE_SE_iNS9_4plusIvEENS9_8equal_toIvEEiEE10hipError_tPvRmT2_T3_T4_T5_mT6_T7_P12ihipStream_tbENKUlT_T0_E_clISt17integral_constantIbLb1EESZ_EEDaSU_SV_EUlSU_E_NS1_11comp_targetILNS1_3genE0ELNS1_11target_archE4294967295ELNS1_3gpuE0ELNS1_3repE0EEENS1_30default_config_static_selectorELNS0_4arch9wavefront6targetE1EEEvT1_: ; @_ZN7rocprim17ROCPRIM_400000_NS6detail17trampoline_kernelINS0_14default_configENS1_27scan_by_key_config_selectorIiiEEZZNS1_16scan_by_key_implILNS1_25lookback_scan_determinismE0ELb0ES3_N6thrust23THRUST_200600_302600_NS6detail15normal_iteratorINS9_10device_ptrIiEEEESE_SE_iNS9_4plusIvEENS9_8equal_toIvEEiEE10hipError_tPvRmT2_T3_T4_T5_mT6_T7_P12ihipStream_tbENKUlT_T0_E_clISt17integral_constantIbLb1EESZ_EEDaSU_SV_EUlSU_E_NS1_11comp_targetILNS1_3genE0ELNS1_11target_archE4294967295ELNS1_3gpuE0ELNS1_3repE0EEENS1_30default_config_static_selectorELNS0_4arch9wavefront6targetE1EEEvT1_
; %bb.0:
	.section	.rodata,"a",@progbits
	.p2align	6, 0x0
	.amdhsa_kernel _ZN7rocprim17ROCPRIM_400000_NS6detail17trampoline_kernelINS0_14default_configENS1_27scan_by_key_config_selectorIiiEEZZNS1_16scan_by_key_implILNS1_25lookback_scan_determinismE0ELb0ES3_N6thrust23THRUST_200600_302600_NS6detail15normal_iteratorINS9_10device_ptrIiEEEESE_SE_iNS9_4plusIvEENS9_8equal_toIvEEiEE10hipError_tPvRmT2_T3_T4_T5_mT6_T7_P12ihipStream_tbENKUlT_T0_E_clISt17integral_constantIbLb1EESZ_EEDaSU_SV_EUlSU_E_NS1_11comp_targetILNS1_3genE0ELNS1_11target_archE4294967295ELNS1_3gpuE0ELNS1_3repE0EEENS1_30default_config_static_selectorELNS0_4arch9wavefront6targetE1EEEvT1_
		.amdhsa_group_segment_fixed_size 0
		.amdhsa_private_segment_fixed_size 0
		.amdhsa_kernarg_size 112
		.amdhsa_user_sgpr_count 6
		.amdhsa_user_sgpr_private_segment_buffer 1
		.amdhsa_user_sgpr_dispatch_ptr 0
		.amdhsa_user_sgpr_queue_ptr 0
		.amdhsa_user_sgpr_kernarg_segment_ptr 1
		.amdhsa_user_sgpr_dispatch_id 0
		.amdhsa_user_sgpr_flat_scratch_init 0
		.amdhsa_user_sgpr_kernarg_preload_length 0
		.amdhsa_user_sgpr_kernarg_preload_offset 0
		.amdhsa_user_sgpr_private_segment_size 0
		.amdhsa_uses_dynamic_stack 0
		.amdhsa_system_sgpr_private_segment_wavefront_offset 0
		.amdhsa_system_sgpr_workgroup_id_x 1
		.amdhsa_system_sgpr_workgroup_id_y 0
		.amdhsa_system_sgpr_workgroup_id_z 0
		.amdhsa_system_sgpr_workgroup_info 0
		.amdhsa_system_vgpr_workitem_id 0
		.amdhsa_next_free_vgpr 1
		.amdhsa_next_free_sgpr 0
		.amdhsa_accum_offset 4
		.amdhsa_reserve_vcc 0
		.amdhsa_reserve_flat_scratch 0
		.amdhsa_float_round_mode_32 0
		.amdhsa_float_round_mode_16_64 0
		.amdhsa_float_denorm_mode_32 3
		.amdhsa_float_denorm_mode_16_64 3
		.amdhsa_dx10_clamp 1
		.amdhsa_ieee_mode 1
		.amdhsa_fp16_overflow 0
		.amdhsa_tg_split 0
		.amdhsa_exception_fp_ieee_invalid_op 0
		.amdhsa_exception_fp_denorm_src 0
		.amdhsa_exception_fp_ieee_div_zero 0
		.amdhsa_exception_fp_ieee_overflow 0
		.amdhsa_exception_fp_ieee_underflow 0
		.amdhsa_exception_fp_ieee_inexact 0
		.amdhsa_exception_int_div_zero 0
	.end_amdhsa_kernel
	.section	.text._ZN7rocprim17ROCPRIM_400000_NS6detail17trampoline_kernelINS0_14default_configENS1_27scan_by_key_config_selectorIiiEEZZNS1_16scan_by_key_implILNS1_25lookback_scan_determinismE0ELb0ES3_N6thrust23THRUST_200600_302600_NS6detail15normal_iteratorINS9_10device_ptrIiEEEESE_SE_iNS9_4plusIvEENS9_8equal_toIvEEiEE10hipError_tPvRmT2_T3_T4_T5_mT6_T7_P12ihipStream_tbENKUlT_T0_E_clISt17integral_constantIbLb1EESZ_EEDaSU_SV_EUlSU_E_NS1_11comp_targetILNS1_3genE0ELNS1_11target_archE4294967295ELNS1_3gpuE0ELNS1_3repE0EEENS1_30default_config_static_selectorELNS0_4arch9wavefront6targetE1EEEvT1_,"axG",@progbits,_ZN7rocprim17ROCPRIM_400000_NS6detail17trampoline_kernelINS0_14default_configENS1_27scan_by_key_config_selectorIiiEEZZNS1_16scan_by_key_implILNS1_25lookback_scan_determinismE0ELb0ES3_N6thrust23THRUST_200600_302600_NS6detail15normal_iteratorINS9_10device_ptrIiEEEESE_SE_iNS9_4plusIvEENS9_8equal_toIvEEiEE10hipError_tPvRmT2_T3_T4_T5_mT6_T7_P12ihipStream_tbENKUlT_T0_E_clISt17integral_constantIbLb1EESZ_EEDaSU_SV_EUlSU_E_NS1_11comp_targetILNS1_3genE0ELNS1_11target_archE4294967295ELNS1_3gpuE0ELNS1_3repE0EEENS1_30default_config_static_selectorELNS0_4arch9wavefront6targetE1EEEvT1_,comdat
.Lfunc_end133:
	.size	_ZN7rocprim17ROCPRIM_400000_NS6detail17trampoline_kernelINS0_14default_configENS1_27scan_by_key_config_selectorIiiEEZZNS1_16scan_by_key_implILNS1_25lookback_scan_determinismE0ELb0ES3_N6thrust23THRUST_200600_302600_NS6detail15normal_iteratorINS9_10device_ptrIiEEEESE_SE_iNS9_4plusIvEENS9_8equal_toIvEEiEE10hipError_tPvRmT2_T3_T4_T5_mT6_T7_P12ihipStream_tbENKUlT_T0_E_clISt17integral_constantIbLb1EESZ_EEDaSU_SV_EUlSU_E_NS1_11comp_targetILNS1_3genE0ELNS1_11target_archE4294967295ELNS1_3gpuE0ELNS1_3repE0EEENS1_30default_config_static_selectorELNS0_4arch9wavefront6targetE1EEEvT1_, .Lfunc_end133-_ZN7rocprim17ROCPRIM_400000_NS6detail17trampoline_kernelINS0_14default_configENS1_27scan_by_key_config_selectorIiiEEZZNS1_16scan_by_key_implILNS1_25lookback_scan_determinismE0ELb0ES3_N6thrust23THRUST_200600_302600_NS6detail15normal_iteratorINS9_10device_ptrIiEEEESE_SE_iNS9_4plusIvEENS9_8equal_toIvEEiEE10hipError_tPvRmT2_T3_T4_T5_mT6_T7_P12ihipStream_tbENKUlT_T0_E_clISt17integral_constantIbLb1EESZ_EEDaSU_SV_EUlSU_E_NS1_11comp_targetILNS1_3genE0ELNS1_11target_archE4294967295ELNS1_3gpuE0ELNS1_3repE0EEENS1_30default_config_static_selectorELNS0_4arch9wavefront6targetE1EEEvT1_
                                        ; -- End function
	.section	.AMDGPU.csdata,"",@progbits
; Kernel info:
; codeLenInByte = 0
; NumSgprs: 4
; NumVgprs: 0
; NumAgprs: 0
; TotalNumVgprs: 0
; ScratchSize: 0
; MemoryBound: 0
; FloatMode: 240
; IeeeMode: 1
; LDSByteSize: 0 bytes/workgroup (compile time only)
; SGPRBlocks: 0
; VGPRBlocks: 0
; NumSGPRsForWavesPerEU: 4
; NumVGPRsForWavesPerEU: 1
; AccumOffset: 4
; Occupancy: 8
; WaveLimiterHint : 0
; COMPUTE_PGM_RSRC2:SCRATCH_EN: 0
; COMPUTE_PGM_RSRC2:USER_SGPR: 6
; COMPUTE_PGM_RSRC2:TRAP_HANDLER: 0
; COMPUTE_PGM_RSRC2:TGID_X_EN: 1
; COMPUTE_PGM_RSRC2:TGID_Y_EN: 0
; COMPUTE_PGM_RSRC2:TGID_Z_EN: 0
; COMPUTE_PGM_RSRC2:TIDIG_COMP_CNT: 0
; COMPUTE_PGM_RSRC3_GFX90A:ACCUM_OFFSET: 0
; COMPUTE_PGM_RSRC3_GFX90A:TG_SPLIT: 0
	.section	.text._ZN7rocprim17ROCPRIM_400000_NS6detail17trampoline_kernelINS0_14default_configENS1_27scan_by_key_config_selectorIiiEEZZNS1_16scan_by_key_implILNS1_25lookback_scan_determinismE0ELb0ES3_N6thrust23THRUST_200600_302600_NS6detail15normal_iteratorINS9_10device_ptrIiEEEESE_SE_iNS9_4plusIvEENS9_8equal_toIvEEiEE10hipError_tPvRmT2_T3_T4_T5_mT6_T7_P12ihipStream_tbENKUlT_T0_E_clISt17integral_constantIbLb1EESZ_EEDaSU_SV_EUlSU_E_NS1_11comp_targetILNS1_3genE10ELNS1_11target_archE1201ELNS1_3gpuE5ELNS1_3repE0EEENS1_30default_config_static_selectorELNS0_4arch9wavefront6targetE1EEEvT1_,"axG",@progbits,_ZN7rocprim17ROCPRIM_400000_NS6detail17trampoline_kernelINS0_14default_configENS1_27scan_by_key_config_selectorIiiEEZZNS1_16scan_by_key_implILNS1_25lookback_scan_determinismE0ELb0ES3_N6thrust23THRUST_200600_302600_NS6detail15normal_iteratorINS9_10device_ptrIiEEEESE_SE_iNS9_4plusIvEENS9_8equal_toIvEEiEE10hipError_tPvRmT2_T3_T4_T5_mT6_T7_P12ihipStream_tbENKUlT_T0_E_clISt17integral_constantIbLb1EESZ_EEDaSU_SV_EUlSU_E_NS1_11comp_targetILNS1_3genE10ELNS1_11target_archE1201ELNS1_3gpuE5ELNS1_3repE0EEENS1_30default_config_static_selectorELNS0_4arch9wavefront6targetE1EEEvT1_,comdat
	.protected	_ZN7rocprim17ROCPRIM_400000_NS6detail17trampoline_kernelINS0_14default_configENS1_27scan_by_key_config_selectorIiiEEZZNS1_16scan_by_key_implILNS1_25lookback_scan_determinismE0ELb0ES3_N6thrust23THRUST_200600_302600_NS6detail15normal_iteratorINS9_10device_ptrIiEEEESE_SE_iNS9_4plusIvEENS9_8equal_toIvEEiEE10hipError_tPvRmT2_T3_T4_T5_mT6_T7_P12ihipStream_tbENKUlT_T0_E_clISt17integral_constantIbLb1EESZ_EEDaSU_SV_EUlSU_E_NS1_11comp_targetILNS1_3genE10ELNS1_11target_archE1201ELNS1_3gpuE5ELNS1_3repE0EEENS1_30default_config_static_selectorELNS0_4arch9wavefront6targetE1EEEvT1_ ; -- Begin function _ZN7rocprim17ROCPRIM_400000_NS6detail17trampoline_kernelINS0_14default_configENS1_27scan_by_key_config_selectorIiiEEZZNS1_16scan_by_key_implILNS1_25lookback_scan_determinismE0ELb0ES3_N6thrust23THRUST_200600_302600_NS6detail15normal_iteratorINS9_10device_ptrIiEEEESE_SE_iNS9_4plusIvEENS9_8equal_toIvEEiEE10hipError_tPvRmT2_T3_T4_T5_mT6_T7_P12ihipStream_tbENKUlT_T0_E_clISt17integral_constantIbLb1EESZ_EEDaSU_SV_EUlSU_E_NS1_11comp_targetILNS1_3genE10ELNS1_11target_archE1201ELNS1_3gpuE5ELNS1_3repE0EEENS1_30default_config_static_selectorELNS0_4arch9wavefront6targetE1EEEvT1_
	.globl	_ZN7rocprim17ROCPRIM_400000_NS6detail17trampoline_kernelINS0_14default_configENS1_27scan_by_key_config_selectorIiiEEZZNS1_16scan_by_key_implILNS1_25lookback_scan_determinismE0ELb0ES3_N6thrust23THRUST_200600_302600_NS6detail15normal_iteratorINS9_10device_ptrIiEEEESE_SE_iNS9_4plusIvEENS9_8equal_toIvEEiEE10hipError_tPvRmT2_T3_T4_T5_mT6_T7_P12ihipStream_tbENKUlT_T0_E_clISt17integral_constantIbLb1EESZ_EEDaSU_SV_EUlSU_E_NS1_11comp_targetILNS1_3genE10ELNS1_11target_archE1201ELNS1_3gpuE5ELNS1_3repE0EEENS1_30default_config_static_selectorELNS0_4arch9wavefront6targetE1EEEvT1_
	.p2align	8
	.type	_ZN7rocprim17ROCPRIM_400000_NS6detail17trampoline_kernelINS0_14default_configENS1_27scan_by_key_config_selectorIiiEEZZNS1_16scan_by_key_implILNS1_25lookback_scan_determinismE0ELb0ES3_N6thrust23THRUST_200600_302600_NS6detail15normal_iteratorINS9_10device_ptrIiEEEESE_SE_iNS9_4plusIvEENS9_8equal_toIvEEiEE10hipError_tPvRmT2_T3_T4_T5_mT6_T7_P12ihipStream_tbENKUlT_T0_E_clISt17integral_constantIbLb1EESZ_EEDaSU_SV_EUlSU_E_NS1_11comp_targetILNS1_3genE10ELNS1_11target_archE1201ELNS1_3gpuE5ELNS1_3repE0EEENS1_30default_config_static_selectorELNS0_4arch9wavefront6targetE1EEEvT1_,@function
_ZN7rocprim17ROCPRIM_400000_NS6detail17trampoline_kernelINS0_14default_configENS1_27scan_by_key_config_selectorIiiEEZZNS1_16scan_by_key_implILNS1_25lookback_scan_determinismE0ELb0ES3_N6thrust23THRUST_200600_302600_NS6detail15normal_iteratorINS9_10device_ptrIiEEEESE_SE_iNS9_4plusIvEENS9_8equal_toIvEEiEE10hipError_tPvRmT2_T3_T4_T5_mT6_T7_P12ihipStream_tbENKUlT_T0_E_clISt17integral_constantIbLb1EESZ_EEDaSU_SV_EUlSU_E_NS1_11comp_targetILNS1_3genE10ELNS1_11target_archE1201ELNS1_3gpuE5ELNS1_3repE0EEENS1_30default_config_static_selectorELNS0_4arch9wavefront6targetE1EEEvT1_: ; @_ZN7rocprim17ROCPRIM_400000_NS6detail17trampoline_kernelINS0_14default_configENS1_27scan_by_key_config_selectorIiiEEZZNS1_16scan_by_key_implILNS1_25lookback_scan_determinismE0ELb0ES3_N6thrust23THRUST_200600_302600_NS6detail15normal_iteratorINS9_10device_ptrIiEEEESE_SE_iNS9_4plusIvEENS9_8equal_toIvEEiEE10hipError_tPvRmT2_T3_T4_T5_mT6_T7_P12ihipStream_tbENKUlT_T0_E_clISt17integral_constantIbLb1EESZ_EEDaSU_SV_EUlSU_E_NS1_11comp_targetILNS1_3genE10ELNS1_11target_archE1201ELNS1_3gpuE5ELNS1_3repE0EEENS1_30default_config_static_selectorELNS0_4arch9wavefront6targetE1EEEvT1_
; %bb.0:
	.section	.rodata,"a",@progbits
	.p2align	6, 0x0
	.amdhsa_kernel _ZN7rocprim17ROCPRIM_400000_NS6detail17trampoline_kernelINS0_14default_configENS1_27scan_by_key_config_selectorIiiEEZZNS1_16scan_by_key_implILNS1_25lookback_scan_determinismE0ELb0ES3_N6thrust23THRUST_200600_302600_NS6detail15normal_iteratorINS9_10device_ptrIiEEEESE_SE_iNS9_4plusIvEENS9_8equal_toIvEEiEE10hipError_tPvRmT2_T3_T4_T5_mT6_T7_P12ihipStream_tbENKUlT_T0_E_clISt17integral_constantIbLb1EESZ_EEDaSU_SV_EUlSU_E_NS1_11comp_targetILNS1_3genE10ELNS1_11target_archE1201ELNS1_3gpuE5ELNS1_3repE0EEENS1_30default_config_static_selectorELNS0_4arch9wavefront6targetE1EEEvT1_
		.amdhsa_group_segment_fixed_size 0
		.amdhsa_private_segment_fixed_size 0
		.amdhsa_kernarg_size 112
		.amdhsa_user_sgpr_count 6
		.amdhsa_user_sgpr_private_segment_buffer 1
		.amdhsa_user_sgpr_dispatch_ptr 0
		.amdhsa_user_sgpr_queue_ptr 0
		.amdhsa_user_sgpr_kernarg_segment_ptr 1
		.amdhsa_user_sgpr_dispatch_id 0
		.amdhsa_user_sgpr_flat_scratch_init 0
		.amdhsa_user_sgpr_kernarg_preload_length 0
		.amdhsa_user_sgpr_kernarg_preload_offset 0
		.amdhsa_user_sgpr_private_segment_size 0
		.amdhsa_uses_dynamic_stack 0
		.amdhsa_system_sgpr_private_segment_wavefront_offset 0
		.amdhsa_system_sgpr_workgroup_id_x 1
		.amdhsa_system_sgpr_workgroup_id_y 0
		.amdhsa_system_sgpr_workgroup_id_z 0
		.amdhsa_system_sgpr_workgroup_info 0
		.amdhsa_system_vgpr_workitem_id 0
		.amdhsa_next_free_vgpr 1
		.amdhsa_next_free_sgpr 0
		.amdhsa_accum_offset 4
		.amdhsa_reserve_vcc 0
		.amdhsa_reserve_flat_scratch 0
		.amdhsa_float_round_mode_32 0
		.amdhsa_float_round_mode_16_64 0
		.amdhsa_float_denorm_mode_32 3
		.amdhsa_float_denorm_mode_16_64 3
		.amdhsa_dx10_clamp 1
		.amdhsa_ieee_mode 1
		.amdhsa_fp16_overflow 0
		.amdhsa_tg_split 0
		.amdhsa_exception_fp_ieee_invalid_op 0
		.amdhsa_exception_fp_denorm_src 0
		.amdhsa_exception_fp_ieee_div_zero 0
		.amdhsa_exception_fp_ieee_overflow 0
		.amdhsa_exception_fp_ieee_underflow 0
		.amdhsa_exception_fp_ieee_inexact 0
		.amdhsa_exception_int_div_zero 0
	.end_amdhsa_kernel
	.section	.text._ZN7rocprim17ROCPRIM_400000_NS6detail17trampoline_kernelINS0_14default_configENS1_27scan_by_key_config_selectorIiiEEZZNS1_16scan_by_key_implILNS1_25lookback_scan_determinismE0ELb0ES3_N6thrust23THRUST_200600_302600_NS6detail15normal_iteratorINS9_10device_ptrIiEEEESE_SE_iNS9_4plusIvEENS9_8equal_toIvEEiEE10hipError_tPvRmT2_T3_T4_T5_mT6_T7_P12ihipStream_tbENKUlT_T0_E_clISt17integral_constantIbLb1EESZ_EEDaSU_SV_EUlSU_E_NS1_11comp_targetILNS1_3genE10ELNS1_11target_archE1201ELNS1_3gpuE5ELNS1_3repE0EEENS1_30default_config_static_selectorELNS0_4arch9wavefront6targetE1EEEvT1_,"axG",@progbits,_ZN7rocprim17ROCPRIM_400000_NS6detail17trampoline_kernelINS0_14default_configENS1_27scan_by_key_config_selectorIiiEEZZNS1_16scan_by_key_implILNS1_25lookback_scan_determinismE0ELb0ES3_N6thrust23THRUST_200600_302600_NS6detail15normal_iteratorINS9_10device_ptrIiEEEESE_SE_iNS9_4plusIvEENS9_8equal_toIvEEiEE10hipError_tPvRmT2_T3_T4_T5_mT6_T7_P12ihipStream_tbENKUlT_T0_E_clISt17integral_constantIbLb1EESZ_EEDaSU_SV_EUlSU_E_NS1_11comp_targetILNS1_3genE10ELNS1_11target_archE1201ELNS1_3gpuE5ELNS1_3repE0EEENS1_30default_config_static_selectorELNS0_4arch9wavefront6targetE1EEEvT1_,comdat
.Lfunc_end134:
	.size	_ZN7rocprim17ROCPRIM_400000_NS6detail17trampoline_kernelINS0_14default_configENS1_27scan_by_key_config_selectorIiiEEZZNS1_16scan_by_key_implILNS1_25lookback_scan_determinismE0ELb0ES3_N6thrust23THRUST_200600_302600_NS6detail15normal_iteratorINS9_10device_ptrIiEEEESE_SE_iNS9_4plusIvEENS9_8equal_toIvEEiEE10hipError_tPvRmT2_T3_T4_T5_mT6_T7_P12ihipStream_tbENKUlT_T0_E_clISt17integral_constantIbLb1EESZ_EEDaSU_SV_EUlSU_E_NS1_11comp_targetILNS1_3genE10ELNS1_11target_archE1201ELNS1_3gpuE5ELNS1_3repE0EEENS1_30default_config_static_selectorELNS0_4arch9wavefront6targetE1EEEvT1_, .Lfunc_end134-_ZN7rocprim17ROCPRIM_400000_NS6detail17trampoline_kernelINS0_14default_configENS1_27scan_by_key_config_selectorIiiEEZZNS1_16scan_by_key_implILNS1_25lookback_scan_determinismE0ELb0ES3_N6thrust23THRUST_200600_302600_NS6detail15normal_iteratorINS9_10device_ptrIiEEEESE_SE_iNS9_4plusIvEENS9_8equal_toIvEEiEE10hipError_tPvRmT2_T3_T4_T5_mT6_T7_P12ihipStream_tbENKUlT_T0_E_clISt17integral_constantIbLb1EESZ_EEDaSU_SV_EUlSU_E_NS1_11comp_targetILNS1_3genE10ELNS1_11target_archE1201ELNS1_3gpuE5ELNS1_3repE0EEENS1_30default_config_static_selectorELNS0_4arch9wavefront6targetE1EEEvT1_
                                        ; -- End function
	.section	.AMDGPU.csdata,"",@progbits
; Kernel info:
; codeLenInByte = 0
; NumSgprs: 4
; NumVgprs: 0
; NumAgprs: 0
; TotalNumVgprs: 0
; ScratchSize: 0
; MemoryBound: 0
; FloatMode: 240
; IeeeMode: 1
; LDSByteSize: 0 bytes/workgroup (compile time only)
; SGPRBlocks: 0
; VGPRBlocks: 0
; NumSGPRsForWavesPerEU: 4
; NumVGPRsForWavesPerEU: 1
; AccumOffset: 4
; Occupancy: 8
; WaveLimiterHint : 0
; COMPUTE_PGM_RSRC2:SCRATCH_EN: 0
; COMPUTE_PGM_RSRC2:USER_SGPR: 6
; COMPUTE_PGM_RSRC2:TRAP_HANDLER: 0
; COMPUTE_PGM_RSRC2:TGID_X_EN: 1
; COMPUTE_PGM_RSRC2:TGID_Y_EN: 0
; COMPUTE_PGM_RSRC2:TGID_Z_EN: 0
; COMPUTE_PGM_RSRC2:TIDIG_COMP_CNT: 0
; COMPUTE_PGM_RSRC3_GFX90A:ACCUM_OFFSET: 0
; COMPUTE_PGM_RSRC3_GFX90A:TG_SPLIT: 0
	.section	.text._ZN7rocprim17ROCPRIM_400000_NS6detail17trampoline_kernelINS0_14default_configENS1_27scan_by_key_config_selectorIiiEEZZNS1_16scan_by_key_implILNS1_25lookback_scan_determinismE0ELb0ES3_N6thrust23THRUST_200600_302600_NS6detail15normal_iteratorINS9_10device_ptrIiEEEESE_SE_iNS9_4plusIvEENS9_8equal_toIvEEiEE10hipError_tPvRmT2_T3_T4_T5_mT6_T7_P12ihipStream_tbENKUlT_T0_E_clISt17integral_constantIbLb1EESZ_EEDaSU_SV_EUlSU_E_NS1_11comp_targetILNS1_3genE5ELNS1_11target_archE942ELNS1_3gpuE9ELNS1_3repE0EEENS1_30default_config_static_selectorELNS0_4arch9wavefront6targetE1EEEvT1_,"axG",@progbits,_ZN7rocprim17ROCPRIM_400000_NS6detail17trampoline_kernelINS0_14default_configENS1_27scan_by_key_config_selectorIiiEEZZNS1_16scan_by_key_implILNS1_25lookback_scan_determinismE0ELb0ES3_N6thrust23THRUST_200600_302600_NS6detail15normal_iteratorINS9_10device_ptrIiEEEESE_SE_iNS9_4plusIvEENS9_8equal_toIvEEiEE10hipError_tPvRmT2_T3_T4_T5_mT6_T7_P12ihipStream_tbENKUlT_T0_E_clISt17integral_constantIbLb1EESZ_EEDaSU_SV_EUlSU_E_NS1_11comp_targetILNS1_3genE5ELNS1_11target_archE942ELNS1_3gpuE9ELNS1_3repE0EEENS1_30default_config_static_selectorELNS0_4arch9wavefront6targetE1EEEvT1_,comdat
	.protected	_ZN7rocprim17ROCPRIM_400000_NS6detail17trampoline_kernelINS0_14default_configENS1_27scan_by_key_config_selectorIiiEEZZNS1_16scan_by_key_implILNS1_25lookback_scan_determinismE0ELb0ES3_N6thrust23THRUST_200600_302600_NS6detail15normal_iteratorINS9_10device_ptrIiEEEESE_SE_iNS9_4plusIvEENS9_8equal_toIvEEiEE10hipError_tPvRmT2_T3_T4_T5_mT6_T7_P12ihipStream_tbENKUlT_T0_E_clISt17integral_constantIbLb1EESZ_EEDaSU_SV_EUlSU_E_NS1_11comp_targetILNS1_3genE5ELNS1_11target_archE942ELNS1_3gpuE9ELNS1_3repE0EEENS1_30default_config_static_selectorELNS0_4arch9wavefront6targetE1EEEvT1_ ; -- Begin function _ZN7rocprim17ROCPRIM_400000_NS6detail17trampoline_kernelINS0_14default_configENS1_27scan_by_key_config_selectorIiiEEZZNS1_16scan_by_key_implILNS1_25lookback_scan_determinismE0ELb0ES3_N6thrust23THRUST_200600_302600_NS6detail15normal_iteratorINS9_10device_ptrIiEEEESE_SE_iNS9_4plusIvEENS9_8equal_toIvEEiEE10hipError_tPvRmT2_T3_T4_T5_mT6_T7_P12ihipStream_tbENKUlT_T0_E_clISt17integral_constantIbLb1EESZ_EEDaSU_SV_EUlSU_E_NS1_11comp_targetILNS1_3genE5ELNS1_11target_archE942ELNS1_3gpuE9ELNS1_3repE0EEENS1_30default_config_static_selectorELNS0_4arch9wavefront6targetE1EEEvT1_
	.globl	_ZN7rocprim17ROCPRIM_400000_NS6detail17trampoline_kernelINS0_14default_configENS1_27scan_by_key_config_selectorIiiEEZZNS1_16scan_by_key_implILNS1_25lookback_scan_determinismE0ELb0ES3_N6thrust23THRUST_200600_302600_NS6detail15normal_iteratorINS9_10device_ptrIiEEEESE_SE_iNS9_4plusIvEENS9_8equal_toIvEEiEE10hipError_tPvRmT2_T3_T4_T5_mT6_T7_P12ihipStream_tbENKUlT_T0_E_clISt17integral_constantIbLb1EESZ_EEDaSU_SV_EUlSU_E_NS1_11comp_targetILNS1_3genE5ELNS1_11target_archE942ELNS1_3gpuE9ELNS1_3repE0EEENS1_30default_config_static_selectorELNS0_4arch9wavefront6targetE1EEEvT1_
	.p2align	8
	.type	_ZN7rocprim17ROCPRIM_400000_NS6detail17trampoline_kernelINS0_14default_configENS1_27scan_by_key_config_selectorIiiEEZZNS1_16scan_by_key_implILNS1_25lookback_scan_determinismE0ELb0ES3_N6thrust23THRUST_200600_302600_NS6detail15normal_iteratorINS9_10device_ptrIiEEEESE_SE_iNS9_4plusIvEENS9_8equal_toIvEEiEE10hipError_tPvRmT2_T3_T4_T5_mT6_T7_P12ihipStream_tbENKUlT_T0_E_clISt17integral_constantIbLb1EESZ_EEDaSU_SV_EUlSU_E_NS1_11comp_targetILNS1_3genE5ELNS1_11target_archE942ELNS1_3gpuE9ELNS1_3repE0EEENS1_30default_config_static_selectorELNS0_4arch9wavefront6targetE1EEEvT1_,@function
_ZN7rocprim17ROCPRIM_400000_NS6detail17trampoline_kernelINS0_14default_configENS1_27scan_by_key_config_selectorIiiEEZZNS1_16scan_by_key_implILNS1_25lookback_scan_determinismE0ELb0ES3_N6thrust23THRUST_200600_302600_NS6detail15normal_iteratorINS9_10device_ptrIiEEEESE_SE_iNS9_4plusIvEENS9_8equal_toIvEEiEE10hipError_tPvRmT2_T3_T4_T5_mT6_T7_P12ihipStream_tbENKUlT_T0_E_clISt17integral_constantIbLb1EESZ_EEDaSU_SV_EUlSU_E_NS1_11comp_targetILNS1_3genE5ELNS1_11target_archE942ELNS1_3gpuE9ELNS1_3repE0EEENS1_30default_config_static_selectorELNS0_4arch9wavefront6targetE1EEEvT1_: ; @_ZN7rocprim17ROCPRIM_400000_NS6detail17trampoline_kernelINS0_14default_configENS1_27scan_by_key_config_selectorIiiEEZZNS1_16scan_by_key_implILNS1_25lookback_scan_determinismE0ELb0ES3_N6thrust23THRUST_200600_302600_NS6detail15normal_iteratorINS9_10device_ptrIiEEEESE_SE_iNS9_4plusIvEENS9_8equal_toIvEEiEE10hipError_tPvRmT2_T3_T4_T5_mT6_T7_P12ihipStream_tbENKUlT_T0_E_clISt17integral_constantIbLb1EESZ_EEDaSU_SV_EUlSU_E_NS1_11comp_targetILNS1_3genE5ELNS1_11target_archE942ELNS1_3gpuE9ELNS1_3repE0EEENS1_30default_config_static_selectorELNS0_4arch9wavefront6targetE1EEEvT1_
; %bb.0:
	.section	.rodata,"a",@progbits
	.p2align	6, 0x0
	.amdhsa_kernel _ZN7rocprim17ROCPRIM_400000_NS6detail17trampoline_kernelINS0_14default_configENS1_27scan_by_key_config_selectorIiiEEZZNS1_16scan_by_key_implILNS1_25lookback_scan_determinismE0ELb0ES3_N6thrust23THRUST_200600_302600_NS6detail15normal_iteratorINS9_10device_ptrIiEEEESE_SE_iNS9_4plusIvEENS9_8equal_toIvEEiEE10hipError_tPvRmT2_T3_T4_T5_mT6_T7_P12ihipStream_tbENKUlT_T0_E_clISt17integral_constantIbLb1EESZ_EEDaSU_SV_EUlSU_E_NS1_11comp_targetILNS1_3genE5ELNS1_11target_archE942ELNS1_3gpuE9ELNS1_3repE0EEENS1_30default_config_static_selectorELNS0_4arch9wavefront6targetE1EEEvT1_
		.amdhsa_group_segment_fixed_size 0
		.amdhsa_private_segment_fixed_size 0
		.amdhsa_kernarg_size 112
		.amdhsa_user_sgpr_count 6
		.amdhsa_user_sgpr_private_segment_buffer 1
		.amdhsa_user_sgpr_dispatch_ptr 0
		.amdhsa_user_sgpr_queue_ptr 0
		.amdhsa_user_sgpr_kernarg_segment_ptr 1
		.amdhsa_user_sgpr_dispatch_id 0
		.amdhsa_user_sgpr_flat_scratch_init 0
		.amdhsa_user_sgpr_kernarg_preload_length 0
		.amdhsa_user_sgpr_kernarg_preload_offset 0
		.amdhsa_user_sgpr_private_segment_size 0
		.amdhsa_uses_dynamic_stack 0
		.amdhsa_system_sgpr_private_segment_wavefront_offset 0
		.amdhsa_system_sgpr_workgroup_id_x 1
		.amdhsa_system_sgpr_workgroup_id_y 0
		.amdhsa_system_sgpr_workgroup_id_z 0
		.amdhsa_system_sgpr_workgroup_info 0
		.amdhsa_system_vgpr_workitem_id 0
		.amdhsa_next_free_vgpr 1
		.amdhsa_next_free_sgpr 0
		.amdhsa_accum_offset 4
		.amdhsa_reserve_vcc 0
		.amdhsa_reserve_flat_scratch 0
		.amdhsa_float_round_mode_32 0
		.amdhsa_float_round_mode_16_64 0
		.amdhsa_float_denorm_mode_32 3
		.amdhsa_float_denorm_mode_16_64 3
		.amdhsa_dx10_clamp 1
		.amdhsa_ieee_mode 1
		.amdhsa_fp16_overflow 0
		.amdhsa_tg_split 0
		.amdhsa_exception_fp_ieee_invalid_op 0
		.amdhsa_exception_fp_denorm_src 0
		.amdhsa_exception_fp_ieee_div_zero 0
		.amdhsa_exception_fp_ieee_overflow 0
		.amdhsa_exception_fp_ieee_underflow 0
		.amdhsa_exception_fp_ieee_inexact 0
		.amdhsa_exception_int_div_zero 0
	.end_amdhsa_kernel
	.section	.text._ZN7rocprim17ROCPRIM_400000_NS6detail17trampoline_kernelINS0_14default_configENS1_27scan_by_key_config_selectorIiiEEZZNS1_16scan_by_key_implILNS1_25lookback_scan_determinismE0ELb0ES3_N6thrust23THRUST_200600_302600_NS6detail15normal_iteratorINS9_10device_ptrIiEEEESE_SE_iNS9_4plusIvEENS9_8equal_toIvEEiEE10hipError_tPvRmT2_T3_T4_T5_mT6_T7_P12ihipStream_tbENKUlT_T0_E_clISt17integral_constantIbLb1EESZ_EEDaSU_SV_EUlSU_E_NS1_11comp_targetILNS1_3genE5ELNS1_11target_archE942ELNS1_3gpuE9ELNS1_3repE0EEENS1_30default_config_static_selectorELNS0_4arch9wavefront6targetE1EEEvT1_,"axG",@progbits,_ZN7rocprim17ROCPRIM_400000_NS6detail17trampoline_kernelINS0_14default_configENS1_27scan_by_key_config_selectorIiiEEZZNS1_16scan_by_key_implILNS1_25lookback_scan_determinismE0ELb0ES3_N6thrust23THRUST_200600_302600_NS6detail15normal_iteratorINS9_10device_ptrIiEEEESE_SE_iNS9_4plusIvEENS9_8equal_toIvEEiEE10hipError_tPvRmT2_T3_T4_T5_mT6_T7_P12ihipStream_tbENKUlT_T0_E_clISt17integral_constantIbLb1EESZ_EEDaSU_SV_EUlSU_E_NS1_11comp_targetILNS1_3genE5ELNS1_11target_archE942ELNS1_3gpuE9ELNS1_3repE0EEENS1_30default_config_static_selectorELNS0_4arch9wavefront6targetE1EEEvT1_,comdat
.Lfunc_end135:
	.size	_ZN7rocprim17ROCPRIM_400000_NS6detail17trampoline_kernelINS0_14default_configENS1_27scan_by_key_config_selectorIiiEEZZNS1_16scan_by_key_implILNS1_25lookback_scan_determinismE0ELb0ES3_N6thrust23THRUST_200600_302600_NS6detail15normal_iteratorINS9_10device_ptrIiEEEESE_SE_iNS9_4plusIvEENS9_8equal_toIvEEiEE10hipError_tPvRmT2_T3_T4_T5_mT6_T7_P12ihipStream_tbENKUlT_T0_E_clISt17integral_constantIbLb1EESZ_EEDaSU_SV_EUlSU_E_NS1_11comp_targetILNS1_3genE5ELNS1_11target_archE942ELNS1_3gpuE9ELNS1_3repE0EEENS1_30default_config_static_selectorELNS0_4arch9wavefront6targetE1EEEvT1_, .Lfunc_end135-_ZN7rocprim17ROCPRIM_400000_NS6detail17trampoline_kernelINS0_14default_configENS1_27scan_by_key_config_selectorIiiEEZZNS1_16scan_by_key_implILNS1_25lookback_scan_determinismE0ELb0ES3_N6thrust23THRUST_200600_302600_NS6detail15normal_iteratorINS9_10device_ptrIiEEEESE_SE_iNS9_4plusIvEENS9_8equal_toIvEEiEE10hipError_tPvRmT2_T3_T4_T5_mT6_T7_P12ihipStream_tbENKUlT_T0_E_clISt17integral_constantIbLb1EESZ_EEDaSU_SV_EUlSU_E_NS1_11comp_targetILNS1_3genE5ELNS1_11target_archE942ELNS1_3gpuE9ELNS1_3repE0EEENS1_30default_config_static_selectorELNS0_4arch9wavefront6targetE1EEEvT1_
                                        ; -- End function
	.section	.AMDGPU.csdata,"",@progbits
; Kernel info:
; codeLenInByte = 0
; NumSgprs: 4
; NumVgprs: 0
; NumAgprs: 0
; TotalNumVgprs: 0
; ScratchSize: 0
; MemoryBound: 0
; FloatMode: 240
; IeeeMode: 1
; LDSByteSize: 0 bytes/workgroup (compile time only)
; SGPRBlocks: 0
; VGPRBlocks: 0
; NumSGPRsForWavesPerEU: 4
; NumVGPRsForWavesPerEU: 1
; AccumOffset: 4
; Occupancy: 8
; WaveLimiterHint : 0
; COMPUTE_PGM_RSRC2:SCRATCH_EN: 0
; COMPUTE_PGM_RSRC2:USER_SGPR: 6
; COMPUTE_PGM_RSRC2:TRAP_HANDLER: 0
; COMPUTE_PGM_RSRC2:TGID_X_EN: 1
; COMPUTE_PGM_RSRC2:TGID_Y_EN: 0
; COMPUTE_PGM_RSRC2:TGID_Z_EN: 0
; COMPUTE_PGM_RSRC2:TIDIG_COMP_CNT: 0
; COMPUTE_PGM_RSRC3_GFX90A:ACCUM_OFFSET: 0
; COMPUTE_PGM_RSRC3_GFX90A:TG_SPLIT: 0
	.section	.text._ZN7rocprim17ROCPRIM_400000_NS6detail17trampoline_kernelINS0_14default_configENS1_27scan_by_key_config_selectorIiiEEZZNS1_16scan_by_key_implILNS1_25lookback_scan_determinismE0ELb0ES3_N6thrust23THRUST_200600_302600_NS6detail15normal_iteratorINS9_10device_ptrIiEEEESE_SE_iNS9_4plusIvEENS9_8equal_toIvEEiEE10hipError_tPvRmT2_T3_T4_T5_mT6_T7_P12ihipStream_tbENKUlT_T0_E_clISt17integral_constantIbLb1EESZ_EEDaSU_SV_EUlSU_E_NS1_11comp_targetILNS1_3genE4ELNS1_11target_archE910ELNS1_3gpuE8ELNS1_3repE0EEENS1_30default_config_static_selectorELNS0_4arch9wavefront6targetE1EEEvT1_,"axG",@progbits,_ZN7rocprim17ROCPRIM_400000_NS6detail17trampoline_kernelINS0_14default_configENS1_27scan_by_key_config_selectorIiiEEZZNS1_16scan_by_key_implILNS1_25lookback_scan_determinismE0ELb0ES3_N6thrust23THRUST_200600_302600_NS6detail15normal_iteratorINS9_10device_ptrIiEEEESE_SE_iNS9_4plusIvEENS9_8equal_toIvEEiEE10hipError_tPvRmT2_T3_T4_T5_mT6_T7_P12ihipStream_tbENKUlT_T0_E_clISt17integral_constantIbLb1EESZ_EEDaSU_SV_EUlSU_E_NS1_11comp_targetILNS1_3genE4ELNS1_11target_archE910ELNS1_3gpuE8ELNS1_3repE0EEENS1_30default_config_static_selectorELNS0_4arch9wavefront6targetE1EEEvT1_,comdat
	.protected	_ZN7rocprim17ROCPRIM_400000_NS6detail17trampoline_kernelINS0_14default_configENS1_27scan_by_key_config_selectorIiiEEZZNS1_16scan_by_key_implILNS1_25lookback_scan_determinismE0ELb0ES3_N6thrust23THRUST_200600_302600_NS6detail15normal_iteratorINS9_10device_ptrIiEEEESE_SE_iNS9_4plusIvEENS9_8equal_toIvEEiEE10hipError_tPvRmT2_T3_T4_T5_mT6_T7_P12ihipStream_tbENKUlT_T0_E_clISt17integral_constantIbLb1EESZ_EEDaSU_SV_EUlSU_E_NS1_11comp_targetILNS1_3genE4ELNS1_11target_archE910ELNS1_3gpuE8ELNS1_3repE0EEENS1_30default_config_static_selectorELNS0_4arch9wavefront6targetE1EEEvT1_ ; -- Begin function _ZN7rocprim17ROCPRIM_400000_NS6detail17trampoline_kernelINS0_14default_configENS1_27scan_by_key_config_selectorIiiEEZZNS1_16scan_by_key_implILNS1_25lookback_scan_determinismE0ELb0ES3_N6thrust23THRUST_200600_302600_NS6detail15normal_iteratorINS9_10device_ptrIiEEEESE_SE_iNS9_4plusIvEENS9_8equal_toIvEEiEE10hipError_tPvRmT2_T3_T4_T5_mT6_T7_P12ihipStream_tbENKUlT_T0_E_clISt17integral_constantIbLb1EESZ_EEDaSU_SV_EUlSU_E_NS1_11comp_targetILNS1_3genE4ELNS1_11target_archE910ELNS1_3gpuE8ELNS1_3repE0EEENS1_30default_config_static_selectorELNS0_4arch9wavefront6targetE1EEEvT1_
	.globl	_ZN7rocprim17ROCPRIM_400000_NS6detail17trampoline_kernelINS0_14default_configENS1_27scan_by_key_config_selectorIiiEEZZNS1_16scan_by_key_implILNS1_25lookback_scan_determinismE0ELb0ES3_N6thrust23THRUST_200600_302600_NS6detail15normal_iteratorINS9_10device_ptrIiEEEESE_SE_iNS9_4plusIvEENS9_8equal_toIvEEiEE10hipError_tPvRmT2_T3_T4_T5_mT6_T7_P12ihipStream_tbENKUlT_T0_E_clISt17integral_constantIbLb1EESZ_EEDaSU_SV_EUlSU_E_NS1_11comp_targetILNS1_3genE4ELNS1_11target_archE910ELNS1_3gpuE8ELNS1_3repE0EEENS1_30default_config_static_selectorELNS0_4arch9wavefront6targetE1EEEvT1_
	.p2align	8
	.type	_ZN7rocprim17ROCPRIM_400000_NS6detail17trampoline_kernelINS0_14default_configENS1_27scan_by_key_config_selectorIiiEEZZNS1_16scan_by_key_implILNS1_25lookback_scan_determinismE0ELb0ES3_N6thrust23THRUST_200600_302600_NS6detail15normal_iteratorINS9_10device_ptrIiEEEESE_SE_iNS9_4plusIvEENS9_8equal_toIvEEiEE10hipError_tPvRmT2_T3_T4_T5_mT6_T7_P12ihipStream_tbENKUlT_T0_E_clISt17integral_constantIbLb1EESZ_EEDaSU_SV_EUlSU_E_NS1_11comp_targetILNS1_3genE4ELNS1_11target_archE910ELNS1_3gpuE8ELNS1_3repE0EEENS1_30default_config_static_selectorELNS0_4arch9wavefront6targetE1EEEvT1_,@function
_ZN7rocprim17ROCPRIM_400000_NS6detail17trampoline_kernelINS0_14default_configENS1_27scan_by_key_config_selectorIiiEEZZNS1_16scan_by_key_implILNS1_25lookback_scan_determinismE0ELb0ES3_N6thrust23THRUST_200600_302600_NS6detail15normal_iteratorINS9_10device_ptrIiEEEESE_SE_iNS9_4plusIvEENS9_8equal_toIvEEiEE10hipError_tPvRmT2_T3_T4_T5_mT6_T7_P12ihipStream_tbENKUlT_T0_E_clISt17integral_constantIbLb1EESZ_EEDaSU_SV_EUlSU_E_NS1_11comp_targetILNS1_3genE4ELNS1_11target_archE910ELNS1_3gpuE8ELNS1_3repE0EEENS1_30default_config_static_selectorELNS0_4arch9wavefront6targetE1EEEvT1_: ; @_ZN7rocprim17ROCPRIM_400000_NS6detail17trampoline_kernelINS0_14default_configENS1_27scan_by_key_config_selectorIiiEEZZNS1_16scan_by_key_implILNS1_25lookback_scan_determinismE0ELb0ES3_N6thrust23THRUST_200600_302600_NS6detail15normal_iteratorINS9_10device_ptrIiEEEESE_SE_iNS9_4plusIvEENS9_8equal_toIvEEiEE10hipError_tPvRmT2_T3_T4_T5_mT6_T7_P12ihipStream_tbENKUlT_T0_E_clISt17integral_constantIbLb1EESZ_EEDaSU_SV_EUlSU_E_NS1_11comp_targetILNS1_3genE4ELNS1_11target_archE910ELNS1_3gpuE8ELNS1_3repE0EEENS1_30default_config_static_selectorELNS0_4arch9wavefront6targetE1EEEvT1_
; %bb.0:
	s_load_dwordx4 s[56:59], s[4:5], 0x28
	s_load_dwordx2 s[60:61], s[4:5], 0x38
	v_cmp_ne_u32_e64 s[36:37], 0, v0
	v_cmp_eq_u32_e64 s[0:1], 0, v0
	s_and_saveexec_b64 s[2:3], s[0:1]
	s_cbranch_execz .LBB136_4
; %bb.1:
	s_mov_b64 s[8:9], exec
	v_mbcnt_lo_u32_b32 v1, s8, 0
	v_mbcnt_hi_u32_b32 v1, s9, v1
	v_cmp_eq_u32_e32 vcc, 0, v1
                                        ; implicit-def: $vgpr2
	s_and_saveexec_b64 s[6:7], vcc
	s_cbranch_execz .LBB136_3
; %bb.2:
	s_load_dwordx2 s[10:11], s[4:5], 0x68
	s_bcnt1_i32_b64 s8, s[8:9]
	v_mov_b32_e32 v2, 0
	v_mov_b32_e32 v3, s8
	s_waitcnt lgkmcnt(0)
	global_atomic_add v2, v2, v3, s[10:11] glc
.LBB136_3:
	s_or_b64 exec, exec, s[6:7]
	s_waitcnt vmcnt(0)
	v_readfirstlane_b32 s6, v2
	v_add_u32_e32 v1, s6, v1
	v_mov_b32_e32 v2, 0
	ds_write_b32 v2, v1
.LBB136_4:
	s_or_b64 exec, exec, s[2:3]
	s_load_dwordx8 s[40:47], s[4:5], 0x0
	s_load_dword s2, s[4:5], 0x40
	s_load_dwordx8 s[48:55], s[4:5], 0x48
	v_mov_b32_e32 v1, 0
	s_waitcnt lgkmcnt(0)
	s_barrier
	ds_read_b32 v1, v1
	s_lshl_b64 s[38:39], s[42:43], 2
	s_add_u32 s4, s40, s38
	s_addc_u32 s5, s41, s39
	s_add_u32 s6, s44, s38
	s_mul_i32 s3, s61, s2
	s_mul_hi_u32 s8, s60, s2
	s_addc_u32 s7, s45, s39
	s_add_i32 s8, s8, s3
	s_waitcnt lgkmcnt(0)
	v_readfirstlane_b32 s59, v1
	s_mul_i32 s9, s60, s2
	s_cmp_lg_u64 s[52:53], 0
	s_mov_b32 s3, 0
	s_mul_i32 s2, s59, 0xe00
	s_cselect_b64 s[44:45], -1, 0
	s_lshl_b64 s[40:41], s[2:3], 2
	s_add_u32 s42, s4, s40
	s_addc_u32 s43, s5, s41
	s_add_u32 s62, s6, s40
	s_addc_u32 s63, s7, s41
	;; [unrolled: 2-line block ×3, first 2 shown]
	s_add_u32 s4, s48, -1
	s_addc_u32 s5, s49, -1
	v_pk_mov_b32 v[2:3], s[4:5], s[4:5] op_sel:[0,1]
	v_cmp_ge_u64_e64 s[2:3], s[52:53], v[2:3]
	s_mov_b64 s[18:19], 0
	s_mov_b64 s[12:13], -1
	s_and_b64 vcc, exec, s[2:3]
	s_mul_i32 s33, s4, 0xfffff200
	s_barrier
	s_barrier
	s_cbranch_vccz .LBB136_81
; %bb.5:
	v_pk_mov_b32 v[2:3], s[42:43], s[42:43] op_sel:[0,1]
	flat_load_dword v1, v[2:3]
	s_add_i32 s64, s33, s58
	v_cmp_gt_u32_e64 s[6:7], s64, v0
	s_waitcnt vmcnt(0) lgkmcnt(0)
	v_mov_b32_e32 v13, v1
	s_and_saveexec_b64 s[4:5], s[6:7]
	s_cbranch_execz .LBB136_7
; %bb.6:
	v_lshlrev_b32_e32 v2, 2, v0
	v_mov_b32_e32 v3, s43
	v_add_co_u32_e32 v2, vcc, s42, v2
	v_addc_co_u32_e32 v3, vcc, 0, v3, vcc
	flat_load_dword v13, v[2:3]
.LBB136_7:
	s_or_b64 exec, exec, s[4:5]
	v_or_b32_e32 v2, 0x100, v0
	v_cmp_gt_u32_e64 s[8:9], s64, v2
	v_mov_b32_e32 v14, v1
	s_and_saveexec_b64 s[4:5], s[8:9]
	s_cbranch_execz .LBB136_9
; %bb.8:
	v_lshlrev_b32_e32 v2, 2, v0
	v_mov_b32_e32 v3, s43
	v_add_co_u32_e32 v2, vcc, s42, v2
	v_addc_co_u32_e32 v3, vcc, 0, v3, vcc
	flat_load_dword v14, v[2:3] offset:1024
.LBB136_9:
	s_or_b64 exec, exec, s[4:5]
	v_or_b32_e32 v2, 0x200, v0
	v_cmp_gt_u32_e64 s[10:11], s64, v2
	v_mov_b32_e32 v15, v1
	s_and_saveexec_b64 s[4:5], s[10:11]
	s_cbranch_execz .LBB136_11
; %bb.10:
	v_lshlrev_b32_e32 v2, 2, v0
	v_mov_b32_e32 v3, s43
	v_add_co_u32_e32 v2, vcc, s42, v2
	v_addc_co_u32_e32 v3, vcc, 0, v3, vcc
	flat_load_dword v15, v[2:3] offset:2048
.LBB136_11:
	;; [unrolled: 13-line block ×3, first 2 shown]
	s_or_b64 exec, exec, s[4:5]
	v_or_b32_e32 v2, 0x400, v0
	v_cmp_gt_u32_e64 s[14:15], s64, v2
	v_mov_b32_e32 v17, v1
	s_and_saveexec_b64 s[4:5], s[14:15]
	s_cbranch_execz .LBB136_15
; %bb.14:
	v_lshlrev_b32_e32 v3, 2, v2
	v_mov_b32_e32 v5, s43
	v_add_co_u32_e32 v4, vcc, s42, v3
	v_addc_co_u32_e32 v5, vcc, 0, v5, vcc
	flat_load_dword v17, v[4:5]
.LBB136_15:
	s_or_b64 exec, exec, s[4:5]
	v_or_b32_e32 v3, 0x500, v0
	v_cmp_gt_u32_e64 s[16:17], s64, v3
	v_mov_b32_e32 v18, v1
	s_and_saveexec_b64 s[4:5], s[16:17]
	s_cbranch_execz .LBB136_17
; %bb.16:
	v_lshlrev_b32_e32 v4, 2, v3
	v_mov_b32_e32 v5, s43
	v_add_co_u32_e32 v4, vcc, s42, v4
	v_addc_co_u32_e32 v5, vcc, 0, v5, vcc
	flat_load_dword v18, v[4:5]
.LBB136_17:
	;; [unrolled: 13-line block ×9, first 2 shown]
	s_or_b64 exec, exec, s[4:5]
	v_or_b32_e32 v11, 0xd00, v0
	v_cmp_gt_u32_e64 s[34:35], s64, v11
	s_and_saveexec_b64 s[4:5], s[34:35]
	s_cbranch_execz .LBB136_33
; %bb.32:
	v_lshlrev_b32_e32 v1, 2, v11
	v_mov_b32_e32 v12, s43
	v_add_co_u32_e32 v26, vcc, s42, v1
	v_addc_co_u32_e32 v27, vcc, 0, v12, vcc
	flat_load_dword v1, v[26:27]
.LBB136_33:
	s_or_b64 exec, exec, s[4:5]
	v_lshlrev_b32_e32 v12, 2, v0
	s_waitcnt vmcnt(0) lgkmcnt(0)
	ds_write2st64_b32 v12, v13, v14 offset1:4
	ds_write2st64_b32 v12, v15, v16 offset0:8 offset1:12
	ds_write2st64_b32 v12, v17, v18 offset0:16 offset1:20
	;; [unrolled: 1-line block ×6, first 2 shown]
	v_mad_u32_u24 v1, v0, 52, v12
	s_waitcnt lgkmcnt(0)
	s_barrier
	ds_read2_b64 v[34:37], v1 offset1:1
	ds_read2_b64 v[30:33], v1 offset0:2 offset1:3
	ds_read2_b64 v[26:29], v1 offset0:4 offset1:5
	ds_read_b64 v[40:41], v1 offset:48
	s_cmp_eq_u64 s[52:53], 0
	s_mov_b64 s[4:5], s[42:43]
	s_cbranch_scc1 .LBB136_37
; %bb.34:
	s_andn2_b64 vcc, exec, s[44:45]
	s_cbranch_vccnz .LBB136_187
; %bb.35:
	s_lshl_b64 s[4:5], s[52:53], 2
	s_add_u32 s4, s54, s4
	s_addc_u32 s5, s55, s5
	s_add_u32 s4, s4, -4
	s_addc_u32 s5, s5, -1
	s_cbranch_execnz .LBB136_37
.LBB136_36:
	s_add_u32 s4, s42, -4
	s_addc_u32 s5, s43, -1
.LBB136_37:
	v_pk_mov_b32 v[14:15], s[4:5], s[4:5] op_sel:[0,1]
	flat_load_dword v44, v[14:15]
	s_movk_i32 s4, 0xffcc
	v_mad_i32_i24 v13, v0, s4, v1
	s_waitcnt lgkmcnt(0)
	ds_write_b32 v13, v41 offset:14336
	s_waitcnt lgkmcnt(0)
	s_barrier
	s_and_saveexec_b64 s[4:5], s[36:37]
	s_cbranch_execz .LBB136_39
; %bb.38:
	v_mul_i32_i24_e32 v13, 0xffffffcc, v0
	v_add_u32_e32 v13, v1, v13
	s_waitcnt vmcnt(0)
	ds_read_b32 v44, v13 offset:14332
.LBB136_39:
	s_or_b64 exec, exec, s[4:5]
	s_waitcnt lgkmcnt(0)
	s_barrier
	s_waitcnt lgkmcnt(0)
                                        ; implicit-def: $vgpr13
	s_and_saveexec_b64 s[4:5], s[6:7]
	s_cbranch_execnz .LBB136_174
; %bb.40:
	s_or_b64 exec, exec, s[4:5]
                                        ; implicit-def: $vgpr14
	s_and_saveexec_b64 s[4:5], s[8:9]
	s_cbranch_execnz .LBB136_175
.LBB136_41:
	s_or_b64 exec, exec, s[4:5]
                                        ; implicit-def: $vgpr15
	s_and_saveexec_b64 s[4:5], s[10:11]
	s_cbranch_execnz .LBB136_176
.LBB136_42:
	s_or_b64 exec, exec, s[4:5]
                                        ; implicit-def: $vgpr16
	s_and_saveexec_b64 s[4:5], s[12:13]
	s_cbranch_execnz .LBB136_177
.LBB136_43:
	s_or_b64 exec, exec, s[4:5]
                                        ; implicit-def: $vgpr17
	s_and_saveexec_b64 s[4:5], s[14:15]
	s_cbranch_execnz .LBB136_178
.LBB136_44:
	s_or_b64 exec, exec, s[4:5]
                                        ; implicit-def: $vgpr2
	s_and_saveexec_b64 s[4:5], s[16:17]
	s_cbranch_execnz .LBB136_179
.LBB136_45:
	s_or_b64 exec, exec, s[4:5]
                                        ; implicit-def: $vgpr3
	s_and_saveexec_b64 s[4:5], s[18:19]
	s_cbranch_execnz .LBB136_180
.LBB136_46:
	s_or_b64 exec, exec, s[4:5]
                                        ; implicit-def: $vgpr4
	s_and_saveexec_b64 s[4:5], s[20:21]
	s_cbranch_execnz .LBB136_181
.LBB136_47:
	s_or_b64 exec, exec, s[4:5]
                                        ; implicit-def: $vgpr5
	s_and_saveexec_b64 s[4:5], s[22:23]
	s_cbranch_execnz .LBB136_182
.LBB136_48:
	s_or_b64 exec, exec, s[4:5]
                                        ; implicit-def: $vgpr6
	s_and_saveexec_b64 s[4:5], s[24:25]
	s_cbranch_execnz .LBB136_183
.LBB136_49:
	s_or_b64 exec, exec, s[4:5]
                                        ; implicit-def: $vgpr7
	s_and_saveexec_b64 s[4:5], s[26:27]
	s_cbranch_execnz .LBB136_184
.LBB136_50:
	s_or_b64 exec, exec, s[4:5]
                                        ; implicit-def: $vgpr8
	s_and_saveexec_b64 s[4:5], s[28:29]
	s_cbranch_execnz .LBB136_185
.LBB136_51:
	s_or_b64 exec, exec, s[4:5]
                                        ; implicit-def: $vgpr9
	s_and_saveexec_b64 s[4:5], s[30:31]
	s_cbranch_execnz .LBB136_186
.LBB136_52:
	s_or_b64 exec, exec, s[4:5]
                                        ; implicit-def: $vgpr10
	s_and_saveexec_b64 s[4:5], s[34:35]
	s_cbranch_execz .LBB136_54
.LBB136_53:
	v_lshlrev_b32_e32 v10, 2, v11
	v_mov_b32_e32 v11, s63
	v_add_co_u32_e32 v10, vcc, s62, v10
	v_addc_co_u32_e32 v11, vcc, 0, v11, vcc
	flat_load_dword v10, v[10:11]
.LBB136_54:
	s_or_b64 exec, exec, s[4:5]
	s_mov_b32 s4, 0
	s_mov_b32 s5, s4
	s_waitcnt vmcnt(0) lgkmcnt(0)
	ds_write2st64_b32 v12, v13, v14 offset1:4
	ds_write2st64_b32 v12, v15, v16 offset0:8 offset1:12
	ds_write2st64_b32 v12, v17, v2 offset0:16 offset1:20
	ds_write2st64_b32 v12, v3, v4 offset0:24 offset1:28
	ds_write2st64_b32 v12, v5, v6 offset0:32 offset1:36
	ds_write2st64_b32 v12, v7, v8 offset0:40 offset1:44
	ds_write2st64_b32 v12, v9, v10 offset0:48 offset1:52
	s_mov_b32 s6, s4
	s_mov_b32 s7, s4
	s_mov_b32 s8, s4
	s_mov_b32 s9, s4
	s_mov_b32 s10, s4
	s_mov_b32 s11, s4
	v_pk_mov_b32 v[2:3], s[4:5], s[4:5] op_sel:[0,1]
	v_pk_mov_b32 v[8:9], s[10:11], s[10:11] op_sel:[0,1]
	v_mul_u32_u24_e32 v42, 14, v0
	v_pk_mov_b32 v[4:5], s[6:7], s[6:7] op_sel:[0,1]
	v_pk_mov_b32 v[6:7], s[8:9], s[8:9] op_sel:[0,1]
	;; [unrolled: 1-line block ×4, first 2 shown]
	v_cmp_gt_u32_e32 vcc, s64, v42
	s_mov_b64 s[12:13], 0
	v_pk_mov_b32 v[38:39], 0, 0
	s_mov_b64 s[18:19], 0
	v_pk_mov_b32 v[14:15], v[6:7], v[6:7] op_sel:[0,1]
	v_pk_mov_b32 v[12:13], v[4:5], v[4:5] op_sel:[0,1]
	;; [unrolled: 1-line block ×6, first 2 shown]
	s_waitcnt lgkmcnt(0)
	s_barrier
	s_waitcnt lgkmcnt(0)
                                        ; implicit-def: $sgpr16_sgpr17
                                        ; implicit-def: $vgpr43
	s_and_saveexec_b64 s[14:15], vcc
	s_cbranch_execz .LBB136_80
; %bb.55:
	v_or_b32_e32 v2, 1, v42
	ds_read_b32 v38, v1
	v_cmp_ne_u32_e32 vcc, v44, v34
	v_cndmask_b32_e64 v39, 0, 1, vcc
	v_cmp_gt_u32_e32 vcc, s64, v2
	v_pk_mov_b32 v[2:3], s[4:5], s[4:5] op_sel:[0,1]
	v_pk_mov_b32 v[8:9], s[10:11], s[10:11] op_sel:[0,1]
	;; [unrolled: 1-line block ×12, first 2 shown]
                                        ; implicit-def: $sgpr4_sgpr5
                                        ; implicit-def: $vgpr43
	s_and_saveexec_b64 s[16:17], vcc
	s_cbranch_execz .LBB136_79
; %bb.56:
	ds_read2_b32 v[44:45], v1 offset0:1 offset1:2
	s_mov_b32 s4, 0
	s_mov_b32 s10, s4
	;; [unrolled: 1-line block ×8, first 2 shown]
	v_pk_mov_b32 v[16:17], s[10:11], s[10:11] op_sel:[0,1]
	v_add_u32_e32 v2, 2, v42
	v_cmp_ne_u32_e32 vcc, v34, v35
	v_mov_b32_e32 v6, 0
	v_pk_mov_b32 v[14:15], s[8:9], s[8:9] op_sel:[0,1]
	v_pk_mov_b32 v[12:13], s[6:7], s[6:7] op_sel:[0,1]
	;; [unrolled: 1-line block ×4, first 2 shown]
	v_cndmask_b32_e64 v3, 0, 1, vcc
	v_cmp_gt_u32_e32 vcc, s64, v2
	s_waitcnt lgkmcnt(0)
	v_mov_b32_e32 v2, v44
	v_mov_b32_e32 v4, v6
	;; [unrolled: 1-line block ×6, first 2 shown]
	s_mov_b64 s[20:21], 0
	v_pk_mov_b32 v[22:23], v[14:15], v[14:15] op_sel:[0,1]
	v_pk_mov_b32 v[20:21], v[12:13], v[12:13] op_sel:[0,1]
	;; [unrolled: 1-line block ×3, first 2 shown]
                                        ; implicit-def: $sgpr24_sgpr25
                                        ; implicit-def: $vgpr43
	s_and_saveexec_b64 s[18:19], vcc
	s_cbranch_execz .LBB136_78
; %bb.57:
	v_pk_mov_b32 v[16:17], s[10:11], s[10:11] op_sel:[0,1]
	v_add_u32_e32 v2, 3, v42
	v_cmp_ne_u32_e32 vcc, v35, v36
	v_pk_mov_b32 v[14:15], s[8:9], s[8:9] op_sel:[0,1]
	v_pk_mov_b32 v[12:13], s[6:7], s[6:7] op_sel:[0,1]
	;; [unrolled: 1-line block ×4, first 2 shown]
	v_cndmask_b32_e64 v5, 0, 1, vcc
	v_cmp_gt_u32_e32 vcc, s64, v2
	v_mov_b32_e32 v2, v44
	v_mov_b32_e32 v4, v45
	;; [unrolled: 1-line block ×5, first 2 shown]
	s_mov_b64 s[22:23], 0
	v_pk_mov_b32 v[22:23], v[14:15], v[14:15] op_sel:[0,1]
	v_pk_mov_b32 v[20:21], v[12:13], v[12:13] op_sel:[0,1]
	;; [unrolled: 1-line block ×3, first 2 shown]
                                        ; implicit-def: $sgpr4_sgpr5
                                        ; implicit-def: $vgpr43
	s_and_saveexec_b64 s[20:21], vcc
	s_cbranch_execz .LBB136_77
; %bb.58:
	ds_read2_b32 v[34:35], v1 offset0:3 offset1:4
	s_mov_b32 s4, 0
	s_mov_b32 s10, s4
	;; [unrolled: 1-line block ×8, first 2 shown]
	v_pk_mov_b32 v[16:17], s[10:11], s[10:11] op_sel:[0,1]
	v_add_u32_e32 v6, 4, v42
	v_cmp_ne_u32_e32 vcc, v36, v37
	v_pk_mov_b32 v[14:15], s[8:9], s[8:9] op_sel:[0,1]
	v_pk_mov_b32 v[12:13], s[6:7], s[6:7] op_sel:[0,1]
	;; [unrolled: 1-line block ×4, first 2 shown]
	v_cndmask_b32_e64 v7, 0, 1, vcc
	v_cmp_gt_u32_e32 vcc, s64, v6
	s_waitcnt lgkmcnt(0)
	v_mov_b32_e32 v6, v34
	v_mov_b32_e32 v8, s4
	;; [unrolled: 1-line block ×3, first 2 shown]
	s_mov_b64 s[24:25], 0
	v_pk_mov_b32 v[22:23], v[14:15], v[14:15] op_sel:[0,1]
	v_pk_mov_b32 v[20:21], v[12:13], v[12:13] op_sel:[0,1]
	;; [unrolled: 1-line block ×3, first 2 shown]
                                        ; implicit-def: $sgpr26_sgpr27
                                        ; implicit-def: $vgpr43
	s_and_saveexec_b64 s[22:23], vcc
	s_cbranch_execz .LBB136_76
; %bb.59:
	v_pk_mov_b32 v[16:17], s[10:11], s[10:11] op_sel:[0,1]
	v_add_u32_e32 v8, 5, v42
	v_cmp_ne_u32_e32 vcc, v37, v30
	v_pk_mov_b32 v[14:15], s[8:9], s[8:9] op_sel:[0,1]
	v_pk_mov_b32 v[12:13], s[6:7], s[6:7] op_sel:[0,1]
	;; [unrolled: 1-line block ×4, first 2 shown]
	v_cndmask_b32_e64 v9, 0, 1, vcc
	v_cmp_gt_u32_e32 vcc, s64, v8
	v_mov_b32_e32 v8, v35
	s_mov_b64 s[28:29], 0
	v_pk_mov_b32 v[22:23], v[14:15], v[14:15] op_sel:[0,1]
	v_pk_mov_b32 v[20:21], v[12:13], v[12:13] op_sel:[0,1]
	;; [unrolled: 1-line block ×3, first 2 shown]
                                        ; implicit-def: $sgpr4_sgpr5
                                        ; implicit-def: $vgpr43
	s_and_saveexec_b64 s[24:25], vcc
	s_cbranch_execz .LBB136_75
; %bb.60:
	ds_read2_b32 v[34:35], v1 offset0:5 offset1:6
	s_mov_b32 s4, 0
	s_mov_b32 s10, s4
	;; [unrolled: 1-line block ×3, first 2 shown]
	v_add_u32_e32 v10, 6, v42
	v_cmp_ne_u32_e32 vcc, v30, v31
	v_mov_b32_e32 v14, 0
	s_mov_b32 s5, s4
	s_mov_b32 s6, s4
	;; [unrolled: 1-line block ×5, first 2 shown]
	v_pk_mov_b32 v[24:25], s[10:11], s[10:11] op_sel:[0,1]
	v_cndmask_b32_e64 v11, 0, 1, vcc
	v_cmp_gt_u32_e32 vcc, s64, v10
	s_waitcnt lgkmcnt(0)
	v_mov_b32_e32 v10, v34
	v_mov_b32_e32 v12, v14
	;; [unrolled: 1-line block ×6, first 2 shown]
	v_pk_mov_b32 v[22:23], s[8:9], s[8:9] op_sel:[0,1]
	v_pk_mov_b32 v[20:21], s[6:7], s[6:7] op_sel:[0,1]
	;; [unrolled: 1-line block ×3, first 2 shown]
                                        ; implicit-def: $sgpr34_sgpr35
                                        ; implicit-def: $vgpr43
	s_and_saveexec_b64 s[26:27], vcc
	s_cbranch_execz .LBB136_74
; %bb.61:
	v_add_u32_e32 v10, 7, v42
	v_cmp_ne_u32_e32 vcc, v31, v32
	v_pk_mov_b32 v[24:25], s[10:11], s[10:11] op_sel:[0,1]
	v_cndmask_b32_e64 v13, 0, 1, vcc
	v_cmp_gt_u32_e32 vcc, s64, v10
	v_mov_b32_e32 v10, v34
	v_mov_b32_e32 v12, v35
	v_mov_b32_e32 v15, v14
	v_mov_b32_e32 v16, v14
	v_mov_b32_e32 v17, v14
	s_mov_b64 s[30:31], 0
	v_pk_mov_b32 v[22:23], s[8:9], s[8:9] op_sel:[0,1]
	v_pk_mov_b32 v[20:21], s[6:7], s[6:7] op_sel:[0,1]
	v_pk_mov_b32 v[18:19], s[4:5], s[4:5] op_sel:[0,1]
                                        ; implicit-def: $sgpr4_sgpr5
                                        ; implicit-def: $vgpr43
	s_and_saveexec_b64 s[28:29], vcc
	s_cbranch_execz .LBB136_73
; %bb.62:
	ds_read2_b32 v[30:31], v1 offset0:7 offset1:8
	s_mov_b32 s4, 0
	s_mov_b32 s10, s4
	;; [unrolled: 1-line block ×3, first 2 shown]
	v_add_u32_e32 v14, 8, v42
	v_cmp_ne_u32_e32 vcc, v32, v33
	s_mov_b32 s5, s4
	s_mov_b32 s6, s4
	;; [unrolled: 1-line block ×5, first 2 shown]
	v_pk_mov_b32 v[24:25], s[10:11], s[10:11] op_sel:[0,1]
	v_cndmask_b32_e64 v15, 0, 1, vcc
	v_cmp_gt_u32_e32 vcc, s64, v14
	s_waitcnt lgkmcnt(0)
	v_mov_b32_e32 v14, v30
	v_mov_b32_e32 v16, s4
	;; [unrolled: 1-line block ×3, first 2 shown]
	s_mov_b64 s[34:35], 0
	v_pk_mov_b32 v[22:23], s[8:9], s[8:9] op_sel:[0,1]
	v_pk_mov_b32 v[20:21], s[6:7], s[6:7] op_sel:[0,1]
	;; [unrolled: 1-line block ×3, first 2 shown]
                                        ; implicit-def: $sgpr48_sgpr49
                                        ; implicit-def: $vgpr43
	s_and_saveexec_b64 s[30:31], vcc
	s_cbranch_execz .LBB136_72
; %bb.63:
	v_add_u32_e32 v16, 9, v42
	v_cmp_ne_u32_e32 vcc, v33, v26
	v_pk_mov_b32 v[24:25], s[10:11], s[10:11] op_sel:[0,1]
	v_cndmask_b32_e64 v17, 0, 1, vcc
	v_cmp_gt_u32_e32 vcc, s64, v16
	v_mov_b32_e32 v16, v31
	v_pk_mov_b32 v[22:23], s[8:9], s[8:9] op_sel:[0,1]
	v_pk_mov_b32 v[20:21], s[6:7], s[6:7] op_sel:[0,1]
	;; [unrolled: 1-line block ×3, first 2 shown]
                                        ; implicit-def: $sgpr8_sgpr9
                                        ; implicit-def: $vgpr43
	s_and_saveexec_b64 s[6:7], vcc
	s_cbranch_execz .LBB136_71
; %bb.64:
	ds_read2_b32 v[30:31], v1 offset0:9 offset1:10
	v_add_u32_e32 v18, 10, v42
	v_cmp_ne_u32_e32 vcc, v26, v27
	v_mov_b32_e32 v22, 0
	v_cndmask_b32_e64 v19, 0, 1, vcc
	v_cmp_gt_u32_e32 vcc, s64, v18
	s_waitcnt lgkmcnt(0)
	v_mov_b32_e32 v18, v30
	v_mov_b32_e32 v20, v22
	;; [unrolled: 1-line block ×6, first 2 shown]
	s_mov_b64 s[4:5], 0
                                        ; implicit-def: $sgpr10_sgpr11
                                        ; implicit-def: $vgpr43
	s_and_saveexec_b64 s[8:9], vcc
	s_cbranch_execz .LBB136_70
; %bb.65:
	v_add_u32_e32 v18, 11, v42
	v_cmp_ne_u32_e32 vcc, v27, v28
	v_cndmask_b32_e64 v21, 0, 1, vcc
	v_cmp_gt_u32_e32 vcc, s64, v18
	s_mov_b32 s48, 0
	v_mov_b32_e32 v18, v30
	v_mov_b32_e32 v20, v31
	v_mov_b32_e32 v23, v22
	v_mov_b32_e32 v24, v22
	v_mov_b32_e32 v25, v22
                                        ; implicit-def: $sgpr34_sgpr35
                                        ; implicit-def: $vgpr43
	s_and_saveexec_b64 s[10:11], vcc
	s_cbranch_execz .LBB136_69
; %bb.66:
	ds_read2_b32 v[26:27], v1 offset0:11 offset1:12
	v_add_u32_e32 v22, 12, v42
	v_cmp_ne_u32_e32 vcc, v28, v29
	v_cndmask_b32_e64 v23, 0, 1, vcc
	v_cmp_gt_u32_e32 vcc, s64, v22
	s_waitcnt lgkmcnt(0)
	v_mov_b32_e32 v22, v26
	v_mov_b32_e32 v24, s48
	;; [unrolled: 1-line block ×3, first 2 shown]
                                        ; implicit-def: $sgpr34_sgpr35
                                        ; implicit-def: $vgpr43
	s_and_saveexec_b64 s[48:49], vcc
	s_xor_b64 s[48:49], exec, s[48:49]
	s_cbranch_execz .LBB136_68
; %bb.67:
	ds_read_b32 v43, v1 offset:52
	v_add_u32_e32 v1, 13, v42
	v_cmp_ne_u32_e64 s[4:5], v29, v40
	v_cmp_ne_u32_e32 vcc, v40, v41
	v_cndmask_b32_e64 v25, 0, 1, s[4:5]
	v_cmp_gt_u32_e64 s[4:5], s64, v1
	v_mov_b32_e32 v24, v27
	s_and_b64 s[34:35], vcc, exec
	s_and_b64 s[4:5], s[4:5], exec
.LBB136_68:
	s_or_b64 exec, exec, s[48:49]
	s_and_b64 s[34:35], s[34:35], exec
	s_and_b64 s[4:5], s[4:5], exec
.LBB136_69:
	s_or_b64 exec, exec, s[10:11]
	s_and_b64 s[10:11], s[34:35], exec
	s_and_b64 s[4:5], s[4:5], exec
.LBB136_70:
	s_or_b64 exec, exec, s[8:9]
	s_and_b64 s[8:9], s[10:11], exec
	s_and_b64 s[34:35], s[4:5], exec
.LBB136_71:
	s_or_b64 exec, exec, s[6:7]
	s_and_b64 s[48:49], s[8:9], exec
	s_and_b64 s[34:35], s[34:35], exec
.LBB136_72:
	s_or_b64 exec, exec, s[30:31]
	s_and_b64 s[4:5], s[48:49], exec
	s_and_b64 s[30:31], s[34:35], exec
.LBB136_73:
	s_or_b64 exec, exec, s[28:29]
	s_and_b64 s[34:35], s[4:5], exec
	s_and_b64 s[28:29], s[30:31], exec
.LBB136_74:
	s_or_b64 exec, exec, s[26:27]
	s_and_b64 s[4:5], s[34:35], exec
	s_and_b64 s[28:29], s[28:29], exec
.LBB136_75:
	s_or_b64 exec, exec, s[24:25]
	s_and_b64 s[26:27], s[4:5], exec
	s_and_b64 s[24:25], s[28:29], exec
.LBB136_76:
	s_or_b64 exec, exec, s[22:23]
	s_and_b64 s[4:5], s[26:27], exec
	s_and_b64 s[22:23], s[24:25], exec
.LBB136_77:
	s_or_b64 exec, exec, s[20:21]
	s_and_b64 s[24:25], s[4:5], exec
	s_and_b64 s[20:21], s[22:23], exec
.LBB136_78:
	s_or_b64 exec, exec, s[18:19]
	s_and_b64 s[4:5], s[24:25], exec
	s_and_b64 s[18:19], s[20:21], exec
.LBB136_79:
	s_or_b64 exec, exec, s[16:17]
	s_and_b64 s[16:17], s[4:5], exec
	s_and_b64 s[18:19], s[18:19], exec
.LBB136_80:
	s_or_b64 exec, exec, s[14:15]
	s_and_b64 vcc, exec, s[12:13]
	v_lshlrev_b32_e32 v50, 2, v0
	s_cbranch_vccnz .LBB136_82
	s_branch .LBB136_90
.LBB136_81:
                                        ; implicit-def: $sgpr16_sgpr17
                                        ; implicit-def: $vgpr2_vgpr3_vgpr4_vgpr5_vgpr6_vgpr7_vgpr8_vgpr9
                                        ; implicit-def: $vgpr10_vgpr11_vgpr12_vgpr13_vgpr14_vgpr15_vgpr16_vgpr17
                                        ; implicit-def: $vgpr18_vgpr19_vgpr20_vgpr21_vgpr22_vgpr23_vgpr24_vgpr25
                                        ; implicit-def: $vgpr43
                                        ; implicit-def: $vgpr38_vgpr39
	s_and_b64 vcc, exec, s[12:13]
	v_lshlrev_b32_e32 v50, 2, v0
	s_cbranch_vccz .LBB136_90
.LBB136_82:
	v_mov_b32_e32 v1, s43
	v_add_co_u32_e32 v2, vcc, s42, v50
	v_addc_co_u32_e32 v3, vcc, 0, v1, vcc
	v_add_co_u32_e32 v4, vcc, 0x1000, v2
	v_addc_co_u32_e32 v5, vcc, 0, v3, vcc
	flat_load_dword v6, v[2:3]
	flat_load_dword v7, v[2:3] offset:1024
	flat_load_dword v8, v[2:3] offset:2048
	;; [unrolled: 1-line block ×3, first 2 shown]
	flat_load_dword v10, v[4:5]
	flat_load_dword v11, v[4:5] offset:1024
	flat_load_dword v12, v[4:5] offset:2048
	;; [unrolled: 1-line block ×3, first 2 shown]
	v_add_co_u32_e32 v4, vcc, 0x2000, v2
	v_addc_co_u32_e32 v5, vcc, 0, v3, vcc
	v_add_co_u32_e32 v2, vcc, 0x3000, v2
	v_addc_co_u32_e32 v3, vcc, 0, v3, vcc
	flat_load_dword v14, v[4:5]
	flat_load_dword v15, v[4:5] offset:1024
	flat_load_dword v16, v[4:5] offset:2048
	;; [unrolled: 1-line block ×3, first 2 shown]
	flat_load_dword v18, v[2:3]
	flat_load_dword v19, v[2:3] offset:1024
	v_mad_u32_u24 v1, v0, 52, v50
	s_cmp_eq_u64 s[52:53], 0
	s_waitcnt vmcnt(0) lgkmcnt(0)
	ds_write2st64_b32 v50, v6, v7 offset1:4
	ds_write2st64_b32 v50, v8, v9 offset0:8 offset1:12
	ds_write2st64_b32 v50, v10, v11 offset0:16 offset1:20
	;; [unrolled: 1-line block ×6, first 2 shown]
	s_waitcnt lgkmcnt(0)
	s_barrier
	ds_read2_b64 v[2:5], v1 offset1:1
	ds_read2_b64 v[10:13], v1 offset0:2 offset1:3
	ds_read2_b64 v[18:21], v1 offset0:4 offset1:5
	ds_read_b64 v[6:7], v1 offset:48
	s_cbranch_scc1 .LBB136_87
; %bb.83:
	s_andn2_b64 vcc, exec, s[44:45]
	s_cbranch_vccnz .LBB136_188
; %bb.84:
	s_lshl_b64 s[4:5], s[52:53], 2
	s_add_u32 s4, s54, s4
	s_addc_u32 s5, s55, s5
	s_add_u32 s4, s4, -4
	s_addc_u32 s5, s5, -1
	s_cbranch_execnz .LBB136_86
.LBB136_85:
	s_add_u32 s4, s42, -4
	s_addc_u32 s5, s43, -1
.LBB136_86:
	s_mov_b64 s[42:43], s[4:5]
.LBB136_87:
	v_pk_mov_b32 v[8:9], s[42:43], s[42:43] op_sel:[0,1]
	flat_load_dword v8, v[8:9]
	s_movk_i32 s4, 0xffcc
	v_mad_i32_i24 v9, v0, s4, v1
	s_waitcnt lgkmcnt(0)
	ds_write_b32 v9, v7 offset:14336
	s_waitcnt lgkmcnt(0)
	s_barrier
	s_and_saveexec_b64 s[4:5], s[36:37]
	s_cbranch_execz .LBB136_89
; %bb.88:
	s_waitcnt vmcnt(0)
	v_mul_i32_i24_e32 v8, 0xffffffcc, v0
	v_add_u32_e32 v8, v1, v8
	ds_read_b32 v8, v8 offset:14332
.LBB136_89:
	s_or_b64 exec, exec, s[4:5]
	v_mov_b32_e32 v9, s63
	v_add_co_u32_e32 v14, vcc, s62, v50
	v_addc_co_u32_e32 v15, vcc, 0, v9, vcc
	s_movk_i32 s4, 0x1000
	v_add_co_u32_e32 v16, vcc, s4, v14
	v_addc_co_u32_e32 v17, vcc, 0, v15, vcc
	s_movk_i32 s4, 0x2000
	s_waitcnt lgkmcnt(0)
	s_barrier
	flat_load_dword v22, v[14:15]
	flat_load_dword v24, v[14:15] offset:1024
	flat_load_dword v26, v[14:15] offset:2048
	;; [unrolled: 1-line block ×3, first 2 shown]
	flat_load_dword v28, v[16:17]
	flat_load_dword v29, v[16:17] offset:1024
	flat_load_dword v30, v[16:17] offset:2048
	;; [unrolled: 1-line block ×3, first 2 shown]
	v_add_co_u32_e32 v16, vcc, s4, v14
	v_addc_co_u32_e32 v17, vcc, 0, v15, vcc
	s_movk_i32 s4, 0x3000
	v_add_co_u32_e32 v14, vcc, s4, v14
	v_addc_co_u32_e32 v15, vcc, 0, v15, vcc
	flat_load_dword v32, v[16:17]
	flat_load_dword v33, v[16:17] offset:1024
	flat_load_dword v34, v[16:17] offset:2048
	;; [unrolled: 1-line block ×3, first 2 shown]
	flat_load_dword v36, v[14:15]
	flat_load_dword v37, v[14:15] offset:1024
	s_waitcnt vmcnt(0)
	v_cmp_ne_u32_e32 vcc, v8, v2
	v_cndmask_b32_e64 v39, 0, 1, vcc
	v_cmp_ne_u32_e32 vcc, v5, v10
	v_cndmask_b32_e64 v9, 0, 1, vcc
	v_cmp_ne_u32_e32 vcc, v4, v5
	v_cmp_ne_u32_e64 s[16:17], v6, v7
	v_cndmask_b32_e64 v7, 0, 1, vcc
	v_cmp_ne_u32_e32 vcc, v3, v4
	v_cndmask_b32_e64 v5, 0, 1, vcc
	v_cmp_ne_u32_e32 vcc, v2, v3
	;; [unrolled: 2-line block ×10, first 2 shown]
	v_cndmask_b32_e64 v19, 0, 1, vcc
	s_mov_b64 s[18:19], -1
                                        ; implicit-def: $sgpr12_sgpr13
	s_waitcnt lgkmcnt(0)
	ds_write2st64_b32 v50, v22, v24 offset1:4
	ds_write2st64_b32 v50, v26, v27 offset0:8 offset1:12
	ds_write2st64_b32 v50, v28, v29 offset0:16 offset1:20
	;; [unrolled: 1-line block ×6, first 2 shown]
	s_waitcnt lgkmcnt(0)
	s_barrier
	ds_read2_b32 v[42:43], v1 offset1:13
	ds_read2_b32 v[26:27], v1 offset0:7 offset1:8
	ds_read2_b32 v[28:29], v1 offset0:5 offset1:6
	;; [unrolled: 1-line block ×6, first 2 shown]
	s_waitcnt lgkmcnt(6)
	v_mov_b32_e32 v38, v42
	s_waitcnt lgkmcnt(4)
	v_mov_b32_e32 v10, v28
	s_waitcnt lgkmcnt(3)
	v_mov_b32_e32 v6, v30
	s_waitcnt lgkmcnt(2)
	v_mov_b32_e32 v2, v32
	v_mov_b32_e32 v4, v33
	v_mov_b32_e32 v8, v31
	;; [unrolled: 1-line block ×5, first 2 shown]
	s_waitcnt lgkmcnt(0)
	v_mov_b32_e32 v18, v36
	v_mov_b32_e32 v20, v37
	;; [unrolled: 1-line block ×4, first 2 shown]
.LBB136_90:
	v_pk_mov_b32 v[40:41], s[12:13], s[12:13] op_sel:[0,1]
	s_and_saveexec_b64 s[4:5], s[18:19]
	s_cbranch_execz .LBB136_92
; %bb.91:
	v_cndmask_b32_e64 v41, 0, 1, s[16:17]
	s_waitcnt lgkmcnt(0)
	v_mov_b32_e32 v40, v43
.LBB136_92:
	s_or_b64 exec, exec, s[4:5]
	s_mov_b32 s4, 0
	s_cmp_lg_u32 s59, 0
	v_mbcnt_lo_u32_b32 v52, -1, 0
	v_lshrrev_b32_e32 v1, 6, v0
	v_or_b32_e32 v51, 63, v0
	s_waitcnt lgkmcnt(0)
	s_barrier
	s_cbranch_scc0 .LBB136_125
; %bb.93:
	s_mov_b32 s5, 1
	v_cmp_gt_u64_e64 s[6:7], s[4:5], v[2:3]
	v_cndmask_b32_e64 v27, 0, v38, s[6:7]
	v_add_u32_e32 v27, v27, v2
	v_cmp_gt_u64_e64 s[8:9], s[4:5], v[4:5]
	v_cndmask_b32_e64 v27, 0, v27, s[8:9]
	v_add_u32_e32 v27, v27, v4
	;; [unrolled: 3-line block ×13, first 2 shown]
	v_or3_b32 v27, v41, v25, v23
	v_or3_b32 v27, v27, v21, v19
	;; [unrolled: 1-line block ×6, first 2 shown]
	v_mov_b32_e32 v26, 0
	v_and_b32_e32 v27, 1, v27
	v_cmp_eq_u64_e32 vcc, 0, v[26:27]
	v_cndmask_b32_e32 v26, 1, v39, vcc
	v_mbcnt_hi_u32_b32 v46, -1, v52
	v_mov_b32_dpp v29, v28 row_shr:1 row_mask:0xf bank_mask:0xf
	v_mov_b32_dpp v30, v26 row_shr:1 row_mask:0xf bank_mask:0xf
	v_cmp_eq_u32_e32 vcc, 0, v26
	v_and_b32_e32 v31, 1, v26
	v_and_b32_e32 v27, 15, v46
	v_cndmask_b32_e32 v29, 0, v29, vcc
	v_and_b32_e32 v30, 1, v30
	v_cmp_eq_u32_e32 vcc, 1, v31
	v_cndmask_b32_e64 v30, v30, 1, vcc
	v_cmp_eq_u32_e32 vcc, 0, v27
	v_cndmask_b32_e32 v26, v30, v26, vcc
	v_and_b32_e32 v31, 1, v26
	v_cmp_eq_u32_e64 s[4:5], 1, v31
	v_mov_b32_dpp v30, v26 row_shr:2 row_mask:0xf bank_mask:0xf
	v_and_b32_e32 v30, 1, v30
	v_cndmask_b32_e64 v30, v30, 1, s[4:5]
	v_cmp_lt_u32_e64 s[4:5], 1, v27
	v_cndmask_b32_e64 v29, v29, 0, vcc
	v_cmp_eq_u32_e32 vcc, 0, v26
	v_cndmask_b32_e64 v26, v26, v30, s[4:5]
	v_add_u32_e32 v28, v29, v28
	v_and_b32_e32 v31, 1, v26
	v_mov_b32_dpp v30, v26 row_shr:4 row_mask:0xf bank_mask:0xf
	v_mov_b32_dpp v29, v28 row_shr:2 row_mask:0xf bank_mask:0xf
	s_and_b64 vcc, s[4:5], vcc
	v_and_b32_e32 v30, 1, v30
	v_cmp_eq_u32_e64 s[4:5], 1, v31
	v_cndmask_b32_e32 v29, 0, v29, vcc
	v_cndmask_b32_e64 v30, v30, 1, s[4:5]
	v_cmp_lt_u32_e64 s[4:5], 3, v27
	v_add_u32_e32 v28, v29, v28
	v_cmp_eq_u32_e32 vcc, 0, v26
	v_cndmask_b32_e64 v26, v26, v30, s[4:5]
	v_mov_b32_dpp v29, v28 row_shr:4 row_mask:0xf bank_mask:0xf
	s_and_b64 vcc, s[4:5], vcc
	v_mov_b32_dpp v30, v26 row_shr:8 row_mask:0xf bank_mask:0xf
	v_and_b32_e32 v31, 1, v26
	v_cndmask_b32_e32 v29, 0, v29, vcc
	v_and_b32_e32 v30, 1, v30
	v_cmp_eq_u32_e64 s[4:5], 1, v31
	v_add_u32_e32 v28, v29, v28
	v_cmp_eq_u32_e32 vcc, 0, v26
	v_cndmask_b32_e64 v30, v30, 1, s[4:5]
	v_cmp_lt_u32_e64 s[4:5], 7, v27
	v_mov_b32_dpp v29, v28 row_shr:8 row_mask:0xf bank_mask:0xf
	s_and_b64 vcc, s[4:5], vcc
	v_cndmask_b32_e32 v27, 0, v29, vcc
	v_cndmask_b32_e64 v26, v26, v30, s[4:5]
	v_add_u32_e32 v27, v27, v28
	v_cmp_eq_u32_e32 vcc, 0, v26
	v_mov_b32_dpp v29, v26 row_bcast:15 row_mask:0xf bank_mask:0xf
	v_mov_b32_dpp v28, v27 row_bcast:15 row_mask:0xf bank_mask:0xf
	v_and_b32_e32 v32, 1, v26
	v_and_b32_e32 v31, 16, v46
	v_cndmask_b32_e32 v28, 0, v28, vcc
	v_and_b32_e32 v29, 1, v29
	v_cmp_eq_u32_e32 vcc, 1, v32
	v_bfe_i32 v30, v46, 4, 1
	v_cndmask_b32_e64 v29, v29, 1, vcc
	v_cmp_eq_u32_e32 vcc, 0, v31
	v_and_b32_e32 v28, v30, v28
	v_cndmask_b32_e32 v26, v29, v26, vcc
	v_add_u32_e32 v27, v28, v27
	v_and_b32_e32 v30, 1, v26
	v_mov_b32_dpp v28, v26 row_bcast:31 row_mask:0xf bank_mask:0xf
	v_and_b32_e32 v28, 1, v28
	v_cmp_eq_u32_e64 s[4:5], 1, v30
	v_cmp_eq_u32_e32 vcc, 0, v26
	v_cndmask_b32_e64 v28, v28, 1, s[4:5]
	v_cmp_lt_u32_e64 s[4:5], 31, v46
	v_mov_b32_dpp v29, v27 row_bcast:31 row_mask:0xf bank_mask:0xf
	s_and_b64 vcc, s[4:5], vcc
	v_cndmask_b32_e64 v28, v26, v28, s[4:5]
	v_cndmask_b32_e32 v26, 0, v29, vcc
	v_add_u32_e32 v29, v26, v27
	v_cmp_eq_u32_e32 vcc, v51, v0
	s_and_saveexec_b64 s[4:5], vcc
	s_cbranch_execz .LBB136_95
; %bb.94:
	v_lshlrev_b32_e32 v26, 3, v1
	ds_write_b32 v26, v29
	ds_write_b8 v26, v28 offset:4
.LBB136_95:
	s_or_b64 exec, exec, s[4:5]
	v_cmp_gt_u32_e32 vcc, 4, v0
	s_waitcnt lgkmcnt(0)
	s_barrier
	s_and_saveexec_b64 s[4:5], vcc
	s_cbranch_execz .LBB136_99
; %bb.96:
	v_lshlrev_b32_e32 v30, 3, v0
	ds_read_b64 v[26:27], v30
	v_and_b32_e32 v31, 3, v46
	v_cmp_ne_u32_e32 vcc, 0, v31
	s_waitcnt lgkmcnt(0)
	v_mov_b32_dpp v32, v26 row_shr:1 row_mask:0xf bank_mask:0xf
	v_mov_b32_dpp v34, v27 row_shr:1 row_mask:0xf bank_mask:0xf
	v_mov_b32_e32 v33, v27
	s_and_saveexec_b64 s[34:35], vcc
	s_cbranch_execz .LBB136_98
; %bb.97:
	v_and_b32_e32 v33, 1, v27
	v_and_b32_e32 v34, 1, v34
	v_cmp_eq_u32_e32 vcc, 1, v33
	v_mov_b32_e32 v33, 0
	v_cndmask_b32_e64 v34, v34, 1, vcc
	v_cmp_eq_u16_sdwa vcc, v27, v33 src0_sel:BYTE_0 src1_sel:DWORD
	v_cndmask_b32_e32 v32, 0, v32, vcc
	v_add_u32_e32 v26, v32, v26
	v_and_b32_e32 v32, 0xffff, v34
	s_movk_i32 s42, 0xff00
	v_and_or_b32 v33, v27, s42, v32
	v_mov_b32_e32 v27, v34
.LBB136_98:
	s_or_b64 exec, exec, s[34:35]
	v_mov_b32_dpp v33, v33 row_shr:2 row_mask:0xf bank_mask:0xf
	v_and_b32_e32 v34, 1, v27
	v_and_b32_e32 v33, 1, v33
	v_cmp_eq_u32_e32 vcc, 1, v34
	v_mov_b32_e32 v34, 0
	v_cndmask_b32_e64 v33, v33, 1, vcc
	v_cmp_eq_u16_sdwa s[34:35], v27, v34 src0_sel:BYTE_0 src1_sel:DWORD
	v_cmp_lt_u32_e32 vcc, 1, v31
	v_mov_b32_dpp v32, v26 row_shr:2 row_mask:0xf bank_mask:0xf
	v_cndmask_b32_e32 v27, v27, v33, vcc
	s_and_b64 vcc, vcc, s[34:35]
	v_cndmask_b32_e32 v31, 0, v32, vcc
	v_add_u32_e32 v26, v31, v26
	ds_write_b32 v30, v26
	ds_write_b8 v30, v27 offset:4
.LBB136_99:
	s_or_b64 exec, exec, s[4:5]
	v_cmp_gt_u32_e32 vcc, 64, v0
	v_cmp_lt_u32_e64 s[4:5], 63, v0
	v_mov_b32_e32 v42, 0
	v_mov_b32_e32 v43, 0
	s_waitcnt lgkmcnt(0)
	s_barrier
	s_and_saveexec_b64 s[34:35], s[4:5]
	s_cbranch_execz .LBB136_101
; %bb.100:
	v_lshl_add_u32 v26, v1, 3, -8
	ds_read_b32 v42, v26
	ds_read_u8 v43, v26 offset:4
	v_and_b32_e32 v27, 1, v28
	v_cmp_eq_u32_e64 s[4:5], 0, v28
	s_waitcnt lgkmcnt(1)
	v_cndmask_b32_e64 v26, 0, v42, s[4:5]
	v_cmp_eq_u32_e64 s[4:5], 1, v27
	v_add_u32_e32 v29, v26, v29
	s_waitcnt lgkmcnt(0)
	v_cndmask_b32_e64 v28, v43, 1, s[4:5]
.LBB136_101:
	s_or_b64 exec, exec, s[34:35]
	v_add_u32_e32 v26, -1, v46
	v_and_b32_e32 v27, 64, v46
	v_cmp_lt_i32_e64 s[4:5], v26, v27
	v_cndmask_b32_e64 v26, v26, v46, s[4:5]
	v_lshlrev_b32_e32 v26, 2, v26
	ds_bpermute_b32 v44, v26, v29
	ds_bpermute_b32 v45, v26, v28
	v_cmp_eq_u32_e64 s[34:35], 0, v46
	s_and_saveexec_b64 s[42:43], vcc
	s_cbranch_execz .LBB136_124
; %bb.102:
	v_mov_b32_e32 v29, 0
	ds_read_b64 v[26:27], v29 offset:24
	s_waitcnt lgkmcnt(0)
	v_readfirstlane_b32 s52, v27
	s_and_saveexec_b64 s[4:5], s[34:35]
	s_cbranch_execz .LBB136_104
; %bb.103:
	s_add_i32 s44, s59, 64
	s_mov_b32 s45, 0
	s_lshl_b64 s[48:49], s[44:45], 4
	s_add_u32 s48, s56, s48
	s_addc_u32 s49, s57, s49
	s_and_b32 s55, s52, 0xff000000
	s_mov_b32 s54, s45
	s_and_b32 s63, s52, 0xff0000
	s_mov_b32 s62, s45
	s_or_b64 s[54:55], s[62:63], s[54:55]
	s_and_b32 s63, s52, 0xff00
	s_or_b64 s[54:55], s[54:55], s[62:63]
	s_and_b32 s63, s52, 0xff
	s_or_b64 s[44:45], s[54:55], s[62:63]
	v_mov_b32_e32 v27, s45
	v_mov_b32_e32 v28, 1
	v_pk_mov_b32 v[30:31], s[48:49], s[48:49] op_sel:[0,1]
	;;#ASMSTART
	global_store_dwordx4 v[30:31], v[26:29] off	
s_waitcnt vmcnt(0)
	;;#ASMEND
.LBB136_104:
	s_or_b64 exec, exec, s[4:5]
	v_xad_u32 v34, v46, -1, s59
	v_add_u32_e32 v28, 64, v34
	v_lshlrev_b64 v[30:31], 4, v[28:29]
	v_mov_b32_e32 v27, s57
	v_add_co_u32_e32 v36, vcc, s56, v30
	v_addc_co_u32_e32 v37, vcc, v27, v31, vcc
	;;#ASMSTART
	global_load_dwordx4 v[30:33], v[36:37] off glc	
s_waitcnt vmcnt(0)
	;;#ASMEND
	v_and_b32_e32 v27, 0xff0000, v30
	v_or_b32_sdwa v27, v30, v27 dst_sel:DWORD dst_unused:UNUSED_PAD src0_sel:WORD_0 src1_sel:DWORD
	v_and_b32_e32 v28, 0xff000000, v30
	v_and_b32_e32 v30, 0xff, v31
	v_or3_b32 v31, 0, 0, v30
	v_or3_b32 v30, v27, v28, 0
	v_cmp_eq_u16_sdwa s[44:45], v32, v29 src0_sel:BYTE_0 src1_sel:DWORD
	s_and_saveexec_b64 s[4:5], s[44:45]
	s_cbranch_execz .LBB136_110
; %bb.105:
	s_mov_b32 s48, 1
	s_mov_b64 s[44:45], 0
	v_mov_b32_e32 v27, 0
.LBB136_106:                            ; =>This Loop Header: Depth=1
                                        ;     Child Loop BB136_107 Depth 2
	s_max_u32 s49, s48, 1
.LBB136_107:                            ;   Parent Loop BB136_106 Depth=1
                                        ; =>  This Inner Loop Header: Depth=2
	s_add_i32 s49, s49, -1
	s_cmp_eq_u32 s49, 0
	s_sleep 1
	s_cbranch_scc0 .LBB136_107
; %bb.108:                              ;   in Loop: Header=BB136_106 Depth=1
	s_cmp_lt_u32 s48, 32
	s_cselect_b64 s[54:55], -1, 0
	s_cmp_lg_u64 s[54:55], 0
	s_addc_u32 s48, s48, 0
	;;#ASMSTART
	global_load_dwordx4 v[30:33], v[36:37] off glc	
s_waitcnt vmcnt(0)
	;;#ASMEND
	v_cmp_ne_u16_sdwa s[54:55], v32, v27 src0_sel:BYTE_0 src1_sel:DWORD
	s_or_b64 s[44:45], s[54:55], s[44:45]
	s_andn2_b64 exec, exec, s[44:45]
	s_cbranch_execnz .LBB136_106
; %bb.109:
	s_or_b64 exec, exec, s[44:45]
	v_and_b32_e32 v31, 0xff, v31
.LBB136_110:
	s_or_b64 exec, exec, s[4:5]
	v_mov_b32_e32 v27, 2
	v_cmp_eq_u16_sdwa s[4:5], v32, v27 src0_sel:BYTE_0 src1_sel:DWORD
	v_lshlrev_b64 v[28:29], v46, -1
	v_and_b32_e32 v33, s5, v29
	v_or_b32_e32 v33, 0x80000000, v33
	v_and_b32_e32 v35, s4, v28
	v_ffbl_b32_e32 v33, v33
	v_and_b32_e32 v47, 63, v46
	v_add_u32_e32 v33, 32, v33
	v_ffbl_b32_e32 v35, v35
	v_cmp_ne_u32_e32 vcc, 63, v47
	v_min_u32_e32 v33, v35, v33
	v_addc_co_u32_e32 v35, vcc, 0, v46, vcc
	v_lshlrev_b32_e32 v48, 2, v35
	ds_bpermute_b32 v35, v48, v31
	ds_bpermute_b32 v36, v48, v30
	s_mov_b32 s44, 0
	v_and_b32_e32 v37, 1, v31
	s_mov_b32 s45, 1
	s_waitcnt lgkmcnt(1)
	v_and_b32_e32 v35, 1, v35
	v_cmp_eq_u32_e32 vcc, 1, v37
	v_cndmask_b32_e64 v35, v35, 1, vcc
	v_cmp_gt_u64_e32 vcc, s[44:45], v[30:31]
	v_cmp_lt_u32_e64 s[4:5], v47, v33
	s_and_b64 vcc, s[4:5], vcc
	v_and_b32_e32 v37, 0xffff, v35
	v_cndmask_b32_e64 v54, v31, v35, s[4:5]
	s_waitcnt lgkmcnt(0)
	v_cndmask_b32_e32 v35, 0, v36, vcc
	v_cmp_gt_u32_e32 vcc, 62, v47
	v_cndmask_b32_e64 v36, 0, 1, vcc
	v_lshlrev_b32_e32 v36, 1, v36
	v_cndmask_b32_e64 v31, v31, v37, s[4:5]
	v_add_lshl_u32 v49, v36, v46, 2
	ds_bpermute_b32 v36, v49, v31
	v_add_u32_e32 v30, v35, v30
	ds_bpermute_b32 v37, v49, v30
	v_and_b32_e32 v35, 1, v54
	v_cmp_eq_u32_e32 vcc, 1, v35
	s_waitcnt lgkmcnt(1)
	v_and_b32_e32 v36, 1, v36
	v_mov_b32_e32 v35, 0
	v_add_u32_e32 v53, 2, v47
	v_cndmask_b32_e64 v36, v36, 1, vcc
	v_cmp_eq_u16_sdwa vcc, v54, v35 src0_sel:BYTE_0 src1_sel:DWORD
	v_and_b32_e32 v55, 0xffff, v36
	s_waitcnt lgkmcnt(0)
	v_cndmask_b32_e32 v37, 0, v37, vcc
	v_cmp_gt_u32_e32 vcc, v53, v33
	v_cndmask_b32_e32 v36, v36, v54, vcc
	v_cndmask_b32_e64 v37, v37, 0, vcc
	v_cndmask_b32_e32 v31, v55, v31, vcc
	v_cmp_gt_u32_e32 vcc, 60, v47
	v_cndmask_b32_e64 v54, 0, 1, vcc
	v_lshlrev_b32_e32 v54, 2, v54
	v_add_lshl_u32 v54, v54, v46, 2
	ds_bpermute_b32 v56, v54, v31
	v_add_u32_e32 v30, v37, v30
	ds_bpermute_b32 v37, v54, v30
	v_and_b32_e32 v57, 1, v36
	v_cmp_eq_u32_e32 vcc, 1, v57
	s_waitcnt lgkmcnt(1)
	v_and_b32_e32 v56, 1, v56
	v_add_u32_e32 v55, 4, v47
	v_cndmask_b32_e64 v56, v56, 1, vcc
	v_cmp_eq_u16_sdwa vcc, v36, v35 src0_sel:BYTE_0 src1_sel:DWORD
	v_and_b32_e32 v57, 0xffff, v56
	s_waitcnt lgkmcnt(0)
	v_cndmask_b32_e32 v37, 0, v37, vcc
	v_cmp_gt_u32_e32 vcc, v55, v33
	v_cndmask_b32_e32 v36, v56, v36, vcc
	v_cndmask_b32_e64 v37, v37, 0, vcc
	v_cndmask_b32_e32 v31, v57, v31, vcc
	v_cmp_gt_u32_e32 vcc, 56, v47
	v_cndmask_b32_e64 v56, 0, 1, vcc
	v_lshlrev_b32_e32 v56, 3, v56
	v_add_lshl_u32 v56, v56, v46, 2
	ds_bpermute_b32 v58, v56, v31
	v_add_u32_e32 v30, v37, v30
	ds_bpermute_b32 v37, v56, v30
	v_and_b32_e32 v59, 1, v36
	v_cmp_eq_u32_e32 vcc, 1, v59
	s_waitcnt lgkmcnt(1)
	v_and_b32_e32 v58, 1, v58
	;; [unrolled: 21-line block ×4, first 2 shown]
	v_add_u32_e32 v62, 32, v47
	v_cndmask_b32_e64 v31, v31, 1, vcc
	v_cmp_eq_u16_sdwa vcc, v36, v35 src0_sel:BYTE_0 src1_sel:DWORD
	s_waitcnt lgkmcnt(0)
	v_cndmask_b32_e32 v37, 0, v37, vcc
	v_cmp_gt_u32_e32 vcc, v62, v33
	v_cndmask_b32_e64 v33, v37, 0, vcc
	v_cndmask_b32_e32 v31, v31, v36, vcc
	v_add_u32_e32 v30, v33, v30
	s_branch .LBB136_112
.LBB136_111:                            ;   in Loop: Header=BB136_112 Depth=1
	s_or_b64 exec, exec, s[4:5]
	v_cmp_eq_u16_sdwa s[4:5], v32, v27 src0_sel:BYTE_0 src1_sel:DWORD
	v_and_b32_e32 v33, s5, v29
	ds_bpermute_b32 v37, v48, v31
	v_or_b32_e32 v33, 0x80000000, v33
	v_and_b32_e32 v36, s4, v28
	v_ffbl_b32_e32 v33, v33
	v_add_u32_e32 v33, 32, v33
	v_ffbl_b32_e32 v36, v36
	v_min_u32_e32 v33, v36, v33
	ds_bpermute_b32 v36, v48, v30
	v_and_b32_e32 v63, 1, v31
	s_waitcnt lgkmcnt(1)
	v_and_b32_e32 v37, 1, v37
	v_cmp_eq_u32_e32 vcc, 1, v63
	v_cndmask_b32_e64 v37, v37, 1, vcc
	v_cmp_gt_u64_e32 vcc, s[44:45], v[30:31]
	v_and_b32_e32 v63, 0xffff, v37
	v_cmp_lt_u32_e64 s[4:5], v47, v33
	v_cndmask_b32_e64 v37, v31, v37, s[4:5]
	v_cndmask_b32_e64 v31, v31, v63, s[4:5]
	s_and_b64 vcc, s[4:5], vcc
	ds_bpermute_b32 v63, v49, v31
	s_waitcnt lgkmcnt(1)
	v_cndmask_b32_e32 v36, 0, v36, vcc
	v_add_u32_e32 v30, v36, v30
	ds_bpermute_b32 v36, v49, v30
	v_and_b32_e32 v64, 1, v37
	s_waitcnt lgkmcnt(1)
	v_and_b32_e32 v63, 1, v63
	v_cmp_eq_u32_e32 vcc, 1, v64
	v_cndmask_b32_e64 v63, v63, 1, vcc
	v_cmp_eq_u16_sdwa vcc, v37, v35 src0_sel:BYTE_0 src1_sel:DWORD
	v_and_b32_e32 v64, 0xffff, v63
	s_waitcnt lgkmcnt(0)
	v_cndmask_b32_e32 v36, 0, v36, vcc
	v_cmp_gt_u32_e32 vcc, v53, v33
	v_cndmask_b32_e32 v31, v64, v31, vcc
	v_cndmask_b32_e32 v37, v63, v37, vcc
	ds_bpermute_b32 v63, v54, v31
	v_cndmask_b32_e64 v36, v36, 0, vcc
	v_add_u32_e32 v30, v36, v30
	ds_bpermute_b32 v36, v54, v30
	v_and_b32_e32 v64, 1, v37
	s_waitcnt lgkmcnt(1)
	v_and_b32_e32 v63, 1, v63
	v_cmp_eq_u32_e32 vcc, 1, v64
	v_cndmask_b32_e64 v63, v63, 1, vcc
	v_cmp_eq_u16_sdwa vcc, v37, v35 src0_sel:BYTE_0 src1_sel:DWORD
	v_and_b32_e32 v64, 0xffff, v63
	s_waitcnt lgkmcnt(0)
	v_cndmask_b32_e32 v36, 0, v36, vcc
	v_cmp_gt_u32_e32 vcc, v55, v33
	v_cndmask_b32_e32 v31, v64, v31, vcc
	v_cndmask_b32_e32 v37, v63, v37, vcc
	ds_bpermute_b32 v63, v56, v31
	v_cndmask_b32_e64 v36, v36, 0, vcc
	;; [unrolled: 16-line block ×3, first 2 shown]
	v_add_u32_e32 v30, v36, v30
	ds_bpermute_b32 v36, v58, v30
	v_and_b32_e32 v64, 1, v37
	s_waitcnt lgkmcnt(1)
	v_and_b32_e32 v63, 1, v63
	v_cmp_eq_u32_e32 vcc, 1, v64
	v_cndmask_b32_e64 v63, v63, 1, vcc
	v_cmp_eq_u16_sdwa vcc, v37, v35 src0_sel:BYTE_0 src1_sel:DWORD
	v_and_b32_e32 v64, 0xffff, v63
	s_waitcnt lgkmcnt(0)
	v_cndmask_b32_e32 v36, 0, v36, vcc
	v_cmp_gt_u32_e32 vcc, v59, v33
	v_cndmask_b32_e64 v36, v36, 0, vcc
	v_cndmask_b32_e32 v31, v64, v31, vcc
	ds_bpermute_b32 v31, v61, v31
	v_add_u32_e32 v30, v36, v30
	ds_bpermute_b32 v36, v61, v30
	v_cndmask_b32_e32 v37, v63, v37, vcc
	v_and_b32_e32 v63, 1, v37
	v_cmp_eq_u32_e32 vcc, 1, v63
	s_waitcnt lgkmcnt(1)
	v_cndmask_b32_e64 v31, v31, 1, vcc
	v_cmp_eq_u16_sdwa vcc, v37, v35 src0_sel:BYTE_0 src1_sel:DWORD
	s_waitcnt lgkmcnt(0)
	v_cndmask_b32_e32 v36, 0, v36, vcc
	v_cmp_gt_u32_e32 vcc, v62, v33
	v_cndmask_b32_e64 v33, v36, 0, vcc
	v_cndmask_b32_e32 v31, v31, v37, vcc
	v_add_u32_e32 v30, v33, v30
	v_cmp_eq_u16_sdwa vcc, v46, v35 src0_sel:BYTE_0 src1_sel:DWORD
	v_and_b32_e32 v33, 1, v46
	v_cndmask_b32_e32 v30, 0, v30, vcc
	v_and_b32_e32 v31, 1, v31
	v_cmp_eq_u32_e32 vcc, 1, v33
	v_subrev_u32_e32 v34, 64, v34
	v_add_u32_e32 v30, v30, v60
	v_cndmask_b32_e64 v31, v31, 1, vcc
.LBB136_112:                            ; =>This Loop Header: Depth=1
                                        ;     Child Loop BB136_115 Depth 2
                                        ;       Child Loop BB136_116 Depth 3
	v_cmp_ne_u16_sdwa s[4:5], v32, v27 src0_sel:BYTE_0 src1_sel:DWORD
	v_mov_b32_e32 v46, v31
	v_cndmask_b32_e64 v31, 0, 1, s[4:5]
	;;#ASMSTART
	;;#ASMEND
	v_cmp_ne_u32_e32 vcc, 0, v31
	s_cmp_lg_u64 vcc, exec
	v_mov_b32_e32 v60, v30
	s_cbranch_scc1 .LBB136_119
; %bb.113:                              ;   in Loop: Header=BB136_112 Depth=1
	v_lshlrev_b64 v[30:31], 4, v[34:35]
	v_mov_b32_e32 v32, s57
	v_add_co_u32_e32 v36, vcc, s56, v30
	v_addc_co_u32_e32 v37, vcc, v32, v31, vcc
	;;#ASMSTART
	global_load_dwordx4 v[30:33], v[36:37] off glc	
s_waitcnt vmcnt(0)
	;;#ASMEND
	v_and_b32_e32 v33, 0xff0000, v30
	v_or_b32_sdwa v33, v30, v33 dst_sel:DWORD dst_unused:UNUSED_PAD src0_sel:WORD_0 src1_sel:DWORD
	v_and_b32_e32 v30, 0xff000000, v30
	v_and_b32_e32 v31, 0xff, v31
	v_or3_b32 v31, 0, 0, v31
	v_or3_b32 v30, v33, v30, 0
	v_cmp_eq_u16_sdwa s[48:49], v32, v35 src0_sel:BYTE_0 src1_sel:DWORD
	s_and_saveexec_b64 s[4:5], s[48:49]
	s_cbranch_execz .LBB136_111
; %bb.114:                              ;   in Loop: Header=BB136_112 Depth=1
	s_mov_b32 s53, 1
	s_mov_b64 s[48:49], 0
.LBB136_115:                            ;   Parent Loop BB136_112 Depth=1
                                        ; =>  This Loop Header: Depth=2
                                        ;       Child Loop BB136_116 Depth 3
	s_max_u32 s54, s53, 1
.LBB136_116:                            ;   Parent Loop BB136_112 Depth=1
                                        ;     Parent Loop BB136_115 Depth=2
                                        ; =>    This Inner Loop Header: Depth=3
	s_add_i32 s54, s54, -1
	s_cmp_eq_u32 s54, 0
	s_sleep 1
	s_cbranch_scc0 .LBB136_116
; %bb.117:                              ;   in Loop: Header=BB136_115 Depth=2
	s_cmp_lt_u32 s53, 32
	s_cselect_b64 s[54:55], -1, 0
	s_cmp_lg_u64 s[54:55], 0
	s_addc_u32 s53, s53, 0
	;;#ASMSTART
	global_load_dwordx4 v[30:33], v[36:37] off glc	
s_waitcnt vmcnt(0)
	;;#ASMEND
	v_cmp_ne_u16_sdwa s[54:55], v32, v35 src0_sel:BYTE_0 src1_sel:DWORD
	s_or_b64 s[48:49], s[54:55], s[48:49]
	s_andn2_b64 exec, exec, s[48:49]
	s_cbranch_execnz .LBB136_115
; %bb.118:                              ;   in Loop: Header=BB136_112 Depth=1
	s_or_b64 exec, exec, s[48:49]
	v_and_b32_e32 v31, 0xff, v31
	s_branch .LBB136_111
.LBB136_119:                            ;   in Loop: Header=BB136_112 Depth=1
                                        ; implicit-def: $vgpr31
                                        ; implicit-def: $vgpr30
                                        ; implicit-def: $vgpr32
	s_cbranch_execz .LBB136_112
; %bb.120:
	s_and_saveexec_b64 s[4:5], s[34:35]
	s_cbranch_execz .LBB136_122
; %bb.121:
	s_and_b32 s44, s52, 0xff
	s_cmp_eq_u32 s44, 0
	s_cselect_b64 vcc, -1, 0
	s_bitcmp1_b32 s52, 0
	s_mov_b32 s45, 0
	s_cselect_b64 s[48:49], -1, 0
	s_add_i32 s44, s59, 64
	s_lshl_b64 s[44:45], s[44:45], 4
	v_cndmask_b32_e32 v27, 0, v60, vcc
	s_add_u32 s44, s56, s44
	v_add_u32_e32 v26, v27, v26
	v_and_b32_e32 v27, 1, v46
	s_addc_u32 s45, s57, s45
	v_mov_b32_e32 v29, 0
	v_cndmask_b32_e64 v27, v27, 1, s[48:49]
	v_mov_b32_e32 v28, 2
	v_pk_mov_b32 v[30:31], s[44:45], s[44:45] op_sel:[0,1]
	;;#ASMSTART
	global_store_dwordx4 v[30:31], v[26:29] off	
s_waitcnt vmcnt(0)
	;;#ASMEND
.LBB136_122:
	s_or_b64 exec, exec, s[4:5]
	s_and_b64 exec, exec, s[0:1]
	s_cbranch_execz .LBB136_124
; %bb.123:
	v_mov_b32_e32 v26, 0
	ds_write_b32 v26, v60 offset:24
	ds_write_b8 v26, v46 offset:28
.LBB136_124:
	s_or_b64 exec, exec, s[42:43]
	s_mov_b32 s4, 0
	v_mov_b32_e32 v28, 0
	s_mov_b32 s5, 1
	s_waitcnt lgkmcnt(0)
	v_cndmask_b32_e64 v26, v45, v43, s[34:35]
	v_cndmask_b32_e64 v27, v44, v42, s[34:35]
	s_barrier
	ds_read_b32 v29, v28 offset:24
	v_cmp_gt_u64_e32 vcc, s[4:5], v[38:39]
	v_and_b32_e32 v30, 1, v39
	v_cndmask_b32_e32 v27, 0, v27, vcc
	v_and_b32_e32 v26, 1, v26
	v_cmp_eq_u32_e32 vcc, 1, v30
	v_cndmask_b32_e64 v26, v26, 1, vcc
	v_cndmask_b32_e64 v26, v26, v39, s[0:1]
	v_cmp_eq_u16_sdwa vcc, v26, v28 src0_sel:BYTE_0 src1_sel:DWORD
	v_cndmask_b32_e64 v27, v27, 0, s[0:1]
	s_waitcnt lgkmcnt(0)
	v_cndmask_b32_e32 v26, 0, v29, vcc
	v_add3_u32 v26, v27, v38, v26
	v_cndmask_b32_e64 v27, 0, v26, s[6:7]
	v_add_u32_e32 v27, v27, v2
	v_cndmask_b32_e64 v28, 0, v27, s[8:9]
	v_add_u32_e32 v42, v28, v4
	;; [unrolled: 2-line block ×13, first 2 shown]
	s_branch .LBB136_141
.LBB136_125:
                                        ; implicit-def: $vgpr49
                                        ; implicit-def: $vgpr47
                                        ; implicit-def: $vgpr45
                                        ; implicit-def: $vgpr43
                                        ; implicit-def: $vgpr34_vgpr35_vgpr36_vgpr37
                                        ; implicit-def: $vgpr30_vgpr31_vgpr32_vgpr33
                                        ; implicit-def: $vgpr26_vgpr27_vgpr28_vgpr29
	s_cbranch_execz .LBB136_141
; %bb.126:
	s_cmp_lg_u64 s[60:61], 0
	s_cselect_b32 s9, s51, 0
	s_cselect_b32 s8, s50, 0
	s_cmp_lg_u64 s[8:9], 0
	s_cselect_b64 s[6:7], -1, 0
	s_mov_b32 s4, 0
	s_and_b64 s[10:11], s[0:1], s[6:7]
	s_and_saveexec_b64 s[6:7], s[10:11]
	s_cbranch_execz .LBB136_128
; %bb.127:
	v_mov_b32_e32 v26, 0
	global_load_dword v28, v26, s[8:9]
	global_load_ubyte v29, v26, s[8:9] offset:4
	s_mov_b32 s5, 1
	v_and_b32_e32 v27, 1, v39
	v_cmp_gt_u64_e32 vcc, s[4:5], v[38:39]
	s_waitcnt vmcnt(1)
	v_cndmask_b32_e32 v28, 0, v28, vcc
	s_waitcnt vmcnt(0)
	v_and_b32_e32 v29, 1, v29
	v_cmp_eq_u64_e32 vcc, 0, v[26:27]
	v_add_u32_e32 v38, v28, v38
	v_cndmask_b32_e32 v39, 1, v29, vcc
.LBB136_128:
	s_or_b64 exec, exec, s[6:7]
	s_mov_b32 s5, 1
	v_cmp_gt_u64_e32 vcc, s[4:5], v[2:3]
	v_cndmask_b32_e32 v26, 0, v38, vcc
	v_add_u32_e32 v27, v26, v2
	v_cmp_gt_u64_e64 s[6:7], s[4:5], v[4:5]
	v_cndmask_b32_e64 v26, 0, v27, s[6:7]
	v_add_u32_e32 v42, v26, v4
	v_cmp_gt_u64_e64 s[8:9], s[4:5], v[6:7]
	v_cndmask_b32_e64 v26, 0, v42, s[8:9]
	;; [unrolled: 3-line block ×6, first 2 shown]
	v_add_u32_e32 v45, v26, v14
	v_cmp_gt_u64_e64 s[18:19], s[4:5], v[16:17]
	v_mov_b32_e32 v28, 0
	v_cndmask_b32_e64 v26, 0, v45, s[18:19]
	v_or3_b32 v7, v23, v15, v7
	v_add_u32_e32 v34, v26, v16
	v_cmp_gt_u64_e64 s[20:21], s[4:5], v[18:19]
	v_or3_b32 v9, v25, v17, v9
	v_and_b32_e32 v55, 1, v7
	v_mov_b32_e32 v54, v28
	v_cndmask_b32_e64 v26, 0, v34, s[20:21]
	v_or3_b32 v3, v19, v11, v3
	v_and_b32_e32 v37, 1, v9
	v_mov_b32_e32 v36, v28
	v_cmp_ne_u64_e64 s[30:31], 0, v[54:55]
	v_add_u32_e32 v35, v26, v18
	v_cmp_gt_u64_e64 s[22:23], s[4:5], v[20:21]
	v_or3_b32 v5, v21, v13, v5
	v_and_b32_e32 v29, 1, v3
	v_cndmask_b32_e64 v3, 0, 1, s[30:31]
	v_cmp_ne_u64_e64 s[30:31], 0, v[36:37]
	v_cndmask_b32_e64 v26, 0, v35, s[22:23]
	v_and_b32_e32 v33, 1, v5
	v_mov_b32_e32 v32, v28
	v_cndmask_b32_e64 v5, 0, 1, s[30:31]
	v_add_u32_e32 v46, v26, v20
	v_cmp_gt_u64_e64 s[24:25], s[4:5], v[22:23]
	v_lshlrev_b16_e32 v3, 2, v3
	v_lshlrev_b16_e32 v5, 3, v5
	v_cmp_ne_u64_e64 s[30:31], 0, v[32:33]
	v_cndmask_b32_e64 v26, 0, v46, s[24:25]
	v_or_b32_e32 v3, v5, v3
	v_cndmask_b32_e64 v5, 0, 1, s[30:31]
	v_cmp_ne_u64_e64 s[30:31], 0, v[28:29]
	v_add_u32_e32 v47, v26, v22
	v_cmp_gt_u64_e64 s[26:27], s[4:5], v[24:25]
	v_lshlrev_b16_e32 v5, 1, v5
	v_cndmask_b32_e64 v7, 0, 1, s[30:31]
	v_cndmask_b32_e64 v26, 0, v47, s[26:27]
	v_or_b32_e32 v5, v7, v5
	v_add_u32_e32 v48, v26, v24
	v_cmp_gt_u64_e64 s[28:29], s[4:5], v[40:41]
	v_and_b32_e32 v5, 3, v5
	v_cndmask_b32_e64 v26, 0, v48, s[28:29]
	v_or_b32_e32 v3, v5, v3
	v_add_u32_e32 v49, v26, v40
	v_and_b32_e32 v26, 1, v41
	v_and_b32_e32 v3, 15, v3
	v_cmp_eq_u32_e64 s[4:5], 1, v26
	v_cmp_ne_u16_e64 s[30:31], 0, v3
	s_or_b64 s[4:5], s[4:5], s[30:31]
	v_cndmask_b32_e64 v5, v39, 1, s[4:5]
	v_mbcnt_hi_u32_b32 v3, -1, v52
	v_mov_b32_dpp v9, v49 row_shr:1 row_mask:0xf bank_mask:0xf
	v_mov_b32_dpp v11, v5 row_shr:1 row_mask:0xf bank_mask:0xf
	v_cmp_eq_u32_e64 s[4:5], 0, v5
	v_and_b32_e32 v13, 1, v5
	v_and_b32_e32 v7, 15, v3
	v_cndmask_b32_e64 v9, 0, v9, s[4:5]
	v_and_b32_e32 v11, 1, v11
	v_cmp_eq_u32_e64 s[4:5], 1, v13
	v_cndmask_b32_e64 v11, v11, 1, s[4:5]
	v_cmp_eq_u32_e64 s[4:5], 0, v7
	v_cndmask_b32_e64 v5, v11, v5, s[4:5]
	v_and_b32_e32 v15, 1, v5
	v_cmp_eq_u32_e64 s[30:31], 1, v15
	v_mov_b32_dpp v13, v5 row_shr:2 row_mask:0xf bank_mask:0xf
	v_and_b32_e32 v13, 1, v13
	v_cndmask_b32_e64 v13, v13, 1, s[30:31]
	v_cmp_lt_u32_e64 s[30:31], 1, v7
	v_cndmask_b32_e64 v9, v9, 0, s[4:5]
	v_cmp_eq_u32_e64 s[4:5], 0, v5
	v_cndmask_b32_e64 v5, v5, v13, s[30:31]
	v_add_u32_e32 v9, v49, v9
	v_and_b32_e32 v15, 1, v5
	v_mov_b32_dpp v13, v5 row_shr:4 row_mask:0xf bank_mask:0xf
	v_mov_b32_dpp v11, v9 row_shr:2 row_mask:0xf bank_mask:0xf
	s_and_b64 s[4:5], s[30:31], s[4:5]
	v_and_b32_e32 v13, 1, v13
	v_cmp_eq_u32_e64 s[30:31], 1, v15
	v_cndmask_b32_e64 v11, 0, v11, s[4:5]
	v_cndmask_b32_e64 v13, v13, 1, s[30:31]
	v_cmp_lt_u32_e64 s[30:31], 3, v7
	v_add_u32_e32 v9, v9, v11
	v_cmp_eq_u32_e64 s[4:5], 0, v5
	v_cndmask_b32_e64 v5, v5, v13, s[30:31]
	v_mov_b32_dpp v11, v9 row_shr:4 row_mask:0xf bank_mask:0xf
	s_and_b64 s[4:5], s[30:31], s[4:5]
	v_mov_b32_dpp v13, v5 row_shr:8 row_mask:0xf bank_mask:0xf
	v_and_b32_e32 v15, 1, v5
	v_cndmask_b32_e64 v11, 0, v11, s[4:5]
	v_and_b32_e32 v13, 1, v13
	v_cmp_eq_u32_e64 s[30:31], 1, v15
	v_add_u32_e32 v9, v9, v11
	v_cmp_eq_u32_e64 s[4:5], 0, v5
	v_cndmask_b32_e64 v13, v13, 1, s[30:31]
	v_cmp_lt_u32_e64 s[30:31], 7, v7
	v_mov_b32_dpp v11, v9 row_shr:8 row_mask:0xf bank_mask:0xf
	s_and_b64 s[4:5], s[30:31], s[4:5]
	v_cndmask_b32_e64 v7, 0, v11, s[4:5]
	v_cndmask_b32_e64 v5, v5, v13, s[30:31]
	v_add_u32_e32 v7, v9, v7
	v_cmp_eq_u32_e64 s[4:5], 0, v5
	v_mov_b32_dpp v11, v5 row_bcast:15 row_mask:0xf bank_mask:0xf
	v_mov_b32_dpp v9, v7 row_bcast:15 row_mask:0xf bank_mask:0xf
	v_and_b32_e32 v17, 1, v5
	v_and_b32_e32 v15, 16, v3
	v_cndmask_b32_e64 v9, 0, v9, s[4:5]
	v_and_b32_e32 v11, 1, v11
	v_cmp_eq_u32_e64 s[4:5], 1, v17
	v_bfe_i32 v13, v3, 4, 1
	v_cndmask_b32_e64 v11, v11, 1, s[4:5]
	v_cmp_eq_u32_e64 s[4:5], 0, v15
	v_and_b32_e32 v9, v13, v9
	v_cndmask_b32_e64 v5, v11, v5, s[4:5]
	v_add_u32_e32 v9, v7, v9
	v_and_b32_e32 v13, 1, v5
	v_mov_b32_dpp v7, v5 row_bcast:31 row_mask:0xf bank_mask:0xf
	v_and_b32_e32 v7, 1, v7
	v_cmp_eq_u32_e64 s[30:31], 1, v13
	v_cmp_eq_u32_e64 s[4:5], 0, v5
	v_cndmask_b32_e64 v7, v7, 1, s[30:31]
	v_cmp_lt_u32_e64 s[30:31], 31, v3
	v_mov_b32_dpp v11, v9 row_bcast:31 row_mask:0xf bank_mask:0xf
	s_and_b64 s[4:5], s[30:31], s[4:5]
	v_cndmask_b32_e64 v7, v5, v7, s[30:31]
	v_cndmask_b32_e64 v5, 0, v11, s[4:5]
	v_add_u32_e32 v5, v9, v5
	v_cmp_eq_u32_e64 s[4:5], v51, v0
	s_and_saveexec_b64 s[30:31], s[4:5]
	s_cbranch_execz .LBB136_130
; %bb.129:
	v_lshlrev_b32_e32 v9, 3, v1
	ds_write_b32 v9, v5
	ds_write_b8 v9, v7 offset:4
.LBB136_130:
	s_or_b64 exec, exec, s[30:31]
	v_cmp_gt_u32_e64 s[4:5], 4, v0
	s_waitcnt lgkmcnt(0)
	s_barrier
	s_and_saveexec_b64 s[30:31], s[4:5]
	s_cbranch_execz .LBB136_134
; %bb.131:
	v_lshlrev_b32_e32 v9, 3, v0
	ds_read_b64 v[28:29], v9
	v_and_b32_e32 v11, 3, v3
	v_cmp_ne_u32_e64 s[4:5], 0, v11
	s_waitcnt lgkmcnt(0)
	v_mov_b32_dpp v13, v28 row_shr:1 row_mask:0xf bank_mask:0xf
	v_mov_b32_dpp v17, v29 row_shr:1 row_mask:0xf bank_mask:0xf
	v_mov_b32_e32 v15, v29
	s_and_saveexec_b64 s[34:35], s[4:5]
	s_cbranch_execz .LBB136_133
; %bb.132:
	v_and_b32_e32 v15, 1, v29
	v_and_b32_e32 v17, 1, v17
	v_cmp_eq_u32_e64 s[4:5], 1, v15
	v_mov_b32_e32 v15, 0
	v_cndmask_b32_e64 v17, v17, 1, s[4:5]
	v_cmp_eq_u16_sdwa s[4:5], v29, v15 src0_sel:BYTE_0 src1_sel:DWORD
	v_cndmask_b32_e64 v13, 0, v13, s[4:5]
	v_add_u32_e32 v28, v13, v28
	v_and_b32_e32 v13, 0xffff, v17
	s_movk_i32 s4, 0xff00
	v_and_or_b32 v15, v29, s4, v13
	v_mov_b32_e32 v29, v17
.LBB136_133:
	s_or_b64 exec, exec, s[34:35]
	v_mov_b32_dpp v15, v15 row_shr:2 row_mask:0xf bank_mask:0xf
	v_and_b32_e32 v17, 1, v29
	v_and_b32_e32 v15, 1, v15
	v_cmp_eq_u32_e64 s[4:5], 1, v17
	v_mov_b32_e32 v17, 0
	v_cndmask_b32_e64 v15, v15, 1, s[4:5]
	v_cmp_eq_u16_sdwa s[34:35], v29, v17 src0_sel:BYTE_0 src1_sel:DWORD
	v_cmp_lt_u32_e64 s[4:5], 1, v11
	v_mov_b32_dpp v13, v28 row_shr:2 row_mask:0xf bank_mask:0xf
	v_cndmask_b32_e64 v11, v29, v15, s[4:5]
	s_and_b64 s[4:5], s[4:5], s[34:35]
	v_cndmask_b32_e64 v13, 0, v13, s[4:5]
	v_add_u32_e32 v13, v13, v28
	ds_write_b32 v9, v13
	ds_write_b8 v9, v11 offset:4
.LBB136_134:
	s_or_b64 exec, exec, s[30:31]
	v_cmp_lt_u32_e64 s[4:5], 63, v0
	v_mov_b32_e32 v9, 0
	s_waitcnt lgkmcnt(0)
	s_barrier
	s_and_saveexec_b64 s[30:31], s[4:5]
	s_cbranch_execz .LBB136_136
; %bb.135:
	v_lshl_add_u32 v1, v1, 3, -8
	ds_read_b32 v9, v1
	v_cmp_eq_u32_e64 s[4:5], 0, v7
	s_waitcnt lgkmcnt(0)
	v_cndmask_b32_e64 v1, 0, v9, s[4:5]
	v_add_u32_e32 v5, v1, v5
.LBB136_136:
	s_or_b64 exec, exec, s[30:31]
	v_add_u32_e32 v1, -1, v3
	v_and_b32_e32 v7, 64, v3
	v_cmp_lt_i32_e64 s[4:5], v1, v7
	v_cndmask_b32_e64 v1, v1, v3, s[4:5]
	v_lshlrev_b32_e32 v1, 2, v1
	ds_bpermute_b32 v1, v1, v5
	s_and_saveexec_b64 s[30:31], s[36:37]
	s_cbranch_execz .LBB136_138
; %bb.137:
	v_and_b32_e32 v27, 0xff, v39
	v_mov_b32_e32 v26, 0
	v_cmp_eq_u32_e64 s[4:5], 0, v3
	s_waitcnt lgkmcnt(0)
	v_cndmask_b32_e64 v1, v1, v9, s[4:5]
	v_cmp_eq_u64_e64 s[4:5], 0, v[26:27]
	v_cndmask_b32_e64 v1, 0, v1, s[4:5]
	v_add_u32_e32 v38, v1, v38
	v_cndmask_b32_e32 v1, 0, v38, vcc
	v_add_u32_e32 v27, v1, v2
	v_cndmask_b32_e64 v1, 0, v27, s[6:7]
	v_add_u32_e32 v42, v1, v4
	v_cndmask_b32_e64 v1, 0, v42, s[8:9]
	;; [unrolled: 2-line block ×12, first 2 shown]
	v_add_u32_e32 v49, v1, v40
	;;#ASMSTART
	;;#ASMEND
.LBB136_138:
	s_or_b64 exec, exec, s[30:31]
	s_and_saveexec_b64 s[4:5], s[0:1]
	s_cbranch_execz .LBB136_140
; %bb.139:
	v_mov_b32_e32 v5, 0
	ds_read_b32 v2, v5 offset:24
	ds_read_u8 v3, v5 offset:28
	s_add_u32 s0, s56, 0x400
	s_addc_u32 s1, s57, 0
	v_mov_b32_e32 v4, 2
	v_pk_mov_b32 v[6:7], s[0:1], s[0:1] op_sel:[0,1]
	s_waitcnt lgkmcnt(0)
	;;#ASMSTART
	global_store_dwordx4 v[6:7], v[2:5] off	
s_waitcnt vmcnt(0)
	;;#ASMEND
.LBB136_140:
	s_or_b64 exec, exec, s[4:5]
	v_mov_b32_e32 v26, v38
.LBB136_141:
	s_add_u32 s0, s46, s38
	s_addc_u32 s1, s47, s39
	s_add_u32 s4, s0, s40
	s_waitcnt lgkmcnt(0)
	v_mul_u32_u24_e32 v1, 14, v0
	s_addc_u32 s5, s1, s41
	s_and_b64 vcc, exec, s[2:3]
	v_lshlrev_b32_e32 v2, 2, v1
	s_cbranch_vccz .LBB136_169
; %bb.142:
	s_movk_i32 s0, 0xffcc
	v_mad_i32_i24 v3, v0, s0, v2
	s_barrier
	ds_write2_b64 v2, v[26:27], v[42:43] offset1:1
	ds_write2_b64 v2, v[30:31], v[44:45] offset0:2 offset1:3
	ds_write2_b64 v2, v[34:35], v[46:47] offset0:4 offset1:5
	ds_write_b64 v2, v[48:49] offset:48
	s_waitcnt lgkmcnt(0)
	s_barrier
	ds_read2st64_b32 v[16:17], v3 offset0:4 offset1:8
	ds_read2st64_b32 v[14:15], v3 offset0:12 offset1:16
	;; [unrolled: 1-line block ×6, first 2 shown]
	ds_read_b32 v3, v3 offset:13312
	v_mov_b32_e32 v7, s5
	v_add_co_u32_e32 v6, vcc, s4, v50
	s_add_i32 s33, s33, s58
	v_addc_co_u32_e32 v7, vcc, 0, v7, vcc
	v_mov_b32_e32 v1, 0
	v_cmp_gt_u32_e32 vcc, s33, v0
	s_and_saveexec_b64 s[0:1], vcc
	s_cbranch_execz .LBB136_144
; %bb.143:
	v_mul_i32_i24_e32 v18, 0xffffffcc, v0
	v_add_u32_e32 v18, v2, v18
	ds_read_b32 v18, v18
	s_waitcnt lgkmcnt(0)
	flat_store_dword v[6:7], v18
.LBB136_144:
	s_or_b64 exec, exec, s[0:1]
	v_or_b32_e32 v18, 0x100, v0
	v_cmp_gt_u32_e32 vcc, s33, v18
	s_and_saveexec_b64 s[0:1], vcc
	s_cbranch_execz .LBB136_146
; %bb.145:
	s_waitcnt lgkmcnt(0)
	flat_store_dword v[6:7], v16 offset:1024
.LBB136_146:
	s_or_b64 exec, exec, s[0:1]
	s_waitcnt lgkmcnt(0)
	v_or_b32_e32 v16, 0x200, v0
	v_cmp_gt_u32_e32 vcc, s33, v16
	s_and_saveexec_b64 s[0:1], vcc
	s_cbranch_execz .LBB136_148
; %bb.147:
	flat_store_dword v[6:7], v17 offset:2048
.LBB136_148:
	s_or_b64 exec, exec, s[0:1]
	v_or_b32_e32 v16, 0x300, v0
	v_cmp_gt_u32_e32 vcc, s33, v16
	s_and_saveexec_b64 s[0:1], vcc
	s_cbranch_execz .LBB136_150
; %bb.149:
	flat_store_dword v[6:7], v14 offset:3072
.LBB136_150:
	s_or_b64 exec, exec, s[0:1]
	v_or_b32_e32 v14, 0x400, v0
	v_cmp_gt_u32_e32 vcc, s33, v14
	s_and_saveexec_b64 s[0:1], vcc
	s_cbranch_execz .LBB136_152
; %bb.151:
	v_add_co_u32_e32 v16, vcc, 0x1000, v6
	v_addc_co_u32_e32 v17, vcc, 0, v7, vcc
	flat_store_dword v[16:17], v15
.LBB136_152:
	s_or_b64 exec, exec, s[0:1]
	v_or_b32_e32 v14, 0x500, v0
	v_cmp_gt_u32_e32 vcc, s33, v14
	s_and_saveexec_b64 s[0:1], vcc
	s_cbranch_execz .LBB136_154
; %bb.153:
	v_add_co_u32_e32 v14, vcc, 0x1000, v6
	v_addc_co_u32_e32 v15, vcc, 0, v7, vcc
	flat_store_dword v[14:15], v12 offset:1024
.LBB136_154:
	s_or_b64 exec, exec, s[0:1]
	v_or_b32_e32 v12, 0x600, v0
	v_cmp_gt_u32_e32 vcc, s33, v12
	s_and_saveexec_b64 s[0:1], vcc
	s_cbranch_execz .LBB136_156
; %bb.155:
	v_add_co_u32_e32 v14, vcc, 0x1000, v6
	v_addc_co_u32_e32 v15, vcc, 0, v7, vcc
	flat_store_dword v[14:15], v13 offset:2048
.LBB136_156:
	;; [unrolled: 10-line block ×3, first 2 shown]
	s_or_b64 exec, exec, s[0:1]
	v_or_b32_e32 v10, 0x800, v0
	v_cmp_gt_u32_e32 vcc, s33, v10
	s_and_saveexec_b64 s[0:1], vcc
	s_cbranch_execz .LBB136_160
; %bb.159:
	v_add_co_u32_e32 v12, vcc, 0x2000, v6
	v_addc_co_u32_e32 v13, vcc, 0, v7, vcc
	flat_store_dword v[12:13], v11
.LBB136_160:
	s_or_b64 exec, exec, s[0:1]
	v_or_b32_e32 v10, 0x900, v0
	v_cmp_gt_u32_e32 vcc, s33, v10
	s_and_saveexec_b64 s[0:1], vcc
	s_cbranch_execz .LBB136_162
; %bb.161:
	v_add_co_u32_e32 v10, vcc, 0x2000, v6
	v_addc_co_u32_e32 v11, vcc, 0, v7, vcc
	flat_store_dword v[10:11], v8 offset:1024
.LBB136_162:
	s_or_b64 exec, exec, s[0:1]
	v_or_b32_e32 v8, 0xa00, v0
	v_cmp_gt_u32_e32 vcc, s33, v8
	s_and_saveexec_b64 s[0:1], vcc
	s_cbranch_execz .LBB136_164
; %bb.163:
	v_add_co_u32_e32 v10, vcc, 0x2000, v6
	v_addc_co_u32_e32 v11, vcc, 0, v7, vcc
	flat_store_dword v[10:11], v9 offset:2048
.LBB136_164:
	;; [unrolled: 10-line block ×3, first 2 shown]
	s_or_b64 exec, exec, s[0:1]
	v_or_b32_e32 v4, 0xc00, v0
	v_cmp_gt_u32_e32 vcc, s33, v4
	s_and_saveexec_b64 s[0:1], vcc
	s_cbranch_execz .LBB136_168
; %bb.167:
	v_add_co_u32_e32 v6, vcc, 0x3000, v6
	v_addc_co_u32_e32 v7, vcc, 0, v7, vcc
	flat_store_dword v[6:7], v5
.LBB136_168:
	s_or_b64 exec, exec, s[0:1]
	v_or_b32_e32 v4, 0xd00, v0
	v_cmp_gt_u32_e64 s[0:1], s33, v4
	s_branch .LBB136_171
.LBB136_169:
	s_mov_b64 s[0:1], 0
                                        ; implicit-def: $vgpr3
	s_cbranch_execz .LBB136_171
; %bb.170:
	s_movk_i32 s2, 0xffcc
	s_waitcnt lgkmcnt(0)
	s_barrier
	ds_write2_b64 v2, v[26:27], v[42:43] offset1:1
	ds_write2_b64 v2, v[30:31], v[44:45] offset0:2 offset1:3
	ds_write2_b64 v2, v[34:35], v[46:47] offset0:4 offset1:5
	ds_write_b64 v2, v[48:49] offset:48
	v_mad_i32_i24 v2, v0, s2, v2
	v_mov_b32_e32 v17, s5
	v_add_co_u32_e32 v16, vcc, s4, v50
	s_waitcnt lgkmcnt(0)
	s_barrier
	ds_read2st64_b32 v[4:5], v2 offset1:4
	ds_read2st64_b32 v[6:7], v2 offset0:8 offset1:12
	ds_read2st64_b32 v[8:9], v2 offset0:16 offset1:20
	;; [unrolled: 1-line block ×6, first 2 shown]
	v_addc_co_u32_e32 v17, vcc, 0, v17, vcc
	s_movk_i32 s2, 0x1000
	s_waitcnt lgkmcnt(0)
	flat_store_dword v[16:17], v4
	flat_store_dword v[16:17], v5 offset:1024
	flat_store_dword v[16:17], v6 offset:2048
	;; [unrolled: 1-line block ×3, first 2 shown]
	v_add_co_u32_e32 v4, vcc, s2, v16
	v_addc_co_u32_e32 v5, vcc, 0, v17, vcc
	flat_store_dword v[4:5], v8
	flat_store_dword v[4:5], v9 offset:1024
	flat_store_dword v[4:5], v10 offset:2048
	;; [unrolled: 1-line block ×3, first 2 shown]
	v_add_co_u32_e32 v4, vcc, 0x2000, v16
	v_addc_co_u32_e32 v5, vcc, 0, v17, vcc
	flat_store_dword v[4:5], v12
	flat_store_dword v[4:5], v13 offset:1024
	flat_store_dword v[4:5], v14 offset:2048
	;; [unrolled: 1-line block ×3, first 2 shown]
	v_add_co_u32_e32 v4, vcc, 0x3000, v16
	v_mov_b32_e32 v1, 0
	v_addc_co_u32_e32 v5, vcc, 0, v17, vcc
	s_or_b64 s[0:1], s[0:1], exec
	flat_store_dword v[4:5], v2
.LBB136_171:
	s_and_saveexec_b64 s[2:3], s[0:1]
	s_cbranch_execnz .LBB136_173
; %bb.172:
	s_endpgm
.LBB136_173:
	v_lshlrev_b64 v[0:1], 2, v[0:1]
	v_mov_b32_e32 v2, s5
	v_add_co_u32_e32 v0, vcc, s4, v0
	v_addc_co_u32_e32 v1, vcc, v2, v1, vcc
	v_add_co_u32_e32 v0, vcc, 0x3000, v0
	v_addc_co_u32_e32 v1, vcc, 0, v1, vcc
	flat_store_dword v[0:1], v3 offset:1024
	s_endpgm
.LBB136_174:
	v_mov_b32_e32 v13, s63
	v_add_co_u32_e32 v14, vcc, s62, v12
	v_addc_co_u32_e32 v15, vcc, 0, v13, vcc
	flat_load_dword v13, v[14:15]
	s_or_b64 exec, exec, s[4:5]
                                        ; implicit-def: $vgpr14
	s_and_saveexec_b64 s[4:5], s[8:9]
	s_cbranch_execz .LBB136_41
.LBB136_175:
	v_mov_b32_e32 v15, s63
	v_add_co_u32_e32 v14, vcc, s62, v12
	v_addc_co_u32_e32 v15, vcc, 0, v15, vcc
	flat_load_dword v14, v[14:15] offset:1024
	s_or_b64 exec, exec, s[4:5]
                                        ; implicit-def: $vgpr15
	s_and_saveexec_b64 s[4:5], s[10:11]
	s_cbranch_execz .LBB136_42
.LBB136_176:
	v_mov_b32_e32 v15, s63
	v_add_co_u32_e32 v16, vcc, s62, v12
	v_addc_co_u32_e32 v17, vcc, 0, v15, vcc
	flat_load_dword v15, v[16:17] offset:2048
	s_or_b64 exec, exec, s[4:5]
                                        ; implicit-def: $vgpr16
	s_and_saveexec_b64 s[4:5], s[12:13]
	s_cbranch_execz .LBB136_43
.LBB136_177:
	v_mov_b32_e32 v17, s63
	v_add_co_u32_e32 v16, vcc, s62, v12
	v_addc_co_u32_e32 v17, vcc, 0, v17, vcc
	flat_load_dword v16, v[16:17] offset:3072
	s_or_b64 exec, exec, s[4:5]
                                        ; implicit-def: $vgpr17
	s_and_saveexec_b64 s[4:5], s[14:15]
	s_cbranch_execz .LBB136_44
.LBB136_178:
	v_lshlrev_b32_e32 v2, 2, v2
	v_mov_b32_e32 v17, s63
	v_add_co_u32_e32 v18, vcc, s62, v2
	v_addc_co_u32_e32 v19, vcc, 0, v17, vcc
	flat_load_dword v17, v[18:19]
	s_or_b64 exec, exec, s[4:5]
                                        ; implicit-def: $vgpr2
	s_and_saveexec_b64 s[4:5], s[16:17]
	s_cbranch_execz .LBB136_45
.LBB136_179:
	v_lshlrev_b32_e32 v2, 2, v3
	v_mov_b32_e32 v3, s63
	v_add_co_u32_e32 v2, vcc, s62, v2
	v_addc_co_u32_e32 v3, vcc, 0, v3, vcc
	flat_load_dword v2, v[2:3]
	s_or_b64 exec, exec, s[4:5]
                                        ; implicit-def: $vgpr3
	s_and_saveexec_b64 s[4:5], s[18:19]
	s_cbranch_execz .LBB136_46
.LBB136_180:
	v_lshlrev_b32_e32 v3, 2, v4
	v_mov_b32_e32 v4, s63
	v_add_co_u32_e32 v18, vcc, s62, v3
	v_addc_co_u32_e32 v19, vcc, 0, v4, vcc
	flat_load_dword v3, v[18:19]
	s_or_b64 exec, exec, s[4:5]
                                        ; implicit-def: $vgpr4
	s_and_saveexec_b64 s[4:5], s[20:21]
	s_cbranch_execz .LBB136_47
.LBB136_181:
	v_lshlrev_b32_e32 v4, 2, v5
	v_mov_b32_e32 v5, s63
	v_add_co_u32_e32 v4, vcc, s62, v4
	v_addc_co_u32_e32 v5, vcc, 0, v5, vcc
	flat_load_dword v4, v[4:5]
	s_or_b64 exec, exec, s[4:5]
                                        ; implicit-def: $vgpr5
	s_and_saveexec_b64 s[4:5], s[22:23]
	s_cbranch_execz .LBB136_48
.LBB136_182:
	v_lshlrev_b32_e32 v5, 2, v6
	v_mov_b32_e32 v6, s63
	v_add_co_u32_e32 v18, vcc, s62, v5
	v_addc_co_u32_e32 v19, vcc, 0, v6, vcc
	flat_load_dword v5, v[18:19]
	s_or_b64 exec, exec, s[4:5]
                                        ; implicit-def: $vgpr6
	s_and_saveexec_b64 s[4:5], s[24:25]
	s_cbranch_execz .LBB136_49
.LBB136_183:
	v_lshlrev_b32_e32 v6, 2, v7
	v_mov_b32_e32 v7, s63
	v_add_co_u32_e32 v6, vcc, s62, v6
	v_addc_co_u32_e32 v7, vcc, 0, v7, vcc
	flat_load_dword v6, v[6:7]
	s_or_b64 exec, exec, s[4:5]
                                        ; implicit-def: $vgpr7
	s_and_saveexec_b64 s[4:5], s[26:27]
	s_cbranch_execz .LBB136_50
.LBB136_184:
	v_lshlrev_b32_e32 v7, 2, v8
	v_mov_b32_e32 v8, s63
	v_add_co_u32_e32 v18, vcc, s62, v7
	v_addc_co_u32_e32 v19, vcc, 0, v8, vcc
	flat_load_dword v7, v[18:19]
	s_or_b64 exec, exec, s[4:5]
                                        ; implicit-def: $vgpr8
	s_and_saveexec_b64 s[4:5], s[28:29]
	s_cbranch_execz .LBB136_51
.LBB136_185:
	v_lshlrev_b32_e32 v8, 2, v9
	v_mov_b32_e32 v9, s63
	v_add_co_u32_e32 v8, vcc, s62, v8
	v_addc_co_u32_e32 v9, vcc, 0, v9, vcc
	flat_load_dword v8, v[8:9]
	s_or_b64 exec, exec, s[4:5]
                                        ; implicit-def: $vgpr9
	s_and_saveexec_b64 s[4:5], s[30:31]
	s_cbranch_execz .LBB136_52
.LBB136_186:
	v_lshlrev_b32_e32 v9, 2, v10
	v_mov_b32_e32 v10, s63
	v_add_co_u32_e32 v18, vcc, s62, v9
	v_addc_co_u32_e32 v19, vcc, 0, v10, vcc
	flat_load_dword v9, v[18:19]
	s_or_b64 exec, exec, s[4:5]
                                        ; implicit-def: $vgpr10
	s_and_saveexec_b64 s[4:5], s[34:35]
	s_cbranch_execnz .LBB136_53
	s_branch .LBB136_54
.LBB136_187:
                                        ; implicit-def: $sgpr4_sgpr5
	s_branch .LBB136_36
.LBB136_188:
                                        ; implicit-def: $sgpr4_sgpr5
	s_branch .LBB136_85
	.section	.rodata,"a",@progbits
	.p2align	6, 0x0
	.amdhsa_kernel _ZN7rocprim17ROCPRIM_400000_NS6detail17trampoline_kernelINS0_14default_configENS1_27scan_by_key_config_selectorIiiEEZZNS1_16scan_by_key_implILNS1_25lookback_scan_determinismE0ELb0ES3_N6thrust23THRUST_200600_302600_NS6detail15normal_iteratorINS9_10device_ptrIiEEEESE_SE_iNS9_4plusIvEENS9_8equal_toIvEEiEE10hipError_tPvRmT2_T3_T4_T5_mT6_T7_P12ihipStream_tbENKUlT_T0_E_clISt17integral_constantIbLb1EESZ_EEDaSU_SV_EUlSU_E_NS1_11comp_targetILNS1_3genE4ELNS1_11target_archE910ELNS1_3gpuE8ELNS1_3repE0EEENS1_30default_config_static_selectorELNS0_4arch9wavefront6targetE1EEEvT1_
		.amdhsa_group_segment_fixed_size 16384
		.amdhsa_private_segment_fixed_size 0
		.amdhsa_kernarg_size 112
		.amdhsa_user_sgpr_count 6
		.amdhsa_user_sgpr_private_segment_buffer 1
		.amdhsa_user_sgpr_dispatch_ptr 0
		.amdhsa_user_sgpr_queue_ptr 0
		.amdhsa_user_sgpr_kernarg_segment_ptr 1
		.amdhsa_user_sgpr_dispatch_id 0
		.amdhsa_user_sgpr_flat_scratch_init 0
		.amdhsa_user_sgpr_kernarg_preload_length 0
		.amdhsa_user_sgpr_kernarg_preload_offset 0
		.amdhsa_user_sgpr_private_segment_size 0
		.amdhsa_uses_dynamic_stack 0
		.amdhsa_system_sgpr_private_segment_wavefront_offset 0
		.amdhsa_system_sgpr_workgroup_id_x 1
		.amdhsa_system_sgpr_workgroup_id_y 0
		.amdhsa_system_sgpr_workgroup_id_z 0
		.amdhsa_system_sgpr_workgroup_info 0
		.amdhsa_system_vgpr_workitem_id 0
		.amdhsa_next_free_vgpr 65
		.amdhsa_next_free_sgpr 65
		.amdhsa_accum_offset 68
		.amdhsa_reserve_vcc 1
		.amdhsa_reserve_flat_scratch 0
		.amdhsa_float_round_mode_32 0
		.amdhsa_float_round_mode_16_64 0
		.amdhsa_float_denorm_mode_32 3
		.amdhsa_float_denorm_mode_16_64 3
		.amdhsa_dx10_clamp 1
		.amdhsa_ieee_mode 1
		.amdhsa_fp16_overflow 0
		.amdhsa_tg_split 0
		.amdhsa_exception_fp_ieee_invalid_op 0
		.amdhsa_exception_fp_denorm_src 0
		.amdhsa_exception_fp_ieee_div_zero 0
		.amdhsa_exception_fp_ieee_overflow 0
		.amdhsa_exception_fp_ieee_underflow 0
		.amdhsa_exception_fp_ieee_inexact 0
		.amdhsa_exception_int_div_zero 0
	.end_amdhsa_kernel
	.section	.text._ZN7rocprim17ROCPRIM_400000_NS6detail17trampoline_kernelINS0_14default_configENS1_27scan_by_key_config_selectorIiiEEZZNS1_16scan_by_key_implILNS1_25lookback_scan_determinismE0ELb0ES3_N6thrust23THRUST_200600_302600_NS6detail15normal_iteratorINS9_10device_ptrIiEEEESE_SE_iNS9_4plusIvEENS9_8equal_toIvEEiEE10hipError_tPvRmT2_T3_T4_T5_mT6_T7_P12ihipStream_tbENKUlT_T0_E_clISt17integral_constantIbLb1EESZ_EEDaSU_SV_EUlSU_E_NS1_11comp_targetILNS1_3genE4ELNS1_11target_archE910ELNS1_3gpuE8ELNS1_3repE0EEENS1_30default_config_static_selectorELNS0_4arch9wavefront6targetE1EEEvT1_,"axG",@progbits,_ZN7rocprim17ROCPRIM_400000_NS6detail17trampoline_kernelINS0_14default_configENS1_27scan_by_key_config_selectorIiiEEZZNS1_16scan_by_key_implILNS1_25lookback_scan_determinismE0ELb0ES3_N6thrust23THRUST_200600_302600_NS6detail15normal_iteratorINS9_10device_ptrIiEEEESE_SE_iNS9_4plusIvEENS9_8equal_toIvEEiEE10hipError_tPvRmT2_T3_T4_T5_mT6_T7_P12ihipStream_tbENKUlT_T0_E_clISt17integral_constantIbLb1EESZ_EEDaSU_SV_EUlSU_E_NS1_11comp_targetILNS1_3genE4ELNS1_11target_archE910ELNS1_3gpuE8ELNS1_3repE0EEENS1_30default_config_static_selectorELNS0_4arch9wavefront6targetE1EEEvT1_,comdat
.Lfunc_end136:
	.size	_ZN7rocprim17ROCPRIM_400000_NS6detail17trampoline_kernelINS0_14default_configENS1_27scan_by_key_config_selectorIiiEEZZNS1_16scan_by_key_implILNS1_25lookback_scan_determinismE0ELb0ES3_N6thrust23THRUST_200600_302600_NS6detail15normal_iteratorINS9_10device_ptrIiEEEESE_SE_iNS9_4plusIvEENS9_8equal_toIvEEiEE10hipError_tPvRmT2_T3_T4_T5_mT6_T7_P12ihipStream_tbENKUlT_T0_E_clISt17integral_constantIbLb1EESZ_EEDaSU_SV_EUlSU_E_NS1_11comp_targetILNS1_3genE4ELNS1_11target_archE910ELNS1_3gpuE8ELNS1_3repE0EEENS1_30default_config_static_selectorELNS0_4arch9wavefront6targetE1EEEvT1_, .Lfunc_end136-_ZN7rocprim17ROCPRIM_400000_NS6detail17trampoline_kernelINS0_14default_configENS1_27scan_by_key_config_selectorIiiEEZZNS1_16scan_by_key_implILNS1_25lookback_scan_determinismE0ELb0ES3_N6thrust23THRUST_200600_302600_NS6detail15normal_iteratorINS9_10device_ptrIiEEEESE_SE_iNS9_4plusIvEENS9_8equal_toIvEEiEE10hipError_tPvRmT2_T3_T4_T5_mT6_T7_P12ihipStream_tbENKUlT_T0_E_clISt17integral_constantIbLb1EESZ_EEDaSU_SV_EUlSU_E_NS1_11comp_targetILNS1_3genE4ELNS1_11target_archE910ELNS1_3gpuE8ELNS1_3repE0EEENS1_30default_config_static_selectorELNS0_4arch9wavefront6targetE1EEEvT1_
                                        ; -- End function
	.section	.AMDGPU.csdata,"",@progbits
; Kernel info:
; codeLenInByte = 11144
; NumSgprs: 69
; NumVgprs: 65
; NumAgprs: 0
; TotalNumVgprs: 65
; ScratchSize: 0
; MemoryBound: 0
; FloatMode: 240
; IeeeMode: 1
; LDSByteSize: 16384 bytes/workgroup (compile time only)
; SGPRBlocks: 8
; VGPRBlocks: 8
; NumSGPRsForWavesPerEU: 69
; NumVGPRsForWavesPerEU: 65
; AccumOffset: 68
; Occupancy: 4
; WaveLimiterHint : 1
; COMPUTE_PGM_RSRC2:SCRATCH_EN: 0
; COMPUTE_PGM_RSRC2:USER_SGPR: 6
; COMPUTE_PGM_RSRC2:TRAP_HANDLER: 0
; COMPUTE_PGM_RSRC2:TGID_X_EN: 1
; COMPUTE_PGM_RSRC2:TGID_Y_EN: 0
; COMPUTE_PGM_RSRC2:TGID_Z_EN: 0
; COMPUTE_PGM_RSRC2:TIDIG_COMP_CNT: 0
; COMPUTE_PGM_RSRC3_GFX90A:ACCUM_OFFSET: 16
; COMPUTE_PGM_RSRC3_GFX90A:TG_SPLIT: 0
	.section	.text._ZN7rocprim17ROCPRIM_400000_NS6detail17trampoline_kernelINS0_14default_configENS1_27scan_by_key_config_selectorIiiEEZZNS1_16scan_by_key_implILNS1_25lookback_scan_determinismE0ELb0ES3_N6thrust23THRUST_200600_302600_NS6detail15normal_iteratorINS9_10device_ptrIiEEEESE_SE_iNS9_4plusIvEENS9_8equal_toIvEEiEE10hipError_tPvRmT2_T3_T4_T5_mT6_T7_P12ihipStream_tbENKUlT_T0_E_clISt17integral_constantIbLb1EESZ_EEDaSU_SV_EUlSU_E_NS1_11comp_targetILNS1_3genE3ELNS1_11target_archE908ELNS1_3gpuE7ELNS1_3repE0EEENS1_30default_config_static_selectorELNS0_4arch9wavefront6targetE1EEEvT1_,"axG",@progbits,_ZN7rocprim17ROCPRIM_400000_NS6detail17trampoline_kernelINS0_14default_configENS1_27scan_by_key_config_selectorIiiEEZZNS1_16scan_by_key_implILNS1_25lookback_scan_determinismE0ELb0ES3_N6thrust23THRUST_200600_302600_NS6detail15normal_iteratorINS9_10device_ptrIiEEEESE_SE_iNS9_4plusIvEENS9_8equal_toIvEEiEE10hipError_tPvRmT2_T3_T4_T5_mT6_T7_P12ihipStream_tbENKUlT_T0_E_clISt17integral_constantIbLb1EESZ_EEDaSU_SV_EUlSU_E_NS1_11comp_targetILNS1_3genE3ELNS1_11target_archE908ELNS1_3gpuE7ELNS1_3repE0EEENS1_30default_config_static_selectorELNS0_4arch9wavefront6targetE1EEEvT1_,comdat
	.protected	_ZN7rocprim17ROCPRIM_400000_NS6detail17trampoline_kernelINS0_14default_configENS1_27scan_by_key_config_selectorIiiEEZZNS1_16scan_by_key_implILNS1_25lookback_scan_determinismE0ELb0ES3_N6thrust23THRUST_200600_302600_NS6detail15normal_iteratorINS9_10device_ptrIiEEEESE_SE_iNS9_4plusIvEENS9_8equal_toIvEEiEE10hipError_tPvRmT2_T3_T4_T5_mT6_T7_P12ihipStream_tbENKUlT_T0_E_clISt17integral_constantIbLb1EESZ_EEDaSU_SV_EUlSU_E_NS1_11comp_targetILNS1_3genE3ELNS1_11target_archE908ELNS1_3gpuE7ELNS1_3repE0EEENS1_30default_config_static_selectorELNS0_4arch9wavefront6targetE1EEEvT1_ ; -- Begin function _ZN7rocprim17ROCPRIM_400000_NS6detail17trampoline_kernelINS0_14default_configENS1_27scan_by_key_config_selectorIiiEEZZNS1_16scan_by_key_implILNS1_25lookback_scan_determinismE0ELb0ES3_N6thrust23THRUST_200600_302600_NS6detail15normal_iteratorINS9_10device_ptrIiEEEESE_SE_iNS9_4plusIvEENS9_8equal_toIvEEiEE10hipError_tPvRmT2_T3_T4_T5_mT6_T7_P12ihipStream_tbENKUlT_T0_E_clISt17integral_constantIbLb1EESZ_EEDaSU_SV_EUlSU_E_NS1_11comp_targetILNS1_3genE3ELNS1_11target_archE908ELNS1_3gpuE7ELNS1_3repE0EEENS1_30default_config_static_selectorELNS0_4arch9wavefront6targetE1EEEvT1_
	.globl	_ZN7rocprim17ROCPRIM_400000_NS6detail17trampoline_kernelINS0_14default_configENS1_27scan_by_key_config_selectorIiiEEZZNS1_16scan_by_key_implILNS1_25lookback_scan_determinismE0ELb0ES3_N6thrust23THRUST_200600_302600_NS6detail15normal_iteratorINS9_10device_ptrIiEEEESE_SE_iNS9_4plusIvEENS9_8equal_toIvEEiEE10hipError_tPvRmT2_T3_T4_T5_mT6_T7_P12ihipStream_tbENKUlT_T0_E_clISt17integral_constantIbLb1EESZ_EEDaSU_SV_EUlSU_E_NS1_11comp_targetILNS1_3genE3ELNS1_11target_archE908ELNS1_3gpuE7ELNS1_3repE0EEENS1_30default_config_static_selectorELNS0_4arch9wavefront6targetE1EEEvT1_
	.p2align	8
	.type	_ZN7rocprim17ROCPRIM_400000_NS6detail17trampoline_kernelINS0_14default_configENS1_27scan_by_key_config_selectorIiiEEZZNS1_16scan_by_key_implILNS1_25lookback_scan_determinismE0ELb0ES3_N6thrust23THRUST_200600_302600_NS6detail15normal_iteratorINS9_10device_ptrIiEEEESE_SE_iNS9_4plusIvEENS9_8equal_toIvEEiEE10hipError_tPvRmT2_T3_T4_T5_mT6_T7_P12ihipStream_tbENKUlT_T0_E_clISt17integral_constantIbLb1EESZ_EEDaSU_SV_EUlSU_E_NS1_11comp_targetILNS1_3genE3ELNS1_11target_archE908ELNS1_3gpuE7ELNS1_3repE0EEENS1_30default_config_static_selectorELNS0_4arch9wavefront6targetE1EEEvT1_,@function
_ZN7rocprim17ROCPRIM_400000_NS6detail17trampoline_kernelINS0_14default_configENS1_27scan_by_key_config_selectorIiiEEZZNS1_16scan_by_key_implILNS1_25lookback_scan_determinismE0ELb0ES3_N6thrust23THRUST_200600_302600_NS6detail15normal_iteratorINS9_10device_ptrIiEEEESE_SE_iNS9_4plusIvEENS9_8equal_toIvEEiEE10hipError_tPvRmT2_T3_T4_T5_mT6_T7_P12ihipStream_tbENKUlT_T0_E_clISt17integral_constantIbLb1EESZ_EEDaSU_SV_EUlSU_E_NS1_11comp_targetILNS1_3genE3ELNS1_11target_archE908ELNS1_3gpuE7ELNS1_3repE0EEENS1_30default_config_static_selectorELNS0_4arch9wavefront6targetE1EEEvT1_: ; @_ZN7rocprim17ROCPRIM_400000_NS6detail17trampoline_kernelINS0_14default_configENS1_27scan_by_key_config_selectorIiiEEZZNS1_16scan_by_key_implILNS1_25lookback_scan_determinismE0ELb0ES3_N6thrust23THRUST_200600_302600_NS6detail15normal_iteratorINS9_10device_ptrIiEEEESE_SE_iNS9_4plusIvEENS9_8equal_toIvEEiEE10hipError_tPvRmT2_T3_T4_T5_mT6_T7_P12ihipStream_tbENKUlT_T0_E_clISt17integral_constantIbLb1EESZ_EEDaSU_SV_EUlSU_E_NS1_11comp_targetILNS1_3genE3ELNS1_11target_archE908ELNS1_3gpuE7ELNS1_3repE0EEENS1_30default_config_static_selectorELNS0_4arch9wavefront6targetE1EEEvT1_
; %bb.0:
	.section	.rodata,"a",@progbits
	.p2align	6, 0x0
	.amdhsa_kernel _ZN7rocprim17ROCPRIM_400000_NS6detail17trampoline_kernelINS0_14default_configENS1_27scan_by_key_config_selectorIiiEEZZNS1_16scan_by_key_implILNS1_25lookback_scan_determinismE0ELb0ES3_N6thrust23THRUST_200600_302600_NS6detail15normal_iteratorINS9_10device_ptrIiEEEESE_SE_iNS9_4plusIvEENS9_8equal_toIvEEiEE10hipError_tPvRmT2_T3_T4_T5_mT6_T7_P12ihipStream_tbENKUlT_T0_E_clISt17integral_constantIbLb1EESZ_EEDaSU_SV_EUlSU_E_NS1_11comp_targetILNS1_3genE3ELNS1_11target_archE908ELNS1_3gpuE7ELNS1_3repE0EEENS1_30default_config_static_selectorELNS0_4arch9wavefront6targetE1EEEvT1_
		.amdhsa_group_segment_fixed_size 0
		.amdhsa_private_segment_fixed_size 0
		.amdhsa_kernarg_size 112
		.amdhsa_user_sgpr_count 6
		.amdhsa_user_sgpr_private_segment_buffer 1
		.amdhsa_user_sgpr_dispatch_ptr 0
		.amdhsa_user_sgpr_queue_ptr 0
		.amdhsa_user_sgpr_kernarg_segment_ptr 1
		.amdhsa_user_sgpr_dispatch_id 0
		.amdhsa_user_sgpr_flat_scratch_init 0
		.amdhsa_user_sgpr_kernarg_preload_length 0
		.amdhsa_user_sgpr_kernarg_preload_offset 0
		.amdhsa_user_sgpr_private_segment_size 0
		.amdhsa_uses_dynamic_stack 0
		.amdhsa_system_sgpr_private_segment_wavefront_offset 0
		.amdhsa_system_sgpr_workgroup_id_x 1
		.amdhsa_system_sgpr_workgroup_id_y 0
		.amdhsa_system_sgpr_workgroup_id_z 0
		.amdhsa_system_sgpr_workgroup_info 0
		.amdhsa_system_vgpr_workitem_id 0
		.amdhsa_next_free_vgpr 1
		.amdhsa_next_free_sgpr 0
		.amdhsa_accum_offset 4
		.amdhsa_reserve_vcc 0
		.amdhsa_reserve_flat_scratch 0
		.amdhsa_float_round_mode_32 0
		.amdhsa_float_round_mode_16_64 0
		.amdhsa_float_denorm_mode_32 3
		.amdhsa_float_denorm_mode_16_64 3
		.amdhsa_dx10_clamp 1
		.amdhsa_ieee_mode 1
		.amdhsa_fp16_overflow 0
		.amdhsa_tg_split 0
		.amdhsa_exception_fp_ieee_invalid_op 0
		.amdhsa_exception_fp_denorm_src 0
		.amdhsa_exception_fp_ieee_div_zero 0
		.amdhsa_exception_fp_ieee_overflow 0
		.amdhsa_exception_fp_ieee_underflow 0
		.amdhsa_exception_fp_ieee_inexact 0
		.amdhsa_exception_int_div_zero 0
	.end_amdhsa_kernel
	.section	.text._ZN7rocprim17ROCPRIM_400000_NS6detail17trampoline_kernelINS0_14default_configENS1_27scan_by_key_config_selectorIiiEEZZNS1_16scan_by_key_implILNS1_25lookback_scan_determinismE0ELb0ES3_N6thrust23THRUST_200600_302600_NS6detail15normal_iteratorINS9_10device_ptrIiEEEESE_SE_iNS9_4plusIvEENS9_8equal_toIvEEiEE10hipError_tPvRmT2_T3_T4_T5_mT6_T7_P12ihipStream_tbENKUlT_T0_E_clISt17integral_constantIbLb1EESZ_EEDaSU_SV_EUlSU_E_NS1_11comp_targetILNS1_3genE3ELNS1_11target_archE908ELNS1_3gpuE7ELNS1_3repE0EEENS1_30default_config_static_selectorELNS0_4arch9wavefront6targetE1EEEvT1_,"axG",@progbits,_ZN7rocprim17ROCPRIM_400000_NS6detail17trampoline_kernelINS0_14default_configENS1_27scan_by_key_config_selectorIiiEEZZNS1_16scan_by_key_implILNS1_25lookback_scan_determinismE0ELb0ES3_N6thrust23THRUST_200600_302600_NS6detail15normal_iteratorINS9_10device_ptrIiEEEESE_SE_iNS9_4plusIvEENS9_8equal_toIvEEiEE10hipError_tPvRmT2_T3_T4_T5_mT6_T7_P12ihipStream_tbENKUlT_T0_E_clISt17integral_constantIbLb1EESZ_EEDaSU_SV_EUlSU_E_NS1_11comp_targetILNS1_3genE3ELNS1_11target_archE908ELNS1_3gpuE7ELNS1_3repE0EEENS1_30default_config_static_selectorELNS0_4arch9wavefront6targetE1EEEvT1_,comdat
.Lfunc_end137:
	.size	_ZN7rocprim17ROCPRIM_400000_NS6detail17trampoline_kernelINS0_14default_configENS1_27scan_by_key_config_selectorIiiEEZZNS1_16scan_by_key_implILNS1_25lookback_scan_determinismE0ELb0ES3_N6thrust23THRUST_200600_302600_NS6detail15normal_iteratorINS9_10device_ptrIiEEEESE_SE_iNS9_4plusIvEENS9_8equal_toIvEEiEE10hipError_tPvRmT2_T3_T4_T5_mT6_T7_P12ihipStream_tbENKUlT_T0_E_clISt17integral_constantIbLb1EESZ_EEDaSU_SV_EUlSU_E_NS1_11comp_targetILNS1_3genE3ELNS1_11target_archE908ELNS1_3gpuE7ELNS1_3repE0EEENS1_30default_config_static_selectorELNS0_4arch9wavefront6targetE1EEEvT1_, .Lfunc_end137-_ZN7rocprim17ROCPRIM_400000_NS6detail17trampoline_kernelINS0_14default_configENS1_27scan_by_key_config_selectorIiiEEZZNS1_16scan_by_key_implILNS1_25lookback_scan_determinismE0ELb0ES3_N6thrust23THRUST_200600_302600_NS6detail15normal_iteratorINS9_10device_ptrIiEEEESE_SE_iNS9_4plusIvEENS9_8equal_toIvEEiEE10hipError_tPvRmT2_T3_T4_T5_mT6_T7_P12ihipStream_tbENKUlT_T0_E_clISt17integral_constantIbLb1EESZ_EEDaSU_SV_EUlSU_E_NS1_11comp_targetILNS1_3genE3ELNS1_11target_archE908ELNS1_3gpuE7ELNS1_3repE0EEENS1_30default_config_static_selectorELNS0_4arch9wavefront6targetE1EEEvT1_
                                        ; -- End function
	.section	.AMDGPU.csdata,"",@progbits
; Kernel info:
; codeLenInByte = 0
; NumSgprs: 4
; NumVgprs: 0
; NumAgprs: 0
; TotalNumVgprs: 0
; ScratchSize: 0
; MemoryBound: 0
; FloatMode: 240
; IeeeMode: 1
; LDSByteSize: 0 bytes/workgroup (compile time only)
; SGPRBlocks: 0
; VGPRBlocks: 0
; NumSGPRsForWavesPerEU: 4
; NumVGPRsForWavesPerEU: 1
; AccumOffset: 4
; Occupancy: 8
; WaveLimiterHint : 0
; COMPUTE_PGM_RSRC2:SCRATCH_EN: 0
; COMPUTE_PGM_RSRC2:USER_SGPR: 6
; COMPUTE_PGM_RSRC2:TRAP_HANDLER: 0
; COMPUTE_PGM_RSRC2:TGID_X_EN: 1
; COMPUTE_PGM_RSRC2:TGID_Y_EN: 0
; COMPUTE_PGM_RSRC2:TGID_Z_EN: 0
; COMPUTE_PGM_RSRC2:TIDIG_COMP_CNT: 0
; COMPUTE_PGM_RSRC3_GFX90A:ACCUM_OFFSET: 0
; COMPUTE_PGM_RSRC3_GFX90A:TG_SPLIT: 0
	.section	.text._ZN7rocprim17ROCPRIM_400000_NS6detail17trampoline_kernelINS0_14default_configENS1_27scan_by_key_config_selectorIiiEEZZNS1_16scan_by_key_implILNS1_25lookback_scan_determinismE0ELb0ES3_N6thrust23THRUST_200600_302600_NS6detail15normal_iteratorINS9_10device_ptrIiEEEESE_SE_iNS9_4plusIvEENS9_8equal_toIvEEiEE10hipError_tPvRmT2_T3_T4_T5_mT6_T7_P12ihipStream_tbENKUlT_T0_E_clISt17integral_constantIbLb1EESZ_EEDaSU_SV_EUlSU_E_NS1_11comp_targetILNS1_3genE2ELNS1_11target_archE906ELNS1_3gpuE6ELNS1_3repE0EEENS1_30default_config_static_selectorELNS0_4arch9wavefront6targetE1EEEvT1_,"axG",@progbits,_ZN7rocprim17ROCPRIM_400000_NS6detail17trampoline_kernelINS0_14default_configENS1_27scan_by_key_config_selectorIiiEEZZNS1_16scan_by_key_implILNS1_25lookback_scan_determinismE0ELb0ES3_N6thrust23THRUST_200600_302600_NS6detail15normal_iteratorINS9_10device_ptrIiEEEESE_SE_iNS9_4plusIvEENS9_8equal_toIvEEiEE10hipError_tPvRmT2_T3_T4_T5_mT6_T7_P12ihipStream_tbENKUlT_T0_E_clISt17integral_constantIbLb1EESZ_EEDaSU_SV_EUlSU_E_NS1_11comp_targetILNS1_3genE2ELNS1_11target_archE906ELNS1_3gpuE6ELNS1_3repE0EEENS1_30default_config_static_selectorELNS0_4arch9wavefront6targetE1EEEvT1_,comdat
	.protected	_ZN7rocprim17ROCPRIM_400000_NS6detail17trampoline_kernelINS0_14default_configENS1_27scan_by_key_config_selectorIiiEEZZNS1_16scan_by_key_implILNS1_25lookback_scan_determinismE0ELb0ES3_N6thrust23THRUST_200600_302600_NS6detail15normal_iteratorINS9_10device_ptrIiEEEESE_SE_iNS9_4plusIvEENS9_8equal_toIvEEiEE10hipError_tPvRmT2_T3_T4_T5_mT6_T7_P12ihipStream_tbENKUlT_T0_E_clISt17integral_constantIbLb1EESZ_EEDaSU_SV_EUlSU_E_NS1_11comp_targetILNS1_3genE2ELNS1_11target_archE906ELNS1_3gpuE6ELNS1_3repE0EEENS1_30default_config_static_selectorELNS0_4arch9wavefront6targetE1EEEvT1_ ; -- Begin function _ZN7rocprim17ROCPRIM_400000_NS6detail17trampoline_kernelINS0_14default_configENS1_27scan_by_key_config_selectorIiiEEZZNS1_16scan_by_key_implILNS1_25lookback_scan_determinismE0ELb0ES3_N6thrust23THRUST_200600_302600_NS6detail15normal_iteratorINS9_10device_ptrIiEEEESE_SE_iNS9_4plusIvEENS9_8equal_toIvEEiEE10hipError_tPvRmT2_T3_T4_T5_mT6_T7_P12ihipStream_tbENKUlT_T0_E_clISt17integral_constantIbLb1EESZ_EEDaSU_SV_EUlSU_E_NS1_11comp_targetILNS1_3genE2ELNS1_11target_archE906ELNS1_3gpuE6ELNS1_3repE0EEENS1_30default_config_static_selectorELNS0_4arch9wavefront6targetE1EEEvT1_
	.globl	_ZN7rocprim17ROCPRIM_400000_NS6detail17trampoline_kernelINS0_14default_configENS1_27scan_by_key_config_selectorIiiEEZZNS1_16scan_by_key_implILNS1_25lookback_scan_determinismE0ELb0ES3_N6thrust23THRUST_200600_302600_NS6detail15normal_iteratorINS9_10device_ptrIiEEEESE_SE_iNS9_4plusIvEENS9_8equal_toIvEEiEE10hipError_tPvRmT2_T3_T4_T5_mT6_T7_P12ihipStream_tbENKUlT_T0_E_clISt17integral_constantIbLb1EESZ_EEDaSU_SV_EUlSU_E_NS1_11comp_targetILNS1_3genE2ELNS1_11target_archE906ELNS1_3gpuE6ELNS1_3repE0EEENS1_30default_config_static_selectorELNS0_4arch9wavefront6targetE1EEEvT1_
	.p2align	8
	.type	_ZN7rocprim17ROCPRIM_400000_NS6detail17trampoline_kernelINS0_14default_configENS1_27scan_by_key_config_selectorIiiEEZZNS1_16scan_by_key_implILNS1_25lookback_scan_determinismE0ELb0ES3_N6thrust23THRUST_200600_302600_NS6detail15normal_iteratorINS9_10device_ptrIiEEEESE_SE_iNS9_4plusIvEENS9_8equal_toIvEEiEE10hipError_tPvRmT2_T3_T4_T5_mT6_T7_P12ihipStream_tbENKUlT_T0_E_clISt17integral_constantIbLb1EESZ_EEDaSU_SV_EUlSU_E_NS1_11comp_targetILNS1_3genE2ELNS1_11target_archE906ELNS1_3gpuE6ELNS1_3repE0EEENS1_30default_config_static_selectorELNS0_4arch9wavefront6targetE1EEEvT1_,@function
_ZN7rocprim17ROCPRIM_400000_NS6detail17trampoline_kernelINS0_14default_configENS1_27scan_by_key_config_selectorIiiEEZZNS1_16scan_by_key_implILNS1_25lookback_scan_determinismE0ELb0ES3_N6thrust23THRUST_200600_302600_NS6detail15normal_iteratorINS9_10device_ptrIiEEEESE_SE_iNS9_4plusIvEENS9_8equal_toIvEEiEE10hipError_tPvRmT2_T3_T4_T5_mT6_T7_P12ihipStream_tbENKUlT_T0_E_clISt17integral_constantIbLb1EESZ_EEDaSU_SV_EUlSU_E_NS1_11comp_targetILNS1_3genE2ELNS1_11target_archE906ELNS1_3gpuE6ELNS1_3repE0EEENS1_30default_config_static_selectorELNS0_4arch9wavefront6targetE1EEEvT1_: ; @_ZN7rocprim17ROCPRIM_400000_NS6detail17trampoline_kernelINS0_14default_configENS1_27scan_by_key_config_selectorIiiEEZZNS1_16scan_by_key_implILNS1_25lookback_scan_determinismE0ELb0ES3_N6thrust23THRUST_200600_302600_NS6detail15normal_iteratorINS9_10device_ptrIiEEEESE_SE_iNS9_4plusIvEENS9_8equal_toIvEEiEE10hipError_tPvRmT2_T3_T4_T5_mT6_T7_P12ihipStream_tbENKUlT_T0_E_clISt17integral_constantIbLb1EESZ_EEDaSU_SV_EUlSU_E_NS1_11comp_targetILNS1_3genE2ELNS1_11target_archE906ELNS1_3gpuE6ELNS1_3repE0EEENS1_30default_config_static_selectorELNS0_4arch9wavefront6targetE1EEEvT1_
; %bb.0:
	.section	.rodata,"a",@progbits
	.p2align	6, 0x0
	.amdhsa_kernel _ZN7rocprim17ROCPRIM_400000_NS6detail17trampoline_kernelINS0_14default_configENS1_27scan_by_key_config_selectorIiiEEZZNS1_16scan_by_key_implILNS1_25lookback_scan_determinismE0ELb0ES3_N6thrust23THRUST_200600_302600_NS6detail15normal_iteratorINS9_10device_ptrIiEEEESE_SE_iNS9_4plusIvEENS9_8equal_toIvEEiEE10hipError_tPvRmT2_T3_T4_T5_mT6_T7_P12ihipStream_tbENKUlT_T0_E_clISt17integral_constantIbLb1EESZ_EEDaSU_SV_EUlSU_E_NS1_11comp_targetILNS1_3genE2ELNS1_11target_archE906ELNS1_3gpuE6ELNS1_3repE0EEENS1_30default_config_static_selectorELNS0_4arch9wavefront6targetE1EEEvT1_
		.amdhsa_group_segment_fixed_size 0
		.amdhsa_private_segment_fixed_size 0
		.amdhsa_kernarg_size 112
		.amdhsa_user_sgpr_count 6
		.amdhsa_user_sgpr_private_segment_buffer 1
		.amdhsa_user_sgpr_dispatch_ptr 0
		.amdhsa_user_sgpr_queue_ptr 0
		.amdhsa_user_sgpr_kernarg_segment_ptr 1
		.amdhsa_user_sgpr_dispatch_id 0
		.amdhsa_user_sgpr_flat_scratch_init 0
		.amdhsa_user_sgpr_kernarg_preload_length 0
		.amdhsa_user_sgpr_kernarg_preload_offset 0
		.amdhsa_user_sgpr_private_segment_size 0
		.amdhsa_uses_dynamic_stack 0
		.amdhsa_system_sgpr_private_segment_wavefront_offset 0
		.amdhsa_system_sgpr_workgroup_id_x 1
		.amdhsa_system_sgpr_workgroup_id_y 0
		.amdhsa_system_sgpr_workgroup_id_z 0
		.amdhsa_system_sgpr_workgroup_info 0
		.amdhsa_system_vgpr_workitem_id 0
		.amdhsa_next_free_vgpr 1
		.amdhsa_next_free_sgpr 0
		.amdhsa_accum_offset 4
		.amdhsa_reserve_vcc 0
		.amdhsa_reserve_flat_scratch 0
		.amdhsa_float_round_mode_32 0
		.amdhsa_float_round_mode_16_64 0
		.amdhsa_float_denorm_mode_32 3
		.amdhsa_float_denorm_mode_16_64 3
		.amdhsa_dx10_clamp 1
		.amdhsa_ieee_mode 1
		.amdhsa_fp16_overflow 0
		.amdhsa_tg_split 0
		.amdhsa_exception_fp_ieee_invalid_op 0
		.amdhsa_exception_fp_denorm_src 0
		.amdhsa_exception_fp_ieee_div_zero 0
		.amdhsa_exception_fp_ieee_overflow 0
		.amdhsa_exception_fp_ieee_underflow 0
		.amdhsa_exception_fp_ieee_inexact 0
		.amdhsa_exception_int_div_zero 0
	.end_amdhsa_kernel
	.section	.text._ZN7rocprim17ROCPRIM_400000_NS6detail17trampoline_kernelINS0_14default_configENS1_27scan_by_key_config_selectorIiiEEZZNS1_16scan_by_key_implILNS1_25lookback_scan_determinismE0ELb0ES3_N6thrust23THRUST_200600_302600_NS6detail15normal_iteratorINS9_10device_ptrIiEEEESE_SE_iNS9_4plusIvEENS9_8equal_toIvEEiEE10hipError_tPvRmT2_T3_T4_T5_mT6_T7_P12ihipStream_tbENKUlT_T0_E_clISt17integral_constantIbLb1EESZ_EEDaSU_SV_EUlSU_E_NS1_11comp_targetILNS1_3genE2ELNS1_11target_archE906ELNS1_3gpuE6ELNS1_3repE0EEENS1_30default_config_static_selectorELNS0_4arch9wavefront6targetE1EEEvT1_,"axG",@progbits,_ZN7rocprim17ROCPRIM_400000_NS6detail17trampoline_kernelINS0_14default_configENS1_27scan_by_key_config_selectorIiiEEZZNS1_16scan_by_key_implILNS1_25lookback_scan_determinismE0ELb0ES3_N6thrust23THRUST_200600_302600_NS6detail15normal_iteratorINS9_10device_ptrIiEEEESE_SE_iNS9_4plusIvEENS9_8equal_toIvEEiEE10hipError_tPvRmT2_T3_T4_T5_mT6_T7_P12ihipStream_tbENKUlT_T0_E_clISt17integral_constantIbLb1EESZ_EEDaSU_SV_EUlSU_E_NS1_11comp_targetILNS1_3genE2ELNS1_11target_archE906ELNS1_3gpuE6ELNS1_3repE0EEENS1_30default_config_static_selectorELNS0_4arch9wavefront6targetE1EEEvT1_,comdat
.Lfunc_end138:
	.size	_ZN7rocprim17ROCPRIM_400000_NS6detail17trampoline_kernelINS0_14default_configENS1_27scan_by_key_config_selectorIiiEEZZNS1_16scan_by_key_implILNS1_25lookback_scan_determinismE0ELb0ES3_N6thrust23THRUST_200600_302600_NS6detail15normal_iteratorINS9_10device_ptrIiEEEESE_SE_iNS9_4plusIvEENS9_8equal_toIvEEiEE10hipError_tPvRmT2_T3_T4_T5_mT6_T7_P12ihipStream_tbENKUlT_T0_E_clISt17integral_constantIbLb1EESZ_EEDaSU_SV_EUlSU_E_NS1_11comp_targetILNS1_3genE2ELNS1_11target_archE906ELNS1_3gpuE6ELNS1_3repE0EEENS1_30default_config_static_selectorELNS0_4arch9wavefront6targetE1EEEvT1_, .Lfunc_end138-_ZN7rocprim17ROCPRIM_400000_NS6detail17trampoline_kernelINS0_14default_configENS1_27scan_by_key_config_selectorIiiEEZZNS1_16scan_by_key_implILNS1_25lookback_scan_determinismE0ELb0ES3_N6thrust23THRUST_200600_302600_NS6detail15normal_iteratorINS9_10device_ptrIiEEEESE_SE_iNS9_4plusIvEENS9_8equal_toIvEEiEE10hipError_tPvRmT2_T3_T4_T5_mT6_T7_P12ihipStream_tbENKUlT_T0_E_clISt17integral_constantIbLb1EESZ_EEDaSU_SV_EUlSU_E_NS1_11comp_targetILNS1_3genE2ELNS1_11target_archE906ELNS1_3gpuE6ELNS1_3repE0EEENS1_30default_config_static_selectorELNS0_4arch9wavefront6targetE1EEEvT1_
                                        ; -- End function
	.section	.AMDGPU.csdata,"",@progbits
; Kernel info:
; codeLenInByte = 0
; NumSgprs: 4
; NumVgprs: 0
; NumAgprs: 0
; TotalNumVgprs: 0
; ScratchSize: 0
; MemoryBound: 0
; FloatMode: 240
; IeeeMode: 1
; LDSByteSize: 0 bytes/workgroup (compile time only)
; SGPRBlocks: 0
; VGPRBlocks: 0
; NumSGPRsForWavesPerEU: 4
; NumVGPRsForWavesPerEU: 1
; AccumOffset: 4
; Occupancy: 8
; WaveLimiterHint : 0
; COMPUTE_PGM_RSRC2:SCRATCH_EN: 0
; COMPUTE_PGM_RSRC2:USER_SGPR: 6
; COMPUTE_PGM_RSRC2:TRAP_HANDLER: 0
; COMPUTE_PGM_RSRC2:TGID_X_EN: 1
; COMPUTE_PGM_RSRC2:TGID_Y_EN: 0
; COMPUTE_PGM_RSRC2:TGID_Z_EN: 0
; COMPUTE_PGM_RSRC2:TIDIG_COMP_CNT: 0
; COMPUTE_PGM_RSRC3_GFX90A:ACCUM_OFFSET: 0
; COMPUTE_PGM_RSRC3_GFX90A:TG_SPLIT: 0
	.section	.text._ZN7rocprim17ROCPRIM_400000_NS6detail17trampoline_kernelINS0_14default_configENS1_27scan_by_key_config_selectorIiiEEZZNS1_16scan_by_key_implILNS1_25lookback_scan_determinismE0ELb0ES3_N6thrust23THRUST_200600_302600_NS6detail15normal_iteratorINS9_10device_ptrIiEEEESE_SE_iNS9_4plusIvEENS9_8equal_toIvEEiEE10hipError_tPvRmT2_T3_T4_T5_mT6_T7_P12ihipStream_tbENKUlT_T0_E_clISt17integral_constantIbLb1EESZ_EEDaSU_SV_EUlSU_E_NS1_11comp_targetILNS1_3genE10ELNS1_11target_archE1200ELNS1_3gpuE4ELNS1_3repE0EEENS1_30default_config_static_selectorELNS0_4arch9wavefront6targetE1EEEvT1_,"axG",@progbits,_ZN7rocprim17ROCPRIM_400000_NS6detail17trampoline_kernelINS0_14default_configENS1_27scan_by_key_config_selectorIiiEEZZNS1_16scan_by_key_implILNS1_25lookback_scan_determinismE0ELb0ES3_N6thrust23THRUST_200600_302600_NS6detail15normal_iteratorINS9_10device_ptrIiEEEESE_SE_iNS9_4plusIvEENS9_8equal_toIvEEiEE10hipError_tPvRmT2_T3_T4_T5_mT6_T7_P12ihipStream_tbENKUlT_T0_E_clISt17integral_constantIbLb1EESZ_EEDaSU_SV_EUlSU_E_NS1_11comp_targetILNS1_3genE10ELNS1_11target_archE1200ELNS1_3gpuE4ELNS1_3repE0EEENS1_30default_config_static_selectorELNS0_4arch9wavefront6targetE1EEEvT1_,comdat
	.protected	_ZN7rocprim17ROCPRIM_400000_NS6detail17trampoline_kernelINS0_14default_configENS1_27scan_by_key_config_selectorIiiEEZZNS1_16scan_by_key_implILNS1_25lookback_scan_determinismE0ELb0ES3_N6thrust23THRUST_200600_302600_NS6detail15normal_iteratorINS9_10device_ptrIiEEEESE_SE_iNS9_4plusIvEENS9_8equal_toIvEEiEE10hipError_tPvRmT2_T3_T4_T5_mT6_T7_P12ihipStream_tbENKUlT_T0_E_clISt17integral_constantIbLb1EESZ_EEDaSU_SV_EUlSU_E_NS1_11comp_targetILNS1_3genE10ELNS1_11target_archE1200ELNS1_3gpuE4ELNS1_3repE0EEENS1_30default_config_static_selectorELNS0_4arch9wavefront6targetE1EEEvT1_ ; -- Begin function _ZN7rocprim17ROCPRIM_400000_NS6detail17trampoline_kernelINS0_14default_configENS1_27scan_by_key_config_selectorIiiEEZZNS1_16scan_by_key_implILNS1_25lookback_scan_determinismE0ELb0ES3_N6thrust23THRUST_200600_302600_NS6detail15normal_iteratorINS9_10device_ptrIiEEEESE_SE_iNS9_4plusIvEENS9_8equal_toIvEEiEE10hipError_tPvRmT2_T3_T4_T5_mT6_T7_P12ihipStream_tbENKUlT_T0_E_clISt17integral_constantIbLb1EESZ_EEDaSU_SV_EUlSU_E_NS1_11comp_targetILNS1_3genE10ELNS1_11target_archE1200ELNS1_3gpuE4ELNS1_3repE0EEENS1_30default_config_static_selectorELNS0_4arch9wavefront6targetE1EEEvT1_
	.globl	_ZN7rocprim17ROCPRIM_400000_NS6detail17trampoline_kernelINS0_14default_configENS1_27scan_by_key_config_selectorIiiEEZZNS1_16scan_by_key_implILNS1_25lookback_scan_determinismE0ELb0ES3_N6thrust23THRUST_200600_302600_NS6detail15normal_iteratorINS9_10device_ptrIiEEEESE_SE_iNS9_4plusIvEENS9_8equal_toIvEEiEE10hipError_tPvRmT2_T3_T4_T5_mT6_T7_P12ihipStream_tbENKUlT_T0_E_clISt17integral_constantIbLb1EESZ_EEDaSU_SV_EUlSU_E_NS1_11comp_targetILNS1_3genE10ELNS1_11target_archE1200ELNS1_3gpuE4ELNS1_3repE0EEENS1_30default_config_static_selectorELNS0_4arch9wavefront6targetE1EEEvT1_
	.p2align	8
	.type	_ZN7rocprim17ROCPRIM_400000_NS6detail17trampoline_kernelINS0_14default_configENS1_27scan_by_key_config_selectorIiiEEZZNS1_16scan_by_key_implILNS1_25lookback_scan_determinismE0ELb0ES3_N6thrust23THRUST_200600_302600_NS6detail15normal_iteratorINS9_10device_ptrIiEEEESE_SE_iNS9_4plusIvEENS9_8equal_toIvEEiEE10hipError_tPvRmT2_T3_T4_T5_mT6_T7_P12ihipStream_tbENKUlT_T0_E_clISt17integral_constantIbLb1EESZ_EEDaSU_SV_EUlSU_E_NS1_11comp_targetILNS1_3genE10ELNS1_11target_archE1200ELNS1_3gpuE4ELNS1_3repE0EEENS1_30default_config_static_selectorELNS0_4arch9wavefront6targetE1EEEvT1_,@function
_ZN7rocprim17ROCPRIM_400000_NS6detail17trampoline_kernelINS0_14default_configENS1_27scan_by_key_config_selectorIiiEEZZNS1_16scan_by_key_implILNS1_25lookback_scan_determinismE0ELb0ES3_N6thrust23THRUST_200600_302600_NS6detail15normal_iteratorINS9_10device_ptrIiEEEESE_SE_iNS9_4plusIvEENS9_8equal_toIvEEiEE10hipError_tPvRmT2_T3_T4_T5_mT6_T7_P12ihipStream_tbENKUlT_T0_E_clISt17integral_constantIbLb1EESZ_EEDaSU_SV_EUlSU_E_NS1_11comp_targetILNS1_3genE10ELNS1_11target_archE1200ELNS1_3gpuE4ELNS1_3repE0EEENS1_30default_config_static_selectorELNS0_4arch9wavefront6targetE1EEEvT1_: ; @_ZN7rocprim17ROCPRIM_400000_NS6detail17trampoline_kernelINS0_14default_configENS1_27scan_by_key_config_selectorIiiEEZZNS1_16scan_by_key_implILNS1_25lookback_scan_determinismE0ELb0ES3_N6thrust23THRUST_200600_302600_NS6detail15normal_iteratorINS9_10device_ptrIiEEEESE_SE_iNS9_4plusIvEENS9_8equal_toIvEEiEE10hipError_tPvRmT2_T3_T4_T5_mT6_T7_P12ihipStream_tbENKUlT_T0_E_clISt17integral_constantIbLb1EESZ_EEDaSU_SV_EUlSU_E_NS1_11comp_targetILNS1_3genE10ELNS1_11target_archE1200ELNS1_3gpuE4ELNS1_3repE0EEENS1_30default_config_static_selectorELNS0_4arch9wavefront6targetE1EEEvT1_
; %bb.0:
	.section	.rodata,"a",@progbits
	.p2align	6, 0x0
	.amdhsa_kernel _ZN7rocprim17ROCPRIM_400000_NS6detail17trampoline_kernelINS0_14default_configENS1_27scan_by_key_config_selectorIiiEEZZNS1_16scan_by_key_implILNS1_25lookback_scan_determinismE0ELb0ES3_N6thrust23THRUST_200600_302600_NS6detail15normal_iteratorINS9_10device_ptrIiEEEESE_SE_iNS9_4plusIvEENS9_8equal_toIvEEiEE10hipError_tPvRmT2_T3_T4_T5_mT6_T7_P12ihipStream_tbENKUlT_T0_E_clISt17integral_constantIbLb1EESZ_EEDaSU_SV_EUlSU_E_NS1_11comp_targetILNS1_3genE10ELNS1_11target_archE1200ELNS1_3gpuE4ELNS1_3repE0EEENS1_30default_config_static_selectorELNS0_4arch9wavefront6targetE1EEEvT1_
		.amdhsa_group_segment_fixed_size 0
		.amdhsa_private_segment_fixed_size 0
		.amdhsa_kernarg_size 112
		.amdhsa_user_sgpr_count 6
		.amdhsa_user_sgpr_private_segment_buffer 1
		.amdhsa_user_sgpr_dispatch_ptr 0
		.amdhsa_user_sgpr_queue_ptr 0
		.amdhsa_user_sgpr_kernarg_segment_ptr 1
		.amdhsa_user_sgpr_dispatch_id 0
		.amdhsa_user_sgpr_flat_scratch_init 0
		.amdhsa_user_sgpr_kernarg_preload_length 0
		.amdhsa_user_sgpr_kernarg_preload_offset 0
		.amdhsa_user_sgpr_private_segment_size 0
		.amdhsa_uses_dynamic_stack 0
		.amdhsa_system_sgpr_private_segment_wavefront_offset 0
		.amdhsa_system_sgpr_workgroup_id_x 1
		.amdhsa_system_sgpr_workgroup_id_y 0
		.amdhsa_system_sgpr_workgroup_id_z 0
		.amdhsa_system_sgpr_workgroup_info 0
		.amdhsa_system_vgpr_workitem_id 0
		.amdhsa_next_free_vgpr 1
		.amdhsa_next_free_sgpr 0
		.amdhsa_accum_offset 4
		.amdhsa_reserve_vcc 0
		.amdhsa_reserve_flat_scratch 0
		.amdhsa_float_round_mode_32 0
		.amdhsa_float_round_mode_16_64 0
		.amdhsa_float_denorm_mode_32 3
		.amdhsa_float_denorm_mode_16_64 3
		.amdhsa_dx10_clamp 1
		.amdhsa_ieee_mode 1
		.amdhsa_fp16_overflow 0
		.amdhsa_tg_split 0
		.amdhsa_exception_fp_ieee_invalid_op 0
		.amdhsa_exception_fp_denorm_src 0
		.amdhsa_exception_fp_ieee_div_zero 0
		.amdhsa_exception_fp_ieee_overflow 0
		.amdhsa_exception_fp_ieee_underflow 0
		.amdhsa_exception_fp_ieee_inexact 0
		.amdhsa_exception_int_div_zero 0
	.end_amdhsa_kernel
	.section	.text._ZN7rocprim17ROCPRIM_400000_NS6detail17trampoline_kernelINS0_14default_configENS1_27scan_by_key_config_selectorIiiEEZZNS1_16scan_by_key_implILNS1_25lookback_scan_determinismE0ELb0ES3_N6thrust23THRUST_200600_302600_NS6detail15normal_iteratorINS9_10device_ptrIiEEEESE_SE_iNS9_4plusIvEENS9_8equal_toIvEEiEE10hipError_tPvRmT2_T3_T4_T5_mT6_T7_P12ihipStream_tbENKUlT_T0_E_clISt17integral_constantIbLb1EESZ_EEDaSU_SV_EUlSU_E_NS1_11comp_targetILNS1_3genE10ELNS1_11target_archE1200ELNS1_3gpuE4ELNS1_3repE0EEENS1_30default_config_static_selectorELNS0_4arch9wavefront6targetE1EEEvT1_,"axG",@progbits,_ZN7rocprim17ROCPRIM_400000_NS6detail17trampoline_kernelINS0_14default_configENS1_27scan_by_key_config_selectorIiiEEZZNS1_16scan_by_key_implILNS1_25lookback_scan_determinismE0ELb0ES3_N6thrust23THRUST_200600_302600_NS6detail15normal_iteratorINS9_10device_ptrIiEEEESE_SE_iNS9_4plusIvEENS9_8equal_toIvEEiEE10hipError_tPvRmT2_T3_T4_T5_mT6_T7_P12ihipStream_tbENKUlT_T0_E_clISt17integral_constantIbLb1EESZ_EEDaSU_SV_EUlSU_E_NS1_11comp_targetILNS1_3genE10ELNS1_11target_archE1200ELNS1_3gpuE4ELNS1_3repE0EEENS1_30default_config_static_selectorELNS0_4arch9wavefront6targetE1EEEvT1_,comdat
.Lfunc_end139:
	.size	_ZN7rocprim17ROCPRIM_400000_NS6detail17trampoline_kernelINS0_14default_configENS1_27scan_by_key_config_selectorIiiEEZZNS1_16scan_by_key_implILNS1_25lookback_scan_determinismE0ELb0ES3_N6thrust23THRUST_200600_302600_NS6detail15normal_iteratorINS9_10device_ptrIiEEEESE_SE_iNS9_4plusIvEENS9_8equal_toIvEEiEE10hipError_tPvRmT2_T3_T4_T5_mT6_T7_P12ihipStream_tbENKUlT_T0_E_clISt17integral_constantIbLb1EESZ_EEDaSU_SV_EUlSU_E_NS1_11comp_targetILNS1_3genE10ELNS1_11target_archE1200ELNS1_3gpuE4ELNS1_3repE0EEENS1_30default_config_static_selectorELNS0_4arch9wavefront6targetE1EEEvT1_, .Lfunc_end139-_ZN7rocprim17ROCPRIM_400000_NS6detail17trampoline_kernelINS0_14default_configENS1_27scan_by_key_config_selectorIiiEEZZNS1_16scan_by_key_implILNS1_25lookback_scan_determinismE0ELb0ES3_N6thrust23THRUST_200600_302600_NS6detail15normal_iteratorINS9_10device_ptrIiEEEESE_SE_iNS9_4plusIvEENS9_8equal_toIvEEiEE10hipError_tPvRmT2_T3_T4_T5_mT6_T7_P12ihipStream_tbENKUlT_T0_E_clISt17integral_constantIbLb1EESZ_EEDaSU_SV_EUlSU_E_NS1_11comp_targetILNS1_3genE10ELNS1_11target_archE1200ELNS1_3gpuE4ELNS1_3repE0EEENS1_30default_config_static_selectorELNS0_4arch9wavefront6targetE1EEEvT1_
                                        ; -- End function
	.section	.AMDGPU.csdata,"",@progbits
; Kernel info:
; codeLenInByte = 0
; NumSgprs: 4
; NumVgprs: 0
; NumAgprs: 0
; TotalNumVgprs: 0
; ScratchSize: 0
; MemoryBound: 0
; FloatMode: 240
; IeeeMode: 1
; LDSByteSize: 0 bytes/workgroup (compile time only)
; SGPRBlocks: 0
; VGPRBlocks: 0
; NumSGPRsForWavesPerEU: 4
; NumVGPRsForWavesPerEU: 1
; AccumOffset: 4
; Occupancy: 8
; WaveLimiterHint : 0
; COMPUTE_PGM_RSRC2:SCRATCH_EN: 0
; COMPUTE_PGM_RSRC2:USER_SGPR: 6
; COMPUTE_PGM_RSRC2:TRAP_HANDLER: 0
; COMPUTE_PGM_RSRC2:TGID_X_EN: 1
; COMPUTE_PGM_RSRC2:TGID_Y_EN: 0
; COMPUTE_PGM_RSRC2:TGID_Z_EN: 0
; COMPUTE_PGM_RSRC2:TIDIG_COMP_CNT: 0
; COMPUTE_PGM_RSRC3_GFX90A:ACCUM_OFFSET: 0
; COMPUTE_PGM_RSRC3_GFX90A:TG_SPLIT: 0
	.section	.text._ZN7rocprim17ROCPRIM_400000_NS6detail17trampoline_kernelINS0_14default_configENS1_27scan_by_key_config_selectorIiiEEZZNS1_16scan_by_key_implILNS1_25lookback_scan_determinismE0ELb0ES3_N6thrust23THRUST_200600_302600_NS6detail15normal_iteratorINS9_10device_ptrIiEEEESE_SE_iNS9_4plusIvEENS9_8equal_toIvEEiEE10hipError_tPvRmT2_T3_T4_T5_mT6_T7_P12ihipStream_tbENKUlT_T0_E_clISt17integral_constantIbLb1EESZ_EEDaSU_SV_EUlSU_E_NS1_11comp_targetILNS1_3genE9ELNS1_11target_archE1100ELNS1_3gpuE3ELNS1_3repE0EEENS1_30default_config_static_selectorELNS0_4arch9wavefront6targetE1EEEvT1_,"axG",@progbits,_ZN7rocprim17ROCPRIM_400000_NS6detail17trampoline_kernelINS0_14default_configENS1_27scan_by_key_config_selectorIiiEEZZNS1_16scan_by_key_implILNS1_25lookback_scan_determinismE0ELb0ES3_N6thrust23THRUST_200600_302600_NS6detail15normal_iteratorINS9_10device_ptrIiEEEESE_SE_iNS9_4plusIvEENS9_8equal_toIvEEiEE10hipError_tPvRmT2_T3_T4_T5_mT6_T7_P12ihipStream_tbENKUlT_T0_E_clISt17integral_constantIbLb1EESZ_EEDaSU_SV_EUlSU_E_NS1_11comp_targetILNS1_3genE9ELNS1_11target_archE1100ELNS1_3gpuE3ELNS1_3repE0EEENS1_30default_config_static_selectorELNS0_4arch9wavefront6targetE1EEEvT1_,comdat
	.protected	_ZN7rocprim17ROCPRIM_400000_NS6detail17trampoline_kernelINS0_14default_configENS1_27scan_by_key_config_selectorIiiEEZZNS1_16scan_by_key_implILNS1_25lookback_scan_determinismE0ELb0ES3_N6thrust23THRUST_200600_302600_NS6detail15normal_iteratorINS9_10device_ptrIiEEEESE_SE_iNS9_4plusIvEENS9_8equal_toIvEEiEE10hipError_tPvRmT2_T3_T4_T5_mT6_T7_P12ihipStream_tbENKUlT_T0_E_clISt17integral_constantIbLb1EESZ_EEDaSU_SV_EUlSU_E_NS1_11comp_targetILNS1_3genE9ELNS1_11target_archE1100ELNS1_3gpuE3ELNS1_3repE0EEENS1_30default_config_static_selectorELNS0_4arch9wavefront6targetE1EEEvT1_ ; -- Begin function _ZN7rocprim17ROCPRIM_400000_NS6detail17trampoline_kernelINS0_14default_configENS1_27scan_by_key_config_selectorIiiEEZZNS1_16scan_by_key_implILNS1_25lookback_scan_determinismE0ELb0ES3_N6thrust23THRUST_200600_302600_NS6detail15normal_iteratorINS9_10device_ptrIiEEEESE_SE_iNS9_4plusIvEENS9_8equal_toIvEEiEE10hipError_tPvRmT2_T3_T4_T5_mT6_T7_P12ihipStream_tbENKUlT_T0_E_clISt17integral_constantIbLb1EESZ_EEDaSU_SV_EUlSU_E_NS1_11comp_targetILNS1_3genE9ELNS1_11target_archE1100ELNS1_3gpuE3ELNS1_3repE0EEENS1_30default_config_static_selectorELNS0_4arch9wavefront6targetE1EEEvT1_
	.globl	_ZN7rocprim17ROCPRIM_400000_NS6detail17trampoline_kernelINS0_14default_configENS1_27scan_by_key_config_selectorIiiEEZZNS1_16scan_by_key_implILNS1_25lookback_scan_determinismE0ELb0ES3_N6thrust23THRUST_200600_302600_NS6detail15normal_iteratorINS9_10device_ptrIiEEEESE_SE_iNS9_4plusIvEENS9_8equal_toIvEEiEE10hipError_tPvRmT2_T3_T4_T5_mT6_T7_P12ihipStream_tbENKUlT_T0_E_clISt17integral_constantIbLb1EESZ_EEDaSU_SV_EUlSU_E_NS1_11comp_targetILNS1_3genE9ELNS1_11target_archE1100ELNS1_3gpuE3ELNS1_3repE0EEENS1_30default_config_static_selectorELNS0_4arch9wavefront6targetE1EEEvT1_
	.p2align	8
	.type	_ZN7rocprim17ROCPRIM_400000_NS6detail17trampoline_kernelINS0_14default_configENS1_27scan_by_key_config_selectorIiiEEZZNS1_16scan_by_key_implILNS1_25lookback_scan_determinismE0ELb0ES3_N6thrust23THRUST_200600_302600_NS6detail15normal_iteratorINS9_10device_ptrIiEEEESE_SE_iNS9_4plusIvEENS9_8equal_toIvEEiEE10hipError_tPvRmT2_T3_T4_T5_mT6_T7_P12ihipStream_tbENKUlT_T0_E_clISt17integral_constantIbLb1EESZ_EEDaSU_SV_EUlSU_E_NS1_11comp_targetILNS1_3genE9ELNS1_11target_archE1100ELNS1_3gpuE3ELNS1_3repE0EEENS1_30default_config_static_selectorELNS0_4arch9wavefront6targetE1EEEvT1_,@function
_ZN7rocprim17ROCPRIM_400000_NS6detail17trampoline_kernelINS0_14default_configENS1_27scan_by_key_config_selectorIiiEEZZNS1_16scan_by_key_implILNS1_25lookback_scan_determinismE0ELb0ES3_N6thrust23THRUST_200600_302600_NS6detail15normal_iteratorINS9_10device_ptrIiEEEESE_SE_iNS9_4plusIvEENS9_8equal_toIvEEiEE10hipError_tPvRmT2_T3_T4_T5_mT6_T7_P12ihipStream_tbENKUlT_T0_E_clISt17integral_constantIbLb1EESZ_EEDaSU_SV_EUlSU_E_NS1_11comp_targetILNS1_3genE9ELNS1_11target_archE1100ELNS1_3gpuE3ELNS1_3repE0EEENS1_30default_config_static_selectorELNS0_4arch9wavefront6targetE1EEEvT1_: ; @_ZN7rocprim17ROCPRIM_400000_NS6detail17trampoline_kernelINS0_14default_configENS1_27scan_by_key_config_selectorIiiEEZZNS1_16scan_by_key_implILNS1_25lookback_scan_determinismE0ELb0ES3_N6thrust23THRUST_200600_302600_NS6detail15normal_iteratorINS9_10device_ptrIiEEEESE_SE_iNS9_4plusIvEENS9_8equal_toIvEEiEE10hipError_tPvRmT2_T3_T4_T5_mT6_T7_P12ihipStream_tbENKUlT_T0_E_clISt17integral_constantIbLb1EESZ_EEDaSU_SV_EUlSU_E_NS1_11comp_targetILNS1_3genE9ELNS1_11target_archE1100ELNS1_3gpuE3ELNS1_3repE0EEENS1_30default_config_static_selectorELNS0_4arch9wavefront6targetE1EEEvT1_
; %bb.0:
	.section	.rodata,"a",@progbits
	.p2align	6, 0x0
	.amdhsa_kernel _ZN7rocprim17ROCPRIM_400000_NS6detail17trampoline_kernelINS0_14default_configENS1_27scan_by_key_config_selectorIiiEEZZNS1_16scan_by_key_implILNS1_25lookback_scan_determinismE0ELb0ES3_N6thrust23THRUST_200600_302600_NS6detail15normal_iteratorINS9_10device_ptrIiEEEESE_SE_iNS9_4plusIvEENS9_8equal_toIvEEiEE10hipError_tPvRmT2_T3_T4_T5_mT6_T7_P12ihipStream_tbENKUlT_T0_E_clISt17integral_constantIbLb1EESZ_EEDaSU_SV_EUlSU_E_NS1_11comp_targetILNS1_3genE9ELNS1_11target_archE1100ELNS1_3gpuE3ELNS1_3repE0EEENS1_30default_config_static_selectorELNS0_4arch9wavefront6targetE1EEEvT1_
		.amdhsa_group_segment_fixed_size 0
		.amdhsa_private_segment_fixed_size 0
		.amdhsa_kernarg_size 112
		.amdhsa_user_sgpr_count 6
		.amdhsa_user_sgpr_private_segment_buffer 1
		.amdhsa_user_sgpr_dispatch_ptr 0
		.amdhsa_user_sgpr_queue_ptr 0
		.amdhsa_user_sgpr_kernarg_segment_ptr 1
		.amdhsa_user_sgpr_dispatch_id 0
		.amdhsa_user_sgpr_flat_scratch_init 0
		.amdhsa_user_sgpr_kernarg_preload_length 0
		.amdhsa_user_sgpr_kernarg_preload_offset 0
		.amdhsa_user_sgpr_private_segment_size 0
		.amdhsa_uses_dynamic_stack 0
		.amdhsa_system_sgpr_private_segment_wavefront_offset 0
		.amdhsa_system_sgpr_workgroup_id_x 1
		.amdhsa_system_sgpr_workgroup_id_y 0
		.amdhsa_system_sgpr_workgroup_id_z 0
		.amdhsa_system_sgpr_workgroup_info 0
		.amdhsa_system_vgpr_workitem_id 0
		.amdhsa_next_free_vgpr 1
		.amdhsa_next_free_sgpr 0
		.amdhsa_accum_offset 4
		.amdhsa_reserve_vcc 0
		.amdhsa_reserve_flat_scratch 0
		.amdhsa_float_round_mode_32 0
		.amdhsa_float_round_mode_16_64 0
		.amdhsa_float_denorm_mode_32 3
		.amdhsa_float_denorm_mode_16_64 3
		.amdhsa_dx10_clamp 1
		.amdhsa_ieee_mode 1
		.amdhsa_fp16_overflow 0
		.amdhsa_tg_split 0
		.amdhsa_exception_fp_ieee_invalid_op 0
		.amdhsa_exception_fp_denorm_src 0
		.amdhsa_exception_fp_ieee_div_zero 0
		.amdhsa_exception_fp_ieee_overflow 0
		.amdhsa_exception_fp_ieee_underflow 0
		.amdhsa_exception_fp_ieee_inexact 0
		.amdhsa_exception_int_div_zero 0
	.end_amdhsa_kernel
	.section	.text._ZN7rocprim17ROCPRIM_400000_NS6detail17trampoline_kernelINS0_14default_configENS1_27scan_by_key_config_selectorIiiEEZZNS1_16scan_by_key_implILNS1_25lookback_scan_determinismE0ELb0ES3_N6thrust23THRUST_200600_302600_NS6detail15normal_iteratorINS9_10device_ptrIiEEEESE_SE_iNS9_4plusIvEENS9_8equal_toIvEEiEE10hipError_tPvRmT2_T3_T4_T5_mT6_T7_P12ihipStream_tbENKUlT_T0_E_clISt17integral_constantIbLb1EESZ_EEDaSU_SV_EUlSU_E_NS1_11comp_targetILNS1_3genE9ELNS1_11target_archE1100ELNS1_3gpuE3ELNS1_3repE0EEENS1_30default_config_static_selectorELNS0_4arch9wavefront6targetE1EEEvT1_,"axG",@progbits,_ZN7rocprim17ROCPRIM_400000_NS6detail17trampoline_kernelINS0_14default_configENS1_27scan_by_key_config_selectorIiiEEZZNS1_16scan_by_key_implILNS1_25lookback_scan_determinismE0ELb0ES3_N6thrust23THRUST_200600_302600_NS6detail15normal_iteratorINS9_10device_ptrIiEEEESE_SE_iNS9_4plusIvEENS9_8equal_toIvEEiEE10hipError_tPvRmT2_T3_T4_T5_mT6_T7_P12ihipStream_tbENKUlT_T0_E_clISt17integral_constantIbLb1EESZ_EEDaSU_SV_EUlSU_E_NS1_11comp_targetILNS1_3genE9ELNS1_11target_archE1100ELNS1_3gpuE3ELNS1_3repE0EEENS1_30default_config_static_selectorELNS0_4arch9wavefront6targetE1EEEvT1_,comdat
.Lfunc_end140:
	.size	_ZN7rocprim17ROCPRIM_400000_NS6detail17trampoline_kernelINS0_14default_configENS1_27scan_by_key_config_selectorIiiEEZZNS1_16scan_by_key_implILNS1_25lookback_scan_determinismE0ELb0ES3_N6thrust23THRUST_200600_302600_NS6detail15normal_iteratorINS9_10device_ptrIiEEEESE_SE_iNS9_4plusIvEENS9_8equal_toIvEEiEE10hipError_tPvRmT2_T3_T4_T5_mT6_T7_P12ihipStream_tbENKUlT_T0_E_clISt17integral_constantIbLb1EESZ_EEDaSU_SV_EUlSU_E_NS1_11comp_targetILNS1_3genE9ELNS1_11target_archE1100ELNS1_3gpuE3ELNS1_3repE0EEENS1_30default_config_static_selectorELNS0_4arch9wavefront6targetE1EEEvT1_, .Lfunc_end140-_ZN7rocprim17ROCPRIM_400000_NS6detail17trampoline_kernelINS0_14default_configENS1_27scan_by_key_config_selectorIiiEEZZNS1_16scan_by_key_implILNS1_25lookback_scan_determinismE0ELb0ES3_N6thrust23THRUST_200600_302600_NS6detail15normal_iteratorINS9_10device_ptrIiEEEESE_SE_iNS9_4plusIvEENS9_8equal_toIvEEiEE10hipError_tPvRmT2_T3_T4_T5_mT6_T7_P12ihipStream_tbENKUlT_T0_E_clISt17integral_constantIbLb1EESZ_EEDaSU_SV_EUlSU_E_NS1_11comp_targetILNS1_3genE9ELNS1_11target_archE1100ELNS1_3gpuE3ELNS1_3repE0EEENS1_30default_config_static_selectorELNS0_4arch9wavefront6targetE1EEEvT1_
                                        ; -- End function
	.section	.AMDGPU.csdata,"",@progbits
; Kernel info:
; codeLenInByte = 0
; NumSgprs: 4
; NumVgprs: 0
; NumAgprs: 0
; TotalNumVgprs: 0
; ScratchSize: 0
; MemoryBound: 0
; FloatMode: 240
; IeeeMode: 1
; LDSByteSize: 0 bytes/workgroup (compile time only)
; SGPRBlocks: 0
; VGPRBlocks: 0
; NumSGPRsForWavesPerEU: 4
; NumVGPRsForWavesPerEU: 1
; AccumOffset: 4
; Occupancy: 8
; WaveLimiterHint : 0
; COMPUTE_PGM_RSRC2:SCRATCH_EN: 0
; COMPUTE_PGM_RSRC2:USER_SGPR: 6
; COMPUTE_PGM_RSRC2:TRAP_HANDLER: 0
; COMPUTE_PGM_RSRC2:TGID_X_EN: 1
; COMPUTE_PGM_RSRC2:TGID_Y_EN: 0
; COMPUTE_PGM_RSRC2:TGID_Z_EN: 0
; COMPUTE_PGM_RSRC2:TIDIG_COMP_CNT: 0
; COMPUTE_PGM_RSRC3_GFX90A:ACCUM_OFFSET: 0
; COMPUTE_PGM_RSRC3_GFX90A:TG_SPLIT: 0
	.section	.text._ZN7rocprim17ROCPRIM_400000_NS6detail17trampoline_kernelINS0_14default_configENS1_27scan_by_key_config_selectorIiiEEZZNS1_16scan_by_key_implILNS1_25lookback_scan_determinismE0ELb0ES3_N6thrust23THRUST_200600_302600_NS6detail15normal_iteratorINS9_10device_ptrIiEEEESE_SE_iNS9_4plusIvEENS9_8equal_toIvEEiEE10hipError_tPvRmT2_T3_T4_T5_mT6_T7_P12ihipStream_tbENKUlT_T0_E_clISt17integral_constantIbLb1EESZ_EEDaSU_SV_EUlSU_E_NS1_11comp_targetILNS1_3genE8ELNS1_11target_archE1030ELNS1_3gpuE2ELNS1_3repE0EEENS1_30default_config_static_selectorELNS0_4arch9wavefront6targetE1EEEvT1_,"axG",@progbits,_ZN7rocprim17ROCPRIM_400000_NS6detail17trampoline_kernelINS0_14default_configENS1_27scan_by_key_config_selectorIiiEEZZNS1_16scan_by_key_implILNS1_25lookback_scan_determinismE0ELb0ES3_N6thrust23THRUST_200600_302600_NS6detail15normal_iteratorINS9_10device_ptrIiEEEESE_SE_iNS9_4plusIvEENS9_8equal_toIvEEiEE10hipError_tPvRmT2_T3_T4_T5_mT6_T7_P12ihipStream_tbENKUlT_T0_E_clISt17integral_constantIbLb1EESZ_EEDaSU_SV_EUlSU_E_NS1_11comp_targetILNS1_3genE8ELNS1_11target_archE1030ELNS1_3gpuE2ELNS1_3repE0EEENS1_30default_config_static_selectorELNS0_4arch9wavefront6targetE1EEEvT1_,comdat
	.protected	_ZN7rocprim17ROCPRIM_400000_NS6detail17trampoline_kernelINS0_14default_configENS1_27scan_by_key_config_selectorIiiEEZZNS1_16scan_by_key_implILNS1_25lookback_scan_determinismE0ELb0ES3_N6thrust23THRUST_200600_302600_NS6detail15normal_iteratorINS9_10device_ptrIiEEEESE_SE_iNS9_4plusIvEENS9_8equal_toIvEEiEE10hipError_tPvRmT2_T3_T4_T5_mT6_T7_P12ihipStream_tbENKUlT_T0_E_clISt17integral_constantIbLb1EESZ_EEDaSU_SV_EUlSU_E_NS1_11comp_targetILNS1_3genE8ELNS1_11target_archE1030ELNS1_3gpuE2ELNS1_3repE0EEENS1_30default_config_static_selectorELNS0_4arch9wavefront6targetE1EEEvT1_ ; -- Begin function _ZN7rocprim17ROCPRIM_400000_NS6detail17trampoline_kernelINS0_14default_configENS1_27scan_by_key_config_selectorIiiEEZZNS1_16scan_by_key_implILNS1_25lookback_scan_determinismE0ELb0ES3_N6thrust23THRUST_200600_302600_NS6detail15normal_iteratorINS9_10device_ptrIiEEEESE_SE_iNS9_4plusIvEENS9_8equal_toIvEEiEE10hipError_tPvRmT2_T3_T4_T5_mT6_T7_P12ihipStream_tbENKUlT_T0_E_clISt17integral_constantIbLb1EESZ_EEDaSU_SV_EUlSU_E_NS1_11comp_targetILNS1_3genE8ELNS1_11target_archE1030ELNS1_3gpuE2ELNS1_3repE0EEENS1_30default_config_static_selectorELNS0_4arch9wavefront6targetE1EEEvT1_
	.globl	_ZN7rocprim17ROCPRIM_400000_NS6detail17trampoline_kernelINS0_14default_configENS1_27scan_by_key_config_selectorIiiEEZZNS1_16scan_by_key_implILNS1_25lookback_scan_determinismE0ELb0ES3_N6thrust23THRUST_200600_302600_NS6detail15normal_iteratorINS9_10device_ptrIiEEEESE_SE_iNS9_4plusIvEENS9_8equal_toIvEEiEE10hipError_tPvRmT2_T3_T4_T5_mT6_T7_P12ihipStream_tbENKUlT_T0_E_clISt17integral_constantIbLb1EESZ_EEDaSU_SV_EUlSU_E_NS1_11comp_targetILNS1_3genE8ELNS1_11target_archE1030ELNS1_3gpuE2ELNS1_3repE0EEENS1_30default_config_static_selectorELNS0_4arch9wavefront6targetE1EEEvT1_
	.p2align	8
	.type	_ZN7rocprim17ROCPRIM_400000_NS6detail17trampoline_kernelINS0_14default_configENS1_27scan_by_key_config_selectorIiiEEZZNS1_16scan_by_key_implILNS1_25lookback_scan_determinismE0ELb0ES3_N6thrust23THRUST_200600_302600_NS6detail15normal_iteratorINS9_10device_ptrIiEEEESE_SE_iNS9_4plusIvEENS9_8equal_toIvEEiEE10hipError_tPvRmT2_T3_T4_T5_mT6_T7_P12ihipStream_tbENKUlT_T0_E_clISt17integral_constantIbLb1EESZ_EEDaSU_SV_EUlSU_E_NS1_11comp_targetILNS1_3genE8ELNS1_11target_archE1030ELNS1_3gpuE2ELNS1_3repE0EEENS1_30default_config_static_selectorELNS0_4arch9wavefront6targetE1EEEvT1_,@function
_ZN7rocprim17ROCPRIM_400000_NS6detail17trampoline_kernelINS0_14default_configENS1_27scan_by_key_config_selectorIiiEEZZNS1_16scan_by_key_implILNS1_25lookback_scan_determinismE0ELb0ES3_N6thrust23THRUST_200600_302600_NS6detail15normal_iteratorINS9_10device_ptrIiEEEESE_SE_iNS9_4plusIvEENS9_8equal_toIvEEiEE10hipError_tPvRmT2_T3_T4_T5_mT6_T7_P12ihipStream_tbENKUlT_T0_E_clISt17integral_constantIbLb1EESZ_EEDaSU_SV_EUlSU_E_NS1_11comp_targetILNS1_3genE8ELNS1_11target_archE1030ELNS1_3gpuE2ELNS1_3repE0EEENS1_30default_config_static_selectorELNS0_4arch9wavefront6targetE1EEEvT1_: ; @_ZN7rocprim17ROCPRIM_400000_NS6detail17trampoline_kernelINS0_14default_configENS1_27scan_by_key_config_selectorIiiEEZZNS1_16scan_by_key_implILNS1_25lookback_scan_determinismE0ELb0ES3_N6thrust23THRUST_200600_302600_NS6detail15normal_iteratorINS9_10device_ptrIiEEEESE_SE_iNS9_4plusIvEENS9_8equal_toIvEEiEE10hipError_tPvRmT2_T3_T4_T5_mT6_T7_P12ihipStream_tbENKUlT_T0_E_clISt17integral_constantIbLb1EESZ_EEDaSU_SV_EUlSU_E_NS1_11comp_targetILNS1_3genE8ELNS1_11target_archE1030ELNS1_3gpuE2ELNS1_3repE0EEENS1_30default_config_static_selectorELNS0_4arch9wavefront6targetE1EEEvT1_
; %bb.0:
	.section	.rodata,"a",@progbits
	.p2align	6, 0x0
	.amdhsa_kernel _ZN7rocprim17ROCPRIM_400000_NS6detail17trampoline_kernelINS0_14default_configENS1_27scan_by_key_config_selectorIiiEEZZNS1_16scan_by_key_implILNS1_25lookback_scan_determinismE0ELb0ES3_N6thrust23THRUST_200600_302600_NS6detail15normal_iteratorINS9_10device_ptrIiEEEESE_SE_iNS9_4plusIvEENS9_8equal_toIvEEiEE10hipError_tPvRmT2_T3_T4_T5_mT6_T7_P12ihipStream_tbENKUlT_T0_E_clISt17integral_constantIbLb1EESZ_EEDaSU_SV_EUlSU_E_NS1_11comp_targetILNS1_3genE8ELNS1_11target_archE1030ELNS1_3gpuE2ELNS1_3repE0EEENS1_30default_config_static_selectorELNS0_4arch9wavefront6targetE1EEEvT1_
		.amdhsa_group_segment_fixed_size 0
		.amdhsa_private_segment_fixed_size 0
		.amdhsa_kernarg_size 112
		.amdhsa_user_sgpr_count 6
		.amdhsa_user_sgpr_private_segment_buffer 1
		.amdhsa_user_sgpr_dispatch_ptr 0
		.amdhsa_user_sgpr_queue_ptr 0
		.amdhsa_user_sgpr_kernarg_segment_ptr 1
		.amdhsa_user_sgpr_dispatch_id 0
		.amdhsa_user_sgpr_flat_scratch_init 0
		.amdhsa_user_sgpr_kernarg_preload_length 0
		.amdhsa_user_sgpr_kernarg_preload_offset 0
		.amdhsa_user_sgpr_private_segment_size 0
		.amdhsa_uses_dynamic_stack 0
		.amdhsa_system_sgpr_private_segment_wavefront_offset 0
		.amdhsa_system_sgpr_workgroup_id_x 1
		.amdhsa_system_sgpr_workgroup_id_y 0
		.amdhsa_system_sgpr_workgroup_id_z 0
		.amdhsa_system_sgpr_workgroup_info 0
		.amdhsa_system_vgpr_workitem_id 0
		.amdhsa_next_free_vgpr 1
		.amdhsa_next_free_sgpr 0
		.amdhsa_accum_offset 4
		.amdhsa_reserve_vcc 0
		.amdhsa_reserve_flat_scratch 0
		.amdhsa_float_round_mode_32 0
		.amdhsa_float_round_mode_16_64 0
		.amdhsa_float_denorm_mode_32 3
		.amdhsa_float_denorm_mode_16_64 3
		.amdhsa_dx10_clamp 1
		.amdhsa_ieee_mode 1
		.amdhsa_fp16_overflow 0
		.amdhsa_tg_split 0
		.amdhsa_exception_fp_ieee_invalid_op 0
		.amdhsa_exception_fp_denorm_src 0
		.amdhsa_exception_fp_ieee_div_zero 0
		.amdhsa_exception_fp_ieee_overflow 0
		.amdhsa_exception_fp_ieee_underflow 0
		.amdhsa_exception_fp_ieee_inexact 0
		.amdhsa_exception_int_div_zero 0
	.end_amdhsa_kernel
	.section	.text._ZN7rocprim17ROCPRIM_400000_NS6detail17trampoline_kernelINS0_14default_configENS1_27scan_by_key_config_selectorIiiEEZZNS1_16scan_by_key_implILNS1_25lookback_scan_determinismE0ELb0ES3_N6thrust23THRUST_200600_302600_NS6detail15normal_iteratorINS9_10device_ptrIiEEEESE_SE_iNS9_4plusIvEENS9_8equal_toIvEEiEE10hipError_tPvRmT2_T3_T4_T5_mT6_T7_P12ihipStream_tbENKUlT_T0_E_clISt17integral_constantIbLb1EESZ_EEDaSU_SV_EUlSU_E_NS1_11comp_targetILNS1_3genE8ELNS1_11target_archE1030ELNS1_3gpuE2ELNS1_3repE0EEENS1_30default_config_static_selectorELNS0_4arch9wavefront6targetE1EEEvT1_,"axG",@progbits,_ZN7rocprim17ROCPRIM_400000_NS6detail17trampoline_kernelINS0_14default_configENS1_27scan_by_key_config_selectorIiiEEZZNS1_16scan_by_key_implILNS1_25lookback_scan_determinismE0ELb0ES3_N6thrust23THRUST_200600_302600_NS6detail15normal_iteratorINS9_10device_ptrIiEEEESE_SE_iNS9_4plusIvEENS9_8equal_toIvEEiEE10hipError_tPvRmT2_T3_T4_T5_mT6_T7_P12ihipStream_tbENKUlT_T0_E_clISt17integral_constantIbLb1EESZ_EEDaSU_SV_EUlSU_E_NS1_11comp_targetILNS1_3genE8ELNS1_11target_archE1030ELNS1_3gpuE2ELNS1_3repE0EEENS1_30default_config_static_selectorELNS0_4arch9wavefront6targetE1EEEvT1_,comdat
.Lfunc_end141:
	.size	_ZN7rocprim17ROCPRIM_400000_NS6detail17trampoline_kernelINS0_14default_configENS1_27scan_by_key_config_selectorIiiEEZZNS1_16scan_by_key_implILNS1_25lookback_scan_determinismE0ELb0ES3_N6thrust23THRUST_200600_302600_NS6detail15normal_iteratorINS9_10device_ptrIiEEEESE_SE_iNS9_4plusIvEENS9_8equal_toIvEEiEE10hipError_tPvRmT2_T3_T4_T5_mT6_T7_P12ihipStream_tbENKUlT_T0_E_clISt17integral_constantIbLb1EESZ_EEDaSU_SV_EUlSU_E_NS1_11comp_targetILNS1_3genE8ELNS1_11target_archE1030ELNS1_3gpuE2ELNS1_3repE0EEENS1_30default_config_static_selectorELNS0_4arch9wavefront6targetE1EEEvT1_, .Lfunc_end141-_ZN7rocprim17ROCPRIM_400000_NS6detail17trampoline_kernelINS0_14default_configENS1_27scan_by_key_config_selectorIiiEEZZNS1_16scan_by_key_implILNS1_25lookback_scan_determinismE0ELb0ES3_N6thrust23THRUST_200600_302600_NS6detail15normal_iteratorINS9_10device_ptrIiEEEESE_SE_iNS9_4plusIvEENS9_8equal_toIvEEiEE10hipError_tPvRmT2_T3_T4_T5_mT6_T7_P12ihipStream_tbENKUlT_T0_E_clISt17integral_constantIbLb1EESZ_EEDaSU_SV_EUlSU_E_NS1_11comp_targetILNS1_3genE8ELNS1_11target_archE1030ELNS1_3gpuE2ELNS1_3repE0EEENS1_30default_config_static_selectorELNS0_4arch9wavefront6targetE1EEEvT1_
                                        ; -- End function
	.section	.AMDGPU.csdata,"",@progbits
; Kernel info:
; codeLenInByte = 0
; NumSgprs: 4
; NumVgprs: 0
; NumAgprs: 0
; TotalNumVgprs: 0
; ScratchSize: 0
; MemoryBound: 0
; FloatMode: 240
; IeeeMode: 1
; LDSByteSize: 0 bytes/workgroup (compile time only)
; SGPRBlocks: 0
; VGPRBlocks: 0
; NumSGPRsForWavesPerEU: 4
; NumVGPRsForWavesPerEU: 1
; AccumOffset: 4
; Occupancy: 8
; WaveLimiterHint : 0
; COMPUTE_PGM_RSRC2:SCRATCH_EN: 0
; COMPUTE_PGM_RSRC2:USER_SGPR: 6
; COMPUTE_PGM_RSRC2:TRAP_HANDLER: 0
; COMPUTE_PGM_RSRC2:TGID_X_EN: 1
; COMPUTE_PGM_RSRC2:TGID_Y_EN: 0
; COMPUTE_PGM_RSRC2:TGID_Z_EN: 0
; COMPUTE_PGM_RSRC2:TIDIG_COMP_CNT: 0
; COMPUTE_PGM_RSRC3_GFX90A:ACCUM_OFFSET: 0
; COMPUTE_PGM_RSRC3_GFX90A:TG_SPLIT: 0
	.section	.text._ZN7rocprim17ROCPRIM_400000_NS6detail30init_device_scan_by_key_kernelINS1_19lookback_scan_stateINS0_5tupleIJibEEELb1ELb1EEEN6thrust23THRUST_200600_302600_NS6detail15normal_iteratorINS8_10device_ptrIiEEEEjNS1_16block_id_wrapperIjLb0EEEEEvT_jjPNSG_10value_typeET0_PNSt15iterator_traitsISJ_E10value_typeEmT1_T2_,"axG",@progbits,_ZN7rocprim17ROCPRIM_400000_NS6detail30init_device_scan_by_key_kernelINS1_19lookback_scan_stateINS0_5tupleIJibEEELb1ELb1EEEN6thrust23THRUST_200600_302600_NS6detail15normal_iteratorINS8_10device_ptrIiEEEEjNS1_16block_id_wrapperIjLb0EEEEEvT_jjPNSG_10value_typeET0_PNSt15iterator_traitsISJ_E10value_typeEmT1_T2_,comdat
	.protected	_ZN7rocprim17ROCPRIM_400000_NS6detail30init_device_scan_by_key_kernelINS1_19lookback_scan_stateINS0_5tupleIJibEEELb1ELb1EEEN6thrust23THRUST_200600_302600_NS6detail15normal_iteratorINS8_10device_ptrIiEEEEjNS1_16block_id_wrapperIjLb0EEEEEvT_jjPNSG_10value_typeET0_PNSt15iterator_traitsISJ_E10value_typeEmT1_T2_ ; -- Begin function _ZN7rocprim17ROCPRIM_400000_NS6detail30init_device_scan_by_key_kernelINS1_19lookback_scan_stateINS0_5tupleIJibEEELb1ELb1EEEN6thrust23THRUST_200600_302600_NS6detail15normal_iteratorINS8_10device_ptrIiEEEEjNS1_16block_id_wrapperIjLb0EEEEEvT_jjPNSG_10value_typeET0_PNSt15iterator_traitsISJ_E10value_typeEmT1_T2_
	.globl	_ZN7rocprim17ROCPRIM_400000_NS6detail30init_device_scan_by_key_kernelINS1_19lookback_scan_stateINS0_5tupleIJibEEELb1ELb1EEEN6thrust23THRUST_200600_302600_NS6detail15normal_iteratorINS8_10device_ptrIiEEEEjNS1_16block_id_wrapperIjLb0EEEEEvT_jjPNSG_10value_typeET0_PNSt15iterator_traitsISJ_E10value_typeEmT1_T2_
	.p2align	8
	.type	_ZN7rocprim17ROCPRIM_400000_NS6detail30init_device_scan_by_key_kernelINS1_19lookback_scan_stateINS0_5tupleIJibEEELb1ELb1EEEN6thrust23THRUST_200600_302600_NS6detail15normal_iteratorINS8_10device_ptrIiEEEEjNS1_16block_id_wrapperIjLb0EEEEEvT_jjPNSG_10value_typeET0_PNSt15iterator_traitsISJ_E10value_typeEmT1_T2_,@function
_ZN7rocprim17ROCPRIM_400000_NS6detail30init_device_scan_by_key_kernelINS1_19lookback_scan_stateINS0_5tupleIJibEEELb1ELb1EEEN6thrust23THRUST_200600_302600_NS6detail15normal_iteratorINS8_10device_ptrIiEEEEjNS1_16block_id_wrapperIjLb0EEEEEvT_jjPNSG_10value_typeET0_PNSt15iterator_traitsISJ_E10value_typeEmT1_T2_: ; @_ZN7rocprim17ROCPRIM_400000_NS6detail30init_device_scan_by_key_kernelINS1_19lookback_scan_stateINS0_5tupleIJibEEELb1ELb1EEEN6thrust23THRUST_200600_302600_NS6detail15normal_iteratorINS8_10device_ptrIiEEEEjNS1_16block_id_wrapperIjLb0EEEEEvT_jjPNSG_10value_typeET0_PNSt15iterator_traitsISJ_E10value_typeEmT1_T2_
; %bb.0:
	s_load_dword s0, s[4:5], 0x44
	s_load_dwordx8 s[8:15], s[4:5], 0x0
	s_load_dword s18, s[4:5], 0x38
	s_waitcnt lgkmcnt(0)
	s_and_b32 s19, s0, 0xffff
	s_mul_i32 s6, s6, s19
	s_cmp_eq_u64 s[12:13], 0
	v_add_u32_e32 v4, s6, v0
	s_cbranch_scc1 .LBB142_10
; %bb.1:
	s_cmp_lt_u32 s11, s10
	s_cselect_b32 s0, s11, 0
	s_mov_b32 s3, 0
	v_cmp_eq_u32_e32 vcc, s0, v4
	s_and_saveexec_b64 s[0:1], vcc
	s_cbranch_execz .LBB142_9
; %bb.2:
	s_add_i32 s2, s11, 64
	s_lshl_b64 s[2:3], s[2:3], 4
	s_add_u32 s16, s8, s2
	s_addc_u32 s17, s9, s3
	v_pk_mov_b32 v[0:1], s[16:17], s[16:17] op_sel:[0,1]
	;;#ASMSTART
	global_load_dwordx4 v[0:3], v[0:1] off glc	
s_waitcnt vmcnt(0)
	;;#ASMEND
	v_mov_b32_e32 v7, 0
	v_and_b32_e32 v6, 0xff, v2
	s_mov_b64 s[6:7], 0
	v_cmp_eq_u64_e32 vcc, 0, v[6:7]
	s_and_saveexec_b64 s[2:3], vcc
	s_cbranch_execz .LBB142_8
; %bb.3:
	s_mov_b32 s11, 1
	v_pk_mov_b32 v[8:9], s[16:17], s[16:17] op_sel:[0,1]
.LBB142_4:                              ; =>This Loop Header: Depth=1
                                        ;     Child Loop BB142_5 Depth 2
	s_max_u32 s16, s11, 1
.LBB142_5:                              ;   Parent Loop BB142_4 Depth=1
                                        ; =>  This Inner Loop Header: Depth=2
	s_add_i32 s16, s16, -1
	s_cmp_eq_u32 s16, 0
	s_sleep 1
	s_cbranch_scc0 .LBB142_5
; %bb.6:                                ;   in Loop: Header=BB142_4 Depth=1
	s_cmp_lt_u32 s11, 32
	s_cselect_b64 s[16:17], -1, 0
	s_cmp_lg_u64 s[16:17], 0
	;;#ASMSTART
	global_load_dwordx4 v[0:3], v[8:9] off glc	
s_waitcnt vmcnt(0)
	;;#ASMEND
	v_and_b32_e32 v6, 0xff, v2
	s_addc_u32 s11, s11, 0
	v_cmp_ne_u64_e32 vcc, 0, v[6:7]
	s_or_b64 s[6:7], vcc, s[6:7]
	s_andn2_b64 exec, exec, s[6:7]
	s_cbranch_execnz .LBB142_4
; %bb.7:
	s_or_b64 exec, exec, s[6:7]
.LBB142_8:
	s_or_b64 exec, exec, s[2:3]
	v_mov_b32_e32 v2, 0
	global_store_dword v2, v0, s[12:13]
	global_store_byte v2, v1, s[12:13] offset:4
.LBB142_9:
	s_or_b64 exec, exec, s[0:1]
.LBB142_10:
	v_cmp_gt_u32_e32 vcc, s10, v4
	s_and_saveexec_b64 s[0:1], vcc
	s_cbranch_execz .LBB142_12
; %bb.11:
	v_add_u32_e32 v0, 64, v4
	v_mov_b32_e32 v1, 0
	v_lshlrev_b64 v[2:3], 4, v[0:1]
	v_mov_b32_e32 v0, s9
	v_add_co_u32_e32 v6, vcc, s8, v2
	v_addc_co_u32_e32 v7, vcc, v0, v3, vcc
	v_mov_b32_e32 v0, v1
	v_mov_b32_e32 v2, v1
	;; [unrolled: 1-line block ×3, first 2 shown]
	global_store_dwordx4 v[6:7], v[0:3], off
.LBB142_12:
	s_or_b64 exec, exec, s[0:1]
	v_cmp_gt_u32_e32 vcc, 64, v4
	v_mov_b32_e32 v5, 0
	s_and_saveexec_b64 s[0:1], vcc
	s_cbranch_execz .LBB142_14
; %bb.13:
	v_lshlrev_b64 v[0:1], 4, v[4:5]
	v_mov_b32_e32 v2, s9
	v_add_co_u32_e32 v6, vcc, s8, v0
	v_addc_co_u32_e32 v7, vcc, v2, v1, vcc
	v_mov_b32_e32 v2, 0xff
	v_mov_b32_e32 v0, v5
	;; [unrolled: 1-line block ×4, first 2 shown]
	global_store_dwordx4 v[6:7], v[0:3], off
.LBB142_14:
	s_or_b64 exec, exec, s[0:1]
	s_load_dwordx2 s[0:1], s[4:5], 0x28
	s_waitcnt lgkmcnt(0)
	v_cmp_gt_u64_e32 vcc, s[0:1], v[4:5]
	s_and_saveexec_b64 s[2:3], vcc
	s_cbranch_execz .LBB142_17
; %bb.15:
	s_load_dword s10, s[4:5], 0x30
	s_load_dwordx2 s[6:7], s[4:5], 0x20
	s_mov_b32 s5, 0
	s_mov_b32 s3, s5
	s_mul_i32 s2, s18, s19
	s_waitcnt lgkmcnt(0)
	s_add_i32 s4, s10, -1
	s_lshl_b64 s[4:5], s[4:5], 2
	v_mad_u64_u32 v[0:1], s[8:9], s10, v4, 0
	s_add_u32 s4, s14, s4
	v_lshlrev_b64 v[0:1], 2, v[0:1]
	s_addc_u32 s5, s15, s5
	v_mov_b32_e32 v2, s5
	v_add_co_u32_e32 v0, vcc, s4, v0
	v_addc_co_u32_e32 v1, vcc, v2, v1, vcc
	s_mul_hi_u32 s5, s10, s2
	s_mul_i32 s4, s10, s2
	v_lshlrev_b64 v[2:3], 2, v[4:5]
	s_lshl_b64 s[4:5], s[4:5], 2
	v_mov_b32_e32 v6, s7
	v_add_co_u32_e32 v2, vcc, s6, v2
	s_lshl_b64 s[6:7], s[2:3], 2
	v_addc_co_u32_e32 v3, vcc, v6, v3, vcc
	s_mov_b64 s[8:9], 0
	v_mov_b32_e32 v6, s3
	v_mov_b32_e32 v7, s5
	;; [unrolled: 1-line block ×3, first 2 shown]
.LBB142_16:                             ; =>This Inner Loop Header: Depth=1
	global_load_dword v9, v[0:1], off
	v_add_co_u32_e32 v4, vcc, s2, v4
	v_addc_co_u32_e32 v5, vcc, v5, v6, vcc
	v_add_co_u32_e32 v0, vcc, s4, v0
	v_addc_co_u32_e32 v1, vcc, v1, v7, vcc
	v_cmp_le_u64_e32 vcc, s[0:1], v[4:5]
	s_or_b64 s[8:9], vcc, s[8:9]
	s_waitcnt vmcnt(0)
	global_store_dword v[2:3], v9, off
	v_add_co_u32_e32 v2, vcc, s6, v2
	v_addc_co_u32_e32 v3, vcc, v3, v8, vcc
	s_andn2_b64 exec, exec, s[8:9]
	s_cbranch_execnz .LBB142_16
.LBB142_17:
	s_endpgm
	.section	.rodata,"a",@progbits
	.p2align	6, 0x0
	.amdhsa_kernel _ZN7rocprim17ROCPRIM_400000_NS6detail30init_device_scan_by_key_kernelINS1_19lookback_scan_stateINS0_5tupleIJibEEELb1ELb1EEEN6thrust23THRUST_200600_302600_NS6detail15normal_iteratorINS8_10device_ptrIiEEEEjNS1_16block_id_wrapperIjLb0EEEEEvT_jjPNSG_10value_typeET0_PNSt15iterator_traitsISJ_E10value_typeEmT1_T2_
		.amdhsa_group_segment_fixed_size 0
		.amdhsa_private_segment_fixed_size 0
		.amdhsa_kernarg_size 312
		.amdhsa_user_sgpr_count 6
		.amdhsa_user_sgpr_private_segment_buffer 1
		.amdhsa_user_sgpr_dispatch_ptr 0
		.amdhsa_user_sgpr_queue_ptr 0
		.amdhsa_user_sgpr_kernarg_segment_ptr 1
		.amdhsa_user_sgpr_dispatch_id 0
		.amdhsa_user_sgpr_flat_scratch_init 0
		.amdhsa_user_sgpr_kernarg_preload_length 0
		.amdhsa_user_sgpr_kernarg_preload_offset 0
		.amdhsa_user_sgpr_private_segment_size 0
		.amdhsa_uses_dynamic_stack 0
		.amdhsa_system_sgpr_private_segment_wavefront_offset 0
		.amdhsa_system_sgpr_workgroup_id_x 1
		.amdhsa_system_sgpr_workgroup_id_y 0
		.amdhsa_system_sgpr_workgroup_id_z 0
		.amdhsa_system_sgpr_workgroup_info 0
		.amdhsa_system_vgpr_workitem_id 0
		.amdhsa_next_free_vgpr 10
		.amdhsa_next_free_sgpr 20
		.amdhsa_accum_offset 12
		.amdhsa_reserve_vcc 1
		.amdhsa_reserve_flat_scratch 0
		.amdhsa_float_round_mode_32 0
		.amdhsa_float_round_mode_16_64 0
		.amdhsa_float_denorm_mode_32 3
		.amdhsa_float_denorm_mode_16_64 3
		.amdhsa_dx10_clamp 1
		.amdhsa_ieee_mode 1
		.amdhsa_fp16_overflow 0
		.amdhsa_tg_split 0
		.amdhsa_exception_fp_ieee_invalid_op 0
		.amdhsa_exception_fp_denorm_src 0
		.amdhsa_exception_fp_ieee_div_zero 0
		.amdhsa_exception_fp_ieee_overflow 0
		.amdhsa_exception_fp_ieee_underflow 0
		.amdhsa_exception_fp_ieee_inexact 0
		.amdhsa_exception_int_div_zero 0
	.end_amdhsa_kernel
	.section	.text._ZN7rocprim17ROCPRIM_400000_NS6detail30init_device_scan_by_key_kernelINS1_19lookback_scan_stateINS0_5tupleIJibEEELb1ELb1EEEN6thrust23THRUST_200600_302600_NS6detail15normal_iteratorINS8_10device_ptrIiEEEEjNS1_16block_id_wrapperIjLb0EEEEEvT_jjPNSG_10value_typeET0_PNSt15iterator_traitsISJ_E10value_typeEmT1_T2_,"axG",@progbits,_ZN7rocprim17ROCPRIM_400000_NS6detail30init_device_scan_by_key_kernelINS1_19lookback_scan_stateINS0_5tupleIJibEEELb1ELb1EEEN6thrust23THRUST_200600_302600_NS6detail15normal_iteratorINS8_10device_ptrIiEEEEjNS1_16block_id_wrapperIjLb0EEEEEvT_jjPNSG_10value_typeET0_PNSt15iterator_traitsISJ_E10value_typeEmT1_T2_,comdat
.Lfunc_end142:
	.size	_ZN7rocprim17ROCPRIM_400000_NS6detail30init_device_scan_by_key_kernelINS1_19lookback_scan_stateINS0_5tupleIJibEEELb1ELb1EEEN6thrust23THRUST_200600_302600_NS6detail15normal_iteratorINS8_10device_ptrIiEEEEjNS1_16block_id_wrapperIjLb0EEEEEvT_jjPNSG_10value_typeET0_PNSt15iterator_traitsISJ_E10value_typeEmT1_T2_, .Lfunc_end142-_ZN7rocprim17ROCPRIM_400000_NS6detail30init_device_scan_by_key_kernelINS1_19lookback_scan_stateINS0_5tupleIJibEEELb1ELb1EEEN6thrust23THRUST_200600_302600_NS6detail15normal_iteratorINS8_10device_ptrIiEEEEjNS1_16block_id_wrapperIjLb0EEEEEvT_jjPNSG_10value_typeET0_PNSt15iterator_traitsISJ_E10value_typeEmT1_T2_
                                        ; -- End function
	.section	.AMDGPU.csdata,"",@progbits
; Kernel info:
; codeLenInByte = 612
; NumSgprs: 24
; NumVgprs: 10
; NumAgprs: 0
; TotalNumVgprs: 10
; ScratchSize: 0
; MemoryBound: 0
; FloatMode: 240
; IeeeMode: 1
; LDSByteSize: 0 bytes/workgroup (compile time only)
; SGPRBlocks: 2
; VGPRBlocks: 1
; NumSGPRsForWavesPerEU: 24
; NumVGPRsForWavesPerEU: 10
; AccumOffset: 12
; Occupancy: 8
; WaveLimiterHint : 0
; COMPUTE_PGM_RSRC2:SCRATCH_EN: 0
; COMPUTE_PGM_RSRC2:USER_SGPR: 6
; COMPUTE_PGM_RSRC2:TRAP_HANDLER: 0
; COMPUTE_PGM_RSRC2:TGID_X_EN: 1
; COMPUTE_PGM_RSRC2:TGID_Y_EN: 0
; COMPUTE_PGM_RSRC2:TGID_Z_EN: 0
; COMPUTE_PGM_RSRC2:TIDIG_COMP_CNT: 0
; COMPUTE_PGM_RSRC3_GFX90A:ACCUM_OFFSET: 2
; COMPUTE_PGM_RSRC3_GFX90A:TG_SPLIT: 0
	.section	.text._ZN7rocprim17ROCPRIM_400000_NS6detail30init_device_scan_by_key_kernelINS1_19lookback_scan_stateINS0_5tupleIJibEEELb1ELb1EEENS1_16block_id_wrapperIjLb0EEEEEvT_jjPNS9_10value_typeET0_,"axG",@progbits,_ZN7rocprim17ROCPRIM_400000_NS6detail30init_device_scan_by_key_kernelINS1_19lookback_scan_stateINS0_5tupleIJibEEELb1ELb1EEENS1_16block_id_wrapperIjLb0EEEEEvT_jjPNS9_10value_typeET0_,comdat
	.protected	_ZN7rocprim17ROCPRIM_400000_NS6detail30init_device_scan_by_key_kernelINS1_19lookback_scan_stateINS0_5tupleIJibEEELb1ELb1EEENS1_16block_id_wrapperIjLb0EEEEEvT_jjPNS9_10value_typeET0_ ; -- Begin function _ZN7rocprim17ROCPRIM_400000_NS6detail30init_device_scan_by_key_kernelINS1_19lookback_scan_stateINS0_5tupleIJibEEELb1ELb1EEENS1_16block_id_wrapperIjLb0EEEEEvT_jjPNS9_10value_typeET0_
	.globl	_ZN7rocprim17ROCPRIM_400000_NS6detail30init_device_scan_by_key_kernelINS1_19lookback_scan_stateINS0_5tupleIJibEEELb1ELb1EEENS1_16block_id_wrapperIjLb0EEEEEvT_jjPNS9_10value_typeET0_
	.p2align	8
	.type	_ZN7rocprim17ROCPRIM_400000_NS6detail30init_device_scan_by_key_kernelINS1_19lookback_scan_stateINS0_5tupleIJibEEELb1ELb1EEENS1_16block_id_wrapperIjLb0EEEEEvT_jjPNS9_10value_typeET0_,@function
_ZN7rocprim17ROCPRIM_400000_NS6detail30init_device_scan_by_key_kernelINS1_19lookback_scan_stateINS0_5tupleIJibEEELb1ELb1EEENS1_16block_id_wrapperIjLb0EEEEEvT_jjPNS9_10value_typeET0_: ; @_ZN7rocprim17ROCPRIM_400000_NS6detail30init_device_scan_by_key_kernelINS1_19lookback_scan_stateINS0_5tupleIJibEEELb1ELb1EEENS1_16block_id_wrapperIjLb0EEEEEvT_jjPNS9_10value_typeET0_
; %bb.0:
	s_load_dword s7, s[4:5], 0x2c
	s_load_dwordx2 s[8:9], s[4:5], 0x10
	s_load_dwordx4 s[0:3], s[4:5], 0x0
	s_waitcnt lgkmcnt(0)
	s_and_b32 s4, s7, 0xffff
	s_mul_i32 s6, s6, s4
	s_cmp_eq_u64 s[8:9], 0
	v_add_u32_e32 v0, s6, v0
	s_cbranch_scc1 .LBB143_10
; %bb.1:
	s_cmp_lt_u32 s3, s2
	s_cselect_b32 s4, s3, 0
	s_mov_b32 s7, 0
	v_cmp_eq_u32_e32 vcc, s4, v0
	s_and_saveexec_b64 s[4:5], vcc
	s_cbranch_execz .LBB143_9
; %bb.2:
	s_add_i32 s6, s3, 64
	s_lshl_b64 s[6:7], s[6:7], 4
	s_add_u32 s12, s0, s6
	s_addc_u32 s13, s1, s7
	v_pk_mov_b32 v[2:3], s[12:13], s[12:13] op_sel:[0,1]
	;;#ASMSTART
	global_load_dwordx4 v[2:5], v[2:3] off glc	
s_waitcnt vmcnt(0)
	;;#ASMEND
	v_mov_b32_e32 v7, 0
	v_and_b32_e32 v6, 0xff, v4
	s_mov_b64 s[10:11], 0
	v_cmp_eq_u64_e32 vcc, 0, v[6:7]
	s_and_saveexec_b64 s[6:7], vcc
	s_cbranch_execz .LBB143_8
; %bb.3:
	s_mov_b32 s3, 1
	v_pk_mov_b32 v[8:9], s[12:13], s[12:13] op_sel:[0,1]
.LBB143_4:                              ; =>This Loop Header: Depth=1
                                        ;     Child Loop BB143_5 Depth 2
	s_max_u32 s12, s3, 1
.LBB143_5:                              ;   Parent Loop BB143_4 Depth=1
                                        ; =>  This Inner Loop Header: Depth=2
	s_add_i32 s12, s12, -1
	s_cmp_eq_u32 s12, 0
	s_sleep 1
	s_cbranch_scc0 .LBB143_5
; %bb.6:                                ;   in Loop: Header=BB143_4 Depth=1
	s_cmp_lt_u32 s3, 32
	s_cselect_b64 s[12:13], -1, 0
	s_cmp_lg_u64 s[12:13], 0
	;;#ASMSTART
	global_load_dwordx4 v[2:5], v[8:9] off glc	
s_waitcnt vmcnt(0)
	;;#ASMEND
	v_and_b32_e32 v6, 0xff, v4
	s_addc_u32 s3, s3, 0
	v_cmp_ne_u64_e32 vcc, 0, v[6:7]
	s_or_b64 s[10:11], vcc, s[10:11]
	s_andn2_b64 exec, exec, s[10:11]
	s_cbranch_execnz .LBB143_4
; %bb.7:
	s_or_b64 exec, exec, s[10:11]
.LBB143_8:
	s_or_b64 exec, exec, s[6:7]
	v_mov_b32_e32 v1, 0
	global_store_dword v1, v2, s[8:9]
	global_store_byte v1, v3, s[8:9] offset:4
.LBB143_9:
	s_or_b64 exec, exec, s[4:5]
.LBB143_10:
	v_cmp_gt_u32_e32 vcc, s2, v0
	s_and_saveexec_b64 s[2:3], vcc
	s_cbranch_execnz .LBB143_13
; %bb.11:
	s_or_b64 exec, exec, s[2:3]
	v_cmp_gt_u32_e32 vcc, 64, v0
	s_and_saveexec_b64 s[2:3], vcc
	s_cbranch_execnz .LBB143_14
.LBB143_12:
	s_endpgm
.LBB143_13:
	v_add_u32_e32 v2, 64, v0
	v_mov_b32_e32 v3, 0
	v_lshlrev_b64 v[4:5], 4, v[2:3]
	v_mov_b32_e32 v1, s1
	v_add_co_u32_e32 v6, vcc, s0, v4
	v_addc_co_u32_e32 v7, vcc, v1, v5, vcc
	v_mov_b32_e32 v2, v3
	v_mov_b32_e32 v4, v3
	;; [unrolled: 1-line block ×3, first 2 shown]
	global_store_dwordx4 v[6:7], v[2:5], off
	s_or_b64 exec, exec, s[2:3]
	v_cmp_gt_u32_e32 vcc, 64, v0
	s_and_saveexec_b64 s[2:3], vcc
	s_cbranch_execz .LBB143_12
.LBB143_14:
	v_mov_b32_e32 v1, 0
	v_lshlrev_b64 v[2:3], 4, v[0:1]
	v_mov_b32_e32 v0, s1
	v_add_co_u32_e32 v4, vcc, s0, v2
	v_addc_co_u32_e32 v5, vcc, v0, v3, vcc
	v_mov_b32_e32 v2, 0xff
	v_mov_b32_e32 v0, v1
	;; [unrolled: 1-line block ×3, first 2 shown]
	global_store_dwordx4 v[4:5], v[0:3], off
	s_endpgm
	.section	.rodata,"a",@progbits
	.p2align	6, 0x0
	.amdhsa_kernel _ZN7rocprim17ROCPRIM_400000_NS6detail30init_device_scan_by_key_kernelINS1_19lookback_scan_stateINS0_5tupleIJibEEELb1ELb1EEENS1_16block_id_wrapperIjLb0EEEEEvT_jjPNS9_10value_typeET0_
		.amdhsa_group_segment_fixed_size 0
		.amdhsa_private_segment_fixed_size 0
		.amdhsa_kernarg_size 288
		.amdhsa_user_sgpr_count 6
		.amdhsa_user_sgpr_private_segment_buffer 1
		.amdhsa_user_sgpr_dispatch_ptr 0
		.amdhsa_user_sgpr_queue_ptr 0
		.amdhsa_user_sgpr_kernarg_segment_ptr 1
		.amdhsa_user_sgpr_dispatch_id 0
		.amdhsa_user_sgpr_flat_scratch_init 0
		.amdhsa_user_sgpr_kernarg_preload_length 0
		.amdhsa_user_sgpr_kernarg_preload_offset 0
		.amdhsa_user_sgpr_private_segment_size 0
		.amdhsa_uses_dynamic_stack 0
		.amdhsa_system_sgpr_private_segment_wavefront_offset 0
		.amdhsa_system_sgpr_workgroup_id_x 1
		.amdhsa_system_sgpr_workgroup_id_y 0
		.amdhsa_system_sgpr_workgroup_id_z 0
		.amdhsa_system_sgpr_workgroup_info 0
		.amdhsa_system_vgpr_workitem_id 0
		.amdhsa_next_free_vgpr 10
		.amdhsa_next_free_sgpr 14
		.amdhsa_accum_offset 12
		.amdhsa_reserve_vcc 1
		.amdhsa_reserve_flat_scratch 0
		.amdhsa_float_round_mode_32 0
		.amdhsa_float_round_mode_16_64 0
		.amdhsa_float_denorm_mode_32 3
		.amdhsa_float_denorm_mode_16_64 3
		.amdhsa_dx10_clamp 1
		.amdhsa_ieee_mode 1
		.amdhsa_fp16_overflow 0
		.amdhsa_tg_split 0
		.amdhsa_exception_fp_ieee_invalid_op 0
		.amdhsa_exception_fp_denorm_src 0
		.amdhsa_exception_fp_ieee_div_zero 0
		.amdhsa_exception_fp_ieee_overflow 0
		.amdhsa_exception_fp_ieee_underflow 0
		.amdhsa_exception_fp_ieee_inexact 0
		.amdhsa_exception_int_div_zero 0
	.end_amdhsa_kernel
	.section	.text._ZN7rocprim17ROCPRIM_400000_NS6detail30init_device_scan_by_key_kernelINS1_19lookback_scan_stateINS0_5tupleIJibEEELb1ELb1EEENS1_16block_id_wrapperIjLb0EEEEEvT_jjPNS9_10value_typeET0_,"axG",@progbits,_ZN7rocprim17ROCPRIM_400000_NS6detail30init_device_scan_by_key_kernelINS1_19lookback_scan_stateINS0_5tupleIJibEEELb1ELb1EEENS1_16block_id_wrapperIjLb0EEEEEvT_jjPNS9_10value_typeET0_,comdat
.Lfunc_end143:
	.size	_ZN7rocprim17ROCPRIM_400000_NS6detail30init_device_scan_by_key_kernelINS1_19lookback_scan_stateINS0_5tupleIJibEEELb1ELb1EEENS1_16block_id_wrapperIjLb0EEEEEvT_jjPNS9_10value_typeET0_, .Lfunc_end143-_ZN7rocprim17ROCPRIM_400000_NS6detail30init_device_scan_by_key_kernelINS1_19lookback_scan_stateINS0_5tupleIJibEEELb1ELb1EEENS1_16block_id_wrapperIjLb0EEEEEvT_jjPNS9_10value_typeET0_
                                        ; -- End function
	.section	.AMDGPU.csdata,"",@progbits
; Kernel info:
; codeLenInByte = 412
; NumSgprs: 18
; NumVgprs: 10
; NumAgprs: 0
; TotalNumVgprs: 10
; ScratchSize: 0
; MemoryBound: 0
; FloatMode: 240
; IeeeMode: 1
; LDSByteSize: 0 bytes/workgroup (compile time only)
; SGPRBlocks: 2
; VGPRBlocks: 1
; NumSGPRsForWavesPerEU: 18
; NumVGPRsForWavesPerEU: 10
; AccumOffset: 12
; Occupancy: 8
; WaveLimiterHint : 0
; COMPUTE_PGM_RSRC2:SCRATCH_EN: 0
; COMPUTE_PGM_RSRC2:USER_SGPR: 6
; COMPUTE_PGM_RSRC2:TRAP_HANDLER: 0
; COMPUTE_PGM_RSRC2:TGID_X_EN: 1
; COMPUTE_PGM_RSRC2:TGID_Y_EN: 0
; COMPUTE_PGM_RSRC2:TGID_Z_EN: 0
; COMPUTE_PGM_RSRC2:TIDIG_COMP_CNT: 0
; COMPUTE_PGM_RSRC3_GFX90A:ACCUM_OFFSET: 2
; COMPUTE_PGM_RSRC3_GFX90A:TG_SPLIT: 0
	.section	.text._ZN7rocprim17ROCPRIM_400000_NS6detail17trampoline_kernelINS0_14default_configENS1_27scan_by_key_config_selectorIiiEEZZNS1_16scan_by_key_implILNS1_25lookback_scan_determinismE0ELb0ES3_N6thrust23THRUST_200600_302600_NS6detail15normal_iteratorINS9_10device_ptrIiEEEESE_SE_iNS9_4plusIvEENS9_8equal_toIvEEiEE10hipError_tPvRmT2_T3_T4_T5_mT6_T7_P12ihipStream_tbENKUlT_T0_E_clISt17integral_constantIbLb1EESY_IbLb0EEEEDaSU_SV_EUlSU_E_NS1_11comp_targetILNS1_3genE0ELNS1_11target_archE4294967295ELNS1_3gpuE0ELNS1_3repE0EEENS1_30default_config_static_selectorELNS0_4arch9wavefront6targetE1EEEvT1_,"axG",@progbits,_ZN7rocprim17ROCPRIM_400000_NS6detail17trampoline_kernelINS0_14default_configENS1_27scan_by_key_config_selectorIiiEEZZNS1_16scan_by_key_implILNS1_25lookback_scan_determinismE0ELb0ES3_N6thrust23THRUST_200600_302600_NS6detail15normal_iteratorINS9_10device_ptrIiEEEESE_SE_iNS9_4plusIvEENS9_8equal_toIvEEiEE10hipError_tPvRmT2_T3_T4_T5_mT6_T7_P12ihipStream_tbENKUlT_T0_E_clISt17integral_constantIbLb1EESY_IbLb0EEEEDaSU_SV_EUlSU_E_NS1_11comp_targetILNS1_3genE0ELNS1_11target_archE4294967295ELNS1_3gpuE0ELNS1_3repE0EEENS1_30default_config_static_selectorELNS0_4arch9wavefront6targetE1EEEvT1_,comdat
	.protected	_ZN7rocprim17ROCPRIM_400000_NS6detail17trampoline_kernelINS0_14default_configENS1_27scan_by_key_config_selectorIiiEEZZNS1_16scan_by_key_implILNS1_25lookback_scan_determinismE0ELb0ES3_N6thrust23THRUST_200600_302600_NS6detail15normal_iteratorINS9_10device_ptrIiEEEESE_SE_iNS9_4plusIvEENS9_8equal_toIvEEiEE10hipError_tPvRmT2_T3_T4_T5_mT6_T7_P12ihipStream_tbENKUlT_T0_E_clISt17integral_constantIbLb1EESY_IbLb0EEEEDaSU_SV_EUlSU_E_NS1_11comp_targetILNS1_3genE0ELNS1_11target_archE4294967295ELNS1_3gpuE0ELNS1_3repE0EEENS1_30default_config_static_selectorELNS0_4arch9wavefront6targetE1EEEvT1_ ; -- Begin function _ZN7rocprim17ROCPRIM_400000_NS6detail17trampoline_kernelINS0_14default_configENS1_27scan_by_key_config_selectorIiiEEZZNS1_16scan_by_key_implILNS1_25lookback_scan_determinismE0ELb0ES3_N6thrust23THRUST_200600_302600_NS6detail15normal_iteratorINS9_10device_ptrIiEEEESE_SE_iNS9_4plusIvEENS9_8equal_toIvEEiEE10hipError_tPvRmT2_T3_T4_T5_mT6_T7_P12ihipStream_tbENKUlT_T0_E_clISt17integral_constantIbLb1EESY_IbLb0EEEEDaSU_SV_EUlSU_E_NS1_11comp_targetILNS1_3genE0ELNS1_11target_archE4294967295ELNS1_3gpuE0ELNS1_3repE0EEENS1_30default_config_static_selectorELNS0_4arch9wavefront6targetE1EEEvT1_
	.globl	_ZN7rocprim17ROCPRIM_400000_NS6detail17trampoline_kernelINS0_14default_configENS1_27scan_by_key_config_selectorIiiEEZZNS1_16scan_by_key_implILNS1_25lookback_scan_determinismE0ELb0ES3_N6thrust23THRUST_200600_302600_NS6detail15normal_iteratorINS9_10device_ptrIiEEEESE_SE_iNS9_4plusIvEENS9_8equal_toIvEEiEE10hipError_tPvRmT2_T3_T4_T5_mT6_T7_P12ihipStream_tbENKUlT_T0_E_clISt17integral_constantIbLb1EESY_IbLb0EEEEDaSU_SV_EUlSU_E_NS1_11comp_targetILNS1_3genE0ELNS1_11target_archE4294967295ELNS1_3gpuE0ELNS1_3repE0EEENS1_30default_config_static_selectorELNS0_4arch9wavefront6targetE1EEEvT1_
	.p2align	8
	.type	_ZN7rocprim17ROCPRIM_400000_NS6detail17trampoline_kernelINS0_14default_configENS1_27scan_by_key_config_selectorIiiEEZZNS1_16scan_by_key_implILNS1_25lookback_scan_determinismE0ELb0ES3_N6thrust23THRUST_200600_302600_NS6detail15normal_iteratorINS9_10device_ptrIiEEEESE_SE_iNS9_4plusIvEENS9_8equal_toIvEEiEE10hipError_tPvRmT2_T3_T4_T5_mT6_T7_P12ihipStream_tbENKUlT_T0_E_clISt17integral_constantIbLb1EESY_IbLb0EEEEDaSU_SV_EUlSU_E_NS1_11comp_targetILNS1_3genE0ELNS1_11target_archE4294967295ELNS1_3gpuE0ELNS1_3repE0EEENS1_30default_config_static_selectorELNS0_4arch9wavefront6targetE1EEEvT1_,@function
_ZN7rocprim17ROCPRIM_400000_NS6detail17trampoline_kernelINS0_14default_configENS1_27scan_by_key_config_selectorIiiEEZZNS1_16scan_by_key_implILNS1_25lookback_scan_determinismE0ELb0ES3_N6thrust23THRUST_200600_302600_NS6detail15normal_iteratorINS9_10device_ptrIiEEEESE_SE_iNS9_4plusIvEENS9_8equal_toIvEEiEE10hipError_tPvRmT2_T3_T4_T5_mT6_T7_P12ihipStream_tbENKUlT_T0_E_clISt17integral_constantIbLb1EESY_IbLb0EEEEDaSU_SV_EUlSU_E_NS1_11comp_targetILNS1_3genE0ELNS1_11target_archE4294967295ELNS1_3gpuE0ELNS1_3repE0EEENS1_30default_config_static_selectorELNS0_4arch9wavefront6targetE1EEEvT1_: ; @_ZN7rocprim17ROCPRIM_400000_NS6detail17trampoline_kernelINS0_14default_configENS1_27scan_by_key_config_selectorIiiEEZZNS1_16scan_by_key_implILNS1_25lookback_scan_determinismE0ELb0ES3_N6thrust23THRUST_200600_302600_NS6detail15normal_iteratorINS9_10device_ptrIiEEEESE_SE_iNS9_4plusIvEENS9_8equal_toIvEEiEE10hipError_tPvRmT2_T3_T4_T5_mT6_T7_P12ihipStream_tbENKUlT_T0_E_clISt17integral_constantIbLb1EESY_IbLb0EEEEDaSU_SV_EUlSU_E_NS1_11comp_targetILNS1_3genE0ELNS1_11target_archE4294967295ELNS1_3gpuE0ELNS1_3repE0EEENS1_30default_config_static_selectorELNS0_4arch9wavefront6targetE1EEEvT1_
; %bb.0:
	.section	.rodata,"a",@progbits
	.p2align	6, 0x0
	.amdhsa_kernel _ZN7rocprim17ROCPRIM_400000_NS6detail17trampoline_kernelINS0_14default_configENS1_27scan_by_key_config_selectorIiiEEZZNS1_16scan_by_key_implILNS1_25lookback_scan_determinismE0ELb0ES3_N6thrust23THRUST_200600_302600_NS6detail15normal_iteratorINS9_10device_ptrIiEEEESE_SE_iNS9_4plusIvEENS9_8equal_toIvEEiEE10hipError_tPvRmT2_T3_T4_T5_mT6_T7_P12ihipStream_tbENKUlT_T0_E_clISt17integral_constantIbLb1EESY_IbLb0EEEEDaSU_SV_EUlSU_E_NS1_11comp_targetILNS1_3genE0ELNS1_11target_archE4294967295ELNS1_3gpuE0ELNS1_3repE0EEENS1_30default_config_static_selectorELNS0_4arch9wavefront6targetE1EEEvT1_
		.amdhsa_group_segment_fixed_size 0
		.amdhsa_private_segment_fixed_size 0
		.amdhsa_kernarg_size 112
		.amdhsa_user_sgpr_count 6
		.amdhsa_user_sgpr_private_segment_buffer 1
		.amdhsa_user_sgpr_dispatch_ptr 0
		.amdhsa_user_sgpr_queue_ptr 0
		.amdhsa_user_sgpr_kernarg_segment_ptr 1
		.amdhsa_user_sgpr_dispatch_id 0
		.amdhsa_user_sgpr_flat_scratch_init 0
		.amdhsa_user_sgpr_kernarg_preload_length 0
		.amdhsa_user_sgpr_kernarg_preload_offset 0
		.amdhsa_user_sgpr_private_segment_size 0
		.amdhsa_uses_dynamic_stack 0
		.amdhsa_system_sgpr_private_segment_wavefront_offset 0
		.amdhsa_system_sgpr_workgroup_id_x 1
		.amdhsa_system_sgpr_workgroup_id_y 0
		.amdhsa_system_sgpr_workgroup_id_z 0
		.amdhsa_system_sgpr_workgroup_info 0
		.amdhsa_system_vgpr_workitem_id 0
		.amdhsa_next_free_vgpr 1
		.amdhsa_next_free_sgpr 0
		.amdhsa_accum_offset 4
		.amdhsa_reserve_vcc 0
		.amdhsa_reserve_flat_scratch 0
		.amdhsa_float_round_mode_32 0
		.amdhsa_float_round_mode_16_64 0
		.amdhsa_float_denorm_mode_32 3
		.amdhsa_float_denorm_mode_16_64 3
		.amdhsa_dx10_clamp 1
		.amdhsa_ieee_mode 1
		.amdhsa_fp16_overflow 0
		.amdhsa_tg_split 0
		.amdhsa_exception_fp_ieee_invalid_op 0
		.amdhsa_exception_fp_denorm_src 0
		.amdhsa_exception_fp_ieee_div_zero 0
		.amdhsa_exception_fp_ieee_overflow 0
		.amdhsa_exception_fp_ieee_underflow 0
		.amdhsa_exception_fp_ieee_inexact 0
		.amdhsa_exception_int_div_zero 0
	.end_amdhsa_kernel
	.section	.text._ZN7rocprim17ROCPRIM_400000_NS6detail17trampoline_kernelINS0_14default_configENS1_27scan_by_key_config_selectorIiiEEZZNS1_16scan_by_key_implILNS1_25lookback_scan_determinismE0ELb0ES3_N6thrust23THRUST_200600_302600_NS6detail15normal_iteratorINS9_10device_ptrIiEEEESE_SE_iNS9_4plusIvEENS9_8equal_toIvEEiEE10hipError_tPvRmT2_T3_T4_T5_mT6_T7_P12ihipStream_tbENKUlT_T0_E_clISt17integral_constantIbLb1EESY_IbLb0EEEEDaSU_SV_EUlSU_E_NS1_11comp_targetILNS1_3genE0ELNS1_11target_archE4294967295ELNS1_3gpuE0ELNS1_3repE0EEENS1_30default_config_static_selectorELNS0_4arch9wavefront6targetE1EEEvT1_,"axG",@progbits,_ZN7rocprim17ROCPRIM_400000_NS6detail17trampoline_kernelINS0_14default_configENS1_27scan_by_key_config_selectorIiiEEZZNS1_16scan_by_key_implILNS1_25lookback_scan_determinismE0ELb0ES3_N6thrust23THRUST_200600_302600_NS6detail15normal_iteratorINS9_10device_ptrIiEEEESE_SE_iNS9_4plusIvEENS9_8equal_toIvEEiEE10hipError_tPvRmT2_T3_T4_T5_mT6_T7_P12ihipStream_tbENKUlT_T0_E_clISt17integral_constantIbLb1EESY_IbLb0EEEEDaSU_SV_EUlSU_E_NS1_11comp_targetILNS1_3genE0ELNS1_11target_archE4294967295ELNS1_3gpuE0ELNS1_3repE0EEENS1_30default_config_static_selectorELNS0_4arch9wavefront6targetE1EEEvT1_,comdat
.Lfunc_end144:
	.size	_ZN7rocprim17ROCPRIM_400000_NS6detail17trampoline_kernelINS0_14default_configENS1_27scan_by_key_config_selectorIiiEEZZNS1_16scan_by_key_implILNS1_25lookback_scan_determinismE0ELb0ES3_N6thrust23THRUST_200600_302600_NS6detail15normal_iteratorINS9_10device_ptrIiEEEESE_SE_iNS9_4plusIvEENS9_8equal_toIvEEiEE10hipError_tPvRmT2_T3_T4_T5_mT6_T7_P12ihipStream_tbENKUlT_T0_E_clISt17integral_constantIbLb1EESY_IbLb0EEEEDaSU_SV_EUlSU_E_NS1_11comp_targetILNS1_3genE0ELNS1_11target_archE4294967295ELNS1_3gpuE0ELNS1_3repE0EEENS1_30default_config_static_selectorELNS0_4arch9wavefront6targetE1EEEvT1_, .Lfunc_end144-_ZN7rocprim17ROCPRIM_400000_NS6detail17trampoline_kernelINS0_14default_configENS1_27scan_by_key_config_selectorIiiEEZZNS1_16scan_by_key_implILNS1_25lookback_scan_determinismE0ELb0ES3_N6thrust23THRUST_200600_302600_NS6detail15normal_iteratorINS9_10device_ptrIiEEEESE_SE_iNS9_4plusIvEENS9_8equal_toIvEEiEE10hipError_tPvRmT2_T3_T4_T5_mT6_T7_P12ihipStream_tbENKUlT_T0_E_clISt17integral_constantIbLb1EESY_IbLb0EEEEDaSU_SV_EUlSU_E_NS1_11comp_targetILNS1_3genE0ELNS1_11target_archE4294967295ELNS1_3gpuE0ELNS1_3repE0EEENS1_30default_config_static_selectorELNS0_4arch9wavefront6targetE1EEEvT1_
                                        ; -- End function
	.section	.AMDGPU.csdata,"",@progbits
; Kernel info:
; codeLenInByte = 0
; NumSgprs: 4
; NumVgprs: 0
; NumAgprs: 0
; TotalNumVgprs: 0
; ScratchSize: 0
; MemoryBound: 0
; FloatMode: 240
; IeeeMode: 1
; LDSByteSize: 0 bytes/workgroup (compile time only)
; SGPRBlocks: 0
; VGPRBlocks: 0
; NumSGPRsForWavesPerEU: 4
; NumVGPRsForWavesPerEU: 1
; AccumOffset: 4
; Occupancy: 8
; WaveLimiterHint : 0
; COMPUTE_PGM_RSRC2:SCRATCH_EN: 0
; COMPUTE_PGM_RSRC2:USER_SGPR: 6
; COMPUTE_PGM_RSRC2:TRAP_HANDLER: 0
; COMPUTE_PGM_RSRC2:TGID_X_EN: 1
; COMPUTE_PGM_RSRC2:TGID_Y_EN: 0
; COMPUTE_PGM_RSRC2:TGID_Z_EN: 0
; COMPUTE_PGM_RSRC2:TIDIG_COMP_CNT: 0
; COMPUTE_PGM_RSRC3_GFX90A:ACCUM_OFFSET: 0
; COMPUTE_PGM_RSRC3_GFX90A:TG_SPLIT: 0
	.section	.text._ZN7rocprim17ROCPRIM_400000_NS6detail17trampoline_kernelINS0_14default_configENS1_27scan_by_key_config_selectorIiiEEZZNS1_16scan_by_key_implILNS1_25lookback_scan_determinismE0ELb0ES3_N6thrust23THRUST_200600_302600_NS6detail15normal_iteratorINS9_10device_ptrIiEEEESE_SE_iNS9_4plusIvEENS9_8equal_toIvEEiEE10hipError_tPvRmT2_T3_T4_T5_mT6_T7_P12ihipStream_tbENKUlT_T0_E_clISt17integral_constantIbLb1EESY_IbLb0EEEEDaSU_SV_EUlSU_E_NS1_11comp_targetILNS1_3genE10ELNS1_11target_archE1201ELNS1_3gpuE5ELNS1_3repE0EEENS1_30default_config_static_selectorELNS0_4arch9wavefront6targetE1EEEvT1_,"axG",@progbits,_ZN7rocprim17ROCPRIM_400000_NS6detail17trampoline_kernelINS0_14default_configENS1_27scan_by_key_config_selectorIiiEEZZNS1_16scan_by_key_implILNS1_25lookback_scan_determinismE0ELb0ES3_N6thrust23THRUST_200600_302600_NS6detail15normal_iteratorINS9_10device_ptrIiEEEESE_SE_iNS9_4plusIvEENS9_8equal_toIvEEiEE10hipError_tPvRmT2_T3_T4_T5_mT6_T7_P12ihipStream_tbENKUlT_T0_E_clISt17integral_constantIbLb1EESY_IbLb0EEEEDaSU_SV_EUlSU_E_NS1_11comp_targetILNS1_3genE10ELNS1_11target_archE1201ELNS1_3gpuE5ELNS1_3repE0EEENS1_30default_config_static_selectorELNS0_4arch9wavefront6targetE1EEEvT1_,comdat
	.protected	_ZN7rocprim17ROCPRIM_400000_NS6detail17trampoline_kernelINS0_14default_configENS1_27scan_by_key_config_selectorIiiEEZZNS1_16scan_by_key_implILNS1_25lookback_scan_determinismE0ELb0ES3_N6thrust23THRUST_200600_302600_NS6detail15normal_iteratorINS9_10device_ptrIiEEEESE_SE_iNS9_4plusIvEENS9_8equal_toIvEEiEE10hipError_tPvRmT2_T3_T4_T5_mT6_T7_P12ihipStream_tbENKUlT_T0_E_clISt17integral_constantIbLb1EESY_IbLb0EEEEDaSU_SV_EUlSU_E_NS1_11comp_targetILNS1_3genE10ELNS1_11target_archE1201ELNS1_3gpuE5ELNS1_3repE0EEENS1_30default_config_static_selectorELNS0_4arch9wavefront6targetE1EEEvT1_ ; -- Begin function _ZN7rocprim17ROCPRIM_400000_NS6detail17trampoline_kernelINS0_14default_configENS1_27scan_by_key_config_selectorIiiEEZZNS1_16scan_by_key_implILNS1_25lookback_scan_determinismE0ELb0ES3_N6thrust23THRUST_200600_302600_NS6detail15normal_iteratorINS9_10device_ptrIiEEEESE_SE_iNS9_4plusIvEENS9_8equal_toIvEEiEE10hipError_tPvRmT2_T3_T4_T5_mT6_T7_P12ihipStream_tbENKUlT_T0_E_clISt17integral_constantIbLb1EESY_IbLb0EEEEDaSU_SV_EUlSU_E_NS1_11comp_targetILNS1_3genE10ELNS1_11target_archE1201ELNS1_3gpuE5ELNS1_3repE0EEENS1_30default_config_static_selectorELNS0_4arch9wavefront6targetE1EEEvT1_
	.globl	_ZN7rocprim17ROCPRIM_400000_NS6detail17trampoline_kernelINS0_14default_configENS1_27scan_by_key_config_selectorIiiEEZZNS1_16scan_by_key_implILNS1_25lookback_scan_determinismE0ELb0ES3_N6thrust23THRUST_200600_302600_NS6detail15normal_iteratorINS9_10device_ptrIiEEEESE_SE_iNS9_4plusIvEENS9_8equal_toIvEEiEE10hipError_tPvRmT2_T3_T4_T5_mT6_T7_P12ihipStream_tbENKUlT_T0_E_clISt17integral_constantIbLb1EESY_IbLb0EEEEDaSU_SV_EUlSU_E_NS1_11comp_targetILNS1_3genE10ELNS1_11target_archE1201ELNS1_3gpuE5ELNS1_3repE0EEENS1_30default_config_static_selectorELNS0_4arch9wavefront6targetE1EEEvT1_
	.p2align	8
	.type	_ZN7rocprim17ROCPRIM_400000_NS6detail17trampoline_kernelINS0_14default_configENS1_27scan_by_key_config_selectorIiiEEZZNS1_16scan_by_key_implILNS1_25lookback_scan_determinismE0ELb0ES3_N6thrust23THRUST_200600_302600_NS6detail15normal_iteratorINS9_10device_ptrIiEEEESE_SE_iNS9_4plusIvEENS9_8equal_toIvEEiEE10hipError_tPvRmT2_T3_T4_T5_mT6_T7_P12ihipStream_tbENKUlT_T0_E_clISt17integral_constantIbLb1EESY_IbLb0EEEEDaSU_SV_EUlSU_E_NS1_11comp_targetILNS1_3genE10ELNS1_11target_archE1201ELNS1_3gpuE5ELNS1_3repE0EEENS1_30default_config_static_selectorELNS0_4arch9wavefront6targetE1EEEvT1_,@function
_ZN7rocprim17ROCPRIM_400000_NS6detail17trampoline_kernelINS0_14default_configENS1_27scan_by_key_config_selectorIiiEEZZNS1_16scan_by_key_implILNS1_25lookback_scan_determinismE0ELb0ES3_N6thrust23THRUST_200600_302600_NS6detail15normal_iteratorINS9_10device_ptrIiEEEESE_SE_iNS9_4plusIvEENS9_8equal_toIvEEiEE10hipError_tPvRmT2_T3_T4_T5_mT6_T7_P12ihipStream_tbENKUlT_T0_E_clISt17integral_constantIbLb1EESY_IbLb0EEEEDaSU_SV_EUlSU_E_NS1_11comp_targetILNS1_3genE10ELNS1_11target_archE1201ELNS1_3gpuE5ELNS1_3repE0EEENS1_30default_config_static_selectorELNS0_4arch9wavefront6targetE1EEEvT1_: ; @_ZN7rocprim17ROCPRIM_400000_NS6detail17trampoline_kernelINS0_14default_configENS1_27scan_by_key_config_selectorIiiEEZZNS1_16scan_by_key_implILNS1_25lookback_scan_determinismE0ELb0ES3_N6thrust23THRUST_200600_302600_NS6detail15normal_iteratorINS9_10device_ptrIiEEEESE_SE_iNS9_4plusIvEENS9_8equal_toIvEEiEE10hipError_tPvRmT2_T3_T4_T5_mT6_T7_P12ihipStream_tbENKUlT_T0_E_clISt17integral_constantIbLb1EESY_IbLb0EEEEDaSU_SV_EUlSU_E_NS1_11comp_targetILNS1_3genE10ELNS1_11target_archE1201ELNS1_3gpuE5ELNS1_3repE0EEENS1_30default_config_static_selectorELNS0_4arch9wavefront6targetE1EEEvT1_
; %bb.0:
	.section	.rodata,"a",@progbits
	.p2align	6, 0x0
	.amdhsa_kernel _ZN7rocprim17ROCPRIM_400000_NS6detail17trampoline_kernelINS0_14default_configENS1_27scan_by_key_config_selectorIiiEEZZNS1_16scan_by_key_implILNS1_25lookback_scan_determinismE0ELb0ES3_N6thrust23THRUST_200600_302600_NS6detail15normal_iteratorINS9_10device_ptrIiEEEESE_SE_iNS9_4plusIvEENS9_8equal_toIvEEiEE10hipError_tPvRmT2_T3_T4_T5_mT6_T7_P12ihipStream_tbENKUlT_T0_E_clISt17integral_constantIbLb1EESY_IbLb0EEEEDaSU_SV_EUlSU_E_NS1_11comp_targetILNS1_3genE10ELNS1_11target_archE1201ELNS1_3gpuE5ELNS1_3repE0EEENS1_30default_config_static_selectorELNS0_4arch9wavefront6targetE1EEEvT1_
		.amdhsa_group_segment_fixed_size 0
		.amdhsa_private_segment_fixed_size 0
		.amdhsa_kernarg_size 112
		.amdhsa_user_sgpr_count 6
		.amdhsa_user_sgpr_private_segment_buffer 1
		.amdhsa_user_sgpr_dispatch_ptr 0
		.amdhsa_user_sgpr_queue_ptr 0
		.amdhsa_user_sgpr_kernarg_segment_ptr 1
		.amdhsa_user_sgpr_dispatch_id 0
		.amdhsa_user_sgpr_flat_scratch_init 0
		.amdhsa_user_sgpr_kernarg_preload_length 0
		.amdhsa_user_sgpr_kernarg_preload_offset 0
		.amdhsa_user_sgpr_private_segment_size 0
		.amdhsa_uses_dynamic_stack 0
		.amdhsa_system_sgpr_private_segment_wavefront_offset 0
		.amdhsa_system_sgpr_workgroup_id_x 1
		.amdhsa_system_sgpr_workgroup_id_y 0
		.amdhsa_system_sgpr_workgroup_id_z 0
		.amdhsa_system_sgpr_workgroup_info 0
		.amdhsa_system_vgpr_workitem_id 0
		.amdhsa_next_free_vgpr 1
		.amdhsa_next_free_sgpr 0
		.amdhsa_accum_offset 4
		.amdhsa_reserve_vcc 0
		.amdhsa_reserve_flat_scratch 0
		.amdhsa_float_round_mode_32 0
		.amdhsa_float_round_mode_16_64 0
		.amdhsa_float_denorm_mode_32 3
		.amdhsa_float_denorm_mode_16_64 3
		.amdhsa_dx10_clamp 1
		.amdhsa_ieee_mode 1
		.amdhsa_fp16_overflow 0
		.amdhsa_tg_split 0
		.amdhsa_exception_fp_ieee_invalid_op 0
		.amdhsa_exception_fp_denorm_src 0
		.amdhsa_exception_fp_ieee_div_zero 0
		.amdhsa_exception_fp_ieee_overflow 0
		.amdhsa_exception_fp_ieee_underflow 0
		.amdhsa_exception_fp_ieee_inexact 0
		.amdhsa_exception_int_div_zero 0
	.end_amdhsa_kernel
	.section	.text._ZN7rocprim17ROCPRIM_400000_NS6detail17trampoline_kernelINS0_14default_configENS1_27scan_by_key_config_selectorIiiEEZZNS1_16scan_by_key_implILNS1_25lookback_scan_determinismE0ELb0ES3_N6thrust23THRUST_200600_302600_NS6detail15normal_iteratorINS9_10device_ptrIiEEEESE_SE_iNS9_4plusIvEENS9_8equal_toIvEEiEE10hipError_tPvRmT2_T3_T4_T5_mT6_T7_P12ihipStream_tbENKUlT_T0_E_clISt17integral_constantIbLb1EESY_IbLb0EEEEDaSU_SV_EUlSU_E_NS1_11comp_targetILNS1_3genE10ELNS1_11target_archE1201ELNS1_3gpuE5ELNS1_3repE0EEENS1_30default_config_static_selectorELNS0_4arch9wavefront6targetE1EEEvT1_,"axG",@progbits,_ZN7rocprim17ROCPRIM_400000_NS6detail17trampoline_kernelINS0_14default_configENS1_27scan_by_key_config_selectorIiiEEZZNS1_16scan_by_key_implILNS1_25lookback_scan_determinismE0ELb0ES3_N6thrust23THRUST_200600_302600_NS6detail15normal_iteratorINS9_10device_ptrIiEEEESE_SE_iNS9_4plusIvEENS9_8equal_toIvEEiEE10hipError_tPvRmT2_T3_T4_T5_mT6_T7_P12ihipStream_tbENKUlT_T0_E_clISt17integral_constantIbLb1EESY_IbLb0EEEEDaSU_SV_EUlSU_E_NS1_11comp_targetILNS1_3genE10ELNS1_11target_archE1201ELNS1_3gpuE5ELNS1_3repE0EEENS1_30default_config_static_selectorELNS0_4arch9wavefront6targetE1EEEvT1_,comdat
.Lfunc_end145:
	.size	_ZN7rocprim17ROCPRIM_400000_NS6detail17trampoline_kernelINS0_14default_configENS1_27scan_by_key_config_selectorIiiEEZZNS1_16scan_by_key_implILNS1_25lookback_scan_determinismE0ELb0ES3_N6thrust23THRUST_200600_302600_NS6detail15normal_iteratorINS9_10device_ptrIiEEEESE_SE_iNS9_4plusIvEENS9_8equal_toIvEEiEE10hipError_tPvRmT2_T3_T4_T5_mT6_T7_P12ihipStream_tbENKUlT_T0_E_clISt17integral_constantIbLb1EESY_IbLb0EEEEDaSU_SV_EUlSU_E_NS1_11comp_targetILNS1_3genE10ELNS1_11target_archE1201ELNS1_3gpuE5ELNS1_3repE0EEENS1_30default_config_static_selectorELNS0_4arch9wavefront6targetE1EEEvT1_, .Lfunc_end145-_ZN7rocprim17ROCPRIM_400000_NS6detail17trampoline_kernelINS0_14default_configENS1_27scan_by_key_config_selectorIiiEEZZNS1_16scan_by_key_implILNS1_25lookback_scan_determinismE0ELb0ES3_N6thrust23THRUST_200600_302600_NS6detail15normal_iteratorINS9_10device_ptrIiEEEESE_SE_iNS9_4plusIvEENS9_8equal_toIvEEiEE10hipError_tPvRmT2_T3_T4_T5_mT6_T7_P12ihipStream_tbENKUlT_T0_E_clISt17integral_constantIbLb1EESY_IbLb0EEEEDaSU_SV_EUlSU_E_NS1_11comp_targetILNS1_3genE10ELNS1_11target_archE1201ELNS1_3gpuE5ELNS1_3repE0EEENS1_30default_config_static_selectorELNS0_4arch9wavefront6targetE1EEEvT1_
                                        ; -- End function
	.section	.AMDGPU.csdata,"",@progbits
; Kernel info:
; codeLenInByte = 0
; NumSgprs: 4
; NumVgprs: 0
; NumAgprs: 0
; TotalNumVgprs: 0
; ScratchSize: 0
; MemoryBound: 0
; FloatMode: 240
; IeeeMode: 1
; LDSByteSize: 0 bytes/workgroup (compile time only)
; SGPRBlocks: 0
; VGPRBlocks: 0
; NumSGPRsForWavesPerEU: 4
; NumVGPRsForWavesPerEU: 1
; AccumOffset: 4
; Occupancy: 8
; WaveLimiterHint : 0
; COMPUTE_PGM_RSRC2:SCRATCH_EN: 0
; COMPUTE_PGM_RSRC2:USER_SGPR: 6
; COMPUTE_PGM_RSRC2:TRAP_HANDLER: 0
; COMPUTE_PGM_RSRC2:TGID_X_EN: 1
; COMPUTE_PGM_RSRC2:TGID_Y_EN: 0
; COMPUTE_PGM_RSRC2:TGID_Z_EN: 0
; COMPUTE_PGM_RSRC2:TIDIG_COMP_CNT: 0
; COMPUTE_PGM_RSRC3_GFX90A:ACCUM_OFFSET: 0
; COMPUTE_PGM_RSRC3_GFX90A:TG_SPLIT: 0
	.section	.text._ZN7rocprim17ROCPRIM_400000_NS6detail17trampoline_kernelINS0_14default_configENS1_27scan_by_key_config_selectorIiiEEZZNS1_16scan_by_key_implILNS1_25lookback_scan_determinismE0ELb0ES3_N6thrust23THRUST_200600_302600_NS6detail15normal_iteratorINS9_10device_ptrIiEEEESE_SE_iNS9_4plusIvEENS9_8equal_toIvEEiEE10hipError_tPvRmT2_T3_T4_T5_mT6_T7_P12ihipStream_tbENKUlT_T0_E_clISt17integral_constantIbLb1EESY_IbLb0EEEEDaSU_SV_EUlSU_E_NS1_11comp_targetILNS1_3genE5ELNS1_11target_archE942ELNS1_3gpuE9ELNS1_3repE0EEENS1_30default_config_static_selectorELNS0_4arch9wavefront6targetE1EEEvT1_,"axG",@progbits,_ZN7rocprim17ROCPRIM_400000_NS6detail17trampoline_kernelINS0_14default_configENS1_27scan_by_key_config_selectorIiiEEZZNS1_16scan_by_key_implILNS1_25lookback_scan_determinismE0ELb0ES3_N6thrust23THRUST_200600_302600_NS6detail15normal_iteratorINS9_10device_ptrIiEEEESE_SE_iNS9_4plusIvEENS9_8equal_toIvEEiEE10hipError_tPvRmT2_T3_T4_T5_mT6_T7_P12ihipStream_tbENKUlT_T0_E_clISt17integral_constantIbLb1EESY_IbLb0EEEEDaSU_SV_EUlSU_E_NS1_11comp_targetILNS1_3genE5ELNS1_11target_archE942ELNS1_3gpuE9ELNS1_3repE0EEENS1_30default_config_static_selectorELNS0_4arch9wavefront6targetE1EEEvT1_,comdat
	.protected	_ZN7rocprim17ROCPRIM_400000_NS6detail17trampoline_kernelINS0_14default_configENS1_27scan_by_key_config_selectorIiiEEZZNS1_16scan_by_key_implILNS1_25lookback_scan_determinismE0ELb0ES3_N6thrust23THRUST_200600_302600_NS6detail15normal_iteratorINS9_10device_ptrIiEEEESE_SE_iNS9_4plusIvEENS9_8equal_toIvEEiEE10hipError_tPvRmT2_T3_T4_T5_mT6_T7_P12ihipStream_tbENKUlT_T0_E_clISt17integral_constantIbLb1EESY_IbLb0EEEEDaSU_SV_EUlSU_E_NS1_11comp_targetILNS1_3genE5ELNS1_11target_archE942ELNS1_3gpuE9ELNS1_3repE0EEENS1_30default_config_static_selectorELNS0_4arch9wavefront6targetE1EEEvT1_ ; -- Begin function _ZN7rocprim17ROCPRIM_400000_NS6detail17trampoline_kernelINS0_14default_configENS1_27scan_by_key_config_selectorIiiEEZZNS1_16scan_by_key_implILNS1_25lookback_scan_determinismE0ELb0ES3_N6thrust23THRUST_200600_302600_NS6detail15normal_iteratorINS9_10device_ptrIiEEEESE_SE_iNS9_4plusIvEENS9_8equal_toIvEEiEE10hipError_tPvRmT2_T3_T4_T5_mT6_T7_P12ihipStream_tbENKUlT_T0_E_clISt17integral_constantIbLb1EESY_IbLb0EEEEDaSU_SV_EUlSU_E_NS1_11comp_targetILNS1_3genE5ELNS1_11target_archE942ELNS1_3gpuE9ELNS1_3repE0EEENS1_30default_config_static_selectorELNS0_4arch9wavefront6targetE1EEEvT1_
	.globl	_ZN7rocprim17ROCPRIM_400000_NS6detail17trampoline_kernelINS0_14default_configENS1_27scan_by_key_config_selectorIiiEEZZNS1_16scan_by_key_implILNS1_25lookback_scan_determinismE0ELb0ES3_N6thrust23THRUST_200600_302600_NS6detail15normal_iteratorINS9_10device_ptrIiEEEESE_SE_iNS9_4plusIvEENS9_8equal_toIvEEiEE10hipError_tPvRmT2_T3_T4_T5_mT6_T7_P12ihipStream_tbENKUlT_T0_E_clISt17integral_constantIbLb1EESY_IbLb0EEEEDaSU_SV_EUlSU_E_NS1_11comp_targetILNS1_3genE5ELNS1_11target_archE942ELNS1_3gpuE9ELNS1_3repE0EEENS1_30default_config_static_selectorELNS0_4arch9wavefront6targetE1EEEvT1_
	.p2align	8
	.type	_ZN7rocprim17ROCPRIM_400000_NS6detail17trampoline_kernelINS0_14default_configENS1_27scan_by_key_config_selectorIiiEEZZNS1_16scan_by_key_implILNS1_25lookback_scan_determinismE0ELb0ES3_N6thrust23THRUST_200600_302600_NS6detail15normal_iteratorINS9_10device_ptrIiEEEESE_SE_iNS9_4plusIvEENS9_8equal_toIvEEiEE10hipError_tPvRmT2_T3_T4_T5_mT6_T7_P12ihipStream_tbENKUlT_T0_E_clISt17integral_constantIbLb1EESY_IbLb0EEEEDaSU_SV_EUlSU_E_NS1_11comp_targetILNS1_3genE5ELNS1_11target_archE942ELNS1_3gpuE9ELNS1_3repE0EEENS1_30default_config_static_selectorELNS0_4arch9wavefront6targetE1EEEvT1_,@function
_ZN7rocprim17ROCPRIM_400000_NS6detail17trampoline_kernelINS0_14default_configENS1_27scan_by_key_config_selectorIiiEEZZNS1_16scan_by_key_implILNS1_25lookback_scan_determinismE0ELb0ES3_N6thrust23THRUST_200600_302600_NS6detail15normal_iteratorINS9_10device_ptrIiEEEESE_SE_iNS9_4plusIvEENS9_8equal_toIvEEiEE10hipError_tPvRmT2_T3_T4_T5_mT6_T7_P12ihipStream_tbENKUlT_T0_E_clISt17integral_constantIbLb1EESY_IbLb0EEEEDaSU_SV_EUlSU_E_NS1_11comp_targetILNS1_3genE5ELNS1_11target_archE942ELNS1_3gpuE9ELNS1_3repE0EEENS1_30default_config_static_selectorELNS0_4arch9wavefront6targetE1EEEvT1_: ; @_ZN7rocprim17ROCPRIM_400000_NS6detail17trampoline_kernelINS0_14default_configENS1_27scan_by_key_config_selectorIiiEEZZNS1_16scan_by_key_implILNS1_25lookback_scan_determinismE0ELb0ES3_N6thrust23THRUST_200600_302600_NS6detail15normal_iteratorINS9_10device_ptrIiEEEESE_SE_iNS9_4plusIvEENS9_8equal_toIvEEiEE10hipError_tPvRmT2_T3_T4_T5_mT6_T7_P12ihipStream_tbENKUlT_T0_E_clISt17integral_constantIbLb1EESY_IbLb0EEEEDaSU_SV_EUlSU_E_NS1_11comp_targetILNS1_3genE5ELNS1_11target_archE942ELNS1_3gpuE9ELNS1_3repE0EEENS1_30default_config_static_selectorELNS0_4arch9wavefront6targetE1EEEvT1_
; %bb.0:
	.section	.rodata,"a",@progbits
	.p2align	6, 0x0
	.amdhsa_kernel _ZN7rocprim17ROCPRIM_400000_NS6detail17trampoline_kernelINS0_14default_configENS1_27scan_by_key_config_selectorIiiEEZZNS1_16scan_by_key_implILNS1_25lookback_scan_determinismE0ELb0ES3_N6thrust23THRUST_200600_302600_NS6detail15normal_iteratorINS9_10device_ptrIiEEEESE_SE_iNS9_4plusIvEENS9_8equal_toIvEEiEE10hipError_tPvRmT2_T3_T4_T5_mT6_T7_P12ihipStream_tbENKUlT_T0_E_clISt17integral_constantIbLb1EESY_IbLb0EEEEDaSU_SV_EUlSU_E_NS1_11comp_targetILNS1_3genE5ELNS1_11target_archE942ELNS1_3gpuE9ELNS1_3repE0EEENS1_30default_config_static_selectorELNS0_4arch9wavefront6targetE1EEEvT1_
		.amdhsa_group_segment_fixed_size 0
		.amdhsa_private_segment_fixed_size 0
		.amdhsa_kernarg_size 112
		.amdhsa_user_sgpr_count 6
		.amdhsa_user_sgpr_private_segment_buffer 1
		.amdhsa_user_sgpr_dispatch_ptr 0
		.amdhsa_user_sgpr_queue_ptr 0
		.amdhsa_user_sgpr_kernarg_segment_ptr 1
		.amdhsa_user_sgpr_dispatch_id 0
		.amdhsa_user_sgpr_flat_scratch_init 0
		.amdhsa_user_sgpr_kernarg_preload_length 0
		.amdhsa_user_sgpr_kernarg_preload_offset 0
		.amdhsa_user_sgpr_private_segment_size 0
		.amdhsa_uses_dynamic_stack 0
		.amdhsa_system_sgpr_private_segment_wavefront_offset 0
		.amdhsa_system_sgpr_workgroup_id_x 1
		.amdhsa_system_sgpr_workgroup_id_y 0
		.amdhsa_system_sgpr_workgroup_id_z 0
		.amdhsa_system_sgpr_workgroup_info 0
		.amdhsa_system_vgpr_workitem_id 0
		.amdhsa_next_free_vgpr 1
		.amdhsa_next_free_sgpr 0
		.amdhsa_accum_offset 4
		.amdhsa_reserve_vcc 0
		.amdhsa_reserve_flat_scratch 0
		.amdhsa_float_round_mode_32 0
		.amdhsa_float_round_mode_16_64 0
		.amdhsa_float_denorm_mode_32 3
		.amdhsa_float_denorm_mode_16_64 3
		.amdhsa_dx10_clamp 1
		.amdhsa_ieee_mode 1
		.amdhsa_fp16_overflow 0
		.amdhsa_tg_split 0
		.amdhsa_exception_fp_ieee_invalid_op 0
		.amdhsa_exception_fp_denorm_src 0
		.amdhsa_exception_fp_ieee_div_zero 0
		.amdhsa_exception_fp_ieee_overflow 0
		.amdhsa_exception_fp_ieee_underflow 0
		.amdhsa_exception_fp_ieee_inexact 0
		.amdhsa_exception_int_div_zero 0
	.end_amdhsa_kernel
	.section	.text._ZN7rocprim17ROCPRIM_400000_NS6detail17trampoline_kernelINS0_14default_configENS1_27scan_by_key_config_selectorIiiEEZZNS1_16scan_by_key_implILNS1_25lookback_scan_determinismE0ELb0ES3_N6thrust23THRUST_200600_302600_NS6detail15normal_iteratorINS9_10device_ptrIiEEEESE_SE_iNS9_4plusIvEENS9_8equal_toIvEEiEE10hipError_tPvRmT2_T3_T4_T5_mT6_T7_P12ihipStream_tbENKUlT_T0_E_clISt17integral_constantIbLb1EESY_IbLb0EEEEDaSU_SV_EUlSU_E_NS1_11comp_targetILNS1_3genE5ELNS1_11target_archE942ELNS1_3gpuE9ELNS1_3repE0EEENS1_30default_config_static_selectorELNS0_4arch9wavefront6targetE1EEEvT1_,"axG",@progbits,_ZN7rocprim17ROCPRIM_400000_NS6detail17trampoline_kernelINS0_14default_configENS1_27scan_by_key_config_selectorIiiEEZZNS1_16scan_by_key_implILNS1_25lookback_scan_determinismE0ELb0ES3_N6thrust23THRUST_200600_302600_NS6detail15normal_iteratorINS9_10device_ptrIiEEEESE_SE_iNS9_4plusIvEENS9_8equal_toIvEEiEE10hipError_tPvRmT2_T3_T4_T5_mT6_T7_P12ihipStream_tbENKUlT_T0_E_clISt17integral_constantIbLb1EESY_IbLb0EEEEDaSU_SV_EUlSU_E_NS1_11comp_targetILNS1_3genE5ELNS1_11target_archE942ELNS1_3gpuE9ELNS1_3repE0EEENS1_30default_config_static_selectorELNS0_4arch9wavefront6targetE1EEEvT1_,comdat
.Lfunc_end146:
	.size	_ZN7rocprim17ROCPRIM_400000_NS6detail17trampoline_kernelINS0_14default_configENS1_27scan_by_key_config_selectorIiiEEZZNS1_16scan_by_key_implILNS1_25lookback_scan_determinismE0ELb0ES3_N6thrust23THRUST_200600_302600_NS6detail15normal_iteratorINS9_10device_ptrIiEEEESE_SE_iNS9_4plusIvEENS9_8equal_toIvEEiEE10hipError_tPvRmT2_T3_T4_T5_mT6_T7_P12ihipStream_tbENKUlT_T0_E_clISt17integral_constantIbLb1EESY_IbLb0EEEEDaSU_SV_EUlSU_E_NS1_11comp_targetILNS1_3genE5ELNS1_11target_archE942ELNS1_3gpuE9ELNS1_3repE0EEENS1_30default_config_static_selectorELNS0_4arch9wavefront6targetE1EEEvT1_, .Lfunc_end146-_ZN7rocprim17ROCPRIM_400000_NS6detail17trampoline_kernelINS0_14default_configENS1_27scan_by_key_config_selectorIiiEEZZNS1_16scan_by_key_implILNS1_25lookback_scan_determinismE0ELb0ES3_N6thrust23THRUST_200600_302600_NS6detail15normal_iteratorINS9_10device_ptrIiEEEESE_SE_iNS9_4plusIvEENS9_8equal_toIvEEiEE10hipError_tPvRmT2_T3_T4_T5_mT6_T7_P12ihipStream_tbENKUlT_T0_E_clISt17integral_constantIbLb1EESY_IbLb0EEEEDaSU_SV_EUlSU_E_NS1_11comp_targetILNS1_3genE5ELNS1_11target_archE942ELNS1_3gpuE9ELNS1_3repE0EEENS1_30default_config_static_selectorELNS0_4arch9wavefront6targetE1EEEvT1_
                                        ; -- End function
	.section	.AMDGPU.csdata,"",@progbits
; Kernel info:
; codeLenInByte = 0
; NumSgprs: 4
; NumVgprs: 0
; NumAgprs: 0
; TotalNumVgprs: 0
; ScratchSize: 0
; MemoryBound: 0
; FloatMode: 240
; IeeeMode: 1
; LDSByteSize: 0 bytes/workgroup (compile time only)
; SGPRBlocks: 0
; VGPRBlocks: 0
; NumSGPRsForWavesPerEU: 4
; NumVGPRsForWavesPerEU: 1
; AccumOffset: 4
; Occupancy: 8
; WaveLimiterHint : 0
; COMPUTE_PGM_RSRC2:SCRATCH_EN: 0
; COMPUTE_PGM_RSRC2:USER_SGPR: 6
; COMPUTE_PGM_RSRC2:TRAP_HANDLER: 0
; COMPUTE_PGM_RSRC2:TGID_X_EN: 1
; COMPUTE_PGM_RSRC2:TGID_Y_EN: 0
; COMPUTE_PGM_RSRC2:TGID_Z_EN: 0
; COMPUTE_PGM_RSRC2:TIDIG_COMP_CNT: 0
; COMPUTE_PGM_RSRC3_GFX90A:ACCUM_OFFSET: 0
; COMPUTE_PGM_RSRC3_GFX90A:TG_SPLIT: 0
	.section	.text._ZN7rocprim17ROCPRIM_400000_NS6detail17trampoline_kernelINS0_14default_configENS1_27scan_by_key_config_selectorIiiEEZZNS1_16scan_by_key_implILNS1_25lookback_scan_determinismE0ELb0ES3_N6thrust23THRUST_200600_302600_NS6detail15normal_iteratorINS9_10device_ptrIiEEEESE_SE_iNS9_4plusIvEENS9_8equal_toIvEEiEE10hipError_tPvRmT2_T3_T4_T5_mT6_T7_P12ihipStream_tbENKUlT_T0_E_clISt17integral_constantIbLb1EESY_IbLb0EEEEDaSU_SV_EUlSU_E_NS1_11comp_targetILNS1_3genE4ELNS1_11target_archE910ELNS1_3gpuE8ELNS1_3repE0EEENS1_30default_config_static_selectorELNS0_4arch9wavefront6targetE1EEEvT1_,"axG",@progbits,_ZN7rocprim17ROCPRIM_400000_NS6detail17trampoline_kernelINS0_14default_configENS1_27scan_by_key_config_selectorIiiEEZZNS1_16scan_by_key_implILNS1_25lookback_scan_determinismE0ELb0ES3_N6thrust23THRUST_200600_302600_NS6detail15normal_iteratorINS9_10device_ptrIiEEEESE_SE_iNS9_4plusIvEENS9_8equal_toIvEEiEE10hipError_tPvRmT2_T3_T4_T5_mT6_T7_P12ihipStream_tbENKUlT_T0_E_clISt17integral_constantIbLb1EESY_IbLb0EEEEDaSU_SV_EUlSU_E_NS1_11comp_targetILNS1_3genE4ELNS1_11target_archE910ELNS1_3gpuE8ELNS1_3repE0EEENS1_30default_config_static_selectorELNS0_4arch9wavefront6targetE1EEEvT1_,comdat
	.protected	_ZN7rocprim17ROCPRIM_400000_NS6detail17trampoline_kernelINS0_14default_configENS1_27scan_by_key_config_selectorIiiEEZZNS1_16scan_by_key_implILNS1_25lookback_scan_determinismE0ELb0ES3_N6thrust23THRUST_200600_302600_NS6detail15normal_iteratorINS9_10device_ptrIiEEEESE_SE_iNS9_4plusIvEENS9_8equal_toIvEEiEE10hipError_tPvRmT2_T3_T4_T5_mT6_T7_P12ihipStream_tbENKUlT_T0_E_clISt17integral_constantIbLb1EESY_IbLb0EEEEDaSU_SV_EUlSU_E_NS1_11comp_targetILNS1_3genE4ELNS1_11target_archE910ELNS1_3gpuE8ELNS1_3repE0EEENS1_30default_config_static_selectorELNS0_4arch9wavefront6targetE1EEEvT1_ ; -- Begin function _ZN7rocprim17ROCPRIM_400000_NS6detail17trampoline_kernelINS0_14default_configENS1_27scan_by_key_config_selectorIiiEEZZNS1_16scan_by_key_implILNS1_25lookback_scan_determinismE0ELb0ES3_N6thrust23THRUST_200600_302600_NS6detail15normal_iteratorINS9_10device_ptrIiEEEESE_SE_iNS9_4plusIvEENS9_8equal_toIvEEiEE10hipError_tPvRmT2_T3_T4_T5_mT6_T7_P12ihipStream_tbENKUlT_T0_E_clISt17integral_constantIbLb1EESY_IbLb0EEEEDaSU_SV_EUlSU_E_NS1_11comp_targetILNS1_3genE4ELNS1_11target_archE910ELNS1_3gpuE8ELNS1_3repE0EEENS1_30default_config_static_selectorELNS0_4arch9wavefront6targetE1EEEvT1_
	.globl	_ZN7rocprim17ROCPRIM_400000_NS6detail17trampoline_kernelINS0_14default_configENS1_27scan_by_key_config_selectorIiiEEZZNS1_16scan_by_key_implILNS1_25lookback_scan_determinismE0ELb0ES3_N6thrust23THRUST_200600_302600_NS6detail15normal_iteratorINS9_10device_ptrIiEEEESE_SE_iNS9_4plusIvEENS9_8equal_toIvEEiEE10hipError_tPvRmT2_T3_T4_T5_mT6_T7_P12ihipStream_tbENKUlT_T0_E_clISt17integral_constantIbLb1EESY_IbLb0EEEEDaSU_SV_EUlSU_E_NS1_11comp_targetILNS1_3genE4ELNS1_11target_archE910ELNS1_3gpuE8ELNS1_3repE0EEENS1_30default_config_static_selectorELNS0_4arch9wavefront6targetE1EEEvT1_
	.p2align	8
	.type	_ZN7rocprim17ROCPRIM_400000_NS6detail17trampoline_kernelINS0_14default_configENS1_27scan_by_key_config_selectorIiiEEZZNS1_16scan_by_key_implILNS1_25lookback_scan_determinismE0ELb0ES3_N6thrust23THRUST_200600_302600_NS6detail15normal_iteratorINS9_10device_ptrIiEEEESE_SE_iNS9_4plusIvEENS9_8equal_toIvEEiEE10hipError_tPvRmT2_T3_T4_T5_mT6_T7_P12ihipStream_tbENKUlT_T0_E_clISt17integral_constantIbLb1EESY_IbLb0EEEEDaSU_SV_EUlSU_E_NS1_11comp_targetILNS1_3genE4ELNS1_11target_archE910ELNS1_3gpuE8ELNS1_3repE0EEENS1_30default_config_static_selectorELNS0_4arch9wavefront6targetE1EEEvT1_,@function
_ZN7rocprim17ROCPRIM_400000_NS6detail17trampoline_kernelINS0_14default_configENS1_27scan_by_key_config_selectorIiiEEZZNS1_16scan_by_key_implILNS1_25lookback_scan_determinismE0ELb0ES3_N6thrust23THRUST_200600_302600_NS6detail15normal_iteratorINS9_10device_ptrIiEEEESE_SE_iNS9_4plusIvEENS9_8equal_toIvEEiEE10hipError_tPvRmT2_T3_T4_T5_mT6_T7_P12ihipStream_tbENKUlT_T0_E_clISt17integral_constantIbLb1EESY_IbLb0EEEEDaSU_SV_EUlSU_E_NS1_11comp_targetILNS1_3genE4ELNS1_11target_archE910ELNS1_3gpuE8ELNS1_3repE0EEENS1_30default_config_static_selectorELNS0_4arch9wavefront6targetE1EEEvT1_: ; @_ZN7rocprim17ROCPRIM_400000_NS6detail17trampoline_kernelINS0_14default_configENS1_27scan_by_key_config_selectorIiiEEZZNS1_16scan_by_key_implILNS1_25lookback_scan_determinismE0ELb0ES3_N6thrust23THRUST_200600_302600_NS6detail15normal_iteratorINS9_10device_ptrIiEEEESE_SE_iNS9_4plusIvEENS9_8equal_toIvEEiEE10hipError_tPvRmT2_T3_T4_T5_mT6_T7_P12ihipStream_tbENKUlT_T0_E_clISt17integral_constantIbLb1EESY_IbLb0EEEEDaSU_SV_EUlSU_E_NS1_11comp_targetILNS1_3genE4ELNS1_11target_archE910ELNS1_3gpuE8ELNS1_3repE0EEENS1_30default_config_static_selectorELNS0_4arch9wavefront6targetE1EEEvT1_
; %bb.0:
	s_load_dwordx8 s[36:43], s[4:5], 0x0
	s_load_dwordx4 s[52:55], s[4:5], 0x28
	s_load_dwordx2 s[56:57], s[4:5], 0x38
	s_load_dword s0, s[4:5], 0x40
	s_load_dwordx8 s[44:51], s[4:5], 0x48
	s_waitcnt lgkmcnt(0)
	s_lshl_b64 s[38:39], s[38:39], 2
	s_add_u32 s2, s36, s38
	s_addc_u32 s3, s37, s39
	s_add_u32 s4, s40, s38
	s_mul_i32 s1, s57, s0
	s_mul_hi_u32 s7, s56, s0
	s_addc_u32 s5, s41, s39
	s_add_i32 s8, s7, s1
	s_mul_i32 s9, s56, s0
	s_cmp_lg_u64 s[48:49], 0
	s_mul_i32 s0, s6, 0xe00
	s_mov_b32 s1, 0
	s_cselect_b64 s[40:41], -1, 0
	s_lshl_b64 s[36:37], s[0:1], 2
	s_add_u32 s34, s2, s36
	s_addc_u32 s35, s3, s37
	s_add_u32 s7, s4, s36
	s_addc_u32 s55, s5, s37
	;; [unrolled: 2-line block ×3, first 2 shown]
	s_add_u32 s2, s44, -1
	s_addc_u32 s3, s45, -1
	v_pk_mov_b32 v[2:3], s[2:3], s[2:3] op_sel:[0,1]
	v_cmp_ge_u64_e64 s[0:1], s[48:49], v[2:3]
	s_mov_b64 s[18:19], 0
	s_mov_b64 s[4:5], -1
	s_and_b64 vcc, exec, s[0:1]
	s_mul_i32 s33, s2, 0xfffff200
	s_barrier
	s_cbranch_vccz .LBB147_77
; %bb.1:
	v_pk_mov_b32 v[2:3], s[34:35], s[34:35] op_sel:[0,1]
	flat_load_dword v1, v[2:3]
	s_add_i32 s60, s33, s54
	v_cmp_gt_u32_e64 s[2:3], s60, v0
	s_waitcnt vmcnt(0) lgkmcnt(0)
	v_mov_b32_e32 v13, v1
	s_and_saveexec_b64 s[4:5], s[2:3]
	s_cbranch_execz .LBB147_3
; %bb.2:
	v_lshlrev_b32_e32 v2, 2, v0
	v_mov_b32_e32 v3, s35
	v_add_co_u32_e32 v2, vcc, s34, v2
	v_addc_co_u32_e32 v3, vcc, 0, v3, vcc
	flat_load_dword v13, v[2:3]
.LBB147_3:
	s_or_b64 exec, exec, s[4:5]
	v_or_b32_e32 v2, 0x100, v0
	v_cmp_gt_u32_e64 s[4:5], s60, v2
	v_mov_b32_e32 v14, v1
	s_and_saveexec_b64 s[8:9], s[4:5]
	s_cbranch_execz .LBB147_5
; %bb.4:
	v_lshlrev_b32_e32 v2, 2, v0
	v_mov_b32_e32 v3, s35
	v_add_co_u32_e32 v2, vcc, s34, v2
	v_addc_co_u32_e32 v3, vcc, 0, v3, vcc
	flat_load_dword v14, v[2:3] offset:1024
.LBB147_5:
	s_or_b64 exec, exec, s[8:9]
	v_or_b32_e32 v2, 0x200, v0
	v_cmp_gt_u32_e64 s[30:31], s60, v2
	v_mov_b32_e32 v15, v1
	s_and_saveexec_b64 s[8:9], s[30:31]
	s_cbranch_execz .LBB147_7
; %bb.6:
	v_lshlrev_b32_e32 v2, 2, v0
	v_mov_b32_e32 v3, s35
	v_add_co_u32_e32 v2, vcc, s34, v2
	v_addc_co_u32_e32 v3, vcc, 0, v3, vcc
	flat_load_dword v15, v[2:3] offset:2048
.LBB147_7:
	;; [unrolled: 13-line block ×3, first 2 shown]
	s_or_b64 exec, exec, s[10:11]
	v_or_b32_e32 v2, 0x400, v0
	v_cmp_gt_u32_e64 s[10:11], s60, v2
	v_mov_b32_e32 v17, v1
	s_and_saveexec_b64 s[12:13], s[10:11]
	s_cbranch_execz .LBB147_11
; %bb.10:
	v_lshlrev_b32_e32 v3, 2, v2
	v_mov_b32_e32 v5, s35
	v_add_co_u32_e32 v4, vcc, s34, v3
	v_addc_co_u32_e32 v5, vcc, 0, v5, vcc
	flat_load_dword v17, v[4:5]
.LBB147_11:
	s_or_b64 exec, exec, s[12:13]
	v_or_b32_e32 v3, 0x500, v0
	v_cmp_gt_u32_e64 s[12:13], s60, v3
	v_mov_b32_e32 v18, v1
	s_and_saveexec_b64 s[14:15], s[12:13]
	s_cbranch_execz .LBB147_13
; %bb.12:
	v_lshlrev_b32_e32 v4, 2, v3
	v_mov_b32_e32 v5, s35
	v_add_co_u32_e32 v4, vcc, s34, v4
	v_addc_co_u32_e32 v5, vcc, 0, v5, vcc
	flat_load_dword v18, v[4:5]
.LBB147_13:
	;; [unrolled: 13-line block ×9, first 2 shown]
	s_or_b64 exec, exec, s[28:29]
	v_or_b32_e32 v11, 0xd00, v0
	v_cmp_gt_u32_e64 s[28:29], s60, v11
	s_and_saveexec_b64 s[44:45], s[28:29]
	s_cbranch_execz .LBB147_29
; %bb.28:
	v_lshlrev_b32_e32 v1, 2, v11
	v_mov_b32_e32 v12, s35
	v_add_co_u32_e32 v26, vcc, s34, v1
	v_addc_co_u32_e32 v27, vcc, 0, v12, vcc
	flat_load_dword v1, v[26:27]
.LBB147_29:
	s_or_b64 exec, exec, s[44:45]
	v_lshlrev_b32_e32 v12, 2, v0
	s_waitcnt vmcnt(0) lgkmcnt(0)
	ds_write2st64_b32 v12, v13, v14 offset1:4
	ds_write2st64_b32 v12, v15, v16 offset0:8 offset1:12
	ds_write2st64_b32 v12, v17, v18 offset0:16 offset1:20
	ds_write2st64_b32 v12, v19, v20 offset0:24 offset1:28
	ds_write2st64_b32 v12, v21, v22 offset0:32 offset1:36
	ds_write2st64_b32 v12, v23, v24 offset0:40 offset1:44
	ds_write2st64_b32 v12, v25, v1 offset0:48 offset1:52
	v_mad_u32_u24 v1, v0, 52, v12
	s_waitcnt lgkmcnt(0)
	s_barrier
	ds_read2_b64 v[34:37], v1 offset1:1
	ds_read2_b64 v[30:33], v1 offset0:2 offset1:3
	ds_read2_b64 v[26:29], v1 offset0:4 offset1:5
	ds_read_b64 v[40:41], v1 offset:48
	s_cmp_eq_u64 s[48:49], 0
	s_mov_b64 s[44:45], s[34:35]
	s_cbranch_scc1 .LBB147_33
; %bb.30:
	s_andn2_b64 vcc, exec, s[40:41]
	s_cbranch_vccnz .LBB147_183
; %bb.31:
	s_lshl_b64 s[44:45], s[48:49], 2
	s_add_u32 s44, s50, s44
	s_addc_u32 s45, s51, s45
	s_add_u32 s44, s44, -4
	s_addc_u32 s45, s45, -1
	s_cbranch_execnz .LBB147_33
.LBB147_32:
	s_add_u32 s44, s34, -4
	s_addc_u32 s45, s35, -1
.LBB147_33:
	v_pk_mov_b32 v[14:15], s[44:45], s[44:45] op_sel:[0,1]
	flat_load_dword v44, v[14:15]
	s_movk_i32 s44, 0xffcc
	v_mad_i32_i24 v13, v0, s44, v1
	v_cmp_ne_u32_e32 vcc, 0, v0
	s_waitcnt lgkmcnt(0)
	ds_write_b32 v13, v41 offset:14336
	s_waitcnt lgkmcnt(0)
	s_barrier
	s_and_saveexec_b64 s[44:45], vcc
	s_cbranch_execz .LBB147_35
; %bb.34:
	v_mul_i32_i24_e32 v13, 0xffffffcc, v0
	v_add_u32_e32 v13, v1, v13
	s_waitcnt vmcnt(0)
	ds_read_b32 v44, v13 offset:14332
.LBB147_35:
	s_or_b64 exec, exec, s[44:45]
	s_waitcnt lgkmcnt(0)
	s_barrier
	s_waitcnt lgkmcnt(0)
                                        ; implicit-def: $vgpr13
	s_and_saveexec_b64 s[44:45], s[2:3]
	s_cbranch_execnz .LBB147_170
; %bb.36:
	s_or_b64 exec, exec, s[44:45]
                                        ; implicit-def: $vgpr14
	s_and_saveexec_b64 s[2:3], s[4:5]
	s_cbranch_execnz .LBB147_171
.LBB147_37:
	s_or_b64 exec, exec, s[2:3]
                                        ; implicit-def: $vgpr15
	s_and_saveexec_b64 s[2:3], s[30:31]
	s_cbranch_execnz .LBB147_172
.LBB147_38:
	s_or_b64 exec, exec, s[2:3]
                                        ; implicit-def: $vgpr16
	s_and_saveexec_b64 s[2:3], s[8:9]
	s_cbranch_execnz .LBB147_173
.LBB147_39:
	s_or_b64 exec, exec, s[2:3]
                                        ; implicit-def: $vgpr17
	s_and_saveexec_b64 s[2:3], s[10:11]
	s_cbranch_execnz .LBB147_174
.LBB147_40:
	s_or_b64 exec, exec, s[2:3]
                                        ; implicit-def: $vgpr2
	s_and_saveexec_b64 s[2:3], s[12:13]
	s_cbranch_execnz .LBB147_175
.LBB147_41:
	s_or_b64 exec, exec, s[2:3]
                                        ; implicit-def: $vgpr3
	s_and_saveexec_b64 s[2:3], s[14:15]
	s_cbranch_execnz .LBB147_176
.LBB147_42:
	s_or_b64 exec, exec, s[2:3]
                                        ; implicit-def: $vgpr4
	s_and_saveexec_b64 s[2:3], s[16:17]
	s_cbranch_execnz .LBB147_177
.LBB147_43:
	s_or_b64 exec, exec, s[2:3]
                                        ; implicit-def: $vgpr5
	s_and_saveexec_b64 s[2:3], s[18:19]
	s_cbranch_execnz .LBB147_178
.LBB147_44:
	s_or_b64 exec, exec, s[2:3]
                                        ; implicit-def: $vgpr6
	s_and_saveexec_b64 s[2:3], s[20:21]
	s_cbranch_execnz .LBB147_179
.LBB147_45:
	s_or_b64 exec, exec, s[2:3]
                                        ; implicit-def: $vgpr7
	s_and_saveexec_b64 s[2:3], s[22:23]
	s_cbranch_execnz .LBB147_180
.LBB147_46:
	s_or_b64 exec, exec, s[2:3]
                                        ; implicit-def: $vgpr8
	s_and_saveexec_b64 s[2:3], s[24:25]
	s_cbranch_execnz .LBB147_181
.LBB147_47:
	s_or_b64 exec, exec, s[2:3]
                                        ; implicit-def: $vgpr9
	s_and_saveexec_b64 s[2:3], s[26:27]
	s_cbranch_execnz .LBB147_182
.LBB147_48:
	s_or_b64 exec, exec, s[2:3]
                                        ; implicit-def: $vgpr10
	s_and_saveexec_b64 s[2:3], s[28:29]
	s_cbranch_execz .LBB147_50
.LBB147_49:
	v_lshlrev_b32_e32 v10, 2, v11
	v_mov_b32_e32 v11, s55
	v_add_co_u32_e32 v10, vcc, s7, v10
	v_addc_co_u32_e32 v11, vcc, 0, v11, vcc
	flat_load_dword v10, v[10:11]
.LBB147_50:
	s_or_b64 exec, exec, s[2:3]
	s_mov_b32 s8, 0
	s_mov_b32 s9, s8
	s_waitcnt vmcnt(0) lgkmcnt(0)
	ds_write2st64_b32 v12, v13, v14 offset1:4
	ds_write2st64_b32 v12, v15, v16 offset0:8 offset1:12
	ds_write2st64_b32 v12, v17, v2 offset0:16 offset1:20
	;; [unrolled: 1-line block ×6, first 2 shown]
	s_mov_b32 s10, s8
	s_mov_b32 s11, s8
	;; [unrolled: 1-line block ×6, first 2 shown]
	v_pk_mov_b32 v[2:3], s[8:9], s[8:9] op_sel:[0,1]
	v_pk_mov_b32 v[8:9], s[14:15], s[14:15] op_sel:[0,1]
	v_mul_u32_u24_e32 v42, 14, v0
	v_pk_mov_b32 v[4:5], s[10:11], s[10:11] op_sel:[0,1]
	v_pk_mov_b32 v[6:7], s[12:13], s[12:13] op_sel:[0,1]
	;; [unrolled: 1-line block ×4, first 2 shown]
	v_cmp_gt_u32_e32 vcc, s60, v42
	s_mov_b64 s[4:5], 0
	v_pk_mov_b32 v[38:39], 0, 0
	s_mov_b64 s[18:19], 0
	v_pk_mov_b32 v[14:15], v[6:7], v[6:7] op_sel:[0,1]
	v_pk_mov_b32 v[12:13], v[4:5], v[4:5] op_sel:[0,1]
	;; [unrolled: 1-line block ×6, first 2 shown]
	s_waitcnt lgkmcnt(0)
	s_barrier
	s_waitcnt lgkmcnt(0)
                                        ; implicit-def: $sgpr2_sgpr3
                                        ; implicit-def: $vgpr43
	s_and_saveexec_b64 s[16:17], vcc
	s_cbranch_execz .LBB147_76
; %bb.51:
	v_or_b32_e32 v2, 1, v42
	ds_read_b32 v38, v1
	v_cmp_ne_u32_e32 vcc, v44, v34
	v_cndmask_b32_e64 v39, 0, 1, vcc
	v_cmp_gt_u32_e32 vcc, s60, v2
	v_pk_mov_b32 v[2:3], s[8:9], s[8:9] op_sel:[0,1]
	v_pk_mov_b32 v[8:9], s[14:15], s[14:15] op_sel:[0,1]
	;; [unrolled: 1-line block ×6, first 2 shown]
	s_mov_b64 s[20:21], 0
	v_pk_mov_b32 v[14:15], v[6:7], v[6:7] op_sel:[0,1]
	v_pk_mov_b32 v[12:13], v[4:5], v[4:5] op_sel:[0,1]
	;; [unrolled: 1-line block ×6, first 2 shown]
                                        ; implicit-def: $sgpr8_sgpr9
                                        ; implicit-def: $vgpr43
	s_and_saveexec_b64 s[18:19], vcc
	s_cbranch_execz .LBB147_75
; %bb.52:
	ds_read2_b32 v[44:45], v1 offset0:1 offset1:2
	s_mov_b32 s8, 0
	s_mov_b32 s14, s8
	;; [unrolled: 1-line block ×8, first 2 shown]
	v_pk_mov_b32 v[16:17], s[14:15], s[14:15] op_sel:[0,1]
	v_add_u32_e32 v2, 2, v42
	v_cmp_ne_u32_e32 vcc, v34, v35
	v_mov_b32_e32 v6, 0
	v_pk_mov_b32 v[14:15], s[12:13], s[12:13] op_sel:[0,1]
	v_pk_mov_b32 v[12:13], s[10:11], s[10:11] op_sel:[0,1]
	;; [unrolled: 1-line block ×4, first 2 shown]
	v_cndmask_b32_e64 v3, 0, 1, vcc
	v_cmp_gt_u32_e32 vcc, s60, v2
	s_waitcnt lgkmcnt(0)
	v_mov_b32_e32 v2, v44
	v_mov_b32_e32 v4, v6
	;; [unrolled: 1-line block ×6, first 2 shown]
	s_mov_b64 s[2:3], 0
	v_pk_mov_b32 v[22:23], v[14:15], v[14:15] op_sel:[0,1]
	v_pk_mov_b32 v[20:21], v[12:13], v[12:13] op_sel:[0,1]
	v_pk_mov_b32 v[18:19], v[10:11], v[10:11] op_sel:[0,1]
                                        ; implicit-def: $sgpr22_sgpr23
                                        ; implicit-def: $vgpr43
	s_and_saveexec_b64 s[20:21], vcc
	s_cbranch_execz .LBB147_74
; %bb.53:
	v_pk_mov_b32 v[16:17], s[14:15], s[14:15] op_sel:[0,1]
	v_add_u32_e32 v2, 3, v42
	v_cmp_ne_u32_e32 vcc, v35, v36
	v_pk_mov_b32 v[14:15], s[12:13], s[12:13] op_sel:[0,1]
	v_pk_mov_b32 v[12:13], s[10:11], s[10:11] op_sel:[0,1]
	;; [unrolled: 1-line block ×4, first 2 shown]
	v_cndmask_b32_e64 v5, 0, 1, vcc
	v_cmp_gt_u32_e32 vcc, s60, v2
	v_mov_b32_e32 v2, v44
	v_mov_b32_e32 v4, v45
	;; [unrolled: 1-line block ×5, first 2 shown]
	v_pk_mov_b32 v[22:23], v[14:15], v[14:15] op_sel:[0,1]
	v_pk_mov_b32 v[20:21], v[12:13], v[12:13] op_sel:[0,1]
	;; [unrolled: 1-line block ×3, first 2 shown]
                                        ; implicit-def: $sgpr8_sgpr9
                                        ; implicit-def: $vgpr43
	s_and_saveexec_b64 s[22:23], vcc
	s_cbranch_execz .LBB147_73
; %bb.54:
	ds_read2_b32 v[34:35], v1 offset0:3 offset1:4
	s_mov_b32 s8, 0
	s_mov_b32 s14, s8
	;; [unrolled: 1-line block ×8, first 2 shown]
	v_pk_mov_b32 v[16:17], s[14:15], s[14:15] op_sel:[0,1]
	v_add_u32_e32 v6, 4, v42
	v_cmp_ne_u32_e32 vcc, v36, v37
	v_pk_mov_b32 v[14:15], s[12:13], s[12:13] op_sel:[0,1]
	v_pk_mov_b32 v[12:13], s[10:11], s[10:11] op_sel:[0,1]
	;; [unrolled: 1-line block ×4, first 2 shown]
	v_cndmask_b32_e64 v7, 0, 1, vcc
	v_cmp_gt_u32_e32 vcc, s60, v6
	s_waitcnt lgkmcnt(0)
	v_mov_b32_e32 v6, v34
	v_mov_b32_e32 v8, s8
	;; [unrolled: 1-line block ×3, first 2 shown]
	v_pk_mov_b32 v[22:23], v[14:15], v[14:15] op_sel:[0,1]
	v_pk_mov_b32 v[20:21], v[12:13], v[12:13] op_sel:[0,1]
	;; [unrolled: 1-line block ×3, first 2 shown]
                                        ; implicit-def: $sgpr26_sgpr27
                                        ; implicit-def: $vgpr43
	s_and_saveexec_b64 s[24:25], vcc
	s_cbranch_execz .LBB147_72
; %bb.55:
	v_pk_mov_b32 v[16:17], s[14:15], s[14:15] op_sel:[0,1]
	v_add_u32_e32 v8, 5, v42
	v_cmp_ne_u32_e32 vcc, v37, v30
	v_pk_mov_b32 v[14:15], s[12:13], s[12:13] op_sel:[0,1]
	v_pk_mov_b32 v[12:13], s[10:11], s[10:11] op_sel:[0,1]
	;; [unrolled: 1-line block ×4, first 2 shown]
	v_cndmask_b32_e64 v9, 0, 1, vcc
	v_cmp_gt_u32_e32 vcc, s60, v8
	v_mov_b32_e32 v8, v35
	v_pk_mov_b32 v[22:23], v[14:15], v[14:15] op_sel:[0,1]
	v_pk_mov_b32 v[20:21], v[12:13], v[12:13] op_sel:[0,1]
	;; [unrolled: 1-line block ×3, first 2 shown]
                                        ; implicit-def: $sgpr8_sgpr9
                                        ; implicit-def: $vgpr43
	s_and_saveexec_b64 s[26:27], vcc
	s_cbranch_execz .LBB147_71
; %bb.56:
	ds_read2_b32 v[34:35], v1 offset0:5 offset1:6
	s_mov_b32 s8, 0
	s_mov_b32 s14, s8
	;; [unrolled: 1-line block ×3, first 2 shown]
	v_add_u32_e32 v10, 6, v42
	v_cmp_ne_u32_e32 vcc, v30, v31
	v_mov_b32_e32 v14, 0
	s_mov_b32 s9, s8
	s_mov_b32 s10, s8
	;; [unrolled: 1-line block ×5, first 2 shown]
	v_pk_mov_b32 v[24:25], s[14:15], s[14:15] op_sel:[0,1]
	v_cndmask_b32_e64 v11, 0, 1, vcc
	v_cmp_gt_u32_e32 vcc, s60, v10
	s_waitcnt lgkmcnt(0)
	v_mov_b32_e32 v10, v34
	v_mov_b32_e32 v12, v14
	;; [unrolled: 1-line block ×6, first 2 shown]
	v_pk_mov_b32 v[22:23], s[12:13], s[12:13] op_sel:[0,1]
	v_pk_mov_b32 v[20:21], s[10:11], s[10:11] op_sel:[0,1]
	;; [unrolled: 1-line block ×3, first 2 shown]
                                        ; implicit-def: $sgpr30_sgpr31
                                        ; implicit-def: $vgpr43
	s_and_saveexec_b64 s[28:29], vcc
	s_cbranch_execz .LBB147_70
; %bb.57:
	v_add_u32_e32 v10, 7, v42
	v_cmp_ne_u32_e32 vcc, v31, v32
	v_pk_mov_b32 v[24:25], s[14:15], s[14:15] op_sel:[0,1]
	v_cndmask_b32_e64 v13, 0, 1, vcc
	v_cmp_gt_u32_e32 vcc, s60, v10
	v_mov_b32_e32 v10, v34
	v_mov_b32_e32 v12, v35
	;; [unrolled: 1-line block ×5, first 2 shown]
	v_pk_mov_b32 v[22:23], s[12:13], s[12:13] op_sel:[0,1]
	v_pk_mov_b32 v[20:21], s[10:11], s[10:11] op_sel:[0,1]
	;; [unrolled: 1-line block ×3, first 2 shown]
                                        ; implicit-def: $sgpr8_sgpr9
                                        ; implicit-def: $vgpr43
	s_and_saveexec_b64 s[30:31], vcc
	s_cbranch_execz .LBB147_69
; %bb.58:
	ds_read2_b32 v[30:31], v1 offset0:7 offset1:8
	s_mov_b32 s8, 0
	s_mov_b32 s14, s8
	;; [unrolled: 1-line block ×3, first 2 shown]
	v_add_u32_e32 v14, 8, v42
	v_cmp_ne_u32_e32 vcc, v32, v33
	s_mov_b32 s9, s8
	s_mov_b32 s10, s8
	;; [unrolled: 1-line block ×5, first 2 shown]
	v_pk_mov_b32 v[24:25], s[14:15], s[14:15] op_sel:[0,1]
	v_cndmask_b32_e64 v15, 0, 1, vcc
	v_cmp_gt_u32_e32 vcc, s60, v14
	s_waitcnt lgkmcnt(0)
	v_mov_b32_e32 v14, v30
	v_mov_b32_e32 v16, s8
	;; [unrolled: 1-line block ×3, first 2 shown]
	v_pk_mov_b32 v[22:23], s[12:13], s[12:13] op_sel:[0,1]
	v_pk_mov_b32 v[20:21], s[10:11], s[10:11] op_sel:[0,1]
	;; [unrolled: 1-line block ×3, first 2 shown]
                                        ; implicit-def: $sgpr58_sgpr59
                                        ; implicit-def: $vgpr43
	s_and_saveexec_b64 s[44:45], vcc
	s_cbranch_execz .LBB147_68
; %bb.59:
	v_add_u32_e32 v16, 9, v42
	v_cmp_ne_u32_e32 vcc, v33, v26
	v_pk_mov_b32 v[24:25], s[14:15], s[14:15] op_sel:[0,1]
	v_cndmask_b32_e64 v17, 0, 1, vcc
	v_cmp_gt_u32_e32 vcc, s60, v16
	v_mov_b32_e32 v16, v31
	v_pk_mov_b32 v[22:23], s[12:13], s[12:13] op_sel:[0,1]
	v_pk_mov_b32 v[20:21], s[10:11], s[10:11] op_sel:[0,1]
	;; [unrolled: 1-line block ×3, first 2 shown]
                                        ; implicit-def: $sgpr10_sgpr11
                                        ; implicit-def: $vgpr43
	s_and_saveexec_b64 s[8:9], vcc
	s_cbranch_execz .LBB147_67
; %bb.60:
	ds_read2_b32 v[30:31], v1 offset0:9 offset1:10
	v_add_u32_e32 v18, 10, v42
	v_cmp_ne_u32_e32 vcc, v26, v27
	v_mov_b32_e32 v22, 0
	v_cndmask_b32_e64 v19, 0, 1, vcc
	v_cmp_gt_u32_e32 vcc, s60, v18
	s_waitcnt lgkmcnt(0)
	v_mov_b32_e32 v18, v30
	v_mov_b32_e32 v20, v22
	;; [unrolled: 1-line block ×6, first 2 shown]
                                        ; implicit-def: $sgpr12_sgpr13
                                        ; implicit-def: $vgpr43
	s_and_saveexec_b64 s[10:11], vcc
	s_cbranch_execz .LBB147_66
; %bb.61:
	v_add_u32_e32 v18, 11, v42
	v_cmp_ne_u32_e32 vcc, v27, v28
	v_cndmask_b32_e64 v21, 0, 1, vcc
	v_cmp_gt_u32_e32 vcc, s60, v18
	s_mov_b32 s58, 0
	v_mov_b32_e32 v18, v30
	v_mov_b32_e32 v20, v31
	;; [unrolled: 1-line block ×5, first 2 shown]
                                        ; implicit-def: $sgpr14_sgpr15
                                        ; implicit-def: $vgpr43
	s_and_saveexec_b64 s[12:13], vcc
	s_cbranch_execz .LBB147_65
; %bb.62:
	ds_read2_b32 v[26:27], v1 offset0:11 offset1:12
	v_add_u32_e32 v22, 12, v42
	v_cmp_ne_u32_e32 vcc, v28, v29
	v_cndmask_b32_e64 v23, 0, 1, vcc
	v_cmp_gt_u32_e32 vcc, s60, v22
	s_waitcnt lgkmcnt(0)
	v_mov_b32_e32 v22, v26
	v_mov_b32_e32 v24, s58
	;; [unrolled: 1-line block ×3, first 2 shown]
                                        ; implicit-def: $sgpr14_sgpr15
                                        ; implicit-def: $vgpr43
	s_and_saveexec_b64 s[58:59], vcc
	s_xor_b64 s[58:59], exec, s[58:59]
	s_cbranch_execz .LBB147_64
; %bb.63:
	ds_read_b32 v43, v1 offset:52
	v_add_u32_e32 v1, 13, v42
	v_cmp_ne_u32_e64 s[2:3], v29, v40
	v_cmp_ne_u32_e32 vcc, v40, v41
	v_cndmask_b32_e64 v25, 0, 1, s[2:3]
	v_cmp_gt_u32_e64 s[2:3], s60, v1
	v_mov_b32_e32 v24, v27
	s_and_b64 s[14:15], vcc, exec
	s_and_b64 s[2:3], s[2:3], exec
.LBB147_64:
	s_or_b64 exec, exec, s[58:59]
	s_and_b64 s[14:15], s[14:15], exec
	s_and_b64 s[2:3], s[2:3], exec
.LBB147_65:
	s_or_b64 exec, exec, s[12:13]
	s_and_b64 s[12:13], s[14:15], exec
	s_and_b64 s[2:3], s[2:3], exec
.LBB147_66:
	s_or_b64 exec, exec, s[10:11]
	s_and_b64 s[10:11], s[12:13], exec
	s_and_b64 s[2:3], s[2:3], exec
.LBB147_67:
	s_or_b64 exec, exec, s[8:9]
	s_and_b64 s[58:59], s[10:11], exec
	s_and_b64 s[2:3], s[2:3], exec
.LBB147_68:
	s_or_b64 exec, exec, s[44:45]
	s_and_b64 s[8:9], s[58:59], exec
	s_and_b64 s[2:3], s[2:3], exec
.LBB147_69:
	s_or_b64 exec, exec, s[30:31]
	s_and_b64 s[30:31], s[8:9], exec
	s_and_b64 s[2:3], s[2:3], exec
.LBB147_70:
	s_or_b64 exec, exec, s[28:29]
	s_and_b64 s[8:9], s[30:31], exec
	s_and_b64 s[2:3], s[2:3], exec
.LBB147_71:
	s_or_b64 exec, exec, s[26:27]
	s_and_b64 s[26:27], s[8:9], exec
	s_and_b64 s[2:3], s[2:3], exec
.LBB147_72:
	s_or_b64 exec, exec, s[24:25]
	s_and_b64 s[8:9], s[26:27], exec
	s_and_b64 s[2:3], s[2:3], exec
.LBB147_73:
	s_or_b64 exec, exec, s[22:23]
	s_and_b64 s[22:23], s[8:9], exec
	s_and_b64 s[2:3], s[2:3], exec
.LBB147_74:
	s_or_b64 exec, exec, s[20:21]
	s_and_b64 s[8:9], s[22:23], exec
	s_and_b64 s[20:21], s[2:3], exec
.LBB147_75:
	s_or_b64 exec, exec, s[18:19]
	s_and_b64 s[2:3], s[8:9], exec
	s_and_b64 s[18:19], s[20:21], exec
.LBB147_76:
	s_or_b64 exec, exec, s[16:17]
	s_and_b64 vcc, exec, s[4:5]
	v_lshlrev_b32_e32 v50, 2, v0
	s_cbranch_vccnz .LBB147_78
	s_branch .LBB147_86
.LBB147_77:
                                        ; implicit-def: $sgpr2_sgpr3
                                        ; implicit-def: $vgpr2_vgpr3_vgpr4_vgpr5_vgpr6_vgpr7_vgpr8_vgpr9
                                        ; implicit-def: $vgpr10_vgpr11_vgpr12_vgpr13_vgpr14_vgpr15_vgpr16_vgpr17
                                        ; implicit-def: $vgpr18_vgpr19_vgpr20_vgpr21_vgpr22_vgpr23_vgpr24_vgpr25
                                        ; implicit-def: $vgpr43
                                        ; implicit-def: $vgpr38_vgpr39
	s_and_b64 vcc, exec, s[4:5]
	v_lshlrev_b32_e32 v50, 2, v0
	s_cbranch_vccz .LBB147_86
.LBB147_78:
	v_mov_b32_e32 v1, s35
	v_add_co_u32_e32 v2, vcc, s34, v50
	v_addc_co_u32_e32 v3, vcc, 0, v1, vcc
	v_add_co_u32_e32 v4, vcc, 0x1000, v2
	v_addc_co_u32_e32 v5, vcc, 0, v3, vcc
	flat_load_dword v6, v[2:3]
	flat_load_dword v7, v[2:3] offset:1024
	flat_load_dword v8, v[2:3] offset:2048
	flat_load_dword v9, v[2:3] offset:3072
	flat_load_dword v10, v[4:5]
	flat_load_dword v11, v[4:5] offset:1024
	flat_load_dword v12, v[4:5] offset:2048
	;; [unrolled: 1-line block ×3, first 2 shown]
	v_add_co_u32_e32 v4, vcc, 0x2000, v2
	v_addc_co_u32_e32 v5, vcc, 0, v3, vcc
	v_add_co_u32_e32 v2, vcc, 0x3000, v2
	v_addc_co_u32_e32 v3, vcc, 0, v3, vcc
	flat_load_dword v14, v[4:5]
	flat_load_dword v15, v[4:5] offset:1024
	flat_load_dword v16, v[4:5] offset:2048
	;; [unrolled: 1-line block ×3, first 2 shown]
	flat_load_dword v18, v[2:3]
	flat_load_dword v19, v[2:3] offset:1024
	v_mad_u32_u24 v1, v0, 52, v50
	s_cmp_eq_u64 s[48:49], 0
	s_waitcnt vmcnt(0) lgkmcnt(0)
	ds_write2st64_b32 v50, v6, v7 offset1:4
	ds_write2st64_b32 v50, v8, v9 offset0:8 offset1:12
	ds_write2st64_b32 v50, v10, v11 offset0:16 offset1:20
	;; [unrolled: 1-line block ×6, first 2 shown]
	s_waitcnt lgkmcnt(0)
	s_barrier
	ds_read2_b64 v[2:5], v1 offset1:1
	ds_read2_b64 v[10:13], v1 offset0:2 offset1:3
	ds_read2_b64 v[18:21], v1 offset0:4 offset1:5
	ds_read_b64 v[6:7], v1 offset:48
	s_cbranch_scc1 .LBB147_83
; %bb.79:
	s_andn2_b64 vcc, exec, s[40:41]
	s_cbranch_vccnz .LBB147_184
; %bb.80:
	s_lshl_b64 s[2:3], s[48:49], 2
	s_add_u32 s2, s50, s2
	s_addc_u32 s3, s51, s3
	s_add_u32 s2, s2, -4
	s_addc_u32 s3, s3, -1
	s_cbranch_execnz .LBB147_82
.LBB147_81:
	s_add_u32 s2, s34, -4
	s_addc_u32 s3, s35, -1
.LBB147_82:
	s_mov_b64 s[34:35], s[2:3]
.LBB147_83:
	v_pk_mov_b32 v[8:9], s[34:35], s[34:35] op_sel:[0,1]
	flat_load_dword v8, v[8:9]
	s_movk_i32 s2, 0xffcc
	v_mad_i32_i24 v9, v0, s2, v1
	v_cmp_ne_u32_e32 vcc, 0, v0
	s_waitcnt lgkmcnt(0)
	ds_write_b32 v9, v7 offset:14336
	s_waitcnt lgkmcnt(0)
	s_barrier
	s_and_saveexec_b64 s[2:3], vcc
	s_cbranch_execz .LBB147_85
; %bb.84:
	s_waitcnt vmcnt(0)
	v_mul_i32_i24_e32 v8, 0xffffffcc, v0
	v_add_u32_e32 v8, v1, v8
	ds_read_b32 v8, v8 offset:14332
.LBB147_85:
	s_or_b64 exec, exec, s[2:3]
	v_mov_b32_e32 v9, s55
	v_add_co_u32_e32 v14, vcc, s7, v50
	v_addc_co_u32_e32 v15, vcc, 0, v9, vcc
	s_movk_i32 s2, 0x1000
	v_add_co_u32_e32 v16, vcc, s2, v14
	v_addc_co_u32_e32 v17, vcc, 0, v15, vcc
	s_movk_i32 s2, 0x2000
	s_waitcnt lgkmcnt(0)
	s_barrier
	flat_load_dword v22, v[14:15]
	flat_load_dword v24, v[14:15] offset:1024
	flat_load_dword v26, v[14:15] offset:2048
	flat_load_dword v27, v[14:15] offset:3072
	flat_load_dword v28, v[16:17]
	flat_load_dword v29, v[16:17] offset:1024
	flat_load_dword v30, v[16:17] offset:2048
	;; [unrolled: 1-line block ×3, first 2 shown]
	v_add_co_u32_e32 v16, vcc, s2, v14
	v_addc_co_u32_e32 v17, vcc, 0, v15, vcc
	s_movk_i32 s2, 0x3000
	v_add_co_u32_e32 v14, vcc, s2, v14
	v_addc_co_u32_e32 v15, vcc, 0, v15, vcc
	flat_load_dword v32, v[16:17]
	flat_load_dword v33, v[16:17] offset:1024
	flat_load_dword v34, v[16:17] offset:2048
	;; [unrolled: 1-line block ×3, first 2 shown]
	flat_load_dword v36, v[14:15]
	flat_load_dword v37, v[14:15] offset:1024
	s_waitcnt vmcnt(0)
	v_cmp_ne_u32_e32 vcc, v8, v2
	v_cndmask_b32_e64 v39, 0, 1, vcc
	v_cmp_ne_u32_e32 vcc, v5, v10
	v_cndmask_b32_e64 v9, 0, 1, vcc
	v_cmp_ne_u32_e32 vcc, v4, v5
	v_cmp_ne_u32_e64 s[2:3], v6, v7
	v_cndmask_b32_e64 v7, 0, 1, vcc
	v_cmp_ne_u32_e32 vcc, v3, v4
	v_cndmask_b32_e64 v5, 0, 1, vcc
	v_cmp_ne_u32_e32 vcc, v2, v3
	;; [unrolled: 2-line block ×10, first 2 shown]
	v_cndmask_b32_e64 v19, 0, 1, vcc
	s_mov_b64 s[18:19], -1
                                        ; implicit-def: $sgpr4_sgpr5
	s_waitcnt lgkmcnt(0)
	ds_write2st64_b32 v50, v22, v24 offset1:4
	ds_write2st64_b32 v50, v26, v27 offset0:8 offset1:12
	ds_write2st64_b32 v50, v28, v29 offset0:16 offset1:20
	;; [unrolled: 1-line block ×6, first 2 shown]
	s_waitcnt lgkmcnt(0)
	s_barrier
	ds_read2_b32 v[42:43], v1 offset1:13
	ds_read2_b32 v[26:27], v1 offset0:7 offset1:8
	ds_read2_b32 v[28:29], v1 offset0:5 offset1:6
	;; [unrolled: 1-line block ×6, first 2 shown]
	s_waitcnt lgkmcnt(6)
	v_mov_b32_e32 v38, v42
	s_waitcnt lgkmcnt(4)
	v_mov_b32_e32 v10, v28
	;; [unrolled: 2-line block ×4, first 2 shown]
	v_mov_b32_e32 v4, v33
	v_mov_b32_e32 v8, v31
	;; [unrolled: 1-line block ×5, first 2 shown]
	s_waitcnt lgkmcnt(0)
	v_mov_b32_e32 v18, v36
	v_mov_b32_e32 v20, v37
	;; [unrolled: 1-line block ×4, first 2 shown]
.LBB147_86:
	v_pk_mov_b32 v[40:41], s[4:5], s[4:5] op_sel:[0,1]
	s_and_saveexec_b64 s[4:5], s[18:19]
	s_cbranch_execz .LBB147_88
; %bb.87:
	v_cndmask_b32_e64 v41, 0, 1, s[2:3]
	s_waitcnt lgkmcnt(0)
	v_mov_b32_e32 v40, v43
.LBB147_88:
	s_or_b64 exec, exec, s[4:5]
	s_mov_b32 s26, 0
	s_cmp_lg_u32 s6, 0
	v_mbcnt_lo_u32_b32 v52, -1, 0
	v_lshrrev_b32_e32 v1, 6, v0
	v_or_b32_e32 v51, 63, v0
	s_waitcnt lgkmcnt(0)
	s_barrier
	s_cbranch_scc0 .LBB147_121
; %bb.89:
	s_mov_b32 s27, 1
	v_cmp_gt_u64_e64 s[2:3], s[26:27], v[2:3]
	v_cndmask_b32_e64 v27, 0, v38, s[2:3]
	v_add_u32_e32 v27, v27, v2
	v_cmp_gt_u64_e64 s[4:5], s[26:27], v[4:5]
	v_cndmask_b32_e64 v27, 0, v27, s[4:5]
	v_add_u32_e32 v27, v27, v4
	;; [unrolled: 3-line block ×13, first 2 shown]
	v_or3_b32 v27, v41, v25, v23
	v_or3_b32 v27, v27, v21, v19
	;; [unrolled: 1-line block ×6, first 2 shown]
	v_mov_b32_e32 v26, 0
	v_and_b32_e32 v27, 1, v27
	v_cmp_eq_u64_e32 vcc, 0, v[26:27]
	v_cndmask_b32_e32 v26, 1, v39, vcc
	v_mbcnt_hi_u32_b32 v46, -1, v52
	v_mov_b32_dpp v29, v28 row_shr:1 row_mask:0xf bank_mask:0xf
	v_mov_b32_dpp v30, v26 row_shr:1 row_mask:0xf bank_mask:0xf
	v_cmp_eq_u32_e32 vcc, 0, v26
	v_and_b32_e32 v31, 1, v26
	v_and_b32_e32 v27, 15, v46
	v_cndmask_b32_e32 v29, 0, v29, vcc
	v_and_b32_e32 v30, 1, v30
	v_cmp_eq_u32_e32 vcc, 1, v31
	v_cndmask_b32_e64 v30, v30, 1, vcc
	v_cmp_eq_u32_e32 vcc, 0, v27
	v_cndmask_b32_e32 v26, v30, v26, vcc
	v_and_b32_e32 v31, 1, v26
	v_cmp_eq_u32_e64 s[28:29], 1, v31
	v_mov_b32_dpp v30, v26 row_shr:2 row_mask:0xf bank_mask:0xf
	v_and_b32_e32 v30, 1, v30
	v_cndmask_b32_e64 v30, v30, 1, s[28:29]
	v_cmp_lt_u32_e64 s[28:29], 1, v27
	v_cndmask_b32_e64 v29, v29, 0, vcc
	v_cmp_eq_u32_e32 vcc, 0, v26
	v_cndmask_b32_e64 v26, v26, v30, s[28:29]
	v_add_u32_e32 v28, v29, v28
	v_and_b32_e32 v31, 1, v26
	v_mov_b32_dpp v30, v26 row_shr:4 row_mask:0xf bank_mask:0xf
	v_mov_b32_dpp v29, v28 row_shr:2 row_mask:0xf bank_mask:0xf
	s_and_b64 vcc, s[28:29], vcc
	v_and_b32_e32 v30, 1, v30
	v_cmp_eq_u32_e64 s[28:29], 1, v31
	v_cndmask_b32_e32 v29, 0, v29, vcc
	v_cndmask_b32_e64 v30, v30, 1, s[28:29]
	v_cmp_lt_u32_e64 s[28:29], 3, v27
	v_add_u32_e32 v28, v29, v28
	v_cmp_eq_u32_e32 vcc, 0, v26
	v_cndmask_b32_e64 v26, v26, v30, s[28:29]
	v_mov_b32_dpp v29, v28 row_shr:4 row_mask:0xf bank_mask:0xf
	s_and_b64 vcc, s[28:29], vcc
	v_mov_b32_dpp v30, v26 row_shr:8 row_mask:0xf bank_mask:0xf
	v_and_b32_e32 v31, 1, v26
	v_cndmask_b32_e32 v29, 0, v29, vcc
	v_and_b32_e32 v30, 1, v30
	v_cmp_eq_u32_e64 s[28:29], 1, v31
	v_add_u32_e32 v28, v29, v28
	v_cmp_eq_u32_e32 vcc, 0, v26
	v_cndmask_b32_e64 v30, v30, 1, s[28:29]
	v_cmp_lt_u32_e64 s[28:29], 7, v27
	v_mov_b32_dpp v29, v28 row_shr:8 row_mask:0xf bank_mask:0xf
	s_and_b64 vcc, s[28:29], vcc
	v_cndmask_b32_e32 v27, 0, v29, vcc
	v_cndmask_b32_e64 v26, v26, v30, s[28:29]
	v_add_u32_e32 v27, v27, v28
	v_cmp_eq_u32_e32 vcc, 0, v26
	v_mov_b32_dpp v29, v26 row_bcast:15 row_mask:0xf bank_mask:0xf
	v_mov_b32_dpp v28, v27 row_bcast:15 row_mask:0xf bank_mask:0xf
	v_and_b32_e32 v32, 1, v26
	v_and_b32_e32 v31, 16, v46
	v_cndmask_b32_e32 v28, 0, v28, vcc
	v_and_b32_e32 v29, 1, v29
	v_cmp_eq_u32_e32 vcc, 1, v32
	v_bfe_i32 v30, v46, 4, 1
	v_cndmask_b32_e64 v29, v29, 1, vcc
	v_cmp_eq_u32_e32 vcc, 0, v31
	v_and_b32_e32 v28, v30, v28
	v_cndmask_b32_e32 v26, v29, v26, vcc
	v_add_u32_e32 v27, v28, v27
	v_and_b32_e32 v30, 1, v26
	v_mov_b32_dpp v28, v26 row_bcast:31 row_mask:0xf bank_mask:0xf
	v_and_b32_e32 v28, 1, v28
	v_cmp_eq_u32_e64 s[28:29], 1, v30
	v_cmp_eq_u32_e32 vcc, 0, v26
	v_cndmask_b32_e64 v28, v28, 1, s[28:29]
	v_cmp_lt_u32_e64 s[28:29], 31, v46
	v_mov_b32_dpp v29, v27 row_bcast:31 row_mask:0xf bank_mask:0xf
	s_and_b64 vcc, s[28:29], vcc
	v_cndmask_b32_e64 v28, v26, v28, s[28:29]
	v_cndmask_b32_e32 v26, 0, v29, vcc
	v_add_u32_e32 v29, v26, v27
	v_cmp_eq_u32_e32 vcc, v51, v0
	s_and_saveexec_b64 s[28:29], vcc
	s_cbranch_execz .LBB147_91
; %bb.90:
	v_lshlrev_b32_e32 v26, 3, v1
	ds_write_b32 v26, v29
	ds_write_b8 v26, v28 offset:4
.LBB147_91:
	s_or_b64 exec, exec, s[28:29]
	v_cmp_gt_u32_e32 vcc, 4, v0
	s_waitcnt lgkmcnt(0)
	s_barrier
	s_and_saveexec_b64 s[28:29], vcc
	s_cbranch_execz .LBB147_95
; %bb.92:
	v_lshlrev_b32_e32 v30, 3, v0
	ds_read_b64 v[26:27], v30
	v_and_b32_e32 v31, 3, v46
	v_cmp_ne_u32_e32 vcc, 0, v31
	s_waitcnt lgkmcnt(0)
	v_mov_b32_dpp v32, v26 row_shr:1 row_mask:0xf bank_mask:0xf
	v_mov_b32_dpp v34, v27 row_shr:1 row_mask:0xf bank_mask:0xf
	v_mov_b32_e32 v33, v27
	s_and_saveexec_b64 s[34:35], vcc
	s_cbranch_execz .LBB147_94
; %bb.93:
	v_and_b32_e32 v33, 1, v27
	v_and_b32_e32 v34, 1, v34
	v_cmp_eq_u32_e32 vcc, 1, v33
	v_mov_b32_e32 v33, 0
	v_cndmask_b32_e64 v34, v34, 1, vcc
	v_cmp_eq_u16_sdwa vcc, v27, v33 src0_sel:BYTE_0 src1_sel:DWORD
	v_cndmask_b32_e32 v32, 0, v32, vcc
	v_add_u32_e32 v26, v32, v26
	v_and_b32_e32 v32, 0xffff, v34
	s_movk_i32 s7, 0xff00
	v_and_or_b32 v33, v27, s7, v32
	v_mov_b32_e32 v27, v34
.LBB147_94:
	s_or_b64 exec, exec, s[34:35]
	v_mov_b32_dpp v33, v33 row_shr:2 row_mask:0xf bank_mask:0xf
	v_and_b32_e32 v34, 1, v27
	v_and_b32_e32 v33, 1, v33
	v_cmp_eq_u32_e32 vcc, 1, v34
	v_mov_b32_e32 v34, 0
	v_cndmask_b32_e64 v33, v33, 1, vcc
	v_cmp_eq_u16_sdwa s[34:35], v27, v34 src0_sel:BYTE_0 src1_sel:DWORD
	v_cmp_lt_u32_e32 vcc, 1, v31
	v_mov_b32_dpp v32, v26 row_shr:2 row_mask:0xf bank_mask:0xf
	v_cndmask_b32_e32 v27, v27, v33, vcc
	s_and_b64 vcc, vcc, s[34:35]
	v_cndmask_b32_e32 v31, 0, v32, vcc
	v_add_u32_e32 v26, v31, v26
	ds_write_b32 v30, v26
	ds_write_b8 v30, v27 offset:4
.LBB147_95:
	s_or_b64 exec, exec, s[28:29]
	v_cmp_gt_u32_e32 vcc, 64, v0
	v_cmp_lt_u32_e64 s[28:29], 63, v0
	v_mov_b32_e32 v42, 0
	v_mov_b32_e32 v43, 0
	s_waitcnt lgkmcnt(0)
	s_barrier
	s_and_saveexec_b64 s[34:35], s[28:29]
	s_cbranch_execz .LBB147_97
; %bb.96:
	v_lshl_add_u32 v26, v1, 3, -8
	ds_read_b32 v42, v26
	ds_read_u8 v43, v26 offset:4
	v_and_b32_e32 v27, 1, v28
	v_cmp_eq_u32_e64 s[28:29], 0, v28
	s_waitcnt lgkmcnt(1)
	v_cndmask_b32_e64 v26, 0, v42, s[28:29]
	v_cmp_eq_u32_e64 s[28:29], 1, v27
	v_add_u32_e32 v29, v26, v29
	s_waitcnt lgkmcnt(0)
	v_cndmask_b32_e64 v28, v43, 1, s[28:29]
.LBB147_97:
	s_or_b64 exec, exec, s[34:35]
	v_add_u32_e32 v26, -1, v46
	v_and_b32_e32 v27, 64, v46
	v_cmp_lt_i32_e64 s[28:29], v26, v27
	v_cndmask_b32_e64 v26, v26, v46, s[28:29]
	v_lshlrev_b32_e32 v26, 2, v26
	ds_bpermute_b32 v44, v26, v29
	ds_bpermute_b32 v45, v26, v28
	v_cmp_eq_u32_e64 s[28:29], 0, v46
	s_and_saveexec_b64 s[40:41], vcc
	s_cbranch_execz .LBB147_120
; %bb.98:
	v_mov_b32_e32 v29, 0
	ds_read_b64 v[26:27], v29 offset:24
	s_waitcnt lgkmcnt(0)
	v_readfirstlane_b32 s7, v27
	s_and_saveexec_b64 s[34:35], s[28:29]
	s_cbranch_execz .LBB147_100
; %bb.99:
	s_add_i32 s44, s6, 64
	s_mov_b32 s45, 0
	s_lshl_b64 s[48:49], s[44:45], 4
	s_add_u32 s48, s52, s48
	s_addc_u32 s49, s53, s49
	s_and_b32 s51, s7, 0xff000000
	s_mov_b32 s50, s45
	s_and_b32 s59, s7, 0xff0000
	s_mov_b32 s58, s45
	s_or_b64 s[50:51], s[58:59], s[50:51]
	s_and_b32 s59, s7, 0xff00
	s_or_b64 s[50:51], s[50:51], s[58:59]
	s_and_b32 s59, s7, 0xff
	s_or_b64 s[44:45], s[50:51], s[58:59]
	v_mov_b32_e32 v27, s45
	v_mov_b32_e32 v28, 1
	v_pk_mov_b32 v[30:31], s[48:49], s[48:49] op_sel:[0,1]
	;;#ASMSTART
	global_store_dwordx4 v[30:31], v[26:29] off	
s_waitcnt vmcnt(0)
	;;#ASMEND
.LBB147_100:
	s_or_b64 exec, exec, s[34:35]
	v_xad_u32 v34, v46, -1, s6
	v_add_u32_e32 v28, 64, v34
	v_lshlrev_b64 v[30:31], 4, v[28:29]
	v_mov_b32_e32 v27, s53
	v_add_co_u32_e32 v36, vcc, s52, v30
	v_addc_co_u32_e32 v37, vcc, v27, v31, vcc
	;;#ASMSTART
	global_load_dwordx4 v[30:33], v[36:37] off glc	
s_waitcnt vmcnt(0)
	;;#ASMEND
	v_and_b32_e32 v27, 0xff0000, v30
	v_or_b32_sdwa v27, v30, v27 dst_sel:DWORD dst_unused:UNUSED_PAD src0_sel:WORD_0 src1_sel:DWORD
	v_and_b32_e32 v28, 0xff000000, v30
	v_and_b32_e32 v30, 0xff, v31
	v_or3_b32 v31, 0, 0, v30
	v_or3_b32 v30, v27, v28, 0
	v_cmp_eq_u16_sdwa s[44:45], v32, v29 src0_sel:BYTE_0 src1_sel:DWORD
	s_and_saveexec_b64 s[34:35], s[44:45]
	s_cbranch_execz .LBB147_106
; %bb.101:
	s_mov_b32 s48, 1
	s_mov_b64 s[44:45], 0
	v_mov_b32_e32 v27, 0
.LBB147_102:                            ; =>This Loop Header: Depth=1
                                        ;     Child Loop BB147_103 Depth 2
	s_max_u32 s49, s48, 1
.LBB147_103:                            ;   Parent Loop BB147_102 Depth=1
                                        ; =>  This Inner Loop Header: Depth=2
	s_add_i32 s49, s49, -1
	s_cmp_eq_u32 s49, 0
	s_sleep 1
	s_cbranch_scc0 .LBB147_103
; %bb.104:                              ;   in Loop: Header=BB147_102 Depth=1
	s_cmp_lt_u32 s48, 32
	s_cselect_b64 s[50:51], -1, 0
	s_cmp_lg_u64 s[50:51], 0
	s_addc_u32 s48, s48, 0
	;;#ASMSTART
	global_load_dwordx4 v[30:33], v[36:37] off glc	
s_waitcnt vmcnt(0)
	;;#ASMEND
	v_cmp_ne_u16_sdwa s[50:51], v32, v27 src0_sel:BYTE_0 src1_sel:DWORD
	s_or_b64 s[44:45], s[50:51], s[44:45]
	s_andn2_b64 exec, exec, s[44:45]
	s_cbranch_execnz .LBB147_102
; %bb.105:
	s_or_b64 exec, exec, s[44:45]
	v_and_b32_e32 v31, 0xff, v31
.LBB147_106:
	s_or_b64 exec, exec, s[34:35]
	v_mov_b32_e32 v27, 2
	v_cmp_eq_u16_sdwa s[34:35], v32, v27 src0_sel:BYTE_0 src1_sel:DWORD
	v_lshlrev_b64 v[28:29], v46, -1
	v_and_b32_e32 v33, s35, v29
	v_or_b32_e32 v33, 0x80000000, v33
	v_and_b32_e32 v35, s34, v28
	v_ffbl_b32_e32 v33, v33
	v_and_b32_e32 v47, 63, v46
	v_add_u32_e32 v33, 32, v33
	v_ffbl_b32_e32 v35, v35
	v_cmp_ne_u32_e32 vcc, 63, v47
	v_min_u32_e32 v33, v35, v33
	v_addc_co_u32_e32 v35, vcc, 0, v46, vcc
	v_lshlrev_b32_e32 v48, 2, v35
	ds_bpermute_b32 v35, v48, v31
	ds_bpermute_b32 v36, v48, v30
	s_mov_b32 s44, 0
	v_and_b32_e32 v37, 1, v31
	s_mov_b32 s45, 1
	s_waitcnt lgkmcnt(1)
	v_and_b32_e32 v35, 1, v35
	v_cmp_eq_u32_e32 vcc, 1, v37
	v_cndmask_b32_e64 v35, v35, 1, vcc
	v_cmp_gt_u64_e32 vcc, s[44:45], v[30:31]
	v_cmp_lt_u32_e64 s[34:35], v47, v33
	s_and_b64 vcc, s[34:35], vcc
	v_and_b32_e32 v37, 0xffff, v35
	v_cndmask_b32_e64 v54, v31, v35, s[34:35]
	s_waitcnt lgkmcnt(0)
	v_cndmask_b32_e32 v35, 0, v36, vcc
	v_cmp_gt_u32_e32 vcc, 62, v47
	v_cndmask_b32_e64 v36, 0, 1, vcc
	v_lshlrev_b32_e32 v36, 1, v36
	v_cndmask_b32_e64 v31, v31, v37, s[34:35]
	v_add_lshl_u32 v49, v36, v46, 2
	ds_bpermute_b32 v36, v49, v31
	v_add_u32_e32 v30, v35, v30
	ds_bpermute_b32 v37, v49, v30
	v_and_b32_e32 v35, 1, v54
	v_cmp_eq_u32_e32 vcc, 1, v35
	s_waitcnt lgkmcnt(1)
	v_and_b32_e32 v36, 1, v36
	v_mov_b32_e32 v35, 0
	v_add_u32_e32 v53, 2, v47
	v_cndmask_b32_e64 v36, v36, 1, vcc
	v_cmp_eq_u16_sdwa vcc, v54, v35 src0_sel:BYTE_0 src1_sel:DWORD
	v_and_b32_e32 v55, 0xffff, v36
	s_waitcnt lgkmcnt(0)
	v_cndmask_b32_e32 v37, 0, v37, vcc
	v_cmp_gt_u32_e32 vcc, v53, v33
	v_cndmask_b32_e32 v36, v36, v54, vcc
	v_cndmask_b32_e64 v37, v37, 0, vcc
	v_cndmask_b32_e32 v31, v55, v31, vcc
	v_cmp_gt_u32_e32 vcc, 60, v47
	v_cndmask_b32_e64 v54, 0, 1, vcc
	v_lshlrev_b32_e32 v54, 2, v54
	v_add_lshl_u32 v54, v54, v46, 2
	ds_bpermute_b32 v56, v54, v31
	v_add_u32_e32 v30, v37, v30
	ds_bpermute_b32 v37, v54, v30
	v_and_b32_e32 v57, 1, v36
	v_cmp_eq_u32_e32 vcc, 1, v57
	s_waitcnt lgkmcnt(1)
	v_and_b32_e32 v56, 1, v56
	v_add_u32_e32 v55, 4, v47
	v_cndmask_b32_e64 v56, v56, 1, vcc
	v_cmp_eq_u16_sdwa vcc, v36, v35 src0_sel:BYTE_0 src1_sel:DWORD
	v_and_b32_e32 v57, 0xffff, v56
	s_waitcnt lgkmcnt(0)
	v_cndmask_b32_e32 v37, 0, v37, vcc
	v_cmp_gt_u32_e32 vcc, v55, v33
	v_cndmask_b32_e32 v36, v56, v36, vcc
	v_cndmask_b32_e64 v37, v37, 0, vcc
	v_cndmask_b32_e32 v31, v57, v31, vcc
	v_cmp_gt_u32_e32 vcc, 56, v47
	v_cndmask_b32_e64 v56, 0, 1, vcc
	v_lshlrev_b32_e32 v56, 3, v56
	v_add_lshl_u32 v56, v56, v46, 2
	ds_bpermute_b32 v58, v56, v31
	v_add_u32_e32 v30, v37, v30
	ds_bpermute_b32 v37, v56, v30
	v_and_b32_e32 v59, 1, v36
	v_cmp_eq_u32_e32 vcc, 1, v59
	s_waitcnt lgkmcnt(1)
	v_and_b32_e32 v58, 1, v58
	;; [unrolled: 21-line block ×4, first 2 shown]
	v_add_u32_e32 v62, 32, v47
	v_cndmask_b32_e64 v31, v31, 1, vcc
	v_cmp_eq_u16_sdwa vcc, v36, v35 src0_sel:BYTE_0 src1_sel:DWORD
	s_waitcnt lgkmcnt(0)
	v_cndmask_b32_e32 v37, 0, v37, vcc
	v_cmp_gt_u32_e32 vcc, v62, v33
	v_cndmask_b32_e64 v33, v37, 0, vcc
	v_cndmask_b32_e32 v31, v31, v36, vcc
	v_add_u32_e32 v30, v33, v30
	s_branch .LBB147_108
.LBB147_107:                            ;   in Loop: Header=BB147_108 Depth=1
	s_or_b64 exec, exec, s[34:35]
	v_cmp_eq_u16_sdwa s[34:35], v32, v27 src0_sel:BYTE_0 src1_sel:DWORD
	v_and_b32_e32 v33, s35, v29
	ds_bpermute_b32 v37, v48, v31
	v_or_b32_e32 v33, 0x80000000, v33
	v_and_b32_e32 v36, s34, v28
	v_ffbl_b32_e32 v33, v33
	v_add_u32_e32 v33, 32, v33
	v_ffbl_b32_e32 v36, v36
	v_min_u32_e32 v33, v36, v33
	ds_bpermute_b32 v36, v48, v30
	v_and_b32_e32 v63, 1, v31
	s_waitcnt lgkmcnt(1)
	v_and_b32_e32 v37, 1, v37
	v_cmp_eq_u32_e32 vcc, 1, v63
	v_cndmask_b32_e64 v37, v37, 1, vcc
	v_cmp_gt_u64_e32 vcc, s[44:45], v[30:31]
	v_and_b32_e32 v63, 0xffff, v37
	v_cmp_lt_u32_e64 s[34:35], v47, v33
	v_cndmask_b32_e64 v37, v31, v37, s[34:35]
	v_cndmask_b32_e64 v31, v31, v63, s[34:35]
	s_and_b64 vcc, s[34:35], vcc
	ds_bpermute_b32 v63, v49, v31
	s_waitcnt lgkmcnt(1)
	v_cndmask_b32_e32 v36, 0, v36, vcc
	v_add_u32_e32 v30, v36, v30
	ds_bpermute_b32 v36, v49, v30
	v_and_b32_e32 v64, 1, v37
	s_waitcnt lgkmcnt(1)
	v_and_b32_e32 v63, 1, v63
	v_cmp_eq_u32_e32 vcc, 1, v64
	v_cndmask_b32_e64 v63, v63, 1, vcc
	v_cmp_eq_u16_sdwa vcc, v37, v35 src0_sel:BYTE_0 src1_sel:DWORD
	v_and_b32_e32 v64, 0xffff, v63
	s_waitcnt lgkmcnt(0)
	v_cndmask_b32_e32 v36, 0, v36, vcc
	v_cmp_gt_u32_e32 vcc, v53, v33
	v_cndmask_b32_e32 v31, v64, v31, vcc
	v_cndmask_b32_e32 v37, v63, v37, vcc
	ds_bpermute_b32 v63, v54, v31
	v_cndmask_b32_e64 v36, v36, 0, vcc
	v_add_u32_e32 v30, v36, v30
	ds_bpermute_b32 v36, v54, v30
	v_and_b32_e32 v64, 1, v37
	s_waitcnt lgkmcnt(1)
	v_and_b32_e32 v63, 1, v63
	v_cmp_eq_u32_e32 vcc, 1, v64
	v_cndmask_b32_e64 v63, v63, 1, vcc
	v_cmp_eq_u16_sdwa vcc, v37, v35 src0_sel:BYTE_0 src1_sel:DWORD
	v_and_b32_e32 v64, 0xffff, v63
	s_waitcnt lgkmcnt(0)
	v_cndmask_b32_e32 v36, 0, v36, vcc
	v_cmp_gt_u32_e32 vcc, v55, v33
	v_cndmask_b32_e32 v31, v64, v31, vcc
	v_cndmask_b32_e32 v37, v63, v37, vcc
	ds_bpermute_b32 v63, v56, v31
	v_cndmask_b32_e64 v36, v36, 0, vcc
	;; [unrolled: 16-line block ×3, first 2 shown]
	v_add_u32_e32 v30, v36, v30
	ds_bpermute_b32 v36, v58, v30
	v_and_b32_e32 v64, 1, v37
	s_waitcnt lgkmcnt(1)
	v_and_b32_e32 v63, 1, v63
	v_cmp_eq_u32_e32 vcc, 1, v64
	v_cndmask_b32_e64 v63, v63, 1, vcc
	v_cmp_eq_u16_sdwa vcc, v37, v35 src0_sel:BYTE_0 src1_sel:DWORD
	v_and_b32_e32 v64, 0xffff, v63
	s_waitcnt lgkmcnt(0)
	v_cndmask_b32_e32 v36, 0, v36, vcc
	v_cmp_gt_u32_e32 vcc, v59, v33
	v_cndmask_b32_e64 v36, v36, 0, vcc
	v_cndmask_b32_e32 v31, v64, v31, vcc
	ds_bpermute_b32 v31, v61, v31
	v_add_u32_e32 v30, v36, v30
	ds_bpermute_b32 v36, v61, v30
	v_cndmask_b32_e32 v37, v63, v37, vcc
	v_and_b32_e32 v63, 1, v37
	v_cmp_eq_u32_e32 vcc, 1, v63
	s_waitcnt lgkmcnt(1)
	v_cndmask_b32_e64 v31, v31, 1, vcc
	v_cmp_eq_u16_sdwa vcc, v37, v35 src0_sel:BYTE_0 src1_sel:DWORD
	s_waitcnt lgkmcnt(0)
	v_cndmask_b32_e32 v36, 0, v36, vcc
	v_cmp_gt_u32_e32 vcc, v62, v33
	v_cndmask_b32_e64 v33, v36, 0, vcc
	v_cndmask_b32_e32 v31, v31, v37, vcc
	v_add_u32_e32 v30, v33, v30
	v_cmp_eq_u16_sdwa vcc, v46, v35 src0_sel:BYTE_0 src1_sel:DWORD
	v_and_b32_e32 v33, 1, v46
	v_cndmask_b32_e32 v30, 0, v30, vcc
	v_and_b32_e32 v31, 1, v31
	v_cmp_eq_u32_e32 vcc, 1, v33
	v_subrev_u32_e32 v34, 64, v34
	v_add_u32_e32 v30, v30, v60
	v_cndmask_b32_e64 v31, v31, 1, vcc
.LBB147_108:                            ; =>This Loop Header: Depth=1
                                        ;     Child Loop BB147_111 Depth 2
                                        ;       Child Loop BB147_112 Depth 3
	v_cmp_ne_u16_sdwa s[34:35], v32, v27 src0_sel:BYTE_0 src1_sel:DWORD
	v_mov_b32_e32 v46, v31
	v_cndmask_b32_e64 v31, 0, 1, s[34:35]
	;;#ASMSTART
	;;#ASMEND
	v_cmp_ne_u32_e32 vcc, 0, v31
	s_cmp_lg_u64 vcc, exec
	v_mov_b32_e32 v60, v30
	s_cbranch_scc1 .LBB147_115
; %bb.109:                              ;   in Loop: Header=BB147_108 Depth=1
	v_lshlrev_b64 v[30:31], 4, v[34:35]
	v_mov_b32_e32 v32, s53
	v_add_co_u32_e32 v36, vcc, s52, v30
	v_addc_co_u32_e32 v37, vcc, v32, v31, vcc
	;;#ASMSTART
	global_load_dwordx4 v[30:33], v[36:37] off glc	
s_waitcnt vmcnt(0)
	;;#ASMEND
	v_and_b32_e32 v33, 0xff0000, v30
	v_or_b32_sdwa v33, v30, v33 dst_sel:DWORD dst_unused:UNUSED_PAD src0_sel:WORD_0 src1_sel:DWORD
	v_and_b32_e32 v30, 0xff000000, v30
	v_and_b32_e32 v31, 0xff, v31
	v_or3_b32 v31, 0, 0, v31
	v_or3_b32 v30, v33, v30, 0
	v_cmp_eq_u16_sdwa s[48:49], v32, v35 src0_sel:BYTE_0 src1_sel:DWORD
	s_and_saveexec_b64 s[34:35], s[48:49]
	s_cbranch_execz .LBB147_107
; %bb.110:                              ;   in Loop: Header=BB147_108 Depth=1
	s_mov_b32 s50, 1
	s_mov_b64 s[48:49], 0
.LBB147_111:                            ;   Parent Loop BB147_108 Depth=1
                                        ; =>  This Loop Header: Depth=2
                                        ;       Child Loop BB147_112 Depth 3
	s_max_u32 s51, s50, 1
.LBB147_112:                            ;   Parent Loop BB147_108 Depth=1
                                        ;     Parent Loop BB147_111 Depth=2
                                        ; =>    This Inner Loop Header: Depth=3
	s_add_i32 s51, s51, -1
	s_cmp_eq_u32 s51, 0
	s_sleep 1
	s_cbranch_scc0 .LBB147_112
; %bb.113:                              ;   in Loop: Header=BB147_111 Depth=2
	s_cmp_lt_u32 s50, 32
	s_cselect_b64 s[58:59], -1, 0
	s_cmp_lg_u64 s[58:59], 0
	s_addc_u32 s50, s50, 0
	;;#ASMSTART
	global_load_dwordx4 v[30:33], v[36:37] off glc	
s_waitcnt vmcnt(0)
	;;#ASMEND
	v_cmp_ne_u16_sdwa s[58:59], v32, v35 src0_sel:BYTE_0 src1_sel:DWORD
	s_or_b64 s[48:49], s[58:59], s[48:49]
	s_andn2_b64 exec, exec, s[48:49]
	s_cbranch_execnz .LBB147_111
; %bb.114:                              ;   in Loop: Header=BB147_108 Depth=1
	s_or_b64 exec, exec, s[48:49]
	v_and_b32_e32 v31, 0xff, v31
	s_branch .LBB147_107
.LBB147_115:                            ;   in Loop: Header=BB147_108 Depth=1
                                        ; implicit-def: $vgpr31
                                        ; implicit-def: $vgpr30
                                        ; implicit-def: $vgpr32
	s_cbranch_execz .LBB147_108
; %bb.116:
	s_and_saveexec_b64 s[34:35], s[28:29]
	s_cbranch_execz .LBB147_118
; %bb.117:
	s_and_b32 s44, s7, 0xff
	s_cmp_eq_u32 s44, 0
	s_cselect_b64 vcc, -1, 0
	s_bitcmp1_b32 s7, 0
	s_mov_b32 s45, 0
	s_cselect_b64 s[48:49], -1, 0
	s_add_i32 s44, s6, 64
	s_lshl_b64 s[6:7], s[44:45], 4
	v_cndmask_b32_e32 v27, 0, v60, vcc
	s_add_u32 s6, s52, s6
	v_add_u32_e32 v26, v27, v26
	v_and_b32_e32 v27, 1, v46
	s_addc_u32 s7, s53, s7
	v_mov_b32_e32 v29, 0
	v_cndmask_b32_e64 v27, v27, 1, s[48:49]
	v_mov_b32_e32 v28, 2
	v_pk_mov_b32 v[30:31], s[6:7], s[6:7] op_sel:[0,1]
	;;#ASMSTART
	global_store_dwordx4 v[30:31], v[26:29] off	
s_waitcnt vmcnt(0)
	;;#ASMEND
.LBB147_118:
	s_or_b64 exec, exec, s[34:35]
	v_cmp_eq_u32_e32 vcc, 0, v0
	s_and_b64 exec, exec, vcc
	s_cbranch_execz .LBB147_120
; %bb.119:
	v_mov_b32_e32 v26, 0
	ds_write_b32 v26, v60 offset:24
	ds_write_b8 v26, v46 offset:28
.LBB147_120:
	s_or_b64 exec, exec, s[40:41]
	s_mov_b32 s6, 0
	v_mov_b32_e32 v28, 0
	s_mov_b32 s7, 1
	s_waitcnt lgkmcnt(0)
	v_cndmask_b32_e64 v26, v45, v43, s[28:29]
	v_cndmask_b32_e64 v27, v44, v42, s[28:29]
	s_barrier
	ds_read_b32 v29, v28 offset:24
	v_cmp_gt_u64_e32 vcc, s[6:7], v[38:39]
	v_and_b32_e32 v30, 1, v39
	v_cndmask_b32_e32 v27, 0, v27, vcc
	v_and_b32_e32 v26, 1, v26
	v_cmp_eq_u32_e32 vcc, 1, v30
	v_cndmask_b32_e64 v26, v26, 1, vcc
	v_cmp_eq_u32_e32 vcc, 0, v0
	v_cndmask_b32_e32 v26, v26, v39, vcc
	v_cndmask_b32_e64 v27, v27, 0, vcc
	v_cmp_eq_u16_sdwa vcc, v26, v28 src0_sel:BYTE_0 src1_sel:DWORD
	s_waitcnt lgkmcnt(0)
	v_cndmask_b32_e32 v26, 0, v29, vcc
	v_add3_u32 v26, v27, v38, v26
	v_cndmask_b32_e64 v27, 0, v26, s[2:3]
	v_add_u32_e32 v27, v27, v2
	v_cndmask_b32_e64 v28, 0, v27, s[4:5]
	v_add_u32_e32 v42, v28, v4
	;; [unrolled: 2-line block ×13, first 2 shown]
	s_branch .LBB147_137
.LBB147_121:
                                        ; implicit-def: $vgpr49
                                        ; implicit-def: $vgpr47
                                        ; implicit-def: $vgpr45
                                        ; implicit-def: $vgpr43
                                        ; implicit-def: $vgpr34_vgpr35_vgpr36_vgpr37
                                        ; implicit-def: $vgpr30_vgpr31_vgpr32_vgpr33
                                        ; implicit-def: $vgpr26_vgpr27_vgpr28_vgpr29
	s_cbranch_execz .LBB147_137
; %bb.122:
	s_cmp_lg_u64 s[56:57], 0
	s_cselect_b32 s5, s47, 0
	s_cselect_b32 s4, s46, 0
	s_cmp_lg_u64 s[4:5], 0
	s_cselect_b64 s[6:7], -1, 0
	v_cmp_eq_u32_e32 vcc, 0, v0
	s_mov_b32 s28, 0
	v_cmp_ne_u32_e64 s[2:3], 0, v0
	s_and_b64 s[8:9], vcc, s[6:7]
	s_and_saveexec_b64 s[6:7], s[8:9]
	s_cbranch_execz .LBB147_124
; %bb.123:
	v_mov_b32_e32 v26, 0
	global_load_dword v28, v26, s[4:5]
	global_load_ubyte v29, v26, s[4:5] offset:4
	s_mov_b32 s29, 1
	v_and_b32_e32 v27, 1, v39
	v_cmp_gt_u64_e64 s[4:5], s[28:29], v[38:39]
	s_waitcnt vmcnt(1)
	v_cndmask_b32_e64 v28, 0, v28, s[4:5]
	s_waitcnt vmcnt(0)
	v_and_b32_e32 v29, 1, v29
	v_cmp_eq_u64_e64 s[4:5], 0, v[26:27]
	v_add_u32_e32 v38, v28, v38
	v_cndmask_b32_e64 v39, 1, v29, s[4:5]
.LBB147_124:
	s_or_b64 exec, exec, s[6:7]
	s_mov_b32 s29, 1
	v_cmp_gt_u64_e64 s[4:5], s[28:29], v[2:3]
	v_cndmask_b32_e64 v26, 0, v38, s[4:5]
	v_add_u32_e32 v27, v26, v2
	v_cmp_gt_u64_e64 s[6:7], s[28:29], v[4:5]
	v_cndmask_b32_e64 v26, 0, v27, s[6:7]
	v_add_u32_e32 v42, v26, v4
	;; [unrolled: 3-line block ×7, first 2 shown]
	v_cmp_gt_u64_e64 s[18:19], s[28:29], v[16:17]
	v_mov_b32_e32 v28, 0
	v_cndmask_b32_e64 v26, 0, v45, s[18:19]
	v_or3_b32 v7, v23, v15, v7
	v_add_u32_e32 v34, v26, v16
	v_cmp_gt_u64_e64 s[20:21], s[28:29], v[18:19]
	v_or3_b32 v9, v25, v17, v9
	v_and_b32_e32 v55, 1, v7
	v_mov_b32_e32 v54, v28
	v_cndmask_b32_e64 v26, 0, v34, s[20:21]
	v_or3_b32 v3, v19, v11, v3
	v_and_b32_e32 v37, 1, v9
	v_mov_b32_e32 v36, v28
	v_cmp_ne_u64_e64 s[34:35], 0, v[54:55]
	v_add_u32_e32 v35, v26, v18
	v_cmp_gt_u64_e64 s[22:23], s[28:29], v[20:21]
	v_or3_b32 v5, v21, v13, v5
	v_and_b32_e32 v29, 1, v3
	v_cndmask_b32_e64 v3, 0, 1, s[34:35]
	v_cmp_ne_u64_e64 s[34:35], 0, v[36:37]
	v_cndmask_b32_e64 v26, 0, v35, s[22:23]
	v_and_b32_e32 v33, 1, v5
	v_mov_b32_e32 v32, v28
	v_cndmask_b32_e64 v5, 0, 1, s[34:35]
	v_add_u32_e32 v46, v26, v20
	v_cmp_gt_u64_e64 s[24:25], s[28:29], v[22:23]
	v_lshlrev_b16_e32 v3, 2, v3
	v_lshlrev_b16_e32 v5, 3, v5
	v_cmp_ne_u64_e64 s[34:35], 0, v[32:33]
	v_cndmask_b32_e64 v26, 0, v46, s[24:25]
	v_or_b32_e32 v3, v5, v3
	v_cndmask_b32_e64 v5, 0, 1, s[34:35]
	v_cmp_ne_u64_e64 s[34:35], 0, v[28:29]
	v_add_u32_e32 v47, v26, v22
	v_cmp_gt_u64_e64 s[26:27], s[28:29], v[24:25]
	v_lshlrev_b16_e32 v5, 1, v5
	v_cndmask_b32_e64 v7, 0, 1, s[34:35]
	v_cndmask_b32_e64 v26, 0, v47, s[26:27]
	v_or_b32_e32 v5, v7, v5
	v_add_u32_e32 v48, v26, v24
	v_cmp_gt_u64_e64 s[28:29], s[28:29], v[40:41]
	v_and_b32_e32 v5, 3, v5
	v_cndmask_b32_e64 v26, 0, v48, s[28:29]
	v_or_b32_e32 v3, v5, v3
	v_add_u32_e32 v49, v26, v40
	v_and_b32_e32 v26, 1, v41
	v_and_b32_e32 v3, 15, v3
	v_cmp_eq_u32_e64 s[30:31], 1, v26
	v_cmp_ne_u16_e64 s[34:35], 0, v3
	s_or_b64 s[30:31], s[30:31], s[34:35]
	v_cndmask_b32_e64 v5, v39, 1, s[30:31]
	v_mbcnt_hi_u32_b32 v3, -1, v52
	v_mov_b32_dpp v9, v49 row_shr:1 row_mask:0xf bank_mask:0xf
	v_mov_b32_dpp v11, v5 row_shr:1 row_mask:0xf bank_mask:0xf
	v_cmp_eq_u32_e64 s[30:31], 0, v5
	v_and_b32_e32 v13, 1, v5
	v_and_b32_e32 v7, 15, v3
	v_cndmask_b32_e64 v9, 0, v9, s[30:31]
	v_and_b32_e32 v11, 1, v11
	v_cmp_eq_u32_e64 s[30:31], 1, v13
	v_cndmask_b32_e64 v11, v11, 1, s[30:31]
	v_cmp_eq_u32_e64 s[30:31], 0, v7
	v_cndmask_b32_e64 v5, v11, v5, s[30:31]
	v_and_b32_e32 v15, 1, v5
	v_cmp_eq_u32_e64 s[34:35], 1, v15
	v_mov_b32_dpp v13, v5 row_shr:2 row_mask:0xf bank_mask:0xf
	v_and_b32_e32 v13, 1, v13
	v_cndmask_b32_e64 v13, v13, 1, s[34:35]
	v_cmp_lt_u32_e64 s[34:35], 1, v7
	v_cndmask_b32_e64 v9, v9, 0, s[30:31]
	v_cmp_eq_u32_e64 s[30:31], 0, v5
	v_cndmask_b32_e64 v5, v5, v13, s[34:35]
	v_add_u32_e32 v9, v49, v9
	v_and_b32_e32 v15, 1, v5
	v_mov_b32_dpp v13, v5 row_shr:4 row_mask:0xf bank_mask:0xf
	v_mov_b32_dpp v11, v9 row_shr:2 row_mask:0xf bank_mask:0xf
	s_and_b64 s[30:31], s[34:35], s[30:31]
	v_and_b32_e32 v13, 1, v13
	v_cmp_eq_u32_e64 s[34:35], 1, v15
	v_cndmask_b32_e64 v11, 0, v11, s[30:31]
	v_cndmask_b32_e64 v13, v13, 1, s[34:35]
	v_cmp_lt_u32_e64 s[34:35], 3, v7
	v_add_u32_e32 v9, v9, v11
	v_cmp_eq_u32_e64 s[30:31], 0, v5
	v_cndmask_b32_e64 v5, v5, v13, s[34:35]
	v_mov_b32_dpp v11, v9 row_shr:4 row_mask:0xf bank_mask:0xf
	s_and_b64 s[30:31], s[34:35], s[30:31]
	v_mov_b32_dpp v13, v5 row_shr:8 row_mask:0xf bank_mask:0xf
	v_and_b32_e32 v15, 1, v5
	v_cndmask_b32_e64 v11, 0, v11, s[30:31]
	v_and_b32_e32 v13, 1, v13
	v_cmp_eq_u32_e64 s[34:35], 1, v15
	v_add_u32_e32 v9, v9, v11
	v_cmp_eq_u32_e64 s[30:31], 0, v5
	v_cndmask_b32_e64 v13, v13, 1, s[34:35]
	v_cmp_lt_u32_e64 s[34:35], 7, v7
	v_mov_b32_dpp v11, v9 row_shr:8 row_mask:0xf bank_mask:0xf
	s_and_b64 s[30:31], s[34:35], s[30:31]
	v_cndmask_b32_e64 v7, 0, v11, s[30:31]
	v_cndmask_b32_e64 v5, v5, v13, s[34:35]
	v_add_u32_e32 v7, v9, v7
	v_cmp_eq_u32_e64 s[30:31], 0, v5
	v_mov_b32_dpp v11, v5 row_bcast:15 row_mask:0xf bank_mask:0xf
	v_mov_b32_dpp v9, v7 row_bcast:15 row_mask:0xf bank_mask:0xf
	v_and_b32_e32 v17, 1, v5
	v_and_b32_e32 v15, 16, v3
	v_cndmask_b32_e64 v9, 0, v9, s[30:31]
	v_and_b32_e32 v11, 1, v11
	v_cmp_eq_u32_e64 s[30:31], 1, v17
	v_bfe_i32 v13, v3, 4, 1
	v_cndmask_b32_e64 v11, v11, 1, s[30:31]
	v_cmp_eq_u32_e64 s[30:31], 0, v15
	v_and_b32_e32 v9, v13, v9
	v_cndmask_b32_e64 v5, v11, v5, s[30:31]
	v_add_u32_e32 v9, v7, v9
	v_and_b32_e32 v13, 1, v5
	v_mov_b32_dpp v7, v5 row_bcast:31 row_mask:0xf bank_mask:0xf
	v_and_b32_e32 v7, 1, v7
	v_cmp_eq_u32_e64 s[34:35], 1, v13
	v_cmp_eq_u32_e64 s[30:31], 0, v5
	v_cndmask_b32_e64 v7, v7, 1, s[34:35]
	v_cmp_lt_u32_e64 s[34:35], 31, v3
	v_mov_b32_dpp v11, v9 row_bcast:31 row_mask:0xf bank_mask:0xf
	s_and_b64 s[30:31], s[34:35], s[30:31]
	v_cndmask_b32_e64 v7, v5, v7, s[34:35]
	v_cndmask_b32_e64 v5, 0, v11, s[30:31]
	v_add_u32_e32 v5, v9, v5
	v_cmp_eq_u32_e64 s[30:31], v51, v0
	s_and_saveexec_b64 s[34:35], s[30:31]
	s_cbranch_execz .LBB147_126
; %bb.125:
	v_lshlrev_b32_e32 v9, 3, v1
	ds_write_b32 v9, v5
	ds_write_b8 v9, v7 offset:4
.LBB147_126:
	s_or_b64 exec, exec, s[34:35]
	v_cmp_gt_u32_e64 s[30:31], 4, v0
	s_waitcnt lgkmcnt(0)
	s_barrier
	s_and_saveexec_b64 s[34:35], s[30:31]
	s_cbranch_execz .LBB147_130
; %bb.127:
	v_lshlrev_b32_e32 v9, 3, v0
	ds_read_b64 v[28:29], v9
	v_and_b32_e32 v11, 3, v3
	v_cmp_ne_u32_e64 s[30:31], 0, v11
	s_waitcnt lgkmcnt(0)
	v_mov_b32_dpp v13, v28 row_shr:1 row_mask:0xf bank_mask:0xf
	v_mov_b32_dpp v17, v29 row_shr:1 row_mask:0xf bank_mask:0xf
	v_mov_b32_e32 v15, v29
	s_and_saveexec_b64 s[40:41], s[30:31]
	s_cbranch_execz .LBB147_129
; %bb.128:
	v_and_b32_e32 v15, 1, v29
	v_and_b32_e32 v17, 1, v17
	v_cmp_eq_u32_e64 s[30:31], 1, v15
	v_mov_b32_e32 v15, 0
	v_cndmask_b32_e64 v17, v17, 1, s[30:31]
	v_cmp_eq_u16_sdwa s[30:31], v29, v15 src0_sel:BYTE_0 src1_sel:DWORD
	v_cndmask_b32_e64 v13, 0, v13, s[30:31]
	v_add_u32_e32 v28, v13, v28
	v_and_b32_e32 v13, 0xffff, v17
	s_movk_i32 s30, 0xff00
	v_and_or_b32 v15, v29, s30, v13
	v_mov_b32_e32 v29, v17
.LBB147_129:
	s_or_b64 exec, exec, s[40:41]
	v_mov_b32_dpp v15, v15 row_shr:2 row_mask:0xf bank_mask:0xf
	v_and_b32_e32 v17, 1, v29
	v_and_b32_e32 v15, 1, v15
	v_cmp_eq_u32_e64 s[30:31], 1, v17
	v_mov_b32_e32 v17, 0
	v_cndmask_b32_e64 v15, v15, 1, s[30:31]
	v_cmp_eq_u16_sdwa s[40:41], v29, v17 src0_sel:BYTE_0 src1_sel:DWORD
	v_cmp_lt_u32_e64 s[30:31], 1, v11
	v_mov_b32_dpp v13, v28 row_shr:2 row_mask:0xf bank_mask:0xf
	v_cndmask_b32_e64 v11, v29, v15, s[30:31]
	s_and_b64 s[30:31], s[30:31], s[40:41]
	v_cndmask_b32_e64 v13, 0, v13, s[30:31]
	v_add_u32_e32 v13, v13, v28
	ds_write_b32 v9, v13
	ds_write_b8 v9, v11 offset:4
.LBB147_130:
	s_or_b64 exec, exec, s[34:35]
	v_cmp_lt_u32_e64 s[30:31], 63, v0
	v_mov_b32_e32 v9, 0
	s_waitcnt lgkmcnt(0)
	s_barrier
	s_and_saveexec_b64 s[34:35], s[30:31]
	s_cbranch_execz .LBB147_132
; %bb.131:
	v_lshl_add_u32 v1, v1, 3, -8
	ds_read_b32 v9, v1
	v_cmp_eq_u32_e64 s[30:31], 0, v7
	s_waitcnt lgkmcnt(0)
	v_cndmask_b32_e64 v1, 0, v9, s[30:31]
	v_add_u32_e32 v5, v1, v5
.LBB147_132:
	s_or_b64 exec, exec, s[34:35]
	v_add_u32_e32 v1, -1, v3
	v_and_b32_e32 v7, 64, v3
	v_cmp_lt_i32_e64 s[30:31], v1, v7
	v_cndmask_b32_e64 v1, v1, v3, s[30:31]
	v_lshlrev_b32_e32 v1, 2, v1
	ds_bpermute_b32 v1, v1, v5
	s_and_saveexec_b64 s[30:31], s[2:3]
	s_cbranch_execz .LBB147_134
; %bb.133:
	v_and_b32_e32 v27, 0xff, v39
	v_mov_b32_e32 v26, 0
	v_cmp_eq_u32_e64 s[2:3], 0, v3
	s_waitcnt lgkmcnt(0)
	v_cndmask_b32_e64 v1, v1, v9, s[2:3]
	v_cmp_eq_u64_e64 s[2:3], 0, v[26:27]
	v_cndmask_b32_e64 v1, 0, v1, s[2:3]
	v_add_u32_e32 v38, v1, v38
	v_cndmask_b32_e64 v1, 0, v38, s[4:5]
	v_add_u32_e32 v27, v1, v2
	;; [unrolled: 2-line block ×14, first 2 shown]
	;;#ASMSTART
	;;#ASMEND
.LBB147_134:
	s_or_b64 exec, exec, s[30:31]
	s_and_saveexec_b64 s[2:3], vcc
	s_cbranch_execz .LBB147_136
; %bb.135:
	v_mov_b32_e32 v5, 0
	ds_read_b32 v2, v5 offset:24
	ds_read_u8 v3, v5 offset:28
	s_add_u32 s4, s52, 0x400
	s_addc_u32 s5, s53, 0
	v_mov_b32_e32 v4, 2
	v_pk_mov_b32 v[6:7], s[4:5], s[4:5] op_sel:[0,1]
	s_waitcnt lgkmcnt(0)
	;;#ASMSTART
	global_store_dwordx4 v[6:7], v[2:5] off	
s_waitcnt vmcnt(0)
	;;#ASMEND
.LBB147_136:
	s_or_b64 exec, exec, s[2:3]
	v_mov_b32_e32 v26, v38
.LBB147_137:
	s_add_u32 s2, s42, s38
	s_addc_u32 s3, s43, s39
	s_add_u32 s4, s2, s36
	s_waitcnt lgkmcnt(0)
	v_mul_u32_u24_e32 v1, 14, v0
	s_addc_u32 s5, s3, s37
	s_and_b64 vcc, exec, s[0:1]
	v_lshlrev_b32_e32 v2, 2, v1
	s_cbranch_vccz .LBB147_165
; %bb.138:
	s_movk_i32 s0, 0xffcc
	v_mad_i32_i24 v3, v0, s0, v2
	s_barrier
	ds_write2_b64 v2, v[26:27], v[42:43] offset1:1
	ds_write2_b64 v2, v[30:31], v[44:45] offset0:2 offset1:3
	ds_write2_b64 v2, v[34:35], v[46:47] offset0:4 offset1:5
	ds_write_b64 v2, v[48:49] offset:48
	s_waitcnt lgkmcnt(0)
	s_barrier
	ds_read2st64_b32 v[16:17], v3 offset0:4 offset1:8
	ds_read2st64_b32 v[14:15], v3 offset0:12 offset1:16
	;; [unrolled: 1-line block ×6, first 2 shown]
	ds_read_b32 v3, v3 offset:13312
	v_mov_b32_e32 v7, s5
	v_add_co_u32_e32 v6, vcc, s4, v50
	s_add_i32 s33, s33, s54
	v_addc_co_u32_e32 v7, vcc, 0, v7, vcc
	v_mov_b32_e32 v1, 0
	v_cmp_gt_u32_e32 vcc, s33, v0
	s_and_saveexec_b64 s[0:1], vcc
	s_cbranch_execz .LBB147_140
; %bb.139:
	v_mul_i32_i24_e32 v18, 0xffffffcc, v0
	v_add_u32_e32 v18, v2, v18
	ds_read_b32 v18, v18
	s_waitcnt lgkmcnt(0)
	flat_store_dword v[6:7], v18
.LBB147_140:
	s_or_b64 exec, exec, s[0:1]
	v_or_b32_e32 v18, 0x100, v0
	v_cmp_gt_u32_e32 vcc, s33, v18
	s_and_saveexec_b64 s[0:1], vcc
	s_cbranch_execz .LBB147_142
; %bb.141:
	s_waitcnt lgkmcnt(0)
	flat_store_dword v[6:7], v16 offset:1024
.LBB147_142:
	s_or_b64 exec, exec, s[0:1]
	s_waitcnt lgkmcnt(0)
	v_or_b32_e32 v16, 0x200, v0
	v_cmp_gt_u32_e32 vcc, s33, v16
	s_and_saveexec_b64 s[0:1], vcc
	s_cbranch_execz .LBB147_144
; %bb.143:
	flat_store_dword v[6:7], v17 offset:2048
.LBB147_144:
	s_or_b64 exec, exec, s[0:1]
	v_or_b32_e32 v16, 0x300, v0
	v_cmp_gt_u32_e32 vcc, s33, v16
	s_and_saveexec_b64 s[0:1], vcc
	s_cbranch_execz .LBB147_146
; %bb.145:
	flat_store_dword v[6:7], v14 offset:3072
.LBB147_146:
	s_or_b64 exec, exec, s[0:1]
	v_or_b32_e32 v14, 0x400, v0
	v_cmp_gt_u32_e32 vcc, s33, v14
	s_and_saveexec_b64 s[0:1], vcc
	s_cbranch_execz .LBB147_148
; %bb.147:
	v_add_co_u32_e32 v16, vcc, 0x1000, v6
	v_addc_co_u32_e32 v17, vcc, 0, v7, vcc
	flat_store_dword v[16:17], v15
.LBB147_148:
	s_or_b64 exec, exec, s[0:1]
	v_or_b32_e32 v14, 0x500, v0
	v_cmp_gt_u32_e32 vcc, s33, v14
	s_and_saveexec_b64 s[0:1], vcc
	s_cbranch_execz .LBB147_150
; %bb.149:
	v_add_co_u32_e32 v14, vcc, 0x1000, v6
	v_addc_co_u32_e32 v15, vcc, 0, v7, vcc
	flat_store_dword v[14:15], v12 offset:1024
.LBB147_150:
	s_or_b64 exec, exec, s[0:1]
	v_or_b32_e32 v12, 0x600, v0
	v_cmp_gt_u32_e32 vcc, s33, v12
	s_and_saveexec_b64 s[0:1], vcc
	s_cbranch_execz .LBB147_152
; %bb.151:
	v_add_co_u32_e32 v14, vcc, 0x1000, v6
	v_addc_co_u32_e32 v15, vcc, 0, v7, vcc
	flat_store_dword v[14:15], v13 offset:2048
.LBB147_152:
	;; [unrolled: 10-line block ×3, first 2 shown]
	s_or_b64 exec, exec, s[0:1]
	v_or_b32_e32 v10, 0x800, v0
	v_cmp_gt_u32_e32 vcc, s33, v10
	s_and_saveexec_b64 s[0:1], vcc
	s_cbranch_execz .LBB147_156
; %bb.155:
	v_add_co_u32_e32 v12, vcc, 0x2000, v6
	v_addc_co_u32_e32 v13, vcc, 0, v7, vcc
	flat_store_dword v[12:13], v11
.LBB147_156:
	s_or_b64 exec, exec, s[0:1]
	v_or_b32_e32 v10, 0x900, v0
	v_cmp_gt_u32_e32 vcc, s33, v10
	s_and_saveexec_b64 s[0:1], vcc
	s_cbranch_execz .LBB147_158
; %bb.157:
	v_add_co_u32_e32 v10, vcc, 0x2000, v6
	v_addc_co_u32_e32 v11, vcc, 0, v7, vcc
	flat_store_dword v[10:11], v8 offset:1024
.LBB147_158:
	s_or_b64 exec, exec, s[0:1]
	v_or_b32_e32 v8, 0xa00, v0
	v_cmp_gt_u32_e32 vcc, s33, v8
	s_and_saveexec_b64 s[0:1], vcc
	s_cbranch_execz .LBB147_160
; %bb.159:
	v_add_co_u32_e32 v10, vcc, 0x2000, v6
	v_addc_co_u32_e32 v11, vcc, 0, v7, vcc
	flat_store_dword v[10:11], v9 offset:2048
.LBB147_160:
	s_or_b64 exec, exec, s[0:1]
	v_or_b32_e32 v8, 0xb00, v0
	v_cmp_gt_u32_e32 vcc, s33, v8
	s_and_saveexec_b64 s[0:1], vcc
	s_cbranch_execz .LBB147_162
; %bb.161:
	v_add_co_u32_e32 v8, vcc, 0x2000, v6
	v_addc_co_u32_e32 v9, vcc, 0, v7, vcc
	flat_store_dword v[8:9], v4 offset:3072
.LBB147_162:
	s_or_b64 exec, exec, s[0:1]
	v_or_b32_e32 v4, 0xc00, v0
	v_cmp_gt_u32_e32 vcc, s33, v4
	s_and_saveexec_b64 s[0:1], vcc
	s_cbranch_execz .LBB147_164
; %bb.163:
	v_add_co_u32_e32 v6, vcc, 0x3000, v6
	v_addc_co_u32_e32 v7, vcc, 0, v7, vcc
	flat_store_dword v[6:7], v5
.LBB147_164:
	s_or_b64 exec, exec, s[0:1]
	v_or_b32_e32 v4, 0xd00, v0
	v_cmp_gt_u32_e64 s[0:1], s33, v4
	s_branch .LBB147_167
.LBB147_165:
	s_mov_b64 s[0:1], 0
                                        ; implicit-def: $vgpr3
	s_cbranch_execz .LBB147_167
; %bb.166:
	s_movk_i32 s2, 0xffcc
	s_waitcnt lgkmcnt(0)
	s_barrier
	ds_write2_b64 v2, v[26:27], v[42:43] offset1:1
	ds_write2_b64 v2, v[30:31], v[44:45] offset0:2 offset1:3
	ds_write2_b64 v2, v[34:35], v[46:47] offset0:4 offset1:5
	ds_write_b64 v2, v[48:49] offset:48
	v_mad_i32_i24 v2, v0, s2, v2
	v_mov_b32_e32 v17, s5
	v_add_co_u32_e32 v16, vcc, s4, v50
	s_waitcnt lgkmcnt(0)
	s_barrier
	ds_read2st64_b32 v[4:5], v2 offset1:4
	ds_read2st64_b32 v[6:7], v2 offset0:8 offset1:12
	ds_read2st64_b32 v[8:9], v2 offset0:16 offset1:20
	;; [unrolled: 1-line block ×6, first 2 shown]
	v_addc_co_u32_e32 v17, vcc, 0, v17, vcc
	s_movk_i32 s2, 0x1000
	s_waitcnt lgkmcnt(0)
	flat_store_dword v[16:17], v4
	flat_store_dword v[16:17], v5 offset:1024
	flat_store_dword v[16:17], v6 offset:2048
	;; [unrolled: 1-line block ×3, first 2 shown]
	v_add_co_u32_e32 v4, vcc, s2, v16
	v_addc_co_u32_e32 v5, vcc, 0, v17, vcc
	flat_store_dword v[4:5], v8
	flat_store_dword v[4:5], v9 offset:1024
	flat_store_dword v[4:5], v10 offset:2048
	flat_store_dword v[4:5], v11 offset:3072
	v_add_co_u32_e32 v4, vcc, 0x2000, v16
	v_addc_co_u32_e32 v5, vcc, 0, v17, vcc
	flat_store_dword v[4:5], v12
	flat_store_dword v[4:5], v13 offset:1024
	flat_store_dword v[4:5], v14 offset:2048
	;; [unrolled: 1-line block ×3, first 2 shown]
	v_add_co_u32_e32 v4, vcc, 0x3000, v16
	v_mov_b32_e32 v1, 0
	v_addc_co_u32_e32 v5, vcc, 0, v17, vcc
	s_or_b64 s[0:1], s[0:1], exec
	flat_store_dword v[4:5], v2
.LBB147_167:
	s_and_saveexec_b64 s[2:3], s[0:1]
	s_cbranch_execnz .LBB147_169
; %bb.168:
	s_endpgm
.LBB147_169:
	v_lshlrev_b64 v[0:1], 2, v[0:1]
	v_mov_b32_e32 v2, s5
	v_add_co_u32_e32 v0, vcc, s4, v0
	v_addc_co_u32_e32 v1, vcc, v2, v1, vcc
	v_add_co_u32_e32 v0, vcc, 0x3000, v0
	v_addc_co_u32_e32 v1, vcc, 0, v1, vcc
	flat_store_dword v[0:1], v3 offset:1024
	s_endpgm
.LBB147_170:
	v_mov_b32_e32 v13, s55
	v_add_co_u32_e32 v14, vcc, s7, v12
	v_addc_co_u32_e32 v15, vcc, 0, v13, vcc
	flat_load_dword v13, v[14:15]
	s_or_b64 exec, exec, s[44:45]
                                        ; implicit-def: $vgpr14
	s_and_saveexec_b64 s[2:3], s[4:5]
	s_cbranch_execz .LBB147_37
.LBB147_171:
	v_mov_b32_e32 v15, s55
	v_add_co_u32_e32 v14, vcc, s7, v12
	v_addc_co_u32_e32 v15, vcc, 0, v15, vcc
	flat_load_dword v14, v[14:15] offset:1024
	s_or_b64 exec, exec, s[2:3]
                                        ; implicit-def: $vgpr15
	s_and_saveexec_b64 s[2:3], s[30:31]
	s_cbranch_execz .LBB147_38
.LBB147_172:
	v_mov_b32_e32 v15, s55
	v_add_co_u32_e32 v16, vcc, s7, v12
	v_addc_co_u32_e32 v17, vcc, 0, v15, vcc
	flat_load_dword v15, v[16:17] offset:2048
	s_or_b64 exec, exec, s[2:3]
                                        ; implicit-def: $vgpr16
	s_and_saveexec_b64 s[2:3], s[8:9]
	s_cbranch_execz .LBB147_39
.LBB147_173:
	v_mov_b32_e32 v17, s55
	v_add_co_u32_e32 v16, vcc, s7, v12
	v_addc_co_u32_e32 v17, vcc, 0, v17, vcc
	flat_load_dword v16, v[16:17] offset:3072
	s_or_b64 exec, exec, s[2:3]
                                        ; implicit-def: $vgpr17
	s_and_saveexec_b64 s[2:3], s[10:11]
	s_cbranch_execz .LBB147_40
.LBB147_174:
	v_lshlrev_b32_e32 v2, 2, v2
	v_mov_b32_e32 v17, s55
	v_add_co_u32_e32 v18, vcc, s7, v2
	v_addc_co_u32_e32 v19, vcc, 0, v17, vcc
	flat_load_dword v17, v[18:19]
	s_or_b64 exec, exec, s[2:3]
                                        ; implicit-def: $vgpr2
	s_and_saveexec_b64 s[2:3], s[12:13]
	s_cbranch_execz .LBB147_41
.LBB147_175:
	v_lshlrev_b32_e32 v2, 2, v3
	v_mov_b32_e32 v3, s55
	v_add_co_u32_e32 v2, vcc, s7, v2
	v_addc_co_u32_e32 v3, vcc, 0, v3, vcc
	flat_load_dword v2, v[2:3]
	s_or_b64 exec, exec, s[2:3]
                                        ; implicit-def: $vgpr3
	s_and_saveexec_b64 s[2:3], s[14:15]
	s_cbranch_execz .LBB147_42
.LBB147_176:
	v_lshlrev_b32_e32 v3, 2, v4
	v_mov_b32_e32 v4, s55
	v_add_co_u32_e32 v18, vcc, s7, v3
	v_addc_co_u32_e32 v19, vcc, 0, v4, vcc
	flat_load_dword v3, v[18:19]
	s_or_b64 exec, exec, s[2:3]
                                        ; implicit-def: $vgpr4
	s_and_saveexec_b64 s[2:3], s[16:17]
	s_cbranch_execz .LBB147_43
.LBB147_177:
	v_lshlrev_b32_e32 v4, 2, v5
	v_mov_b32_e32 v5, s55
	v_add_co_u32_e32 v4, vcc, s7, v4
	v_addc_co_u32_e32 v5, vcc, 0, v5, vcc
	flat_load_dword v4, v[4:5]
	s_or_b64 exec, exec, s[2:3]
                                        ; implicit-def: $vgpr5
	s_and_saveexec_b64 s[2:3], s[18:19]
	s_cbranch_execz .LBB147_44
.LBB147_178:
	v_lshlrev_b32_e32 v5, 2, v6
	v_mov_b32_e32 v6, s55
	v_add_co_u32_e32 v18, vcc, s7, v5
	v_addc_co_u32_e32 v19, vcc, 0, v6, vcc
	flat_load_dword v5, v[18:19]
	s_or_b64 exec, exec, s[2:3]
                                        ; implicit-def: $vgpr6
	s_and_saveexec_b64 s[2:3], s[20:21]
	s_cbranch_execz .LBB147_45
.LBB147_179:
	v_lshlrev_b32_e32 v6, 2, v7
	v_mov_b32_e32 v7, s55
	v_add_co_u32_e32 v6, vcc, s7, v6
	v_addc_co_u32_e32 v7, vcc, 0, v7, vcc
	flat_load_dword v6, v[6:7]
	s_or_b64 exec, exec, s[2:3]
                                        ; implicit-def: $vgpr7
	s_and_saveexec_b64 s[2:3], s[22:23]
	s_cbranch_execz .LBB147_46
.LBB147_180:
	v_lshlrev_b32_e32 v7, 2, v8
	v_mov_b32_e32 v8, s55
	v_add_co_u32_e32 v18, vcc, s7, v7
	v_addc_co_u32_e32 v19, vcc, 0, v8, vcc
	flat_load_dword v7, v[18:19]
	s_or_b64 exec, exec, s[2:3]
                                        ; implicit-def: $vgpr8
	s_and_saveexec_b64 s[2:3], s[24:25]
	s_cbranch_execz .LBB147_47
.LBB147_181:
	v_lshlrev_b32_e32 v8, 2, v9
	v_mov_b32_e32 v9, s55
	v_add_co_u32_e32 v8, vcc, s7, v8
	v_addc_co_u32_e32 v9, vcc, 0, v9, vcc
	flat_load_dword v8, v[8:9]
	s_or_b64 exec, exec, s[2:3]
                                        ; implicit-def: $vgpr9
	s_and_saveexec_b64 s[2:3], s[26:27]
	s_cbranch_execz .LBB147_48
.LBB147_182:
	v_lshlrev_b32_e32 v9, 2, v10
	v_mov_b32_e32 v10, s55
	v_add_co_u32_e32 v18, vcc, s7, v9
	v_addc_co_u32_e32 v19, vcc, 0, v10, vcc
	flat_load_dword v9, v[18:19]
	s_or_b64 exec, exec, s[2:3]
                                        ; implicit-def: $vgpr10
	s_and_saveexec_b64 s[2:3], s[28:29]
	s_cbranch_execnz .LBB147_49
	s_branch .LBB147_50
.LBB147_183:
                                        ; implicit-def: $sgpr44_sgpr45
	s_branch .LBB147_32
.LBB147_184:
                                        ; implicit-def: $sgpr2_sgpr3
	s_branch .LBB147_81
	.section	.rodata,"a",@progbits
	.p2align	6, 0x0
	.amdhsa_kernel _ZN7rocprim17ROCPRIM_400000_NS6detail17trampoline_kernelINS0_14default_configENS1_27scan_by_key_config_selectorIiiEEZZNS1_16scan_by_key_implILNS1_25lookback_scan_determinismE0ELb0ES3_N6thrust23THRUST_200600_302600_NS6detail15normal_iteratorINS9_10device_ptrIiEEEESE_SE_iNS9_4plusIvEENS9_8equal_toIvEEiEE10hipError_tPvRmT2_T3_T4_T5_mT6_T7_P12ihipStream_tbENKUlT_T0_E_clISt17integral_constantIbLb1EESY_IbLb0EEEEDaSU_SV_EUlSU_E_NS1_11comp_targetILNS1_3genE4ELNS1_11target_archE910ELNS1_3gpuE8ELNS1_3repE0EEENS1_30default_config_static_selectorELNS0_4arch9wavefront6targetE1EEEvT1_
		.amdhsa_group_segment_fixed_size 16384
		.amdhsa_private_segment_fixed_size 0
		.amdhsa_kernarg_size 112
		.amdhsa_user_sgpr_count 6
		.amdhsa_user_sgpr_private_segment_buffer 1
		.amdhsa_user_sgpr_dispatch_ptr 0
		.amdhsa_user_sgpr_queue_ptr 0
		.amdhsa_user_sgpr_kernarg_segment_ptr 1
		.amdhsa_user_sgpr_dispatch_id 0
		.amdhsa_user_sgpr_flat_scratch_init 0
		.amdhsa_user_sgpr_kernarg_preload_length 0
		.amdhsa_user_sgpr_kernarg_preload_offset 0
		.amdhsa_user_sgpr_private_segment_size 0
		.amdhsa_uses_dynamic_stack 0
		.amdhsa_system_sgpr_private_segment_wavefront_offset 0
		.amdhsa_system_sgpr_workgroup_id_x 1
		.amdhsa_system_sgpr_workgroup_id_y 0
		.amdhsa_system_sgpr_workgroup_id_z 0
		.amdhsa_system_sgpr_workgroup_info 0
		.amdhsa_system_vgpr_workitem_id 0
		.amdhsa_next_free_vgpr 65
		.amdhsa_next_free_sgpr 61
		.amdhsa_accum_offset 68
		.amdhsa_reserve_vcc 1
		.amdhsa_reserve_flat_scratch 0
		.amdhsa_float_round_mode_32 0
		.amdhsa_float_round_mode_16_64 0
		.amdhsa_float_denorm_mode_32 3
		.amdhsa_float_denorm_mode_16_64 3
		.amdhsa_dx10_clamp 1
		.amdhsa_ieee_mode 1
		.amdhsa_fp16_overflow 0
		.amdhsa_tg_split 0
		.amdhsa_exception_fp_ieee_invalid_op 0
		.amdhsa_exception_fp_denorm_src 0
		.amdhsa_exception_fp_ieee_div_zero 0
		.amdhsa_exception_fp_ieee_overflow 0
		.amdhsa_exception_fp_ieee_underflow 0
		.amdhsa_exception_fp_ieee_inexact 0
		.amdhsa_exception_int_div_zero 0
	.end_amdhsa_kernel
	.section	.text._ZN7rocprim17ROCPRIM_400000_NS6detail17trampoline_kernelINS0_14default_configENS1_27scan_by_key_config_selectorIiiEEZZNS1_16scan_by_key_implILNS1_25lookback_scan_determinismE0ELb0ES3_N6thrust23THRUST_200600_302600_NS6detail15normal_iteratorINS9_10device_ptrIiEEEESE_SE_iNS9_4plusIvEENS9_8equal_toIvEEiEE10hipError_tPvRmT2_T3_T4_T5_mT6_T7_P12ihipStream_tbENKUlT_T0_E_clISt17integral_constantIbLb1EESY_IbLb0EEEEDaSU_SV_EUlSU_E_NS1_11comp_targetILNS1_3genE4ELNS1_11target_archE910ELNS1_3gpuE8ELNS1_3repE0EEENS1_30default_config_static_selectorELNS0_4arch9wavefront6targetE1EEEvT1_,"axG",@progbits,_ZN7rocprim17ROCPRIM_400000_NS6detail17trampoline_kernelINS0_14default_configENS1_27scan_by_key_config_selectorIiiEEZZNS1_16scan_by_key_implILNS1_25lookback_scan_determinismE0ELb0ES3_N6thrust23THRUST_200600_302600_NS6detail15normal_iteratorINS9_10device_ptrIiEEEESE_SE_iNS9_4plusIvEENS9_8equal_toIvEEiEE10hipError_tPvRmT2_T3_T4_T5_mT6_T7_P12ihipStream_tbENKUlT_T0_E_clISt17integral_constantIbLb1EESY_IbLb0EEEEDaSU_SV_EUlSU_E_NS1_11comp_targetILNS1_3genE4ELNS1_11target_archE910ELNS1_3gpuE8ELNS1_3repE0EEENS1_30default_config_static_selectorELNS0_4arch9wavefront6targetE1EEEvT1_,comdat
.Lfunc_end147:
	.size	_ZN7rocprim17ROCPRIM_400000_NS6detail17trampoline_kernelINS0_14default_configENS1_27scan_by_key_config_selectorIiiEEZZNS1_16scan_by_key_implILNS1_25lookback_scan_determinismE0ELb0ES3_N6thrust23THRUST_200600_302600_NS6detail15normal_iteratorINS9_10device_ptrIiEEEESE_SE_iNS9_4plusIvEENS9_8equal_toIvEEiEE10hipError_tPvRmT2_T3_T4_T5_mT6_T7_P12ihipStream_tbENKUlT_T0_E_clISt17integral_constantIbLb1EESY_IbLb0EEEEDaSU_SV_EUlSU_E_NS1_11comp_targetILNS1_3genE4ELNS1_11target_archE910ELNS1_3gpuE8ELNS1_3repE0EEENS1_30default_config_static_selectorELNS0_4arch9wavefront6targetE1EEEvT1_, .Lfunc_end147-_ZN7rocprim17ROCPRIM_400000_NS6detail17trampoline_kernelINS0_14default_configENS1_27scan_by_key_config_selectorIiiEEZZNS1_16scan_by_key_implILNS1_25lookback_scan_determinismE0ELb0ES3_N6thrust23THRUST_200600_302600_NS6detail15normal_iteratorINS9_10device_ptrIiEEEESE_SE_iNS9_4plusIvEENS9_8equal_toIvEEiEE10hipError_tPvRmT2_T3_T4_T5_mT6_T7_P12ihipStream_tbENKUlT_T0_E_clISt17integral_constantIbLb1EESY_IbLb0EEEEDaSU_SV_EUlSU_E_NS1_11comp_targetILNS1_3genE4ELNS1_11target_archE910ELNS1_3gpuE8ELNS1_3repE0EEENS1_30default_config_static_selectorELNS0_4arch9wavefront6targetE1EEEvT1_
                                        ; -- End function
	.section	.AMDGPU.csdata,"",@progbits
; Kernel info:
; codeLenInByte = 11028
; NumSgprs: 65
; NumVgprs: 65
; NumAgprs: 0
; TotalNumVgprs: 65
; ScratchSize: 0
; MemoryBound: 0
; FloatMode: 240
; IeeeMode: 1
; LDSByteSize: 16384 bytes/workgroup (compile time only)
; SGPRBlocks: 8
; VGPRBlocks: 8
; NumSGPRsForWavesPerEU: 65
; NumVGPRsForWavesPerEU: 65
; AccumOffset: 68
; Occupancy: 4
; WaveLimiterHint : 1
; COMPUTE_PGM_RSRC2:SCRATCH_EN: 0
; COMPUTE_PGM_RSRC2:USER_SGPR: 6
; COMPUTE_PGM_RSRC2:TRAP_HANDLER: 0
; COMPUTE_PGM_RSRC2:TGID_X_EN: 1
; COMPUTE_PGM_RSRC2:TGID_Y_EN: 0
; COMPUTE_PGM_RSRC2:TGID_Z_EN: 0
; COMPUTE_PGM_RSRC2:TIDIG_COMP_CNT: 0
; COMPUTE_PGM_RSRC3_GFX90A:ACCUM_OFFSET: 16
; COMPUTE_PGM_RSRC3_GFX90A:TG_SPLIT: 0
	.section	.text._ZN7rocprim17ROCPRIM_400000_NS6detail17trampoline_kernelINS0_14default_configENS1_27scan_by_key_config_selectorIiiEEZZNS1_16scan_by_key_implILNS1_25lookback_scan_determinismE0ELb0ES3_N6thrust23THRUST_200600_302600_NS6detail15normal_iteratorINS9_10device_ptrIiEEEESE_SE_iNS9_4plusIvEENS9_8equal_toIvEEiEE10hipError_tPvRmT2_T3_T4_T5_mT6_T7_P12ihipStream_tbENKUlT_T0_E_clISt17integral_constantIbLb1EESY_IbLb0EEEEDaSU_SV_EUlSU_E_NS1_11comp_targetILNS1_3genE3ELNS1_11target_archE908ELNS1_3gpuE7ELNS1_3repE0EEENS1_30default_config_static_selectorELNS0_4arch9wavefront6targetE1EEEvT1_,"axG",@progbits,_ZN7rocprim17ROCPRIM_400000_NS6detail17trampoline_kernelINS0_14default_configENS1_27scan_by_key_config_selectorIiiEEZZNS1_16scan_by_key_implILNS1_25lookback_scan_determinismE0ELb0ES3_N6thrust23THRUST_200600_302600_NS6detail15normal_iteratorINS9_10device_ptrIiEEEESE_SE_iNS9_4plusIvEENS9_8equal_toIvEEiEE10hipError_tPvRmT2_T3_T4_T5_mT6_T7_P12ihipStream_tbENKUlT_T0_E_clISt17integral_constantIbLb1EESY_IbLb0EEEEDaSU_SV_EUlSU_E_NS1_11comp_targetILNS1_3genE3ELNS1_11target_archE908ELNS1_3gpuE7ELNS1_3repE0EEENS1_30default_config_static_selectorELNS0_4arch9wavefront6targetE1EEEvT1_,comdat
	.protected	_ZN7rocprim17ROCPRIM_400000_NS6detail17trampoline_kernelINS0_14default_configENS1_27scan_by_key_config_selectorIiiEEZZNS1_16scan_by_key_implILNS1_25lookback_scan_determinismE0ELb0ES3_N6thrust23THRUST_200600_302600_NS6detail15normal_iteratorINS9_10device_ptrIiEEEESE_SE_iNS9_4plusIvEENS9_8equal_toIvEEiEE10hipError_tPvRmT2_T3_T4_T5_mT6_T7_P12ihipStream_tbENKUlT_T0_E_clISt17integral_constantIbLb1EESY_IbLb0EEEEDaSU_SV_EUlSU_E_NS1_11comp_targetILNS1_3genE3ELNS1_11target_archE908ELNS1_3gpuE7ELNS1_3repE0EEENS1_30default_config_static_selectorELNS0_4arch9wavefront6targetE1EEEvT1_ ; -- Begin function _ZN7rocprim17ROCPRIM_400000_NS6detail17trampoline_kernelINS0_14default_configENS1_27scan_by_key_config_selectorIiiEEZZNS1_16scan_by_key_implILNS1_25lookback_scan_determinismE0ELb0ES3_N6thrust23THRUST_200600_302600_NS6detail15normal_iteratorINS9_10device_ptrIiEEEESE_SE_iNS9_4plusIvEENS9_8equal_toIvEEiEE10hipError_tPvRmT2_T3_T4_T5_mT6_T7_P12ihipStream_tbENKUlT_T0_E_clISt17integral_constantIbLb1EESY_IbLb0EEEEDaSU_SV_EUlSU_E_NS1_11comp_targetILNS1_3genE3ELNS1_11target_archE908ELNS1_3gpuE7ELNS1_3repE0EEENS1_30default_config_static_selectorELNS0_4arch9wavefront6targetE1EEEvT1_
	.globl	_ZN7rocprim17ROCPRIM_400000_NS6detail17trampoline_kernelINS0_14default_configENS1_27scan_by_key_config_selectorIiiEEZZNS1_16scan_by_key_implILNS1_25lookback_scan_determinismE0ELb0ES3_N6thrust23THRUST_200600_302600_NS6detail15normal_iteratorINS9_10device_ptrIiEEEESE_SE_iNS9_4plusIvEENS9_8equal_toIvEEiEE10hipError_tPvRmT2_T3_T4_T5_mT6_T7_P12ihipStream_tbENKUlT_T0_E_clISt17integral_constantIbLb1EESY_IbLb0EEEEDaSU_SV_EUlSU_E_NS1_11comp_targetILNS1_3genE3ELNS1_11target_archE908ELNS1_3gpuE7ELNS1_3repE0EEENS1_30default_config_static_selectorELNS0_4arch9wavefront6targetE1EEEvT1_
	.p2align	8
	.type	_ZN7rocprim17ROCPRIM_400000_NS6detail17trampoline_kernelINS0_14default_configENS1_27scan_by_key_config_selectorIiiEEZZNS1_16scan_by_key_implILNS1_25lookback_scan_determinismE0ELb0ES3_N6thrust23THRUST_200600_302600_NS6detail15normal_iteratorINS9_10device_ptrIiEEEESE_SE_iNS9_4plusIvEENS9_8equal_toIvEEiEE10hipError_tPvRmT2_T3_T4_T5_mT6_T7_P12ihipStream_tbENKUlT_T0_E_clISt17integral_constantIbLb1EESY_IbLb0EEEEDaSU_SV_EUlSU_E_NS1_11comp_targetILNS1_3genE3ELNS1_11target_archE908ELNS1_3gpuE7ELNS1_3repE0EEENS1_30default_config_static_selectorELNS0_4arch9wavefront6targetE1EEEvT1_,@function
_ZN7rocprim17ROCPRIM_400000_NS6detail17trampoline_kernelINS0_14default_configENS1_27scan_by_key_config_selectorIiiEEZZNS1_16scan_by_key_implILNS1_25lookback_scan_determinismE0ELb0ES3_N6thrust23THRUST_200600_302600_NS6detail15normal_iteratorINS9_10device_ptrIiEEEESE_SE_iNS9_4plusIvEENS9_8equal_toIvEEiEE10hipError_tPvRmT2_T3_T4_T5_mT6_T7_P12ihipStream_tbENKUlT_T0_E_clISt17integral_constantIbLb1EESY_IbLb0EEEEDaSU_SV_EUlSU_E_NS1_11comp_targetILNS1_3genE3ELNS1_11target_archE908ELNS1_3gpuE7ELNS1_3repE0EEENS1_30default_config_static_selectorELNS0_4arch9wavefront6targetE1EEEvT1_: ; @_ZN7rocprim17ROCPRIM_400000_NS6detail17trampoline_kernelINS0_14default_configENS1_27scan_by_key_config_selectorIiiEEZZNS1_16scan_by_key_implILNS1_25lookback_scan_determinismE0ELb0ES3_N6thrust23THRUST_200600_302600_NS6detail15normal_iteratorINS9_10device_ptrIiEEEESE_SE_iNS9_4plusIvEENS9_8equal_toIvEEiEE10hipError_tPvRmT2_T3_T4_T5_mT6_T7_P12ihipStream_tbENKUlT_T0_E_clISt17integral_constantIbLb1EESY_IbLb0EEEEDaSU_SV_EUlSU_E_NS1_11comp_targetILNS1_3genE3ELNS1_11target_archE908ELNS1_3gpuE7ELNS1_3repE0EEENS1_30default_config_static_selectorELNS0_4arch9wavefront6targetE1EEEvT1_
; %bb.0:
	.section	.rodata,"a",@progbits
	.p2align	6, 0x0
	.amdhsa_kernel _ZN7rocprim17ROCPRIM_400000_NS6detail17trampoline_kernelINS0_14default_configENS1_27scan_by_key_config_selectorIiiEEZZNS1_16scan_by_key_implILNS1_25lookback_scan_determinismE0ELb0ES3_N6thrust23THRUST_200600_302600_NS6detail15normal_iteratorINS9_10device_ptrIiEEEESE_SE_iNS9_4plusIvEENS9_8equal_toIvEEiEE10hipError_tPvRmT2_T3_T4_T5_mT6_T7_P12ihipStream_tbENKUlT_T0_E_clISt17integral_constantIbLb1EESY_IbLb0EEEEDaSU_SV_EUlSU_E_NS1_11comp_targetILNS1_3genE3ELNS1_11target_archE908ELNS1_3gpuE7ELNS1_3repE0EEENS1_30default_config_static_selectorELNS0_4arch9wavefront6targetE1EEEvT1_
		.amdhsa_group_segment_fixed_size 0
		.amdhsa_private_segment_fixed_size 0
		.amdhsa_kernarg_size 112
		.amdhsa_user_sgpr_count 6
		.amdhsa_user_sgpr_private_segment_buffer 1
		.amdhsa_user_sgpr_dispatch_ptr 0
		.amdhsa_user_sgpr_queue_ptr 0
		.amdhsa_user_sgpr_kernarg_segment_ptr 1
		.amdhsa_user_sgpr_dispatch_id 0
		.amdhsa_user_sgpr_flat_scratch_init 0
		.amdhsa_user_sgpr_kernarg_preload_length 0
		.amdhsa_user_sgpr_kernarg_preload_offset 0
		.amdhsa_user_sgpr_private_segment_size 0
		.amdhsa_uses_dynamic_stack 0
		.amdhsa_system_sgpr_private_segment_wavefront_offset 0
		.amdhsa_system_sgpr_workgroup_id_x 1
		.amdhsa_system_sgpr_workgroup_id_y 0
		.amdhsa_system_sgpr_workgroup_id_z 0
		.amdhsa_system_sgpr_workgroup_info 0
		.amdhsa_system_vgpr_workitem_id 0
		.amdhsa_next_free_vgpr 1
		.amdhsa_next_free_sgpr 0
		.amdhsa_accum_offset 4
		.amdhsa_reserve_vcc 0
		.amdhsa_reserve_flat_scratch 0
		.amdhsa_float_round_mode_32 0
		.amdhsa_float_round_mode_16_64 0
		.amdhsa_float_denorm_mode_32 3
		.amdhsa_float_denorm_mode_16_64 3
		.amdhsa_dx10_clamp 1
		.amdhsa_ieee_mode 1
		.amdhsa_fp16_overflow 0
		.amdhsa_tg_split 0
		.amdhsa_exception_fp_ieee_invalid_op 0
		.amdhsa_exception_fp_denorm_src 0
		.amdhsa_exception_fp_ieee_div_zero 0
		.amdhsa_exception_fp_ieee_overflow 0
		.amdhsa_exception_fp_ieee_underflow 0
		.amdhsa_exception_fp_ieee_inexact 0
		.amdhsa_exception_int_div_zero 0
	.end_amdhsa_kernel
	.section	.text._ZN7rocprim17ROCPRIM_400000_NS6detail17trampoline_kernelINS0_14default_configENS1_27scan_by_key_config_selectorIiiEEZZNS1_16scan_by_key_implILNS1_25lookback_scan_determinismE0ELb0ES3_N6thrust23THRUST_200600_302600_NS6detail15normal_iteratorINS9_10device_ptrIiEEEESE_SE_iNS9_4plusIvEENS9_8equal_toIvEEiEE10hipError_tPvRmT2_T3_T4_T5_mT6_T7_P12ihipStream_tbENKUlT_T0_E_clISt17integral_constantIbLb1EESY_IbLb0EEEEDaSU_SV_EUlSU_E_NS1_11comp_targetILNS1_3genE3ELNS1_11target_archE908ELNS1_3gpuE7ELNS1_3repE0EEENS1_30default_config_static_selectorELNS0_4arch9wavefront6targetE1EEEvT1_,"axG",@progbits,_ZN7rocprim17ROCPRIM_400000_NS6detail17trampoline_kernelINS0_14default_configENS1_27scan_by_key_config_selectorIiiEEZZNS1_16scan_by_key_implILNS1_25lookback_scan_determinismE0ELb0ES3_N6thrust23THRUST_200600_302600_NS6detail15normal_iteratorINS9_10device_ptrIiEEEESE_SE_iNS9_4plusIvEENS9_8equal_toIvEEiEE10hipError_tPvRmT2_T3_T4_T5_mT6_T7_P12ihipStream_tbENKUlT_T0_E_clISt17integral_constantIbLb1EESY_IbLb0EEEEDaSU_SV_EUlSU_E_NS1_11comp_targetILNS1_3genE3ELNS1_11target_archE908ELNS1_3gpuE7ELNS1_3repE0EEENS1_30default_config_static_selectorELNS0_4arch9wavefront6targetE1EEEvT1_,comdat
.Lfunc_end148:
	.size	_ZN7rocprim17ROCPRIM_400000_NS6detail17trampoline_kernelINS0_14default_configENS1_27scan_by_key_config_selectorIiiEEZZNS1_16scan_by_key_implILNS1_25lookback_scan_determinismE0ELb0ES3_N6thrust23THRUST_200600_302600_NS6detail15normal_iteratorINS9_10device_ptrIiEEEESE_SE_iNS9_4plusIvEENS9_8equal_toIvEEiEE10hipError_tPvRmT2_T3_T4_T5_mT6_T7_P12ihipStream_tbENKUlT_T0_E_clISt17integral_constantIbLb1EESY_IbLb0EEEEDaSU_SV_EUlSU_E_NS1_11comp_targetILNS1_3genE3ELNS1_11target_archE908ELNS1_3gpuE7ELNS1_3repE0EEENS1_30default_config_static_selectorELNS0_4arch9wavefront6targetE1EEEvT1_, .Lfunc_end148-_ZN7rocprim17ROCPRIM_400000_NS6detail17trampoline_kernelINS0_14default_configENS1_27scan_by_key_config_selectorIiiEEZZNS1_16scan_by_key_implILNS1_25lookback_scan_determinismE0ELb0ES3_N6thrust23THRUST_200600_302600_NS6detail15normal_iteratorINS9_10device_ptrIiEEEESE_SE_iNS9_4plusIvEENS9_8equal_toIvEEiEE10hipError_tPvRmT2_T3_T4_T5_mT6_T7_P12ihipStream_tbENKUlT_T0_E_clISt17integral_constantIbLb1EESY_IbLb0EEEEDaSU_SV_EUlSU_E_NS1_11comp_targetILNS1_3genE3ELNS1_11target_archE908ELNS1_3gpuE7ELNS1_3repE0EEENS1_30default_config_static_selectorELNS0_4arch9wavefront6targetE1EEEvT1_
                                        ; -- End function
	.section	.AMDGPU.csdata,"",@progbits
; Kernel info:
; codeLenInByte = 0
; NumSgprs: 4
; NumVgprs: 0
; NumAgprs: 0
; TotalNumVgprs: 0
; ScratchSize: 0
; MemoryBound: 0
; FloatMode: 240
; IeeeMode: 1
; LDSByteSize: 0 bytes/workgroup (compile time only)
; SGPRBlocks: 0
; VGPRBlocks: 0
; NumSGPRsForWavesPerEU: 4
; NumVGPRsForWavesPerEU: 1
; AccumOffset: 4
; Occupancy: 8
; WaveLimiterHint : 0
; COMPUTE_PGM_RSRC2:SCRATCH_EN: 0
; COMPUTE_PGM_RSRC2:USER_SGPR: 6
; COMPUTE_PGM_RSRC2:TRAP_HANDLER: 0
; COMPUTE_PGM_RSRC2:TGID_X_EN: 1
; COMPUTE_PGM_RSRC2:TGID_Y_EN: 0
; COMPUTE_PGM_RSRC2:TGID_Z_EN: 0
; COMPUTE_PGM_RSRC2:TIDIG_COMP_CNT: 0
; COMPUTE_PGM_RSRC3_GFX90A:ACCUM_OFFSET: 0
; COMPUTE_PGM_RSRC3_GFX90A:TG_SPLIT: 0
	.section	.text._ZN7rocprim17ROCPRIM_400000_NS6detail17trampoline_kernelINS0_14default_configENS1_27scan_by_key_config_selectorIiiEEZZNS1_16scan_by_key_implILNS1_25lookback_scan_determinismE0ELb0ES3_N6thrust23THRUST_200600_302600_NS6detail15normal_iteratorINS9_10device_ptrIiEEEESE_SE_iNS9_4plusIvEENS9_8equal_toIvEEiEE10hipError_tPvRmT2_T3_T4_T5_mT6_T7_P12ihipStream_tbENKUlT_T0_E_clISt17integral_constantIbLb1EESY_IbLb0EEEEDaSU_SV_EUlSU_E_NS1_11comp_targetILNS1_3genE2ELNS1_11target_archE906ELNS1_3gpuE6ELNS1_3repE0EEENS1_30default_config_static_selectorELNS0_4arch9wavefront6targetE1EEEvT1_,"axG",@progbits,_ZN7rocprim17ROCPRIM_400000_NS6detail17trampoline_kernelINS0_14default_configENS1_27scan_by_key_config_selectorIiiEEZZNS1_16scan_by_key_implILNS1_25lookback_scan_determinismE0ELb0ES3_N6thrust23THRUST_200600_302600_NS6detail15normal_iteratorINS9_10device_ptrIiEEEESE_SE_iNS9_4plusIvEENS9_8equal_toIvEEiEE10hipError_tPvRmT2_T3_T4_T5_mT6_T7_P12ihipStream_tbENKUlT_T0_E_clISt17integral_constantIbLb1EESY_IbLb0EEEEDaSU_SV_EUlSU_E_NS1_11comp_targetILNS1_3genE2ELNS1_11target_archE906ELNS1_3gpuE6ELNS1_3repE0EEENS1_30default_config_static_selectorELNS0_4arch9wavefront6targetE1EEEvT1_,comdat
	.protected	_ZN7rocprim17ROCPRIM_400000_NS6detail17trampoline_kernelINS0_14default_configENS1_27scan_by_key_config_selectorIiiEEZZNS1_16scan_by_key_implILNS1_25lookback_scan_determinismE0ELb0ES3_N6thrust23THRUST_200600_302600_NS6detail15normal_iteratorINS9_10device_ptrIiEEEESE_SE_iNS9_4plusIvEENS9_8equal_toIvEEiEE10hipError_tPvRmT2_T3_T4_T5_mT6_T7_P12ihipStream_tbENKUlT_T0_E_clISt17integral_constantIbLb1EESY_IbLb0EEEEDaSU_SV_EUlSU_E_NS1_11comp_targetILNS1_3genE2ELNS1_11target_archE906ELNS1_3gpuE6ELNS1_3repE0EEENS1_30default_config_static_selectorELNS0_4arch9wavefront6targetE1EEEvT1_ ; -- Begin function _ZN7rocprim17ROCPRIM_400000_NS6detail17trampoline_kernelINS0_14default_configENS1_27scan_by_key_config_selectorIiiEEZZNS1_16scan_by_key_implILNS1_25lookback_scan_determinismE0ELb0ES3_N6thrust23THRUST_200600_302600_NS6detail15normal_iteratorINS9_10device_ptrIiEEEESE_SE_iNS9_4plusIvEENS9_8equal_toIvEEiEE10hipError_tPvRmT2_T3_T4_T5_mT6_T7_P12ihipStream_tbENKUlT_T0_E_clISt17integral_constantIbLb1EESY_IbLb0EEEEDaSU_SV_EUlSU_E_NS1_11comp_targetILNS1_3genE2ELNS1_11target_archE906ELNS1_3gpuE6ELNS1_3repE0EEENS1_30default_config_static_selectorELNS0_4arch9wavefront6targetE1EEEvT1_
	.globl	_ZN7rocprim17ROCPRIM_400000_NS6detail17trampoline_kernelINS0_14default_configENS1_27scan_by_key_config_selectorIiiEEZZNS1_16scan_by_key_implILNS1_25lookback_scan_determinismE0ELb0ES3_N6thrust23THRUST_200600_302600_NS6detail15normal_iteratorINS9_10device_ptrIiEEEESE_SE_iNS9_4plusIvEENS9_8equal_toIvEEiEE10hipError_tPvRmT2_T3_T4_T5_mT6_T7_P12ihipStream_tbENKUlT_T0_E_clISt17integral_constantIbLb1EESY_IbLb0EEEEDaSU_SV_EUlSU_E_NS1_11comp_targetILNS1_3genE2ELNS1_11target_archE906ELNS1_3gpuE6ELNS1_3repE0EEENS1_30default_config_static_selectorELNS0_4arch9wavefront6targetE1EEEvT1_
	.p2align	8
	.type	_ZN7rocprim17ROCPRIM_400000_NS6detail17trampoline_kernelINS0_14default_configENS1_27scan_by_key_config_selectorIiiEEZZNS1_16scan_by_key_implILNS1_25lookback_scan_determinismE0ELb0ES3_N6thrust23THRUST_200600_302600_NS6detail15normal_iteratorINS9_10device_ptrIiEEEESE_SE_iNS9_4plusIvEENS9_8equal_toIvEEiEE10hipError_tPvRmT2_T3_T4_T5_mT6_T7_P12ihipStream_tbENKUlT_T0_E_clISt17integral_constantIbLb1EESY_IbLb0EEEEDaSU_SV_EUlSU_E_NS1_11comp_targetILNS1_3genE2ELNS1_11target_archE906ELNS1_3gpuE6ELNS1_3repE0EEENS1_30default_config_static_selectorELNS0_4arch9wavefront6targetE1EEEvT1_,@function
_ZN7rocprim17ROCPRIM_400000_NS6detail17trampoline_kernelINS0_14default_configENS1_27scan_by_key_config_selectorIiiEEZZNS1_16scan_by_key_implILNS1_25lookback_scan_determinismE0ELb0ES3_N6thrust23THRUST_200600_302600_NS6detail15normal_iteratorINS9_10device_ptrIiEEEESE_SE_iNS9_4plusIvEENS9_8equal_toIvEEiEE10hipError_tPvRmT2_T3_T4_T5_mT6_T7_P12ihipStream_tbENKUlT_T0_E_clISt17integral_constantIbLb1EESY_IbLb0EEEEDaSU_SV_EUlSU_E_NS1_11comp_targetILNS1_3genE2ELNS1_11target_archE906ELNS1_3gpuE6ELNS1_3repE0EEENS1_30default_config_static_selectorELNS0_4arch9wavefront6targetE1EEEvT1_: ; @_ZN7rocprim17ROCPRIM_400000_NS6detail17trampoline_kernelINS0_14default_configENS1_27scan_by_key_config_selectorIiiEEZZNS1_16scan_by_key_implILNS1_25lookback_scan_determinismE0ELb0ES3_N6thrust23THRUST_200600_302600_NS6detail15normal_iteratorINS9_10device_ptrIiEEEESE_SE_iNS9_4plusIvEENS9_8equal_toIvEEiEE10hipError_tPvRmT2_T3_T4_T5_mT6_T7_P12ihipStream_tbENKUlT_T0_E_clISt17integral_constantIbLb1EESY_IbLb0EEEEDaSU_SV_EUlSU_E_NS1_11comp_targetILNS1_3genE2ELNS1_11target_archE906ELNS1_3gpuE6ELNS1_3repE0EEENS1_30default_config_static_selectorELNS0_4arch9wavefront6targetE1EEEvT1_
; %bb.0:
	.section	.rodata,"a",@progbits
	.p2align	6, 0x0
	.amdhsa_kernel _ZN7rocprim17ROCPRIM_400000_NS6detail17trampoline_kernelINS0_14default_configENS1_27scan_by_key_config_selectorIiiEEZZNS1_16scan_by_key_implILNS1_25lookback_scan_determinismE0ELb0ES3_N6thrust23THRUST_200600_302600_NS6detail15normal_iteratorINS9_10device_ptrIiEEEESE_SE_iNS9_4plusIvEENS9_8equal_toIvEEiEE10hipError_tPvRmT2_T3_T4_T5_mT6_T7_P12ihipStream_tbENKUlT_T0_E_clISt17integral_constantIbLb1EESY_IbLb0EEEEDaSU_SV_EUlSU_E_NS1_11comp_targetILNS1_3genE2ELNS1_11target_archE906ELNS1_3gpuE6ELNS1_3repE0EEENS1_30default_config_static_selectorELNS0_4arch9wavefront6targetE1EEEvT1_
		.amdhsa_group_segment_fixed_size 0
		.amdhsa_private_segment_fixed_size 0
		.amdhsa_kernarg_size 112
		.amdhsa_user_sgpr_count 6
		.amdhsa_user_sgpr_private_segment_buffer 1
		.amdhsa_user_sgpr_dispatch_ptr 0
		.amdhsa_user_sgpr_queue_ptr 0
		.amdhsa_user_sgpr_kernarg_segment_ptr 1
		.amdhsa_user_sgpr_dispatch_id 0
		.amdhsa_user_sgpr_flat_scratch_init 0
		.amdhsa_user_sgpr_kernarg_preload_length 0
		.amdhsa_user_sgpr_kernarg_preload_offset 0
		.amdhsa_user_sgpr_private_segment_size 0
		.amdhsa_uses_dynamic_stack 0
		.amdhsa_system_sgpr_private_segment_wavefront_offset 0
		.amdhsa_system_sgpr_workgroup_id_x 1
		.amdhsa_system_sgpr_workgroup_id_y 0
		.amdhsa_system_sgpr_workgroup_id_z 0
		.amdhsa_system_sgpr_workgroup_info 0
		.amdhsa_system_vgpr_workitem_id 0
		.amdhsa_next_free_vgpr 1
		.amdhsa_next_free_sgpr 0
		.amdhsa_accum_offset 4
		.amdhsa_reserve_vcc 0
		.amdhsa_reserve_flat_scratch 0
		.amdhsa_float_round_mode_32 0
		.amdhsa_float_round_mode_16_64 0
		.amdhsa_float_denorm_mode_32 3
		.amdhsa_float_denorm_mode_16_64 3
		.amdhsa_dx10_clamp 1
		.amdhsa_ieee_mode 1
		.amdhsa_fp16_overflow 0
		.amdhsa_tg_split 0
		.amdhsa_exception_fp_ieee_invalid_op 0
		.amdhsa_exception_fp_denorm_src 0
		.amdhsa_exception_fp_ieee_div_zero 0
		.amdhsa_exception_fp_ieee_overflow 0
		.amdhsa_exception_fp_ieee_underflow 0
		.amdhsa_exception_fp_ieee_inexact 0
		.amdhsa_exception_int_div_zero 0
	.end_amdhsa_kernel
	.section	.text._ZN7rocprim17ROCPRIM_400000_NS6detail17trampoline_kernelINS0_14default_configENS1_27scan_by_key_config_selectorIiiEEZZNS1_16scan_by_key_implILNS1_25lookback_scan_determinismE0ELb0ES3_N6thrust23THRUST_200600_302600_NS6detail15normal_iteratorINS9_10device_ptrIiEEEESE_SE_iNS9_4plusIvEENS9_8equal_toIvEEiEE10hipError_tPvRmT2_T3_T4_T5_mT6_T7_P12ihipStream_tbENKUlT_T0_E_clISt17integral_constantIbLb1EESY_IbLb0EEEEDaSU_SV_EUlSU_E_NS1_11comp_targetILNS1_3genE2ELNS1_11target_archE906ELNS1_3gpuE6ELNS1_3repE0EEENS1_30default_config_static_selectorELNS0_4arch9wavefront6targetE1EEEvT1_,"axG",@progbits,_ZN7rocprim17ROCPRIM_400000_NS6detail17trampoline_kernelINS0_14default_configENS1_27scan_by_key_config_selectorIiiEEZZNS1_16scan_by_key_implILNS1_25lookback_scan_determinismE0ELb0ES3_N6thrust23THRUST_200600_302600_NS6detail15normal_iteratorINS9_10device_ptrIiEEEESE_SE_iNS9_4plusIvEENS9_8equal_toIvEEiEE10hipError_tPvRmT2_T3_T4_T5_mT6_T7_P12ihipStream_tbENKUlT_T0_E_clISt17integral_constantIbLb1EESY_IbLb0EEEEDaSU_SV_EUlSU_E_NS1_11comp_targetILNS1_3genE2ELNS1_11target_archE906ELNS1_3gpuE6ELNS1_3repE0EEENS1_30default_config_static_selectorELNS0_4arch9wavefront6targetE1EEEvT1_,comdat
.Lfunc_end149:
	.size	_ZN7rocprim17ROCPRIM_400000_NS6detail17trampoline_kernelINS0_14default_configENS1_27scan_by_key_config_selectorIiiEEZZNS1_16scan_by_key_implILNS1_25lookback_scan_determinismE0ELb0ES3_N6thrust23THRUST_200600_302600_NS6detail15normal_iteratorINS9_10device_ptrIiEEEESE_SE_iNS9_4plusIvEENS9_8equal_toIvEEiEE10hipError_tPvRmT2_T3_T4_T5_mT6_T7_P12ihipStream_tbENKUlT_T0_E_clISt17integral_constantIbLb1EESY_IbLb0EEEEDaSU_SV_EUlSU_E_NS1_11comp_targetILNS1_3genE2ELNS1_11target_archE906ELNS1_3gpuE6ELNS1_3repE0EEENS1_30default_config_static_selectorELNS0_4arch9wavefront6targetE1EEEvT1_, .Lfunc_end149-_ZN7rocprim17ROCPRIM_400000_NS6detail17trampoline_kernelINS0_14default_configENS1_27scan_by_key_config_selectorIiiEEZZNS1_16scan_by_key_implILNS1_25lookback_scan_determinismE0ELb0ES3_N6thrust23THRUST_200600_302600_NS6detail15normal_iteratorINS9_10device_ptrIiEEEESE_SE_iNS9_4plusIvEENS9_8equal_toIvEEiEE10hipError_tPvRmT2_T3_T4_T5_mT6_T7_P12ihipStream_tbENKUlT_T0_E_clISt17integral_constantIbLb1EESY_IbLb0EEEEDaSU_SV_EUlSU_E_NS1_11comp_targetILNS1_3genE2ELNS1_11target_archE906ELNS1_3gpuE6ELNS1_3repE0EEENS1_30default_config_static_selectorELNS0_4arch9wavefront6targetE1EEEvT1_
                                        ; -- End function
	.section	.AMDGPU.csdata,"",@progbits
; Kernel info:
; codeLenInByte = 0
; NumSgprs: 4
; NumVgprs: 0
; NumAgprs: 0
; TotalNumVgprs: 0
; ScratchSize: 0
; MemoryBound: 0
; FloatMode: 240
; IeeeMode: 1
; LDSByteSize: 0 bytes/workgroup (compile time only)
; SGPRBlocks: 0
; VGPRBlocks: 0
; NumSGPRsForWavesPerEU: 4
; NumVGPRsForWavesPerEU: 1
; AccumOffset: 4
; Occupancy: 8
; WaveLimiterHint : 0
; COMPUTE_PGM_RSRC2:SCRATCH_EN: 0
; COMPUTE_PGM_RSRC2:USER_SGPR: 6
; COMPUTE_PGM_RSRC2:TRAP_HANDLER: 0
; COMPUTE_PGM_RSRC2:TGID_X_EN: 1
; COMPUTE_PGM_RSRC2:TGID_Y_EN: 0
; COMPUTE_PGM_RSRC2:TGID_Z_EN: 0
; COMPUTE_PGM_RSRC2:TIDIG_COMP_CNT: 0
; COMPUTE_PGM_RSRC3_GFX90A:ACCUM_OFFSET: 0
; COMPUTE_PGM_RSRC3_GFX90A:TG_SPLIT: 0
	.section	.text._ZN7rocprim17ROCPRIM_400000_NS6detail17trampoline_kernelINS0_14default_configENS1_27scan_by_key_config_selectorIiiEEZZNS1_16scan_by_key_implILNS1_25lookback_scan_determinismE0ELb0ES3_N6thrust23THRUST_200600_302600_NS6detail15normal_iteratorINS9_10device_ptrIiEEEESE_SE_iNS9_4plusIvEENS9_8equal_toIvEEiEE10hipError_tPvRmT2_T3_T4_T5_mT6_T7_P12ihipStream_tbENKUlT_T0_E_clISt17integral_constantIbLb1EESY_IbLb0EEEEDaSU_SV_EUlSU_E_NS1_11comp_targetILNS1_3genE10ELNS1_11target_archE1200ELNS1_3gpuE4ELNS1_3repE0EEENS1_30default_config_static_selectorELNS0_4arch9wavefront6targetE1EEEvT1_,"axG",@progbits,_ZN7rocprim17ROCPRIM_400000_NS6detail17trampoline_kernelINS0_14default_configENS1_27scan_by_key_config_selectorIiiEEZZNS1_16scan_by_key_implILNS1_25lookback_scan_determinismE0ELb0ES3_N6thrust23THRUST_200600_302600_NS6detail15normal_iteratorINS9_10device_ptrIiEEEESE_SE_iNS9_4plusIvEENS9_8equal_toIvEEiEE10hipError_tPvRmT2_T3_T4_T5_mT6_T7_P12ihipStream_tbENKUlT_T0_E_clISt17integral_constantIbLb1EESY_IbLb0EEEEDaSU_SV_EUlSU_E_NS1_11comp_targetILNS1_3genE10ELNS1_11target_archE1200ELNS1_3gpuE4ELNS1_3repE0EEENS1_30default_config_static_selectorELNS0_4arch9wavefront6targetE1EEEvT1_,comdat
	.protected	_ZN7rocprim17ROCPRIM_400000_NS6detail17trampoline_kernelINS0_14default_configENS1_27scan_by_key_config_selectorIiiEEZZNS1_16scan_by_key_implILNS1_25lookback_scan_determinismE0ELb0ES3_N6thrust23THRUST_200600_302600_NS6detail15normal_iteratorINS9_10device_ptrIiEEEESE_SE_iNS9_4plusIvEENS9_8equal_toIvEEiEE10hipError_tPvRmT2_T3_T4_T5_mT6_T7_P12ihipStream_tbENKUlT_T0_E_clISt17integral_constantIbLb1EESY_IbLb0EEEEDaSU_SV_EUlSU_E_NS1_11comp_targetILNS1_3genE10ELNS1_11target_archE1200ELNS1_3gpuE4ELNS1_3repE0EEENS1_30default_config_static_selectorELNS0_4arch9wavefront6targetE1EEEvT1_ ; -- Begin function _ZN7rocprim17ROCPRIM_400000_NS6detail17trampoline_kernelINS0_14default_configENS1_27scan_by_key_config_selectorIiiEEZZNS1_16scan_by_key_implILNS1_25lookback_scan_determinismE0ELb0ES3_N6thrust23THRUST_200600_302600_NS6detail15normal_iteratorINS9_10device_ptrIiEEEESE_SE_iNS9_4plusIvEENS9_8equal_toIvEEiEE10hipError_tPvRmT2_T3_T4_T5_mT6_T7_P12ihipStream_tbENKUlT_T0_E_clISt17integral_constantIbLb1EESY_IbLb0EEEEDaSU_SV_EUlSU_E_NS1_11comp_targetILNS1_3genE10ELNS1_11target_archE1200ELNS1_3gpuE4ELNS1_3repE0EEENS1_30default_config_static_selectorELNS0_4arch9wavefront6targetE1EEEvT1_
	.globl	_ZN7rocprim17ROCPRIM_400000_NS6detail17trampoline_kernelINS0_14default_configENS1_27scan_by_key_config_selectorIiiEEZZNS1_16scan_by_key_implILNS1_25lookback_scan_determinismE0ELb0ES3_N6thrust23THRUST_200600_302600_NS6detail15normal_iteratorINS9_10device_ptrIiEEEESE_SE_iNS9_4plusIvEENS9_8equal_toIvEEiEE10hipError_tPvRmT2_T3_T4_T5_mT6_T7_P12ihipStream_tbENKUlT_T0_E_clISt17integral_constantIbLb1EESY_IbLb0EEEEDaSU_SV_EUlSU_E_NS1_11comp_targetILNS1_3genE10ELNS1_11target_archE1200ELNS1_3gpuE4ELNS1_3repE0EEENS1_30default_config_static_selectorELNS0_4arch9wavefront6targetE1EEEvT1_
	.p2align	8
	.type	_ZN7rocprim17ROCPRIM_400000_NS6detail17trampoline_kernelINS0_14default_configENS1_27scan_by_key_config_selectorIiiEEZZNS1_16scan_by_key_implILNS1_25lookback_scan_determinismE0ELb0ES3_N6thrust23THRUST_200600_302600_NS6detail15normal_iteratorINS9_10device_ptrIiEEEESE_SE_iNS9_4plusIvEENS9_8equal_toIvEEiEE10hipError_tPvRmT2_T3_T4_T5_mT6_T7_P12ihipStream_tbENKUlT_T0_E_clISt17integral_constantIbLb1EESY_IbLb0EEEEDaSU_SV_EUlSU_E_NS1_11comp_targetILNS1_3genE10ELNS1_11target_archE1200ELNS1_3gpuE4ELNS1_3repE0EEENS1_30default_config_static_selectorELNS0_4arch9wavefront6targetE1EEEvT1_,@function
_ZN7rocprim17ROCPRIM_400000_NS6detail17trampoline_kernelINS0_14default_configENS1_27scan_by_key_config_selectorIiiEEZZNS1_16scan_by_key_implILNS1_25lookback_scan_determinismE0ELb0ES3_N6thrust23THRUST_200600_302600_NS6detail15normal_iteratorINS9_10device_ptrIiEEEESE_SE_iNS9_4plusIvEENS9_8equal_toIvEEiEE10hipError_tPvRmT2_T3_T4_T5_mT6_T7_P12ihipStream_tbENKUlT_T0_E_clISt17integral_constantIbLb1EESY_IbLb0EEEEDaSU_SV_EUlSU_E_NS1_11comp_targetILNS1_3genE10ELNS1_11target_archE1200ELNS1_3gpuE4ELNS1_3repE0EEENS1_30default_config_static_selectorELNS0_4arch9wavefront6targetE1EEEvT1_: ; @_ZN7rocprim17ROCPRIM_400000_NS6detail17trampoline_kernelINS0_14default_configENS1_27scan_by_key_config_selectorIiiEEZZNS1_16scan_by_key_implILNS1_25lookback_scan_determinismE0ELb0ES3_N6thrust23THRUST_200600_302600_NS6detail15normal_iteratorINS9_10device_ptrIiEEEESE_SE_iNS9_4plusIvEENS9_8equal_toIvEEiEE10hipError_tPvRmT2_T3_T4_T5_mT6_T7_P12ihipStream_tbENKUlT_T0_E_clISt17integral_constantIbLb1EESY_IbLb0EEEEDaSU_SV_EUlSU_E_NS1_11comp_targetILNS1_3genE10ELNS1_11target_archE1200ELNS1_3gpuE4ELNS1_3repE0EEENS1_30default_config_static_selectorELNS0_4arch9wavefront6targetE1EEEvT1_
; %bb.0:
	.section	.rodata,"a",@progbits
	.p2align	6, 0x0
	.amdhsa_kernel _ZN7rocprim17ROCPRIM_400000_NS6detail17trampoline_kernelINS0_14default_configENS1_27scan_by_key_config_selectorIiiEEZZNS1_16scan_by_key_implILNS1_25lookback_scan_determinismE0ELb0ES3_N6thrust23THRUST_200600_302600_NS6detail15normal_iteratorINS9_10device_ptrIiEEEESE_SE_iNS9_4plusIvEENS9_8equal_toIvEEiEE10hipError_tPvRmT2_T3_T4_T5_mT6_T7_P12ihipStream_tbENKUlT_T0_E_clISt17integral_constantIbLb1EESY_IbLb0EEEEDaSU_SV_EUlSU_E_NS1_11comp_targetILNS1_3genE10ELNS1_11target_archE1200ELNS1_3gpuE4ELNS1_3repE0EEENS1_30default_config_static_selectorELNS0_4arch9wavefront6targetE1EEEvT1_
		.amdhsa_group_segment_fixed_size 0
		.amdhsa_private_segment_fixed_size 0
		.amdhsa_kernarg_size 112
		.amdhsa_user_sgpr_count 6
		.amdhsa_user_sgpr_private_segment_buffer 1
		.amdhsa_user_sgpr_dispatch_ptr 0
		.amdhsa_user_sgpr_queue_ptr 0
		.amdhsa_user_sgpr_kernarg_segment_ptr 1
		.amdhsa_user_sgpr_dispatch_id 0
		.amdhsa_user_sgpr_flat_scratch_init 0
		.amdhsa_user_sgpr_kernarg_preload_length 0
		.amdhsa_user_sgpr_kernarg_preload_offset 0
		.amdhsa_user_sgpr_private_segment_size 0
		.amdhsa_uses_dynamic_stack 0
		.amdhsa_system_sgpr_private_segment_wavefront_offset 0
		.amdhsa_system_sgpr_workgroup_id_x 1
		.amdhsa_system_sgpr_workgroup_id_y 0
		.amdhsa_system_sgpr_workgroup_id_z 0
		.amdhsa_system_sgpr_workgroup_info 0
		.amdhsa_system_vgpr_workitem_id 0
		.amdhsa_next_free_vgpr 1
		.amdhsa_next_free_sgpr 0
		.amdhsa_accum_offset 4
		.amdhsa_reserve_vcc 0
		.amdhsa_reserve_flat_scratch 0
		.amdhsa_float_round_mode_32 0
		.amdhsa_float_round_mode_16_64 0
		.amdhsa_float_denorm_mode_32 3
		.amdhsa_float_denorm_mode_16_64 3
		.amdhsa_dx10_clamp 1
		.amdhsa_ieee_mode 1
		.amdhsa_fp16_overflow 0
		.amdhsa_tg_split 0
		.amdhsa_exception_fp_ieee_invalid_op 0
		.amdhsa_exception_fp_denorm_src 0
		.amdhsa_exception_fp_ieee_div_zero 0
		.amdhsa_exception_fp_ieee_overflow 0
		.amdhsa_exception_fp_ieee_underflow 0
		.amdhsa_exception_fp_ieee_inexact 0
		.amdhsa_exception_int_div_zero 0
	.end_amdhsa_kernel
	.section	.text._ZN7rocprim17ROCPRIM_400000_NS6detail17trampoline_kernelINS0_14default_configENS1_27scan_by_key_config_selectorIiiEEZZNS1_16scan_by_key_implILNS1_25lookback_scan_determinismE0ELb0ES3_N6thrust23THRUST_200600_302600_NS6detail15normal_iteratorINS9_10device_ptrIiEEEESE_SE_iNS9_4plusIvEENS9_8equal_toIvEEiEE10hipError_tPvRmT2_T3_T4_T5_mT6_T7_P12ihipStream_tbENKUlT_T0_E_clISt17integral_constantIbLb1EESY_IbLb0EEEEDaSU_SV_EUlSU_E_NS1_11comp_targetILNS1_3genE10ELNS1_11target_archE1200ELNS1_3gpuE4ELNS1_3repE0EEENS1_30default_config_static_selectorELNS0_4arch9wavefront6targetE1EEEvT1_,"axG",@progbits,_ZN7rocprim17ROCPRIM_400000_NS6detail17trampoline_kernelINS0_14default_configENS1_27scan_by_key_config_selectorIiiEEZZNS1_16scan_by_key_implILNS1_25lookback_scan_determinismE0ELb0ES3_N6thrust23THRUST_200600_302600_NS6detail15normal_iteratorINS9_10device_ptrIiEEEESE_SE_iNS9_4plusIvEENS9_8equal_toIvEEiEE10hipError_tPvRmT2_T3_T4_T5_mT6_T7_P12ihipStream_tbENKUlT_T0_E_clISt17integral_constantIbLb1EESY_IbLb0EEEEDaSU_SV_EUlSU_E_NS1_11comp_targetILNS1_3genE10ELNS1_11target_archE1200ELNS1_3gpuE4ELNS1_3repE0EEENS1_30default_config_static_selectorELNS0_4arch9wavefront6targetE1EEEvT1_,comdat
.Lfunc_end150:
	.size	_ZN7rocprim17ROCPRIM_400000_NS6detail17trampoline_kernelINS0_14default_configENS1_27scan_by_key_config_selectorIiiEEZZNS1_16scan_by_key_implILNS1_25lookback_scan_determinismE0ELb0ES3_N6thrust23THRUST_200600_302600_NS6detail15normal_iteratorINS9_10device_ptrIiEEEESE_SE_iNS9_4plusIvEENS9_8equal_toIvEEiEE10hipError_tPvRmT2_T3_T4_T5_mT6_T7_P12ihipStream_tbENKUlT_T0_E_clISt17integral_constantIbLb1EESY_IbLb0EEEEDaSU_SV_EUlSU_E_NS1_11comp_targetILNS1_3genE10ELNS1_11target_archE1200ELNS1_3gpuE4ELNS1_3repE0EEENS1_30default_config_static_selectorELNS0_4arch9wavefront6targetE1EEEvT1_, .Lfunc_end150-_ZN7rocprim17ROCPRIM_400000_NS6detail17trampoline_kernelINS0_14default_configENS1_27scan_by_key_config_selectorIiiEEZZNS1_16scan_by_key_implILNS1_25lookback_scan_determinismE0ELb0ES3_N6thrust23THRUST_200600_302600_NS6detail15normal_iteratorINS9_10device_ptrIiEEEESE_SE_iNS9_4plusIvEENS9_8equal_toIvEEiEE10hipError_tPvRmT2_T3_T4_T5_mT6_T7_P12ihipStream_tbENKUlT_T0_E_clISt17integral_constantIbLb1EESY_IbLb0EEEEDaSU_SV_EUlSU_E_NS1_11comp_targetILNS1_3genE10ELNS1_11target_archE1200ELNS1_3gpuE4ELNS1_3repE0EEENS1_30default_config_static_selectorELNS0_4arch9wavefront6targetE1EEEvT1_
                                        ; -- End function
	.section	.AMDGPU.csdata,"",@progbits
; Kernel info:
; codeLenInByte = 0
; NumSgprs: 4
; NumVgprs: 0
; NumAgprs: 0
; TotalNumVgprs: 0
; ScratchSize: 0
; MemoryBound: 0
; FloatMode: 240
; IeeeMode: 1
; LDSByteSize: 0 bytes/workgroup (compile time only)
; SGPRBlocks: 0
; VGPRBlocks: 0
; NumSGPRsForWavesPerEU: 4
; NumVGPRsForWavesPerEU: 1
; AccumOffset: 4
; Occupancy: 8
; WaveLimiterHint : 0
; COMPUTE_PGM_RSRC2:SCRATCH_EN: 0
; COMPUTE_PGM_RSRC2:USER_SGPR: 6
; COMPUTE_PGM_RSRC2:TRAP_HANDLER: 0
; COMPUTE_PGM_RSRC2:TGID_X_EN: 1
; COMPUTE_PGM_RSRC2:TGID_Y_EN: 0
; COMPUTE_PGM_RSRC2:TGID_Z_EN: 0
; COMPUTE_PGM_RSRC2:TIDIG_COMP_CNT: 0
; COMPUTE_PGM_RSRC3_GFX90A:ACCUM_OFFSET: 0
; COMPUTE_PGM_RSRC3_GFX90A:TG_SPLIT: 0
	.section	.text._ZN7rocprim17ROCPRIM_400000_NS6detail17trampoline_kernelINS0_14default_configENS1_27scan_by_key_config_selectorIiiEEZZNS1_16scan_by_key_implILNS1_25lookback_scan_determinismE0ELb0ES3_N6thrust23THRUST_200600_302600_NS6detail15normal_iteratorINS9_10device_ptrIiEEEESE_SE_iNS9_4plusIvEENS9_8equal_toIvEEiEE10hipError_tPvRmT2_T3_T4_T5_mT6_T7_P12ihipStream_tbENKUlT_T0_E_clISt17integral_constantIbLb1EESY_IbLb0EEEEDaSU_SV_EUlSU_E_NS1_11comp_targetILNS1_3genE9ELNS1_11target_archE1100ELNS1_3gpuE3ELNS1_3repE0EEENS1_30default_config_static_selectorELNS0_4arch9wavefront6targetE1EEEvT1_,"axG",@progbits,_ZN7rocprim17ROCPRIM_400000_NS6detail17trampoline_kernelINS0_14default_configENS1_27scan_by_key_config_selectorIiiEEZZNS1_16scan_by_key_implILNS1_25lookback_scan_determinismE0ELb0ES3_N6thrust23THRUST_200600_302600_NS6detail15normal_iteratorINS9_10device_ptrIiEEEESE_SE_iNS9_4plusIvEENS9_8equal_toIvEEiEE10hipError_tPvRmT2_T3_T4_T5_mT6_T7_P12ihipStream_tbENKUlT_T0_E_clISt17integral_constantIbLb1EESY_IbLb0EEEEDaSU_SV_EUlSU_E_NS1_11comp_targetILNS1_3genE9ELNS1_11target_archE1100ELNS1_3gpuE3ELNS1_3repE0EEENS1_30default_config_static_selectorELNS0_4arch9wavefront6targetE1EEEvT1_,comdat
	.protected	_ZN7rocprim17ROCPRIM_400000_NS6detail17trampoline_kernelINS0_14default_configENS1_27scan_by_key_config_selectorIiiEEZZNS1_16scan_by_key_implILNS1_25lookback_scan_determinismE0ELb0ES3_N6thrust23THRUST_200600_302600_NS6detail15normal_iteratorINS9_10device_ptrIiEEEESE_SE_iNS9_4plusIvEENS9_8equal_toIvEEiEE10hipError_tPvRmT2_T3_T4_T5_mT6_T7_P12ihipStream_tbENKUlT_T0_E_clISt17integral_constantIbLb1EESY_IbLb0EEEEDaSU_SV_EUlSU_E_NS1_11comp_targetILNS1_3genE9ELNS1_11target_archE1100ELNS1_3gpuE3ELNS1_3repE0EEENS1_30default_config_static_selectorELNS0_4arch9wavefront6targetE1EEEvT1_ ; -- Begin function _ZN7rocprim17ROCPRIM_400000_NS6detail17trampoline_kernelINS0_14default_configENS1_27scan_by_key_config_selectorIiiEEZZNS1_16scan_by_key_implILNS1_25lookback_scan_determinismE0ELb0ES3_N6thrust23THRUST_200600_302600_NS6detail15normal_iteratorINS9_10device_ptrIiEEEESE_SE_iNS9_4plusIvEENS9_8equal_toIvEEiEE10hipError_tPvRmT2_T3_T4_T5_mT6_T7_P12ihipStream_tbENKUlT_T0_E_clISt17integral_constantIbLb1EESY_IbLb0EEEEDaSU_SV_EUlSU_E_NS1_11comp_targetILNS1_3genE9ELNS1_11target_archE1100ELNS1_3gpuE3ELNS1_3repE0EEENS1_30default_config_static_selectorELNS0_4arch9wavefront6targetE1EEEvT1_
	.globl	_ZN7rocprim17ROCPRIM_400000_NS6detail17trampoline_kernelINS0_14default_configENS1_27scan_by_key_config_selectorIiiEEZZNS1_16scan_by_key_implILNS1_25lookback_scan_determinismE0ELb0ES3_N6thrust23THRUST_200600_302600_NS6detail15normal_iteratorINS9_10device_ptrIiEEEESE_SE_iNS9_4plusIvEENS9_8equal_toIvEEiEE10hipError_tPvRmT2_T3_T4_T5_mT6_T7_P12ihipStream_tbENKUlT_T0_E_clISt17integral_constantIbLb1EESY_IbLb0EEEEDaSU_SV_EUlSU_E_NS1_11comp_targetILNS1_3genE9ELNS1_11target_archE1100ELNS1_3gpuE3ELNS1_3repE0EEENS1_30default_config_static_selectorELNS0_4arch9wavefront6targetE1EEEvT1_
	.p2align	8
	.type	_ZN7rocprim17ROCPRIM_400000_NS6detail17trampoline_kernelINS0_14default_configENS1_27scan_by_key_config_selectorIiiEEZZNS1_16scan_by_key_implILNS1_25lookback_scan_determinismE0ELb0ES3_N6thrust23THRUST_200600_302600_NS6detail15normal_iteratorINS9_10device_ptrIiEEEESE_SE_iNS9_4plusIvEENS9_8equal_toIvEEiEE10hipError_tPvRmT2_T3_T4_T5_mT6_T7_P12ihipStream_tbENKUlT_T0_E_clISt17integral_constantIbLb1EESY_IbLb0EEEEDaSU_SV_EUlSU_E_NS1_11comp_targetILNS1_3genE9ELNS1_11target_archE1100ELNS1_3gpuE3ELNS1_3repE0EEENS1_30default_config_static_selectorELNS0_4arch9wavefront6targetE1EEEvT1_,@function
_ZN7rocprim17ROCPRIM_400000_NS6detail17trampoline_kernelINS0_14default_configENS1_27scan_by_key_config_selectorIiiEEZZNS1_16scan_by_key_implILNS1_25lookback_scan_determinismE0ELb0ES3_N6thrust23THRUST_200600_302600_NS6detail15normal_iteratorINS9_10device_ptrIiEEEESE_SE_iNS9_4plusIvEENS9_8equal_toIvEEiEE10hipError_tPvRmT2_T3_T4_T5_mT6_T7_P12ihipStream_tbENKUlT_T0_E_clISt17integral_constantIbLb1EESY_IbLb0EEEEDaSU_SV_EUlSU_E_NS1_11comp_targetILNS1_3genE9ELNS1_11target_archE1100ELNS1_3gpuE3ELNS1_3repE0EEENS1_30default_config_static_selectorELNS0_4arch9wavefront6targetE1EEEvT1_: ; @_ZN7rocprim17ROCPRIM_400000_NS6detail17trampoline_kernelINS0_14default_configENS1_27scan_by_key_config_selectorIiiEEZZNS1_16scan_by_key_implILNS1_25lookback_scan_determinismE0ELb0ES3_N6thrust23THRUST_200600_302600_NS6detail15normal_iteratorINS9_10device_ptrIiEEEESE_SE_iNS9_4plusIvEENS9_8equal_toIvEEiEE10hipError_tPvRmT2_T3_T4_T5_mT6_T7_P12ihipStream_tbENKUlT_T0_E_clISt17integral_constantIbLb1EESY_IbLb0EEEEDaSU_SV_EUlSU_E_NS1_11comp_targetILNS1_3genE9ELNS1_11target_archE1100ELNS1_3gpuE3ELNS1_3repE0EEENS1_30default_config_static_selectorELNS0_4arch9wavefront6targetE1EEEvT1_
; %bb.0:
	.section	.rodata,"a",@progbits
	.p2align	6, 0x0
	.amdhsa_kernel _ZN7rocprim17ROCPRIM_400000_NS6detail17trampoline_kernelINS0_14default_configENS1_27scan_by_key_config_selectorIiiEEZZNS1_16scan_by_key_implILNS1_25lookback_scan_determinismE0ELb0ES3_N6thrust23THRUST_200600_302600_NS6detail15normal_iteratorINS9_10device_ptrIiEEEESE_SE_iNS9_4plusIvEENS9_8equal_toIvEEiEE10hipError_tPvRmT2_T3_T4_T5_mT6_T7_P12ihipStream_tbENKUlT_T0_E_clISt17integral_constantIbLb1EESY_IbLb0EEEEDaSU_SV_EUlSU_E_NS1_11comp_targetILNS1_3genE9ELNS1_11target_archE1100ELNS1_3gpuE3ELNS1_3repE0EEENS1_30default_config_static_selectorELNS0_4arch9wavefront6targetE1EEEvT1_
		.amdhsa_group_segment_fixed_size 0
		.amdhsa_private_segment_fixed_size 0
		.amdhsa_kernarg_size 112
		.amdhsa_user_sgpr_count 6
		.amdhsa_user_sgpr_private_segment_buffer 1
		.amdhsa_user_sgpr_dispatch_ptr 0
		.amdhsa_user_sgpr_queue_ptr 0
		.amdhsa_user_sgpr_kernarg_segment_ptr 1
		.amdhsa_user_sgpr_dispatch_id 0
		.amdhsa_user_sgpr_flat_scratch_init 0
		.amdhsa_user_sgpr_kernarg_preload_length 0
		.amdhsa_user_sgpr_kernarg_preload_offset 0
		.amdhsa_user_sgpr_private_segment_size 0
		.amdhsa_uses_dynamic_stack 0
		.amdhsa_system_sgpr_private_segment_wavefront_offset 0
		.amdhsa_system_sgpr_workgroup_id_x 1
		.amdhsa_system_sgpr_workgroup_id_y 0
		.amdhsa_system_sgpr_workgroup_id_z 0
		.amdhsa_system_sgpr_workgroup_info 0
		.amdhsa_system_vgpr_workitem_id 0
		.amdhsa_next_free_vgpr 1
		.amdhsa_next_free_sgpr 0
		.amdhsa_accum_offset 4
		.amdhsa_reserve_vcc 0
		.amdhsa_reserve_flat_scratch 0
		.amdhsa_float_round_mode_32 0
		.amdhsa_float_round_mode_16_64 0
		.amdhsa_float_denorm_mode_32 3
		.amdhsa_float_denorm_mode_16_64 3
		.amdhsa_dx10_clamp 1
		.amdhsa_ieee_mode 1
		.amdhsa_fp16_overflow 0
		.amdhsa_tg_split 0
		.amdhsa_exception_fp_ieee_invalid_op 0
		.amdhsa_exception_fp_denorm_src 0
		.amdhsa_exception_fp_ieee_div_zero 0
		.amdhsa_exception_fp_ieee_overflow 0
		.amdhsa_exception_fp_ieee_underflow 0
		.amdhsa_exception_fp_ieee_inexact 0
		.amdhsa_exception_int_div_zero 0
	.end_amdhsa_kernel
	.section	.text._ZN7rocprim17ROCPRIM_400000_NS6detail17trampoline_kernelINS0_14default_configENS1_27scan_by_key_config_selectorIiiEEZZNS1_16scan_by_key_implILNS1_25lookback_scan_determinismE0ELb0ES3_N6thrust23THRUST_200600_302600_NS6detail15normal_iteratorINS9_10device_ptrIiEEEESE_SE_iNS9_4plusIvEENS9_8equal_toIvEEiEE10hipError_tPvRmT2_T3_T4_T5_mT6_T7_P12ihipStream_tbENKUlT_T0_E_clISt17integral_constantIbLb1EESY_IbLb0EEEEDaSU_SV_EUlSU_E_NS1_11comp_targetILNS1_3genE9ELNS1_11target_archE1100ELNS1_3gpuE3ELNS1_3repE0EEENS1_30default_config_static_selectorELNS0_4arch9wavefront6targetE1EEEvT1_,"axG",@progbits,_ZN7rocprim17ROCPRIM_400000_NS6detail17trampoline_kernelINS0_14default_configENS1_27scan_by_key_config_selectorIiiEEZZNS1_16scan_by_key_implILNS1_25lookback_scan_determinismE0ELb0ES3_N6thrust23THRUST_200600_302600_NS6detail15normal_iteratorINS9_10device_ptrIiEEEESE_SE_iNS9_4plusIvEENS9_8equal_toIvEEiEE10hipError_tPvRmT2_T3_T4_T5_mT6_T7_P12ihipStream_tbENKUlT_T0_E_clISt17integral_constantIbLb1EESY_IbLb0EEEEDaSU_SV_EUlSU_E_NS1_11comp_targetILNS1_3genE9ELNS1_11target_archE1100ELNS1_3gpuE3ELNS1_3repE0EEENS1_30default_config_static_selectorELNS0_4arch9wavefront6targetE1EEEvT1_,comdat
.Lfunc_end151:
	.size	_ZN7rocprim17ROCPRIM_400000_NS6detail17trampoline_kernelINS0_14default_configENS1_27scan_by_key_config_selectorIiiEEZZNS1_16scan_by_key_implILNS1_25lookback_scan_determinismE0ELb0ES3_N6thrust23THRUST_200600_302600_NS6detail15normal_iteratorINS9_10device_ptrIiEEEESE_SE_iNS9_4plusIvEENS9_8equal_toIvEEiEE10hipError_tPvRmT2_T3_T4_T5_mT6_T7_P12ihipStream_tbENKUlT_T0_E_clISt17integral_constantIbLb1EESY_IbLb0EEEEDaSU_SV_EUlSU_E_NS1_11comp_targetILNS1_3genE9ELNS1_11target_archE1100ELNS1_3gpuE3ELNS1_3repE0EEENS1_30default_config_static_selectorELNS0_4arch9wavefront6targetE1EEEvT1_, .Lfunc_end151-_ZN7rocprim17ROCPRIM_400000_NS6detail17trampoline_kernelINS0_14default_configENS1_27scan_by_key_config_selectorIiiEEZZNS1_16scan_by_key_implILNS1_25lookback_scan_determinismE0ELb0ES3_N6thrust23THRUST_200600_302600_NS6detail15normal_iteratorINS9_10device_ptrIiEEEESE_SE_iNS9_4plusIvEENS9_8equal_toIvEEiEE10hipError_tPvRmT2_T3_T4_T5_mT6_T7_P12ihipStream_tbENKUlT_T0_E_clISt17integral_constantIbLb1EESY_IbLb0EEEEDaSU_SV_EUlSU_E_NS1_11comp_targetILNS1_3genE9ELNS1_11target_archE1100ELNS1_3gpuE3ELNS1_3repE0EEENS1_30default_config_static_selectorELNS0_4arch9wavefront6targetE1EEEvT1_
                                        ; -- End function
	.section	.AMDGPU.csdata,"",@progbits
; Kernel info:
; codeLenInByte = 0
; NumSgprs: 4
; NumVgprs: 0
; NumAgprs: 0
; TotalNumVgprs: 0
; ScratchSize: 0
; MemoryBound: 0
; FloatMode: 240
; IeeeMode: 1
; LDSByteSize: 0 bytes/workgroup (compile time only)
; SGPRBlocks: 0
; VGPRBlocks: 0
; NumSGPRsForWavesPerEU: 4
; NumVGPRsForWavesPerEU: 1
; AccumOffset: 4
; Occupancy: 8
; WaveLimiterHint : 0
; COMPUTE_PGM_RSRC2:SCRATCH_EN: 0
; COMPUTE_PGM_RSRC2:USER_SGPR: 6
; COMPUTE_PGM_RSRC2:TRAP_HANDLER: 0
; COMPUTE_PGM_RSRC2:TGID_X_EN: 1
; COMPUTE_PGM_RSRC2:TGID_Y_EN: 0
; COMPUTE_PGM_RSRC2:TGID_Z_EN: 0
; COMPUTE_PGM_RSRC2:TIDIG_COMP_CNT: 0
; COMPUTE_PGM_RSRC3_GFX90A:ACCUM_OFFSET: 0
; COMPUTE_PGM_RSRC3_GFX90A:TG_SPLIT: 0
	.section	.text._ZN7rocprim17ROCPRIM_400000_NS6detail17trampoline_kernelINS0_14default_configENS1_27scan_by_key_config_selectorIiiEEZZNS1_16scan_by_key_implILNS1_25lookback_scan_determinismE0ELb0ES3_N6thrust23THRUST_200600_302600_NS6detail15normal_iteratorINS9_10device_ptrIiEEEESE_SE_iNS9_4plusIvEENS9_8equal_toIvEEiEE10hipError_tPvRmT2_T3_T4_T5_mT6_T7_P12ihipStream_tbENKUlT_T0_E_clISt17integral_constantIbLb1EESY_IbLb0EEEEDaSU_SV_EUlSU_E_NS1_11comp_targetILNS1_3genE8ELNS1_11target_archE1030ELNS1_3gpuE2ELNS1_3repE0EEENS1_30default_config_static_selectorELNS0_4arch9wavefront6targetE1EEEvT1_,"axG",@progbits,_ZN7rocprim17ROCPRIM_400000_NS6detail17trampoline_kernelINS0_14default_configENS1_27scan_by_key_config_selectorIiiEEZZNS1_16scan_by_key_implILNS1_25lookback_scan_determinismE0ELb0ES3_N6thrust23THRUST_200600_302600_NS6detail15normal_iteratorINS9_10device_ptrIiEEEESE_SE_iNS9_4plusIvEENS9_8equal_toIvEEiEE10hipError_tPvRmT2_T3_T4_T5_mT6_T7_P12ihipStream_tbENKUlT_T0_E_clISt17integral_constantIbLb1EESY_IbLb0EEEEDaSU_SV_EUlSU_E_NS1_11comp_targetILNS1_3genE8ELNS1_11target_archE1030ELNS1_3gpuE2ELNS1_3repE0EEENS1_30default_config_static_selectorELNS0_4arch9wavefront6targetE1EEEvT1_,comdat
	.protected	_ZN7rocprim17ROCPRIM_400000_NS6detail17trampoline_kernelINS0_14default_configENS1_27scan_by_key_config_selectorIiiEEZZNS1_16scan_by_key_implILNS1_25lookback_scan_determinismE0ELb0ES3_N6thrust23THRUST_200600_302600_NS6detail15normal_iteratorINS9_10device_ptrIiEEEESE_SE_iNS9_4plusIvEENS9_8equal_toIvEEiEE10hipError_tPvRmT2_T3_T4_T5_mT6_T7_P12ihipStream_tbENKUlT_T0_E_clISt17integral_constantIbLb1EESY_IbLb0EEEEDaSU_SV_EUlSU_E_NS1_11comp_targetILNS1_3genE8ELNS1_11target_archE1030ELNS1_3gpuE2ELNS1_3repE0EEENS1_30default_config_static_selectorELNS0_4arch9wavefront6targetE1EEEvT1_ ; -- Begin function _ZN7rocprim17ROCPRIM_400000_NS6detail17trampoline_kernelINS0_14default_configENS1_27scan_by_key_config_selectorIiiEEZZNS1_16scan_by_key_implILNS1_25lookback_scan_determinismE0ELb0ES3_N6thrust23THRUST_200600_302600_NS6detail15normal_iteratorINS9_10device_ptrIiEEEESE_SE_iNS9_4plusIvEENS9_8equal_toIvEEiEE10hipError_tPvRmT2_T3_T4_T5_mT6_T7_P12ihipStream_tbENKUlT_T0_E_clISt17integral_constantIbLb1EESY_IbLb0EEEEDaSU_SV_EUlSU_E_NS1_11comp_targetILNS1_3genE8ELNS1_11target_archE1030ELNS1_3gpuE2ELNS1_3repE0EEENS1_30default_config_static_selectorELNS0_4arch9wavefront6targetE1EEEvT1_
	.globl	_ZN7rocprim17ROCPRIM_400000_NS6detail17trampoline_kernelINS0_14default_configENS1_27scan_by_key_config_selectorIiiEEZZNS1_16scan_by_key_implILNS1_25lookback_scan_determinismE0ELb0ES3_N6thrust23THRUST_200600_302600_NS6detail15normal_iteratorINS9_10device_ptrIiEEEESE_SE_iNS9_4plusIvEENS9_8equal_toIvEEiEE10hipError_tPvRmT2_T3_T4_T5_mT6_T7_P12ihipStream_tbENKUlT_T0_E_clISt17integral_constantIbLb1EESY_IbLb0EEEEDaSU_SV_EUlSU_E_NS1_11comp_targetILNS1_3genE8ELNS1_11target_archE1030ELNS1_3gpuE2ELNS1_3repE0EEENS1_30default_config_static_selectorELNS0_4arch9wavefront6targetE1EEEvT1_
	.p2align	8
	.type	_ZN7rocprim17ROCPRIM_400000_NS6detail17trampoline_kernelINS0_14default_configENS1_27scan_by_key_config_selectorIiiEEZZNS1_16scan_by_key_implILNS1_25lookback_scan_determinismE0ELb0ES3_N6thrust23THRUST_200600_302600_NS6detail15normal_iteratorINS9_10device_ptrIiEEEESE_SE_iNS9_4plusIvEENS9_8equal_toIvEEiEE10hipError_tPvRmT2_T3_T4_T5_mT6_T7_P12ihipStream_tbENKUlT_T0_E_clISt17integral_constantIbLb1EESY_IbLb0EEEEDaSU_SV_EUlSU_E_NS1_11comp_targetILNS1_3genE8ELNS1_11target_archE1030ELNS1_3gpuE2ELNS1_3repE0EEENS1_30default_config_static_selectorELNS0_4arch9wavefront6targetE1EEEvT1_,@function
_ZN7rocprim17ROCPRIM_400000_NS6detail17trampoline_kernelINS0_14default_configENS1_27scan_by_key_config_selectorIiiEEZZNS1_16scan_by_key_implILNS1_25lookback_scan_determinismE0ELb0ES3_N6thrust23THRUST_200600_302600_NS6detail15normal_iteratorINS9_10device_ptrIiEEEESE_SE_iNS9_4plusIvEENS9_8equal_toIvEEiEE10hipError_tPvRmT2_T3_T4_T5_mT6_T7_P12ihipStream_tbENKUlT_T0_E_clISt17integral_constantIbLb1EESY_IbLb0EEEEDaSU_SV_EUlSU_E_NS1_11comp_targetILNS1_3genE8ELNS1_11target_archE1030ELNS1_3gpuE2ELNS1_3repE0EEENS1_30default_config_static_selectorELNS0_4arch9wavefront6targetE1EEEvT1_: ; @_ZN7rocprim17ROCPRIM_400000_NS6detail17trampoline_kernelINS0_14default_configENS1_27scan_by_key_config_selectorIiiEEZZNS1_16scan_by_key_implILNS1_25lookback_scan_determinismE0ELb0ES3_N6thrust23THRUST_200600_302600_NS6detail15normal_iteratorINS9_10device_ptrIiEEEESE_SE_iNS9_4plusIvEENS9_8equal_toIvEEiEE10hipError_tPvRmT2_T3_T4_T5_mT6_T7_P12ihipStream_tbENKUlT_T0_E_clISt17integral_constantIbLb1EESY_IbLb0EEEEDaSU_SV_EUlSU_E_NS1_11comp_targetILNS1_3genE8ELNS1_11target_archE1030ELNS1_3gpuE2ELNS1_3repE0EEENS1_30default_config_static_selectorELNS0_4arch9wavefront6targetE1EEEvT1_
; %bb.0:
	.section	.rodata,"a",@progbits
	.p2align	6, 0x0
	.amdhsa_kernel _ZN7rocprim17ROCPRIM_400000_NS6detail17trampoline_kernelINS0_14default_configENS1_27scan_by_key_config_selectorIiiEEZZNS1_16scan_by_key_implILNS1_25lookback_scan_determinismE0ELb0ES3_N6thrust23THRUST_200600_302600_NS6detail15normal_iteratorINS9_10device_ptrIiEEEESE_SE_iNS9_4plusIvEENS9_8equal_toIvEEiEE10hipError_tPvRmT2_T3_T4_T5_mT6_T7_P12ihipStream_tbENKUlT_T0_E_clISt17integral_constantIbLb1EESY_IbLb0EEEEDaSU_SV_EUlSU_E_NS1_11comp_targetILNS1_3genE8ELNS1_11target_archE1030ELNS1_3gpuE2ELNS1_3repE0EEENS1_30default_config_static_selectorELNS0_4arch9wavefront6targetE1EEEvT1_
		.amdhsa_group_segment_fixed_size 0
		.amdhsa_private_segment_fixed_size 0
		.amdhsa_kernarg_size 112
		.amdhsa_user_sgpr_count 6
		.amdhsa_user_sgpr_private_segment_buffer 1
		.amdhsa_user_sgpr_dispatch_ptr 0
		.amdhsa_user_sgpr_queue_ptr 0
		.amdhsa_user_sgpr_kernarg_segment_ptr 1
		.amdhsa_user_sgpr_dispatch_id 0
		.amdhsa_user_sgpr_flat_scratch_init 0
		.amdhsa_user_sgpr_kernarg_preload_length 0
		.amdhsa_user_sgpr_kernarg_preload_offset 0
		.amdhsa_user_sgpr_private_segment_size 0
		.amdhsa_uses_dynamic_stack 0
		.amdhsa_system_sgpr_private_segment_wavefront_offset 0
		.amdhsa_system_sgpr_workgroup_id_x 1
		.amdhsa_system_sgpr_workgroup_id_y 0
		.amdhsa_system_sgpr_workgroup_id_z 0
		.amdhsa_system_sgpr_workgroup_info 0
		.amdhsa_system_vgpr_workitem_id 0
		.amdhsa_next_free_vgpr 1
		.amdhsa_next_free_sgpr 0
		.amdhsa_accum_offset 4
		.amdhsa_reserve_vcc 0
		.amdhsa_reserve_flat_scratch 0
		.amdhsa_float_round_mode_32 0
		.amdhsa_float_round_mode_16_64 0
		.amdhsa_float_denorm_mode_32 3
		.amdhsa_float_denorm_mode_16_64 3
		.amdhsa_dx10_clamp 1
		.amdhsa_ieee_mode 1
		.amdhsa_fp16_overflow 0
		.amdhsa_tg_split 0
		.amdhsa_exception_fp_ieee_invalid_op 0
		.amdhsa_exception_fp_denorm_src 0
		.amdhsa_exception_fp_ieee_div_zero 0
		.amdhsa_exception_fp_ieee_overflow 0
		.amdhsa_exception_fp_ieee_underflow 0
		.amdhsa_exception_fp_ieee_inexact 0
		.amdhsa_exception_int_div_zero 0
	.end_amdhsa_kernel
	.section	.text._ZN7rocprim17ROCPRIM_400000_NS6detail17trampoline_kernelINS0_14default_configENS1_27scan_by_key_config_selectorIiiEEZZNS1_16scan_by_key_implILNS1_25lookback_scan_determinismE0ELb0ES3_N6thrust23THRUST_200600_302600_NS6detail15normal_iteratorINS9_10device_ptrIiEEEESE_SE_iNS9_4plusIvEENS9_8equal_toIvEEiEE10hipError_tPvRmT2_T3_T4_T5_mT6_T7_P12ihipStream_tbENKUlT_T0_E_clISt17integral_constantIbLb1EESY_IbLb0EEEEDaSU_SV_EUlSU_E_NS1_11comp_targetILNS1_3genE8ELNS1_11target_archE1030ELNS1_3gpuE2ELNS1_3repE0EEENS1_30default_config_static_selectorELNS0_4arch9wavefront6targetE1EEEvT1_,"axG",@progbits,_ZN7rocprim17ROCPRIM_400000_NS6detail17trampoline_kernelINS0_14default_configENS1_27scan_by_key_config_selectorIiiEEZZNS1_16scan_by_key_implILNS1_25lookback_scan_determinismE0ELb0ES3_N6thrust23THRUST_200600_302600_NS6detail15normal_iteratorINS9_10device_ptrIiEEEESE_SE_iNS9_4plusIvEENS9_8equal_toIvEEiEE10hipError_tPvRmT2_T3_T4_T5_mT6_T7_P12ihipStream_tbENKUlT_T0_E_clISt17integral_constantIbLb1EESY_IbLb0EEEEDaSU_SV_EUlSU_E_NS1_11comp_targetILNS1_3genE8ELNS1_11target_archE1030ELNS1_3gpuE2ELNS1_3repE0EEENS1_30default_config_static_selectorELNS0_4arch9wavefront6targetE1EEEvT1_,comdat
.Lfunc_end152:
	.size	_ZN7rocprim17ROCPRIM_400000_NS6detail17trampoline_kernelINS0_14default_configENS1_27scan_by_key_config_selectorIiiEEZZNS1_16scan_by_key_implILNS1_25lookback_scan_determinismE0ELb0ES3_N6thrust23THRUST_200600_302600_NS6detail15normal_iteratorINS9_10device_ptrIiEEEESE_SE_iNS9_4plusIvEENS9_8equal_toIvEEiEE10hipError_tPvRmT2_T3_T4_T5_mT6_T7_P12ihipStream_tbENKUlT_T0_E_clISt17integral_constantIbLb1EESY_IbLb0EEEEDaSU_SV_EUlSU_E_NS1_11comp_targetILNS1_3genE8ELNS1_11target_archE1030ELNS1_3gpuE2ELNS1_3repE0EEENS1_30default_config_static_selectorELNS0_4arch9wavefront6targetE1EEEvT1_, .Lfunc_end152-_ZN7rocprim17ROCPRIM_400000_NS6detail17trampoline_kernelINS0_14default_configENS1_27scan_by_key_config_selectorIiiEEZZNS1_16scan_by_key_implILNS1_25lookback_scan_determinismE0ELb0ES3_N6thrust23THRUST_200600_302600_NS6detail15normal_iteratorINS9_10device_ptrIiEEEESE_SE_iNS9_4plusIvEENS9_8equal_toIvEEiEE10hipError_tPvRmT2_T3_T4_T5_mT6_T7_P12ihipStream_tbENKUlT_T0_E_clISt17integral_constantIbLb1EESY_IbLb0EEEEDaSU_SV_EUlSU_E_NS1_11comp_targetILNS1_3genE8ELNS1_11target_archE1030ELNS1_3gpuE2ELNS1_3repE0EEENS1_30default_config_static_selectorELNS0_4arch9wavefront6targetE1EEEvT1_
                                        ; -- End function
	.section	.AMDGPU.csdata,"",@progbits
; Kernel info:
; codeLenInByte = 0
; NumSgprs: 4
; NumVgprs: 0
; NumAgprs: 0
; TotalNumVgprs: 0
; ScratchSize: 0
; MemoryBound: 0
; FloatMode: 240
; IeeeMode: 1
; LDSByteSize: 0 bytes/workgroup (compile time only)
; SGPRBlocks: 0
; VGPRBlocks: 0
; NumSGPRsForWavesPerEU: 4
; NumVGPRsForWavesPerEU: 1
; AccumOffset: 4
; Occupancy: 8
; WaveLimiterHint : 0
; COMPUTE_PGM_RSRC2:SCRATCH_EN: 0
; COMPUTE_PGM_RSRC2:USER_SGPR: 6
; COMPUTE_PGM_RSRC2:TRAP_HANDLER: 0
; COMPUTE_PGM_RSRC2:TGID_X_EN: 1
; COMPUTE_PGM_RSRC2:TGID_Y_EN: 0
; COMPUTE_PGM_RSRC2:TGID_Z_EN: 0
; COMPUTE_PGM_RSRC2:TIDIG_COMP_CNT: 0
; COMPUTE_PGM_RSRC3_GFX90A:ACCUM_OFFSET: 0
; COMPUTE_PGM_RSRC3_GFX90A:TG_SPLIT: 0
	.section	.text._ZN7rocprim17ROCPRIM_400000_NS6detail30init_device_scan_by_key_kernelINS1_19lookback_scan_stateINS0_5tupleIJibEEELb0ELb1EEEN6thrust23THRUST_200600_302600_NS6detail15normal_iteratorINS8_10device_ptrIiEEEEjNS1_16block_id_wrapperIjLb1EEEEEvT_jjPNSG_10value_typeET0_PNSt15iterator_traitsISJ_E10value_typeEmT1_T2_,"axG",@progbits,_ZN7rocprim17ROCPRIM_400000_NS6detail30init_device_scan_by_key_kernelINS1_19lookback_scan_stateINS0_5tupleIJibEEELb0ELb1EEEN6thrust23THRUST_200600_302600_NS6detail15normal_iteratorINS8_10device_ptrIiEEEEjNS1_16block_id_wrapperIjLb1EEEEEvT_jjPNSG_10value_typeET0_PNSt15iterator_traitsISJ_E10value_typeEmT1_T2_,comdat
	.protected	_ZN7rocprim17ROCPRIM_400000_NS6detail30init_device_scan_by_key_kernelINS1_19lookback_scan_stateINS0_5tupleIJibEEELb0ELb1EEEN6thrust23THRUST_200600_302600_NS6detail15normal_iteratorINS8_10device_ptrIiEEEEjNS1_16block_id_wrapperIjLb1EEEEEvT_jjPNSG_10value_typeET0_PNSt15iterator_traitsISJ_E10value_typeEmT1_T2_ ; -- Begin function _ZN7rocprim17ROCPRIM_400000_NS6detail30init_device_scan_by_key_kernelINS1_19lookback_scan_stateINS0_5tupleIJibEEELb0ELb1EEEN6thrust23THRUST_200600_302600_NS6detail15normal_iteratorINS8_10device_ptrIiEEEEjNS1_16block_id_wrapperIjLb1EEEEEvT_jjPNSG_10value_typeET0_PNSt15iterator_traitsISJ_E10value_typeEmT1_T2_
	.globl	_ZN7rocprim17ROCPRIM_400000_NS6detail30init_device_scan_by_key_kernelINS1_19lookback_scan_stateINS0_5tupleIJibEEELb0ELb1EEEN6thrust23THRUST_200600_302600_NS6detail15normal_iteratorINS8_10device_ptrIiEEEEjNS1_16block_id_wrapperIjLb1EEEEEvT_jjPNSG_10value_typeET0_PNSt15iterator_traitsISJ_E10value_typeEmT1_T2_
	.p2align	8
	.type	_ZN7rocprim17ROCPRIM_400000_NS6detail30init_device_scan_by_key_kernelINS1_19lookback_scan_stateINS0_5tupleIJibEEELb0ELb1EEEN6thrust23THRUST_200600_302600_NS6detail15normal_iteratorINS8_10device_ptrIiEEEEjNS1_16block_id_wrapperIjLb1EEEEEvT_jjPNSG_10value_typeET0_PNSt15iterator_traitsISJ_E10value_typeEmT1_T2_,@function
_ZN7rocprim17ROCPRIM_400000_NS6detail30init_device_scan_by_key_kernelINS1_19lookback_scan_stateINS0_5tupleIJibEEELb0ELb1EEEN6thrust23THRUST_200600_302600_NS6detail15normal_iteratorINS8_10device_ptrIiEEEEjNS1_16block_id_wrapperIjLb1EEEEEvT_jjPNSG_10value_typeET0_PNSt15iterator_traitsISJ_E10value_typeEmT1_T2_: ; @_ZN7rocprim17ROCPRIM_400000_NS6detail30init_device_scan_by_key_kernelINS1_19lookback_scan_stateINS0_5tupleIJibEEELb0ELb1EEEN6thrust23THRUST_200600_302600_NS6detail15normal_iteratorINS8_10device_ptrIiEEEEjNS1_16block_id_wrapperIjLb1EEEEEvT_jjPNSG_10value_typeET0_PNSt15iterator_traitsISJ_E10value_typeEmT1_T2_
; %bb.0:
	s_load_dword s0, s[4:5], 0x4c
	s_load_dwordx8 s[8:15], s[4:5], 0x0
	s_load_dword s18, s[4:5], 0x40
	s_waitcnt lgkmcnt(0)
	s_and_b32 s19, s0, 0xffff
	s_mul_i32 s6, s6, s19
	s_cmp_eq_u64 s[12:13], 0
	v_add_u32_e32 v4, s6, v0
	s_cbranch_scc1 .LBB153_8
; %bb.1:
	s_cmp_lt_u32 s11, s10
	s_cselect_b32 s0, s11, 0
	s_mov_b32 s3, 0
	v_cmp_eq_u32_e32 vcc, s0, v4
	s_and_saveexec_b64 s[0:1], vcc
	s_cbranch_execz .LBB153_7
; %bb.2:
	s_add_i32 s2, s11, 64
	s_lshl_b64 s[2:3], s[2:3], 4
	s_add_u32 s16, s8, s2
	s_addc_u32 s17, s9, s3
	v_pk_mov_b32 v[0:1], s[16:17], s[16:17] op_sel:[0,1]
	;;#ASMSTART
	global_load_dwordx4 v[0:3], v[0:1] off glc	
s_waitcnt vmcnt(0)
	;;#ASMEND
	v_mov_b32_e32 v7, 0
	v_and_b32_e32 v6, 0xff, v2
	s_mov_b64 s[6:7], 0
	v_cmp_eq_u64_e32 vcc, 0, v[6:7]
	s_and_saveexec_b64 s[2:3], vcc
	s_cbranch_execz .LBB153_6
; %bb.3:
	v_pk_mov_b32 v[8:9], s[16:17], s[16:17] op_sel:[0,1]
.LBB153_4:                              ; =>This Inner Loop Header: Depth=1
	;;#ASMSTART
	global_load_dwordx4 v[0:3], v[8:9] off glc	
s_waitcnt vmcnt(0)
	;;#ASMEND
	v_and_b32_e32 v6, 0xff, v2
	v_cmp_ne_u64_e32 vcc, 0, v[6:7]
	s_or_b64 s[6:7], vcc, s[6:7]
	s_andn2_b64 exec, exec, s[6:7]
	s_cbranch_execnz .LBB153_4
; %bb.5:
	s_or_b64 exec, exec, s[6:7]
.LBB153_6:
	s_or_b64 exec, exec, s[2:3]
	v_mov_b32_e32 v2, 0
	global_store_dword v2, v0, s[12:13]
	global_store_byte v2, v1, s[12:13] offset:4
.LBB153_7:
	s_or_b64 exec, exec, s[0:1]
.LBB153_8:
	v_cmp_eq_u32_e32 vcc, 0, v4
	s_and_saveexec_b64 s[0:1], vcc
	s_cbranch_execz .LBB153_10
; %bb.9:
	s_load_dwordx2 s[2:3], s[4:5], 0x38
	v_mov_b32_e32 v0, 0
	s_waitcnt lgkmcnt(0)
	global_store_dword v0, v0, s[2:3]
.LBB153_10:
	s_or_b64 exec, exec, s[0:1]
	v_cmp_gt_u32_e32 vcc, s10, v4
	s_and_saveexec_b64 s[0:1], vcc
	s_cbranch_execz .LBB153_12
; %bb.11:
	v_add_u32_e32 v0, 64, v4
	v_mov_b32_e32 v1, 0
	v_lshlrev_b64 v[2:3], 4, v[0:1]
	v_mov_b32_e32 v0, s9
	v_add_co_u32_e32 v6, vcc, s8, v2
	v_addc_co_u32_e32 v7, vcc, v0, v3, vcc
	v_mov_b32_e32 v0, v1
	v_mov_b32_e32 v2, v1
	v_mov_b32_e32 v3, v1
	global_store_dwordx4 v[6:7], v[0:3], off
.LBB153_12:
	s_or_b64 exec, exec, s[0:1]
	v_cmp_gt_u32_e32 vcc, 64, v4
	v_mov_b32_e32 v5, 0
	s_and_saveexec_b64 s[0:1], vcc
	s_cbranch_execz .LBB153_14
; %bb.13:
	v_lshlrev_b64 v[0:1], 4, v[4:5]
	v_mov_b32_e32 v2, s9
	v_add_co_u32_e32 v6, vcc, s8, v0
	v_addc_co_u32_e32 v7, vcc, v2, v1, vcc
	v_mov_b32_e32 v2, 0xff
	v_mov_b32_e32 v0, v5
	;; [unrolled: 1-line block ×4, first 2 shown]
	global_store_dwordx4 v[6:7], v[0:3], off
.LBB153_14:
	s_or_b64 exec, exec, s[0:1]
	s_load_dwordx2 s[0:1], s[4:5], 0x28
	s_waitcnt lgkmcnt(0)
	v_cmp_gt_u64_e32 vcc, s[0:1], v[4:5]
	s_and_saveexec_b64 s[2:3], vcc
	s_cbranch_execz .LBB153_17
; %bb.15:
	s_load_dword s10, s[4:5], 0x30
	s_load_dwordx2 s[6:7], s[4:5], 0x20
	s_mov_b32 s5, 0
	s_mov_b32 s3, s5
	s_mul_i32 s2, s18, s19
	s_waitcnt lgkmcnt(0)
	s_add_i32 s4, s10, -1
	s_lshl_b64 s[4:5], s[4:5], 2
	v_mad_u64_u32 v[0:1], s[8:9], s10, v4, 0
	s_add_u32 s4, s14, s4
	v_lshlrev_b64 v[0:1], 2, v[0:1]
	s_addc_u32 s5, s15, s5
	v_mov_b32_e32 v2, s5
	v_add_co_u32_e32 v0, vcc, s4, v0
	v_addc_co_u32_e32 v1, vcc, v2, v1, vcc
	s_mul_hi_u32 s5, s10, s2
	s_mul_i32 s4, s10, s2
	v_lshlrev_b64 v[2:3], 2, v[4:5]
	s_lshl_b64 s[4:5], s[4:5], 2
	v_mov_b32_e32 v6, s7
	v_add_co_u32_e32 v2, vcc, s6, v2
	s_lshl_b64 s[6:7], s[2:3], 2
	v_addc_co_u32_e32 v3, vcc, v6, v3, vcc
	s_mov_b64 s[8:9], 0
	v_mov_b32_e32 v6, s3
	v_mov_b32_e32 v7, s5
	;; [unrolled: 1-line block ×3, first 2 shown]
.LBB153_16:                             ; =>This Inner Loop Header: Depth=1
	global_load_dword v9, v[0:1], off
	v_add_co_u32_e32 v4, vcc, s2, v4
	v_addc_co_u32_e32 v5, vcc, v5, v6, vcc
	v_add_co_u32_e32 v0, vcc, s4, v0
	v_addc_co_u32_e32 v1, vcc, v1, v7, vcc
	v_cmp_le_u64_e32 vcc, s[0:1], v[4:5]
	s_or_b64 s[8:9], vcc, s[8:9]
	s_waitcnt vmcnt(0)
	global_store_dword v[2:3], v9, off
	v_add_co_u32_e32 v2, vcc, s6, v2
	v_addc_co_u32_e32 v3, vcc, v3, v8, vcc
	s_andn2_b64 exec, exec, s[8:9]
	s_cbranch_execnz .LBB153_16
.LBB153_17:
	s_endpgm
	.section	.rodata,"a",@progbits
	.p2align	6, 0x0
	.amdhsa_kernel _ZN7rocprim17ROCPRIM_400000_NS6detail30init_device_scan_by_key_kernelINS1_19lookback_scan_stateINS0_5tupleIJibEEELb0ELb1EEEN6thrust23THRUST_200600_302600_NS6detail15normal_iteratorINS8_10device_ptrIiEEEEjNS1_16block_id_wrapperIjLb1EEEEEvT_jjPNSG_10value_typeET0_PNSt15iterator_traitsISJ_E10value_typeEmT1_T2_
		.amdhsa_group_segment_fixed_size 0
		.amdhsa_private_segment_fixed_size 0
		.amdhsa_kernarg_size 320
		.amdhsa_user_sgpr_count 6
		.amdhsa_user_sgpr_private_segment_buffer 1
		.amdhsa_user_sgpr_dispatch_ptr 0
		.amdhsa_user_sgpr_queue_ptr 0
		.amdhsa_user_sgpr_kernarg_segment_ptr 1
		.amdhsa_user_sgpr_dispatch_id 0
		.amdhsa_user_sgpr_flat_scratch_init 0
		.amdhsa_user_sgpr_kernarg_preload_length 0
		.amdhsa_user_sgpr_kernarg_preload_offset 0
		.amdhsa_user_sgpr_private_segment_size 0
		.amdhsa_uses_dynamic_stack 0
		.amdhsa_system_sgpr_private_segment_wavefront_offset 0
		.amdhsa_system_sgpr_workgroup_id_x 1
		.amdhsa_system_sgpr_workgroup_id_y 0
		.amdhsa_system_sgpr_workgroup_id_z 0
		.amdhsa_system_sgpr_workgroup_info 0
		.amdhsa_system_vgpr_workitem_id 0
		.amdhsa_next_free_vgpr 10
		.amdhsa_next_free_sgpr 20
		.amdhsa_accum_offset 12
		.amdhsa_reserve_vcc 1
		.amdhsa_reserve_flat_scratch 0
		.amdhsa_float_round_mode_32 0
		.amdhsa_float_round_mode_16_64 0
		.amdhsa_float_denorm_mode_32 3
		.amdhsa_float_denorm_mode_16_64 3
		.amdhsa_dx10_clamp 1
		.amdhsa_ieee_mode 1
		.amdhsa_fp16_overflow 0
		.amdhsa_tg_split 0
		.amdhsa_exception_fp_ieee_invalid_op 0
		.amdhsa_exception_fp_denorm_src 0
		.amdhsa_exception_fp_ieee_div_zero 0
		.amdhsa_exception_fp_ieee_overflow 0
		.amdhsa_exception_fp_ieee_underflow 0
		.amdhsa_exception_fp_ieee_inexact 0
		.amdhsa_exception_int_div_zero 0
	.end_amdhsa_kernel
	.section	.text._ZN7rocprim17ROCPRIM_400000_NS6detail30init_device_scan_by_key_kernelINS1_19lookback_scan_stateINS0_5tupleIJibEEELb0ELb1EEEN6thrust23THRUST_200600_302600_NS6detail15normal_iteratorINS8_10device_ptrIiEEEEjNS1_16block_id_wrapperIjLb1EEEEEvT_jjPNSG_10value_typeET0_PNSt15iterator_traitsISJ_E10value_typeEmT1_T2_,"axG",@progbits,_ZN7rocprim17ROCPRIM_400000_NS6detail30init_device_scan_by_key_kernelINS1_19lookback_scan_stateINS0_5tupleIJibEEELb0ELb1EEEN6thrust23THRUST_200600_302600_NS6detail15normal_iteratorINS8_10device_ptrIiEEEEjNS1_16block_id_wrapperIjLb1EEEEEvT_jjPNSG_10value_typeET0_PNSt15iterator_traitsISJ_E10value_typeEmT1_T2_,comdat
.Lfunc_end153:
	.size	_ZN7rocprim17ROCPRIM_400000_NS6detail30init_device_scan_by_key_kernelINS1_19lookback_scan_stateINS0_5tupleIJibEEELb0ELb1EEEN6thrust23THRUST_200600_302600_NS6detail15normal_iteratorINS8_10device_ptrIiEEEEjNS1_16block_id_wrapperIjLb1EEEEEvT_jjPNSG_10value_typeET0_PNSt15iterator_traitsISJ_E10value_typeEmT1_T2_, .Lfunc_end153-_ZN7rocprim17ROCPRIM_400000_NS6detail30init_device_scan_by_key_kernelINS1_19lookback_scan_stateINS0_5tupleIJibEEELb0ELb1EEEN6thrust23THRUST_200600_302600_NS6detail15normal_iteratorINS8_10device_ptrIiEEEEjNS1_16block_id_wrapperIjLb1EEEEEvT_jjPNSG_10value_typeET0_PNSt15iterator_traitsISJ_E10value_typeEmT1_T2_
                                        ; -- End function
	.section	.AMDGPU.csdata,"",@progbits
; Kernel info:
; codeLenInByte = 612
; NumSgprs: 24
; NumVgprs: 10
; NumAgprs: 0
; TotalNumVgprs: 10
; ScratchSize: 0
; MemoryBound: 0
; FloatMode: 240
; IeeeMode: 1
; LDSByteSize: 0 bytes/workgroup (compile time only)
; SGPRBlocks: 2
; VGPRBlocks: 1
; NumSGPRsForWavesPerEU: 24
; NumVGPRsForWavesPerEU: 10
; AccumOffset: 12
; Occupancy: 8
; WaveLimiterHint : 0
; COMPUTE_PGM_RSRC2:SCRATCH_EN: 0
; COMPUTE_PGM_RSRC2:USER_SGPR: 6
; COMPUTE_PGM_RSRC2:TRAP_HANDLER: 0
; COMPUTE_PGM_RSRC2:TGID_X_EN: 1
; COMPUTE_PGM_RSRC2:TGID_Y_EN: 0
; COMPUTE_PGM_RSRC2:TGID_Z_EN: 0
; COMPUTE_PGM_RSRC2:TIDIG_COMP_CNT: 0
; COMPUTE_PGM_RSRC3_GFX90A:ACCUM_OFFSET: 2
; COMPUTE_PGM_RSRC3_GFX90A:TG_SPLIT: 0
	.section	.text._ZN7rocprim17ROCPRIM_400000_NS6detail30init_device_scan_by_key_kernelINS1_19lookback_scan_stateINS0_5tupleIJibEEELb0ELb1EEENS1_16block_id_wrapperIjLb1EEEEEvT_jjPNS9_10value_typeET0_,"axG",@progbits,_ZN7rocprim17ROCPRIM_400000_NS6detail30init_device_scan_by_key_kernelINS1_19lookback_scan_stateINS0_5tupleIJibEEELb0ELb1EEENS1_16block_id_wrapperIjLb1EEEEEvT_jjPNS9_10value_typeET0_,comdat
	.protected	_ZN7rocprim17ROCPRIM_400000_NS6detail30init_device_scan_by_key_kernelINS1_19lookback_scan_stateINS0_5tupleIJibEEELb0ELb1EEENS1_16block_id_wrapperIjLb1EEEEEvT_jjPNS9_10value_typeET0_ ; -- Begin function _ZN7rocprim17ROCPRIM_400000_NS6detail30init_device_scan_by_key_kernelINS1_19lookback_scan_stateINS0_5tupleIJibEEELb0ELb1EEENS1_16block_id_wrapperIjLb1EEEEEvT_jjPNS9_10value_typeET0_
	.globl	_ZN7rocprim17ROCPRIM_400000_NS6detail30init_device_scan_by_key_kernelINS1_19lookback_scan_stateINS0_5tupleIJibEEELb0ELb1EEENS1_16block_id_wrapperIjLb1EEEEEvT_jjPNS9_10value_typeET0_
	.p2align	8
	.type	_ZN7rocprim17ROCPRIM_400000_NS6detail30init_device_scan_by_key_kernelINS1_19lookback_scan_stateINS0_5tupleIJibEEELb0ELb1EEENS1_16block_id_wrapperIjLb1EEEEEvT_jjPNS9_10value_typeET0_,@function
_ZN7rocprim17ROCPRIM_400000_NS6detail30init_device_scan_by_key_kernelINS1_19lookback_scan_stateINS0_5tupleIJibEEELb0ELb1EEENS1_16block_id_wrapperIjLb1EEEEEvT_jjPNS9_10value_typeET0_: ; @_ZN7rocprim17ROCPRIM_400000_NS6detail30init_device_scan_by_key_kernelINS1_19lookback_scan_stateINS0_5tupleIJibEEELb0ELb1EEENS1_16block_id_wrapperIjLb1EEEEEvT_jjPNS9_10value_typeET0_
; %bb.0:
	s_load_dword s0, s[4:5], 0x2c
	s_load_dwordx8 s[8:15], s[4:5], 0x0
	s_waitcnt lgkmcnt(0)
	s_and_b32 s0, s0, 0xffff
	s_mul_i32 s6, s6, s0
	s_cmp_eq_u64 s[12:13], 0
	v_add_u32_e32 v0, s6, v0
	s_cbranch_scc1 .LBB154_8
; %bb.1:
	s_cmp_lt_u32 s11, s10
	s_cselect_b32 s0, s11, 0
	s_mov_b32 s3, 0
	v_cmp_eq_u32_e32 vcc, s0, v0
	s_and_saveexec_b64 s[0:1], vcc
	s_cbranch_execz .LBB154_7
; %bb.2:
	s_add_i32 s2, s11, 64
	s_lshl_b64 s[2:3], s[2:3], 4
	s_add_u32 s6, s8, s2
	s_addc_u32 s7, s9, s3
	v_pk_mov_b32 v[2:3], s[6:7], s[6:7] op_sel:[0,1]
	;;#ASMSTART
	global_load_dwordx4 v[2:5], v[2:3] off glc	
s_waitcnt vmcnt(0)
	;;#ASMEND
	v_mov_b32_e32 v7, 0
	v_and_b32_e32 v6, 0xff, v4
	s_mov_b64 s[4:5], 0
	v_cmp_eq_u64_e32 vcc, 0, v[6:7]
	s_and_saveexec_b64 s[2:3], vcc
	s_cbranch_execz .LBB154_6
; %bb.3:
	v_pk_mov_b32 v[8:9], s[6:7], s[6:7] op_sel:[0,1]
.LBB154_4:                              ; =>This Inner Loop Header: Depth=1
	;;#ASMSTART
	global_load_dwordx4 v[2:5], v[8:9] off glc	
s_waitcnt vmcnt(0)
	;;#ASMEND
	v_and_b32_e32 v6, 0xff, v4
	v_cmp_ne_u64_e32 vcc, 0, v[6:7]
	s_or_b64 s[4:5], vcc, s[4:5]
	s_andn2_b64 exec, exec, s[4:5]
	s_cbranch_execnz .LBB154_4
; %bb.5:
	s_or_b64 exec, exec, s[4:5]
.LBB154_6:
	s_or_b64 exec, exec, s[2:3]
	v_mov_b32_e32 v1, 0
	global_store_dword v1, v2, s[12:13]
	global_store_byte v1, v3, s[12:13] offset:4
.LBB154_7:
	s_or_b64 exec, exec, s[0:1]
.LBB154_8:
	v_cmp_eq_u32_e32 vcc, 0, v0
	s_and_saveexec_b64 s[0:1], vcc
	s_cbranch_execnz .LBB154_12
; %bb.9:
	s_or_b64 exec, exec, s[0:1]
	v_cmp_gt_u32_e32 vcc, s10, v0
	s_and_saveexec_b64 s[0:1], vcc
	s_cbranch_execnz .LBB154_13
.LBB154_10:
	s_or_b64 exec, exec, s[0:1]
	v_cmp_gt_u32_e32 vcc, 64, v0
	s_and_saveexec_b64 s[0:1], vcc
	s_cbranch_execnz .LBB154_14
.LBB154_11:
	s_endpgm
.LBB154_12:
	v_mov_b32_e32 v1, 0
	global_store_dword v1, v1, s[14:15]
	s_or_b64 exec, exec, s[0:1]
	v_cmp_gt_u32_e32 vcc, s10, v0
	s_and_saveexec_b64 s[0:1], vcc
	s_cbranch_execz .LBB154_10
.LBB154_13:
	v_add_u32_e32 v2, 64, v0
	v_mov_b32_e32 v3, 0
	v_lshlrev_b64 v[4:5], 4, v[2:3]
	v_mov_b32_e32 v1, s9
	v_add_co_u32_e32 v6, vcc, s8, v4
	v_addc_co_u32_e32 v7, vcc, v1, v5, vcc
	v_mov_b32_e32 v2, v3
	v_mov_b32_e32 v4, v3
	;; [unrolled: 1-line block ×3, first 2 shown]
	global_store_dwordx4 v[6:7], v[2:5], off
	s_or_b64 exec, exec, s[0:1]
	v_cmp_gt_u32_e32 vcc, 64, v0
	s_and_saveexec_b64 s[0:1], vcc
	s_cbranch_execz .LBB154_11
.LBB154_14:
	v_mov_b32_e32 v1, 0
	v_lshlrev_b64 v[2:3], 4, v[0:1]
	v_mov_b32_e32 v0, s9
	v_add_co_u32_e32 v4, vcc, s8, v2
	v_addc_co_u32_e32 v5, vcc, v0, v3, vcc
	v_mov_b32_e32 v2, 0xff
	v_mov_b32_e32 v0, v1
	;; [unrolled: 1-line block ×3, first 2 shown]
	global_store_dwordx4 v[4:5], v[0:3], off
	s_endpgm
	.section	.rodata,"a",@progbits
	.p2align	6, 0x0
	.amdhsa_kernel _ZN7rocprim17ROCPRIM_400000_NS6detail30init_device_scan_by_key_kernelINS1_19lookback_scan_stateINS0_5tupleIJibEEELb0ELb1EEENS1_16block_id_wrapperIjLb1EEEEEvT_jjPNS9_10value_typeET0_
		.amdhsa_group_segment_fixed_size 0
		.amdhsa_private_segment_fixed_size 0
		.amdhsa_kernarg_size 288
		.amdhsa_user_sgpr_count 6
		.amdhsa_user_sgpr_private_segment_buffer 1
		.amdhsa_user_sgpr_dispatch_ptr 0
		.amdhsa_user_sgpr_queue_ptr 0
		.amdhsa_user_sgpr_kernarg_segment_ptr 1
		.amdhsa_user_sgpr_dispatch_id 0
		.amdhsa_user_sgpr_flat_scratch_init 0
		.amdhsa_user_sgpr_kernarg_preload_length 0
		.amdhsa_user_sgpr_kernarg_preload_offset 0
		.amdhsa_user_sgpr_private_segment_size 0
		.amdhsa_uses_dynamic_stack 0
		.amdhsa_system_sgpr_private_segment_wavefront_offset 0
		.amdhsa_system_sgpr_workgroup_id_x 1
		.amdhsa_system_sgpr_workgroup_id_y 0
		.amdhsa_system_sgpr_workgroup_id_z 0
		.amdhsa_system_sgpr_workgroup_info 0
		.amdhsa_system_vgpr_workitem_id 0
		.amdhsa_next_free_vgpr 10
		.amdhsa_next_free_sgpr 16
		.amdhsa_accum_offset 12
		.amdhsa_reserve_vcc 1
		.amdhsa_reserve_flat_scratch 0
		.amdhsa_float_round_mode_32 0
		.amdhsa_float_round_mode_16_64 0
		.amdhsa_float_denorm_mode_32 3
		.amdhsa_float_denorm_mode_16_64 3
		.amdhsa_dx10_clamp 1
		.amdhsa_ieee_mode 1
		.amdhsa_fp16_overflow 0
		.amdhsa_tg_split 0
		.amdhsa_exception_fp_ieee_invalid_op 0
		.amdhsa_exception_fp_denorm_src 0
		.amdhsa_exception_fp_ieee_div_zero 0
		.amdhsa_exception_fp_ieee_overflow 0
		.amdhsa_exception_fp_ieee_underflow 0
		.amdhsa_exception_fp_ieee_inexact 0
		.amdhsa_exception_int_div_zero 0
	.end_amdhsa_kernel
	.section	.text._ZN7rocprim17ROCPRIM_400000_NS6detail30init_device_scan_by_key_kernelINS1_19lookback_scan_stateINS0_5tupleIJibEEELb0ELb1EEENS1_16block_id_wrapperIjLb1EEEEEvT_jjPNS9_10value_typeET0_,"axG",@progbits,_ZN7rocprim17ROCPRIM_400000_NS6detail30init_device_scan_by_key_kernelINS1_19lookback_scan_stateINS0_5tupleIJibEEELb0ELb1EEENS1_16block_id_wrapperIjLb1EEEEEvT_jjPNS9_10value_typeET0_,comdat
.Lfunc_end154:
	.size	_ZN7rocprim17ROCPRIM_400000_NS6detail30init_device_scan_by_key_kernelINS1_19lookback_scan_stateINS0_5tupleIJibEEELb0ELb1EEENS1_16block_id_wrapperIjLb1EEEEEvT_jjPNS9_10value_typeET0_, .Lfunc_end154-_ZN7rocprim17ROCPRIM_400000_NS6detail30init_device_scan_by_key_kernelINS1_19lookback_scan_stateINS0_5tupleIJibEEELb0ELb1EEENS1_16block_id_wrapperIjLb1EEEEEvT_jjPNS9_10value_typeET0_
                                        ; -- End function
	.section	.AMDGPU.csdata,"",@progbits
; Kernel info:
; codeLenInByte = 408
; NumSgprs: 20
; NumVgprs: 10
; NumAgprs: 0
; TotalNumVgprs: 10
; ScratchSize: 0
; MemoryBound: 0
; FloatMode: 240
; IeeeMode: 1
; LDSByteSize: 0 bytes/workgroup (compile time only)
; SGPRBlocks: 2
; VGPRBlocks: 1
; NumSGPRsForWavesPerEU: 20
; NumVGPRsForWavesPerEU: 10
; AccumOffset: 12
; Occupancy: 8
; WaveLimiterHint : 0
; COMPUTE_PGM_RSRC2:SCRATCH_EN: 0
; COMPUTE_PGM_RSRC2:USER_SGPR: 6
; COMPUTE_PGM_RSRC2:TRAP_HANDLER: 0
; COMPUTE_PGM_RSRC2:TGID_X_EN: 1
; COMPUTE_PGM_RSRC2:TGID_Y_EN: 0
; COMPUTE_PGM_RSRC2:TGID_Z_EN: 0
; COMPUTE_PGM_RSRC2:TIDIG_COMP_CNT: 0
; COMPUTE_PGM_RSRC3_GFX90A:ACCUM_OFFSET: 2
; COMPUTE_PGM_RSRC3_GFX90A:TG_SPLIT: 0
	.section	.text._ZN7rocprim17ROCPRIM_400000_NS6detail17trampoline_kernelINS0_14default_configENS1_27scan_by_key_config_selectorIiiEEZZNS1_16scan_by_key_implILNS1_25lookback_scan_determinismE0ELb0ES3_N6thrust23THRUST_200600_302600_NS6detail15normal_iteratorINS9_10device_ptrIiEEEESE_SE_iNS9_4plusIvEENS9_8equal_toIvEEiEE10hipError_tPvRmT2_T3_T4_T5_mT6_T7_P12ihipStream_tbENKUlT_T0_E_clISt17integral_constantIbLb0EESY_IbLb1EEEEDaSU_SV_EUlSU_E_NS1_11comp_targetILNS1_3genE0ELNS1_11target_archE4294967295ELNS1_3gpuE0ELNS1_3repE0EEENS1_30default_config_static_selectorELNS0_4arch9wavefront6targetE1EEEvT1_,"axG",@progbits,_ZN7rocprim17ROCPRIM_400000_NS6detail17trampoline_kernelINS0_14default_configENS1_27scan_by_key_config_selectorIiiEEZZNS1_16scan_by_key_implILNS1_25lookback_scan_determinismE0ELb0ES3_N6thrust23THRUST_200600_302600_NS6detail15normal_iteratorINS9_10device_ptrIiEEEESE_SE_iNS9_4plusIvEENS9_8equal_toIvEEiEE10hipError_tPvRmT2_T3_T4_T5_mT6_T7_P12ihipStream_tbENKUlT_T0_E_clISt17integral_constantIbLb0EESY_IbLb1EEEEDaSU_SV_EUlSU_E_NS1_11comp_targetILNS1_3genE0ELNS1_11target_archE4294967295ELNS1_3gpuE0ELNS1_3repE0EEENS1_30default_config_static_selectorELNS0_4arch9wavefront6targetE1EEEvT1_,comdat
	.protected	_ZN7rocprim17ROCPRIM_400000_NS6detail17trampoline_kernelINS0_14default_configENS1_27scan_by_key_config_selectorIiiEEZZNS1_16scan_by_key_implILNS1_25lookback_scan_determinismE0ELb0ES3_N6thrust23THRUST_200600_302600_NS6detail15normal_iteratorINS9_10device_ptrIiEEEESE_SE_iNS9_4plusIvEENS9_8equal_toIvEEiEE10hipError_tPvRmT2_T3_T4_T5_mT6_T7_P12ihipStream_tbENKUlT_T0_E_clISt17integral_constantIbLb0EESY_IbLb1EEEEDaSU_SV_EUlSU_E_NS1_11comp_targetILNS1_3genE0ELNS1_11target_archE4294967295ELNS1_3gpuE0ELNS1_3repE0EEENS1_30default_config_static_selectorELNS0_4arch9wavefront6targetE1EEEvT1_ ; -- Begin function _ZN7rocprim17ROCPRIM_400000_NS6detail17trampoline_kernelINS0_14default_configENS1_27scan_by_key_config_selectorIiiEEZZNS1_16scan_by_key_implILNS1_25lookback_scan_determinismE0ELb0ES3_N6thrust23THRUST_200600_302600_NS6detail15normal_iteratorINS9_10device_ptrIiEEEESE_SE_iNS9_4plusIvEENS9_8equal_toIvEEiEE10hipError_tPvRmT2_T3_T4_T5_mT6_T7_P12ihipStream_tbENKUlT_T0_E_clISt17integral_constantIbLb0EESY_IbLb1EEEEDaSU_SV_EUlSU_E_NS1_11comp_targetILNS1_3genE0ELNS1_11target_archE4294967295ELNS1_3gpuE0ELNS1_3repE0EEENS1_30default_config_static_selectorELNS0_4arch9wavefront6targetE1EEEvT1_
	.globl	_ZN7rocprim17ROCPRIM_400000_NS6detail17trampoline_kernelINS0_14default_configENS1_27scan_by_key_config_selectorIiiEEZZNS1_16scan_by_key_implILNS1_25lookback_scan_determinismE0ELb0ES3_N6thrust23THRUST_200600_302600_NS6detail15normal_iteratorINS9_10device_ptrIiEEEESE_SE_iNS9_4plusIvEENS9_8equal_toIvEEiEE10hipError_tPvRmT2_T3_T4_T5_mT6_T7_P12ihipStream_tbENKUlT_T0_E_clISt17integral_constantIbLb0EESY_IbLb1EEEEDaSU_SV_EUlSU_E_NS1_11comp_targetILNS1_3genE0ELNS1_11target_archE4294967295ELNS1_3gpuE0ELNS1_3repE0EEENS1_30default_config_static_selectorELNS0_4arch9wavefront6targetE1EEEvT1_
	.p2align	8
	.type	_ZN7rocprim17ROCPRIM_400000_NS6detail17trampoline_kernelINS0_14default_configENS1_27scan_by_key_config_selectorIiiEEZZNS1_16scan_by_key_implILNS1_25lookback_scan_determinismE0ELb0ES3_N6thrust23THRUST_200600_302600_NS6detail15normal_iteratorINS9_10device_ptrIiEEEESE_SE_iNS9_4plusIvEENS9_8equal_toIvEEiEE10hipError_tPvRmT2_T3_T4_T5_mT6_T7_P12ihipStream_tbENKUlT_T0_E_clISt17integral_constantIbLb0EESY_IbLb1EEEEDaSU_SV_EUlSU_E_NS1_11comp_targetILNS1_3genE0ELNS1_11target_archE4294967295ELNS1_3gpuE0ELNS1_3repE0EEENS1_30default_config_static_selectorELNS0_4arch9wavefront6targetE1EEEvT1_,@function
_ZN7rocprim17ROCPRIM_400000_NS6detail17trampoline_kernelINS0_14default_configENS1_27scan_by_key_config_selectorIiiEEZZNS1_16scan_by_key_implILNS1_25lookback_scan_determinismE0ELb0ES3_N6thrust23THRUST_200600_302600_NS6detail15normal_iteratorINS9_10device_ptrIiEEEESE_SE_iNS9_4plusIvEENS9_8equal_toIvEEiEE10hipError_tPvRmT2_T3_T4_T5_mT6_T7_P12ihipStream_tbENKUlT_T0_E_clISt17integral_constantIbLb0EESY_IbLb1EEEEDaSU_SV_EUlSU_E_NS1_11comp_targetILNS1_3genE0ELNS1_11target_archE4294967295ELNS1_3gpuE0ELNS1_3repE0EEENS1_30default_config_static_selectorELNS0_4arch9wavefront6targetE1EEEvT1_: ; @_ZN7rocprim17ROCPRIM_400000_NS6detail17trampoline_kernelINS0_14default_configENS1_27scan_by_key_config_selectorIiiEEZZNS1_16scan_by_key_implILNS1_25lookback_scan_determinismE0ELb0ES3_N6thrust23THRUST_200600_302600_NS6detail15normal_iteratorINS9_10device_ptrIiEEEESE_SE_iNS9_4plusIvEENS9_8equal_toIvEEiEE10hipError_tPvRmT2_T3_T4_T5_mT6_T7_P12ihipStream_tbENKUlT_T0_E_clISt17integral_constantIbLb0EESY_IbLb1EEEEDaSU_SV_EUlSU_E_NS1_11comp_targetILNS1_3genE0ELNS1_11target_archE4294967295ELNS1_3gpuE0ELNS1_3repE0EEENS1_30default_config_static_selectorELNS0_4arch9wavefront6targetE1EEEvT1_
; %bb.0:
	.section	.rodata,"a",@progbits
	.p2align	6, 0x0
	.amdhsa_kernel _ZN7rocprim17ROCPRIM_400000_NS6detail17trampoline_kernelINS0_14default_configENS1_27scan_by_key_config_selectorIiiEEZZNS1_16scan_by_key_implILNS1_25lookback_scan_determinismE0ELb0ES3_N6thrust23THRUST_200600_302600_NS6detail15normal_iteratorINS9_10device_ptrIiEEEESE_SE_iNS9_4plusIvEENS9_8equal_toIvEEiEE10hipError_tPvRmT2_T3_T4_T5_mT6_T7_P12ihipStream_tbENKUlT_T0_E_clISt17integral_constantIbLb0EESY_IbLb1EEEEDaSU_SV_EUlSU_E_NS1_11comp_targetILNS1_3genE0ELNS1_11target_archE4294967295ELNS1_3gpuE0ELNS1_3repE0EEENS1_30default_config_static_selectorELNS0_4arch9wavefront6targetE1EEEvT1_
		.amdhsa_group_segment_fixed_size 0
		.amdhsa_private_segment_fixed_size 0
		.amdhsa_kernarg_size 112
		.amdhsa_user_sgpr_count 6
		.amdhsa_user_sgpr_private_segment_buffer 1
		.amdhsa_user_sgpr_dispatch_ptr 0
		.amdhsa_user_sgpr_queue_ptr 0
		.amdhsa_user_sgpr_kernarg_segment_ptr 1
		.amdhsa_user_sgpr_dispatch_id 0
		.amdhsa_user_sgpr_flat_scratch_init 0
		.amdhsa_user_sgpr_kernarg_preload_length 0
		.amdhsa_user_sgpr_kernarg_preload_offset 0
		.amdhsa_user_sgpr_private_segment_size 0
		.amdhsa_uses_dynamic_stack 0
		.amdhsa_system_sgpr_private_segment_wavefront_offset 0
		.amdhsa_system_sgpr_workgroup_id_x 1
		.amdhsa_system_sgpr_workgroup_id_y 0
		.amdhsa_system_sgpr_workgroup_id_z 0
		.amdhsa_system_sgpr_workgroup_info 0
		.amdhsa_system_vgpr_workitem_id 0
		.amdhsa_next_free_vgpr 1
		.amdhsa_next_free_sgpr 0
		.amdhsa_accum_offset 4
		.amdhsa_reserve_vcc 0
		.amdhsa_reserve_flat_scratch 0
		.amdhsa_float_round_mode_32 0
		.amdhsa_float_round_mode_16_64 0
		.amdhsa_float_denorm_mode_32 3
		.amdhsa_float_denorm_mode_16_64 3
		.amdhsa_dx10_clamp 1
		.amdhsa_ieee_mode 1
		.amdhsa_fp16_overflow 0
		.amdhsa_tg_split 0
		.amdhsa_exception_fp_ieee_invalid_op 0
		.amdhsa_exception_fp_denorm_src 0
		.amdhsa_exception_fp_ieee_div_zero 0
		.amdhsa_exception_fp_ieee_overflow 0
		.amdhsa_exception_fp_ieee_underflow 0
		.amdhsa_exception_fp_ieee_inexact 0
		.amdhsa_exception_int_div_zero 0
	.end_amdhsa_kernel
	.section	.text._ZN7rocprim17ROCPRIM_400000_NS6detail17trampoline_kernelINS0_14default_configENS1_27scan_by_key_config_selectorIiiEEZZNS1_16scan_by_key_implILNS1_25lookback_scan_determinismE0ELb0ES3_N6thrust23THRUST_200600_302600_NS6detail15normal_iteratorINS9_10device_ptrIiEEEESE_SE_iNS9_4plusIvEENS9_8equal_toIvEEiEE10hipError_tPvRmT2_T3_T4_T5_mT6_T7_P12ihipStream_tbENKUlT_T0_E_clISt17integral_constantIbLb0EESY_IbLb1EEEEDaSU_SV_EUlSU_E_NS1_11comp_targetILNS1_3genE0ELNS1_11target_archE4294967295ELNS1_3gpuE0ELNS1_3repE0EEENS1_30default_config_static_selectorELNS0_4arch9wavefront6targetE1EEEvT1_,"axG",@progbits,_ZN7rocprim17ROCPRIM_400000_NS6detail17trampoline_kernelINS0_14default_configENS1_27scan_by_key_config_selectorIiiEEZZNS1_16scan_by_key_implILNS1_25lookback_scan_determinismE0ELb0ES3_N6thrust23THRUST_200600_302600_NS6detail15normal_iteratorINS9_10device_ptrIiEEEESE_SE_iNS9_4plusIvEENS9_8equal_toIvEEiEE10hipError_tPvRmT2_T3_T4_T5_mT6_T7_P12ihipStream_tbENKUlT_T0_E_clISt17integral_constantIbLb0EESY_IbLb1EEEEDaSU_SV_EUlSU_E_NS1_11comp_targetILNS1_3genE0ELNS1_11target_archE4294967295ELNS1_3gpuE0ELNS1_3repE0EEENS1_30default_config_static_selectorELNS0_4arch9wavefront6targetE1EEEvT1_,comdat
.Lfunc_end155:
	.size	_ZN7rocprim17ROCPRIM_400000_NS6detail17trampoline_kernelINS0_14default_configENS1_27scan_by_key_config_selectorIiiEEZZNS1_16scan_by_key_implILNS1_25lookback_scan_determinismE0ELb0ES3_N6thrust23THRUST_200600_302600_NS6detail15normal_iteratorINS9_10device_ptrIiEEEESE_SE_iNS9_4plusIvEENS9_8equal_toIvEEiEE10hipError_tPvRmT2_T3_T4_T5_mT6_T7_P12ihipStream_tbENKUlT_T0_E_clISt17integral_constantIbLb0EESY_IbLb1EEEEDaSU_SV_EUlSU_E_NS1_11comp_targetILNS1_3genE0ELNS1_11target_archE4294967295ELNS1_3gpuE0ELNS1_3repE0EEENS1_30default_config_static_selectorELNS0_4arch9wavefront6targetE1EEEvT1_, .Lfunc_end155-_ZN7rocprim17ROCPRIM_400000_NS6detail17trampoline_kernelINS0_14default_configENS1_27scan_by_key_config_selectorIiiEEZZNS1_16scan_by_key_implILNS1_25lookback_scan_determinismE0ELb0ES3_N6thrust23THRUST_200600_302600_NS6detail15normal_iteratorINS9_10device_ptrIiEEEESE_SE_iNS9_4plusIvEENS9_8equal_toIvEEiEE10hipError_tPvRmT2_T3_T4_T5_mT6_T7_P12ihipStream_tbENKUlT_T0_E_clISt17integral_constantIbLb0EESY_IbLb1EEEEDaSU_SV_EUlSU_E_NS1_11comp_targetILNS1_3genE0ELNS1_11target_archE4294967295ELNS1_3gpuE0ELNS1_3repE0EEENS1_30default_config_static_selectorELNS0_4arch9wavefront6targetE1EEEvT1_
                                        ; -- End function
	.section	.AMDGPU.csdata,"",@progbits
; Kernel info:
; codeLenInByte = 0
; NumSgprs: 4
; NumVgprs: 0
; NumAgprs: 0
; TotalNumVgprs: 0
; ScratchSize: 0
; MemoryBound: 0
; FloatMode: 240
; IeeeMode: 1
; LDSByteSize: 0 bytes/workgroup (compile time only)
; SGPRBlocks: 0
; VGPRBlocks: 0
; NumSGPRsForWavesPerEU: 4
; NumVGPRsForWavesPerEU: 1
; AccumOffset: 4
; Occupancy: 8
; WaveLimiterHint : 0
; COMPUTE_PGM_RSRC2:SCRATCH_EN: 0
; COMPUTE_PGM_RSRC2:USER_SGPR: 6
; COMPUTE_PGM_RSRC2:TRAP_HANDLER: 0
; COMPUTE_PGM_RSRC2:TGID_X_EN: 1
; COMPUTE_PGM_RSRC2:TGID_Y_EN: 0
; COMPUTE_PGM_RSRC2:TGID_Z_EN: 0
; COMPUTE_PGM_RSRC2:TIDIG_COMP_CNT: 0
; COMPUTE_PGM_RSRC3_GFX90A:ACCUM_OFFSET: 0
; COMPUTE_PGM_RSRC3_GFX90A:TG_SPLIT: 0
	.section	.text._ZN7rocprim17ROCPRIM_400000_NS6detail17trampoline_kernelINS0_14default_configENS1_27scan_by_key_config_selectorIiiEEZZNS1_16scan_by_key_implILNS1_25lookback_scan_determinismE0ELb0ES3_N6thrust23THRUST_200600_302600_NS6detail15normal_iteratorINS9_10device_ptrIiEEEESE_SE_iNS9_4plusIvEENS9_8equal_toIvEEiEE10hipError_tPvRmT2_T3_T4_T5_mT6_T7_P12ihipStream_tbENKUlT_T0_E_clISt17integral_constantIbLb0EESY_IbLb1EEEEDaSU_SV_EUlSU_E_NS1_11comp_targetILNS1_3genE10ELNS1_11target_archE1201ELNS1_3gpuE5ELNS1_3repE0EEENS1_30default_config_static_selectorELNS0_4arch9wavefront6targetE1EEEvT1_,"axG",@progbits,_ZN7rocprim17ROCPRIM_400000_NS6detail17trampoline_kernelINS0_14default_configENS1_27scan_by_key_config_selectorIiiEEZZNS1_16scan_by_key_implILNS1_25lookback_scan_determinismE0ELb0ES3_N6thrust23THRUST_200600_302600_NS6detail15normal_iteratorINS9_10device_ptrIiEEEESE_SE_iNS9_4plusIvEENS9_8equal_toIvEEiEE10hipError_tPvRmT2_T3_T4_T5_mT6_T7_P12ihipStream_tbENKUlT_T0_E_clISt17integral_constantIbLb0EESY_IbLb1EEEEDaSU_SV_EUlSU_E_NS1_11comp_targetILNS1_3genE10ELNS1_11target_archE1201ELNS1_3gpuE5ELNS1_3repE0EEENS1_30default_config_static_selectorELNS0_4arch9wavefront6targetE1EEEvT1_,comdat
	.protected	_ZN7rocprim17ROCPRIM_400000_NS6detail17trampoline_kernelINS0_14default_configENS1_27scan_by_key_config_selectorIiiEEZZNS1_16scan_by_key_implILNS1_25lookback_scan_determinismE0ELb0ES3_N6thrust23THRUST_200600_302600_NS6detail15normal_iteratorINS9_10device_ptrIiEEEESE_SE_iNS9_4plusIvEENS9_8equal_toIvEEiEE10hipError_tPvRmT2_T3_T4_T5_mT6_T7_P12ihipStream_tbENKUlT_T0_E_clISt17integral_constantIbLb0EESY_IbLb1EEEEDaSU_SV_EUlSU_E_NS1_11comp_targetILNS1_3genE10ELNS1_11target_archE1201ELNS1_3gpuE5ELNS1_3repE0EEENS1_30default_config_static_selectorELNS0_4arch9wavefront6targetE1EEEvT1_ ; -- Begin function _ZN7rocprim17ROCPRIM_400000_NS6detail17trampoline_kernelINS0_14default_configENS1_27scan_by_key_config_selectorIiiEEZZNS1_16scan_by_key_implILNS1_25lookback_scan_determinismE0ELb0ES3_N6thrust23THRUST_200600_302600_NS6detail15normal_iteratorINS9_10device_ptrIiEEEESE_SE_iNS9_4plusIvEENS9_8equal_toIvEEiEE10hipError_tPvRmT2_T3_T4_T5_mT6_T7_P12ihipStream_tbENKUlT_T0_E_clISt17integral_constantIbLb0EESY_IbLb1EEEEDaSU_SV_EUlSU_E_NS1_11comp_targetILNS1_3genE10ELNS1_11target_archE1201ELNS1_3gpuE5ELNS1_3repE0EEENS1_30default_config_static_selectorELNS0_4arch9wavefront6targetE1EEEvT1_
	.globl	_ZN7rocprim17ROCPRIM_400000_NS6detail17trampoline_kernelINS0_14default_configENS1_27scan_by_key_config_selectorIiiEEZZNS1_16scan_by_key_implILNS1_25lookback_scan_determinismE0ELb0ES3_N6thrust23THRUST_200600_302600_NS6detail15normal_iteratorINS9_10device_ptrIiEEEESE_SE_iNS9_4plusIvEENS9_8equal_toIvEEiEE10hipError_tPvRmT2_T3_T4_T5_mT6_T7_P12ihipStream_tbENKUlT_T0_E_clISt17integral_constantIbLb0EESY_IbLb1EEEEDaSU_SV_EUlSU_E_NS1_11comp_targetILNS1_3genE10ELNS1_11target_archE1201ELNS1_3gpuE5ELNS1_3repE0EEENS1_30default_config_static_selectorELNS0_4arch9wavefront6targetE1EEEvT1_
	.p2align	8
	.type	_ZN7rocprim17ROCPRIM_400000_NS6detail17trampoline_kernelINS0_14default_configENS1_27scan_by_key_config_selectorIiiEEZZNS1_16scan_by_key_implILNS1_25lookback_scan_determinismE0ELb0ES3_N6thrust23THRUST_200600_302600_NS6detail15normal_iteratorINS9_10device_ptrIiEEEESE_SE_iNS9_4plusIvEENS9_8equal_toIvEEiEE10hipError_tPvRmT2_T3_T4_T5_mT6_T7_P12ihipStream_tbENKUlT_T0_E_clISt17integral_constantIbLb0EESY_IbLb1EEEEDaSU_SV_EUlSU_E_NS1_11comp_targetILNS1_3genE10ELNS1_11target_archE1201ELNS1_3gpuE5ELNS1_3repE0EEENS1_30default_config_static_selectorELNS0_4arch9wavefront6targetE1EEEvT1_,@function
_ZN7rocprim17ROCPRIM_400000_NS6detail17trampoline_kernelINS0_14default_configENS1_27scan_by_key_config_selectorIiiEEZZNS1_16scan_by_key_implILNS1_25lookback_scan_determinismE0ELb0ES3_N6thrust23THRUST_200600_302600_NS6detail15normal_iteratorINS9_10device_ptrIiEEEESE_SE_iNS9_4plusIvEENS9_8equal_toIvEEiEE10hipError_tPvRmT2_T3_T4_T5_mT6_T7_P12ihipStream_tbENKUlT_T0_E_clISt17integral_constantIbLb0EESY_IbLb1EEEEDaSU_SV_EUlSU_E_NS1_11comp_targetILNS1_3genE10ELNS1_11target_archE1201ELNS1_3gpuE5ELNS1_3repE0EEENS1_30default_config_static_selectorELNS0_4arch9wavefront6targetE1EEEvT1_: ; @_ZN7rocprim17ROCPRIM_400000_NS6detail17trampoline_kernelINS0_14default_configENS1_27scan_by_key_config_selectorIiiEEZZNS1_16scan_by_key_implILNS1_25lookback_scan_determinismE0ELb0ES3_N6thrust23THRUST_200600_302600_NS6detail15normal_iteratorINS9_10device_ptrIiEEEESE_SE_iNS9_4plusIvEENS9_8equal_toIvEEiEE10hipError_tPvRmT2_T3_T4_T5_mT6_T7_P12ihipStream_tbENKUlT_T0_E_clISt17integral_constantIbLb0EESY_IbLb1EEEEDaSU_SV_EUlSU_E_NS1_11comp_targetILNS1_3genE10ELNS1_11target_archE1201ELNS1_3gpuE5ELNS1_3repE0EEENS1_30default_config_static_selectorELNS0_4arch9wavefront6targetE1EEEvT1_
; %bb.0:
	.section	.rodata,"a",@progbits
	.p2align	6, 0x0
	.amdhsa_kernel _ZN7rocprim17ROCPRIM_400000_NS6detail17trampoline_kernelINS0_14default_configENS1_27scan_by_key_config_selectorIiiEEZZNS1_16scan_by_key_implILNS1_25lookback_scan_determinismE0ELb0ES3_N6thrust23THRUST_200600_302600_NS6detail15normal_iteratorINS9_10device_ptrIiEEEESE_SE_iNS9_4plusIvEENS9_8equal_toIvEEiEE10hipError_tPvRmT2_T3_T4_T5_mT6_T7_P12ihipStream_tbENKUlT_T0_E_clISt17integral_constantIbLb0EESY_IbLb1EEEEDaSU_SV_EUlSU_E_NS1_11comp_targetILNS1_3genE10ELNS1_11target_archE1201ELNS1_3gpuE5ELNS1_3repE0EEENS1_30default_config_static_selectorELNS0_4arch9wavefront6targetE1EEEvT1_
		.amdhsa_group_segment_fixed_size 0
		.amdhsa_private_segment_fixed_size 0
		.amdhsa_kernarg_size 112
		.amdhsa_user_sgpr_count 6
		.amdhsa_user_sgpr_private_segment_buffer 1
		.amdhsa_user_sgpr_dispatch_ptr 0
		.amdhsa_user_sgpr_queue_ptr 0
		.amdhsa_user_sgpr_kernarg_segment_ptr 1
		.amdhsa_user_sgpr_dispatch_id 0
		.amdhsa_user_sgpr_flat_scratch_init 0
		.amdhsa_user_sgpr_kernarg_preload_length 0
		.amdhsa_user_sgpr_kernarg_preload_offset 0
		.amdhsa_user_sgpr_private_segment_size 0
		.amdhsa_uses_dynamic_stack 0
		.amdhsa_system_sgpr_private_segment_wavefront_offset 0
		.amdhsa_system_sgpr_workgroup_id_x 1
		.amdhsa_system_sgpr_workgroup_id_y 0
		.amdhsa_system_sgpr_workgroup_id_z 0
		.amdhsa_system_sgpr_workgroup_info 0
		.amdhsa_system_vgpr_workitem_id 0
		.amdhsa_next_free_vgpr 1
		.amdhsa_next_free_sgpr 0
		.amdhsa_accum_offset 4
		.amdhsa_reserve_vcc 0
		.amdhsa_reserve_flat_scratch 0
		.amdhsa_float_round_mode_32 0
		.amdhsa_float_round_mode_16_64 0
		.amdhsa_float_denorm_mode_32 3
		.amdhsa_float_denorm_mode_16_64 3
		.amdhsa_dx10_clamp 1
		.amdhsa_ieee_mode 1
		.amdhsa_fp16_overflow 0
		.amdhsa_tg_split 0
		.amdhsa_exception_fp_ieee_invalid_op 0
		.amdhsa_exception_fp_denorm_src 0
		.amdhsa_exception_fp_ieee_div_zero 0
		.amdhsa_exception_fp_ieee_overflow 0
		.amdhsa_exception_fp_ieee_underflow 0
		.amdhsa_exception_fp_ieee_inexact 0
		.amdhsa_exception_int_div_zero 0
	.end_amdhsa_kernel
	.section	.text._ZN7rocprim17ROCPRIM_400000_NS6detail17trampoline_kernelINS0_14default_configENS1_27scan_by_key_config_selectorIiiEEZZNS1_16scan_by_key_implILNS1_25lookback_scan_determinismE0ELb0ES3_N6thrust23THRUST_200600_302600_NS6detail15normal_iteratorINS9_10device_ptrIiEEEESE_SE_iNS9_4plusIvEENS9_8equal_toIvEEiEE10hipError_tPvRmT2_T3_T4_T5_mT6_T7_P12ihipStream_tbENKUlT_T0_E_clISt17integral_constantIbLb0EESY_IbLb1EEEEDaSU_SV_EUlSU_E_NS1_11comp_targetILNS1_3genE10ELNS1_11target_archE1201ELNS1_3gpuE5ELNS1_3repE0EEENS1_30default_config_static_selectorELNS0_4arch9wavefront6targetE1EEEvT1_,"axG",@progbits,_ZN7rocprim17ROCPRIM_400000_NS6detail17trampoline_kernelINS0_14default_configENS1_27scan_by_key_config_selectorIiiEEZZNS1_16scan_by_key_implILNS1_25lookback_scan_determinismE0ELb0ES3_N6thrust23THRUST_200600_302600_NS6detail15normal_iteratorINS9_10device_ptrIiEEEESE_SE_iNS9_4plusIvEENS9_8equal_toIvEEiEE10hipError_tPvRmT2_T3_T4_T5_mT6_T7_P12ihipStream_tbENKUlT_T0_E_clISt17integral_constantIbLb0EESY_IbLb1EEEEDaSU_SV_EUlSU_E_NS1_11comp_targetILNS1_3genE10ELNS1_11target_archE1201ELNS1_3gpuE5ELNS1_3repE0EEENS1_30default_config_static_selectorELNS0_4arch9wavefront6targetE1EEEvT1_,comdat
.Lfunc_end156:
	.size	_ZN7rocprim17ROCPRIM_400000_NS6detail17trampoline_kernelINS0_14default_configENS1_27scan_by_key_config_selectorIiiEEZZNS1_16scan_by_key_implILNS1_25lookback_scan_determinismE0ELb0ES3_N6thrust23THRUST_200600_302600_NS6detail15normal_iteratorINS9_10device_ptrIiEEEESE_SE_iNS9_4plusIvEENS9_8equal_toIvEEiEE10hipError_tPvRmT2_T3_T4_T5_mT6_T7_P12ihipStream_tbENKUlT_T0_E_clISt17integral_constantIbLb0EESY_IbLb1EEEEDaSU_SV_EUlSU_E_NS1_11comp_targetILNS1_3genE10ELNS1_11target_archE1201ELNS1_3gpuE5ELNS1_3repE0EEENS1_30default_config_static_selectorELNS0_4arch9wavefront6targetE1EEEvT1_, .Lfunc_end156-_ZN7rocprim17ROCPRIM_400000_NS6detail17trampoline_kernelINS0_14default_configENS1_27scan_by_key_config_selectorIiiEEZZNS1_16scan_by_key_implILNS1_25lookback_scan_determinismE0ELb0ES3_N6thrust23THRUST_200600_302600_NS6detail15normal_iteratorINS9_10device_ptrIiEEEESE_SE_iNS9_4plusIvEENS9_8equal_toIvEEiEE10hipError_tPvRmT2_T3_T4_T5_mT6_T7_P12ihipStream_tbENKUlT_T0_E_clISt17integral_constantIbLb0EESY_IbLb1EEEEDaSU_SV_EUlSU_E_NS1_11comp_targetILNS1_3genE10ELNS1_11target_archE1201ELNS1_3gpuE5ELNS1_3repE0EEENS1_30default_config_static_selectorELNS0_4arch9wavefront6targetE1EEEvT1_
                                        ; -- End function
	.section	.AMDGPU.csdata,"",@progbits
; Kernel info:
; codeLenInByte = 0
; NumSgprs: 4
; NumVgprs: 0
; NumAgprs: 0
; TotalNumVgprs: 0
; ScratchSize: 0
; MemoryBound: 0
; FloatMode: 240
; IeeeMode: 1
; LDSByteSize: 0 bytes/workgroup (compile time only)
; SGPRBlocks: 0
; VGPRBlocks: 0
; NumSGPRsForWavesPerEU: 4
; NumVGPRsForWavesPerEU: 1
; AccumOffset: 4
; Occupancy: 8
; WaveLimiterHint : 0
; COMPUTE_PGM_RSRC2:SCRATCH_EN: 0
; COMPUTE_PGM_RSRC2:USER_SGPR: 6
; COMPUTE_PGM_RSRC2:TRAP_HANDLER: 0
; COMPUTE_PGM_RSRC2:TGID_X_EN: 1
; COMPUTE_PGM_RSRC2:TGID_Y_EN: 0
; COMPUTE_PGM_RSRC2:TGID_Z_EN: 0
; COMPUTE_PGM_RSRC2:TIDIG_COMP_CNT: 0
; COMPUTE_PGM_RSRC3_GFX90A:ACCUM_OFFSET: 0
; COMPUTE_PGM_RSRC3_GFX90A:TG_SPLIT: 0
	.section	.text._ZN7rocprim17ROCPRIM_400000_NS6detail17trampoline_kernelINS0_14default_configENS1_27scan_by_key_config_selectorIiiEEZZNS1_16scan_by_key_implILNS1_25lookback_scan_determinismE0ELb0ES3_N6thrust23THRUST_200600_302600_NS6detail15normal_iteratorINS9_10device_ptrIiEEEESE_SE_iNS9_4plusIvEENS9_8equal_toIvEEiEE10hipError_tPvRmT2_T3_T4_T5_mT6_T7_P12ihipStream_tbENKUlT_T0_E_clISt17integral_constantIbLb0EESY_IbLb1EEEEDaSU_SV_EUlSU_E_NS1_11comp_targetILNS1_3genE5ELNS1_11target_archE942ELNS1_3gpuE9ELNS1_3repE0EEENS1_30default_config_static_selectorELNS0_4arch9wavefront6targetE1EEEvT1_,"axG",@progbits,_ZN7rocprim17ROCPRIM_400000_NS6detail17trampoline_kernelINS0_14default_configENS1_27scan_by_key_config_selectorIiiEEZZNS1_16scan_by_key_implILNS1_25lookback_scan_determinismE0ELb0ES3_N6thrust23THRUST_200600_302600_NS6detail15normal_iteratorINS9_10device_ptrIiEEEESE_SE_iNS9_4plusIvEENS9_8equal_toIvEEiEE10hipError_tPvRmT2_T3_T4_T5_mT6_T7_P12ihipStream_tbENKUlT_T0_E_clISt17integral_constantIbLb0EESY_IbLb1EEEEDaSU_SV_EUlSU_E_NS1_11comp_targetILNS1_3genE5ELNS1_11target_archE942ELNS1_3gpuE9ELNS1_3repE0EEENS1_30default_config_static_selectorELNS0_4arch9wavefront6targetE1EEEvT1_,comdat
	.protected	_ZN7rocprim17ROCPRIM_400000_NS6detail17trampoline_kernelINS0_14default_configENS1_27scan_by_key_config_selectorIiiEEZZNS1_16scan_by_key_implILNS1_25lookback_scan_determinismE0ELb0ES3_N6thrust23THRUST_200600_302600_NS6detail15normal_iteratorINS9_10device_ptrIiEEEESE_SE_iNS9_4plusIvEENS9_8equal_toIvEEiEE10hipError_tPvRmT2_T3_T4_T5_mT6_T7_P12ihipStream_tbENKUlT_T0_E_clISt17integral_constantIbLb0EESY_IbLb1EEEEDaSU_SV_EUlSU_E_NS1_11comp_targetILNS1_3genE5ELNS1_11target_archE942ELNS1_3gpuE9ELNS1_3repE0EEENS1_30default_config_static_selectorELNS0_4arch9wavefront6targetE1EEEvT1_ ; -- Begin function _ZN7rocprim17ROCPRIM_400000_NS6detail17trampoline_kernelINS0_14default_configENS1_27scan_by_key_config_selectorIiiEEZZNS1_16scan_by_key_implILNS1_25lookback_scan_determinismE0ELb0ES3_N6thrust23THRUST_200600_302600_NS6detail15normal_iteratorINS9_10device_ptrIiEEEESE_SE_iNS9_4plusIvEENS9_8equal_toIvEEiEE10hipError_tPvRmT2_T3_T4_T5_mT6_T7_P12ihipStream_tbENKUlT_T0_E_clISt17integral_constantIbLb0EESY_IbLb1EEEEDaSU_SV_EUlSU_E_NS1_11comp_targetILNS1_3genE5ELNS1_11target_archE942ELNS1_3gpuE9ELNS1_3repE0EEENS1_30default_config_static_selectorELNS0_4arch9wavefront6targetE1EEEvT1_
	.globl	_ZN7rocprim17ROCPRIM_400000_NS6detail17trampoline_kernelINS0_14default_configENS1_27scan_by_key_config_selectorIiiEEZZNS1_16scan_by_key_implILNS1_25lookback_scan_determinismE0ELb0ES3_N6thrust23THRUST_200600_302600_NS6detail15normal_iteratorINS9_10device_ptrIiEEEESE_SE_iNS9_4plusIvEENS9_8equal_toIvEEiEE10hipError_tPvRmT2_T3_T4_T5_mT6_T7_P12ihipStream_tbENKUlT_T0_E_clISt17integral_constantIbLb0EESY_IbLb1EEEEDaSU_SV_EUlSU_E_NS1_11comp_targetILNS1_3genE5ELNS1_11target_archE942ELNS1_3gpuE9ELNS1_3repE0EEENS1_30default_config_static_selectorELNS0_4arch9wavefront6targetE1EEEvT1_
	.p2align	8
	.type	_ZN7rocprim17ROCPRIM_400000_NS6detail17trampoline_kernelINS0_14default_configENS1_27scan_by_key_config_selectorIiiEEZZNS1_16scan_by_key_implILNS1_25lookback_scan_determinismE0ELb0ES3_N6thrust23THRUST_200600_302600_NS6detail15normal_iteratorINS9_10device_ptrIiEEEESE_SE_iNS9_4plusIvEENS9_8equal_toIvEEiEE10hipError_tPvRmT2_T3_T4_T5_mT6_T7_P12ihipStream_tbENKUlT_T0_E_clISt17integral_constantIbLb0EESY_IbLb1EEEEDaSU_SV_EUlSU_E_NS1_11comp_targetILNS1_3genE5ELNS1_11target_archE942ELNS1_3gpuE9ELNS1_3repE0EEENS1_30default_config_static_selectorELNS0_4arch9wavefront6targetE1EEEvT1_,@function
_ZN7rocprim17ROCPRIM_400000_NS6detail17trampoline_kernelINS0_14default_configENS1_27scan_by_key_config_selectorIiiEEZZNS1_16scan_by_key_implILNS1_25lookback_scan_determinismE0ELb0ES3_N6thrust23THRUST_200600_302600_NS6detail15normal_iteratorINS9_10device_ptrIiEEEESE_SE_iNS9_4plusIvEENS9_8equal_toIvEEiEE10hipError_tPvRmT2_T3_T4_T5_mT6_T7_P12ihipStream_tbENKUlT_T0_E_clISt17integral_constantIbLb0EESY_IbLb1EEEEDaSU_SV_EUlSU_E_NS1_11comp_targetILNS1_3genE5ELNS1_11target_archE942ELNS1_3gpuE9ELNS1_3repE0EEENS1_30default_config_static_selectorELNS0_4arch9wavefront6targetE1EEEvT1_: ; @_ZN7rocprim17ROCPRIM_400000_NS6detail17trampoline_kernelINS0_14default_configENS1_27scan_by_key_config_selectorIiiEEZZNS1_16scan_by_key_implILNS1_25lookback_scan_determinismE0ELb0ES3_N6thrust23THRUST_200600_302600_NS6detail15normal_iteratorINS9_10device_ptrIiEEEESE_SE_iNS9_4plusIvEENS9_8equal_toIvEEiEE10hipError_tPvRmT2_T3_T4_T5_mT6_T7_P12ihipStream_tbENKUlT_T0_E_clISt17integral_constantIbLb0EESY_IbLb1EEEEDaSU_SV_EUlSU_E_NS1_11comp_targetILNS1_3genE5ELNS1_11target_archE942ELNS1_3gpuE9ELNS1_3repE0EEENS1_30default_config_static_selectorELNS0_4arch9wavefront6targetE1EEEvT1_
; %bb.0:
	.section	.rodata,"a",@progbits
	.p2align	6, 0x0
	.amdhsa_kernel _ZN7rocprim17ROCPRIM_400000_NS6detail17trampoline_kernelINS0_14default_configENS1_27scan_by_key_config_selectorIiiEEZZNS1_16scan_by_key_implILNS1_25lookback_scan_determinismE0ELb0ES3_N6thrust23THRUST_200600_302600_NS6detail15normal_iteratorINS9_10device_ptrIiEEEESE_SE_iNS9_4plusIvEENS9_8equal_toIvEEiEE10hipError_tPvRmT2_T3_T4_T5_mT6_T7_P12ihipStream_tbENKUlT_T0_E_clISt17integral_constantIbLb0EESY_IbLb1EEEEDaSU_SV_EUlSU_E_NS1_11comp_targetILNS1_3genE5ELNS1_11target_archE942ELNS1_3gpuE9ELNS1_3repE0EEENS1_30default_config_static_selectorELNS0_4arch9wavefront6targetE1EEEvT1_
		.amdhsa_group_segment_fixed_size 0
		.amdhsa_private_segment_fixed_size 0
		.amdhsa_kernarg_size 112
		.amdhsa_user_sgpr_count 6
		.amdhsa_user_sgpr_private_segment_buffer 1
		.amdhsa_user_sgpr_dispatch_ptr 0
		.amdhsa_user_sgpr_queue_ptr 0
		.amdhsa_user_sgpr_kernarg_segment_ptr 1
		.amdhsa_user_sgpr_dispatch_id 0
		.amdhsa_user_sgpr_flat_scratch_init 0
		.amdhsa_user_sgpr_kernarg_preload_length 0
		.amdhsa_user_sgpr_kernarg_preload_offset 0
		.amdhsa_user_sgpr_private_segment_size 0
		.amdhsa_uses_dynamic_stack 0
		.amdhsa_system_sgpr_private_segment_wavefront_offset 0
		.amdhsa_system_sgpr_workgroup_id_x 1
		.amdhsa_system_sgpr_workgroup_id_y 0
		.amdhsa_system_sgpr_workgroup_id_z 0
		.amdhsa_system_sgpr_workgroup_info 0
		.amdhsa_system_vgpr_workitem_id 0
		.amdhsa_next_free_vgpr 1
		.amdhsa_next_free_sgpr 0
		.amdhsa_accum_offset 4
		.amdhsa_reserve_vcc 0
		.amdhsa_reserve_flat_scratch 0
		.amdhsa_float_round_mode_32 0
		.amdhsa_float_round_mode_16_64 0
		.amdhsa_float_denorm_mode_32 3
		.amdhsa_float_denorm_mode_16_64 3
		.amdhsa_dx10_clamp 1
		.amdhsa_ieee_mode 1
		.amdhsa_fp16_overflow 0
		.amdhsa_tg_split 0
		.amdhsa_exception_fp_ieee_invalid_op 0
		.amdhsa_exception_fp_denorm_src 0
		.amdhsa_exception_fp_ieee_div_zero 0
		.amdhsa_exception_fp_ieee_overflow 0
		.amdhsa_exception_fp_ieee_underflow 0
		.amdhsa_exception_fp_ieee_inexact 0
		.amdhsa_exception_int_div_zero 0
	.end_amdhsa_kernel
	.section	.text._ZN7rocprim17ROCPRIM_400000_NS6detail17trampoline_kernelINS0_14default_configENS1_27scan_by_key_config_selectorIiiEEZZNS1_16scan_by_key_implILNS1_25lookback_scan_determinismE0ELb0ES3_N6thrust23THRUST_200600_302600_NS6detail15normal_iteratorINS9_10device_ptrIiEEEESE_SE_iNS9_4plusIvEENS9_8equal_toIvEEiEE10hipError_tPvRmT2_T3_T4_T5_mT6_T7_P12ihipStream_tbENKUlT_T0_E_clISt17integral_constantIbLb0EESY_IbLb1EEEEDaSU_SV_EUlSU_E_NS1_11comp_targetILNS1_3genE5ELNS1_11target_archE942ELNS1_3gpuE9ELNS1_3repE0EEENS1_30default_config_static_selectorELNS0_4arch9wavefront6targetE1EEEvT1_,"axG",@progbits,_ZN7rocprim17ROCPRIM_400000_NS6detail17trampoline_kernelINS0_14default_configENS1_27scan_by_key_config_selectorIiiEEZZNS1_16scan_by_key_implILNS1_25lookback_scan_determinismE0ELb0ES3_N6thrust23THRUST_200600_302600_NS6detail15normal_iteratorINS9_10device_ptrIiEEEESE_SE_iNS9_4plusIvEENS9_8equal_toIvEEiEE10hipError_tPvRmT2_T3_T4_T5_mT6_T7_P12ihipStream_tbENKUlT_T0_E_clISt17integral_constantIbLb0EESY_IbLb1EEEEDaSU_SV_EUlSU_E_NS1_11comp_targetILNS1_3genE5ELNS1_11target_archE942ELNS1_3gpuE9ELNS1_3repE0EEENS1_30default_config_static_selectorELNS0_4arch9wavefront6targetE1EEEvT1_,comdat
.Lfunc_end157:
	.size	_ZN7rocprim17ROCPRIM_400000_NS6detail17trampoline_kernelINS0_14default_configENS1_27scan_by_key_config_selectorIiiEEZZNS1_16scan_by_key_implILNS1_25lookback_scan_determinismE0ELb0ES3_N6thrust23THRUST_200600_302600_NS6detail15normal_iteratorINS9_10device_ptrIiEEEESE_SE_iNS9_4plusIvEENS9_8equal_toIvEEiEE10hipError_tPvRmT2_T3_T4_T5_mT6_T7_P12ihipStream_tbENKUlT_T0_E_clISt17integral_constantIbLb0EESY_IbLb1EEEEDaSU_SV_EUlSU_E_NS1_11comp_targetILNS1_3genE5ELNS1_11target_archE942ELNS1_3gpuE9ELNS1_3repE0EEENS1_30default_config_static_selectorELNS0_4arch9wavefront6targetE1EEEvT1_, .Lfunc_end157-_ZN7rocprim17ROCPRIM_400000_NS6detail17trampoline_kernelINS0_14default_configENS1_27scan_by_key_config_selectorIiiEEZZNS1_16scan_by_key_implILNS1_25lookback_scan_determinismE0ELb0ES3_N6thrust23THRUST_200600_302600_NS6detail15normal_iteratorINS9_10device_ptrIiEEEESE_SE_iNS9_4plusIvEENS9_8equal_toIvEEiEE10hipError_tPvRmT2_T3_T4_T5_mT6_T7_P12ihipStream_tbENKUlT_T0_E_clISt17integral_constantIbLb0EESY_IbLb1EEEEDaSU_SV_EUlSU_E_NS1_11comp_targetILNS1_3genE5ELNS1_11target_archE942ELNS1_3gpuE9ELNS1_3repE0EEENS1_30default_config_static_selectorELNS0_4arch9wavefront6targetE1EEEvT1_
                                        ; -- End function
	.section	.AMDGPU.csdata,"",@progbits
; Kernel info:
; codeLenInByte = 0
; NumSgprs: 4
; NumVgprs: 0
; NumAgprs: 0
; TotalNumVgprs: 0
; ScratchSize: 0
; MemoryBound: 0
; FloatMode: 240
; IeeeMode: 1
; LDSByteSize: 0 bytes/workgroup (compile time only)
; SGPRBlocks: 0
; VGPRBlocks: 0
; NumSGPRsForWavesPerEU: 4
; NumVGPRsForWavesPerEU: 1
; AccumOffset: 4
; Occupancy: 8
; WaveLimiterHint : 0
; COMPUTE_PGM_RSRC2:SCRATCH_EN: 0
; COMPUTE_PGM_RSRC2:USER_SGPR: 6
; COMPUTE_PGM_RSRC2:TRAP_HANDLER: 0
; COMPUTE_PGM_RSRC2:TGID_X_EN: 1
; COMPUTE_PGM_RSRC2:TGID_Y_EN: 0
; COMPUTE_PGM_RSRC2:TGID_Z_EN: 0
; COMPUTE_PGM_RSRC2:TIDIG_COMP_CNT: 0
; COMPUTE_PGM_RSRC3_GFX90A:ACCUM_OFFSET: 0
; COMPUTE_PGM_RSRC3_GFX90A:TG_SPLIT: 0
	.section	.text._ZN7rocprim17ROCPRIM_400000_NS6detail17trampoline_kernelINS0_14default_configENS1_27scan_by_key_config_selectorIiiEEZZNS1_16scan_by_key_implILNS1_25lookback_scan_determinismE0ELb0ES3_N6thrust23THRUST_200600_302600_NS6detail15normal_iteratorINS9_10device_ptrIiEEEESE_SE_iNS9_4plusIvEENS9_8equal_toIvEEiEE10hipError_tPvRmT2_T3_T4_T5_mT6_T7_P12ihipStream_tbENKUlT_T0_E_clISt17integral_constantIbLb0EESY_IbLb1EEEEDaSU_SV_EUlSU_E_NS1_11comp_targetILNS1_3genE4ELNS1_11target_archE910ELNS1_3gpuE8ELNS1_3repE0EEENS1_30default_config_static_selectorELNS0_4arch9wavefront6targetE1EEEvT1_,"axG",@progbits,_ZN7rocprim17ROCPRIM_400000_NS6detail17trampoline_kernelINS0_14default_configENS1_27scan_by_key_config_selectorIiiEEZZNS1_16scan_by_key_implILNS1_25lookback_scan_determinismE0ELb0ES3_N6thrust23THRUST_200600_302600_NS6detail15normal_iteratorINS9_10device_ptrIiEEEESE_SE_iNS9_4plusIvEENS9_8equal_toIvEEiEE10hipError_tPvRmT2_T3_T4_T5_mT6_T7_P12ihipStream_tbENKUlT_T0_E_clISt17integral_constantIbLb0EESY_IbLb1EEEEDaSU_SV_EUlSU_E_NS1_11comp_targetILNS1_3genE4ELNS1_11target_archE910ELNS1_3gpuE8ELNS1_3repE0EEENS1_30default_config_static_selectorELNS0_4arch9wavefront6targetE1EEEvT1_,comdat
	.protected	_ZN7rocprim17ROCPRIM_400000_NS6detail17trampoline_kernelINS0_14default_configENS1_27scan_by_key_config_selectorIiiEEZZNS1_16scan_by_key_implILNS1_25lookback_scan_determinismE0ELb0ES3_N6thrust23THRUST_200600_302600_NS6detail15normal_iteratorINS9_10device_ptrIiEEEESE_SE_iNS9_4plusIvEENS9_8equal_toIvEEiEE10hipError_tPvRmT2_T3_T4_T5_mT6_T7_P12ihipStream_tbENKUlT_T0_E_clISt17integral_constantIbLb0EESY_IbLb1EEEEDaSU_SV_EUlSU_E_NS1_11comp_targetILNS1_3genE4ELNS1_11target_archE910ELNS1_3gpuE8ELNS1_3repE0EEENS1_30default_config_static_selectorELNS0_4arch9wavefront6targetE1EEEvT1_ ; -- Begin function _ZN7rocprim17ROCPRIM_400000_NS6detail17trampoline_kernelINS0_14default_configENS1_27scan_by_key_config_selectorIiiEEZZNS1_16scan_by_key_implILNS1_25lookback_scan_determinismE0ELb0ES3_N6thrust23THRUST_200600_302600_NS6detail15normal_iteratorINS9_10device_ptrIiEEEESE_SE_iNS9_4plusIvEENS9_8equal_toIvEEiEE10hipError_tPvRmT2_T3_T4_T5_mT6_T7_P12ihipStream_tbENKUlT_T0_E_clISt17integral_constantIbLb0EESY_IbLb1EEEEDaSU_SV_EUlSU_E_NS1_11comp_targetILNS1_3genE4ELNS1_11target_archE910ELNS1_3gpuE8ELNS1_3repE0EEENS1_30default_config_static_selectorELNS0_4arch9wavefront6targetE1EEEvT1_
	.globl	_ZN7rocprim17ROCPRIM_400000_NS6detail17trampoline_kernelINS0_14default_configENS1_27scan_by_key_config_selectorIiiEEZZNS1_16scan_by_key_implILNS1_25lookback_scan_determinismE0ELb0ES3_N6thrust23THRUST_200600_302600_NS6detail15normal_iteratorINS9_10device_ptrIiEEEESE_SE_iNS9_4plusIvEENS9_8equal_toIvEEiEE10hipError_tPvRmT2_T3_T4_T5_mT6_T7_P12ihipStream_tbENKUlT_T0_E_clISt17integral_constantIbLb0EESY_IbLb1EEEEDaSU_SV_EUlSU_E_NS1_11comp_targetILNS1_3genE4ELNS1_11target_archE910ELNS1_3gpuE8ELNS1_3repE0EEENS1_30default_config_static_selectorELNS0_4arch9wavefront6targetE1EEEvT1_
	.p2align	8
	.type	_ZN7rocprim17ROCPRIM_400000_NS6detail17trampoline_kernelINS0_14default_configENS1_27scan_by_key_config_selectorIiiEEZZNS1_16scan_by_key_implILNS1_25lookback_scan_determinismE0ELb0ES3_N6thrust23THRUST_200600_302600_NS6detail15normal_iteratorINS9_10device_ptrIiEEEESE_SE_iNS9_4plusIvEENS9_8equal_toIvEEiEE10hipError_tPvRmT2_T3_T4_T5_mT6_T7_P12ihipStream_tbENKUlT_T0_E_clISt17integral_constantIbLb0EESY_IbLb1EEEEDaSU_SV_EUlSU_E_NS1_11comp_targetILNS1_3genE4ELNS1_11target_archE910ELNS1_3gpuE8ELNS1_3repE0EEENS1_30default_config_static_selectorELNS0_4arch9wavefront6targetE1EEEvT1_,@function
_ZN7rocprim17ROCPRIM_400000_NS6detail17trampoline_kernelINS0_14default_configENS1_27scan_by_key_config_selectorIiiEEZZNS1_16scan_by_key_implILNS1_25lookback_scan_determinismE0ELb0ES3_N6thrust23THRUST_200600_302600_NS6detail15normal_iteratorINS9_10device_ptrIiEEEESE_SE_iNS9_4plusIvEENS9_8equal_toIvEEiEE10hipError_tPvRmT2_T3_T4_T5_mT6_T7_P12ihipStream_tbENKUlT_T0_E_clISt17integral_constantIbLb0EESY_IbLb1EEEEDaSU_SV_EUlSU_E_NS1_11comp_targetILNS1_3genE4ELNS1_11target_archE910ELNS1_3gpuE8ELNS1_3repE0EEENS1_30default_config_static_selectorELNS0_4arch9wavefront6targetE1EEEvT1_: ; @_ZN7rocprim17ROCPRIM_400000_NS6detail17trampoline_kernelINS0_14default_configENS1_27scan_by_key_config_selectorIiiEEZZNS1_16scan_by_key_implILNS1_25lookback_scan_determinismE0ELb0ES3_N6thrust23THRUST_200600_302600_NS6detail15normal_iteratorINS9_10device_ptrIiEEEESE_SE_iNS9_4plusIvEENS9_8equal_toIvEEiEE10hipError_tPvRmT2_T3_T4_T5_mT6_T7_P12ihipStream_tbENKUlT_T0_E_clISt17integral_constantIbLb0EESY_IbLb1EEEEDaSU_SV_EUlSU_E_NS1_11comp_targetILNS1_3genE4ELNS1_11target_archE910ELNS1_3gpuE8ELNS1_3repE0EEENS1_30default_config_static_selectorELNS0_4arch9wavefront6targetE1EEEvT1_
; %bb.0:
	s_load_dwordx4 s[56:59], s[4:5], 0x28
	s_load_dwordx2 s[60:61], s[4:5], 0x38
	v_cmp_ne_u32_e64 s[36:37], 0, v0
	v_cmp_eq_u32_e64 s[0:1], 0, v0
	s_and_saveexec_b64 s[2:3], s[0:1]
	s_cbranch_execz .LBB158_4
; %bb.1:
	s_mov_b64 s[8:9], exec
	v_mbcnt_lo_u32_b32 v1, s8, 0
	v_mbcnt_hi_u32_b32 v1, s9, v1
	v_cmp_eq_u32_e32 vcc, 0, v1
                                        ; implicit-def: $vgpr2
	s_and_saveexec_b64 s[6:7], vcc
	s_cbranch_execz .LBB158_3
; %bb.2:
	s_load_dwordx2 s[10:11], s[4:5], 0x68
	s_bcnt1_i32_b64 s8, s[8:9]
	v_mov_b32_e32 v2, 0
	v_mov_b32_e32 v3, s8
	s_waitcnt lgkmcnt(0)
	global_atomic_add v2, v2, v3, s[10:11] glc
.LBB158_3:
	s_or_b64 exec, exec, s[6:7]
	s_waitcnt vmcnt(0)
	v_readfirstlane_b32 s6, v2
	v_add_u32_e32 v1, s6, v1
	v_mov_b32_e32 v2, 0
	ds_write_b32 v2, v1
.LBB158_4:
	s_or_b64 exec, exec, s[2:3]
	s_load_dwordx8 s[40:47], s[4:5], 0x0
	s_load_dword s2, s[4:5], 0x40
	s_load_dwordx8 s[48:55], s[4:5], 0x48
	v_mov_b32_e32 v1, 0
	s_waitcnt lgkmcnt(0)
	s_barrier
	ds_read_b32 v1, v1
	s_lshl_b64 s[38:39], s[42:43], 2
	s_add_u32 s4, s40, s38
	s_addc_u32 s5, s41, s39
	s_add_u32 s6, s44, s38
	s_mul_i32 s3, s61, s2
	s_mul_hi_u32 s8, s60, s2
	s_addc_u32 s7, s45, s39
	s_add_i32 s8, s8, s3
	s_waitcnt lgkmcnt(0)
	v_readfirstlane_b32 s59, v1
	s_mul_i32 s9, s60, s2
	s_cmp_lg_u64 s[52:53], 0
	s_mov_b32 s3, 0
	s_mul_i32 s2, s59, 0xe00
	s_cselect_b64 s[44:45], -1, 0
	s_lshl_b64 s[40:41], s[2:3], 2
	s_add_u32 s42, s4, s40
	s_addc_u32 s43, s5, s41
	s_add_u32 s62, s6, s40
	s_addc_u32 s63, s7, s41
	;; [unrolled: 2-line block ×3, first 2 shown]
	s_add_u32 s4, s48, -1
	s_addc_u32 s5, s49, -1
	v_pk_mov_b32 v[2:3], s[4:5], s[4:5] op_sel:[0,1]
	v_cmp_ge_u64_e64 s[2:3], s[52:53], v[2:3]
	s_mov_b64 s[18:19], 0
	s_mov_b64 s[12:13], -1
	s_and_b64 vcc, exec, s[2:3]
	s_mul_i32 s33, s4, 0xfffff200
	s_barrier
	s_barrier
	s_cbranch_vccz .LBB158_81
; %bb.5:
	v_pk_mov_b32 v[2:3], s[42:43], s[42:43] op_sel:[0,1]
	flat_load_dword v1, v[2:3]
	s_add_i32 s64, s33, s58
	v_cmp_gt_u32_e64 s[6:7], s64, v0
	s_waitcnt vmcnt(0) lgkmcnt(0)
	v_mov_b32_e32 v13, v1
	s_and_saveexec_b64 s[4:5], s[6:7]
	s_cbranch_execz .LBB158_7
; %bb.6:
	v_lshlrev_b32_e32 v2, 2, v0
	v_mov_b32_e32 v3, s43
	v_add_co_u32_e32 v2, vcc, s42, v2
	v_addc_co_u32_e32 v3, vcc, 0, v3, vcc
	flat_load_dword v13, v[2:3]
.LBB158_7:
	s_or_b64 exec, exec, s[4:5]
	v_or_b32_e32 v2, 0x100, v0
	v_cmp_gt_u32_e64 s[8:9], s64, v2
	v_mov_b32_e32 v14, v1
	s_and_saveexec_b64 s[4:5], s[8:9]
	s_cbranch_execz .LBB158_9
; %bb.8:
	v_lshlrev_b32_e32 v2, 2, v0
	v_mov_b32_e32 v3, s43
	v_add_co_u32_e32 v2, vcc, s42, v2
	v_addc_co_u32_e32 v3, vcc, 0, v3, vcc
	flat_load_dword v14, v[2:3] offset:1024
.LBB158_9:
	s_or_b64 exec, exec, s[4:5]
	v_or_b32_e32 v2, 0x200, v0
	v_cmp_gt_u32_e64 s[10:11], s64, v2
	v_mov_b32_e32 v15, v1
	s_and_saveexec_b64 s[4:5], s[10:11]
	s_cbranch_execz .LBB158_11
; %bb.10:
	v_lshlrev_b32_e32 v2, 2, v0
	v_mov_b32_e32 v3, s43
	v_add_co_u32_e32 v2, vcc, s42, v2
	v_addc_co_u32_e32 v3, vcc, 0, v3, vcc
	flat_load_dword v15, v[2:3] offset:2048
.LBB158_11:
	;; [unrolled: 13-line block ×3, first 2 shown]
	s_or_b64 exec, exec, s[4:5]
	v_or_b32_e32 v2, 0x400, v0
	v_cmp_gt_u32_e64 s[14:15], s64, v2
	v_lshlrev_b32_e32 v2, 2, v2
	v_mov_b32_e32 v17, v1
	s_and_saveexec_b64 s[4:5], s[14:15]
	s_cbranch_execz .LBB158_15
; %bb.14:
	v_mov_b32_e32 v3, s43
	v_add_co_u32_e32 v4, vcc, s42, v2
	v_addc_co_u32_e32 v5, vcc, 0, v3, vcc
	flat_load_dword v17, v[4:5]
.LBB158_15:
	s_or_b64 exec, exec, s[4:5]
	v_or_b32_e32 v3, 0x500, v0
	v_cmp_gt_u32_e64 s[16:17], s64, v3
	v_lshlrev_b32_e32 v3, 2, v3
	v_mov_b32_e32 v18, v1
	s_and_saveexec_b64 s[4:5], s[16:17]
	s_cbranch_execz .LBB158_17
; %bb.16:
	v_mov_b32_e32 v5, s43
	v_add_co_u32_e32 v4, vcc, s42, v3
	v_addc_co_u32_e32 v5, vcc, 0, v5, vcc
	flat_load_dword v18, v[4:5]
.LBB158_17:
	;; [unrolled: 13-line block ×9, first 2 shown]
	s_or_b64 exec, exec, s[4:5]
	v_or_b32_e32 v11, 0xd00, v0
	v_cmp_gt_u32_e64 s[34:35], s64, v11
	v_lshlrev_b32_e32 v11, 2, v11
	s_and_saveexec_b64 s[4:5], s[34:35]
	s_cbranch_execz .LBB158_33
; %bb.32:
	v_mov_b32_e32 v1, s43
	v_add_co_u32_e32 v26, vcc, s42, v11
	v_addc_co_u32_e32 v27, vcc, 0, v1, vcc
	flat_load_dword v1, v[26:27]
.LBB158_33:
	s_or_b64 exec, exec, s[4:5]
	v_lshlrev_b32_e32 v12, 2, v0
	s_waitcnt vmcnt(0) lgkmcnt(0)
	ds_write2st64_b32 v12, v13, v14 offset1:4
	ds_write2st64_b32 v12, v15, v16 offset0:8 offset1:12
	ds_write2st64_b32 v12, v17, v18 offset0:16 offset1:20
	;; [unrolled: 1-line block ×6, first 2 shown]
	v_mad_u32_u24 v1, v0, 52, v12
	s_waitcnt lgkmcnt(0)
	s_barrier
	ds_read2_b64 v[34:37], v1 offset1:1
	ds_read2_b64 v[30:33], v1 offset0:2 offset1:3
	ds_read2_b64 v[26:29], v1 offset0:4 offset1:5
	ds_read_b64 v[40:41], v1 offset:48
	s_cmp_eq_u64 s[52:53], 0
	s_mov_b64 s[4:5], s[42:43]
	s_cbranch_scc1 .LBB158_37
; %bb.34:
	s_andn2_b64 vcc, exec, s[44:45]
	s_cbranch_vccnz .LBB158_183
; %bb.35:
	s_lshl_b64 s[4:5], s[52:53], 2
	s_add_u32 s4, s54, s4
	s_addc_u32 s5, s55, s5
	s_add_u32 s4, s4, -4
	s_addc_u32 s5, s5, -1
	s_cbranch_execnz .LBB158_37
.LBB158_36:
	s_add_u32 s4, s42, -4
	s_addc_u32 s5, s43, -1
.LBB158_37:
	v_pk_mov_b32 v[14:15], s[4:5], s[4:5] op_sel:[0,1]
	flat_load_dword v44, v[14:15]
	s_movk_i32 s4, 0xffcc
	v_mad_i32_i24 v13, v0, s4, v1
	s_waitcnt lgkmcnt(0)
	ds_write_b32 v13, v41 offset:14336
	s_waitcnt lgkmcnt(0)
	s_barrier
	s_and_saveexec_b64 s[4:5], s[36:37]
	s_cbranch_execz .LBB158_39
; %bb.38:
	v_mul_i32_i24_e32 v13, 0xffffffcc, v0
	v_add_u32_e32 v13, v1, v13
	s_waitcnt vmcnt(0)
	ds_read_b32 v44, v13 offset:14332
.LBB158_39:
	s_or_b64 exec, exec, s[4:5]
	s_waitcnt lgkmcnt(0)
	s_barrier
	s_waitcnt lgkmcnt(0)
                                        ; implicit-def: $vgpr13
	s_and_saveexec_b64 s[4:5], s[6:7]
	s_cbranch_execnz .LBB158_170
; %bb.40:
	s_or_b64 exec, exec, s[4:5]
                                        ; implicit-def: $vgpr14
	s_and_saveexec_b64 s[4:5], s[8:9]
	s_cbranch_execnz .LBB158_171
.LBB158_41:
	s_or_b64 exec, exec, s[4:5]
                                        ; implicit-def: $vgpr15
	s_and_saveexec_b64 s[4:5], s[10:11]
	s_cbranch_execnz .LBB158_172
.LBB158_42:
	s_or_b64 exec, exec, s[4:5]
                                        ; implicit-def: $vgpr16
	s_and_saveexec_b64 s[4:5], s[12:13]
	s_cbranch_execnz .LBB158_173
.LBB158_43:
	s_or_b64 exec, exec, s[4:5]
                                        ; implicit-def: $vgpr17
	s_and_saveexec_b64 s[4:5], s[14:15]
	s_cbranch_execnz .LBB158_174
.LBB158_44:
	s_or_b64 exec, exec, s[4:5]
                                        ; implicit-def: $vgpr2
	s_and_saveexec_b64 s[4:5], s[16:17]
	s_cbranch_execnz .LBB158_175
.LBB158_45:
	s_or_b64 exec, exec, s[4:5]
                                        ; implicit-def: $vgpr3
	s_and_saveexec_b64 s[4:5], s[18:19]
	s_cbranch_execnz .LBB158_176
.LBB158_46:
	s_or_b64 exec, exec, s[4:5]
                                        ; implicit-def: $vgpr4
	s_and_saveexec_b64 s[4:5], s[20:21]
	s_cbranch_execnz .LBB158_177
.LBB158_47:
	s_or_b64 exec, exec, s[4:5]
                                        ; implicit-def: $vgpr5
	s_and_saveexec_b64 s[4:5], s[22:23]
	s_cbranch_execnz .LBB158_178
.LBB158_48:
	s_or_b64 exec, exec, s[4:5]
                                        ; implicit-def: $vgpr6
	s_and_saveexec_b64 s[4:5], s[24:25]
	s_cbranch_execnz .LBB158_179
.LBB158_49:
	s_or_b64 exec, exec, s[4:5]
                                        ; implicit-def: $vgpr7
	s_and_saveexec_b64 s[4:5], s[26:27]
	s_cbranch_execnz .LBB158_180
.LBB158_50:
	s_or_b64 exec, exec, s[4:5]
                                        ; implicit-def: $vgpr8
	s_and_saveexec_b64 s[4:5], s[28:29]
	s_cbranch_execnz .LBB158_181
.LBB158_51:
	s_or_b64 exec, exec, s[4:5]
                                        ; implicit-def: $vgpr9
	s_and_saveexec_b64 s[4:5], s[30:31]
	s_cbranch_execnz .LBB158_182
.LBB158_52:
	s_or_b64 exec, exec, s[4:5]
                                        ; implicit-def: $vgpr10
	s_and_saveexec_b64 s[4:5], s[34:35]
	s_cbranch_execz .LBB158_54
.LBB158_53:
	v_mov_b32_e32 v18, s63
	v_add_co_u32_e32 v10, vcc, s62, v11
	v_addc_co_u32_e32 v11, vcc, 0, v18, vcc
	flat_load_dword v10, v[10:11]
.LBB158_54:
	s_or_b64 exec, exec, s[4:5]
	s_mov_b32 s4, 0
	s_mov_b32 s5, s4
	s_waitcnt vmcnt(0) lgkmcnt(0)
	ds_write2st64_b32 v12, v13, v14 offset1:4
	ds_write2st64_b32 v12, v15, v16 offset0:8 offset1:12
	ds_write2st64_b32 v12, v17, v2 offset0:16 offset1:20
	;; [unrolled: 1-line block ×6, first 2 shown]
	s_mov_b32 s6, s4
	s_mov_b32 s7, s4
	;; [unrolled: 1-line block ×6, first 2 shown]
	v_pk_mov_b32 v[2:3], s[4:5], s[4:5] op_sel:[0,1]
	v_pk_mov_b32 v[8:9], s[10:11], s[10:11] op_sel:[0,1]
	v_mul_u32_u24_e32 v42, 14, v0
	v_pk_mov_b32 v[4:5], s[6:7], s[6:7] op_sel:[0,1]
	v_pk_mov_b32 v[6:7], s[8:9], s[8:9] op_sel:[0,1]
	;; [unrolled: 1-line block ×4, first 2 shown]
	v_cmp_gt_u32_e32 vcc, s64, v42
	s_mov_b64 s[12:13], 0
	v_pk_mov_b32 v[38:39], 0, 0
	s_mov_b64 s[18:19], 0
	v_pk_mov_b32 v[14:15], v[6:7], v[6:7] op_sel:[0,1]
	v_pk_mov_b32 v[12:13], v[4:5], v[4:5] op_sel:[0,1]
	;; [unrolled: 1-line block ×6, first 2 shown]
	s_waitcnt lgkmcnt(0)
	s_barrier
	s_waitcnt lgkmcnt(0)
                                        ; implicit-def: $sgpr16_sgpr17
                                        ; implicit-def: $vgpr43
	s_and_saveexec_b64 s[14:15], vcc
	s_cbranch_execz .LBB158_80
; %bb.55:
	v_or_b32_e32 v2, 1, v42
	ds_read_b32 v38, v1
	v_cmp_ne_u32_e32 vcc, v44, v34
	v_cndmask_b32_e64 v39, 0, 1, vcc
	v_cmp_gt_u32_e32 vcc, s64, v2
	v_pk_mov_b32 v[2:3], s[4:5], s[4:5] op_sel:[0,1]
	v_pk_mov_b32 v[8:9], s[10:11], s[10:11] op_sel:[0,1]
	;; [unrolled: 1-line block ×12, first 2 shown]
                                        ; implicit-def: $sgpr4_sgpr5
                                        ; implicit-def: $vgpr43
	s_and_saveexec_b64 s[16:17], vcc
	s_cbranch_execz .LBB158_79
; %bb.56:
	ds_read2_b32 v[44:45], v1 offset0:1 offset1:2
	s_mov_b32 s4, 0
	s_mov_b32 s10, s4
	;; [unrolled: 1-line block ×8, first 2 shown]
	v_pk_mov_b32 v[16:17], s[10:11], s[10:11] op_sel:[0,1]
	v_add_u32_e32 v2, 2, v42
	v_cmp_ne_u32_e32 vcc, v34, v35
	v_mov_b32_e32 v6, 0
	v_pk_mov_b32 v[14:15], s[8:9], s[8:9] op_sel:[0,1]
	v_pk_mov_b32 v[12:13], s[6:7], s[6:7] op_sel:[0,1]
	;; [unrolled: 1-line block ×4, first 2 shown]
	v_cndmask_b32_e64 v3, 0, 1, vcc
	v_cmp_gt_u32_e32 vcc, s64, v2
	s_waitcnt lgkmcnt(0)
	v_mov_b32_e32 v2, v44
	v_mov_b32_e32 v4, v6
	;; [unrolled: 1-line block ×6, first 2 shown]
	s_mov_b64 s[20:21], 0
	v_pk_mov_b32 v[22:23], v[14:15], v[14:15] op_sel:[0,1]
	v_pk_mov_b32 v[20:21], v[12:13], v[12:13] op_sel:[0,1]
	;; [unrolled: 1-line block ×3, first 2 shown]
                                        ; implicit-def: $sgpr24_sgpr25
                                        ; implicit-def: $vgpr43
	s_and_saveexec_b64 s[18:19], vcc
	s_cbranch_execz .LBB158_78
; %bb.57:
	v_pk_mov_b32 v[16:17], s[10:11], s[10:11] op_sel:[0,1]
	v_add_u32_e32 v2, 3, v42
	v_cmp_ne_u32_e32 vcc, v35, v36
	v_pk_mov_b32 v[14:15], s[8:9], s[8:9] op_sel:[0,1]
	v_pk_mov_b32 v[12:13], s[6:7], s[6:7] op_sel:[0,1]
	;; [unrolled: 1-line block ×4, first 2 shown]
	v_cndmask_b32_e64 v5, 0, 1, vcc
	v_cmp_gt_u32_e32 vcc, s64, v2
	v_mov_b32_e32 v2, v44
	v_mov_b32_e32 v4, v45
	v_mov_b32_e32 v7, v6
	v_mov_b32_e32 v8, v6
	v_mov_b32_e32 v9, v6
	s_mov_b64 s[22:23], 0
	v_pk_mov_b32 v[22:23], v[14:15], v[14:15] op_sel:[0,1]
	v_pk_mov_b32 v[20:21], v[12:13], v[12:13] op_sel:[0,1]
	;; [unrolled: 1-line block ×3, first 2 shown]
                                        ; implicit-def: $sgpr4_sgpr5
                                        ; implicit-def: $vgpr43
	s_and_saveexec_b64 s[20:21], vcc
	s_cbranch_execz .LBB158_77
; %bb.58:
	ds_read2_b32 v[34:35], v1 offset0:3 offset1:4
	s_mov_b32 s4, 0
	s_mov_b32 s10, s4
	;; [unrolled: 1-line block ×8, first 2 shown]
	v_pk_mov_b32 v[16:17], s[10:11], s[10:11] op_sel:[0,1]
	v_add_u32_e32 v6, 4, v42
	v_cmp_ne_u32_e32 vcc, v36, v37
	v_pk_mov_b32 v[14:15], s[8:9], s[8:9] op_sel:[0,1]
	v_pk_mov_b32 v[12:13], s[6:7], s[6:7] op_sel:[0,1]
	;; [unrolled: 1-line block ×4, first 2 shown]
	v_cndmask_b32_e64 v7, 0, 1, vcc
	v_cmp_gt_u32_e32 vcc, s64, v6
	s_waitcnt lgkmcnt(0)
	v_mov_b32_e32 v6, v34
	v_mov_b32_e32 v8, s4
	;; [unrolled: 1-line block ×3, first 2 shown]
	s_mov_b64 s[24:25], 0
	v_pk_mov_b32 v[22:23], v[14:15], v[14:15] op_sel:[0,1]
	v_pk_mov_b32 v[20:21], v[12:13], v[12:13] op_sel:[0,1]
	;; [unrolled: 1-line block ×3, first 2 shown]
                                        ; implicit-def: $sgpr26_sgpr27
                                        ; implicit-def: $vgpr43
	s_and_saveexec_b64 s[22:23], vcc
	s_cbranch_execz .LBB158_76
; %bb.59:
	v_pk_mov_b32 v[16:17], s[10:11], s[10:11] op_sel:[0,1]
	v_add_u32_e32 v8, 5, v42
	v_cmp_ne_u32_e32 vcc, v37, v30
	v_pk_mov_b32 v[14:15], s[8:9], s[8:9] op_sel:[0,1]
	v_pk_mov_b32 v[12:13], s[6:7], s[6:7] op_sel:[0,1]
	v_pk_mov_b32 v[10:11], s[4:5], s[4:5] op_sel:[0,1]
	v_pk_mov_b32 v[24:25], v[16:17], v[16:17] op_sel:[0,1]
	v_cndmask_b32_e64 v9, 0, 1, vcc
	v_cmp_gt_u32_e32 vcc, s64, v8
	v_mov_b32_e32 v8, v35
	s_mov_b64 s[28:29], 0
	v_pk_mov_b32 v[22:23], v[14:15], v[14:15] op_sel:[0,1]
	v_pk_mov_b32 v[20:21], v[12:13], v[12:13] op_sel:[0,1]
	;; [unrolled: 1-line block ×3, first 2 shown]
                                        ; implicit-def: $sgpr4_sgpr5
                                        ; implicit-def: $vgpr43
	s_and_saveexec_b64 s[24:25], vcc
	s_cbranch_execz .LBB158_75
; %bb.60:
	ds_read2_b32 v[34:35], v1 offset0:5 offset1:6
	s_mov_b32 s4, 0
	s_mov_b32 s10, s4
	;; [unrolled: 1-line block ×3, first 2 shown]
	v_add_u32_e32 v10, 6, v42
	v_cmp_ne_u32_e32 vcc, v30, v31
	v_mov_b32_e32 v14, 0
	s_mov_b32 s5, s4
	s_mov_b32 s6, s4
	;; [unrolled: 1-line block ×5, first 2 shown]
	v_pk_mov_b32 v[24:25], s[10:11], s[10:11] op_sel:[0,1]
	v_cndmask_b32_e64 v11, 0, 1, vcc
	v_cmp_gt_u32_e32 vcc, s64, v10
	s_waitcnt lgkmcnt(0)
	v_mov_b32_e32 v10, v34
	v_mov_b32_e32 v12, v14
	;; [unrolled: 1-line block ×6, first 2 shown]
	v_pk_mov_b32 v[22:23], s[8:9], s[8:9] op_sel:[0,1]
	v_pk_mov_b32 v[20:21], s[6:7], s[6:7] op_sel:[0,1]
	;; [unrolled: 1-line block ×3, first 2 shown]
                                        ; implicit-def: $sgpr34_sgpr35
                                        ; implicit-def: $vgpr43
	s_and_saveexec_b64 s[26:27], vcc
	s_cbranch_execz .LBB158_74
; %bb.61:
	v_add_u32_e32 v10, 7, v42
	v_cmp_ne_u32_e32 vcc, v31, v32
	v_pk_mov_b32 v[24:25], s[10:11], s[10:11] op_sel:[0,1]
	v_cndmask_b32_e64 v13, 0, 1, vcc
	v_cmp_gt_u32_e32 vcc, s64, v10
	v_mov_b32_e32 v10, v34
	v_mov_b32_e32 v12, v35
	;; [unrolled: 1-line block ×5, first 2 shown]
	s_mov_b64 s[30:31], 0
	v_pk_mov_b32 v[22:23], s[8:9], s[8:9] op_sel:[0,1]
	v_pk_mov_b32 v[20:21], s[6:7], s[6:7] op_sel:[0,1]
	;; [unrolled: 1-line block ×3, first 2 shown]
                                        ; implicit-def: $sgpr4_sgpr5
                                        ; implicit-def: $vgpr43
	s_and_saveexec_b64 s[28:29], vcc
	s_cbranch_execz .LBB158_73
; %bb.62:
	ds_read2_b32 v[30:31], v1 offset0:7 offset1:8
	s_mov_b32 s4, 0
	s_mov_b32 s10, s4
	;; [unrolled: 1-line block ×3, first 2 shown]
	v_add_u32_e32 v14, 8, v42
	v_cmp_ne_u32_e32 vcc, v32, v33
	s_mov_b32 s5, s4
	s_mov_b32 s6, s4
	;; [unrolled: 1-line block ×5, first 2 shown]
	v_pk_mov_b32 v[24:25], s[10:11], s[10:11] op_sel:[0,1]
	v_cndmask_b32_e64 v15, 0, 1, vcc
	v_cmp_gt_u32_e32 vcc, s64, v14
	s_waitcnt lgkmcnt(0)
	v_mov_b32_e32 v14, v30
	v_mov_b32_e32 v16, s4
	v_mov_b32_e32 v17, s4
	s_mov_b64 s[34:35], 0
	v_pk_mov_b32 v[22:23], s[8:9], s[8:9] op_sel:[0,1]
	v_pk_mov_b32 v[20:21], s[6:7], s[6:7] op_sel:[0,1]
	;; [unrolled: 1-line block ×3, first 2 shown]
                                        ; implicit-def: $sgpr48_sgpr49
                                        ; implicit-def: $vgpr43
	s_and_saveexec_b64 s[30:31], vcc
	s_cbranch_execz .LBB158_72
; %bb.63:
	v_add_u32_e32 v16, 9, v42
	v_cmp_ne_u32_e32 vcc, v33, v26
	v_pk_mov_b32 v[24:25], s[10:11], s[10:11] op_sel:[0,1]
	v_cndmask_b32_e64 v17, 0, 1, vcc
	v_cmp_gt_u32_e32 vcc, s64, v16
	v_mov_b32_e32 v16, v31
	v_pk_mov_b32 v[22:23], s[8:9], s[8:9] op_sel:[0,1]
	v_pk_mov_b32 v[20:21], s[6:7], s[6:7] op_sel:[0,1]
	;; [unrolled: 1-line block ×3, first 2 shown]
                                        ; implicit-def: $sgpr8_sgpr9
                                        ; implicit-def: $vgpr43
	s_and_saveexec_b64 s[6:7], vcc
	s_cbranch_execz .LBB158_71
; %bb.64:
	ds_read2_b32 v[30:31], v1 offset0:9 offset1:10
	v_add_u32_e32 v18, 10, v42
	v_cmp_ne_u32_e32 vcc, v26, v27
	v_mov_b32_e32 v22, 0
	v_cndmask_b32_e64 v19, 0, 1, vcc
	v_cmp_gt_u32_e32 vcc, s64, v18
	s_waitcnt lgkmcnt(0)
	v_mov_b32_e32 v18, v30
	v_mov_b32_e32 v20, v22
	;; [unrolled: 1-line block ×6, first 2 shown]
	s_mov_b64 s[4:5], 0
                                        ; implicit-def: $sgpr10_sgpr11
                                        ; implicit-def: $vgpr43
	s_and_saveexec_b64 s[8:9], vcc
	s_cbranch_execz .LBB158_70
; %bb.65:
	v_add_u32_e32 v18, 11, v42
	v_cmp_ne_u32_e32 vcc, v27, v28
	v_cndmask_b32_e64 v21, 0, 1, vcc
	v_cmp_gt_u32_e32 vcc, s64, v18
	s_mov_b32 s48, 0
	v_mov_b32_e32 v18, v30
	v_mov_b32_e32 v20, v31
	;; [unrolled: 1-line block ×5, first 2 shown]
                                        ; implicit-def: $sgpr34_sgpr35
                                        ; implicit-def: $vgpr43
	s_and_saveexec_b64 s[10:11], vcc
	s_cbranch_execz .LBB158_69
; %bb.66:
	ds_read2_b32 v[26:27], v1 offset0:11 offset1:12
	v_add_u32_e32 v22, 12, v42
	v_cmp_ne_u32_e32 vcc, v28, v29
	v_cndmask_b32_e64 v23, 0, 1, vcc
	v_cmp_gt_u32_e32 vcc, s64, v22
	s_waitcnt lgkmcnt(0)
	v_mov_b32_e32 v22, v26
	v_mov_b32_e32 v24, s48
	;; [unrolled: 1-line block ×3, first 2 shown]
                                        ; implicit-def: $sgpr34_sgpr35
                                        ; implicit-def: $vgpr43
	s_and_saveexec_b64 s[48:49], vcc
	s_xor_b64 s[48:49], exec, s[48:49]
	s_cbranch_execz .LBB158_68
; %bb.67:
	ds_read_b32 v43, v1 offset:52
	v_add_u32_e32 v1, 13, v42
	v_cmp_ne_u32_e64 s[4:5], v29, v40
	v_cmp_ne_u32_e32 vcc, v40, v41
	v_cndmask_b32_e64 v25, 0, 1, s[4:5]
	v_cmp_gt_u32_e64 s[4:5], s64, v1
	v_mov_b32_e32 v24, v27
	s_and_b64 s[34:35], vcc, exec
	s_and_b64 s[4:5], s[4:5], exec
.LBB158_68:
	s_or_b64 exec, exec, s[48:49]
	s_and_b64 s[34:35], s[34:35], exec
	s_and_b64 s[4:5], s[4:5], exec
.LBB158_69:
	s_or_b64 exec, exec, s[10:11]
	s_and_b64 s[10:11], s[34:35], exec
	s_and_b64 s[4:5], s[4:5], exec
.LBB158_70:
	s_or_b64 exec, exec, s[8:9]
	s_and_b64 s[8:9], s[10:11], exec
	s_and_b64 s[34:35], s[4:5], exec
.LBB158_71:
	s_or_b64 exec, exec, s[6:7]
	s_and_b64 s[48:49], s[8:9], exec
	s_and_b64 s[34:35], s[34:35], exec
.LBB158_72:
	s_or_b64 exec, exec, s[30:31]
	s_and_b64 s[4:5], s[48:49], exec
	s_and_b64 s[30:31], s[34:35], exec
.LBB158_73:
	s_or_b64 exec, exec, s[28:29]
	s_and_b64 s[34:35], s[4:5], exec
	s_and_b64 s[28:29], s[30:31], exec
.LBB158_74:
	s_or_b64 exec, exec, s[26:27]
	s_and_b64 s[4:5], s[34:35], exec
	s_and_b64 s[28:29], s[28:29], exec
.LBB158_75:
	s_or_b64 exec, exec, s[24:25]
	s_and_b64 s[26:27], s[4:5], exec
	s_and_b64 s[24:25], s[28:29], exec
.LBB158_76:
	s_or_b64 exec, exec, s[22:23]
	s_and_b64 s[4:5], s[26:27], exec
	s_and_b64 s[22:23], s[24:25], exec
.LBB158_77:
	s_or_b64 exec, exec, s[20:21]
	s_and_b64 s[24:25], s[4:5], exec
	s_and_b64 s[20:21], s[22:23], exec
.LBB158_78:
	s_or_b64 exec, exec, s[18:19]
	s_and_b64 s[4:5], s[24:25], exec
	s_and_b64 s[18:19], s[20:21], exec
.LBB158_79:
	s_or_b64 exec, exec, s[16:17]
	s_and_b64 s[16:17], s[4:5], exec
	s_and_b64 s[18:19], s[18:19], exec
.LBB158_80:
	s_or_b64 exec, exec, s[14:15]
	s_and_b64 vcc, exec, s[12:13]
	v_lshlrev_b32_e32 v50, 2, v0
	s_cbranch_vccnz .LBB158_82
	s_branch .LBB158_90
.LBB158_81:
                                        ; implicit-def: $sgpr16_sgpr17
                                        ; implicit-def: $vgpr2_vgpr3_vgpr4_vgpr5_vgpr6_vgpr7_vgpr8_vgpr9
                                        ; implicit-def: $vgpr10_vgpr11_vgpr12_vgpr13_vgpr14_vgpr15_vgpr16_vgpr17
                                        ; implicit-def: $vgpr18_vgpr19_vgpr20_vgpr21_vgpr22_vgpr23_vgpr24_vgpr25
                                        ; implicit-def: $vgpr43
                                        ; implicit-def: $vgpr38_vgpr39
	s_and_b64 vcc, exec, s[12:13]
	v_lshlrev_b32_e32 v50, 2, v0
	s_cbranch_vccz .LBB158_90
.LBB158_82:
	v_mov_b32_e32 v1, s43
	v_add_co_u32_e32 v2, vcc, s42, v50
	v_addc_co_u32_e32 v3, vcc, 0, v1, vcc
	v_add_co_u32_e32 v4, vcc, 0x1000, v2
	v_addc_co_u32_e32 v5, vcc, 0, v3, vcc
	flat_load_dword v6, v[2:3]
	flat_load_dword v7, v[2:3] offset:1024
	flat_load_dword v8, v[2:3] offset:2048
	;; [unrolled: 1-line block ×3, first 2 shown]
	flat_load_dword v10, v[4:5]
	flat_load_dword v11, v[4:5] offset:1024
	flat_load_dword v12, v[4:5] offset:2048
	flat_load_dword v13, v[4:5] offset:3072
	v_add_co_u32_e32 v4, vcc, 0x2000, v2
	v_addc_co_u32_e32 v5, vcc, 0, v3, vcc
	v_add_co_u32_e32 v2, vcc, 0x3000, v2
	v_addc_co_u32_e32 v3, vcc, 0, v3, vcc
	flat_load_dword v14, v[4:5]
	flat_load_dword v15, v[4:5] offset:1024
	flat_load_dword v16, v[4:5] offset:2048
	;; [unrolled: 1-line block ×3, first 2 shown]
	flat_load_dword v18, v[2:3]
	flat_load_dword v19, v[2:3] offset:1024
	v_mad_u32_u24 v1, v0, 52, v50
	s_cmp_eq_u64 s[52:53], 0
	s_waitcnt vmcnt(0) lgkmcnt(0)
	ds_write2st64_b32 v50, v6, v7 offset1:4
	ds_write2st64_b32 v50, v8, v9 offset0:8 offset1:12
	ds_write2st64_b32 v50, v10, v11 offset0:16 offset1:20
	;; [unrolled: 1-line block ×6, first 2 shown]
	s_waitcnt lgkmcnt(0)
	s_barrier
	ds_read2_b64 v[2:5], v1 offset1:1
	ds_read2_b64 v[10:13], v1 offset0:2 offset1:3
	ds_read2_b64 v[18:21], v1 offset0:4 offset1:5
	ds_read_b64 v[6:7], v1 offset:48
	s_cbranch_scc1 .LBB158_87
; %bb.83:
	s_andn2_b64 vcc, exec, s[44:45]
	s_cbranch_vccnz .LBB158_184
; %bb.84:
	s_lshl_b64 s[4:5], s[52:53], 2
	s_add_u32 s4, s54, s4
	s_addc_u32 s5, s55, s5
	s_add_u32 s4, s4, -4
	s_addc_u32 s5, s5, -1
	s_cbranch_execnz .LBB158_86
.LBB158_85:
	s_add_u32 s4, s42, -4
	s_addc_u32 s5, s43, -1
.LBB158_86:
	s_mov_b64 s[42:43], s[4:5]
.LBB158_87:
	v_pk_mov_b32 v[8:9], s[42:43], s[42:43] op_sel:[0,1]
	flat_load_dword v8, v[8:9]
	s_movk_i32 s4, 0xffcc
	v_mad_i32_i24 v9, v0, s4, v1
	s_waitcnt lgkmcnt(0)
	ds_write_b32 v9, v7 offset:14336
	s_waitcnt lgkmcnt(0)
	s_barrier
	s_and_saveexec_b64 s[4:5], s[36:37]
	s_cbranch_execz .LBB158_89
; %bb.88:
	s_waitcnt vmcnt(0)
	v_mul_i32_i24_e32 v8, 0xffffffcc, v0
	v_add_u32_e32 v8, v1, v8
	ds_read_b32 v8, v8 offset:14332
.LBB158_89:
	s_or_b64 exec, exec, s[4:5]
	v_mov_b32_e32 v9, s63
	v_add_co_u32_e32 v14, vcc, s62, v50
	v_addc_co_u32_e32 v15, vcc, 0, v9, vcc
	s_movk_i32 s4, 0x1000
	v_add_co_u32_e32 v16, vcc, s4, v14
	v_addc_co_u32_e32 v17, vcc, 0, v15, vcc
	s_movk_i32 s4, 0x2000
	s_waitcnt lgkmcnt(0)
	s_barrier
	flat_load_dword v22, v[14:15]
	flat_load_dword v24, v[14:15] offset:1024
	flat_load_dword v26, v[14:15] offset:2048
	;; [unrolled: 1-line block ×3, first 2 shown]
	flat_load_dword v28, v[16:17]
	flat_load_dword v29, v[16:17] offset:1024
	flat_load_dword v30, v[16:17] offset:2048
	;; [unrolled: 1-line block ×3, first 2 shown]
	v_add_co_u32_e32 v16, vcc, s4, v14
	v_addc_co_u32_e32 v17, vcc, 0, v15, vcc
	s_movk_i32 s4, 0x3000
	v_add_co_u32_e32 v14, vcc, s4, v14
	v_addc_co_u32_e32 v15, vcc, 0, v15, vcc
	flat_load_dword v32, v[16:17]
	flat_load_dword v33, v[16:17] offset:1024
	flat_load_dword v34, v[16:17] offset:2048
	flat_load_dword v35, v[16:17] offset:3072
	flat_load_dword v36, v[14:15]
	flat_load_dword v37, v[14:15] offset:1024
	s_waitcnt vmcnt(0)
	v_cmp_ne_u32_e32 vcc, v8, v2
	v_cndmask_b32_e64 v39, 0, 1, vcc
	v_cmp_ne_u32_e32 vcc, v5, v10
	v_cndmask_b32_e64 v9, 0, 1, vcc
	v_cmp_ne_u32_e32 vcc, v4, v5
	v_cmp_ne_u32_e64 s[16:17], v6, v7
	v_cndmask_b32_e64 v7, 0, 1, vcc
	v_cmp_ne_u32_e32 vcc, v3, v4
	v_cndmask_b32_e64 v5, 0, 1, vcc
	v_cmp_ne_u32_e32 vcc, v2, v3
	;; [unrolled: 2-line block ×10, first 2 shown]
	v_cndmask_b32_e64 v19, 0, 1, vcc
	s_mov_b64 s[18:19], -1
                                        ; implicit-def: $sgpr12_sgpr13
	s_waitcnt lgkmcnt(0)
	ds_write2st64_b32 v50, v22, v24 offset1:4
	ds_write2st64_b32 v50, v26, v27 offset0:8 offset1:12
	ds_write2st64_b32 v50, v28, v29 offset0:16 offset1:20
	;; [unrolled: 1-line block ×6, first 2 shown]
	s_waitcnt lgkmcnt(0)
	s_barrier
	ds_read2_b32 v[42:43], v1 offset1:13
	ds_read2_b32 v[26:27], v1 offset0:7 offset1:8
	ds_read2_b32 v[28:29], v1 offset0:5 offset1:6
	;; [unrolled: 1-line block ×6, first 2 shown]
	s_waitcnt lgkmcnt(6)
	v_mov_b32_e32 v38, v42
	s_waitcnt lgkmcnt(4)
	v_mov_b32_e32 v10, v28
	;; [unrolled: 2-line block ×4, first 2 shown]
	v_mov_b32_e32 v4, v33
	v_mov_b32_e32 v8, v31
	;; [unrolled: 1-line block ×5, first 2 shown]
	s_waitcnt lgkmcnt(0)
	v_mov_b32_e32 v18, v36
	v_mov_b32_e32 v20, v37
	;; [unrolled: 1-line block ×4, first 2 shown]
.LBB158_90:
	v_pk_mov_b32 v[40:41], s[12:13], s[12:13] op_sel:[0,1]
	s_and_saveexec_b64 s[4:5], s[18:19]
	s_cbranch_execz .LBB158_92
; %bb.91:
	v_cndmask_b32_e64 v41, 0, 1, s[16:17]
	s_waitcnt lgkmcnt(0)
	v_mov_b32_e32 v40, v43
.LBB158_92:
	s_or_b64 exec, exec, s[4:5]
	s_mov_b32 s4, 0
	s_cmp_lg_u32 s59, 0
	v_mbcnt_lo_u32_b32 v52, -1, 0
	v_lshrrev_b32_e32 v1, 6, v0
	v_or_b32_e32 v51, 63, v0
	s_waitcnt lgkmcnt(0)
	s_barrier
	s_cbranch_scc0 .LBB158_121
; %bb.93:
	s_mov_b32 s5, 1
	v_cmp_gt_u64_e64 s[6:7], s[4:5], v[2:3]
	v_cndmask_b32_e64 v27, 0, v38, s[6:7]
	v_add_u32_e32 v27, v27, v2
	v_cmp_gt_u64_e64 s[8:9], s[4:5], v[4:5]
	v_cndmask_b32_e64 v27, 0, v27, s[8:9]
	v_add_u32_e32 v27, v27, v4
	;; [unrolled: 3-line block ×13, first 2 shown]
	v_or3_b32 v27, v41, v25, v23
	v_or3_b32 v27, v27, v21, v19
	;; [unrolled: 1-line block ×6, first 2 shown]
	v_mov_b32_e32 v26, 0
	v_and_b32_e32 v27, 1, v27
	v_cmp_eq_u64_e32 vcc, 0, v[26:27]
	v_cndmask_b32_e32 v26, 1, v39, vcc
	v_mbcnt_hi_u32_b32 v46, -1, v52
	v_mov_b32_dpp v29, v28 row_shr:1 row_mask:0xf bank_mask:0xf
	v_mov_b32_dpp v30, v26 row_shr:1 row_mask:0xf bank_mask:0xf
	v_cmp_eq_u32_e32 vcc, 0, v26
	v_and_b32_e32 v31, 1, v26
	v_and_b32_e32 v27, 15, v46
	v_cndmask_b32_e32 v29, 0, v29, vcc
	v_and_b32_e32 v30, 1, v30
	v_cmp_eq_u32_e32 vcc, 1, v31
	v_cndmask_b32_e64 v30, v30, 1, vcc
	v_cmp_eq_u32_e32 vcc, 0, v27
	v_cndmask_b32_e32 v26, v30, v26, vcc
	v_and_b32_e32 v31, 1, v26
	v_cmp_eq_u32_e64 s[4:5], 1, v31
	v_mov_b32_dpp v30, v26 row_shr:2 row_mask:0xf bank_mask:0xf
	v_and_b32_e32 v30, 1, v30
	v_cndmask_b32_e64 v30, v30, 1, s[4:5]
	v_cmp_lt_u32_e64 s[4:5], 1, v27
	v_cndmask_b32_e64 v29, v29, 0, vcc
	v_cmp_eq_u32_e32 vcc, 0, v26
	v_cndmask_b32_e64 v26, v26, v30, s[4:5]
	v_add_u32_e32 v28, v29, v28
	v_and_b32_e32 v31, 1, v26
	v_mov_b32_dpp v30, v26 row_shr:4 row_mask:0xf bank_mask:0xf
	v_mov_b32_dpp v29, v28 row_shr:2 row_mask:0xf bank_mask:0xf
	s_and_b64 vcc, s[4:5], vcc
	v_and_b32_e32 v30, 1, v30
	v_cmp_eq_u32_e64 s[4:5], 1, v31
	v_cndmask_b32_e32 v29, 0, v29, vcc
	v_cndmask_b32_e64 v30, v30, 1, s[4:5]
	v_cmp_lt_u32_e64 s[4:5], 3, v27
	v_add_u32_e32 v28, v29, v28
	v_cmp_eq_u32_e32 vcc, 0, v26
	v_cndmask_b32_e64 v26, v26, v30, s[4:5]
	v_mov_b32_dpp v29, v28 row_shr:4 row_mask:0xf bank_mask:0xf
	s_and_b64 vcc, s[4:5], vcc
	v_mov_b32_dpp v30, v26 row_shr:8 row_mask:0xf bank_mask:0xf
	v_and_b32_e32 v31, 1, v26
	v_cndmask_b32_e32 v29, 0, v29, vcc
	v_and_b32_e32 v30, 1, v30
	v_cmp_eq_u32_e64 s[4:5], 1, v31
	v_add_u32_e32 v28, v29, v28
	v_cmp_eq_u32_e32 vcc, 0, v26
	v_cndmask_b32_e64 v30, v30, 1, s[4:5]
	v_cmp_lt_u32_e64 s[4:5], 7, v27
	v_mov_b32_dpp v29, v28 row_shr:8 row_mask:0xf bank_mask:0xf
	s_and_b64 vcc, s[4:5], vcc
	v_cndmask_b32_e32 v27, 0, v29, vcc
	v_cndmask_b32_e64 v26, v26, v30, s[4:5]
	v_add_u32_e32 v27, v27, v28
	v_cmp_eq_u32_e32 vcc, 0, v26
	v_mov_b32_dpp v29, v26 row_bcast:15 row_mask:0xf bank_mask:0xf
	v_mov_b32_dpp v28, v27 row_bcast:15 row_mask:0xf bank_mask:0xf
	v_and_b32_e32 v32, 1, v26
	v_and_b32_e32 v31, 16, v46
	v_cndmask_b32_e32 v28, 0, v28, vcc
	v_and_b32_e32 v29, 1, v29
	v_cmp_eq_u32_e32 vcc, 1, v32
	v_bfe_i32 v30, v46, 4, 1
	v_cndmask_b32_e64 v29, v29, 1, vcc
	v_cmp_eq_u32_e32 vcc, 0, v31
	v_and_b32_e32 v28, v30, v28
	v_cndmask_b32_e32 v26, v29, v26, vcc
	v_add_u32_e32 v27, v28, v27
	v_and_b32_e32 v30, 1, v26
	v_mov_b32_dpp v28, v26 row_bcast:31 row_mask:0xf bank_mask:0xf
	v_and_b32_e32 v28, 1, v28
	v_cmp_eq_u32_e64 s[4:5], 1, v30
	v_cmp_eq_u32_e32 vcc, 0, v26
	v_cndmask_b32_e64 v28, v28, 1, s[4:5]
	v_cmp_lt_u32_e64 s[4:5], 31, v46
	v_mov_b32_dpp v29, v27 row_bcast:31 row_mask:0xf bank_mask:0xf
	s_and_b64 vcc, s[4:5], vcc
	v_cndmask_b32_e64 v28, v26, v28, s[4:5]
	v_cndmask_b32_e32 v26, 0, v29, vcc
	v_add_u32_e32 v29, v26, v27
	v_cmp_eq_u32_e32 vcc, v51, v0
	s_and_saveexec_b64 s[4:5], vcc
	s_cbranch_execz .LBB158_95
; %bb.94:
	v_lshlrev_b32_e32 v26, 3, v1
	ds_write_b32 v26, v29
	ds_write_b8 v26, v28 offset:4
.LBB158_95:
	s_or_b64 exec, exec, s[4:5]
	v_cmp_gt_u32_e32 vcc, 4, v0
	s_waitcnt lgkmcnt(0)
	s_barrier
	s_and_saveexec_b64 s[4:5], vcc
	s_cbranch_execz .LBB158_99
; %bb.96:
	v_lshlrev_b32_e32 v30, 3, v0
	ds_read_b64 v[26:27], v30
	v_and_b32_e32 v31, 3, v46
	v_cmp_ne_u32_e32 vcc, 0, v31
	s_waitcnt lgkmcnt(0)
	v_mov_b32_dpp v32, v26 row_shr:1 row_mask:0xf bank_mask:0xf
	v_mov_b32_dpp v34, v27 row_shr:1 row_mask:0xf bank_mask:0xf
	v_mov_b32_e32 v33, v27
	s_and_saveexec_b64 s[34:35], vcc
	s_cbranch_execz .LBB158_98
; %bb.97:
	v_and_b32_e32 v33, 1, v27
	v_and_b32_e32 v34, 1, v34
	v_cmp_eq_u32_e32 vcc, 1, v33
	v_mov_b32_e32 v33, 0
	v_cndmask_b32_e64 v34, v34, 1, vcc
	v_cmp_eq_u16_sdwa vcc, v27, v33 src0_sel:BYTE_0 src1_sel:DWORD
	v_cndmask_b32_e32 v32, 0, v32, vcc
	v_add_u32_e32 v26, v32, v26
	v_and_b32_e32 v32, 0xffff, v34
	s_movk_i32 s42, 0xff00
	v_and_or_b32 v33, v27, s42, v32
	v_mov_b32_e32 v27, v34
.LBB158_98:
	s_or_b64 exec, exec, s[34:35]
	v_mov_b32_dpp v33, v33 row_shr:2 row_mask:0xf bank_mask:0xf
	v_and_b32_e32 v34, 1, v27
	v_and_b32_e32 v33, 1, v33
	v_cmp_eq_u32_e32 vcc, 1, v34
	v_mov_b32_e32 v34, 0
	v_cndmask_b32_e64 v33, v33, 1, vcc
	v_cmp_eq_u16_sdwa s[34:35], v27, v34 src0_sel:BYTE_0 src1_sel:DWORD
	v_cmp_lt_u32_e32 vcc, 1, v31
	v_mov_b32_dpp v32, v26 row_shr:2 row_mask:0xf bank_mask:0xf
	v_cndmask_b32_e32 v27, v27, v33, vcc
	s_and_b64 vcc, vcc, s[34:35]
	v_cndmask_b32_e32 v31, 0, v32, vcc
	v_add_u32_e32 v26, v31, v26
	ds_write_b32 v30, v26
	ds_write_b8 v30, v27 offset:4
.LBB158_99:
	s_or_b64 exec, exec, s[4:5]
	v_cmp_gt_u32_e32 vcc, 64, v0
	v_cmp_lt_u32_e64 s[4:5], 63, v0
	v_mov_b32_e32 v42, 0
	v_mov_b32_e32 v43, 0
	s_waitcnt lgkmcnt(0)
	s_barrier
	s_and_saveexec_b64 s[34:35], s[4:5]
	s_cbranch_execz .LBB158_101
; %bb.100:
	v_lshl_add_u32 v26, v1, 3, -8
	ds_read_b32 v42, v26
	ds_read_u8 v43, v26 offset:4
	v_and_b32_e32 v27, 1, v28
	v_cmp_eq_u32_e64 s[4:5], 0, v28
	s_waitcnt lgkmcnt(1)
	v_cndmask_b32_e64 v26, 0, v42, s[4:5]
	v_cmp_eq_u32_e64 s[4:5], 1, v27
	v_add_u32_e32 v29, v26, v29
	s_waitcnt lgkmcnt(0)
	v_cndmask_b32_e64 v28, v43, 1, s[4:5]
.LBB158_101:
	s_or_b64 exec, exec, s[34:35]
	v_add_u32_e32 v26, -1, v46
	v_and_b32_e32 v27, 64, v46
	v_cmp_lt_i32_e64 s[4:5], v26, v27
	v_cndmask_b32_e64 v26, v26, v46, s[4:5]
	v_lshlrev_b32_e32 v26, 2, v26
	ds_bpermute_b32 v44, v26, v29
	ds_bpermute_b32 v45, v26, v28
	v_cmp_eq_u32_e64 s[34:35], 0, v46
	s_and_saveexec_b64 s[42:43], vcc
	s_cbranch_execz .LBB158_120
; %bb.102:
	v_mov_b32_e32 v29, 0
	ds_read_b64 v[26:27], v29 offset:24
	s_waitcnt lgkmcnt(0)
	v_readfirstlane_b32 s52, v27
	s_and_saveexec_b64 s[4:5], s[34:35]
	s_cbranch_execz .LBB158_104
; %bb.103:
	s_add_i32 s44, s59, 64
	s_mov_b32 s45, 0
	s_lshl_b64 s[48:49], s[44:45], 4
	s_add_u32 s48, s56, s48
	s_addc_u32 s49, s57, s49
	s_and_b32 s55, s52, 0xff000000
	s_mov_b32 s54, s45
	s_and_b32 s63, s52, 0xff0000
	s_mov_b32 s62, s45
	s_or_b64 s[54:55], s[62:63], s[54:55]
	s_and_b32 s63, s52, 0xff00
	s_or_b64 s[54:55], s[54:55], s[62:63]
	s_and_b32 s63, s52, 0xff
	s_or_b64 s[44:45], s[54:55], s[62:63]
	v_mov_b32_e32 v27, s45
	v_mov_b32_e32 v28, 1
	v_pk_mov_b32 v[30:31], s[48:49], s[48:49] op_sel:[0,1]
	;;#ASMSTART
	global_store_dwordx4 v[30:31], v[26:29] off	
s_waitcnt vmcnt(0)
	;;#ASMEND
.LBB158_104:
	s_or_b64 exec, exec, s[4:5]
	v_xad_u32 v34, v46, -1, s59
	v_add_u32_e32 v28, 64, v34
	v_lshlrev_b64 v[30:31], 4, v[28:29]
	v_mov_b32_e32 v27, s57
	v_add_co_u32_e32 v36, vcc, s56, v30
	v_addc_co_u32_e32 v37, vcc, v27, v31, vcc
	;;#ASMSTART
	global_load_dwordx4 v[30:33], v[36:37] off glc	
s_waitcnt vmcnt(0)
	;;#ASMEND
	v_and_b32_e32 v27, 0xff0000, v30
	v_or_b32_sdwa v27, v30, v27 dst_sel:DWORD dst_unused:UNUSED_PAD src0_sel:WORD_0 src1_sel:DWORD
	v_and_b32_e32 v28, 0xff000000, v30
	v_and_b32_e32 v30, 0xff, v31
	v_or3_b32 v31, 0, 0, v30
	v_or3_b32 v30, v27, v28, 0
	v_cmp_eq_u16_sdwa s[44:45], v32, v29 src0_sel:BYTE_0 src1_sel:DWORD
	s_and_saveexec_b64 s[4:5], s[44:45]
	s_cbranch_execz .LBB158_108
; %bb.105:
	s_mov_b64 s[44:45], 0
	v_mov_b32_e32 v27, 0
.LBB158_106:                            ; =>This Inner Loop Header: Depth=1
	;;#ASMSTART
	global_load_dwordx4 v[30:33], v[36:37] off glc	
s_waitcnt vmcnt(0)
	;;#ASMEND
	v_cmp_ne_u16_sdwa s[48:49], v32, v27 src0_sel:BYTE_0 src1_sel:DWORD
	s_or_b64 s[44:45], s[48:49], s[44:45]
	s_andn2_b64 exec, exec, s[44:45]
	s_cbranch_execnz .LBB158_106
; %bb.107:
	s_or_b64 exec, exec, s[44:45]
	v_and_b32_e32 v31, 0xff, v31
.LBB158_108:
	s_or_b64 exec, exec, s[4:5]
	v_mov_b32_e32 v27, 2
	v_cmp_eq_u16_sdwa s[4:5], v32, v27 src0_sel:BYTE_0 src1_sel:DWORD
	v_lshlrev_b64 v[28:29], v46, -1
	v_and_b32_e32 v33, s5, v29
	v_or_b32_e32 v33, 0x80000000, v33
	v_and_b32_e32 v35, s4, v28
	v_ffbl_b32_e32 v33, v33
	v_and_b32_e32 v47, 63, v46
	v_add_u32_e32 v33, 32, v33
	v_ffbl_b32_e32 v35, v35
	v_cmp_ne_u32_e32 vcc, 63, v47
	v_min_u32_e32 v33, v35, v33
	v_addc_co_u32_e32 v35, vcc, 0, v46, vcc
	v_lshlrev_b32_e32 v48, 2, v35
	ds_bpermute_b32 v35, v48, v31
	ds_bpermute_b32 v36, v48, v30
	s_mov_b32 s44, 0
	v_and_b32_e32 v37, 1, v31
	s_mov_b32 s45, 1
	s_waitcnt lgkmcnt(1)
	v_and_b32_e32 v35, 1, v35
	v_cmp_eq_u32_e32 vcc, 1, v37
	v_cndmask_b32_e64 v35, v35, 1, vcc
	v_cmp_gt_u64_e32 vcc, s[44:45], v[30:31]
	v_cmp_lt_u32_e64 s[4:5], v47, v33
	s_and_b64 vcc, s[4:5], vcc
	v_and_b32_e32 v37, 0xffff, v35
	v_cndmask_b32_e64 v54, v31, v35, s[4:5]
	s_waitcnt lgkmcnt(0)
	v_cndmask_b32_e32 v35, 0, v36, vcc
	v_cmp_gt_u32_e32 vcc, 62, v47
	v_cndmask_b32_e64 v36, 0, 1, vcc
	v_lshlrev_b32_e32 v36, 1, v36
	v_cndmask_b32_e64 v31, v31, v37, s[4:5]
	v_add_lshl_u32 v49, v36, v46, 2
	ds_bpermute_b32 v36, v49, v31
	v_add_u32_e32 v30, v35, v30
	ds_bpermute_b32 v37, v49, v30
	v_and_b32_e32 v35, 1, v54
	v_cmp_eq_u32_e32 vcc, 1, v35
	s_waitcnt lgkmcnt(1)
	v_and_b32_e32 v36, 1, v36
	v_mov_b32_e32 v35, 0
	v_add_u32_e32 v53, 2, v47
	v_cndmask_b32_e64 v36, v36, 1, vcc
	v_cmp_eq_u16_sdwa vcc, v54, v35 src0_sel:BYTE_0 src1_sel:DWORD
	v_and_b32_e32 v55, 0xffff, v36
	s_waitcnt lgkmcnt(0)
	v_cndmask_b32_e32 v37, 0, v37, vcc
	v_cmp_gt_u32_e32 vcc, v53, v33
	v_cndmask_b32_e32 v36, v36, v54, vcc
	v_cndmask_b32_e64 v37, v37, 0, vcc
	v_cndmask_b32_e32 v31, v55, v31, vcc
	v_cmp_gt_u32_e32 vcc, 60, v47
	v_cndmask_b32_e64 v54, 0, 1, vcc
	v_lshlrev_b32_e32 v54, 2, v54
	v_add_lshl_u32 v54, v54, v46, 2
	ds_bpermute_b32 v56, v54, v31
	v_add_u32_e32 v30, v37, v30
	ds_bpermute_b32 v37, v54, v30
	v_and_b32_e32 v57, 1, v36
	v_cmp_eq_u32_e32 vcc, 1, v57
	s_waitcnt lgkmcnt(1)
	v_and_b32_e32 v56, 1, v56
	v_add_u32_e32 v55, 4, v47
	v_cndmask_b32_e64 v56, v56, 1, vcc
	v_cmp_eq_u16_sdwa vcc, v36, v35 src0_sel:BYTE_0 src1_sel:DWORD
	v_and_b32_e32 v57, 0xffff, v56
	s_waitcnt lgkmcnt(0)
	v_cndmask_b32_e32 v37, 0, v37, vcc
	v_cmp_gt_u32_e32 vcc, v55, v33
	v_cndmask_b32_e32 v36, v56, v36, vcc
	v_cndmask_b32_e64 v37, v37, 0, vcc
	v_cndmask_b32_e32 v31, v57, v31, vcc
	v_cmp_gt_u32_e32 vcc, 56, v47
	v_cndmask_b32_e64 v56, 0, 1, vcc
	v_lshlrev_b32_e32 v56, 3, v56
	v_add_lshl_u32 v56, v56, v46, 2
	ds_bpermute_b32 v58, v56, v31
	v_add_u32_e32 v30, v37, v30
	ds_bpermute_b32 v37, v56, v30
	v_and_b32_e32 v59, 1, v36
	v_cmp_eq_u32_e32 vcc, 1, v59
	s_waitcnt lgkmcnt(1)
	v_and_b32_e32 v58, 1, v58
	;; [unrolled: 21-line block ×4, first 2 shown]
	v_add_u32_e32 v62, 32, v47
	v_cndmask_b32_e64 v31, v31, 1, vcc
	v_cmp_eq_u16_sdwa vcc, v36, v35 src0_sel:BYTE_0 src1_sel:DWORD
	s_waitcnt lgkmcnt(0)
	v_cndmask_b32_e32 v37, 0, v37, vcc
	v_cmp_gt_u32_e32 vcc, v62, v33
	v_cndmask_b32_e64 v33, v37, 0, vcc
	v_cndmask_b32_e32 v31, v31, v36, vcc
	v_add_u32_e32 v30, v33, v30
	s_branch .LBB158_110
.LBB158_109:                            ;   in Loop: Header=BB158_110 Depth=1
	s_or_b64 exec, exec, s[4:5]
	v_cmp_eq_u16_sdwa s[4:5], v32, v27 src0_sel:BYTE_0 src1_sel:DWORD
	v_and_b32_e32 v33, s5, v29
	ds_bpermute_b32 v37, v48, v31
	v_or_b32_e32 v33, 0x80000000, v33
	v_and_b32_e32 v36, s4, v28
	v_ffbl_b32_e32 v33, v33
	v_add_u32_e32 v33, 32, v33
	v_ffbl_b32_e32 v36, v36
	v_min_u32_e32 v33, v36, v33
	ds_bpermute_b32 v36, v48, v30
	v_and_b32_e32 v63, 1, v31
	s_waitcnt lgkmcnt(1)
	v_and_b32_e32 v37, 1, v37
	v_cmp_eq_u32_e32 vcc, 1, v63
	v_cndmask_b32_e64 v37, v37, 1, vcc
	v_cmp_gt_u64_e32 vcc, s[44:45], v[30:31]
	v_and_b32_e32 v63, 0xffff, v37
	v_cmp_lt_u32_e64 s[4:5], v47, v33
	v_cndmask_b32_e64 v37, v31, v37, s[4:5]
	v_cndmask_b32_e64 v31, v31, v63, s[4:5]
	s_and_b64 vcc, s[4:5], vcc
	ds_bpermute_b32 v63, v49, v31
	s_waitcnt lgkmcnt(1)
	v_cndmask_b32_e32 v36, 0, v36, vcc
	v_add_u32_e32 v30, v36, v30
	ds_bpermute_b32 v36, v49, v30
	v_and_b32_e32 v64, 1, v37
	s_waitcnt lgkmcnt(1)
	v_and_b32_e32 v63, 1, v63
	v_cmp_eq_u32_e32 vcc, 1, v64
	v_cndmask_b32_e64 v63, v63, 1, vcc
	v_cmp_eq_u16_sdwa vcc, v37, v35 src0_sel:BYTE_0 src1_sel:DWORD
	v_and_b32_e32 v64, 0xffff, v63
	s_waitcnt lgkmcnt(0)
	v_cndmask_b32_e32 v36, 0, v36, vcc
	v_cmp_gt_u32_e32 vcc, v53, v33
	v_cndmask_b32_e32 v31, v64, v31, vcc
	v_cndmask_b32_e32 v37, v63, v37, vcc
	ds_bpermute_b32 v63, v54, v31
	v_cndmask_b32_e64 v36, v36, 0, vcc
	v_add_u32_e32 v30, v36, v30
	ds_bpermute_b32 v36, v54, v30
	v_and_b32_e32 v64, 1, v37
	s_waitcnt lgkmcnt(1)
	v_and_b32_e32 v63, 1, v63
	v_cmp_eq_u32_e32 vcc, 1, v64
	v_cndmask_b32_e64 v63, v63, 1, vcc
	v_cmp_eq_u16_sdwa vcc, v37, v35 src0_sel:BYTE_0 src1_sel:DWORD
	v_and_b32_e32 v64, 0xffff, v63
	s_waitcnt lgkmcnt(0)
	v_cndmask_b32_e32 v36, 0, v36, vcc
	v_cmp_gt_u32_e32 vcc, v55, v33
	v_cndmask_b32_e32 v31, v64, v31, vcc
	v_cndmask_b32_e32 v37, v63, v37, vcc
	ds_bpermute_b32 v63, v56, v31
	v_cndmask_b32_e64 v36, v36, 0, vcc
	;; [unrolled: 16-line block ×3, first 2 shown]
	v_add_u32_e32 v30, v36, v30
	ds_bpermute_b32 v36, v58, v30
	v_and_b32_e32 v64, 1, v37
	s_waitcnt lgkmcnt(1)
	v_and_b32_e32 v63, 1, v63
	v_cmp_eq_u32_e32 vcc, 1, v64
	v_cndmask_b32_e64 v63, v63, 1, vcc
	v_cmp_eq_u16_sdwa vcc, v37, v35 src0_sel:BYTE_0 src1_sel:DWORD
	v_and_b32_e32 v64, 0xffff, v63
	s_waitcnt lgkmcnt(0)
	v_cndmask_b32_e32 v36, 0, v36, vcc
	v_cmp_gt_u32_e32 vcc, v59, v33
	v_cndmask_b32_e64 v36, v36, 0, vcc
	v_cndmask_b32_e32 v31, v64, v31, vcc
	ds_bpermute_b32 v31, v61, v31
	v_add_u32_e32 v30, v36, v30
	ds_bpermute_b32 v36, v61, v30
	v_cndmask_b32_e32 v37, v63, v37, vcc
	v_and_b32_e32 v63, 1, v37
	v_cmp_eq_u32_e32 vcc, 1, v63
	s_waitcnt lgkmcnt(1)
	v_cndmask_b32_e64 v31, v31, 1, vcc
	v_cmp_eq_u16_sdwa vcc, v37, v35 src0_sel:BYTE_0 src1_sel:DWORD
	s_waitcnt lgkmcnt(0)
	v_cndmask_b32_e32 v36, 0, v36, vcc
	v_cmp_gt_u32_e32 vcc, v62, v33
	v_cndmask_b32_e64 v33, v36, 0, vcc
	v_cndmask_b32_e32 v31, v31, v37, vcc
	v_add_u32_e32 v30, v33, v30
	v_cmp_eq_u16_sdwa vcc, v46, v35 src0_sel:BYTE_0 src1_sel:DWORD
	v_and_b32_e32 v33, 1, v46
	v_cndmask_b32_e32 v30, 0, v30, vcc
	v_and_b32_e32 v31, 1, v31
	v_cmp_eq_u32_e32 vcc, 1, v33
	v_subrev_u32_e32 v34, 64, v34
	v_add_u32_e32 v30, v30, v60
	v_cndmask_b32_e64 v31, v31, 1, vcc
.LBB158_110:                            ; =>This Loop Header: Depth=1
                                        ;     Child Loop BB158_113 Depth 2
	v_cmp_ne_u16_sdwa s[4:5], v32, v27 src0_sel:BYTE_0 src1_sel:DWORD
	v_mov_b32_e32 v46, v31
	v_cndmask_b32_e64 v31, 0, 1, s[4:5]
	;;#ASMSTART
	;;#ASMEND
	v_cmp_ne_u32_e32 vcc, 0, v31
	s_cmp_lg_u64 vcc, exec
	v_mov_b32_e32 v60, v30
	s_cbranch_scc1 .LBB158_115
; %bb.111:                              ;   in Loop: Header=BB158_110 Depth=1
	v_lshlrev_b64 v[30:31], 4, v[34:35]
	v_mov_b32_e32 v32, s57
	v_add_co_u32_e32 v36, vcc, s56, v30
	v_addc_co_u32_e32 v37, vcc, v32, v31, vcc
	;;#ASMSTART
	global_load_dwordx4 v[30:33], v[36:37] off glc	
s_waitcnt vmcnt(0)
	;;#ASMEND
	v_and_b32_e32 v33, 0xff0000, v30
	v_or_b32_sdwa v33, v30, v33 dst_sel:DWORD dst_unused:UNUSED_PAD src0_sel:WORD_0 src1_sel:DWORD
	v_and_b32_e32 v30, 0xff000000, v30
	v_and_b32_e32 v31, 0xff, v31
	v_or3_b32 v31, 0, 0, v31
	v_or3_b32 v30, v33, v30, 0
	v_cmp_eq_u16_sdwa s[48:49], v32, v35 src0_sel:BYTE_0 src1_sel:DWORD
	s_and_saveexec_b64 s[4:5], s[48:49]
	s_cbranch_execz .LBB158_109
; %bb.112:                              ;   in Loop: Header=BB158_110 Depth=1
	s_mov_b64 s[48:49], 0
.LBB158_113:                            ;   Parent Loop BB158_110 Depth=1
                                        ; =>  This Inner Loop Header: Depth=2
	;;#ASMSTART
	global_load_dwordx4 v[30:33], v[36:37] off glc	
s_waitcnt vmcnt(0)
	;;#ASMEND
	v_cmp_ne_u16_sdwa s[54:55], v32, v35 src0_sel:BYTE_0 src1_sel:DWORD
	s_or_b64 s[48:49], s[54:55], s[48:49]
	s_andn2_b64 exec, exec, s[48:49]
	s_cbranch_execnz .LBB158_113
; %bb.114:                              ;   in Loop: Header=BB158_110 Depth=1
	s_or_b64 exec, exec, s[48:49]
	v_and_b32_e32 v31, 0xff, v31
	s_branch .LBB158_109
.LBB158_115:                            ;   in Loop: Header=BB158_110 Depth=1
                                        ; implicit-def: $vgpr31
                                        ; implicit-def: $vgpr30
                                        ; implicit-def: $vgpr32
	s_cbranch_execz .LBB158_110
; %bb.116:
	s_and_saveexec_b64 s[4:5], s[34:35]
	s_cbranch_execz .LBB158_118
; %bb.117:
	s_and_b32 s44, s52, 0xff
	s_cmp_eq_u32 s44, 0
	s_cselect_b64 vcc, -1, 0
	s_bitcmp1_b32 s52, 0
	s_mov_b32 s45, 0
	s_cselect_b64 s[48:49], -1, 0
	s_add_i32 s44, s59, 64
	s_lshl_b64 s[44:45], s[44:45], 4
	v_cndmask_b32_e32 v27, 0, v60, vcc
	s_add_u32 s44, s56, s44
	v_add_u32_e32 v26, v27, v26
	v_and_b32_e32 v27, 1, v46
	s_addc_u32 s45, s57, s45
	v_mov_b32_e32 v29, 0
	v_cndmask_b32_e64 v27, v27, 1, s[48:49]
	v_mov_b32_e32 v28, 2
	v_pk_mov_b32 v[30:31], s[44:45], s[44:45] op_sel:[0,1]
	;;#ASMSTART
	global_store_dwordx4 v[30:31], v[26:29] off	
s_waitcnt vmcnt(0)
	;;#ASMEND
.LBB158_118:
	s_or_b64 exec, exec, s[4:5]
	s_and_b64 exec, exec, s[0:1]
	s_cbranch_execz .LBB158_120
; %bb.119:
	v_mov_b32_e32 v26, 0
	ds_write_b32 v26, v60 offset:24
	ds_write_b8 v26, v46 offset:28
.LBB158_120:
	s_or_b64 exec, exec, s[42:43]
	s_mov_b32 s4, 0
	v_mov_b32_e32 v28, 0
	s_mov_b32 s5, 1
	s_waitcnt lgkmcnt(0)
	v_cndmask_b32_e64 v26, v45, v43, s[34:35]
	v_cndmask_b32_e64 v27, v44, v42, s[34:35]
	s_barrier
	ds_read_b32 v29, v28 offset:24
	v_cmp_gt_u64_e32 vcc, s[4:5], v[38:39]
	v_and_b32_e32 v30, 1, v39
	v_cndmask_b32_e32 v27, 0, v27, vcc
	v_and_b32_e32 v26, 1, v26
	v_cmp_eq_u32_e32 vcc, 1, v30
	v_cndmask_b32_e64 v26, v26, 1, vcc
	v_cndmask_b32_e64 v26, v26, v39, s[0:1]
	v_cmp_eq_u16_sdwa vcc, v26, v28 src0_sel:BYTE_0 src1_sel:DWORD
	v_cndmask_b32_e64 v27, v27, 0, s[0:1]
	s_waitcnt lgkmcnt(0)
	v_cndmask_b32_e32 v26, 0, v29, vcc
	v_add3_u32 v26, v27, v38, v26
	v_cndmask_b32_e64 v27, 0, v26, s[6:7]
	v_add_u32_e32 v27, v27, v2
	v_cndmask_b32_e64 v28, 0, v27, s[8:9]
	v_add_u32_e32 v42, v28, v4
	;; [unrolled: 2-line block ×13, first 2 shown]
	s_branch .LBB158_137
.LBB158_121:
                                        ; implicit-def: $vgpr49
                                        ; implicit-def: $vgpr47
                                        ; implicit-def: $vgpr45
                                        ; implicit-def: $vgpr43
                                        ; implicit-def: $vgpr34_vgpr35_vgpr36_vgpr37
                                        ; implicit-def: $vgpr30_vgpr31_vgpr32_vgpr33
                                        ; implicit-def: $vgpr26_vgpr27_vgpr28_vgpr29
	s_cbranch_execz .LBB158_137
; %bb.122:
	s_cmp_lg_u64 s[60:61], 0
	s_cselect_b32 s9, s51, 0
	s_cselect_b32 s8, s50, 0
	s_cmp_lg_u64 s[8:9], 0
	s_cselect_b64 s[6:7], -1, 0
	s_mov_b32 s4, 0
	s_and_b64 s[10:11], s[0:1], s[6:7]
	s_and_saveexec_b64 s[6:7], s[10:11]
	s_cbranch_execz .LBB158_124
; %bb.123:
	v_mov_b32_e32 v26, 0
	global_load_dword v28, v26, s[8:9]
	global_load_ubyte v29, v26, s[8:9] offset:4
	s_mov_b32 s5, 1
	v_and_b32_e32 v27, 1, v39
	v_cmp_gt_u64_e32 vcc, s[4:5], v[38:39]
	s_waitcnt vmcnt(1)
	v_cndmask_b32_e32 v28, 0, v28, vcc
	s_waitcnt vmcnt(0)
	v_and_b32_e32 v29, 1, v29
	v_cmp_eq_u64_e32 vcc, 0, v[26:27]
	v_add_u32_e32 v38, v28, v38
	v_cndmask_b32_e32 v39, 1, v29, vcc
.LBB158_124:
	s_or_b64 exec, exec, s[6:7]
	s_mov_b32 s5, 1
	v_cmp_gt_u64_e32 vcc, s[4:5], v[2:3]
	v_cndmask_b32_e32 v26, 0, v38, vcc
	v_add_u32_e32 v27, v26, v2
	v_cmp_gt_u64_e64 s[6:7], s[4:5], v[4:5]
	v_cndmask_b32_e64 v26, 0, v27, s[6:7]
	v_add_u32_e32 v42, v26, v4
	v_cmp_gt_u64_e64 s[8:9], s[4:5], v[6:7]
	v_cndmask_b32_e64 v26, 0, v42, s[8:9]
	;; [unrolled: 3-line block ×6, first 2 shown]
	v_add_u32_e32 v45, v26, v14
	v_cmp_gt_u64_e64 s[18:19], s[4:5], v[16:17]
	v_mov_b32_e32 v28, 0
	v_cndmask_b32_e64 v26, 0, v45, s[18:19]
	v_or3_b32 v7, v23, v15, v7
	v_add_u32_e32 v34, v26, v16
	v_cmp_gt_u64_e64 s[20:21], s[4:5], v[18:19]
	v_or3_b32 v9, v25, v17, v9
	v_and_b32_e32 v55, 1, v7
	v_mov_b32_e32 v54, v28
	v_cndmask_b32_e64 v26, 0, v34, s[20:21]
	v_or3_b32 v3, v19, v11, v3
	v_and_b32_e32 v37, 1, v9
	v_mov_b32_e32 v36, v28
	v_cmp_ne_u64_e64 s[30:31], 0, v[54:55]
	v_add_u32_e32 v35, v26, v18
	v_cmp_gt_u64_e64 s[22:23], s[4:5], v[20:21]
	v_or3_b32 v5, v21, v13, v5
	v_and_b32_e32 v29, 1, v3
	v_cndmask_b32_e64 v3, 0, 1, s[30:31]
	v_cmp_ne_u64_e64 s[30:31], 0, v[36:37]
	v_cndmask_b32_e64 v26, 0, v35, s[22:23]
	v_and_b32_e32 v33, 1, v5
	v_mov_b32_e32 v32, v28
	v_cndmask_b32_e64 v5, 0, 1, s[30:31]
	v_add_u32_e32 v46, v26, v20
	v_cmp_gt_u64_e64 s[24:25], s[4:5], v[22:23]
	v_lshlrev_b16_e32 v3, 2, v3
	v_lshlrev_b16_e32 v5, 3, v5
	v_cmp_ne_u64_e64 s[30:31], 0, v[32:33]
	v_cndmask_b32_e64 v26, 0, v46, s[24:25]
	v_or_b32_e32 v3, v5, v3
	v_cndmask_b32_e64 v5, 0, 1, s[30:31]
	v_cmp_ne_u64_e64 s[30:31], 0, v[28:29]
	v_add_u32_e32 v47, v26, v22
	v_cmp_gt_u64_e64 s[26:27], s[4:5], v[24:25]
	v_lshlrev_b16_e32 v5, 1, v5
	v_cndmask_b32_e64 v7, 0, 1, s[30:31]
	v_cndmask_b32_e64 v26, 0, v47, s[26:27]
	v_or_b32_e32 v5, v7, v5
	v_add_u32_e32 v48, v26, v24
	v_cmp_gt_u64_e64 s[28:29], s[4:5], v[40:41]
	v_and_b32_e32 v5, 3, v5
	v_cndmask_b32_e64 v26, 0, v48, s[28:29]
	v_or_b32_e32 v3, v5, v3
	v_add_u32_e32 v49, v26, v40
	v_and_b32_e32 v26, 1, v41
	v_and_b32_e32 v3, 15, v3
	v_cmp_eq_u32_e64 s[4:5], 1, v26
	v_cmp_ne_u16_e64 s[30:31], 0, v3
	s_or_b64 s[4:5], s[4:5], s[30:31]
	v_cndmask_b32_e64 v5, v39, 1, s[4:5]
	v_mbcnt_hi_u32_b32 v3, -1, v52
	v_mov_b32_dpp v9, v49 row_shr:1 row_mask:0xf bank_mask:0xf
	v_mov_b32_dpp v11, v5 row_shr:1 row_mask:0xf bank_mask:0xf
	v_cmp_eq_u32_e64 s[4:5], 0, v5
	v_and_b32_e32 v13, 1, v5
	v_and_b32_e32 v7, 15, v3
	v_cndmask_b32_e64 v9, 0, v9, s[4:5]
	v_and_b32_e32 v11, 1, v11
	v_cmp_eq_u32_e64 s[4:5], 1, v13
	v_cndmask_b32_e64 v11, v11, 1, s[4:5]
	v_cmp_eq_u32_e64 s[4:5], 0, v7
	v_cndmask_b32_e64 v5, v11, v5, s[4:5]
	v_and_b32_e32 v15, 1, v5
	v_cmp_eq_u32_e64 s[30:31], 1, v15
	v_mov_b32_dpp v13, v5 row_shr:2 row_mask:0xf bank_mask:0xf
	v_and_b32_e32 v13, 1, v13
	v_cndmask_b32_e64 v13, v13, 1, s[30:31]
	v_cmp_lt_u32_e64 s[30:31], 1, v7
	v_cndmask_b32_e64 v9, v9, 0, s[4:5]
	v_cmp_eq_u32_e64 s[4:5], 0, v5
	v_cndmask_b32_e64 v5, v5, v13, s[30:31]
	v_add_u32_e32 v9, v49, v9
	v_and_b32_e32 v15, 1, v5
	v_mov_b32_dpp v13, v5 row_shr:4 row_mask:0xf bank_mask:0xf
	v_mov_b32_dpp v11, v9 row_shr:2 row_mask:0xf bank_mask:0xf
	s_and_b64 s[4:5], s[30:31], s[4:5]
	v_and_b32_e32 v13, 1, v13
	v_cmp_eq_u32_e64 s[30:31], 1, v15
	v_cndmask_b32_e64 v11, 0, v11, s[4:5]
	v_cndmask_b32_e64 v13, v13, 1, s[30:31]
	v_cmp_lt_u32_e64 s[30:31], 3, v7
	v_add_u32_e32 v9, v9, v11
	v_cmp_eq_u32_e64 s[4:5], 0, v5
	v_cndmask_b32_e64 v5, v5, v13, s[30:31]
	v_mov_b32_dpp v11, v9 row_shr:4 row_mask:0xf bank_mask:0xf
	s_and_b64 s[4:5], s[30:31], s[4:5]
	v_mov_b32_dpp v13, v5 row_shr:8 row_mask:0xf bank_mask:0xf
	v_and_b32_e32 v15, 1, v5
	v_cndmask_b32_e64 v11, 0, v11, s[4:5]
	v_and_b32_e32 v13, 1, v13
	v_cmp_eq_u32_e64 s[30:31], 1, v15
	v_add_u32_e32 v9, v9, v11
	v_cmp_eq_u32_e64 s[4:5], 0, v5
	v_cndmask_b32_e64 v13, v13, 1, s[30:31]
	v_cmp_lt_u32_e64 s[30:31], 7, v7
	v_mov_b32_dpp v11, v9 row_shr:8 row_mask:0xf bank_mask:0xf
	s_and_b64 s[4:5], s[30:31], s[4:5]
	v_cndmask_b32_e64 v7, 0, v11, s[4:5]
	v_cndmask_b32_e64 v5, v5, v13, s[30:31]
	v_add_u32_e32 v7, v9, v7
	v_cmp_eq_u32_e64 s[4:5], 0, v5
	v_mov_b32_dpp v11, v5 row_bcast:15 row_mask:0xf bank_mask:0xf
	v_mov_b32_dpp v9, v7 row_bcast:15 row_mask:0xf bank_mask:0xf
	v_and_b32_e32 v17, 1, v5
	v_and_b32_e32 v15, 16, v3
	v_cndmask_b32_e64 v9, 0, v9, s[4:5]
	v_and_b32_e32 v11, 1, v11
	v_cmp_eq_u32_e64 s[4:5], 1, v17
	v_bfe_i32 v13, v3, 4, 1
	v_cndmask_b32_e64 v11, v11, 1, s[4:5]
	v_cmp_eq_u32_e64 s[4:5], 0, v15
	v_and_b32_e32 v9, v13, v9
	v_cndmask_b32_e64 v5, v11, v5, s[4:5]
	v_add_u32_e32 v9, v7, v9
	v_and_b32_e32 v13, 1, v5
	v_mov_b32_dpp v7, v5 row_bcast:31 row_mask:0xf bank_mask:0xf
	v_and_b32_e32 v7, 1, v7
	v_cmp_eq_u32_e64 s[30:31], 1, v13
	v_cmp_eq_u32_e64 s[4:5], 0, v5
	v_cndmask_b32_e64 v7, v7, 1, s[30:31]
	v_cmp_lt_u32_e64 s[30:31], 31, v3
	v_mov_b32_dpp v11, v9 row_bcast:31 row_mask:0xf bank_mask:0xf
	s_and_b64 s[4:5], s[30:31], s[4:5]
	v_cndmask_b32_e64 v7, v5, v7, s[30:31]
	v_cndmask_b32_e64 v5, 0, v11, s[4:5]
	v_add_u32_e32 v5, v9, v5
	v_cmp_eq_u32_e64 s[4:5], v51, v0
	s_and_saveexec_b64 s[30:31], s[4:5]
	s_cbranch_execz .LBB158_126
; %bb.125:
	v_lshlrev_b32_e32 v9, 3, v1
	ds_write_b32 v9, v5
	ds_write_b8 v9, v7 offset:4
.LBB158_126:
	s_or_b64 exec, exec, s[30:31]
	v_cmp_gt_u32_e64 s[4:5], 4, v0
	s_waitcnt lgkmcnt(0)
	s_barrier
	s_and_saveexec_b64 s[30:31], s[4:5]
	s_cbranch_execz .LBB158_130
; %bb.127:
	v_lshlrev_b32_e32 v9, 3, v0
	ds_read_b64 v[28:29], v9
	v_and_b32_e32 v11, 3, v3
	v_cmp_ne_u32_e64 s[4:5], 0, v11
	s_waitcnt lgkmcnt(0)
	v_mov_b32_dpp v13, v28 row_shr:1 row_mask:0xf bank_mask:0xf
	v_mov_b32_dpp v17, v29 row_shr:1 row_mask:0xf bank_mask:0xf
	v_mov_b32_e32 v15, v29
	s_and_saveexec_b64 s[34:35], s[4:5]
	s_cbranch_execz .LBB158_129
; %bb.128:
	v_and_b32_e32 v15, 1, v29
	v_and_b32_e32 v17, 1, v17
	v_cmp_eq_u32_e64 s[4:5], 1, v15
	v_mov_b32_e32 v15, 0
	v_cndmask_b32_e64 v17, v17, 1, s[4:5]
	v_cmp_eq_u16_sdwa s[4:5], v29, v15 src0_sel:BYTE_0 src1_sel:DWORD
	v_cndmask_b32_e64 v13, 0, v13, s[4:5]
	v_add_u32_e32 v28, v13, v28
	v_and_b32_e32 v13, 0xffff, v17
	s_movk_i32 s4, 0xff00
	v_and_or_b32 v15, v29, s4, v13
	v_mov_b32_e32 v29, v17
.LBB158_129:
	s_or_b64 exec, exec, s[34:35]
	v_mov_b32_dpp v15, v15 row_shr:2 row_mask:0xf bank_mask:0xf
	v_and_b32_e32 v17, 1, v29
	v_and_b32_e32 v15, 1, v15
	v_cmp_eq_u32_e64 s[4:5], 1, v17
	v_mov_b32_e32 v17, 0
	v_cndmask_b32_e64 v15, v15, 1, s[4:5]
	v_cmp_eq_u16_sdwa s[34:35], v29, v17 src0_sel:BYTE_0 src1_sel:DWORD
	v_cmp_lt_u32_e64 s[4:5], 1, v11
	v_mov_b32_dpp v13, v28 row_shr:2 row_mask:0xf bank_mask:0xf
	v_cndmask_b32_e64 v11, v29, v15, s[4:5]
	s_and_b64 s[4:5], s[4:5], s[34:35]
	v_cndmask_b32_e64 v13, 0, v13, s[4:5]
	v_add_u32_e32 v13, v13, v28
	ds_write_b32 v9, v13
	ds_write_b8 v9, v11 offset:4
.LBB158_130:
	s_or_b64 exec, exec, s[30:31]
	v_cmp_lt_u32_e64 s[4:5], 63, v0
	v_mov_b32_e32 v9, 0
	s_waitcnt lgkmcnt(0)
	s_barrier
	s_and_saveexec_b64 s[30:31], s[4:5]
	s_cbranch_execz .LBB158_132
; %bb.131:
	v_lshl_add_u32 v1, v1, 3, -8
	ds_read_b32 v9, v1
	v_cmp_eq_u32_e64 s[4:5], 0, v7
	s_waitcnt lgkmcnt(0)
	v_cndmask_b32_e64 v1, 0, v9, s[4:5]
	v_add_u32_e32 v5, v1, v5
.LBB158_132:
	s_or_b64 exec, exec, s[30:31]
	v_add_u32_e32 v1, -1, v3
	v_and_b32_e32 v7, 64, v3
	v_cmp_lt_i32_e64 s[4:5], v1, v7
	v_cndmask_b32_e64 v1, v1, v3, s[4:5]
	v_lshlrev_b32_e32 v1, 2, v1
	ds_bpermute_b32 v1, v1, v5
	s_and_saveexec_b64 s[30:31], s[36:37]
	s_cbranch_execz .LBB158_134
; %bb.133:
	v_and_b32_e32 v27, 0xff, v39
	v_mov_b32_e32 v26, 0
	v_cmp_eq_u32_e64 s[4:5], 0, v3
	s_waitcnt lgkmcnt(0)
	v_cndmask_b32_e64 v1, v1, v9, s[4:5]
	v_cmp_eq_u64_e64 s[4:5], 0, v[26:27]
	v_cndmask_b32_e64 v1, 0, v1, s[4:5]
	v_add_u32_e32 v38, v1, v38
	v_cndmask_b32_e32 v1, 0, v38, vcc
	v_add_u32_e32 v27, v1, v2
	v_cndmask_b32_e64 v1, 0, v27, s[6:7]
	v_add_u32_e32 v42, v1, v4
	v_cndmask_b32_e64 v1, 0, v42, s[8:9]
	;; [unrolled: 2-line block ×12, first 2 shown]
	v_add_u32_e32 v49, v1, v40
	;;#ASMSTART
	;;#ASMEND
.LBB158_134:
	s_or_b64 exec, exec, s[30:31]
	s_and_saveexec_b64 s[4:5], s[0:1]
	s_cbranch_execz .LBB158_136
; %bb.135:
	v_mov_b32_e32 v5, 0
	ds_read_b32 v2, v5 offset:24
	ds_read_u8 v3, v5 offset:28
	s_add_u32 s0, s56, 0x400
	s_addc_u32 s1, s57, 0
	v_mov_b32_e32 v4, 2
	v_pk_mov_b32 v[6:7], s[0:1], s[0:1] op_sel:[0,1]
	s_waitcnt lgkmcnt(0)
	;;#ASMSTART
	global_store_dwordx4 v[6:7], v[2:5] off	
s_waitcnt vmcnt(0)
	;;#ASMEND
.LBB158_136:
	s_or_b64 exec, exec, s[4:5]
	v_mov_b32_e32 v26, v38
.LBB158_137:
	s_add_u32 s0, s46, s38
	s_addc_u32 s1, s47, s39
	s_add_u32 s4, s0, s40
	s_waitcnt lgkmcnt(0)
	v_mul_u32_u24_e32 v1, 14, v0
	s_addc_u32 s5, s1, s41
	s_and_b64 vcc, exec, s[2:3]
	v_lshlrev_b32_e32 v2, 2, v1
	s_cbranch_vccz .LBB158_165
; %bb.138:
	s_movk_i32 s0, 0xffcc
	v_mad_i32_i24 v3, v0, s0, v2
	s_barrier
	ds_write2_b64 v2, v[26:27], v[42:43] offset1:1
	ds_write2_b64 v2, v[30:31], v[44:45] offset0:2 offset1:3
	ds_write2_b64 v2, v[34:35], v[46:47] offset0:4 offset1:5
	ds_write_b64 v2, v[48:49] offset:48
	s_waitcnt lgkmcnt(0)
	s_barrier
	ds_read2st64_b32 v[16:17], v3 offset0:4 offset1:8
	ds_read2st64_b32 v[14:15], v3 offset0:12 offset1:16
	;; [unrolled: 1-line block ×6, first 2 shown]
	ds_read_b32 v3, v3 offset:13312
	v_mov_b32_e32 v7, s5
	v_add_co_u32_e32 v6, vcc, s4, v50
	s_add_i32 s33, s33, s58
	v_addc_co_u32_e32 v7, vcc, 0, v7, vcc
	v_mov_b32_e32 v1, 0
	v_cmp_gt_u32_e32 vcc, s33, v0
	s_and_saveexec_b64 s[0:1], vcc
	s_cbranch_execz .LBB158_140
; %bb.139:
	v_mul_i32_i24_e32 v18, 0xffffffcc, v0
	v_add_u32_e32 v18, v2, v18
	ds_read_b32 v18, v18
	s_waitcnt lgkmcnt(0)
	flat_store_dword v[6:7], v18
.LBB158_140:
	s_or_b64 exec, exec, s[0:1]
	v_or_b32_e32 v18, 0x100, v0
	v_cmp_gt_u32_e32 vcc, s33, v18
	s_and_saveexec_b64 s[0:1], vcc
	s_cbranch_execz .LBB158_142
; %bb.141:
	s_waitcnt lgkmcnt(0)
	flat_store_dword v[6:7], v16 offset:1024
.LBB158_142:
	s_or_b64 exec, exec, s[0:1]
	s_waitcnt lgkmcnt(0)
	v_or_b32_e32 v16, 0x200, v0
	v_cmp_gt_u32_e32 vcc, s33, v16
	s_and_saveexec_b64 s[0:1], vcc
	s_cbranch_execz .LBB158_144
; %bb.143:
	flat_store_dword v[6:7], v17 offset:2048
.LBB158_144:
	s_or_b64 exec, exec, s[0:1]
	v_or_b32_e32 v16, 0x300, v0
	v_cmp_gt_u32_e32 vcc, s33, v16
	s_and_saveexec_b64 s[0:1], vcc
	s_cbranch_execz .LBB158_146
; %bb.145:
	flat_store_dword v[6:7], v14 offset:3072
.LBB158_146:
	s_or_b64 exec, exec, s[0:1]
	v_or_b32_e32 v14, 0x400, v0
	v_cmp_gt_u32_e32 vcc, s33, v14
	s_and_saveexec_b64 s[0:1], vcc
	s_cbranch_execz .LBB158_148
; %bb.147:
	v_add_co_u32_e32 v16, vcc, 0x1000, v6
	v_addc_co_u32_e32 v17, vcc, 0, v7, vcc
	flat_store_dword v[16:17], v15
.LBB158_148:
	s_or_b64 exec, exec, s[0:1]
	v_or_b32_e32 v14, 0x500, v0
	v_cmp_gt_u32_e32 vcc, s33, v14
	s_and_saveexec_b64 s[0:1], vcc
	s_cbranch_execz .LBB158_150
; %bb.149:
	v_add_co_u32_e32 v14, vcc, 0x1000, v6
	v_addc_co_u32_e32 v15, vcc, 0, v7, vcc
	flat_store_dword v[14:15], v12 offset:1024
.LBB158_150:
	s_or_b64 exec, exec, s[0:1]
	v_or_b32_e32 v12, 0x600, v0
	v_cmp_gt_u32_e32 vcc, s33, v12
	s_and_saveexec_b64 s[0:1], vcc
	s_cbranch_execz .LBB158_152
; %bb.151:
	v_add_co_u32_e32 v14, vcc, 0x1000, v6
	v_addc_co_u32_e32 v15, vcc, 0, v7, vcc
	flat_store_dword v[14:15], v13 offset:2048
.LBB158_152:
	;; [unrolled: 10-line block ×3, first 2 shown]
	s_or_b64 exec, exec, s[0:1]
	v_or_b32_e32 v10, 0x800, v0
	v_cmp_gt_u32_e32 vcc, s33, v10
	s_and_saveexec_b64 s[0:1], vcc
	s_cbranch_execz .LBB158_156
; %bb.155:
	v_add_co_u32_e32 v12, vcc, 0x2000, v6
	v_addc_co_u32_e32 v13, vcc, 0, v7, vcc
	flat_store_dword v[12:13], v11
.LBB158_156:
	s_or_b64 exec, exec, s[0:1]
	v_or_b32_e32 v10, 0x900, v0
	v_cmp_gt_u32_e32 vcc, s33, v10
	s_and_saveexec_b64 s[0:1], vcc
	s_cbranch_execz .LBB158_158
; %bb.157:
	v_add_co_u32_e32 v10, vcc, 0x2000, v6
	v_addc_co_u32_e32 v11, vcc, 0, v7, vcc
	flat_store_dword v[10:11], v8 offset:1024
.LBB158_158:
	s_or_b64 exec, exec, s[0:1]
	v_or_b32_e32 v8, 0xa00, v0
	v_cmp_gt_u32_e32 vcc, s33, v8
	s_and_saveexec_b64 s[0:1], vcc
	s_cbranch_execz .LBB158_160
; %bb.159:
	v_add_co_u32_e32 v10, vcc, 0x2000, v6
	v_addc_co_u32_e32 v11, vcc, 0, v7, vcc
	flat_store_dword v[10:11], v9 offset:2048
.LBB158_160:
	;; [unrolled: 10-line block ×3, first 2 shown]
	s_or_b64 exec, exec, s[0:1]
	v_or_b32_e32 v4, 0xc00, v0
	v_cmp_gt_u32_e32 vcc, s33, v4
	s_and_saveexec_b64 s[0:1], vcc
	s_cbranch_execz .LBB158_164
; %bb.163:
	v_add_co_u32_e32 v6, vcc, 0x3000, v6
	v_addc_co_u32_e32 v7, vcc, 0, v7, vcc
	flat_store_dword v[6:7], v5
.LBB158_164:
	s_or_b64 exec, exec, s[0:1]
	v_or_b32_e32 v4, 0xd00, v0
	v_cmp_gt_u32_e64 s[0:1], s33, v4
	s_branch .LBB158_167
.LBB158_165:
	s_mov_b64 s[0:1], 0
                                        ; implicit-def: $vgpr3
	s_cbranch_execz .LBB158_167
; %bb.166:
	s_movk_i32 s2, 0xffcc
	s_waitcnt lgkmcnt(0)
	s_barrier
	ds_write2_b64 v2, v[26:27], v[42:43] offset1:1
	ds_write2_b64 v2, v[30:31], v[44:45] offset0:2 offset1:3
	ds_write2_b64 v2, v[34:35], v[46:47] offset0:4 offset1:5
	ds_write_b64 v2, v[48:49] offset:48
	v_mad_i32_i24 v2, v0, s2, v2
	v_mov_b32_e32 v17, s5
	v_add_co_u32_e32 v16, vcc, s4, v50
	s_waitcnt lgkmcnt(0)
	s_barrier
	ds_read2st64_b32 v[4:5], v2 offset1:4
	ds_read2st64_b32 v[6:7], v2 offset0:8 offset1:12
	ds_read2st64_b32 v[8:9], v2 offset0:16 offset1:20
	;; [unrolled: 1-line block ×6, first 2 shown]
	v_addc_co_u32_e32 v17, vcc, 0, v17, vcc
	s_movk_i32 s2, 0x1000
	s_waitcnt lgkmcnt(0)
	flat_store_dword v[16:17], v4
	flat_store_dword v[16:17], v5 offset:1024
	flat_store_dword v[16:17], v6 offset:2048
	;; [unrolled: 1-line block ×3, first 2 shown]
	v_add_co_u32_e32 v4, vcc, s2, v16
	v_addc_co_u32_e32 v5, vcc, 0, v17, vcc
	flat_store_dword v[4:5], v8
	flat_store_dword v[4:5], v9 offset:1024
	flat_store_dword v[4:5], v10 offset:2048
	;; [unrolled: 1-line block ×3, first 2 shown]
	v_add_co_u32_e32 v4, vcc, 0x2000, v16
	v_addc_co_u32_e32 v5, vcc, 0, v17, vcc
	flat_store_dword v[4:5], v12
	flat_store_dword v[4:5], v13 offset:1024
	flat_store_dword v[4:5], v14 offset:2048
	;; [unrolled: 1-line block ×3, first 2 shown]
	v_add_co_u32_e32 v4, vcc, 0x3000, v16
	v_mov_b32_e32 v1, 0
	v_addc_co_u32_e32 v5, vcc, 0, v17, vcc
	s_or_b64 s[0:1], s[0:1], exec
	flat_store_dword v[4:5], v2
.LBB158_167:
	s_and_saveexec_b64 s[2:3], s[0:1]
	s_cbranch_execnz .LBB158_169
; %bb.168:
	s_endpgm
.LBB158_169:
	v_lshlrev_b64 v[0:1], 2, v[0:1]
	v_mov_b32_e32 v2, s5
	v_add_co_u32_e32 v0, vcc, s4, v0
	v_addc_co_u32_e32 v1, vcc, v2, v1, vcc
	v_add_co_u32_e32 v0, vcc, 0x3000, v0
	v_addc_co_u32_e32 v1, vcc, 0, v1, vcc
	flat_store_dword v[0:1], v3 offset:1024
	s_endpgm
.LBB158_170:
	v_mov_b32_e32 v13, s63
	v_add_co_u32_e32 v14, vcc, s62, v12
	v_addc_co_u32_e32 v15, vcc, 0, v13, vcc
	flat_load_dword v13, v[14:15]
	s_or_b64 exec, exec, s[4:5]
                                        ; implicit-def: $vgpr14
	s_and_saveexec_b64 s[4:5], s[8:9]
	s_cbranch_execz .LBB158_41
.LBB158_171:
	v_mov_b32_e32 v15, s63
	v_add_co_u32_e32 v14, vcc, s62, v12
	v_addc_co_u32_e32 v15, vcc, 0, v15, vcc
	flat_load_dword v14, v[14:15] offset:1024
	s_or_b64 exec, exec, s[4:5]
                                        ; implicit-def: $vgpr15
	s_and_saveexec_b64 s[4:5], s[10:11]
	s_cbranch_execz .LBB158_42
.LBB158_172:
	v_mov_b32_e32 v15, s63
	v_add_co_u32_e32 v16, vcc, s62, v12
	v_addc_co_u32_e32 v17, vcc, 0, v15, vcc
	flat_load_dword v15, v[16:17] offset:2048
	s_or_b64 exec, exec, s[4:5]
                                        ; implicit-def: $vgpr16
	s_and_saveexec_b64 s[4:5], s[12:13]
	s_cbranch_execz .LBB158_43
.LBB158_173:
	v_mov_b32_e32 v17, s63
	v_add_co_u32_e32 v16, vcc, s62, v12
	v_addc_co_u32_e32 v17, vcc, 0, v17, vcc
	flat_load_dword v16, v[16:17] offset:3072
	s_or_b64 exec, exec, s[4:5]
                                        ; implicit-def: $vgpr17
	s_and_saveexec_b64 s[4:5], s[14:15]
	s_cbranch_execz .LBB158_44
.LBB158_174:
	v_mov_b32_e32 v17, s63
	v_add_co_u32_e32 v18, vcc, s62, v2
	v_addc_co_u32_e32 v19, vcc, 0, v17, vcc
	flat_load_dword v17, v[18:19]
	s_or_b64 exec, exec, s[4:5]
                                        ; implicit-def: $vgpr2
	s_and_saveexec_b64 s[4:5], s[16:17]
	s_cbranch_execz .LBB158_45
.LBB158_175:
	v_mov_b32_e32 v18, s63
	v_add_co_u32_e32 v2, vcc, s62, v3
	v_addc_co_u32_e32 v3, vcc, 0, v18, vcc
	flat_load_dword v2, v[2:3]
	s_or_b64 exec, exec, s[4:5]
                                        ; implicit-def: $vgpr3
	s_and_saveexec_b64 s[4:5], s[18:19]
	s_cbranch_execz .LBB158_46
.LBB158_176:
	v_mov_b32_e32 v3, s63
	v_add_co_u32_e32 v18, vcc, s62, v4
	v_addc_co_u32_e32 v19, vcc, 0, v3, vcc
	flat_load_dword v3, v[18:19]
	s_or_b64 exec, exec, s[4:5]
                                        ; implicit-def: $vgpr4
	s_and_saveexec_b64 s[4:5], s[20:21]
	s_cbranch_execz .LBB158_47
.LBB158_177:
	v_mov_b32_e32 v18, s63
	v_add_co_u32_e32 v4, vcc, s62, v5
	v_addc_co_u32_e32 v5, vcc, 0, v18, vcc
	flat_load_dword v4, v[4:5]
	s_or_b64 exec, exec, s[4:5]
                                        ; implicit-def: $vgpr5
	s_and_saveexec_b64 s[4:5], s[22:23]
	s_cbranch_execz .LBB158_48
.LBB158_178:
	v_mov_b32_e32 v5, s63
	v_add_co_u32_e32 v18, vcc, s62, v6
	v_addc_co_u32_e32 v19, vcc, 0, v5, vcc
	flat_load_dword v5, v[18:19]
	s_or_b64 exec, exec, s[4:5]
                                        ; implicit-def: $vgpr6
	s_and_saveexec_b64 s[4:5], s[24:25]
	s_cbranch_execz .LBB158_49
.LBB158_179:
	v_mov_b32_e32 v18, s63
	v_add_co_u32_e32 v6, vcc, s62, v7
	v_addc_co_u32_e32 v7, vcc, 0, v18, vcc
	flat_load_dword v6, v[6:7]
	s_or_b64 exec, exec, s[4:5]
                                        ; implicit-def: $vgpr7
	s_and_saveexec_b64 s[4:5], s[26:27]
	s_cbranch_execz .LBB158_50
.LBB158_180:
	v_mov_b32_e32 v7, s63
	v_add_co_u32_e32 v18, vcc, s62, v8
	v_addc_co_u32_e32 v19, vcc, 0, v7, vcc
	flat_load_dword v7, v[18:19]
	s_or_b64 exec, exec, s[4:5]
                                        ; implicit-def: $vgpr8
	s_and_saveexec_b64 s[4:5], s[28:29]
	s_cbranch_execz .LBB158_51
.LBB158_181:
	v_mov_b32_e32 v18, s63
	v_add_co_u32_e32 v8, vcc, s62, v9
	v_addc_co_u32_e32 v9, vcc, 0, v18, vcc
	flat_load_dword v8, v[8:9]
	s_or_b64 exec, exec, s[4:5]
                                        ; implicit-def: $vgpr9
	s_and_saveexec_b64 s[4:5], s[30:31]
	s_cbranch_execz .LBB158_52
.LBB158_182:
	v_mov_b32_e32 v9, s63
	v_add_co_u32_e32 v18, vcc, s62, v10
	v_addc_co_u32_e32 v19, vcc, 0, v9, vcc
	flat_load_dword v9, v[18:19]
	s_or_b64 exec, exec, s[4:5]
                                        ; implicit-def: $vgpr10
	s_and_saveexec_b64 s[4:5], s[34:35]
	s_cbranch_execnz .LBB158_53
	s_branch .LBB158_54
.LBB158_183:
                                        ; implicit-def: $sgpr4_sgpr5
	s_branch .LBB158_36
.LBB158_184:
                                        ; implicit-def: $sgpr4_sgpr5
	s_branch .LBB158_85
	.section	.rodata,"a",@progbits
	.p2align	6, 0x0
	.amdhsa_kernel _ZN7rocprim17ROCPRIM_400000_NS6detail17trampoline_kernelINS0_14default_configENS1_27scan_by_key_config_selectorIiiEEZZNS1_16scan_by_key_implILNS1_25lookback_scan_determinismE0ELb0ES3_N6thrust23THRUST_200600_302600_NS6detail15normal_iteratorINS9_10device_ptrIiEEEESE_SE_iNS9_4plusIvEENS9_8equal_toIvEEiEE10hipError_tPvRmT2_T3_T4_T5_mT6_T7_P12ihipStream_tbENKUlT_T0_E_clISt17integral_constantIbLb0EESY_IbLb1EEEEDaSU_SV_EUlSU_E_NS1_11comp_targetILNS1_3genE4ELNS1_11target_archE910ELNS1_3gpuE8ELNS1_3repE0EEENS1_30default_config_static_selectorELNS0_4arch9wavefront6targetE1EEEvT1_
		.amdhsa_group_segment_fixed_size 16384
		.amdhsa_private_segment_fixed_size 0
		.amdhsa_kernarg_size 112
		.amdhsa_user_sgpr_count 6
		.amdhsa_user_sgpr_private_segment_buffer 1
		.amdhsa_user_sgpr_dispatch_ptr 0
		.amdhsa_user_sgpr_queue_ptr 0
		.amdhsa_user_sgpr_kernarg_segment_ptr 1
		.amdhsa_user_sgpr_dispatch_id 0
		.amdhsa_user_sgpr_flat_scratch_init 0
		.amdhsa_user_sgpr_kernarg_preload_length 0
		.amdhsa_user_sgpr_kernarg_preload_offset 0
		.amdhsa_user_sgpr_private_segment_size 0
		.amdhsa_uses_dynamic_stack 0
		.amdhsa_system_sgpr_private_segment_wavefront_offset 0
		.amdhsa_system_sgpr_workgroup_id_x 1
		.amdhsa_system_sgpr_workgroup_id_y 0
		.amdhsa_system_sgpr_workgroup_id_z 0
		.amdhsa_system_sgpr_workgroup_info 0
		.amdhsa_system_vgpr_workitem_id 0
		.amdhsa_next_free_vgpr 65
		.amdhsa_next_free_sgpr 65
		.amdhsa_accum_offset 68
		.amdhsa_reserve_vcc 1
		.amdhsa_reserve_flat_scratch 0
		.amdhsa_float_round_mode_32 0
		.amdhsa_float_round_mode_16_64 0
		.amdhsa_float_denorm_mode_32 3
		.amdhsa_float_denorm_mode_16_64 3
		.amdhsa_dx10_clamp 1
		.amdhsa_ieee_mode 1
		.amdhsa_fp16_overflow 0
		.amdhsa_tg_split 0
		.amdhsa_exception_fp_ieee_invalid_op 0
		.amdhsa_exception_fp_denorm_src 0
		.amdhsa_exception_fp_ieee_div_zero 0
		.amdhsa_exception_fp_ieee_overflow 0
		.amdhsa_exception_fp_ieee_underflow 0
		.amdhsa_exception_fp_ieee_inexact 0
		.amdhsa_exception_int_div_zero 0
	.end_amdhsa_kernel
	.section	.text._ZN7rocprim17ROCPRIM_400000_NS6detail17trampoline_kernelINS0_14default_configENS1_27scan_by_key_config_selectorIiiEEZZNS1_16scan_by_key_implILNS1_25lookback_scan_determinismE0ELb0ES3_N6thrust23THRUST_200600_302600_NS6detail15normal_iteratorINS9_10device_ptrIiEEEESE_SE_iNS9_4plusIvEENS9_8equal_toIvEEiEE10hipError_tPvRmT2_T3_T4_T5_mT6_T7_P12ihipStream_tbENKUlT_T0_E_clISt17integral_constantIbLb0EESY_IbLb1EEEEDaSU_SV_EUlSU_E_NS1_11comp_targetILNS1_3genE4ELNS1_11target_archE910ELNS1_3gpuE8ELNS1_3repE0EEENS1_30default_config_static_selectorELNS0_4arch9wavefront6targetE1EEEvT1_,"axG",@progbits,_ZN7rocprim17ROCPRIM_400000_NS6detail17trampoline_kernelINS0_14default_configENS1_27scan_by_key_config_selectorIiiEEZZNS1_16scan_by_key_implILNS1_25lookback_scan_determinismE0ELb0ES3_N6thrust23THRUST_200600_302600_NS6detail15normal_iteratorINS9_10device_ptrIiEEEESE_SE_iNS9_4plusIvEENS9_8equal_toIvEEiEE10hipError_tPvRmT2_T3_T4_T5_mT6_T7_P12ihipStream_tbENKUlT_T0_E_clISt17integral_constantIbLb0EESY_IbLb1EEEEDaSU_SV_EUlSU_E_NS1_11comp_targetILNS1_3genE4ELNS1_11target_archE910ELNS1_3gpuE8ELNS1_3repE0EEENS1_30default_config_static_selectorELNS0_4arch9wavefront6targetE1EEEvT1_,comdat
.Lfunc_end158:
	.size	_ZN7rocprim17ROCPRIM_400000_NS6detail17trampoline_kernelINS0_14default_configENS1_27scan_by_key_config_selectorIiiEEZZNS1_16scan_by_key_implILNS1_25lookback_scan_determinismE0ELb0ES3_N6thrust23THRUST_200600_302600_NS6detail15normal_iteratorINS9_10device_ptrIiEEEESE_SE_iNS9_4plusIvEENS9_8equal_toIvEEiEE10hipError_tPvRmT2_T3_T4_T5_mT6_T7_P12ihipStream_tbENKUlT_T0_E_clISt17integral_constantIbLb0EESY_IbLb1EEEEDaSU_SV_EUlSU_E_NS1_11comp_targetILNS1_3genE4ELNS1_11target_archE910ELNS1_3gpuE8ELNS1_3repE0EEENS1_30default_config_static_selectorELNS0_4arch9wavefront6targetE1EEEvT1_, .Lfunc_end158-_ZN7rocprim17ROCPRIM_400000_NS6detail17trampoline_kernelINS0_14default_configENS1_27scan_by_key_config_selectorIiiEEZZNS1_16scan_by_key_implILNS1_25lookback_scan_determinismE0ELb0ES3_N6thrust23THRUST_200600_302600_NS6detail15normal_iteratorINS9_10device_ptrIiEEEESE_SE_iNS9_4plusIvEENS9_8equal_toIvEEiEE10hipError_tPvRmT2_T3_T4_T5_mT6_T7_P12ihipStream_tbENKUlT_T0_E_clISt17integral_constantIbLb0EESY_IbLb1EEEEDaSU_SV_EUlSU_E_NS1_11comp_targetILNS1_3genE4ELNS1_11target_archE910ELNS1_3gpuE8ELNS1_3repE0EEENS1_30default_config_static_selectorELNS0_4arch9wavefront6targetE1EEEvT1_
                                        ; -- End function
	.section	.AMDGPU.csdata,"",@progbits
; Kernel info:
; codeLenInByte = 11024
; NumSgprs: 69
; NumVgprs: 65
; NumAgprs: 0
; TotalNumVgprs: 65
; ScratchSize: 0
; MemoryBound: 0
; FloatMode: 240
; IeeeMode: 1
; LDSByteSize: 16384 bytes/workgroup (compile time only)
; SGPRBlocks: 8
; VGPRBlocks: 8
; NumSGPRsForWavesPerEU: 69
; NumVGPRsForWavesPerEU: 65
; AccumOffset: 68
; Occupancy: 4
; WaveLimiterHint : 1
; COMPUTE_PGM_RSRC2:SCRATCH_EN: 0
; COMPUTE_PGM_RSRC2:USER_SGPR: 6
; COMPUTE_PGM_RSRC2:TRAP_HANDLER: 0
; COMPUTE_PGM_RSRC2:TGID_X_EN: 1
; COMPUTE_PGM_RSRC2:TGID_Y_EN: 0
; COMPUTE_PGM_RSRC2:TGID_Z_EN: 0
; COMPUTE_PGM_RSRC2:TIDIG_COMP_CNT: 0
; COMPUTE_PGM_RSRC3_GFX90A:ACCUM_OFFSET: 16
; COMPUTE_PGM_RSRC3_GFX90A:TG_SPLIT: 0
	.section	.text._ZN7rocprim17ROCPRIM_400000_NS6detail17trampoline_kernelINS0_14default_configENS1_27scan_by_key_config_selectorIiiEEZZNS1_16scan_by_key_implILNS1_25lookback_scan_determinismE0ELb0ES3_N6thrust23THRUST_200600_302600_NS6detail15normal_iteratorINS9_10device_ptrIiEEEESE_SE_iNS9_4plusIvEENS9_8equal_toIvEEiEE10hipError_tPvRmT2_T3_T4_T5_mT6_T7_P12ihipStream_tbENKUlT_T0_E_clISt17integral_constantIbLb0EESY_IbLb1EEEEDaSU_SV_EUlSU_E_NS1_11comp_targetILNS1_3genE3ELNS1_11target_archE908ELNS1_3gpuE7ELNS1_3repE0EEENS1_30default_config_static_selectorELNS0_4arch9wavefront6targetE1EEEvT1_,"axG",@progbits,_ZN7rocprim17ROCPRIM_400000_NS6detail17trampoline_kernelINS0_14default_configENS1_27scan_by_key_config_selectorIiiEEZZNS1_16scan_by_key_implILNS1_25lookback_scan_determinismE0ELb0ES3_N6thrust23THRUST_200600_302600_NS6detail15normal_iteratorINS9_10device_ptrIiEEEESE_SE_iNS9_4plusIvEENS9_8equal_toIvEEiEE10hipError_tPvRmT2_T3_T4_T5_mT6_T7_P12ihipStream_tbENKUlT_T0_E_clISt17integral_constantIbLb0EESY_IbLb1EEEEDaSU_SV_EUlSU_E_NS1_11comp_targetILNS1_3genE3ELNS1_11target_archE908ELNS1_3gpuE7ELNS1_3repE0EEENS1_30default_config_static_selectorELNS0_4arch9wavefront6targetE1EEEvT1_,comdat
	.protected	_ZN7rocprim17ROCPRIM_400000_NS6detail17trampoline_kernelINS0_14default_configENS1_27scan_by_key_config_selectorIiiEEZZNS1_16scan_by_key_implILNS1_25lookback_scan_determinismE0ELb0ES3_N6thrust23THRUST_200600_302600_NS6detail15normal_iteratorINS9_10device_ptrIiEEEESE_SE_iNS9_4plusIvEENS9_8equal_toIvEEiEE10hipError_tPvRmT2_T3_T4_T5_mT6_T7_P12ihipStream_tbENKUlT_T0_E_clISt17integral_constantIbLb0EESY_IbLb1EEEEDaSU_SV_EUlSU_E_NS1_11comp_targetILNS1_3genE3ELNS1_11target_archE908ELNS1_3gpuE7ELNS1_3repE0EEENS1_30default_config_static_selectorELNS0_4arch9wavefront6targetE1EEEvT1_ ; -- Begin function _ZN7rocprim17ROCPRIM_400000_NS6detail17trampoline_kernelINS0_14default_configENS1_27scan_by_key_config_selectorIiiEEZZNS1_16scan_by_key_implILNS1_25lookback_scan_determinismE0ELb0ES3_N6thrust23THRUST_200600_302600_NS6detail15normal_iteratorINS9_10device_ptrIiEEEESE_SE_iNS9_4plusIvEENS9_8equal_toIvEEiEE10hipError_tPvRmT2_T3_T4_T5_mT6_T7_P12ihipStream_tbENKUlT_T0_E_clISt17integral_constantIbLb0EESY_IbLb1EEEEDaSU_SV_EUlSU_E_NS1_11comp_targetILNS1_3genE3ELNS1_11target_archE908ELNS1_3gpuE7ELNS1_3repE0EEENS1_30default_config_static_selectorELNS0_4arch9wavefront6targetE1EEEvT1_
	.globl	_ZN7rocprim17ROCPRIM_400000_NS6detail17trampoline_kernelINS0_14default_configENS1_27scan_by_key_config_selectorIiiEEZZNS1_16scan_by_key_implILNS1_25lookback_scan_determinismE0ELb0ES3_N6thrust23THRUST_200600_302600_NS6detail15normal_iteratorINS9_10device_ptrIiEEEESE_SE_iNS9_4plusIvEENS9_8equal_toIvEEiEE10hipError_tPvRmT2_T3_T4_T5_mT6_T7_P12ihipStream_tbENKUlT_T0_E_clISt17integral_constantIbLb0EESY_IbLb1EEEEDaSU_SV_EUlSU_E_NS1_11comp_targetILNS1_3genE3ELNS1_11target_archE908ELNS1_3gpuE7ELNS1_3repE0EEENS1_30default_config_static_selectorELNS0_4arch9wavefront6targetE1EEEvT1_
	.p2align	8
	.type	_ZN7rocprim17ROCPRIM_400000_NS6detail17trampoline_kernelINS0_14default_configENS1_27scan_by_key_config_selectorIiiEEZZNS1_16scan_by_key_implILNS1_25lookback_scan_determinismE0ELb0ES3_N6thrust23THRUST_200600_302600_NS6detail15normal_iteratorINS9_10device_ptrIiEEEESE_SE_iNS9_4plusIvEENS9_8equal_toIvEEiEE10hipError_tPvRmT2_T3_T4_T5_mT6_T7_P12ihipStream_tbENKUlT_T0_E_clISt17integral_constantIbLb0EESY_IbLb1EEEEDaSU_SV_EUlSU_E_NS1_11comp_targetILNS1_3genE3ELNS1_11target_archE908ELNS1_3gpuE7ELNS1_3repE0EEENS1_30default_config_static_selectorELNS0_4arch9wavefront6targetE1EEEvT1_,@function
_ZN7rocprim17ROCPRIM_400000_NS6detail17trampoline_kernelINS0_14default_configENS1_27scan_by_key_config_selectorIiiEEZZNS1_16scan_by_key_implILNS1_25lookback_scan_determinismE0ELb0ES3_N6thrust23THRUST_200600_302600_NS6detail15normal_iteratorINS9_10device_ptrIiEEEESE_SE_iNS9_4plusIvEENS9_8equal_toIvEEiEE10hipError_tPvRmT2_T3_T4_T5_mT6_T7_P12ihipStream_tbENKUlT_T0_E_clISt17integral_constantIbLb0EESY_IbLb1EEEEDaSU_SV_EUlSU_E_NS1_11comp_targetILNS1_3genE3ELNS1_11target_archE908ELNS1_3gpuE7ELNS1_3repE0EEENS1_30default_config_static_selectorELNS0_4arch9wavefront6targetE1EEEvT1_: ; @_ZN7rocprim17ROCPRIM_400000_NS6detail17trampoline_kernelINS0_14default_configENS1_27scan_by_key_config_selectorIiiEEZZNS1_16scan_by_key_implILNS1_25lookback_scan_determinismE0ELb0ES3_N6thrust23THRUST_200600_302600_NS6detail15normal_iteratorINS9_10device_ptrIiEEEESE_SE_iNS9_4plusIvEENS9_8equal_toIvEEiEE10hipError_tPvRmT2_T3_T4_T5_mT6_T7_P12ihipStream_tbENKUlT_T0_E_clISt17integral_constantIbLb0EESY_IbLb1EEEEDaSU_SV_EUlSU_E_NS1_11comp_targetILNS1_3genE3ELNS1_11target_archE908ELNS1_3gpuE7ELNS1_3repE0EEENS1_30default_config_static_selectorELNS0_4arch9wavefront6targetE1EEEvT1_
; %bb.0:
	.section	.rodata,"a",@progbits
	.p2align	6, 0x0
	.amdhsa_kernel _ZN7rocprim17ROCPRIM_400000_NS6detail17trampoline_kernelINS0_14default_configENS1_27scan_by_key_config_selectorIiiEEZZNS1_16scan_by_key_implILNS1_25lookback_scan_determinismE0ELb0ES3_N6thrust23THRUST_200600_302600_NS6detail15normal_iteratorINS9_10device_ptrIiEEEESE_SE_iNS9_4plusIvEENS9_8equal_toIvEEiEE10hipError_tPvRmT2_T3_T4_T5_mT6_T7_P12ihipStream_tbENKUlT_T0_E_clISt17integral_constantIbLb0EESY_IbLb1EEEEDaSU_SV_EUlSU_E_NS1_11comp_targetILNS1_3genE3ELNS1_11target_archE908ELNS1_3gpuE7ELNS1_3repE0EEENS1_30default_config_static_selectorELNS0_4arch9wavefront6targetE1EEEvT1_
		.amdhsa_group_segment_fixed_size 0
		.amdhsa_private_segment_fixed_size 0
		.amdhsa_kernarg_size 112
		.amdhsa_user_sgpr_count 6
		.amdhsa_user_sgpr_private_segment_buffer 1
		.amdhsa_user_sgpr_dispatch_ptr 0
		.amdhsa_user_sgpr_queue_ptr 0
		.amdhsa_user_sgpr_kernarg_segment_ptr 1
		.amdhsa_user_sgpr_dispatch_id 0
		.amdhsa_user_sgpr_flat_scratch_init 0
		.amdhsa_user_sgpr_kernarg_preload_length 0
		.amdhsa_user_sgpr_kernarg_preload_offset 0
		.amdhsa_user_sgpr_private_segment_size 0
		.amdhsa_uses_dynamic_stack 0
		.amdhsa_system_sgpr_private_segment_wavefront_offset 0
		.amdhsa_system_sgpr_workgroup_id_x 1
		.amdhsa_system_sgpr_workgroup_id_y 0
		.amdhsa_system_sgpr_workgroup_id_z 0
		.amdhsa_system_sgpr_workgroup_info 0
		.amdhsa_system_vgpr_workitem_id 0
		.amdhsa_next_free_vgpr 1
		.amdhsa_next_free_sgpr 0
		.amdhsa_accum_offset 4
		.amdhsa_reserve_vcc 0
		.amdhsa_reserve_flat_scratch 0
		.amdhsa_float_round_mode_32 0
		.amdhsa_float_round_mode_16_64 0
		.amdhsa_float_denorm_mode_32 3
		.amdhsa_float_denorm_mode_16_64 3
		.amdhsa_dx10_clamp 1
		.amdhsa_ieee_mode 1
		.amdhsa_fp16_overflow 0
		.amdhsa_tg_split 0
		.amdhsa_exception_fp_ieee_invalid_op 0
		.amdhsa_exception_fp_denorm_src 0
		.amdhsa_exception_fp_ieee_div_zero 0
		.amdhsa_exception_fp_ieee_overflow 0
		.amdhsa_exception_fp_ieee_underflow 0
		.amdhsa_exception_fp_ieee_inexact 0
		.amdhsa_exception_int_div_zero 0
	.end_amdhsa_kernel
	.section	.text._ZN7rocprim17ROCPRIM_400000_NS6detail17trampoline_kernelINS0_14default_configENS1_27scan_by_key_config_selectorIiiEEZZNS1_16scan_by_key_implILNS1_25lookback_scan_determinismE0ELb0ES3_N6thrust23THRUST_200600_302600_NS6detail15normal_iteratorINS9_10device_ptrIiEEEESE_SE_iNS9_4plusIvEENS9_8equal_toIvEEiEE10hipError_tPvRmT2_T3_T4_T5_mT6_T7_P12ihipStream_tbENKUlT_T0_E_clISt17integral_constantIbLb0EESY_IbLb1EEEEDaSU_SV_EUlSU_E_NS1_11comp_targetILNS1_3genE3ELNS1_11target_archE908ELNS1_3gpuE7ELNS1_3repE0EEENS1_30default_config_static_selectorELNS0_4arch9wavefront6targetE1EEEvT1_,"axG",@progbits,_ZN7rocprim17ROCPRIM_400000_NS6detail17trampoline_kernelINS0_14default_configENS1_27scan_by_key_config_selectorIiiEEZZNS1_16scan_by_key_implILNS1_25lookback_scan_determinismE0ELb0ES3_N6thrust23THRUST_200600_302600_NS6detail15normal_iteratorINS9_10device_ptrIiEEEESE_SE_iNS9_4plusIvEENS9_8equal_toIvEEiEE10hipError_tPvRmT2_T3_T4_T5_mT6_T7_P12ihipStream_tbENKUlT_T0_E_clISt17integral_constantIbLb0EESY_IbLb1EEEEDaSU_SV_EUlSU_E_NS1_11comp_targetILNS1_3genE3ELNS1_11target_archE908ELNS1_3gpuE7ELNS1_3repE0EEENS1_30default_config_static_selectorELNS0_4arch9wavefront6targetE1EEEvT1_,comdat
.Lfunc_end159:
	.size	_ZN7rocprim17ROCPRIM_400000_NS6detail17trampoline_kernelINS0_14default_configENS1_27scan_by_key_config_selectorIiiEEZZNS1_16scan_by_key_implILNS1_25lookback_scan_determinismE0ELb0ES3_N6thrust23THRUST_200600_302600_NS6detail15normal_iteratorINS9_10device_ptrIiEEEESE_SE_iNS9_4plusIvEENS9_8equal_toIvEEiEE10hipError_tPvRmT2_T3_T4_T5_mT6_T7_P12ihipStream_tbENKUlT_T0_E_clISt17integral_constantIbLb0EESY_IbLb1EEEEDaSU_SV_EUlSU_E_NS1_11comp_targetILNS1_3genE3ELNS1_11target_archE908ELNS1_3gpuE7ELNS1_3repE0EEENS1_30default_config_static_selectorELNS0_4arch9wavefront6targetE1EEEvT1_, .Lfunc_end159-_ZN7rocprim17ROCPRIM_400000_NS6detail17trampoline_kernelINS0_14default_configENS1_27scan_by_key_config_selectorIiiEEZZNS1_16scan_by_key_implILNS1_25lookback_scan_determinismE0ELb0ES3_N6thrust23THRUST_200600_302600_NS6detail15normal_iteratorINS9_10device_ptrIiEEEESE_SE_iNS9_4plusIvEENS9_8equal_toIvEEiEE10hipError_tPvRmT2_T3_T4_T5_mT6_T7_P12ihipStream_tbENKUlT_T0_E_clISt17integral_constantIbLb0EESY_IbLb1EEEEDaSU_SV_EUlSU_E_NS1_11comp_targetILNS1_3genE3ELNS1_11target_archE908ELNS1_3gpuE7ELNS1_3repE0EEENS1_30default_config_static_selectorELNS0_4arch9wavefront6targetE1EEEvT1_
                                        ; -- End function
	.section	.AMDGPU.csdata,"",@progbits
; Kernel info:
; codeLenInByte = 0
; NumSgprs: 4
; NumVgprs: 0
; NumAgprs: 0
; TotalNumVgprs: 0
; ScratchSize: 0
; MemoryBound: 0
; FloatMode: 240
; IeeeMode: 1
; LDSByteSize: 0 bytes/workgroup (compile time only)
; SGPRBlocks: 0
; VGPRBlocks: 0
; NumSGPRsForWavesPerEU: 4
; NumVGPRsForWavesPerEU: 1
; AccumOffset: 4
; Occupancy: 8
; WaveLimiterHint : 0
; COMPUTE_PGM_RSRC2:SCRATCH_EN: 0
; COMPUTE_PGM_RSRC2:USER_SGPR: 6
; COMPUTE_PGM_RSRC2:TRAP_HANDLER: 0
; COMPUTE_PGM_RSRC2:TGID_X_EN: 1
; COMPUTE_PGM_RSRC2:TGID_Y_EN: 0
; COMPUTE_PGM_RSRC2:TGID_Z_EN: 0
; COMPUTE_PGM_RSRC2:TIDIG_COMP_CNT: 0
; COMPUTE_PGM_RSRC3_GFX90A:ACCUM_OFFSET: 0
; COMPUTE_PGM_RSRC3_GFX90A:TG_SPLIT: 0
	.section	.text._ZN7rocprim17ROCPRIM_400000_NS6detail17trampoline_kernelINS0_14default_configENS1_27scan_by_key_config_selectorIiiEEZZNS1_16scan_by_key_implILNS1_25lookback_scan_determinismE0ELb0ES3_N6thrust23THRUST_200600_302600_NS6detail15normal_iteratorINS9_10device_ptrIiEEEESE_SE_iNS9_4plusIvEENS9_8equal_toIvEEiEE10hipError_tPvRmT2_T3_T4_T5_mT6_T7_P12ihipStream_tbENKUlT_T0_E_clISt17integral_constantIbLb0EESY_IbLb1EEEEDaSU_SV_EUlSU_E_NS1_11comp_targetILNS1_3genE2ELNS1_11target_archE906ELNS1_3gpuE6ELNS1_3repE0EEENS1_30default_config_static_selectorELNS0_4arch9wavefront6targetE1EEEvT1_,"axG",@progbits,_ZN7rocprim17ROCPRIM_400000_NS6detail17trampoline_kernelINS0_14default_configENS1_27scan_by_key_config_selectorIiiEEZZNS1_16scan_by_key_implILNS1_25lookback_scan_determinismE0ELb0ES3_N6thrust23THRUST_200600_302600_NS6detail15normal_iteratorINS9_10device_ptrIiEEEESE_SE_iNS9_4plusIvEENS9_8equal_toIvEEiEE10hipError_tPvRmT2_T3_T4_T5_mT6_T7_P12ihipStream_tbENKUlT_T0_E_clISt17integral_constantIbLb0EESY_IbLb1EEEEDaSU_SV_EUlSU_E_NS1_11comp_targetILNS1_3genE2ELNS1_11target_archE906ELNS1_3gpuE6ELNS1_3repE0EEENS1_30default_config_static_selectorELNS0_4arch9wavefront6targetE1EEEvT1_,comdat
	.protected	_ZN7rocprim17ROCPRIM_400000_NS6detail17trampoline_kernelINS0_14default_configENS1_27scan_by_key_config_selectorIiiEEZZNS1_16scan_by_key_implILNS1_25lookback_scan_determinismE0ELb0ES3_N6thrust23THRUST_200600_302600_NS6detail15normal_iteratorINS9_10device_ptrIiEEEESE_SE_iNS9_4plusIvEENS9_8equal_toIvEEiEE10hipError_tPvRmT2_T3_T4_T5_mT6_T7_P12ihipStream_tbENKUlT_T0_E_clISt17integral_constantIbLb0EESY_IbLb1EEEEDaSU_SV_EUlSU_E_NS1_11comp_targetILNS1_3genE2ELNS1_11target_archE906ELNS1_3gpuE6ELNS1_3repE0EEENS1_30default_config_static_selectorELNS0_4arch9wavefront6targetE1EEEvT1_ ; -- Begin function _ZN7rocprim17ROCPRIM_400000_NS6detail17trampoline_kernelINS0_14default_configENS1_27scan_by_key_config_selectorIiiEEZZNS1_16scan_by_key_implILNS1_25lookback_scan_determinismE0ELb0ES3_N6thrust23THRUST_200600_302600_NS6detail15normal_iteratorINS9_10device_ptrIiEEEESE_SE_iNS9_4plusIvEENS9_8equal_toIvEEiEE10hipError_tPvRmT2_T3_T4_T5_mT6_T7_P12ihipStream_tbENKUlT_T0_E_clISt17integral_constantIbLb0EESY_IbLb1EEEEDaSU_SV_EUlSU_E_NS1_11comp_targetILNS1_3genE2ELNS1_11target_archE906ELNS1_3gpuE6ELNS1_3repE0EEENS1_30default_config_static_selectorELNS0_4arch9wavefront6targetE1EEEvT1_
	.globl	_ZN7rocprim17ROCPRIM_400000_NS6detail17trampoline_kernelINS0_14default_configENS1_27scan_by_key_config_selectorIiiEEZZNS1_16scan_by_key_implILNS1_25lookback_scan_determinismE0ELb0ES3_N6thrust23THRUST_200600_302600_NS6detail15normal_iteratorINS9_10device_ptrIiEEEESE_SE_iNS9_4plusIvEENS9_8equal_toIvEEiEE10hipError_tPvRmT2_T3_T4_T5_mT6_T7_P12ihipStream_tbENKUlT_T0_E_clISt17integral_constantIbLb0EESY_IbLb1EEEEDaSU_SV_EUlSU_E_NS1_11comp_targetILNS1_3genE2ELNS1_11target_archE906ELNS1_3gpuE6ELNS1_3repE0EEENS1_30default_config_static_selectorELNS0_4arch9wavefront6targetE1EEEvT1_
	.p2align	8
	.type	_ZN7rocprim17ROCPRIM_400000_NS6detail17trampoline_kernelINS0_14default_configENS1_27scan_by_key_config_selectorIiiEEZZNS1_16scan_by_key_implILNS1_25lookback_scan_determinismE0ELb0ES3_N6thrust23THRUST_200600_302600_NS6detail15normal_iteratorINS9_10device_ptrIiEEEESE_SE_iNS9_4plusIvEENS9_8equal_toIvEEiEE10hipError_tPvRmT2_T3_T4_T5_mT6_T7_P12ihipStream_tbENKUlT_T0_E_clISt17integral_constantIbLb0EESY_IbLb1EEEEDaSU_SV_EUlSU_E_NS1_11comp_targetILNS1_3genE2ELNS1_11target_archE906ELNS1_3gpuE6ELNS1_3repE0EEENS1_30default_config_static_selectorELNS0_4arch9wavefront6targetE1EEEvT1_,@function
_ZN7rocprim17ROCPRIM_400000_NS6detail17trampoline_kernelINS0_14default_configENS1_27scan_by_key_config_selectorIiiEEZZNS1_16scan_by_key_implILNS1_25lookback_scan_determinismE0ELb0ES3_N6thrust23THRUST_200600_302600_NS6detail15normal_iteratorINS9_10device_ptrIiEEEESE_SE_iNS9_4plusIvEENS9_8equal_toIvEEiEE10hipError_tPvRmT2_T3_T4_T5_mT6_T7_P12ihipStream_tbENKUlT_T0_E_clISt17integral_constantIbLb0EESY_IbLb1EEEEDaSU_SV_EUlSU_E_NS1_11comp_targetILNS1_3genE2ELNS1_11target_archE906ELNS1_3gpuE6ELNS1_3repE0EEENS1_30default_config_static_selectorELNS0_4arch9wavefront6targetE1EEEvT1_: ; @_ZN7rocprim17ROCPRIM_400000_NS6detail17trampoline_kernelINS0_14default_configENS1_27scan_by_key_config_selectorIiiEEZZNS1_16scan_by_key_implILNS1_25lookback_scan_determinismE0ELb0ES3_N6thrust23THRUST_200600_302600_NS6detail15normal_iteratorINS9_10device_ptrIiEEEESE_SE_iNS9_4plusIvEENS9_8equal_toIvEEiEE10hipError_tPvRmT2_T3_T4_T5_mT6_T7_P12ihipStream_tbENKUlT_T0_E_clISt17integral_constantIbLb0EESY_IbLb1EEEEDaSU_SV_EUlSU_E_NS1_11comp_targetILNS1_3genE2ELNS1_11target_archE906ELNS1_3gpuE6ELNS1_3repE0EEENS1_30default_config_static_selectorELNS0_4arch9wavefront6targetE1EEEvT1_
; %bb.0:
	.section	.rodata,"a",@progbits
	.p2align	6, 0x0
	.amdhsa_kernel _ZN7rocprim17ROCPRIM_400000_NS6detail17trampoline_kernelINS0_14default_configENS1_27scan_by_key_config_selectorIiiEEZZNS1_16scan_by_key_implILNS1_25lookback_scan_determinismE0ELb0ES3_N6thrust23THRUST_200600_302600_NS6detail15normal_iteratorINS9_10device_ptrIiEEEESE_SE_iNS9_4plusIvEENS9_8equal_toIvEEiEE10hipError_tPvRmT2_T3_T4_T5_mT6_T7_P12ihipStream_tbENKUlT_T0_E_clISt17integral_constantIbLb0EESY_IbLb1EEEEDaSU_SV_EUlSU_E_NS1_11comp_targetILNS1_3genE2ELNS1_11target_archE906ELNS1_3gpuE6ELNS1_3repE0EEENS1_30default_config_static_selectorELNS0_4arch9wavefront6targetE1EEEvT1_
		.amdhsa_group_segment_fixed_size 0
		.amdhsa_private_segment_fixed_size 0
		.amdhsa_kernarg_size 112
		.amdhsa_user_sgpr_count 6
		.amdhsa_user_sgpr_private_segment_buffer 1
		.amdhsa_user_sgpr_dispatch_ptr 0
		.amdhsa_user_sgpr_queue_ptr 0
		.amdhsa_user_sgpr_kernarg_segment_ptr 1
		.amdhsa_user_sgpr_dispatch_id 0
		.amdhsa_user_sgpr_flat_scratch_init 0
		.amdhsa_user_sgpr_kernarg_preload_length 0
		.amdhsa_user_sgpr_kernarg_preload_offset 0
		.amdhsa_user_sgpr_private_segment_size 0
		.amdhsa_uses_dynamic_stack 0
		.amdhsa_system_sgpr_private_segment_wavefront_offset 0
		.amdhsa_system_sgpr_workgroup_id_x 1
		.amdhsa_system_sgpr_workgroup_id_y 0
		.amdhsa_system_sgpr_workgroup_id_z 0
		.amdhsa_system_sgpr_workgroup_info 0
		.amdhsa_system_vgpr_workitem_id 0
		.amdhsa_next_free_vgpr 1
		.amdhsa_next_free_sgpr 0
		.amdhsa_accum_offset 4
		.amdhsa_reserve_vcc 0
		.amdhsa_reserve_flat_scratch 0
		.amdhsa_float_round_mode_32 0
		.amdhsa_float_round_mode_16_64 0
		.amdhsa_float_denorm_mode_32 3
		.amdhsa_float_denorm_mode_16_64 3
		.amdhsa_dx10_clamp 1
		.amdhsa_ieee_mode 1
		.amdhsa_fp16_overflow 0
		.amdhsa_tg_split 0
		.amdhsa_exception_fp_ieee_invalid_op 0
		.amdhsa_exception_fp_denorm_src 0
		.amdhsa_exception_fp_ieee_div_zero 0
		.amdhsa_exception_fp_ieee_overflow 0
		.amdhsa_exception_fp_ieee_underflow 0
		.amdhsa_exception_fp_ieee_inexact 0
		.amdhsa_exception_int_div_zero 0
	.end_amdhsa_kernel
	.section	.text._ZN7rocprim17ROCPRIM_400000_NS6detail17trampoline_kernelINS0_14default_configENS1_27scan_by_key_config_selectorIiiEEZZNS1_16scan_by_key_implILNS1_25lookback_scan_determinismE0ELb0ES3_N6thrust23THRUST_200600_302600_NS6detail15normal_iteratorINS9_10device_ptrIiEEEESE_SE_iNS9_4plusIvEENS9_8equal_toIvEEiEE10hipError_tPvRmT2_T3_T4_T5_mT6_T7_P12ihipStream_tbENKUlT_T0_E_clISt17integral_constantIbLb0EESY_IbLb1EEEEDaSU_SV_EUlSU_E_NS1_11comp_targetILNS1_3genE2ELNS1_11target_archE906ELNS1_3gpuE6ELNS1_3repE0EEENS1_30default_config_static_selectorELNS0_4arch9wavefront6targetE1EEEvT1_,"axG",@progbits,_ZN7rocprim17ROCPRIM_400000_NS6detail17trampoline_kernelINS0_14default_configENS1_27scan_by_key_config_selectorIiiEEZZNS1_16scan_by_key_implILNS1_25lookback_scan_determinismE0ELb0ES3_N6thrust23THRUST_200600_302600_NS6detail15normal_iteratorINS9_10device_ptrIiEEEESE_SE_iNS9_4plusIvEENS9_8equal_toIvEEiEE10hipError_tPvRmT2_T3_T4_T5_mT6_T7_P12ihipStream_tbENKUlT_T0_E_clISt17integral_constantIbLb0EESY_IbLb1EEEEDaSU_SV_EUlSU_E_NS1_11comp_targetILNS1_3genE2ELNS1_11target_archE906ELNS1_3gpuE6ELNS1_3repE0EEENS1_30default_config_static_selectorELNS0_4arch9wavefront6targetE1EEEvT1_,comdat
.Lfunc_end160:
	.size	_ZN7rocprim17ROCPRIM_400000_NS6detail17trampoline_kernelINS0_14default_configENS1_27scan_by_key_config_selectorIiiEEZZNS1_16scan_by_key_implILNS1_25lookback_scan_determinismE0ELb0ES3_N6thrust23THRUST_200600_302600_NS6detail15normal_iteratorINS9_10device_ptrIiEEEESE_SE_iNS9_4plusIvEENS9_8equal_toIvEEiEE10hipError_tPvRmT2_T3_T4_T5_mT6_T7_P12ihipStream_tbENKUlT_T0_E_clISt17integral_constantIbLb0EESY_IbLb1EEEEDaSU_SV_EUlSU_E_NS1_11comp_targetILNS1_3genE2ELNS1_11target_archE906ELNS1_3gpuE6ELNS1_3repE0EEENS1_30default_config_static_selectorELNS0_4arch9wavefront6targetE1EEEvT1_, .Lfunc_end160-_ZN7rocprim17ROCPRIM_400000_NS6detail17trampoline_kernelINS0_14default_configENS1_27scan_by_key_config_selectorIiiEEZZNS1_16scan_by_key_implILNS1_25lookback_scan_determinismE0ELb0ES3_N6thrust23THRUST_200600_302600_NS6detail15normal_iteratorINS9_10device_ptrIiEEEESE_SE_iNS9_4plusIvEENS9_8equal_toIvEEiEE10hipError_tPvRmT2_T3_T4_T5_mT6_T7_P12ihipStream_tbENKUlT_T0_E_clISt17integral_constantIbLb0EESY_IbLb1EEEEDaSU_SV_EUlSU_E_NS1_11comp_targetILNS1_3genE2ELNS1_11target_archE906ELNS1_3gpuE6ELNS1_3repE0EEENS1_30default_config_static_selectorELNS0_4arch9wavefront6targetE1EEEvT1_
                                        ; -- End function
	.section	.AMDGPU.csdata,"",@progbits
; Kernel info:
; codeLenInByte = 0
; NumSgprs: 4
; NumVgprs: 0
; NumAgprs: 0
; TotalNumVgprs: 0
; ScratchSize: 0
; MemoryBound: 0
; FloatMode: 240
; IeeeMode: 1
; LDSByteSize: 0 bytes/workgroup (compile time only)
; SGPRBlocks: 0
; VGPRBlocks: 0
; NumSGPRsForWavesPerEU: 4
; NumVGPRsForWavesPerEU: 1
; AccumOffset: 4
; Occupancy: 8
; WaveLimiterHint : 0
; COMPUTE_PGM_RSRC2:SCRATCH_EN: 0
; COMPUTE_PGM_RSRC2:USER_SGPR: 6
; COMPUTE_PGM_RSRC2:TRAP_HANDLER: 0
; COMPUTE_PGM_RSRC2:TGID_X_EN: 1
; COMPUTE_PGM_RSRC2:TGID_Y_EN: 0
; COMPUTE_PGM_RSRC2:TGID_Z_EN: 0
; COMPUTE_PGM_RSRC2:TIDIG_COMP_CNT: 0
; COMPUTE_PGM_RSRC3_GFX90A:ACCUM_OFFSET: 0
; COMPUTE_PGM_RSRC3_GFX90A:TG_SPLIT: 0
	.section	.text._ZN7rocprim17ROCPRIM_400000_NS6detail17trampoline_kernelINS0_14default_configENS1_27scan_by_key_config_selectorIiiEEZZNS1_16scan_by_key_implILNS1_25lookback_scan_determinismE0ELb0ES3_N6thrust23THRUST_200600_302600_NS6detail15normal_iteratorINS9_10device_ptrIiEEEESE_SE_iNS9_4plusIvEENS9_8equal_toIvEEiEE10hipError_tPvRmT2_T3_T4_T5_mT6_T7_P12ihipStream_tbENKUlT_T0_E_clISt17integral_constantIbLb0EESY_IbLb1EEEEDaSU_SV_EUlSU_E_NS1_11comp_targetILNS1_3genE10ELNS1_11target_archE1200ELNS1_3gpuE4ELNS1_3repE0EEENS1_30default_config_static_selectorELNS0_4arch9wavefront6targetE1EEEvT1_,"axG",@progbits,_ZN7rocprim17ROCPRIM_400000_NS6detail17trampoline_kernelINS0_14default_configENS1_27scan_by_key_config_selectorIiiEEZZNS1_16scan_by_key_implILNS1_25lookback_scan_determinismE0ELb0ES3_N6thrust23THRUST_200600_302600_NS6detail15normal_iteratorINS9_10device_ptrIiEEEESE_SE_iNS9_4plusIvEENS9_8equal_toIvEEiEE10hipError_tPvRmT2_T3_T4_T5_mT6_T7_P12ihipStream_tbENKUlT_T0_E_clISt17integral_constantIbLb0EESY_IbLb1EEEEDaSU_SV_EUlSU_E_NS1_11comp_targetILNS1_3genE10ELNS1_11target_archE1200ELNS1_3gpuE4ELNS1_3repE0EEENS1_30default_config_static_selectorELNS0_4arch9wavefront6targetE1EEEvT1_,comdat
	.protected	_ZN7rocprim17ROCPRIM_400000_NS6detail17trampoline_kernelINS0_14default_configENS1_27scan_by_key_config_selectorIiiEEZZNS1_16scan_by_key_implILNS1_25lookback_scan_determinismE0ELb0ES3_N6thrust23THRUST_200600_302600_NS6detail15normal_iteratorINS9_10device_ptrIiEEEESE_SE_iNS9_4plusIvEENS9_8equal_toIvEEiEE10hipError_tPvRmT2_T3_T4_T5_mT6_T7_P12ihipStream_tbENKUlT_T0_E_clISt17integral_constantIbLb0EESY_IbLb1EEEEDaSU_SV_EUlSU_E_NS1_11comp_targetILNS1_3genE10ELNS1_11target_archE1200ELNS1_3gpuE4ELNS1_3repE0EEENS1_30default_config_static_selectorELNS0_4arch9wavefront6targetE1EEEvT1_ ; -- Begin function _ZN7rocprim17ROCPRIM_400000_NS6detail17trampoline_kernelINS0_14default_configENS1_27scan_by_key_config_selectorIiiEEZZNS1_16scan_by_key_implILNS1_25lookback_scan_determinismE0ELb0ES3_N6thrust23THRUST_200600_302600_NS6detail15normal_iteratorINS9_10device_ptrIiEEEESE_SE_iNS9_4plusIvEENS9_8equal_toIvEEiEE10hipError_tPvRmT2_T3_T4_T5_mT6_T7_P12ihipStream_tbENKUlT_T0_E_clISt17integral_constantIbLb0EESY_IbLb1EEEEDaSU_SV_EUlSU_E_NS1_11comp_targetILNS1_3genE10ELNS1_11target_archE1200ELNS1_3gpuE4ELNS1_3repE0EEENS1_30default_config_static_selectorELNS0_4arch9wavefront6targetE1EEEvT1_
	.globl	_ZN7rocprim17ROCPRIM_400000_NS6detail17trampoline_kernelINS0_14default_configENS1_27scan_by_key_config_selectorIiiEEZZNS1_16scan_by_key_implILNS1_25lookback_scan_determinismE0ELb0ES3_N6thrust23THRUST_200600_302600_NS6detail15normal_iteratorINS9_10device_ptrIiEEEESE_SE_iNS9_4plusIvEENS9_8equal_toIvEEiEE10hipError_tPvRmT2_T3_T4_T5_mT6_T7_P12ihipStream_tbENKUlT_T0_E_clISt17integral_constantIbLb0EESY_IbLb1EEEEDaSU_SV_EUlSU_E_NS1_11comp_targetILNS1_3genE10ELNS1_11target_archE1200ELNS1_3gpuE4ELNS1_3repE0EEENS1_30default_config_static_selectorELNS0_4arch9wavefront6targetE1EEEvT1_
	.p2align	8
	.type	_ZN7rocprim17ROCPRIM_400000_NS6detail17trampoline_kernelINS0_14default_configENS1_27scan_by_key_config_selectorIiiEEZZNS1_16scan_by_key_implILNS1_25lookback_scan_determinismE0ELb0ES3_N6thrust23THRUST_200600_302600_NS6detail15normal_iteratorINS9_10device_ptrIiEEEESE_SE_iNS9_4plusIvEENS9_8equal_toIvEEiEE10hipError_tPvRmT2_T3_T4_T5_mT6_T7_P12ihipStream_tbENKUlT_T0_E_clISt17integral_constantIbLb0EESY_IbLb1EEEEDaSU_SV_EUlSU_E_NS1_11comp_targetILNS1_3genE10ELNS1_11target_archE1200ELNS1_3gpuE4ELNS1_3repE0EEENS1_30default_config_static_selectorELNS0_4arch9wavefront6targetE1EEEvT1_,@function
_ZN7rocprim17ROCPRIM_400000_NS6detail17trampoline_kernelINS0_14default_configENS1_27scan_by_key_config_selectorIiiEEZZNS1_16scan_by_key_implILNS1_25lookback_scan_determinismE0ELb0ES3_N6thrust23THRUST_200600_302600_NS6detail15normal_iteratorINS9_10device_ptrIiEEEESE_SE_iNS9_4plusIvEENS9_8equal_toIvEEiEE10hipError_tPvRmT2_T3_T4_T5_mT6_T7_P12ihipStream_tbENKUlT_T0_E_clISt17integral_constantIbLb0EESY_IbLb1EEEEDaSU_SV_EUlSU_E_NS1_11comp_targetILNS1_3genE10ELNS1_11target_archE1200ELNS1_3gpuE4ELNS1_3repE0EEENS1_30default_config_static_selectorELNS0_4arch9wavefront6targetE1EEEvT1_: ; @_ZN7rocprim17ROCPRIM_400000_NS6detail17trampoline_kernelINS0_14default_configENS1_27scan_by_key_config_selectorIiiEEZZNS1_16scan_by_key_implILNS1_25lookback_scan_determinismE0ELb0ES3_N6thrust23THRUST_200600_302600_NS6detail15normal_iteratorINS9_10device_ptrIiEEEESE_SE_iNS9_4plusIvEENS9_8equal_toIvEEiEE10hipError_tPvRmT2_T3_T4_T5_mT6_T7_P12ihipStream_tbENKUlT_T0_E_clISt17integral_constantIbLb0EESY_IbLb1EEEEDaSU_SV_EUlSU_E_NS1_11comp_targetILNS1_3genE10ELNS1_11target_archE1200ELNS1_3gpuE4ELNS1_3repE0EEENS1_30default_config_static_selectorELNS0_4arch9wavefront6targetE1EEEvT1_
; %bb.0:
	.section	.rodata,"a",@progbits
	.p2align	6, 0x0
	.amdhsa_kernel _ZN7rocprim17ROCPRIM_400000_NS6detail17trampoline_kernelINS0_14default_configENS1_27scan_by_key_config_selectorIiiEEZZNS1_16scan_by_key_implILNS1_25lookback_scan_determinismE0ELb0ES3_N6thrust23THRUST_200600_302600_NS6detail15normal_iteratorINS9_10device_ptrIiEEEESE_SE_iNS9_4plusIvEENS9_8equal_toIvEEiEE10hipError_tPvRmT2_T3_T4_T5_mT6_T7_P12ihipStream_tbENKUlT_T0_E_clISt17integral_constantIbLb0EESY_IbLb1EEEEDaSU_SV_EUlSU_E_NS1_11comp_targetILNS1_3genE10ELNS1_11target_archE1200ELNS1_3gpuE4ELNS1_3repE0EEENS1_30default_config_static_selectorELNS0_4arch9wavefront6targetE1EEEvT1_
		.amdhsa_group_segment_fixed_size 0
		.amdhsa_private_segment_fixed_size 0
		.amdhsa_kernarg_size 112
		.amdhsa_user_sgpr_count 6
		.amdhsa_user_sgpr_private_segment_buffer 1
		.amdhsa_user_sgpr_dispatch_ptr 0
		.amdhsa_user_sgpr_queue_ptr 0
		.amdhsa_user_sgpr_kernarg_segment_ptr 1
		.amdhsa_user_sgpr_dispatch_id 0
		.amdhsa_user_sgpr_flat_scratch_init 0
		.amdhsa_user_sgpr_kernarg_preload_length 0
		.amdhsa_user_sgpr_kernarg_preload_offset 0
		.amdhsa_user_sgpr_private_segment_size 0
		.amdhsa_uses_dynamic_stack 0
		.amdhsa_system_sgpr_private_segment_wavefront_offset 0
		.amdhsa_system_sgpr_workgroup_id_x 1
		.amdhsa_system_sgpr_workgroup_id_y 0
		.amdhsa_system_sgpr_workgroup_id_z 0
		.amdhsa_system_sgpr_workgroup_info 0
		.amdhsa_system_vgpr_workitem_id 0
		.amdhsa_next_free_vgpr 1
		.amdhsa_next_free_sgpr 0
		.amdhsa_accum_offset 4
		.amdhsa_reserve_vcc 0
		.amdhsa_reserve_flat_scratch 0
		.amdhsa_float_round_mode_32 0
		.amdhsa_float_round_mode_16_64 0
		.amdhsa_float_denorm_mode_32 3
		.amdhsa_float_denorm_mode_16_64 3
		.amdhsa_dx10_clamp 1
		.amdhsa_ieee_mode 1
		.amdhsa_fp16_overflow 0
		.amdhsa_tg_split 0
		.amdhsa_exception_fp_ieee_invalid_op 0
		.amdhsa_exception_fp_denorm_src 0
		.amdhsa_exception_fp_ieee_div_zero 0
		.amdhsa_exception_fp_ieee_overflow 0
		.amdhsa_exception_fp_ieee_underflow 0
		.amdhsa_exception_fp_ieee_inexact 0
		.amdhsa_exception_int_div_zero 0
	.end_amdhsa_kernel
	.section	.text._ZN7rocprim17ROCPRIM_400000_NS6detail17trampoline_kernelINS0_14default_configENS1_27scan_by_key_config_selectorIiiEEZZNS1_16scan_by_key_implILNS1_25lookback_scan_determinismE0ELb0ES3_N6thrust23THRUST_200600_302600_NS6detail15normal_iteratorINS9_10device_ptrIiEEEESE_SE_iNS9_4plusIvEENS9_8equal_toIvEEiEE10hipError_tPvRmT2_T3_T4_T5_mT6_T7_P12ihipStream_tbENKUlT_T0_E_clISt17integral_constantIbLb0EESY_IbLb1EEEEDaSU_SV_EUlSU_E_NS1_11comp_targetILNS1_3genE10ELNS1_11target_archE1200ELNS1_3gpuE4ELNS1_3repE0EEENS1_30default_config_static_selectorELNS0_4arch9wavefront6targetE1EEEvT1_,"axG",@progbits,_ZN7rocprim17ROCPRIM_400000_NS6detail17trampoline_kernelINS0_14default_configENS1_27scan_by_key_config_selectorIiiEEZZNS1_16scan_by_key_implILNS1_25lookback_scan_determinismE0ELb0ES3_N6thrust23THRUST_200600_302600_NS6detail15normal_iteratorINS9_10device_ptrIiEEEESE_SE_iNS9_4plusIvEENS9_8equal_toIvEEiEE10hipError_tPvRmT2_T3_T4_T5_mT6_T7_P12ihipStream_tbENKUlT_T0_E_clISt17integral_constantIbLb0EESY_IbLb1EEEEDaSU_SV_EUlSU_E_NS1_11comp_targetILNS1_3genE10ELNS1_11target_archE1200ELNS1_3gpuE4ELNS1_3repE0EEENS1_30default_config_static_selectorELNS0_4arch9wavefront6targetE1EEEvT1_,comdat
.Lfunc_end161:
	.size	_ZN7rocprim17ROCPRIM_400000_NS6detail17trampoline_kernelINS0_14default_configENS1_27scan_by_key_config_selectorIiiEEZZNS1_16scan_by_key_implILNS1_25lookback_scan_determinismE0ELb0ES3_N6thrust23THRUST_200600_302600_NS6detail15normal_iteratorINS9_10device_ptrIiEEEESE_SE_iNS9_4plusIvEENS9_8equal_toIvEEiEE10hipError_tPvRmT2_T3_T4_T5_mT6_T7_P12ihipStream_tbENKUlT_T0_E_clISt17integral_constantIbLb0EESY_IbLb1EEEEDaSU_SV_EUlSU_E_NS1_11comp_targetILNS1_3genE10ELNS1_11target_archE1200ELNS1_3gpuE4ELNS1_3repE0EEENS1_30default_config_static_selectorELNS0_4arch9wavefront6targetE1EEEvT1_, .Lfunc_end161-_ZN7rocprim17ROCPRIM_400000_NS6detail17trampoline_kernelINS0_14default_configENS1_27scan_by_key_config_selectorIiiEEZZNS1_16scan_by_key_implILNS1_25lookback_scan_determinismE0ELb0ES3_N6thrust23THRUST_200600_302600_NS6detail15normal_iteratorINS9_10device_ptrIiEEEESE_SE_iNS9_4plusIvEENS9_8equal_toIvEEiEE10hipError_tPvRmT2_T3_T4_T5_mT6_T7_P12ihipStream_tbENKUlT_T0_E_clISt17integral_constantIbLb0EESY_IbLb1EEEEDaSU_SV_EUlSU_E_NS1_11comp_targetILNS1_3genE10ELNS1_11target_archE1200ELNS1_3gpuE4ELNS1_3repE0EEENS1_30default_config_static_selectorELNS0_4arch9wavefront6targetE1EEEvT1_
                                        ; -- End function
	.section	.AMDGPU.csdata,"",@progbits
; Kernel info:
; codeLenInByte = 0
; NumSgprs: 4
; NumVgprs: 0
; NumAgprs: 0
; TotalNumVgprs: 0
; ScratchSize: 0
; MemoryBound: 0
; FloatMode: 240
; IeeeMode: 1
; LDSByteSize: 0 bytes/workgroup (compile time only)
; SGPRBlocks: 0
; VGPRBlocks: 0
; NumSGPRsForWavesPerEU: 4
; NumVGPRsForWavesPerEU: 1
; AccumOffset: 4
; Occupancy: 8
; WaveLimiterHint : 0
; COMPUTE_PGM_RSRC2:SCRATCH_EN: 0
; COMPUTE_PGM_RSRC2:USER_SGPR: 6
; COMPUTE_PGM_RSRC2:TRAP_HANDLER: 0
; COMPUTE_PGM_RSRC2:TGID_X_EN: 1
; COMPUTE_PGM_RSRC2:TGID_Y_EN: 0
; COMPUTE_PGM_RSRC2:TGID_Z_EN: 0
; COMPUTE_PGM_RSRC2:TIDIG_COMP_CNT: 0
; COMPUTE_PGM_RSRC3_GFX90A:ACCUM_OFFSET: 0
; COMPUTE_PGM_RSRC3_GFX90A:TG_SPLIT: 0
	.section	.text._ZN7rocprim17ROCPRIM_400000_NS6detail17trampoline_kernelINS0_14default_configENS1_27scan_by_key_config_selectorIiiEEZZNS1_16scan_by_key_implILNS1_25lookback_scan_determinismE0ELb0ES3_N6thrust23THRUST_200600_302600_NS6detail15normal_iteratorINS9_10device_ptrIiEEEESE_SE_iNS9_4plusIvEENS9_8equal_toIvEEiEE10hipError_tPvRmT2_T3_T4_T5_mT6_T7_P12ihipStream_tbENKUlT_T0_E_clISt17integral_constantIbLb0EESY_IbLb1EEEEDaSU_SV_EUlSU_E_NS1_11comp_targetILNS1_3genE9ELNS1_11target_archE1100ELNS1_3gpuE3ELNS1_3repE0EEENS1_30default_config_static_selectorELNS0_4arch9wavefront6targetE1EEEvT1_,"axG",@progbits,_ZN7rocprim17ROCPRIM_400000_NS6detail17trampoline_kernelINS0_14default_configENS1_27scan_by_key_config_selectorIiiEEZZNS1_16scan_by_key_implILNS1_25lookback_scan_determinismE0ELb0ES3_N6thrust23THRUST_200600_302600_NS6detail15normal_iteratorINS9_10device_ptrIiEEEESE_SE_iNS9_4plusIvEENS9_8equal_toIvEEiEE10hipError_tPvRmT2_T3_T4_T5_mT6_T7_P12ihipStream_tbENKUlT_T0_E_clISt17integral_constantIbLb0EESY_IbLb1EEEEDaSU_SV_EUlSU_E_NS1_11comp_targetILNS1_3genE9ELNS1_11target_archE1100ELNS1_3gpuE3ELNS1_3repE0EEENS1_30default_config_static_selectorELNS0_4arch9wavefront6targetE1EEEvT1_,comdat
	.protected	_ZN7rocprim17ROCPRIM_400000_NS6detail17trampoline_kernelINS0_14default_configENS1_27scan_by_key_config_selectorIiiEEZZNS1_16scan_by_key_implILNS1_25lookback_scan_determinismE0ELb0ES3_N6thrust23THRUST_200600_302600_NS6detail15normal_iteratorINS9_10device_ptrIiEEEESE_SE_iNS9_4plusIvEENS9_8equal_toIvEEiEE10hipError_tPvRmT2_T3_T4_T5_mT6_T7_P12ihipStream_tbENKUlT_T0_E_clISt17integral_constantIbLb0EESY_IbLb1EEEEDaSU_SV_EUlSU_E_NS1_11comp_targetILNS1_3genE9ELNS1_11target_archE1100ELNS1_3gpuE3ELNS1_3repE0EEENS1_30default_config_static_selectorELNS0_4arch9wavefront6targetE1EEEvT1_ ; -- Begin function _ZN7rocprim17ROCPRIM_400000_NS6detail17trampoline_kernelINS0_14default_configENS1_27scan_by_key_config_selectorIiiEEZZNS1_16scan_by_key_implILNS1_25lookback_scan_determinismE0ELb0ES3_N6thrust23THRUST_200600_302600_NS6detail15normal_iteratorINS9_10device_ptrIiEEEESE_SE_iNS9_4plusIvEENS9_8equal_toIvEEiEE10hipError_tPvRmT2_T3_T4_T5_mT6_T7_P12ihipStream_tbENKUlT_T0_E_clISt17integral_constantIbLb0EESY_IbLb1EEEEDaSU_SV_EUlSU_E_NS1_11comp_targetILNS1_3genE9ELNS1_11target_archE1100ELNS1_3gpuE3ELNS1_3repE0EEENS1_30default_config_static_selectorELNS0_4arch9wavefront6targetE1EEEvT1_
	.globl	_ZN7rocprim17ROCPRIM_400000_NS6detail17trampoline_kernelINS0_14default_configENS1_27scan_by_key_config_selectorIiiEEZZNS1_16scan_by_key_implILNS1_25lookback_scan_determinismE0ELb0ES3_N6thrust23THRUST_200600_302600_NS6detail15normal_iteratorINS9_10device_ptrIiEEEESE_SE_iNS9_4plusIvEENS9_8equal_toIvEEiEE10hipError_tPvRmT2_T3_T4_T5_mT6_T7_P12ihipStream_tbENKUlT_T0_E_clISt17integral_constantIbLb0EESY_IbLb1EEEEDaSU_SV_EUlSU_E_NS1_11comp_targetILNS1_3genE9ELNS1_11target_archE1100ELNS1_3gpuE3ELNS1_3repE0EEENS1_30default_config_static_selectorELNS0_4arch9wavefront6targetE1EEEvT1_
	.p2align	8
	.type	_ZN7rocprim17ROCPRIM_400000_NS6detail17trampoline_kernelINS0_14default_configENS1_27scan_by_key_config_selectorIiiEEZZNS1_16scan_by_key_implILNS1_25lookback_scan_determinismE0ELb0ES3_N6thrust23THRUST_200600_302600_NS6detail15normal_iteratorINS9_10device_ptrIiEEEESE_SE_iNS9_4plusIvEENS9_8equal_toIvEEiEE10hipError_tPvRmT2_T3_T4_T5_mT6_T7_P12ihipStream_tbENKUlT_T0_E_clISt17integral_constantIbLb0EESY_IbLb1EEEEDaSU_SV_EUlSU_E_NS1_11comp_targetILNS1_3genE9ELNS1_11target_archE1100ELNS1_3gpuE3ELNS1_3repE0EEENS1_30default_config_static_selectorELNS0_4arch9wavefront6targetE1EEEvT1_,@function
_ZN7rocprim17ROCPRIM_400000_NS6detail17trampoline_kernelINS0_14default_configENS1_27scan_by_key_config_selectorIiiEEZZNS1_16scan_by_key_implILNS1_25lookback_scan_determinismE0ELb0ES3_N6thrust23THRUST_200600_302600_NS6detail15normal_iteratorINS9_10device_ptrIiEEEESE_SE_iNS9_4plusIvEENS9_8equal_toIvEEiEE10hipError_tPvRmT2_T3_T4_T5_mT6_T7_P12ihipStream_tbENKUlT_T0_E_clISt17integral_constantIbLb0EESY_IbLb1EEEEDaSU_SV_EUlSU_E_NS1_11comp_targetILNS1_3genE9ELNS1_11target_archE1100ELNS1_3gpuE3ELNS1_3repE0EEENS1_30default_config_static_selectorELNS0_4arch9wavefront6targetE1EEEvT1_: ; @_ZN7rocprim17ROCPRIM_400000_NS6detail17trampoline_kernelINS0_14default_configENS1_27scan_by_key_config_selectorIiiEEZZNS1_16scan_by_key_implILNS1_25lookback_scan_determinismE0ELb0ES3_N6thrust23THRUST_200600_302600_NS6detail15normal_iteratorINS9_10device_ptrIiEEEESE_SE_iNS9_4plusIvEENS9_8equal_toIvEEiEE10hipError_tPvRmT2_T3_T4_T5_mT6_T7_P12ihipStream_tbENKUlT_T0_E_clISt17integral_constantIbLb0EESY_IbLb1EEEEDaSU_SV_EUlSU_E_NS1_11comp_targetILNS1_3genE9ELNS1_11target_archE1100ELNS1_3gpuE3ELNS1_3repE0EEENS1_30default_config_static_selectorELNS0_4arch9wavefront6targetE1EEEvT1_
; %bb.0:
	.section	.rodata,"a",@progbits
	.p2align	6, 0x0
	.amdhsa_kernel _ZN7rocprim17ROCPRIM_400000_NS6detail17trampoline_kernelINS0_14default_configENS1_27scan_by_key_config_selectorIiiEEZZNS1_16scan_by_key_implILNS1_25lookback_scan_determinismE0ELb0ES3_N6thrust23THRUST_200600_302600_NS6detail15normal_iteratorINS9_10device_ptrIiEEEESE_SE_iNS9_4plusIvEENS9_8equal_toIvEEiEE10hipError_tPvRmT2_T3_T4_T5_mT6_T7_P12ihipStream_tbENKUlT_T0_E_clISt17integral_constantIbLb0EESY_IbLb1EEEEDaSU_SV_EUlSU_E_NS1_11comp_targetILNS1_3genE9ELNS1_11target_archE1100ELNS1_3gpuE3ELNS1_3repE0EEENS1_30default_config_static_selectorELNS0_4arch9wavefront6targetE1EEEvT1_
		.amdhsa_group_segment_fixed_size 0
		.amdhsa_private_segment_fixed_size 0
		.amdhsa_kernarg_size 112
		.amdhsa_user_sgpr_count 6
		.amdhsa_user_sgpr_private_segment_buffer 1
		.amdhsa_user_sgpr_dispatch_ptr 0
		.amdhsa_user_sgpr_queue_ptr 0
		.amdhsa_user_sgpr_kernarg_segment_ptr 1
		.amdhsa_user_sgpr_dispatch_id 0
		.amdhsa_user_sgpr_flat_scratch_init 0
		.amdhsa_user_sgpr_kernarg_preload_length 0
		.amdhsa_user_sgpr_kernarg_preload_offset 0
		.amdhsa_user_sgpr_private_segment_size 0
		.amdhsa_uses_dynamic_stack 0
		.amdhsa_system_sgpr_private_segment_wavefront_offset 0
		.amdhsa_system_sgpr_workgroup_id_x 1
		.amdhsa_system_sgpr_workgroup_id_y 0
		.amdhsa_system_sgpr_workgroup_id_z 0
		.amdhsa_system_sgpr_workgroup_info 0
		.amdhsa_system_vgpr_workitem_id 0
		.amdhsa_next_free_vgpr 1
		.amdhsa_next_free_sgpr 0
		.amdhsa_accum_offset 4
		.amdhsa_reserve_vcc 0
		.amdhsa_reserve_flat_scratch 0
		.amdhsa_float_round_mode_32 0
		.amdhsa_float_round_mode_16_64 0
		.amdhsa_float_denorm_mode_32 3
		.amdhsa_float_denorm_mode_16_64 3
		.amdhsa_dx10_clamp 1
		.amdhsa_ieee_mode 1
		.amdhsa_fp16_overflow 0
		.amdhsa_tg_split 0
		.amdhsa_exception_fp_ieee_invalid_op 0
		.amdhsa_exception_fp_denorm_src 0
		.amdhsa_exception_fp_ieee_div_zero 0
		.amdhsa_exception_fp_ieee_overflow 0
		.amdhsa_exception_fp_ieee_underflow 0
		.amdhsa_exception_fp_ieee_inexact 0
		.amdhsa_exception_int_div_zero 0
	.end_amdhsa_kernel
	.section	.text._ZN7rocprim17ROCPRIM_400000_NS6detail17trampoline_kernelINS0_14default_configENS1_27scan_by_key_config_selectorIiiEEZZNS1_16scan_by_key_implILNS1_25lookback_scan_determinismE0ELb0ES3_N6thrust23THRUST_200600_302600_NS6detail15normal_iteratorINS9_10device_ptrIiEEEESE_SE_iNS9_4plusIvEENS9_8equal_toIvEEiEE10hipError_tPvRmT2_T3_T4_T5_mT6_T7_P12ihipStream_tbENKUlT_T0_E_clISt17integral_constantIbLb0EESY_IbLb1EEEEDaSU_SV_EUlSU_E_NS1_11comp_targetILNS1_3genE9ELNS1_11target_archE1100ELNS1_3gpuE3ELNS1_3repE0EEENS1_30default_config_static_selectorELNS0_4arch9wavefront6targetE1EEEvT1_,"axG",@progbits,_ZN7rocprim17ROCPRIM_400000_NS6detail17trampoline_kernelINS0_14default_configENS1_27scan_by_key_config_selectorIiiEEZZNS1_16scan_by_key_implILNS1_25lookback_scan_determinismE0ELb0ES3_N6thrust23THRUST_200600_302600_NS6detail15normal_iteratorINS9_10device_ptrIiEEEESE_SE_iNS9_4plusIvEENS9_8equal_toIvEEiEE10hipError_tPvRmT2_T3_T4_T5_mT6_T7_P12ihipStream_tbENKUlT_T0_E_clISt17integral_constantIbLb0EESY_IbLb1EEEEDaSU_SV_EUlSU_E_NS1_11comp_targetILNS1_3genE9ELNS1_11target_archE1100ELNS1_3gpuE3ELNS1_3repE0EEENS1_30default_config_static_selectorELNS0_4arch9wavefront6targetE1EEEvT1_,comdat
.Lfunc_end162:
	.size	_ZN7rocprim17ROCPRIM_400000_NS6detail17trampoline_kernelINS0_14default_configENS1_27scan_by_key_config_selectorIiiEEZZNS1_16scan_by_key_implILNS1_25lookback_scan_determinismE0ELb0ES3_N6thrust23THRUST_200600_302600_NS6detail15normal_iteratorINS9_10device_ptrIiEEEESE_SE_iNS9_4plusIvEENS9_8equal_toIvEEiEE10hipError_tPvRmT2_T3_T4_T5_mT6_T7_P12ihipStream_tbENKUlT_T0_E_clISt17integral_constantIbLb0EESY_IbLb1EEEEDaSU_SV_EUlSU_E_NS1_11comp_targetILNS1_3genE9ELNS1_11target_archE1100ELNS1_3gpuE3ELNS1_3repE0EEENS1_30default_config_static_selectorELNS0_4arch9wavefront6targetE1EEEvT1_, .Lfunc_end162-_ZN7rocprim17ROCPRIM_400000_NS6detail17trampoline_kernelINS0_14default_configENS1_27scan_by_key_config_selectorIiiEEZZNS1_16scan_by_key_implILNS1_25lookback_scan_determinismE0ELb0ES3_N6thrust23THRUST_200600_302600_NS6detail15normal_iteratorINS9_10device_ptrIiEEEESE_SE_iNS9_4plusIvEENS9_8equal_toIvEEiEE10hipError_tPvRmT2_T3_T4_T5_mT6_T7_P12ihipStream_tbENKUlT_T0_E_clISt17integral_constantIbLb0EESY_IbLb1EEEEDaSU_SV_EUlSU_E_NS1_11comp_targetILNS1_3genE9ELNS1_11target_archE1100ELNS1_3gpuE3ELNS1_3repE0EEENS1_30default_config_static_selectorELNS0_4arch9wavefront6targetE1EEEvT1_
                                        ; -- End function
	.section	.AMDGPU.csdata,"",@progbits
; Kernel info:
; codeLenInByte = 0
; NumSgprs: 4
; NumVgprs: 0
; NumAgprs: 0
; TotalNumVgprs: 0
; ScratchSize: 0
; MemoryBound: 0
; FloatMode: 240
; IeeeMode: 1
; LDSByteSize: 0 bytes/workgroup (compile time only)
; SGPRBlocks: 0
; VGPRBlocks: 0
; NumSGPRsForWavesPerEU: 4
; NumVGPRsForWavesPerEU: 1
; AccumOffset: 4
; Occupancy: 8
; WaveLimiterHint : 0
; COMPUTE_PGM_RSRC2:SCRATCH_EN: 0
; COMPUTE_PGM_RSRC2:USER_SGPR: 6
; COMPUTE_PGM_RSRC2:TRAP_HANDLER: 0
; COMPUTE_PGM_RSRC2:TGID_X_EN: 1
; COMPUTE_PGM_RSRC2:TGID_Y_EN: 0
; COMPUTE_PGM_RSRC2:TGID_Z_EN: 0
; COMPUTE_PGM_RSRC2:TIDIG_COMP_CNT: 0
; COMPUTE_PGM_RSRC3_GFX90A:ACCUM_OFFSET: 0
; COMPUTE_PGM_RSRC3_GFX90A:TG_SPLIT: 0
	.section	.text._ZN7rocprim17ROCPRIM_400000_NS6detail17trampoline_kernelINS0_14default_configENS1_27scan_by_key_config_selectorIiiEEZZNS1_16scan_by_key_implILNS1_25lookback_scan_determinismE0ELb0ES3_N6thrust23THRUST_200600_302600_NS6detail15normal_iteratorINS9_10device_ptrIiEEEESE_SE_iNS9_4plusIvEENS9_8equal_toIvEEiEE10hipError_tPvRmT2_T3_T4_T5_mT6_T7_P12ihipStream_tbENKUlT_T0_E_clISt17integral_constantIbLb0EESY_IbLb1EEEEDaSU_SV_EUlSU_E_NS1_11comp_targetILNS1_3genE8ELNS1_11target_archE1030ELNS1_3gpuE2ELNS1_3repE0EEENS1_30default_config_static_selectorELNS0_4arch9wavefront6targetE1EEEvT1_,"axG",@progbits,_ZN7rocprim17ROCPRIM_400000_NS6detail17trampoline_kernelINS0_14default_configENS1_27scan_by_key_config_selectorIiiEEZZNS1_16scan_by_key_implILNS1_25lookback_scan_determinismE0ELb0ES3_N6thrust23THRUST_200600_302600_NS6detail15normal_iteratorINS9_10device_ptrIiEEEESE_SE_iNS9_4plusIvEENS9_8equal_toIvEEiEE10hipError_tPvRmT2_T3_T4_T5_mT6_T7_P12ihipStream_tbENKUlT_T0_E_clISt17integral_constantIbLb0EESY_IbLb1EEEEDaSU_SV_EUlSU_E_NS1_11comp_targetILNS1_3genE8ELNS1_11target_archE1030ELNS1_3gpuE2ELNS1_3repE0EEENS1_30default_config_static_selectorELNS0_4arch9wavefront6targetE1EEEvT1_,comdat
	.protected	_ZN7rocprim17ROCPRIM_400000_NS6detail17trampoline_kernelINS0_14default_configENS1_27scan_by_key_config_selectorIiiEEZZNS1_16scan_by_key_implILNS1_25lookback_scan_determinismE0ELb0ES3_N6thrust23THRUST_200600_302600_NS6detail15normal_iteratorINS9_10device_ptrIiEEEESE_SE_iNS9_4plusIvEENS9_8equal_toIvEEiEE10hipError_tPvRmT2_T3_T4_T5_mT6_T7_P12ihipStream_tbENKUlT_T0_E_clISt17integral_constantIbLb0EESY_IbLb1EEEEDaSU_SV_EUlSU_E_NS1_11comp_targetILNS1_3genE8ELNS1_11target_archE1030ELNS1_3gpuE2ELNS1_3repE0EEENS1_30default_config_static_selectorELNS0_4arch9wavefront6targetE1EEEvT1_ ; -- Begin function _ZN7rocprim17ROCPRIM_400000_NS6detail17trampoline_kernelINS0_14default_configENS1_27scan_by_key_config_selectorIiiEEZZNS1_16scan_by_key_implILNS1_25lookback_scan_determinismE0ELb0ES3_N6thrust23THRUST_200600_302600_NS6detail15normal_iteratorINS9_10device_ptrIiEEEESE_SE_iNS9_4plusIvEENS9_8equal_toIvEEiEE10hipError_tPvRmT2_T3_T4_T5_mT6_T7_P12ihipStream_tbENKUlT_T0_E_clISt17integral_constantIbLb0EESY_IbLb1EEEEDaSU_SV_EUlSU_E_NS1_11comp_targetILNS1_3genE8ELNS1_11target_archE1030ELNS1_3gpuE2ELNS1_3repE0EEENS1_30default_config_static_selectorELNS0_4arch9wavefront6targetE1EEEvT1_
	.globl	_ZN7rocprim17ROCPRIM_400000_NS6detail17trampoline_kernelINS0_14default_configENS1_27scan_by_key_config_selectorIiiEEZZNS1_16scan_by_key_implILNS1_25lookback_scan_determinismE0ELb0ES3_N6thrust23THRUST_200600_302600_NS6detail15normal_iteratorINS9_10device_ptrIiEEEESE_SE_iNS9_4plusIvEENS9_8equal_toIvEEiEE10hipError_tPvRmT2_T3_T4_T5_mT6_T7_P12ihipStream_tbENKUlT_T0_E_clISt17integral_constantIbLb0EESY_IbLb1EEEEDaSU_SV_EUlSU_E_NS1_11comp_targetILNS1_3genE8ELNS1_11target_archE1030ELNS1_3gpuE2ELNS1_3repE0EEENS1_30default_config_static_selectorELNS0_4arch9wavefront6targetE1EEEvT1_
	.p2align	8
	.type	_ZN7rocprim17ROCPRIM_400000_NS6detail17trampoline_kernelINS0_14default_configENS1_27scan_by_key_config_selectorIiiEEZZNS1_16scan_by_key_implILNS1_25lookback_scan_determinismE0ELb0ES3_N6thrust23THRUST_200600_302600_NS6detail15normal_iteratorINS9_10device_ptrIiEEEESE_SE_iNS9_4plusIvEENS9_8equal_toIvEEiEE10hipError_tPvRmT2_T3_T4_T5_mT6_T7_P12ihipStream_tbENKUlT_T0_E_clISt17integral_constantIbLb0EESY_IbLb1EEEEDaSU_SV_EUlSU_E_NS1_11comp_targetILNS1_3genE8ELNS1_11target_archE1030ELNS1_3gpuE2ELNS1_3repE0EEENS1_30default_config_static_selectorELNS0_4arch9wavefront6targetE1EEEvT1_,@function
_ZN7rocprim17ROCPRIM_400000_NS6detail17trampoline_kernelINS0_14default_configENS1_27scan_by_key_config_selectorIiiEEZZNS1_16scan_by_key_implILNS1_25lookback_scan_determinismE0ELb0ES3_N6thrust23THRUST_200600_302600_NS6detail15normal_iteratorINS9_10device_ptrIiEEEESE_SE_iNS9_4plusIvEENS9_8equal_toIvEEiEE10hipError_tPvRmT2_T3_T4_T5_mT6_T7_P12ihipStream_tbENKUlT_T0_E_clISt17integral_constantIbLb0EESY_IbLb1EEEEDaSU_SV_EUlSU_E_NS1_11comp_targetILNS1_3genE8ELNS1_11target_archE1030ELNS1_3gpuE2ELNS1_3repE0EEENS1_30default_config_static_selectorELNS0_4arch9wavefront6targetE1EEEvT1_: ; @_ZN7rocprim17ROCPRIM_400000_NS6detail17trampoline_kernelINS0_14default_configENS1_27scan_by_key_config_selectorIiiEEZZNS1_16scan_by_key_implILNS1_25lookback_scan_determinismE0ELb0ES3_N6thrust23THRUST_200600_302600_NS6detail15normal_iteratorINS9_10device_ptrIiEEEESE_SE_iNS9_4plusIvEENS9_8equal_toIvEEiEE10hipError_tPvRmT2_T3_T4_T5_mT6_T7_P12ihipStream_tbENKUlT_T0_E_clISt17integral_constantIbLb0EESY_IbLb1EEEEDaSU_SV_EUlSU_E_NS1_11comp_targetILNS1_3genE8ELNS1_11target_archE1030ELNS1_3gpuE2ELNS1_3repE0EEENS1_30default_config_static_selectorELNS0_4arch9wavefront6targetE1EEEvT1_
; %bb.0:
	.section	.rodata,"a",@progbits
	.p2align	6, 0x0
	.amdhsa_kernel _ZN7rocprim17ROCPRIM_400000_NS6detail17trampoline_kernelINS0_14default_configENS1_27scan_by_key_config_selectorIiiEEZZNS1_16scan_by_key_implILNS1_25lookback_scan_determinismE0ELb0ES3_N6thrust23THRUST_200600_302600_NS6detail15normal_iteratorINS9_10device_ptrIiEEEESE_SE_iNS9_4plusIvEENS9_8equal_toIvEEiEE10hipError_tPvRmT2_T3_T4_T5_mT6_T7_P12ihipStream_tbENKUlT_T0_E_clISt17integral_constantIbLb0EESY_IbLb1EEEEDaSU_SV_EUlSU_E_NS1_11comp_targetILNS1_3genE8ELNS1_11target_archE1030ELNS1_3gpuE2ELNS1_3repE0EEENS1_30default_config_static_selectorELNS0_4arch9wavefront6targetE1EEEvT1_
		.amdhsa_group_segment_fixed_size 0
		.amdhsa_private_segment_fixed_size 0
		.amdhsa_kernarg_size 112
		.amdhsa_user_sgpr_count 6
		.amdhsa_user_sgpr_private_segment_buffer 1
		.amdhsa_user_sgpr_dispatch_ptr 0
		.amdhsa_user_sgpr_queue_ptr 0
		.amdhsa_user_sgpr_kernarg_segment_ptr 1
		.amdhsa_user_sgpr_dispatch_id 0
		.amdhsa_user_sgpr_flat_scratch_init 0
		.amdhsa_user_sgpr_kernarg_preload_length 0
		.amdhsa_user_sgpr_kernarg_preload_offset 0
		.amdhsa_user_sgpr_private_segment_size 0
		.amdhsa_uses_dynamic_stack 0
		.amdhsa_system_sgpr_private_segment_wavefront_offset 0
		.amdhsa_system_sgpr_workgroup_id_x 1
		.amdhsa_system_sgpr_workgroup_id_y 0
		.amdhsa_system_sgpr_workgroup_id_z 0
		.amdhsa_system_sgpr_workgroup_info 0
		.amdhsa_system_vgpr_workitem_id 0
		.amdhsa_next_free_vgpr 1
		.amdhsa_next_free_sgpr 0
		.amdhsa_accum_offset 4
		.amdhsa_reserve_vcc 0
		.amdhsa_reserve_flat_scratch 0
		.amdhsa_float_round_mode_32 0
		.amdhsa_float_round_mode_16_64 0
		.amdhsa_float_denorm_mode_32 3
		.amdhsa_float_denorm_mode_16_64 3
		.amdhsa_dx10_clamp 1
		.amdhsa_ieee_mode 1
		.amdhsa_fp16_overflow 0
		.amdhsa_tg_split 0
		.amdhsa_exception_fp_ieee_invalid_op 0
		.amdhsa_exception_fp_denorm_src 0
		.amdhsa_exception_fp_ieee_div_zero 0
		.amdhsa_exception_fp_ieee_overflow 0
		.amdhsa_exception_fp_ieee_underflow 0
		.amdhsa_exception_fp_ieee_inexact 0
		.amdhsa_exception_int_div_zero 0
	.end_amdhsa_kernel
	.section	.text._ZN7rocprim17ROCPRIM_400000_NS6detail17trampoline_kernelINS0_14default_configENS1_27scan_by_key_config_selectorIiiEEZZNS1_16scan_by_key_implILNS1_25lookback_scan_determinismE0ELb0ES3_N6thrust23THRUST_200600_302600_NS6detail15normal_iteratorINS9_10device_ptrIiEEEESE_SE_iNS9_4plusIvEENS9_8equal_toIvEEiEE10hipError_tPvRmT2_T3_T4_T5_mT6_T7_P12ihipStream_tbENKUlT_T0_E_clISt17integral_constantIbLb0EESY_IbLb1EEEEDaSU_SV_EUlSU_E_NS1_11comp_targetILNS1_3genE8ELNS1_11target_archE1030ELNS1_3gpuE2ELNS1_3repE0EEENS1_30default_config_static_selectorELNS0_4arch9wavefront6targetE1EEEvT1_,"axG",@progbits,_ZN7rocprim17ROCPRIM_400000_NS6detail17trampoline_kernelINS0_14default_configENS1_27scan_by_key_config_selectorIiiEEZZNS1_16scan_by_key_implILNS1_25lookback_scan_determinismE0ELb0ES3_N6thrust23THRUST_200600_302600_NS6detail15normal_iteratorINS9_10device_ptrIiEEEESE_SE_iNS9_4plusIvEENS9_8equal_toIvEEiEE10hipError_tPvRmT2_T3_T4_T5_mT6_T7_P12ihipStream_tbENKUlT_T0_E_clISt17integral_constantIbLb0EESY_IbLb1EEEEDaSU_SV_EUlSU_E_NS1_11comp_targetILNS1_3genE8ELNS1_11target_archE1030ELNS1_3gpuE2ELNS1_3repE0EEENS1_30default_config_static_selectorELNS0_4arch9wavefront6targetE1EEEvT1_,comdat
.Lfunc_end163:
	.size	_ZN7rocprim17ROCPRIM_400000_NS6detail17trampoline_kernelINS0_14default_configENS1_27scan_by_key_config_selectorIiiEEZZNS1_16scan_by_key_implILNS1_25lookback_scan_determinismE0ELb0ES3_N6thrust23THRUST_200600_302600_NS6detail15normal_iteratorINS9_10device_ptrIiEEEESE_SE_iNS9_4plusIvEENS9_8equal_toIvEEiEE10hipError_tPvRmT2_T3_T4_T5_mT6_T7_P12ihipStream_tbENKUlT_T0_E_clISt17integral_constantIbLb0EESY_IbLb1EEEEDaSU_SV_EUlSU_E_NS1_11comp_targetILNS1_3genE8ELNS1_11target_archE1030ELNS1_3gpuE2ELNS1_3repE0EEENS1_30default_config_static_selectorELNS0_4arch9wavefront6targetE1EEEvT1_, .Lfunc_end163-_ZN7rocprim17ROCPRIM_400000_NS6detail17trampoline_kernelINS0_14default_configENS1_27scan_by_key_config_selectorIiiEEZZNS1_16scan_by_key_implILNS1_25lookback_scan_determinismE0ELb0ES3_N6thrust23THRUST_200600_302600_NS6detail15normal_iteratorINS9_10device_ptrIiEEEESE_SE_iNS9_4plusIvEENS9_8equal_toIvEEiEE10hipError_tPvRmT2_T3_T4_T5_mT6_T7_P12ihipStream_tbENKUlT_T0_E_clISt17integral_constantIbLb0EESY_IbLb1EEEEDaSU_SV_EUlSU_E_NS1_11comp_targetILNS1_3genE8ELNS1_11target_archE1030ELNS1_3gpuE2ELNS1_3repE0EEENS1_30default_config_static_selectorELNS0_4arch9wavefront6targetE1EEEvT1_
                                        ; -- End function
	.section	.AMDGPU.csdata,"",@progbits
; Kernel info:
; codeLenInByte = 0
; NumSgprs: 4
; NumVgprs: 0
; NumAgprs: 0
; TotalNumVgprs: 0
; ScratchSize: 0
; MemoryBound: 0
; FloatMode: 240
; IeeeMode: 1
; LDSByteSize: 0 bytes/workgroup (compile time only)
; SGPRBlocks: 0
; VGPRBlocks: 0
; NumSGPRsForWavesPerEU: 4
; NumVGPRsForWavesPerEU: 1
; AccumOffset: 4
; Occupancy: 8
; WaveLimiterHint : 0
; COMPUTE_PGM_RSRC2:SCRATCH_EN: 0
; COMPUTE_PGM_RSRC2:USER_SGPR: 6
; COMPUTE_PGM_RSRC2:TRAP_HANDLER: 0
; COMPUTE_PGM_RSRC2:TGID_X_EN: 1
; COMPUTE_PGM_RSRC2:TGID_Y_EN: 0
; COMPUTE_PGM_RSRC2:TGID_Z_EN: 0
; COMPUTE_PGM_RSRC2:TIDIG_COMP_CNT: 0
; COMPUTE_PGM_RSRC3_GFX90A:ACCUM_OFFSET: 0
; COMPUTE_PGM_RSRC3_GFX90A:TG_SPLIT: 0
	.section	.text._ZN7rocprim17ROCPRIM_400000_NS6detail17trampoline_kernelINS0_14default_configENS1_27scan_by_key_config_selectorIiiEEZZNS1_16scan_by_key_implILNS1_25lookback_scan_determinismE0ELb0ES3_N6thrust23THRUST_200600_302600_NS6detail15normal_iteratorINS9_10device_ptrIiEEEESE_SE_iNS9_10multipliesIiEENS9_8equal_toIiEEiEE10hipError_tPvRmT2_T3_T4_T5_mT6_T7_P12ihipStream_tbENKUlT_T0_E_clISt17integral_constantIbLb0EESZ_EEDaSU_SV_EUlSU_E_NS1_11comp_targetILNS1_3genE0ELNS1_11target_archE4294967295ELNS1_3gpuE0ELNS1_3repE0EEENS1_30default_config_static_selectorELNS0_4arch9wavefront6targetE1EEEvT1_,"axG",@progbits,_ZN7rocprim17ROCPRIM_400000_NS6detail17trampoline_kernelINS0_14default_configENS1_27scan_by_key_config_selectorIiiEEZZNS1_16scan_by_key_implILNS1_25lookback_scan_determinismE0ELb0ES3_N6thrust23THRUST_200600_302600_NS6detail15normal_iteratorINS9_10device_ptrIiEEEESE_SE_iNS9_10multipliesIiEENS9_8equal_toIiEEiEE10hipError_tPvRmT2_T3_T4_T5_mT6_T7_P12ihipStream_tbENKUlT_T0_E_clISt17integral_constantIbLb0EESZ_EEDaSU_SV_EUlSU_E_NS1_11comp_targetILNS1_3genE0ELNS1_11target_archE4294967295ELNS1_3gpuE0ELNS1_3repE0EEENS1_30default_config_static_selectorELNS0_4arch9wavefront6targetE1EEEvT1_,comdat
	.protected	_ZN7rocprim17ROCPRIM_400000_NS6detail17trampoline_kernelINS0_14default_configENS1_27scan_by_key_config_selectorIiiEEZZNS1_16scan_by_key_implILNS1_25lookback_scan_determinismE0ELb0ES3_N6thrust23THRUST_200600_302600_NS6detail15normal_iteratorINS9_10device_ptrIiEEEESE_SE_iNS9_10multipliesIiEENS9_8equal_toIiEEiEE10hipError_tPvRmT2_T3_T4_T5_mT6_T7_P12ihipStream_tbENKUlT_T0_E_clISt17integral_constantIbLb0EESZ_EEDaSU_SV_EUlSU_E_NS1_11comp_targetILNS1_3genE0ELNS1_11target_archE4294967295ELNS1_3gpuE0ELNS1_3repE0EEENS1_30default_config_static_selectorELNS0_4arch9wavefront6targetE1EEEvT1_ ; -- Begin function _ZN7rocprim17ROCPRIM_400000_NS6detail17trampoline_kernelINS0_14default_configENS1_27scan_by_key_config_selectorIiiEEZZNS1_16scan_by_key_implILNS1_25lookback_scan_determinismE0ELb0ES3_N6thrust23THRUST_200600_302600_NS6detail15normal_iteratorINS9_10device_ptrIiEEEESE_SE_iNS9_10multipliesIiEENS9_8equal_toIiEEiEE10hipError_tPvRmT2_T3_T4_T5_mT6_T7_P12ihipStream_tbENKUlT_T0_E_clISt17integral_constantIbLb0EESZ_EEDaSU_SV_EUlSU_E_NS1_11comp_targetILNS1_3genE0ELNS1_11target_archE4294967295ELNS1_3gpuE0ELNS1_3repE0EEENS1_30default_config_static_selectorELNS0_4arch9wavefront6targetE1EEEvT1_
	.globl	_ZN7rocprim17ROCPRIM_400000_NS6detail17trampoline_kernelINS0_14default_configENS1_27scan_by_key_config_selectorIiiEEZZNS1_16scan_by_key_implILNS1_25lookback_scan_determinismE0ELb0ES3_N6thrust23THRUST_200600_302600_NS6detail15normal_iteratorINS9_10device_ptrIiEEEESE_SE_iNS9_10multipliesIiEENS9_8equal_toIiEEiEE10hipError_tPvRmT2_T3_T4_T5_mT6_T7_P12ihipStream_tbENKUlT_T0_E_clISt17integral_constantIbLb0EESZ_EEDaSU_SV_EUlSU_E_NS1_11comp_targetILNS1_3genE0ELNS1_11target_archE4294967295ELNS1_3gpuE0ELNS1_3repE0EEENS1_30default_config_static_selectorELNS0_4arch9wavefront6targetE1EEEvT1_
	.p2align	8
	.type	_ZN7rocprim17ROCPRIM_400000_NS6detail17trampoline_kernelINS0_14default_configENS1_27scan_by_key_config_selectorIiiEEZZNS1_16scan_by_key_implILNS1_25lookback_scan_determinismE0ELb0ES3_N6thrust23THRUST_200600_302600_NS6detail15normal_iteratorINS9_10device_ptrIiEEEESE_SE_iNS9_10multipliesIiEENS9_8equal_toIiEEiEE10hipError_tPvRmT2_T3_T4_T5_mT6_T7_P12ihipStream_tbENKUlT_T0_E_clISt17integral_constantIbLb0EESZ_EEDaSU_SV_EUlSU_E_NS1_11comp_targetILNS1_3genE0ELNS1_11target_archE4294967295ELNS1_3gpuE0ELNS1_3repE0EEENS1_30default_config_static_selectorELNS0_4arch9wavefront6targetE1EEEvT1_,@function
_ZN7rocprim17ROCPRIM_400000_NS6detail17trampoline_kernelINS0_14default_configENS1_27scan_by_key_config_selectorIiiEEZZNS1_16scan_by_key_implILNS1_25lookback_scan_determinismE0ELb0ES3_N6thrust23THRUST_200600_302600_NS6detail15normal_iteratorINS9_10device_ptrIiEEEESE_SE_iNS9_10multipliesIiEENS9_8equal_toIiEEiEE10hipError_tPvRmT2_T3_T4_T5_mT6_T7_P12ihipStream_tbENKUlT_T0_E_clISt17integral_constantIbLb0EESZ_EEDaSU_SV_EUlSU_E_NS1_11comp_targetILNS1_3genE0ELNS1_11target_archE4294967295ELNS1_3gpuE0ELNS1_3repE0EEENS1_30default_config_static_selectorELNS0_4arch9wavefront6targetE1EEEvT1_: ; @_ZN7rocprim17ROCPRIM_400000_NS6detail17trampoline_kernelINS0_14default_configENS1_27scan_by_key_config_selectorIiiEEZZNS1_16scan_by_key_implILNS1_25lookback_scan_determinismE0ELb0ES3_N6thrust23THRUST_200600_302600_NS6detail15normal_iteratorINS9_10device_ptrIiEEEESE_SE_iNS9_10multipliesIiEENS9_8equal_toIiEEiEE10hipError_tPvRmT2_T3_T4_T5_mT6_T7_P12ihipStream_tbENKUlT_T0_E_clISt17integral_constantIbLb0EESZ_EEDaSU_SV_EUlSU_E_NS1_11comp_targetILNS1_3genE0ELNS1_11target_archE4294967295ELNS1_3gpuE0ELNS1_3repE0EEENS1_30default_config_static_selectorELNS0_4arch9wavefront6targetE1EEEvT1_
; %bb.0:
	.section	.rodata,"a",@progbits
	.p2align	6, 0x0
	.amdhsa_kernel _ZN7rocprim17ROCPRIM_400000_NS6detail17trampoline_kernelINS0_14default_configENS1_27scan_by_key_config_selectorIiiEEZZNS1_16scan_by_key_implILNS1_25lookback_scan_determinismE0ELb0ES3_N6thrust23THRUST_200600_302600_NS6detail15normal_iteratorINS9_10device_ptrIiEEEESE_SE_iNS9_10multipliesIiEENS9_8equal_toIiEEiEE10hipError_tPvRmT2_T3_T4_T5_mT6_T7_P12ihipStream_tbENKUlT_T0_E_clISt17integral_constantIbLb0EESZ_EEDaSU_SV_EUlSU_E_NS1_11comp_targetILNS1_3genE0ELNS1_11target_archE4294967295ELNS1_3gpuE0ELNS1_3repE0EEENS1_30default_config_static_selectorELNS0_4arch9wavefront6targetE1EEEvT1_
		.amdhsa_group_segment_fixed_size 0
		.amdhsa_private_segment_fixed_size 0
		.amdhsa_kernarg_size 112
		.amdhsa_user_sgpr_count 6
		.amdhsa_user_sgpr_private_segment_buffer 1
		.amdhsa_user_sgpr_dispatch_ptr 0
		.amdhsa_user_sgpr_queue_ptr 0
		.amdhsa_user_sgpr_kernarg_segment_ptr 1
		.amdhsa_user_sgpr_dispatch_id 0
		.amdhsa_user_sgpr_flat_scratch_init 0
		.amdhsa_user_sgpr_kernarg_preload_length 0
		.amdhsa_user_sgpr_kernarg_preload_offset 0
		.amdhsa_user_sgpr_private_segment_size 0
		.amdhsa_uses_dynamic_stack 0
		.amdhsa_system_sgpr_private_segment_wavefront_offset 0
		.amdhsa_system_sgpr_workgroup_id_x 1
		.amdhsa_system_sgpr_workgroup_id_y 0
		.amdhsa_system_sgpr_workgroup_id_z 0
		.amdhsa_system_sgpr_workgroup_info 0
		.amdhsa_system_vgpr_workitem_id 0
		.amdhsa_next_free_vgpr 1
		.amdhsa_next_free_sgpr 0
		.amdhsa_accum_offset 4
		.amdhsa_reserve_vcc 0
		.amdhsa_reserve_flat_scratch 0
		.amdhsa_float_round_mode_32 0
		.amdhsa_float_round_mode_16_64 0
		.amdhsa_float_denorm_mode_32 3
		.amdhsa_float_denorm_mode_16_64 3
		.amdhsa_dx10_clamp 1
		.amdhsa_ieee_mode 1
		.amdhsa_fp16_overflow 0
		.amdhsa_tg_split 0
		.amdhsa_exception_fp_ieee_invalid_op 0
		.amdhsa_exception_fp_denorm_src 0
		.amdhsa_exception_fp_ieee_div_zero 0
		.amdhsa_exception_fp_ieee_overflow 0
		.amdhsa_exception_fp_ieee_underflow 0
		.amdhsa_exception_fp_ieee_inexact 0
		.amdhsa_exception_int_div_zero 0
	.end_amdhsa_kernel
	.section	.text._ZN7rocprim17ROCPRIM_400000_NS6detail17trampoline_kernelINS0_14default_configENS1_27scan_by_key_config_selectorIiiEEZZNS1_16scan_by_key_implILNS1_25lookback_scan_determinismE0ELb0ES3_N6thrust23THRUST_200600_302600_NS6detail15normal_iteratorINS9_10device_ptrIiEEEESE_SE_iNS9_10multipliesIiEENS9_8equal_toIiEEiEE10hipError_tPvRmT2_T3_T4_T5_mT6_T7_P12ihipStream_tbENKUlT_T0_E_clISt17integral_constantIbLb0EESZ_EEDaSU_SV_EUlSU_E_NS1_11comp_targetILNS1_3genE0ELNS1_11target_archE4294967295ELNS1_3gpuE0ELNS1_3repE0EEENS1_30default_config_static_selectorELNS0_4arch9wavefront6targetE1EEEvT1_,"axG",@progbits,_ZN7rocprim17ROCPRIM_400000_NS6detail17trampoline_kernelINS0_14default_configENS1_27scan_by_key_config_selectorIiiEEZZNS1_16scan_by_key_implILNS1_25lookback_scan_determinismE0ELb0ES3_N6thrust23THRUST_200600_302600_NS6detail15normal_iteratorINS9_10device_ptrIiEEEESE_SE_iNS9_10multipliesIiEENS9_8equal_toIiEEiEE10hipError_tPvRmT2_T3_T4_T5_mT6_T7_P12ihipStream_tbENKUlT_T0_E_clISt17integral_constantIbLb0EESZ_EEDaSU_SV_EUlSU_E_NS1_11comp_targetILNS1_3genE0ELNS1_11target_archE4294967295ELNS1_3gpuE0ELNS1_3repE0EEENS1_30default_config_static_selectorELNS0_4arch9wavefront6targetE1EEEvT1_,comdat
.Lfunc_end164:
	.size	_ZN7rocprim17ROCPRIM_400000_NS6detail17trampoline_kernelINS0_14default_configENS1_27scan_by_key_config_selectorIiiEEZZNS1_16scan_by_key_implILNS1_25lookback_scan_determinismE0ELb0ES3_N6thrust23THRUST_200600_302600_NS6detail15normal_iteratorINS9_10device_ptrIiEEEESE_SE_iNS9_10multipliesIiEENS9_8equal_toIiEEiEE10hipError_tPvRmT2_T3_T4_T5_mT6_T7_P12ihipStream_tbENKUlT_T0_E_clISt17integral_constantIbLb0EESZ_EEDaSU_SV_EUlSU_E_NS1_11comp_targetILNS1_3genE0ELNS1_11target_archE4294967295ELNS1_3gpuE0ELNS1_3repE0EEENS1_30default_config_static_selectorELNS0_4arch9wavefront6targetE1EEEvT1_, .Lfunc_end164-_ZN7rocprim17ROCPRIM_400000_NS6detail17trampoline_kernelINS0_14default_configENS1_27scan_by_key_config_selectorIiiEEZZNS1_16scan_by_key_implILNS1_25lookback_scan_determinismE0ELb0ES3_N6thrust23THRUST_200600_302600_NS6detail15normal_iteratorINS9_10device_ptrIiEEEESE_SE_iNS9_10multipliesIiEENS9_8equal_toIiEEiEE10hipError_tPvRmT2_T3_T4_T5_mT6_T7_P12ihipStream_tbENKUlT_T0_E_clISt17integral_constantIbLb0EESZ_EEDaSU_SV_EUlSU_E_NS1_11comp_targetILNS1_3genE0ELNS1_11target_archE4294967295ELNS1_3gpuE0ELNS1_3repE0EEENS1_30default_config_static_selectorELNS0_4arch9wavefront6targetE1EEEvT1_
                                        ; -- End function
	.section	.AMDGPU.csdata,"",@progbits
; Kernel info:
; codeLenInByte = 0
; NumSgprs: 4
; NumVgprs: 0
; NumAgprs: 0
; TotalNumVgprs: 0
; ScratchSize: 0
; MemoryBound: 0
; FloatMode: 240
; IeeeMode: 1
; LDSByteSize: 0 bytes/workgroup (compile time only)
; SGPRBlocks: 0
; VGPRBlocks: 0
; NumSGPRsForWavesPerEU: 4
; NumVGPRsForWavesPerEU: 1
; AccumOffset: 4
; Occupancy: 8
; WaveLimiterHint : 0
; COMPUTE_PGM_RSRC2:SCRATCH_EN: 0
; COMPUTE_PGM_RSRC2:USER_SGPR: 6
; COMPUTE_PGM_RSRC2:TRAP_HANDLER: 0
; COMPUTE_PGM_RSRC2:TGID_X_EN: 1
; COMPUTE_PGM_RSRC2:TGID_Y_EN: 0
; COMPUTE_PGM_RSRC2:TGID_Z_EN: 0
; COMPUTE_PGM_RSRC2:TIDIG_COMP_CNT: 0
; COMPUTE_PGM_RSRC3_GFX90A:ACCUM_OFFSET: 0
; COMPUTE_PGM_RSRC3_GFX90A:TG_SPLIT: 0
	.section	.text._ZN7rocprim17ROCPRIM_400000_NS6detail17trampoline_kernelINS0_14default_configENS1_27scan_by_key_config_selectorIiiEEZZNS1_16scan_by_key_implILNS1_25lookback_scan_determinismE0ELb0ES3_N6thrust23THRUST_200600_302600_NS6detail15normal_iteratorINS9_10device_ptrIiEEEESE_SE_iNS9_10multipliesIiEENS9_8equal_toIiEEiEE10hipError_tPvRmT2_T3_T4_T5_mT6_T7_P12ihipStream_tbENKUlT_T0_E_clISt17integral_constantIbLb0EESZ_EEDaSU_SV_EUlSU_E_NS1_11comp_targetILNS1_3genE10ELNS1_11target_archE1201ELNS1_3gpuE5ELNS1_3repE0EEENS1_30default_config_static_selectorELNS0_4arch9wavefront6targetE1EEEvT1_,"axG",@progbits,_ZN7rocprim17ROCPRIM_400000_NS6detail17trampoline_kernelINS0_14default_configENS1_27scan_by_key_config_selectorIiiEEZZNS1_16scan_by_key_implILNS1_25lookback_scan_determinismE0ELb0ES3_N6thrust23THRUST_200600_302600_NS6detail15normal_iteratorINS9_10device_ptrIiEEEESE_SE_iNS9_10multipliesIiEENS9_8equal_toIiEEiEE10hipError_tPvRmT2_T3_T4_T5_mT6_T7_P12ihipStream_tbENKUlT_T0_E_clISt17integral_constantIbLb0EESZ_EEDaSU_SV_EUlSU_E_NS1_11comp_targetILNS1_3genE10ELNS1_11target_archE1201ELNS1_3gpuE5ELNS1_3repE0EEENS1_30default_config_static_selectorELNS0_4arch9wavefront6targetE1EEEvT1_,comdat
	.protected	_ZN7rocprim17ROCPRIM_400000_NS6detail17trampoline_kernelINS0_14default_configENS1_27scan_by_key_config_selectorIiiEEZZNS1_16scan_by_key_implILNS1_25lookback_scan_determinismE0ELb0ES3_N6thrust23THRUST_200600_302600_NS6detail15normal_iteratorINS9_10device_ptrIiEEEESE_SE_iNS9_10multipliesIiEENS9_8equal_toIiEEiEE10hipError_tPvRmT2_T3_T4_T5_mT6_T7_P12ihipStream_tbENKUlT_T0_E_clISt17integral_constantIbLb0EESZ_EEDaSU_SV_EUlSU_E_NS1_11comp_targetILNS1_3genE10ELNS1_11target_archE1201ELNS1_3gpuE5ELNS1_3repE0EEENS1_30default_config_static_selectorELNS0_4arch9wavefront6targetE1EEEvT1_ ; -- Begin function _ZN7rocprim17ROCPRIM_400000_NS6detail17trampoline_kernelINS0_14default_configENS1_27scan_by_key_config_selectorIiiEEZZNS1_16scan_by_key_implILNS1_25lookback_scan_determinismE0ELb0ES3_N6thrust23THRUST_200600_302600_NS6detail15normal_iteratorINS9_10device_ptrIiEEEESE_SE_iNS9_10multipliesIiEENS9_8equal_toIiEEiEE10hipError_tPvRmT2_T3_T4_T5_mT6_T7_P12ihipStream_tbENKUlT_T0_E_clISt17integral_constantIbLb0EESZ_EEDaSU_SV_EUlSU_E_NS1_11comp_targetILNS1_3genE10ELNS1_11target_archE1201ELNS1_3gpuE5ELNS1_3repE0EEENS1_30default_config_static_selectorELNS0_4arch9wavefront6targetE1EEEvT1_
	.globl	_ZN7rocprim17ROCPRIM_400000_NS6detail17trampoline_kernelINS0_14default_configENS1_27scan_by_key_config_selectorIiiEEZZNS1_16scan_by_key_implILNS1_25lookback_scan_determinismE0ELb0ES3_N6thrust23THRUST_200600_302600_NS6detail15normal_iteratorINS9_10device_ptrIiEEEESE_SE_iNS9_10multipliesIiEENS9_8equal_toIiEEiEE10hipError_tPvRmT2_T3_T4_T5_mT6_T7_P12ihipStream_tbENKUlT_T0_E_clISt17integral_constantIbLb0EESZ_EEDaSU_SV_EUlSU_E_NS1_11comp_targetILNS1_3genE10ELNS1_11target_archE1201ELNS1_3gpuE5ELNS1_3repE0EEENS1_30default_config_static_selectorELNS0_4arch9wavefront6targetE1EEEvT1_
	.p2align	8
	.type	_ZN7rocprim17ROCPRIM_400000_NS6detail17trampoline_kernelINS0_14default_configENS1_27scan_by_key_config_selectorIiiEEZZNS1_16scan_by_key_implILNS1_25lookback_scan_determinismE0ELb0ES3_N6thrust23THRUST_200600_302600_NS6detail15normal_iteratorINS9_10device_ptrIiEEEESE_SE_iNS9_10multipliesIiEENS9_8equal_toIiEEiEE10hipError_tPvRmT2_T3_T4_T5_mT6_T7_P12ihipStream_tbENKUlT_T0_E_clISt17integral_constantIbLb0EESZ_EEDaSU_SV_EUlSU_E_NS1_11comp_targetILNS1_3genE10ELNS1_11target_archE1201ELNS1_3gpuE5ELNS1_3repE0EEENS1_30default_config_static_selectorELNS0_4arch9wavefront6targetE1EEEvT1_,@function
_ZN7rocprim17ROCPRIM_400000_NS6detail17trampoline_kernelINS0_14default_configENS1_27scan_by_key_config_selectorIiiEEZZNS1_16scan_by_key_implILNS1_25lookback_scan_determinismE0ELb0ES3_N6thrust23THRUST_200600_302600_NS6detail15normal_iteratorINS9_10device_ptrIiEEEESE_SE_iNS9_10multipliesIiEENS9_8equal_toIiEEiEE10hipError_tPvRmT2_T3_T4_T5_mT6_T7_P12ihipStream_tbENKUlT_T0_E_clISt17integral_constantIbLb0EESZ_EEDaSU_SV_EUlSU_E_NS1_11comp_targetILNS1_3genE10ELNS1_11target_archE1201ELNS1_3gpuE5ELNS1_3repE0EEENS1_30default_config_static_selectorELNS0_4arch9wavefront6targetE1EEEvT1_: ; @_ZN7rocprim17ROCPRIM_400000_NS6detail17trampoline_kernelINS0_14default_configENS1_27scan_by_key_config_selectorIiiEEZZNS1_16scan_by_key_implILNS1_25lookback_scan_determinismE0ELb0ES3_N6thrust23THRUST_200600_302600_NS6detail15normal_iteratorINS9_10device_ptrIiEEEESE_SE_iNS9_10multipliesIiEENS9_8equal_toIiEEiEE10hipError_tPvRmT2_T3_T4_T5_mT6_T7_P12ihipStream_tbENKUlT_T0_E_clISt17integral_constantIbLb0EESZ_EEDaSU_SV_EUlSU_E_NS1_11comp_targetILNS1_3genE10ELNS1_11target_archE1201ELNS1_3gpuE5ELNS1_3repE0EEENS1_30default_config_static_selectorELNS0_4arch9wavefront6targetE1EEEvT1_
; %bb.0:
	.section	.rodata,"a",@progbits
	.p2align	6, 0x0
	.amdhsa_kernel _ZN7rocprim17ROCPRIM_400000_NS6detail17trampoline_kernelINS0_14default_configENS1_27scan_by_key_config_selectorIiiEEZZNS1_16scan_by_key_implILNS1_25lookback_scan_determinismE0ELb0ES3_N6thrust23THRUST_200600_302600_NS6detail15normal_iteratorINS9_10device_ptrIiEEEESE_SE_iNS9_10multipliesIiEENS9_8equal_toIiEEiEE10hipError_tPvRmT2_T3_T4_T5_mT6_T7_P12ihipStream_tbENKUlT_T0_E_clISt17integral_constantIbLb0EESZ_EEDaSU_SV_EUlSU_E_NS1_11comp_targetILNS1_3genE10ELNS1_11target_archE1201ELNS1_3gpuE5ELNS1_3repE0EEENS1_30default_config_static_selectorELNS0_4arch9wavefront6targetE1EEEvT1_
		.amdhsa_group_segment_fixed_size 0
		.amdhsa_private_segment_fixed_size 0
		.amdhsa_kernarg_size 112
		.amdhsa_user_sgpr_count 6
		.amdhsa_user_sgpr_private_segment_buffer 1
		.amdhsa_user_sgpr_dispatch_ptr 0
		.amdhsa_user_sgpr_queue_ptr 0
		.amdhsa_user_sgpr_kernarg_segment_ptr 1
		.amdhsa_user_sgpr_dispatch_id 0
		.amdhsa_user_sgpr_flat_scratch_init 0
		.amdhsa_user_sgpr_kernarg_preload_length 0
		.amdhsa_user_sgpr_kernarg_preload_offset 0
		.amdhsa_user_sgpr_private_segment_size 0
		.amdhsa_uses_dynamic_stack 0
		.amdhsa_system_sgpr_private_segment_wavefront_offset 0
		.amdhsa_system_sgpr_workgroup_id_x 1
		.amdhsa_system_sgpr_workgroup_id_y 0
		.amdhsa_system_sgpr_workgroup_id_z 0
		.amdhsa_system_sgpr_workgroup_info 0
		.amdhsa_system_vgpr_workitem_id 0
		.amdhsa_next_free_vgpr 1
		.amdhsa_next_free_sgpr 0
		.amdhsa_accum_offset 4
		.amdhsa_reserve_vcc 0
		.amdhsa_reserve_flat_scratch 0
		.amdhsa_float_round_mode_32 0
		.amdhsa_float_round_mode_16_64 0
		.amdhsa_float_denorm_mode_32 3
		.amdhsa_float_denorm_mode_16_64 3
		.amdhsa_dx10_clamp 1
		.amdhsa_ieee_mode 1
		.amdhsa_fp16_overflow 0
		.amdhsa_tg_split 0
		.amdhsa_exception_fp_ieee_invalid_op 0
		.amdhsa_exception_fp_denorm_src 0
		.amdhsa_exception_fp_ieee_div_zero 0
		.amdhsa_exception_fp_ieee_overflow 0
		.amdhsa_exception_fp_ieee_underflow 0
		.amdhsa_exception_fp_ieee_inexact 0
		.amdhsa_exception_int_div_zero 0
	.end_amdhsa_kernel
	.section	.text._ZN7rocprim17ROCPRIM_400000_NS6detail17trampoline_kernelINS0_14default_configENS1_27scan_by_key_config_selectorIiiEEZZNS1_16scan_by_key_implILNS1_25lookback_scan_determinismE0ELb0ES3_N6thrust23THRUST_200600_302600_NS6detail15normal_iteratorINS9_10device_ptrIiEEEESE_SE_iNS9_10multipliesIiEENS9_8equal_toIiEEiEE10hipError_tPvRmT2_T3_T4_T5_mT6_T7_P12ihipStream_tbENKUlT_T0_E_clISt17integral_constantIbLb0EESZ_EEDaSU_SV_EUlSU_E_NS1_11comp_targetILNS1_3genE10ELNS1_11target_archE1201ELNS1_3gpuE5ELNS1_3repE0EEENS1_30default_config_static_selectorELNS0_4arch9wavefront6targetE1EEEvT1_,"axG",@progbits,_ZN7rocprim17ROCPRIM_400000_NS6detail17trampoline_kernelINS0_14default_configENS1_27scan_by_key_config_selectorIiiEEZZNS1_16scan_by_key_implILNS1_25lookback_scan_determinismE0ELb0ES3_N6thrust23THRUST_200600_302600_NS6detail15normal_iteratorINS9_10device_ptrIiEEEESE_SE_iNS9_10multipliesIiEENS9_8equal_toIiEEiEE10hipError_tPvRmT2_T3_T4_T5_mT6_T7_P12ihipStream_tbENKUlT_T0_E_clISt17integral_constantIbLb0EESZ_EEDaSU_SV_EUlSU_E_NS1_11comp_targetILNS1_3genE10ELNS1_11target_archE1201ELNS1_3gpuE5ELNS1_3repE0EEENS1_30default_config_static_selectorELNS0_4arch9wavefront6targetE1EEEvT1_,comdat
.Lfunc_end165:
	.size	_ZN7rocprim17ROCPRIM_400000_NS6detail17trampoline_kernelINS0_14default_configENS1_27scan_by_key_config_selectorIiiEEZZNS1_16scan_by_key_implILNS1_25lookback_scan_determinismE0ELb0ES3_N6thrust23THRUST_200600_302600_NS6detail15normal_iteratorINS9_10device_ptrIiEEEESE_SE_iNS9_10multipliesIiEENS9_8equal_toIiEEiEE10hipError_tPvRmT2_T3_T4_T5_mT6_T7_P12ihipStream_tbENKUlT_T0_E_clISt17integral_constantIbLb0EESZ_EEDaSU_SV_EUlSU_E_NS1_11comp_targetILNS1_3genE10ELNS1_11target_archE1201ELNS1_3gpuE5ELNS1_3repE0EEENS1_30default_config_static_selectorELNS0_4arch9wavefront6targetE1EEEvT1_, .Lfunc_end165-_ZN7rocprim17ROCPRIM_400000_NS6detail17trampoline_kernelINS0_14default_configENS1_27scan_by_key_config_selectorIiiEEZZNS1_16scan_by_key_implILNS1_25lookback_scan_determinismE0ELb0ES3_N6thrust23THRUST_200600_302600_NS6detail15normal_iteratorINS9_10device_ptrIiEEEESE_SE_iNS9_10multipliesIiEENS9_8equal_toIiEEiEE10hipError_tPvRmT2_T3_T4_T5_mT6_T7_P12ihipStream_tbENKUlT_T0_E_clISt17integral_constantIbLb0EESZ_EEDaSU_SV_EUlSU_E_NS1_11comp_targetILNS1_3genE10ELNS1_11target_archE1201ELNS1_3gpuE5ELNS1_3repE0EEENS1_30default_config_static_selectorELNS0_4arch9wavefront6targetE1EEEvT1_
                                        ; -- End function
	.section	.AMDGPU.csdata,"",@progbits
; Kernel info:
; codeLenInByte = 0
; NumSgprs: 4
; NumVgprs: 0
; NumAgprs: 0
; TotalNumVgprs: 0
; ScratchSize: 0
; MemoryBound: 0
; FloatMode: 240
; IeeeMode: 1
; LDSByteSize: 0 bytes/workgroup (compile time only)
; SGPRBlocks: 0
; VGPRBlocks: 0
; NumSGPRsForWavesPerEU: 4
; NumVGPRsForWavesPerEU: 1
; AccumOffset: 4
; Occupancy: 8
; WaveLimiterHint : 0
; COMPUTE_PGM_RSRC2:SCRATCH_EN: 0
; COMPUTE_PGM_RSRC2:USER_SGPR: 6
; COMPUTE_PGM_RSRC2:TRAP_HANDLER: 0
; COMPUTE_PGM_RSRC2:TGID_X_EN: 1
; COMPUTE_PGM_RSRC2:TGID_Y_EN: 0
; COMPUTE_PGM_RSRC2:TGID_Z_EN: 0
; COMPUTE_PGM_RSRC2:TIDIG_COMP_CNT: 0
; COMPUTE_PGM_RSRC3_GFX90A:ACCUM_OFFSET: 0
; COMPUTE_PGM_RSRC3_GFX90A:TG_SPLIT: 0
	.section	.text._ZN7rocprim17ROCPRIM_400000_NS6detail17trampoline_kernelINS0_14default_configENS1_27scan_by_key_config_selectorIiiEEZZNS1_16scan_by_key_implILNS1_25lookback_scan_determinismE0ELb0ES3_N6thrust23THRUST_200600_302600_NS6detail15normal_iteratorINS9_10device_ptrIiEEEESE_SE_iNS9_10multipliesIiEENS9_8equal_toIiEEiEE10hipError_tPvRmT2_T3_T4_T5_mT6_T7_P12ihipStream_tbENKUlT_T0_E_clISt17integral_constantIbLb0EESZ_EEDaSU_SV_EUlSU_E_NS1_11comp_targetILNS1_3genE5ELNS1_11target_archE942ELNS1_3gpuE9ELNS1_3repE0EEENS1_30default_config_static_selectorELNS0_4arch9wavefront6targetE1EEEvT1_,"axG",@progbits,_ZN7rocprim17ROCPRIM_400000_NS6detail17trampoline_kernelINS0_14default_configENS1_27scan_by_key_config_selectorIiiEEZZNS1_16scan_by_key_implILNS1_25lookback_scan_determinismE0ELb0ES3_N6thrust23THRUST_200600_302600_NS6detail15normal_iteratorINS9_10device_ptrIiEEEESE_SE_iNS9_10multipliesIiEENS9_8equal_toIiEEiEE10hipError_tPvRmT2_T3_T4_T5_mT6_T7_P12ihipStream_tbENKUlT_T0_E_clISt17integral_constantIbLb0EESZ_EEDaSU_SV_EUlSU_E_NS1_11comp_targetILNS1_3genE5ELNS1_11target_archE942ELNS1_3gpuE9ELNS1_3repE0EEENS1_30default_config_static_selectorELNS0_4arch9wavefront6targetE1EEEvT1_,comdat
	.protected	_ZN7rocprim17ROCPRIM_400000_NS6detail17trampoline_kernelINS0_14default_configENS1_27scan_by_key_config_selectorIiiEEZZNS1_16scan_by_key_implILNS1_25lookback_scan_determinismE0ELb0ES3_N6thrust23THRUST_200600_302600_NS6detail15normal_iteratorINS9_10device_ptrIiEEEESE_SE_iNS9_10multipliesIiEENS9_8equal_toIiEEiEE10hipError_tPvRmT2_T3_T4_T5_mT6_T7_P12ihipStream_tbENKUlT_T0_E_clISt17integral_constantIbLb0EESZ_EEDaSU_SV_EUlSU_E_NS1_11comp_targetILNS1_3genE5ELNS1_11target_archE942ELNS1_3gpuE9ELNS1_3repE0EEENS1_30default_config_static_selectorELNS0_4arch9wavefront6targetE1EEEvT1_ ; -- Begin function _ZN7rocprim17ROCPRIM_400000_NS6detail17trampoline_kernelINS0_14default_configENS1_27scan_by_key_config_selectorIiiEEZZNS1_16scan_by_key_implILNS1_25lookback_scan_determinismE0ELb0ES3_N6thrust23THRUST_200600_302600_NS6detail15normal_iteratorINS9_10device_ptrIiEEEESE_SE_iNS9_10multipliesIiEENS9_8equal_toIiEEiEE10hipError_tPvRmT2_T3_T4_T5_mT6_T7_P12ihipStream_tbENKUlT_T0_E_clISt17integral_constantIbLb0EESZ_EEDaSU_SV_EUlSU_E_NS1_11comp_targetILNS1_3genE5ELNS1_11target_archE942ELNS1_3gpuE9ELNS1_3repE0EEENS1_30default_config_static_selectorELNS0_4arch9wavefront6targetE1EEEvT1_
	.globl	_ZN7rocprim17ROCPRIM_400000_NS6detail17trampoline_kernelINS0_14default_configENS1_27scan_by_key_config_selectorIiiEEZZNS1_16scan_by_key_implILNS1_25lookback_scan_determinismE0ELb0ES3_N6thrust23THRUST_200600_302600_NS6detail15normal_iteratorINS9_10device_ptrIiEEEESE_SE_iNS9_10multipliesIiEENS9_8equal_toIiEEiEE10hipError_tPvRmT2_T3_T4_T5_mT6_T7_P12ihipStream_tbENKUlT_T0_E_clISt17integral_constantIbLb0EESZ_EEDaSU_SV_EUlSU_E_NS1_11comp_targetILNS1_3genE5ELNS1_11target_archE942ELNS1_3gpuE9ELNS1_3repE0EEENS1_30default_config_static_selectorELNS0_4arch9wavefront6targetE1EEEvT1_
	.p2align	8
	.type	_ZN7rocprim17ROCPRIM_400000_NS6detail17trampoline_kernelINS0_14default_configENS1_27scan_by_key_config_selectorIiiEEZZNS1_16scan_by_key_implILNS1_25lookback_scan_determinismE0ELb0ES3_N6thrust23THRUST_200600_302600_NS6detail15normal_iteratorINS9_10device_ptrIiEEEESE_SE_iNS9_10multipliesIiEENS9_8equal_toIiEEiEE10hipError_tPvRmT2_T3_T4_T5_mT6_T7_P12ihipStream_tbENKUlT_T0_E_clISt17integral_constantIbLb0EESZ_EEDaSU_SV_EUlSU_E_NS1_11comp_targetILNS1_3genE5ELNS1_11target_archE942ELNS1_3gpuE9ELNS1_3repE0EEENS1_30default_config_static_selectorELNS0_4arch9wavefront6targetE1EEEvT1_,@function
_ZN7rocprim17ROCPRIM_400000_NS6detail17trampoline_kernelINS0_14default_configENS1_27scan_by_key_config_selectorIiiEEZZNS1_16scan_by_key_implILNS1_25lookback_scan_determinismE0ELb0ES3_N6thrust23THRUST_200600_302600_NS6detail15normal_iteratorINS9_10device_ptrIiEEEESE_SE_iNS9_10multipliesIiEENS9_8equal_toIiEEiEE10hipError_tPvRmT2_T3_T4_T5_mT6_T7_P12ihipStream_tbENKUlT_T0_E_clISt17integral_constantIbLb0EESZ_EEDaSU_SV_EUlSU_E_NS1_11comp_targetILNS1_3genE5ELNS1_11target_archE942ELNS1_3gpuE9ELNS1_3repE0EEENS1_30default_config_static_selectorELNS0_4arch9wavefront6targetE1EEEvT1_: ; @_ZN7rocprim17ROCPRIM_400000_NS6detail17trampoline_kernelINS0_14default_configENS1_27scan_by_key_config_selectorIiiEEZZNS1_16scan_by_key_implILNS1_25lookback_scan_determinismE0ELb0ES3_N6thrust23THRUST_200600_302600_NS6detail15normal_iteratorINS9_10device_ptrIiEEEESE_SE_iNS9_10multipliesIiEENS9_8equal_toIiEEiEE10hipError_tPvRmT2_T3_T4_T5_mT6_T7_P12ihipStream_tbENKUlT_T0_E_clISt17integral_constantIbLb0EESZ_EEDaSU_SV_EUlSU_E_NS1_11comp_targetILNS1_3genE5ELNS1_11target_archE942ELNS1_3gpuE9ELNS1_3repE0EEENS1_30default_config_static_selectorELNS0_4arch9wavefront6targetE1EEEvT1_
; %bb.0:
	.section	.rodata,"a",@progbits
	.p2align	6, 0x0
	.amdhsa_kernel _ZN7rocprim17ROCPRIM_400000_NS6detail17trampoline_kernelINS0_14default_configENS1_27scan_by_key_config_selectorIiiEEZZNS1_16scan_by_key_implILNS1_25lookback_scan_determinismE0ELb0ES3_N6thrust23THRUST_200600_302600_NS6detail15normal_iteratorINS9_10device_ptrIiEEEESE_SE_iNS9_10multipliesIiEENS9_8equal_toIiEEiEE10hipError_tPvRmT2_T3_T4_T5_mT6_T7_P12ihipStream_tbENKUlT_T0_E_clISt17integral_constantIbLb0EESZ_EEDaSU_SV_EUlSU_E_NS1_11comp_targetILNS1_3genE5ELNS1_11target_archE942ELNS1_3gpuE9ELNS1_3repE0EEENS1_30default_config_static_selectorELNS0_4arch9wavefront6targetE1EEEvT1_
		.amdhsa_group_segment_fixed_size 0
		.amdhsa_private_segment_fixed_size 0
		.amdhsa_kernarg_size 112
		.amdhsa_user_sgpr_count 6
		.amdhsa_user_sgpr_private_segment_buffer 1
		.amdhsa_user_sgpr_dispatch_ptr 0
		.amdhsa_user_sgpr_queue_ptr 0
		.amdhsa_user_sgpr_kernarg_segment_ptr 1
		.amdhsa_user_sgpr_dispatch_id 0
		.amdhsa_user_sgpr_flat_scratch_init 0
		.amdhsa_user_sgpr_kernarg_preload_length 0
		.amdhsa_user_sgpr_kernarg_preload_offset 0
		.amdhsa_user_sgpr_private_segment_size 0
		.amdhsa_uses_dynamic_stack 0
		.amdhsa_system_sgpr_private_segment_wavefront_offset 0
		.amdhsa_system_sgpr_workgroup_id_x 1
		.amdhsa_system_sgpr_workgroup_id_y 0
		.amdhsa_system_sgpr_workgroup_id_z 0
		.amdhsa_system_sgpr_workgroup_info 0
		.amdhsa_system_vgpr_workitem_id 0
		.amdhsa_next_free_vgpr 1
		.amdhsa_next_free_sgpr 0
		.amdhsa_accum_offset 4
		.amdhsa_reserve_vcc 0
		.amdhsa_reserve_flat_scratch 0
		.amdhsa_float_round_mode_32 0
		.amdhsa_float_round_mode_16_64 0
		.amdhsa_float_denorm_mode_32 3
		.amdhsa_float_denorm_mode_16_64 3
		.amdhsa_dx10_clamp 1
		.amdhsa_ieee_mode 1
		.amdhsa_fp16_overflow 0
		.amdhsa_tg_split 0
		.amdhsa_exception_fp_ieee_invalid_op 0
		.amdhsa_exception_fp_denorm_src 0
		.amdhsa_exception_fp_ieee_div_zero 0
		.amdhsa_exception_fp_ieee_overflow 0
		.amdhsa_exception_fp_ieee_underflow 0
		.amdhsa_exception_fp_ieee_inexact 0
		.amdhsa_exception_int_div_zero 0
	.end_amdhsa_kernel
	.section	.text._ZN7rocprim17ROCPRIM_400000_NS6detail17trampoline_kernelINS0_14default_configENS1_27scan_by_key_config_selectorIiiEEZZNS1_16scan_by_key_implILNS1_25lookback_scan_determinismE0ELb0ES3_N6thrust23THRUST_200600_302600_NS6detail15normal_iteratorINS9_10device_ptrIiEEEESE_SE_iNS9_10multipliesIiEENS9_8equal_toIiEEiEE10hipError_tPvRmT2_T3_T4_T5_mT6_T7_P12ihipStream_tbENKUlT_T0_E_clISt17integral_constantIbLb0EESZ_EEDaSU_SV_EUlSU_E_NS1_11comp_targetILNS1_3genE5ELNS1_11target_archE942ELNS1_3gpuE9ELNS1_3repE0EEENS1_30default_config_static_selectorELNS0_4arch9wavefront6targetE1EEEvT1_,"axG",@progbits,_ZN7rocprim17ROCPRIM_400000_NS6detail17trampoline_kernelINS0_14default_configENS1_27scan_by_key_config_selectorIiiEEZZNS1_16scan_by_key_implILNS1_25lookback_scan_determinismE0ELb0ES3_N6thrust23THRUST_200600_302600_NS6detail15normal_iteratorINS9_10device_ptrIiEEEESE_SE_iNS9_10multipliesIiEENS9_8equal_toIiEEiEE10hipError_tPvRmT2_T3_T4_T5_mT6_T7_P12ihipStream_tbENKUlT_T0_E_clISt17integral_constantIbLb0EESZ_EEDaSU_SV_EUlSU_E_NS1_11comp_targetILNS1_3genE5ELNS1_11target_archE942ELNS1_3gpuE9ELNS1_3repE0EEENS1_30default_config_static_selectorELNS0_4arch9wavefront6targetE1EEEvT1_,comdat
.Lfunc_end166:
	.size	_ZN7rocprim17ROCPRIM_400000_NS6detail17trampoline_kernelINS0_14default_configENS1_27scan_by_key_config_selectorIiiEEZZNS1_16scan_by_key_implILNS1_25lookback_scan_determinismE0ELb0ES3_N6thrust23THRUST_200600_302600_NS6detail15normal_iteratorINS9_10device_ptrIiEEEESE_SE_iNS9_10multipliesIiEENS9_8equal_toIiEEiEE10hipError_tPvRmT2_T3_T4_T5_mT6_T7_P12ihipStream_tbENKUlT_T0_E_clISt17integral_constantIbLb0EESZ_EEDaSU_SV_EUlSU_E_NS1_11comp_targetILNS1_3genE5ELNS1_11target_archE942ELNS1_3gpuE9ELNS1_3repE0EEENS1_30default_config_static_selectorELNS0_4arch9wavefront6targetE1EEEvT1_, .Lfunc_end166-_ZN7rocprim17ROCPRIM_400000_NS6detail17trampoline_kernelINS0_14default_configENS1_27scan_by_key_config_selectorIiiEEZZNS1_16scan_by_key_implILNS1_25lookback_scan_determinismE0ELb0ES3_N6thrust23THRUST_200600_302600_NS6detail15normal_iteratorINS9_10device_ptrIiEEEESE_SE_iNS9_10multipliesIiEENS9_8equal_toIiEEiEE10hipError_tPvRmT2_T3_T4_T5_mT6_T7_P12ihipStream_tbENKUlT_T0_E_clISt17integral_constantIbLb0EESZ_EEDaSU_SV_EUlSU_E_NS1_11comp_targetILNS1_3genE5ELNS1_11target_archE942ELNS1_3gpuE9ELNS1_3repE0EEENS1_30default_config_static_selectorELNS0_4arch9wavefront6targetE1EEEvT1_
                                        ; -- End function
	.section	.AMDGPU.csdata,"",@progbits
; Kernel info:
; codeLenInByte = 0
; NumSgprs: 4
; NumVgprs: 0
; NumAgprs: 0
; TotalNumVgprs: 0
; ScratchSize: 0
; MemoryBound: 0
; FloatMode: 240
; IeeeMode: 1
; LDSByteSize: 0 bytes/workgroup (compile time only)
; SGPRBlocks: 0
; VGPRBlocks: 0
; NumSGPRsForWavesPerEU: 4
; NumVGPRsForWavesPerEU: 1
; AccumOffset: 4
; Occupancy: 8
; WaveLimiterHint : 0
; COMPUTE_PGM_RSRC2:SCRATCH_EN: 0
; COMPUTE_PGM_RSRC2:USER_SGPR: 6
; COMPUTE_PGM_RSRC2:TRAP_HANDLER: 0
; COMPUTE_PGM_RSRC2:TGID_X_EN: 1
; COMPUTE_PGM_RSRC2:TGID_Y_EN: 0
; COMPUTE_PGM_RSRC2:TGID_Z_EN: 0
; COMPUTE_PGM_RSRC2:TIDIG_COMP_CNT: 0
; COMPUTE_PGM_RSRC3_GFX90A:ACCUM_OFFSET: 0
; COMPUTE_PGM_RSRC3_GFX90A:TG_SPLIT: 0
	.section	.text._ZN7rocprim17ROCPRIM_400000_NS6detail17trampoline_kernelINS0_14default_configENS1_27scan_by_key_config_selectorIiiEEZZNS1_16scan_by_key_implILNS1_25lookback_scan_determinismE0ELb0ES3_N6thrust23THRUST_200600_302600_NS6detail15normal_iteratorINS9_10device_ptrIiEEEESE_SE_iNS9_10multipliesIiEENS9_8equal_toIiEEiEE10hipError_tPvRmT2_T3_T4_T5_mT6_T7_P12ihipStream_tbENKUlT_T0_E_clISt17integral_constantIbLb0EESZ_EEDaSU_SV_EUlSU_E_NS1_11comp_targetILNS1_3genE4ELNS1_11target_archE910ELNS1_3gpuE8ELNS1_3repE0EEENS1_30default_config_static_selectorELNS0_4arch9wavefront6targetE1EEEvT1_,"axG",@progbits,_ZN7rocprim17ROCPRIM_400000_NS6detail17trampoline_kernelINS0_14default_configENS1_27scan_by_key_config_selectorIiiEEZZNS1_16scan_by_key_implILNS1_25lookback_scan_determinismE0ELb0ES3_N6thrust23THRUST_200600_302600_NS6detail15normal_iteratorINS9_10device_ptrIiEEEESE_SE_iNS9_10multipliesIiEENS9_8equal_toIiEEiEE10hipError_tPvRmT2_T3_T4_T5_mT6_T7_P12ihipStream_tbENKUlT_T0_E_clISt17integral_constantIbLb0EESZ_EEDaSU_SV_EUlSU_E_NS1_11comp_targetILNS1_3genE4ELNS1_11target_archE910ELNS1_3gpuE8ELNS1_3repE0EEENS1_30default_config_static_selectorELNS0_4arch9wavefront6targetE1EEEvT1_,comdat
	.protected	_ZN7rocprim17ROCPRIM_400000_NS6detail17trampoline_kernelINS0_14default_configENS1_27scan_by_key_config_selectorIiiEEZZNS1_16scan_by_key_implILNS1_25lookback_scan_determinismE0ELb0ES3_N6thrust23THRUST_200600_302600_NS6detail15normal_iteratorINS9_10device_ptrIiEEEESE_SE_iNS9_10multipliesIiEENS9_8equal_toIiEEiEE10hipError_tPvRmT2_T3_T4_T5_mT6_T7_P12ihipStream_tbENKUlT_T0_E_clISt17integral_constantIbLb0EESZ_EEDaSU_SV_EUlSU_E_NS1_11comp_targetILNS1_3genE4ELNS1_11target_archE910ELNS1_3gpuE8ELNS1_3repE0EEENS1_30default_config_static_selectorELNS0_4arch9wavefront6targetE1EEEvT1_ ; -- Begin function _ZN7rocprim17ROCPRIM_400000_NS6detail17trampoline_kernelINS0_14default_configENS1_27scan_by_key_config_selectorIiiEEZZNS1_16scan_by_key_implILNS1_25lookback_scan_determinismE0ELb0ES3_N6thrust23THRUST_200600_302600_NS6detail15normal_iteratorINS9_10device_ptrIiEEEESE_SE_iNS9_10multipliesIiEENS9_8equal_toIiEEiEE10hipError_tPvRmT2_T3_T4_T5_mT6_T7_P12ihipStream_tbENKUlT_T0_E_clISt17integral_constantIbLb0EESZ_EEDaSU_SV_EUlSU_E_NS1_11comp_targetILNS1_3genE4ELNS1_11target_archE910ELNS1_3gpuE8ELNS1_3repE0EEENS1_30default_config_static_selectorELNS0_4arch9wavefront6targetE1EEEvT1_
	.globl	_ZN7rocprim17ROCPRIM_400000_NS6detail17trampoline_kernelINS0_14default_configENS1_27scan_by_key_config_selectorIiiEEZZNS1_16scan_by_key_implILNS1_25lookback_scan_determinismE0ELb0ES3_N6thrust23THRUST_200600_302600_NS6detail15normal_iteratorINS9_10device_ptrIiEEEESE_SE_iNS9_10multipliesIiEENS9_8equal_toIiEEiEE10hipError_tPvRmT2_T3_T4_T5_mT6_T7_P12ihipStream_tbENKUlT_T0_E_clISt17integral_constantIbLb0EESZ_EEDaSU_SV_EUlSU_E_NS1_11comp_targetILNS1_3genE4ELNS1_11target_archE910ELNS1_3gpuE8ELNS1_3repE0EEENS1_30default_config_static_selectorELNS0_4arch9wavefront6targetE1EEEvT1_
	.p2align	8
	.type	_ZN7rocprim17ROCPRIM_400000_NS6detail17trampoline_kernelINS0_14default_configENS1_27scan_by_key_config_selectorIiiEEZZNS1_16scan_by_key_implILNS1_25lookback_scan_determinismE0ELb0ES3_N6thrust23THRUST_200600_302600_NS6detail15normal_iteratorINS9_10device_ptrIiEEEESE_SE_iNS9_10multipliesIiEENS9_8equal_toIiEEiEE10hipError_tPvRmT2_T3_T4_T5_mT6_T7_P12ihipStream_tbENKUlT_T0_E_clISt17integral_constantIbLb0EESZ_EEDaSU_SV_EUlSU_E_NS1_11comp_targetILNS1_3genE4ELNS1_11target_archE910ELNS1_3gpuE8ELNS1_3repE0EEENS1_30default_config_static_selectorELNS0_4arch9wavefront6targetE1EEEvT1_,@function
_ZN7rocprim17ROCPRIM_400000_NS6detail17trampoline_kernelINS0_14default_configENS1_27scan_by_key_config_selectorIiiEEZZNS1_16scan_by_key_implILNS1_25lookback_scan_determinismE0ELb0ES3_N6thrust23THRUST_200600_302600_NS6detail15normal_iteratorINS9_10device_ptrIiEEEESE_SE_iNS9_10multipliesIiEENS9_8equal_toIiEEiEE10hipError_tPvRmT2_T3_T4_T5_mT6_T7_P12ihipStream_tbENKUlT_T0_E_clISt17integral_constantIbLb0EESZ_EEDaSU_SV_EUlSU_E_NS1_11comp_targetILNS1_3genE4ELNS1_11target_archE910ELNS1_3gpuE8ELNS1_3repE0EEENS1_30default_config_static_selectorELNS0_4arch9wavefront6targetE1EEEvT1_: ; @_ZN7rocprim17ROCPRIM_400000_NS6detail17trampoline_kernelINS0_14default_configENS1_27scan_by_key_config_selectorIiiEEZZNS1_16scan_by_key_implILNS1_25lookback_scan_determinismE0ELb0ES3_N6thrust23THRUST_200600_302600_NS6detail15normal_iteratorINS9_10device_ptrIiEEEESE_SE_iNS9_10multipliesIiEENS9_8equal_toIiEEiEE10hipError_tPvRmT2_T3_T4_T5_mT6_T7_P12ihipStream_tbENKUlT_T0_E_clISt17integral_constantIbLb0EESZ_EEDaSU_SV_EUlSU_E_NS1_11comp_targetILNS1_3genE4ELNS1_11target_archE910ELNS1_3gpuE8ELNS1_3repE0EEENS1_30default_config_static_selectorELNS0_4arch9wavefront6targetE1EEEvT1_
; %bb.0:
	s_load_dwordx8 s[36:43], s[4:5], 0x0
	s_load_dwordx4 s[52:55], s[4:5], 0x28
	s_load_dwordx2 s[34:35], s[4:5], 0x38
	s_load_dword s0, s[4:5], 0x40
	s_load_dwordx8 s[44:51], s[4:5], 0x48
	s_waitcnt lgkmcnt(0)
	s_lshl_b64 s[38:39], s[38:39], 2
	s_add_u32 s2, s36, s38
	s_addc_u32 s3, s37, s39
	s_add_u32 s4, s40, s38
	s_mul_i32 s1, s35, s0
	s_mul_hi_u32 s7, s34, s0
	s_addc_u32 s5, s41, s39
	s_add_i32 s8, s7, s1
	s_mul_i32 s9, s34, s0
	s_cmp_lg_u64 s[48:49], 0
	s_mul_i32 s0, s6, 0xe00
	s_mov_b32 s1, 0
	s_cselect_b64 s[48:49], -1, 0
	s_lshl_b64 s[36:37], s[0:1], 2
	s_add_u32 s40, s2, s36
	s_addc_u32 s41, s3, s37
	s_add_u32 s7, s4, s36
	s_addc_u32 s55, s5, s37
	;; [unrolled: 2-line block ×3, first 2 shown]
	s_add_u32 s2, s44, -1
	s_addc_u32 s3, s45, -1
	v_pk_mov_b32 v[2:3], s[2:3], s[2:3] op_sel:[0,1]
	v_cmp_ge_u64_e64 s[0:1], s[56:57], v[2:3]
	s_mov_b64 s[18:19], 0
	s_mov_b64 s[4:5], -1
	s_and_b64 vcc, exec, s[0:1]
	s_mul_i32 s33, s2, 0xfffff200
	s_barrier
	s_cbranch_vccz .LBB167_77
; %bb.1:
	v_pk_mov_b32 v[2:3], s[40:41], s[40:41] op_sel:[0,1]
	flat_load_dword v1, v[2:3]
	s_add_i32 s60, s33, s54
	v_cmp_gt_u32_e64 s[2:3], s60, v0
	s_waitcnt vmcnt(0) lgkmcnt(0)
	v_mov_b32_e32 v13, v1
	s_and_saveexec_b64 s[4:5], s[2:3]
	s_cbranch_execz .LBB167_3
; %bb.2:
	v_lshlrev_b32_e32 v2, 2, v0
	v_mov_b32_e32 v3, s41
	v_add_co_u32_e32 v2, vcc, s40, v2
	v_addc_co_u32_e32 v3, vcc, 0, v3, vcc
	flat_load_dword v13, v[2:3]
.LBB167_3:
	s_or_b64 exec, exec, s[4:5]
	v_or_b32_e32 v2, 0x100, v0
	v_cmp_gt_u32_e64 s[4:5], s60, v2
	v_mov_b32_e32 v14, v1
	s_and_saveexec_b64 s[8:9], s[4:5]
	s_cbranch_execz .LBB167_5
; %bb.4:
	v_lshlrev_b32_e32 v2, 2, v0
	v_mov_b32_e32 v3, s41
	v_add_co_u32_e32 v2, vcc, s40, v2
	v_addc_co_u32_e32 v3, vcc, 0, v3, vcc
	flat_load_dword v14, v[2:3] offset:1024
.LBB167_5:
	s_or_b64 exec, exec, s[8:9]
	v_or_b32_e32 v2, 0x200, v0
	v_cmp_gt_u32_e64 s[30:31], s60, v2
	v_mov_b32_e32 v15, v1
	s_and_saveexec_b64 s[8:9], s[30:31]
	s_cbranch_execz .LBB167_7
; %bb.6:
	v_lshlrev_b32_e32 v2, 2, v0
	v_mov_b32_e32 v3, s41
	v_add_co_u32_e32 v2, vcc, s40, v2
	v_addc_co_u32_e32 v3, vcc, 0, v3, vcc
	flat_load_dword v15, v[2:3] offset:2048
.LBB167_7:
	;; [unrolled: 13-line block ×3, first 2 shown]
	s_or_b64 exec, exec, s[10:11]
	v_or_b32_e32 v2, 0x400, v0
	v_cmp_gt_u32_e64 s[10:11], s60, v2
	v_lshlrev_b32_e32 v2, 2, v2
	v_mov_b32_e32 v17, v1
	s_and_saveexec_b64 s[12:13], s[10:11]
	s_cbranch_execz .LBB167_11
; %bb.10:
	v_mov_b32_e32 v3, s41
	v_add_co_u32_e32 v4, vcc, s40, v2
	v_addc_co_u32_e32 v5, vcc, 0, v3, vcc
	flat_load_dword v17, v[4:5]
.LBB167_11:
	s_or_b64 exec, exec, s[12:13]
	v_or_b32_e32 v3, 0x500, v0
	v_cmp_gt_u32_e64 s[12:13], s60, v3
	v_lshlrev_b32_e32 v3, 2, v3
	v_mov_b32_e32 v18, v1
	s_and_saveexec_b64 s[14:15], s[12:13]
	s_cbranch_execz .LBB167_13
; %bb.12:
	v_mov_b32_e32 v5, s41
	v_add_co_u32_e32 v4, vcc, s40, v3
	v_addc_co_u32_e32 v5, vcc, 0, v5, vcc
	flat_load_dword v18, v[4:5]
.LBB167_13:
	;; [unrolled: 13-line block ×9, first 2 shown]
	s_or_b64 exec, exec, s[28:29]
	v_or_b32_e32 v11, 0xd00, v0
	v_cmp_gt_u32_e64 s[28:29], s60, v11
	v_lshlrev_b32_e32 v11, 2, v11
	s_and_saveexec_b64 s[44:45], s[28:29]
	s_cbranch_execz .LBB167_29
; %bb.28:
	v_mov_b32_e32 v1, s41
	v_add_co_u32_e32 v26, vcc, s40, v11
	v_addc_co_u32_e32 v27, vcc, 0, v1, vcc
	flat_load_dword v1, v[26:27]
.LBB167_29:
	s_or_b64 exec, exec, s[44:45]
	v_lshlrev_b32_e32 v12, 2, v0
	s_waitcnt vmcnt(0) lgkmcnt(0)
	ds_write2st64_b32 v12, v13, v14 offset1:4
	ds_write2st64_b32 v12, v15, v16 offset0:8 offset1:12
	ds_write2st64_b32 v12, v17, v18 offset0:16 offset1:20
	;; [unrolled: 1-line block ×6, first 2 shown]
	v_mad_u32_u24 v1, v0, 52, v12
	s_waitcnt lgkmcnt(0)
	s_barrier
	ds_read2_b64 v[34:37], v1 offset1:1
	ds_read2_b64 v[30:33], v1 offset0:2 offset1:3
	ds_read2_b64 v[26:29], v1 offset0:4 offset1:5
	ds_read_b64 v[40:41], v1 offset:48
	s_cmp_eq_u64 s[56:57], 0
	s_mov_b64 s[44:45], s[40:41]
	s_cbranch_scc1 .LBB167_33
; %bb.30:
	s_andn2_b64 vcc, exec, s[48:49]
	s_cbranch_vccnz .LBB167_233
; %bb.31:
	s_lshl_b64 s[44:45], s[56:57], 2
	s_add_u32 s44, s50, s44
	s_addc_u32 s45, s51, s45
	s_add_u32 s44, s44, -4
	s_addc_u32 s45, s45, -1
	s_cbranch_execnz .LBB167_33
.LBB167_32:
	s_add_u32 s44, s40, -4
	s_addc_u32 s45, s41, -1
.LBB167_33:
	v_pk_mov_b32 v[14:15], s[44:45], s[44:45] op_sel:[0,1]
	flat_load_dword v44, v[14:15]
	s_movk_i32 s44, 0xffcc
	v_mad_i32_i24 v13, v0, s44, v1
	v_cmp_ne_u32_e32 vcc, 0, v0
	s_waitcnt lgkmcnt(0)
	ds_write_b32 v13, v41 offset:14336
	s_waitcnt lgkmcnt(0)
	s_barrier
	s_and_saveexec_b64 s[44:45], vcc
	s_cbranch_execz .LBB167_35
; %bb.34:
	v_mul_i32_i24_e32 v13, 0xffffffcc, v0
	v_add_u32_e32 v13, v1, v13
	s_waitcnt vmcnt(0)
	ds_read_b32 v44, v13 offset:14332
.LBB167_35:
	s_or_b64 exec, exec, s[44:45]
	s_waitcnt lgkmcnt(0)
	s_barrier
	s_waitcnt lgkmcnt(0)
                                        ; implicit-def: $vgpr13
	s_and_saveexec_b64 s[44:45], s[2:3]
	s_cbranch_execnz .LBB167_220
; %bb.36:
	s_or_b64 exec, exec, s[44:45]
                                        ; implicit-def: $vgpr14
	s_and_saveexec_b64 s[2:3], s[4:5]
	s_cbranch_execnz .LBB167_221
.LBB167_37:
	s_or_b64 exec, exec, s[2:3]
                                        ; implicit-def: $vgpr15
	s_and_saveexec_b64 s[2:3], s[30:31]
	s_cbranch_execnz .LBB167_222
.LBB167_38:
	s_or_b64 exec, exec, s[2:3]
                                        ; implicit-def: $vgpr16
	s_and_saveexec_b64 s[2:3], s[8:9]
	s_cbranch_execnz .LBB167_223
.LBB167_39:
	s_or_b64 exec, exec, s[2:3]
                                        ; implicit-def: $vgpr17
	s_and_saveexec_b64 s[2:3], s[10:11]
	s_cbranch_execnz .LBB167_224
.LBB167_40:
	s_or_b64 exec, exec, s[2:3]
                                        ; implicit-def: $vgpr2
	s_and_saveexec_b64 s[2:3], s[12:13]
	s_cbranch_execnz .LBB167_225
.LBB167_41:
	s_or_b64 exec, exec, s[2:3]
                                        ; implicit-def: $vgpr3
	s_and_saveexec_b64 s[2:3], s[14:15]
	s_cbranch_execnz .LBB167_226
.LBB167_42:
	s_or_b64 exec, exec, s[2:3]
                                        ; implicit-def: $vgpr4
	s_and_saveexec_b64 s[2:3], s[16:17]
	s_cbranch_execnz .LBB167_227
.LBB167_43:
	s_or_b64 exec, exec, s[2:3]
                                        ; implicit-def: $vgpr5
	s_and_saveexec_b64 s[2:3], s[18:19]
	s_cbranch_execnz .LBB167_228
.LBB167_44:
	s_or_b64 exec, exec, s[2:3]
                                        ; implicit-def: $vgpr6
	s_and_saveexec_b64 s[2:3], s[20:21]
	s_cbranch_execnz .LBB167_229
.LBB167_45:
	s_or_b64 exec, exec, s[2:3]
                                        ; implicit-def: $vgpr7
	s_and_saveexec_b64 s[2:3], s[22:23]
	s_cbranch_execnz .LBB167_230
.LBB167_46:
	s_or_b64 exec, exec, s[2:3]
                                        ; implicit-def: $vgpr8
	s_and_saveexec_b64 s[2:3], s[24:25]
	s_cbranch_execnz .LBB167_231
.LBB167_47:
	s_or_b64 exec, exec, s[2:3]
                                        ; implicit-def: $vgpr9
	s_and_saveexec_b64 s[2:3], s[26:27]
	s_cbranch_execnz .LBB167_232
.LBB167_48:
	s_or_b64 exec, exec, s[2:3]
                                        ; implicit-def: $vgpr10
	s_and_saveexec_b64 s[2:3], s[28:29]
	s_cbranch_execz .LBB167_50
.LBB167_49:
	v_mov_b32_e32 v18, s55
	v_add_co_u32_e32 v10, vcc, s7, v11
	v_addc_co_u32_e32 v11, vcc, 0, v18, vcc
	flat_load_dword v10, v[10:11]
.LBB167_50:
	s_or_b64 exec, exec, s[2:3]
	s_mov_b32 s8, 0
	s_mov_b32 s9, s8
	s_waitcnt vmcnt(0) lgkmcnt(0)
	ds_write2st64_b32 v12, v13, v14 offset1:4
	ds_write2st64_b32 v12, v15, v16 offset0:8 offset1:12
	ds_write2st64_b32 v12, v17, v2 offset0:16 offset1:20
	;; [unrolled: 1-line block ×6, first 2 shown]
	s_mov_b32 s10, s8
	s_mov_b32 s11, s8
	;; [unrolled: 1-line block ×6, first 2 shown]
	v_pk_mov_b32 v[2:3], s[8:9], s[8:9] op_sel:[0,1]
	v_pk_mov_b32 v[8:9], s[14:15], s[14:15] op_sel:[0,1]
	v_mul_u32_u24_e32 v42, 14, v0
	v_pk_mov_b32 v[4:5], s[10:11], s[10:11] op_sel:[0,1]
	v_pk_mov_b32 v[6:7], s[12:13], s[12:13] op_sel:[0,1]
	v_pk_mov_b32 v[16:17], v[8:9], v[8:9] op_sel:[0,1]
	v_pk_mov_b32 v[24:25], v[8:9], v[8:9] op_sel:[0,1]
	v_cmp_gt_u32_e32 vcc, s60, v42
	s_mov_b64 s[4:5], 0
	v_pk_mov_b32 v[38:39], 0, 0
	s_mov_b64 s[18:19], 0
	v_pk_mov_b32 v[14:15], v[6:7], v[6:7] op_sel:[0,1]
	v_pk_mov_b32 v[12:13], v[4:5], v[4:5] op_sel:[0,1]
	;; [unrolled: 1-line block ×6, first 2 shown]
	s_waitcnt lgkmcnt(0)
	s_barrier
	s_waitcnt lgkmcnt(0)
                                        ; implicit-def: $sgpr2_sgpr3
                                        ; implicit-def: $vgpr43
	s_and_saveexec_b64 s[16:17], vcc
	s_cbranch_execz .LBB167_76
; %bb.51:
	v_or_b32_e32 v2, 1, v42
	ds_read_b32 v38, v1
	v_cmp_ne_u32_e32 vcc, v44, v34
	v_cndmask_b32_e64 v39, 0, 1, vcc
	v_cmp_gt_u32_e32 vcc, s60, v2
	v_pk_mov_b32 v[2:3], s[8:9], s[8:9] op_sel:[0,1]
	v_pk_mov_b32 v[8:9], s[14:15], s[14:15] op_sel:[0,1]
	;; [unrolled: 1-line block ×6, first 2 shown]
	s_mov_b64 s[20:21], 0
	v_pk_mov_b32 v[14:15], v[6:7], v[6:7] op_sel:[0,1]
	v_pk_mov_b32 v[12:13], v[4:5], v[4:5] op_sel:[0,1]
	;; [unrolled: 1-line block ×6, first 2 shown]
                                        ; implicit-def: $sgpr8_sgpr9
                                        ; implicit-def: $vgpr43
	s_and_saveexec_b64 s[18:19], vcc
	s_cbranch_execz .LBB167_75
; %bb.52:
	ds_read2_b32 v[44:45], v1 offset0:1 offset1:2
	s_mov_b32 s8, 0
	s_mov_b32 s14, s8
	s_mov_b32 s15, s8
	s_mov_b32 s9, s8
	s_mov_b32 s10, s8
	s_mov_b32 s11, s8
	s_mov_b32 s12, s8
	s_mov_b32 s13, s8
	v_pk_mov_b32 v[16:17], s[14:15], s[14:15] op_sel:[0,1]
	v_add_u32_e32 v2, 2, v42
	v_cmp_ne_u32_e32 vcc, v34, v35
	v_mov_b32_e32 v6, 0
	v_pk_mov_b32 v[14:15], s[12:13], s[12:13] op_sel:[0,1]
	v_pk_mov_b32 v[12:13], s[10:11], s[10:11] op_sel:[0,1]
	;; [unrolled: 1-line block ×4, first 2 shown]
	v_cndmask_b32_e64 v3, 0, 1, vcc
	v_cmp_gt_u32_e32 vcc, s60, v2
	s_waitcnt lgkmcnt(0)
	v_mov_b32_e32 v2, v44
	v_mov_b32_e32 v4, v6
	;; [unrolled: 1-line block ×6, first 2 shown]
	s_mov_b64 s[2:3], 0
	v_pk_mov_b32 v[22:23], v[14:15], v[14:15] op_sel:[0,1]
	v_pk_mov_b32 v[20:21], v[12:13], v[12:13] op_sel:[0,1]
	;; [unrolled: 1-line block ×3, first 2 shown]
                                        ; implicit-def: $sgpr22_sgpr23
                                        ; implicit-def: $vgpr43
	s_and_saveexec_b64 s[20:21], vcc
	s_cbranch_execz .LBB167_74
; %bb.53:
	v_pk_mov_b32 v[16:17], s[14:15], s[14:15] op_sel:[0,1]
	v_add_u32_e32 v2, 3, v42
	v_cmp_ne_u32_e32 vcc, v35, v36
	v_pk_mov_b32 v[14:15], s[12:13], s[12:13] op_sel:[0,1]
	v_pk_mov_b32 v[12:13], s[10:11], s[10:11] op_sel:[0,1]
	;; [unrolled: 1-line block ×4, first 2 shown]
	v_cndmask_b32_e64 v5, 0, 1, vcc
	v_cmp_gt_u32_e32 vcc, s60, v2
	v_mov_b32_e32 v2, v44
	v_mov_b32_e32 v4, v45
	;; [unrolled: 1-line block ×5, first 2 shown]
	v_pk_mov_b32 v[22:23], v[14:15], v[14:15] op_sel:[0,1]
	v_pk_mov_b32 v[20:21], v[12:13], v[12:13] op_sel:[0,1]
	;; [unrolled: 1-line block ×3, first 2 shown]
                                        ; implicit-def: $sgpr8_sgpr9
                                        ; implicit-def: $vgpr43
	s_and_saveexec_b64 s[22:23], vcc
	s_cbranch_execz .LBB167_73
; %bb.54:
	ds_read2_b32 v[34:35], v1 offset0:3 offset1:4
	s_mov_b32 s8, 0
	s_mov_b32 s14, s8
	;; [unrolled: 1-line block ×8, first 2 shown]
	v_pk_mov_b32 v[16:17], s[14:15], s[14:15] op_sel:[0,1]
	v_add_u32_e32 v6, 4, v42
	v_cmp_ne_u32_e32 vcc, v36, v37
	v_pk_mov_b32 v[14:15], s[12:13], s[12:13] op_sel:[0,1]
	v_pk_mov_b32 v[12:13], s[10:11], s[10:11] op_sel:[0,1]
	v_pk_mov_b32 v[10:11], s[8:9], s[8:9] op_sel:[0,1]
	v_pk_mov_b32 v[24:25], v[16:17], v[16:17] op_sel:[0,1]
	v_cndmask_b32_e64 v7, 0, 1, vcc
	v_cmp_gt_u32_e32 vcc, s60, v6
	s_waitcnt lgkmcnt(0)
	v_mov_b32_e32 v6, v34
	v_mov_b32_e32 v8, s8
	;; [unrolled: 1-line block ×3, first 2 shown]
	v_pk_mov_b32 v[22:23], v[14:15], v[14:15] op_sel:[0,1]
	v_pk_mov_b32 v[20:21], v[12:13], v[12:13] op_sel:[0,1]
	;; [unrolled: 1-line block ×3, first 2 shown]
                                        ; implicit-def: $sgpr26_sgpr27
                                        ; implicit-def: $vgpr43
	s_and_saveexec_b64 s[24:25], vcc
	s_cbranch_execz .LBB167_72
; %bb.55:
	v_pk_mov_b32 v[16:17], s[14:15], s[14:15] op_sel:[0,1]
	v_add_u32_e32 v8, 5, v42
	v_cmp_ne_u32_e32 vcc, v37, v30
	v_pk_mov_b32 v[14:15], s[12:13], s[12:13] op_sel:[0,1]
	v_pk_mov_b32 v[12:13], s[10:11], s[10:11] op_sel:[0,1]
	;; [unrolled: 1-line block ×4, first 2 shown]
	v_cndmask_b32_e64 v9, 0, 1, vcc
	v_cmp_gt_u32_e32 vcc, s60, v8
	v_mov_b32_e32 v8, v35
	v_pk_mov_b32 v[22:23], v[14:15], v[14:15] op_sel:[0,1]
	v_pk_mov_b32 v[20:21], v[12:13], v[12:13] op_sel:[0,1]
	;; [unrolled: 1-line block ×3, first 2 shown]
                                        ; implicit-def: $sgpr8_sgpr9
                                        ; implicit-def: $vgpr43
	s_and_saveexec_b64 s[26:27], vcc
	s_cbranch_execz .LBB167_71
; %bb.56:
	ds_read2_b32 v[34:35], v1 offset0:5 offset1:6
	s_mov_b32 s8, 0
	s_mov_b32 s14, s8
	;; [unrolled: 1-line block ×3, first 2 shown]
	v_add_u32_e32 v10, 6, v42
	v_cmp_ne_u32_e32 vcc, v30, v31
	v_mov_b32_e32 v14, 0
	s_mov_b32 s9, s8
	s_mov_b32 s10, s8
	;; [unrolled: 1-line block ×5, first 2 shown]
	v_pk_mov_b32 v[24:25], s[14:15], s[14:15] op_sel:[0,1]
	v_cndmask_b32_e64 v11, 0, 1, vcc
	v_cmp_gt_u32_e32 vcc, s60, v10
	s_waitcnt lgkmcnt(0)
	v_mov_b32_e32 v10, v34
	v_mov_b32_e32 v12, v14
	;; [unrolled: 1-line block ×6, first 2 shown]
	v_pk_mov_b32 v[22:23], s[12:13], s[12:13] op_sel:[0,1]
	v_pk_mov_b32 v[20:21], s[10:11], s[10:11] op_sel:[0,1]
	;; [unrolled: 1-line block ×3, first 2 shown]
                                        ; implicit-def: $sgpr30_sgpr31
                                        ; implicit-def: $vgpr43
	s_and_saveexec_b64 s[28:29], vcc
	s_cbranch_execz .LBB167_70
; %bb.57:
	v_add_u32_e32 v10, 7, v42
	v_cmp_ne_u32_e32 vcc, v31, v32
	v_pk_mov_b32 v[24:25], s[14:15], s[14:15] op_sel:[0,1]
	v_cndmask_b32_e64 v13, 0, 1, vcc
	v_cmp_gt_u32_e32 vcc, s60, v10
	v_mov_b32_e32 v10, v34
	v_mov_b32_e32 v12, v35
	;; [unrolled: 1-line block ×5, first 2 shown]
	v_pk_mov_b32 v[22:23], s[12:13], s[12:13] op_sel:[0,1]
	v_pk_mov_b32 v[20:21], s[10:11], s[10:11] op_sel:[0,1]
	;; [unrolled: 1-line block ×3, first 2 shown]
                                        ; implicit-def: $sgpr8_sgpr9
                                        ; implicit-def: $vgpr43
	s_and_saveexec_b64 s[30:31], vcc
	s_cbranch_execz .LBB167_69
; %bb.58:
	ds_read2_b32 v[30:31], v1 offset0:7 offset1:8
	s_mov_b32 s8, 0
	s_mov_b32 s14, s8
	;; [unrolled: 1-line block ×3, first 2 shown]
	v_add_u32_e32 v14, 8, v42
	v_cmp_ne_u32_e32 vcc, v32, v33
	s_mov_b32 s9, s8
	s_mov_b32 s10, s8
	;; [unrolled: 1-line block ×5, first 2 shown]
	v_pk_mov_b32 v[24:25], s[14:15], s[14:15] op_sel:[0,1]
	v_cndmask_b32_e64 v15, 0, 1, vcc
	v_cmp_gt_u32_e32 vcc, s60, v14
	s_waitcnt lgkmcnt(0)
	v_mov_b32_e32 v14, v30
	v_mov_b32_e32 v16, s8
	;; [unrolled: 1-line block ×3, first 2 shown]
	v_pk_mov_b32 v[22:23], s[12:13], s[12:13] op_sel:[0,1]
	v_pk_mov_b32 v[20:21], s[10:11], s[10:11] op_sel:[0,1]
	;; [unrolled: 1-line block ×3, first 2 shown]
                                        ; implicit-def: $sgpr58_sgpr59
                                        ; implicit-def: $vgpr43
	s_and_saveexec_b64 s[44:45], vcc
	s_cbranch_execz .LBB167_68
; %bb.59:
	v_add_u32_e32 v16, 9, v42
	v_cmp_ne_u32_e32 vcc, v33, v26
	v_pk_mov_b32 v[24:25], s[14:15], s[14:15] op_sel:[0,1]
	v_cndmask_b32_e64 v17, 0, 1, vcc
	v_cmp_gt_u32_e32 vcc, s60, v16
	v_mov_b32_e32 v16, v31
	v_pk_mov_b32 v[22:23], s[12:13], s[12:13] op_sel:[0,1]
	v_pk_mov_b32 v[20:21], s[10:11], s[10:11] op_sel:[0,1]
	;; [unrolled: 1-line block ×3, first 2 shown]
                                        ; implicit-def: $sgpr10_sgpr11
                                        ; implicit-def: $vgpr43
	s_and_saveexec_b64 s[8:9], vcc
	s_cbranch_execz .LBB167_67
; %bb.60:
	ds_read2_b32 v[30:31], v1 offset0:9 offset1:10
	v_add_u32_e32 v18, 10, v42
	v_cmp_ne_u32_e32 vcc, v26, v27
	v_mov_b32_e32 v22, 0
	v_cndmask_b32_e64 v19, 0, 1, vcc
	v_cmp_gt_u32_e32 vcc, s60, v18
	s_waitcnt lgkmcnt(0)
	v_mov_b32_e32 v18, v30
	v_mov_b32_e32 v20, v22
	;; [unrolled: 1-line block ×6, first 2 shown]
                                        ; implicit-def: $sgpr12_sgpr13
                                        ; implicit-def: $vgpr43
	s_and_saveexec_b64 s[10:11], vcc
	s_cbranch_execz .LBB167_66
; %bb.61:
	v_add_u32_e32 v18, 11, v42
	v_cmp_ne_u32_e32 vcc, v27, v28
	v_cndmask_b32_e64 v21, 0, 1, vcc
	v_cmp_gt_u32_e32 vcc, s60, v18
	s_mov_b32 s58, 0
	v_mov_b32_e32 v18, v30
	v_mov_b32_e32 v20, v31
	;; [unrolled: 1-line block ×5, first 2 shown]
                                        ; implicit-def: $sgpr14_sgpr15
                                        ; implicit-def: $vgpr43
	s_and_saveexec_b64 s[12:13], vcc
	s_cbranch_execz .LBB167_65
; %bb.62:
	ds_read2_b32 v[26:27], v1 offset0:11 offset1:12
	v_add_u32_e32 v22, 12, v42
	v_cmp_ne_u32_e32 vcc, v28, v29
	v_cndmask_b32_e64 v23, 0, 1, vcc
	v_cmp_gt_u32_e32 vcc, s60, v22
	s_waitcnt lgkmcnt(0)
	v_mov_b32_e32 v22, v26
	v_mov_b32_e32 v24, s58
	;; [unrolled: 1-line block ×3, first 2 shown]
                                        ; implicit-def: $sgpr14_sgpr15
                                        ; implicit-def: $vgpr43
	s_and_saveexec_b64 s[58:59], vcc
	s_xor_b64 s[58:59], exec, s[58:59]
	s_cbranch_execz .LBB167_64
; %bb.63:
	ds_read_b32 v43, v1 offset:52
	v_add_u32_e32 v1, 13, v42
	v_cmp_ne_u32_e64 s[2:3], v29, v40
	v_cmp_ne_u32_e32 vcc, v40, v41
	v_cndmask_b32_e64 v25, 0, 1, s[2:3]
	v_cmp_gt_u32_e64 s[2:3], s60, v1
	v_mov_b32_e32 v24, v27
	s_and_b64 s[14:15], vcc, exec
	s_and_b64 s[2:3], s[2:3], exec
.LBB167_64:
	s_or_b64 exec, exec, s[58:59]
	s_and_b64 s[14:15], s[14:15], exec
	s_and_b64 s[2:3], s[2:3], exec
.LBB167_65:
	s_or_b64 exec, exec, s[12:13]
	s_and_b64 s[12:13], s[14:15], exec
	s_and_b64 s[2:3], s[2:3], exec
.LBB167_66:
	s_or_b64 exec, exec, s[10:11]
	s_and_b64 s[10:11], s[12:13], exec
	s_and_b64 s[2:3], s[2:3], exec
.LBB167_67:
	s_or_b64 exec, exec, s[8:9]
	s_and_b64 s[58:59], s[10:11], exec
	s_and_b64 s[2:3], s[2:3], exec
.LBB167_68:
	s_or_b64 exec, exec, s[44:45]
	s_and_b64 s[8:9], s[58:59], exec
	s_and_b64 s[2:3], s[2:3], exec
.LBB167_69:
	s_or_b64 exec, exec, s[30:31]
	s_and_b64 s[30:31], s[8:9], exec
	s_and_b64 s[2:3], s[2:3], exec
.LBB167_70:
	s_or_b64 exec, exec, s[28:29]
	s_and_b64 s[8:9], s[30:31], exec
	s_and_b64 s[2:3], s[2:3], exec
.LBB167_71:
	s_or_b64 exec, exec, s[26:27]
	s_and_b64 s[26:27], s[8:9], exec
	s_and_b64 s[2:3], s[2:3], exec
.LBB167_72:
	s_or_b64 exec, exec, s[24:25]
	s_and_b64 s[8:9], s[26:27], exec
	s_and_b64 s[2:3], s[2:3], exec
.LBB167_73:
	s_or_b64 exec, exec, s[22:23]
	s_and_b64 s[22:23], s[8:9], exec
	s_and_b64 s[2:3], s[2:3], exec
.LBB167_74:
	s_or_b64 exec, exec, s[20:21]
	s_and_b64 s[8:9], s[22:23], exec
	s_and_b64 s[20:21], s[2:3], exec
.LBB167_75:
	s_or_b64 exec, exec, s[18:19]
	s_and_b64 s[2:3], s[8:9], exec
	s_and_b64 s[18:19], s[20:21], exec
.LBB167_76:
	s_or_b64 exec, exec, s[16:17]
	s_and_b64 vcc, exec, s[4:5]
	v_lshlrev_b32_e32 v50, 2, v0
	s_cbranch_vccnz .LBB167_78
	s_branch .LBB167_86
.LBB167_77:
                                        ; implicit-def: $sgpr2_sgpr3
                                        ; implicit-def: $vgpr2_vgpr3_vgpr4_vgpr5_vgpr6_vgpr7_vgpr8_vgpr9
                                        ; implicit-def: $vgpr10_vgpr11_vgpr12_vgpr13_vgpr14_vgpr15_vgpr16_vgpr17
                                        ; implicit-def: $vgpr18_vgpr19_vgpr20_vgpr21_vgpr22_vgpr23_vgpr24_vgpr25
                                        ; implicit-def: $vgpr43
                                        ; implicit-def: $vgpr38_vgpr39
	s_and_b64 vcc, exec, s[4:5]
	v_lshlrev_b32_e32 v50, 2, v0
	s_cbranch_vccz .LBB167_86
.LBB167_78:
	v_mov_b32_e32 v1, s41
	v_add_co_u32_e32 v2, vcc, s40, v50
	v_addc_co_u32_e32 v3, vcc, 0, v1, vcc
	v_add_co_u32_e32 v4, vcc, 0x1000, v2
	v_addc_co_u32_e32 v5, vcc, 0, v3, vcc
	flat_load_dword v6, v[2:3]
	flat_load_dword v7, v[2:3] offset:1024
	flat_load_dword v8, v[2:3] offset:2048
	;; [unrolled: 1-line block ×3, first 2 shown]
	flat_load_dword v10, v[4:5]
	flat_load_dword v11, v[4:5] offset:1024
	flat_load_dword v12, v[4:5] offset:2048
	;; [unrolled: 1-line block ×3, first 2 shown]
	v_add_co_u32_e32 v4, vcc, 0x2000, v2
	v_addc_co_u32_e32 v5, vcc, 0, v3, vcc
	v_add_co_u32_e32 v2, vcc, 0x3000, v2
	v_addc_co_u32_e32 v3, vcc, 0, v3, vcc
	flat_load_dword v14, v[4:5]
	flat_load_dword v15, v[4:5] offset:1024
	flat_load_dword v16, v[4:5] offset:2048
	;; [unrolled: 1-line block ×3, first 2 shown]
	flat_load_dword v18, v[2:3]
	flat_load_dword v19, v[2:3] offset:1024
	v_mad_u32_u24 v1, v0, 52, v50
	s_cmp_eq_u64 s[56:57], 0
	s_waitcnt vmcnt(0) lgkmcnt(0)
	ds_write2st64_b32 v50, v6, v7 offset1:4
	ds_write2st64_b32 v50, v8, v9 offset0:8 offset1:12
	ds_write2st64_b32 v50, v10, v11 offset0:16 offset1:20
	;; [unrolled: 1-line block ×6, first 2 shown]
	s_waitcnt lgkmcnt(0)
	s_barrier
	ds_read2_b64 v[2:5], v1 offset1:1
	ds_read2_b64 v[10:13], v1 offset0:2 offset1:3
	ds_read2_b64 v[18:21], v1 offset0:4 offset1:5
	ds_read_b64 v[6:7], v1 offset:48
	s_cbranch_scc1 .LBB167_83
; %bb.79:
	s_andn2_b64 vcc, exec, s[48:49]
	s_cbranch_vccnz .LBB167_234
; %bb.80:
	s_lshl_b64 s[2:3], s[56:57], 2
	s_add_u32 s2, s50, s2
	s_addc_u32 s3, s51, s3
	s_add_u32 s2, s2, -4
	s_addc_u32 s3, s3, -1
	s_cbranch_execnz .LBB167_82
.LBB167_81:
	s_add_u32 s2, s40, -4
	s_addc_u32 s3, s41, -1
.LBB167_82:
	s_mov_b64 s[40:41], s[2:3]
.LBB167_83:
	v_pk_mov_b32 v[8:9], s[40:41], s[40:41] op_sel:[0,1]
	flat_load_dword v8, v[8:9]
	s_movk_i32 s2, 0xffcc
	v_mad_i32_i24 v9, v0, s2, v1
	v_cmp_ne_u32_e32 vcc, 0, v0
	s_waitcnt lgkmcnt(0)
	ds_write_b32 v9, v7 offset:14336
	s_waitcnt lgkmcnt(0)
	s_barrier
	s_and_saveexec_b64 s[2:3], vcc
	s_cbranch_execz .LBB167_85
; %bb.84:
	s_waitcnt vmcnt(0)
	v_mul_i32_i24_e32 v8, 0xffffffcc, v0
	v_add_u32_e32 v8, v1, v8
	ds_read_b32 v8, v8 offset:14332
.LBB167_85:
	s_or_b64 exec, exec, s[2:3]
	v_mov_b32_e32 v9, s55
	v_add_co_u32_e32 v14, vcc, s7, v50
	v_addc_co_u32_e32 v15, vcc, 0, v9, vcc
	s_movk_i32 s2, 0x1000
	v_add_co_u32_e32 v16, vcc, s2, v14
	v_addc_co_u32_e32 v17, vcc, 0, v15, vcc
	s_movk_i32 s2, 0x2000
	s_waitcnt lgkmcnt(0)
	s_barrier
	flat_load_dword v22, v[14:15]
	flat_load_dword v24, v[14:15] offset:1024
	flat_load_dword v26, v[14:15] offset:2048
	;; [unrolled: 1-line block ×3, first 2 shown]
	flat_load_dword v28, v[16:17]
	flat_load_dword v29, v[16:17] offset:1024
	flat_load_dword v30, v[16:17] offset:2048
	;; [unrolled: 1-line block ×3, first 2 shown]
	v_add_co_u32_e32 v16, vcc, s2, v14
	v_addc_co_u32_e32 v17, vcc, 0, v15, vcc
	s_movk_i32 s2, 0x3000
	v_add_co_u32_e32 v14, vcc, s2, v14
	v_addc_co_u32_e32 v15, vcc, 0, v15, vcc
	flat_load_dword v32, v[16:17]
	flat_load_dword v33, v[16:17] offset:1024
	flat_load_dword v34, v[16:17] offset:2048
	;; [unrolled: 1-line block ×3, first 2 shown]
	flat_load_dword v36, v[14:15]
	flat_load_dword v37, v[14:15] offset:1024
	s_waitcnt vmcnt(0)
	v_cmp_ne_u32_e32 vcc, v8, v2
	v_cndmask_b32_e64 v39, 0, 1, vcc
	v_cmp_ne_u32_e32 vcc, v5, v10
	v_cndmask_b32_e64 v9, 0, 1, vcc
	v_cmp_ne_u32_e32 vcc, v4, v5
	v_cmp_ne_u32_e64 s[2:3], v6, v7
	v_cndmask_b32_e64 v7, 0, 1, vcc
	v_cmp_ne_u32_e32 vcc, v3, v4
	v_cndmask_b32_e64 v5, 0, 1, vcc
	v_cmp_ne_u32_e32 vcc, v2, v3
	;; [unrolled: 2-line block ×10, first 2 shown]
	v_cndmask_b32_e64 v19, 0, 1, vcc
	s_mov_b64 s[18:19], -1
                                        ; implicit-def: $sgpr4_sgpr5
	s_waitcnt lgkmcnt(0)
	ds_write2st64_b32 v50, v22, v24 offset1:4
	ds_write2st64_b32 v50, v26, v27 offset0:8 offset1:12
	ds_write2st64_b32 v50, v28, v29 offset0:16 offset1:20
	;; [unrolled: 1-line block ×6, first 2 shown]
	s_waitcnt lgkmcnt(0)
	s_barrier
	ds_read2_b32 v[42:43], v1 offset1:13
	ds_read2_b32 v[26:27], v1 offset0:7 offset1:8
	ds_read2_b32 v[28:29], v1 offset0:5 offset1:6
	;; [unrolled: 1-line block ×6, first 2 shown]
	s_waitcnt lgkmcnt(6)
	v_mov_b32_e32 v38, v42
	s_waitcnt lgkmcnt(4)
	v_mov_b32_e32 v10, v28
	;; [unrolled: 2-line block ×4, first 2 shown]
	v_mov_b32_e32 v4, v33
	v_mov_b32_e32 v8, v31
	v_mov_b32_e32 v12, v29
	v_mov_b32_e32 v14, v26
	v_mov_b32_e32 v16, v27
	s_waitcnt lgkmcnt(0)
	v_mov_b32_e32 v18, v36
	v_mov_b32_e32 v20, v37
	;; [unrolled: 1-line block ×4, first 2 shown]
.LBB167_86:
	v_pk_mov_b32 v[40:41], s[4:5], s[4:5] op_sel:[0,1]
	s_and_saveexec_b64 s[4:5], s[18:19]
	s_cbranch_execz .LBB167_88
; %bb.87:
	v_cndmask_b32_e64 v41, 0, 1, s[2:3]
	s_waitcnt lgkmcnt(0)
	v_mov_b32_e32 v40, v43
.LBB167_88:
	s_or_b64 exec, exec, s[4:5]
	s_mov_b32 s26, 0
	s_cmp_lg_u32 s6, 0
	v_mbcnt_lo_u32_b32 v1, -1, 0
	s_waitcnt lgkmcnt(0)
	s_barrier
	s_cbranch_scc0 .LBB167_157
; %bb.89:
	s_mov_b32 s27, 1
	v_cmp_gt_u64_e64 s[2:3], s[26:27], v[2:3]
	v_cndmask_b32_e64 v27, 1, v38, s[2:3]
	v_mul_lo_u32 v27, v27, v2
	v_cmp_gt_u64_e64 s[4:5], s[26:27], v[4:5]
	v_cndmask_b32_e64 v27, 1, v27, s[4:5]
	v_mul_lo_u32 v27, v27, v4
	;; [unrolled: 3-line block ×13, first 2 shown]
	v_or3_b32 v27, v41, v25, v23
	v_or3_b32 v27, v27, v21, v19
	;; [unrolled: 1-line block ×6, first 2 shown]
	v_mov_b32_e32 v26, 0
	v_and_b32_e32 v27, 1, v27
	v_cmp_eq_u64_e32 vcc, 0, v[26:27]
	v_mbcnt_hi_u32_b32 v37, -1, v1
	v_cndmask_b32_e32 v29, 1, v39, vcc
	v_and_b32_e32 v26, 15, v37
	v_mov_b32_dpp v30, v28 row_shr:1 row_mask:0xf bank_mask:0xf
	v_mov_b32_dpp v27, v29 row_shr:1 row_mask:0xf bank_mask:0xf
	v_cmp_ne_u32_e32 vcc, 0, v26
	s_and_saveexec_b64 s[28:29], vcc
; %bb.90:
	v_cmp_eq_u32_e32 vcc, 0, v29
	v_and_b32_e32 v29, 1, v29
	v_cndmask_b32_e32 v30, 1, v30, vcc
	v_and_b32_e32 v27, 1, v27
	v_cmp_eq_u32_e32 vcc, 1, v29
	v_mul_lo_u32 v28, v30, v28
	v_cndmask_b32_e64 v29, v27, 1, vcc
; %bb.91:
	s_or_b64 exec, exec, s[28:29]
	v_mov_b32_dpp v30, v28 row_shr:2 row_mask:0xf bank_mask:0xf
	v_mov_b32_dpp v27, v29 row_shr:2 row_mask:0xf bank_mask:0xf
	v_cmp_lt_u32_e32 vcc, 1, v26
	s_and_saveexec_b64 s[28:29], vcc
; %bb.92:
	v_cmp_eq_u32_e32 vcc, 0, v29
	v_and_b32_e32 v29, 1, v29
	v_cndmask_b32_e32 v30, 1, v30, vcc
	v_and_b32_e32 v27, 1, v27
	v_cmp_eq_u32_e32 vcc, 1, v29
	v_mul_lo_u32 v28, v30, v28
	v_cndmask_b32_e64 v29, v27, 1, vcc
; %bb.93:
	s_or_b64 exec, exec, s[28:29]
	v_mov_b32_dpp v30, v28 row_shr:4 row_mask:0xf bank_mask:0xf
	v_mov_b32_dpp v27, v29 row_shr:4 row_mask:0xf bank_mask:0xf
	v_cmp_lt_u32_e32 vcc, 3, v26
	;; [unrolled: 14-line block ×3, first 2 shown]
	s_and_saveexec_b64 s[28:29], vcc
; %bb.96:
	v_cmp_eq_u32_e32 vcc, 0, v29
	v_cndmask_b32_e32 v26, 1, v30, vcc
	v_mul_lo_u32 v28, v26, v28
	v_and_b32_e32 v26, 1, v29
	v_and_b32_e32 v27, 1, v27
	v_cmp_eq_u32_e32 vcc, 1, v26
	v_cndmask_b32_e64 v29, v27, 1, vcc
; %bb.97:
	s_or_b64 exec, exec, s[28:29]
	v_and_b32_e32 v30, 16, v37
	v_mov_b32_dpp v27, v28 row_bcast:15 row_mask:0xf bank_mask:0xf
	v_mov_b32_dpp v26, v29 row_bcast:15 row_mask:0xf bank_mask:0xf
	v_cmp_ne_u32_e32 vcc, 0, v30
	s_and_saveexec_b64 s[28:29], vcc
; %bb.98:
	v_cmp_eq_u32_e32 vcc, 0, v29
	v_cndmask_b32_e32 v27, 1, v27, vcc
	v_mul_lo_u32 v28, v27, v28
	v_and_b32_e32 v27, 1, v29
	v_and_b32_e32 v26, 1, v26
	v_cmp_eq_u32_e32 vcc, 1, v27
	v_cndmask_b32_e64 v29, v26, 1, vcc
; %bb.99:
	s_or_b64 exec, exec, s[28:29]
	v_mov_b32_dpp v27, v28 row_bcast:31 row_mask:0xf bank_mask:0xf
	v_mov_b32_dpp v26, v29 row_bcast:31 row_mask:0xf bank_mask:0xf
	v_cmp_lt_u32_e32 vcc, 31, v37
	s_and_saveexec_b64 s[28:29], vcc
; %bb.100:
	v_cmp_eq_u32_e32 vcc, 0, v29
	v_cndmask_b32_e32 v27, 1, v27, vcc
	v_mul_lo_u32 v28, v27, v28
	v_and_b32_e32 v27, 1, v29
	v_and_b32_e32 v26, 1, v26
	v_cmp_eq_u32_e32 vcc, 1, v27
	v_cndmask_b32_e64 v29, v26, 1, vcc
; %bb.101:
	s_or_b64 exec, exec, s[28:29]
	v_or_b32_e32 v26, 63, v0
	v_lshrrev_b32_e32 v30, 6, v0
	v_cmp_eq_u32_e32 vcc, v26, v0
	s_and_saveexec_b64 s[28:29], vcc
	s_cbranch_execz .LBB167_103
; %bb.102:
	v_lshlrev_b32_e32 v26, 3, v30
	ds_write_b32 v26, v28
	ds_write_b8 v26, v29 offset:4
.LBB167_103:
	s_or_b64 exec, exec, s[28:29]
	v_cmp_gt_u32_e32 vcc, 4, v0
	s_waitcnt lgkmcnt(0)
	s_barrier
	s_and_saveexec_b64 s[28:29], vcc
	s_cbranch_execz .LBB167_109
; %bb.104:
	v_lshlrev_b32_e32 v31, 3, v0
	ds_read_b64 v[26:27], v31
	v_and_b32_e32 v32, 3, v37
	v_cmp_ne_u32_e32 vcc, 0, v32
	s_waitcnt lgkmcnt(0)
	v_mov_b32_dpp v35, v26 row_shr:1 row_mask:0xf bank_mask:0xf
	v_mov_b32_dpp v34, v27 row_shr:1 row_mask:0xf bank_mask:0xf
	v_mov_b32_e32 v33, v27
	s_and_saveexec_b64 s[40:41], vcc
	s_cbranch_execz .LBB167_106
; %bb.105:
	v_mov_b32_e32 v33, 0
	v_cmp_eq_u16_sdwa vcc, v27, v33 src0_sel:BYTE_0 src1_sel:DWORD
	v_cndmask_b32_e32 v33, 1, v35, vcc
	v_mul_lo_u32 v26, v33, v26
	v_and_b32_e32 v33, 1, v27
	v_and_b32_e32 v34, 1, v34
	v_cmp_eq_u32_e32 vcc, 1, v33
	v_cndmask_b32_e64 v34, v34, 1, vcc
	v_and_b32_e32 v33, 0xffff, v34
	s_movk_i32 s7, 0xff00
	v_and_or_b32 v33, v27, s7, v33
	v_mov_b32_e32 v27, v34
.LBB167_106:
	s_or_b64 exec, exec, s[40:41]
	v_mov_b32_dpp v34, v26 row_shr:2 row_mask:0xf bank_mask:0xf
	v_mov_b32_dpp v33, v33 row_shr:2 row_mask:0xf bank_mask:0xf
	v_cmp_lt_u32_e32 vcc, 1, v32
	s_and_saveexec_b64 s[40:41], vcc
; %bb.107:
	v_mov_b32_e32 v32, 0
	v_cmp_eq_u16_sdwa vcc, v27, v32 src0_sel:BYTE_0 src1_sel:DWORD
	v_cndmask_b32_e32 v32, 1, v34, vcc
	v_and_b32_e32 v27, 1, v27
	v_mul_lo_u32 v26, v32, v26
	v_and_b32_e32 v32, 1, v33
	v_cmp_eq_u32_e32 vcc, 1, v27
	v_cndmask_b32_e64 v27, v32, 1, vcc
; %bb.108:
	s_or_b64 exec, exec, s[40:41]
	ds_write_b32 v31, v26
	ds_write_b8 v31, v27 offset:4
.LBB167_109:
	s_or_b64 exec, exec, s[28:29]
	v_mov_b32_e32 v34, v39
	v_cmp_gt_u32_e32 vcc, 64, v0
	v_cmp_lt_u32_e64 s[28:29], 63, v0
	v_mov_b32_e32 v35, 0
	v_mov_b32_e32 v44, 0
	s_waitcnt lgkmcnt(0)
	s_barrier
	s_and_saveexec_b64 s[40:41], s[28:29]
	s_cbranch_execz .LBB167_111
; %bb.110:
	v_lshl_add_u32 v26, v30, 3, -8
	ds_read_b32 v35, v26
	ds_read_u8 v44, v26 offset:4
	v_and_b32_e32 v26, 1, v29
	v_cmp_eq_u32_e64 s[28:29], 0, v29
	s_waitcnt lgkmcnt(1)
	v_cndmask_b32_e64 v27, 1, v35, s[28:29]
	s_waitcnt lgkmcnt(0)
	v_and_b32_e32 v29, 1, v44
	v_cmp_eq_u32_e64 s[28:29], 1, v26
	v_mul_lo_u32 v28, v27, v28
	v_cndmask_b32_e64 v29, v29, 1, s[28:29]
.LBB167_111:
	s_or_b64 exec, exec, s[40:41]
	v_add_u32_e32 v26, -1, v37
	v_and_b32_e32 v27, 64, v37
	v_cmp_lt_i32_e64 s[28:29], v26, v27
	v_cndmask_b32_e64 v26, v26, v37, s[28:29]
	v_lshlrev_b32_e32 v26, 2, v26
	ds_bpermute_b32 v45, v26, v28
	ds_bpermute_b32 v46, v26, v29
	v_cmp_eq_u32_e64 s[28:29], 0, v37
	s_and_saveexec_b64 s[40:41], vcc
	s_cbranch_execz .LBB167_154
; %bb.112:
	v_mov_b32_e32 v29, 0
	ds_read_b64 v[26:27], v29 offset:24
	s_waitcnt lgkmcnt(0)
	v_readfirstlane_b32 s7, v27
	s_and_saveexec_b64 s[44:45], s[28:29]
	s_cbranch_execz .LBB167_114
; %bb.113:
	s_add_i32 s48, s6, 64
	s_mov_b32 s49, 0
	s_lshl_b64 s[50:51], s[48:49], 4
	s_add_u32 s50, s52, s50
	s_addc_u32 s51, s53, s51
	s_and_b32 s57, s7, 0xff000000
	s_mov_b32 s56, s49
	s_and_b32 s59, s7, 0xff0000
	s_mov_b32 s58, s49
	s_or_b64 s[56:57], s[58:59], s[56:57]
	s_and_b32 s59, s7, 0xff00
	s_or_b64 s[56:57], s[56:57], s[58:59]
	s_and_b32 s59, s7, 0xff
	s_or_b64 s[48:49], s[56:57], s[58:59]
	v_mov_b32_e32 v27, s49
	v_mov_b32_e32 v28, 1
	v_pk_mov_b32 v[30:31], s[50:51], s[50:51] op_sel:[0,1]
	;;#ASMSTART
	global_store_dwordx4 v[30:31], v[26:29] off	
s_waitcnt vmcnt(0)
	;;#ASMEND
.LBB167_114:
	s_or_b64 exec, exec, s[44:45]
	v_xad_u32 v36, v37, -1, s6
	v_add_u32_e32 v28, 64, v36
	v_lshlrev_b64 v[30:31], 4, v[28:29]
	v_mov_b32_e32 v27, s53
	v_add_co_u32_e32 v42, vcc, s52, v30
	v_addc_co_u32_e32 v43, vcc, v27, v31, vcc
	;;#ASMSTART
	global_load_dwordx4 v[30:33], v[42:43] off glc	
s_waitcnt vmcnt(0)
	;;#ASMEND
	v_and_b32_e32 v27, 0xff0000, v30
	v_or_b32_sdwa v27, v30, v27 dst_sel:DWORD dst_unused:UNUSED_PAD src0_sel:WORD_0 src1_sel:DWORD
	v_and_b32_e32 v28, 0xff000000, v30
	v_and_b32_e32 v30, 0xff, v31
	v_or3_b32 v31, 0, 0, v30
	v_or3_b32 v30, v27, v28, 0
	v_cmp_eq_u16_sdwa s[48:49], v32, v29 src0_sel:BYTE_0 src1_sel:DWORD
	s_and_saveexec_b64 s[44:45], s[48:49]
	s_cbranch_execz .LBB167_118
; %bb.115:
	s_mov_b64 s[48:49], 0
	v_mov_b32_e32 v27, 0
.LBB167_116:                            ; =>This Inner Loop Header: Depth=1
	;;#ASMSTART
	global_load_dwordx4 v[30:33], v[42:43] off glc	
s_waitcnt vmcnt(0)
	;;#ASMEND
	v_cmp_ne_u16_sdwa s[50:51], v32, v27 src0_sel:BYTE_0 src1_sel:DWORD
	s_or_b64 s[48:49], s[50:51], s[48:49]
	s_andn2_b64 exec, exec, s[48:49]
	s_cbranch_execnz .LBB167_116
; %bb.117:
	s_or_b64 exec, exec, s[48:49]
	v_and_b32_e32 v31, 0xff, v31
.LBB167_118:
	s_or_b64 exec, exec, s[44:45]
	v_mov_b32_e32 v27, 2
	v_cmp_eq_u16_sdwa s[44:45], v32, v27 src0_sel:BYTE_0 src1_sel:DWORD
	v_lshlrev_b64 v[28:29], v37, -1
	v_and_b32_e32 v27, s45, v29
	v_or_b32_e32 v27, 0x80000000, v27
	v_ffbl_b32_e32 v27, v27
	v_add_u32_e32 v42, 32, v27
	v_and_b32_e32 v27, 63, v37
	v_cmp_ne_u32_e32 vcc, 63, v27
	v_addc_co_u32_e32 v43, vcc, 0, v37, vcc
	v_lshlrev_b32_e32 v47, 2, v43
	ds_bpermute_b32 v48, v47, v30
	ds_bpermute_b32 v43, v47, v31
	v_and_b32_e32 v33, s44, v28
	v_ffbl_b32_e32 v33, v33
	v_min_u32_e32 v33, v33, v42
	s_mov_b32 s48, 0
	v_cmp_lt_u32_e32 vcc, v27, v33
	v_mov_b32_e32 v42, v31
	s_and_saveexec_b64 s[44:45], vcc
	s_cbranch_execz .LBB167_120
; %bb.119:
	s_mov_b32 s49, 1
	v_cmp_gt_u64_e32 vcc, s[48:49], v[30:31]
	s_waitcnt lgkmcnt(1)
	v_cndmask_b32_e32 v42, 1, v48, vcc
	v_and_b32_e32 v31, 1, v31
	v_mul_lo_u32 v30, v42, v30
	s_waitcnt lgkmcnt(0)
	v_and_b32_e32 v42, 1, v43
	v_cmp_eq_u32_e32 vcc, 1, v31
	v_cndmask_b32_e64 v31, v42, 1, vcc
	v_and_b32_e32 v42, 0xffff, v31
.LBB167_120:
	s_or_b64 exec, exec, s[44:45]
	v_cmp_gt_u32_e32 vcc, 62, v27
	s_waitcnt lgkmcnt(0)
	v_cndmask_b32_e64 v43, 0, 1, vcc
	v_lshlrev_b32_e32 v43, 1, v43
	v_add_lshl_u32 v48, v43, v37, 2
	ds_bpermute_b32 v51, v48, v30
	ds_bpermute_b32 v43, v48, v42
	v_add_u32_e32 v49, 2, v27
	v_cmp_le_u32_e32 vcc, v49, v33
	s_and_saveexec_b64 s[44:45], vcc
	s_cbranch_execz .LBB167_122
; %bb.121:
	v_cmp_eq_u16_e32 vcc, 0, v31
	s_waitcnt lgkmcnt(1)
	v_cndmask_b32_e32 v42, 1, v51, vcc
	v_and_b32_e32 v31, 1, v31
	v_mul_lo_u32 v30, v42, v30
	s_waitcnt lgkmcnt(0)
	v_and_b32_e32 v42, 1, v43
	v_cmp_eq_u32_e32 vcc, 1, v31
	v_cndmask_b32_e64 v31, v42, 1, vcc
	v_and_b32_e32 v42, 0xffff, v31
.LBB167_122:
	s_or_b64 exec, exec, s[44:45]
	v_cmp_gt_u32_e32 vcc, 60, v27
	s_waitcnt lgkmcnt(0)
	v_cndmask_b32_e64 v43, 0, 1, vcc
	v_lshlrev_b32_e32 v43, 2, v43
	v_add_lshl_u32 v51, v43, v37, 2
	ds_bpermute_b32 v53, v51, v30
	ds_bpermute_b32 v43, v51, v42
	v_add_u32_e32 v52, 4, v27
	v_cmp_le_u32_e32 vcc, v52, v33
	s_and_saveexec_b64 s[44:45], vcc
	s_cbranch_execz .LBB167_124
; %bb.123:
	v_cmp_eq_u16_e32 vcc, 0, v31
	s_waitcnt lgkmcnt(1)
	v_cndmask_b32_e32 v42, 1, v53, vcc
	v_and_b32_e32 v31, 1, v31
	v_mul_lo_u32 v30, v42, v30
	s_waitcnt lgkmcnt(0)
	v_and_b32_e32 v42, 1, v43
	v_cmp_eq_u32_e32 vcc, 1, v31
	v_cndmask_b32_e64 v31, v42, 1, vcc
	v_and_b32_e32 v42, 0xffff, v31
.LBB167_124:
	;; [unrolled: 24-line block ×4, first 2 shown]
	s_or_b64 exec, exec, s[44:45]
	v_cmp_gt_u32_e32 vcc, 32, v27
	s_waitcnt lgkmcnt(0)
	v_cndmask_b32_e64 v43, 0, 1, vcc
	v_lshlrev_b32_e32 v43, 5, v43
	v_add_lshl_u32 v58, v43, v37, 2
	ds_bpermute_b32 v43, v58, v30
	ds_bpermute_b32 v37, v58, v42
	v_add_u32_e32 v60, 32, v27
	v_cmp_le_u32_e32 vcc, v60, v33
	s_and_saveexec_b64 s[44:45], vcc
	s_cbranch_execz .LBB167_130
; %bb.129:
	v_cmp_eq_u16_e32 vcc, 0, v31
	s_waitcnt lgkmcnt(1)
	v_cndmask_b32_e32 v33, 1, v43, vcc
	v_and_b32_e32 v31, 1, v31
	v_mul_lo_u32 v30, v33, v30
	s_waitcnt lgkmcnt(0)
	v_and_b32_e32 v33, 1, v37
	v_cmp_eq_u32_e32 vcc, 1, v31
	v_cndmask_b32_e64 v31, v33, 1, vcc
.LBB167_130:
	s_or_b64 exec, exec, s[44:45]
	s_mov_b32 s44, 0
	s_mov_b32 s45, 1
	s_waitcnt lgkmcnt(0)
	v_mov_b32_e32 v37, 0
	v_mov_b32_e32 v61, 2
	s_branch .LBB167_132
.LBB167_131:                            ;   in Loop: Header=BB167_132 Depth=1
	s_or_b64 exec, exec, s[48:49]
	v_cmp_eq_u16_sdwa vcc, v57, v37 src0_sel:BYTE_0 src1_sel:DWORD
	v_and_b32_e32 v33, 1, v57
	v_cndmask_b32_e32 v30, 1, v30, vcc
	v_and_b32_e32 v31, 1, v31
	v_cmp_eq_u32_e32 vcc, 1, v33
	v_subrev_u32_e32 v36, 64, v36
	v_mul_lo_u32 v30, v30, v59
	v_cndmask_b32_e64 v31, v31, 1, vcc
.LBB167_132:                            ; =>This Loop Header: Depth=1
                                        ;     Child Loop BB167_135 Depth 2
	v_cmp_ne_u16_sdwa s[48:49], v32, v61 src0_sel:BYTE_0 src1_sel:DWORD
	v_mov_b32_e32 v57, v31
	v_cndmask_b32_e64 v31, 0, 1, s[48:49]
	;;#ASMSTART
	;;#ASMEND
	v_cmp_ne_u32_e32 vcc, 0, v31
	s_cmp_lg_u64 vcc, exec
	v_mov_b32_e32 v59, v30
	s_cbranch_scc1 .LBB167_149
; %bb.133:                              ;   in Loop: Header=BB167_132 Depth=1
	v_lshlrev_b64 v[30:31], 4, v[36:37]
	v_mov_b32_e32 v32, s53
	s_waitcnt lgkmcnt(0)
	v_add_co_u32_e32 v42, vcc, s52, v30
	v_addc_co_u32_e32 v43, vcc, v32, v31, vcc
	;;#ASMSTART
	global_load_dwordx4 v[30:33], v[42:43] off glc	
s_waitcnt vmcnt(0)
	;;#ASMEND
	v_and_b32_e32 v33, 0xff0000, v30
	v_or_b32_sdwa v33, v30, v33 dst_sel:DWORD dst_unused:UNUSED_PAD src0_sel:WORD_0 src1_sel:DWORD
	v_and_b32_e32 v30, 0xff000000, v30
	v_and_b32_e32 v31, 0xff, v31
	v_or3_b32 v31, 0, 0, v31
	v_or3_b32 v30, v33, v30, 0
	v_cmp_eq_u16_sdwa s[50:51], v32, v37 src0_sel:BYTE_0 src1_sel:DWORD
	s_and_saveexec_b64 s[48:49], s[50:51]
	s_cbranch_execz .LBB167_137
; %bb.134:                              ;   in Loop: Header=BB167_132 Depth=1
	s_mov_b64 s[50:51], 0
.LBB167_135:                            ;   Parent Loop BB167_132 Depth=1
                                        ; =>  This Inner Loop Header: Depth=2
	;;#ASMSTART
	global_load_dwordx4 v[30:33], v[42:43] off glc	
s_waitcnt vmcnt(0)
	;;#ASMEND
	v_cmp_ne_u16_sdwa s[56:57], v32, v37 src0_sel:BYTE_0 src1_sel:DWORD
	s_or_b64 s[50:51], s[56:57], s[50:51]
	s_andn2_b64 exec, exec, s[50:51]
	s_cbranch_execnz .LBB167_135
; %bb.136:                              ;   in Loop: Header=BB167_132 Depth=1
	s_or_b64 exec, exec, s[50:51]
	v_and_b32_e32 v31, 0xff, v31
.LBB167_137:                            ;   in Loop: Header=BB167_132 Depth=1
	s_or_b64 exec, exec, s[48:49]
	v_cmp_eq_u16_sdwa s[48:49], v32, v61 src0_sel:BYTE_0 src1_sel:DWORD
	v_and_b32_e32 v33, s49, v29
	v_or_b32_e32 v33, 0x80000000, v33
	ds_bpermute_b32 v62, v47, v30
	ds_bpermute_b32 v43, v47, v31
	v_and_b32_e32 v42, s48, v28
	v_ffbl_b32_e32 v33, v33
	v_add_u32_e32 v33, 32, v33
	v_ffbl_b32_e32 v42, v42
	v_min_u32_e32 v33, v42, v33
	v_cmp_lt_u32_e32 vcc, v27, v33
	v_mov_b32_e32 v42, v31
	s_and_saveexec_b64 s[48:49], vcc
	s_cbranch_execz .LBB167_139
; %bb.138:                              ;   in Loop: Header=BB167_132 Depth=1
	v_cmp_gt_u64_e32 vcc, s[44:45], v[30:31]
	s_waitcnt lgkmcnt(1)
	v_cndmask_b32_e32 v42, 1, v62, vcc
	v_and_b32_e32 v31, 1, v31
	v_mul_lo_u32 v30, v42, v30
	s_waitcnt lgkmcnt(0)
	v_and_b32_e32 v42, 1, v43
	v_cmp_eq_u32_e32 vcc, 1, v31
	v_cndmask_b32_e64 v31, v42, 1, vcc
	v_and_b32_e32 v42, 0xffff, v31
.LBB167_139:                            ;   in Loop: Header=BB167_132 Depth=1
	s_or_b64 exec, exec, s[48:49]
	s_waitcnt lgkmcnt(1)
	ds_bpermute_b32 v62, v48, v30
	s_waitcnt lgkmcnt(1)
	ds_bpermute_b32 v43, v48, v42
	v_cmp_le_u32_e32 vcc, v49, v33
	s_and_saveexec_b64 s[48:49], vcc
	s_cbranch_execz .LBB167_141
; %bb.140:                              ;   in Loop: Header=BB167_132 Depth=1
	v_cmp_eq_u16_e32 vcc, 0, v31
	s_waitcnt lgkmcnt(1)
	v_cndmask_b32_e32 v42, 1, v62, vcc
	v_and_b32_e32 v31, 1, v31
	v_mul_lo_u32 v30, v42, v30
	s_waitcnt lgkmcnt(0)
	v_and_b32_e32 v42, 1, v43
	v_cmp_eq_u32_e32 vcc, 1, v31
	v_cndmask_b32_e64 v31, v42, 1, vcc
	v_and_b32_e32 v42, 0xffff, v31
.LBB167_141:                            ;   in Loop: Header=BB167_132 Depth=1
	s_or_b64 exec, exec, s[48:49]
	s_waitcnt lgkmcnt(1)
	ds_bpermute_b32 v62, v51, v30
	s_waitcnt lgkmcnt(1)
	ds_bpermute_b32 v43, v51, v42
	v_cmp_le_u32_e32 vcc, v52, v33
	s_and_saveexec_b64 s[48:49], vcc
	s_cbranch_execz .LBB167_143
; %bb.142:                              ;   in Loop: Header=BB167_132 Depth=1
	v_cmp_eq_u16_e32 vcc, 0, v31
	s_waitcnt lgkmcnt(1)
	v_cndmask_b32_e32 v42, 1, v62, vcc
	v_and_b32_e32 v31, 1, v31
	v_mul_lo_u32 v30, v42, v30
	s_waitcnt lgkmcnt(0)
	v_and_b32_e32 v42, 1, v43
	v_cmp_eq_u32_e32 vcc, 1, v31
	v_cndmask_b32_e64 v31, v42, 1, vcc
	v_and_b32_e32 v42, 0xffff, v31
.LBB167_143:                            ;   in Loop: Header=BB167_132 Depth=1
	;; [unrolled: 20-line block ×4, first 2 shown]
	s_or_b64 exec, exec, s[48:49]
	s_waitcnt lgkmcnt(0)
	ds_bpermute_b32 v43, v58, v30
	ds_bpermute_b32 v42, v58, v42
	v_cmp_le_u32_e32 vcc, v60, v33
	s_and_saveexec_b64 s[48:49], vcc
	s_cbranch_execz .LBB167_131
; %bb.148:                              ;   in Loop: Header=BB167_132 Depth=1
	v_cmp_eq_u16_e32 vcc, 0, v31
	v_and_b32_e32 v31, 1, v31
	s_waitcnt lgkmcnt(1)
	v_cndmask_b32_e32 v33, 1, v43, vcc
	v_cmp_eq_u32_e32 vcc, 1, v31
	v_mul_lo_u32 v30, v33, v30
	s_waitcnt lgkmcnt(0)
	v_cndmask_b32_e64 v31, v42, 1, vcc
	s_branch .LBB167_131
.LBB167_149:                            ;   in Loop: Header=BB167_132 Depth=1
                                        ; implicit-def: $vgpr31
	s_cbranch_execz .LBB167_132
; %bb.150:
	s_and_saveexec_b64 s[44:45], s[28:29]
	s_cbranch_execz .LBB167_152
; %bb.151:
	s_and_b32 s48, s7, 0xff
	s_cmp_eq_u32 s48, 0
	s_cselect_b64 vcc, -1, 0
	s_bitcmp1_b32 s7, 0
	s_mov_b32 s49, 0
	s_cselect_b64 s[50:51], -1, 0
	s_add_i32 s48, s6, 64
	s_lshl_b64 s[6:7], s[48:49], 4
	v_cndmask_b32_e32 v27, 1, v59, vcc
	s_add_u32 s6, s52, s6
	v_mul_lo_u32 v26, v27, v26
	v_and_b32_e32 v27, 1, v57
	s_addc_u32 s7, s53, s7
	v_cndmask_b32_e64 v27, v27, 1, s[50:51]
	v_mov_b32_e32 v28, 2
	v_mov_b32_e32 v29, 0
	v_pk_mov_b32 v[30:31], s[6:7], s[6:7] op_sel:[0,1]
	;;#ASMSTART
	global_store_dwordx4 v[30:31], v[26:29] off	
s_waitcnt vmcnt(0)
	;;#ASMEND
.LBB167_152:
	s_or_b64 exec, exec, s[44:45]
	v_cmp_eq_u32_e32 vcc, 0, v0
	s_and_b64 exec, exec, vcc
	s_cbranch_execz .LBB167_154
; %bb.153:
	v_mov_b32_e32 v26, 0
	ds_write_b32 v26, v59 offset:24
	ds_write_b8 v26, v57 offset:28
.LBB167_154:
	s_or_b64 exec, exec, s[40:41]
	v_mov_b32_e32 v26, 0
	s_waitcnt lgkmcnt(0)
	s_barrier
	ds_read_b32 v27, v26 offset:24
	s_mov_b32 s40, 0
	v_cmp_ne_u32_e32 vcc, 0, v0
	v_mov_b32_e32 v28, v38
	s_and_saveexec_b64 s[6:7], vcc
; %bb.155:
	v_cndmask_b32_e64 v29, v46, v44, s[28:29]
	v_and_b32_e32 v30, 1, v39
	s_mov_b32 s41, 1
	v_and_b32_e32 v29, 1, v29
	v_cmp_eq_u32_e32 vcc, 1, v30
	v_cndmask_b32_e64 v28, v45, v35, s[28:29]
	v_cndmask_b32_e64 v34, v29, 1, vcc
	v_cmp_gt_u64_e32 vcc, s[40:41], v[38:39]
	v_cndmask_b32_e32 v28, 1, v28, vcc
	v_mul_lo_u32 v28, v28, v38
; %bb.156:
	s_or_b64 exec, exec, s[6:7]
	v_cmp_eq_u16_sdwa vcc, v34, v26 src0_sel:BYTE_0 src1_sel:DWORD
	s_waitcnt lgkmcnt(0)
	v_cndmask_b32_e32 v26, 1, v27, vcc
	v_mul_lo_u32 v26, v26, v28
	v_cndmask_b32_e64 v27, 1, v26, s[2:3]
	v_mul_lo_u32 v27, v27, v2
	v_cndmask_b32_e64 v28, 1, v27, s[4:5]
	;; [unrolled: 2-line block ×13, first 2 shown]
	v_mul_lo_u32 v49, v28, v40
	s_branch .LBB167_187
.LBB167_157:
                                        ; implicit-def: $vgpr49
                                        ; implicit-def: $vgpr47
                                        ; implicit-def: $vgpr45
                                        ; implicit-def: $vgpr43
                                        ; implicit-def: $vgpr34_vgpr35_vgpr36_vgpr37
                                        ; implicit-def: $vgpr30_vgpr31_vgpr32_vgpr33
                                        ; implicit-def: $vgpr26_vgpr27_vgpr28_vgpr29
	s_cbranch_execz .LBB167_187
; %bb.158:
	s_cmp_lg_u64 s[34:35], 0
	s_cselect_b32 s5, s47, 0
	s_cselect_b32 s4, s46, 0
	s_cmp_lg_u64 s[4:5], 0
	s_cselect_b64 s[6:7], -1, 0
	v_cmp_eq_u32_e32 vcc, 0, v0
	s_mov_b32 s28, 0
	v_cmp_ne_u32_e64 s[2:3], 0, v0
	s_and_b64 s[8:9], vcc, s[6:7]
	s_and_saveexec_b64 s[6:7], s[8:9]
	s_cbranch_execz .LBB167_160
; %bb.159:
	v_mov_b32_e32 v26, 0
	global_load_dword v28, v26, s[4:5]
	global_load_ubyte v29, v26, s[4:5] offset:4
	s_mov_b32 s29, 1
	v_and_b32_e32 v27, 1, v39
	v_cmp_gt_u64_e64 s[4:5], s[28:29], v[38:39]
	s_waitcnt vmcnt(1)
	v_cndmask_b32_e64 v28, 1, v28, s[4:5]
	s_waitcnt vmcnt(0)
	v_and_b32_e32 v29, 1, v29
	v_cmp_eq_u64_e64 s[4:5], 0, v[26:27]
	v_mul_lo_u32 v38, v28, v38
	v_cndmask_b32_e64 v39, 1, v29, s[4:5]
.LBB167_160:
	s_or_b64 exec, exec, s[6:7]
	s_mov_b32 s29, 1
	v_cmp_gt_u64_e64 s[4:5], s[28:29], v[2:3]
	v_cndmask_b32_e64 v26, 1, v38, s[4:5]
	v_mul_lo_u32 v27, v26, v2
	v_cmp_gt_u64_e64 s[6:7], s[28:29], v[4:5]
	v_cndmask_b32_e64 v26, 1, v27, s[6:7]
	v_mul_lo_u32 v42, v26, v4
	;; [unrolled: 3-line block ×7, first 2 shown]
	v_cmp_gt_u64_e64 s[18:19], s[28:29], v[16:17]
	v_cndmask_b32_e64 v26, 1, v45, s[18:19]
	v_or3_b32 v7, v23, v15, v7
	v_mov_b32_e32 v28, 0
	v_mul_lo_u32 v34, v26, v16
	v_cmp_gt_u64_e64 s[20:21], s[28:29], v[18:19]
	v_or3_b32 v9, v25, v17, v9
	v_and_b32_e32 v53, 1, v7
	v_mov_b32_e32 v52, v28
	v_cndmask_b32_e64 v26, 1, v34, s[20:21]
	v_or3_b32 v3, v19, v11, v3
	v_and_b32_e32 v37, 1, v9
	v_mov_b32_e32 v36, v28
	v_cmp_ne_u64_e64 s[34:35], 0, v[52:53]
	v_mul_lo_u32 v35, v26, v18
	v_cmp_gt_u64_e64 s[22:23], s[28:29], v[20:21]
	v_or3_b32 v5, v21, v13, v5
	v_and_b32_e32 v29, 1, v3
	v_cndmask_b32_e64 v3, 0, 1, s[34:35]
	v_cmp_ne_u64_e64 s[34:35], 0, v[36:37]
	v_cndmask_b32_e64 v26, 1, v35, s[22:23]
	v_and_b32_e32 v33, 1, v5
	v_mov_b32_e32 v32, v28
	v_cndmask_b32_e64 v5, 0, 1, s[34:35]
	v_mul_lo_u32 v46, v26, v20
	v_cmp_gt_u64_e64 s[24:25], s[28:29], v[22:23]
	v_lshlrev_b16_e32 v3, 2, v3
	v_lshlrev_b16_e32 v5, 3, v5
	v_cmp_ne_u64_e64 s[34:35], 0, v[32:33]
	v_cndmask_b32_e64 v26, 1, v46, s[24:25]
	v_or_b32_e32 v3, v5, v3
	v_cndmask_b32_e64 v5, 0, 1, s[34:35]
	v_cmp_ne_u64_e64 s[34:35], 0, v[28:29]
	v_mul_lo_u32 v47, v26, v22
	v_cmp_gt_u64_e64 s[26:27], s[28:29], v[24:25]
	v_lshlrev_b16_e32 v5, 1, v5
	v_cndmask_b32_e64 v7, 0, 1, s[34:35]
	v_cndmask_b32_e64 v26, 1, v47, s[26:27]
	v_or_b32_e32 v5, v7, v5
	v_mul_lo_u32 v48, v26, v24
	v_cmp_gt_u64_e64 s[28:29], s[28:29], v[40:41]
	v_and_b32_e32 v5, 3, v5
	v_cndmask_b32_e64 v26, 1, v48, s[28:29]
	v_or_b32_e32 v3, v5, v3
	v_mul_lo_u32 v49, v26, v40
	v_and_b32_e32 v26, 1, v41
	v_and_b32_e32 v3, 15, v3
	v_cmp_eq_u32_e64 s[30:31], 1, v26
	v_cmp_ne_u16_e64 s[34:35], 0, v3
	s_or_b64 s[30:31], s[30:31], s[34:35]
	v_mbcnt_hi_u32_b32 v1, -1, v1
	v_cndmask_b32_e64 v5, v39, 1, s[30:31]
	v_and_b32_e32 v7, 15, v1
	v_mov_b32_dpp v11, v49 row_shr:1 row_mask:0xf bank_mask:0xf
	v_mov_b32_dpp v9, v5 row_shr:1 row_mask:0xf bank_mask:0xf
	v_cmp_ne_u32_e64 s[30:31], 0, v7
	v_mov_b32_e32 v3, v49
	s_and_saveexec_b64 s[34:35], s[30:31]
; %bb.161:
	v_cmp_eq_u32_e64 s[30:31], 0, v5
	v_and_b32_e32 v5, 1, v5
	v_cndmask_b32_e64 v3, 1, v11, s[30:31]
	v_and_b32_e32 v9, 1, v9
	v_cmp_eq_u32_e64 s[30:31], 1, v5
	v_mul_lo_u32 v3, v49, v3
	v_cndmask_b32_e64 v5, v9, 1, s[30:31]
; %bb.162:
	s_or_b64 exec, exec, s[34:35]
	v_mov_b32_dpp v11, v3 row_shr:2 row_mask:0xf bank_mask:0xf
	v_mov_b32_dpp v9, v5 row_shr:2 row_mask:0xf bank_mask:0xf
	v_cmp_lt_u32_e64 s[30:31], 1, v7
	s_and_saveexec_b64 s[34:35], s[30:31]
; %bb.163:
	v_cmp_eq_u32_e64 s[30:31], 0, v5
	v_and_b32_e32 v5, 1, v5
	v_cndmask_b32_e64 v11, 1, v11, s[30:31]
	v_and_b32_e32 v9, 1, v9
	v_cmp_eq_u32_e64 s[30:31], 1, v5
	v_mul_lo_u32 v3, v11, v3
	v_cndmask_b32_e64 v5, v9, 1, s[30:31]
; %bb.164:
	s_or_b64 exec, exec, s[34:35]
	v_mov_b32_dpp v11, v3 row_shr:4 row_mask:0xf bank_mask:0xf
	v_mov_b32_dpp v9, v5 row_shr:4 row_mask:0xf bank_mask:0xf
	v_cmp_lt_u32_e64 s[30:31], 3, v7
	;; [unrolled: 14-line block ×3, first 2 shown]
	s_and_saveexec_b64 s[34:35], s[30:31]
; %bb.167:
	v_cmp_eq_u32_e64 s[30:31], 0, v5
	v_cndmask_b32_e64 v7, 1, v11, s[30:31]
	v_and_b32_e32 v5, 1, v5
	v_mul_lo_u32 v3, v7, v3
	v_and_b32_e32 v7, 1, v9
	v_cmp_eq_u32_e64 s[30:31], 1, v5
	v_cndmask_b32_e64 v5, v7, 1, s[30:31]
; %bb.168:
	s_or_b64 exec, exec, s[34:35]
	v_and_b32_e32 v11, 16, v1
	v_mov_b32_dpp v9, v3 row_bcast:15 row_mask:0xf bank_mask:0xf
	v_mov_b32_dpp v7, v5 row_bcast:15 row_mask:0xf bank_mask:0xf
	v_cmp_ne_u32_e64 s[30:31], 0, v11
	s_and_saveexec_b64 s[34:35], s[30:31]
; %bb.169:
	v_cmp_eq_u32_e64 s[30:31], 0, v5
	v_and_b32_e32 v5, 1, v5
	v_cndmask_b32_e64 v9, 1, v9, s[30:31]
	v_and_b32_e32 v7, 1, v7
	v_cmp_eq_u32_e64 s[30:31], 1, v5
	v_mul_lo_u32 v3, v9, v3
	v_cndmask_b32_e64 v5, v7, 1, s[30:31]
; %bb.170:
	s_or_b64 exec, exec, s[34:35]
	v_mov_b32_dpp v9, v3 row_bcast:31 row_mask:0xf bank_mask:0xf
	v_mov_b32_dpp v7, v5 row_bcast:31 row_mask:0xf bank_mask:0xf
	v_cmp_lt_u32_e64 s[30:31], 31, v1
	s_and_saveexec_b64 s[34:35], s[30:31]
; %bb.171:
	v_cmp_eq_u32_e64 s[30:31], 0, v5
	v_and_b32_e32 v5, 1, v5
	v_cndmask_b32_e64 v9, 1, v9, s[30:31]
	v_and_b32_e32 v7, 1, v7
	v_cmp_eq_u32_e64 s[30:31], 1, v5
	v_mul_lo_u32 v3, v9, v3
	v_cndmask_b32_e64 v5, v7, 1, s[30:31]
; %bb.172:
	s_or_b64 exec, exec, s[34:35]
	v_or_b32_e32 v9, 63, v0
	v_lshrrev_b32_e32 v7, 6, v0
	v_cmp_eq_u32_e64 s[30:31], v9, v0
	s_and_saveexec_b64 s[34:35], s[30:31]
	s_cbranch_execz .LBB167_174
; %bb.173:
	v_lshlrev_b32_e32 v9, 3, v7
	ds_write_b32 v9, v3
	ds_write_b8 v9, v5 offset:4
.LBB167_174:
	s_or_b64 exec, exec, s[34:35]
	v_cmp_gt_u32_e64 s[30:31], 4, v0
	s_waitcnt lgkmcnt(0)
	s_barrier
	s_and_saveexec_b64 s[34:35], s[30:31]
	s_cbranch_execz .LBB167_180
; %bb.175:
	v_lshlrev_b32_e32 v9, 3, v0
	ds_read_b64 v[28:29], v9
	v_and_b32_e32 v11, 3, v1
	v_cmp_ne_u32_e64 s[30:31], 0, v11
	s_waitcnt lgkmcnt(0)
	v_mov_b32_dpp v17, v28 row_shr:1 row_mask:0xf bank_mask:0xf
	v_mov_b32_dpp v15, v29 row_shr:1 row_mask:0xf bank_mask:0xf
	v_mov_b32_e32 v13, v29
	s_and_saveexec_b64 s[40:41], s[30:31]
	s_cbranch_execz .LBB167_177
; %bb.176:
	v_mov_b32_e32 v13, 0
	v_cmp_eq_u16_sdwa s[30:31], v29, v13 src0_sel:BYTE_0 src1_sel:DWORD
	v_cndmask_b32_e64 v13, 1, v17, s[30:31]
	v_mul_lo_u32 v28, v13, v28
	v_and_b32_e32 v13, 1, v29
	v_and_b32_e32 v15, 1, v15
	v_cmp_eq_u32_e64 s[30:31], 1, v13
	v_cndmask_b32_e64 v15, v15, 1, s[30:31]
	v_and_b32_e32 v13, 0xffff, v15
	s_movk_i32 s30, 0xff00
	v_and_or_b32 v13, v29, s30, v13
	v_mov_b32_e32 v29, v15
.LBB167_177:
	s_or_b64 exec, exec, s[40:41]
	v_mov_b32_dpp v15, v28 row_shr:2 row_mask:0xf bank_mask:0xf
	v_mov_b32_dpp v13, v13 row_shr:2 row_mask:0xf bank_mask:0xf
	v_cmp_lt_u32_e64 s[30:31], 1, v11
	s_and_saveexec_b64 s[40:41], s[30:31]
; %bb.178:
	v_mov_b32_e32 v11, 0
	v_cmp_eq_u16_sdwa s[30:31], v29, v11 src0_sel:BYTE_0 src1_sel:DWORD
	v_cndmask_b32_e64 v11, 1, v15, s[30:31]
	v_mul_lo_u32 v28, v11, v28
	v_and_b32_e32 v11, 1, v29
	v_and_b32_e32 v13, 1, v13
	v_cmp_eq_u32_e64 s[30:31], 1, v11
	v_cndmask_b32_e64 v29, v13, 1, s[30:31]
; %bb.179:
	s_or_b64 exec, exec, s[40:41]
	ds_write_b32 v9, v28
	ds_write_b8 v9, v29 offset:4
.LBB167_180:
	s_or_b64 exec, exec, s[34:35]
	v_cmp_lt_u32_e64 s[30:31], 63, v0
	v_mov_b32_e32 v9, 0
	s_waitcnt lgkmcnt(0)
	s_barrier
	s_and_saveexec_b64 s[34:35], s[30:31]
	s_cbranch_execz .LBB167_182
; %bb.181:
	v_lshl_add_u32 v7, v7, 3, -8
	ds_read_b32 v9, v7
	v_cmp_eq_u32_e64 s[30:31], 0, v5
	s_waitcnt lgkmcnt(0)
	v_cndmask_b32_e64 v5, 1, v9, s[30:31]
	v_mul_lo_u32 v3, v5, v3
.LBB167_182:
	s_or_b64 exec, exec, s[34:35]
	v_add_u32_e32 v5, -1, v1
	v_and_b32_e32 v7, 64, v1
	v_cmp_lt_i32_e64 s[30:31], v5, v7
	v_cndmask_b32_e64 v5, v5, v1, s[30:31]
	v_lshlrev_b32_e32 v5, 2, v5
	ds_bpermute_b32 v3, v5, v3
	s_and_saveexec_b64 s[30:31], s[2:3]
	s_cbranch_execz .LBB167_184
; %bb.183:
	v_cmp_eq_u32_e64 s[2:3], 0, v1
	v_and_b32_e32 v27, 0xff, v39
	v_mov_b32_e32 v26, 0
	s_waitcnt lgkmcnt(0)
	v_cndmask_b32_e64 v1, v3, v9, s[2:3]
	v_cmp_eq_u64_e64 s[2:3], 0, v[26:27]
	v_cndmask_b32_e64 v1, 1, v1, s[2:3]
	v_mul_lo_u32 v38, v1, v38
	v_cndmask_b32_e64 v1, 1, v38, s[4:5]
	v_mul_lo_u32 v27, v1, v2
	;; [unrolled: 2-line block ×14, first 2 shown]
	;;#ASMSTART
	;;#ASMEND
.LBB167_184:
	s_or_b64 exec, exec, s[30:31]
	s_and_saveexec_b64 s[2:3], vcc
	s_cbranch_execz .LBB167_186
; %bb.185:
	v_mov_b32_e32 v5, 0
	ds_read_b32 v2, v5 offset:24
	s_waitcnt lgkmcnt(1)
	ds_read_u8 v3, v5 offset:28
	s_add_u32 s4, s52, 0x400
	s_addc_u32 s5, s53, 0
	v_mov_b32_e32 v4, 2
	v_pk_mov_b32 v[6:7], s[4:5], s[4:5] op_sel:[0,1]
	s_waitcnt lgkmcnt(0)
	;;#ASMSTART
	global_store_dwordx4 v[6:7], v[2:5] off	
s_waitcnt vmcnt(0)
	;;#ASMEND
.LBB167_186:
	s_or_b64 exec, exec, s[2:3]
	v_mov_b32_e32 v26, v38
.LBB167_187:
	s_add_u32 s2, s42, s38
	s_addc_u32 s3, s43, s39
	s_add_u32 s4, s2, s36
	v_mul_u32_u24_e32 v1, 14, v0
	s_addc_u32 s5, s3, s37
	s_and_b64 vcc, exec, s[0:1]
	v_lshlrev_b32_e32 v2, 2, v1
	s_cbranch_vccz .LBB167_215
; %bb.188:
	s_movk_i32 s0, 0xffcc
	s_waitcnt lgkmcnt(0)
	v_mad_i32_i24 v3, v0, s0, v2
	s_barrier
	ds_write2_b64 v2, v[26:27], v[42:43] offset1:1
	ds_write2_b64 v2, v[30:31], v[44:45] offset0:2 offset1:3
	ds_write2_b64 v2, v[34:35], v[46:47] offset0:4 offset1:5
	ds_write_b64 v2, v[48:49] offset:48
	s_waitcnt lgkmcnt(0)
	s_barrier
	ds_read2st64_b32 v[16:17], v3 offset0:4 offset1:8
	ds_read2st64_b32 v[14:15], v3 offset0:12 offset1:16
	;; [unrolled: 1-line block ×6, first 2 shown]
	ds_read_b32 v3, v3 offset:13312
	v_mov_b32_e32 v7, s5
	v_add_co_u32_e32 v6, vcc, s4, v50
	s_add_i32 s33, s33, s54
	v_addc_co_u32_e32 v7, vcc, 0, v7, vcc
	v_mov_b32_e32 v1, 0
	v_cmp_gt_u32_e32 vcc, s33, v0
	s_and_saveexec_b64 s[0:1], vcc
	s_cbranch_execz .LBB167_190
; %bb.189:
	v_mul_i32_i24_e32 v18, 0xffffffcc, v0
	v_add_u32_e32 v18, v2, v18
	ds_read_b32 v18, v18
	s_waitcnt lgkmcnt(0)
	flat_store_dword v[6:7], v18
.LBB167_190:
	s_or_b64 exec, exec, s[0:1]
	v_or_b32_e32 v18, 0x100, v0
	v_cmp_gt_u32_e32 vcc, s33, v18
	s_and_saveexec_b64 s[0:1], vcc
	s_cbranch_execz .LBB167_192
; %bb.191:
	s_waitcnt lgkmcnt(0)
	flat_store_dword v[6:7], v16 offset:1024
.LBB167_192:
	s_or_b64 exec, exec, s[0:1]
	s_waitcnt lgkmcnt(0)
	v_or_b32_e32 v16, 0x200, v0
	v_cmp_gt_u32_e32 vcc, s33, v16
	s_and_saveexec_b64 s[0:1], vcc
	s_cbranch_execz .LBB167_194
; %bb.193:
	flat_store_dword v[6:7], v17 offset:2048
.LBB167_194:
	s_or_b64 exec, exec, s[0:1]
	v_or_b32_e32 v16, 0x300, v0
	v_cmp_gt_u32_e32 vcc, s33, v16
	s_and_saveexec_b64 s[0:1], vcc
	s_cbranch_execz .LBB167_196
; %bb.195:
	flat_store_dword v[6:7], v14 offset:3072
.LBB167_196:
	s_or_b64 exec, exec, s[0:1]
	v_or_b32_e32 v14, 0x400, v0
	v_cmp_gt_u32_e32 vcc, s33, v14
	s_and_saveexec_b64 s[0:1], vcc
	s_cbranch_execz .LBB167_198
; %bb.197:
	v_add_co_u32_e32 v16, vcc, 0x1000, v6
	v_addc_co_u32_e32 v17, vcc, 0, v7, vcc
	flat_store_dword v[16:17], v15
.LBB167_198:
	s_or_b64 exec, exec, s[0:1]
	v_or_b32_e32 v14, 0x500, v0
	v_cmp_gt_u32_e32 vcc, s33, v14
	s_and_saveexec_b64 s[0:1], vcc
	s_cbranch_execz .LBB167_200
; %bb.199:
	v_add_co_u32_e32 v14, vcc, 0x1000, v6
	v_addc_co_u32_e32 v15, vcc, 0, v7, vcc
	flat_store_dword v[14:15], v12 offset:1024
.LBB167_200:
	s_or_b64 exec, exec, s[0:1]
	v_or_b32_e32 v12, 0x600, v0
	v_cmp_gt_u32_e32 vcc, s33, v12
	s_and_saveexec_b64 s[0:1], vcc
	s_cbranch_execz .LBB167_202
; %bb.201:
	v_add_co_u32_e32 v14, vcc, 0x1000, v6
	v_addc_co_u32_e32 v15, vcc, 0, v7, vcc
	flat_store_dword v[14:15], v13 offset:2048
.LBB167_202:
	s_or_b64 exec, exec, s[0:1]
	v_or_b32_e32 v12, 0x700, v0
	v_cmp_gt_u32_e32 vcc, s33, v12
	s_and_saveexec_b64 s[0:1], vcc
	s_cbranch_execz .LBB167_204
; %bb.203:
	v_add_co_u32_e32 v12, vcc, 0x1000, v6
	v_addc_co_u32_e32 v13, vcc, 0, v7, vcc
	flat_store_dword v[12:13], v10 offset:3072
.LBB167_204:
	s_or_b64 exec, exec, s[0:1]
	v_or_b32_e32 v10, 0x800, v0
	v_cmp_gt_u32_e32 vcc, s33, v10
	s_and_saveexec_b64 s[0:1], vcc
	s_cbranch_execz .LBB167_206
; %bb.205:
	v_add_co_u32_e32 v12, vcc, 0x2000, v6
	v_addc_co_u32_e32 v13, vcc, 0, v7, vcc
	flat_store_dword v[12:13], v11
.LBB167_206:
	s_or_b64 exec, exec, s[0:1]
	v_or_b32_e32 v10, 0x900, v0
	v_cmp_gt_u32_e32 vcc, s33, v10
	s_and_saveexec_b64 s[0:1], vcc
	s_cbranch_execz .LBB167_208
; %bb.207:
	v_add_co_u32_e32 v10, vcc, 0x2000, v6
	v_addc_co_u32_e32 v11, vcc, 0, v7, vcc
	flat_store_dword v[10:11], v8 offset:1024
.LBB167_208:
	s_or_b64 exec, exec, s[0:1]
	v_or_b32_e32 v8, 0xa00, v0
	v_cmp_gt_u32_e32 vcc, s33, v8
	s_and_saveexec_b64 s[0:1], vcc
	s_cbranch_execz .LBB167_210
; %bb.209:
	v_add_co_u32_e32 v10, vcc, 0x2000, v6
	v_addc_co_u32_e32 v11, vcc, 0, v7, vcc
	flat_store_dword v[10:11], v9 offset:2048
.LBB167_210:
	;; [unrolled: 10-line block ×3, first 2 shown]
	s_or_b64 exec, exec, s[0:1]
	v_or_b32_e32 v4, 0xc00, v0
	v_cmp_gt_u32_e32 vcc, s33, v4
	s_and_saveexec_b64 s[0:1], vcc
	s_cbranch_execz .LBB167_214
; %bb.213:
	v_add_co_u32_e32 v6, vcc, 0x3000, v6
	v_addc_co_u32_e32 v7, vcc, 0, v7, vcc
	flat_store_dword v[6:7], v5
.LBB167_214:
	s_or_b64 exec, exec, s[0:1]
	v_or_b32_e32 v4, 0xd00, v0
	v_cmp_gt_u32_e64 s[0:1], s33, v4
	s_branch .LBB167_217
.LBB167_215:
	s_mov_b64 s[0:1], 0
                                        ; implicit-def: $vgpr3
	s_cbranch_execz .LBB167_217
; %bb.216:
	s_movk_i32 s2, 0xffcc
	s_waitcnt lgkmcnt(0)
	s_barrier
	ds_write2_b64 v2, v[26:27], v[42:43] offset1:1
	ds_write2_b64 v2, v[30:31], v[44:45] offset0:2 offset1:3
	ds_write2_b64 v2, v[34:35], v[46:47] offset0:4 offset1:5
	ds_write_b64 v2, v[48:49] offset:48
	v_mad_i32_i24 v2, v0, s2, v2
	v_mov_b32_e32 v17, s5
	v_add_co_u32_e32 v16, vcc, s4, v50
	s_waitcnt lgkmcnt(0)
	s_barrier
	ds_read2st64_b32 v[4:5], v2 offset1:4
	ds_read2st64_b32 v[6:7], v2 offset0:8 offset1:12
	ds_read2st64_b32 v[8:9], v2 offset0:16 offset1:20
	;; [unrolled: 1-line block ×6, first 2 shown]
	v_addc_co_u32_e32 v17, vcc, 0, v17, vcc
	s_movk_i32 s2, 0x1000
	s_waitcnt lgkmcnt(0)
	flat_store_dword v[16:17], v4
	flat_store_dword v[16:17], v5 offset:1024
	flat_store_dword v[16:17], v6 offset:2048
	;; [unrolled: 1-line block ×3, first 2 shown]
	v_add_co_u32_e32 v4, vcc, s2, v16
	v_addc_co_u32_e32 v5, vcc, 0, v17, vcc
	flat_store_dword v[4:5], v8
	flat_store_dword v[4:5], v9 offset:1024
	flat_store_dword v[4:5], v10 offset:2048
	;; [unrolled: 1-line block ×3, first 2 shown]
	v_add_co_u32_e32 v4, vcc, 0x2000, v16
	v_addc_co_u32_e32 v5, vcc, 0, v17, vcc
	flat_store_dword v[4:5], v12
	flat_store_dword v[4:5], v13 offset:1024
	flat_store_dword v[4:5], v14 offset:2048
	;; [unrolled: 1-line block ×3, first 2 shown]
	v_add_co_u32_e32 v4, vcc, 0x3000, v16
	v_mov_b32_e32 v1, 0
	v_addc_co_u32_e32 v5, vcc, 0, v17, vcc
	s_or_b64 s[0:1], s[0:1], exec
	flat_store_dword v[4:5], v2
.LBB167_217:
	s_and_saveexec_b64 s[2:3], s[0:1]
	s_cbranch_execnz .LBB167_219
; %bb.218:
	s_endpgm
.LBB167_219:
	v_lshlrev_b64 v[0:1], 2, v[0:1]
	v_mov_b32_e32 v2, s5
	v_add_co_u32_e32 v0, vcc, s4, v0
	v_addc_co_u32_e32 v1, vcc, v2, v1, vcc
	v_add_co_u32_e32 v0, vcc, 0x3000, v0
	v_addc_co_u32_e32 v1, vcc, 0, v1, vcc
	s_waitcnt lgkmcnt(0)
	flat_store_dword v[0:1], v3 offset:1024
	s_endpgm
.LBB167_220:
	v_mov_b32_e32 v13, s55
	v_add_co_u32_e32 v14, vcc, s7, v12
	v_addc_co_u32_e32 v15, vcc, 0, v13, vcc
	flat_load_dword v13, v[14:15]
	s_or_b64 exec, exec, s[44:45]
                                        ; implicit-def: $vgpr14
	s_and_saveexec_b64 s[2:3], s[4:5]
	s_cbranch_execz .LBB167_37
.LBB167_221:
	v_mov_b32_e32 v15, s55
	v_add_co_u32_e32 v14, vcc, s7, v12
	v_addc_co_u32_e32 v15, vcc, 0, v15, vcc
	flat_load_dword v14, v[14:15] offset:1024
	s_or_b64 exec, exec, s[2:3]
                                        ; implicit-def: $vgpr15
	s_and_saveexec_b64 s[2:3], s[30:31]
	s_cbranch_execz .LBB167_38
.LBB167_222:
	v_mov_b32_e32 v15, s55
	v_add_co_u32_e32 v16, vcc, s7, v12
	v_addc_co_u32_e32 v17, vcc, 0, v15, vcc
	flat_load_dword v15, v[16:17] offset:2048
	s_or_b64 exec, exec, s[2:3]
                                        ; implicit-def: $vgpr16
	s_and_saveexec_b64 s[2:3], s[8:9]
	s_cbranch_execz .LBB167_39
.LBB167_223:
	v_mov_b32_e32 v17, s55
	v_add_co_u32_e32 v16, vcc, s7, v12
	v_addc_co_u32_e32 v17, vcc, 0, v17, vcc
	flat_load_dword v16, v[16:17] offset:3072
	s_or_b64 exec, exec, s[2:3]
                                        ; implicit-def: $vgpr17
	s_and_saveexec_b64 s[2:3], s[10:11]
	s_cbranch_execz .LBB167_40
.LBB167_224:
	v_mov_b32_e32 v17, s55
	v_add_co_u32_e32 v18, vcc, s7, v2
	v_addc_co_u32_e32 v19, vcc, 0, v17, vcc
	flat_load_dword v17, v[18:19]
	s_or_b64 exec, exec, s[2:3]
                                        ; implicit-def: $vgpr2
	s_and_saveexec_b64 s[2:3], s[12:13]
	s_cbranch_execz .LBB167_41
.LBB167_225:
	v_mov_b32_e32 v18, s55
	v_add_co_u32_e32 v2, vcc, s7, v3
	v_addc_co_u32_e32 v3, vcc, 0, v18, vcc
	flat_load_dword v2, v[2:3]
	s_or_b64 exec, exec, s[2:3]
                                        ; implicit-def: $vgpr3
	s_and_saveexec_b64 s[2:3], s[14:15]
	s_cbranch_execz .LBB167_42
.LBB167_226:
	v_mov_b32_e32 v3, s55
	v_add_co_u32_e32 v18, vcc, s7, v4
	v_addc_co_u32_e32 v19, vcc, 0, v3, vcc
	flat_load_dword v3, v[18:19]
	s_or_b64 exec, exec, s[2:3]
                                        ; implicit-def: $vgpr4
	s_and_saveexec_b64 s[2:3], s[16:17]
	s_cbranch_execz .LBB167_43
.LBB167_227:
	v_mov_b32_e32 v18, s55
	v_add_co_u32_e32 v4, vcc, s7, v5
	v_addc_co_u32_e32 v5, vcc, 0, v18, vcc
	flat_load_dword v4, v[4:5]
	s_or_b64 exec, exec, s[2:3]
                                        ; implicit-def: $vgpr5
	s_and_saveexec_b64 s[2:3], s[18:19]
	s_cbranch_execz .LBB167_44
.LBB167_228:
	v_mov_b32_e32 v5, s55
	v_add_co_u32_e32 v18, vcc, s7, v6
	v_addc_co_u32_e32 v19, vcc, 0, v5, vcc
	flat_load_dword v5, v[18:19]
	s_or_b64 exec, exec, s[2:3]
                                        ; implicit-def: $vgpr6
	s_and_saveexec_b64 s[2:3], s[20:21]
	s_cbranch_execz .LBB167_45
.LBB167_229:
	v_mov_b32_e32 v18, s55
	v_add_co_u32_e32 v6, vcc, s7, v7
	v_addc_co_u32_e32 v7, vcc, 0, v18, vcc
	flat_load_dword v6, v[6:7]
	s_or_b64 exec, exec, s[2:3]
                                        ; implicit-def: $vgpr7
	s_and_saveexec_b64 s[2:3], s[22:23]
	s_cbranch_execz .LBB167_46
.LBB167_230:
	v_mov_b32_e32 v7, s55
	v_add_co_u32_e32 v18, vcc, s7, v8
	v_addc_co_u32_e32 v19, vcc, 0, v7, vcc
	flat_load_dword v7, v[18:19]
	s_or_b64 exec, exec, s[2:3]
                                        ; implicit-def: $vgpr8
	s_and_saveexec_b64 s[2:3], s[24:25]
	s_cbranch_execz .LBB167_47
.LBB167_231:
	v_mov_b32_e32 v18, s55
	v_add_co_u32_e32 v8, vcc, s7, v9
	v_addc_co_u32_e32 v9, vcc, 0, v18, vcc
	flat_load_dword v8, v[8:9]
	s_or_b64 exec, exec, s[2:3]
                                        ; implicit-def: $vgpr9
	s_and_saveexec_b64 s[2:3], s[26:27]
	s_cbranch_execz .LBB167_48
.LBB167_232:
	v_mov_b32_e32 v9, s55
	v_add_co_u32_e32 v18, vcc, s7, v10
	v_addc_co_u32_e32 v19, vcc, 0, v9, vcc
	flat_load_dword v9, v[18:19]
	s_or_b64 exec, exec, s[2:3]
                                        ; implicit-def: $vgpr10
	s_and_saveexec_b64 s[2:3], s[28:29]
	s_cbranch_execnz .LBB167_49
	s_branch .LBB167_50
.LBB167_233:
                                        ; implicit-def: $sgpr44_sgpr45
	s_branch .LBB167_32
.LBB167_234:
                                        ; implicit-def: $sgpr2_sgpr3
	s_branch .LBB167_81
	.section	.rodata,"a",@progbits
	.p2align	6, 0x0
	.amdhsa_kernel _ZN7rocprim17ROCPRIM_400000_NS6detail17trampoline_kernelINS0_14default_configENS1_27scan_by_key_config_selectorIiiEEZZNS1_16scan_by_key_implILNS1_25lookback_scan_determinismE0ELb0ES3_N6thrust23THRUST_200600_302600_NS6detail15normal_iteratorINS9_10device_ptrIiEEEESE_SE_iNS9_10multipliesIiEENS9_8equal_toIiEEiEE10hipError_tPvRmT2_T3_T4_T5_mT6_T7_P12ihipStream_tbENKUlT_T0_E_clISt17integral_constantIbLb0EESZ_EEDaSU_SV_EUlSU_E_NS1_11comp_targetILNS1_3genE4ELNS1_11target_archE910ELNS1_3gpuE8ELNS1_3repE0EEENS1_30default_config_static_selectorELNS0_4arch9wavefront6targetE1EEEvT1_
		.amdhsa_group_segment_fixed_size 16384
		.amdhsa_private_segment_fixed_size 0
		.amdhsa_kernarg_size 112
		.amdhsa_user_sgpr_count 6
		.amdhsa_user_sgpr_private_segment_buffer 1
		.amdhsa_user_sgpr_dispatch_ptr 0
		.amdhsa_user_sgpr_queue_ptr 0
		.amdhsa_user_sgpr_kernarg_segment_ptr 1
		.amdhsa_user_sgpr_dispatch_id 0
		.amdhsa_user_sgpr_flat_scratch_init 0
		.amdhsa_user_sgpr_kernarg_preload_length 0
		.amdhsa_user_sgpr_kernarg_preload_offset 0
		.amdhsa_user_sgpr_private_segment_size 0
		.amdhsa_uses_dynamic_stack 0
		.amdhsa_system_sgpr_private_segment_wavefront_offset 0
		.amdhsa_system_sgpr_workgroup_id_x 1
		.amdhsa_system_sgpr_workgroup_id_y 0
		.amdhsa_system_sgpr_workgroup_id_z 0
		.amdhsa_system_sgpr_workgroup_info 0
		.amdhsa_system_vgpr_workitem_id 0
		.amdhsa_next_free_vgpr 63
		.amdhsa_next_free_sgpr 61
		.amdhsa_accum_offset 64
		.amdhsa_reserve_vcc 1
		.amdhsa_reserve_flat_scratch 0
		.amdhsa_float_round_mode_32 0
		.amdhsa_float_round_mode_16_64 0
		.amdhsa_float_denorm_mode_32 3
		.amdhsa_float_denorm_mode_16_64 3
		.amdhsa_dx10_clamp 1
		.amdhsa_ieee_mode 1
		.amdhsa_fp16_overflow 0
		.amdhsa_tg_split 0
		.amdhsa_exception_fp_ieee_invalid_op 0
		.amdhsa_exception_fp_denorm_src 0
		.amdhsa_exception_fp_ieee_div_zero 0
		.amdhsa_exception_fp_ieee_overflow 0
		.amdhsa_exception_fp_ieee_underflow 0
		.amdhsa_exception_fp_ieee_inexact 0
		.amdhsa_exception_int_div_zero 0
	.end_amdhsa_kernel
	.section	.text._ZN7rocprim17ROCPRIM_400000_NS6detail17trampoline_kernelINS0_14default_configENS1_27scan_by_key_config_selectorIiiEEZZNS1_16scan_by_key_implILNS1_25lookback_scan_determinismE0ELb0ES3_N6thrust23THRUST_200600_302600_NS6detail15normal_iteratorINS9_10device_ptrIiEEEESE_SE_iNS9_10multipliesIiEENS9_8equal_toIiEEiEE10hipError_tPvRmT2_T3_T4_T5_mT6_T7_P12ihipStream_tbENKUlT_T0_E_clISt17integral_constantIbLb0EESZ_EEDaSU_SV_EUlSU_E_NS1_11comp_targetILNS1_3genE4ELNS1_11target_archE910ELNS1_3gpuE8ELNS1_3repE0EEENS1_30default_config_static_selectorELNS0_4arch9wavefront6targetE1EEEvT1_,"axG",@progbits,_ZN7rocprim17ROCPRIM_400000_NS6detail17trampoline_kernelINS0_14default_configENS1_27scan_by_key_config_selectorIiiEEZZNS1_16scan_by_key_implILNS1_25lookback_scan_determinismE0ELb0ES3_N6thrust23THRUST_200600_302600_NS6detail15normal_iteratorINS9_10device_ptrIiEEEESE_SE_iNS9_10multipliesIiEENS9_8equal_toIiEEiEE10hipError_tPvRmT2_T3_T4_T5_mT6_T7_P12ihipStream_tbENKUlT_T0_E_clISt17integral_constantIbLb0EESZ_EEDaSU_SV_EUlSU_E_NS1_11comp_targetILNS1_3genE4ELNS1_11target_archE910ELNS1_3gpuE8ELNS1_3repE0EEENS1_30default_config_static_selectorELNS0_4arch9wavefront6targetE1EEEvT1_,comdat
.Lfunc_end167:
	.size	_ZN7rocprim17ROCPRIM_400000_NS6detail17trampoline_kernelINS0_14default_configENS1_27scan_by_key_config_selectorIiiEEZZNS1_16scan_by_key_implILNS1_25lookback_scan_determinismE0ELb0ES3_N6thrust23THRUST_200600_302600_NS6detail15normal_iteratorINS9_10device_ptrIiEEEESE_SE_iNS9_10multipliesIiEENS9_8equal_toIiEEiEE10hipError_tPvRmT2_T3_T4_T5_mT6_T7_P12ihipStream_tbENKUlT_T0_E_clISt17integral_constantIbLb0EESZ_EEDaSU_SV_EUlSU_E_NS1_11comp_targetILNS1_3genE4ELNS1_11target_archE910ELNS1_3gpuE8ELNS1_3repE0EEENS1_30default_config_static_selectorELNS0_4arch9wavefront6targetE1EEEvT1_, .Lfunc_end167-_ZN7rocprim17ROCPRIM_400000_NS6detail17trampoline_kernelINS0_14default_configENS1_27scan_by_key_config_selectorIiiEEZZNS1_16scan_by_key_implILNS1_25lookback_scan_determinismE0ELb0ES3_N6thrust23THRUST_200600_302600_NS6detail15normal_iteratorINS9_10device_ptrIiEEEESE_SE_iNS9_10multipliesIiEENS9_8equal_toIiEEiEE10hipError_tPvRmT2_T3_T4_T5_mT6_T7_P12ihipStream_tbENKUlT_T0_E_clISt17integral_constantIbLb0EESZ_EEDaSU_SV_EUlSU_E_NS1_11comp_targetILNS1_3genE4ELNS1_11target_archE910ELNS1_3gpuE8ELNS1_3repE0EEENS1_30default_config_static_selectorELNS0_4arch9wavefront6targetE1EEEvT1_
                                        ; -- End function
	.section	.AMDGPU.csdata,"",@progbits
; Kernel info:
; codeLenInByte = 11176
; NumSgprs: 65
; NumVgprs: 63
; NumAgprs: 0
; TotalNumVgprs: 63
; ScratchSize: 0
; MemoryBound: 0
; FloatMode: 240
; IeeeMode: 1
; LDSByteSize: 16384 bytes/workgroup (compile time only)
; SGPRBlocks: 8
; VGPRBlocks: 7
; NumSGPRsForWavesPerEU: 65
; NumVGPRsForWavesPerEU: 63
; AccumOffset: 64
; Occupancy: 4
; WaveLimiterHint : 1
; COMPUTE_PGM_RSRC2:SCRATCH_EN: 0
; COMPUTE_PGM_RSRC2:USER_SGPR: 6
; COMPUTE_PGM_RSRC2:TRAP_HANDLER: 0
; COMPUTE_PGM_RSRC2:TGID_X_EN: 1
; COMPUTE_PGM_RSRC2:TGID_Y_EN: 0
; COMPUTE_PGM_RSRC2:TGID_Z_EN: 0
; COMPUTE_PGM_RSRC2:TIDIG_COMP_CNT: 0
; COMPUTE_PGM_RSRC3_GFX90A:ACCUM_OFFSET: 15
; COMPUTE_PGM_RSRC3_GFX90A:TG_SPLIT: 0
	.section	.text._ZN7rocprim17ROCPRIM_400000_NS6detail17trampoline_kernelINS0_14default_configENS1_27scan_by_key_config_selectorIiiEEZZNS1_16scan_by_key_implILNS1_25lookback_scan_determinismE0ELb0ES3_N6thrust23THRUST_200600_302600_NS6detail15normal_iteratorINS9_10device_ptrIiEEEESE_SE_iNS9_10multipliesIiEENS9_8equal_toIiEEiEE10hipError_tPvRmT2_T3_T4_T5_mT6_T7_P12ihipStream_tbENKUlT_T0_E_clISt17integral_constantIbLb0EESZ_EEDaSU_SV_EUlSU_E_NS1_11comp_targetILNS1_3genE3ELNS1_11target_archE908ELNS1_3gpuE7ELNS1_3repE0EEENS1_30default_config_static_selectorELNS0_4arch9wavefront6targetE1EEEvT1_,"axG",@progbits,_ZN7rocprim17ROCPRIM_400000_NS6detail17trampoline_kernelINS0_14default_configENS1_27scan_by_key_config_selectorIiiEEZZNS1_16scan_by_key_implILNS1_25lookback_scan_determinismE0ELb0ES3_N6thrust23THRUST_200600_302600_NS6detail15normal_iteratorINS9_10device_ptrIiEEEESE_SE_iNS9_10multipliesIiEENS9_8equal_toIiEEiEE10hipError_tPvRmT2_T3_T4_T5_mT6_T7_P12ihipStream_tbENKUlT_T0_E_clISt17integral_constantIbLb0EESZ_EEDaSU_SV_EUlSU_E_NS1_11comp_targetILNS1_3genE3ELNS1_11target_archE908ELNS1_3gpuE7ELNS1_3repE0EEENS1_30default_config_static_selectorELNS0_4arch9wavefront6targetE1EEEvT1_,comdat
	.protected	_ZN7rocprim17ROCPRIM_400000_NS6detail17trampoline_kernelINS0_14default_configENS1_27scan_by_key_config_selectorIiiEEZZNS1_16scan_by_key_implILNS1_25lookback_scan_determinismE0ELb0ES3_N6thrust23THRUST_200600_302600_NS6detail15normal_iteratorINS9_10device_ptrIiEEEESE_SE_iNS9_10multipliesIiEENS9_8equal_toIiEEiEE10hipError_tPvRmT2_T3_T4_T5_mT6_T7_P12ihipStream_tbENKUlT_T0_E_clISt17integral_constantIbLb0EESZ_EEDaSU_SV_EUlSU_E_NS1_11comp_targetILNS1_3genE3ELNS1_11target_archE908ELNS1_3gpuE7ELNS1_3repE0EEENS1_30default_config_static_selectorELNS0_4arch9wavefront6targetE1EEEvT1_ ; -- Begin function _ZN7rocprim17ROCPRIM_400000_NS6detail17trampoline_kernelINS0_14default_configENS1_27scan_by_key_config_selectorIiiEEZZNS1_16scan_by_key_implILNS1_25lookback_scan_determinismE0ELb0ES3_N6thrust23THRUST_200600_302600_NS6detail15normal_iteratorINS9_10device_ptrIiEEEESE_SE_iNS9_10multipliesIiEENS9_8equal_toIiEEiEE10hipError_tPvRmT2_T3_T4_T5_mT6_T7_P12ihipStream_tbENKUlT_T0_E_clISt17integral_constantIbLb0EESZ_EEDaSU_SV_EUlSU_E_NS1_11comp_targetILNS1_3genE3ELNS1_11target_archE908ELNS1_3gpuE7ELNS1_3repE0EEENS1_30default_config_static_selectorELNS0_4arch9wavefront6targetE1EEEvT1_
	.globl	_ZN7rocprim17ROCPRIM_400000_NS6detail17trampoline_kernelINS0_14default_configENS1_27scan_by_key_config_selectorIiiEEZZNS1_16scan_by_key_implILNS1_25lookback_scan_determinismE0ELb0ES3_N6thrust23THRUST_200600_302600_NS6detail15normal_iteratorINS9_10device_ptrIiEEEESE_SE_iNS9_10multipliesIiEENS9_8equal_toIiEEiEE10hipError_tPvRmT2_T3_T4_T5_mT6_T7_P12ihipStream_tbENKUlT_T0_E_clISt17integral_constantIbLb0EESZ_EEDaSU_SV_EUlSU_E_NS1_11comp_targetILNS1_3genE3ELNS1_11target_archE908ELNS1_3gpuE7ELNS1_3repE0EEENS1_30default_config_static_selectorELNS0_4arch9wavefront6targetE1EEEvT1_
	.p2align	8
	.type	_ZN7rocprim17ROCPRIM_400000_NS6detail17trampoline_kernelINS0_14default_configENS1_27scan_by_key_config_selectorIiiEEZZNS1_16scan_by_key_implILNS1_25lookback_scan_determinismE0ELb0ES3_N6thrust23THRUST_200600_302600_NS6detail15normal_iteratorINS9_10device_ptrIiEEEESE_SE_iNS9_10multipliesIiEENS9_8equal_toIiEEiEE10hipError_tPvRmT2_T3_T4_T5_mT6_T7_P12ihipStream_tbENKUlT_T0_E_clISt17integral_constantIbLb0EESZ_EEDaSU_SV_EUlSU_E_NS1_11comp_targetILNS1_3genE3ELNS1_11target_archE908ELNS1_3gpuE7ELNS1_3repE0EEENS1_30default_config_static_selectorELNS0_4arch9wavefront6targetE1EEEvT1_,@function
_ZN7rocprim17ROCPRIM_400000_NS6detail17trampoline_kernelINS0_14default_configENS1_27scan_by_key_config_selectorIiiEEZZNS1_16scan_by_key_implILNS1_25lookback_scan_determinismE0ELb0ES3_N6thrust23THRUST_200600_302600_NS6detail15normal_iteratorINS9_10device_ptrIiEEEESE_SE_iNS9_10multipliesIiEENS9_8equal_toIiEEiEE10hipError_tPvRmT2_T3_T4_T5_mT6_T7_P12ihipStream_tbENKUlT_T0_E_clISt17integral_constantIbLb0EESZ_EEDaSU_SV_EUlSU_E_NS1_11comp_targetILNS1_3genE3ELNS1_11target_archE908ELNS1_3gpuE7ELNS1_3repE0EEENS1_30default_config_static_selectorELNS0_4arch9wavefront6targetE1EEEvT1_: ; @_ZN7rocprim17ROCPRIM_400000_NS6detail17trampoline_kernelINS0_14default_configENS1_27scan_by_key_config_selectorIiiEEZZNS1_16scan_by_key_implILNS1_25lookback_scan_determinismE0ELb0ES3_N6thrust23THRUST_200600_302600_NS6detail15normal_iteratorINS9_10device_ptrIiEEEESE_SE_iNS9_10multipliesIiEENS9_8equal_toIiEEiEE10hipError_tPvRmT2_T3_T4_T5_mT6_T7_P12ihipStream_tbENKUlT_T0_E_clISt17integral_constantIbLb0EESZ_EEDaSU_SV_EUlSU_E_NS1_11comp_targetILNS1_3genE3ELNS1_11target_archE908ELNS1_3gpuE7ELNS1_3repE0EEENS1_30default_config_static_selectorELNS0_4arch9wavefront6targetE1EEEvT1_
; %bb.0:
	.section	.rodata,"a",@progbits
	.p2align	6, 0x0
	.amdhsa_kernel _ZN7rocprim17ROCPRIM_400000_NS6detail17trampoline_kernelINS0_14default_configENS1_27scan_by_key_config_selectorIiiEEZZNS1_16scan_by_key_implILNS1_25lookback_scan_determinismE0ELb0ES3_N6thrust23THRUST_200600_302600_NS6detail15normal_iteratorINS9_10device_ptrIiEEEESE_SE_iNS9_10multipliesIiEENS9_8equal_toIiEEiEE10hipError_tPvRmT2_T3_T4_T5_mT6_T7_P12ihipStream_tbENKUlT_T0_E_clISt17integral_constantIbLb0EESZ_EEDaSU_SV_EUlSU_E_NS1_11comp_targetILNS1_3genE3ELNS1_11target_archE908ELNS1_3gpuE7ELNS1_3repE0EEENS1_30default_config_static_selectorELNS0_4arch9wavefront6targetE1EEEvT1_
		.amdhsa_group_segment_fixed_size 0
		.amdhsa_private_segment_fixed_size 0
		.amdhsa_kernarg_size 112
		.amdhsa_user_sgpr_count 6
		.amdhsa_user_sgpr_private_segment_buffer 1
		.amdhsa_user_sgpr_dispatch_ptr 0
		.amdhsa_user_sgpr_queue_ptr 0
		.amdhsa_user_sgpr_kernarg_segment_ptr 1
		.amdhsa_user_sgpr_dispatch_id 0
		.amdhsa_user_sgpr_flat_scratch_init 0
		.amdhsa_user_sgpr_kernarg_preload_length 0
		.amdhsa_user_sgpr_kernarg_preload_offset 0
		.amdhsa_user_sgpr_private_segment_size 0
		.amdhsa_uses_dynamic_stack 0
		.amdhsa_system_sgpr_private_segment_wavefront_offset 0
		.amdhsa_system_sgpr_workgroup_id_x 1
		.amdhsa_system_sgpr_workgroup_id_y 0
		.amdhsa_system_sgpr_workgroup_id_z 0
		.amdhsa_system_sgpr_workgroup_info 0
		.amdhsa_system_vgpr_workitem_id 0
		.amdhsa_next_free_vgpr 1
		.amdhsa_next_free_sgpr 0
		.amdhsa_accum_offset 4
		.amdhsa_reserve_vcc 0
		.amdhsa_reserve_flat_scratch 0
		.amdhsa_float_round_mode_32 0
		.amdhsa_float_round_mode_16_64 0
		.amdhsa_float_denorm_mode_32 3
		.amdhsa_float_denorm_mode_16_64 3
		.amdhsa_dx10_clamp 1
		.amdhsa_ieee_mode 1
		.amdhsa_fp16_overflow 0
		.amdhsa_tg_split 0
		.amdhsa_exception_fp_ieee_invalid_op 0
		.amdhsa_exception_fp_denorm_src 0
		.amdhsa_exception_fp_ieee_div_zero 0
		.amdhsa_exception_fp_ieee_overflow 0
		.amdhsa_exception_fp_ieee_underflow 0
		.amdhsa_exception_fp_ieee_inexact 0
		.amdhsa_exception_int_div_zero 0
	.end_amdhsa_kernel
	.section	.text._ZN7rocprim17ROCPRIM_400000_NS6detail17trampoline_kernelINS0_14default_configENS1_27scan_by_key_config_selectorIiiEEZZNS1_16scan_by_key_implILNS1_25lookback_scan_determinismE0ELb0ES3_N6thrust23THRUST_200600_302600_NS6detail15normal_iteratorINS9_10device_ptrIiEEEESE_SE_iNS9_10multipliesIiEENS9_8equal_toIiEEiEE10hipError_tPvRmT2_T3_T4_T5_mT6_T7_P12ihipStream_tbENKUlT_T0_E_clISt17integral_constantIbLb0EESZ_EEDaSU_SV_EUlSU_E_NS1_11comp_targetILNS1_3genE3ELNS1_11target_archE908ELNS1_3gpuE7ELNS1_3repE0EEENS1_30default_config_static_selectorELNS0_4arch9wavefront6targetE1EEEvT1_,"axG",@progbits,_ZN7rocprim17ROCPRIM_400000_NS6detail17trampoline_kernelINS0_14default_configENS1_27scan_by_key_config_selectorIiiEEZZNS1_16scan_by_key_implILNS1_25lookback_scan_determinismE0ELb0ES3_N6thrust23THRUST_200600_302600_NS6detail15normal_iteratorINS9_10device_ptrIiEEEESE_SE_iNS9_10multipliesIiEENS9_8equal_toIiEEiEE10hipError_tPvRmT2_T3_T4_T5_mT6_T7_P12ihipStream_tbENKUlT_T0_E_clISt17integral_constantIbLb0EESZ_EEDaSU_SV_EUlSU_E_NS1_11comp_targetILNS1_3genE3ELNS1_11target_archE908ELNS1_3gpuE7ELNS1_3repE0EEENS1_30default_config_static_selectorELNS0_4arch9wavefront6targetE1EEEvT1_,comdat
.Lfunc_end168:
	.size	_ZN7rocprim17ROCPRIM_400000_NS6detail17trampoline_kernelINS0_14default_configENS1_27scan_by_key_config_selectorIiiEEZZNS1_16scan_by_key_implILNS1_25lookback_scan_determinismE0ELb0ES3_N6thrust23THRUST_200600_302600_NS6detail15normal_iteratorINS9_10device_ptrIiEEEESE_SE_iNS9_10multipliesIiEENS9_8equal_toIiEEiEE10hipError_tPvRmT2_T3_T4_T5_mT6_T7_P12ihipStream_tbENKUlT_T0_E_clISt17integral_constantIbLb0EESZ_EEDaSU_SV_EUlSU_E_NS1_11comp_targetILNS1_3genE3ELNS1_11target_archE908ELNS1_3gpuE7ELNS1_3repE0EEENS1_30default_config_static_selectorELNS0_4arch9wavefront6targetE1EEEvT1_, .Lfunc_end168-_ZN7rocprim17ROCPRIM_400000_NS6detail17trampoline_kernelINS0_14default_configENS1_27scan_by_key_config_selectorIiiEEZZNS1_16scan_by_key_implILNS1_25lookback_scan_determinismE0ELb0ES3_N6thrust23THRUST_200600_302600_NS6detail15normal_iteratorINS9_10device_ptrIiEEEESE_SE_iNS9_10multipliesIiEENS9_8equal_toIiEEiEE10hipError_tPvRmT2_T3_T4_T5_mT6_T7_P12ihipStream_tbENKUlT_T0_E_clISt17integral_constantIbLb0EESZ_EEDaSU_SV_EUlSU_E_NS1_11comp_targetILNS1_3genE3ELNS1_11target_archE908ELNS1_3gpuE7ELNS1_3repE0EEENS1_30default_config_static_selectorELNS0_4arch9wavefront6targetE1EEEvT1_
                                        ; -- End function
	.section	.AMDGPU.csdata,"",@progbits
; Kernel info:
; codeLenInByte = 0
; NumSgprs: 4
; NumVgprs: 0
; NumAgprs: 0
; TotalNumVgprs: 0
; ScratchSize: 0
; MemoryBound: 0
; FloatMode: 240
; IeeeMode: 1
; LDSByteSize: 0 bytes/workgroup (compile time only)
; SGPRBlocks: 0
; VGPRBlocks: 0
; NumSGPRsForWavesPerEU: 4
; NumVGPRsForWavesPerEU: 1
; AccumOffset: 4
; Occupancy: 8
; WaveLimiterHint : 0
; COMPUTE_PGM_RSRC2:SCRATCH_EN: 0
; COMPUTE_PGM_RSRC2:USER_SGPR: 6
; COMPUTE_PGM_RSRC2:TRAP_HANDLER: 0
; COMPUTE_PGM_RSRC2:TGID_X_EN: 1
; COMPUTE_PGM_RSRC2:TGID_Y_EN: 0
; COMPUTE_PGM_RSRC2:TGID_Z_EN: 0
; COMPUTE_PGM_RSRC2:TIDIG_COMP_CNT: 0
; COMPUTE_PGM_RSRC3_GFX90A:ACCUM_OFFSET: 0
; COMPUTE_PGM_RSRC3_GFX90A:TG_SPLIT: 0
	.section	.text._ZN7rocprim17ROCPRIM_400000_NS6detail17trampoline_kernelINS0_14default_configENS1_27scan_by_key_config_selectorIiiEEZZNS1_16scan_by_key_implILNS1_25lookback_scan_determinismE0ELb0ES3_N6thrust23THRUST_200600_302600_NS6detail15normal_iteratorINS9_10device_ptrIiEEEESE_SE_iNS9_10multipliesIiEENS9_8equal_toIiEEiEE10hipError_tPvRmT2_T3_T4_T5_mT6_T7_P12ihipStream_tbENKUlT_T0_E_clISt17integral_constantIbLb0EESZ_EEDaSU_SV_EUlSU_E_NS1_11comp_targetILNS1_3genE2ELNS1_11target_archE906ELNS1_3gpuE6ELNS1_3repE0EEENS1_30default_config_static_selectorELNS0_4arch9wavefront6targetE1EEEvT1_,"axG",@progbits,_ZN7rocprim17ROCPRIM_400000_NS6detail17trampoline_kernelINS0_14default_configENS1_27scan_by_key_config_selectorIiiEEZZNS1_16scan_by_key_implILNS1_25lookback_scan_determinismE0ELb0ES3_N6thrust23THRUST_200600_302600_NS6detail15normal_iteratorINS9_10device_ptrIiEEEESE_SE_iNS9_10multipliesIiEENS9_8equal_toIiEEiEE10hipError_tPvRmT2_T3_T4_T5_mT6_T7_P12ihipStream_tbENKUlT_T0_E_clISt17integral_constantIbLb0EESZ_EEDaSU_SV_EUlSU_E_NS1_11comp_targetILNS1_3genE2ELNS1_11target_archE906ELNS1_3gpuE6ELNS1_3repE0EEENS1_30default_config_static_selectorELNS0_4arch9wavefront6targetE1EEEvT1_,comdat
	.protected	_ZN7rocprim17ROCPRIM_400000_NS6detail17trampoline_kernelINS0_14default_configENS1_27scan_by_key_config_selectorIiiEEZZNS1_16scan_by_key_implILNS1_25lookback_scan_determinismE0ELb0ES3_N6thrust23THRUST_200600_302600_NS6detail15normal_iteratorINS9_10device_ptrIiEEEESE_SE_iNS9_10multipliesIiEENS9_8equal_toIiEEiEE10hipError_tPvRmT2_T3_T4_T5_mT6_T7_P12ihipStream_tbENKUlT_T0_E_clISt17integral_constantIbLb0EESZ_EEDaSU_SV_EUlSU_E_NS1_11comp_targetILNS1_3genE2ELNS1_11target_archE906ELNS1_3gpuE6ELNS1_3repE0EEENS1_30default_config_static_selectorELNS0_4arch9wavefront6targetE1EEEvT1_ ; -- Begin function _ZN7rocprim17ROCPRIM_400000_NS6detail17trampoline_kernelINS0_14default_configENS1_27scan_by_key_config_selectorIiiEEZZNS1_16scan_by_key_implILNS1_25lookback_scan_determinismE0ELb0ES3_N6thrust23THRUST_200600_302600_NS6detail15normal_iteratorINS9_10device_ptrIiEEEESE_SE_iNS9_10multipliesIiEENS9_8equal_toIiEEiEE10hipError_tPvRmT2_T3_T4_T5_mT6_T7_P12ihipStream_tbENKUlT_T0_E_clISt17integral_constantIbLb0EESZ_EEDaSU_SV_EUlSU_E_NS1_11comp_targetILNS1_3genE2ELNS1_11target_archE906ELNS1_3gpuE6ELNS1_3repE0EEENS1_30default_config_static_selectorELNS0_4arch9wavefront6targetE1EEEvT1_
	.globl	_ZN7rocprim17ROCPRIM_400000_NS6detail17trampoline_kernelINS0_14default_configENS1_27scan_by_key_config_selectorIiiEEZZNS1_16scan_by_key_implILNS1_25lookback_scan_determinismE0ELb0ES3_N6thrust23THRUST_200600_302600_NS6detail15normal_iteratorINS9_10device_ptrIiEEEESE_SE_iNS9_10multipliesIiEENS9_8equal_toIiEEiEE10hipError_tPvRmT2_T3_T4_T5_mT6_T7_P12ihipStream_tbENKUlT_T0_E_clISt17integral_constantIbLb0EESZ_EEDaSU_SV_EUlSU_E_NS1_11comp_targetILNS1_3genE2ELNS1_11target_archE906ELNS1_3gpuE6ELNS1_3repE0EEENS1_30default_config_static_selectorELNS0_4arch9wavefront6targetE1EEEvT1_
	.p2align	8
	.type	_ZN7rocprim17ROCPRIM_400000_NS6detail17trampoline_kernelINS0_14default_configENS1_27scan_by_key_config_selectorIiiEEZZNS1_16scan_by_key_implILNS1_25lookback_scan_determinismE0ELb0ES3_N6thrust23THRUST_200600_302600_NS6detail15normal_iteratorINS9_10device_ptrIiEEEESE_SE_iNS9_10multipliesIiEENS9_8equal_toIiEEiEE10hipError_tPvRmT2_T3_T4_T5_mT6_T7_P12ihipStream_tbENKUlT_T0_E_clISt17integral_constantIbLb0EESZ_EEDaSU_SV_EUlSU_E_NS1_11comp_targetILNS1_3genE2ELNS1_11target_archE906ELNS1_3gpuE6ELNS1_3repE0EEENS1_30default_config_static_selectorELNS0_4arch9wavefront6targetE1EEEvT1_,@function
_ZN7rocprim17ROCPRIM_400000_NS6detail17trampoline_kernelINS0_14default_configENS1_27scan_by_key_config_selectorIiiEEZZNS1_16scan_by_key_implILNS1_25lookback_scan_determinismE0ELb0ES3_N6thrust23THRUST_200600_302600_NS6detail15normal_iteratorINS9_10device_ptrIiEEEESE_SE_iNS9_10multipliesIiEENS9_8equal_toIiEEiEE10hipError_tPvRmT2_T3_T4_T5_mT6_T7_P12ihipStream_tbENKUlT_T0_E_clISt17integral_constantIbLb0EESZ_EEDaSU_SV_EUlSU_E_NS1_11comp_targetILNS1_3genE2ELNS1_11target_archE906ELNS1_3gpuE6ELNS1_3repE0EEENS1_30default_config_static_selectorELNS0_4arch9wavefront6targetE1EEEvT1_: ; @_ZN7rocprim17ROCPRIM_400000_NS6detail17trampoline_kernelINS0_14default_configENS1_27scan_by_key_config_selectorIiiEEZZNS1_16scan_by_key_implILNS1_25lookback_scan_determinismE0ELb0ES3_N6thrust23THRUST_200600_302600_NS6detail15normal_iteratorINS9_10device_ptrIiEEEESE_SE_iNS9_10multipliesIiEENS9_8equal_toIiEEiEE10hipError_tPvRmT2_T3_T4_T5_mT6_T7_P12ihipStream_tbENKUlT_T0_E_clISt17integral_constantIbLb0EESZ_EEDaSU_SV_EUlSU_E_NS1_11comp_targetILNS1_3genE2ELNS1_11target_archE906ELNS1_3gpuE6ELNS1_3repE0EEENS1_30default_config_static_selectorELNS0_4arch9wavefront6targetE1EEEvT1_
; %bb.0:
	.section	.rodata,"a",@progbits
	.p2align	6, 0x0
	.amdhsa_kernel _ZN7rocprim17ROCPRIM_400000_NS6detail17trampoline_kernelINS0_14default_configENS1_27scan_by_key_config_selectorIiiEEZZNS1_16scan_by_key_implILNS1_25lookback_scan_determinismE0ELb0ES3_N6thrust23THRUST_200600_302600_NS6detail15normal_iteratorINS9_10device_ptrIiEEEESE_SE_iNS9_10multipliesIiEENS9_8equal_toIiEEiEE10hipError_tPvRmT2_T3_T4_T5_mT6_T7_P12ihipStream_tbENKUlT_T0_E_clISt17integral_constantIbLb0EESZ_EEDaSU_SV_EUlSU_E_NS1_11comp_targetILNS1_3genE2ELNS1_11target_archE906ELNS1_3gpuE6ELNS1_3repE0EEENS1_30default_config_static_selectorELNS0_4arch9wavefront6targetE1EEEvT1_
		.amdhsa_group_segment_fixed_size 0
		.amdhsa_private_segment_fixed_size 0
		.amdhsa_kernarg_size 112
		.amdhsa_user_sgpr_count 6
		.amdhsa_user_sgpr_private_segment_buffer 1
		.amdhsa_user_sgpr_dispatch_ptr 0
		.amdhsa_user_sgpr_queue_ptr 0
		.amdhsa_user_sgpr_kernarg_segment_ptr 1
		.amdhsa_user_sgpr_dispatch_id 0
		.amdhsa_user_sgpr_flat_scratch_init 0
		.amdhsa_user_sgpr_kernarg_preload_length 0
		.amdhsa_user_sgpr_kernarg_preload_offset 0
		.amdhsa_user_sgpr_private_segment_size 0
		.amdhsa_uses_dynamic_stack 0
		.amdhsa_system_sgpr_private_segment_wavefront_offset 0
		.amdhsa_system_sgpr_workgroup_id_x 1
		.amdhsa_system_sgpr_workgroup_id_y 0
		.amdhsa_system_sgpr_workgroup_id_z 0
		.amdhsa_system_sgpr_workgroup_info 0
		.amdhsa_system_vgpr_workitem_id 0
		.amdhsa_next_free_vgpr 1
		.amdhsa_next_free_sgpr 0
		.amdhsa_accum_offset 4
		.amdhsa_reserve_vcc 0
		.amdhsa_reserve_flat_scratch 0
		.amdhsa_float_round_mode_32 0
		.amdhsa_float_round_mode_16_64 0
		.amdhsa_float_denorm_mode_32 3
		.amdhsa_float_denorm_mode_16_64 3
		.amdhsa_dx10_clamp 1
		.amdhsa_ieee_mode 1
		.amdhsa_fp16_overflow 0
		.amdhsa_tg_split 0
		.amdhsa_exception_fp_ieee_invalid_op 0
		.amdhsa_exception_fp_denorm_src 0
		.amdhsa_exception_fp_ieee_div_zero 0
		.amdhsa_exception_fp_ieee_overflow 0
		.amdhsa_exception_fp_ieee_underflow 0
		.amdhsa_exception_fp_ieee_inexact 0
		.amdhsa_exception_int_div_zero 0
	.end_amdhsa_kernel
	.section	.text._ZN7rocprim17ROCPRIM_400000_NS6detail17trampoline_kernelINS0_14default_configENS1_27scan_by_key_config_selectorIiiEEZZNS1_16scan_by_key_implILNS1_25lookback_scan_determinismE0ELb0ES3_N6thrust23THRUST_200600_302600_NS6detail15normal_iteratorINS9_10device_ptrIiEEEESE_SE_iNS9_10multipliesIiEENS9_8equal_toIiEEiEE10hipError_tPvRmT2_T3_T4_T5_mT6_T7_P12ihipStream_tbENKUlT_T0_E_clISt17integral_constantIbLb0EESZ_EEDaSU_SV_EUlSU_E_NS1_11comp_targetILNS1_3genE2ELNS1_11target_archE906ELNS1_3gpuE6ELNS1_3repE0EEENS1_30default_config_static_selectorELNS0_4arch9wavefront6targetE1EEEvT1_,"axG",@progbits,_ZN7rocprim17ROCPRIM_400000_NS6detail17trampoline_kernelINS0_14default_configENS1_27scan_by_key_config_selectorIiiEEZZNS1_16scan_by_key_implILNS1_25lookback_scan_determinismE0ELb0ES3_N6thrust23THRUST_200600_302600_NS6detail15normal_iteratorINS9_10device_ptrIiEEEESE_SE_iNS9_10multipliesIiEENS9_8equal_toIiEEiEE10hipError_tPvRmT2_T3_T4_T5_mT6_T7_P12ihipStream_tbENKUlT_T0_E_clISt17integral_constantIbLb0EESZ_EEDaSU_SV_EUlSU_E_NS1_11comp_targetILNS1_3genE2ELNS1_11target_archE906ELNS1_3gpuE6ELNS1_3repE0EEENS1_30default_config_static_selectorELNS0_4arch9wavefront6targetE1EEEvT1_,comdat
.Lfunc_end169:
	.size	_ZN7rocprim17ROCPRIM_400000_NS6detail17trampoline_kernelINS0_14default_configENS1_27scan_by_key_config_selectorIiiEEZZNS1_16scan_by_key_implILNS1_25lookback_scan_determinismE0ELb0ES3_N6thrust23THRUST_200600_302600_NS6detail15normal_iteratorINS9_10device_ptrIiEEEESE_SE_iNS9_10multipliesIiEENS9_8equal_toIiEEiEE10hipError_tPvRmT2_T3_T4_T5_mT6_T7_P12ihipStream_tbENKUlT_T0_E_clISt17integral_constantIbLb0EESZ_EEDaSU_SV_EUlSU_E_NS1_11comp_targetILNS1_3genE2ELNS1_11target_archE906ELNS1_3gpuE6ELNS1_3repE0EEENS1_30default_config_static_selectorELNS0_4arch9wavefront6targetE1EEEvT1_, .Lfunc_end169-_ZN7rocprim17ROCPRIM_400000_NS6detail17trampoline_kernelINS0_14default_configENS1_27scan_by_key_config_selectorIiiEEZZNS1_16scan_by_key_implILNS1_25lookback_scan_determinismE0ELb0ES3_N6thrust23THRUST_200600_302600_NS6detail15normal_iteratorINS9_10device_ptrIiEEEESE_SE_iNS9_10multipliesIiEENS9_8equal_toIiEEiEE10hipError_tPvRmT2_T3_T4_T5_mT6_T7_P12ihipStream_tbENKUlT_T0_E_clISt17integral_constantIbLb0EESZ_EEDaSU_SV_EUlSU_E_NS1_11comp_targetILNS1_3genE2ELNS1_11target_archE906ELNS1_3gpuE6ELNS1_3repE0EEENS1_30default_config_static_selectorELNS0_4arch9wavefront6targetE1EEEvT1_
                                        ; -- End function
	.section	.AMDGPU.csdata,"",@progbits
; Kernel info:
; codeLenInByte = 0
; NumSgprs: 4
; NumVgprs: 0
; NumAgprs: 0
; TotalNumVgprs: 0
; ScratchSize: 0
; MemoryBound: 0
; FloatMode: 240
; IeeeMode: 1
; LDSByteSize: 0 bytes/workgroup (compile time only)
; SGPRBlocks: 0
; VGPRBlocks: 0
; NumSGPRsForWavesPerEU: 4
; NumVGPRsForWavesPerEU: 1
; AccumOffset: 4
; Occupancy: 8
; WaveLimiterHint : 0
; COMPUTE_PGM_RSRC2:SCRATCH_EN: 0
; COMPUTE_PGM_RSRC2:USER_SGPR: 6
; COMPUTE_PGM_RSRC2:TRAP_HANDLER: 0
; COMPUTE_PGM_RSRC2:TGID_X_EN: 1
; COMPUTE_PGM_RSRC2:TGID_Y_EN: 0
; COMPUTE_PGM_RSRC2:TGID_Z_EN: 0
; COMPUTE_PGM_RSRC2:TIDIG_COMP_CNT: 0
; COMPUTE_PGM_RSRC3_GFX90A:ACCUM_OFFSET: 0
; COMPUTE_PGM_RSRC3_GFX90A:TG_SPLIT: 0
	.section	.text._ZN7rocprim17ROCPRIM_400000_NS6detail17trampoline_kernelINS0_14default_configENS1_27scan_by_key_config_selectorIiiEEZZNS1_16scan_by_key_implILNS1_25lookback_scan_determinismE0ELb0ES3_N6thrust23THRUST_200600_302600_NS6detail15normal_iteratorINS9_10device_ptrIiEEEESE_SE_iNS9_10multipliesIiEENS9_8equal_toIiEEiEE10hipError_tPvRmT2_T3_T4_T5_mT6_T7_P12ihipStream_tbENKUlT_T0_E_clISt17integral_constantIbLb0EESZ_EEDaSU_SV_EUlSU_E_NS1_11comp_targetILNS1_3genE10ELNS1_11target_archE1200ELNS1_3gpuE4ELNS1_3repE0EEENS1_30default_config_static_selectorELNS0_4arch9wavefront6targetE1EEEvT1_,"axG",@progbits,_ZN7rocprim17ROCPRIM_400000_NS6detail17trampoline_kernelINS0_14default_configENS1_27scan_by_key_config_selectorIiiEEZZNS1_16scan_by_key_implILNS1_25lookback_scan_determinismE0ELb0ES3_N6thrust23THRUST_200600_302600_NS6detail15normal_iteratorINS9_10device_ptrIiEEEESE_SE_iNS9_10multipliesIiEENS9_8equal_toIiEEiEE10hipError_tPvRmT2_T3_T4_T5_mT6_T7_P12ihipStream_tbENKUlT_T0_E_clISt17integral_constantIbLb0EESZ_EEDaSU_SV_EUlSU_E_NS1_11comp_targetILNS1_3genE10ELNS1_11target_archE1200ELNS1_3gpuE4ELNS1_3repE0EEENS1_30default_config_static_selectorELNS0_4arch9wavefront6targetE1EEEvT1_,comdat
	.protected	_ZN7rocprim17ROCPRIM_400000_NS6detail17trampoline_kernelINS0_14default_configENS1_27scan_by_key_config_selectorIiiEEZZNS1_16scan_by_key_implILNS1_25lookback_scan_determinismE0ELb0ES3_N6thrust23THRUST_200600_302600_NS6detail15normal_iteratorINS9_10device_ptrIiEEEESE_SE_iNS9_10multipliesIiEENS9_8equal_toIiEEiEE10hipError_tPvRmT2_T3_T4_T5_mT6_T7_P12ihipStream_tbENKUlT_T0_E_clISt17integral_constantIbLb0EESZ_EEDaSU_SV_EUlSU_E_NS1_11comp_targetILNS1_3genE10ELNS1_11target_archE1200ELNS1_3gpuE4ELNS1_3repE0EEENS1_30default_config_static_selectorELNS0_4arch9wavefront6targetE1EEEvT1_ ; -- Begin function _ZN7rocprim17ROCPRIM_400000_NS6detail17trampoline_kernelINS0_14default_configENS1_27scan_by_key_config_selectorIiiEEZZNS1_16scan_by_key_implILNS1_25lookback_scan_determinismE0ELb0ES3_N6thrust23THRUST_200600_302600_NS6detail15normal_iteratorINS9_10device_ptrIiEEEESE_SE_iNS9_10multipliesIiEENS9_8equal_toIiEEiEE10hipError_tPvRmT2_T3_T4_T5_mT6_T7_P12ihipStream_tbENKUlT_T0_E_clISt17integral_constantIbLb0EESZ_EEDaSU_SV_EUlSU_E_NS1_11comp_targetILNS1_3genE10ELNS1_11target_archE1200ELNS1_3gpuE4ELNS1_3repE0EEENS1_30default_config_static_selectorELNS0_4arch9wavefront6targetE1EEEvT1_
	.globl	_ZN7rocprim17ROCPRIM_400000_NS6detail17trampoline_kernelINS0_14default_configENS1_27scan_by_key_config_selectorIiiEEZZNS1_16scan_by_key_implILNS1_25lookback_scan_determinismE0ELb0ES3_N6thrust23THRUST_200600_302600_NS6detail15normal_iteratorINS9_10device_ptrIiEEEESE_SE_iNS9_10multipliesIiEENS9_8equal_toIiEEiEE10hipError_tPvRmT2_T3_T4_T5_mT6_T7_P12ihipStream_tbENKUlT_T0_E_clISt17integral_constantIbLb0EESZ_EEDaSU_SV_EUlSU_E_NS1_11comp_targetILNS1_3genE10ELNS1_11target_archE1200ELNS1_3gpuE4ELNS1_3repE0EEENS1_30default_config_static_selectorELNS0_4arch9wavefront6targetE1EEEvT1_
	.p2align	8
	.type	_ZN7rocprim17ROCPRIM_400000_NS6detail17trampoline_kernelINS0_14default_configENS1_27scan_by_key_config_selectorIiiEEZZNS1_16scan_by_key_implILNS1_25lookback_scan_determinismE0ELb0ES3_N6thrust23THRUST_200600_302600_NS6detail15normal_iteratorINS9_10device_ptrIiEEEESE_SE_iNS9_10multipliesIiEENS9_8equal_toIiEEiEE10hipError_tPvRmT2_T3_T4_T5_mT6_T7_P12ihipStream_tbENKUlT_T0_E_clISt17integral_constantIbLb0EESZ_EEDaSU_SV_EUlSU_E_NS1_11comp_targetILNS1_3genE10ELNS1_11target_archE1200ELNS1_3gpuE4ELNS1_3repE0EEENS1_30default_config_static_selectorELNS0_4arch9wavefront6targetE1EEEvT1_,@function
_ZN7rocprim17ROCPRIM_400000_NS6detail17trampoline_kernelINS0_14default_configENS1_27scan_by_key_config_selectorIiiEEZZNS1_16scan_by_key_implILNS1_25lookback_scan_determinismE0ELb0ES3_N6thrust23THRUST_200600_302600_NS6detail15normal_iteratorINS9_10device_ptrIiEEEESE_SE_iNS9_10multipliesIiEENS9_8equal_toIiEEiEE10hipError_tPvRmT2_T3_T4_T5_mT6_T7_P12ihipStream_tbENKUlT_T0_E_clISt17integral_constantIbLb0EESZ_EEDaSU_SV_EUlSU_E_NS1_11comp_targetILNS1_3genE10ELNS1_11target_archE1200ELNS1_3gpuE4ELNS1_3repE0EEENS1_30default_config_static_selectorELNS0_4arch9wavefront6targetE1EEEvT1_: ; @_ZN7rocprim17ROCPRIM_400000_NS6detail17trampoline_kernelINS0_14default_configENS1_27scan_by_key_config_selectorIiiEEZZNS1_16scan_by_key_implILNS1_25lookback_scan_determinismE0ELb0ES3_N6thrust23THRUST_200600_302600_NS6detail15normal_iteratorINS9_10device_ptrIiEEEESE_SE_iNS9_10multipliesIiEENS9_8equal_toIiEEiEE10hipError_tPvRmT2_T3_T4_T5_mT6_T7_P12ihipStream_tbENKUlT_T0_E_clISt17integral_constantIbLb0EESZ_EEDaSU_SV_EUlSU_E_NS1_11comp_targetILNS1_3genE10ELNS1_11target_archE1200ELNS1_3gpuE4ELNS1_3repE0EEENS1_30default_config_static_selectorELNS0_4arch9wavefront6targetE1EEEvT1_
; %bb.0:
	.section	.rodata,"a",@progbits
	.p2align	6, 0x0
	.amdhsa_kernel _ZN7rocprim17ROCPRIM_400000_NS6detail17trampoline_kernelINS0_14default_configENS1_27scan_by_key_config_selectorIiiEEZZNS1_16scan_by_key_implILNS1_25lookback_scan_determinismE0ELb0ES3_N6thrust23THRUST_200600_302600_NS6detail15normal_iteratorINS9_10device_ptrIiEEEESE_SE_iNS9_10multipliesIiEENS9_8equal_toIiEEiEE10hipError_tPvRmT2_T3_T4_T5_mT6_T7_P12ihipStream_tbENKUlT_T0_E_clISt17integral_constantIbLb0EESZ_EEDaSU_SV_EUlSU_E_NS1_11comp_targetILNS1_3genE10ELNS1_11target_archE1200ELNS1_3gpuE4ELNS1_3repE0EEENS1_30default_config_static_selectorELNS0_4arch9wavefront6targetE1EEEvT1_
		.amdhsa_group_segment_fixed_size 0
		.amdhsa_private_segment_fixed_size 0
		.amdhsa_kernarg_size 112
		.amdhsa_user_sgpr_count 6
		.amdhsa_user_sgpr_private_segment_buffer 1
		.amdhsa_user_sgpr_dispatch_ptr 0
		.amdhsa_user_sgpr_queue_ptr 0
		.amdhsa_user_sgpr_kernarg_segment_ptr 1
		.amdhsa_user_sgpr_dispatch_id 0
		.amdhsa_user_sgpr_flat_scratch_init 0
		.amdhsa_user_sgpr_kernarg_preload_length 0
		.amdhsa_user_sgpr_kernarg_preload_offset 0
		.amdhsa_user_sgpr_private_segment_size 0
		.amdhsa_uses_dynamic_stack 0
		.amdhsa_system_sgpr_private_segment_wavefront_offset 0
		.amdhsa_system_sgpr_workgroup_id_x 1
		.amdhsa_system_sgpr_workgroup_id_y 0
		.amdhsa_system_sgpr_workgroup_id_z 0
		.amdhsa_system_sgpr_workgroup_info 0
		.amdhsa_system_vgpr_workitem_id 0
		.amdhsa_next_free_vgpr 1
		.amdhsa_next_free_sgpr 0
		.amdhsa_accum_offset 4
		.amdhsa_reserve_vcc 0
		.amdhsa_reserve_flat_scratch 0
		.amdhsa_float_round_mode_32 0
		.amdhsa_float_round_mode_16_64 0
		.amdhsa_float_denorm_mode_32 3
		.amdhsa_float_denorm_mode_16_64 3
		.amdhsa_dx10_clamp 1
		.amdhsa_ieee_mode 1
		.amdhsa_fp16_overflow 0
		.amdhsa_tg_split 0
		.amdhsa_exception_fp_ieee_invalid_op 0
		.amdhsa_exception_fp_denorm_src 0
		.amdhsa_exception_fp_ieee_div_zero 0
		.amdhsa_exception_fp_ieee_overflow 0
		.amdhsa_exception_fp_ieee_underflow 0
		.amdhsa_exception_fp_ieee_inexact 0
		.amdhsa_exception_int_div_zero 0
	.end_amdhsa_kernel
	.section	.text._ZN7rocprim17ROCPRIM_400000_NS6detail17trampoline_kernelINS0_14default_configENS1_27scan_by_key_config_selectorIiiEEZZNS1_16scan_by_key_implILNS1_25lookback_scan_determinismE0ELb0ES3_N6thrust23THRUST_200600_302600_NS6detail15normal_iteratorINS9_10device_ptrIiEEEESE_SE_iNS9_10multipliesIiEENS9_8equal_toIiEEiEE10hipError_tPvRmT2_T3_T4_T5_mT6_T7_P12ihipStream_tbENKUlT_T0_E_clISt17integral_constantIbLb0EESZ_EEDaSU_SV_EUlSU_E_NS1_11comp_targetILNS1_3genE10ELNS1_11target_archE1200ELNS1_3gpuE4ELNS1_3repE0EEENS1_30default_config_static_selectorELNS0_4arch9wavefront6targetE1EEEvT1_,"axG",@progbits,_ZN7rocprim17ROCPRIM_400000_NS6detail17trampoline_kernelINS0_14default_configENS1_27scan_by_key_config_selectorIiiEEZZNS1_16scan_by_key_implILNS1_25lookback_scan_determinismE0ELb0ES3_N6thrust23THRUST_200600_302600_NS6detail15normal_iteratorINS9_10device_ptrIiEEEESE_SE_iNS9_10multipliesIiEENS9_8equal_toIiEEiEE10hipError_tPvRmT2_T3_T4_T5_mT6_T7_P12ihipStream_tbENKUlT_T0_E_clISt17integral_constantIbLb0EESZ_EEDaSU_SV_EUlSU_E_NS1_11comp_targetILNS1_3genE10ELNS1_11target_archE1200ELNS1_3gpuE4ELNS1_3repE0EEENS1_30default_config_static_selectorELNS0_4arch9wavefront6targetE1EEEvT1_,comdat
.Lfunc_end170:
	.size	_ZN7rocprim17ROCPRIM_400000_NS6detail17trampoline_kernelINS0_14default_configENS1_27scan_by_key_config_selectorIiiEEZZNS1_16scan_by_key_implILNS1_25lookback_scan_determinismE0ELb0ES3_N6thrust23THRUST_200600_302600_NS6detail15normal_iteratorINS9_10device_ptrIiEEEESE_SE_iNS9_10multipliesIiEENS9_8equal_toIiEEiEE10hipError_tPvRmT2_T3_T4_T5_mT6_T7_P12ihipStream_tbENKUlT_T0_E_clISt17integral_constantIbLb0EESZ_EEDaSU_SV_EUlSU_E_NS1_11comp_targetILNS1_3genE10ELNS1_11target_archE1200ELNS1_3gpuE4ELNS1_3repE0EEENS1_30default_config_static_selectorELNS0_4arch9wavefront6targetE1EEEvT1_, .Lfunc_end170-_ZN7rocprim17ROCPRIM_400000_NS6detail17trampoline_kernelINS0_14default_configENS1_27scan_by_key_config_selectorIiiEEZZNS1_16scan_by_key_implILNS1_25lookback_scan_determinismE0ELb0ES3_N6thrust23THRUST_200600_302600_NS6detail15normal_iteratorINS9_10device_ptrIiEEEESE_SE_iNS9_10multipliesIiEENS9_8equal_toIiEEiEE10hipError_tPvRmT2_T3_T4_T5_mT6_T7_P12ihipStream_tbENKUlT_T0_E_clISt17integral_constantIbLb0EESZ_EEDaSU_SV_EUlSU_E_NS1_11comp_targetILNS1_3genE10ELNS1_11target_archE1200ELNS1_3gpuE4ELNS1_3repE0EEENS1_30default_config_static_selectorELNS0_4arch9wavefront6targetE1EEEvT1_
                                        ; -- End function
	.section	.AMDGPU.csdata,"",@progbits
; Kernel info:
; codeLenInByte = 0
; NumSgprs: 4
; NumVgprs: 0
; NumAgprs: 0
; TotalNumVgprs: 0
; ScratchSize: 0
; MemoryBound: 0
; FloatMode: 240
; IeeeMode: 1
; LDSByteSize: 0 bytes/workgroup (compile time only)
; SGPRBlocks: 0
; VGPRBlocks: 0
; NumSGPRsForWavesPerEU: 4
; NumVGPRsForWavesPerEU: 1
; AccumOffset: 4
; Occupancy: 8
; WaveLimiterHint : 0
; COMPUTE_PGM_RSRC2:SCRATCH_EN: 0
; COMPUTE_PGM_RSRC2:USER_SGPR: 6
; COMPUTE_PGM_RSRC2:TRAP_HANDLER: 0
; COMPUTE_PGM_RSRC2:TGID_X_EN: 1
; COMPUTE_PGM_RSRC2:TGID_Y_EN: 0
; COMPUTE_PGM_RSRC2:TGID_Z_EN: 0
; COMPUTE_PGM_RSRC2:TIDIG_COMP_CNT: 0
; COMPUTE_PGM_RSRC3_GFX90A:ACCUM_OFFSET: 0
; COMPUTE_PGM_RSRC3_GFX90A:TG_SPLIT: 0
	.section	.text._ZN7rocprim17ROCPRIM_400000_NS6detail17trampoline_kernelINS0_14default_configENS1_27scan_by_key_config_selectorIiiEEZZNS1_16scan_by_key_implILNS1_25lookback_scan_determinismE0ELb0ES3_N6thrust23THRUST_200600_302600_NS6detail15normal_iteratorINS9_10device_ptrIiEEEESE_SE_iNS9_10multipliesIiEENS9_8equal_toIiEEiEE10hipError_tPvRmT2_T3_T4_T5_mT6_T7_P12ihipStream_tbENKUlT_T0_E_clISt17integral_constantIbLb0EESZ_EEDaSU_SV_EUlSU_E_NS1_11comp_targetILNS1_3genE9ELNS1_11target_archE1100ELNS1_3gpuE3ELNS1_3repE0EEENS1_30default_config_static_selectorELNS0_4arch9wavefront6targetE1EEEvT1_,"axG",@progbits,_ZN7rocprim17ROCPRIM_400000_NS6detail17trampoline_kernelINS0_14default_configENS1_27scan_by_key_config_selectorIiiEEZZNS1_16scan_by_key_implILNS1_25lookback_scan_determinismE0ELb0ES3_N6thrust23THRUST_200600_302600_NS6detail15normal_iteratorINS9_10device_ptrIiEEEESE_SE_iNS9_10multipliesIiEENS9_8equal_toIiEEiEE10hipError_tPvRmT2_T3_T4_T5_mT6_T7_P12ihipStream_tbENKUlT_T0_E_clISt17integral_constantIbLb0EESZ_EEDaSU_SV_EUlSU_E_NS1_11comp_targetILNS1_3genE9ELNS1_11target_archE1100ELNS1_3gpuE3ELNS1_3repE0EEENS1_30default_config_static_selectorELNS0_4arch9wavefront6targetE1EEEvT1_,comdat
	.protected	_ZN7rocprim17ROCPRIM_400000_NS6detail17trampoline_kernelINS0_14default_configENS1_27scan_by_key_config_selectorIiiEEZZNS1_16scan_by_key_implILNS1_25lookback_scan_determinismE0ELb0ES3_N6thrust23THRUST_200600_302600_NS6detail15normal_iteratorINS9_10device_ptrIiEEEESE_SE_iNS9_10multipliesIiEENS9_8equal_toIiEEiEE10hipError_tPvRmT2_T3_T4_T5_mT6_T7_P12ihipStream_tbENKUlT_T0_E_clISt17integral_constantIbLb0EESZ_EEDaSU_SV_EUlSU_E_NS1_11comp_targetILNS1_3genE9ELNS1_11target_archE1100ELNS1_3gpuE3ELNS1_3repE0EEENS1_30default_config_static_selectorELNS0_4arch9wavefront6targetE1EEEvT1_ ; -- Begin function _ZN7rocprim17ROCPRIM_400000_NS6detail17trampoline_kernelINS0_14default_configENS1_27scan_by_key_config_selectorIiiEEZZNS1_16scan_by_key_implILNS1_25lookback_scan_determinismE0ELb0ES3_N6thrust23THRUST_200600_302600_NS6detail15normal_iteratorINS9_10device_ptrIiEEEESE_SE_iNS9_10multipliesIiEENS9_8equal_toIiEEiEE10hipError_tPvRmT2_T3_T4_T5_mT6_T7_P12ihipStream_tbENKUlT_T0_E_clISt17integral_constantIbLb0EESZ_EEDaSU_SV_EUlSU_E_NS1_11comp_targetILNS1_3genE9ELNS1_11target_archE1100ELNS1_3gpuE3ELNS1_3repE0EEENS1_30default_config_static_selectorELNS0_4arch9wavefront6targetE1EEEvT1_
	.globl	_ZN7rocprim17ROCPRIM_400000_NS6detail17trampoline_kernelINS0_14default_configENS1_27scan_by_key_config_selectorIiiEEZZNS1_16scan_by_key_implILNS1_25lookback_scan_determinismE0ELb0ES3_N6thrust23THRUST_200600_302600_NS6detail15normal_iteratorINS9_10device_ptrIiEEEESE_SE_iNS9_10multipliesIiEENS9_8equal_toIiEEiEE10hipError_tPvRmT2_T3_T4_T5_mT6_T7_P12ihipStream_tbENKUlT_T0_E_clISt17integral_constantIbLb0EESZ_EEDaSU_SV_EUlSU_E_NS1_11comp_targetILNS1_3genE9ELNS1_11target_archE1100ELNS1_3gpuE3ELNS1_3repE0EEENS1_30default_config_static_selectorELNS0_4arch9wavefront6targetE1EEEvT1_
	.p2align	8
	.type	_ZN7rocprim17ROCPRIM_400000_NS6detail17trampoline_kernelINS0_14default_configENS1_27scan_by_key_config_selectorIiiEEZZNS1_16scan_by_key_implILNS1_25lookback_scan_determinismE0ELb0ES3_N6thrust23THRUST_200600_302600_NS6detail15normal_iteratorINS9_10device_ptrIiEEEESE_SE_iNS9_10multipliesIiEENS9_8equal_toIiEEiEE10hipError_tPvRmT2_T3_T4_T5_mT6_T7_P12ihipStream_tbENKUlT_T0_E_clISt17integral_constantIbLb0EESZ_EEDaSU_SV_EUlSU_E_NS1_11comp_targetILNS1_3genE9ELNS1_11target_archE1100ELNS1_3gpuE3ELNS1_3repE0EEENS1_30default_config_static_selectorELNS0_4arch9wavefront6targetE1EEEvT1_,@function
_ZN7rocprim17ROCPRIM_400000_NS6detail17trampoline_kernelINS0_14default_configENS1_27scan_by_key_config_selectorIiiEEZZNS1_16scan_by_key_implILNS1_25lookback_scan_determinismE0ELb0ES3_N6thrust23THRUST_200600_302600_NS6detail15normal_iteratorINS9_10device_ptrIiEEEESE_SE_iNS9_10multipliesIiEENS9_8equal_toIiEEiEE10hipError_tPvRmT2_T3_T4_T5_mT6_T7_P12ihipStream_tbENKUlT_T0_E_clISt17integral_constantIbLb0EESZ_EEDaSU_SV_EUlSU_E_NS1_11comp_targetILNS1_3genE9ELNS1_11target_archE1100ELNS1_3gpuE3ELNS1_3repE0EEENS1_30default_config_static_selectorELNS0_4arch9wavefront6targetE1EEEvT1_: ; @_ZN7rocprim17ROCPRIM_400000_NS6detail17trampoline_kernelINS0_14default_configENS1_27scan_by_key_config_selectorIiiEEZZNS1_16scan_by_key_implILNS1_25lookback_scan_determinismE0ELb0ES3_N6thrust23THRUST_200600_302600_NS6detail15normal_iteratorINS9_10device_ptrIiEEEESE_SE_iNS9_10multipliesIiEENS9_8equal_toIiEEiEE10hipError_tPvRmT2_T3_T4_T5_mT6_T7_P12ihipStream_tbENKUlT_T0_E_clISt17integral_constantIbLb0EESZ_EEDaSU_SV_EUlSU_E_NS1_11comp_targetILNS1_3genE9ELNS1_11target_archE1100ELNS1_3gpuE3ELNS1_3repE0EEENS1_30default_config_static_selectorELNS0_4arch9wavefront6targetE1EEEvT1_
; %bb.0:
	.section	.rodata,"a",@progbits
	.p2align	6, 0x0
	.amdhsa_kernel _ZN7rocprim17ROCPRIM_400000_NS6detail17trampoline_kernelINS0_14default_configENS1_27scan_by_key_config_selectorIiiEEZZNS1_16scan_by_key_implILNS1_25lookback_scan_determinismE0ELb0ES3_N6thrust23THRUST_200600_302600_NS6detail15normal_iteratorINS9_10device_ptrIiEEEESE_SE_iNS9_10multipliesIiEENS9_8equal_toIiEEiEE10hipError_tPvRmT2_T3_T4_T5_mT6_T7_P12ihipStream_tbENKUlT_T0_E_clISt17integral_constantIbLb0EESZ_EEDaSU_SV_EUlSU_E_NS1_11comp_targetILNS1_3genE9ELNS1_11target_archE1100ELNS1_3gpuE3ELNS1_3repE0EEENS1_30default_config_static_selectorELNS0_4arch9wavefront6targetE1EEEvT1_
		.amdhsa_group_segment_fixed_size 0
		.amdhsa_private_segment_fixed_size 0
		.amdhsa_kernarg_size 112
		.amdhsa_user_sgpr_count 6
		.amdhsa_user_sgpr_private_segment_buffer 1
		.amdhsa_user_sgpr_dispatch_ptr 0
		.amdhsa_user_sgpr_queue_ptr 0
		.amdhsa_user_sgpr_kernarg_segment_ptr 1
		.amdhsa_user_sgpr_dispatch_id 0
		.amdhsa_user_sgpr_flat_scratch_init 0
		.amdhsa_user_sgpr_kernarg_preload_length 0
		.amdhsa_user_sgpr_kernarg_preload_offset 0
		.amdhsa_user_sgpr_private_segment_size 0
		.amdhsa_uses_dynamic_stack 0
		.amdhsa_system_sgpr_private_segment_wavefront_offset 0
		.amdhsa_system_sgpr_workgroup_id_x 1
		.amdhsa_system_sgpr_workgroup_id_y 0
		.amdhsa_system_sgpr_workgroup_id_z 0
		.amdhsa_system_sgpr_workgroup_info 0
		.amdhsa_system_vgpr_workitem_id 0
		.amdhsa_next_free_vgpr 1
		.amdhsa_next_free_sgpr 0
		.amdhsa_accum_offset 4
		.amdhsa_reserve_vcc 0
		.amdhsa_reserve_flat_scratch 0
		.amdhsa_float_round_mode_32 0
		.amdhsa_float_round_mode_16_64 0
		.amdhsa_float_denorm_mode_32 3
		.amdhsa_float_denorm_mode_16_64 3
		.amdhsa_dx10_clamp 1
		.amdhsa_ieee_mode 1
		.amdhsa_fp16_overflow 0
		.amdhsa_tg_split 0
		.amdhsa_exception_fp_ieee_invalid_op 0
		.amdhsa_exception_fp_denorm_src 0
		.amdhsa_exception_fp_ieee_div_zero 0
		.amdhsa_exception_fp_ieee_overflow 0
		.amdhsa_exception_fp_ieee_underflow 0
		.amdhsa_exception_fp_ieee_inexact 0
		.amdhsa_exception_int_div_zero 0
	.end_amdhsa_kernel
	.section	.text._ZN7rocprim17ROCPRIM_400000_NS6detail17trampoline_kernelINS0_14default_configENS1_27scan_by_key_config_selectorIiiEEZZNS1_16scan_by_key_implILNS1_25lookback_scan_determinismE0ELb0ES3_N6thrust23THRUST_200600_302600_NS6detail15normal_iteratorINS9_10device_ptrIiEEEESE_SE_iNS9_10multipliesIiEENS9_8equal_toIiEEiEE10hipError_tPvRmT2_T3_T4_T5_mT6_T7_P12ihipStream_tbENKUlT_T0_E_clISt17integral_constantIbLb0EESZ_EEDaSU_SV_EUlSU_E_NS1_11comp_targetILNS1_3genE9ELNS1_11target_archE1100ELNS1_3gpuE3ELNS1_3repE0EEENS1_30default_config_static_selectorELNS0_4arch9wavefront6targetE1EEEvT1_,"axG",@progbits,_ZN7rocprim17ROCPRIM_400000_NS6detail17trampoline_kernelINS0_14default_configENS1_27scan_by_key_config_selectorIiiEEZZNS1_16scan_by_key_implILNS1_25lookback_scan_determinismE0ELb0ES3_N6thrust23THRUST_200600_302600_NS6detail15normal_iteratorINS9_10device_ptrIiEEEESE_SE_iNS9_10multipliesIiEENS9_8equal_toIiEEiEE10hipError_tPvRmT2_T3_T4_T5_mT6_T7_P12ihipStream_tbENKUlT_T0_E_clISt17integral_constantIbLb0EESZ_EEDaSU_SV_EUlSU_E_NS1_11comp_targetILNS1_3genE9ELNS1_11target_archE1100ELNS1_3gpuE3ELNS1_3repE0EEENS1_30default_config_static_selectorELNS0_4arch9wavefront6targetE1EEEvT1_,comdat
.Lfunc_end171:
	.size	_ZN7rocprim17ROCPRIM_400000_NS6detail17trampoline_kernelINS0_14default_configENS1_27scan_by_key_config_selectorIiiEEZZNS1_16scan_by_key_implILNS1_25lookback_scan_determinismE0ELb0ES3_N6thrust23THRUST_200600_302600_NS6detail15normal_iteratorINS9_10device_ptrIiEEEESE_SE_iNS9_10multipliesIiEENS9_8equal_toIiEEiEE10hipError_tPvRmT2_T3_T4_T5_mT6_T7_P12ihipStream_tbENKUlT_T0_E_clISt17integral_constantIbLb0EESZ_EEDaSU_SV_EUlSU_E_NS1_11comp_targetILNS1_3genE9ELNS1_11target_archE1100ELNS1_3gpuE3ELNS1_3repE0EEENS1_30default_config_static_selectorELNS0_4arch9wavefront6targetE1EEEvT1_, .Lfunc_end171-_ZN7rocprim17ROCPRIM_400000_NS6detail17trampoline_kernelINS0_14default_configENS1_27scan_by_key_config_selectorIiiEEZZNS1_16scan_by_key_implILNS1_25lookback_scan_determinismE0ELb0ES3_N6thrust23THRUST_200600_302600_NS6detail15normal_iteratorINS9_10device_ptrIiEEEESE_SE_iNS9_10multipliesIiEENS9_8equal_toIiEEiEE10hipError_tPvRmT2_T3_T4_T5_mT6_T7_P12ihipStream_tbENKUlT_T0_E_clISt17integral_constantIbLb0EESZ_EEDaSU_SV_EUlSU_E_NS1_11comp_targetILNS1_3genE9ELNS1_11target_archE1100ELNS1_3gpuE3ELNS1_3repE0EEENS1_30default_config_static_selectorELNS0_4arch9wavefront6targetE1EEEvT1_
                                        ; -- End function
	.section	.AMDGPU.csdata,"",@progbits
; Kernel info:
; codeLenInByte = 0
; NumSgprs: 4
; NumVgprs: 0
; NumAgprs: 0
; TotalNumVgprs: 0
; ScratchSize: 0
; MemoryBound: 0
; FloatMode: 240
; IeeeMode: 1
; LDSByteSize: 0 bytes/workgroup (compile time only)
; SGPRBlocks: 0
; VGPRBlocks: 0
; NumSGPRsForWavesPerEU: 4
; NumVGPRsForWavesPerEU: 1
; AccumOffset: 4
; Occupancy: 8
; WaveLimiterHint : 0
; COMPUTE_PGM_RSRC2:SCRATCH_EN: 0
; COMPUTE_PGM_RSRC2:USER_SGPR: 6
; COMPUTE_PGM_RSRC2:TRAP_HANDLER: 0
; COMPUTE_PGM_RSRC2:TGID_X_EN: 1
; COMPUTE_PGM_RSRC2:TGID_Y_EN: 0
; COMPUTE_PGM_RSRC2:TGID_Z_EN: 0
; COMPUTE_PGM_RSRC2:TIDIG_COMP_CNT: 0
; COMPUTE_PGM_RSRC3_GFX90A:ACCUM_OFFSET: 0
; COMPUTE_PGM_RSRC3_GFX90A:TG_SPLIT: 0
	.section	.text._ZN7rocprim17ROCPRIM_400000_NS6detail17trampoline_kernelINS0_14default_configENS1_27scan_by_key_config_selectorIiiEEZZNS1_16scan_by_key_implILNS1_25lookback_scan_determinismE0ELb0ES3_N6thrust23THRUST_200600_302600_NS6detail15normal_iteratorINS9_10device_ptrIiEEEESE_SE_iNS9_10multipliesIiEENS9_8equal_toIiEEiEE10hipError_tPvRmT2_T3_T4_T5_mT6_T7_P12ihipStream_tbENKUlT_T0_E_clISt17integral_constantIbLb0EESZ_EEDaSU_SV_EUlSU_E_NS1_11comp_targetILNS1_3genE8ELNS1_11target_archE1030ELNS1_3gpuE2ELNS1_3repE0EEENS1_30default_config_static_selectorELNS0_4arch9wavefront6targetE1EEEvT1_,"axG",@progbits,_ZN7rocprim17ROCPRIM_400000_NS6detail17trampoline_kernelINS0_14default_configENS1_27scan_by_key_config_selectorIiiEEZZNS1_16scan_by_key_implILNS1_25lookback_scan_determinismE0ELb0ES3_N6thrust23THRUST_200600_302600_NS6detail15normal_iteratorINS9_10device_ptrIiEEEESE_SE_iNS9_10multipliesIiEENS9_8equal_toIiEEiEE10hipError_tPvRmT2_T3_T4_T5_mT6_T7_P12ihipStream_tbENKUlT_T0_E_clISt17integral_constantIbLb0EESZ_EEDaSU_SV_EUlSU_E_NS1_11comp_targetILNS1_3genE8ELNS1_11target_archE1030ELNS1_3gpuE2ELNS1_3repE0EEENS1_30default_config_static_selectorELNS0_4arch9wavefront6targetE1EEEvT1_,comdat
	.protected	_ZN7rocprim17ROCPRIM_400000_NS6detail17trampoline_kernelINS0_14default_configENS1_27scan_by_key_config_selectorIiiEEZZNS1_16scan_by_key_implILNS1_25lookback_scan_determinismE0ELb0ES3_N6thrust23THRUST_200600_302600_NS6detail15normal_iteratorINS9_10device_ptrIiEEEESE_SE_iNS9_10multipliesIiEENS9_8equal_toIiEEiEE10hipError_tPvRmT2_T3_T4_T5_mT6_T7_P12ihipStream_tbENKUlT_T0_E_clISt17integral_constantIbLb0EESZ_EEDaSU_SV_EUlSU_E_NS1_11comp_targetILNS1_3genE8ELNS1_11target_archE1030ELNS1_3gpuE2ELNS1_3repE0EEENS1_30default_config_static_selectorELNS0_4arch9wavefront6targetE1EEEvT1_ ; -- Begin function _ZN7rocprim17ROCPRIM_400000_NS6detail17trampoline_kernelINS0_14default_configENS1_27scan_by_key_config_selectorIiiEEZZNS1_16scan_by_key_implILNS1_25lookback_scan_determinismE0ELb0ES3_N6thrust23THRUST_200600_302600_NS6detail15normal_iteratorINS9_10device_ptrIiEEEESE_SE_iNS9_10multipliesIiEENS9_8equal_toIiEEiEE10hipError_tPvRmT2_T3_T4_T5_mT6_T7_P12ihipStream_tbENKUlT_T0_E_clISt17integral_constantIbLb0EESZ_EEDaSU_SV_EUlSU_E_NS1_11comp_targetILNS1_3genE8ELNS1_11target_archE1030ELNS1_3gpuE2ELNS1_3repE0EEENS1_30default_config_static_selectorELNS0_4arch9wavefront6targetE1EEEvT1_
	.globl	_ZN7rocprim17ROCPRIM_400000_NS6detail17trampoline_kernelINS0_14default_configENS1_27scan_by_key_config_selectorIiiEEZZNS1_16scan_by_key_implILNS1_25lookback_scan_determinismE0ELb0ES3_N6thrust23THRUST_200600_302600_NS6detail15normal_iteratorINS9_10device_ptrIiEEEESE_SE_iNS9_10multipliesIiEENS9_8equal_toIiEEiEE10hipError_tPvRmT2_T3_T4_T5_mT6_T7_P12ihipStream_tbENKUlT_T0_E_clISt17integral_constantIbLb0EESZ_EEDaSU_SV_EUlSU_E_NS1_11comp_targetILNS1_3genE8ELNS1_11target_archE1030ELNS1_3gpuE2ELNS1_3repE0EEENS1_30default_config_static_selectorELNS0_4arch9wavefront6targetE1EEEvT1_
	.p2align	8
	.type	_ZN7rocprim17ROCPRIM_400000_NS6detail17trampoline_kernelINS0_14default_configENS1_27scan_by_key_config_selectorIiiEEZZNS1_16scan_by_key_implILNS1_25lookback_scan_determinismE0ELb0ES3_N6thrust23THRUST_200600_302600_NS6detail15normal_iteratorINS9_10device_ptrIiEEEESE_SE_iNS9_10multipliesIiEENS9_8equal_toIiEEiEE10hipError_tPvRmT2_T3_T4_T5_mT6_T7_P12ihipStream_tbENKUlT_T0_E_clISt17integral_constantIbLb0EESZ_EEDaSU_SV_EUlSU_E_NS1_11comp_targetILNS1_3genE8ELNS1_11target_archE1030ELNS1_3gpuE2ELNS1_3repE0EEENS1_30default_config_static_selectorELNS0_4arch9wavefront6targetE1EEEvT1_,@function
_ZN7rocprim17ROCPRIM_400000_NS6detail17trampoline_kernelINS0_14default_configENS1_27scan_by_key_config_selectorIiiEEZZNS1_16scan_by_key_implILNS1_25lookback_scan_determinismE0ELb0ES3_N6thrust23THRUST_200600_302600_NS6detail15normal_iteratorINS9_10device_ptrIiEEEESE_SE_iNS9_10multipliesIiEENS9_8equal_toIiEEiEE10hipError_tPvRmT2_T3_T4_T5_mT6_T7_P12ihipStream_tbENKUlT_T0_E_clISt17integral_constantIbLb0EESZ_EEDaSU_SV_EUlSU_E_NS1_11comp_targetILNS1_3genE8ELNS1_11target_archE1030ELNS1_3gpuE2ELNS1_3repE0EEENS1_30default_config_static_selectorELNS0_4arch9wavefront6targetE1EEEvT1_: ; @_ZN7rocprim17ROCPRIM_400000_NS6detail17trampoline_kernelINS0_14default_configENS1_27scan_by_key_config_selectorIiiEEZZNS1_16scan_by_key_implILNS1_25lookback_scan_determinismE0ELb0ES3_N6thrust23THRUST_200600_302600_NS6detail15normal_iteratorINS9_10device_ptrIiEEEESE_SE_iNS9_10multipliesIiEENS9_8equal_toIiEEiEE10hipError_tPvRmT2_T3_T4_T5_mT6_T7_P12ihipStream_tbENKUlT_T0_E_clISt17integral_constantIbLb0EESZ_EEDaSU_SV_EUlSU_E_NS1_11comp_targetILNS1_3genE8ELNS1_11target_archE1030ELNS1_3gpuE2ELNS1_3repE0EEENS1_30default_config_static_selectorELNS0_4arch9wavefront6targetE1EEEvT1_
; %bb.0:
	.section	.rodata,"a",@progbits
	.p2align	6, 0x0
	.amdhsa_kernel _ZN7rocprim17ROCPRIM_400000_NS6detail17trampoline_kernelINS0_14default_configENS1_27scan_by_key_config_selectorIiiEEZZNS1_16scan_by_key_implILNS1_25lookback_scan_determinismE0ELb0ES3_N6thrust23THRUST_200600_302600_NS6detail15normal_iteratorINS9_10device_ptrIiEEEESE_SE_iNS9_10multipliesIiEENS9_8equal_toIiEEiEE10hipError_tPvRmT2_T3_T4_T5_mT6_T7_P12ihipStream_tbENKUlT_T0_E_clISt17integral_constantIbLb0EESZ_EEDaSU_SV_EUlSU_E_NS1_11comp_targetILNS1_3genE8ELNS1_11target_archE1030ELNS1_3gpuE2ELNS1_3repE0EEENS1_30default_config_static_selectorELNS0_4arch9wavefront6targetE1EEEvT1_
		.amdhsa_group_segment_fixed_size 0
		.amdhsa_private_segment_fixed_size 0
		.amdhsa_kernarg_size 112
		.amdhsa_user_sgpr_count 6
		.amdhsa_user_sgpr_private_segment_buffer 1
		.amdhsa_user_sgpr_dispatch_ptr 0
		.amdhsa_user_sgpr_queue_ptr 0
		.amdhsa_user_sgpr_kernarg_segment_ptr 1
		.amdhsa_user_sgpr_dispatch_id 0
		.amdhsa_user_sgpr_flat_scratch_init 0
		.amdhsa_user_sgpr_kernarg_preload_length 0
		.amdhsa_user_sgpr_kernarg_preload_offset 0
		.amdhsa_user_sgpr_private_segment_size 0
		.amdhsa_uses_dynamic_stack 0
		.amdhsa_system_sgpr_private_segment_wavefront_offset 0
		.amdhsa_system_sgpr_workgroup_id_x 1
		.amdhsa_system_sgpr_workgroup_id_y 0
		.amdhsa_system_sgpr_workgroup_id_z 0
		.amdhsa_system_sgpr_workgroup_info 0
		.amdhsa_system_vgpr_workitem_id 0
		.amdhsa_next_free_vgpr 1
		.amdhsa_next_free_sgpr 0
		.amdhsa_accum_offset 4
		.amdhsa_reserve_vcc 0
		.amdhsa_reserve_flat_scratch 0
		.amdhsa_float_round_mode_32 0
		.amdhsa_float_round_mode_16_64 0
		.amdhsa_float_denorm_mode_32 3
		.amdhsa_float_denorm_mode_16_64 3
		.amdhsa_dx10_clamp 1
		.amdhsa_ieee_mode 1
		.amdhsa_fp16_overflow 0
		.amdhsa_tg_split 0
		.amdhsa_exception_fp_ieee_invalid_op 0
		.amdhsa_exception_fp_denorm_src 0
		.amdhsa_exception_fp_ieee_div_zero 0
		.amdhsa_exception_fp_ieee_overflow 0
		.amdhsa_exception_fp_ieee_underflow 0
		.amdhsa_exception_fp_ieee_inexact 0
		.amdhsa_exception_int_div_zero 0
	.end_amdhsa_kernel
	.section	.text._ZN7rocprim17ROCPRIM_400000_NS6detail17trampoline_kernelINS0_14default_configENS1_27scan_by_key_config_selectorIiiEEZZNS1_16scan_by_key_implILNS1_25lookback_scan_determinismE0ELb0ES3_N6thrust23THRUST_200600_302600_NS6detail15normal_iteratorINS9_10device_ptrIiEEEESE_SE_iNS9_10multipliesIiEENS9_8equal_toIiEEiEE10hipError_tPvRmT2_T3_T4_T5_mT6_T7_P12ihipStream_tbENKUlT_T0_E_clISt17integral_constantIbLb0EESZ_EEDaSU_SV_EUlSU_E_NS1_11comp_targetILNS1_3genE8ELNS1_11target_archE1030ELNS1_3gpuE2ELNS1_3repE0EEENS1_30default_config_static_selectorELNS0_4arch9wavefront6targetE1EEEvT1_,"axG",@progbits,_ZN7rocprim17ROCPRIM_400000_NS6detail17trampoline_kernelINS0_14default_configENS1_27scan_by_key_config_selectorIiiEEZZNS1_16scan_by_key_implILNS1_25lookback_scan_determinismE0ELb0ES3_N6thrust23THRUST_200600_302600_NS6detail15normal_iteratorINS9_10device_ptrIiEEEESE_SE_iNS9_10multipliesIiEENS9_8equal_toIiEEiEE10hipError_tPvRmT2_T3_T4_T5_mT6_T7_P12ihipStream_tbENKUlT_T0_E_clISt17integral_constantIbLb0EESZ_EEDaSU_SV_EUlSU_E_NS1_11comp_targetILNS1_3genE8ELNS1_11target_archE1030ELNS1_3gpuE2ELNS1_3repE0EEENS1_30default_config_static_selectorELNS0_4arch9wavefront6targetE1EEEvT1_,comdat
.Lfunc_end172:
	.size	_ZN7rocprim17ROCPRIM_400000_NS6detail17trampoline_kernelINS0_14default_configENS1_27scan_by_key_config_selectorIiiEEZZNS1_16scan_by_key_implILNS1_25lookback_scan_determinismE0ELb0ES3_N6thrust23THRUST_200600_302600_NS6detail15normal_iteratorINS9_10device_ptrIiEEEESE_SE_iNS9_10multipliesIiEENS9_8equal_toIiEEiEE10hipError_tPvRmT2_T3_T4_T5_mT6_T7_P12ihipStream_tbENKUlT_T0_E_clISt17integral_constantIbLb0EESZ_EEDaSU_SV_EUlSU_E_NS1_11comp_targetILNS1_3genE8ELNS1_11target_archE1030ELNS1_3gpuE2ELNS1_3repE0EEENS1_30default_config_static_selectorELNS0_4arch9wavefront6targetE1EEEvT1_, .Lfunc_end172-_ZN7rocprim17ROCPRIM_400000_NS6detail17trampoline_kernelINS0_14default_configENS1_27scan_by_key_config_selectorIiiEEZZNS1_16scan_by_key_implILNS1_25lookback_scan_determinismE0ELb0ES3_N6thrust23THRUST_200600_302600_NS6detail15normal_iteratorINS9_10device_ptrIiEEEESE_SE_iNS9_10multipliesIiEENS9_8equal_toIiEEiEE10hipError_tPvRmT2_T3_T4_T5_mT6_T7_P12ihipStream_tbENKUlT_T0_E_clISt17integral_constantIbLb0EESZ_EEDaSU_SV_EUlSU_E_NS1_11comp_targetILNS1_3genE8ELNS1_11target_archE1030ELNS1_3gpuE2ELNS1_3repE0EEENS1_30default_config_static_selectorELNS0_4arch9wavefront6targetE1EEEvT1_
                                        ; -- End function
	.section	.AMDGPU.csdata,"",@progbits
; Kernel info:
; codeLenInByte = 0
; NumSgprs: 4
; NumVgprs: 0
; NumAgprs: 0
; TotalNumVgprs: 0
; ScratchSize: 0
; MemoryBound: 0
; FloatMode: 240
; IeeeMode: 1
; LDSByteSize: 0 bytes/workgroup (compile time only)
; SGPRBlocks: 0
; VGPRBlocks: 0
; NumSGPRsForWavesPerEU: 4
; NumVGPRsForWavesPerEU: 1
; AccumOffset: 4
; Occupancy: 8
; WaveLimiterHint : 0
; COMPUTE_PGM_RSRC2:SCRATCH_EN: 0
; COMPUTE_PGM_RSRC2:USER_SGPR: 6
; COMPUTE_PGM_RSRC2:TRAP_HANDLER: 0
; COMPUTE_PGM_RSRC2:TGID_X_EN: 1
; COMPUTE_PGM_RSRC2:TGID_Y_EN: 0
; COMPUTE_PGM_RSRC2:TGID_Z_EN: 0
; COMPUTE_PGM_RSRC2:TIDIG_COMP_CNT: 0
; COMPUTE_PGM_RSRC3_GFX90A:ACCUM_OFFSET: 0
; COMPUTE_PGM_RSRC3_GFX90A:TG_SPLIT: 0
	.section	.text._ZN7rocprim17ROCPRIM_400000_NS6detail17trampoline_kernelINS0_14default_configENS1_27scan_by_key_config_selectorIiiEEZZNS1_16scan_by_key_implILNS1_25lookback_scan_determinismE0ELb0ES3_N6thrust23THRUST_200600_302600_NS6detail15normal_iteratorINS9_10device_ptrIiEEEESE_SE_iNS9_10multipliesIiEENS9_8equal_toIiEEiEE10hipError_tPvRmT2_T3_T4_T5_mT6_T7_P12ihipStream_tbENKUlT_T0_E_clISt17integral_constantIbLb1EESZ_EEDaSU_SV_EUlSU_E_NS1_11comp_targetILNS1_3genE0ELNS1_11target_archE4294967295ELNS1_3gpuE0ELNS1_3repE0EEENS1_30default_config_static_selectorELNS0_4arch9wavefront6targetE1EEEvT1_,"axG",@progbits,_ZN7rocprim17ROCPRIM_400000_NS6detail17trampoline_kernelINS0_14default_configENS1_27scan_by_key_config_selectorIiiEEZZNS1_16scan_by_key_implILNS1_25lookback_scan_determinismE0ELb0ES3_N6thrust23THRUST_200600_302600_NS6detail15normal_iteratorINS9_10device_ptrIiEEEESE_SE_iNS9_10multipliesIiEENS9_8equal_toIiEEiEE10hipError_tPvRmT2_T3_T4_T5_mT6_T7_P12ihipStream_tbENKUlT_T0_E_clISt17integral_constantIbLb1EESZ_EEDaSU_SV_EUlSU_E_NS1_11comp_targetILNS1_3genE0ELNS1_11target_archE4294967295ELNS1_3gpuE0ELNS1_3repE0EEENS1_30default_config_static_selectorELNS0_4arch9wavefront6targetE1EEEvT1_,comdat
	.protected	_ZN7rocprim17ROCPRIM_400000_NS6detail17trampoline_kernelINS0_14default_configENS1_27scan_by_key_config_selectorIiiEEZZNS1_16scan_by_key_implILNS1_25lookback_scan_determinismE0ELb0ES3_N6thrust23THRUST_200600_302600_NS6detail15normal_iteratorINS9_10device_ptrIiEEEESE_SE_iNS9_10multipliesIiEENS9_8equal_toIiEEiEE10hipError_tPvRmT2_T3_T4_T5_mT6_T7_P12ihipStream_tbENKUlT_T0_E_clISt17integral_constantIbLb1EESZ_EEDaSU_SV_EUlSU_E_NS1_11comp_targetILNS1_3genE0ELNS1_11target_archE4294967295ELNS1_3gpuE0ELNS1_3repE0EEENS1_30default_config_static_selectorELNS0_4arch9wavefront6targetE1EEEvT1_ ; -- Begin function _ZN7rocprim17ROCPRIM_400000_NS6detail17trampoline_kernelINS0_14default_configENS1_27scan_by_key_config_selectorIiiEEZZNS1_16scan_by_key_implILNS1_25lookback_scan_determinismE0ELb0ES3_N6thrust23THRUST_200600_302600_NS6detail15normal_iteratorINS9_10device_ptrIiEEEESE_SE_iNS9_10multipliesIiEENS9_8equal_toIiEEiEE10hipError_tPvRmT2_T3_T4_T5_mT6_T7_P12ihipStream_tbENKUlT_T0_E_clISt17integral_constantIbLb1EESZ_EEDaSU_SV_EUlSU_E_NS1_11comp_targetILNS1_3genE0ELNS1_11target_archE4294967295ELNS1_3gpuE0ELNS1_3repE0EEENS1_30default_config_static_selectorELNS0_4arch9wavefront6targetE1EEEvT1_
	.globl	_ZN7rocprim17ROCPRIM_400000_NS6detail17trampoline_kernelINS0_14default_configENS1_27scan_by_key_config_selectorIiiEEZZNS1_16scan_by_key_implILNS1_25lookback_scan_determinismE0ELb0ES3_N6thrust23THRUST_200600_302600_NS6detail15normal_iteratorINS9_10device_ptrIiEEEESE_SE_iNS9_10multipliesIiEENS9_8equal_toIiEEiEE10hipError_tPvRmT2_T3_T4_T5_mT6_T7_P12ihipStream_tbENKUlT_T0_E_clISt17integral_constantIbLb1EESZ_EEDaSU_SV_EUlSU_E_NS1_11comp_targetILNS1_3genE0ELNS1_11target_archE4294967295ELNS1_3gpuE0ELNS1_3repE0EEENS1_30default_config_static_selectorELNS0_4arch9wavefront6targetE1EEEvT1_
	.p2align	8
	.type	_ZN7rocprim17ROCPRIM_400000_NS6detail17trampoline_kernelINS0_14default_configENS1_27scan_by_key_config_selectorIiiEEZZNS1_16scan_by_key_implILNS1_25lookback_scan_determinismE0ELb0ES3_N6thrust23THRUST_200600_302600_NS6detail15normal_iteratorINS9_10device_ptrIiEEEESE_SE_iNS9_10multipliesIiEENS9_8equal_toIiEEiEE10hipError_tPvRmT2_T3_T4_T5_mT6_T7_P12ihipStream_tbENKUlT_T0_E_clISt17integral_constantIbLb1EESZ_EEDaSU_SV_EUlSU_E_NS1_11comp_targetILNS1_3genE0ELNS1_11target_archE4294967295ELNS1_3gpuE0ELNS1_3repE0EEENS1_30default_config_static_selectorELNS0_4arch9wavefront6targetE1EEEvT1_,@function
_ZN7rocprim17ROCPRIM_400000_NS6detail17trampoline_kernelINS0_14default_configENS1_27scan_by_key_config_selectorIiiEEZZNS1_16scan_by_key_implILNS1_25lookback_scan_determinismE0ELb0ES3_N6thrust23THRUST_200600_302600_NS6detail15normal_iteratorINS9_10device_ptrIiEEEESE_SE_iNS9_10multipliesIiEENS9_8equal_toIiEEiEE10hipError_tPvRmT2_T3_T4_T5_mT6_T7_P12ihipStream_tbENKUlT_T0_E_clISt17integral_constantIbLb1EESZ_EEDaSU_SV_EUlSU_E_NS1_11comp_targetILNS1_3genE0ELNS1_11target_archE4294967295ELNS1_3gpuE0ELNS1_3repE0EEENS1_30default_config_static_selectorELNS0_4arch9wavefront6targetE1EEEvT1_: ; @_ZN7rocprim17ROCPRIM_400000_NS6detail17trampoline_kernelINS0_14default_configENS1_27scan_by_key_config_selectorIiiEEZZNS1_16scan_by_key_implILNS1_25lookback_scan_determinismE0ELb0ES3_N6thrust23THRUST_200600_302600_NS6detail15normal_iteratorINS9_10device_ptrIiEEEESE_SE_iNS9_10multipliesIiEENS9_8equal_toIiEEiEE10hipError_tPvRmT2_T3_T4_T5_mT6_T7_P12ihipStream_tbENKUlT_T0_E_clISt17integral_constantIbLb1EESZ_EEDaSU_SV_EUlSU_E_NS1_11comp_targetILNS1_3genE0ELNS1_11target_archE4294967295ELNS1_3gpuE0ELNS1_3repE0EEENS1_30default_config_static_selectorELNS0_4arch9wavefront6targetE1EEEvT1_
; %bb.0:
	.section	.rodata,"a",@progbits
	.p2align	6, 0x0
	.amdhsa_kernel _ZN7rocprim17ROCPRIM_400000_NS6detail17trampoline_kernelINS0_14default_configENS1_27scan_by_key_config_selectorIiiEEZZNS1_16scan_by_key_implILNS1_25lookback_scan_determinismE0ELb0ES3_N6thrust23THRUST_200600_302600_NS6detail15normal_iteratorINS9_10device_ptrIiEEEESE_SE_iNS9_10multipliesIiEENS9_8equal_toIiEEiEE10hipError_tPvRmT2_T3_T4_T5_mT6_T7_P12ihipStream_tbENKUlT_T0_E_clISt17integral_constantIbLb1EESZ_EEDaSU_SV_EUlSU_E_NS1_11comp_targetILNS1_3genE0ELNS1_11target_archE4294967295ELNS1_3gpuE0ELNS1_3repE0EEENS1_30default_config_static_selectorELNS0_4arch9wavefront6targetE1EEEvT1_
		.amdhsa_group_segment_fixed_size 0
		.amdhsa_private_segment_fixed_size 0
		.amdhsa_kernarg_size 112
		.amdhsa_user_sgpr_count 6
		.amdhsa_user_sgpr_private_segment_buffer 1
		.amdhsa_user_sgpr_dispatch_ptr 0
		.amdhsa_user_sgpr_queue_ptr 0
		.amdhsa_user_sgpr_kernarg_segment_ptr 1
		.amdhsa_user_sgpr_dispatch_id 0
		.amdhsa_user_sgpr_flat_scratch_init 0
		.amdhsa_user_sgpr_kernarg_preload_length 0
		.amdhsa_user_sgpr_kernarg_preload_offset 0
		.amdhsa_user_sgpr_private_segment_size 0
		.amdhsa_uses_dynamic_stack 0
		.amdhsa_system_sgpr_private_segment_wavefront_offset 0
		.amdhsa_system_sgpr_workgroup_id_x 1
		.amdhsa_system_sgpr_workgroup_id_y 0
		.amdhsa_system_sgpr_workgroup_id_z 0
		.amdhsa_system_sgpr_workgroup_info 0
		.amdhsa_system_vgpr_workitem_id 0
		.amdhsa_next_free_vgpr 1
		.amdhsa_next_free_sgpr 0
		.amdhsa_accum_offset 4
		.amdhsa_reserve_vcc 0
		.amdhsa_reserve_flat_scratch 0
		.amdhsa_float_round_mode_32 0
		.amdhsa_float_round_mode_16_64 0
		.amdhsa_float_denorm_mode_32 3
		.amdhsa_float_denorm_mode_16_64 3
		.amdhsa_dx10_clamp 1
		.amdhsa_ieee_mode 1
		.amdhsa_fp16_overflow 0
		.amdhsa_tg_split 0
		.amdhsa_exception_fp_ieee_invalid_op 0
		.amdhsa_exception_fp_denorm_src 0
		.amdhsa_exception_fp_ieee_div_zero 0
		.amdhsa_exception_fp_ieee_overflow 0
		.amdhsa_exception_fp_ieee_underflow 0
		.amdhsa_exception_fp_ieee_inexact 0
		.amdhsa_exception_int_div_zero 0
	.end_amdhsa_kernel
	.section	.text._ZN7rocprim17ROCPRIM_400000_NS6detail17trampoline_kernelINS0_14default_configENS1_27scan_by_key_config_selectorIiiEEZZNS1_16scan_by_key_implILNS1_25lookback_scan_determinismE0ELb0ES3_N6thrust23THRUST_200600_302600_NS6detail15normal_iteratorINS9_10device_ptrIiEEEESE_SE_iNS9_10multipliesIiEENS9_8equal_toIiEEiEE10hipError_tPvRmT2_T3_T4_T5_mT6_T7_P12ihipStream_tbENKUlT_T0_E_clISt17integral_constantIbLb1EESZ_EEDaSU_SV_EUlSU_E_NS1_11comp_targetILNS1_3genE0ELNS1_11target_archE4294967295ELNS1_3gpuE0ELNS1_3repE0EEENS1_30default_config_static_selectorELNS0_4arch9wavefront6targetE1EEEvT1_,"axG",@progbits,_ZN7rocprim17ROCPRIM_400000_NS6detail17trampoline_kernelINS0_14default_configENS1_27scan_by_key_config_selectorIiiEEZZNS1_16scan_by_key_implILNS1_25lookback_scan_determinismE0ELb0ES3_N6thrust23THRUST_200600_302600_NS6detail15normal_iteratorINS9_10device_ptrIiEEEESE_SE_iNS9_10multipliesIiEENS9_8equal_toIiEEiEE10hipError_tPvRmT2_T3_T4_T5_mT6_T7_P12ihipStream_tbENKUlT_T0_E_clISt17integral_constantIbLb1EESZ_EEDaSU_SV_EUlSU_E_NS1_11comp_targetILNS1_3genE0ELNS1_11target_archE4294967295ELNS1_3gpuE0ELNS1_3repE0EEENS1_30default_config_static_selectorELNS0_4arch9wavefront6targetE1EEEvT1_,comdat
.Lfunc_end173:
	.size	_ZN7rocprim17ROCPRIM_400000_NS6detail17trampoline_kernelINS0_14default_configENS1_27scan_by_key_config_selectorIiiEEZZNS1_16scan_by_key_implILNS1_25lookback_scan_determinismE0ELb0ES3_N6thrust23THRUST_200600_302600_NS6detail15normal_iteratorINS9_10device_ptrIiEEEESE_SE_iNS9_10multipliesIiEENS9_8equal_toIiEEiEE10hipError_tPvRmT2_T3_T4_T5_mT6_T7_P12ihipStream_tbENKUlT_T0_E_clISt17integral_constantIbLb1EESZ_EEDaSU_SV_EUlSU_E_NS1_11comp_targetILNS1_3genE0ELNS1_11target_archE4294967295ELNS1_3gpuE0ELNS1_3repE0EEENS1_30default_config_static_selectorELNS0_4arch9wavefront6targetE1EEEvT1_, .Lfunc_end173-_ZN7rocprim17ROCPRIM_400000_NS6detail17trampoline_kernelINS0_14default_configENS1_27scan_by_key_config_selectorIiiEEZZNS1_16scan_by_key_implILNS1_25lookback_scan_determinismE0ELb0ES3_N6thrust23THRUST_200600_302600_NS6detail15normal_iteratorINS9_10device_ptrIiEEEESE_SE_iNS9_10multipliesIiEENS9_8equal_toIiEEiEE10hipError_tPvRmT2_T3_T4_T5_mT6_T7_P12ihipStream_tbENKUlT_T0_E_clISt17integral_constantIbLb1EESZ_EEDaSU_SV_EUlSU_E_NS1_11comp_targetILNS1_3genE0ELNS1_11target_archE4294967295ELNS1_3gpuE0ELNS1_3repE0EEENS1_30default_config_static_selectorELNS0_4arch9wavefront6targetE1EEEvT1_
                                        ; -- End function
	.section	.AMDGPU.csdata,"",@progbits
; Kernel info:
; codeLenInByte = 0
; NumSgprs: 4
; NumVgprs: 0
; NumAgprs: 0
; TotalNumVgprs: 0
; ScratchSize: 0
; MemoryBound: 0
; FloatMode: 240
; IeeeMode: 1
; LDSByteSize: 0 bytes/workgroup (compile time only)
; SGPRBlocks: 0
; VGPRBlocks: 0
; NumSGPRsForWavesPerEU: 4
; NumVGPRsForWavesPerEU: 1
; AccumOffset: 4
; Occupancy: 8
; WaveLimiterHint : 0
; COMPUTE_PGM_RSRC2:SCRATCH_EN: 0
; COMPUTE_PGM_RSRC2:USER_SGPR: 6
; COMPUTE_PGM_RSRC2:TRAP_HANDLER: 0
; COMPUTE_PGM_RSRC2:TGID_X_EN: 1
; COMPUTE_PGM_RSRC2:TGID_Y_EN: 0
; COMPUTE_PGM_RSRC2:TGID_Z_EN: 0
; COMPUTE_PGM_RSRC2:TIDIG_COMP_CNT: 0
; COMPUTE_PGM_RSRC3_GFX90A:ACCUM_OFFSET: 0
; COMPUTE_PGM_RSRC3_GFX90A:TG_SPLIT: 0
	.section	.text._ZN7rocprim17ROCPRIM_400000_NS6detail17trampoline_kernelINS0_14default_configENS1_27scan_by_key_config_selectorIiiEEZZNS1_16scan_by_key_implILNS1_25lookback_scan_determinismE0ELb0ES3_N6thrust23THRUST_200600_302600_NS6detail15normal_iteratorINS9_10device_ptrIiEEEESE_SE_iNS9_10multipliesIiEENS9_8equal_toIiEEiEE10hipError_tPvRmT2_T3_T4_T5_mT6_T7_P12ihipStream_tbENKUlT_T0_E_clISt17integral_constantIbLb1EESZ_EEDaSU_SV_EUlSU_E_NS1_11comp_targetILNS1_3genE10ELNS1_11target_archE1201ELNS1_3gpuE5ELNS1_3repE0EEENS1_30default_config_static_selectorELNS0_4arch9wavefront6targetE1EEEvT1_,"axG",@progbits,_ZN7rocprim17ROCPRIM_400000_NS6detail17trampoline_kernelINS0_14default_configENS1_27scan_by_key_config_selectorIiiEEZZNS1_16scan_by_key_implILNS1_25lookback_scan_determinismE0ELb0ES3_N6thrust23THRUST_200600_302600_NS6detail15normal_iteratorINS9_10device_ptrIiEEEESE_SE_iNS9_10multipliesIiEENS9_8equal_toIiEEiEE10hipError_tPvRmT2_T3_T4_T5_mT6_T7_P12ihipStream_tbENKUlT_T0_E_clISt17integral_constantIbLb1EESZ_EEDaSU_SV_EUlSU_E_NS1_11comp_targetILNS1_3genE10ELNS1_11target_archE1201ELNS1_3gpuE5ELNS1_3repE0EEENS1_30default_config_static_selectorELNS0_4arch9wavefront6targetE1EEEvT1_,comdat
	.protected	_ZN7rocprim17ROCPRIM_400000_NS6detail17trampoline_kernelINS0_14default_configENS1_27scan_by_key_config_selectorIiiEEZZNS1_16scan_by_key_implILNS1_25lookback_scan_determinismE0ELb0ES3_N6thrust23THRUST_200600_302600_NS6detail15normal_iteratorINS9_10device_ptrIiEEEESE_SE_iNS9_10multipliesIiEENS9_8equal_toIiEEiEE10hipError_tPvRmT2_T3_T4_T5_mT6_T7_P12ihipStream_tbENKUlT_T0_E_clISt17integral_constantIbLb1EESZ_EEDaSU_SV_EUlSU_E_NS1_11comp_targetILNS1_3genE10ELNS1_11target_archE1201ELNS1_3gpuE5ELNS1_3repE0EEENS1_30default_config_static_selectorELNS0_4arch9wavefront6targetE1EEEvT1_ ; -- Begin function _ZN7rocprim17ROCPRIM_400000_NS6detail17trampoline_kernelINS0_14default_configENS1_27scan_by_key_config_selectorIiiEEZZNS1_16scan_by_key_implILNS1_25lookback_scan_determinismE0ELb0ES3_N6thrust23THRUST_200600_302600_NS6detail15normal_iteratorINS9_10device_ptrIiEEEESE_SE_iNS9_10multipliesIiEENS9_8equal_toIiEEiEE10hipError_tPvRmT2_T3_T4_T5_mT6_T7_P12ihipStream_tbENKUlT_T0_E_clISt17integral_constantIbLb1EESZ_EEDaSU_SV_EUlSU_E_NS1_11comp_targetILNS1_3genE10ELNS1_11target_archE1201ELNS1_3gpuE5ELNS1_3repE0EEENS1_30default_config_static_selectorELNS0_4arch9wavefront6targetE1EEEvT1_
	.globl	_ZN7rocprim17ROCPRIM_400000_NS6detail17trampoline_kernelINS0_14default_configENS1_27scan_by_key_config_selectorIiiEEZZNS1_16scan_by_key_implILNS1_25lookback_scan_determinismE0ELb0ES3_N6thrust23THRUST_200600_302600_NS6detail15normal_iteratorINS9_10device_ptrIiEEEESE_SE_iNS9_10multipliesIiEENS9_8equal_toIiEEiEE10hipError_tPvRmT2_T3_T4_T5_mT6_T7_P12ihipStream_tbENKUlT_T0_E_clISt17integral_constantIbLb1EESZ_EEDaSU_SV_EUlSU_E_NS1_11comp_targetILNS1_3genE10ELNS1_11target_archE1201ELNS1_3gpuE5ELNS1_3repE0EEENS1_30default_config_static_selectorELNS0_4arch9wavefront6targetE1EEEvT1_
	.p2align	8
	.type	_ZN7rocprim17ROCPRIM_400000_NS6detail17trampoline_kernelINS0_14default_configENS1_27scan_by_key_config_selectorIiiEEZZNS1_16scan_by_key_implILNS1_25lookback_scan_determinismE0ELb0ES3_N6thrust23THRUST_200600_302600_NS6detail15normal_iteratorINS9_10device_ptrIiEEEESE_SE_iNS9_10multipliesIiEENS9_8equal_toIiEEiEE10hipError_tPvRmT2_T3_T4_T5_mT6_T7_P12ihipStream_tbENKUlT_T0_E_clISt17integral_constantIbLb1EESZ_EEDaSU_SV_EUlSU_E_NS1_11comp_targetILNS1_3genE10ELNS1_11target_archE1201ELNS1_3gpuE5ELNS1_3repE0EEENS1_30default_config_static_selectorELNS0_4arch9wavefront6targetE1EEEvT1_,@function
_ZN7rocprim17ROCPRIM_400000_NS6detail17trampoline_kernelINS0_14default_configENS1_27scan_by_key_config_selectorIiiEEZZNS1_16scan_by_key_implILNS1_25lookback_scan_determinismE0ELb0ES3_N6thrust23THRUST_200600_302600_NS6detail15normal_iteratorINS9_10device_ptrIiEEEESE_SE_iNS9_10multipliesIiEENS9_8equal_toIiEEiEE10hipError_tPvRmT2_T3_T4_T5_mT6_T7_P12ihipStream_tbENKUlT_T0_E_clISt17integral_constantIbLb1EESZ_EEDaSU_SV_EUlSU_E_NS1_11comp_targetILNS1_3genE10ELNS1_11target_archE1201ELNS1_3gpuE5ELNS1_3repE0EEENS1_30default_config_static_selectorELNS0_4arch9wavefront6targetE1EEEvT1_: ; @_ZN7rocprim17ROCPRIM_400000_NS6detail17trampoline_kernelINS0_14default_configENS1_27scan_by_key_config_selectorIiiEEZZNS1_16scan_by_key_implILNS1_25lookback_scan_determinismE0ELb0ES3_N6thrust23THRUST_200600_302600_NS6detail15normal_iteratorINS9_10device_ptrIiEEEESE_SE_iNS9_10multipliesIiEENS9_8equal_toIiEEiEE10hipError_tPvRmT2_T3_T4_T5_mT6_T7_P12ihipStream_tbENKUlT_T0_E_clISt17integral_constantIbLb1EESZ_EEDaSU_SV_EUlSU_E_NS1_11comp_targetILNS1_3genE10ELNS1_11target_archE1201ELNS1_3gpuE5ELNS1_3repE0EEENS1_30default_config_static_selectorELNS0_4arch9wavefront6targetE1EEEvT1_
; %bb.0:
	.section	.rodata,"a",@progbits
	.p2align	6, 0x0
	.amdhsa_kernel _ZN7rocprim17ROCPRIM_400000_NS6detail17trampoline_kernelINS0_14default_configENS1_27scan_by_key_config_selectorIiiEEZZNS1_16scan_by_key_implILNS1_25lookback_scan_determinismE0ELb0ES3_N6thrust23THRUST_200600_302600_NS6detail15normal_iteratorINS9_10device_ptrIiEEEESE_SE_iNS9_10multipliesIiEENS9_8equal_toIiEEiEE10hipError_tPvRmT2_T3_T4_T5_mT6_T7_P12ihipStream_tbENKUlT_T0_E_clISt17integral_constantIbLb1EESZ_EEDaSU_SV_EUlSU_E_NS1_11comp_targetILNS1_3genE10ELNS1_11target_archE1201ELNS1_3gpuE5ELNS1_3repE0EEENS1_30default_config_static_selectorELNS0_4arch9wavefront6targetE1EEEvT1_
		.amdhsa_group_segment_fixed_size 0
		.amdhsa_private_segment_fixed_size 0
		.amdhsa_kernarg_size 112
		.amdhsa_user_sgpr_count 6
		.amdhsa_user_sgpr_private_segment_buffer 1
		.amdhsa_user_sgpr_dispatch_ptr 0
		.amdhsa_user_sgpr_queue_ptr 0
		.amdhsa_user_sgpr_kernarg_segment_ptr 1
		.amdhsa_user_sgpr_dispatch_id 0
		.amdhsa_user_sgpr_flat_scratch_init 0
		.amdhsa_user_sgpr_kernarg_preload_length 0
		.amdhsa_user_sgpr_kernarg_preload_offset 0
		.amdhsa_user_sgpr_private_segment_size 0
		.amdhsa_uses_dynamic_stack 0
		.amdhsa_system_sgpr_private_segment_wavefront_offset 0
		.amdhsa_system_sgpr_workgroup_id_x 1
		.amdhsa_system_sgpr_workgroup_id_y 0
		.amdhsa_system_sgpr_workgroup_id_z 0
		.amdhsa_system_sgpr_workgroup_info 0
		.amdhsa_system_vgpr_workitem_id 0
		.amdhsa_next_free_vgpr 1
		.amdhsa_next_free_sgpr 0
		.amdhsa_accum_offset 4
		.amdhsa_reserve_vcc 0
		.amdhsa_reserve_flat_scratch 0
		.amdhsa_float_round_mode_32 0
		.amdhsa_float_round_mode_16_64 0
		.amdhsa_float_denorm_mode_32 3
		.amdhsa_float_denorm_mode_16_64 3
		.amdhsa_dx10_clamp 1
		.amdhsa_ieee_mode 1
		.amdhsa_fp16_overflow 0
		.amdhsa_tg_split 0
		.amdhsa_exception_fp_ieee_invalid_op 0
		.amdhsa_exception_fp_denorm_src 0
		.amdhsa_exception_fp_ieee_div_zero 0
		.amdhsa_exception_fp_ieee_overflow 0
		.amdhsa_exception_fp_ieee_underflow 0
		.amdhsa_exception_fp_ieee_inexact 0
		.amdhsa_exception_int_div_zero 0
	.end_amdhsa_kernel
	.section	.text._ZN7rocprim17ROCPRIM_400000_NS6detail17trampoline_kernelINS0_14default_configENS1_27scan_by_key_config_selectorIiiEEZZNS1_16scan_by_key_implILNS1_25lookback_scan_determinismE0ELb0ES3_N6thrust23THRUST_200600_302600_NS6detail15normal_iteratorINS9_10device_ptrIiEEEESE_SE_iNS9_10multipliesIiEENS9_8equal_toIiEEiEE10hipError_tPvRmT2_T3_T4_T5_mT6_T7_P12ihipStream_tbENKUlT_T0_E_clISt17integral_constantIbLb1EESZ_EEDaSU_SV_EUlSU_E_NS1_11comp_targetILNS1_3genE10ELNS1_11target_archE1201ELNS1_3gpuE5ELNS1_3repE0EEENS1_30default_config_static_selectorELNS0_4arch9wavefront6targetE1EEEvT1_,"axG",@progbits,_ZN7rocprim17ROCPRIM_400000_NS6detail17trampoline_kernelINS0_14default_configENS1_27scan_by_key_config_selectorIiiEEZZNS1_16scan_by_key_implILNS1_25lookback_scan_determinismE0ELb0ES3_N6thrust23THRUST_200600_302600_NS6detail15normal_iteratorINS9_10device_ptrIiEEEESE_SE_iNS9_10multipliesIiEENS9_8equal_toIiEEiEE10hipError_tPvRmT2_T3_T4_T5_mT6_T7_P12ihipStream_tbENKUlT_T0_E_clISt17integral_constantIbLb1EESZ_EEDaSU_SV_EUlSU_E_NS1_11comp_targetILNS1_3genE10ELNS1_11target_archE1201ELNS1_3gpuE5ELNS1_3repE0EEENS1_30default_config_static_selectorELNS0_4arch9wavefront6targetE1EEEvT1_,comdat
.Lfunc_end174:
	.size	_ZN7rocprim17ROCPRIM_400000_NS6detail17trampoline_kernelINS0_14default_configENS1_27scan_by_key_config_selectorIiiEEZZNS1_16scan_by_key_implILNS1_25lookback_scan_determinismE0ELb0ES3_N6thrust23THRUST_200600_302600_NS6detail15normal_iteratorINS9_10device_ptrIiEEEESE_SE_iNS9_10multipliesIiEENS9_8equal_toIiEEiEE10hipError_tPvRmT2_T3_T4_T5_mT6_T7_P12ihipStream_tbENKUlT_T0_E_clISt17integral_constantIbLb1EESZ_EEDaSU_SV_EUlSU_E_NS1_11comp_targetILNS1_3genE10ELNS1_11target_archE1201ELNS1_3gpuE5ELNS1_3repE0EEENS1_30default_config_static_selectorELNS0_4arch9wavefront6targetE1EEEvT1_, .Lfunc_end174-_ZN7rocprim17ROCPRIM_400000_NS6detail17trampoline_kernelINS0_14default_configENS1_27scan_by_key_config_selectorIiiEEZZNS1_16scan_by_key_implILNS1_25lookback_scan_determinismE0ELb0ES3_N6thrust23THRUST_200600_302600_NS6detail15normal_iteratorINS9_10device_ptrIiEEEESE_SE_iNS9_10multipliesIiEENS9_8equal_toIiEEiEE10hipError_tPvRmT2_T3_T4_T5_mT6_T7_P12ihipStream_tbENKUlT_T0_E_clISt17integral_constantIbLb1EESZ_EEDaSU_SV_EUlSU_E_NS1_11comp_targetILNS1_3genE10ELNS1_11target_archE1201ELNS1_3gpuE5ELNS1_3repE0EEENS1_30default_config_static_selectorELNS0_4arch9wavefront6targetE1EEEvT1_
                                        ; -- End function
	.section	.AMDGPU.csdata,"",@progbits
; Kernel info:
; codeLenInByte = 0
; NumSgprs: 4
; NumVgprs: 0
; NumAgprs: 0
; TotalNumVgprs: 0
; ScratchSize: 0
; MemoryBound: 0
; FloatMode: 240
; IeeeMode: 1
; LDSByteSize: 0 bytes/workgroup (compile time only)
; SGPRBlocks: 0
; VGPRBlocks: 0
; NumSGPRsForWavesPerEU: 4
; NumVGPRsForWavesPerEU: 1
; AccumOffset: 4
; Occupancy: 8
; WaveLimiterHint : 0
; COMPUTE_PGM_RSRC2:SCRATCH_EN: 0
; COMPUTE_PGM_RSRC2:USER_SGPR: 6
; COMPUTE_PGM_RSRC2:TRAP_HANDLER: 0
; COMPUTE_PGM_RSRC2:TGID_X_EN: 1
; COMPUTE_PGM_RSRC2:TGID_Y_EN: 0
; COMPUTE_PGM_RSRC2:TGID_Z_EN: 0
; COMPUTE_PGM_RSRC2:TIDIG_COMP_CNT: 0
; COMPUTE_PGM_RSRC3_GFX90A:ACCUM_OFFSET: 0
; COMPUTE_PGM_RSRC3_GFX90A:TG_SPLIT: 0
	.section	.text._ZN7rocprim17ROCPRIM_400000_NS6detail17trampoline_kernelINS0_14default_configENS1_27scan_by_key_config_selectorIiiEEZZNS1_16scan_by_key_implILNS1_25lookback_scan_determinismE0ELb0ES3_N6thrust23THRUST_200600_302600_NS6detail15normal_iteratorINS9_10device_ptrIiEEEESE_SE_iNS9_10multipliesIiEENS9_8equal_toIiEEiEE10hipError_tPvRmT2_T3_T4_T5_mT6_T7_P12ihipStream_tbENKUlT_T0_E_clISt17integral_constantIbLb1EESZ_EEDaSU_SV_EUlSU_E_NS1_11comp_targetILNS1_3genE5ELNS1_11target_archE942ELNS1_3gpuE9ELNS1_3repE0EEENS1_30default_config_static_selectorELNS0_4arch9wavefront6targetE1EEEvT1_,"axG",@progbits,_ZN7rocprim17ROCPRIM_400000_NS6detail17trampoline_kernelINS0_14default_configENS1_27scan_by_key_config_selectorIiiEEZZNS1_16scan_by_key_implILNS1_25lookback_scan_determinismE0ELb0ES3_N6thrust23THRUST_200600_302600_NS6detail15normal_iteratorINS9_10device_ptrIiEEEESE_SE_iNS9_10multipliesIiEENS9_8equal_toIiEEiEE10hipError_tPvRmT2_T3_T4_T5_mT6_T7_P12ihipStream_tbENKUlT_T0_E_clISt17integral_constantIbLb1EESZ_EEDaSU_SV_EUlSU_E_NS1_11comp_targetILNS1_3genE5ELNS1_11target_archE942ELNS1_3gpuE9ELNS1_3repE0EEENS1_30default_config_static_selectorELNS0_4arch9wavefront6targetE1EEEvT1_,comdat
	.protected	_ZN7rocprim17ROCPRIM_400000_NS6detail17trampoline_kernelINS0_14default_configENS1_27scan_by_key_config_selectorIiiEEZZNS1_16scan_by_key_implILNS1_25lookback_scan_determinismE0ELb0ES3_N6thrust23THRUST_200600_302600_NS6detail15normal_iteratorINS9_10device_ptrIiEEEESE_SE_iNS9_10multipliesIiEENS9_8equal_toIiEEiEE10hipError_tPvRmT2_T3_T4_T5_mT6_T7_P12ihipStream_tbENKUlT_T0_E_clISt17integral_constantIbLb1EESZ_EEDaSU_SV_EUlSU_E_NS1_11comp_targetILNS1_3genE5ELNS1_11target_archE942ELNS1_3gpuE9ELNS1_3repE0EEENS1_30default_config_static_selectorELNS0_4arch9wavefront6targetE1EEEvT1_ ; -- Begin function _ZN7rocprim17ROCPRIM_400000_NS6detail17trampoline_kernelINS0_14default_configENS1_27scan_by_key_config_selectorIiiEEZZNS1_16scan_by_key_implILNS1_25lookback_scan_determinismE0ELb0ES3_N6thrust23THRUST_200600_302600_NS6detail15normal_iteratorINS9_10device_ptrIiEEEESE_SE_iNS9_10multipliesIiEENS9_8equal_toIiEEiEE10hipError_tPvRmT2_T3_T4_T5_mT6_T7_P12ihipStream_tbENKUlT_T0_E_clISt17integral_constantIbLb1EESZ_EEDaSU_SV_EUlSU_E_NS1_11comp_targetILNS1_3genE5ELNS1_11target_archE942ELNS1_3gpuE9ELNS1_3repE0EEENS1_30default_config_static_selectorELNS0_4arch9wavefront6targetE1EEEvT1_
	.globl	_ZN7rocprim17ROCPRIM_400000_NS6detail17trampoline_kernelINS0_14default_configENS1_27scan_by_key_config_selectorIiiEEZZNS1_16scan_by_key_implILNS1_25lookback_scan_determinismE0ELb0ES3_N6thrust23THRUST_200600_302600_NS6detail15normal_iteratorINS9_10device_ptrIiEEEESE_SE_iNS9_10multipliesIiEENS9_8equal_toIiEEiEE10hipError_tPvRmT2_T3_T4_T5_mT6_T7_P12ihipStream_tbENKUlT_T0_E_clISt17integral_constantIbLb1EESZ_EEDaSU_SV_EUlSU_E_NS1_11comp_targetILNS1_3genE5ELNS1_11target_archE942ELNS1_3gpuE9ELNS1_3repE0EEENS1_30default_config_static_selectorELNS0_4arch9wavefront6targetE1EEEvT1_
	.p2align	8
	.type	_ZN7rocprim17ROCPRIM_400000_NS6detail17trampoline_kernelINS0_14default_configENS1_27scan_by_key_config_selectorIiiEEZZNS1_16scan_by_key_implILNS1_25lookback_scan_determinismE0ELb0ES3_N6thrust23THRUST_200600_302600_NS6detail15normal_iteratorINS9_10device_ptrIiEEEESE_SE_iNS9_10multipliesIiEENS9_8equal_toIiEEiEE10hipError_tPvRmT2_T3_T4_T5_mT6_T7_P12ihipStream_tbENKUlT_T0_E_clISt17integral_constantIbLb1EESZ_EEDaSU_SV_EUlSU_E_NS1_11comp_targetILNS1_3genE5ELNS1_11target_archE942ELNS1_3gpuE9ELNS1_3repE0EEENS1_30default_config_static_selectorELNS0_4arch9wavefront6targetE1EEEvT1_,@function
_ZN7rocprim17ROCPRIM_400000_NS6detail17trampoline_kernelINS0_14default_configENS1_27scan_by_key_config_selectorIiiEEZZNS1_16scan_by_key_implILNS1_25lookback_scan_determinismE0ELb0ES3_N6thrust23THRUST_200600_302600_NS6detail15normal_iteratorINS9_10device_ptrIiEEEESE_SE_iNS9_10multipliesIiEENS9_8equal_toIiEEiEE10hipError_tPvRmT2_T3_T4_T5_mT6_T7_P12ihipStream_tbENKUlT_T0_E_clISt17integral_constantIbLb1EESZ_EEDaSU_SV_EUlSU_E_NS1_11comp_targetILNS1_3genE5ELNS1_11target_archE942ELNS1_3gpuE9ELNS1_3repE0EEENS1_30default_config_static_selectorELNS0_4arch9wavefront6targetE1EEEvT1_: ; @_ZN7rocprim17ROCPRIM_400000_NS6detail17trampoline_kernelINS0_14default_configENS1_27scan_by_key_config_selectorIiiEEZZNS1_16scan_by_key_implILNS1_25lookback_scan_determinismE0ELb0ES3_N6thrust23THRUST_200600_302600_NS6detail15normal_iteratorINS9_10device_ptrIiEEEESE_SE_iNS9_10multipliesIiEENS9_8equal_toIiEEiEE10hipError_tPvRmT2_T3_T4_T5_mT6_T7_P12ihipStream_tbENKUlT_T0_E_clISt17integral_constantIbLb1EESZ_EEDaSU_SV_EUlSU_E_NS1_11comp_targetILNS1_3genE5ELNS1_11target_archE942ELNS1_3gpuE9ELNS1_3repE0EEENS1_30default_config_static_selectorELNS0_4arch9wavefront6targetE1EEEvT1_
; %bb.0:
	.section	.rodata,"a",@progbits
	.p2align	6, 0x0
	.amdhsa_kernel _ZN7rocprim17ROCPRIM_400000_NS6detail17trampoline_kernelINS0_14default_configENS1_27scan_by_key_config_selectorIiiEEZZNS1_16scan_by_key_implILNS1_25lookback_scan_determinismE0ELb0ES3_N6thrust23THRUST_200600_302600_NS6detail15normal_iteratorINS9_10device_ptrIiEEEESE_SE_iNS9_10multipliesIiEENS9_8equal_toIiEEiEE10hipError_tPvRmT2_T3_T4_T5_mT6_T7_P12ihipStream_tbENKUlT_T0_E_clISt17integral_constantIbLb1EESZ_EEDaSU_SV_EUlSU_E_NS1_11comp_targetILNS1_3genE5ELNS1_11target_archE942ELNS1_3gpuE9ELNS1_3repE0EEENS1_30default_config_static_selectorELNS0_4arch9wavefront6targetE1EEEvT1_
		.amdhsa_group_segment_fixed_size 0
		.amdhsa_private_segment_fixed_size 0
		.amdhsa_kernarg_size 112
		.amdhsa_user_sgpr_count 6
		.amdhsa_user_sgpr_private_segment_buffer 1
		.amdhsa_user_sgpr_dispatch_ptr 0
		.amdhsa_user_sgpr_queue_ptr 0
		.amdhsa_user_sgpr_kernarg_segment_ptr 1
		.amdhsa_user_sgpr_dispatch_id 0
		.amdhsa_user_sgpr_flat_scratch_init 0
		.amdhsa_user_sgpr_kernarg_preload_length 0
		.amdhsa_user_sgpr_kernarg_preload_offset 0
		.amdhsa_user_sgpr_private_segment_size 0
		.amdhsa_uses_dynamic_stack 0
		.amdhsa_system_sgpr_private_segment_wavefront_offset 0
		.amdhsa_system_sgpr_workgroup_id_x 1
		.amdhsa_system_sgpr_workgroup_id_y 0
		.amdhsa_system_sgpr_workgroup_id_z 0
		.amdhsa_system_sgpr_workgroup_info 0
		.amdhsa_system_vgpr_workitem_id 0
		.amdhsa_next_free_vgpr 1
		.amdhsa_next_free_sgpr 0
		.amdhsa_accum_offset 4
		.amdhsa_reserve_vcc 0
		.amdhsa_reserve_flat_scratch 0
		.amdhsa_float_round_mode_32 0
		.amdhsa_float_round_mode_16_64 0
		.amdhsa_float_denorm_mode_32 3
		.amdhsa_float_denorm_mode_16_64 3
		.amdhsa_dx10_clamp 1
		.amdhsa_ieee_mode 1
		.amdhsa_fp16_overflow 0
		.amdhsa_tg_split 0
		.amdhsa_exception_fp_ieee_invalid_op 0
		.amdhsa_exception_fp_denorm_src 0
		.amdhsa_exception_fp_ieee_div_zero 0
		.amdhsa_exception_fp_ieee_overflow 0
		.amdhsa_exception_fp_ieee_underflow 0
		.amdhsa_exception_fp_ieee_inexact 0
		.amdhsa_exception_int_div_zero 0
	.end_amdhsa_kernel
	.section	.text._ZN7rocprim17ROCPRIM_400000_NS6detail17trampoline_kernelINS0_14default_configENS1_27scan_by_key_config_selectorIiiEEZZNS1_16scan_by_key_implILNS1_25lookback_scan_determinismE0ELb0ES3_N6thrust23THRUST_200600_302600_NS6detail15normal_iteratorINS9_10device_ptrIiEEEESE_SE_iNS9_10multipliesIiEENS9_8equal_toIiEEiEE10hipError_tPvRmT2_T3_T4_T5_mT6_T7_P12ihipStream_tbENKUlT_T0_E_clISt17integral_constantIbLb1EESZ_EEDaSU_SV_EUlSU_E_NS1_11comp_targetILNS1_3genE5ELNS1_11target_archE942ELNS1_3gpuE9ELNS1_3repE0EEENS1_30default_config_static_selectorELNS0_4arch9wavefront6targetE1EEEvT1_,"axG",@progbits,_ZN7rocprim17ROCPRIM_400000_NS6detail17trampoline_kernelINS0_14default_configENS1_27scan_by_key_config_selectorIiiEEZZNS1_16scan_by_key_implILNS1_25lookback_scan_determinismE0ELb0ES3_N6thrust23THRUST_200600_302600_NS6detail15normal_iteratorINS9_10device_ptrIiEEEESE_SE_iNS9_10multipliesIiEENS9_8equal_toIiEEiEE10hipError_tPvRmT2_T3_T4_T5_mT6_T7_P12ihipStream_tbENKUlT_T0_E_clISt17integral_constantIbLb1EESZ_EEDaSU_SV_EUlSU_E_NS1_11comp_targetILNS1_3genE5ELNS1_11target_archE942ELNS1_3gpuE9ELNS1_3repE0EEENS1_30default_config_static_selectorELNS0_4arch9wavefront6targetE1EEEvT1_,comdat
.Lfunc_end175:
	.size	_ZN7rocprim17ROCPRIM_400000_NS6detail17trampoline_kernelINS0_14default_configENS1_27scan_by_key_config_selectorIiiEEZZNS1_16scan_by_key_implILNS1_25lookback_scan_determinismE0ELb0ES3_N6thrust23THRUST_200600_302600_NS6detail15normal_iteratorINS9_10device_ptrIiEEEESE_SE_iNS9_10multipliesIiEENS9_8equal_toIiEEiEE10hipError_tPvRmT2_T3_T4_T5_mT6_T7_P12ihipStream_tbENKUlT_T0_E_clISt17integral_constantIbLb1EESZ_EEDaSU_SV_EUlSU_E_NS1_11comp_targetILNS1_3genE5ELNS1_11target_archE942ELNS1_3gpuE9ELNS1_3repE0EEENS1_30default_config_static_selectorELNS0_4arch9wavefront6targetE1EEEvT1_, .Lfunc_end175-_ZN7rocprim17ROCPRIM_400000_NS6detail17trampoline_kernelINS0_14default_configENS1_27scan_by_key_config_selectorIiiEEZZNS1_16scan_by_key_implILNS1_25lookback_scan_determinismE0ELb0ES3_N6thrust23THRUST_200600_302600_NS6detail15normal_iteratorINS9_10device_ptrIiEEEESE_SE_iNS9_10multipliesIiEENS9_8equal_toIiEEiEE10hipError_tPvRmT2_T3_T4_T5_mT6_T7_P12ihipStream_tbENKUlT_T0_E_clISt17integral_constantIbLb1EESZ_EEDaSU_SV_EUlSU_E_NS1_11comp_targetILNS1_3genE5ELNS1_11target_archE942ELNS1_3gpuE9ELNS1_3repE0EEENS1_30default_config_static_selectorELNS0_4arch9wavefront6targetE1EEEvT1_
                                        ; -- End function
	.section	.AMDGPU.csdata,"",@progbits
; Kernel info:
; codeLenInByte = 0
; NumSgprs: 4
; NumVgprs: 0
; NumAgprs: 0
; TotalNumVgprs: 0
; ScratchSize: 0
; MemoryBound: 0
; FloatMode: 240
; IeeeMode: 1
; LDSByteSize: 0 bytes/workgroup (compile time only)
; SGPRBlocks: 0
; VGPRBlocks: 0
; NumSGPRsForWavesPerEU: 4
; NumVGPRsForWavesPerEU: 1
; AccumOffset: 4
; Occupancy: 8
; WaveLimiterHint : 0
; COMPUTE_PGM_RSRC2:SCRATCH_EN: 0
; COMPUTE_PGM_RSRC2:USER_SGPR: 6
; COMPUTE_PGM_RSRC2:TRAP_HANDLER: 0
; COMPUTE_PGM_RSRC2:TGID_X_EN: 1
; COMPUTE_PGM_RSRC2:TGID_Y_EN: 0
; COMPUTE_PGM_RSRC2:TGID_Z_EN: 0
; COMPUTE_PGM_RSRC2:TIDIG_COMP_CNT: 0
; COMPUTE_PGM_RSRC3_GFX90A:ACCUM_OFFSET: 0
; COMPUTE_PGM_RSRC3_GFX90A:TG_SPLIT: 0
	.section	.text._ZN7rocprim17ROCPRIM_400000_NS6detail17trampoline_kernelINS0_14default_configENS1_27scan_by_key_config_selectorIiiEEZZNS1_16scan_by_key_implILNS1_25lookback_scan_determinismE0ELb0ES3_N6thrust23THRUST_200600_302600_NS6detail15normal_iteratorINS9_10device_ptrIiEEEESE_SE_iNS9_10multipliesIiEENS9_8equal_toIiEEiEE10hipError_tPvRmT2_T3_T4_T5_mT6_T7_P12ihipStream_tbENKUlT_T0_E_clISt17integral_constantIbLb1EESZ_EEDaSU_SV_EUlSU_E_NS1_11comp_targetILNS1_3genE4ELNS1_11target_archE910ELNS1_3gpuE8ELNS1_3repE0EEENS1_30default_config_static_selectorELNS0_4arch9wavefront6targetE1EEEvT1_,"axG",@progbits,_ZN7rocprim17ROCPRIM_400000_NS6detail17trampoline_kernelINS0_14default_configENS1_27scan_by_key_config_selectorIiiEEZZNS1_16scan_by_key_implILNS1_25lookback_scan_determinismE0ELb0ES3_N6thrust23THRUST_200600_302600_NS6detail15normal_iteratorINS9_10device_ptrIiEEEESE_SE_iNS9_10multipliesIiEENS9_8equal_toIiEEiEE10hipError_tPvRmT2_T3_T4_T5_mT6_T7_P12ihipStream_tbENKUlT_T0_E_clISt17integral_constantIbLb1EESZ_EEDaSU_SV_EUlSU_E_NS1_11comp_targetILNS1_3genE4ELNS1_11target_archE910ELNS1_3gpuE8ELNS1_3repE0EEENS1_30default_config_static_selectorELNS0_4arch9wavefront6targetE1EEEvT1_,comdat
	.protected	_ZN7rocprim17ROCPRIM_400000_NS6detail17trampoline_kernelINS0_14default_configENS1_27scan_by_key_config_selectorIiiEEZZNS1_16scan_by_key_implILNS1_25lookback_scan_determinismE0ELb0ES3_N6thrust23THRUST_200600_302600_NS6detail15normal_iteratorINS9_10device_ptrIiEEEESE_SE_iNS9_10multipliesIiEENS9_8equal_toIiEEiEE10hipError_tPvRmT2_T3_T4_T5_mT6_T7_P12ihipStream_tbENKUlT_T0_E_clISt17integral_constantIbLb1EESZ_EEDaSU_SV_EUlSU_E_NS1_11comp_targetILNS1_3genE4ELNS1_11target_archE910ELNS1_3gpuE8ELNS1_3repE0EEENS1_30default_config_static_selectorELNS0_4arch9wavefront6targetE1EEEvT1_ ; -- Begin function _ZN7rocprim17ROCPRIM_400000_NS6detail17trampoline_kernelINS0_14default_configENS1_27scan_by_key_config_selectorIiiEEZZNS1_16scan_by_key_implILNS1_25lookback_scan_determinismE0ELb0ES3_N6thrust23THRUST_200600_302600_NS6detail15normal_iteratorINS9_10device_ptrIiEEEESE_SE_iNS9_10multipliesIiEENS9_8equal_toIiEEiEE10hipError_tPvRmT2_T3_T4_T5_mT6_T7_P12ihipStream_tbENKUlT_T0_E_clISt17integral_constantIbLb1EESZ_EEDaSU_SV_EUlSU_E_NS1_11comp_targetILNS1_3genE4ELNS1_11target_archE910ELNS1_3gpuE8ELNS1_3repE0EEENS1_30default_config_static_selectorELNS0_4arch9wavefront6targetE1EEEvT1_
	.globl	_ZN7rocprim17ROCPRIM_400000_NS6detail17trampoline_kernelINS0_14default_configENS1_27scan_by_key_config_selectorIiiEEZZNS1_16scan_by_key_implILNS1_25lookback_scan_determinismE0ELb0ES3_N6thrust23THRUST_200600_302600_NS6detail15normal_iteratorINS9_10device_ptrIiEEEESE_SE_iNS9_10multipliesIiEENS9_8equal_toIiEEiEE10hipError_tPvRmT2_T3_T4_T5_mT6_T7_P12ihipStream_tbENKUlT_T0_E_clISt17integral_constantIbLb1EESZ_EEDaSU_SV_EUlSU_E_NS1_11comp_targetILNS1_3genE4ELNS1_11target_archE910ELNS1_3gpuE8ELNS1_3repE0EEENS1_30default_config_static_selectorELNS0_4arch9wavefront6targetE1EEEvT1_
	.p2align	8
	.type	_ZN7rocprim17ROCPRIM_400000_NS6detail17trampoline_kernelINS0_14default_configENS1_27scan_by_key_config_selectorIiiEEZZNS1_16scan_by_key_implILNS1_25lookback_scan_determinismE0ELb0ES3_N6thrust23THRUST_200600_302600_NS6detail15normal_iteratorINS9_10device_ptrIiEEEESE_SE_iNS9_10multipliesIiEENS9_8equal_toIiEEiEE10hipError_tPvRmT2_T3_T4_T5_mT6_T7_P12ihipStream_tbENKUlT_T0_E_clISt17integral_constantIbLb1EESZ_EEDaSU_SV_EUlSU_E_NS1_11comp_targetILNS1_3genE4ELNS1_11target_archE910ELNS1_3gpuE8ELNS1_3repE0EEENS1_30default_config_static_selectorELNS0_4arch9wavefront6targetE1EEEvT1_,@function
_ZN7rocprim17ROCPRIM_400000_NS6detail17trampoline_kernelINS0_14default_configENS1_27scan_by_key_config_selectorIiiEEZZNS1_16scan_by_key_implILNS1_25lookback_scan_determinismE0ELb0ES3_N6thrust23THRUST_200600_302600_NS6detail15normal_iteratorINS9_10device_ptrIiEEEESE_SE_iNS9_10multipliesIiEENS9_8equal_toIiEEiEE10hipError_tPvRmT2_T3_T4_T5_mT6_T7_P12ihipStream_tbENKUlT_T0_E_clISt17integral_constantIbLb1EESZ_EEDaSU_SV_EUlSU_E_NS1_11comp_targetILNS1_3genE4ELNS1_11target_archE910ELNS1_3gpuE8ELNS1_3repE0EEENS1_30default_config_static_selectorELNS0_4arch9wavefront6targetE1EEEvT1_: ; @_ZN7rocprim17ROCPRIM_400000_NS6detail17trampoline_kernelINS0_14default_configENS1_27scan_by_key_config_selectorIiiEEZZNS1_16scan_by_key_implILNS1_25lookback_scan_determinismE0ELb0ES3_N6thrust23THRUST_200600_302600_NS6detail15normal_iteratorINS9_10device_ptrIiEEEESE_SE_iNS9_10multipliesIiEENS9_8equal_toIiEEiEE10hipError_tPvRmT2_T3_T4_T5_mT6_T7_P12ihipStream_tbENKUlT_T0_E_clISt17integral_constantIbLb1EESZ_EEDaSU_SV_EUlSU_E_NS1_11comp_targetILNS1_3genE4ELNS1_11target_archE910ELNS1_3gpuE8ELNS1_3repE0EEENS1_30default_config_static_selectorELNS0_4arch9wavefront6targetE1EEEvT1_
; %bb.0:
	s_load_dwordx4 s[56:59], s[4:5], 0x28
	s_load_dwordx2 s[60:61], s[4:5], 0x38
	v_cmp_ne_u32_e64 s[36:37], 0, v0
	v_cmp_eq_u32_e64 s[0:1], 0, v0
	s_and_saveexec_b64 s[2:3], s[0:1]
	s_cbranch_execz .LBB176_4
; %bb.1:
	s_mov_b64 s[8:9], exec
	v_mbcnt_lo_u32_b32 v1, s8, 0
	v_mbcnt_hi_u32_b32 v1, s9, v1
	v_cmp_eq_u32_e32 vcc, 0, v1
                                        ; implicit-def: $vgpr2
	s_and_saveexec_b64 s[6:7], vcc
	s_cbranch_execz .LBB176_3
; %bb.2:
	s_load_dwordx2 s[10:11], s[4:5], 0x68
	s_bcnt1_i32_b64 s8, s[8:9]
	v_mov_b32_e32 v2, 0
	v_mov_b32_e32 v3, s8
	s_waitcnt lgkmcnt(0)
	global_atomic_add v2, v2, v3, s[10:11] glc
.LBB176_3:
	s_or_b64 exec, exec, s[6:7]
	s_waitcnt vmcnt(0)
	v_readfirstlane_b32 s6, v2
	v_add_u32_e32 v1, s6, v1
	v_mov_b32_e32 v2, 0
	ds_write_b32 v2, v1
.LBB176_4:
	s_or_b64 exec, exec, s[2:3]
	s_load_dwordx8 s[40:47], s[4:5], 0x0
	s_load_dword s2, s[4:5], 0x40
	s_load_dwordx8 s[48:55], s[4:5], 0x48
	v_mov_b32_e32 v1, 0
	s_waitcnt lgkmcnt(0)
	s_barrier
	ds_read_b32 v1, v1
	s_lshl_b64 s[38:39], s[42:43], 2
	s_add_u32 s4, s40, s38
	s_addc_u32 s5, s41, s39
	s_add_u32 s6, s44, s38
	s_mul_i32 s3, s61, s2
	s_mul_hi_u32 s8, s60, s2
	s_addc_u32 s7, s45, s39
	s_add_i32 s8, s8, s3
	s_waitcnt lgkmcnt(0)
	v_readfirstlane_b32 s59, v1
	s_mul_i32 s9, s60, s2
	s_cmp_lg_u64 s[52:53], 0
	s_mov_b32 s3, 0
	s_mul_i32 s2, s59, 0xe00
	s_cselect_b64 s[44:45], -1, 0
	s_lshl_b64 s[40:41], s[2:3], 2
	s_add_u32 s42, s4, s40
	s_addc_u32 s43, s5, s41
	s_add_u32 s62, s6, s40
	s_addc_u32 s63, s7, s41
	;; [unrolled: 2-line block ×3, first 2 shown]
	s_add_u32 s4, s48, -1
	s_addc_u32 s5, s49, -1
	v_pk_mov_b32 v[2:3], s[4:5], s[4:5] op_sel:[0,1]
	v_cmp_ge_u64_e64 s[2:3], s[52:53], v[2:3]
	s_mov_b64 s[18:19], 0
	s_mov_b64 s[12:13], -1
	s_and_b64 vcc, exec, s[2:3]
	s_mul_i32 s33, s4, 0xfffff200
	s_barrier
	s_barrier
	s_cbranch_vccz .LBB176_81
; %bb.5:
	v_pk_mov_b32 v[2:3], s[42:43], s[42:43] op_sel:[0,1]
	flat_load_dword v1, v[2:3]
	s_add_i32 s64, s33, s58
	v_cmp_gt_u32_e64 s[6:7], s64, v0
	s_waitcnt vmcnt(0) lgkmcnt(0)
	v_mov_b32_e32 v13, v1
	s_and_saveexec_b64 s[4:5], s[6:7]
	s_cbranch_execz .LBB176_7
; %bb.6:
	v_lshlrev_b32_e32 v2, 2, v0
	v_mov_b32_e32 v3, s43
	v_add_co_u32_e32 v2, vcc, s42, v2
	v_addc_co_u32_e32 v3, vcc, 0, v3, vcc
	flat_load_dword v13, v[2:3]
.LBB176_7:
	s_or_b64 exec, exec, s[4:5]
	v_or_b32_e32 v2, 0x100, v0
	v_cmp_gt_u32_e64 s[8:9], s64, v2
	v_mov_b32_e32 v14, v1
	s_and_saveexec_b64 s[4:5], s[8:9]
	s_cbranch_execz .LBB176_9
; %bb.8:
	v_lshlrev_b32_e32 v2, 2, v0
	v_mov_b32_e32 v3, s43
	v_add_co_u32_e32 v2, vcc, s42, v2
	v_addc_co_u32_e32 v3, vcc, 0, v3, vcc
	flat_load_dword v14, v[2:3] offset:1024
.LBB176_9:
	s_or_b64 exec, exec, s[4:5]
	v_or_b32_e32 v2, 0x200, v0
	v_cmp_gt_u32_e64 s[10:11], s64, v2
	v_mov_b32_e32 v15, v1
	s_and_saveexec_b64 s[4:5], s[10:11]
	s_cbranch_execz .LBB176_11
; %bb.10:
	v_lshlrev_b32_e32 v2, 2, v0
	v_mov_b32_e32 v3, s43
	v_add_co_u32_e32 v2, vcc, s42, v2
	v_addc_co_u32_e32 v3, vcc, 0, v3, vcc
	flat_load_dword v15, v[2:3] offset:2048
.LBB176_11:
	;; [unrolled: 13-line block ×3, first 2 shown]
	s_or_b64 exec, exec, s[4:5]
	v_or_b32_e32 v2, 0x400, v0
	v_cmp_gt_u32_e64 s[14:15], s64, v2
	v_mov_b32_e32 v17, v1
	s_and_saveexec_b64 s[4:5], s[14:15]
	s_cbranch_execz .LBB176_15
; %bb.14:
	v_lshlrev_b32_e32 v3, 2, v2
	v_mov_b32_e32 v5, s43
	v_add_co_u32_e32 v4, vcc, s42, v3
	v_addc_co_u32_e32 v5, vcc, 0, v5, vcc
	flat_load_dword v17, v[4:5]
.LBB176_15:
	s_or_b64 exec, exec, s[4:5]
	v_or_b32_e32 v3, 0x500, v0
	v_cmp_gt_u32_e64 s[16:17], s64, v3
	v_mov_b32_e32 v18, v1
	s_and_saveexec_b64 s[4:5], s[16:17]
	s_cbranch_execz .LBB176_17
; %bb.16:
	v_lshlrev_b32_e32 v4, 2, v3
	v_mov_b32_e32 v5, s43
	v_add_co_u32_e32 v4, vcc, s42, v4
	v_addc_co_u32_e32 v5, vcc, 0, v5, vcc
	flat_load_dword v18, v[4:5]
.LBB176_17:
	;; [unrolled: 13-line block ×9, first 2 shown]
	s_or_b64 exec, exec, s[4:5]
	v_or_b32_e32 v11, 0xd00, v0
	v_cmp_gt_u32_e64 s[34:35], s64, v11
	s_and_saveexec_b64 s[4:5], s[34:35]
	s_cbranch_execz .LBB176_33
; %bb.32:
	v_lshlrev_b32_e32 v1, 2, v11
	v_mov_b32_e32 v12, s43
	v_add_co_u32_e32 v26, vcc, s42, v1
	v_addc_co_u32_e32 v27, vcc, 0, v12, vcc
	flat_load_dword v1, v[26:27]
.LBB176_33:
	s_or_b64 exec, exec, s[4:5]
	v_lshlrev_b32_e32 v12, 2, v0
	s_waitcnt vmcnt(0) lgkmcnt(0)
	ds_write2st64_b32 v12, v13, v14 offset1:4
	ds_write2st64_b32 v12, v15, v16 offset0:8 offset1:12
	ds_write2st64_b32 v12, v17, v18 offset0:16 offset1:20
	ds_write2st64_b32 v12, v19, v20 offset0:24 offset1:28
	ds_write2st64_b32 v12, v21, v22 offset0:32 offset1:36
	ds_write2st64_b32 v12, v23, v24 offset0:40 offset1:44
	ds_write2st64_b32 v12, v25, v1 offset0:48 offset1:52
	v_mad_u32_u24 v1, v0, 52, v12
	s_waitcnt lgkmcnt(0)
	s_barrier
	ds_read2_b64 v[34:37], v1 offset1:1
	ds_read2_b64 v[30:33], v1 offset0:2 offset1:3
	ds_read2_b64 v[26:29], v1 offset0:4 offset1:5
	ds_read_b64 v[40:41], v1 offset:48
	s_cmp_eq_u64 s[52:53], 0
	s_mov_b64 s[4:5], s[42:43]
	s_cbranch_scc1 .LBB176_37
; %bb.34:
	s_andn2_b64 vcc, exec, s[44:45]
	s_cbranch_vccnz .LBB176_241
; %bb.35:
	s_lshl_b64 s[4:5], s[52:53], 2
	s_add_u32 s4, s54, s4
	s_addc_u32 s5, s55, s5
	s_add_u32 s4, s4, -4
	s_addc_u32 s5, s5, -1
	s_cbranch_execnz .LBB176_37
.LBB176_36:
	s_add_u32 s4, s42, -4
	s_addc_u32 s5, s43, -1
.LBB176_37:
	v_pk_mov_b32 v[14:15], s[4:5], s[4:5] op_sel:[0,1]
	flat_load_dword v44, v[14:15]
	s_movk_i32 s4, 0xffcc
	v_mad_i32_i24 v13, v0, s4, v1
	s_waitcnt lgkmcnt(0)
	ds_write_b32 v13, v41 offset:14336
	s_waitcnt lgkmcnt(0)
	s_barrier
	s_and_saveexec_b64 s[4:5], s[36:37]
	s_cbranch_execz .LBB176_39
; %bb.38:
	v_mul_i32_i24_e32 v13, 0xffffffcc, v0
	v_add_u32_e32 v13, v1, v13
	s_waitcnt vmcnt(0)
	ds_read_b32 v44, v13 offset:14332
.LBB176_39:
	s_or_b64 exec, exec, s[4:5]
	s_waitcnt lgkmcnt(0)
	s_barrier
	s_waitcnt lgkmcnt(0)
                                        ; implicit-def: $vgpr13
	s_and_saveexec_b64 s[4:5], s[6:7]
	s_cbranch_execnz .LBB176_228
; %bb.40:
	s_or_b64 exec, exec, s[4:5]
                                        ; implicit-def: $vgpr14
	s_and_saveexec_b64 s[4:5], s[8:9]
	s_cbranch_execnz .LBB176_229
.LBB176_41:
	s_or_b64 exec, exec, s[4:5]
                                        ; implicit-def: $vgpr15
	s_and_saveexec_b64 s[4:5], s[10:11]
	s_cbranch_execnz .LBB176_230
.LBB176_42:
	s_or_b64 exec, exec, s[4:5]
                                        ; implicit-def: $vgpr16
	s_and_saveexec_b64 s[4:5], s[12:13]
	s_cbranch_execnz .LBB176_231
.LBB176_43:
	s_or_b64 exec, exec, s[4:5]
                                        ; implicit-def: $vgpr17
	s_and_saveexec_b64 s[4:5], s[14:15]
	s_cbranch_execnz .LBB176_232
.LBB176_44:
	s_or_b64 exec, exec, s[4:5]
                                        ; implicit-def: $vgpr2
	s_and_saveexec_b64 s[4:5], s[16:17]
	s_cbranch_execnz .LBB176_233
.LBB176_45:
	s_or_b64 exec, exec, s[4:5]
                                        ; implicit-def: $vgpr3
	s_and_saveexec_b64 s[4:5], s[18:19]
	s_cbranch_execnz .LBB176_234
.LBB176_46:
	s_or_b64 exec, exec, s[4:5]
                                        ; implicit-def: $vgpr4
	s_and_saveexec_b64 s[4:5], s[20:21]
	s_cbranch_execnz .LBB176_235
.LBB176_47:
	s_or_b64 exec, exec, s[4:5]
                                        ; implicit-def: $vgpr5
	s_and_saveexec_b64 s[4:5], s[22:23]
	s_cbranch_execnz .LBB176_236
.LBB176_48:
	s_or_b64 exec, exec, s[4:5]
                                        ; implicit-def: $vgpr6
	s_and_saveexec_b64 s[4:5], s[24:25]
	s_cbranch_execnz .LBB176_237
.LBB176_49:
	s_or_b64 exec, exec, s[4:5]
                                        ; implicit-def: $vgpr7
	s_and_saveexec_b64 s[4:5], s[26:27]
	s_cbranch_execnz .LBB176_238
.LBB176_50:
	s_or_b64 exec, exec, s[4:5]
                                        ; implicit-def: $vgpr8
	s_and_saveexec_b64 s[4:5], s[28:29]
	s_cbranch_execnz .LBB176_239
.LBB176_51:
	s_or_b64 exec, exec, s[4:5]
                                        ; implicit-def: $vgpr9
	s_and_saveexec_b64 s[4:5], s[30:31]
	s_cbranch_execnz .LBB176_240
.LBB176_52:
	s_or_b64 exec, exec, s[4:5]
                                        ; implicit-def: $vgpr10
	s_and_saveexec_b64 s[4:5], s[34:35]
	s_cbranch_execz .LBB176_54
.LBB176_53:
	v_lshlrev_b32_e32 v10, 2, v11
	v_mov_b32_e32 v11, s63
	v_add_co_u32_e32 v10, vcc, s62, v10
	v_addc_co_u32_e32 v11, vcc, 0, v11, vcc
	flat_load_dword v10, v[10:11]
.LBB176_54:
	s_or_b64 exec, exec, s[4:5]
	s_mov_b32 s4, 0
	s_mov_b32 s5, s4
	s_waitcnt vmcnt(0) lgkmcnt(0)
	ds_write2st64_b32 v12, v13, v14 offset1:4
	ds_write2st64_b32 v12, v15, v16 offset0:8 offset1:12
	ds_write2st64_b32 v12, v17, v2 offset0:16 offset1:20
	;; [unrolled: 1-line block ×6, first 2 shown]
	s_mov_b32 s6, s4
	s_mov_b32 s7, s4
	;; [unrolled: 1-line block ×6, first 2 shown]
	v_pk_mov_b32 v[2:3], s[4:5], s[4:5] op_sel:[0,1]
	v_pk_mov_b32 v[8:9], s[10:11], s[10:11] op_sel:[0,1]
	v_mul_u32_u24_e32 v42, 14, v0
	v_pk_mov_b32 v[4:5], s[6:7], s[6:7] op_sel:[0,1]
	v_pk_mov_b32 v[6:7], s[8:9], s[8:9] op_sel:[0,1]
	;; [unrolled: 1-line block ×4, first 2 shown]
	v_cmp_gt_u32_e32 vcc, s64, v42
	s_mov_b64 s[12:13], 0
	v_pk_mov_b32 v[38:39], 0, 0
	s_mov_b64 s[18:19], 0
	v_pk_mov_b32 v[14:15], v[6:7], v[6:7] op_sel:[0,1]
	v_pk_mov_b32 v[12:13], v[4:5], v[4:5] op_sel:[0,1]
	;; [unrolled: 1-line block ×6, first 2 shown]
	s_waitcnt lgkmcnt(0)
	s_barrier
	s_waitcnt lgkmcnt(0)
                                        ; implicit-def: $sgpr16_sgpr17
                                        ; implicit-def: $vgpr43
	s_and_saveexec_b64 s[14:15], vcc
	s_cbranch_execz .LBB176_80
; %bb.55:
	v_or_b32_e32 v2, 1, v42
	ds_read_b32 v38, v1
	v_cmp_ne_u32_e32 vcc, v44, v34
	v_cndmask_b32_e64 v39, 0, 1, vcc
	v_cmp_gt_u32_e32 vcc, s64, v2
	v_pk_mov_b32 v[2:3], s[4:5], s[4:5] op_sel:[0,1]
	v_pk_mov_b32 v[8:9], s[10:11], s[10:11] op_sel:[0,1]
	;; [unrolled: 1-line block ×12, first 2 shown]
                                        ; implicit-def: $sgpr4_sgpr5
                                        ; implicit-def: $vgpr43
	s_and_saveexec_b64 s[16:17], vcc
	s_cbranch_execz .LBB176_79
; %bb.56:
	ds_read2_b32 v[44:45], v1 offset0:1 offset1:2
	s_mov_b32 s4, 0
	s_mov_b32 s10, s4
	;; [unrolled: 1-line block ×8, first 2 shown]
	v_pk_mov_b32 v[16:17], s[10:11], s[10:11] op_sel:[0,1]
	v_add_u32_e32 v2, 2, v42
	v_cmp_ne_u32_e32 vcc, v34, v35
	v_mov_b32_e32 v6, 0
	v_pk_mov_b32 v[14:15], s[8:9], s[8:9] op_sel:[0,1]
	v_pk_mov_b32 v[12:13], s[6:7], s[6:7] op_sel:[0,1]
	;; [unrolled: 1-line block ×4, first 2 shown]
	v_cndmask_b32_e64 v3, 0, 1, vcc
	v_cmp_gt_u32_e32 vcc, s64, v2
	s_waitcnt lgkmcnt(0)
	v_mov_b32_e32 v2, v44
	v_mov_b32_e32 v4, v6
	;; [unrolled: 1-line block ×6, first 2 shown]
	s_mov_b64 s[20:21], 0
	v_pk_mov_b32 v[22:23], v[14:15], v[14:15] op_sel:[0,1]
	v_pk_mov_b32 v[20:21], v[12:13], v[12:13] op_sel:[0,1]
	;; [unrolled: 1-line block ×3, first 2 shown]
                                        ; implicit-def: $sgpr24_sgpr25
                                        ; implicit-def: $vgpr43
	s_and_saveexec_b64 s[18:19], vcc
	s_cbranch_execz .LBB176_78
; %bb.57:
	v_pk_mov_b32 v[16:17], s[10:11], s[10:11] op_sel:[0,1]
	v_add_u32_e32 v2, 3, v42
	v_cmp_ne_u32_e32 vcc, v35, v36
	v_pk_mov_b32 v[14:15], s[8:9], s[8:9] op_sel:[0,1]
	v_pk_mov_b32 v[12:13], s[6:7], s[6:7] op_sel:[0,1]
	;; [unrolled: 1-line block ×4, first 2 shown]
	v_cndmask_b32_e64 v5, 0, 1, vcc
	v_cmp_gt_u32_e32 vcc, s64, v2
	v_mov_b32_e32 v2, v44
	v_mov_b32_e32 v4, v45
	;; [unrolled: 1-line block ×5, first 2 shown]
	s_mov_b64 s[22:23], 0
	v_pk_mov_b32 v[22:23], v[14:15], v[14:15] op_sel:[0,1]
	v_pk_mov_b32 v[20:21], v[12:13], v[12:13] op_sel:[0,1]
	;; [unrolled: 1-line block ×3, first 2 shown]
                                        ; implicit-def: $sgpr4_sgpr5
                                        ; implicit-def: $vgpr43
	s_and_saveexec_b64 s[20:21], vcc
	s_cbranch_execz .LBB176_77
; %bb.58:
	ds_read2_b32 v[34:35], v1 offset0:3 offset1:4
	s_mov_b32 s4, 0
	s_mov_b32 s10, s4
	;; [unrolled: 1-line block ×8, first 2 shown]
	v_pk_mov_b32 v[16:17], s[10:11], s[10:11] op_sel:[0,1]
	v_add_u32_e32 v6, 4, v42
	v_cmp_ne_u32_e32 vcc, v36, v37
	v_pk_mov_b32 v[14:15], s[8:9], s[8:9] op_sel:[0,1]
	v_pk_mov_b32 v[12:13], s[6:7], s[6:7] op_sel:[0,1]
	;; [unrolled: 1-line block ×4, first 2 shown]
	v_cndmask_b32_e64 v7, 0, 1, vcc
	v_cmp_gt_u32_e32 vcc, s64, v6
	s_waitcnt lgkmcnt(0)
	v_mov_b32_e32 v6, v34
	v_mov_b32_e32 v8, s4
	;; [unrolled: 1-line block ×3, first 2 shown]
	s_mov_b64 s[24:25], 0
	v_pk_mov_b32 v[22:23], v[14:15], v[14:15] op_sel:[0,1]
	v_pk_mov_b32 v[20:21], v[12:13], v[12:13] op_sel:[0,1]
	;; [unrolled: 1-line block ×3, first 2 shown]
                                        ; implicit-def: $sgpr26_sgpr27
                                        ; implicit-def: $vgpr43
	s_and_saveexec_b64 s[22:23], vcc
	s_cbranch_execz .LBB176_76
; %bb.59:
	v_pk_mov_b32 v[16:17], s[10:11], s[10:11] op_sel:[0,1]
	v_add_u32_e32 v8, 5, v42
	v_cmp_ne_u32_e32 vcc, v37, v30
	v_pk_mov_b32 v[14:15], s[8:9], s[8:9] op_sel:[0,1]
	v_pk_mov_b32 v[12:13], s[6:7], s[6:7] op_sel:[0,1]
	;; [unrolled: 1-line block ×4, first 2 shown]
	v_cndmask_b32_e64 v9, 0, 1, vcc
	v_cmp_gt_u32_e32 vcc, s64, v8
	v_mov_b32_e32 v8, v35
	s_mov_b64 s[28:29], 0
	v_pk_mov_b32 v[22:23], v[14:15], v[14:15] op_sel:[0,1]
	v_pk_mov_b32 v[20:21], v[12:13], v[12:13] op_sel:[0,1]
	;; [unrolled: 1-line block ×3, first 2 shown]
                                        ; implicit-def: $sgpr4_sgpr5
                                        ; implicit-def: $vgpr43
	s_and_saveexec_b64 s[24:25], vcc
	s_cbranch_execz .LBB176_75
; %bb.60:
	ds_read2_b32 v[34:35], v1 offset0:5 offset1:6
	s_mov_b32 s4, 0
	s_mov_b32 s10, s4
	;; [unrolled: 1-line block ×3, first 2 shown]
	v_add_u32_e32 v10, 6, v42
	v_cmp_ne_u32_e32 vcc, v30, v31
	v_mov_b32_e32 v14, 0
	s_mov_b32 s5, s4
	s_mov_b32 s6, s4
	;; [unrolled: 1-line block ×5, first 2 shown]
	v_pk_mov_b32 v[24:25], s[10:11], s[10:11] op_sel:[0,1]
	v_cndmask_b32_e64 v11, 0, 1, vcc
	v_cmp_gt_u32_e32 vcc, s64, v10
	s_waitcnt lgkmcnt(0)
	v_mov_b32_e32 v10, v34
	v_mov_b32_e32 v12, v14
	;; [unrolled: 1-line block ×6, first 2 shown]
	v_pk_mov_b32 v[22:23], s[8:9], s[8:9] op_sel:[0,1]
	v_pk_mov_b32 v[20:21], s[6:7], s[6:7] op_sel:[0,1]
	;; [unrolled: 1-line block ×3, first 2 shown]
                                        ; implicit-def: $sgpr34_sgpr35
                                        ; implicit-def: $vgpr43
	s_and_saveexec_b64 s[26:27], vcc
	s_cbranch_execz .LBB176_74
; %bb.61:
	v_add_u32_e32 v10, 7, v42
	v_cmp_ne_u32_e32 vcc, v31, v32
	v_pk_mov_b32 v[24:25], s[10:11], s[10:11] op_sel:[0,1]
	v_cndmask_b32_e64 v13, 0, 1, vcc
	v_cmp_gt_u32_e32 vcc, s64, v10
	v_mov_b32_e32 v10, v34
	v_mov_b32_e32 v12, v35
	;; [unrolled: 1-line block ×5, first 2 shown]
	s_mov_b64 s[30:31], 0
	v_pk_mov_b32 v[22:23], s[8:9], s[8:9] op_sel:[0,1]
	v_pk_mov_b32 v[20:21], s[6:7], s[6:7] op_sel:[0,1]
	;; [unrolled: 1-line block ×3, first 2 shown]
                                        ; implicit-def: $sgpr4_sgpr5
                                        ; implicit-def: $vgpr43
	s_and_saveexec_b64 s[28:29], vcc
	s_cbranch_execz .LBB176_73
; %bb.62:
	ds_read2_b32 v[30:31], v1 offset0:7 offset1:8
	s_mov_b32 s4, 0
	s_mov_b32 s10, s4
	;; [unrolled: 1-line block ×3, first 2 shown]
	v_add_u32_e32 v14, 8, v42
	v_cmp_ne_u32_e32 vcc, v32, v33
	s_mov_b32 s5, s4
	s_mov_b32 s6, s4
	;; [unrolled: 1-line block ×5, first 2 shown]
	v_pk_mov_b32 v[24:25], s[10:11], s[10:11] op_sel:[0,1]
	v_cndmask_b32_e64 v15, 0, 1, vcc
	v_cmp_gt_u32_e32 vcc, s64, v14
	s_waitcnt lgkmcnt(0)
	v_mov_b32_e32 v14, v30
	v_mov_b32_e32 v16, s4
	;; [unrolled: 1-line block ×3, first 2 shown]
	s_mov_b64 s[34:35], 0
	v_pk_mov_b32 v[22:23], s[8:9], s[8:9] op_sel:[0,1]
	v_pk_mov_b32 v[20:21], s[6:7], s[6:7] op_sel:[0,1]
	;; [unrolled: 1-line block ×3, first 2 shown]
                                        ; implicit-def: $sgpr48_sgpr49
                                        ; implicit-def: $vgpr43
	s_and_saveexec_b64 s[30:31], vcc
	s_cbranch_execz .LBB176_72
; %bb.63:
	v_add_u32_e32 v16, 9, v42
	v_cmp_ne_u32_e32 vcc, v33, v26
	v_pk_mov_b32 v[24:25], s[10:11], s[10:11] op_sel:[0,1]
	v_cndmask_b32_e64 v17, 0, 1, vcc
	v_cmp_gt_u32_e32 vcc, s64, v16
	v_mov_b32_e32 v16, v31
	v_pk_mov_b32 v[22:23], s[8:9], s[8:9] op_sel:[0,1]
	v_pk_mov_b32 v[20:21], s[6:7], s[6:7] op_sel:[0,1]
	;; [unrolled: 1-line block ×3, first 2 shown]
                                        ; implicit-def: $sgpr8_sgpr9
                                        ; implicit-def: $vgpr43
	s_and_saveexec_b64 s[6:7], vcc
	s_cbranch_execz .LBB176_71
; %bb.64:
	ds_read2_b32 v[30:31], v1 offset0:9 offset1:10
	v_add_u32_e32 v18, 10, v42
	v_cmp_ne_u32_e32 vcc, v26, v27
	v_mov_b32_e32 v22, 0
	v_cndmask_b32_e64 v19, 0, 1, vcc
	v_cmp_gt_u32_e32 vcc, s64, v18
	s_waitcnt lgkmcnt(0)
	v_mov_b32_e32 v18, v30
	v_mov_b32_e32 v20, v22
	v_mov_b32_e32 v21, v22
	v_mov_b32_e32 v23, v22
	v_mov_b32_e32 v24, v22
	v_mov_b32_e32 v25, v22
	s_mov_b64 s[4:5], 0
                                        ; implicit-def: $sgpr10_sgpr11
                                        ; implicit-def: $vgpr43
	s_and_saveexec_b64 s[8:9], vcc
	s_cbranch_execz .LBB176_70
; %bb.65:
	v_add_u32_e32 v18, 11, v42
	v_cmp_ne_u32_e32 vcc, v27, v28
	v_cndmask_b32_e64 v21, 0, 1, vcc
	v_cmp_gt_u32_e32 vcc, s64, v18
	s_mov_b32 s48, 0
	v_mov_b32_e32 v18, v30
	v_mov_b32_e32 v20, v31
	;; [unrolled: 1-line block ×5, first 2 shown]
                                        ; implicit-def: $sgpr34_sgpr35
                                        ; implicit-def: $vgpr43
	s_and_saveexec_b64 s[10:11], vcc
	s_cbranch_execz .LBB176_69
; %bb.66:
	ds_read2_b32 v[26:27], v1 offset0:11 offset1:12
	v_add_u32_e32 v22, 12, v42
	v_cmp_ne_u32_e32 vcc, v28, v29
	v_cndmask_b32_e64 v23, 0, 1, vcc
	v_cmp_gt_u32_e32 vcc, s64, v22
	s_waitcnt lgkmcnt(0)
	v_mov_b32_e32 v22, v26
	v_mov_b32_e32 v24, s48
	v_mov_b32_e32 v25, s48
                                        ; implicit-def: $sgpr34_sgpr35
                                        ; implicit-def: $vgpr43
	s_and_saveexec_b64 s[48:49], vcc
	s_xor_b64 s[48:49], exec, s[48:49]
	s_cbranch_execz .LBB176_68
; %bb.67:
	ds_read_b32 v43, v1 offset:52
	v_add_u32_e32 v1, 13, v42
	v_cmp_ne_u32_e64 s[4:5], v29, v40
	v_cmp_ne_u32_e32 vcc, v40, v41
	v_cndmask_b32_e64 v25, 0, 1, s[4:5]
	v_cmp_gt_u32_e64 s[4:5], s64, v1
	v_mov_b32_e32 v24, v27
	s_and_b64 s[34:35], vcc, exec
	s_and_b64 s[4:5], s[4:5], exec
.LBB176_68:
	s_or_b64 exec, exec, s[48:49]
	s_and_b64 s[34:35], s[34:35], exec
	s_and_b64 s[4:5], s[4:5], exec
.LBB176_69:
	s_or_b64 exec, exec, s[10:11]
	s_and_b64 s[10:11], s[34:35], exec
	s_and_b64 s[4:5], s[4:5], exec
.LBB176_70:
	s_or_b64 exec, exec, s[8:9]
	s_and_b64 s[8:9], s[10:11], exec
	s_and_b64 s[34:35], s[4:5], exec
.LBB176_71:
	s_or_b64 exec, exec, s[6:7]
	s_and_b64 s[48:49], s[8:9], exec
	s_and_b64 s[34:35], s[34:35], exec
.LBB176_72:
	s_or_b64 exec, exec, s[30:31]
	s_and_b64 s[4:5], s[48:49], exec
	s_and_b64 s[30:31], s[34:35], exec
.LBB176_73:
	s_or_b64 exec, exec, s[28:29]
	s_and_b64 s[34:35], s[4:5], exec
	s_and_b64 s[28:29], s[30:31], exec
.LBB176_74:
	s_or_b64 exec, exec, s[26:27]
	s_and_b64 s[4:5], s[34:35], exec
	s_and_b64 s[28:29], s[28:29], exec
.LBB176_75:
	s_or_b64 exec, exec, s[24:25]
	s_and_b64 s[26:27], s[4:5], exec
	s_and_b64 s[24:25], s[28:29], exec
.LBB176_76:
	s_or_b64 exec, exec, s[22:23]
	s_and_b64 s[4:5], s[26:27], exec
	s_and_b64 s[22:23], s[24:25], exec
.LBB176_77:
	s_or_b64 exec, exec, s[20:21]
	s_and_b64 s[24:25], s[4:5], exec
	s_and_b64 s[20:21], s[22:23], exec
.LBB176_78:
	s_or_b64 exec, exec, s[18:19]
	s_and_b64 s[4:5], s[24:25], exec
	s_and_b64 s[18:19], s[20:21], exec
.LBB176_79:
	s_or_b64 exec, exec, s[16:17]
	s_and_b64 s[16:17], s[4:5], exec
	s_and_b64 s[18:19], s[18:19], exec
.LBB176_80:
	s_or_b64 exec, exec, s[14:15]
	s_and_b64 vcc, exec, s[12:13]
	v_lshlrev_b32_e32 v50, 2, v0
	s_cbranch_vccnz .LBB176_82
	s_branch .LBB176_90
.LBB176_81:
                                        ; implicit-def: $sgpr16_sgpr17
                                        ; implicit-def: $vgpr2_vgpr3_vgpr4_vgpr5_vgpr6_vgpr7_vgpr8_vgpr9
                                        ; implicit-def: $vgpr10_vgpr11_vgpr12_vgpr13_vgpr14_vgpr15_vgpr16_vgpr17
                                        ; implicit-def: $vgpr18_vgpr19_vgpr20_vgpr21_vgpr22_vgpr23_vgpr24_vgpr25
                                        ; implicit-def: $vgpr43
                                        ; implicit-def: $vgpr38_vgpr39
	s_and_b64 vcc, exec, s[12:13]
	v_lshlrev_b32_e32 v50, 2, v0
	s_cbranch_vccz .LBB176_90
.LBB176_82:
	v_mov_b32_e32 v1, s43
	v_add_co_u32_e32 v2, vcc, s42, v50
	v_addc_co_u32_e32 v3, vcc, 0, v1, vcc
	v_add_co_u32_e32 v4, vcc, 0x1000, v2
	v_addc_co_u32_e32 v5, vcc, 0, v3, vcc
	flat_load_dword v6, v[2:3]
	flat_load_dword v7, v[2:3] offset:1024
	flat_load_dword v8, v[2:3] offset:2048
	flat_load_dword v9, v[2:3] offset:3072
	flat_load_dword v10, v[4:5]
	flat_load_dword v11, v[4:5] offset:1024
	flat_load_dword v12, v[4:5] offset:2048
	flat_load_dword v13, v[4:5] offset:3072
	v_add_co_u32_e32 v4, vcc, 0x2000, v2
	v_addc_co_u32_e32 v5, vcc, 0, v3, vcc
	v_add_co_u32_e32 v2, vcc, 0x3000, v2
	v_addc_co_u32_e32 v3, vcc, 0, v3, vcc
	flat_load_dword v14, v[4:5]
	flat_load_dword v15, v[4:5] offset:1024
	flat_load_dword v16, v[4:5] offset:2048
	;; [unrolled: 1-line block ×3, first 2 shown]
	flat_load_dword v18, v[2:3]
	flat_load_dword v19, v[2:3] offset:1024
	v_mad_u32_u24 v1, v0, 52, v50
	s_cmp_eq_u64 s[52:53], 0
	s_waitcnt vmcnt(0) lgkmcnt(0)
	ds_write2st64_b32 v50, v6, v7 offset1:4
	ds_write2st64_b32 v50, v8, v9 offset0:8 offset1:12
	ds_write2st64_b32 v50, v10, v11 offset0:16 offset1:20
	;; [unrolled: 1-line block ×6, first 2 shown]
	s_waitcnt lgkmcnt(0)
	s_barrier
	ds_read2_b64 v[2:5], v1 offset1:1
	ds_read2_b64 v[10:13], v1 offset0:2 offset1:3
	ds_read2_b64 v[18:21], v1 offset0:4 offset1:5
	ds_read_b64 v[6:7], v1 offset:48
	s_cbranch_scc1 .LBB176_87
; %bb.83:
	s_andn2_b64 vcc, exec, s[44:45]
	s_cbranch_vccnz .LBB176_242
; %bb.84:
	s_lshl_b64 s[4:5], s[52:53], 2
	s_add_u32 s4, s54, s4
	s_addc_u32 s5, s55, s5
	s_add_u32 s4, s4, -4
	s_addc_u32 s5, s5, -1
	s_cbranch_execnz .LBB176_86
.LBB176_85:
	s_add_u32 s4, s42, -4
	s_addc_u32 s5, s43, -1
.LBB176_86:
	s_mov_b64 s[42:43], s[4:5]
.LBB176_87:
	v_pk_mov_b32 v[8:9], s[42:43], s[42:43] op_sel:[0,1]
	flat_load_dword v8, v[8:9]
	s_movk_i32 s4, 0xffcc
	v_mad_i32_i24 v9, v0, s4, v1
	s_waitcnt lgkmcnt(0)
	ds_write_b32 v9, v7 offset:14336
	s_waitcnt lgkmcnt(0)
	s_barrier
	s_and_saveexec_b64 s[4:5], s[36:37]
	s_cbranch_execz .LBB176_89
; %bb.88:
	s_waitcnt vmcnt(0)
	v_mul_i32_i24_e32 v8, 0xffffffcc, v0
	v_add_u32_e32 v8, v1, v8
	ds_read_b32 v8, v8 offset:14332
.LBB176_89:
	s_or_b64 exec, exec, s[4:5]
	v_mov_b32_e32 v9, s63
	v_add_co_u32_e32 v14, vcc, s62, v50
	v_addc_co_u32_e32 v15, vcc, 0, v9, vcc
	s_movk_i32 s4, 0x1000
	v_add_co_u32_e32 v16, vcc, s4, v14
	v_addc_co_u32_e32 v17, vcc, 0, v15, vcc
	s_movk_i32 s4, 0x2000
	s_waitcnt lgkmcnt(0)
	s_barrier
	flat_load_dword v22, v[14:15]
	flat_load_dword v24, v[14:15] offset:1024
	flat_load_dword v26, v[14:15] offset:2048
	;; [unrolled: 1-line block ×3, first 2 shown]
	flat_load_dword v28, v[16:17]
	flat_load_dword v29, v[16:17] offset:1024
	flat_load_dword v30, v[16:17] offset:2048
	;; [unrolled: 1-line block ×3, first 2 shown]
	v_add_co_u32_e32 v16, vcc, s4, v14
	v_addc_co_u32_e32 v17, vcc, 0, v15, vcc
	s_movk_i32 s4, 0x3000
	v_add_co_u32_e32 v14, vcc, s4, v14
	v_addc_co_u32_e32 v15, vcc, 0, v15, vcc
	flat_load_dword v32, v[16:17]
	flat_load_dword v33, v[16:17] offset:1024
	flat_load_dword v34, v[16:17] offset:2048
	flat_load_dword v35, v[16:17] offset:3072
	flat_load_dword v36, v[14:15]
	flat_load_dword v37, v[14:15] offset:1024
	s_waitcnt vmcnt(0)
	v_cmp_ne_u32_e32 vcc, v8, v2
	v_cndmask_b32_e64 v39, 0, 1, vcc
	v_cmp_ne_u32_e32 vcc, v5, v10
	v_cndmask_b32_e64 v9, 0, 1, vcc
	v_cmp_ne_u32_e32 vcc, v4, v5
	v_cmp_ne_u32_e64 s[16:17], v6, v7
	v_cndmask_b32_e64 v7, 0, 1, vcc
	v_cmp_ne_u32_e32 vcc, v3, v4
	v_cndmask_b32_e64 v5, 0, 1, vcc
	v_cmp_ne_u32_e32 vcc, v2, v3
	;; [unrolled: 2-line block ×10, first 2 shown]
	v_cndmask_b32_e64 v19, 0, 1, vcc
	s_mov_b64 s[18:19], -1
                                        ; implicit-def: $sgpr12_sgpr13
	s_waitcnt lgkmcnt(0)
	ds_write2st64_b32 v50, v22, v24 offset1:4
	ds_write2st64_b32 v50, v26, v27 offset0:8 offset1:12
	ds_write2st64_b32 v50, v28, v29 offset0:16 offset1:20
	ds_write2st64_b32 v50, v30, v31 offset0:24 offset1:28
	ds_write2st64_b32 v50, v32, v33 offset0:32 offset1:36
	ds_write2st64_b32 v50, v34, v35 offset0:40 offset1:44
	ds_write2st64_b32 v50, v36, v37 offset0:48 offset1:52
	s_waitcnt lgkmcnt(0)
	s_barrier
	ds_read2_b32 v[42:43], v1 offset1:13
	ds_read2_b32 v[26:27], v1 offset0:7 offset1:8
	ds_read2_b32 v[28:29], v1 offset0:5 offset1:6
	;; [unrolled: 1-line block ×6, first 2 shown]
	s_waitcnt lgkmcnt(6)
	v_mov_b32_e32 v38, v42
	s_waitcnt lgkmcnt(4)
	v_mov_b32_e32 v10, v28
	;; [unrolled: 2-line block ×4, first 2 shown]
	v_mov_b32_e32 v4, v33
	v_mov_b32_e32 v8, v31
	v_mov_b32_e32 v12, v29
	v_mov_b32_e32 v14, v26
	v_mov_b32_e32 v16, v27
	s_waitcnt lgkmcnt(0)
	v_mov_b32_e32 v18, v36
	v_mov_b32_e32 v20, v37
	;; [unrolled: 1-line block ×4, first 2 shown]
.LBB176_90:
	v_pk_mov_b32 v[40:41], s[12:13], s[12:13] op_sel:[0,1]
	s_and_saveexec_b64 s[4:5], s[18:19]
	s_cbranch_execz .LBB176_92
; %bb.91:
	v_cndmask_b32_e64 v41, 0, 1, s[16:17]
	s_waitcnt lgkmcnt(0)
	v_mov_b32_e32 v40, v43
.LBB176_92:
	s_or_b64 exec, exec, s[4:5]
	s_mov_b32 s4, 0
	s_cmp_lg_u32 s59, 0
	v_mbcnt_lo_u32_b32 v1, -1, 0
	s_waitcnt lgkmcnt(0)
	s_barrier
	s_cbranch_scc0 .LBB176_165
; %bb.93:
	s_mov_b32 s5, 1
	v_cmp_gt_u64_e64 s[6:7], s[4:5], v[2:3]
	v_cndmask_b32_e64 v27, 1, v38, s[6:7]
	v_mul_lo_u32 v27, v27, v2
	v_cmp_gt_u64_e64 s[8:9], s[4:5], v[4:5]
	v_cndmask_b32_e64 v27, 1, v27, s[8:9]
	v_mul_lo_u32 v27, v27, v4
	v_cmp_gt_u64_e64 s[10:11], s[4:5], v[6:7]
	v_cndmask_b32_e64 v27, 1, v27, s[10:11]
	v_mul_lo_u32 v27, v27, v6
	v_cmp_gt_u64_e64 s[12:13], s[4:5], v[8:9]
	v_cndmask_b32_e64 v27, 1, v27, s[12:13]
	v_mul_lo_u32 v27, v27, v8
	v_cmp_gt_u64_e64 s[14:15], s[4:5], v[10:11]
	v_cndmask_b32_e64 v27, 1, v27, s[14:15]
	v_mul_lo_u32 v27, v27, v10
	v_cmp_gt_u64_e64 s[16:17], s[4:5], v[12:13]
	v_cndmask_b32_e64 v27, 1, v27, s[16:17]
	v_mul_lo_u32 v27, v27, v12
	v_cmp_gt_u64_e64 s[18:19], s[4:5], v[14:15]
	v_cndmask_b32_e64 v27, 1, v27, s[18:19]
	v_mul_lo_u32 v27, v27, v14
	v_cmp_gt_u64_e64 s[20:21], s[4:5], v[16:17]
	v_cndmask_b32_e64 v27, 1, v27, s[20:21]
	v_mul_lo_u32 v27, v27, v16
	v_cmp_gt_u64_e64 s[22:23], s[4:5], v[18:19]
	v_cndmask_b32_e64 v27, 1, v27, s[22:23]
	v_mul_lo_u32 v27, v27, v18
	v_cmp_gt_u64_e64 s[24:25], s[4:5], v[20:21]
	v_cndmask_b32_e64 v27, 1, v27, s[24:25]
	v_mul_lo_u32 v27, v27, v20
	v_cmp_gt_u64_e64 s[26:27], s[4:5], v[22:23]
	v_cndmask_b32_e64 v27, 1, v27, s[26:27]
	v_mul_lo_u32 v27, v27, v22
	v_cmp_gt_u64_e64 s[28:29], s[4:5], v[24:25]
	v_cndmask_b32_e64 v27, 1, v27, s[28:29]
	v_mul_lo_u32 v27, v27, v24
	v_cmp_gt_u64_e64 s[30:31], s[4:5], v[40:41]
	v_cndmask_b32_e64 v27, 1, v27, s[30:31]
	v_mul_lo_u32 v28, v27, v40
	v_or3_b32 v27, v41, v25, v23
	v_or3_b32 v27, v27, v21, v19
	;; [unrolled: 1-line block ×6, first 2 shown]
	v_mov_b32_e32 v26, 0
	v_and_b32_e32 v27, 1, v27
	v_cmp_eq_u64_e32 vcc, 0, v[26:27]
	v_mbcnt_hi_u32_b32 v37, -1, v1
	v_cndmask_b32_e32 v29, 1, v39, vcc
	v_and_b32_e32 v26, 15, v37
	v_mov_b32_dpp v30, v28 row_shr:1 row_mask:0xf bank_mask:0xf
	v_mov_b32_dpp v27, v29 row_shr:1 row_mask:0xf bank_mask:0xf
	v_cmp_ne_u32_e32 vcc, 0, v26
	s_and_saveexec_b64 s[4:5], vcc
; %bb.94:
	v_cmp_eq_u32_e32 vcc, 0, v29
	v_and_b32_e32 v29, 1, v29
	v_cndmask_b32_e32 v30, 1, v30, vcc
	v_and_b32_e32 v27, 1, v27
	v_cmp_eq_u32_e32 vcc, 1, v29
	v_mul_lo_u32 v28, v30, v28
	v_cndmask_b32_e64 v29, v27, 1, vcc
; %bb.95:
	s_or_b64 exec, exec, s[4:5]
	v_mov_b32_dpp v30, v28 row_shr:2 row_mask:0xf bank_mask:0xf
	v_mov_b32_dpp v27, v29 row_shr:2 row_mask:0xf bank_mask:0xf
	v_cmp_lt_u32_e32 vcc, 1, v26
	s_and_saveexec_b64 s[4:5], vcc
; %bb.96:
	v_cmp_eq_u32_e32 vcc, 0, v29
	v_and_b32_e32 v29, 1, v29
	v_cndmask_b32_e32 v30, 1, v30, vcc
	v_and_b32_e32 v27, 1, v27
	v_cmp_eq_u32_e32 vcc, 1, v29
	v_mul_lo_u32 v28, v30, v28
	v_cndmask_b32_e64 v29, v27, 1, vcc
; %bb.97:
	s_or_b64 exec, exec, s[4:5]
	v_mov_b32_dpp v30, v28 row_shr:4 row_mask:0xf bank_mask:0xf
	v_mov_b32_dpp v27, v29 row_shr:4 row_mask:0xf bank_mask:0xf
	v_cmp_lt_u32_e32 vcc, 3, v26
	;; [unrolled: 14-line block ×3, first 2 shown]
	s_and_saveexec_b64 s[4:5], vcc
; %bb.100:
	v_cmp_eq_u32_e32 vcc, 0, v29
	v_cndmask_b32_e32 v26, 1, v30, vcc
	v_mul_lo_u32 v28, v26, v28
	v_and_b32_e32 v26, 1, v29
	v_and_b32_e32 v27, 1, v27
	v_cmp_eq_u32_e32 vcc, 1, v26
	v_cndmask_b32_e64 v29, v27, 1, vcc
; %bb.101:
	s_or_b64 exec, exec, s[4:5]
	v_and_b32_e32 v30, 16, v37
	v_mov_b32_dpp v27, v28 row_bcast:15 row_mask:0xf bank_mask:0xf
	v_mov_b32_dpp v26, v29 row_bcast:15 row_mask:0xf bank_mask:0xf
	v_cmp_ne_u32_e32 vcc, 0, v30
	s_and_saveexec_b64 s[4:5], vcc
; %bb.102:
	v_cmp_eq_u32_e32 vcc, 0, v29
	v_cndmask_b32_e32 v27, 1, v27, vcc
	v_mul_lo_u32 v28, v27, v28
	v_and_b32_e32 v27, 1, v29
	v_and_b32_e32 v26, 1, v26
	v_cmp_eq_u32_e32 vcc, 1, v27
	v_cndmask_b32_e64 v29, v26, 1, vcc
; %bb.103:
	s_or_b64 exec, exec, s[4:5]
	v_mov_b32_dpp v27, v28 row_bcast:31 row_mask:0xf bank_mask:0xf
	v_mov_b32_dpp v26, v29 row_bcast:31 row_mask:0xf bank_mask:0xf
	v_cmp_lt_u32_e32 vcc, 31, v37
	s_and_saveexec_b64 s[4:5], vcc
; %bb.104:
	v_cmp_eq_u32_e32 vcc, 0, v29
	v_cndmask_b32_e32 v27, 1, v27, vcc
	v_mul_lo_u32 v28, v27, v28
	v_and_b32_e32 v27, 1, v29
	v_and_b32_e32 v26, 1, v26
	v_cmp_eq_u32_e32 vcc, 1, v27
	v_cndmask_b32_e64 v29, v26, 1, vcc
; %bb.105:
	s_or_b64 exec, exec, s[4:5]
	v_or_b32_e32 v26, 63, v0
	v_lshrrev_b32_e32 v30, 6, v0
	v_cmp_eq_u32_e32 vcc, v26, v0
	s_and_saveexec_b64 s[4:5], vcc
	s_cbranch_execz .LBB176_107
; %bb.106:
	v_lshlrev_b32_e32 v26, 3, v30
	ds_write_b32 v26, v28
	ds_write_b8 v26, v29 offset:4
.LBB176_107:
	s_or_b64 exec, exec, s[4:5]
	v_cmp_gt_u32_e32 vcc, 4, v0
	s_waitcnt lgkmcnt(0)
	s_barrier
	s_and_saveexec_b64 s[4:5], vcc
	s_cbranch_execz .LBB176_113
; %bb.108:
	v_lshlrev_b32_e32 v31, 3, v0
	ds_read_b64 v[26:27], v31
	v_and_b32_e32 v32, 3, v37
	v_cmp_ne_u32_e32 vcc, 0, v32
	s_waitcnt lgkmcnt(0)
	v_mov_b32_dpp v35, v26 row_shr:1 row_mask:0xf bank_mask:0xf
	v_mov_b32_dpp v34, v27 row_shr:1 row_mask:0xf bank_mask:0xf
	v_mov_b32_e32 v33, v27
	s_and_saveexec_b64 s[34:35], vcc
	s_cbranch_execz .LBB176_110
; %bb.109:
	v_mov_b32_e32 v33, 0
	v_cmp_eq_u16_sdwa vcc, v27, v33 src0_sel:BYTE_0 src1_sel:DWORD
	v_cndmask_b32_e32 v33, 1, v35, vcc
	v_mul_lo_u32 v26, v33, v26
	v_and_b32_e32 v33, 1, v27
	v_and_b32_e32 v34, 1, v34
	v_cmp_eq_u32_e32 vcc, 1, v33
	v_cndmask_b32_e64 v34, v34, 1, vcc
	v_and_b32_e32 v33, 0xffff, v34
	s_movk_i32 s42, 0xff00
	v_and_or_b32 v33, v27, s42, v33
	v_mov_b32_e32 v27, v34
.LBB176_110:
	s_or_b64 exec, exec, s[34:35]
	v_mov_b32_dpp v34, v26 row_shr:2 row_mask:0xf bank_mask:0xf
	v_mov_b32_dpp v33, v33 row_shr:2 row_mask:0xf bank_mask:0xf
	v_cmp_lt_u32_e32 vcc, 1, v32
	s_and_saveexec_b64 s[34:35], vcc
; %bb.111:
	v_mov_b32_e32 v32, 0
	v_cmp_eq_u16_sdwa vcc, v27, v32 src0_sel:BYTE_0 src1_sel:DWORD
	v_cndmask_b32_e32 v32, 1, v34, vcc
	v_and_b32_e32 v27, 1, v27
	v_mul_lo_u32 v26, v32, v26
	v_and_b32_e32 v32, 1, v33
	v_cmp_eq_u32_e32 vcc, 1, v27
	v_cndmask_b32_e64 v27, v32, 1, vcc
; %bb.112:
	s_or_b64 exec, exec, s[34:35]
	ds_write_b32 v31, v26
	ds_write_b8 v31, v27 offset:4
.LBB176_113:
	s_or_b64 exec, exec, s[4:5]
	v_mov_b32_e32 v34, v39
	v_cmp_gt_u32_e32 vcc, 64, v0
	v_cmp_lt_u32_e64 s[4:5], 63, v0
	v_mov_b32_e32 v35, 0
	v_mov_b32_e32 v44, 0
	s_waitcnt lgkmcnt(0)
	s_barrier
	s_and_saveexec_b64 s[34:35], s[4:5]
	s_cbranch_execz .LBB176_115
; %bb.114:
	v_lshl_add_u32 v26, v30, 3, -8
	ds_read_b32 v35, v26
	ds_read_u8 v44, v26 offset:4
	v_and_b32_e32 v26, 1, v29
	v_cmp_eq_u32_e64 s[4:5], 0, v29
	s_waitcnt lgkmcnt(1)
	v_cndmask_b32_e64 v27, 1, v35, s[4:5]
	s_waitcnt lgkmcnt(0)
	v_and_b32_e32 v29, 1, v44
	v_cmp_eq_u32_e64 s[4:5], 1, v26
	v_mul_lo_u32 v28, v27, v28
	v_cndmask_b32_e64 v29, v29, 1, s[4:5]
.LBB176_115:
	s_or_b64 exec, exec, s[34:35]
	v_add_u32_e32 v26, -1, v37
	v_and_b32_e32 v27, 64, v37
	v_cmp_lt_i32_e64 s[4:5], v26, v27
	v_cndmask_b32_e64 v26, v26, v37, s[4:5]
	v_lshlrev_b32_e32 v26, 2, v26
	ds_bpermute_b32 v45, v26, v28
	ds_bpermute_b32 v46, v26, v29
	v_cmp_eq_u32_e64 s[34:35], 0, v37
	s_and_saveexec_b64 s[4:5], vcc
	s_cbranch_execz .LBB176_162
; %bb.116:
	v_mov_b32_e32 v29, 0
	ds_read_b64 v[26:27], v29 offset:24
	s_waitcnt lgkmcnt(0)
	v_readfirstlane_b32 s52, v27
	s_and_saveexec_b64 s[42:43], s[34:35]
	s_cbranch_execz .LBB176_118
; %bb.117:
	s_add_i32 s44, s59, 64
	s_mov_b32 s45, 0
	s_lshl_b64 s[48:49], s[44:45], 4
	s_add_u32 s48, s56, s48
	s_addc_u32 s49, s57, s49
	s_and_b32 s55, s52, 0xff000000
	s_mov_b32 s54, s45
	s_and_b32 s63, s52, 0xff0000
	s_mov_b32 s62, s45
	s_or_b64 s[54:55], s[62:63], s[54:55]
	s_and_b32 s63, s52, 0xff00
	s_or_b64 s[54:55], s[54:55], s[62:63]
	s_and_b32 s63, s52, 0xff
	s_or_b64 s[44:45], s[54:55], s[62:63]
	v_mov_b32_e32 v27, s45
	v_mov_b32_e32 v28, 1
	v_pk_mov_b32 v[30:31], s[48:49], s[48:49] op_sel:[0,1]
	;;#ASMSTART
	global_store_dwordx4 v[30:31], v[26:29] off	
s_waitcnt vmcnt(0)
	;;#ASMEND
.LBB176_118:
	s_or_b64 exec, exec, s[42:43]
	v_xad_u32 v36, v37, -1, s59
	v_add_u32_e32 v28, 64, v36
	v_lshlrev_b64 v[30:31], 4, v[28:29]
	v_mov_b32_e32 v27, s57
	v_add_co_u32_e32 v42, vcc, s56, v30
	v_addc_co_u32_e32 v43, vcc, v27, v31, vcc
	;;#ASMSTART
	global_load_dwordx4 v[30:33], v[42:43] off glc	
s_waitcnt vmcnt(0)
	;;#ASMEND
	v_and_b32_e32 v27, 0xff0000, v30
	v_or_b32_sdwa v27, v30, v27 dst_sel:DWORD dst_unused:UNUSED_PAD src0_sel:WORD_0 src1_sel:DWORD
	v_and_b32_e32 v28, 0xff000000, v30
	v_and_b32_e32 v30, 0xff, v31
	v_or3_b32 v31, 0, 0, v30
	v_or3_b32 v30, v27, v28, 0
	v_cmp_eq_u16_sdwa s[44:45], v32, v29 src0_sel:BYTE_0 src1_sel:DWORD
	s_and_saveexec_b64 s[42:43], s[44:45]
	s_cbranch_execz .LBB176_124
; %bb.119:
	s_mov_b32 s48, 1
	s_mov_b64 s[44:45], 0
	v_mov_b32_e32 v27, 0
.LBB176_120:                            ; =>This Loop Header: Depth=1
                                        ;     Child Loop BB176_121 Depth 2
	s_max_u32 s49, s48, 1
.LBB176_121:                            ;   Parent Loop BB176_120 Depth=1
                                        ; =>  This Inner Loop Header: Depth=2
	s_add_i32 s49, s49, -1
	s_cmp_eq_u32 s49, 0
	s_sleep 1
	s_cbranch_scc0 .LBB176_121
; %bb.122:                              ;   in Loop: Header=BB176_120 Depth=1
	s_cmp_lt_u32 s48, 32
	s_cselect_b64 s[54:55], -1, 0
	s_cmp_lg_u64 s[54:55], 0
	s_addc_u32 s48, s48, 0
	;;#ASMSTART
	global_load_dwordx4 v[30:33], v[42:43] off glc	
s_waitcnt vmcnt(0)
	;;#ASMEND
	v_cmp_ne_u16_sdwa s[54:55], v32, v27 src0_sel:BYTE_0 src1_sel:DWORD
	s_or_b64 s[44:45], s[54:55], s[44:45]
	s_andn2_b64 exec, exec, s[44:45]
	s_cbranch_execnz .LBB176_120
; %bb.123:
	s_or_b64 exec, exec, s[44:45]
	v_and_b32_e32 v31, 0xff, v31
.LBB176_124:
	s_or_b64 exec, exec, s[42:43]
	v_mov_b32_e32 v27, 2
	v_cmp_eq_u16_sdwa s[42:43], v32, v27 src0_sel:BYTE_0 src1_sel:DWORD
	v_lshlrev_b64 v[28:29], v37, -1
	v_and_b32_e32 v27, s43, v29
	v_or_b32_e32 v27, 0x80000000, v27
	v_ffbl_b32_e32 v27, v27
	v_add_u32_e32 v42, 32, v27
	v_and_b32_e32 v27, 63, v37
	v_cmp_ne_u32_e32 vcc, 63, v27
	v_addc_co_u32_e32 v43, vcc, 0, v37, vcc
	v_lshlrev_b32_e32 v47, 2, v43
	ds_bpermute_b32 v48, v47, v30
	ds_bpermute_b32 v43, v47, v31
	v_and_b32_e32 v33, s42, v28
	v_ffbl_b32_e32 v33, v33
	v_min_u32_e32 v33, v33, v42
	s_mov_b32 s44, 0
	v_cmp_lt_u32_e32 vcc, v27, v33
	v_mov_b32_e32 v42, v31
	s_and_saveexec_b64 s[42:43], vcc
	s_cbranch_execz .LBB176_126
; %bb.125:
	s_mov_b32 s45, 1
	v_cmp_gt_u64_e32 vcc, s[44:45], v[30:31]
	s_waitcnt lgkmcnt(1)
	v_cndmask_b32_e32 v42, 1, v48, vcc
	v_and_b32_e32 v31, 1, v31
	v_mul_lo_u32 v30, v42, v30
	s_waitcnt lgkmcnt(0)
	v_and_b32_e32 v42, 1, v43
	v_cmp_eq_u32_e32 vcc, 1, v31
	v_cndmask_b32_e64 v31, v42, 1, vcc
	v_and_b32_e32 v42, 0xffff, v31
.LBB176_126:
	s_or_b64 exec, exec, s[42:43]
	v_cmp_gt_u32_e32 vcc, 62, v27
	s_waitcnt lgkmcnt(0)
	v_cndmask_b32_e64 v43, 0, 1, vcc
	v_lshlrev_b32_e32 v43, 1, v43
	v_add_lshl_u32 v48, v43, v37, 2
	ds_bpermute_b32 v51, v48, v30
	ds_bpermute_b32 v43, v48, v42
	v_add_u32_e32 v49, 2, v27
	v_cmp_le_u32_e32 vcc, v49, v33
	s_and_saveexec_b64 s[42:43], vcc
	s_cbranch_execz .LBB176_128
; %bb.127:
	v_cmp_eq_u16_e32 vcc, 0, v31
	s_waitcnt lgkmcnt(1)
	v_cndmask_b32_e32 v42, 1, v51, vcc
	v_and_b32_e32 v31, 1, v31
	v_mul_lo_u32 v30, v42, v30
	s_waitcnt lgkmcnt(0)
	v_and_b32_e32 v42, 1, v43
	v_cmp_eq_u32_e32 vcc, 1, v31
	v_cndmask_b32_e64 v31, v42, 1, vcc
	v_and_b32_e32 v42, 0xffff, v31
.LBB176_128:
	s_or_b64 exec, exec, s[42:43]
	v_cmp_gt_u32_e32 vcc, 60, v27
	s_waitcnt lgkmcnt(0)
	v_cndmask_b32_e64 v43, 0, 1, vcc
	v_lshlrev_b32_e32 v43, 2, v43
	v_add_lshl_u32 v51, v43, v37, 2
	ds_bpermute_b32 v53, v51, v30
	ds_bpermute_b32 v43, v51, v42
	v_add_u32_e32 v52, 4, v27
	v_cmp_le_u32_e32 vcc, v52, v33
	s_and_saveexec_b64 s[42:43], vcc
	s_cbranch_execz .LBB176_130
; %bb.129:
	v_cmp_eq_u16_e32 vcc, 0, v31
	s_waitcnt lgkmcnt(1)
	v_cndmask_b32_e32 v42, 1, v53, vcc
	v_and_b32_e32 v31, 1, v31
	v_mul_lo_u32 v30, v42, v30
	s_waitcnt lgkmcnt(0)
	v_and_b32_e32 v42, 1, v43
	v_cmp_eq_u32_e32 vcc, 1, v31
	v_cndmask_b32_e64 v31, v42, 1, vcc
	v_and_b32_e32 v42, 0xffff, v31
.LBB176_130:
	;; [unrolled: 24-line block ×4, first 2 shown]
	s_or_b64 exec, exec, s[42:43]
	v_cmp_gt_u32_e32 vcc, 32, v27
	s_waitcnt lgkmcnt(0)
	v_cndmask_b32_e64 v43, 0, 1, vcc
	v_lshlrev_b32_e32 v43, 5, v43
	v_add_lshl_u32 v58, v43, v37, 2
	ds_bpermute_b32 v43, v58, v30
	ds_bpermute_b32 v37, v58, v42
	v_add_u32_e32 v59, 32, v27
	v_cmp_le_u32_e32 vcc, v59, v33
	s_and_saveexec_b64 s[42:43], vcc
	s_cbranch_execz .LBB176_136
; %bb.135:
	v_cmp_eq_u16_e32 vcc, 0, v31
	s_waitcnt lgkmcnt(1)
	v_cndmask_b32_e32 v33, 1, v43, vcc
	v_and_b32_e32 v31, 1, v31
	v_mul_lo_u32 v30, v33, v30
	s_waitcnt lgkmcnt(0)
	v_and_b32_e32 v33, 1, v37
	v_cmp_eq_u32_e32 vcc, 1, v31
	v_cndmask_b32_e64 v31, v33, 1, vcc
.LBB176_136:
	s_or_b64 exec, exec, s[42:43]
	s_mov_b32 s42, 0
	s_mov_b32 s43, 1
	s_waitcnt lgkmcnt(0)
	v_mov_b32_e32 v37, 0
	v_mov_b32_e32 v61, 2
	s_branch .LBB176_138
.LBB176_137:                            ;   in Loop: Header=BB176_138 Depth=1
	s_or_b64 exec, exec, s[44:45]
	v_cmp_eq_u16_sdwa vcc, v57, v37 src0_sel:BYTE_0 src1_sel:DWORD
	v_and_b32_e32 v33, 1, v57
	v_cndmask_b32_e32 v30, 1, v30, vcc
	v_and_b32_e32 v31, 1, v31
	v_cmp_eq_u32_e32 vcc, 1, v33
	v_subrev_u32_e32 v36, 64, v36
	v_mul_lo_u32 v30, v30, v60
	v_cndmask_b32_e64 v31, v31, 1, vcc
.LBB176_138:                            ; =>This Loop Header: Depth=1
                                        ;     Child Loop BB176_141 Depth 2
                                        ;       Child Loop BB176_142 Depth 3
	v_cmp_ne_u16_sdwa s[44:45], v32, v61 src0_sel:BYTE_0 src1_sel:DWORD
	v_mov_b32_e32 v57, v31
	v_cndmask_b32_e64 v31, 0, 1, s[44:45]
	;;#ASMSTART
	;;#ASMEND
	v_cmp_ne_u32_e32 vcc, 0, v31
	s_cmp_lg_u64 vcc, exec
	v_mov_b32_e32 v60, v30
	s_cbranch_scc1 .LBB176_157
; %bb.139:                              ;   in Loop: Header=BB176_138 Depth=1
	v_lshlrev_b64 v[30:31], 4, v[36:37]
	v_mov_b32_e32 v32, s57
	s_waitcnt lgkmcnt(0)
	v_add_co_u32_e32 v42, vcc, s56, v30
	v_addc_co_u32_e32 v43, vcc, v32, v31, vcc
	;;#ASMSTART
	global_load_dwordx4 v[30:33], v[42:43] off glc	
s_waitcnt vmcnt(0)
	;;#ASMEND
	v_and_b32_e32 v33, 0xff0000, v30
	v_or_b32_sdwa v33, v30, v33 dst_sel:DWORD dst_unused:UNUSED_PAD src0_sel:WORD_0 src1_sel:DWORD
	v_and_b32_e32 v30, 0xff000000, v30
	v_and_b32_e32 v31, 0xff, v31
	v_or3_b32 v31, 0, 0, v31
	v_or3_b32 v30, v33, v30, 0
	v_cmp_eq_u16_sdwa s[48:49], v32, v37 src0_sel:BYTE_0 src1_sel:DWORD
	s_and_saveexec_b64 s[44:45], s[48:49]
	s_cbranch_execz .LBB176_145
; %bb.140:                              ;   in Loop: Header=BB176_138 Depth=1
	s_mov_b32 s53, 1
	s_mov_b64 s[48:49], 0
.LBB176_141:                            ;   Parent Loop BB176_138 Depth=1
                                        ; =>  This Loop Header: Depth=2
                                        ;       Child Loop BB176_142 Depth 3
	s_max_u32 s54, s53, 1
.LBB176_142:                            ;   Parent Loop BB176_138 Depth=1
                                        ;     Parent Loop BB176_141 Depth=2
                                        ; =>    This Inner Loop Header: Depth=3
	s_add_i32 s54, s54, -1
	s_cmp_eq_u32 s54, 0
	s_sleep 1
	s_cbranch_scc0 .LBB176_142
; %bb.143:                              ;   in Loop: Header=BB176_141 Depth=2
	s_cmp_lt_u32 s53, 32
	s_cselect_b64 s[54:55], -1, 0
	s_cmp_lg_u64 s[54:55], 0
	s_addc_u32 s53, s53, 0
	;;#ASMSTART
	global_load_dwordx4 v[30:33], v[42:43] off glc	
s_waitcnt vmcnt(0)
	;;#ASMEND
	v_cmp_ne_u16_sdwa s[54:55], v32, v37 src0_sel:BYTE_0 src1_sel:DWORD
	s_or_b64 s[48:49], s[54:55], s[48:49]
	s_andn2_b64 exec, exec, s[48:49]
	s_cbranch_execnz .LBB176_141
; %bb.144:                              ;   in Loop: Header=BB176_138 Depth=1
	s_or_b64 exec, exec, s[48:49]
	v_and_b32_e32 v31, 0xff, v31
.LBB176_145:                            ;   in Loop: Header=BB176_138 Depth=1
	s_or_b64 exec, exec, s[44:45]
	v_cmp_eq_u16_sdwa s[44:45], v32, v61 src0_sel:BYTE_0 src1_sel:DWORD
	v_and_b32_e32 v33, s45, v29
	v_or_b32_e32 v33, 0x80000000, v33
	ds_bpermute_b32 v62, v47, v30
	ds_bpermute_b32 v43, v47, v31
	v_and_b32_e32 v42, s44, v28
	v_ffbl_b32_e32 v33, v33
	v_add_u32_e32 v33, 32, v33
	v_ffbl_b32_e32 v42, v42
	v_min_u32_e32 v33, v42, v33
	v_cmp_lt_u32_e32 vcc, v27, v33
	v_mov_b32_e32 v42, v31
	s_and_saveexec_b64 s[44:45], vcc
	s_cbranch_execz .LBB176_147
; %bb.146:                              ;   in Loop: Header=BB176_138 Depth=1
	v_cmp_gt_u64_e32 vcc, s[42:43], v[30:31]
	s_waitcnt lgkmcnt(1)
	v_cndmask_b32_e32 v42, 1, v62, vcc
	v_and_b32_e32 v31, 1, v31
	v_mul_lo_u32 v30, v42, v30
	s_waitcnt lgkmcnt(0)
	v_and_b32_e32 v42, 1, v43
	v_cmp_eq_u32_e32 vcc, 1, v31
	v_cndmask_b32_e64 v31, v42, 1, vcc
	v_and_b32_e32 v42, 0xffff, v31
.LBB176_147:                            ;   in Loop: Header=BB176_138 Depth=1
	s_or_b64 exec, exec, s[44:45]
	s_waitcnt lgkmcnt(1)
	ds_bpermute_b32 v62, v48, v30
	s_waitcnt lgkmcnt(1)
	ds_bpermute_b32 v43, v48, v42
	v_cmp_le_u32_e32 vcc, v49, v33
	s_and_saveexec_b64 s[44:45], vcc
	s_cbranch_execz .LBB176_149
; %bb.148:                              ;   in Loop: Header=BB176_138 Depth=1
	v_cmp_eq_u16_e32 vcc, 0, v31
	s_waitcnt lgkmcnt(1)
	v_cndmask_b32_e32 v42, 1, v62, vcc
	v_and_b32_e32 v31, 1, v31
	v_mul_lo_u32 v30, v42, v30
	s_waitcnt lgkmcnt(0)
	v_and_b32_e32 v42, 1, v43
	v_cmp_eq_u32_e32 vcc, 1, v31
	v_cndmask_b32_e64 v31, v42, 1, vcc
	v_and_b32_e32 v42, 0xffff, v31
.LBB176_149:                            ;   in Loop: Header=BB176_138 Depth=1
	s_or_b64 exec, exec, s[44:45]
	s_waitcnt lgkmcnt(1)
	ds_bpermute_b32 v62, v51, v30
	s_waitcnt lgkmcnt(1)
	ds_bpermute_b32 v43, v51, v42
	v_cmp_le_u32_e32 vcc, v52, v33
	s_and_saveexec_b64 s[44:45], vcc
	s_cbranch_execz .LBB176_151
; %bb.150:                              ;   in Loop: Header=BB176_138 Depth=1
	v_cmp_eq_u16_e32 vcc, 0, v31
	s_waitcnt lgkmcnt(1)
	v_cndmask_b32_e32 v42, 1, v62, vcc
	v_and_b32_e32 v31, 1, v31
	v_mul_lo_u32 v30, v42, v30
	s_waitcnt lgkmcnt(0)
	v_and_b32_e32 v42, 1, v43
	v_cmp_eq_u32_e32 vcc, 1, v31
	v_cndmask_b32_e64 v31, v42, 1, vcc
	v_and_b32_e32 v42, 0xffff, v31
.LBB176_151:                            ;   in Loop: Header=BB176_138 Depth=1
	;; [unrolled: 20-line block ×4, first 2 shown]
	s_or_b64 exec, exec, s[44:45]
	s_waitcnt lgkmcnt(0)
	ds_bpermute_b32 v43, v58, v30
	ds_bpermute_b32 v42, v58, v42
	v_cmp_le_u32_e32 vcc, v59, v33
	s_and_saveexec_b64 s[44:45], vcc
	s_cbranch_execz .LBB176_137
; %bb.156:                              ;   in Loop: Header=BB176_138 Depth=1
	v_cmp_eq_u16_e32 vcc, 0, v31
	v_and_b32_e32 v31, 1, v31
	s_waitcnt lgkmcnt(1)
	v_cndmask_b32_e32 v33, 1, v43, vcc
	v_cmp_eq_u32_e32 vcc, 1, v31
	v_mul_lo_u32 v30, v33, v30
	s_waitcnt lgkmcnt(0)
	v_cndmask_b32_e64 v31, v42, 1, vcc
	s_branch .LBB176_137
.LBB176_157:                            ;   in Loop: Header=BB176_138 Depth=1
                                        ; implicit-def: $vgpr31
	s_cbranch_execz .LBB176_138
; %bb.158:
	s_and_saveexec_b64 s[42:43], s[34:35]
	s_cbranch_execz .LBB176_160
; %bb.159:
	s_and_b32 s44, s52, 0xff
	s_cmp_eq_u32 s44, 0
	s_cselect_b64 vcc, -1, 0
	s_bitcmp1_b32 s52, 0
	s_mov_b32 s45, 0
	s_cselect_b64 s[48:49], -1, 0
	s_add_i32 s44, s59, 64
	s_lshl_b64 s[44:45], s[44:45], 4
	v_cndmask_b32_e32 v27, 1, v60, vcc
	s_add_u32 s44, s56, s44
	v_mul_lo_u32 v26, v27, v26
	v_and_b32_e32 v27, 1, v57
	s_addc_u32 s45, s57, s45
	v_cndmask_b32_e64 v27, v27, 1, s[48:49]
	v_mov_b32_e32 v28, 2
	v_mov_b32_e32 v29, 0
	v_pk_mov_b32 v[30:31], s[44:45], s[44:45] op_sel:[0,1]
	;;#ASMSTART
	global_store_dwordx4 v[30:31], v[26:29] off	
s_waitcnt vmcnt(0)
	;;#ASMEND
.LBB176_160:
	s_or_b64 exec, exec, s[42:43]
	s_and_b64 exec, exec, s[0:1]
	s_cbranch_execz .LBB176_162
; %bb.161:
	v_mov_b32_e32 v26, 0
	ds_write_b32 v26, v60 offset:24
	ds_write_b8 v26, v57 offset:28
.LBB176_162:
	s_or_b64 exec, exec, s[4:5]
	v_mov_b32_e32 v26, 0
	s_waitcnt lgkmcnt(0)
	s_barrier
	ds_read_b32 v27, v26 offset:24
	v_mov_b32_e32 v28, v38
	s_and_saveexec_b64 s[4:5], s[36:37]
; %bb.163:
	v_cndmask_b32_e64 v28, v45, v35, s[34:35]
	v_cndmask_b32_e64 v29, v46, v44, s[34:35]
	v_and_b32_e32 v30, 1, v39
	s_mov_b32 s34, 0
	s_mov_b32 s35, 1
	v_and_b32_e32 v29, 1, v29
	v_cmp_eq_u32_e32 vcc, 1, v30
	v_cndmask_b32_e64 v34, v29, 1, vcc
	v_cmp_gt_u64_e32 vcc, s[34:35], v[38:39]
	v_cndmask_b32_e32 v28, 1, v28, vcc
	v_mul_lo_u32 v28, v28, v38
; %bb.164:
	s_or_b64 exec, exec, s[4:5]
	v_cmp_eq_u16_sdwa vcc, v34, v26 src0_sel:BYTE_0 src1_sel:DWORD
	s_waitcnt lgkmcnt(0)
	v_cndmask_b32_e32 v26, 1, v27, vcc
	v_mul_lo_u32 v26, v26, v28
	v_cndmask_b32_e64 v27, 1, v26, s[6:7]
	v_mul_lo_u32 v27, v27, v2
	v_cndmask_b32_e64 v28, 1, v27, s[8:9]
	;; [unrolled: 2-line block ×13, first 2 shown]
	v_mul_lo_u32 v49, v28, v40
	s_branch .LBB176_195
.LBB176_165:
                                        ; implicit-def: $vgpr49
                                        ; implicit-def: $vgpr47
                                        ; implicit-def: $vgpr45
                                        ; implicit-def: $vgpr43
                                        ; implicit-def: $vgpr34_vgpr35_vgpr36_vgpr37
                                        ; implicit-def: $vgpr30_vgpr31_vgpr32_vgpr33
                                        ; implicit-def: $vgpr26_vgpr27_vgpr28_vgpr29
	s_cbranch_execz .LBB176_195
; %bb.166:
	s_cmp_lg_u64 s[60:61], 0
	s_cselect_b32 s9, s51, 0
	s_cselect_b32 s8, s50, 0
	s_cmp_lg_u64 s[8:9], 0
	s_cselect_b64 s[6:7], -1, 0
	s_mov_b32 s4, 0
	s_and_b64 s[10:11], s[0:1], s[6:7]
	s_and_saveexec_b64 s[6:7], s[10:11]
	s_cbranch_execz .LBB176_168
; %bb.167:
	v_mov_b32_e32 v26, 0
	global_load_dword v28, v26, s[8:9]
	global_load_ubyte v29, v26, s[8:9] offset:4
	s_mov_b32 s5, 1
	v_and_b32_e32 v27, 1, v39
	v_cmp_gt_u64_e32 vcc, s[4:5], v[38:39]
	s_waitcnt vmcnt(1)
	v_cndmask_b32_e32 v28, 1, v28, vcc
	s_waitcnt vmcnt(0)
	v_and_b32_e32 v29, 1, v29
	v_cmp_eq_u64_e32 vcc, 0, v[26:27]
	v_mul_lo_u32 v38, v28, v38
	v_cndmask_b32_e32 v39, 1, v29, vcc
.LBB176_168:
	s_or_b64 exec, exec, s[6:7]
	s_mov_b32 s5, 1
	v_cmp_gt_u64_e32 vcc, s[4:5], v[2:3]
	v_cndmask_b32_e32 v26, 1, v38, vcc
	v_mul_lo_u32 v27, v26, v2
	v_cmp_gt_u64_e64 s[6:7], s[4:5], v[4:5]
	v_cndmask_b32_e64 v26, 1, v27, s[6:7]
	v_mul_lo_u32 v42, v26, v4
	v_cmp_gt_u64_e64 s[8:9], s[4:5], v[6:7]
	v_cndmask_b32_e64 v26, 1, v42, s[8:9]
	;; [unrolled: 3-line block ×7, first 2 shown]
	v_or3_b32 v7, v23, v15, v7
	v_mov_b32_e32 v28, 0
	v_mul_lo_u32 v34, v26, v16
	v_cmp_gt_u64_e64 s[20:21], s[4:5], v[18:19]
	v_or3_b32 v9, v25, v17, v9
	v_and_b32_e32 v53, 1, v7
	v_mov_b32_e32 v52, v28
	v_cndmask_b32_e64 v26, 1, v34, s[20:21]
	v_or3_b32 v3, v19, v11, v3
	v_and_b32_e32 v37, 1, v9
	v_mov_b32_e32 v36, v28
	v_cmp_ne_u64_e64 s[30:31], 0, v[52:53]
	v_mul_lo_u32 v35, v26, v18
	v_cmp_gt_u64_e64 s[22:23], s[4:5], v[20:21]
	v_or3_b32 v5, v21, v13, v5
	v_and_b32_e32 v29, 1, v3
	v_cndmask_b32_e64 v3, 0, 1, s[30:31]
	v_cmp_ne_u64_e64 s[30:31], 0, v[36:37]
	v_cndmask_b32_e64 v26, 1, v35, s[22:23]
	v_and_b32_e32 v33, 1, v5
	v_mov_b32_e32 v32, v28
	v_cndmask_b32_e64 v5, 0, 1, s[30:31]
	v_mul_lo_u32 v46, v26, v20
	v_cmp_gt_u64_e64 s[24:25], s[4:5], v[22:23]
	v_lshlrev_b16_e32 v3, 2, v3
	v_lshlrev_b16_e32 v5, 3, v5
	v_cmp_ne_u64_e64 s[30:31], 0, v[32:33]
	v_cndmask_b32_e64 v26, 1, v46, s[24:25]
	v_or_b32_e32 v3, v5, v3
	v_cndmask_b32_e64 v5, 0, 1, s[30:31]
	v_cmp_ne_u64_e64 s[30:31], 0, v[28:29]
	v_mul_lo_u32 v47, v26, v22
	v_cmp_gt_u64_e64 s[26:27], s[4:5], v[24:25]
	v_lshlrev_b16_e32 v5, 1, v5
	v_cndmask_b32_e64 v7, 0, 1, s[30:31]
	v_cndmask_b32_e64 v26, 1, v47, s[26:27]
	v_or_b32_e32 v5, v7, v5
	v_mul_lo_u32 v48, v26, v24
	v_cmp_gt_u64_e64 s[28:29], s[4:5], v[40:41]
	v_and_b32_e32 v5, 3, v5
	v_cndmask_b32_e64 v26, 1, v48, s[28:29]
	v_or_b32_e32 v3, v5, v3
	v_mul_lo_u32 v49, v26, v40
	v_and_b32_e32 v26, 1, v41
	v_and_b32_e32 v3, 15, v3
	v_cmp_eq_u32_e64 s[4:5], 1, v26
	v_cmp_ne_u16_e64 s[30:31], 0, v3
	s_or_b64 s[4:5], s[4:5], s[30:31]
	v_mbcnt_hi_u32_b32 v1, -1, v1
	v_cndmask_b32_e64 v5, v39, 1, s[4:5]
	v_and_b32_e32 v7, 15, v1
	v_mov_b32_dpp v11, v49 row_shr:1 row_mask:0xf bank_mask:0xf
	v_mov_b32_dpp v9, v5 row_shr:1 row_mask:0xf bank_mask:0xf
	v_cmp_ne_u32_e64 s[4:5], 0, v7
	v_mov_b32_e32 v3, v49
	s_and_saveexec_b64 s[30:31], s[4:5]
; %bb.169:
	v_cmp_eq_u32_e64 s[4:5], 0, v5
	v_and_b32_e32 v5, 1, v5
	v_cndmask_b32_e64 v3, 1, v11, s[4:5]
	v_and_b32_e32 v9, 1, v9
	v_cmp_eq_u32_e64 s[4:5], 1, v5
	v_mul_lo_u32 v3, v49, v3
	v_cndmask_b32_e64 v5, v9, 1, s[4:5]
; %bb.170:
	s_or_b64 exec, exec, s[30:31]
	v_mov_b32_dpp v11, v3 row_shr:2 row_mask:0xf bank_mask:0xf
	v_mov_b32_dpp v9, v5 row_shr:2 row_mask:0xf bank_mask:0xf
	v_cmp_lt_u32_e64 s[4:5], 1, v7
	s_and_saveexec_b64 s[30:31], s[4:5]
; %bb.171:
	v_cmp_eq_u32_e64 s[4:5], 0, v5
	v_and_b32_e32 v5, 1, v5
	v_cndmask_b32_e64 v11, 1, v11, s[4:5]
	v_and_b32_e32 v9, 1, v9
	v_cmp_eq_u32_e64 s[4:5], 1, v5
	v_mul_lo_u32 v3, v11, v3
	v_cndmask_b32_e64 v5, v9, 1, s[4:5]
; %bb.172:
	s_or_b64 exec, exec, s[30:31]
	v_mov_b32_dpp v11, v3 row_shr:4 row_mask:0xf bank_mask:0xf
	v_mov_b32_dpp v9, v5 row_shr:4 row_mask:0xf bank_mask:0xf
	v_cmp_lt_u32_e64 s[4:5], 3, v7
	;; [unrolled: 14-line block ×3, first 2 shown]
	s_and_saveexec_b64 s[30:31], s[4:5]
; %bb.175:
	v_cmp_eq_u32_e64 s[4:5], 0, v5
	v_cndmask_b32_e64 v7, 1, v11, s[4:5]
	v_and_b32_e32 v5, 1, v5
	v_mul_lo_u32 v3, v7, v3
	v_and_b32_e32 v7, 1, v9
	v_cmp_eq_u32_e64 s[4:5], 1, v5
	v_cndmask_b32_e64 v5, v7, 1, s[4:5]
; %bb.176:
	s_or_b64 exec, exec, s[30:31]
	v_and_b32_e32 v11, 16, v1
	v_mov_b32_dpp v9, v3 row_bcast:15 row_mask:0xf bank_mask:0xf
	v_mov_b32_dpp v7, v5 row_bcast:15 row_mask:0xf bank_mask:0xf
	v_cmp_ne_u32_e64 s[4:5], 0, v11
	s_and_saveexec_b64 s[30:31], s[4:5]
; %bb.177:
	v_cmp_eq_u32_e64 s[4:5], 0, v5
	v_and_b32_e32 v5, 1, v5
	v_cndmask_b32_e64 v9, 1, v9, s[4:5]
	v_and_b32_e32 v7, 1, v7
	v_cmp_eq_u32_e64 s[4:5], 1, v5
	v_mul_lo_u32 v3, v9, v3
	v_cndmask_b32_e64 v5, v7, 1, s[4:5]
; %bb.178:
	s_or_b64 exec, exec, s[30:31]
	v_mov_b32_dpp v9, v3 row_bcast:31 row_mask:0xf bank_mask:0xf
	v_mov_b32_dpp v7, v5 row_bcast:31 row_mask:0xf bank_mask:0xf
	v_cmp_lt_u32_e64 s[4:5], 31, v1
	s_and_saveexec_b64 s[30:31], s[4:5]
; %bb.179:
	v_cmp_eq_u32_e64 s[4:5], 0, v5
	v_and_b32_e32 v5, 1, v5
	v_cndmask_b32_e64 v9, 1, v9, s[4:5]
	v_and_b32_e32 v7, 1, v7
	v_cmp_eq_u32_e64 s[4:5], 1, v5
	v_mul_lo_u32 v3, v9, v3
	v_cndmask_b32_e64 v5, v7, 1, s[4:5]
; %bb.180:
	s_or_b64 exec, exec, s[30:31]
	v_or_b32_e32 v9, 63, v0
	v_lshrrev_b32_e32 v7, 6, v0
	v_cmp_eq_u32_e64 s[4:5], v9, v0
	s_and_saveexec_b64 s[30:31], s[4:5]
	s_cbranch_execz .LBB176_182
; %bb.181:
	v_lshlrev_b32_e32 v9, 3, v7
	ds_write_b32 v9, v3
	ds_write_b8 v9, v5 offset:4
.LBB176_182:
	s_or_b64 exec, exec, s[30:31]
	v_cmp_gt_u32_e64 s[4:5], 4, v0
	s_waitcnt lgkmcnt(0)
	s_barrier
	s_and_saveexec_b64 s[30:31], s[4:5]
	s_cbranch_execz .LBB176_188
; %bb.183:
	v_lshlrev_b32_e32 v9, 3, v0
	ds_read_b64 v[28:29], v9
	v_and_b32_e32 v11, 3, v1
	v_cmp_ne_u32_e64 s[4:5], 0, v11
	s_waitcnt lgkmcnt(0)
	v_mov_b32_dpp v17, v28 row_shr:1 row_mask:0xf bank_mask:0xf
	v_mov_b32_dpp v15, v29 row_shr:1 row_mask:0xf bank_mask:0xf
	v_mov_b32_e32 v13, v29
	s_and_saveexec_b64 s[34:35], s[4:5]
	s_cbranch_execz .LBB176_185
; %bb.184:
	v_mov_b32_e32 v13, 0
	v_cmp_eq_u16_sdwa s[4:5], v29, v13 src0_sel:BYTE_0 src1_sel:DWORD
	v_cndmask_b32_e64 v13, 1, v17, s[4:5]
	v_mul_lo_u32 v28, v13, v28
	v_and_b32_e32 v13, 1, v29
	v_and_b32_e32 v15, 1, v15
	v_cmp_eq_u32_e64 s[4:5], 1, v13
	v_cndmask_b32_e64 v15, v15, 1, s[4:5]
	v_and_b32_e32 v13, 0xffff, v15
	s_movk_i32 s4, 0xff00
	v_and_or_b32 v13, v29, s4, v13
	v_mov_b32_e32 v29, v15
.LBB176_185:
	s_or_b64 exec, exec, s[34:35]
	v_mov_b32_dpp v15, v28 row_shr:2 row_mask:0xf bank_mask:0xf
	v_mov_b32_dpp v13, v13 row_shr:2 row_mask:0xf bank_mask:0xf
	v_cmp_lt_u32_e64 s[4:5], 1, v11
	s_and_saveexec_b64 s[34:35], s[4:5]
; %bb.186:
	v_mov_b32_e32 v11, 0
	v_cmp_eq_u16_sdwa s[4:5], v29, v11 src0_sel:BYTE_0 src1_sel:DWORD
	v_cndmask_b32_e64 v11, 1, v15, s[4:5]
	v_mul_lo_u32 v28, v11, v28
	v_and_b32_e32 v11, 1, v29
	v_and_b32_e32 v13, 1, v13
	v_cmp_eq_u32_e64 s[4:5], 1, v11
	v_cndmask_b32_e64 v29, v13, 1, s[4:5]
; %bb.187:
	s_or_b64 exec, exec, s[34:35]
	ds_write_b32 v9, v28
	ds_write_b8 v9, v29 offset:4
.LBB176_188:
	s_or_b64 exec, exec, s[30:31]
	v_cmp_lt_u32_e64 s[4:5], 63, v0
	v_mov_b32_e32 v9, 0
	s_waitcnt lgkmcnt(0)
	s_barrier
	s_and_saveexec_b64 s[30:31], s[4:5]
	s_cbranch_execz .LBB176_190
; %bb.189:
	v_lshl_add_u32 v7, v7, 3, -8
	ds_read_b32 v9, v7
	v_cmp_eq_u32_e64 s[4:5], 0, v5
	s_waitcnt lgkmcnt(0)
	v_cndmask_b32_e64 v5, 1, v9, s[4:5]
	v_mul_lo_u32 v3, v5, v3
.LBB176_190:
	s_or_b64 exec, exec, s[30:31]
	v_add_u32_e32 v5, -1, v1
	v_and_b32_e32 v7, 64, v1
	v_cmp_lt_i32_e64 s[4:5], v5, v7
	v_cndmask_b32_e64 v5, v5, v1, s[4:5]
	v_lshlrev_b32_e32 v5, 2, v5
	ds_bpermute_b32 v3, v5, v3
	s_and_saveexec_b64 s[30:31], s[36:37]
	s_cbranch_execz .LBB176_192
; %bb.191:
	v_cmp_eq_u32_e64 s[4:5], 0, v1
	v_and_b32_e32 v27, 0xff, v39
	v_mov_b32_e32 v26, 0
	s_waitcnt lgkmcnt(0)
	v_cndmask_b32_e64 v1, v3, v9, s[4:5]
	v_cmp_eq_u64_e64 s[4:5], 0, v[26:27]
	v_cndmask_b32_e64 v1, 1, v1, s[4:5]
	v_mul_lo_u32 v38, v1, v38
	v_cndmask_b32_e32 v1, 1, v38, vcc
	v_mul_lo_u32 v27, v1, v2
	v_cndmask_b32_e64 v1, 1, v27, s[6:7]
	v_mul_lo_u32 v42, v1, v4
	v_cndmask_b32_e64 v1, 1, v42, s[8:9]
	;; [unrolled: 2-line block ×12, first 2 shown]
	v_mul_lo_u32 v49, v1, v40
	;;#ASMSTART
	;;#ASMEND
.LBB176_192:
	s_or_b64 exec, exec, s[30:31]
	s_and_saveexec_b64 s[4:5], s[0:1]
	s_cbranch_execz .LBB176_194
; %bb.193:
	v_mov_b32_e32 v5, 0
	ds_read_b32 v2, v5 offset:24
	s_waitcnt lgkmcnt(1)
	ds_read_u8 v3, v5 offset:28
	s_add_u32 s0, s56, 0x400
	s_addc_u32 s1, s57, 0
	v_mov_b32_e32 v4, 2
	v_pk_mov_b32 v[6:7], s[0:1], s[0:1] op_sel:[0,1]
	s_waitcnt lgkmcnt(0)
	;;#ASMSTART
	global_store_dwordx4 v[6:7], v[2:5] off	
s_waitcnt vmcnt(0)
	;;#ASMEND
.LBB176_194:
	s_or_b64 exec, exec, s[4:5]
	v_mov_b32_e32 v26, v38
.LBB176_195:
	s_add_u32 s0, s46, s38
	s_addc_u32 s1, s47, s39
	s_add_u32 s4, s0, s40
	v_mul_u32_u24_e32 v1, 14, v0
	s_addc_u32 s5, s1, s41
	s_and_b64 vcc, exec, s[2:3]
	v_lshlrev_b32_e32 v2, 2, v1
	s_cbranch_vccz .LBB176_223
; %bb.196:
	s_movk_i32 s0, 0xffcc
	s_waitcnt lgkmcnt(0)
	v_mad_i32_i24 v3, v0, s0, v2
	s_barrier
	ds_write2_b64 v2, v[26:27], v[42:43] offset1:1
	ds_write2_b64 v2, v[30:31], v[44:45] offset0:2 offset1:3
	ds_write2_b64 v2, v[34:35], v[46:47] offset0:4 offset1:5
	ds_write_b64 v2, v[48:49] offset:48
	s_waitcnt lgkmcnt(0)
	s_barrier
	ds_read2st64_b32 v[16:17], v3 offset0:4 offset1:8
	ds_read2st64_b32 v[14:15], v3 offset0:12 offset1:16
	;; [unrolled: 1-line block ×6, first 2 shown]
	ds_read_b32 v3, v3 offset:13312
	v_mov_b32_e32 v7, s5
	v_add_co_u32_e32 v6, vcc, s4, v50
	s_add_i32 s33, s33, s58
	v_addc_co_u32_e32 v7, vcc, 0, v7, vcc
	v_mov_b32_e32 v1, 0
	v_cmp_gt_u32_e32 vcc, s33, v0
	s_and_saveexec_b64 s[0:1], vcc
	s_cbranch_execz .LBB176_198
; %bb.197:
	v_mul_i32_i24_e32 v18, 0xffffffcc, v0
	v_add_u32_e32 v18, v2, v18
	ds_read_b32 v18, v18
	s_waitcnt lgkmcnt(0)
	flat_store_dword v[6:7], v18
.LBB176_198:
	s_or_b64 exec, exec, s[0:1]
	v_or_b32_e32 v18, 0x100, v0
	v_cmp_gt_u32_e32 vcc, s33, v18
	s_and_saveexec_b64 s[0:1], vcc
	s_cbranch_execz .LBB176_200
; %bb.199:
	s_waitcnt lgkmcnt(0)
	flat_store_dword v[6:7], v16 offset:1024
.LBB176_200:
	s_or_b64 exec, exec, s[0:1]
	s_waitcnt lgkmcnt(0)
	v_or_b32_e32 v16, 0x200, v0
	v_cmp_gt_u32_e32 vcc, s33, v16
	s_and_saveexec_b64 s[0:1], vcc
	s_cbranch_execz .LBB176_202
; %bb.201:
	flat_store_dword v[6:7], v17 offset:2048
.LBB176_202:
	s_or_b64 exec, exec, s[0:1]
	v_or_b32_e32 v16, 0x300, v0
	v_cmp_gt_u32_e32 vcc, s33, v16
	s_and_saveexec_b64 s[0:1], vcc
	s_cbranch_execz .LBB176_204
; %bb.203:
	flat_store_dword v[6:7], v14 offset:3072
.LBB176_204:
	s_or_b64 exec, exec, s[0:1]
	v_or_b32_e32 v14, 0x400, v0
	v_cmp_gt_u32_e32 vcc, s33, v14
	s_and_saveexec_b64 s[0:1], vcc
	s_cbranch_execz .LBB176_206
; %bb.205:
	v_add_co_u32_e32 v16, vcc, 0x1000, v6
	v_addc_co_u32_e32 v17, vcc, 0, v7, vcc
	flat_store_dword v[16:17], v15
.LBB176_206:
	s_or_b64 exec, exec, s[0:1]
	v_or_b32_e32 v14, 0x500, v0
	v_cmp_gt_u32_e32 vcc, s33, v14
	s_and_saveexec_b64 s[0:1], vcc
	s_cbranch_execz .LBB176_208
; %bb.207:
	v_add_co_u32_e32 v14, vcc, 0x1000, v6
	v_addc_co_u32_e32 v15, vcc, 0, v7, vcc
	flat_store_dword v[14:15], v12 offset:1024
.LBB176_208:
	s_or_b64 exec, exec, s[0:1]
	v_or_b32_e32 v12, 0x600, v0
	v_cmp_gt_u32_e32 vcc, s33, v12
	s_and_saveexec_b64 s[0:1], vcc
	s_cbranch_execz .LBB176_210
; %bb.209:
	v_add_co_u32_e32 v14, vcc, 0x1000, v6
	v_addc_co_u32_e32 v15, vcc, 0, v7, vcc
	flat_store_dword v[14:15], v13 offset:2048
.LBB176_210:
	;; [unrolled: 10-line block ×3, first 2 shown]
	s_or_b64 exec, exec, s[0:1]
	v_or_b32_e32 v10, 0x800, v0
	v_cmp_gt_u32_e32 vcc, s33, v10
	s_and_saveexec_b64 s[0:1], vcc
	s_cbranch_execz .LBB176_214
; %bb.213:
	v_add_co_u32_e32 v12, vcc, 0x2000, v6
	v_addc_co_u32_e32 v13, vcc, 0, v7, vcc
	flat_store_dword v[12:13], v11
.LBB176_214:
	s_or_b64 exec, exec, s[0:1]
	v_or_b32_e32 v10, 0x900, v0
	v_cmp_gt_u32_e32 vcc, s33, v10
	s_and_saveexec_b64 s[0:1], vcc
	s_cbranch_execz .LBB176_216
; %bb.215:
	v_add_co_u32_e32 v10, vcc, 0x2000, v6
	v_addc_co_u32_e32 v11, vcc, 0, v7, vcc
	flat_store_dword v[10:11], v8 offset:1024
.LBB176_216:
	s_or_b64 exec, exec, s[0:1]
	v_or_b32_e32 v8, 0xa00, v0
	v_cmp_gt_u32_e32 vcc, s33, v8
	s_and_saveexec_b64 s[0:1], vcc
	s_cbranch_execz .LBB176_218
; %bb.217:
	v_add_co_u32_e32 v10, vcc, 0x2000, v6
	v_addc_co_u32_e32 v11, vcc, 0, v7, vcc
	flat_store_dword v[10:11], v9 offset:2048
.LBB176_218:
	;; [unrolled: 10-line block ×3, first 2 shown]
	s_or_b64 exec, exec, s[0:1]
	v_or_b32_e32 v4, 0xc00, v0
	v_cmp_gt_u32_e32 vcc, s33, v4
	s_and_saveexec_b64 s[0:1], vcc
	s_cbranch_execz .LBB176_222
; %bb.221:
	v_add_co_u32_e32 v6, vcc, 0x3000, v6
	v_addc_co_u32_e32 v7, vcc, 0, v7, vcc
	flat_store_dword v[6:7], v5
.LBB176_222:
	s_or_b64 exec, exec, s[0:1]
	v_or_b32_e32 v4, 0xd00, v0
	v_cmp_gt_u32_e64 s[0:1], s33, v4
	s_branch .LBB176_225
.LBB176_223:
	s_mov_b64 s[0:1], 0
                                        ; implicit-def: $vgpr3
	s_cbranch_execz .LBB176_225
; %bb.224:
	s_movk_i32 s2, 0xffcc
	s_waitcnt lgkmcnt(0)
	s_barrier
	ds_write2_b64 v2, v[26:27], v[42:43] offset1:1
	ds_write2_b64 v2, v[30:31], v[44:45] offset0:2 offset1:3
	ds_write2_b64 v2, v[34:35], v[46:47] offset0:4 offset1:5
	ds_write_b64 v2, v[48:49] offset:48
	v_mad_i32_i24 v2, v0, s2, v2
	v_mov_b32_e32 v17, s5
	v_add_co_u32_e32 v16, vcc, s4, v50
	s_waitcnt lgkmcnt(0)
	s_barrier
	ds_read2st64_b32 v[4:5], v2 offset1:4
	ds_read2st64_b32 v[6:7], v2 offset0:8 offset1:12
	ds_read2st64_b32 v[8:9], v2 offset0:16 offset1:20
	;; [unrolled: 1-line block ×6, first 2 shown]
	v_addc_co_u32_e32 v17, vcc, 0, v17, vcc
	s_movk_i32 s2, 0x1000
	s_waitcnt lgkmcnt(0)
	flat_store_dword v[16:17], v4
	flat_store_dword v[16:17], v5 offset:1024
	flat_store_dword v[16:17], v6 offset:2048
	;; [unrolled: 1-line block ×3, first 2 shown]
	v_add_co_u32_e32 v4, vcc, s2, v16
	v_addc_co_u32_e32 v5, vcc, 0, v17, vcc
	flat_store_dword v[4:5], v8
	flat_store_dword v[4:5], v9 offset:1024
	flat_store_dword v[4:5], v10 offset:2048
	;; [unrolled: 1-line block ×3, first 2 shown]
	v_add_co_u32_e32 v4, vcc, 0x2000, v16
	v_addc_co_u32_e32 v5, vcc, 0, v17, vcc
	flat_store_dword v[4:5], v12
	flat_store_dword v[4:5], v13 offset:1024
	flat_store_dword v[4:5], v14 offset:2048
	;; [unrolled: 1-line block ×3, first 2 shown]
	v_add_co_u32_e32 v4, vcc, 0x3000, v16
	v_mov_b32_e32 v1, 0
	v_addc_co_u32_e32 v5, vcc, 0, v17, vcc
	s_or_b64 s[0:1], s[0:1], exec
	flat_store_dword v[4:5], v2
.LBB176_225:
	s_and_saveexec_b64 s[2:3], s[0:1]
	s_cbranch_execnz .LBB176_227
; %bb.226:
	s_endpgm
.LBB176_227:
	v_lshlrev_b64 v[0:1], 2, v[0:1]
	v_mov_b32_e32 v2, s5
	v_add_co_u32_e32 v0, vcc, s4, v0
	v_addc_co_u32_e32 v1, vcc, v2, v1, vcc
	v_add_co_u32_e32 v0, vcc, 0x3000, v0
	v_addc_co_u32_e32 v1, vcc, 0, v1, vcc
	s_waitcnt lgkmcnt(0)
	flat_store_dword v[0:1], v3 offset:1024
	s_endpgm
.LBB176_228:
	v_mov_b32_e32 v13, s63
	v_add_co_u32_e32 v14, vcc, s62, v12
	v_addc_co_u32_e32 v15, vcc, 0, v13, vcc
	flat_load_dword v13, v[14:15]
	s_or_b64 exec, exec, s[4:5]
                                        ; implicit-def: $vgpr14
	s_and_saveexec_b64 s[4:5], s[8:9]
	s_cbranch_execz .LBB176_41
.LBB176_229:
	v_mov_b32_e32 v15, s63
	v_add_co_u32_e32 v14, vcc, s62, v12
	v_addc_co_u32_e32 v15, vcc, 0, v15, vcc
	flat_load_dword v14, v[14:15] offset:1024
	s_or_b64 exec, exec, s[4:5]
                                        ; implicit-def: $vgpr15
	s_and_saveexec_b64 s[4:5], s[10:11]
	s_cbranch_execz .LBB176_42
.LBB176_230:
	v_mov_b32_e32 v15, s63
	v_add_co_u32_e32 v16, vcc, s62, v12
	v_addc_co_u32_e32 v17, vcc, 0, v15, vcc
	flat_load_dword v15, v[16:17] offset:2048
	s_or_b64 exec, exec, s[4:5]
                                        ; implicit-def: $vgpr16
	s_and_saveexec_b64 s[4:5], s[12:13]
	s_cbranch_execz .LBB176_43
.LBB176_231:
	v_mov_b32_e32 v17, s63
	v_add_co_u32_e32 v16, vcc, s62, v12
	v_addc_co_u32_e32 v17, vcc, 0, v17, vcc
	flat_load_dword v16, v[16:17] offset:3072
	s_or_b64 exec, exec, s[4:5]
                                        ; implicit-def: $vgpr17
	s_and_saveexec_b64 s[4:5], s[14:15]
	s_cbranch_execz .LBB176_44
.LBB176_232:
	v_lshlrev_b32_e32 v2, 2, v2
	v_mov_b32_e32 v17, s63
	v_add_co_u32_e32 v18, vcc, s62, v2
	v_addc_co_u32_e32 v19, vcc, 0, v17, vcc
	flat_load_dword v17, v[18:19]
	s_or_b64 exec, exec, s[4:5]
                                        ; implicit-def: $vgpr2
	s_and_saveexec_b64 s[4:5], s[16:17]
	s_cbranch_execz .LBB176_45
.LBB176_233:
	v_lshlrev_b32_e32 v2, 2, v3
	v_mov_b32_e32 v3, s63
	v_add_co_u32_e32 v2, vcc, s62, v2
	v_addc_co_u32_e32 v3, vcc, 0, v3, vcc
	flat_load_dword v2, v[2:3]
	s_or_b64 exec, exec, s[4:5]
                                        ; implicit-def: $vgpr3
	s_and_saveexec_b64 s[4:5], s[18:19]
	s_cbranch_execz .LBB176_46
.LBB176_234:
	v_lshlrev_b32_e32 v3, 2, v4
	v_mov_b32_e32 v4, s63
	v_add_co_u32_e32 v18, vcc, s62, v3
	v_addc_co_u32_e32 v19, vcc, 0, v4, vcc
	flat_load_dword v3, v[18:19]
	s_or_b64 exec, exec, s[4:5]
                                        ; implicit-def: $vgpr4
	s_and_saveexec_b64 s[4:5], s[20:21]
	s_cbranch_execz .LBB176_47
.LBB176_235:
	v_lshlrev_b32_e32 v4, 2, v5
	v_mov_b32_e32 v5, s63
	v_add_co_u32_e32 v4, vcc, s62, v4
	v_addc_co_u32_e32 v5, vcc, 0, v5, vcc
	flat_load_dword v4, v[4:5]
	s_or_b64 exec, exec, s[4:5]
                                        ; implicit-def: $vgpr5
	s_and_saveexec_b64 s[4:5], s[22:23]
	s_cbranch_execz .LBB176_48
.LBB176_236:
	v_lshlrev_b32_e32 v5, 2, v6
	v_mov_b32_e32 v6, s63
	v_add_co_u32_e32 v18, vcc, s62, v5
	v_addc_co_u32_e32 v19, vcc, 0, v6, vcc
	flat_load_dword v5, v[18:19]
	s_or_b64 exec, exec, s[4:5]
                                        ; implicit-def: $vgpr6
	s_and_saveexec_b64 s[4:5], s[24:25]
	s_cbranch_execz .LBB176_49
.LBB176_237:
	v_lshlrev_b32_e32 v6, 2, v7
	v_mov_b32_e32 v7, s63
	v_add_co_u32_e32 v6, vcc, s62, v6
	v_addc_co_u32_e32 v7, vcc, 0, v7, vcc
	flat_load_dword v6, v[6:7]
	s_or_b64 exec, exec, s[4:5]
                                        ; implicit-def: $vgpr7
	s_and_saveexec_b64 s[4:5], s[26:27]
	s_cbranch_execz .LBB176_50
.LBB176_238:
	v_lshlrev_b32_e32 v7, 2, v8
	v_mov_b32_e32 v8, s63
	v_add_co_u32_e32 v18, vcc, s62, v7
	v_addc_co_u32_e32 v19, vcc, 0, v8, vcc
	flat_load_dword v7, v[18:19]
	s_or_b64 exec, exec, s[4:5]
                                        ; implicit-def: $vgpr8
	s_and_saveexec_b64 s[4:5], s[28:29]
	s_cbranch_execz .LBB176_51
.LBB176_239:
	v_lshlrev_b32_e32 v8, 2, v9
	v_mov_b32_e32 v9, s63
	v_add_co_u32_e32 v8, vcc, s62, v8
	v_addc_co_u32_e32 v9, vcc, 0, v9, vcc
	flat_load_dword v8, v[8:9]
	s_or_b64 exec, exec, s[4:5]
                                        ; implicit-def: $vgpr9
	s_and_saveexec_b64 s[4:5], s[30:31]
	s_cbranch_execz .LBB176_52
.LBB176_240:
	v_lshlrev_b32_e32 v9, 2, v10
	v_mov_b32_e32 v10, s63
	v_add_co_u32_e32 v18, vcc, s62, v9
	v_addc_co_u32_e32 v19, vcc, 0, v10, vcc
	flat_load_dword v9, v[18:19]
	s_or_b64 exec, exec, s[4:5]
                                        ; implicit-def: $vgpr10
	s_and_saveexec_b64 s[4:5], s[34:35]
	s_cbranch_execnz .LBB176_53
	s_branch .LBB176_54
.LBB176_241:
                                        ; implicit-def: $sgpr4_sgpr5
	s_branch .LBB176_36
.LBB176_242:
                                        ; implicit-def: $sgpr4_sgpr5
	s_branch .LBB176_85
	.section	.rodata,"a",@progbits
	.p2align	6, 0x0
	.amdhsa_kernel _ZN7rocprim17ROCPRIM_400000_NS6detail17trampoline_kernelINS0_14default_configENS1_27scan_by_key_config_selectorIiiEEZZNS1_16scan_by_key_implILNS1_25lookback_scan_determinismE0ELb0ES3_N6thrust23THRUST_200600_302600_NS6detail15normal_iteratorINS9_10device_ptrIiEEEESE_SE_iNS9_10multipliesIiEENS9_8equal_toIiEEiEE10hipError_tPvRmT2_T3_T4_T5_mT6_T7_P12ihipStream_tbENKUlT_T0_E_clISt17integral_constantIbLb1EESZ_EEDaSU_SV_EUlSU_E_NS1_11comp_targetILNS1_3genE4ELNS1_11target_archE910ELNS1_3gpuE8ELNS1_3repE0EEENS1_30default_config_static_selectorELNS0_4arch9wavefront6targetE1EEEvT1_
		.amdhsa_group_segment_fixed_size 16384
		.amdhsa_private_segment_fixed_size 0
		.amdhsa_kernarg_size 112
		.amdhsa_user_sgpr_count 6
		.amdhsa_user_sgpr_private_segment_buffer 1
		.amdhsa_user_sgpr_dispatch_ptr 0
		.amdhsa_user_sgpr_queue_ptr 0
		.amdhsa_user_sgpr_kernarg_segment_ptr 1
		.amdhsa_user_sgpr_dispatch_id 0
		.amdhsa_user_sgpr_flat_scratch_init 0
		.amdhsa_user_sgpr_kernarg_preload_length 0
		.amdhsa_user_sgpr_kernarg_preload_offset 0
		.amdhsa_user_sgpr_private_segment_size 0
		.amdhsa_uses_dynamic_stack 0
		.amdhsa_system_sgpr_private_segment_wavefront_offset 0
		.amdhsa_system_sgpr_workgroup_id_x 1
		.amdhsa_system_sgpr_workgroup_id_y 0
		.amdhsa_system_sgpr_workgroup_id_z 0
		.amdhsa_system_sgpr_workgroup_info 0
		.amdhsa_system_vgpr_workitem_id 0
		.amdhsa_next_free_vgpr 63
		.amdhsa_next_free_sgpr 65
		.amdhsa_accum_offset 64
		.amdhsa_reserve_vcc 1
		.amdhsa_reserve_flat_scratch 0
		.amdhsa_float_round_mode_32 0
		.amdhsa_float_round_mode_16_64 0
		.amdhsa_float_denorm_mode_32 3
		.amdhsa_float_denorm_mode_16_64 3
		.amdhsa_dx10_clamp 1
		.amdhsa_ieee_mode 1
		.amdhsa_fp16_overflow 0
		.amdhsa_tg_split 0
		.amdhsa_exception_fp_ieee_invalid_op 0
		.amdhsa_exception_fp_denorm_src 0
		.amdhsa_exception_fp_ieee_div_zero 0
		.amdhsa_exception_fp_ieee_overflow 0
		.amdhsa_exception_fp_ieee_underflow 0
		.amdhsa_exception_fp_ieee_inexact 0
		.amdhsa_exception_int_div_zero 0
	.end_amdhsa_kernel
	.section	.text._ZN7rocprim17ROCPRIM_400000_NS6detail17trampoline_kernelINS0_14default_configENS1_27scan_by_key_config_selectorIiiEEZZNS1_16scan_by_key_implILNS1_25lookback_scan_determinismE0ELb0ES3_N6thrust23THRUST_200600_302600_NS6detail15normal_iteratorINS9_10device_ptrIiEEEESE_SE_iNS9_10multipliesIiEENS9_8equal_toIiEEiEE10hipError_tPvRmT2_T3_T4_T5_mT6_T7_P12ihipStream_tbENKUlT_T0_E_clISt17integral_constantIbLb1EESZ_EEDaSU_SV_EUlSU_E_NS1_11comp_targetILNS1_3genE4ELNS1_11target_archE910ELNS1_3gpuE8ELNS1_3repE0EEENS1_30default_config_static_selectorELNS0_4arch9wavefront6targetE1EEEvT1_,"axG",@progbits,_ZN7rocprim17ROCPRIM_400000_NS6detail17trampoline_kernelINS0_14default_configENS1_27scan_by_key_config_selectorIiiEEZZNS1_16scan_by_key_implILNS1_25lookback_scan_determinismE0ELb0ES3_N6thrust23THRUST_200600_302600_NS6detail15normal_iteratorINS9_10device_ptrIiEEEESE_SE_iNS9_10multipliesIiEENS9_8equal_toIiEEiEE10hipError_tPvRmT2_T3_T4_T5_mT6_T7_P12ihipStream_tbENKUlT_T0_E_clISt17integral_constantIbLb1EESZ_EEDaSU_SV_EUlSU_E_NS1_11comp_targetILNS1_3genE4ELNS1_11target_archE910ELNS1_3gpuE8ELNS1_3repE0EEENS1_30default_config_static_selectorELNS0_4arch9wavefront6targetE1EEEvT1_,comdat
.Lfunc_end176:
	.size	_ZN7rocprim17ROCPRIM_400000_NS6detail17trampoline_kernelINS0_14default_configENS1_27scan_by_key_config_selectorIiiEEZZNS1_16scan_by_key_implILNS1_25lookback_scan_determinismE0ELb0ES3_N6thrust23THRUST_200600_302600_NS6detail15normal_iteratorINS9_10device_ptrIiEEEESE_SE_iNS9_10multipliesIiEENS9_8equal_toIiEEiEE10hipError_tPvRmT2_T3_T4_T5_mT6_T7_P12ihipStream_tbENKUlT_T0_E_clISt17integral_constantIbLb1EESZ_EEDaSU_SV_EUlSU_E_NS1_11comp_targetILNS1_3genE4ELNS1_11target_archE910ELNS1_3gpuE8ELNS1_3repE0EEENS1_30default_config_static_selectorELNS0_4arch9wavefront6targetE1EEEvT1_, .Lfunc_end176-_ZN7rocprim17ROCPRIM_400000_NS6detail17trampoline_kernelINS0_14default_configENS1_27scan_by_key_config_selectorIiiEEZZNS1_16scan_by_key_implILNS1_25lookback_scan_determinismE0ELb0ES3_N6thrust23THRUST_200600_302600_NS6detail15normal_iteratorINS9_10device_ptrIiEEEESE_SE_iNS9_10multipliesIiEENS9_8equal_toIiEEiEE10hipError_tPvRmT2_T3_T4_T5_mT6_T7_P12ihipStream_tbENKUlT_T0_E_clISt17integral_constantIbLb1EESZ_EEDaSU_SV_EUlSU_E_NS1_11comp_targetILNS1_3genE4ELNS1_11target_archE910ELNS1_3gpuE8ELNS1_3repE0EEENS1_30default_config_static_selectorELNS0_4arch9wavefront6targetE1EEEvT1_
                                        ; -- End function
	.section	.AMDGPU.csdata,"",@progbits
; Kernel info:
; codeLenInByte = 11408
; NumSgprs: 69
; NumVgprs: 63
; NumAgprs: 0
; TotalNumVgprs: 63
; ScratchSize: 0
; MemoryBound: 0
; FloatMode: 240
; IeeeMode: 1
; LDSByteSize: 16384 bytes/workgroup (compile time only)
; SGPRBlocks: 8
; VGPRBlocks: 7
; NumSGPRsForWavesPerEU: 69
; NumVGPRsForWavesPerEU: 63
; AccumOffset: 64
; Occupancy: 4
; WaveLimiterHint : 1
; COMPUTE_PGM_RSRC2:SCRATCH_EN: 0
; COMPUTE_PGM_RSRC2:USER_SGPR: 6
; COMPUTE_PGM_RSRC2:TRAP_HANDLER: 0
; COMPUTE_PGM_RSRC2:TGID_X_EN: 1
; COMPUTE_PGM_RSRC2:TGID_Y_EN: 0
; COMPUTE_PGM_RSRC2:TGID_Z_EN: 0
; COMPUTE_PGM_RSRC2:TIDIG_COMP_CNT: 0
; COMPUTE_PGM_RSRC3_GFX90A:ACCUM_OFFSET: 15
; COMPUTE_PGM_RSRC3_GFX90A:TG_SPLIT: 0
	.section	.text._ZN7rocprim17ROCPRIM_400000_NS6detail17trampoline_kernelINS0_14default_configENS1_27scan_by_key_config_selectorIiiEEZZNS1_16scan_by_key_implILNS1_25lookback_scan_determinismE0ELb0ES3_N6thrust23THRUST_200600_302600_NS6detail15normal_iteratorINS9_10device_ptrIiEEEESE_SE_iNS9_10multipliesIiEENS9_8equal_toIiEEiEE10hipError_tPvRmT2_T3_T4_T5_mT6_T7_P12ihipStream_tbENKUlT_T0_E_clISt17integral_constantIbLb1EESZ_EEDaSU_SV_EUlSU_E_NS1_11comp_targetILNS1_3genE3ELNS1_11target_archE908ELNS1_3gpuE7ELNS1_3repE0EEENS1_30default_config_static_selectorELNS0_4arch9wavefront6targetE1EEEvT1_,"axG",@progbits,_ZN7rocprim17ROCPRIM_400000_NS6detail17trampoline_kernelINS0_14default_configENS1_27scan_by_key_config_selectorIiiEEZZNS1_16scan_by_key_implILNS1_25lookback_scan_determinismE0ELb0ES3_N6thrust23THRUST_200600_302600_NS6detail15normal_iteratorINS9_10device_ptrIiEEEESE_SE_iNS9_10multipliesIiEENS9_8equal_toIiEEiEE10hipError_tPvRmT2_T3_T4_T5_mT6_T7_P12ihipStream_tbENKUlT_T0_E_clISt17integral_constantIbLb1EESZ_EEDaSU_SV_EUlSU_E_NS1_11comp_targetILNS1_3genE3ELNS1_11target_archE908ELNS1_3gpuE7ELNS1_3repE0EEENS1_30default_config_static_selectorELNS0_4arch9wavefront6targetE1EEEvT1_,comdat
	.protected	_ZN7rocprim17ROCPRIM_400000_NS6detail17trampoline_kernelINS0_14default_configENS1_27scan_by_key_config_selectorIiiEEZZNS1_16scan_by_key_implILNS1_25lookback_scan_determinismE0ELb0ES3_N6thrust23THRUST_200600_302600_NS6detail15normal_iteratorINS9_10device_ptrIiEEEESE_SE_iNS9_10multipliesIiEENS9_8equal_toIiEEiEE10hipError_tPvRmT2_T3_T4_T5_mT6_T7_P12ihipStream_tbENKUlT_T0_E_clISt17integral_constantIbLb1EESZ_EEDaSU_SV_EUlSU_E_NS1_11comp_targetILNS1_3genE3ELNS1_11target_archE908ELNS1_3gpuE7ELNS1_3repE0EEENS1_30default_config_static_selectorELNS0_4arch9wavefront6targetE1EEEvT1_ ; -- Begin function _ZN7rocprim17ROCPRIM_400000_NS6detail17trampoline_kernelINS0_14default_configENS1_27scan_by_key_config_selectorIiiEEZZNS1_16scan_by_key_implILNS1_25lookback_scan_determinismE0ELb0ES3_N6thrust23THRUST_200600_302600_NS6detail15normal_iteratorINS9_10device_ptrIiEEEESE_SE_iNS9_10multipliesIiEENS9_8equal_toIiEEiEE10hipError_tPvRmT2_T3_T4_T5_mT6_T7_P12ihipStream_tbENKUlT_T0_E_clISt17integral_constantIbLb1EESZ_EEDaSU_SV_EUlSU_E_NS1_11comp_targetILNS1_3genE3ELNS1_11target_archE908ELNS1_3gpuE7ELNS1_3repE0EEENS1_30default_config_static_selectorELNS0_4arch9wavefront6targetE1EEEvT1_
	.globl	_ZN7rocprim17ROCPRIM_400000_NS6detail17trampoline_kernelINS0_14default_configENS1_27scan_by_key_config_selectorIiiEEZZNS1_16scan_by_key_implILNS1_25lookback_scan_determinismE0ELb0ES3_N6thrust23THRUST_200600_302600_NS6detail15normal_iteratorINS9_10device_ptrIiEEEESE_SE_iNS9_10multipliesIiEENS9_8equal_toIiEEiEE10hipError_tPvRmT2_T3_T4_T5_mT6_T7_P12ihipStream_tbENKUlT_T0_E_clISt17integral_constantIbLb1EESZ_EEDaSU_SV_EUlSU_E_NS1_11comp_targetILNS1_3genE3ELNS1_11target_archE908ELNS1_3gpuE7ELNS1_3repE0EEENS1_30default_config_static_selectorELNS0_4arch9wavefront6targetE1EEEvT1_
	.p2align	8
	.type	_ZN7rocprim17ROCPRIM_400000_NS6detail17trampoline_kernelINS0_14default_configENS1_27scan_by_key_config_selectorIiiEEZZNS1_16scan_by_key_implILNS1_25lookback_scan_determinismE0ELb0ES3_N6thrust23THRUST_200600_302600_NS6detail15normal_iteratorINS9_10device_ptrIiEEEESE_SE_iNS9_10multipliesIiEENS9_8equal_toIiEEiEE10hipError_tPvRmT2_T3_T4_T5_mT6_T7_P12ihipStream_tbENKUlT_T0_E_clISt17integral_constantIbLb1EESZ_EEDaSU_SV_EUlSU_E_NS1_11comp_targetILNS1_3genE3ELNS1_11target_archE908ELNS1_3gpuE7ELNS1_3repE0EEENS1_30default_config_static_selectorELNS0_4arch9wavefront6targetE1EEEvT1_,@function
_ZN7rocprim17ROCPRIM_400000_NS6detail17trampoline_kernelINS0_14default_configENS1_27scan_by_key_config_selectorIiiEEZZNS1_16scan_by_key_implILNS1_25lookback_scan_determinismE0ELb0ES3_N6thrust23THRUST_200600_302600_NS6detail15normal_iteratorINS9_10device_ptrIiEEEESE_SE_iNS9_10multipliesIiEENS9_8equal_toIiEEiEE10hipError_tPvRmT2_T3_T4_T5_mT6_T7_P12ihipStream_tbENKUlT_T0_E_clISt17integral_constantIbLb1EESZ_EEDaSU_SV_EUlSU_E_NS1_11comp_targetILNS1_3genE3ELNS1_11target_archE908ELNS1_3gpuE7ELNS1_3repE0EEENS1_30default_config_static_selectorELNS0_4arch9wavefront6targetE1EEEvT1_: ; @_ZN7rocprim17ROCPRIM_400000_NS6detail17trampoline_kernelINS0_14default_configENS1_27scan_by_key_config_selectorIiiEEZZNS1_16scan_by_key_implILNS1_25lookback_scan_determinismE0ELb0ES3_N6thrust23THRUST_200600_302600_NS6detail15normal_iteratorINS9_10device_ptrIiEEEESE_SE_iNS9_10multipliesIiEENS9_8equal_toIiEEiEE10hipError_tPvRmT2_T3_T4_T5_mT6_T7_P12ihipStream_tbENKUlT_T0_E_clISt17integral_constantIbLb1EESZ_EEDaSU_SV_EUlSU_E_NS1_11comp_targetILNS1_3genE3ELNS1_11target_archE908ELNS1_3gpuE7ELNS1_3repE0EEENS1_30default_config_static_selectorELNS0_4arch9wavefront6targetE1EEEvT1_
; %bb.0:
	.section	.rodata,"a",@progbits
	.p2align	6, 0x0
	.amdhsa_kernel _ZN7rocprim17ROCPRIM_400000_NS6detail17trampoline_kernelINS0_14default_configENS1_27scan_by_key_config_selectorIiiEEZZNS1_16scan_by_key_implILNS1_25lookback_scan_determinismE0ELb0ES3_N6thrust23THRUST_200600_302600_NS6detail15normal_iteratorINS9_10device_ptrIiEEEESE_SE_iNS9_10multipliesIiEENS9_8equal_toIiEEiEE10hipError_tPvRmT2_T3_T4_T5_mT6_T7_P12ihipStream_tbENKUlT_T0_E_clISt17integral_constantIbLb1EESZ_EEDaSU_SV_EUlSU_E_NS1_11comp_targetILNS1_3genE3ELNS1_11target_archE908ELNS1_3gpuE7ELNS1_3repE0EEENS1_30default_config_static_selectorELNS0_4arch9wavefront6targetE1EEEvT1_
		.amdhsa_group_segment_fixed_size 0
		.amdhsa_private_segment_fixed_size 0
		.amdhsa_kernarg_size 112
		.amdhsa_user_sgpr_count 6
		.amdhsa_user_sgpr_private_segment_buffer 1
		.amdhsa_user_sgpr_dispatch_ptr 0
		.amdhsa_user_sgpr_queue_ptr 0
		.amdhsa_user_sgpr_kernarg_segment_ptr 1
		.amdhsa_user_sgpr_dispatch_id 0
		.amdhsa_user_sgpr_flat_scratch_init 0
		.amdhsa_user_sgpr_kernarg_preload_length 0
		.amdhsa_user_sgpr_kernarg_preload_offset 0
		.amdhsa_user_sgpr_private_segment_size 0
		.amdhsa_uses_dynamic_stack 0
		.amdhsa_system_sgpr_private_segment_wavefront_offset 0
		.amdhsa_system_sgpr_workgroup_id_x 1
		.amdhsa_system_sgpr_workgroup_id_y 0
		.amdhsa_system_sgpr_workgroup_id_z 0
		.amdhsa_system_sgpr_workgroup_info 0
		.amdhsa_system_vgpr_workitem_id 0
		.amdhsa_next_free_vgpr 1
		.amdhsa_next_free_sgpr 0
		.amdhsa_accum_offset 4
		.amdhsa_reserve_vcc 0
		.amdhsa_reserve_flat_scratch 0
		.amdhsa_float_round_mode_32 0
		.amdhsa_float_round_mode_16_64 0
		.amdhsa_float_denorm_mode_32 3
		.amdhsa_float_denorm_mode_16_64 3
		.amdhsa_dx10_clamp 1
		.amdhsa_ieee_mode 1
		.amdhsa_fp16_overflow 0
		.amdhsa_tg_split 0
		.amdhsa_exception_fp_ieee_invalid_op 0
		.amdhsa_exception_fp_denorm_src 0
		.amdhsa_exception_fp_ieee_div_zero 0
		.amdhsa_exception_fp_ieee_overflow 0
		.amdhsa_exception_fp_ieee_underflow 0
		.amdhsa_exception_fp_ieee_inexact 0
		.amdhsa_exception_int_div_zero 0
	.end_amdhsa_kernel
	.section	.text._ZN7rocprim17ROCPRIM_400000_NS6detail17trampoline_kernelINS0_14default_configENS1_27scan_by_key_config_selectorIiiEEZZNS1_16scan_by_key_implILNS1_25lookback_scan_determinismE0ELb0ES3_N6thrust23THRUST_200600_302600_NS6detail15normal_iteratorINS9_10device_ptrIiEEEESE_SE_iNS9_10multipliesIiEENS9_8equal_toIiEEiEE10hipError_tPvRmT2_T3_T4_T5_mT6_T7_P12ihipStream_tbENKUlT_T0_E_clISt17integral_constantIbLb1EESZ_EEDaSU_SV_EUlSU_E_NS1_11comp_targetILNS1_3genE3ELNS1_11target_archE908ELNS1_3gpuE7ELNS1_3repE0EEENS1_30default_config_static_selectorELNS0_4arch9wavefront6targetE1EEEvT1_,"axG",@progbits,_ZN7rocprim17ROCPRIM_400000_NS6detail17trampoline_kernelINS0_14default_configENS1_27scan_by_key_config_selectorIiiEEZZNS1_16scan_by_key_implILNS1_25lookback_scan_determinismE0ELb0ES3_N6thrust23THRUST_200600_302600_NS6detail15normal_iteratorINS9_10device_ptrIiEEEESE_SE_iNS9_10multipliesIiEENS9_8equal_toIiEEiEE10hipError_tPvRmT2_T3_T4_T5_mT6_T7_P12ihipStream_tbENKUlT_T0_E_clISt17integral_constantIbLb1EESZ_EEDaSU_SV_EUlSU_E_NS1_11comp_targetILNS1_3genE3ELNS1_11target_archE908ELNS1_3gpuE7ELNS1_3repE0EEENS1_30default_config_static_selectorELNS0_4arch9wavefront6targetE1EEEvT1_,comdat
.Lfunc_end177:
	.size	_ZN7rocprim17ROCPRIM_400000_NS6detail17trampoline_kernelINS0_14default_configENS1_27scan_by_key_config_selectorIiiEEZZNS1_16scan_by_key_implILNS1_25lookback_scan_determinismE0ELb0ES3_N6thrust23THRUST_200600_302600_NS6detail15normal_iteratorINS9_10device_ptrIiEEEESE_SE_iNS9_10multipliesIiEENS9_8equal_toIiEEiEE10hipError_tPvRmT2_T3_T4_T5_mT6_T7_P12ihipStream_tbENKUlT_T0_E_clISt17integral_constantIbLb1EESZ_EEDaSU_SV_EUlSU_E_NS1_11comp_targetILNS1_3genE3ELNS1_11target_archE908ELNS1_3gpuE7ELNS1_3repE0EEENS1_30default_config_static_selectorELNS0_4arch9wavefront6targetE1EEEvT1_, .Lfunc_end177-_ZN7rocprim17ROCPRIM_400000_NS6detail17trampoline_kernelINS0_14default_configENS1_27scan_by_key_config_selectorIiiEEZZNS1_16scan_by_key_implILNS1_25lookback_scan_determinismE0ELb0ES3_N6thrust23THRUST_200600_302600_NS6detail15normal_iteratorINS9_10device_ptrIiEEEESE_SE_iNS9_10multipliesIiEENS9_8equal_toIiEEiEE10hipError_tPvRmT2_T3_T4_T5_mT6_T7_P12ihipStream_tbENKUlT_T0_E_clISt17integral_constantIbLb1EESZ_EEDaSU_SV_EUlSU_E_NS1_11comp_targetILNS1_3genE3ELNS1_11target_archE908ELNS1_3gpuE7ELNS1_3repE0EEENS1_30default_config_static_selectorELNS0_4arch9wavefront6targetE1EEEvT1_
                                        ; -- End function
	.section	.AMDGPU.csdata,"",@progbits
; Kernel info:
; codeLenInByte = 0
; NumSgprs: 4
; NumVgprs: 0
; NumAgprs: 0
; TotalNumVgprs: 0
; ScratchSize: 0
; MemoryBound: 0
; FloatMode: 240
; IeeeMode: 1
; LDSByteSize: 0 bytes/workgroup (compile time only)
; SGPRBlocks: 0
; VGPRBlocks: 0
; NumSGPRsForWavesPerEU: 4
; NumVGPRsForWavesPerEU: 1
; AccumOffset: 4
; Occupancy: 8
; WaveLimiterHint : 0
; COMPUTE_PGM_RSRC2:SCRATCH_EN: 0
; COMPUTE_PGM_RSRC2:USER_SGPR: 6
; COMPUTE_PGM_RSRC2:TRAP_HANDLER: 0
; COMPUTE_PGM_RSRC2:TGID_X_EN: 1
; COMPUTE_PGM_RSRC2:TGID_Y_EN: 0
; COMPUTE_PGM_RSRC2:TGID_Z_EN: 0
; COMPUTE_PGM_RSRC2:TIDIG_COMP_CNT: 0
; COMPUTE_PGM_RSRC3_GFX90A:ACCUM_OFFSET: 0
; COMPUTE_PGM_RSRC3_GFX90A:TG_SPLIT: 0
	.section	.text._ZN7rocprim17ROCPRIM_400000_NS6detail17trampoline_kernelINS0_14default_configENS1_27scan_by_key_config_selectorIiiEEZZNS1_16scan_by_key_implILNS1_25lookback_scan_determinismE0ELb0ES3_N6thrust23THRUST_200600_302600_NS6detail15normal_iteratorINS9_10device_ptrIiEEEESE_SE_iNS9_10multipliesIiEENS9_8equal_toIiEEiEE10hipError_tPvRmT2_T3_T4_T5_mT6_T7_P12ihipStream_tbENKUlT_T0_E_clISt17integral_constantIbLb1EESZ_EEDaSU_SV_EUlSU_E_NS1_11comp_targetILNS1_3genE2ELNS1_11target_archE906ELNS1_3gpuE6ELNS1_3repE0EEENS1_30default_config_static_selectorELNS0_4arch9wavefront6targetE1EEEvT1_,"axG",@progbits,_ZN7rocprim17ROCPRIM_400000_NS6detail17trampoline_kernelINS0_14default_configENS1_27scan_by_key_config_selectorIiiEEZZNS1_16scan_by_key_implILNS1_25lookback_scan_determinismE0ELb0ES3_N6thrust23THRUST_200600_302600_NS6detail15normal_iteratorINS9_10device_ptrIiEEEESE_SE_iNS9_10multipliesIiEENS9_8equal_toIiEEiEE10hipError_tPvRmT2_T3_T4_T5_mT6_T7_P12ihipStream_tbENKUlT_T0_E_clISt17integral_constantIbLb1EESZ_EEDaSU_SV_EUlSU_E_NS1_11comp_targetILNS1_3genE2ELNS1_11target_archE906ELNS1_3gpuE6ELNS1_3repE0EEENS1_30default_config_static_selectorELNS0_4arch9wavefront6targetE1EEEvT1_,comdat
	.protected	_ZN7rocprim17ROCPRIM_400000_NS6detail17trampoline_kernelINS0_14default_configENS1_27scan_by_key_config_selectorIiiEEZZNS1_16scan_by_key_implILNS1_25lookback_scan_determinismE0ELb0ES3_N6thrust23THRUST_200600_302600_NS6detail15normal_iteratorINS9_10device_ptrIiEEEESE_SE_iNS9_10multipliesIiEENS9_8equal_toIiEEiEE10hipError_tPvRmT2_T3_T4_T5_mT6_T7_P12ihipStream_tbENKUlT_T0_E_clISt17integral_constantIbLb1EESZ_EEDaSU_SV_EUlSU_E_NS1_11comp_targetILNS1_3genE2ELNS1_11target_archE906ELNS1_3gpuE6ELNS1_3repE0EEENS1_30default_config_static_selectorELNS0_4arch9wavefront6targetE1EEEvT1_ ; -- Begin function _ZN7rocprim17ROCPRIM_400000_NS6detail17trampoline_kernelINS0_14default_configENS1_27scan_by_key_config_selectorIiiEEZZNS1_16scan_by_key_implILNS1_25lookback_scan_determinismE0ELb0ES3_N6thrust23THRUST_200600_302600_NS6detail15normal_iteratorINS9_10device_ptrIiEEEESE_SE_iNS9_10multipliesIiEENS9_8equal_toIiEEiEE10hipError_tPvRmT2_T3_T4_T5_mT6_T7_P12ihipStream_tbENKUlT_T0_E_clISt17integral_constantIbLb1EESZ_EEDaSU_SV_EUlSU_E_NS1_11comp_targetILNS1_3genE2ELNS1_11target_archE906ELNS1_3gpuE6ELNS1_3repE0EEENS1_30default_config_static_selectorELNS0_4arch9wavefront6targetE1EEEvT1_
	.globl	_ZN7rocprim17ROCPRIM_400000_NS6detail17trampoline_kernelINS0_14default_configENS1_27scan_by_key_config_selectorIiiEEZZNS1_16scan_by_key_implILNS1_25lookback_scan_determinismE0ELb0ES3_N6thrust23THRUST_200600_302600_NS6detail15normal_iteratorINS9_10device_ptrIiEEEESE_SE_iNS9_10multipliesIiEENS9_8equal_toIiEEiEE10hipError_tPvRmT2_T3_T4_T5_mT6_T7_P12ihipStream_tbENKUlT_T0_E_clISt17integral_constantIbLb1EESZ_EEDaSU_SV_EUlSU_E_NS1_11comp_targetILNS1_3genE2ELNS1_11target_archE906ELNS1_3gpuE6ELNS1_3repE0EEENS1_30default_config_static_selectorELNS0_4arch9wavefront6targetE1EEEvT1_
	.p2align	8
	.type	_ZN7rocprim17ROCPRIM_400000_NS6detail17trampoline_kernelINS0_14default_configENS1_27scan_by_key_config_selectorIiiEEZZNS1_16scan_by_key_implILNS1_25lookback_scan_determinismE0ELb0ES3_N6thrust23THRUST_200600_302600_NS6detail15normal_iteratorINS9_10device_ptrIiEEEESE_SE_iNS9_10multipliesIiEENS9_8equal_toIiEEiEE10hipError_tPvRmT2_T3_T4_T5_mT6_T7_P12ihipStream_tbENKUlT_T0_E_clISt17integral_constantIbLb1EESZ_EEDaSU_SV_EUlSU_E_NS1_11comp_targetILNS1_3genE2ELNS1_11target_archE906ELNS1_3gpuE6ELNS1_3repE0EEENS1_30default_config_static_selectorELNS0_4arch9wavefront6targetE1EEEvT1_,@function
_ZN7rocprim17ROCPRIM_400000_NS6detail17trampoline_kernelINS0_14default_configENS1_27scan_by_key_config_selectorIiiEEZZNS1_16scan_by_key_implILNS1_25lookback_scan_determinismE0ELb0ES3_N6thrust23THRUST_200600_302600_NS6detail15normal_iteratorINS9_10device_ptrIiEEEESE_SE_iNS9_10multipliesIiEENS9_8equal_toIiEEiEE10hipError_tPvRmT2_T3_T4_T5_mT6_T7_P12ihipStream_tbENKUlT_T0_E_clISt17integral_constantIbLb1EESZ_EEDaSU_SV_EUlSU_E_NS1_11comp_targetILNS1_3genE2ELNS1_11target_archE906ELNS1_3gpuE6ELNS1_3repE0EEENS1_30default_config_static_selectorELNS0_4arch9wavefront6targetE1EEEvT1_: ; @_ZN7rocprim17ROCPRIM_400000_NS6detail17trampoline_kernelINS0_14default_configENS1_27scan_by_key_config_selectorIiiEEZZNS1_16scan_by_key_implILNS1_25lookback_scan_determinismE0ELb0ES3_N6thrust23THRUST_200600_302600_NS6detail15normal_iteratorINS9_10device_ptrIiEEEESE_SE_iNS9_10multipliesIiEENS9_8equal_toIiEEiEE10hipError_tPvRmT2_T3_T4_T5_mT6_T7_P12ihipStream_tbENKUlT_T0_E_clISt17integral_constantIbLb1EESZ_EEDaSU_SV_EUlSU_E_NS1_11comp_targetILNS1_3genE2ELNS1_11target_archE906ELNS1_3gpuE6ELNS1_3repE0EEENS1_30default_config_static_selectorELNS0_4arch9wavefront6targetE1EEEvT1_
; %bb.0:
	.section	.rodata,"a",@progbits
	.p2align	6, 0x0
	.amdhsa_kernel _ZN7rocprim17ROCPRIM_400000_NS6detail17trampoline_kernelINS0_14default_configENS1_27scan_by_key_config_selectorIiiEEZZNS1_16scan_by_key_implILNS1_25lookback_scan_determinismE0ELb0ES3_N6thrust23THRUST_200600_302600_NS6detail15normal_iteratorINS9_10device_ptrIiEEEESE_SE_iNS9_10multipliesIiEENS9_8equal_toIiEEiEE10hipError_tPvRmT2_T3_T4_T5_mT6_T7_P12ihipStream_tbENKUlT_T0_E_clISt17integral_constantIbLb1EESZ_EEDaSU_SV_EUlSU_E_NS1_11comp_targetILNS1_3genE2ELNS1_11target_archE906ELNS1_3gpuE6ELNS1_3repE0EEENS1_30default_config_static_selectorELNS0_4arch9wavefront6targetE1EEEvT1_
		.amdhsa_group_segment_fixed_size 0
		.amdhsa_private_segment_fixed_size 0
		.amdhsa_kernarg_size 112
		.amdhsa_user_sgpr_count 6
		.amdhsa_user_sgpr_private_segment_buffer 1
		.amdhsa_user_sgpr_dispatch_ptr 0
		.amdhsa_user_sgpr_queue_ptr 0
		.amdhsa_user_sgpr_kernarg_segment_ptr 1
		.amdhsa_user_sgpr_dispatch_id 0
		.amdhsa_user_sgpr_flat_scratch_init 0
		.amdhsa_user_sgpr_kernarg_preload_length 0
		.amdhsa_user_sgpr_kernarg_preload_offset 0
		.amdhsa_user_sgpr_private_segment_size 0
		.amdhsa_uses_dynamic_stack 0
		.amdhsa_system_sgpr_private_segment_wavefront_offset 0
		.amdhsa_system_sgpr_workgroup_id_x 1
		.amdhsa_system_sgpr_workgroup_id_y 0
		.amdhsa_system_sgpr_workgroup_id_z 0
		.amdhsa_system_sgpr_workgroup_info 0
		.amdhsa_system_vgpr_workitem_id 0
		.amdhsa_next_free_vgpr 1
		.amdhsa_next_free_sgpr 0
		.amdhsa_accum_offset 4
		.amdhsa_reserve_vcc 0
		.amdhsa_reserve_flat_scratch 0
		.amdhsa_float_round_mode_32 0
		.amdhsa_float_round_mode_16_64 0
		.amdhsa_float_denorm_mode_32 3
		.amdhsa_float_denorm_mode_16_64 3
		.amdhsa_dx10_clamp 1
		.amdhsa_ieee_mode 1
		.amdhsa_fp16_overflow 0
		.amdhsa_tg_split 0
		.amdhsa_exception_fp_ieee_invalid_op 0
		.amdhsa_exception_fp_denorm_src 0
		.amdhsa_exception_fp_ieee_div_zero 0
		.amdhsa_exception_fp_ieee_overflow 0
		.amdhsa_exception_fp_ieee_underflow 0
		.amdhsa_exception_fp_ieee_inexact 0
		.amdhsa_exception_int_div_zero 0
	.end_amdhsa_kernel
	.section	.text._ZN7rocprim17ROCPRIM_400000_NS6detail17trampoline_kernelINS0_14default_configENS1_27scan_by_key_config_selectorIiiEEZZNS1_16scan_by_key_implILNS1_25lookback_scan_determinismE0ELb0ES3_N6thrust23THRUST_200600_302600_NS6detail15normal_iteratorINS9_10device_ptrIiEEEESE_SE_iNS9_10multipliesIiEENS9_8equal_toIiEEiEE10hipError_tPvRmT2_T3_T4_T5_mT6_T7_P12ihipStream_tbENKUlT_T0_E_clISt17integral_constantIbLb1EESZ_EEDaSU_SV_EUlSU_E_NS1_11comp_targetILNS1_3genE2ELNS1_11target_archE906ELNS1_3gpuE6ELNS1_3repE0EEENS1_30default_config_static_selectorELNS0_4arch9wavefront6targetE1EEEvT1_,"axG",@progbits,_ZN7rocprim17ROCPRIM_400000_NS6detail17trampoline_kernelINS0_14default_configENS1_27scan_by_key_config_selectorIiiEEZZNS1_16scan_by_key_implILNS1_25lookback_scan_determinismE0ELb0ES3_N6thrust23THRUST_200600_302600_NS6detail15normal_iteratorINS9_10device_ptrIiEEEESE_SE_iNS9_10multipliesIiEENS9_8equal_toIiEEiEE10hipError_tPvRmT2_T3_T4_T5_mT6_T7_P12ihipStream_tbENKUlT_T0_E_clISt17integral_constantIbLb1EESZ_EEDaSU_SV_EUlSU_E_NS1_11comp_targetILNS1_3genE2ELNS1_11target_archE906ELNS1_3gpuE6ELNS1_3repE0EEENS1_30default_config_static_selectorELNS0_4arch9wavefront6targetE1EEEvT1_,comdat
.Lfunc_end178:
	.size	_ZN7rocprim17ROCPRIM_400000_NS6detail17trampoline_kernelINS0_14default_configENS1_27scan_by_key_config_selectorIiiEEZZNS1_16scan_by_key_implILNS1_25lookback_scan_determinismE0ELb0ES3_N6thrust23THRUST_200600_302600_NS6detail15normal_iteratorINS9_10device_ptrIiEEEESE_SE_iNS9_10multipliesIiEENS9_8equal_toIiEEiEE10hipError_tPvRmT2_T3_T4_T5_mT6_T7_P12ihipStream_tbENKUlT_T0_E_clISt17integral_constantIbLb1EESZ_EEDaSU_SV_EUlSU_E_NS1_11comp_targetILNS1_3genE2ELNS1_11target_archE906ELNS1_3gpuE6ELNS1_3repE0EEENS1_30default_config_static_selectorELNS0_4arch9wavefront6targetE1EEEvT1_, .Lfunc_end178-_ZN7rocprim17ROCPRIM_400000_NS6detail17trampoline_kernelINS0_14default_configENS1_27scan_by_key_config_selectorIiiEEZZNS1_16scan_by_key_implILNS1_25lookback_scan_determinismE0ELb0ES3_N6thrust23THRUST_200600_302600_NS6detail15normal_iteratorINS9_10device_ptrIiEEEESE_SE_iNS9_10multipliesIiEENS9_8equal_toIiEEiEE10hipError_tPvRmT2_T3_T4_T5_mT6_T7_P12ihipStream_tbENKUlT_T0_E_clISt17integral_constantIbLb1EESZ_EEDaSU_SV_EUlSU_E_NS1_11comp_targetILNS1_3genE2ELNS1_11target_archE906ELNS1_3gpuE6ELNS1_3repE0EEENS1_30default_config_static_selectorELNS0_4arch9wavefront6targetE1EEEvT1_
                                        ; -- End function
	.section	.AMDGPU.csdata,"",@progbits
; Kernel info:
; codeLenInByte = 0
; NumSgprs: 4
; NumVgprs: 0
; NumAgprs: 0
; TotalNumVgprs: 0
; ScratchSize: 0
; MemoryBound: 0
; FloatMode: 240
; IeeeMode: 1
; LDSByteSize: 0 bytes/workgroup (compile time only)
; SGPRBlocks: 0
; VGPRBlocks: 0
; NumSGPRsForWavesPerEU: 4
; NumVGPRsForWavesPerEU: 1
; AccumOffset: 4
; Occupancy: 8
; WaveLimiterHint : 0
; COMPUTE_PGM_RSRC2:SCRATCH_EN: 0
; COMPUTE_PGM_RSRC2:USER_SGPR: 6
; COMPUTE_PGM_RSRC2:TRAP_HANDLER: 0
; COMPUTE_PGM_RSRC2:TGID_X_EN: 1
; COMPUTE_PGM_RSRC2:TGID_Y_EN: 0
; COMPUTE_PGM_RSRC2:TGID_Z_EN: 0
; COMPUTE_PGM_RSRC2:TIDIG_COMP_CNT: 0
; COMPUTE_PGM_RSRC3_GFX90A:ACCUM_OFFSET: 0
; COMPUTE_PGM_RSRC3_GFX90A:TG_SPLIT: 0
	.section	.text._ZN7rocprim17ROCPRIM_400000_NS6detail17trampoline_kernelINS0_14default_configENS1_27scan_by_key_config_selectorIiiEEZZNS1_16scan_by_key_implILNS1_25lookback_scan_determinismE0ELb0ES3_N6thrust23THRUST_200600_302600_NS6detail15normal_iteratorINS9_10device_ptrIiEEEESE_SE_iNS9_10multipliesIiEENS9_8equal_toIiEEiEE10hipError_tPvRmT2_T3_T4_T5_mT6_T7_P12ihipStream_tbENKUlT_T0_E_clISt17integral_constantIbLb1EESZ_EEDaSU_SV_EUlSU_E_NS1_11comp_targetILNS1_3genE10ELNS1_11target_archE1200ELNS1_3gpuE4ELNS1_3repE0EEENS1_30default_config_static_selectorELNS0_4arch9wavefront6targetE1EEEvT1_,"axG",@progbits,_ZN7rocprim17ROCPRIM_400000_NS6detail17trampoline_kernelINS0_14default_configENS1_27scan_by_key_config_selectorIiiEEZZNS1_16scan_by_key_implILNS1_25lookback_scan_determinismE0ELb0ES3_N6thrust23THRUST_200600_302600_NS6detail15normal_iteratorINS9_10device_ptrIiEEEESE_SE_iNS9_10multipliesIiEENS9_8equal_toIiEEiEE10hipError_tPvRmT2_T3_T4_T5_mT6_T7_P12ihipStream_tbENKUlT_T0_E_clISt17integral_constantIbLb1EESZ_EEDaSU_SV_EUlSU_E_NS1_11comp_targetILNS1_3genE10ELNS1_11target_archE1200ELNS1_3gpuE4ELNS1_3repE0EEENS1_30default_config_static_selectorELNS0_4arch9wavefront6targetE1EEEvT1_,comdat
	.protected	_ZN7rocprim17ROCPRIM_400000_NS6detail17trampoline_kernelINS0_14default_configENS1_27scan_by_key_config_selectorIiiEEZZNS1_16scan_by_key_implILNS1_25lookback_scan_determinismE0ELb0ES3_N6thrust23THRUST_200600_302600_NS6detail15normal_iteratorINS9_10device_ptrIiEEEESE_SE_iNS9_10multipliesIiEENS9_8equal_toIiEEiEE10hipError_tPvRmT2_T3_T4_T5_mT6_T7_P12ihipStream_tbENKUlT_T0_E_clISt17integral_constantIbLb1EESZ_EEDaSU_SV_EUlSU_E_NS1_11comp_targetILNS1_3genE10ELNS1_11target_archE1200ELNS1_3gpuE4ELNS1_3repE0EEENS1_30default_config_static_selectorELNS0_4arch9wavefront6targetE1EEEvT1_ ; -- Begin function _ZN7rocprim17ROCPRIM_400000_NS6detail17trampoline_kernelINS0_14default_configENS1_27scan_by_key_config_selectorIiiEEZZNS1_16scan_by_key_implILNS1_25lookback_scan_determinismE0ELb0ES3_N6thrust23THRUST_200600_302600_NS6detail15normal_iteratorINS9_10device_ptrIiEEEESE_SE_iNS9_10multipliesIiEENS9_8equal_toIiEEiEE10hipError_tPvRmT2_T3_T4_T5_mT6_T7_P12ihipStream_tbENKUlT_T0_E_clISt17integral_constantIbLb1EESZ_EEDaSU_SV_EUlSU_E_NS1_11comp_targetILNS1_3genE10ELNS1_11target_archE1200ELNS1_3gpuE4ELNS1_3repE0EEENS1_30default_config_static_selectorELNS0_4arch9wavefront6targetE1EEEvT1_
	.globl	_ZN7rocprim17ROCPRIM_400000_NS6detail17trampoline_kernelINS0_14default_configENS1_27scan_by_key_config_selectorIiiEEZZNS1_16scan_by_key_implILNS1_25lookback_scan_determinismE0ELb0ES3_N6thrust23THRUST_200600_302600_NS6detail15normal_iteratorINS9_10device_ptrIiEEEESE_SE_iNS9_10multipliesIiEENS9_8equal_toIiEEiEE10hipError_tPvRmT2_T3_T4_T5_mT6_T7_P12ihipStream_tbENKUlT_T0_E_clISt17integral_constantIbLb1EESZ_EEDaSU_SV_EUlSU_E_NS1_11comp_targetILNS1_3genE10ELNS1_11target_archE1200ELNS1_3gpuE4ELNS1_3repE0EEENS1_30default_config_static_selectorELNS0_4arch9wavefront6targetE1EEEvT1_
	.p2align	8
	.type	_ZN7rocprim17ROCPRIM_400000_NS6detail17trampoline_kernelINS0_14default_configENS1_27scan_by_key_config_selectorIiiEEZZNS1_16scan_by_key_implILNS1_25lookback_scan_determinismE0ELb0ES3_N6thrust23THRUST_200600_302600_NS6detail15normal_iteratorINS9_10device_ptrIiEEEESE_SE_iNS9_10multipliesIiEENS9_8equal_toIiEEiEE10hipError_tPvRmT2_T3_T4_T5_mT6_T7_P12ihipStream_tbENKUlT_T0_E_clISt17integral_constantIbLb1EESZ_EEDaSU_SV_EUlSU_E_NS1_11comp_targetILNS1_3genE10ELNS1_11target_archE1200ELNS1_3gpuE4ELNS1_3repE0EEENS1_30default_config_static_selectorELNS0_4arch9wavefront6targetE1EEEvT1_,@function
_ZN7rocprim17ROCPRIM_400000_NS6detail17trampoline_kernelINS0_14default_configENS1_27scan_by_key_config_selectorIiiEEZZNS1_16scan_by_key_implILNS1_25lookback_scan_determinismE0ELb0ES3_N6thrust23THRUST_200600_302600_NS6detail15normal_iteratorINS9_10device_ptrIiEEEESE_SE_iNS9_10multipliesIiEENS9_8equal_toIiEEiEE10hipError_tPvRmT2_T3_T4_T5_mT6_T7_P12ihipStream_tbENKUlT_T0_E_clISt17integral_constantIbLb1EESZ_EEDaSU_SV_EUlSU_E_NS1_11comp_targetILNS1_3genE10ELNS1_11target_archE1200ELNS1_3gpuE4ELNS1_3repE0EEENS1_30default_config_static_selectorELNS0_4arch9wavefront6targetE1EEEvT1_: ; @_ZN7rocprim17ROCPRIM_400000_NS6detail17trampoline_kernelINS0_14default_configENS1_27scan_by_key_config_selectorIiiEEZZNS1_16scan_by_key_implILNS1_25lookback_scan_determinismE0ELb0ES3_N6thrust23THRUST_200600_302600_NS6detail15normal_iteratorINS9_10device_ptrIiEEEESE_SE_iNS9_10multipliesIiEENS9_8equal_toIiEEiEE10hipError_tPvRmT2_T3_T4_T5_mT6_T7_P12ihipStream_tbENKUlT_T0_E_clISt17integral_constantIbLb1EESZ_EEDaSU_SV_EUlSU_E_NS1_11comp_targetILNS1_3genE10ELNS1_11target_archE1200ELNS1_3gpuE4ELNS1_3repE0EEENS1_30default_config_static_selectorELNS0_4arch9wavefront6targetE1EEEvT1_
; %bb.0:
	.section	.rodata,"a",@progbits
	.p2align	6, 0x0
	.amdhsa_kernel _ZN7rocprim17ROCPRIM_400000_NS6detail17trampoline_kernelINS0_14default_configENS1_27scan_by_key_config_selectorIiiEEZZNS1_16scan_by_key_implILNS1_25lookback_scan_determinismE0ELb0ES3_N6thrust23THRUST_200600_302600_NS6detail15normal_iteratorINS9_10device_ptrIiEEEESE_SE_iNS9_10multipliesIiEENS9_8equal_toIiEEiEE10hipError_tPvRmT2_T3_T4_T5_mT6_T7_P12ihipStream_tbENKUlT_T0_E_clISt17integral_constantIbLb1EESZ_EEDaSU_SV_EUlSU_E_NS1_11comp_targetILNS1_3genE10ELNS1_11target_archE1200ELNS1_3gpuE4ELNS1_3repE0EEENS1_30default_config_static_selectorELNS0_4arch9wavefront6targetE1EEEvT1_
		.amdhsa_group_segment_fixed_size 0
		.amdhsa_private_segment_fixed_size 0
		.amdhsa_kernarg_size 112
		.amdhsa_user_sgpr_count 6
		.amdhsa_user_sgpr_private_segment_buffer 1
		.amdhsa_user_sgpr_dispatch_ptr 0
		.amdhsa_user_sgpr_queue_ptr 0
		.amdhsa_user_sgpr_kernarg_segment_ptr 1
		.amdhsa_user_sgpr_dispatch_id 0
		.amdhsa_user_sgpr_flat_scratch_init 0
		.amdhsa_user_sgpr_kernarg_preload_length 0
		.amdhsa_user_sgpr_kernarg_preload_offset 0
		.amdhsa_user_sgpr_private_segment_size 0
		.amdhsa_uses_dynamic_stack 0
		.amdhsa_system_sgpr_private_segment_wavefront_offset 0
		.amdhsa_system_sgpr_workgroup_id_x 1
		.amdhsa_system_sgpr_workgroup_id_y 0
		.amdhsa_system_sgpr_workgroup_id_z 0
		.amdhsa_system_sgpr_workgroup_info 0
		.amdhsa_system_vgpr_workitem_id 0
		.amdhsa_next_free_vgpr 1
		.amdhsa_next_free_sgpr 0
		.amdhsa_accum_offset 4
		.amdhsa_reserve_vcc 0
		.amdhsa_reserve_flat_scratch 0
		.amdhsa_float_round_mode_32 0
		.amdhsa_float_round_mode_16_64 0
		.amdhsa_float_denorm_mode_32 3
		.amdhsa_float_denorm_mode_16_64 3
		.amdhsa_dx10_clamp 1
		.amdhsa_ieee_mode 1
		.amdhsa_fp16_overflow 0
		.amdhsa_tg_split 0
		.amdhsa_exception_fp_ieee_invalid_op 0
		.amdhsa_exception_fp_denorm_src 0
		.amdhsa_exception_fp_ieee_div_zero 0
		.amdhsa_exception_fp_ieee_overflow 0
		.amdhsa_exception_fp_ieee_underflow 0
		.amdhsa_exception_fp_ieee_inexact 0
		.amdhsa_exception_int_div_zero 0
	.end_amdhsa_kernel
	.section	.text._ZN7rocprim17ROCPRIM_400000_NS6detail17trampoline_kernelINS0_14default_configENS1_27scan_by_key_config_selectorIiiEEZZNS1_16scan_by_key_implILNS1_25lookback_scan_determinismE0ELb0ES3_N6thrust23THRUST_200600_302600_NS6detail15normal_iteratorINS9_10device_ptrIiEEEESE_SE_iNS9_10multipliesIiEENS9_8equal_toIiEEiEE10hipError_tPvRmT2_T3_T4_T5_mT6_T7_P12ihipStream_tbENKUlT_T0_E_clISt17integral_constantIbLb1EESZ_EEDaSU_SV_EUlSU_E_NS1_11comp_targetILNS1_3genE10ELNS1_11target_archE1200ELNS1_3gpuE4ELNS1_3repE0EEENS1_30default_config_static_selectorELNS0_4arch9wavefront6targetE1EEEvT1_,"axG",@progbits,_ZN7rocprim17ROCPRIM_400000_NS6detail17trampoline_kernelINS0_14default_configENS1_27scan_by_key_config_selectorIiiEEZZNS1_16scan_by_key_implILNS1_25lookback_scan_determinismE0ELb0ES3_N6thrust23THRUST_200600_302600_NS6detail15normal_iteratorINS9_10device_ptrIiEEEESE_SE_iNS9_10multipliesIiEENS9_8equal_toIiEEiEE10hipError_tPvRmT2_T3_T4_T5_mT6_T7_P12ihipStream_tbENKUlT_T0_E_clISt17integral_constantIbLb1EESZ_EEDaSU_SV_EUlSU_E_NS1_11comp_targetILNS1_3genE10ELNS1_11target_archE1200ELNS1_3gpuE4ELNS1_3repE0EEENS1_30default_config_static_selectorELNS0_4arch9wavefront6targetE1EEEvT1_,comdat
.Lfunc_end179:
	.size	_ZN7rocprim17ROCPRIM_400000_NS6detail17trampoline_kernelINS0_14default_configENS1_27scan_by_key_config_selectorIiiEEZZNS1_16scan_by_key_implILNS1_25lookback_scan_determinismE0ELb0ES3_N6thrust23THRUST_200600_302600_NS6detail15normal_iteratorINS9_10device_ptrIiEEEESE_SE_iNS9_10multipliesIiEENS9_8equal_toIiEEiEE10hipError_tPvRmT2_T3_T4_T5_mT6_T7_P12ihipStream_tbENKUlT_T0_E_clISt17integral_constantIbLb1EESZ_EEDaSU_SV_EUlSU_E_NS1_11comp_targetILNS1_3genE10ELNS1_11target_archE1200ELNS1_3gpuE4ELNS1_3repE0EEENS1_30default_config_static_selectorELNS0_4arch9wavefront6targetE1EEEvT1_, .Lfunc_end179-_ZN7rocprim17ROCPRIM_400000_NS6detail17trampoline_kernelINS0_14default_configENS1_27scan_by_key_config_selectorIiiEEZZNS1_16scan_by_key_implILNS1_25lookback_scan_determinismE0ELb0ES3_N6thrust23THRUST_200600_302600_NS6detail15normal_iteratorINS9_10device_ptrIiEEEESE_SE_iNS9_10multipliesIiEENS9_8equal_toIiEEiEE10hipError_tPvRmT2_T3_T4_T5_mT6_T7_P12ihipStream_tbENKUlT_T0_E_clISt17integral_constantIbLb1EESZ_EEDaSU_SV_EUlSU_E_NS1_11comp_targetILNS1_3genE10ELNS1_11target_archE1200ELNS1_3gpuE4ELNS1_3repE0EEENS1_30default_config_static_selectorELNS0_4arch9wavefront6targetE1EEEvT1_
                                        ; -- End function
	.section	.AMDGPU.csdata,"",@progbits
; Kernel info:
; codeLenInByte = 0
; NumSgprs: 4
; NumVgprs: 0
; NumAgprs: 0
; TotalNumVgprs: 0
; ScratchSize: 0
; MemoryBound: 0
; FloatMode: 240
; IeeeMode: 1
; LDSByteSize: 0 bytes/workgroup (compile time only)
; SGPRBlocks: 0
; VGPRBlocks: 0
; NumSGPRsForWavesPerEU: 4
; NumVGPRsForWavesPerEU: 1
; AccumOffset: 4
; Occupancy: 8
; WaveLimiterHint : 0
; COMPUTE_PGM_RSRC2:SCRATCH_EN: 0
; COMPUTE_PGM_RSRC2:USER_SGPR: 6
; COMPUTE_PGM_RSRC2:TRAP_HANDLER: 0
; COMPUTE_PGM_RSRC2:TGID_X_EN: 1
; COMPUTE_PGM_RSRC2:TGID_Y_EN: 0
; COMPUTE_PGM_RSRC2:TGID_Z_EN: 0
; COMPUTE_PGM_RSRC2:TIDIG_COMP_CNT: 0
; COMPUTE_PGM_RSRC3_GFX90A:ACCUM_OFFSET: 0
; COMPUTE_PGM_RSRC3_GFX90A:TG_SPLIT: 0
	.section	.text._ZN7rocprim17ROCPRIM_400000_NS6detail17trampoline_kernelINS0_14default_configENS1_27scan_by_key_config_selectorIiiEEZZNS1_16scan_by_key_implILNS1_25lookback_scan_determinismE0ELb0ES3_N6thrust23THRUST_200600_302600_NS6detail15normal_iteratorINS9_10device_ptrIiEEEESE_SE_iNS9_10multipliesIiEENS9_8equal_toIiEEiEE10hipError_tPvRmT2_T3_T4_T5_mT6_T7_P12ihipStream_tbENKUlT_T0_E_clISt17integral_constantIbLb1EESZ_EEDaSU_SV_EUlSU_E_NS1_11comp_targetILNS1_3genE9ELNS1_11target_archE1100ELNS1_3gpuE3ELNS1_3repE0EEENS1_30default_config_static_selectorELNS0_4arch9wavefront6targetE1EEEvT1_,"axG",@progbits,_ZN7rocprim17ROCPRIM_400000_NS6detail17trampoline_kernelINS0_14default_configENS1_27scan_by_key_config_selectorIiiEEZZNS1_16scan_by_key_implILNS1_25lookback_scan_determinismE0ELb0ES3_N6thrust23THRUST_200600_302600_NS6detail15normal_iteratorINS9_10device_ptrIiEEEESE_SE_iNS9_10multipliesIiEENS9_8equal_toIiEEiEE10hipError_tPvRmT2_T3_T4_T5_mT6_T7_P12ihipStream_tbENKUlT_T0_E_clISt17integral_constantIbLb1EESZ_EEDaSU_SV_EUlSU_E_NS1_11comp_targetILNS1_3genE9ELNS1_11target_archE1100ELNS1_3gpuE3ELNS1_3repE0EEENS1_30default_config_static_selectorELNS0_4arch9wavefront6targetE1EEEvT1_,comdat
	.protected	_ZN7rocprim17ROCPRIM_400000_NS6detail17trampoline_kernelINS0_14default_configENS1_27scan_by_key_config_selectorIiiEEZZNS1_16scan_by_key_implILNS1_25lookback_scan_determinismE0ELb0ES3_N6thrust23THRUST_200600_302600_NS6detail15normal_iteratorINS9_10device_ptrIiEEEESE_SE_iNS9_10multipliesIiEENS9_8equal_toIiEEiEE10hipError_tPvRmT2_T3_T4_T5_mT6_T7_P12ihipStream_tbENKUlT_T0_E_clISt17integral_constantIbLb1EESZ_EEDaSU_SV_EUlSU_E_NS1_11comp_targetILNS1_3genE9ELNS1_11target_archE1100ELNS1_3gpuE3ELNS1_3repE0EEENS1_30default_config_static_selectorELNS0_4arch9wavefront6targetE1EEEvT1_ ; -- Begin function _ZN7rocprim17ROCPRIM_400000_NS6detail17trampoline_kernelINS0_14default_configENS1_27scan_by_key_config_selectorIiiEEZZNS1_16scan_by_key_implILNS1_25lookback_scan_determinismE0ELb0ES3_N6thrust23THRUST_200600_302600_NS6detail15normal_iteratorINS9_10device_ptrIiEEEESE_SE_iNS9_10multipliesIiEENS9_8equal_toIiEEiEE10hipError_tPvRmT2_T3_T4_T5_mT6_T7_P12ihipStream_tbENKUlT_T0_E_clISt17integral_constantIbLb1EESZ_EEDaSU_SV_EUlSU_E_NS1_11comp_targetILNS1_3genE9ELNS1_11target_archE1100ELNS1_3gpuE3ELNS1_3repE0EEENS1_30default_config_static_selectorELNS0_4arch9wavefront6targetE1EEEvT1_
	.globl	_ZN7rocprim17ROCPRIM_400000_NS6detail17trampoline_kernelINS0_14default_configENS1_27scan_by_key_config_selectorIiiEEZZNS1_16scan_by_key_implILNS1_25lookback_scan_determinismE0ELb0ES3_N6thrust23THRUST_200600_302600_NS6detail15normal_iteratorINS9_10device_ptrIiEEEESE_SE_iNS9_10multipliesIiEENS9_8equal_toIiEEiEE10hipError_tPvRmT2_T3_T4_T5_mT6_T7_P12ihipStream_tbENKUlT_T0_E_clISt17integral_constantIbLb1EESZ_EEDaSU_SV_EUlSU_E_NS1_11comp_targetILNS1_3genE9ELNS1_11target_archE1100ELNS1_3gpuE3ELNS1_3repE0EEENS1_30default_config_static_selectorELNS0_4arch9wavefront6targetE1EEEvT1_
	.p2align	8
	.type	_ZN7rocprim17ROCPRIM_400000_NS6detail17trampoline_kernelINS0_14default_configENS1_27scan_by_key_config_selectorIiiEEZZNS1_16scan_by_key_implILNS1_25lookback_scan_determinismE0ELb0ES3_N6thrust23THRUST_200600_302600_NS6detail15normal_iteratorINS9_10device_ptrIiEEEESE_SE_iNS9_10multipliesIiEENS9_8equal_toIiEEiEE10hipError_tPvRmT2_T3_T4_T5_mT6_T7_P12ihipStream_tbENKUlT_T0_E_clISt17integral_constantIbLb1EESZ_EEDaSU_SV_EUlSU_E_NS1_11comp_targetILNS1_3genE9ELNS1_11target_archE1100ELNS1_3gpuE3ELNS1_3repE0EEENS1_30default_config_static_selectorELNS0_4arch9wavefront6targetE1EEEvT1_,@function
_ZN7rocprim17ROCPRIM_400000_NS6detail17trampoline_kernelINS0_14default_configENS1_27scan_by_key_config_selectorIiiEEZZNS1_16scan_by_key_implILNS1_25lookback_scan_determinismE0ELb0ES3_N6thrust23THRUST_200600_302600_NS6detail15normal_iteratorINS9_10device_ptrIiEEEESE_SE_iNS9_10multipliesIiEENS9_8equal_toIiEEiEE10hipError_tPvRmT2_T3_T4_T5_mT6_T7_P12ihipStream_tbENKUlT_T0_E_clISt17integral_constantIbLb1EESZ_EEDaSU_SV_EUlSU_E_NS1_11comp_targetILNS1_3genE9ELNS1_11target_archE1100ELNS1_3gpuE3ELNS1_3repE0EEENS1_30default_config_static_selectorELNS0_4arch9wavefront6targetE1EEEvT1_: ; @_ZN7rocprim17ROCPRIM_400000_NS6detail17trampoline_kernelINS0_14default_configENS1_27scan_by_key_config_selectorIiiEEZZNS1_16scan_by_key_implILNS1_25lookback_scan_determinismE0ELb0ES3_N6thrust23THRUST_200600_302600_NS6detail15normal_iteratorINS9_10device_ptrIiEEEESE_SE_iNS9_10multipliesIiEENS9_8equal_toIiEEiEE10hipError_tPvRmT2_T3_T4_T5_mT6_T7_P12ihipStream_tbENKUlT_T0_E_clISt17integral_constantIbLb1EESZ_EEDaSU_SV_EUlSU_E_NS1_11comp_targetILNS1_3genE9ELNS1_11target_archE1100ELNS1_3gpuE3ELNS1_3repE0EEENS1_30default_config_static_selectorELNS0_4arch9wavefront6targetE1EEEvT1_
; %bb.0:
	.section	.rodata,"a",@progbits
	.p2align	6, 0x0
	.amdhsa_kernel _ZN7rocprim17ROCPRIM_400000_NS6detail17trampoline_kernelINS0_14default_configENS1_27scan_by_key_config_selectorIiiEEZZNS1_16scan_by_key_implILNS1_25lookback_scan_determinismE0ELb0ES3_N6thrust23THRUST_200600_302600_NS6detail15normal_iteratorINS9_10device_ptrIiEEEESE_SE_iNS9_10multipliesIiEENS9_8equal_toIiEEiEE10hipError_tPvRmT2_T3_T4_T5_mT6_T7_P12ihipStream_tbENKUlT_T0_E_clISt17integral_constantIbLb1EESZ_EEDaSU_SV_EUlSU_E_NS1_11comp_targetILNS1_3genE9ELNS1_11target_archE1100ELNS1_3gpuE3ELNS1_3repE0EEENS1_30default_config_static_selectorELNS0_4arch9wavefront6targetE1EEEvT1_
		.amdhsa_group_segment_fixed_size 0
		.amdhsa_private_segment_fixed_size 0
		.amdhsa_kernarg_size 112
		.amdhsa_user_sgpr_count 6
		.amdhsa_user_sgpr_private_segment_buffer 1
		.amdhsa_user_sgpr_dispatch_ptr 0
		.amdhsa_user_sgpr_queue_ptr 0
		.amdhsa_user_sgpr_kernarg_segment_ptr 1
		.amdhsa_user_sgpr_dispatch_id 0
		.amdhsa_user_sgpr_flat_scratch_init 0
		.amdhsa_user_sgpr_kernarg_preload_length 0
		.amdhsa_user_sgpr_kernarg_preload_offset 0
		.amdhsa_user_sgpr_private_segment_size 0
		.amdhsa_uses_dynamic_stack 0
		.amdhsa_system_sgpr_private_segment_wavefront_offset 0
		.amdhsa_system_sgpr_workgroup_id_x 1
		.amdhsa_system_sgpr_workgroup_id_y 0
		.amdhsa_system_sgpr_workgroup_id_z 0
		.amdhsa_system_sgpr_workgroup_info 0
		.amdhsa_system_vgpr_workitem_id 0
		.amdhsa_next_free_vgpr 1
		.amdhsa_next_free_sgpr 0
		.amdhsa_accum_offset 4
		.amdhsa_reserve_vcc 0
		.amdhsa_reserve_flat_scratch 0
		.amdhsa_float_round_mode_32 0
		.amdhsa_float_round_mode_16_64 0
		.amdhsa_float_denorm_mode_32 3
		.amdhsa_float_denorm_mode_16_64 3
		.amdhsa_dx10_clamp 1
		.amdhsa_ieee_mode 1
		.amdhsa_fp16_overflow 0
		.amdhsa_tg_split 0
		.amdhsa_exception_fp_ieee_invalid_op 0
		.amdhsa_exception_fp_denorm_src 0
		.amdhsa_exception_fp_ieee_div_zero 0
		.amdhsa_exception_fp_ieee_overflow 0
		.amdhsa_exception_fp_ieee_underflow 0
		.amdhsa_exception_fp_ieee_inexact 0
		.amdhsa_exception_int_div_zero 0
	.end_amdhsa_kernel
	.section	.text._ZN7rocprim17ROCPRIM_400000_NS6detail17trampoline_kernelINS0_14default_configENS1_27scan_by_key_config_selectorIiiEEZZNS1_16scan_by_key_implILNS1_25lookback_scan_determinismE0ELb0ES3_N6thrust23THRUST_200600_302600_NS6detail15normal_iteratorINS9_10device_ptrIiEEEESE_SE_iNS9_10multipliesIiEENS9_8equal_toIiEEiEE10hipError_tPvRmT2_T3_T4_T5_mT6_T7_P12ihipStream_tbENKUlT_T0_E_clISt17integral_constantIbLb1EESZ_EEDaSU_SV_EUlSU_E_NS1_11comp_targetILNS1_3genE9ELNS1_11target_archE1100ELNS1_3gpuE3ELNS1_3repE0EEENS1_30default_config_static_selectorELNS0_4arch9wavefront6targetE1EEEvT1_,"axG",@progbits,_ZN7rocprim17ROCPRIM_400000_NS6detail17trampoline_kernelINS0_14default_configENS1_27scan_by_key_config_selectorIiiEEZZNS1_16scan_by_key_implILNS1_25lookback_scan_determinismE0ELb0ES3_N6thrust23THRUST_200600_302600_NS6detail15normal_iteratorINS9_10device_ptrIiEEEESE_SE_iNS9_10multipliesIiEENS9_8equal_toIiEEiEE10hipError_tPvRmT2_T3_T4_T5_mT6_T7_P12ihipStream_tbENKUlT_T0_E_clISt17integral_constantIbLb1EESZ_EEDaSU_SV_EUlSU_E_NS1_11comp_targetILNS1_3genE9ELNS1_11target_archE1100ELNS1_3gpuE3ELNS1_3repE0EEENS1_30default_config_static_selectorELNS0_4arch9wavefront6targetE1EEEvT1_,comdat
.Lfunc_end180:
	.size	_ZN7rocprim17ROCPRIM_400000_NS6detail17trampoline_kernelINS0_14default_configENS1_27scan_by_key_config_selectorIiiEEZZNS1_16scan_by_key_implILNS1_25lookback_scan_determinismE0ELb0ES3_N6thrust23THRUST_200600_302600_NS6detail15normal_iteratorINS9_10device_ptrIiEEEESE_SE_iNS9_10multipliesIiEENS9_8equal_toIiEEiEE10hipError_tPvRmT2_T3_T4_T5_mT6_T7_P12ihipStream_tbENKUlT_T0_E_clISt17integral_constantIbLb1EESZ_EEDaSU_SV_EUlSU_E_NS1_11comp_targetILNS1_3genE9ELNS1_11target_archE1100ELNS1_3gpuE3ELNS1_3repE0EEENS1_30default_config_static_selectorELNS0_4arch9wavefront6targetE1EEEvT1_, .Lfunc_end180-_ZN7rocprim17ROCPRIM_400000_NS6detail17trampoline_kernelINS0_14default_configENS1_27scan_by_key_config_selectorIiiEEZZNS1_16scan_by_key_implILNS1_25lookback_scan_determinismE0ELb0ES3_N6thrust23THRUST_200600_302600_NS6detail15normal_iteratorINS9_10device_ptrIiEEEESE_SE_iNS9_10multipliesIiEENS9_8equal_toIiEEiEE10hipError_tPvRmT2_T3_T4_T5_mT6_T7_P12ihipStream_tbENKUlT_T0_E_clISt17integral_constantIbLb1EESZ_EEDaSU_SV_EUlSU_E_NS1_11comp_targetILNS1_3genE9ELNS1_11target_archE1100ELNS1_3gpuE3ELNS1_3repE0EEENS1_30default_config_static_selectorELNS0_4arch9wavefront6targetE1EEEvT1_
                                        ; -- End function
	.section	.AMDGPU.csdata,"",@progbits
; Kernel info:
; codeLenInByte = 0
; NumSgprs: 4
; NumVgprs: 0
; NumAgprs: 0
; TotalNumVgprs: 0
; ScratchSize: 0
; MemoryBound: 0
; FloatMode: 240
; IeeeMode: 1
; LDSByteSize: 0 bytes/workgroup (compile time only)
; SGPRBlocks: 0
; VGPRBlocks: 0
; NumSGPRsForWavesPerEU: 4
; NumVGPRsForWavesPerEU: 1
; AccumOffset: 4
; Occupancy: 8
; WaveLimiterHint : 0
; COMPUTE_PGM_RSRC2:SCRATCH_EN: 0
; COMPUTE_PGM_RSRC2:USER_SGPR: 6
; COMPUTE_PGM_RSRC2:TRAP_HANDLER: 0
; COMPUTE_PGM_RSRC2:TGID_X_EN: 1
; COMPUTE_PGM_RSRC2:TGID_Y_EN: 0
; COMPUTE_PGM_RSRC2:TGID_Z_EN: 0
; COMPUTE_PGM_RSRC2:TIDIG_COMP_CNT: 0
; COMPUTE_PGM_RSRC3_GFX90A:ACCUM_OFFSET: 0
; COMPUTE_PGM_RSRC3_GFX90A:TG_SPLIT: 0
	.section	.text._ZN7rocprim17ROCPRIM_400000_NS6detail17trampoline_kernelINS0_14default_configENS1_27scan_by_key_config_selectorIiiEEZZNS1_16scan_by_key_implILNS1_25lookback_scan_determinismE0ELb0ES3_N6thrust23THRUST_200600_302600_NS6detail15normal_iteratorINS9_10device_ptrIiEEEESE_SE_iNS9_10multipliesIiEENS9_8equal_toIiEEiEE10hipError_tPvRmT2_T3_T4_T5_mT6_T7_P12ihipStream_tbENKUlT_T0_E_clISt17integral_constantIbLb1EESZ_EEDaSU_SV_EUlSU_E_NS1_11comp_targetILNS1_3genE8ELNS1_11target_archE1030ELNS1_3gpuE2ELNS1_3repE0EEENS1_30default_config_static_selectorELNS0_4arch9wavefront6targetE1EEEvT1_,"axG",@progbits,_ZN7rocprim17ROCPRIM_400000_NS6detail17trampoline_kernelINS0_14default_configENS1_27scan_by_key_config_selectorIiiEEZZNS1_16scan_by_key_implILNS1_25lookback_scan_determinismE0ELb0ES3_N6thrust23THRUST_200600_302600_NS6detail15normal_iteratorINS9_10device_ptrIiEEEESE_SE_iNS9_10multipliesIiEENS9_8equal_toIiEEiEE10hipError_tPvRmT2_T3_T4_T5_mT6_T7_P12ihipStream_tbENKUlT_T0_E_clISt17integral_constantIbLb1EESZ_EEDaSU_SV_EUlSU_E_NS1_11comp_targetILNS1_3genE8ELNS1_11target_archE1030ELNS1_3gpuE2ELNS1_3repE0EEENS1_30default_config_static_selectorELNS0_4arch9wavefront6targetE1EEEvT1_,comdat
	.protected	_ZN7rocprim17ROCPRIM_400000_NS6detail17trampoline_kernelINS0_14default_configENS1_27scan_by_key_config_selectorIiiEEZZNS1_16scan_by_key_implILNS1_25lookback_scan_determinismE0ELb0ES3_N6thrust23THRUST_200600_302600_NS6detail15normal_iteratorINS9_10device_ptrIiEEEESE_SE_iNS9_10multipliesIiEENS9_8equal_toIiEEiEE10hipError_tPvRmT2_T3_T4_T5_mT6_T7_P12ihipStream_tbENKUlT_T0_E_clISt17integral_constantIbLb1EESZ_EEDaSU_SV_EUlSU_E_NS1_11comp_targetILNS1_3genE8ELNS1_11target_archE1030ELNS1_3gpuE2ELNS1_3repE0EEENS1_30default_config_static_selectorELNS0_4arch9wavefront6targetE1EEEvT1_ ; -- Begin function _ZN7rocprim17ROCPRIM_400000_NS6detail17trampoline_kernelINS0_14default_configENS1_27scan_by_key_config_selectorIiiEEZZNS1_16scan_by_key_implILNS1_25lookback_scan_determinismE0ELb0ES3_N6thrust23THRUST_200600_302600_NS6detail15normal_iteratorINS9_10device_ptrIiEEEESE_SE_iNS9_10multipliesIiEENS9_8equal_toIiEEiEE10hipError_tPvRmT2_T3_T4_T5_mT6_T7_P12ihipStream_tbENKUlT_T0_E_clISt17integral_constantIbLb1EESZ_EEDaSU_SV_EUlSU_E_NS1_11comp_targetILNS1_3genE8ELNS1_11target_archE1030ELNS1_3gpuE2ELNS1_3repE0EEENS1_30default_config_static_selectorELNS0_4arch9wavefront6targetE1EEEvT1_
	.globl	_ZN7rocprim17ROCPRIM_400000_NS6detail17trampoline_kernelINS0_14default_configENS1_27scan_by_key_config_selectorIiiEEZZNS1_16scan_by_key_implILNS1_25lookback_scan_determinismE0ELb0ES3_N6thrust23THRUST_200600_302600_NS6detail15normal_iteratorINS9_10device_ptrIiEEEESE_SE_iNS9_10multipliesIiEENS9_8equal_toIiEEiEE10hipError_tPvRmT2_T3_T4_T5_mT6_T7_P12ihipStream_tbENKUlT_T0_E_clISt17integral_constantIbLb1EESZ_EEDaSU_SV_EUlSU_E_NS1_11comp_targetILNS1_3genE8ELNS1_11target_archE1030ELNS1_3gpuE2ELNS1_3repE0EEENS1_30default_config_static_selectorELNS0_4arch9wavefront6targetE1EEEvT1_
	.p2align	8
	.type	_ZN7rocprim17ROCPRIM_400000_NS6detail17trampoline_kernelINS0_14default_configENS1_27scan_by_key_config_selectorIiiEEZZNS1_16scan_by_key_implILNS1_25lookback_scan_determinismE0ELb0ES3_N6thrust23THRUST_200600_302600_NS6detail15normal_iteratorINS9_10device_ptrIiEEEESE_SE_iNS9_10multipliesIiEENS9_8equal_toIiEEiEE10hipError_tPvRmT2_T3_T4_T5_mT6_T7_P12ihipStream_tbENKUlT_T0_E_clISt17integral_constantIbLb1EESZ_EEDaSU_SV_EUlSU_E_NS1_11comp_targetILNS1_3genE8ELNS1_11target_archE1030ELNS1_3gpuE2ELNS1_3repE0EEENS1_30default_config_static_selectorELNS0_4arch9wavefront6targetE1EEEvT1_,@function
_ZN7rocprim17ROCPRIM_400000_NS6detail17trampoline_kernelINS0_14default_configENS1_27scan_by_key_config_selectorIiiEEZZNS1_16scan_by_key_implILNS1_25lookback_scan_determinismE0ELb0ES3_N6thrust23THRUST_200600_302600_NS6detail15normal_iteratorINS9_10device_ptrIiEEEESE_SE_iNS9_10multipliesIiEENS9_8equal_toIiEEiEE10hipError_tPvRmT2_T3_T4_T5_mT6_T7_P12ihipStream_tbENKUlT_T0_E_clISt17integral_constantIbLb1EESZ_EEDaSU_SV_EUlSU_E_NS1_11comp_targetILNS1_3genE8ELNS1_11target_archE1030ELNS1_3gpuE2ELNS1_3repE0EEENS1_30default_config_static_selectorELNS0_4arch9wavefront6targetE1EEEvT1_: ; @_ZN7rocprim17ROCPRIM_400000_NS6detail17trampoline_kernelINS0_14default_configENS1_27scan_by_key_config_selectorIiiEEZZNS1_16scan_by_key_implILNS1_25lookback_scan_determinismE0ELb0ES3_N6thrust23THRUST_200600_302600_NS6detail15normal_iteratorINS9_10device_ptrIiEEEESE_SE_iNS9_10multipliesIiEENS9_8equal_toIiEEiEE10hipError_tPvRmT2_T3_T4_T5_mT6_T7_P12ihipStream_tbENKUlT_T0_E_clISt17integral_constantIbLb1EESZ_EEDaSU_SV_EUlSU_E_NS1_11comp_targetILNS1_3genE8ELNS1_11target_archE1030ELNS1_3gpuE2ELNS1_3repE0EEENS1_30default_config_static_selectorELNS0_4arch9wavefront6targetE1EEEvT1_
; %bb.0:
	.section	.rodata,"a",@progbits
	.p2align	6, 0x0
	.amdhsa_kernel _ZN7rocprim17ROCPRIM_400000_NS6detail17trampoline_kernelINS0_14default_configENS1_27scan_by_key_config_selectorIiiEEZZNS1_16scan_by_key_implILNS1_25lookback_scan_determinismE0ELb0ES3_N6thrust23THRUST_200600_302600_NS6detail15normal_iteratorINS9_10device_ptrIiEEEESE_SE_iNS9_10multipliesIiEENS9_8equal_toIiEEiEE10hipError_tPvRmT2_T3_T4_T5_mT6_T7_P12ihipStream_tbENKUlT_T0_E_clISt17integral_constantIbLb1EESZ_EEDaSU_SV_EUlSU_E_NS1_11comp_targetILNS1_3genE8ELNS1_11target_archE1030ELNS1_3gpuE2ELNS1_3repE0EEENS1_30default_config_static_selectorELNS0_4arch9wavefront6targetE1EEEvT1_
		.amdhsa_group_segment_fixed_size 0
		.amdhsa_private_segment_fixed_size 0
		.amdhsa_kernarg_size 112
		.amdhsa_user_sgpr_count 6
		.amdhsa_user_sgpr_private_segment_buffer 1
		.amdhsa_user_sgpr_dispatch_ptr 0
		.amdhsa_user_sgpr_queue_ptr 0
		.amdhsa_user_sgpr_kernarg_segment_ptr 1
		.amdhsa_user_sgpr_dispatch_id 0
		.amdhsa_user_sgpr_flat_scratch_init 0
		.amdhsa_user_sgpr_kernarg_preload_length 0
		.amdhsa_user_sgpr_kernarg_preload_offset 0
		.amdhsa_user_sgpr_private_segment_size 0
		.amdhsa_uses_dynamic_stack 0
		.amdhsa_system_sgpr_private_segment_wavefront_offset 0
		.amdhsa_system_sgpr_workgroup_id_x 1
		.amdhsa_system_sgpr_workgroup_id_y 0
		.amdhsa_system_sgpr_workgroup_id_z 0
		.amdhsa_system_sgpr_workgroup_info 0
		.amdhsa_system_vgpr_workitem_id 0
		.amdhsa_next_free_vgpr 1
		.amdhsa_next_free_sgpr 0
		.amdhsa_accum_offset 4
		.amdhsa_reserve_vcc 0
		.amdhsa_reserve_flat_scratch 0
		.amdhsa_float_round_mode_32 0
		.amdhsa_float_round_mode_16_64 0
		.amdhsa_float_denorm_mode_32 3
		.amdhsa_float_denorm_mode_16_64 3
		.amdhsa_dx10_clamp 1
		.amdhsa_ieee_mode 1
		.amdhsa_fp16_overflow 0
		.amdhsa_tg_split 0
		.amdhsa_exception_fp_ieee_invalid_op 0
		.amdhsa_exception_fp_denorm_src 0
		.amdhsa_exception_fp_ieee_div_zero 0
		.amdhsa_exception_fp_ieee_overflow 0
		.amdhsa_exception_fp_ieee_underflow 0
		.amdhsa_exception_fp_ieee_inexact 0
		.amdhsa_exception_int_div_zero 0
	.end_amdhsa_kernel
	.section	.text._ZN7rocprim17ROCPRIM_400000_NS6detail17trampoline_kernelINS0_14default_configENS1_27scan_by_key_config_selectorIiiEEZZNS1_16scan_by_key_implILNS1_25lookback_scan_determinismE0ELb0ES3_N6thrust23THRUST_200600_302600_NS6detail15normal_iteratorINS9_10device_ptrIiEEEESE_SE_iNS9_10multipliesIiEENS9_8equal_toIiEEiEE10hipError_tPvRmT2_T3_T4_T5_mT6_T7_P12ihipStream_tbENKUlT_T0_E_clISt17integral_constantIbLb1EESZ_EEDaSU_SV_EUlSU_E_NS1_11comp_targetILNS1_3genE8ELNS1_11target_archE1030ELNS1_3gpuE2ELNS1_3repE0EEENS1_30default_config_static_selectorELNS0_4arch9wavefront6targetE1EEEvT1_,"axG",@progbits,_ZN7rocprim17ROCPRIM_400000_NS6detail17trampoline_kernelINS0_14default_configENS1_27scan_by_key_config_selectorIiiEEZZNS1_16scan_by_key_implILNS1_25lookback_scan_determinismE0ELb0ES3_N6thrust23THRUST_200600_302600_NS6detail15normal_iteratorINS9_10device_ptrIiEEEESE_SE_iNS9_10multipliesIiEENS9_8equal_toIiEEiEE10hipError_tPvRmT2_T3_T4_T5_mT6_T7_P12ihipStream_tbENKUlT_T0_E_clISt17integral_constantIbLb1EESZ_EEDaSU_SV_EUlSU_E_NS1_11comp_targetILNS1_3genE8ELNS1_11target_archE1030ELNS1_3gpuE2ELNS1_3repE0EEENS1_30default_config_static_selectorELNS0_4arch9wavefront6targetE1EEEvT1_,comdat
.Lfunc_end181:
	.size	_ZN7rocprim17ROCPRIM_400000_NS6detail17trampoline_kernelINS0_14default_configENS1_27scan_by_key_config_selectorIiiEEZZNS1_16scan_by_key_implILNS1_25lookback_scan_determinismE0ELb0ES3_N6thrust23THRUST_200600_302600_NS6detail15normal_iteratorINS9_10device_ptrIiEEEESE_SE_iNS9_10multipliesIiEENS9_8equal_toIiEEiEE10hipError_tPvRmT2_T3_T4_T5_mT6_T7_P12ihipStream_tbENKUlT_T0_E_clISt17integral_constantIbLb1EESZ_EEDaSU_SV_EUlSU_E_NS1_11comp_targetILNS1_3genE8ELNS1_11target_archE1030ELNS1_3gpuE2ELNS1_3repE0EEENS1_30default_config_static_selectorELNS0_4arch9wavefront6targetE1EEEvT1_, .Lfunc_end181-_ZN7rocprim17ROCPRIM_400000_NS6detail17trampoline_kernelINS0_14default_configENS1_27scan_by_key_config_selectorIiiEEZZNS1_16scan_by_key_implILNS1_25lookback_scan_determinismE0ELb0ES3_N6thrust23THRUST_200600_302600_NS6detail15normal_iteratorINS9_10device_ptrIiEEEESE_SE_iNS9_10multipliesIiEENS9_8equal_toIiEEiEE10hipError_tPvRmT2_T3_T4_T5_mT6_T7_P12ihipStream_tbENKUlT_T0_E_clISt17integral_constantIbLb1EESZ_EEDaSU_SV_EUlSU_E_NS1_11comp_targetILNS1_3genE8ELNS1_11target_archE1030ELNS1_3gpuE2ELNS1_3repE0EEENS1_30default_config_static_selectorELNS0_4arch9wavefront6targetE1EEEvT1_
                                        ; -- End function
	.section	.AMDGPU.csdata,"",@progbits
; Kernel info:
; codeLenInByte = 0
; NumSgprs: 4
; NumVgprs: 0
; NumAgprs: 0
; TotalNumVgprs: 0
; ScratchSize: 0
; MemoryBound: 0
; FloatMode: 240
; IeeeMode: 1
; LDSByteSize: 0 bytes/workgroup (compile time only)
; SGPRBlocks: 0
; VGPRBlocks: 0
; NumSGPRsForWavesPerEU: 4
; NumVGPRsForWavesPerEU: 1
; AccumOffset: 4
; Occupancy: 8
; WaveLimiterHint : 0
; COMPUTE_PGM_RSRC2:SCRATCH_EN: 0
; COMPUTE_PGM_RSRC2:USER_SGPR: 6
; COMPUTE_PGM_RSRC2:TRAP_HANDLER: 0
; COMPUTE_PGM_RSRC2:TGID_X_EN: 1
; COMPUTE_PGM_RSRC2:TGID_Y_EN: 0
; COMPUTE_PGM_RSRC2:TGID_Z_EN: 0
; COMPUTE_PGM_RSRC2:TIDIG_COMP_CNT: 0
; COMPUTE_PGM_RSRC3_GFX90A:ACCUM_OFFSET: 0
; COMPUTE_PGM_RSRC3_GFX90A:TG_SPLIT: 0
	.section	.text._ZN7rocprim17ROCPRIM_400000_NS6detail17trampoline_kernelINS0_14default_configENS1_27scan_by_key_config_selectorIiiEEZZNS1_16scan_by_key_implILNS1_25lookback_scan_determinismE0ELb0ES3_N6thrust23THRUST_200600_302600_NS6detail15normal_iteratorINS9_10device_ptrIiEEEESE_SE_iNS9_10multipliesIiEENS9_8equal_toIiEEiEE10hipError_tPvRmT2_T3_T4_T5_mT6_T7_P12ihipStream_tbENKUlT_T0_E_clISt17integral_constantIbLb1EESY_IbLb0EEEEDaSU_SV_EUlSU_E_NS1_11comp_targetILNS1_3genE0ELNS1_11target_archE4294967295ELNS1_3gpuE0ELNS1_3repE0EEENS1_30default_config_static_selectorELNS0_4arch9wavefront6targetE1EEEvT1_,"axG",@progbits,_ZN7rocprim17ROCPRIM_400000_NS6detail17trampoline_kernelINS0_14default_configENS1_27scan_by_key_config_selectorIiiEEZZNS1_16scan_by_key_implILNS1_25lookback_scan_determinismE0ELb0ES3_N6thrust23THRUST_200600_302600_NS6detail15normal_iteratorINS9_10device_ptrIiEEEESE_SE_iNS9_10multipliesIiEENS9_8equal_toIiEEiEE10hipError_tPvRmT2_T3_T4_T5_mT6_T7_P12ihipStream_tbENKUlT_T0_E_clISt17integral_constantIbLb1EESY_IbLb0EEEEDaSU_SV_EUlSU_E_NS1_11comp_targetILNS1_3genE0ELNS1_11target_archE4294967295ELNS1_3gpuE0ELNS1_3repE0EEENS1_30default_config_static_selectorELNS0_4arch9wavefront6targetE1EEEvT1_,comdat
	.protected	_ZN7rocprim17ROCPRIM_400000_NS6detail17trampoline_kernelINS0_14default_configENS1_27scan_by_key_config_selectorIiiEEZZNS1_16scan_by_key_implILNS1_25lookback_scan_determinismE0ELb0ES3_N6thrust23THRUST_200600_302600_NS6detail15normal_iteratorINS9_10device_ptrIiEEEESE_SE_iNS9_10multipliesIiEENS9_8equal_toIiEEiEE10hipError_tPvRmT2_T3_T4_T5_mT6_T7_P12ihipStream_tbENKUlT_T0_E_clISt17integral_constantIbLb1EESY_IbLb0EEEEDaSU_SV_EUlSU_E_NS1_11comp_targetILNS1_3genE0ELNS1_11target_archE4294967295ELNS1_3gpuE0ELNS1_3repE0EEENS1_30default_config_static_selectorELNS0_4arch9wavefront6targetE1EEEvT1_ ; -- Begin function _ZN7rocprim17ROCPRIM_400000_NS6detail17trampoline_kernelINS0_14default_configENS1_27scan_by_key_config_selectorIiiEEZZNS1_16scan_by_key_implILNS1_25lookback_scan_determinismE0ELb0ES3_N6thrust23THRUST_200600_302600_NS6detail15normal_iteratorINS9_10device_ptrIiEEEESE_SE_iNS9_10multipliesIiEENS9_8equal_toIiEEiEE10hipError_tPvRmT2_T3_T4_T5_mT6_T7_P12ihipStream_tbENKUlT_T0_E_clISt17integral_constantIbLb1EESY_IbLb0EEEEDaSU_SV_EUlSU_E_NS1_11comp_targetILNS1_3genE0ELNS1_11target_archE4294967295ELNS1_3gpuE0ELNS1_3repE0EEENS1_30default_config_static_selectorELNS0_4arch9wavefront6targetE1EEEvT1_
	.globl	_ZN7rocprim17ROCPRIM_400000_NS6detail17trampoline_kernelINS0_14default_configENS1_27scan_by_key_config_selectorIiiEEZZNS1_16scan_by_key_implILNS1_25lookback_scan_determinismE0ELb0ES3_N6thrust23THRUST_200600_302600_NS6detail15normal_iteratorINS9_10device_ptrIiEEEESE_SE_iNS9_10multipliesIiEENS9_8equal_toIiEEiEE10hipError_tPvRmT2_T3_T4_T5_mT6_T7_P12ihipStream_tbENKUlT_T0_E_clISt17integral_constantIbLb1EESY_IbLb0EEEEDaSU_SV_EUlSU_E_NS1_11comp_targetILNS1_3genE0ELNS1_11target_archE4294967295ELNS1_3gpuE0ELNS1_3repE0EEENS1_30default_config_static_selectorELNS0_4arch9wavefront6targetE1EEEvT1_
	.p2align	8
	.type	_ZN7rocprim17ROCPRIM_400000_NS6detail17trampoline_kernelINS0_14default_configENS1_27scan_by_key_config_selectorIiiEEZZNS1_16scan_by_key_implILNS1_25lookback_scan_determinismE0ELb0ES3_N6thrust23THRUST_200600_302600_NS6detail15normal_iteratorINS9_10device_ptrIiEEEESE_SE_iNS9_10multipliesIiEENS9_8equal_toIiEEiEE10hipError_tPvRmT2_T3_T4_T5_mT6_T7_P12ihipStream_tbENKUlT_T0_E_clISt17integral_constantIbLb1EESY_IbLb0EEEEDaSU_SV_EUlSU_E_NS1_11comp_targetILNS1_3genE0ELNS1_11target_archE4294967295ELNS1_3gpuE0ELNS1_3repE0EEENS1_30default_config_static_selectorELNS0_4arch9wavefront6targetE1EEEvT1_,@function
_ZN7rocprim17ROCPRIM_400000_NS6detail17trampoline_kernelINS0_14default_configENS1_27scan_by_key_config_selectorIiiEEZZNS1_16scan_by_key_implILNS1_25lookback_scan_determinismE0ELb0ES3_N6thrust23THRUST_200600_302600_NS6detail15normal_iteratorINS9_10device_ptrIiEEEESE_SE_iNS9_10multipliesIiEENS9_8equal_toIiEEiEE10hipError_tPvRmT2_T3_T4_T5_mT6_T7_P12ihipStream_tbENKUlT_T0_E_clISt17integral_constantIbLb1EESY_IbLb0EEEEDaSU_SV_EUlSU_E_NS1_11comp_targetILNS1_3genE0ELNS1_11target_archE4294967295ELNS1_3gpuE0ELNS1_3repE0EEENS1_30default_config_static_selectorELNS0_4arch9wavefront6targetE1EEEvT1_: ; @_ZN7rocprim17ROCPRIM_400000_NS6detail17trampoline_kernelINS0_14default_configENS1_27scan_by_key_config_selectorIiiEEZZNS1_16scan_by_key_implILNS1_25lookback_scan_determinismE0ELb0ES3_N6thrust23THRUST_200600_302600_NS6detail15normal_iteratorINS9_10device_ptrIiEEEESE_SE_iNS9_10multipliesIiEENS9_8equal_toIiEEiEE10hipError_tPvRmT2_T3_T4_T5_mT6_T7_P12ihipStream_tbENKUlT_T0_E_clISt17integral_constantIbLb1EESY_IbLb0EEEEDaSU_SV_EUlSU_E_NS1_11comp_targetILNS1_3genE0ELNS1_11target_archE4294967295ELNS1_3gpuE0ELNS1_3repE0EEENS1_30default_config_static_selectorELNS0_4arch9wavefront6targetE1EEEvT1_
; %bb.0:
	.section	.rodata,"a",@progbits
	.p2align	6, 0x0
	.amdhsa_kernel _ZN7rocprim17ROCPRIM_400000_NS6detail17trampoline_kernelINS0_14default_configENS1_27scan_by_key_config_selectorIiiEEZZNS1_16scan_by_key_implILNS1_25lookback_scan_determinismE0ELb0ES3_N6thrust23THRUST_200600_302600_NS6detail15normal_iteratorINS9_10device_ptrIiEEEESE_SE_iNS9_10multipliesIiEENS9_8equal_toIiEEiEE10hipError_tPvRmT2_T3_T4_T5_mT6_T7_P12ihipStream_tbENKUlT_T0_E_clISt17integral_constantIbLb1EESY_IbLb0EEEEDaSU_SV_EUlSU_E_NS1_11comp_targetILNS1_3genE0ELNS1_11target_archE4294967295ELNS1_3gpuE0ELNS1_3repE0EEENS1_30default_config_static_selectorELNS0_4arch9wavefront6targetE1EEEvT1_
		.amdhsa_group_segment_fixed_size 0
		.amdhsa_private_segment_fixed_size 0
		.amdhsa_kernarg_size 112
		.amdhsa_user_sgpr_count 6
		.amdhsa_user_sgpr_private_segment_buffer 1
		.amdhsa_user_sgpr_dispatch_ptr 0
		.amdhsa_user_sgpr_queue_ptr 0
		.amdhsa_user_sgpr_kernarg_segment_ptr 1
		.amdhsa_user_sgpr_dispatch_id 0
		.amdhsa_user_sgpr_flat_scratch_init 0
		.amdhsa_user_sgpr_kernarg_preload_length 0
		.amdhsa_user_sgpr_kernarg_preload_offset 0
		.amdhsa_user_sgpr_private_segment_size 0
		.amdhsa_uses_dynamic_stack 0
		.amdhsa_system_sgpr_private_segment_wavefront_offset 0
		.amdhsa_system_sgpr_workgroup_id_x 1
		.amdhsa_system_sgpr_workgroup_id_y 0
		.amdhsa_system_sgpr_workgroup_id_z 0
		.amdhsa_system_sgpr_workgroup_info 0
		.amdhsa_system_vgpr_workitem_id 0
		.amdhsa_next_free_vgpr 1
		.amdhsa_next_free_sgpr 0
		.amdhsa_accum_offset 4
		.amdhsa_reserve_vcc 0
		.amdhsa_reserve_flat_scratch 0
		.amdhsa_float_round_mode_32 0
		.amdhsa_float_round_mode_16_64 0
		.amdhsa_float_denorm_mode_32 3
		.amdhsa_float_denorm_mode_16_64 3
		.amdhsa_dx10_clamp 1
		.amdhsa_ieee_mode 1
		.amdhsa_fp16_overflow 0
		.amdhsa_tg_split 0
		.amdhsa_exception_fp_ieee_invalid_op 0
		.amdhsa_exception_fp_denorm_src 0
		.amdhsa_exception_fp_ieee_div_zero 0
		.amdhsa_exception_fp_ieee_overflow 0
		.amdhsa_exception_fp_ieee_underflow 0
		.amdhsa_exception_fp_ieee_inexact 0
		.amdhsa_exception_int_div_zero 0
	.end_amdhsa_kernel
	.section	.text._ZN7rocprim17ROCPRIM_400000_NS6detail17trampoline_kernelINS0_14default_configENS1_27scan_by_key_config_selectorIiiEEZZNS1_16scan_by_key_implILNS1_25lookback_scan_determinismE0ELb0ES3_N6thrust23THRUST_200600_302600_NS6detail15normal_iteratorINS9_10device_ptrIiEEEESE_SE_iNS9_10multipliesIiEENS9_8equal_toIiEEiEE10hipError_tPvRmT2_T3_T4_T5_mT6_T7_P12ihipStream_tbENKUlT_T0_E_clISt17integral_constantIbLb1EESY_IbLb0EEEEDaSU_SV_EUlSU_E_NS1_11comp_targetILNS1_3genE0ELNS1_11target_archE4294967295ELNS1_3gpuE0ELNS1_3repE0EEENS1_30default_config_static_selectorELNS0_4arch9wavefront6targetE1EEEvT1_,"axG",@progbits,_ZN7rocprim17ROCPRIM_400000_NS6detail17trampoline_kernelINS0_14default_configENS1_27scan_by_key_config_selectorIiiEEZZNS1_16scan_by_key_implILNS1_25lookback_scan_determinismE0ELb0ES3_N6thrust23THRUST_200600_302600_NS6detail15normal_iteratorINS9_10device_ptrIiEEEESE_SE_iNS9_10multipliesIiEENS9_8equal_toIiEEiEE10hipError_tPvRmT2_T3_T4_T5_mT6_T7_P12ihipStream_tbENKUlT_T0_E_clISt17integral_constantIbLb1EESY_IbLb0EEEEDaSU_SV_EUlSU_E_NS1_11comp_targetILNS1_3genE0ELNS1_11target_archE4294967295ELNS1_3gpuE0ELNS1_3repE0EEENS1_30default_config_static_selectorELNS0_4arch9wavefront6targetE1EEEvT1_,comdat
.Lfunc_end182:
	.size	_ZN7rocprim17ROCPRIM_400000_NS6detail17trampoline_kernelINS0_14default_configENS1_27scan_by_key_config_selectorIiiEEZZNS1_16scan_by_key_implILNS1_25lookback_scan_determinismE0ELb0ES3_N6thrust23THRUST_200600_302600_NS6detail15normal_iteratorINS9_10device_ptrIiEEEESE_SE_iNS9_10multipliesIiEENS9_8equal_toIiEEiEE10hipError_tPvRmT2_T3_T4_T5_mT6_T7_P12ihipStream_tbENKUlT_T0_E_clISt17integral_constantIbLb1EESY_IbLb0EEEEDaSU_SV_EUlSU_E_NS1_11comp_targetILNS1_3genE0ELNS1_11target_archE4294967295ELNS1_3gpuE0ELNS1_3repE0EEENS1_30default_config_static_selectorELNS0_4arch9wavefront6targetE1EEEvT1_, .Lfunc_end182-_ZN7rocprim17ROCPRIM_400000_NS6detail17trampoline_kernelINS0_14default_configENS1_27scan_by_key_config_selectorIiiEEZZNS1_16scan_by_key_implILNS1_25lookback_scan_determinismE0ELb0ES3_N6thrust23THRUST_200600_302600_NS6detail15normal_iteratorINS9_10device_ptrIiEEEESE_SE_iNS9_10multipliesIiEENS9_8equal_toIiEEiEE10hipError_tPvRmT2_T3_T4_T5_mT6_T7_P12ihipStream_tbENKUlT_T0_E_clISt17integral_constantIbLb1EESY_IbLb0EEEEDaSU_SV_EUlSU_E_NS1_11comp_targetILNS1_3genE0ELNS1_11target_archE4294967295ELNS1_3gpuE0ELNS1_3repE0EEENS1_30default_config_static_selectorELNS0_4arch9wavefront6targetE1EEEvT1_
                                        ; -- End function
	.section	.AMDGPU.csdata,"",@progbits
; Kernel info:
; codeLenInByte = 0
; NumSgprs: 4
; NumVgprs: 0
; NumAgprs: 0
; TotalNumVgprs: 0
; ScratchSize: 0
; MemoryBound: 0
; FloatMode: 240
; IeeeMode: 1
; LDSByteSize: 0 bytes/workgroup (compile time only)
; SGPRBlocks: 0
; VGPRBlocks: 0
; NumSGPRsForWavesPerEU: 4
; NumVGPRsForWavesPerEU: 1
; AccumOffset: 4
; Occupancy: 8
; WaveLimiterHint : 0
; COMPUTE_PGM_RSRC2:SCRATCH_EN: 0
; COMPUTE_PGM_RSRC2:USER_SGPR: 6
; COMPUTE_PGM_RSRC2:TRAP_HANDLER: 0
; COMPUTE_PGM_RSRC2:TGID_X_EN: 1
; COMPUTE_PGM_RSRC2:TGID_Y_EN: 0
; COMPUTE_PGM_RSRC2:TGID_Z_EN: 0
; COMPUTE_PGM_RSRC2:TIDIG_COMP_CNT: 0
; COMPUTE_PGM_RSRC3_GFX90A:ACCUM_OFFSET: 0
; COMPUTE_PGM_RSRC3_GFX90A:TG_SPLIT: 0
	.section	.text._ZN7rocprim17ROCPRIM_400000_NS6detail17trampoline_kernelINS0_14default_configENS1_27scan_by_key_config_selectorIiiEEZZNS1_16scan_by_key_implILNS1_25lookback_scan_determinismE0ELb0ES3_N6thrust23THRUST_200600_302600_NS6detail15normal_iteratorINS9_10device_ptrIiEEEESE_SE_iNS9_10multipliesIiEENS9_8equal_toIiEEiEE10hipError_tPvRmT2_T3_T4_T5_mT6_T7_P12ihipStream_tbENKUlT_T0_E_clISt17integral_constantIbLb1EESY_IbLb0EEEEDaSU_SV_EUlSU_E_NS1_11comp_targetILNS1_3genE10ELNS1_11target_archE1201ELNS1_3gpuE5ELNS1_3repE0EEENS1_30default_config_static_selectorELNS0_4arch9wavefront6targetE1EEEvT1_,"axG",@progbits,_ZN7rocprim17ROCPRIM_400000_NS6detail17trampoline_kernelINS0_14default_configENS1_27scan_by_key_config_selectorIiiEEZZNS1_16scan_by_key_implILNS1_25lookback_scan_determinismE0ELb0ES3_N6thrust23THRUST_200600_302600_NS6detail15normal_iteratorINS9_10device_ptrIiEEEESE_SE_iNS9_10multipliesIiEENS9_8equal_toIiEEiEE10hipError_tPvRmT2_T3_T4_T5_mT6_T7_P12ihipStream_tbENKUlT_T0_E_clISt17integral_constantIbLb1EESY_IbLb0EEEEDaSU_SV_EUlSU_E_NS1_11comp_targetILNS1_3genE10ELNS1_11target_archE1201ELNS1_3gpuE5ELNS1_3repE0EEENS1_30default_config_static_selectorELNS0_4arch9wavefront6targetE1EEEvT1_,comdat
	.protected	_ZN7rocprim17ROCPRIM_400000_NS6detail17trampoline_kernelINS0_14default_configENS1_27scan_by_key_config_selectorIiiEEZZNS1_16scan_by_key_implILNS1_25lookback_scan_determinismE0ELb0ES3_N6thrust23THRUST_200600_302600_NS6detail15normal_iteratorINS9_10device_ptrIiEEEESE_SE_iNS9_10multipliesIiEENS9_8equal_toIiEEiEE10hipError_tPvRmT2_T3_T4_T5_mT6_T7_P12ihipStream_tbENKUlT_T0_E_clISt17integral_constantIbLb1EESY_IbLb0EEEEDaSU_SV_EUlSU_E_NS1_11comp_targetILNS1_3genE10ELNS1_11target_archE1201ELNS1_3gpuE5ELNS1_3repE0EEENS1_30default_config_static_selectorELNS0_4arch9wavefront6targetE1EEEvT1_ ; -- Begin function _ZN7rocprim17ROCPRIM_400000_NS6detail17trampoline_kernelINS0_14default_configENS1_27scan_by_key_config_selectorIiiEEZZNS1_16scan_by_key_implILNS1_25lookback_scan_determinismE0ELb0ES3_N6thrust23THRUST_200600_302600_NS6detail15normal_iteratorINS9_10device_ptrIiEEEESE_SE_iNS9_10multipliesIiEENS9_8equal_toIiEEiEE10hipError_tPvRmT2_T3_T4_T5_mT6_T7_P12ihipStream_tbENKUlT_T0_E_clISt17integral_constantIbLb1EESY_IbLb0EEEEDaSU_SV_EUlSU_E_NS1_11comp_targetILNS1_3genE10ELNS1_11target_archE1201ELNS1_3gpuE5ELNS1_3repE0EEENS1_30default_config_static_selectorELNS0_4arch9wavefront6targetE1EEEvT1_
	.globl	_ZN7rocprim17ROCPRIM_400000_NS6detail17trampoline_kernelINS0_14default_configENS1_27scan_by_key_config_selectorIiiEEZZNS1_16scan_by_key_implILNS1_25lookback_scan_determinismE0ELb0ES3_N6thrust23THRUST_200600_302600_NS6detail15normal_iteratorINS9_10device_ptrIiEEEESE_SE_iNS9_10multipliesIiEENS9_8equal_toIiEEiEE10hipError_tPvRmT2_T3_T4_T5_mT6_T7_P12ihipStream_tbENKUlT_T0_E_clISt17integral_constantIbLb1EESY_IbLb0EEEEDaSU_SV_EUlSU_E_NS1_11comp_targetILNS1_3genE10ELNS1_11target_archE1201ELNS1_3gpuE5ELNS1_3repE0EEENS1_30default_config_static_selectorELNS0_4arch9wavefront6targetE1EEEvT1_
	.p2align	8
	.type	_ZN7rocprim17ROCPRIM_400000_NS6detail17trampoline_kernelINS0_14default_configENS1_27scan_by_key_config_selectorIiiEEZZNS1_16scan_by_key_implILNS1_25lookback_scan_determinismE0ELb0ES3_N6thrust23THRUST_200600_302600_NS6detail15normal_iteratorINS9_10device_ptrIiEEEESE_SE_iNS9_10multipliesIiEENS9_8equal_toIiEEiEE10hipError_tPvRmT2_T3_T4_T5_mT6_T7_P12ihipStream_tbENKUlT_T0_E_clISt17integral_constantIbLb1EESY_IbLb0EEEEDaSU_SV_EUlSU_E_NS1_11comp_targetILNS1_3genE10ELNS1_11target_archE1201ELNS1_3gpuE5ELNS1_3repE0EEENS1_30default_config_static_selectorELNS0_4arch9wavefront6targetE1EEEvT1_,@function
_ZN7rocprim17ROCPRIM_400000_NS6detail17trampoline_kernelINS0_14default_configENS1_27scan_by_key_config_selectorIiiEEZZNS1_16scan_by_key_implILNS1_25lookback_scan_determinismE0ELb0ES3_N6thrust23THRUST_200600_302600_NS6detail15normal_iteratorINS9_10device_ptrIiEEEESE_SE_iNS9_10multipliesIiEENS9_8equal_toIiEEiEE10hipError_tPvRmT2_T3_T4_T5_mT6_T7_P12ihipStream_tbENKUlT_T0_E_clISt17integral_constantIbLb1EESY_IbLb0EEEEDaSU_SV_EUlSU_E_NS1_11comp_targetILNS1_3genE10ELNS1_11target_archE1201ELNS1_3gpuE5ELNS1_3repE0EEENS1_30default_config_static_selectorELNS0_4arch9wavefront6targetE1EEEvT1_: ; @_ZN7rocprim17ROCPRIM_400000_NS6detail17trampoline_kernelINS0_14default_configENS1_27scan_by_key_config_selectorIiiEEZZNS1_16scan_by_key_implILNS1_25lookback_scan_determinismE0ELb0ES3_N6thrust23THRUST_200600_302600_NS6detail15normal_iteratorINS9_10device_ptrIiEEEESE_SE_iNS9_10multipliesIiEENS9_8equal_toIiEEiEE10hipError_tPvRmT2_T3_T4_T5_mT6_T7_P12ihipStream_tbENKUlT_T0_E_clISt17integral_constantIbLb1EESY_IbLb0EEEEDaSU_SV_EUlSU_E_NS1_11comp_targetILNS1_3genE10ELNS1_11target_archE1201ELNS1_3gpuE5ELNS1_3repE0EEENS1_30default_config_static_selectorELNS0_4arch9wavefront6targetE1EEEvT1_
; %bb.0:
	.section	.rodata,"a",@progbits
	.p2align	6, 0x0
	.amdhsa_kernel _ZN7rocprim17ROCPRIM_400000_NS6detail17trampoline_kernelINS0_14default_configENS1_27scan_by_key_config_selectorIiiEEZZNS1_16scan_by_key_implILNS1_25lookback_scan_determinismE0ELb0ES3_N6thrust23THRUST_200600_302600_NS6detail15normal_iteratorINS9_10device_ptrIiEEEESE_SE_iNS9_10multipliesIiEENS9_8equal_toIiEEiEE10hipError_tPvRmT2_T3_T4_T5_mT6_T7_P12ihipStream_tbENKUlT_T0_E_clISt17integral_constantIbLb1EESY_IbLb0EEEEDaSU_SV_EUlSU_E_NS1_11comp_targetILNS1_3genE10ELNS1_11target_archE1201ELNS1_3gpuE5ELNS1_3repE0EEENS1_30default_config_static_selectorELNS0_4arch9wavefront6targetE1EEEvT1_
		.amdhsa_group_segment_fixed_size 0
		.amdhsa_private_segment_fixed_size 0
		.amdhsa_kernarg_size 112
		.amdhsa_user_sgpr_count 6
		.amdhsa_user_sgpr_private_segment_buffer 1
		.amdhsa_user_sgpr_dispatch_ptr 0
		.amdhsa_user_sgpr_queue_ptr 0
		.amdhsa_user_sgpr_kernarg_segment_ptr 1
		.amdhsa_user_sgpr_dispatch_id 0
		.amdhsa_user_sgpr_flat_scratch_init 0
		.amdhsa_user_sgpr_kernarg_preload_length 0
		.amdhsa_user_sgpr_kernarg_preload_offset 0
		.amdhsa_user_sgpr_private_segment_size 0
		.amdhsa_uses_dynamic_stack 0
		.amdhsa_system_sgpr_private_segment_wavefront_offset 0
		.amdhsa_system_sgpr_workgroup_id_x 1
		.amdhsa_system_sgpr_workgroup_id_y 0
		.amdhsa_system_sgpr_workgroup_id_z 0
		.amdhsa_system_sgpr_workgroup_info 0
		.amdhsa_system_vgpr_workitem_id 0
		.amdhsa_next_free_vgpr 1
		.amdhsa_next_free_sgpr 0
		.amdhsa_accum_offset 4
		.amdhsa_reserve_vcc 0
		.amdhsa_reserve_flat_scratch 0
		.amdhsa_float_round_mode_32 0
		.amdhsa_float_round_mode_16_64 0
		.amdhsa_float_denorm_mode_32 3
		.amdhsa_float_denorm_mode_16_64 3
		.amdhsa_dx10_clamp 1
		.amdhsa_ieee_mode 1
		.amdhsa_fp16_overflow 0
		.amdhsa_tg_split 0
		.amdhsa_exception_fp_ieee_invalid_op 0
		.amdhsa_exception_fp_denorm_src 0
		.amdhsa_exception_fp_ieee_div_zero 0
		.amdhsa_exception_fp_ieee_overflow 0
		.amdhsa_exception_fp_ieee_underflow 0
		.amdhsa_exception_fp_ieee_inexact 0
		.amdhsa_exception_int_div_zero 0
	.end_amdhsa_kernel
	.section	.text._ZN7rocprim17ROCPRIM_400000_NS6detail17trampoline_kernelINS0_14default_configENS1_27scan_by_key_config_selectorIiiEEZZNS1_16scan_by_key_implILNS1_25lookback_scan_determinismE0ELb0ES3_N6thrust23THRUST_200600_302600_NS6detail15normal_iteratorINS9_10device_ptrIiEEEESE_SE_iNS9_10multipliesIiEENS9_8equal_toIiEEiEE10hipError_tPvRmT2_T3_T4_T5_mT6_T7_P12ihipStream_tbENKUlT_T0_E_clISt17integral_constantIbLb1EESY_IbLb0EEEEDaSU_SV_EUlSU_E_NS1_11comp_targetILNS1_3genE10ELNS1_11target_archE1201ELNS1_3gpuE5ELNS1_3repE0EEENS1_30default_config_static_selectorELNS0_4arch9wavefront6targetE1EEEvT1_,"axG",@progbits,_ZN7rocprim17ROCPRIM_400000_NS6detail17trampoline_kernelINS0_14default_configENS1_27scan_by_key_config_selectorIiiEEZZNS1_16scan_by_key_implILNS1_25lookback_scan_determinismE0ELb0ES3_N6thrust23THRUST_200600_302600_NS6detail15normal_iteratorINS9_10device_ptrIiEEEESE_SE_iNS9_10multipliesIiEENS9_8equal_toIiEEiEE10hipError_tPvRmT2_T3_T4_T5_mT6_T7_P12ihipStream_tbENKUlT_T0_E_clISt17integral_constantIbLb1EESY_IbLb0EEEEDaSU_SV_EUlSU_E_NS1_11comp_targetILNS1_3genE10ELNS1_11target_archE1201ELNS1_3gpuE5ELNS1_3repE0EEENS1_30default_config_static_selectorELNS0_4arch9wavefront6targetE1EEEvT1_,comdat
.Lfunc_end183:
	.size	_ZN7rocprim17ROCPRIM_400000_NS6detail17trampoline_kernelINS0_14default_configENS1_27scan_by_key_config_selectorIiiEEZZNS1_16scan_by_key_implILNS1_25lookback_scan_determinismE0ELb0ES3_N6thrust23THRUST_200600_302600_NS6detail15normal_iteratorINS9_10device_ptrIiEEEESE_SE_iNS9_10multipliesIiEENS9_8equal_toIiEEiEE10hipError_tPvRmT2_T3_T4_T5_mT6_T7_P12ihipStream_tbENKUlT_T0_E_clISt17integral_constantIbLb1EESY_IbLb0EEEEDaSU_SV_EUlSU_E_NS1_11comp_targetILNS1_3genE10ELNS1_11target_archE1201ELNS1_3gpuE5ELNS1_3repE0EEENS1_30default_config_static_selectorELNS0_4arch9wavefront6targetE1EEEvT1_, .Lfunc_end183-_ZN7rocprim17ROCPRIM_400000_NS6detail17trampoline_kernelINS0_14default_configENS1_27scan_by_key_config_selectorIiiEEZZNS1_16scan_by_key_implILNS1_25lookback_scan_determinismE0ELb0ES3_N6thrust23THRUST_200600_302600_NS6detail15normal_iteratorINS9_10device_ptrIiEEEESE_SE_iNS9_10multipliesIiEENS9_8equal_toIiEEiEE10hipError_tPvRmT2_T3_T4_T5_mT6_T7_P12ihipStream_tbENKUlT_T0_E_clISt17integral_constantIbLb1EESY_IbLb0EEEEDaSU_SV_EUlSU_E_NS1_11comp_targetILNS1_3genE10ELNS1_11target_archE1201ELNS1_3gpuE5ELNS1_3repE0EEENS1_30default_config_static_selectorELNS0_4arch9wavefront6targetE1EEEvT1_
                                        ; -- End function
	.section	.AMDGPU.csdata,"",@progbits
; Kernel info:
; codeLenInByte = 0
; NumSgprs: 4
; NumVgprs: 0
; NumAgprs: 0
; TotalNumVgprs: 0
; ScratchSize: 0
; MemoryBound: 0
; FloatMode: 240
; IeeeMode: 1
; LDSByteSize: 0 bytes/workgroup (compile time only)
; SGPRBlocks: 0
; VGPRBlocks: 0
; NumSGPRsForWavesPerEU: 4
; NumVGPRsForWavesPerEU: 1
; AccumOffset: 4
; Occupancy: 8
; WaveLimiterHint : 0
; COMPUTE_PGM_RSRC2:SCRATCH_EN: 0
; COMPUTE_PGM_RSRC2:USER_SGPR: 6
; COMPUTE_PGM_RSRC2:TRAP_HANDLER: 0
; COMPUTE_PGM_RSRC2:TGID_X_EN: 1
; COMPUTE_PGM_RSRC2:TGID_Y_EN: 0
; COMPUTE_PGM_RSRC2:TGID_Z_EN: 0
; COMPUTE_PGM_RSRC2:TIDIG_COMP_CNT: 0
; COMPUTE_PGM_RSRC3_GFX90A:ACCUM_OFFSET: 0
; COMPUTE_PGM_RSRC3_GFX90A:TG_SPLIT: 0
	.section	.text._ZN7rocprim17ROCPRIM_400000_NS6detail17trampoline_kernelINS0_14default_configENS1_27scan_by_key_config_selectorIiiEEZZNS1_16scan_by_key_implILNS1_25lookback_scan_determinismE0ELb0ES3_N6thrust23THRUST_200600_302600_NS6detail15normal_iteratorINS9_10device_ptrIiEEEESE_SE_iNS9_10multipliesIiEENS9_8equal_toIiEEiEE10hipError_tPvRmT2_T3_T4_T5_mT6_T7_P12ihipStream_tbENKUlT_T0_E_clISt17integral_constantIbLb1EESY_IbLb0EEEEDaSU_SV_EUlSU_E_NS1_11comp_targetILNS1_3genE5ELNS1_11target_archE942ELNS1_3gpuE9ELNS1_3repE0EEENS1_30default_config_static_selectorELNS0_4arch9wavefront6targetE1EEEvT1_,"axG",@progbits,_ZN7rocprim17ROCPRIM_400000_NS6detail17trampoline_kernelINS0_14default_configENS1_27scan_by_key_config_selectorIiiEEZZNS1_16scan_by_key_implILNS1_25lookback_scan_determinismE0ELb0ES3_N6thrust23THRUST_200600_302600_NS6detail15normal_iteratorINS9_10device_ptrIiEEEESE_SE_iNS9_10multipliesIiEENS9_8equal_toIiEEiEE10hipError_tPvRmT2_T3_T4_T5_mT6_T7_P12ihipStream_tbENKUlT_T0_E_clISt17integral_constantIbLb1EESY_IbLb0EEEEDaSU_SV_EUlSU_E_NS1_11comp_targetILNS1_3genE5ELNS1_11target_archE942ELNS1_3gpuE9ELNS1_3repE0EEENS1_30default_config_static_selectorELNS0_4arch9wavefront6targetE1EEEvT1_,comdat
	.protected	_ZN7rocprim17ROCPRIM_400000_NS6detail17trampoline_kernelINS0_14default_configENS1_27scan_by_key_config_selectorIiiEEZZNS1_16scan_by_key_implILNS1_25lookback_scan_determinismE0ELb0ES3_N6thrust23THRUST_200600_302600_NS6detail15normal_iteratorINS9_10device_ptrIiEEEESE_SE_iNS9_10multipliesIiEENS9_8equal_toIiEEiEE10hipError_tPvRmT2_T3_T4_T5_mT6_T7_P12ihipStream_tbENKUlT_T0_E_clISt17integral_constantIbLb1EESY_IbLb0EEEEDaSU_SV_EUlSU_E_NS1_11comp_targetILNS1_3genE5ELNS1_11target_archE942ELNS1_3gpuE9ELNS1_3repE0EEENS1_30default_config_static_selectorELNS0_4arch9wavefront6targetE1EEEvT1_ ; -- Begin function _ZN7rocprim17ROCPRIM_400000_NS6detail17trampoline_kernelINS0_14default_configENS1_27scan_by_key_config_selectorIiiEEZZNS1_16scan_by_key_implILNS1_25lookback_scan_determinismE0ELb0ES3_N6thrust23THRUST_200600_302600_NS6detail15normal_iteratorINS9_10device_ptrIiEEEESE_SE_iNS9_10multipliesIiEENS9_8equal_toIiEEiEE10hipError_tPvRmT2_T3_T4_T5_mT6_T7_P12ihipStream_tbENKUlT_T0_E_clISt17integral_constantIbLb1EESY_IbLb0EEEEDaSU_SV_EUlSU_E_NS1_11comp_targetILNS1_3genE5ELNS1_11target_archE942ELNS1_3gpuE9ELNS1_3repE0EEENS1_30default_config_static_selectorELNS0_4arch9wavefront6targetE1EEEvT1_
	.globl	_ZN7rocprim17ROCPRIM_400000_NS6detail17trampoline_kernelINS0_14default_configENS1_27scan_by_key_config_selectorIiiEEZZNS1_16scan_by_key_implILNS1_25lookback_scan_determinismE0ELb0ES3_N6thrust23THRUST_200600_302600_NS6detail15normal_iteratorINS9_10device_ptrIiEEEESE_SE_iNS9_10multipliesIiEENS9_8equal_toIiEEiEE10hipError_tPvRmT2_T3_T4_T5_mT6_T7_P12ihipStream_tbENKUlT_T0_E_clISt17integral_constantIbLb1EESY_IbLb0EEEEDaSU_SV_EUlSU_E_NS1_11comp_targetILNS1_3genE5ELNS1_11target_archE942ELNS1_3gpuE9ELNS1_3repE0EEENS1_30default_config_static_selectorELNS0_4arch9wavefront6targetE1EEEvT1_
	.p2align	8
	.type	_ZN7rocprim17ROCPRIM_400000_NS6detail17trampoline_kernelINS0_14default_configENS1_27scan_by_key_config_selectorIiiEEZZNS1_16scan_by_key_implILNS1_25lookback_scan_determinismE0ELb0ES3_N6thrust23THRUST_200600_302600_NS6detail15normal_iteratorINS9_10device_ptrIiEEEESE_SE_iNS9_10multipliesIiEENS9_8equal_toIiEEiEE10hipError_tPvRmT2_T3_T4_T5_mT6_T7_P12ihipStream_tbENKUlT_T0_E_clISt17integral_constantIbLb1EESY_IbLb0EEEEDaSU_SV_EUlSU_E_NS1_11comp_targetILNS1_3genE5ELNS1_11target_archE942ELNS1_3gpuE9ELNS1_3repE0EEENS1_30default_config_static_selectorELNS0_4arch9wavefront6targetE1EEEvT1_,@function
_ZN7rocprim17ROCPRIM_400000_NS6detail17trampoline_kernelINS0_14default_configENS1_27scan_by_key_config_selectorIiiEEZZNS1_16scan_by_key_implILNS1_25lookback_scan_determinismE0ELb0ES3_N6thrust23THRUST_200600_302600_NS6detail15normal_iteratorINS9_10device_ptrIiEEEESE_SE_iNS9_10multipliesIiEENS9_8equal_toIiEEiEE10hipError_tPvRmT2_T3_T4_T5_mT6_T7_P12ihipStream_tbENKUlT_T0_E_clISt17integral_constantIbLb1EESY_IbLb0EEEEDaSU_SV_EUlSU_E_NS1_11comp_targetILNS1_3genE5ELNS1_11target_archE942ELNS1_3gpuE9ELNS1_3repE0EEENS1_30default_config_static_selectorELNS0_4arch9wavefront6targetE1EEEvT1_: ; @_ZN7rocprim17ROCPRIM_400000_NS6detail17trampoline_kernelINS0_14default_configENS1_27scan_by_key_config_selectorIiiEEZZNS1_16scan_by_key_implILNS1_25lookback_scan_determinismE0ELb0ES3_N6thrust23THRUST_200600_302600_NS6detail15normal_iteratorINS9_10device_ptrIiEEEESE_SE_iNS9_10multipliesIiEENS9_8equal_toIiEEiEE10hipError_tPvRmT2_T3_T4_T5_mT6_T7_P12ihipStream_tbENKUlT_T0_E_clISt17integral_constantIbLb1EESY_IbLb0EEEEDaSU_SV_EUlSU_E_NS1_11comp_targetILNS1_3genE5ELNS1_11target_archE942ELNS1_3gpuE9ELNS1_3repE0EEENS1_30default_config_static_selectorELNS0_4arch9wavefront6targetE1EEEvT1_
; %bb.0:
	.section	.rodata,"a",@progbits
	.p2align	6, 0x0
	.amdhsa_kernel _ZN7rocprim17ROCPRIM_400000_NS6detail17trampoline_kernelINS0_14default_configENS1_27scan_by_key_config_selectorIiiEEZZNS1_16scan_by_key_implILNS1_25lookback_scan_determinismE0ELb0ES3_N6thrust23THRUST_200600_302600_NS6detail15normal_iteratorINS9_10device_ptrIiEEEESE_SE_iNS9_10multipliesIiEENS9_8equal_toIiEEiEE10hipError_tPvRmT2_T3_T4_T5_mT6_T7_P12ihipStream_tbENKUlT_T0_E_clISt17integral_constantIbLb1EESY_IbLb0EEEEDaSU_SV_EUlSU_E_NS1_11comp_targetILNS1_3genE5ELNS1_11target_archE942ELNS1_3gpuE9ELNS1_3repE0EEENS1_30default_config_static_selectorELNS0_4arch9wavefront6targetE1EEEvT1_
		.amdhsa_group_segment_fixed_size 0
		.amdhsa_private_segment_fixed_size 0
		.amdhsa_kernarg_size 112
		.amdhsa_user_sgpr_count 6
		.amdhsa_user_sgpr_private_segment_buffer 1
		.amdhsa_user_sgpr_dispatch_ptr 0
		.amdhsa_user_sgpr_queue_ptr 0
		.amdhsa_user_sgpr_kernarg_segment_ptr 1
		.amdhsa_user_sgpr_dispatch_id 0
		.amdhsa_user_sgpr_flat_scratch_init 0
		.amdhsa_user_sgpr_kernarg_preload_length 0
		.amdhsa_user_sgpr_kernarg_preload_offset 0
		.amdhsa_user_sgpr_private_segment_size 0
		.amdhsa_uses_dynamic_stack 0
		.amdhsa_system_sgpr_private_segment_wavefront_offset 0
		.amdhsa_system_sgpr_workgroup_id_x 1
		.amdhsa_system_sgpr_workgroup_id_y 0
		.amdhsa_system_sgpr_workgroup_id_z 0
		.amdhsa_system_sgpr_workgroup_info 0
		.amdhsa_system_vgpr_workitem_id 0
		.amdhsa_next_free_vgpr 1
		.amdhsa_next_free_sgpr 0
		.amdhsa_accum_offset 4
		.amdhsa_reserve_vcc 0
		.amdhsa_reserve_flat_scratch 0
		.amdhsa_float_round_mode_32 0
		.amdhsa_float_round_mode_16_64 0
		.amdhsa_float_denorm_mode_32 3
		.amdhsa_float_denorm_mode_16_64 3
		.amdhsa_dx10_clamp 1
		.amdhsa_ieee_mode 1
		.amdhsa_fp16_overflow 0
		.amdhsa_tg_split 0
		.amdhsa_exception_fp_ieee_invalid_op 0
		.amdhsa_exception_fp_denorm_src 0
		.amdhsa_exception_fp_ieee_div_zero 0
		.amdhsa_exception_fp_ieee_overflow 0
		.amdhsa_exception_fp_ieee_underflow 0
		.amdhsa_exception_fp_ieee_inexact 0
		.amdhsa_exception_int_div_zero 0
	.end_amdhsa_kernel
	.section	.text._ZN7rocprim17ROCPRIM_400000_NS6detail17trampoline_kernelINS0_14default_configENS1_27scan_by_key_config_selectorIiiEEZZNS1_16scan_by_key_implILNS1_25lookback_scan_determinismE0ELb0ES3_N6thrust23THRUST_200600_302600_NS6detail15normal_iteratorINS9_10device_ptrIiEEEESE_SE_iNS9_10multipliesIiEENS9_8equal_toIiEEiEE10hipError_tPvRmT2_T3_T4_T5_mT6_T7_P12ihipStream_tbENKUlT_T0_E_clISt17integral_constantIbLb1EESY_IbLb0EEEEDaSU_SV_EUlSU_E_NS1_11comp_targetILNS1_3genE5ELNS1_11target_archE942ELNS1_3gpuE9ELNS1_3repE0EEENS1_30default_config_static_selectorELNS0_4arch9wavefront6targetE1EEEvT1_,"axG",@progbits,_ZN7rocprim17ROCPRIM_400000_NS6detail17trampoline_kernelINS0_14default_configENS1_27scan_by_key_config_selectorIiiEEZZNS1_16scan_by_key_implILNS1_25lookback_scan_determinismE0ELb0ES3_N6thrust23THRUST_200600_302600_NS6detail15normal_iteratorINS9_10device_ptrIiEEEESE_SE_iNS9_10multipliesIiEENS9_8equal_toIiEEiEE10hipError_tPvRmT2_T3_T4_T5_mT6_T7_P12ihipStream_tbENKUlT_T0_E_clISt17integral_constantIbLb1EESY_IbLb0EEEEDaSU_SV_EUlSU_E_NS1_11comp_targetILNS1_3genE5ELNS1_11target_archE942ELNS1_3gpuE9ELNS1_3repE0EEENS1_30default_config_static_selectorELNS0_4arch9wavefront6targetE1EEEvT1_,comdat
.Lfunc_end184:
	.size	_ZN7rocprim17ROCPRIM_400000_NS6detail17trampoline_kernelINS0_14default_configENS1_27scan_by_key_config_selectorIiiEEZZNS1_16scan_by_key_implILNS1_25lookback_scan_determinismE0ELb0ES3_N6thrust23THRUST_200600_302600_NS6detail15normal_iteratorINS9_10device_ptrIiEEEESE_SE_iNS9_10multipliesIiEENS9_8equal_toIiEEiEE10hipError_tPvRmT2_T3_T4_T5_mT6_T7_P12ihipStream_tbENKUlT_T0_E_clISt17integral_constantIbLb1EESY_IbLb0EEEEDaSU_SV_EUlSU_E_NS1_11comp_targetILNS1_3genE5ELNS1_11target_archE942ELNS1_3gpuE9ELNS1_3repE0EEENS1_30default_config_static_selectorELNS0_4arch9wavefront6targetE1EEEvT1_, .Lfunc_end184-_ZN7rocprim17ROCPRIM_400000_NS6detail17trampoline_kernelINS0_14default_configENS1_27scan_by_key_config_selectorIiiEEZZNS1_16scan_by_key_implILNS1_25lookback_scan_determinismE0ELb0ES3_N6thrust23THRUST_200600_302600_NS6detail15normal_iteratorINS9_10device_ptrIiEEEESE_SE_iNS9_10multipliesIiEENS9_8equal_toIiEEiEE10hipError_tPvRmT2_T3_T4_T5_mT6_T7_P12ihipStream_tbENKUlT_T0_E_clISt17integral_constantIbLb1EESY_IbLb0EEEEDaSU_SV_EUlSU_E_NS1_11comp_targetILNS1_3genE5ELNS1_11target_archE942ELNS1_3gpuE9ELNS1_3repE0EEENS1_30default_config_static_selectorELNS0_4arch9wavefront6targetE1EEEvT1_
                                        ; -- End function
	.section	.AMDGPU.csdata,"",@progbits
; Kernel info:
; codeLenInByte = 0
; NumSgprs: 4
; NumVgprs: 0
; NumAgprs: 0
; TotalNumVgprs: 0
; ScratchSize: 0
; MemoryBound: 0
; FloatMode: 240
; IeeeMode: 1
; LDSByteSize: 0 bytes/workgroup (compile time only)
; SGPRBlocks: 0
; VGPRBlocks: 0
; NumSGPRsForWavesPerEU: 4
; NumVGPRsForWavesPerEU: 1
; AccumOffset: 4
; Occupancy: 8
; WaveLimiterHint : 0
; COMPUTE_PGM_RSRC2:SCRATCH_EN: 0
; COMPUTE_PGM_RSRC2:USER_SGPR: 6
; COMPUTE_PGM_RSRC2:TRAP_HANDLER: 0
; COMPUTE_PGM_RSRC2:TGID_X_EN: 1
; COMPUTE_PGM_RSRC2:TGID_Y_EN: 0
; COMPUTE_PGM_RSRC2:TGID_Z_EN: 0
; COMPUTE_PGM_RSRC2:TIDIG_COMP_CNT: 0
; COMPUTE_PGM_RSRC3_GFX90A:ACCUM_OFFSET: 0
; COMPUTE_PGM_RSRC3_GFX90A:TG_SPLIT: 0
	.section	.text._ZN7rocprim17ROCPRIM_400000_NS6detail17trampoline_kernelINS0_14default_configENS1_27scan_by_key_config_selectorIiiEEZZNS1_16scan_by_key_implILNS1_25lookback_scan_determinismE0ELb0ES3_N6thrust23THRUST_200600_302600_NS6detail15normal_iteratorINS9_10device_ptrIiEEEESE_SE_iNS9_10multipliesIiEENS9_8equal_toIiEEiEE10hipError_tPvRmT2_T3_T4_T5_mT6_T7_P12ihipStream_tbENKUlT_T0_E_clISt17integral_constantIbLb1EESY_IbLb0EEEEDaSU_SV_EUlSU_E_NS1_11comp_targetILNS1_3genE4ELNS1_11target_archE910ELNS1_3gpuE8ELNS1_3repE0EEENS1_30default_config_static_selectorELNS0_4arch9wavefront6targetE1EEEvT1_,"axG",@progbits,_ZN7rocprim17ROCPRIM_400000_NS6detail17trampoline_kernelINS0_14default_configENS1_27scan_by_key_config_selectorIiiEEZZNS1_16scan_by_key_implILNS1_25lookback_scan_determinismE0ELb0ES3_N6thrust23THRUST_200600_302600_NS6detail15normal_iteratorINS9_10device_ptrIiEEEESE_SE_iNS9_10multipliesIiEENS9_8equal_toIiEEiEE10hipError_tPvRmT2_T3_T4_T5_mT6_T7_P12ihipStream_tbENKUlT_T0_E_clISt17integral_constantIbLb1EESY_IbLb0EEEEDaSU_SV_EUlSU_E_NS1_11comp_targetILNS1_3genE4ELNS1_11target_archE910ELNS1_3gpuE8ELNS1_3repE0EEENS1_30default_config_static_selectorELNS0_4arch9wavefront6targetE1EEEvT1_,comdat
	.protected	_ZN7rocprim17ROCPRIM_400000_NS6detail17trampoline_kernelINS0_14default_configENS1_27scan_by_key_config_selectorIiiEEZZNS1_16scan_by_key_implILNS1_25lookback_scan_determinismE0ELb0ES3_N6thrust23THRUST_200600_302600_NS6detail15normal_iteratorINS9_10device_ptrIiEEEESE_SE_iNS9_10multipliesIiEENS9_8equal_toIiEEiEE10hipError_tPvRmT2_T3_T4_T5_mT6_T7_P12ihipStream_tbENKUlT_T0_E_clISt17integral_constantIbLb1EESY_IbLb0EEEEDaSU_SV_EUlSU_E_NS1_11comp_targetILNS1_3genE4ELNS1_11target_archE910ELNS1_3gpuE8ELNS1_3repE0EEENS1_30default_config_static_selectorELNS0_4arch9wavefront6targetE1EEEvT1_ ; -- Begin function _ZN7rocprim17ROCPRIM_400000_NS6detail17trampoline_kernelINS0_14default_configENS1_27scan_by_key_config_selectorIiiEEZZNS1_16scan_by_key_implILNS1_25lookback_scan_determinismE0ELb0ES3_N6thrust23THRUST_200600_302600_NS6detail15normal_iteratorINS9_10device_ptrIiEEEESE_SE_iNS9_10multipliesIiEENS9_8equal_toIiEEiEE10hipError_tPvRmT2_T3_T4_T5_mT6_T7_P12ihipStream_tbENKUlT_T0_E_clISt17integral_constantIbLb1EESY_IbLb0EEEEDaSU_SV_EUlSU_E_NS1_11comp_targetILNS1_3genE4ELNS1_11target_archE910ELNS1_3gpuE8ELNS1_3repE0EEENS1_30default_config_static_selectorELNS0_4arch9wavefront6targetE1EEEvT1_
	.globl	_ZN7rocprim17ROCPRIM_400000_NS6detail17trampoline_kernelINS0_14default_configENS1_27scan_by_key_config_selectorIiiEEZZNS1_16scan_by_key_implILNS1_25lookback_scan_determinismE0ELb0ES3_N6thrust23THRUST_200600_302600_NS6detail15normal_iteratorINS9_10device_ptrIiEEEESE_SE_iNS9_10multipliesIiEENS9_8equal_toIiEEiEE10hipError_tPvRmT2_T3_T4_T5_mT6_T7_P12ihipStream_tbENKUlT_T0_E_clISt17integral_constantIbLb1EESY_IbLb0EEEEDaSU_SV_EUlSU_E_NS1_11comp_targetILNS1_3genE4ELNS1_11target_archE910ELNS1_3gpuE8ELNS1_3repE0EEENS1_30default_config_static_selectorELNS0_4arch9wavefront6targetE1EEEvT1_
	.p2align	8
	.type	_ZN7rocprim17ROCPRIM_400000_NS6detail17trampoline_kernelINS0_14default_configENS1_27scan_by_key_config_selectorIiiEEZZNS1_16scan_by_key_implILNS1_25lookback_scan_determinismE0ELb0ES3_N6thrust23THRUST_200600_302600_NS6detail15normal_iteratorINS9_10device_ptrIiEEEESE_SE_iNS9_10multipliesIiEENS9_8equal_toIiEEiEE10hipError_tPvRmT2_T3_T4_T5_mT6_T7_P12ihipStream_tbENKUlT_T0_E_clISt17integral_constantIbLb1EESY_IbLb0EEEEDaSU_SV_EUlSU_E_NS1_11comp_targetILNS1_3genE4ELNS1_11target_archE910ELNS1_3gpuE8ELNS1_3repE0EEENS1_30default_config_static_selectorELNS0_4arch9wavefront6targetE1EEEvT1_,@function
_ZN7rocprim17ROCPRIM_400000_NS6detail17trampoline_kernelINS0_14default_configENS1_27scan_by_key_config_selectorIiiEEZZNS1_16scan_by_key_implILNS1_25lookback_scan_determinismE0ELb0ES3_N6thrust23THRUST_200600_302600_NS6detail15normal_iteratorINS9_10device_ptrIiEEEESE_SE_iNS9_10multipliesIiEENS9_8equal_toIiEEiEE10hipError_tPvRmT2_T3_T4_T5_mT6_T7_P12ihipStream_tbENKUlT_T0_E_clISt17integral_constantIbLb1EESY_IbLb0EEEEDaSU_SV_EUlSU_E_NS1_11comp_targetILNS1_3genE4ELNS1_11target_archE910ELNS1_3gpuE8ELNS1_3repE0EEENS1_30default_config_static_selectorELNS0_4arch9wavefront6targetE1EEEvT1_: ; @_ZN7rocprim17ROCPRIM_400000_NS6detail17trampoline_kernelINS0_14default_configENS1_27scan_by_key_config_selectorIiiEEZZNS1_16scan_by_key_implILNS1_25lookback_scan_determinismE0ELb0ES3_N6thrust23THRUST_200600_302600_NS6detail15normal_iteratorINS9_10device_ptrIiEEEESE_SE_iNS9_10multipliesIiEENS9_8equal_toIiEEiEE10hipError_tPvRmT2_T3_T4_T5_mT6_T7_P12ihipStream_tbENKUlT_T0_E_clISt17integral_constantIbLb1EESY_IbLb0EEEEDaSU_SV_EUlSU_E_NS1_11comp_targetILNS1_3genE4ELNS1_11target_archE910ELNS1_3gpuE8ELNS1_3repE0EEENS1_30default_config_static_selectorELNS0_4arch9wavefront6targetE1EEEvT1_
; %bb.0:
	s_load_dwordx8 s[36:43], s[4:5], 0x0
	s_load_dwordx4 s[52:55], s[4:5], 0x28
	s_load_dwordx2 s[34:35], s[4:5], 0x38
	s_load_dword s0, s[4:5], 0x40
	s_load_dwordx8 s[44:51], s[4:5], 0x48
	s_waitcnt lgkmcnt(0)
	s_lshl_b64 s[38:39], s[38:39], 2
	s_add_u32 s2, s36, s38
	s_addc_u32 s3, s37, s39
	s_add_u32 s4, s40, s38
	s_mul_i32 s1, s35, s0
	s_mul_hi_u32 s7, s34, s0
	s_addc_u32 s5, s41, s39
	s_add_i32 s8, s7, s1
	s_mul_i32 s9, s34, s0
	s_cmp_lg_u64 s[48:49], 0
	s_mul_i32 s0, s6, 0xe00
	s_mov_b32 s1, 0
	s_cselect_b64 s[48:49], -1, 0
	s_lshl_b64 s[36:37], s[0:1], 2
	s_add_u32 s40, s2, s36
	s_addc_u32 s41, s3, s37
	s_add_u32 s7, s4, s36
	s_addc_u32 s55, s5, s37
	;; [unrolled: 2-line block ×3, first 2 shown]
	s_add_u32 s2, s44, -1
	s_addc_u32 s3, s45, -1
	v_pk_mov_b32 v[2:3], s[2:3], s[2:3] op_sel:[0,1]
	v_cmp_ge_u64_e64 s[0:1], s[56:57], v[2:3]
	s_mov_b64 s[18:19], 0
	s_mov_b64 s[4:5], -1
	s_and_b64 vcc, exec, s[0:1]
	s_mul_i32 s33, s2, 0xfffff200
	s_barrier
	s_cbranch_vccz .LBB185_77
; %bb.1:
	v_pk_mov_b32 v[2:3], s[40:41], s[40:41] op_sel:[0,1]
	flat_load_dword v1, v[2:3]
	s_add_i32 s60, s33, s54
	v_cmp_gt_u32_e64 s[2:3], s60, v0
	s_waitcnt vmcnt(0) lgkmcnt(0)
	v_mov_b32_e32 v13, v1
	s_and_saveexec_b64 s[4:5], s[2:3]
	s_cbranch_execz .LBB185_3
; %bb.2:
	v_lshlrev_b32_e32 v2, 2, v0
	v_mov_b32_e32 v3, s41
	v_add_co_u32_e32 v2, vcc, s40, v2
	v_addc_co_u32_e32 v3, vcc, 0, v3, vcc
	flat_load_dword v13, v[2:3]
.LBB185_3:
	s_or_b64 exec, exec, s[4:5]
	v_or_b32_e32 v2, 0x100, v0
	v_cmp_gt_u32_e64 s[4:5], s60, v2
	v_mov_b32_e32 v14, v1
	s_and_saveexec_b64 s[8:9], s[4:5]
	s_cbranch_execz .LBB185_5
; %bb.4:
	v_lshlrev_b32_e32 v2, 2, v0
	v_mov_b32_e32 v3, s41
	v_add_co_u32_e32 v2, vcc, s40, v2
	v_addc_co_u32_e32 v3, vcc, 0, v3, vcc
	flat_load_dword v14, v[2:3] offset:1024
.LBB185_5:
	s_or_b64 exec, exec, s[8:9]
	v_or_b32_e32 v2, 0x200, v0
	v_cmp_gt_u32_e64 s[30:31], s60, v2
	v_mov_b32_e32 v15, v1
	s_and_saveexec_b64 s[8:9], s[30:31]
	s_cbranch_execz .LBB185_7
; %bb.6:
	v_lshlrev_b32_e32 v2, 2, v0
	v_mov_b32_e32 v3, s41
	v_add_co_u32_e32 v2, vcc, s40, v2
	v_addc_co_u32_e32 v3, vcc, 0, v3, vcc
	flat_load_dword v15, v[2:3] offset:2048
.LBB185_7:
	;; [unrolled: 13-line block ×3, first 2 shown]
	s_or_b64 exec, exec, s[10:11]
	v_or_b32_e32 v2, 0x400, v0
	v_cmp_gt_u32_e64 s[10:11], s60, v2
	v_mov_b32_e32 v17, v1
	s_and_saveexec_b64 s[12:13], s[10:11]
	s_cbranch_execz .LBB185_11
; %bb.10:
	v_lshlrev_b32_e32 v3, 2, v2
	v_mov_b32_e32 v5, s41
	v_add_co_u32_e32 v4, vcc, s40, v3
	v_addc_co_u32_e32 v5, vcc, 0, v5, vcc
	flat_load_dword v17, v[4:5]
.LBB185_11:
	s_or_b64 exec, exec, s[12:13]
	v_or_b32_e32 v3, 0x500, v0
	v_cmp_gt_u32_e64 s[12:13], s60, v3
	v_mov_b32_e32 v18, v1
	s_and_saveexec_b64 s[14:15], s[12:13]
	s_cbranch_execz .LBB185_13
; %bb.12:
	v_lshlrev_b32_e32 v4, 2, v3
	v_mov_b32_e32 v5, s41
	v_add_co_u32_e32 v4, vcc, s40, v4
	v_addc_co_u32_e32 v5, vcc, 0, v5, vcc
	flat_load_dword v18, v[4:5]
.LBB185_13:
	;; [unrolled: 13-line block ×9, first 2 shown]
	s_or_b64 exec, exec, s[28:29]
	v_or_b32_e32 v11, 0xd00, v0
	v_cmp_gt_u32_e64 s[28:29], s60, v11
	s_and_saveexec_b64 s[44:45], s[28:29]
	s_cbranch_execz .LBB185_29
; %bb.28:
	v_lshlrev_b32_e32 v1, 2, v11
	v_mov_b32_e32 v12, s41
	v_add_co_u32_e32 v26, vcc, s40, v1
	v_addc_co_u32_e32 v27, vcc, 0, v12, vcc
	flat_load_dword v1, v[26:27]
.LBB185_29:
	s_or_b64 exec, exec, s[44:45]
	v_lshlrev_b32_e32 v12, 2, v0
	s_waitcnt vmcnt(0) lgkmcnt(0)
	ds_write2st64_b32 v12, v13, v14 offset1:4
	ds_write2st64_b32 v12, v15, v16 offset0:8 offset1:12
	ds_write2st64_b32 v12, v17, v18 offset0:16 offset1:20
	;; [unrolled: 1-line block ×6, first 2 shown]
	v_mad_u32_u24 v1, v0, 52, v12
	s_waitcnt lgkmcnt(0)
	s_barrier
	ds_read2_b64 v[34:37], v1 offset1:1
	ds_read2_b64 v[30:33], v1 offset0:2 offset1:3
	ds_read2_b64 v[26:29], v1 offset0:4 offset1:5
	ds_read_b64 v[40:41], v1 offset:48
	s_cmp_eq_u64 s[56:57], 0
	s_mov_b64 s[44:45], s[40:41]
	s_cbranch_scc1 .LBB185_33
; %bb.30:
	s_andn2_b64 vcc, exec, s[48:49]
	s_cbranch_vccnz .LBB185_237
; %bb.31:
	s_lshl_b64 s[44:45], s[56:57], 2
	s_add_u32 s44, s50, s44
	s_addc_u32 s45, s51, s45
	s_add_u32 s44, s44, -4
	s_addc_u32 s45, s45, -1
	s_cbranch_execnz .LBB185_33
.LBB185_32:
	s_add_u32 s44, s40, -4
	s_addc_u32 s45, s41, -1
.LBB185_33:
	v_pk_mov_b32 v[14:15], s[44:45], s[44:45] op_sel:[0,1]
	flat_load_dword v44, v[14:15]
	s_movk_i32 s44, 0xffcc
	v_mad_i32_i24 v13, v0, s44, v1
	v_cmp_ne_u32_e32 vcc, 0, v0
	s_waitcnt lgkmcnt(0)
	ds_write_b32 v13, v41 offset:14336
	s_waitcnt lgkmcnt(0)
	s_barrier
	s_and_saveexec_b64 s[44:45], vcc
	s_cbranch_execz .LBB185_35
; %bb.34:
	v_mul_i32_i24_e32 v13, 0xffffffcc, v0
	v_add_u32_e32 v13, v1, v13
	s_waitcnt vmcnt(0)
	ds_read_b32 v44, v13 offset:14332
.LBB185_35:
	s_or_b64 exec, exec, s[44:45]
	s_waitcnt lgkmcnt(0)
	s_barrier
	s_waitcnt lgkmcnt(0)
                                        ; implicit-def: $vgpr13
	s_and_saveexec_b64 s[44:45], s[2:3]
	s_cbranch_execnz .LBB185_224
; %bb.36:
	s_or_b64 exec, exec, s[44:45]
                                        ; implicit-def: $vgpr14
	s_and_saveexec_b64 s[2:3], s[4:5]
	s_cbranch_execnz .LBB185_225
.LBB185_37:
	s_or_b64 exec, exec, s[2:3]
                                        ; implicit-def: $vgpr15
	s_and_saveexec_b64 s[2:3], s[30:31]
	s_cbranch_execnz .LBB185_226
.LBB185_38:
	s_or_b64 exec, exec, s[2:3]
                                        ; implicit-def: $vgpr16
	s_and_saveexec_b64 s[2:3], s[8:9]
	s_cbranch_execnz .LBB185_227
.LBB185_39:
	s_or_b64 exec, exec, s[2:3]
                                        ; implicit-def: $vgpr17
	s_and_saveexec_b64 s[2:3], s[10:11]
	s_cbranch_execnz .LBB185_228
.LBB185_40:
	s_or_b64 exec, exec, s[2:3]
                                        ; implicit-def: $vgpr2
	s_and_saveexec_b64 s[2:3], s[12:13]
	s_cbranch_execnz .LBB185_229
.LBB185_41:
	s_or_b64 exec, exec, s[2:3]
                                        ; implicit-def: $vgpr3
	s_and_saveexec_b64 s[2:3], s[14:15]
	s_cbranch_execnz .LBB185_230
.LBB185_42:
	s_or_b64 exec, exec, s[2:3]
                                        ; implicit-def: $vgpr4
	s_and_saveexec_b64 s[2:3], s[16:17]
	s_cbranch_execnz .LBB185_231
.LBB185_43:
	s_or_b64 exec, exec, s[2:3]
                                        ; implicit-def: $vgpr5
	s_and_saveexec_b64 s[2:3], s[18:19]
	s_cbranch_execnz .LBB185_232
.LBB185_44:
	s_or_b64 exec, exec, s[2:3]
                                        ; implicit-def: $vgpr6
	s_and_saveexec_b64 s[2:3], s[20:21]
	s_cbranch_execnz .LBB185_233
.LBB185_45:
	s_or_b64 exec, exec, s[2:3]
                                        ; implicit-def: $vgpr7
	s_and_saveexec_b64 s[2:3], s[22:23]
	s_cbranch_execnz .LBB185_234
.LBB185_46:
	s_or_b64 exec, exec, s[2:3]
                                        ; implicit-def: $vgpr8
	s_and_saveexec_b64 s[2:3], s[24:25]
	s_cbranch_execnz .LBB185_235
.LBB185_47:
	s_or_b64 exec, exec, s[2:3]
                                        ; implicit-def: $vgpr9
	s_and_saveexec_b64 s[2:3], s[26:27]
	s_cbranch_execnz .LBB185_236
.LBB185_48:
	s_or_b64 exec, exec, s[2:3]
                                        ; implicit-def: $vgpr10
	s_and_saveexec_b64 s[2:3], s[28:29]
	s_cbranch_execz .LBB185_50
.LBB185_49:
	v_lshlrev_b32_e32 v10, 2, v11
	v_mov_b32_e32 v11, s55
	v_add_co_u32_e32 v10, vcc, s7, v10
	v_addc_co_u32_e32 v11, vcc, 0, v11, vcc
	flat_load_dword v10, v[10:11]
.LBB185_50:
	s_or_b64 exec, exec, s[2:3]
	s_mov_b32 s8, 0
	s_mov_b32 s9, s8
	s_waitcnt vmcnt(0) lgkmcnt(0)
	ds_write2st64_b32 v12, v13, v14 offset1:4
	ds_write2st64_b32 v12, v15, v16 offset0:8 offset1:12
	ds_write2st64_b32 v12, v17, v2 offset0:16 offset1:20
	;; [unrolled: 1-line block ×6, first 2 shown]
	s_mov_b32 s10, s8
	s_mov_b32 s11, s8
	;; [unrolled: 1-line block ×6, first 2 shown]
	v_pk_mov_b32 v[2:3], s[8:9], s[8:9] op_sel:[0,1]
	v_pk_mov_b32 v[8:9], s[14:15], s[14:15] op_sel:[0,1]
	v_mul_u32_u24_e32 v42, 14, v0
	v_pk_mov_b32 v[4:5], s[10:11], s[10:11] op_sel:[0,1]
	v_pk_mov_b32 v[6:7], s[12:13], s[12:13] op_sel:[0,1]
	;; [unrolled: 1-line block ×4, first 2 shown]
	v_cmp_gt_u32_e32 vcc, s60, v42
	s_mov_b64 s[4:5], 0
	v_pk_mov_b32 v[38:39], 0, 0
	s_mov_b64 s[18:19], 0
	v_pk_mov_b32 v[14:15], v[6:7], v[6:7] op_sel:[0,1]
	v_pk_mov_b32 v[12:13], v[4:5], v[4:5] op_sel:[0,1]
	;; [unrolled: 1-line block ×6, first 2 shown]
	s_waitcnt lgkmcnt(0)
	s_barrier
	s_waitcnt lgkmcnt(0)
                                        ; implicit-def: $sgpr2_sgpr3
                                        ; implicit-def: $vgpr43
	s_and_saveexec_b64 s[16:17], vcc
	s_cbranch_execz .LBB185_76
; %bb.51:
	v_or_b32_e32 v2, 1, v42
	ds_read_b32 v38, v1
	v_cmp_ne_u32_e32 vcc, v44, v34
	v_cndmask_b32_e64 v39, 0, 1, vcc
	v_cmp_gt_u32_e32 vcc, s60, v2
	v_pk_mov_b32 v[2:3], s[8:9], s[8:9] op_sel:[0,1]
	v_pk_mov_b32 v[8:9], s[14:15], s[14:15] op_sel:[0,1]
	;; [unrolled: 1-line block ×6, first 2 shown]
	s_mov_b64 s[20:21], 0
	v_pk_mov_b32 v[14:15], v[6:7], v[6:7] op_sel:[0,1]
	v_pk_mov_b32 v[12:13], v[4:5], v[4:5] op_sel:[0,1]
	v_pk_mov_b32 v[10:11], v[2:3], v[2:3] op_sel:[0,1]
	v_pk_mov_b32 v[22:23], v[6:7], v[6:7] op_sel:[0,1]
	v_pk_mov_b32 v[20:21], v[4:5], v[4:5] op_sel:[0,1]
	v_pk_mov_b32 v[18:19], v[2:3], v[2:3] op_sel:[0,1]
                                        ; implicit-def: $sgpr8_sgpr9
                                        ; implicit-def: $vgpr43
	s_and_saveexec_b64 s[18:19], vcc
	s_cbranch_execz .LBB185_75
; %bb.52:
	ds_read2_b32 v[44:45], v1 offset0:1 offset1:2
	s_mov_b32 s8, 0
	s_mov_b32 s14, s8
	s_mov_b32 s15, s8
	s_mov_b32 s9, s8
	s_mov_b32 s10, s8
	s_mov_b32 s11, s8
	s_mov_b32 s12, s8
	s_mov_b32 s13, s8
	v_pk_mov_b32 v[16:17], s[14:15], s[14:15] op_sel:[0,1]
	v_add_u32_e32 v2, 2, v42
	v_cmp_ne_u32_e32 vcc, v34, v35
	v_mov_b32_e32 v6, 0
	v_pk_mov_b32 v[14:15], s[12:13], s[12:13] op_sel:[0,1]
	v_pk_mov_b32 v[12:13], s[10:11], s[10:11] op_sel:[0,1]
	;; [unrolled: 1-line block ×4, first 2 shown]
	v_cndmask_b32_e64 v3, 0, 1, vcc
	v_cmp_gt_u32_e32 vcc, s60, v2
	s_waitcnt lgkmcnt(0)
	v_mov_b32_e32 v2, v44
	v_mov_b32_e32 v4, v6
	;; [unrolled: 1-line block ×6, first 2 shown]
	s_mov_b64 s[2:3], 0
	v_pk_mov_b32 v[22:23], v[14:15], v[14:15] op_sel:[0,1]
	v_pk_mov_b32 v[20:21], v[12:13], v[12:13] op_sel:[0,1]
	;; [unrolled: 1-line block ×3, first 2 shown]
                                        ; implicit-def: $sgpr22_sgpr23
                                        ; implicit-def: $vgpr43
	s_and_saveexec_b64 s[20:21], vcc
	s_cbranch_execz .LBB185_74
; %bb.53:
	v_pk_mov_b32 v[16:17], s[14:15], s[14:15] op_sel:[0,1]
	v_add_u32_e32 v2, 3, v42
	v_cmp_ne_u32_e32 vcc, v35, v36
	v_pk_mov_b32 v[14:15], s[12:13], s[12:13] op_sel:[0,1]
	v_pk_mov_b32 v[12:13], s[10:11], s[10:11] op_sel:[0,1]
	;; [unrolled: 1-line block ×4, first 2 shown]
	v_cndmask_b32_e64 v5, 0, 1, vcc
	v_cmp_gt_u32_e32 vcc, s60, v2
	v_mov_b32_e32 v2, v44
	v_mov_b32_e32 v4, v45
	;; [unrolled: 1-line block ×5, first 2 shown]
	v_pk_mov_b32 v[22:23], v[14:15], v[14:15] op_sel:[0,1]
	v_pk_mov_b32 v[20:21], v[12:13], v[12:13] op_sel:[0,1]
	;; [unrolled: 1-line block ×3, first 2 shown]
                                        ; implicit-def: $sgpr8_sgpr9
                                        ; implicit-def: $vgpr43
	s_and_saveexec_b64 s[22:23], vcc
	s_cbranch_execz .LBB185_73
; %bb.54:
	ds_read2_b32 v[34:35], v1 offset0:3 offset1:4
	s_mov_b32 s8, 0
	s_mov_b32 s14, s8
	;; [unrolled: 1-line block ×8, first 2 shown]
	v_pk_mov_b32 v[16:17], s[14:15], s[14:15] op_sel:[0,1]
	v_add_u32_e32 v6, 4, v42
	v_cmp_ne_u32_e32 vcc, v36, v37
	v_pk_mov_b32 v[14:15], s[12:13], s[12:13] op_sel:[0,1]
	v_pk_mov_b32 v[12:13], s[10:11], s[10:11] op_sel:[0,1]
	;; [unrolled: 1-line block ×4, first 2 shown]
	v_cndmask_b32_e64 v7, 0, 1, vcc
	v_cmp_gt_u32_e32 vcc, s60, v6
	s_waitcnt lgkmcnt(0)
	v_mov_b32_e32 v6, v34
	v_mov_b32_e32 v8, s8
	;; [unrolled: 1-line block ×3, first 2 shown]
	v_pk_mov_b32 v[22:23], v[14:15], v[14:15] op_sel:[0,1]
	v_pk_mov_b32 v[20:21], v[12:13], v[12:13] op_sel:[0,1]
	;; [unrolled: 1-line block ×3, first 2 shown]
                                        ; implicit-def: $sgpr26_sgpr27
                                        ; implicit-def: $vgpr43
	s_and_saveexec_b64 s[24:25], vcc
	s_cbranch_execz .LBB185_72
; %bb.55:
	v_pk_mov_b32 v[16:17], s[14:15], s[14:15] op_sel:[0,1]
	v_add_u32_e32 v8, 5, v42
	v_cmp_ne_u32_e32 vcc, v37, v30
	v_pk_mov_b32 v[14:15], s[12:13], s[12:13] op_sel:[0,1]
	v_pk_mov_b32 v[12:13], s[10:11], s[10:11] op_sel:[0,1]
	v_pk_mov_b32 v[10:11], s[8:9], s[8:9] op_sel:[0,1]
	v_pk_mov_b32 v[24:25], v[16:17], v[16:17] op_sel:[0,1]
	v_cndmask_b32_e64 v9, 0, 1, vcc
	v_cmp_gt_u32_e32 vcc, s60, v8
	v_mov_b32_e32 v8, v35
	v_pk_mov_b32 v[22:23], v[14:15], v[14:15] op_sel:[0,1]
	v_pk_mov_b32 v[20:21], v[12:13], v[12:13] op_sel:[0,1]
	;; [unrolled: 1-line block ×3, first 2 shown]
                                        ; implicit-def: $sgpr8_sgpr9
                                        ; implicit-def: $vgpr43
	s_and_saveexec_b64 s[26:27], vcc
	s_cbranch_execz .LBB185_71
; %bb.56:
	ds_read2_b32 v[34:35], v1 offset0:5 offset1:6
	s_mov_b32 s8, 0
	s_mov_b32 s14, s8
	;; [unrolled: 1-line block ×3, first 2 shown]
	v_add_u32_e32 v10, 6, v42
	v_cmp_ne_u32_e32 vcc, v30, v31
	v_mov_b32_e32 v14, 0
	s_mov_b32 s9, s8
	s_mov_b32 s10, s8
	;; [unrolled: 1-line block ×5, first 2 shown]
	v_pk_mov_b32 v[24:25], s[14:15], s[14:15] op_sel:[0,1]
	v_cndmask_b32_e64 v11, 0, 1, vcc
	v_cmp_gt_u32_e32 vcc, s60, v10
	s_waitcnt lgkmcnt(0)
	v_mov_b32_e32 v10, v34
	v_mov_b32_e32 v12, v14
	;; [unrolled: 1-line block ×6, first 2 shown]
	v_pk_mov_b32 v[22:23], s[12:13], s[12:13] op_sel:[0,1]
	v_pk_mov_b32 v[20:21], s[10:11], s[10:11] op_sel:[0,1]
	;; [unrolled: 1-line block ×3, first 2 shown]
                                        ; implicit-def: $sgpr30_sgpr31
                                        ; implicit-def: $vgpr43
	s_and_saveexec_b64 s[28:29], vcc
	s_cbranch_execz .LBB185_70
; %bb.57:
	v_add_u32_e32 v10, 7, v42
	v_cmp_ne_u32_e32 vcc, v31, v32
	v_pk_mov_b32 v[24:25], s[14:15], s[14:15] op_sel:[0,1]
	v_cndmask_b32_e64 v13, 0, 1, vcc
	v_cmp_gt_u32_e32 vcc, s60, v10
	v_mov_b32_e32 v10, v34
	v_mov_b32_e32 v12, v35
	;; [unrolled: 1-line block ×5, first 2 shown]
	v_pk_mov_b32 v[22:23], s[12:13], s[12:13] op_sel:[0,1]
	v_pk_mov_b32 v[20:21], s[10:11], s[10:11] op_sel:[0,1]
	;; [unrolled: 1-line block ×3, first 2 shown]
                                        ; implicit-def: $sgpr8_sgpr9
                                        ; implicit-def: $vgpr43
	s_and_saveexec_b64 s[30:31], vcc
	s_cbranch_execz .LBB185_69
; %bb.58:
	ds_read2_b32 v[30:31], v1 offset0:7 offset1:8
	s_mov_b32 s8, 0
	s_mov_b32 s14, s8
	s_mov_b32 s15, s8
	v_add_u32_e32 v14, 8, v42
	v_cmp_ne_u32_e32 vcc, v32, v33
	s_mov_b32 s9, s8
	s_mov_b32 s10, s8
	;; [unrolled: 1-line block ×5, first 2 shown]
	v_pk_mov_b32 v[24:25], s[14:15], s[14:15] op_sel:[0,1]
	v_cndmask_b32_e64 v15, 0, 1, vcc
	v_cmp_gt_u32_e32 vcc, s60, v14
	s_waitcnt lgkmcnt(0)
	v_mov_b32_e32 v14, v30
	v_mov_b32_e32 v16, s8
	;; [unrolled: 1-line block ×3, first 2 shown]
	v_pk_mov_b32 v[22:23], s[12:13], s[12:13] op_sel:[0,1]
	v_pk_mov_b32 v[20:21], s[10:11], s[10:11] op_sel:[0,1]
	;; [unrolled: 1-line block ×3, first 2 shown]
                                        ; implicit-def: $sgpr58_sgpr59
                                        ; implicit-def: $vgpr43
	s_and_saveexec_b64 s[44:45], vcc
	s_cbranch_execz .LBB185_68
; %bb.59:
	v_add_u32_e32 v16, 9, v42
	v_cmp_ne_u32_e32 vcc, v33, v26
	v_pk_mov_b32 v[24:25], s[14:15], s[14:15] op_sel:[0,1]
	v_cndmask_b32_e64 v17, 0, 1, vcc
	v_cmp_gt_u32_e32 vcc, s60, v16
	v_mov_b32_e32 v16, v31
	v_pk_mov_b32 v[22:23], s[12:13], s[12:13] op_sel:[0,1]
	v_pk_mov_b32 v[20:21], s[10:11], s[10:11] op_sel:[0,1]
	;; [unrolled: 1-line block ×3, first 2 shown]
                                        ; implicit-def: $sgpr10_sgpr11
                                        ; implicit-def: $vgpr43
	s_and_saveexec_b64 s[8:9], vcc
	s_cbranch_execz .LBB185_67
; %bb.60:
	ds_read2_b32 v[30:31], v1 offset0:9 offset1:10
	v_add_u32_e32 v18, 10, v42
	v_cmp_ne_u32_e32 vcc, v26, v27
	v_mov_b32_e32 v22, 0
	v_cndmask_b32_e64 v19, 0, 1, vcc
	v_cmp_gt_u32_e32 vcc, s60, v18
	s_waitcnt lgkmcnt(0)
	v_mov_b32_e32 v18, v30
	v_mov_b32_e32 v20, v22
	;; [unrolled: 1-line block ×6, first 2 shown]
                                        ; implicit-def: $sgpr12_sgpr13
                                        ; implicit-def: $vgpr43
	s_and_saveexec_b64 s[10:11], vcc
	s_cbranch_execz .LBB185_66
; %bb.61:
	v_add_u32_e32 v18, 11, v42
	v_cmp_ne_u32_e32 vcc, v27, v28
	v_cndmask_b32_e64 v21, 0, 1, vcc
	v_cmp_gt_u32_e32 vcc, s60, v18
	s_mov_b32 s58, 0
	v_mov_b32_e32 v18, v30
	v_mov_b32_e32 v20, v31
	;; [unrolled: 1-line block ×5, first 2 shown]
                                        ; implicit-def: $sgpr14_sgpr15
                                        ; implicit-def: $vgpr43
	s_and_saveexec_b64 s[12:13], vcc
	s_cbranch_execz .LBB185_65
; %bb.62:
	ds_read2_b32 v[26:27], v1 offset0:11 offset1:12
	v_add_u32_e32 v22, 12, v42
	v_cmp_ne_u32_e32 vcc, v28, v29
	v_cndmask_b32_e64 v23, 0, 1, vcc
	v_cmp_gt_u32_e32 vcc, s60, v22
	s_waitcnt lgkmcnt(0)
	v_mov_b32_e32 v22, v26
	v_mov_b32_e32 v24, s58
	;; [unrolled: 1-line block ×3, first 2 shown]
                                        ; implicit-def: $sgpr14_sgpr15
                                        ; implicit-def: $vgpr43
	s_and_saveexec_b64 s[58:59], vcc
	s_xor_b64 s[58:59], exec, s[58:59]
	s_cbranch_execz .LBB185_64
; %bb.63:
	ds_read_b32 v43, v1 offset:52
	v_add_u32_e32 v1, 13, v42
	v_cmp_ne_u32_e64 s[2:3], v29, v40
	v_cmp_ne_u32_e32 vcc, v40, v41
	v_cndmask_b32_e64 v25, 0, 1, s[2:3]
	v_cmp_gt_u32_e64 s[2:3], s60, v1
	v_mov_b32_e32 v24, v27
	s_and_b64 s[14:15], vcc, exec
	s_and_b64 s[2:3], s[2:3], exec
.LBB185_64:
	s_or_b64 exec, exec, s[58:59]
	s_and_b64 s[14:15], s[14:15], exec
	s_and_b64 s[2:3], s[2:3], exec
.LBB185_65:
	s_or_b64 exec, exec, s[12:13]
	s_and_b64 s[12:13], s[14:15], exec
	s_and_b64 s[2:3], s[2:3], exec
.LBB185_66:
	s_or_b64 exec, exec, s[10:11]
	s_and_b64 s[10:11], s[12:13], exec
	s_and_b64 s[2:3], s[2:3], exec
.LBB185_67:
	s_or_b64 exec, exec, s[8:9]
	s_and_b64 s[58:59], s[10:11], exec
	s_and_b64 s[2:3], s[2:3], exec
.LBB185_68:
	s_or_b64 exec, exec, s[44:45]
	s_and_b64 s[8:9], s[58:59], exec
	s_and_b64 s[2:3], s[2:3], exec
.LBB185_69:
	s_or_b64 exec, exec, s[30:31]
	s_and_b64 s[30:31], s[8:9], exec
	s_and_b64 s[2:3], s[2:3], exec
.LBB185_70:
	s_or_b64 exec, exec, s[28:29]
	s_and_b64 s[8:9], s[30:31], exec
	s_and_b64 s[2:3], s[2:3], exec
.LBB185_71:
	s_or_b64 exec, exec, s[26:27]
	s_and_b64 s[26:27], s[8:9], exec
	s_and_b64 s[2:3], s[2:3], exec
.LBB185_72:
	s_or_b64 exec, exec, s[24:25]
	s_and_b64 s[8:9], s[26:27], exec
	s_and_b64 s[2:3], s[2:3], exec
.LBB185_73:
	s_or_b64 exec, exec, s[22:23]
	s_and_b64 s[22:23], s[8:9], exec
	s_and_b64 s[2:3], s[2:3], exec
.LBB185_74:
	s_or_b64 exec, exec, s[20:21]
	s_and_b64 s[8:9], s[22:23], exec
	s_and_b64 s[20:21], s[2:3], exec
.LBB185_75:
	s_or_b64 exec, exec, s[18:19]
	s_and_b64 s[2:3], s[8:9], exec
	s_and_b64 s[18:19], s[20:21], exec
.LBB185_76:
	s_or_b64 exec, exec, s[16:17]
	s_and_b64 vcc, exec, s[4:5]
	v_lshlrev_b32_e32 v50, 2, v0
	s_cbranch_vccnz .LBB185_78
	s_branch .LBB185_86
.LBB185_77:
                                        ; implicit-def: $sgpr2_sgpr3
                                        ; implicit-def: $vgpr2_vgpr3_vgpr4_vgpr5_vgpr6_vgpr7_vgpr8_vgpr9
                                        ; implicit-def: $vgpr10_vgpr11_vgpr12_vgpr13_vgpr14_vgpr15_vgpr16_vgpr17
                                        ; implicit-def: $vgpr18_vgpr19_vgpr20_vgpr21_vgpr22_vgpr23_vgpr24_vgpr25
                                        ; implicit-def: $vgpr43
                                        ; implicit-def: $vgpr38_vgpr39
	s_and_b64 vcc, exec, s[4:5]
	v_lshlrev_b32_e32 v50, 2, v0
	s_cbranch_vccz .LBB185_86
.LBB185_78:
	v_mov_b32_e32 v1, s41
	v_add_co_u32_e32 v2, vcc, s40, v50
	v_addc_co_u32_e32 v3, vcc, 0, v1, vcc
	v_add_co_u32_e32 v4, vcc, 0x1000, v2
	v_addc_co_u32_e32 v5, vcc, 0, v3, vcc
	flat_load_dword v6, v[2:3]
	flat_load_dword v7, v[2:3] offset:1024
	flat_load_dword v8, v[2:3] offset:2048
	;; [unrolled: 1-line block ×3, first 2 shown]
	flat_load_dword v10, v[4:5]
	flat_load_dword v11, v[4:5] offset:1024
	flat_load_dword v12, v[4:5] offset:2048
	;; [unrolled: 1-line block ×3, first 2 shown]
	v_add_co_u32_e32 v4, vcc, 0x2000, v2
	v_addc_co_u32_e32 v5, vcc, 0, v3, vcc
	v_add_co_u32_e32 v2, vcc, 0x3000, v2
	v_addc_co_u32_e32 v3, vcc, 0, v3, vcc
	flat_load_dword v14, v[4:5]
	flat_load_dword v15, v[4:5] offset:1024
	flat_load_dword v16, v[4:5] offset:2048
	flat_load_dword v17, v[4:5] offset:3072
	flat_load_dword v18, v[2:3]
	flat_load_dword v19, v[2:3] offset:1024
	v_mad_u32_u24 v1, v0, 52, v50
	s_cmp_eq_u64 s[56:57], 0
	s_waitcnt vmcnt(0) lgkmcnt(0)
	ds_write2st64_b32 v50, v6, v7 offset1:4
	ds_write2st64_b32 v50, v8, v9 offset0:8 offset1:12
	ds_write2st64_b32 v50, v10, v11 offset0:16 offset1:20
	;; [unrolled: 1-line block ×6, first 2 shown]
	s_waitcnt lgkmcnt(0)
	s_barrier
	ds_read2_b64 v[2:5], v1 offset1:1
	ds_read2_b64 v[10:13], v1 offset0:2 offset1:3
	ds_read2_b64 v[18:21], v1 offset0:4 offset1:5
	ds_read_b64 v[6:7], v1 offset:48
	s_cbranch_scc1 .LBB185_83
; %bb.79:
	s_andn2_b64 vcc, exec, s[48:49]
	s_cbranch_vccnz .LBB185_238
; %bb.80:
	s_lshl_b64 s[2:3], s[56:57], 2
	s_add_u32 s2, s50, s2
	s_addc_u32 s3, s51, s3
	s_add_u32 s2, s2, -4
	s_addc_u32 s3, s3, -1
	s_cbranch_execnz .LBB185_82
.LBB185_81:
	s_add_u32 s2, s40, -4
	s_addc_u32 s3, s41, -1
.LBB185_82:
	s_mov_b64 s[40:41], s[2:3]
.LBB185_83:
	v_pk_mov_b32 v[8:9], s[40:41], s[40:41] op_sel:[0,1]
	flat_load_dword v8, v[8:9]
	s_movk_i32 s2, 0xffcc
	v_mad_i32_i24 v9, v0, s2, v1
	v_cmp_ne_u32_e32 vcc, 0, v0
	s_waitcnt lgkmcnt(0)
	ds_write_b32 v9, v7 offset:14336
	s_waitcnt lgkmcnt(0)
	s_barrier
	s_and_saveexec_b64 s[2:3], vcc
	s_cbranch_execz .LBB185_85
; %bb.84:
	s_waitcnt vmcnt(0)
	v_mul_i32_i24_e32 v8, 0xffffffcc, v0
	v_add_u32_e32 v8, v1, v8
	ds_read_b32 v8, v8 offset:14332
.LBB185_85:
	s_or_b64 exec, exec, s[2:3]
	v_mov_b32_e32 v9, s55
	v_add_co_u32_e32 v14, vcc, s7, v50
	v_addc_co_u32_e32 v15, vcc, 0, v9, vcc
	s_movk_i32 s2, 0x1000
	v_add_co_u32_e32 v16, vcc, s2, v14
	v_addc_co_u32_e32 v17, vcc, 0, v15, vcc
	s_movk_i32 s2, 0x2000
	s_waitcnt lgkmcnt(0)
	s_barrier
	flat_load_dword v22, v[14:15]
	flat_load_dword v24, v[14:15] offset:1024
	flat_load_dword v26, v[14:15] offset:2048
	;; [unrolled: 1-line block ×3, first 2 shown]
	flat_load_dword v28, v[16:17]
	flat_load_dword v29, v[16:17] offset:1024
	flat_load_dword v30, v[16:17] offset:2048
	;; [unrolled: 1-line block ×3, first 2 shown]
	v_add_co_u32_e32 v16, vcc, s2, v14
	v_addc_co_u32_e32 v17, vcc, 0, v15, vcc
	s_movk_i32 s2, 0x3000
	v_add_co_u32_e32 v14, vcc, s2, v14
	v_addc_co_u32_e32 v15, vcc, 0, v15, vcc
	flat_load_dword v32, v[16:17]
	flat_load_dword v33, v[16:17] offset:1024
	flat_load_dword v34, v[16:17] offset:2048
	;; [unrolled: 1-line block ×3, first 2 shown]
	flat_load_dword v36, v[14:15]
	flat_load_dword v37, v[14:15] offset:1024
	s_waitcnt vmcnt(0)
	v_cmp_ne_u32_e32 vcc, v8, v2
	v_cndmask_b32_e64 v39, 0, 1, vcc
	v_cmp_ne_u32_e32 vcc, v5, v10
	v_cndmask_b32_e64 v9, 0, 1, vcc
	v_cmp_ne_u32_e32 vcc, v4, v5
	v_cmp_ne_u32_e64 s[2:3], v6, v7
	v_cndmask_b32_e64 v7, 0, 1, vcc
	v_cmp_ne_u32_e32 vcc, v3, v4
	v_cndmask_b32_e64 v5, 0, 1, vcc
	v_cmp_ne_u32_e32 vcc, v2, v3
	;; [unrolled: 2-line block ×10, first 2 shown]
	v_cndmask_b32_e64 v19, 0, 1, vcc
	s_mov_b64 s[18:19], -1
                                        ; implicit-def: $sgpr4_sgpr5
	s_waitcnt lgkmcnt(0)
	ds_write2st64_b32 v50, v22, v24 offset1:4
	ds_write2st64_b32 v50, v26, v27 offset0:8 offset1:12
	ds_write2st64_b32 v50, v28, v29 offset0:16 offset1:20
	;; [unrolled: 1-line block ×6, first 2 shown]
	s_waitcnt lgkmcnt(0)
	s_barrier
	ds_read2_b32 v[42:43], v1 offset1:13
	ds_read2_b32 v[26:27], v1 offset0:7 offset1:8
	ds_read2_b32 v[28:29], v1 offset0:5 offset1:6
	;; [unrolled: 1-line block ×6, first 2 shown]
	s_waitcnt lgkmcnt(6)
	v_mov_b32_e32 v38, v42
	s_waitcnt lgkmcnt(4)
	v_mov_b32_e32 v10, v28
	;; [unrolled: 2-line block ×4, first 2 shown]
	v_mov_b32_e32 v4, v33
	v_mov_b32_e32 v8, v31
	;; [unrolled: 1-line block ×5, first 2 shown]
	s_waitcnt lgkmcnt(0)
	v_mov_b32_e32 v18, v36
	v_mov_b32_e32 v20, v37
	;; [unrolled: 1-line block ×4, first 2 shown]
.LBB185_86:
	v_pk_mov_b32 v[40:41], s[4:5], s[4:5] op_sel:[0,1]
	s_and_saveexec_b64 s[4:5], s[18:19]
	s_cbranch_execz .LBB185_88
; %bb.87:
	v_cndmask_b32_e64 v41, 0, 1, s[2:3]
	s_waitcnt lgkmcnt(0)
	v_mov_b32_e32 v40, v43
.LBB185_88:
	s_or_b64 exec, exec, s[4:5]
	s_mov_b32 s26, 0
	s_cmp_lg_u32 s6, 0
	v_mbcnt_lo_u32_b32 v1, -1, 0
	s_waitcnt lgkmcnt(0)
	s_barrier
	s_cbranch_scc0 .LBB185_161
; %bb.89:
	s_mov_b32 s27, 1
	v_cmp_gt_u64_e64 s[2:3], s[26:27], v[2:3]
	v_cndmask_b32_e64 v27, 1, v38, s[2:3]
	v_mul_lo_u32 v27, v27, v2
	v_cmp_gt_u64_e64 s[4:5], s[26:27], v[4:5]
	v_cndmask_b32_e64 v27, 1, v27, s[4:5]
	v_mul_lo_u32 v27, v27, v4
	v_cmp_gt_u64_e64 s[30:31], s[26:27], v[6:7]
	v_cndmask_b32_e64 v27, 1, v27, s[30:31]
	v_mul_lo_u32 v27, v27, v6
	v_cmp_gt_u64_e64 s[8:9], s[26:27], v[8:9]
	v_cndmask_b32_e64 v27, 1, v27, s[8:9]
	v_mul_lo_u32 v27, v27, v8
	v_cmp_gt_u64_e64 s[10:11], s[26:27], v[10:11]
	v_cndmask_b32_e64 v27, 1, v27, s[10:11]
	v_mul_lo_u32 v27, v27, v10
	v_cmp_gt_u64_e64 s[12:13], s[26:27], v[12:13]
	v_cndmask_b32_e64 v27, 1, v27, s[12:13]
	v_mul_lo_u32 v27, v27, v12
	v_cmp_gt_u64_e64 s[14:15], s[26:27], v[14:15]
	v_cndmask_b32_e64 v27, 1, v27, s[14:15]
	v_mul_lo_u32 v27, v27, v14
	v_cmp_gt_u64_e64 s[16:17], s[26:27], v[16:17]
	v_cndmask_b32_e64 v27, 1, v27, s[16:17]
	v_mul_lo_u32 v27, v27, v16
	v_cmp_gt_u64_e64 s[18:19], s[26:27], v[18:19]
	v_cndmask_b32_e64 v27, 1, v27, s[18:19]
	v_mul_lo_u32 v27, v27, v18
	v_cmp_gt_u64_e64 s[20:21], s[26:27], v[20:21]
	v_cndmask_b32_e64 v27, 1, v27, s[20:21]
	v_mul_lo_u32 v27, v27, v20
	v_cmp_gt_u64_e64 s[22:23], s[26:27], v[22:23]
	v_cndmask_b32_e64 v27, 1, v27, s[22:23]
	v_mul_lo_u32 v27, v27, v22
	v_cmp_gt_u64_e64 s[24:25], s[26:27], v[24:25]
	v_cndmask_b32_e64 v27, 1, v27, s[24:25]
	v_mul_lo_u32 v27, v27, v24
	v_cmp_gt_u64_e64 s[26:27], s[26:27], v[40:41]
	v_cndmask_b32_e64 v27, 1, v27, s[26:27]
	v_mul_lo_u32 v28, v27, v40
	v_or3_b32 v27, v41, v25, v23
	v_or3_b32 v27, v27, v21, v19
	;; [unrolled: 1-line block ×6, first 2 shown]
	v_mov_b32_e32 v26, 0
	v_and_b32_e32 v27, 1, v27
	v_cmp_eq_u64_e32 vcc, 0, v[26:27]
	v_mbcnt_hi_u32_b32 v37, -1, v1
	v_cndmask_b32_e32 v29, 1, v39, vcc
	v_and_b32_e32 v26, 15, v37
	v_mov_b32_dpp v30, v28 row_shr:1 row_mask:0xf bank_mask:0xf
	v_mov_b32_dpp v27, v29 row_shr:1 row_mask:0xf bank_mask:0xf
	v_cmp_ne_u32_e32 vcc, 0, v26
	s_and_saveexec_b64 s[28:29], vcc
; %bb.90:
	v_cmp_eq_u32_e32 vcc, 0, v29
	v_and_b32_e32 v29, 1, v29
	v_cndmask_b32_e32 v30, 1, v30, vcc
	v_and_b32_e32 v27, 1, v27
	v_cmp_eq_u32_e32 vcc, 1, v29
	v_mul_lo_u32 v28, v30, v28
	v_cndmask_b32_e64 v29, v27, 1, vcc
; %bb.91:
	s_or_b64 exec, exec, s[28:29]
	v_mov_b32_dpp v30, v28 row_shr:2 row_mask:0xf bank_mask:0xf
	v_mov_b32_dpp v27, v29 row_shr:2 row_mask:0xf bank_mask:0xf
	v_cmp_lt_u32_e32 vcc, 1, v26
	s_and_saveexec_b64 s[28:29], vcc
; %bb.92:
	v_cmp_eq_u32_e32 vcc, 0, v29
	v_and_b32_e32 v29, 1, v29
	v_cndmask_b32_e32 v30, 1, v30, vcc
	v_and_b32_e32 v27, 1, v27
	v_cmp_eq_u32_e32 vcc, 1, v29
	v_mul_lo_u32 v28, v30, v28
	v_cndmask_b32_e64 v29, v27, 1, vcc
; %bb.93:
	s_or_b64 exec, exec, s[28:29]
	v_mov_b32_dpp v30, v28 row_shr:4 row_mask:0xf bank_mask:0xf
	v_mov_b32_dpp v27, v29 row_shr:4 row_mask:0xf bank_mask:0xf
	v_cmp_lt_u32_e32 vcc, 3, v26
	;; [unrolled: 14-line block ×3, first 2 shown]
	s_and_saveexec_b64 s[28:29], vcc
; %bb.96:
	v_cmp_eq_u32_e32 vcc, 0, v29
	v_cndmask_b32_e32 v26, 1, v30, vcc
	v_mul_lo_u32 v28, v26, v28
	v_and_b32_e32 v26, 1, v29
	v_and_b32_e32 v27, 1, v27
	v_cmp_eq_u32_e32 vcc, 1, v26
	v_cndmask_b32_e64 v29, v27, 1, vcc
; %bb.97:
	s_or_b64 exec, exec, s[28:29]
	v_and_b32_e32 v30, 16, v37
	v_mov_b32_dpp v27, v28 row_bcast:15 row_mask:0xf bank_mask:0xf
	v_mov_b32_dpp v26, v29 row_bcast:15 row_mask:0xf bank_mask:0xf
	v_cmp_ne_u32_e32 vcc, 0, v30
	s_and_saveexec_b64 s[28:29], vcc
; %bb.98:
	v_cmp_eq_u32_e32 vcc, 0, v29
	v_cndmask_b32_e32 v27, 1, v27, vcc
	v_mul_lo_u32 v28, v27, v28
	v_and_b32_e32 v27, 1, v29
	v_and_b32_e32 v26, 1, v26
	v_cmp_eq_u32_e32 vcc, 1, v27
	v_cndmask_b32_e64 v29, v26, 1, vcc
; %bb.99:
	s_or_b64 exec, exec, s[28:29]
	v_mov_b32_dpp v27, v28 row_bcast:31 row_mask:0xf bank_mask:0xf
	v_mov_b32_dpp v26, v29 row_bcast:31 row_mask:0xf bank_mask:0xf
	v_cmp_lt_u32_e32 vcc, 31, v37
	s_and_saveexec_b64 s[28:29], vcc
; %bb.100:
	v_cmp_eq_u32_e32 vcc, 0, v29
	v_cndmask_b32_e32 v27, 1, v27, vcc
	v_mul_lo_u32 v28, v27, v28
	v_and_b32_e32 v27, 1, v29
	v_and_b32_e32 v26, 1, v26
	v_cmp_eq_u32_e32 vcc, 1, v27
	v_cndmask_b32_e64 v29, v26, 1, vcc
; %bb.101:
	s_or_b64 exec, exec, s[28:29]
	v_or_b32_e32 v26, 63, v0
	v_lshrrev_b32_e32 v30, 6, v0
	v_cmp_eq_u32_e32 vcc, v26, v0
	s_and_saveexec_b64 s[28:29], vcc
	s_cbranch_execz .LBB185_103
; %bb.102:
	v_lshlrev_b32_e32 v26, 3, v30
	ds_write_b32 v26, v28
	ds_write_b8 v26, v29 offset:4
.LBB185_103:
	s_or_b64 exec, exec, s[28:29]
	v_cmp_gt_u32_e32 vcc, 4, v0
	s_waitcnt lgkmcnt(0)
	s_barrier
	s_and_saveexec_b64 s[28:29], vcc
	s_cbranch_execz .LBB185_109
; %bb.104:
	v_lshlrev_b32_e32 v31, 3, v0
	ds_read_b64 v[26:27], v31
	v_and_b32_e32 v32, 3, v37
	v_cmp_ne_u32_e32 vcc, 0, v32
	s_waitcnt lgkmcnt(0)
	v_mov_b32_dpp v35, v26 row_shr:1 row_mask:0xf bank_mask:0xf
	v_mov_b32_dpp v34, v27 row_shr:1 row_mask:0xf bank_mask:0xf
	v_mov_b32_e32 v33, v27
	s_and_saveexec_b64 s[40:41], vcc
	s_cbranch_execz .LBB185_106
; %bb.105:
	v_mov_b32_e32 v33, 0
	v_cmp_eq_u16_sdwa vcc, v27, v33 src0_sel:BYTE_0 src1_sel:DWORD
	v_cndmask_b32_e32 v33, 1, v35, vcc
	v_mul_lo_u32 v26, v33, v26
	v_and_b32_e32 v33, 1, v27
	v_and_b32_e32 v34, 1, v34
	v_cmp_eq_u32_e32 vcc, 1, v33
	v_cndmask_b32_e64 v34, v34, 1, vcc
	v_and_b32_e32 v33, 0xffff, v34
	s_movk_i32 s7, 0xff00
	v_and_or_b32 v33, v27, s7, v33
	v_mov_b32_e32 v27, v34
.LBB185_106:
	s_or_b64 exec, exec, s[40:41]
	v_mov_b32_dpp v34, v26 row_shr:2 row_mask:0xf bank_mask:0xf
	v_mov_b32_dpp v33, v33 row_shr:2 row_mask:0xf bank_mask:0xf
	v_cmp_lt_u32_e32 vcc, 1, v32
	s_and_saveexec_b64 s[40:41], vcc
; %bb.107:
	v_mov_b32_e32 v32, 0
	v_cmp_eq_u16_sdwa vcc, v27, v32 src0_sel:BYTE_0 src1_sel:DWORD
	v_cndmask_b32_e32 v32, 1, v34, vcc
	v_and_b32_e32 v27, 1, v27
	v_mul_lo_u32 v26, v32, v26
	v_and_b32_e32 v32, 1, v33
	v_cmp_eq_u32_e32 vcc, 1, v27
	v_cndmask_b32_e64 v27, v32, 1, vcc
; %bb.108:
	s_or_b64 exec, exec, s[40:41]
	ds_write_b32 v31, v26
	ds_write_b8 v31, v27 offset:4
.LBB185_109:
	s_or_b64 exec, exec, s[28:29]
	v_mov_b32_e32 v34, v39
	v_cmp_gt_u32_e32 vcc, 64, v0
	v_cmp_lt_u32_e64 s[28:29], 63, v0
	v_mov_b32_e32 v35, 0
	v_mov_b32_e32 v44, 0
	s_waitcnt lgkmcnt(0)
	s_barrier
	s_and_saveexec_b64 s[40:41], s[28:29]
	s_cbranch_execz .LBB185_111
; %bb.110:
	v_lshl_add_u32 v26, v30, 3, -8
	ds_read_b32 v35, v26
	ds_read_u8 v44, v26 offset:4
	v_and_b32_e32 v26, 1, v29
	v_cmp_eq_u32_e64 s[28:29], 0, v29
	s_waitcnt lgkmcnt(1)
	v_cndmask_b32_e64 v27, 1, v35, s[28:29]
	s_waitcnt lgkmcnt(0)
	v_and_b32_e32 v29, 1, v44
	v_cmp_eq_u32_e64 s[28:29], 1, v26
	v_mul_lo_u32 v28, v27, v28
	v_cndmask_b32_e64 v29, v29, 1, s[28:29]
.LBB185_111:
	s_or_b64 exec, exec, s[40:41]
	v_add_u32_e32 v26, -1, v37
	v_and_b32_e32 v27, 64, v37
	v_cmp_lt_i32_e64 s[28:29], v26, v27
	v_cndmask_b32_e64 v26, v26, v37, s[28:29]
	v_lshlrev_b32_e32 v26, 2, v26
	ds_bpermute_b32 v45, v26, v28
	ds_bpermute_b32 v46, v26, v29
	v_cmp_eq_u32_e64 s[28:29], 0, v37
	s_and_saveexec_b64 s[40:41], vcc
	s_cbranch_execz .LBB185_158
; %bb.112:
	v_mov_b32_e32 v29, 0
	ds_read_b64 v[26:27], v29 offset:24
	s_waitcnt lgkmcnt(0)
	v_readfirstlane_b32 s7, v27
	s_and_saveexec_b64 s[44:45], s[28:29]
	s_cbranch_execz .LBB185_114
; %bb.113:
	s_add_i32 s48, s6, 64
	s_mov_b32 s49, 0
	s_lshl_b64 s[50:51], s[48:49], 4
	s_add_u32 s50, s52, s50
	s_addc_u32 s51, s53, s51
	s_and_b32 s57, s7, 0xff000000
	s_mov_b32 s56, s49
	s_and_b32 s59, s7, 0xff0000
	s_mov_b32 s58, s49
	s_or_b64 s[56:57], s[58:59], s[56:57]
	s_and_b32 s59, s7, 0xff00
	s_or_b64 s[56:57], s[56:57], s[58:59]
	s_and_b32 s59, s7, 0xff
	s_or_b64 s[48:49], s[56:57], s[58:59]
	v_mov_b32_e32 v27, s49
	v_mov_b32_e32 v28, 1
	v_pk_mov_b32 v[30:31], s[50:51], s[50:51] op_sel:[0,1]
	;;#ASMSTART
	global_store_dwordx4 v[30:31], v[26:29] off	
s_waitcnt vmcnt(0)
	;;#ASMEND
.LBB185_114:
	s_or_b64 exec, exec, s[44:45]
	v_xad_u32 v36, v37, -1, s6
	v_add_u32_e32 v28, 64, v36
	v_lshlrev_b64 v[30:31], 4, v[28:29]
	v_mov_b32_e32 v27, s53
	v_add_co_u32_e32 v42, vcc, s52, v30
	v_addc_co_u32_e32 v43, vcc, v27, v31, vcc
	;;#ASMSTART
	global_load_dwordx4 v[30:33], v[42:43] off glc	
s_waitcnt vmcnt(0)
	;;#ASMEND
	v_and_b32_e32 v27, 0xff0000, v30
	v_or_b32_sdwa v27, v30, v27 dst_sel:DWORD dst_unused:UNUSED_PAD src0_sel:WORD_0 src1_sel:DWORD
	v_and_b32_e32 v28, 0xff000000, v30
	v_and_b32_e32 v30, 0xff, v31
	v_or3_b32 v31, 0, 0, v30
	v_or3_b32 v30, v27, v28, 0
	v_cmp_eq_u16_sdwa s[48:49], v32, v29 src0_sel:BYTE_0 src1_sel:DWORD
	s_and_saveexec_b64 s[44:45], s[48:49]
	s_cbranch_execz .LBB185_120
; %bb.115:
	s_mov_b32 s50, 1
	s_mov_b64 s[48:49], 0
	v_mov_b32_e32 v27, 0
.LBB185_116:                            ; =>This Loop Header: Depth=1
                                        ;     Child Loop BB185_117 Depth 2
	s_max_u32 s51, s50, 1
.LBB185_117:                            ;   Parent Loop BB185_116 Depth=1
                                        ; =>  This Inner Loop Header: Depth=2
	s_add_i32 s51, s51, -1
	s_cmp_eq_u32 s51, 0
	s_sleep 1
	s_cbranch_scc0 .LBB185_117
; %bb.118:                              ;   in Loop: Header=BB185_116 Depth=1
	s_cmp_lt_u32 s50, 32
	s_cselect_b64 s[56:57], -1, 0
	s_cmp_lg_u64 s[56:57], 0
	s_addc_u32 s50, s50, 0
	;;#ASMSTART
	global_load_dwordx4 v[30:33], v[42:43] off glc	
s_waitcnt vmcnt(0)
	;;#ASMEND
	v_cmp_ne_u16_sdwa s[56:57], v32, v27 src0_sel:BYTE_0 src1_sel:DWORD
	s_or_b64 s[48:49], s[56:57], s[48:49]
	s_andn2_b64 exec, exec, s[48:49]
	s_cbranch_execnz .LBB185_116
; %bb.119:
	s_or_b64 exec, exec, s[48:49]
	v_and_b32_e32 v31, 0xff, v31
.LBB185_120:
	s_or_b64 exec, exec, s[44:45]
	v_mov_b32_e32 v27, 2
	v_cmp_eq_u16_sdwa s[44:45], v32, v27 src0_sel:BYTE_0 src1_sel:DWORD
	v_lshlrev_b64 v[28:29], v37, -1
	v_and_b32_e32 v27, s45, v29
	v_or_b32_e32 v27, 0x80000000, v27
	v_ffbl_b32_e32 v27, v27
	v_add_u32_e32 v42, 32, v27
	v_and_b32_e32 v27, 63, v37
	v_cmp_ne_u32_e32 vcc, 63, v27
	v_addc_co_u32_e32 v43, vcc, 0, v37, vcc
	v_lshlrev_b32_e32 v47, 2, v43
	ds_bpermute_b32 v48, v47, v30
	ds_bpermute_b32 v43, v47, v31
	v_and_b32_e32 v33, s44, v28
	v_ffbl_b32_e32 v33, v33
	v_min_u32_e32 v33, v33, v42
	s_mov_b32 s48, 0
	v_cmp_lt_u32_e32 vcc, v27, v33
	v_mov_b32_e32 v42, v31
	s_and_saveexec_b64 s[44:45], vcc
	s_cbranch_execz .LBB185_122
; %bb.121:
	s_mov_b32 s49, 1
	v_cmp_gt_u64_e32 vcc, s[48:49], v[30:31]
	s_waitcnt lgkmcnt(1)
	v_cndmask_b32_e32 v42, 1, v48, vcc
	v_and_b32_e32 v31, 1, v31
	v_mul_lo_u32 v30, v42, v30
	s_waitcnt lgkmcnt(0)
	v_and_b32_e32 v42, 1, v43
	v_cmp_eq_u32_e32 vcc, 1, v31
	v_cndmask_b32_e64 v31, v42, 1, vcc
	v_and_b32_e32 v42, 0xffff, v31
.LBB185_122:
	s_or_b64 exec, exec, s[44:45]
	v_cmp_gt_u32_e32 vcc, 62, v27
	s_waitcnt lgkmcnt(0)
	v_cndmask_b32_e64 v43, 0, 1, vcc
	v_lshlrev_b32_e32 v43, 1, v43
	v_add_lshl_u32 v48, v43, v37, 2
	ds_bpermute_b32 v51, v48, v30
	ds_bpermute_b32 v43, v48, v42
	v_add_u32_e32 v49, 2, v27
	v_cmp_le_u32_e32 vcc, v49, v33
	s_and_saveexec_b64 s[44:45], vcc
	s_cbranch_execz .LBB185_124
; %bb.123:
	v_cmp_eq_u16_e32 vcc, 0, v31
	s_waitcnt lgkmcnt(1)
	v_cndmask_b32_e32 v42, 1, v51, vcc
	v_and_b32_e32 v31, 1, v31
	v_mul_lo_u32 v30, v42, v30
	s_waitcnt lgkmcnt(0)
	v_and_b32_e32 v42, 1, v43
	v_cmp_eq_u32_e32 vcc, 1, v31
	v_cndmask_b32_e64 v31, v42, 1, vcc
	v_and_b32_e32 v42, 0xffff, v31
.LBB185_124:
	s_or_b64 exec, exec, s[44:45]
	v_cmp_gt_u32_e32 vcc, 60, v27
	s_waitcnt lgkmcnt(0)
	v_cndmask_b32_e64 v43, 0, 1, vcc
	v_lshlrev_b32_e32 v43, 2, v43
	v_add_lshl_u32 v51, v43, v37, 2
	ds_bpermute_b32 v53, v51, v30
	ds_bpermute_b32 v43, v51, v42
	v_add_u32_e32 v52, 4, v27
	v_cmp_le_u32_e32 vcc, v52, v33
	s_and_saveexec_b64 s[44:45], vcc
	s_cbranch_execz .LBB185_126
; %bb.125:
	v_cmp_eq_u16_e32 vcc, 0, v31
	s_waitcnt lgkmcnt(1)
	v_cndmask_b32_e32 v42, 1, v53, vcc
	v_and_b32_e32 v31, 1, v31
	v_mul_lo_u32 v30, v42, v30
	s_waitcnt lgkmcnt(0)
	v_and_b32_e32 v42, 1, v43
	v_cmp_eq_u32_e32 vcc, 1, v31
	v_cndmask_b32_e64 v31, v42, 1, vcc
	v_and_b32_e32 v42, 0xffff, v31
.LBB185_126:
	;; [unrolled: 24-line block ×4, first 2 shown]
	s_or_b64 exec, exec, s[44:45]
	v_cmp_gt_u32_e32 vcc, 32, v27
	s_waitcnt lgkmcnt(0)
	v_cndmask_b32_e64 v43, 0, 1, vcc
	v_lshlrev_b32_e32 v43, 5, v43
	v_add_lshl_u32 v58, v43, v37, 2
	ds_bpermute_b32 v43, v58, v30
	ds_bpermute_b32 v37, v58, v42
	v_add_u32_e32 v60, 32, v27
	v_cmp_le_u32_e32 vcc, v60, v33
	s_and_saveexec_b64 s[44:45], vcc
	s_cbranch_execz .LBB185_132
; %bb.131:
	v_cmp_eq_u16_e32 vcc, 0, v31
	s_waitcnt lgkmcnt(1)
	v_cndmask_b32_e32 v33, 1, v43, vcc
	v_and_b32_e32 v31, 1, v31
	v_mul_lo_u32 v30, v33, v30
	s_waitcnt lgkmcnt(0)
	v_and_b32_e32 v33, 1, v37
	v_cmp_eq_u32_e32 vcc, 1, v31
	v_cndmask_b32_e64 v31, v33, 1, vcc
.LBB185_132:
	s_or_b64 exec, exec, s[44:45]
	s_mov_b32 s44, 0
	s_mov_b32 s45, 1
	s_waitcnt lgkmcnt(0)
	v_mov_b32_e32 v37, 0
	v_mov_b32_e32 v61, 2
	s_branch .LBB185_134
.LBB185_133:                            ;   in Loop: Header=BB185_134 Depth=1
	s_or_b64 exec, exec, s[48:49]
	v_cmp_eq_u16_sdwa vcc, v57, v37 src0_sel:BYTE_0 src1_sel:DWORD
	v_and_b32_e32 v33, 1, v57
	v_cndmask_b32_e32 v30, 1, v30, vcc
	v_and_b32_e32 v31, 1, v31
	v_cmp_eq_u32_e32 vcc, 1, v33
	v_subrev_u32_e32 v36, 64, v36
	v_mul_lo_u32 v30, v30, v59
	v_cndmask_b32_e64 v31, v31, 1, vcc
.LBB185_134:                            ; =>This Loop Header: Depth=1
                                        ;     Child Loop BB185_137 Depth 2
                                        ;       Child Loop BB185_138 Depth 3
	v_cmp_ne_u16_sdwa s[48:49], v32, v61 src0_sel:BYTE_0 src1_sel:DWORD
	v_mov_b32_e32 v57, v31
	v_cndmask_b32_e64 v31, 0, 1, s[48:49]
	;;#ASMSTART
	;;#ASMEND
	v_cmp_ne_u32_e32 vcc, 0, v31
	s_cmp_lg_u64 vcc, exec
	v_mov_b32_e32 v59, v30
	s_cbranch_scc1 .LBB185_153
; %bb.135:                              ;   in Loop: Header=BB185_134 Depth=1
	v_lshlrev_b64 v[30:31], 4, v[36:37]
	v_mov_b32_e32 v32, s53
	s_waitcnt lgkmcnt(0)
	v_add_co_u32_e32 v42, vcc, s52, v30
	v_addc_co_u32_e32 v43, vcc, v32, v31, vcc
	;;#ASMSTART
	global_load_dwordx4 v[30:33], v[42:43] off glc	
s_waitcnt vmcnt(0)
	;;#ASMEND
	v_and_b32_e32 v33, 0xff0000, v30
	v_or_b32_sdwa v33, v30, v33 dst_sel:DWORD dst_unused:UNUSED_PAD src0_sel:WORD_0 src1_sel:DWORD
	v_and_b32_e32 v30, 0xff000000, v30
	v_and_b32_e32 v31, 0xff, v31
	v_or3_b32 v31, 0, 0, v31
	v_or3_b32 v30, v33, v30, 0
	v_cmp_eq_u16_sdwa s[50:51], v32, v37 src0_sel:BYTE_0 src1_sel:DWORD
	s_and_saveexec_b64 s[48:49], s[50:51]
	s_cbranch_execz .LBB185_141
; %bb.136:                              ;   in Loop: Header=BB185_134 Depth=1
	s_mov_b32 s55, 1
	s_mov_b64 s[50:51], 0
.LBB185_137:                            ;   Parent Loop BB185_134 Depth=1
                                        ; =>  This Loop Header: Depth=2
                                        ;       Child Loop BB185_138 Depth 3
	s_max_u32 s56, s55, 1
.LBB185_138:                            ;   Parent Loop BB185_134 Depth=1
                                        ;     Parent Loop BB185_137 Depth=2
                                        ; =>    This Inner Loop Header: Depth=3
	s_add_i32 s56, s56, -1
	s_cmp_eq_u32 s56, 0
	s_sleep 1
	s_cbranch_scc0 .LBB185_138
; %bb.139:                              ;   in Loop: Header=BB185_137 Depth=2
	s_cmp_lt_u32 s55, 32
	s_cselect_b64 s[56:57], -1, 0
	s_cmp_lg_u64 s[56:57], 0
	s_addc_u32 s55, s55, 0
	;;#ASMSTART
	global_load_dwordx4 v[30:33], v[42:43] off glc	
s_waitcnt vmcnt(0)
	;;#ASMEND
	v_cmp_ne_u16_sdwa s[56:57], v32, v37 src0_sel:BYTE_0 src1_sel:DWORD
	s_or_b64 s[50:51], s[56:57], s[50:51]
	s_andn2_b64 exec, exec, s[50:51]
	s_cbranch_execnz .LBB185_137
; %bb.140:                              ;   in Loop: Header=BB185_134 Depth=1
	s_or_b64 exec, exec, s[50:51]
	v_and_b32_e32 v31, 0xff, v31
.LBB185_141:                            ;   in Loop: Header=BB185_134 Depth=1
	s_or_b64 exec, exec, s[48:49]
	v_cmp_eq_u16_sdwa s[48:49], v32, v61 src0_sel:BYTE_0 src1_sel:DWORD
	v_and_b32_e32 v33, s49, v29
	v_or_b32_e32 v33, 0x80000000, v33
	ds_bpermute_b32 v62, v47, v30
	ds_bpermute_b32 v43, v47, v31
	v_and_b32_e32 v42, s48, v28
	v_ffbl_b32_e32 v33, v33
	v_add_u32_e32 v33, 32, v33
	v_ffbl_b32_e32 v42, v42
	v_min_u32_e32 v33, v42, v33
	v_cmp_lt_u32_e32 vcc, v27, v33
	v_mov_b32_e32 v42, v31
	s_and_saveexec_b64 s[48:49], vcc
	s_cbranch_execz .LBB185_143
; %bb.142:                              ;   in Loop: Header=BB185_134 Depth=1
	v_cmp_gt_u64_e32 vcc, s[44:45], v[30:31]
	s_waitcnt lgkmcnt(1)
	v_cndmask_b32_e32 v42, 1, v62, vcc
	v_and_b32_e32 v31, 1, v31
	v_mul_lo_u32 v30, v42, v30
	s_waitcnt lgkmcnt(0)
	v_and_b32_e32 v42, 1, v43
	v_cmp_eq_u32_e32 vcc, 1, v31
	v_cndmask_b32_e64 v31, v42, 1, vcc
	v_and_b32_e32 v42, 0xffff, v31
.LBB185_143:                            ;   in Loop: Header=BB185_134 Depth=1
	s_or_b64 exec, exec, s[48:49]
	s_waitcnt lgkmcnt(1)
	ds_bpermute_b32 v62, v48, v30
	s_waitcnt lgkmcnt(1)
	ds_bpermute_b32 v43, v48, v42
	v_cmp_le_u32_e32 vcc, v49, v33
	s_and_saveexec_b64 s[48:49], vcc
	s_cbranch_execz .LBB185_145
; %bb.144:                              ;   in Loop: Header=BB185_134 Depth=1
	v_cmp_eq_u16_e32 vcc, 0, v31
	s_waitcnt lgkmcnt(1)
	v_cndmask_b32_e32 v42, 1, v62, vcc
	v_and_b32_e32 v31, 1, v31
	v_mul_lo_u32 v30, v42, v30
	s_waitcnt lgkmcnt(0)
	v_and_b32_e32 v42, 1, v43
	v_cmp_eq_u32_e32 vcc, 1, v31
	v_cndmask_b32_e64 v31, v42, 1, vcc
	v_and_b32_e32 v42, 0xffff, v31
.LBB185_145:                            ;   in Loop: Header=BB185_134 Depth=1
	s_or_b64 exec, exec, s[48:49]
	s_waitcnt lgkmcnt(1)
	ds_bpermute_b32 v62, v51, v30
	s_waitcnt lgkmcnt(1)
	ds_bpermute_b32 v43, v51, v42
	v_cmp_le_u32_e32 vcc, v52, v33
	s_and_saveexec_b64 s[48:49], vcc
	s_cbranch_execz .LBB185_147
; %bb.146:                              ;   in Loop: Header=BB185_134 Depth=1
	v_cmp_eq_u16_e32 vcc, 0, v31
	s_waitcnt lgkmcnt(1)
	v_cndmask_b32_e32 v42, 1, v62, vcc
	v_and_b32_e32 v31, 1, v31
	v_mul_lo_u32 v30, v42, v30
	s_waitcnt lgkmcnt(0)
	v_and_b32_e32 v42, 1, v43
	v_cmp_eq_u32_e32 vcc, 1, v31
	v_cndmask_b32_e64 v31, v42, 1, vcc
	v_and_b32_e32 v42, 0xffff, v31
.LBB185_147:                            ;   in Loop: Header=BB185_134 Depth=1
	;; [unrolled: 20-line block ×4, first 2 shown]
	s_or_b64 exec, exec, s[48:49]
	s_waitcnt lgkmcnt(0)
	ds_bpermute_b32 v43, v58, v30
	ds_bpermute_b32 v42, v58, v42
	v_cmp_le_u32_e32 vcc, v60, v33
	s_and_saveexec_b64 s[48:49], vcc
	s_cbranch_execz .LBB185_133
; %bb.152:                              ;   in Loop: Header=BB185_134 Depth=1
	v_cmp_eq_u16_e32 vcc, 0, v31
	v_and_b32_e32 v31, 1, v31
	s_waitcnt lgkmcnt(1)
	v_cndmask_b32_e32 v33, 1, v43, vcc
	v_cmp_eq_u32_e32 vcc, 1, v31
	v_mul_lo_u32 v30, v33, v30
	s_waitcnt lgkmcnt(0)
	v_cndmask_b32_e64 v31, v42, 1, vcc
	s_branch .LBB185_133
.LBB185_153:                            ;   in Loop: Header=BB185_134 Depth=1
                                        ; implicit-def: $vgpr31
	s_cbranch_execz .LBB185_134
; %bb.154:
	s_and_saveexec_b64 s[44:45], s[28:29]
	s_cbranch_execz .LBB185_156
; %bb.155:
	s_and_b32 s48, s7, 0xff
	s_cmp_eq_u32 s48, 0
	s_cselect_b64 vcc, -1, 0
	s_bitcmp1_b32 s7, 0
	s_mov_b32 s49, 0
	s_cselect_b64 s[50:51], -1, 0
	s_add_i32 s48, s6, 64
	s_lshl_b64 s[6:7], s[48:49], 4
	v_cndmask_b32_e32 v27, 1, v59, vcc
	s_add_u32 s6, s52, s6
	v_mul_lo_u32 v26, v27, v26
	v_and_b32_e32 v27, 1, v57
	s_addc_u32 s7, s53, s7
	v_cndmask_b32_e64 v27, v27, 1, s[50:51]
	v_mov_b32_e32 v28, 2
	v_mov_b32_e32 v29, 0
	v_pk_mov_b32 v[30:31], s[6:7], s[6:7] op_sel:[0,1]
	;;#ASMSTART
	global_store_dwordx4 v[30:31], v[26:29] off	
s_waitcnt vmcnt(0)
	;;#ASMEND
.LBB185_156:
	s_or_b64 exec, exec, s[44:45]
	v_cmp_eq_u32_e32 vcc, 0, v0
	s_and_b64 exec, exec, vcc
	s_cbranch_execz .LBB185_158
; %bb.157:
	v_mov_b32_e32 v26, 0
	ds_write_b32 v26, v59 offset:24
	ds_write_b8 v26, v57 offset:28
.LBB185_158:
	s_or_b64 exec, exec, s[40:41]
	v_mov_b32_e32 v26, 0
	s_waitcnt lgkmcnt(0)
	s_barrier
	ds_read_b32 v27, v26 offset:24
	s_mov_b32 s40, 0
	v_cmp_ne_u32_e32 vcc, 0, v0
	v_mov_b32_e32 v28, v38
	s_and_saveexec_b64 s[6:7], vcc
; %bb.159:
	v_cndmask_b32_e64 v29, v46, v44, s[28:29]
	v_and_b32_e32 v30, 1, v39
	s_mov_b32 s41, 1
	v_and_b32_e32 v29, 1, v29
	v_cmp_eq_u32_e32 vcc, 1, v30
	v_cndmask_b32_e64 v28, v45, v35, s[28:29]
	v_cndmask_b32_e64 v34, v29, 1, vcc
	v_cmp_gt_u64_e32 vcc, s[40:41], v[38:39]
	v_cndmask_b32_e32 v28, 1, v28, vcc
	v_mul_lo_u32 v28, v28, v38
; %bb.160:
	s_or_b64 exec, exec, s[6:7]
	v_cmp_eq_u16_sdwa vcc, v34, v26 src0_sel:BYTE_0 src1_sel:DWORD
	s_waitcnt lgkmcnt(0)
	v_cndmask_b32_e32 v26, 1, v27, vcc
	v_mul_lo_u32 v26, v26, v28
	v_cndmask_b32_e64 v27, 1, v26, s[2:3]
	v_mul_lo_u32 v27, v27, v2
	v_cndmask_b32_e64 v28, 1, v27, s[4:5]
	;; [unrolled: 2-line block ×13, first 2 shown]
	v_mul_lo_u32 v49, v28, v40
	s_branch .LBB185_191
.LBB185_161:
                                        ; implicit-def: $vgpr49
                                        ; implicit-def: $vgpr47
                                        ; implicit-def: $vgpr45
                                        ; implicit-def: $vgpr43
                                        ; implicit-def: $vgpr34_vgpr35_vgpr36_vgpr37
                                        ; implicit-def: $vgpr30_vgpr31_vgpr32_vgpr33
                                        ; implicit-def: $vgpr26_vgpr27_vgpr28_vgpr29
	s_cbranch_execz .LBB185_191
; %bb.162:
	s_cmp_lg_u64 s[34:35], 0
	s_cselect_b32 s5, s47, 0
	s_cselect_b32 s4, s46, 0
	s_cmp_lg_u64 s[4:5], 0
	s_cselect_b64 s[6:7], -1, 0
	v_cmp_eq_u32_e32 vcc, 0, v0
	s_mov_b32 s28, 0
	v_cmp_ne_u32_e64 s[2:3], 0, v0
	s_and_b64 s[8:9], vcc, s[6:7]
	s_and_saveexec_b64 s[6:7], s[8:9]
	s_cbranch_execz .LBB185_164
; %bb.163:
	v_mov_b32_e32 v26, 0
	global_load_dword v28, v26, s[4:5]
	global_load_ubyte v29, v26, s[4:5] offset:4
	s_mov_b32 s29, 1
	v_and_b32_e32 v27, 1, v39
	v_cmp_gt_u64_e64 s[4:5], s[28:29], v[38:39]
	s_waitcnt vmcnt(1)
	v_cndmask_b32_e64 v28, 1, v28, s[4:5]
	s_waitcnt vmcnt(0)
	v_and_b32_e32 v29, 1, v29
	v_cmp_eq_u64_e64 s[4:5], 0, v[26:27]
	v_mul_lo_u32 v38, v28, v38
	v_cndmask_b32_e64 v39, 1, v29, s[4:5]
.LBB185_164:
	s_or_b64 exec, exec, s[6:7]
	s_mov_b32 s29, 1
	v_cmp_gt_u64_e64 s[4:5], s[28:29], v[2:3]
	v_cndmask_b32_e64 v26, 1, v38, s[4:5]
	v_mul_lo_u32 v27, v26, v2
	v_cmp_gt_u64_e64 s[6:7], s[28:29], v[4:5]
	v_cndmask_b32_e64 v26, 1, v27, s[6:7]
	v_mul_lo_u32 v42, v26, v4
	;; [unrolled: 3-line block ×7, first 2 shown]
	v_cmp_gt_u64_e64 s[18:19], s[28:29], v[16:17]
	v_cndmask_b32_e64 v26, 1, v45, s[18:19]
	v_or3_b32 v7, v23, v15, v7
	v_mov_b32_e32 v28, 0
	v_mul_lo_u32 v34, v26, v16
	v_cmp_gt_u64_e64 s[20:21], s[28:29], v[18:19]
	v_or3_b32 v9, v25, v17, v9
	v_and_b32_e32 v53, 1, v7
	v_mov_b32_e32 v52, v28
	v_cndmask_b32_e64 v26, 1, v34, s[20:21]
	v_or3_b32 v3, v19, v11, v3
	v_and_b32_e32 v37, 1, v9
	v_mov_b32_e32 v36, v28
	v_cmp_ne_u64_e64 s[34:35], 0, v[52:53]
	v_mul_lo_u32 v35, v26, v18
	v_cmp_gt_u64_e64 s[22:23], s[28:29], v[20:21]
	v_or3_b32 v5, v21, v13, v5
	v_and_b32_e32 v29, 1, v3
	v_cndmask_b32_e64 v3, 0, 1, s[34:35]
	v_cmp_ne_u64_e64 s[34:35], 0, v[36:37]
	v_cndmask_b32_e64 v26, 1, v35, s[22:23]
	v_and_b32_e32 v33, 1, v5
	v_mov_b32_e32 v32, v28
	v_cndmask_b32_e64 v5, 0, 1, s[34:35]
	v_mul_lo_u32 v46, v26, v20
	v_cmp_gt_u64_e64 s[24:25], s[28:29], v[22:23]
	v_lshlrev_b16_e32 v3, 2, v3
	v_lshlrev_b16_e32 v5, 3, v5
	v_cmp_ne_u64_e64 s[34:35], 0, v[32:33]
	v_cndmask_b32_e64 v26, 1, v46, s[24:25]
	v_or_b32_e32 v3, v5, v3
	v_cndmask_b32_e64 v5, 0, 1, s[34:35]
	v_cmp_ne_u64_e64 s[34:35], 0, v[28:29]
	v_mul_lo_u32 v47, v26, v22
	v_cmp_gt_u64_e64 s[26:27], s[28:29], v[24:25]
	v_lshlrev_b16_e32 v5, 1, v5
	v_cndmask_b32_e64 v7, 0, 1, s[34:35]
	v_cndmask_b32_e64 v26, 1, v47, s[26:27]
	v_or_b32_e32 v5, v7, v5
	v_mul_lo_u32 v48, v26, v24
	v_cmp_gt_u64_e64 s[28:29], s[28:29], v[40:41]
	v_and_b32_e32 v5, 3, v5
	v_cndmask_b32_e64 v26, 1, v48, s[28:29]
	v_or_b32_e32 v3, v5, v3
	v_mul_lo_u32 v49, v26, v40
	v_and_b32_e32 v26, 1, v41
	v_and_b32_e32 v3, 15, v3
	v_cmp_eq_u32_e64 s[30:31], 1, v26
	v_cmp_ne_u16_e64 s[34:35], 0, v3
	s_or_b64 s[30:31], s[30:31], s[34:35]
	v_mbcnt_hi_u32_b32 v1, -1, v1
	v_cndmask_b32_e64 v5, v39, 1, s[30:31]
	v_and_b32_e32 v7, 15, v1
	v_mov_b32_dpp v11, v49 row_shr:1 row_mask:0xf bank_mask:0xf
	v_mov_b32_dpp v9, v5 row_shr:1 row_mask:0xf bank_mask:0xf
	v_cmp_ne_u32_e64 s[30:31], 0, v7
	v_mov_b32_e32 v3, v49
	s_and_saveexec_b64 s[34:35], s[30:31]
; %bb.165:
	v_cmp_eq_u32_e64 s[30:31], 0, v5
	v_and_b32_e32 v5, 1, v5
	v_cndmask_b32_e64 v3, 1, v11, s[30:31]
	v_and_b32_e32 v9, 1, v9
	v_cmp_eq_u32_e64 s[30:31], 1, v5
	v_mul_lo_u32 v3, v49, v3
	v_cndmask_b32_e64 v5, v9, 1, s[30:31]
; %bb.166:
	s_or_b64 exec, exec, s[34:35]
	v_mov_b32_dpp v11, v3 row_shr:2 row_mask:0xf bank_mask:0xf
	v_mov_b32_dpp v9, v5 row_shr:2 row_mask:0xf bank_mask:0xf
	v_cmp_lt_u32_e64 s[30:31], 1, v7
	s_and_saveexec_b64 s[34:35], s[30:31]
; %bb.167:
	v_cmp_eq_u32_e64 s[30:31], 0, v5
	v_and_b32_e32 v5, 1, v5
	v_cndmask_b32_e64 v11, 1, v11, s[30:31]
	v_and_b32_e32 v9, 1, v9
	v_cmp_eq_u32_e64 s[30:31], 1, v5
	v_mul_lo_u32 v3, v11, v3
	v_cndmask_b32_e64 v5, v9, 1, s[30:31]
; %bb.168:
	s_or_b64 exec, exec, s[34:35]
	v_mov_b32_dpp v11, v3 row_shr:4 row_mask:0xf bank_mask:0xf
	v_mov_b32_dpp v9, v5 row_shr:4 row_mask:0xf bank_mask:0xf
	v_cmp_lt_u32_e64 s[30:31], 3, v7
	;; [unrolled: 14-line block ×3, first 2 shown]
	s_and_saveexec_b64 s[34:35], s[30:31]
; %bb.171:
	v_cmp_eq_u32_e64 s[30:31], 0, v5
	v_cndmask_b32_e64 v7, 1, v11, s[30:31]
	v_and_b32_e32 v5, 1, v5
	v_mul_lo_u32 v3, v7, v3
	v_and_b32_e32 v7, 1, v9
	v_cmp_eq_u32_e64 s[30:31], 1, v5
	v_cndmask_b32_e64 v5, v7, 1, s[30:31]
; %bb.172:
	s_or_b64 exec, exec, s[34:35]
	v_and_b32_e32 v11, 16, v1
	v_mov_b32_dpp v9, v3 row_bcast:15 row_mask:0xf bank_mask:0xf
	v_mov_b32_dpp v7, v5 row_bcast:15 row_mask:0xf bank_mask:0xf
	v_cmp_ne_u32_e64 s[30:31], 0, v11
	s_and_saveexec_b64 s[34:35], s[30:31]
; %bb.173:
	v_cmp_eq_u32_e64 s[30:31], 0, v5
	v_and_b32_e32 v5, 1, v5
	v_cndmask_b32_e64 v9, 1, v9, s[30:31]
	v_and_b32_e32 v7, 1, v7
	v_cmp_eq_u32_e64 s[30:31], 1, v5
	v_mul_lo_u32 v3, v9, v3
	v_cndmask_b32_e64 v5, v7, 1, s[30:31]
; %bb.174:
	s_or_b64 exec, exec, s[34:35]
	v_mov_b32_dpp v9, v3 row_bcast:31 row_mask:0xf bank_mask:0xf
	v_mov_b32_dpp v7, v5 row_bcast:31 row_mask:0xf bank_mask:0xf
	v_cmp_lt_u32_e64 s[30:31], 31, v1
	s_and_saveexec_b64 s[34:35], s[30:31]
; %bb.175:
	v_cmp_eq_u32_e64 s[30:31], 0, v5
	v_and_b32_e32 v5, 1, v5
	v_cndmask_b32_e64 v9, 1, v9, s[30:31]
	v_and_b32_e32 v7, 1, v7
	v_cmp_eq_u32_e64 s[30:31], 1, v5
	v_mul_lo_u32 v3, v9, v3
	v_cndmask_b32_e64 v5, v7, 1, s[30:31]
; %bb.176:
	s_or_b64 exec, exec, s[34:35]
	v_or_b32_e32 v9, 63, v0
	v_lshrrev_b32_e32 v7, 6, v0
	v_cmp_eq_u32_e64 s[30:31], v9, v0
	s_and_saveexec_b64 s[34:35], s[30:31]
	s_cbranch_execz .LBB185_178
; %bb.177:
	v_lshlrev_b32_e32 v9, 3, v7
	ds_write_b32 v9, v3
	ds_write_b8 v9, v5 offset:4
.LBB185_178:
	s_or_b64 exec, exec, s[34:35]
	v_cmp_gt_u32_e64 s[30:31], 4, v0
	s_waitcnt lgkmcnt(0)
	s_barrier
	s_and_saveexec_b64 s[34:35], s[30:31]
	s_cbranch_execz .LBB185_184
; %bb.179:
	v_lshlrev_b32_e32 v9, 3, v0
	ds_read_b64 v[28:29], v9
	v_and_b32_e32 v11, 3, v1
	v_cmp_ne_u32_e64 s[30:31], 0, v11
	s_waitcnt lgkmcnt(0)
	v_mov_b32_dpp v17, v28 row_shr:1 row_mask:0xf bank_mask:0xf
	v_mov_b32_dpp v15, v29 row_shr:1 row_mask:0xf bank_mask:0xf
	v_mov_b32_e32 v13, v29
	s_and_saveexec_b64 s[40:41], s[30:31]
	s_cbranch_execz .LBB185_181
; %bb.180:
	v_mov_b32_e32 v13, 0
	v_cmp_eq_u16_sdwa s[30:31], v29, v13 src0_sel:BYTE_0 src1_sel:DWORD
	v_cndmask_b32_e64 v13, 1, v17, s[30:31]
	v_mul_lo_u32 v28, v13, v28
	v_and_b32_e32 v13, 1, v29
	v_and_b32_e32 v15, 1, v15
	v_cmp_eq_u32_e64 s[30:31], 1, v13
	v_cndmask_b32_e64 v15, v15, 1, s[30:31]
	v_and_b32_e32 v13, 0xffff, v15
	s_movk_i32 s30, 0xff00
	v_and_or_b32 v13, v29, s30, v13
	v_mov_b32_e32 v29, v15
.LBB185_181:
	s_or_b64 exec, exec, s[40:41]
	v_mov_b32_dpp v15, v28 row_shr:2 row_mask:0xf bank_mask:0xf
	v_mov_b32_dpp v13, v13 row_shr:2 row_mask:0xf bank_mask:0xf
	v_cmp_lt_u32_e64 s[30:31], 1, v11
	s_and_saveexec_b64 s[40:41], s[30:31]
; %bb.182:
	v_mov_b32_e32 v11, 0
	v_cmp_eq_u16_sdwa s[30:31], v29, v11 src0_sel:BYTE_0 src1_sel:DWORD
	v_cndmask_b32_e64 v11, 1, v15, s[30:31]
	v_mul_lo_u32 v28, v11, v28
	v_and_b32_e32 v11, 1, v29
	v_and_b32_e32 v13, 1, v13
	v_cmp_eq_u32_e64 s[30:31], 1, v11
	v_cndmask_b32_e64 v29, v13, 1, s[30:31]
; %bb.183:
	s_or_b64 exec, exec, s[40:41]
	ds_write_b32 v9, v28
	ds_write_b8 v9, v29 offset:4
.LBB185_184:
	s_or_b64 exec, exec, s[34:35]
	v_cmp_lt_u32_e64 s[30:31], 63, v0
	v_mov_b32_e32 v9, 0
	s_waitcnt lgkmcnt(0)
	s_barrier
	s_and_saveexec_b64 s[34:35], s[30:31]
	s_cbranch_execz .LBB185_186
; %bb.185:
	v_lshl_add_u32 v7, v7, 3, -8
	ds_read_b32 v9, v7
	v_cmp_eq_u32_e64 s[30:31], 0, v5
	s_waitcnt lgkmcnt(0)
	v_cndmask_b32_e64 v5, 1, v9, s[30:31]
	v_mul_lo_u32 v3, v5, v3
.LBB185_186:
	s_or_b64 exec, exec, s[34:35]
	v_add_u32_e32 v5, -1, v1
	v_and_b32_e32 v7, 64, v1
	v_cmp_lt_i32_e64 s[30:31], v5, v7
	v_cndmask_b32_e64 v5, v5, v1, s[30:31]
	v_lshlrev_b32_e32 v5, 2, v5
	ds_bpermute_b32 v3, v5, v3
	s_and_saveexec_b64 s[30:31], s[2:3]
	s_cbranch_execz .LBB185_188
; %bb.187:
	v_cmp_eq_u32_e64 s[2:3], 0, v1
	v_and_b32_e32 v27, 0xff, v39
	v_mov_b32_e32 v26, 0
	s_waitcnt lgkmcnt(0)
	v_cndmask_b32_e64 v1, v3, v9, s[2:3]
	v_cmp_eq_u64_e64 s[2:3], 0, v[26:27]
	v_cndmask_b32_e64 v1, 1, v1, s[2:3]
	v_mul_lo_u32 v38, v1, v38
	v_cndmask_b32_e64 v1, 1, v38, s[4:5]
	v_mul_lo_u32 v27, v1, v2
	;; [unrolled: 2-line block ×14, first 2 shown]
	;;#ASMSTART
	;;#ASMEND
.LBB185_188:
	s_or_b64 exec, exec, s[30:31]
	s_and_saveexec_b64 s[2:3], vcc
	s_cbranch_execz .LBB185_190
; %bb.189:
	v_mov_b32_e32 v5, 0
	ds_read_b32 v2, v5 offset:24
	s_waitcnt lgkmcnt(1)
	ds_read_u8 v3, v5 offset:28
	s_add_u32 s4, s52, 0x400
	s_addc_u32 s5, s53, 0
	v_mov_b32_e32 v4, 2
	v_pk_mov_b32 v[6:7], s[4:5], s[4:5] op_sel:[0,1]
	s_waitcnt lgkmcnt(0)
	;;#ASMSTART
	global_store_dwordx4 v[6:7], v[2:5] off	
s_waitcnt vmcnt(0)
	;;#ASMEND
.LBB185_190:
	s_or_b64 exec, exec, s[2:3]
	v_mov_b32_e32 v26, v38
.LBB185_191:
	s_add_u32 s2, s42, s38
	s_addc_u32 s3, s43, s39
	s_add_u32 s4, s2, s36
	v_mul_u32_u24_e32 v1, 14, v0
	s_addc_u32 s5, s3, s37
	s_and_b64 vcc, exec, s[0:1]
	v_lshlrev_b32_e32 v2, 2, v1
	s_cbranch_vccz .LBB185_219
; %bb.192:
	s_movk_i32 s0, 0xffcc
	s_waitcnt lgkmcnt(0)
	v_mad_i32_i24 v3, v0, s0, v2
	s_barrier
	ds_write2_b64 v2, v[26:27], v[42:43] offset1:1
	ds_write2_b64 v2, v[30:31], v[44:45] offset0:2 offset1:3
	ds_write2_b64 v2, v[34:35], v[46:47] offset0:4 offset1:5
	ds_write_b64 v2, v[48:49] offset:48
	s_waitcnt lgkmcnt(0)
	s_barrier
	ds_read2st64_b32 v[16:17], v3 offset0:4 offset1:8
	ds_read2st64_b32 v[14:15], v3 offset0:12 offset1:16
	;; [unrolled: 1-line block ×6, first 2 shown]
	ds_read_b32 v3, v3 offset:13312
	v_mov_b32_e32 v7, s5
	v_add_co_u32_e32 v6, vcc, s4, v50
	s_add_i32 s33, s33, s54
	v_addc_co_u32_e32 v7, vcc, 0, v7, vcc
	v_mov_b32_e32 v1, 0
	v_cmp_gt_u32_e32 vcc, s33, v0
	s_and_saveexec_b64 s[0:1], vcc
	s_cbranch_execz .LBB185_194
; %bb.193:
	v_mul_i32_i24_e32 v18, 0xffffffcc, v0
	v_add_u32_e32 v18, v2, v18
	ds_read_b32 v18, v18
	s_waitcnt lgkmcnt(0)
	flat_store_dword v[6:7], v18
.LBB185_194:
	s_or_b64 exec, exec, s[0:1]
	v_or_b32_e32 v18, 0x100, v0
	v_cmp_gt_u32_e32 vcc, s33, v18
	s_and_saveexec_b64 s[0:1], vcc
	s_cbranch_execz .LBB185_196
; %bb.195:
	s_waitcnt lgkmcnt(0)
	flat_store_dword v[6:7], v16 offset:1024
.LBB185_196:
	s_or_b64 exec, exec, s[0:1]
	s_waitcnt lgkmcnt(0)
	v_or_b32_e32 v16, 0x200, v0
	v_cmp_gt_u32_e32 vcc, s33, v16
	s_and_saveexec_b64 s[0:1], vcc
	s_cbranch_execz .LBB185_198
; %bb.197:
	flat_store_dword v[6:7], v17 offset:2048
.LBB185_198:
	s_or_b64 exec, exec, s[0:1]
	v_or_b32_e32 v16, 0x300, v0
	v_cmp_gt_u32_e32 vcc, s33, v16
	s_and_saveexec_b64 s[0:1], vcc
	s_cbranch_execz .LBB185_200
; %bb.199:
	flat_store_dword v[6:7], v14 offset:3072
.LBB185_200:
	s_or_b64 exec, exec, s[0:1]
	v_or_b32_e32 v14, 0x400, v0
	v_cmp_gt_u32_e32 vcc, s33, v14
	s_and_saveexec_b64 s[0:1], vcc
	s_cbranch_execz .LBB185_202
; %bb.201:
	v_add_co_u32_e32 v16, vcc, 0x1000, v6
	v_addc_co_u32_e32 v17, vcc, 0, v7, vcc
	flat_store_dword v[16:17], v15
.LBB185_202:
	s_or_b64 exec, exec, s[0:1]
	v_or_b32_e32 v14, 0x500, v0
	v_cmp_gt_u32_e32 vcc, s33, v14
	s_and_saveexec_b64 s[0:1], vcc
	s_cbranch_execz .LBB185_204
; %bb.203:
	v_add_co_u32_e32 v14, vcc, 0x1000, v6
	v_addc_co_u32_e32 v15, vcc, 0, v7, vcc
	flat_store_dword v[14:15], v12 offset:1024
.LBB185_204:
	s_or_b64 exec, exec, s[0:1]
	v_or_b32_e32 v12, 0x600, v0
	v_cmp_gt_u32_e32 vcc, s33, v12
	s_and_saveexec_b64 s[0:1], vcc
	s_cbranch_execz .LBB185_206
; %bb.205:
	v_add_co_u32_e32 v14, vcc, 0x1000, v6
	v_addc_co_u32_e32 v15, vcc, 0, v7, vcc
	flat_store_dword v[14:15], v13 offset:2048
.LBB185_206:
	;; [unrolled: 10-line block ×3, first 2 shown]
	s_or_b64 exec, exec, s[0:1]
	v_or_b32_e32 v10, 0x800, v0
	v_cmp_gt_u32_e32 vcc, s33, v10
	s_and_saveexec_b64 s[0:1], vcc
	s_cbranch_execz .LBB185_210
; %bb.209:
	v_add_co_u32_e32 v12, vcc, 0x2000, v6
	v_addc_co_u32_e32 v13, vcc, 0, v7, vcc
	flat_store_dword v[12:13], v11
.LBB185_210:
	s_or_b64 exec, exec, s[0:1]
	v_or_b32_e32 v10, 0x900, v0
	v_cmp_gt_u32_e32 vcc, s33, v10
	s_and_saveexec_b64 s[0:1], vcc
	s_cbranch_execz .LBB185_212
; %bb.211:
	v_add_co_u32_e32 v10, vcc, 0x2000, v6
	v_addc_co_u32_e32 v11, vcc, 0, v7, vcc
	flat_store_dword v[10:11], v8 offset:1024
.LBB185_212:
	s_or_b64 exec, exec, s[0:1]
	v_or_b32_e32 v8, 0xa00, v0
	v_cmp_gt_u32_e32 vcc, s33, v8
	s_and_saveexec_b64 s[0:1], vcc
	s_cbranch_execz .LBB185_214
; %bb.213:
	v_add_co_u32_e32 v10, vcc, 0x2000, v6
	v_addc_co_u32_e32 v11, vcc, 0, v7, vcc
	flat_store_dword v[10:11], v9 offset:2048
.LBB185_214:
	;; [unrolled: 10-line block ×3, first 2 shown]
	s_or_b64 exec, exec, s[0:1]
	v_or_b32_e32 v4, 0xc00, v0
	v_cmp_gt_u32_e32 vcc, s33, v4
	s_and_saveexec_b64 s[0:1], vcc
	s_cbranch_execz .LBB185_218
; %bb.217:
	v_add_co_u32_e32 v6, vcc, 0x3000, v6
	v_addc_co_u32_e32 v7, vcc, 0, v7, vcc
	flat_store_dword v[6:7], v5
.LBB185_218:
	s_or_b64 exec, exec, s[0:1]
	v_or_b32_e32 v4, 0xd00, v0
	v_cmp_gt_u32_e64 s[0:1], s33, v4
	s_branch .LBB185_221
.LBB185_219:
	s_mov_b64 s[0:1], 0
                                        ; implicit-def: $vgpr3
	s_cbranch_execz .LBB185_221
; %bb.220:
	s_movk_i32 s2, 0xffcc
	s_waitcnt lgkmcnt(0)
	s_barrier
	ds_write2_b64 v2, v[26:27], v[42:43] offset1:1
	ds_write2_b64 v2, v[30:31], v[44:45] offset0:2 offset1:3
	ds_write2_b64 v2, v[34:35], v[46:47] offset0:4 offset1:5
	ds_write_b64 v2, v[48:49] offset:48
	v_mad_i32_i24 v2, v0, s2, v2
	v_mov_b32_e32 v17, s5
	v_add_co_u32_e32 v16, vcc, s4, v50
	s_waitcnt lgkmcnt(0)
	s_barrier
	ds_read2st64_b32 v[4:5], v2 offset1:4
	ds_read2st64_b32 v[6:7], v2 offset0:8 offset1:12
	ds_read2st64_b32 v[8:9], v2 offset0:16 offset1:20
	;; [unrolled: 1-line block ×6, first 2 shown]
	v_addc_co_u32_e32 v17, vcc, 0, v17, vcc
	s_movk_i32 s2, 0x1000
	s_waitcnt lgkmcnt(0)
	flat_store_dword v[16:17], v4
	flat_store_dword v[16:17], v5 offset:1024
	flat_store_dword v[16:17], v6 offset:2048
	;; [unrolled: 1-line block ×3, first 2 shown]
	v_add_co_u32_e32 v4, vcc, s2, v16
	v_addc_co_u32_e32 v5, vcc, 0, v17, vcc
	flat_store_dword v[4:5], v8
	flat_store_dword v[4:5], v9 offset:1024
	flat_store_dword v[4:5], v10 offset:2048
	;; [unrolled: 1-line block ×3, first 2 shown]
	v_add_co_u32_e32 v4, vcc, 0x2000, v16
	v_addc_co_u32_e32 v5, vcc, 0, v17, vcc
	flat_store_dword v[4:5], v12
	flat_store_dword v[4:5], v13 offset:1024
	flat_store_dword v[4:5], v14 offset:2048
	;; [unrolled: 1-line block ×3, first 2 shown]
	v_add_co_u32_e32 v4, vcc, 0x3000, v16
	v_mov_b32_e32 v1, 0
	v_addc_co_u32_e32 v5, vcc, 0, v17, vcc
	s_or_b64 s[0:1], s[0:1], exec
	flat_store_dword v[4:5], v2
.LBB185_221:
	s_and_saveexec_b64 s[2:3], s[0:1]
	s_cbranch_execnz .LBB185_223
; %bb.222:
	s_endpgm
.LBB185_223:
	v_lshlrev_b64 v[0:1], 2, v[0:1]
	v_mov_b32_e32 v2, s5
	v_add_co_u32_e32 v0, vcc, s4, v0
	v_addc_co_u32_e32 v1, vcc, v2, v1, vcc
	v_add_co_u32_e32 v0, vcc, 0x3000, v0
	v_addc_co_u32_e32 v1, vcc, 0, v1, vcc
	s_waitcnt lgkmcnt(0)
	flat_store_dword v[0:1], v3 offset:1024
	s_endpgm
.LBB185_224:
	v_mov_b32_e32 v13, s55
	v_add_co_u32_e32 v14, vcc, s7, v12
	v_addc_co_u32_e32 v15, vcc, 0, v13, vcc
	flat_load_dword v13, v[14:15]
	s_or_b64 exec, exec, s[44:45]
                                        ; implicit-def: $vgpr14
	s_and_saveexec_b64 s[2:3], s[4:5]
	s_cbranch_execz .LBB185_37
.LBB185_225:
	v_mov_b32_e32 v15, s55
	v_add_co_u32_e32 v14, vcc, s7, v12
	v_addc_co_u32_e32 v15, vcc, 0, v15, vcc
	flat_load_dword v14, v[14:15] offset:1024
	s_or_b64 exec, exec, s[2:3]
                                        ; implicit-def: $vgpr15
	s_and_saveexec_b64 s[2:3], s[30:31]
	s_cbranch_execz .LBB185_38
.LBB185_226:
	v_mov_b32_e32 v15, s55
	v_add_co_u32_e32 v16, vcc, s7, v12
	v_addc_co_u32_e32 v17, vcc, 0, v15, vcc
	flat_load_dword v15, v[16:17] offset:2048
	s_or_b64 exec, exec, s[2:3]
                                        ; implicit-def: $vgpr16
	s_and_saveexec_b64 s[2:3], s[8:9]
	s_cbranch_execz .LBB185_39
.LBB185_227:
	v_mov_b32_e32 v17, s55
	v_add_co_u32_e32 v16, vcc, s7, v12
	v_addc_co_u32_e32 v17, vcc, 0, v17, vcc
	flat_load_dword v16, v[16:17] offset:3072
	s_or_b64 exec, exec, s[2:3]
                                        ; implicit-def: $vgpr17
	s_and_saveexec_b64 s[2:3], s[10:11]
	s_cbranch_execz .LBB185_40
.LBB185_228:
	v_lshlrev_b32_e32 v2, 2, v2
	v_mov_b32_e32 v17, s55
	v_add_co_u32_e32 v18, vcc, s7, v2
	v_addc_co_u32_e32 v19, vcc, 0, v17, vcc
	flat_load_dword v17, v[18:19]
	s_or_b64 exec, exec, s[2:3]
                                        ; implicit-def: $vgpr2
	s_and_saveexec_b64 s[2:3], s[12:13]
	s_cbranch_execz .LBB185_41
.LBB185_229:
	v_lshlrev_b32_e32 v2, 2, v3
	v_mov_b32_e32 v3, s55
	v_add_co_u32_e32 v2, vcc, s7, v2
	v_addc_co_u32_e32 v3, vcc, 0, v3, vcc
	flat_load_dword v2, v[2:3]
	s_or_b64 exec, exec, s[2:3]
                                        ; implicit-def: $vgpr3
	s_and_saveexec_b64 s[2:3], s[14:15]
	s_cbranch_execz .LBB185_42
.LBB185_230:
	v_lshlrev_b32_e32 v3, 2, v4
	v_mov_b32_e32 v4, s55
	v_add_co_u32_e32 v18, vcc, s7, v3
	v_addc_co_u32_e32 v19, vcc, 0, v4, vcc
	flat_load_dword v3, v[18:19]
	s_or_b64 exec, exec, s[2:3]
                                        ; implicit-def: $vgpr4
	s_and_saveexec_b64 s[2:3], s[16:17]
	s_cbranch_execz .LBB185_43
.LBB185_231:
	v_lshlrev_b32_e32 v4, 2, v5
	v_mov_b32_e32 v5, s55
	v_add_co_u32_e32 v4, vcc, s7, v4
	v_addc_co_u32_e32 v5, vcc, 0, v5, vcc
	flat_load_dword v4, v[4:5]
	s_or_b64 exec, exec, s[2:3]
                                        ; implicit-def: $vgpr5
	s_and_saveexec_b64 s[2:3], s[18:19]
	s_cbranch_execz .LBB185_44
.LBB185_232:
	v_lshlrev_b32_e32 v5, 2, v6
	v_mov_b32_e32 v6, s55
	v_add_co_u32_e32 v18, vcc, s7, v5
	v_addc_co_u32_e32 v19, vcc, 0, v6, vcc
	flat_load_dword v5, v[18:19]
	s_or_b64 exec, exec, s[2:3]
                                        ; implicit-def: $vgpr6
	s_and_saveexec_b64 s[2:3], s[20:21]
	s_cbranch_execz .LBB185_45
.LBB185_233:
	v_lshlrev_b32_e32 v6, 2, v7
	v_mov_b32_e32 v7, s55
	v_add_co_u32_e32 v6, vcc, s7, v6
	v_addc_co_u32_e32 v7, vcc, 0, v7, vcc
	flat_load_dword v6, v[6:7]
	s_or_b64 exec, exec, s[2:3]
                                        ; implicit-def: $vgpr7
	s_and_saveexec_b64 s[2:3], s[22:23]
	s_cbranch_execz .LBB185_46
.LBB185_234:
	v_lshlrev_b32_e32 v7, 2, v8
	v_mov_b32_e32 v8, s55
	v_add_co_u32_e32 v18, vcc, s7, v7
	v_addc_co_u32_e32 v19, vcc, 0, v8, vcc
	flat_load_dword v7, v[18:19]
	s_or_b64 exec, exec, s[2:3]
                                        ; implicit-def: $vgpr8
	s_and_saveexec_b64 s[2:3], s[24:25]
	s_cbranch_execz .LBB185_47
.LBB185_235:
	v_lshlrev_b32_e32 v8, 2, v9
	v_mov_b32_e32 v9, s55
	v_add_co_u32_e32 v8, vcc, s7, v8
	v_addc_co_u32_e32 v9, vcc, 0, v9, vcc
	flat_load_dword v8, v[8:9]
	s_or_b64 exec, exec, s[2:3]
                                        ; implicit-def: $vgpr9
	s_and_saveexec_b64 s[2:3], s[26:27]
	s_cbranch_execz .LBB185_48
.LBB185_236:
	v_lshlrev_b32_e32 v9, 2, v10
	v_mov_b32_e32 v10, s55
	v_add_co_u32_e32 v18, vcc, s7, v9
	v_addc_co_u32_e32 v19, vcc, 0, v10, vcc
	flat_load_dword v9, v[18:19]
	s_or_b64 exec, exec, s[2:3]
                                        ; implicit-def: $vgpr10
	s_and_saveexec_b64 s[2:3], s[28:29]
	s_cbranch_execnz .LBB185_49
	s_branch .LBB185_50
.LBB185_237:
                                        ; implicit-def: $sgpr44_sgpr45
	s_branch .LBB185_32
.LBB185_238:
                                        ; implicit-def: $sgpr2_sgpr3
	s_branch .LBB185_81
	.section	.rodata,"a",@progbits
	.p2align	6, 0x0
	.amdhsa_kernel _ZN7rocprim17ROCPRIM_400000_NS6detail17trampoline_kernelINS0_14default_configENS1_27scan_by_key_config_selectorIiiEEZZNS1_16scan_by_key_implILNS1_25lookback_scan_determinismE0ELb0ES3_N6thrust23THRUST_200600_302600_NS6detail15normal_iteratorINS9_10device_ptrIiEEEESE_SE_iNS9_10multipliesIiEENS9_8equal_toIiEEiEE10hipError_tPvRmT2_T3_T4_T5_mT6_T7_P12ihipStream_tbENKUlT_T0_E_clISt17integral_constantIbLb1EESY_IbLb0EEEEDaSU_SV_EUlSU_E_NS1_11comp_targetILNS1_3genE4ELNS1_11target_archE910ELNS1_3gpuE8ELNS1_3repE0EEENS1_30default_config_static_selectorELNS0_4arch9wavefront6targetE1EEEvT1_
		.amdhsa_group_segment_fixed_size 16384
		.amdhsa_private_segment_fixed_size 0
		.amdhsa_kernarg_size 112
		.amdhsa_user_sgpr_count 6
		.amdhsa_user_sgpr_private_segment_buffer 1
		.amdhsa_user_sgpr_dispatch_ptr 0
		.amdhsa_user_sgpr_queue_ptr 0
		.amdhsa_user_sgpr_kernarg_segment_ptr 1
		.amdhsa_user_sgpr_dispatch_id 0
		.amdhsa_user_sgpr_flat_scratch_init 0
		.amdhsa_user_sgpr_kernarg_preload_length 0
		.amdhsa_user_sgpr_kernarg_preload_offset 0
		.amdhsa_user_sgpr_private_segment_size 0
		.amdhsa_uses_dynamic_stack 0
		.amdhsa_system_sgpr_private_segment_wavefront_offset 0
		.amdhsa_system_sgpr_workgroup_id_x 1
		.amdhsa_system_sgpr_workgroup_id_y 0
		.amdhsa_system_sgpr_workgroup_id_z 0
		.amdhsa_system_sgpr_workgroup_info 0
		.amdhsa_system_vgpr_workitem_id 0
		.amdhsa_next_free_vgpr 63
		.amdhsa_next_free_sgpr 61
		.amdhsa_accum_offset 64
		.amdhsa_reserve_vcc 1
		.amdhsa_reserve_flat_scratch 0
		.amdhsa_float_round_mode_32 0
		.amdhsa_float_round_mode_16_64 0
		.amdhsa_float_denorm_mode_32 3
		.amdhsa_float_denorm_mode_16_64 3
		.amdhsa_dx10_clamp 1
		.amdhsa_ieee_mode 1
		.amdhsa_fp16_overflow 0
		.amdhsa_tg_split 0
		.amdhsa_exception_fp_ieee_invalid_op 0
		.amdhsa_exception_fp_denorm_src 0
		.amdhsa_exception_fp_ieee_div_zero 0
		.amdhsa_exception_fp_ieee_overflow 0
		.amdhsa_exception_fp_ieee_underflow 0
		.amdhsa_exception_fp_ieee_inexact 0
		.amdhsa_exception_int_div_zero 0
	.end_amdhsa_kernel
	.section	.text._ZN7rocprim17ROCPRIM_400000_NS6detail17trampoline_kernelINS0_14default_configENS1_27scan_by_key_config_selectorIiiEEZZNS1_16scan_by_key_implILNS1_25lookback_scan_determinismE0ELb0ES3_N6thrust23THRUST_200600_302600_NS6detail15normal_iteratorINS9_10device_ptrIiEEEESE_SE_iNS9_10multipliesIiEENS9_8equal_toIiEEiEE10hipError_tPvRmT2_T3_T4_T5_mT6_T7_P12ihipStream_tbENKUlT_T0_E_clISt17integral_constantIbLb1EESY_IbLb0EEEEDaSU_SV_EUlSU_E_NS1_11comp_targetILNS1_3genE4ELNS1_11target_archE910ELNS1_3gpuE8ELNS1_3repE0EEENS1_30default_config_static_selectorELNS0_4arch9wavefront6targetE1EEEvT1_,"axG",@progbits,_ZN7rocprim17ROCPRIM_400000_NS6detail17trampoline_kernelINS0_14default_configENS1_27scan_by_key_config_selectorIiiEEZZNS1_16scan_by_key_implILNS1_25lookback_scan_determinismE0ELb0ES3_N6thrust23THRUST_200600_302600_NS6detail15normal_iteratorINS9_10device_ptrIiEEEESE_SE_iNS9_10multipliesIiEENS9_8equal_toIiEEiEE10hipError_tPvRmT2_T3_T4_T5_mT6_T7_P12ihipStream_tbENKUlT_T0_E_clISt17integral_constantIbLb1EESY_IbLb0EEEEDaSU_SV_EUlSU_E_NS1_11comp_targetILNS1_3genE4ELNS1_11target_archE910ELNS1_3gpuE8ELNS1_3repE0EEENS1_30default_config_static_selectorELNS0_4arch9wavefront6targetE1EEEvT1_,comdat
.Lfunc_end185:
	.size	_ZN7rocprim17ROCPRIM_400000_NS6detail17trampoline_kernelINS0_14default_configENS1_27scan_by_key_config_selectorIiiEEZZNS1_16scan_by_key_implILNS1_25lookback_scan_determinismE0ELb0ES3_N6thrust23THRUST_200600_302600_NS6detail15normal_iteratorINS9_10device_ptrIiEEEESE_SE_iNS9_10multipliesIiEENS9_8equal_toIiEEiEE10hipError_tPvRmT2_T3_T4_T5_mT6_T7_P12ihipStream_tbENKUlT_T0_E_clISt17integral_constantIbLb1EESY_IbLb0EEEEDaSU_SV_EUlSU_E_NS1_11comp_targetILNS1_3genE4ELNS1_11target_archE910ELNS1_3gpuE8ELNS1_3repE0EEENS1_30default_config_static_selectorELNS0_4arch9wavefront6targetE1EEEvT1_, .Lfunc_end185-_ZN7rocprim17ROCPRIM_400000_NS6detail17trampoline_kernelINS0_14default_configENS1_27scan_by_key_config_selectorIiiEEZZNS1_16scan_by_key_implILNS1_25lookback_scan_determinismE0ELb0ES3_N6thrust23THRUST_200600_302600_NS6detail15normal_iteratorINS9_10device_ptrIiEEEESE_SE_iNS9_10multipliesIiEENS9_8equal_toIiEEiEE10hipError_tPvRmT2_T3_T4_T5_mT6_T7_P12ihipStream_tbENKUlT_T0_E_clISt17integral_constantIbLb1EESY_IbLb0EEEEDaSU_SV_EUlSU_E_NS1_11comp_targetILNS1_3genE4ELNS1_11target_archE910ELNS1_3gpuE8ELNS1_3repE0EEENS1_30default_config_static_selectorELNS0_4arch9wavefront6targetE1EEEvT1_
                                        ; -- End function
	.section	.AMDGPU.csdata,"",@progbits
; Kernel info:
; codeLenInByte = 11296
; NumSgprs: 65
; NumVgprs: 63
; NumAgprs: 0
; TotalNumVgprs: 63
; ScratchSize: 0
; MemoryBound: 0
; FloatMode: 240
; IeeeMode: 1
; LDSByteSize: 16384 bytes/workgroup (compile time only)
; SGPRBlocks: 8
; VGPRBlocks: 7
; NumSGPRsForWavesPerEU: 65
; NumVGPRsForWavesPerEU: 63
; AccumOffset: 64
; Occupancy: 4
; WaveLimiterHint : 1
; COMPUTE_PGM_RSRC2:SCRATCH_EN: 0
; COMPUTE_PGM_RSRC2:USER_SGPR: 6
; COMPUTE_PGM_RSRC2:TRAP_HANDLER: 0
; COMPUTE_PGM_RSRC2:TGID_X_EN: 1
; COMPUTE_PGM_RSRC2:TGID_Y_EN: 0
; COMPUTE_PGM_RSRC2:TGID_Z_EN: 0
; COMPUTE_PGM_RSRC2:TIDIG_COMP_CNT: 0
; COMPUTE_PGM_RSRC3_GFX90A:ACCUM_OFFSET: 15
; COMPUTE_PGM_RSRC3_GFX90A:TG_SPLIT: 0
	.section	.text._ZN7rocprim17ROCPRIM_400000_NS6detail17trampoline_kernelINS0_14default_configENS1_27scan_by_key_config_selectorIiiEEZZNS1_16scan_by_key_implILNS1_25lookback_scan_determinismE0ELb0ES3_N6thrust23THRUST_200600_302600_NS6detail15normal_iteratorINS9_10device_ptrIiEEEESE_SE_iNS9_10multipliesIiEENS9_8equal_toIiEEiEE10hipError_tPvRmT2_T3_T4_T5_mT6_T7_P12ihipStream_tbENKUlT_T0_E_clISt17integral_constantIbLb1EESY_IbLb0EEEEDaSU_SV_EUlSU_E_NS1_11comp_targetILNS1_3genE3ELNS1_11target_archE908ELNS1_3gpuE7ELNS1_3repE0EEENS1_30default_config_static_selectorELNS0_4arch9wavefront6targetE1EEEvT1_,"axG",@progbits,_ZN7rocprim17ROCPRIM_400000_NS6detail17trampoline_kernelINS0_14default_configENS1_27scan_by_key_config_selectorIiiEEZZNS1_16scan_by_key_implILNS1_25lookback_scan_determinismE0ELb0ES3_N6thrust23THRUST_200600_302600_NS6detail15normal_iteratorINS9_10device_ptrIiEEEESE_SE_iNS9_10multipliesIiEENS9_8equal_toIiEEiEE10hipError_tPvRmT2_T3_T4_T5_mT6_T7_P12ihipStream_tbENKUlT_T0_E_clISt17integral_constantIbLb1EESY_IbLb0EEEEDaSU_SV_EUlSU_E_NS1_11comp_targetILNS1_3genE3ELNS1_11target_archE908ELNS1_3gpuE7ELNS1_3repE0EEENS1_30default_config_static_selectorELNS0_4arch9wavefront6targetE1EEEvT1_,comdat
	.protected	_ZN7rocprim17ROCPRIM_400000_NS6detail17trampoline_kernelINS0_14default_configENS1_27scan_by_key_config_selectorIiiEEZZNS1_16scan_by_key_implILNS1_25lookback_scan_determinismE0ELb0ES3_N6thrust23THRUST_200600_302600_NS6detail15normal_iteratorINS9_10device_ptrIiEEEESE_SE_iNS9_10multipliesIiEENS9_8equal_toIiEEiEE10hipError_tPvRmT2_T3_T4_T5_mT6_T7_P12ihipStream_tbENKUlT_T0_E_clISt17integral_constantIbLb1EESY_IbLb0EEEEDaSU_SV_EUlSU_E_NS1_11comp_targetILNS1_3genE3ELNS1_11target_archE908ELNS1_3gpuE7ELNS1_3repE0EEENS1_30default_config_static_selectorELNS0_4arch9wavefront6targetE1EEEvT1_ ; -- Begin function _ZN7rocprim17ROCPRIM_400000_NS6detail17trampoline_kernelINS0_14default_configENS1_27scan_by_key_config_selectorIiiEEZZNS1_16scan_by_key_implILNS1_25lookback_scan_determinismE0ELb0ES3_N6thrust23THRUST_200600_302600_NS6detail15normal_iteratorINS9_10device_ptrIiEEEESE_SE_iNS9_10multipliesIiEENS9_8equal_toIiEEiEE10hipError_tPvRmT2_T3_T4_T5_mT6_T7_P12ihipStream_tbENKUlT_T0_E_clISt17integral_constantIbLb1EESY_IbLb0EEEEDaSU_SV_EUlSU_E_NS1_11comp_targetILNS1_3genE3ELNS1_11target_archE908ELNS1_3gpuE7ELNS1_3repE0EEENS1_30default_config_static_selectorELNS0_4arch9wavefront6targetE1EEEvT1_
	.globl	_ZN7rocprim17ROCPRIM_400000_NS6detail17trampoline_kernelINS0_14default_configENS1_27scan_by_key_config_selectorIiiEEZZNS1_16scan_by_key_implILNS1_25lookback_scan_determinismE0ELb0ES3_N6thrust23THRUST_200600_302600_NS6detail15normal_iteratorINS9_10device_ptrIiEEEESE_SE_iNS9_10multipliesIiEENS9_8equal_toIiEEiEE10hipError_tPvRmT2_T3_T4_T5_mT6_T7_P12ihipStream_tbENKUlT_T0_E_clISt17integral_constantIbLb1EESY_IbLb0EEEEDaSU_SV_EUlSU_E_NS1_11comp_targetILNS1_3genE3ELNS1_11target_archE908ELNS1_3gpuE7ELNS1_3repE0EEENS1_30default_config_static_selectorELNS0_4arch9wavefront6targetE1EEEvT1_
	.p2align	8
	.type	_ZN7rocprim17ROCPRIM_400000_NS6detail17trampoline_kernelINS0_14default_configENS1_27scan_by_key_config_selectorIiiEEZZNS1_16scan_by_key_implILNS1_25lookback_scan_determinismE0ELb0ES3_N6thrust23THRUST_200600_302600_NS6detail15normal_iteratorINS9_10device_ptrIiEEEESE_SE_iNS9_10multipliesIiEENS9_8equal_toIiEEiEE10hipError_tPvRmT2_T3_T4_T5_mT6_T7_P12ihipStream_tbENKUlT_T0_E_clISt17integral_constantIbLb1EESY_IbLb0EEEEDaSU_SV_EUlSU_E_NS1_11comp_targetILNS1_3genE3ELNS1_11target_archE908ELNS1_3gpuE7ELNS1_3repE0EEENS1_30default_config_static_selectorELNS0_4arch9wavefront6targetE1EEEvT1_,@function
_ZN7rocprim17ROCPRIM_400000_NS6detail17trampoline_kernelINS0_14default_configENS1_27scan_by_key_config_selectorIiiEEZZNS1_16scan_by_key_implILNS1_25lookback_scan_determinismE0ELb0ES3_N6thrust23THRUST_200600_302600_NS6detail15normal_iteratorINS9_10device_ptrIiEEEESE_SE_iNS9_10multipliesIiEENS9_8equal_toIiEEiEE10hipError_tPvRmT2_T3_T4_T5_mT6_T7_P12ihipStream_tbENKUlT_T0_E_clISt17integral_constantIbLb1EESY_IbLb0EEEEDaSU_SV_EUlSU_E_NS1_11comp_targetILNS1_3genE3ELNS1_11target_archE908ELNS1_3gpuE7ELNS1_3repE0EEENS1_30default_config_static_selectorELNS0_4arch9wavefront6targetE1EEEvT1_: ; @_ZN7rocprim17ROCPRIM_400000_NS6detail17trampoline_kernelINS0_14default_configENS1_27scan_by_key_config_selectorIiiEEZZNS1_16scan_by_key_implILNS1_25lookback_scan_determinismE0ELb0ES3_N6thrust23THRUST_200600_302600_NS6detail15normal_iteratorINS9_10device_ptrIiEEEESE_SE_iNS9_10multipliesIiEENS9_8equal_toIiEEiEE10hipError_tPvRmT2_T3_T4_T5_mT6_T7_P12ihipStream_tbENKUlT_T0_E_clISt17integral_constantIbLb1EESY_IbLb0EEEEDaSU_SV_EUlSU_E_NS1_11comp_targetILNS1_3genE3ELNS1_11target_archE908ELNS1_3gpuE7ELNS1_3repE0EEENS1_30default_config_static_selectorELNS0_4arch9wavefront6targetE1EEEvT1_
; %bb.0:
	.section	.rodata,"a",@progbits
	.p2align	6, 0x0
	.amdhsa_kernel _ZN7rocprim17ROCPRIM_400000_NS6detail17trampoline_kernelINS0_14default_configENS1_27scan_by_key_config_selectorIiiEEZZNS1_16scan_by_key_implILNS1_25lookback_scan_determinismE0ELb0ES3_N6thrust23THRUST_200600_302600_NS6detail15normal_iteratorINS9_10device_ptrIiEEEESE_SE_iNS9_10multipliesIiEENS9_8equal_toIiEEiEE10hipError_tPvRmT2_T3_T4_T5_mT6_T7_P12ihipStream_tbENKUlT_T0_E_clISt17integral_constantIbLb1EESY_IbLb0EEEEDaSU_SV_EUlSU_E_NS1_11comp_targetILNS1_3genE3ELNS1_11target_archE908ELNS1_3gpuE7ELNS1_3repE0EEENS1_30default_config_static_selectorELNS0_4arch9wavefront6targetE1EEEvT1_
		.amdhsa_group_segment_fixed_size 0
		.amdhsa_private_segment_fixed_size 0
		.amdhsa_kernarg_size 112
		.amdhsa_user_sgpr_count 6
		.amdhsa_user_sgpr_private_segment_buffer 1
		.amdhsa_user_sgpr_dispatch_ptr 0
		.amdhsa_user_sgpr_queue_ptr 0
		.amdhsa_user_sgpr_kernarg_segment_ptr 1
		.amdhsa_user_sgpr_dispatch_id 0
		.amdhsa_user_sgpr_flat_scratch_init 0
		.amdhsa_user_sgpr_kernarg_preload_length 0
		.amdhsa_user_sgpr_kernarg_preload_offset 0
		.amdhsa_user_sgpr_private_segment_size 0
		.amdhsa_uses_dynamic_stack 0
		.amdhsa_system_sgpr_private_segment_wavefront_offset 0
		.amdhsa_system_sgpr_workgroup_id_x 1
		.amdhsa_system_sgpr_workgroup_id_y 0
		.amdhsa_system_sgpr_workgroup_id_z 0
		.amdhsa_system_sgpr_workgroup_info 0
		.amdhsa_system_vgpr_workitem_id 0
		.amdhsa_next_free_vgpr 1
		.amdhsa_next_free_sgpr 0
		.amdhsa_accum_offset 4
		.amdhsa_reserve_vcc 0
		.amdhsa_reserve_flat_scratch 0
		.amdhsa_float_round_mode_32 0
		.amdhsa_float_round_mode_16_64 0
		.amdhsa_float_denorm_mode_32 3
		.amdhsa_float_denorm_mode_16_64 3
		.amdhsa_dx10_clamp 1
		.amdhsa_ieee_mode 1
		.amdhsa_fp16_overflow 0
		.amdhsa_tg_split 0
		.amdhsa_exception_fp_ieee_invalid_op 0
		.amdhsa_exception_fp_denorm_src 0
		.amdhsa_exception_fp_ieee_div_zero 0
		.amdhsa_exception_fp_ieee_overflow 0
		.amdhsa_exception_fp_ieee_underflow 0
		.amdhsa_exception_fp_ieee_inexact 0
		.amdhsa_exception_int_div_zero 0
	.end_amdhsa_kernel
	.section	.text._ZN7rocprim17ROCPRIM_400000_NS6detail17trampoline_kernelINS0_14default_configENS1_27scan_by_key_config_selectorIiiEEZZNS1_16scan_by_key_implILNS1_25lookback_scan_determinismE0ELb0ES3_N6thrust23THRUST_200600_302600_NS6detail15normal_iteratorINS9_10device_ptrIiEEEESE_SE_iNS9_10multipliesIiEENS9_8equal_toIiEEiEE10hipError_tPvRmT2_T3_T4_T5_mT6_T7_P12ihipStream_tbENKUlT_T0_E_clISt17integral_constantIbLb1EESY_IbLb0EEEEDaSU_SV_EUlSU_E_NS1_11comp_targetILNS1_3genE3ELNS1_11target_archE908ELNS1_3gpuE7ELNS1_3repE0EEENS1_30default_config_static_selectorELNS0_4arch9wavefront6targetE1EEEvT1_,"axG",@progbits,_ZN7rocprim17ROCPRIM_400000_NS6detail17trampoline_kernelINS0_14default_configENS1_27scan_by_key_config_selectorIiiEEZZNS1_16scan_by_key_implILNS1_25lookback_scan_determinismE0ELb0ES3_N6thrust23THRUST_200600_302600_NS6detail15normal_iteratorINS9_10device_ptrIiEEEESE_SE_iNS9_10multipliesIiEENS9_8equal_toIiEEiEE10hipError_tPvRmT2_T3_T4_T5_mT6_T7_P12ihipStream_tbENKUlT_T0_E_clISt17integral_constantIbLb1EESY_IbLb0EEEEDaSU_SV_EUlSU_E_NS1_11comp_targetILNS1_3genE3ELNS1_11target_archE908ELNS1_3gpuE7ELNS1_3repE0EEENS1_30default_config_static_selectorELNS0_4arch9wavefront6targetE1EEEvT1_,comdat
.Lfunc_end186:
	.size	_ZN7rocprim17ROCPRIM_400000_NS6detail17trampoline_kernelINS0_14default_configENS1_27scan_by_key_config_selectorIiiEEZZNS1_16scan_by_key_implILNS1_25lookback_scan_determinismE0ELb0ES3_N6thrust23THRUST_200600_302600_NS6detail15normal_iteratorINS9_10device_ptrIiEEEESE_SE_iNS9_10multipliesIiEENS9_8equal_toIiEEiEE10hipError_tPvRmT2_T3_T4_T5_mT6_T7_P12ihipStream_tbENKUlT_T0_E_clISt17integral_constantIbLb1EESY_IbLb0EEEEDaSU_SV_EUlSU_E_NS1_11comp_targetILNS1_3genE3ELNS1_11target_archE908ELNS1_3gpuE7ELNS1_3repE0EEENS1_30default_config_static_selectorELNS0_4arch9wavefront6targetE1EEEvT1_, .Lfunc_end186-_ZN7rocprim17ROCPRIM_400000_NS6detail17trampoline_kernelINS0_14default_configENS1_27scan_by_key_config_selectorIiiEEZZNS1_16scan_by_key_implILNS1_25lookback_scan_determinismE0ELb0ES3_N6thrust23THRUST_200600_302600_NS6detail15normal_iteratorINS9_10device_ptrIiEEEESE_SE_iNS9_10multipliesIiEENS9_8equal_toIiEEiEE10hipError_tPvRmT2_T3_T4_T5_mT6_T7_P12ihipStream_tbENKUlT_T0_E_clISt17integral_constantIbLb1EESY_IbLb0EEEEDaSU_SV_EUlSU_E_NS1_11comp_targetILNS1_3genE3ELNS1_11target_archE908ELNS1_3gpuE7ELNS1_3repE0EEENS1_30default_config_static_selectorELNS0_4arch9wavefront6targetE1EEEvT1_
                                        ; -- End function
	.section	.AMDGPU.csdata,"",@progbits
; Kernel info:
; codeLenInByte = 0
; NumSgprs: 4
; NumVgprs: 0
; NumAgprs: 0
; TotalNumVgprs: 0
; ScratchSize: 0
; MemoryBound: 0
; FloatMode: 240
; IeeeMode: 1
; LDSByteSize: 0 bytes/workgroup (compile time only)
; SGPRBlocks: 0
; VGPRBlocks: 0
; NumSGPRsForWavesPerEU: 4
; NumVGPRsForWavesPerEU: 1
; AccumOffset: 4
; Occupancy: 8
; WaveLimiterHint : 0
; COMPUTE_PGM_RSRC2:SCRATCH_EN: 0
; COMPUTE_PGM_RSRC2:USER_SGPR: 6
; COMPUTE_PGM_RSRC2:TRAP_HANDLER: 0
; COMPUTE_PGM_RSRC2:TGID_X_EN: 1
; COMPUTE_PGM_RSRC2:TGID_Y_EN: 0
; COMPUTE_PGM_RSRC2:TGID_Z_EN: 0
; COMPUTE_PGM_RSRC2:TIDIG_COMP_CNT: 0
; COMPUTE_PGM_RSRC3_GFX90A:ACCUM_OFFSET: 0
; COMPUTE_PGM_RSRC3_GFX90A:TG_SPLIT: 0
	.section	.text._ZN7rocprim17ROCPRIM_400000_NS6detail17trampoline_kernelINS0_14default_configENS1_27scan_by_key_config_selectorIiiEEZZNS1_16scan_by_key_implILNS1_25lookback_scan_determinismE0ELb0ES3_N6thrust23THRUST_200600_302600_NS6detail15normal_iteratorINS9_10device_ptrIiEEEESE_SE_iNS9_10multipliesIiEENS9_8equal_toIiEEiEE10hipError_tPvRmT2_T3_T4_T5_mT6_T7_P12ihipStream_tbENKUlT_T0_E_clISt17integral_constantIbLb1EESY_IbLb0EEEEDaSU_SV_EUlSU_E_NS1_11comp_targetILNS1_3genE2ELNS1_11target_archE906ELNS1_3gpuE6ELNS1_3repE0EEENS1_30default_config_static_selectorELNS0_4arch9wavefront6targetE1EEEvT1_,"axG",@progbits,_ZN7rocprim17ROCPRIM_400000_NS6detail17trampoline_kernelINS0_14default_configENS1_27scan_by_key_config_selectorIiiEEZZNS1_16scan_by_key_implILNS1_25lookback_scan_determinismE0ELb0ES3_N6thrust23THRUST_200600_302600_NS6detail15normal_iteratorINS9_10device_ptrIiEEEESE_SE_iNS9_10multipliesIiEENS9_8equal_toIiEEiEE10hipError_tPvRmT2_T3_T4_T5_mT6_T7_P12ihipStream_tbENKUlT_T0_E_clISt17integral_constantIbLb1EESY_IbLb0EEEEDaSU_SV_EUlSU_E_NS1_11comp_targetILNS1_3genE2ELNS1_11target_archE906ELNS1_3gpuE6ELNS1_3repE0EEENS1_30default_config_static_selectorELNS0_4arch9wavefront6targetE1EEEvT1_,comdat
	.protected	_ZN7rocprim17ROCPRIM_400000_NS6detail17trampoline_kernelINS0_14default_configENS1_27scan_by_key_config_selectorIiiEEZZNS1_16scan_by_key_implILNS1_25lookback_scan_determinismE0ELb0ES3_N6thrust23THRUST_200600_302600_NS6detail15normal_iteratorINS9_10device_ptrIiEEEESE_SE_iNS9_10multipliesIiEENS9_8equal_toIiEEiEE10hipError_tPvRmT2_T3_T4_T5_mT6_T7_P12ihipStream_tbENKUlT_T0_E_clISt17integral_constantIbLb1EESY_IbLb0EEEEDaSU_SV_EUlSU_E_NS1_11comp_targetILNS1_3genE2ELNS1_11target_archE906ELNS1_3gpuE6ELNS1_3repE0EEENS1_30default_config_static_selectorELNS0_4arch9wavefront6targetE1EEEvT1_ ; -- Begin function _ZN7rocprim17ROCPRIM_400000_NS6detail17trampoline_kernelINS0_14default_configENS1_27scan_by_key_config_selectorIiiEEZZNS1_16scan_by_key_implILNS1_25lookback_scan_determinismE0ELb0ES3_N6thrust23THRUST_200600_302600_NS6detail15normal_iteratorINS9_10device_ptrIiEEEESE_SE_iNS9_10multipliesIiEENS9_8equal_toIiEEiEE10hipError_tPvRmT2_T3_T4_T5_mT6_T7_P12ihipStream_tbENKUlT_T0_E_clISt17integral_constantIbLb1EESY_IbLb0EEEEDaSU_SV_EUlSU_E_NS1_11comp_targetILNS1_3genE2ELNS1_11target_archE906ELNS1_3gpuE6ELNS1_3repE0EEENS1_30default_config_static_selectorELNS0_4arch9wavefront6targetE1EEEvT1_
	.globl	_ZN7rocprim17ROCPRIM_400000_NS6detail17trampoline_kernelINS0_14default_configENS1_27scan_by_key_config_selectorIiiEEZZNS1_16scan_by_key_implILNS1_25lookback_scan_determinismE0ELb0ES3_N6thrust23THRUST_200600_302600_NS6detail15normal_iteratorINS9_10device_ptrIiEEEESE_SE_iNS9_10multipliesIiEENS9_8equal_toIiEEiEE10hipError_tPvRmT2_T3_T4_T5_mT6_T7_P12ihipStream_tbENKUlT_T0_E_clISt17integral_constantIbLb1EESY_IbLb0EEEEDaSU_SV_EUlSU_E_NS1_11comp_targetILNS1_3genE2ELNS1_11target_archE906ELNS1_3gpuE6ELNS1_3repE0EEENS1_30default_config_static_selectorELNS0_4arch9wavefront6targetE1EEEvT1_
	.p2align	8
	.type	_ZN7rocprim17ROCPRIM_400000_NS6detail17trampoline_kernelINS0_14default_configENS1_27scan_by_key_config_selectorIiiEEZZNS1_16scan_by_key_implILNS1_25lookback_scan_determinismE0ELb0ES3_N6thrust23THRUST_200600_302600_NS6detail15normal_iteratorINS9_10device_ptrIiEEEESE_SE_iNS9_10multipliesIiEENS9_8equal_toIiEEiEE10hipError_tPvRmT2_T3_T4_T5_mT6_T7_P12ihipStream_tbENKUlT_T0_E_clISt17integral_constantIbLb1EESY_IbLb0EEEEDaSU_SV_EUlSU_E_NS1_11comp_targetILNS1_3genE2ELNS1_11target_archE906ELNS1_3gpuE6ELNS1_3repE0EEENS1_30default_config_static_selectorELNS0_4arch9wavefront6targetE1EEEvT1_,@function
_ZN7rocprim17ROCPRIM_400000_NS6detail17trampoline_kernelINS0_14default_configENS1_27scan_by_key_config_selectorIiiEEZZNS1_16scan_by_key_implILNS1_25lookback_scan_determinismE0ELb0ES3_N6thrust23THRUST_200600_302600_NS6detail15normal_iteratorINS9_10device_ptrIiEEEESE_SE_iNS9_10multipliesIiEENS9_8equal_toIiEEiEE10hipError_tPvRmT2_T3_T4_T5_mT6_T7_P12ihipStream_tbENKUlT_T0_E_clISt17integral_constantIbLb1EESY_IbLb0EEEEDaSU_SV_EUlSU_E_NS1_11comp_targetILNS1_3genE2ELNS1_11target_archE906ELNS1_3gpuE6ELNS1_3repE0EEENS1_30default_config_static_selectorELNS0_4arch9wavefront6targetE1EEEvT1_: ; @_ZN7rocprim17ROCPRIM_400000_NS6detail17trampoline_kernelINS0_14default_configENS1_27scan_by_key_config_selectorIiiEEZZNS1_16scan_by_key_implILNS1_25lookback_scan_determinismE0ELb0ES3_N6thrust23THRUST_200600_302600_NS6detail15normal_iteratorINS9_10device_ptrIiEEEESE_SE_iNS9_10multipliesIiEENS9_8equal_toIiEEiEE10hipError_tPvRmT2_T3_T4_T5_mT6_T7_P12ihipStream_tbENKUlT_T0_E_clISt17integral_constantIbLb1EESY_IbLb0EEEEDaSU_SV_EUlSU_E_NS1_11comp_targetILNS1_3genE2ELNS1_11target_archE906ELNS1_3gpuE6ELNS1_3repE0EEENS1_30default_config_static_selectorELNS0_4arch9wavefront6targetE1EEEvT1_
; %bb.0:
	.section	.rodata,"a",@progbits
	.p2align	6, 0x0
	.amdhsa_kernel _ZN7rocprim17ROCPRIM_400000_NS6detail17trampoline_kernelINS0_14default_configENS1_27scan_by_key_config_selectorIiiEEZZNS1_16scan_by_key_implILNS1_25lookback_scan_determinismE0ELb0ES3_N6thrust23THRUST_200600_302600_NS6detail15normal_iteratorINS9_10device_ptrIiEEEESE_SE_iNS9_10multipliesIiEENS9_8equal_toIiEEiEE10hipError_tPvRmT2_T3_T4_T5_mT6_T7_P12ihipStream_tbENKUlT_T0_E_clISt17integral_constantIbLb1EESY_IbLb0EEEEDaSU_SV_EUlSU_E_NS1_11comp_targetILNS1_3genE2ELNS1_11target_archE906ELNS1_3gpuE6ELNS1_3repE0EEENS1_30default_config_static_selectorELNS0_4arch9wavefront6targetE1EEEvT1_
		.amdhsa_group_segment_fixed_size 0
		.amdhsa_private_segment_fixed_size 0
		.amdhsa_kernarg_size 112
		.amdhsa_user_sgpr_count 6
		.amdhsa_user_sgpr_private_segment_buffer 1
		.amdhsa_user_sgpr_dispatch_ptr 0
		.amdhsa_user_sgpr_queue_ptr 0
		.amdhsa_user_sgpr_kernarg_segment_ptr 1
		.amdhsa_user_sgpr_dispatch_id 0
		.amdhsa_user_sgpr_flat_scratch_init 0
		.amdhsa_user_sgpr_kernarg_preload_length 0
		.amdhsa_user_sgpr_kernarg_preload_offset 0
		.amdhsa_user_sgpr_private_segment_size 0
		.amdhsa_uses_dynamic_stack 0
		.amdhsa_system_sgpr_private_segment_wavefront_offset 0
		.amdhsa_system_sgpr_workgroup_id_x 1
		.amdhsa_system_sgpr_workgroup_id_y 0
		.amdhsa_system_sgpr_workgroup_id_z 0
		.amdhsa_system_sgpr_workgroup_info 0
		.amdhsa_system_vgpr_workitem_id 0
		.amdhsa_next_free_vgpr 1
		.amdhsa_next_free_sgpr 0
		.amdhsa_accum_offset 4
		.amdhsa_reserve_vcc 0
		.amdhsa_reserve_flat_scratch 0
		.amdhsa_float_round_mode_32 0
		.amdhsa_float_round_mode_16_64 0
		.amdhsa_float_denorm_mode_32 3
		.amdhsa_float_denorm_mode_16_64 3
		.amdhsa_dx10_clamp 1
		.amdhsa_ieee_mode 1
		.amdhsa_fp16_overflow 0
		.amdhsa_tg_split 0
		.amdhsa_exception_fp_ieee_invalid_op 0
		.amdhsa_exception_fp_denorm_src 0
		.amdhsa_exception_fp_ieee_div_zero 0
		.amdhsa_exception_fp_ieee_overflow 0
		.amdhsa_exception_fp_ieee_underflow 0
		.amdhsa_exception_fp_ieee_inexact 0
		.amdhsa_exception_int_div_zero 0
	.end_amdhsa_kernel
	.section	.text._ZN7rocprim17ROCPRIM_400000_NS6detail17trampoline_kernelINS0_14default_configENS1_27scan_by_key_config_selectorIiiEEZZNS1_16scan_by_key_implILNS1_25lookback_scan_determinismE0ELb0ES3_N6thrust23THRUST_200600_302600_NS6detail15normal_iteratorINS9_10device_ptrIiEEEESE_SE_iNS9_10multipliesIiEENS9_8equal_toIiEEiEE10hipError_tPvRmT2_T3_T4_T5_mT6_T7_P12ihipStream_tbENKUlT_T0_E_clISt17integral_constantIbLb1EESY_IbLb0EEEEDaSU_SV_EUlSU_E_NS1_11comp_targetILNS1_3genE2ELNS1_11target_archE906ELNS1_3gpuE6ELNS1_3repE0EEENS1_30default_config_static_selectorELNS0_4arch9wavefront6targetE1EEEvT1_,"axG",@progbits,_ZN7rocprim17ROCPRIM_400000_NS6detail17trampoline_kernelINS0_14default_configENS1_27scan_by_key_config_selectorIiiEEZZNS1_16scan_by_key_implILNS1_25lookback_scan_determinismE0ELb0ES3_N6thrust23THRUST_200600_302600_NS6detail15normal_iteratorINS9_10device_ptrIiEEEESE_SE_iNS9_10multipliesIiEENS9_8equal_toIiEEiEE10hipError_tPvRmT2_T3_T4_T5_mT6_T7_P12ihipStream_tbENKUlT_T0_E_clISt17integral_constantIbLb1EESY_IbLb0EEEEDaSU_SV_EUlSU_E_NS1_11comp_targetILNS1_3genE2ELNS1_11target_archE906ELNS1_3gpuE6ELNS1_3repE0EEENS1_30default_config_static_selectorELNS0_4arch9wavefront6targetE1EEEvT1_,comdat
.Lfunc_end187:
	.size	_ZN7rocprim17ROCPRIM_400000_NS6detail17trampoline_kernelINS0_14default_configENS1_27scan_by_key_config_selectorIiiEEZZNS1_16scan_by_key_implILNS1_25lookback_scan_determinismE0ELb0ES3_N6thrust23THRUST_200600_302600_NS6detail15normal_iteratorINS9_10device_ptrIiEEEESE_SE_iNS9_10multipliesIiEENS9_8equal_toIiEEiEE10hipError_tPvRmT2_T3_T4_T5_mT6_T7_P12ihipStream_tbENKUlT_T0_E_clISt17integral_constantIbLb1EESY_IbLb0EEEEDaSU_SV_EUlSU_E_NS1_11comp_targetILNS1_3genE2ELNS1_11target_archE906ELNS1_3gpuE6ELNS1_3repE0EEENS1_30default_config_static_selectorELNS0_4arch9wavefront6targetE1EEEvT1_, .Lfunc_end187-_ZN7rocprim17ROCPRIM_400000_NS6detail17trampoline_kernelINS0_14default_configENS1_27scan_by_key_config_selectorIiiEEZZNS1_16scan_by_key_implILNS1_25lookback_scan_determinismE0ELb0ES3_N6thrust23THRUST_200600_302600_NS6detail15normal_iteratorINS9_10device_ptrIiEEEESE_SE_iNS9_10multipliesIiEENS9_8equal_toIiEEiEE10hipError_tPvRmT2_T3_T4_T5_mT6_T7_P12ihipStream_tbENKUlT_T0_E_clISt17integral_constantIbLb1EESY_IbLb0EEEEDaSU_SV_EUlSU_E_NS1_11comp_targetILNS1_3genE2ELNS1_11target_archE906ELNS1_3gpuE6ELNS1_3repE0EEENS1_30default_config_static_selectorELNS0_4arch9wavefront6targetE1EEEvT1_
                                        ; -- End function
	.section	.AMDGPU.csdata,"",@progbits
; Kernel info:
; codeLenInByte = 0
; NumSgprs: 4
; NumVgprs: 0
; NumAgprs: 0
; TotalNumVgprs: 0
; ScratchSize: 0
; MemoryBound: 0
; FloatMode: 240
; IeeeMode: 1
; LDSByteSize: 0 bytes/workgroup (compile time only)
; SGPRBlocks: 0
; VGPRBlocks: 0
; NumSGPRsForWavesPerEU: 4
; NumVGPRsForWavesPerEU: 1
; AccumOffset: 4
; Occupancy: 8
; WaveLimiterHint : 0
; COMPUTE_PGM_RSRC2:SCRATCH_EN: 0
; COMPUTE_PGM_RSRC2:USER_SGPR: 6
; COMPUTE_PGM_RSRC2:TRAP_HANDLER: 0
; COMPUTE_PGM_RSRC2:TGID_X_EN: 1
; COMPUTE_PGM_RSRC2:TGID_Y_EN: 0
; COMPUTE_PGM_RSRC2:TGID_Z_EN: 0
; COMPUTE_PGM_RSRC2:TIDIG_COMP_CNT: 0
; COMPUTE_PGM_RSRC3_GFX90A:ACCUM_OFFSET: 0
; COMPUTE_PGM_RSRC3_GFX90A:TG_SPLIT: 0
	.section	.text._ZN7rocprim17ROCPRIM_400000_NS6detail17trampoline_kernelINS0_14default_configENS1_27scan_by_key_config_selectorIiiEEZZNS1_16scan_by_key_implILNS1_25lookback_scan_determinismE0ELb0ES3_N6thrust23THRUST_200600_302600_NS6detail15normal_iteratorINS9_10device_ptrIiEEEESE_SE_iNS9_10multipliesIiEENS9_8equal_toIiEEiEE10hipError_tPvRmT2_T3_T4_T5_mT6_T7_P12ihipStream_tbENKUlT_T0_E_clISt17integral_constantIbLb1EESY_IbLb0EEEEDaSU_SV_EUlSU_E_NS1_11comp_targetILNS1_3genE10ELNS1_11target_archE1200ELNS1_3gpuE4ELNS1_3repE0EEENS1_30default_config_static_selectorELNS0_4arch9wavefront6targetE1EEEvT1_,"axG",@progbits,_ZN7rocprim17ROCPRIM_400000_NS6detail17trampoline_kernelINS0_14default_configENS1_27scan_by_key_config_selectorIiiEEZZNS1_16scan_by_key_implILNS1_25lookback_scan_determinismE0ELb0ES3_N6thrust23THRUST_200600_302600_NS6detail15normal_iteratorINS9_10device_ptrIiEEEESE_SE_iNS9_10multipliesIiEENS9_8equal_toIiEEiEE10hipError_tPvRmT2_T3_T4_T5_mT6_T7_P12ihipStream_tbENKUlT_T0_E_clISt17integral_constantIbLb1EESY_IbLb0EEEEDaSU_SV_EUlSU_E_NS1_11comp_targetILNS1_3genE10ELNS1_11target_archE1200ELNS1_3gpuE4ELNS1_3repE0EEENS1_30default_config_static_selectorELNS0_4arch9wavefront6targetE1EEEvT1_,comdat
	.protected	_ZN7rocprim17ROCPRIM_400000_NS6detail17trampoline_kernelINS0_14default_configENS1_27scan_by_key_config_selectorIiiEEZZNS1_16scan_by_key_implILNS1_25lookback_scan_determinismE0ELb0ES3_N6thrust23THRUST_200600_302600_NS6detail15normal_iteratorINS9_10device_ptrIiEEEESE_SE_iNS9_10multipliesIiEENS9_8equal_toIiEEiEE10hipError_tPvRmT2_T3_T4_T5_mT6_T7_P12ihipStream_tbENKUlT_T0_E_clISt17integral_constantIbLb1EESY_IbLb0EEEEDaSU_SV_EUlSU_E_NS1_11comp_targetILNS1_3genE10ELNS1_11target_archE1200ELNS1_3gpuE4ELNS1_3repE0EEENS1_30default_config_static_selectorELNS0_4arch9wavefront6targetE1EEEvT1_ ; -- Begin function _ZN7rocprim17ROCPRIM_400000_NS6detail17trampoline_kernelINS0_14default_configENS1_27scan_by_key_config_selectorIiiEEZZNS1_16scan_by_key_implILNS1_25lookback_scan_determinismE0ELb0ES3_N6thrust23THRUST_200600_302600_NS6detail15normal_iteratorINS9_10device_ptrIiEEEESE_SE_iNS9_10multipliesIiEENS9_8equal_toIiEEiEE10hipError_tPvRmT2_T3_T4_T5_mT6_T7_P12ihipStream_tbENKUlT_T0_E_clISt17integral_constantIbLb1EESY_IbLb0EEEEDaSU_SV_EUlSU_E_NS1_11comp_targetILNS1_3genE10ELNS1_11target_archE1200ELNS1_3gpuE4ELNS1_3repE0EEENS1_30default_config_static_selectorELNS0_4arch9wavefront6targetE1EEEvT1_
	.globl	_ZN7rocprim17ROCPRIM_400000_NS6detail17trampoline_kernelINS0_14default_configENS1_27scan_by_key_config_selectorIiiEEZZNS1_16scan_by_key_implILNS1_25lookback_scan_determinismE0ELb0ES3_N6thrust23THRUST_200600_302600_NS6detail15normal_iteratorINS9_10device_ptrIiEEEESE_SE_iNS9_10multipliesIiEENS9_8equal_toIiEEiEE10hipError_tPvRmT2_T3_T4_T5_mT6_T7_P12ihipStream_tbENKUlT_T0_E_clISt17integral_constantIbLb1EESY_IbLb0EEEEDaSU_SV_EUlSU_E_NS1_11comp_targetILNS1_3genE10ELNS1_11target_archE1200ELNS1_3gpuE4ELNS1_3repE0EEENS1_30default_config_static_selectorELNS0_4arch9wavefront6targetE1EEEvT1_
	.p2align	8
	.type	_ZN7rocprim17ROCPRIM_400000_NS6detail17trampoline_kernelINS0_14default_configENS1_27scan_by_key_config_selectorIiiEEZZNS1_16scan_by_key_implILNS1_25lookback_scan_determinismE0ELb0ES3_N6thrust23THRUST_200600_302600_NS6detail15normal_iteratorINS9_10device_ptrIiEEEESE_SE_iNS9_10multipliesIiEENS9_8equal_toIiEEiEE10hipError_tPvRmT2_T3_T4_T5_mT6_T7_P12ihipStream_tbENKUlT_T0_E_clISt17integral_constantIbLb1EESY_IbLb0EEEEDaSU_SV_EUlSU_E_NS1_11comp_targetILNS1_3genE10ELNS1_11target_archE1200ELNS1_3gpuE4ELNS1_3repE0EEENS1_30default_config_static_selectorELNS0_4arch9wavefront6targetE1EEEvT1_,@function
_ZN7rocprim17ROCPRIM_400000_NS6detail17trampoline_kernelINS0_14default_configENS1_27scan_by_key_config_selectorIiiEEZZNS1_16scan_by_key_implILNS1_25lookback_scan_determinismE0ELb0ES3_N6thrust23THRUST_200600_302600_NS6detail15normal_iteratorINS9_10device_ptrIiEEEESE_SE_iNS9_10multipliesIiEENS9_8equal_toIiEEiEE10hipError_tPvRmT2_T3_T4_T5_mT6_T7_P12ihipStream_tbENKUlT_T0_E_clISt17integral_constantIbLb1EESY_IbLb0EEEEDaSU_SV_EUlSU_E_NS1_11comp_targetILNS1_3genE10ELNS1_11target_archE1200ELNS1_3gpuE4ELNS1_3repE0EEENS1_30default_config_static_selectorELNS0_4arch9wavefront6targetE1EEEvT1_: ; @_ZN7rocprim17ROCPRIM_400000_NS6detail17trampoline_kernelINS0_14default_configENS1_27scan_by_key_config_selectorIiiEEZZNS1_16scan_by_key_implILNS1_25lookback_scan_determinismE0ELb0ES3_N6thrust23THRUST_200600_302600_NS6detail15normal_iteratorINS9_10device_ptrIiEEEESE_SE_iNS9_10multipliesIiEENS9_8equal_toIiEEiEE10hipError_tPvRmT2_T3_T4_T5_mT6_T7_P12ihipStream_tbENKUlT_T0_E_clISt17integral_constantIbLb1EESY_IbLb0EEEEDaSU_SV_EUlSU_E_NS1_11comp_targetILNS1_3genE10ELNS1_11target_archE1200ELNS1_3gpuE4ELNS1_3repE0EEENS1_30default_config_static_selectorELNS0_4arch9wavefront6targetE1EEEvT1_
; %bb.0:
	.section	.rodata,"a",@progbits
	.p2align	6, 0x0
	.amdhsa_kernel _ZN7rocprim17ROCPRIM_400000_NS6detail17trampoline_kernelINS0_14default_configENS1_27scan_by_key_config_selectorIiiEEZZNS1_16scan_by_key_implILNS1_25lookback_scan_determinismE0ELb0ES3_N6thrust23THRUST_200600_302600_NS6detail15normal_iteratorINS9_10device_ptrIiEEEESE_SE_iNS9_10multipliesIiEENS9_8equal_toIiEEiEE10hipError_tPvRmT2_T3_T4_T5_mT6_T7_P12ihipStream_tbENKUlT_T0_E_clISt17integral_constantIbLb1EESY_IbLb0EEEEDaSU_SV_EUlSU_E_NS1_11comp_targetILNS1_3genE10ELNS1_11target_archE1200ELNS1_3gpuE4ELNS1_3repE0EEENS1_30default_config_static_selectorELNS0_4arch9wavefront6targetE1EEEvT1_
		.amdhsa_group_segment_fixed_size 0
		.amdhsa_private_segment_fixed_size 0
		.amdhsa_kernarg_size 112
		.amdhsa_user_sgpr_count 6
		.amdhsa_user_sgpr_private_segment_buffer 1
		.amdhsa_user_sgpr_dispatch_ptr 0
		.amdhsa_user_sgpr_queue_ptr 0
		.amdhsa_user_sgpr_kernarg_segment_ptr 1
		.amdhsa_user_sgpr_dispatch_id 0
		.amdhsa_user_sgpr_flat_scratch_init 0
		.amdhsa_user_sgpr_kernarg_preload_length 0
		.amdhsa_user_sgpr_kernarg_preload_offset 0
		.amdhsa_user_sgpr_private_segment_size 0
		.amdhsa_uses_dynamic_stack 0
		.amdhsa_system_sgpr_private_segment_wavefront_offset 0
		.amdhsa_system_sgpr_workgroup_id_x 1
		.amdhsa_system_sgpr_workgroup_id_y 0
		.amdhsa_system_sgpr_workgroup_id_z 0
		.amdhsa_system_sgpr_workgroup_info 0
		.amdhsa_system_vgpr_workitem_id 0
		.amdhsa_next_free_vgpr 1
		.amdhsa_next_free_sgpr 0
		.amdhsa_accum_offset 4
		.amdhsa_reserve_vcc 0
		.amdhsa_reserve_flat_scratch 0
		.amdhsa_float_round_mode_32 0
		.amdhsa_float_round_mode_16_64 0
		.amdhsa_float_denorm_mode_32 3
		.amdhsa_float_denorm_mode_16_64 3
		.amdhsa_dx10_clamp 1
		.amdhsa_ieee_mode 1
		.amdhsa_fp16_overflow 0
		.amdhsa_tg_split 0
		.amdhsa_exception_fp_ieee_invalid_op 0
		.amdhsa_exception_fp_denorm_src 0
		.amdhsa_exception_fp_ieee_div_zero 0
		.amdhsa_exception_fp_ieee_overflow 0
		.amdhsa_exception_fp_ieee_underflow 0
		.amdhsa_exception_fp_ieee_inexact 0
		.amdhsa_exception_int_div_zero 0
	.end_amdhsa_kernel
	.section	.text._ZN7rocprim17ROCPRIM_400000_NS6detail17trampoline_kernelINS0_14default_configENS1_27scan_by_key_config_selectorIiiEEZZNS1_16scan_by_key_implILNS1_25lookback_scan_determinismE0ELb0ES3_N6thrust23THRUST_200600_302600_NS6detail15normal_iteratorINS9_10device_ptrIiEEEESE_SE_iNS9_10multipliesIiEENS9_8equal_toIiEEiEE10hipError_tPvRmT2_T3_T4_T5_mT6_T7_P12ihipStream_tbENKUlT_T0_E_clISt17integral_constantIbLb1EESY_IbLb0EEEEDaSU_SV_EUlSU_E_NS1_11comp_targetILNS1_3genE10ELNS1_11target_archE1200ELNS1_3gpuE4ELNS1_3repE0EEENS1_30default_config_static_selectorELNS0_4arch9wavefront6targetE1EEEvT1_,"axG",@progbits,_ZN7rocprim17ROCPRIM_400000_NS6detail17trampoline_kernelINS0_14default_configENS1_27scan_by_key_config_selectorIiiEEZZNS1_16scan_by_key_implILNS1_25lookback_scan_determinismE0ELb0ES3_N6thrust23THRUST_200600_302600_NS6detail15normal_iteratorINS9_10device_ptrIiEEEESE_SE_iNS9_10multipliesIiEENS9_8equal_toIiEEiEE10hipError_tPvRmT2_T3_T4_T5_mT6_T7_P12ihipStream_tbENKUlT_T0_E_clISt17integral_constantIbLb1EESY_IbLb0EEEEDaSU_SV_EUlSU_E_NS1_11comp_targetILNS1_3genE10ELNS1_11target_archE1200ELNS1_3gpuE4ELNS1_3repE0EEENS1_30default_config_static_selectorELNS0_4arch9wavefront6targetE1EEEvT1_,comdat
.Lfunc_end188:
	.size	_ZN7rocprim17ROCPRIM_400000_NS6detail17trampoline_kernelINS0_14default_configENS1_27scan_by_key_config_selectorIiiEEZZNS1_16scan_by_key_implILNS1_25lookback_scan_determinismE0ELb0ES3_N6thrust23THRUST_200600_302600_NS6detail15normal_iteratorINS9_10device_ptrIiEEEESE_SE_iNS9_10multipliesIiEENS9_8equal_toIiEEiEE10hipError_tPvRmT2_T3_T4_T5_mT6_T7_P12ihipStream_tbENKUlT_T0_E_clISt17integral_constantIbLb1EESY_IbLb0EEEEDaSU_SV_EUlSU_E_NS1_11comp_targetILNS1_3genE10ELNS1_11target_archE1200ELNS1_3gpuE4ELNS1_3repE0EEENS1_30default_config_static_selectorELNS0_4arch9wavefront6targetE1EEEvT1_, .Lfunc_end188-_ZN7rocprim17ROCPRIM_400000_NS6detail17trampoline_kernelINS0_14default_configENS1_27scan_by_key_config_selectorIiiEEZZNS1_16scan_by_key_implILNS1_25lookback_scan_determinismE0ELb0ES3_N6thrust23THRUST_200600_302600_NS6detail15normal_iteratorINS9_10device_ptrIiEEEESE_SE_iNS9_10multipliesIiEENS9_8equal_toIiEEiEE10hipError_tPvRmT2_T3_T4_T5_mT6_T7_P12ihipStream_tbENKUlT_T0_E_clISt17integral_constantIbLb1EESY_IbLb0EEEEDaSU_SV_EUlSU_E_NS1_11comp_targetILNS1_3genE10ELNS1_11target_archE1200ELNS1_3gpuE4ELNS1_3repE0EEENS1_30default_config_static_selectorELNS0_4arch9wavefront6targetE1EEEvT1_
                                        ; -- End function
	.section	.AMDGPU.csdata,"",@progbits
; Kernel info:
; codeLenInByte = 0
; NumSgprs: 4
; NumVgprs: 0
; NumAgprs: 0
; TotalNumVgprs: 0
; ScratchSize: 0
; MemoryBound: 0
; FloatMode: 240
; IeeeMode: 1
; LDSByteSize: 0 bytes/workgroup (compile time only)
; SGPRBlocks: 0
; VGPRBlocks: 0
; NumSGPRsForWavesPerEU: 4
; NumVGPRsForWavesPerEU: 1
; AccumOffset: 4
; Occupancy: 8
; WaveLimiterHint : 0
; COMPUTE_PGM_RSRC2:SCRATCH_EN: 0
; COMPUTE_PGM_RSRC2:USER_SGPR: 6
; COMPUTE_PGM_RSRC2:TRAP_HANDLER: 0
; COMPUTE_PGM_RSRC2:TGID_X_EN: 1
; COMPUTE_PGM_RSRC2:TGID_Y_EN: 0
; COMPUTE_PGM_RSRC2:TGID_Z_EN: 0
; COMPUTE_PGM_RSRC2:TIDIG_COMP_CNT: 0
; COMPUTE_PGM_RSRC3_GFX90A:ACCUM_OFFSET: 0
; COMPUTE_PGM_RSRC3_GFX90A:TG_SPLIT: 0
	.section	.text._ZN7rocprim17ROCPRIM_400000_NS6detail17trampoline_kernelINS0_14default_configENS1_27scan_by_key_config_selectorIiiEEZZNS1_16scan_by_key_implILNS1_25lookback_scan_determinismE0ELb0ES3_N6thrust23THRUST_200600_302600_NS6detail15normal_iteratorINS9_10device_ptrIiEEEESE_SE_iNS9_10multipliesIiEENS9_8equal_toIiEEiEE10hipError_tPvRmT2_T3_T4_T5_mT6_T7_P12ihipStream_tbENKUlT_T0_E_clISt17integral_constantIbLb1EESY_IbLb0EEEEDaSU_SV_EUlSU_E_NS1_11comp_targetILNS1_3genE9ELNS1_11target_archE1100ELNS1_3gpuE3ELNS1_3repE0EEENS1_30default_config_static_selectorELNS0_4arch9wavefront6targetE1EEEvT1_,"axG",@progbits,_ZN7rocprim17ROCPRIM_400000_NS6detail17trampoline_kernelINS0_14default_configENS1_27scan_by_key_config_selectorIiiEEZZNS1_16scan_by_key_implILNS1_25lookback_scan_determinismE0ELb0ES3_N6thrust23THRUST_200600_302600_NS6detail15normal_iteratorINS9_10device_ptrIiEEEESE_SE_iNS9_10multipliesIiEENS9_8equal_toIiEEiEE10hipError_tPvRmT2_T3_T4_T5_mT6_T7_P12ihipStream_tbENKUlT_T0_E_clISt17integral_constantIbLb1EESY_IbLb0EEEEDaSU_SV_EUlSU_E_NS1_11comp_targetILNS1_3genE9ELNS1_11target_archE1100ELNS1_3gpuE3ELNS1_3repE0EEENS1_30default_config_static_selectorELNS0_4arch9wavefront6targetE1EEEvT1_,comdat
	.protected	_ZN7rocprim17ROCPRIM_400000_NS6detail17trampoline_kernelINS0_14default_configENS1_27scan_by_key_config_selectorIiiEEZZNS1_16scan_by_key_implILNS1_25lookback_scan_determinismE0ELb0ES3_N6thrust23THRUST_200600_302600_NS6detail15normal_iteratorINS9_10device_ptrIiEEEESE_SE_iNS9_10multipliesIiEENS9_8equal_toIiEEiEE10hipError_tPvRmT2_T3_T4_T5_mT6_T7_P12ihipStream_tbENKUlT_T0_E_clISt17integral_constantIbLb1EESY_IbLb0EEEEDaSU_SV_EUlSU_E_NS1_11comp_targetILNS1_3genE9ELNS1_11target_archE1100ELNS1_3gpuE3ELNS1_3repE0EEENS1_30default_config_static_selectorELNS0_4arch9wavefront6targetE1EEEvT1_ ; -- Begin function _ZN7rocprim17ROCPRIM_400000_NS6detail17trampoline_kernelINS0_14default_configENS1_27scan_by_key_config_selectorIiiEEZZNS1_16scan_by_key_implILNS1_25lookback_scan_determinismE0ELb0ES3_N6thrust23THRUST_200600_302600_NS6detail15normal_iteratorINS9_10device_ptrIiEEEESE_SE_iNS9_10multipliesIiEENS9_8equal_toIiEEiEE10hipError_tPvRmT2_T3_T4_T5_mT6_T7_P12ihipStream_tbENKUlT_T0_E_clISt17integral_constantIbLb1EESY_IbLb0EEEEDaSU_SV_EUlSU_E_NS1_11comp_targetILNS1_3genE9ELNS1_11target_archE1100ELNS1_3gpuE3ELNS1_3repE0EEENS1_30default_config_static_selectorELNS0_4arch9wavefront6targetE1EEEvT1_
	.globl	_ZN7rocprim17ROCPRIM_400000_NS6detail17trampoline_kernelINS0_14default_configENS1_27scan_by_key_config_selectorIiiEEZZNS1_16scan_by_key_implILNS1_25lookback_scan_determinismE0ELb0ES3_N6thrust23THRUST_200600_302600_NS6detail15normal_iteratorINS9_10device_ptrIiEEEESE_SE_iNS9_10multipliesIiEENS9_8equal_toIiEEiEE10hipError_tPvRmT2_T3_T4_T5_mT6_T7_P12ihipStream_tbENKUlT_T0_E_clISt17integral_constantIbLb1EESY_IbLb0EEEEDaSU_SV_EUlSU_E_NS1_11comp_targetILNS1_3genE9ELNS1_11target_archE1100ELNS1_3gpuE3ELNS1_3repE0EEENS1_30default_config_static_selectorELNS0_4arch9wavefront6targetE1EEEvT1_
	.p2align	8
	.type	_ZN7rocprim17ROCPRIM_400000_NS6detail17trampoline_kernelINS0_14default_configENS1_27scan_by_key_config_selectorIiiEEZZNS1_16scan_by_key_implILNS1_25lookback_scan_determinismE0ELb0ES3_N6thrust23THRUST_200600_302600_NS6detail15normal_iteratorINS9_10device_ptrIiEEEESE_SE_iNS9_10multipliesIiEENS9_8equal_toIiEEiEE10hipError_tPvRmT2_T3_T4_T5_mT6_T7_P12ihipStream_tbENKUlT_T0_E_clISt17integral_constantIbLb1EESY_IbLb0EEEEDaSU_SV_EUlSU_E_NS1_11comp_targetILNS1_3genE9ELNS1_11target_archE1100ELNS1_3gpuE3ELNS1_3repE0EEENS1_30default_config_static_selectorELNS0_4arch9wavefront6targetE1EEEvT1_,@function
_ZN7rocprim17ROCPRIM_400000_NS6detail17trampoline_kernelINS0_14default_configENS1_27scan_by_key_config_selectorIiiEEZZNS1_16scan_by_key_implILNS1_25lookback_scan_determinismE0ELb0ES3_N6thrust23THRUST_200600_302600_NS6detail15normal_iteratorINS9_10device_ptrIiEEEESE_SE_iNS9_10multipliesIiEENS9_8equal_toIiEEiEE10hipError_tPvRmT2_T3_T4_T5_mT6_T7_P12ihipStream_tbENKUlT_T0_E_clISt17integral_constantIbLb1EESY_IbLb0EEEEDaSU_SV_EUlSU_E_NS1_11comp_targetILNS1_3genE9ELNS1_11target_archE1100ELNS1_3gpuE3ELNS1_3repE0EEENS1_30default_config_static_selectorELNS0_4arch9wavefront6targetE1EEEvT1_: ; @_ZN7rocprim17ROCPRIM_400000_NS6detail17trampoline_kernelINS0_14default_configENS1_27scan_by_key_config_selectorIiiEEZZNS1_16scan_by_key_implILNS1_25lookback_scan_determinismE0ELb0ES3_N6thrust23THRUST_200600_302600_NS6detail15normal_iteratorINS9_10device_ptrIiEEEESE_SE_iNS9_10multipliesIiEENS9_8equal_toIiEEiEE10hipError_tPvRmT2_T3_T4_T5_mT6_T7_P12ihipStream_tbENKUlT_T0_E_clISt17integral_constantIbLb1EESY_IbLb0EEEEDaSU_SV_EUlSU_E_NS1_11comp_targetILNS1_3genE9ELNS1_11target_archE1100ELNS1_3gpuE3ELNS1_3repE0EEENS1_30default_config_static_selectorELNS0_4arch9wavefront6targetE1EEEvT1_
; %bb.0:
	.section	.rodata,"a",@progbits
	.p2align	6, 0x0
	.amdhsa_kernel _ZN7rocprim17ROCPRIM_400000_NS6detail17trampoline_kernelINS0_14default_configENS1_27scan_by_key_config_selectorIiiEEZZNS1_16scan_by_key_implILNS1_25lookback_scan_determinismE0ELb0ES3_N6thrust23THRUST_200600_302600_NS6detail15normal_iteratorINS9_10device_ptrIiEEEESE_SE_iNS9_10multipliesIiEENS9_8equal_toIiEEiEE10hipError_tPvRmT2_T3_T4_T5_mT6_T7_P12ihipStream_tbENKUlT_T0_E_clISt17integral_constantIbLb1EESY_IbLb0EEEEDaSU_SV_EUlSU_E_NS1_11comp_targetILNS1_3genE9ELNS1_11target_archE1100ELNS1_3gpuE3ELNS1_3repE0EEENS1_30default_config_static_selectorELNS0_4arch9wavefront6targetE1EEEvT1_
		.amdhsa_group_segment_fixed_size 0
		.amdhsa_private_segment_fixed_size 0
		.amdhsa_kernarg_size 112
		.amdhsa_user_sgpr_count 6
		.amdhsa_user_sgpr_private_segment_buffer 1
		.amdhsa_user_sgpr_dispatch_ptr 0
		.amdhsa_user_sgpr_queue_ptr 0
		.amdhsa_user_sgpr_kernarg_segment_ptr 1
		.amdhsa_user_sgpr_dispatch_id 0
		.amdhsa_user_sgpr_flat_scratch_init 0
		.amdhsa_user_sgpr_kernarg_preload_length 0
		.amdhsa_user_sgpr_kernarg_preload_offset 0
		.amdhsa_user_sgpr_private_segment_size 0
		.amdhsa_uses_dynamic_stack 0
		.amdhsa_system_sgpr_private_segment_wavefront_offset 0
		.amdhsa_system_sgpr_workgroup_id_x 1
		.amdhsa_system_sgpr_workgroup_id_y 0
		.amdhsa_system_sgpr_workgroup_id_z 0
		.amdhsa_system_sgpr_workgroup_info 0
		.amdhsa_system_vgpr_workitem_id 0
		.amdhsa_next_free_vgpr 1
		.amdhsa_next_free_sgpr 0
		.amdhsa_accum_offset 4
		.amdhsa_reserve_vcc 0
		.amdhsa_reserve_flat_scratch 0
		.amdhsa_float_round_mode_32 0
		.amdhsa_float_round_mode_16_64 0
		.amdhsa_float_denorm_mode_32 3
		.amdhsa_float_denorm_mode_16_64 3
		.amdhsa_dx10_clamp 1
		.amdhsa_ieee_mode 1
		.amdhsa_fp16_overflow 0
		.amdhsa_tg_split 0
		.amdhsa_exception_fp_ieee_invalid_op 0
		.amdhsa_exception_fp_denorm_src 0
		.amdhsa_exception_fp_ieee_div_zero 0
		.amdhsa_exception_fp_ieee_overflow 0
		.amdhsa_exception_fp_ieee_underflow 0
		.amdhsa_exception_fp_ieee_inexact 0
		.amdhsa_exception_int_div_zero 0
	.end_amdhsa_kernel
	.section	.text._ZN7rocprim17ROCPRIM_400000_NS6detail17trampoline_kernelINS0_14default_configENS1_27scan_by_key_config_selectorIiiEEZZNS1_16scan_by_key_implILNS1_25lookback_scan_determinismE0ELb0ES3_N6thrust23THRUST_200600_302600_NS6detail15normal_iteratorINS9_10device_ptrIiEEEESE_SE_iNS9_10multipliesIiEENS9_8equal_toIiEEiEE10hipError_tPvRmT2_T3_T4_T5_mT6_T7_P12ihipStream_tbENKUlT_T0_E_clISt17integral_constantIbLb1EESY_IbLb0EEEEDaSU_SV_EUlSU_E_NS1_11comp_targetILNS1_3genE9ELNS1_11target_archE1100ELNS1_3gpuE3ELNS1_3repE0EEENS1_30default_config_static_selectorELNS0_4arch9wavefront6targetE1EEEvT1_,"axG",@progbits,_ZN7rocprim17ROCPRIM_400000_NS6detail17trampoline_kernelINS0_14default_configENS1_27scan_by_key_config_selectorIiiEEZZNS1_16scan_by_key_implILNS1_25lookback_scan_determinismE0ELb0ES3_N6thrust23THRUST_200600_302600_NS6detail15normal_iteratorINS9_10device_ptrIiEEEESE_SE_iNS9_10multipliesIiEENS9_8equal_toIiEEiEE10hipError_tPvRmT2_T3_T4_T5_mT6_T7_P12ihipStream_tbENKUlT_T0_E_clISt17integral_constantIbLb1EESY_IbLb0EEEEDaSU_SV_EUlSU_E_NS1_11comp_targetILNS1_3genE9ELNS1_11target_archE1100ELNS1_3gpuE3ELNS1_3repE0EEENS1_30default_config_static_selectorELNS0_4arch9wavefront6targetE1EEEvT1_,comdat
.Lfunc_end189:
	.size	_ZN7rocprim17ROCPRIM_400000_NS6detail17trampoline_kernelINS0_14default_configENS1_27scan_by_key_config_selectorIiiEEZZNS1_16scan_by_key_implILNS1_25lookback_scan_determinismE0ELb0ES3_N6thrust23THRUST_200600_302600_NS6detail15normal_iteratorINS9_10device_ptrIiEEEESE_SE_iNS9_10multipliesIiEENS9_8equal_toIiEEiEE10hipError_tPvRmT2_T3_T4_T5_mT6_T7_P12ihipStream_tbENKUlT_T0_E_clISt17integral_constantIbLb1EESY_IbLb0EEEEDaSU_SV_EUlSU_E_NS1_11comp_targetILNS1_3genE9ELNS1_11target_archE1100ELNS1_3gpuE3ELNS1_3repE0EEENS1_30default_config_static_selectorELNS0_4arch9wavefront6targetE1EEEvT1_, .Lfunc_end189-_ZN7rocprim17ROCPRIM_400000_NS6detail17trampoline_kernelINS0_14default_configENS1_27scan_by_key_config_selectorIiiEEZZNS1_16scan_by_key_implILNS1_25lookback_scan_determinismE0ELb0ES3_N6thrust23THRUST_200600_302600_NS6detail15normal_iteratorINS9_10device_ptrIiEEEESE_SE_iNS9_10multipliesIiEENS9_8equal_toIiEEiEE10hipError_tPvRmT2_T3_T4_T5_mT6_T7_P12ihipStream_tbENKUlT_T0_E_clISt17integral_constantIbLb1EESY_IbLb0EEEEDaSU_SV_EUlSU_E_NS1_11comp_targetILNS1_3genE9ELNS1_11target_archE1100ELNS1_3gpuE3ELNS1_3repE0EEENS1_30default_config_static_selectorELNS0_4arch9wavefront6targetE1EEEvT1_
                                        ; -- End function
	.section	.AMDGPU.csdata,"",@progbits
; Kernel info:
; codeLenInByte = 0
; NumSgprs: 4
; NumVgprs: 0
; NumAgprs: 0
; TotalNumVgprs: 0
; ScratchSize: 0
; MemoryBound: 0
; FloatMode: 240
; IeeeMode: 1
; LDSByteSize: 0 bytes/workgroup (compile time only)
; SGPRBlocks: 0
; VGPRBlocks: 0
; NumSGPRsForWavesPerEU: 4
; NumVGPRsForWavesPerEU: 1
; AccumOffset: 4
; Occupancy: 8
; WaveLimiterHint : 0
; COMPUTE_PGM_RSRC2:SCRATCH_EN: 0
; COMPUTE_PGM_RSRC2:USER_SGPR: 6
; COMPUTE_PGM_RSRC2:TRAP_HANDLER: 0
; COMPUTE_PGM_RSRC2:TGID_X_EN: 1
; COMPUTE_PGM_RSRC2:TGID_Y_EN: 0
; COMPUTE_PGM_RSRC2:TGID_Z_EN: 0
; COMPUTE_PGM_RSRC2:TIDIG_COMP_CNT: 0
; COMPUTE_PGM_RSRC3_GFX90A:ACCUM_OFFSET: 0
; COMPUTE_PGM_RSRC3_GFX90A:TG_SPLIT: 0
	.section	.text._ZN7rocprim17ROCPRIM_400000_NS6detail17trampoline_kernelINS0_14default_configENS1_27scan_by_key_config_selectorIiiEEZZNS1_16scan_by_key_implILNS1_25lookback_scan_determinismE0ELb0ES3_N6thrust23THRUST_200600_302600_NS6detail15normal_iteratorINS9_10device_ptrIiEEEESE_SE_iNS9_10multipliesIiEENS9_8equal_toIiEEiEE10hipError_tPvRmT2_T3_T4_T5_mT6_T7_P12ihipStream_tbENKUlT_T0_E_clISt17integral_constantIbLb1EESY_IbLb0EEEEDaSU_SV_EUlSU_E_NS1_11comp_targetILNS1_3genE8ELNS1_11target_archE1030ELNS1_3gpuE2ELNS1_3repE0EEENS1_30default_config_static_selectorELNS0_4arch9wavefront6targetE1EEEvT1_,"axG",@progbits,_ZN7rocprim17ROCPRIM_400000_NS6detail17trampoline_kernelINS0_14default_configENS1_27scan_by_key_config_selectorIiiEEZZNS1_16scan_by_key_implILNS1_25lookback_scan_determinismE0ELb0ES3_N6thrust23THRUST_200600_302600_NS6detail15normal_iteratorINS9_10device_ptrIiEEEESE_SE_iNS9_10multipliesIiEENS9_8equal_toIiEEiEE10hipError_tPvRmT2_T3_T4_T5_mT6_T7_P12ihipStream_tbENKUlT_T0_E_clISt17integral_constantIbLb1EESY_IbLb0EEEEDaSU_SV_EUlSU_E_NS1_11comp_targetILNS1_3genE8ELNS1_11target_archE1030ELNS1_3gpuE2ELNS1_3repE0EEENS1_30default_config_static_selectorELNS0_4arch9wavefront6targetE1EEEvT1_,comdat
	.protected	_ZN7rocprim17ROCPRIM_400000_NS6detail17trampoline_kernelINS0_14default_configENS1_27scan_by_key_config_selectorIiiEEZZNS1_16scan_by_key_implILNS1_25lookback_scan_determinismE0ELb0ES3_N6thrust23THRUST_200600_302600_NS6detail15normal_iteratorINS9_10device_ptrIiEEEESE_SE_iNS9_10multipliesIiEENS9_8equal_toIiEEiEE10hipError_tPvRmT2_T3_T4_T5_mT6_T7_P12ihipStream_tbENKUlT_T0_E_clISt17integral_constantIbLb1EESY_IbLb0EEEEDaSU_SV_EUlSU_E_NS1_11comp_targetILNS1_3genE8ELNS1_11target_archE1030ELNS1_3gpuE2ELNS1_3repE0EEENS1_30default_config_static_selectorELNS0_4arch9wavefront6targetE1EEEvT1_ ; -- Begin function _ZN7rocprim17ROCPRIM_400000_NS6detail17trampoline_kernelINS0_14default_configENS1_27scan_by_key_config_selectorIiiEEZZNS1_16scan_by_key_implILNS1_25lookback_scan_determinismE0ELb0ES3_N6thrust23THRUST_200600_302600_NS6detail15normal_iteratorINS9_10device_ptrIiEEEESE_SE_iNS9_10multipliesIiEENS9_8equal_toIiEEiEE10hipError_tPvRmT2_T3_T4_T5_mT6_T7_P12ihipStream_tbENKUlT_T0_E_clISt17integral_constantIbLb1EESY_IbLb0EEEEDaSU_SV_EUlSU_E_NS1_11comp_targetILNS1_3genE8ELNS1_11target_archE1030ELNS1_3gpuE2ELNS1_3repE0EEENS1_30default_config_static_selectorELNS0_4arch9wavefront6targetE1EEEvT1_
	.globl	_ZN7rocprim17ROCPRIM_400000_NS6detail17trampoline_kernelINS0_14default_configENS1_27scan_by_key_config_selectorIiiEEZZNS1_16scan_by_key_implILNS1_25lookback_scan_determinismE0ELb0ES3_N6thrust23THRUST_200600_302600_NS6detail15normal_iteratorINS9_10device_ptrIiEEEESE_SE_iNS9_10multipliesIiEENS9_8equal_toIiEEiEE10hipError_tPvRmT2_T3_T4_T5_mT6_T7_P12ihipStream_tbENKUlT_T0_E_clISt17integral_constantIbLb1EESY_IbLb0EEEEDaSU_SV_EUlSU_E_NS1_11comp_targetILNS1_3genE8ELNS1_11target_archE1030ELNS1_3gpuE2ELNS1_3repE0EEENS1_30default_config_static_selectorELNS0_4arch9wavefront6targetE1EEEvT1_
	.p2align	8
	.type	_ZN7rocprim17ROCPRIM_400000_NS6detail17trampoline_kernelINS0_14default_configENS1_27scan_by_key_config_selectorIiiEEZZNS1_16scan_by_key_implILNS1_25lookback_scan_determinismE0ELb0ES3_N6thrust23THRUST_200600_302600_NS6detail15normal_iteratorINS9_10device_ptrIiEEEESE_SE_iNS9_10multipliesIiEENS9_8equal_toIiEEiEE10hipError_tPvRmT2_T3_T4_T5_mT6_T7_P12ihipStream_tbENKUlT_T0_E_clISt17integral_constantIbLb1EESY_IbLb0EEEEDaSU_SV_EUlSU_E_NS1_11comp_targetILNS1_3genE8ELNS1_11target_archE1030ELNS1_3gpuE2ELNS1_3repE0EEENS1_30default_config_static_selectorELNS0_4arch9wavefront6targetE1EEEvT1_,@function
_ZN7rocprim17ROCPRIM_400000_NS6detail17trampoline_kernelINS0_14default_configENS1_27scan_by_key_config_selectorIiiEEZZNS1_16scan_by_key_implILNS1_25lookback_scan_determinismE0ELb0ES3_N6thrust23THRUST_200600_302600_NS6detail15normal_iteratorINS9_10device_ptrIiEEEESE_SE_iNS9_10multipliesIiEENS9_8equal_toIiEEiEE10hipError_tPvRmT2_T3_T4_T5_mT6_T7_P12ihipStream_tbENKUlT_T0_E_clISt17integral_constantIbLb1EESY_IbLb0EEEEDaSU_SV_EUlSU_E_NS1_11comp_targetILNS1_3genE8ELNS1_11target_archE1030ELNS1_3gpuE2ELNS1_3repE0EEENS1_30default_config_static_selectorELNS0_4arch9wavefront6targetE1EEEvT1_: ; @_ZN7rocprim17ROCPRIM_400000_NS6detail17trampoline_kernelINS0_14default_configENS1_27scan_by_key_config_selectorIiiEEZZNS1_16scan_by_key_implILNS1_25lookback_scan_determinismE0ELb0ES3_N6thrust23THRUST_200600_302600_NS6detail15normal_iteratorINS9_10device_ptrIiEEEESE_SE_iNS9_10multipliesIiEENS9_8equal_toIiEEiEE10hipError_tPvRmT2_T3_T4_T5_mT6_T7_P12ihipStream_tbENKUlT_T0_E_clISt17integral_constantIbLb1EESY_IbLb0EEEEDaSU_SV_EUlSU_E_NS1_11comp_targetILNS1_3genE8ELNS1_11target_archE1030ELNS1_3gpuE2ELNS1_3repE0EEENS1_30default_config_static_selectorELNS0_4arch9wavefront6targetE1EEEvT1_
; %bb.0:
	.section	.rodata,"a",@progbits
	.p2align	6, 0x0
	.amdhsa_kernel _ZN7rocprim17ROCPRIM_400000_NS6detail17trampoline_kernelINS0_14default_configENS1_27scan_by_key_config_selectorIiiEEZZNS1_16scan_by_key_implILNS1_25lookback_scan_determinismE0ELb0ES3_N6thrust23THRUST_200600_302600_NS6detail15normal_iteratorINS9_10device_ptrIiEEEESE_SE_iNS9_10multipliesIiEENS9_8equal_toIiEEiEE10hipError_tPvRmT2_T3_T4_T5_mT6_T7_P12ihipStream_tbENKUlT_T0_E_clISt17integral_constantIbLb1EESY_IbLb0EEEEDaSU_SV_EUlSU_E_NS1_11comp_targetILNS1_3genE8ELNS1_11target_archE1030ELNS1_3gpuE2ELNS1_3repE0EEENS1_30default_config_static_selectorELNS0_4arch9wavefront6targetE1EEEvT1_
		.amdhsa_group_segment_fixed_size 0
		.amdhsa_private_segment_fixed_size 0
		.amdhsa_kernarg_size 112
		.amdhsa_user_sgpr_count 6
		.amdhsa_user_sgpr_private_segment_buffer 1
		.amdhsa_user_sgpr_dispatch_ptr 0
		.amdhsa_user_sgpr_queue_ptr 0
		.amdhsa_user_sgpr_kernarg_segment_ptr 1
		.amdhsa_user_sgpr_dispatch_id 0
		.amdhsa_user_sgpr_flat_scratch_init 0
		.amdhsa_user_sgpr_kernarg_preload_length 0
		.amdhsa_user_sgpr_kernarg_preload_offset 0
		.amdhsa_user_sgpr_private_segment_size 0
		.amdhsa_uses_dynamic_stack 0
		.amdhsa_system_sgpr_private_segment_wavefront_offset 0
		.amdhsa_system_sgpr_workgroup_id_x 1
		.amdhsa_system_sgpr_workgroup_id_y 0
		.amdhsa_system_sgpr_workgroup_id_z 0
		.amdhsa_system_sgpr_workgroup_info 0
		.amdhsa_system_vgpr_workitem_id 0
		.amdhsa_next_free_vgpr 1
		.amdhsa_next_free_sgpr 0
		.amdhsa_accum_offset 4
		.amdhsa_reserve_vcc 0
		.amdhsa_reserve_flat_scratch 0
		.amdhsa_float_round_mode_32 0
		.amdhsa_float_round_mode_16_64 0
		.amdhsa_float_denorm_mode_32 3
		.amdhsa_float_denorm_mode_16_64 3
		.amdhsa_dx10_clamp 1
		.amdhsa_ieee_mode 1
		.amdhsa_fp16_overflow 0
		.amdhsa_tg_split 0
		.amdhsa_exception_fp_ieee_invalid_op 0
		.amdhsa_exception_fp_denorm_src 0
		.amdhsa_exception_fp_ieee_div_zero 0
		.amdhsa_exception_fp_ieee_overflow 0
		.amdhsa_exception_fp_ieee_underflow 0
		.amdhsa_exception_fp_ieee_inexact 0
		.amdhsa_exception_int_div_zero 0
	.end_amdhsa_kernel
	.section	.text._ZN7rocprim17ROCPRIM_400000_NS6detail17trampoline_kernelINS0_14default_configENS1_27scan_by_key_config_selectorIiiEEZZNS1_16scan_by_key_implILNS1_25lookback_scan_determinismE0ELb0ES3_N6thrust23THRUST_200600_302600_NS6detail15normal_iteratorINS9_10device_ptrIiEEEESE_SE_iNS9_10multipliesIiEENS9_8equal_toIiEEiEE10hipError_tPvRmT2_T3_T4_T5_mT6_T7_P12ihipStream_tbENKUlT_T0_E_clISt17integral_constantIbLb1EESY_IbLb0EEEEDaSU_SV_EUlSU_E_NS1_11comp_targetILNS1_3genE8ELNS1_11target_archE1030ELNS1_3gpuE2ELNS1_3repE0EEENS1_30default_config_static_selectorELNS0_4arch9wavefront6targetE1EEEvT1_,"axG",@progbits,_ZN7rocprim17ROCPRIM_400000_NS6detail17trampoline_kernelINS0_14default_configENS1_27scan_by_key_config_selectorIiiEEZZNS1_16scan_by_key_implILNS1_25lookback_scan_determinismE0ELb0ES3_N6thrust23THRUST_200600_302600_NS6detail15normal_iteratorINS9_10device_ptrIiEEEESE_SE_iNS9_10multipliesIiEENS9_8equal_toIiEEiEE10hipError_tPvRmT2_T3_T4_T5_mT6_T7_P12ihipStream_tbENKUlT_T0_E_clISt17integral_constantIbLb1EESY_IbLb0EEEEDaSU_SV_EUlSU_E_NS1_11comp_targetILNS1_3genE8ELNS1_11target_archE1030ELNS1_3gpuE2ELNS1_3repE0EEENS1_30default_config_static_selectorELNS0_4arch9wavefront6targetE1EEEvT1_,comdat
.Lfunc_end190:
	.size	_ZN7rocprim17ROCPRIM_400000_NS6detail17trampoline_kernelINS0_14default_configENS1_27scan_by_key_config_selectorIiiEEZZNS1_16scan_by_key_implILNS1_25lookback_scan_determinismE0ELb0ES3_N6thrust23THRUST_200600_302600_NS6detail15normal_iteratorINS9_10device_ptrIiEEEESE_SE_iNS9_10multipliesIiEENS9_8equal_toIiEEiEE10hipError_tPvRmT2_T3_T4_T5_mT6_T7_P12ihipStream_tbENKUlT_T0_E_clISt17integral_constantIbLb1EESY_IbLb0EEEEDaSU_SV_EUlSU_E_NS1_11comp_targetILNS1_3genE8ELNS1_11target_archE1030ELNS1_3gpuE2ELNS1_3repE0EEENS1_30default_config_static_selectorELNS0_4arch9wavefront6targetE1EEEvT1_, .Lfunc_end190-_ZN7rocprim17ROCPRIM_400000_NS6detail17trampoline_kernelINS0_14default_configENS1_27scan_by_key_config_selectorIiiEEZZNS1_16scan_by_key_implILNS1_25lookback_scan_determinismE0ELb0ES3_N6thrust23THRUST_200600_302600_NS6detail15normal_iteratorINS9_10device_ptrIiEEEESE_SE_iNS9_10multipliesIiEENS9_8equal_toIiEEiEE10hipError_tPvRmT2_T3_T4_T5_mT6_T7_P12ihipStream_tbENKUlT_T0_E_clISt17integral_constantIbLb1EESY_IbLb0EEEEDaSU_SV_EUlSU_E_NS1_11comp_targetILNS1_3genE8ELNS1_11target_archE1030ELNS1_3gpuE2ELNS1_3repE0EEENS1_30default_config_static_selectorELNS0_4arch9wavefront6targetE1EEEvT1_
                                        ; -- End function
	.section	.AMDGPU.csdata,"",@progbits
; Kernel info:
; codeLenInByte = 0
; NumSgprs: 4
; NumVgprs: 0
; NumAgprs: 0
; TotalNumVgprs: 0
; ScratchSize: 0
; MemoryBound: 0
; FloatMode: 240
; IeeeMode: 1
; LDSByteSize: 0 bytes/workgroup (compile time only)
; SGPRBlocks: 0
; VGPRBlocks: 0
; NumSGPRsForWavesPerEU: 4
; NumVGPRsForWavesPerEU: 1
; AccumOffset: 4
; Occupancy: 8
; WaveLimiterHint : 0
; COMPUTE_PGM_RSRC2:SCRATCH_EN: 0
; COMPUTE_PGM_RSRC2:USER_SGPR: 6
; COMPUTE_PGM_RSRC2:TRAP_HANDLER: 0
; COMPUTE_PGM_RSRC2:TGID_X_EN: 1
; COMPUTE_PGM_RSRC2:TGID_Y_EN: 0
; COMPUTE_PGM_RSRC2:TGID_Z_EN: 0
; COMPUTE_PGM_RSRC2:TIDIG_COMP_CNT: 0
; COMPUTE_PGM_RSRC3_GFX90A:ACCUM_OFFSET: 0
; COMPUTE_PGM_RSRC3_GFX90A:TG_SPLIT: 0
	.section	.text._ZN7rocprim17ROCPRIM_400000_NS6detail17trampoline_kernelINS0_14default_configENS1_27scan_by_key_config_selectorIiiEEZZNS1_16scan_by_key_implILNS1_25lookback_scan_determinismE0ELb0ES3_N6thrust23THRUST_200600_302600_NS6detail15normal_iteratorINS9_10device_ptrIiEEEESE_SE_iNS9_10multipliesIiEENS9_8equal_toIiEEiEE10hipError_tPvRmT2_T3_T4_T5_mT6_T7_P12ihipStream_tbENKUlT_T0_E_clISt17integral_constantIbLb0EESY_IbLb1EEEEDaSU_SV_EUlSU_E_NS1_11comp_targetILNS1_3genE0ELNS1_11target_archE4294967295ELNS1_3gpuE0ELNS1_3repE0EEENS1_30default_config_static_selectorELNS0_4arch9wavefront6targetE1EEEvT1_,"axG",@progbits,_ZN7rocprim17ROCPRIM_400000_NS6detail17trampoline_kernelINS0_14default_configENS1_27scan_by_key_config_selectorIiiEEZZNS1_16scan_by_key_implILNS1_25lookback_scan_determinismE0ELb0ES3_N6thrust23THRUST_200600_302600_NS6detail15normal_iteratorINS9_10device_ptrIiEEEESE_SE_iNS9_10multipliesIiEENS9_8equal_toIiEEiEE10hipError_tPvRmT2_T3_T4_T5_mT6_T7_P12ihipStream_tbENKUlT_T0_E_clISt17integral_constantIbLb0EESY_IbLb1EEEEDaSU_SV_EUlSU_E_NS1_11comp_targetILNS1_3genE0ELNS1_11target_archE4294967295ELNS1_3gpuE0ELNS1_3repE0EEENS1_30default_config_static_selectorELNS0_4arch9wavefront6targetE1EEEvT1_,comdat
	.protected	_ZN7rocprim17ROCPRIM_400000_NS6detail17trampoline_kernelINS0_14default_configENS1_27scan_by_key_config_selectorIiiEEZZNS1_16scan_by_key_implILNS1_25lookback_scan_determinismE0ELb0ES3_N6thrust23THRUST_200600_302600_NS6detail15normal_iteratorINS9_10device_ptrIiEEEESE_SE_iNS9_10multipliesIiEENS9_8equal_toIiEEiEE10hipError_tPvRmT2_T3_T4_T5_mT6_T7_P12ihipStream_tbENKUlT_T0_E_clISt17integral_constantIbLb0EESY_IbLb1EEEEDaSU_SV_EUlSU_E_NS1_11comp_targetILNS1_3genE0ELNS1_11target_archE4294967295ELNS1_3gpuE0ELNS1_3repE0EEENS1_30default_config_static_selectorELNS0_4arch9wavefront6targetE1EEEvT1_ ; -- Begin function _ZN7rocprim17ROCPRIM_400000_NS6detail17trampoline_kernelINS0_14default_configENS1_27scan_by_key_config_selectorIiiEEZZNS1_16scan_by_key_implILNS1_25lookback_scan_determinismE0ELb0ES3_N6thrust23THRUST_200600_302600_NS6detail15normal_iteratorINS9_10device_ptrIiEEEESE_SE_iNS9_10multipliesIiEENS9_8equal_toIiEEiEE10hipError_tPvRmT2_T3_T4_T5_mT6_T7_P12ihipStream_tbENKUlT_T0_E_clISt17integral_constantIbLb0EESY_IbLb1EEEEDaSU_SV_EUlSU_E_NS1_11comp_targetILNS1_3genE0ELNS1_11target_archE4294967295ELNS1_3gpuE0ELNS1_3repE0EEENS1_30default_config_static_selectorELNS0_4arch9wavefront6targetE1EEEvT1_
	.globl	_ZN7rocprim17ROCPRIM_400000_NS6detail17trampoline_kernelINS0_14default_configENS1_27scan_by_key_config_selectorIiiEEZZNS1_16scan_by_key_implILNS1_25lookback_scan_determinismE0ELb0ES3_N6thrust23THRUST_200600_302600_NS6detail15normal_iteratorINS9_10device_ptrIiEEEESE_SE_iNS9_10multipliesIiEENS9_8equal_toIiEEiEE10hipError_tPvRmT2_T3_T4_T5_mT6_T7_P12ihipStream_tbENKUlT_T0_E_clISt17integral_constantIbLb0EESY_IbLb1EEEEDaSU_SV_EUlSU_E_NS1_11comp_targetILNS1_3genE0ELNS1_11target_archE4294967295ELNS1_3gpuE0ELNS1_3repE0EEENS1_30default_config_static_selectorELNS0_4arch9wavefront6targetE1EEEvT1_
	.p2align	8
	.type	_ZN7rocprim17ROCPRIM_400000_NS6detail17trampoline_kernelINS0_14default_configENS1_27scan_by_key_config_selectorIiiEEZZNS1_16scan_by_key_implILNS1_25lookback_scan_determinismE0ELb0ES3_N6thrust23THRUST_200600_302600_NS6detail15normal_iteratorINS9_10device_ptrIiEEEESE_SE_iNS9_10multipliesIiEENS9_8equal_toIiEEiEE10hipError_tPvRmT2_T3_T4_T5_mT6_T7_P12ihipStream_tbENKUlT_T0_E_clISt17integral_constantIbLb0EESY_IbLb1EEEEDaSU_SV_EUlSU_E_NS1_11comp_targetILNS1_3genE0ELNS1_11target_archE4294967295ELNS1_3gpuE0ELNS1_3repE0EEENS1_30default_config_static_selectorELNS0_4arch9wavefront6targetE1EEEvT1_,@function
_ZN7rocprim17ROCPRIM_400000_NS6detail17trampoline_kernelINS0_14default_configENS1_27scan_by_key_config_selectorIiiEEZZNS1_16scan_by_key_implILNS1_25lookback_scan_determinismE0ELb0ES3_N6thrust23THRUST_200600_302600_NS6detail15normal_iteratorINS9_10device_ptrIiEEEESE_SE_iNS9_10multipliesIiEENS9_8equal_toIiEEiEE10hipError_tPvRmT2_T3_T4_T5_mT6_T7_P12ihipStream_tbENKUlT_T0_E_clISt17integral_constantIbLb0EESY_IbLb1EEEEDaSU_SV_EUlSU_E_NS1_11comp_targetILNS1_3genE0ELNS1_11target_archE4294967295ELNS1_3gpuE0ELNS1_3repE0EEENS1_30default_config_static_selectorELNS0_4arch9wavefront6targetE1EEEvT1_: ; @_ZN7rocprim17ROCPRIM_400000_NS6detail17trampoline_kernelINS0_14default_configENS1_27scan_by_key_config_selectorIiiEEZZNS1_16scan_by_key_implILNS1_25lookback_scan_determinismE0ELb0ES3_N6thrust23THRUST_200600_302600_NS6detail15normal_iteratorINS9_10device_ptrIiEEEESE_SE_iNS9_10multipliesIiEENS9_8equal_toIiEEiEE10hipError_tPvRmT2_T3_T4_T5_mT6_T7_P12ihipStream_tbENKUlT_T0_E_clISt17integral_constantIbLb0EESY_IbLb1EEEEDaSU_SV_EUlSU_E_NS1_11comp_targetILNS1_3genE0ELNS1_11target_archE4294967295ELNS1_3gpuE0ELNS1_3repE0EEENS1_30default_config_static_selectorELNS0_4arch9wavefront6targetE1EEEvT1_
; %bb.0:
	.section	.rodata,"a",@progbits
	.p2align	6, 0x0
	.amdhsa_kernel _ZN7rocprim17ROCPRIM_400000_NS6detail17trampoline_kernelINS0_14default_configENS1_27scan_by_key_config_selectorIiiEEZZNS1_16scan_by_key_implILNS1_25lookback_scan_determinismE0ELb0ES3_N6thrust23THRUST_200600_302600_NS6detail15normal_iteratorINS9_10device_ptrIiEEEESE_SE_iNS9_10multipliesIiEENS9_8equal_toIiEEiEE10hipError_tPvRmT2_T3_T4_T5_mT6_T7_P12ihipStream_tbENKUlT_T0_E_clISt17integral_constantIbLb0EESY_IbLb1EEEEDaSU_SV_EUlSU_E_NS1_11comp_targetILNS1_3genE0ELNS1_11target_archE4294967295ELNS1_3gpuE0ELNS1_3repE0EEENS1_30default_config_static_selectorELNS0_4arch9wavefront6targetE1EEEvT1_
		.amdhsa_group_segment_fixed_size 0
		.amdhsa_private_segment_fixed_size 0
		.amdhsa_kernarg_size 112
		.amdhsa_user_sgpr_count 6
		.amdhsa_user_sgpr_private_segment_buffer 1
		.amdhsa_user_sgpr_dispatch_ptr 0
		.amdhsa_user_sgpr_queue_ptr 0
		.amdhsa_user_sgpr_kernarg_segment_ptr 1
		.amdhsa_user_sgpr_dispatch_id 0
		.amdhsa_user_sgpr_flat_scratch_init 0
		.amdhsa_user_sgpr_kernarg_preload_length 0
		.amdhsa_user_sgpr_kernarg_preload_offset 0
		.amdhsa_user_sgpr_private_segment_size 0
		.amdhsa_uses_dynamic_stack 0
		.amdhsa_system_sgpr_private_segment_wavefront_offset 0
		.amdhsa_system_sgpr_workgroup_id_x 1
		.amdhsa_system_sgpr_workgroup_id_y 0
		.amdhsa_system_sgpr_workgroup_id_z 0
		.amdhsa_system_sgpr_workgroup_info 0
		.amdhsa_system_vgpr_workitem_id 0
		.amdhsa_next_free_vgpr 1
		.amdhsa_next_free_sgpr 0
		.amdhsa_accum_offset 4
		.amdhsa_reserve_vcc 0
		.amdhsa_reserve_flat_scratch 0
		.amdhsa_float_round_mode_32 0
		.amdhsa_float_round_mode_16_64 0
		.amdhsa_float_denorm_mode_32 3
		.amdhsa_float_denorm_mode_16_64 3
		.amdhsa_dx10_clamp 1
		.amdhsa_ieee_mode 1
		.amdhsa_fp16_overflow 0
		.amdhsa_tg_split 0
		.amdhsa_exception_fp_ieee_invalid_op 0
		.amdhsa_exception_fp_denorm_src 0
		.amdhsa_exception_fp_ieee_div_zero 0
		.amdhsa_exception_fp_ieee_overflow 0
		.amdhsa_exception_fp_ieee_underflow 0
		.amdhsa_exception_fp_ieee_inexact 0
		.amdhsa_exception_int_div_zero 0
	.end_amdhsa_kernel
	.section	.text._ZN7rocprim17ROCPRIM_400000_NS6detail17trampoline_kernelINS0_14default_configENS1_27scan_by_key_config_selectorIiiEEZZNS1_16scan_by_key_implILNS1_25lookback_scan_determinismE0ELb0ES3_N6thrust23THRUST_200600_302600_NS6detail15normal_iteratorINS9_10device_ptrIiEEEESE_SE_iNS9_10multipliesIiEENS9_8equal_toIiEEiEE10hipError_tPvRmT2_T3_T4_T5_mT6_T7_P12ihipStream_tbENKUlT_T0_E_clISt17integral_constantIbLb0EESY_IbLb1EEEEDaSU_SV_EUlSU_E_NS1_11comp_targetILNS1_3genE0ELNS1_11target_archE4294967295ELNS1_3gpuE0ELNS1_3repE0EEENS1_30default_config_static_selectorELNS0_4arch9wavefront6targetE1EEEvT1_,"axG",@progbits,_ZN7rocprim17ROCPRIM_400000_NS6detail17trampoline_kernelINS0_14default_configENS1_27scan_by_key_config_selectorIiiEEZZNS1_16scan_by_key_implILNS1_25lookback_scan_determinismE0ELb0ES3_N6thrust23THRUST_200600_302600_NS6detail15normal_iteratorINS9_10device_ptrIiEEEESE_SE_iNS9_10multipliesIiEENS9_8equal_toIiEEiEE10hipError_tPvRmT2_T3_T4_T5_mT6_T7_P12ihipStream_tbENKUlT_T0_E_clISt17integral_constantIbLb0EESY_IbLb1EEEEDaSU_SV_EUlSU_E_NS1_11comp_targetILNS1_3genE0ELNS1_11target_archE4294967295ELNS1_3gpuE0ELNS1_3repE0EEENS1_30default_config_static_selectorELNS0_4arch9wavefront6targetE1EEEvT1_,comdat
.Lfunc_end191:
	.size	_ZN7rocprim17ROCPRIM_400000_NS6detail17trampoline_kernelINS0_14default_configENS1_27scan_by_key_config_selectorIiiEEZZNS1_16scan_by_key_implILNS1_25lookback_scan_determinismE0ELb0ES3_N6thrust23THRUST_200600_302600_NS6detail15normal_iteratorINS9_10device_ptrIiEEEESE_SE_iNS9_10multipliesIiEENS9_8equal_toIiEEiEE10hipError_tPvRmT2_T3_T4_T5_mT6_T7_P12ihipStream_tbENKUlT_T0_E_clISt17integral_constantIbLb0EESY_IbLb1EEEEDaSU_SV_EUlSU_E_NS1_11comp_targetILNS1_3genE0ELNS1_11target_archE4294967295ELNS1_3gpuE0ELNS1_3repE0EEENS1_30default_config_static_selectorELNS0_4arch9wavefront6targetE1EEEvT1_, .Lfunc_end191-_ZN7rocprim17ROCPRIM_400000_NS6detail17trampoline_kernelINS0_14default_configENS1_27scan_by_key_config_selectorIiiEEZZNS1_16scan_by_key_implILNS1_25lookback_scan_determinismE0ELb0ES3_N6thrust23THRUST_200600_302600_NS6detail15normal_iteratorINS9_10device_ptrIiEEEESE_SE_iNS9_10multipliesIiEENS9_8equal_toIiEEiEE10hipError_tPvRmT2_T3_T4_T5_mT6_T7_P12ihipStream_tbENKUlT_T0_E_clISt17integral_constantIbLb0EESY_IbLb1EEEEDaSU_SV_EUlSU_E_NS1_11comp_targetILNS1_3genE0ELNS1_11target_archE4294967295ELNS1_3gpuE0ELNS1_3repE0EEENS1_30default_config_static_selectorELNS0_4arch9wavefront6targetE1EEEvT1_
                                        ; -- End function
	.section	.AMDGPU.csdata,"",@progbits
; Kernel info:
; codeLenInByte = 0
; NumSgprs: 4
; NumVgprs: 0
; NumAgprs: 0
; TotalNumVgprs: 0
; ScratchSize: 0
; MemoryBound: 0
; FloatMode: 240
; IeeeMode: 1
; LDSByteSize: 0 bytes/workgroup (compile time only)
; SGPRBlocks: 0
; VGPRBlocks: 0
; NumSGPRsForWavesPerEU: 4
; NumVGPRsForWavesPerEU: 1
; AccumOffset: 4
; Occupancy: 8
; WaveLimiterHint : 0
; COMPUTE_PGM_RSRC2:SCRATCH_EN: 0
; COMPUTE_PGM_RSRC2:USER_SGPR: 6
; COMPUTE_PGM_RSRC2:TRAP_HANDLER: 0
; COMPUTE_PGM_RSRC2:TGID_X_EN: 1
; COMPUTE_PGM_RSRC2:TGID_Y_EN: 0
; COMPUTE_PGM_RSRC2:TGID_Z_EN: 0
; COMPUTE_PGM_RSRC2:TIDIG_COMP_CNT: 0
; COMPUTE_PGM_RSRC3_GFX90A:ACCUM_OFFSET: 0
; COMPUTE_PGM_RSRC3_GFX90A:TG_SPLIT: 0
	.section	.text._ZN7rocprim17ROCPRIM_400000_NS6detail17trampoline_kernelINS0_14default_configENS1_27scan_by_key_config_selectorIiiEEZZNS1_16scan_by_key_implILNS1_25lookback_scan_determinismE0ELb0ES3_N6thrust23THRUST_200600_302600_NS6detail15normal_iteratorINS9_10device_ptrIiEEEESE_SE_iNS9_10multipliesIiEENS9_8equal_toIiEEiEE10hipError_tPvRmT2_T3_T4_T5_mT6_T7_P12ihipStream_tbENKUlT_T0_E_clISt17integral_constantIbLb0EESY_IbLb1EEEEDaSU_SV_EUlSU_E_NS1_11comp_targetILNS1_3genE10ELNS1_11target_archE1201ELNS1_3gpuE5ELNS1_3repE0EEENS1_30default_config_static_selectorELNS0_4arch9wavefront6targetE1EEEvT1_,"axG",@progbits,_ZN7rocprim17ROCPRIM_400000_NS6detail17trampoline_kernelINS0_14default_configENS1_27scan_by_key_config_selectorIiiEEZZNS1_16scan_by_key_implILNS1_25lookback_scan_determinismE0ELb0ES3_N6thrust23THRUST_200600_302600_NS6detail15normal_iteratorINS9_10device_ptrIiEEEESE_SE_iNS9_10multipliesIiEENS9_8equal_toIiEEiEE10hipError_tPvRmT2_T3_T4_T5_mT6_T7_P12ihipStream_tbENKUlT_T0_E_clISt17integral_constantIbLb0EESY_IbLb1EEEEDaSU_SV_EUlSU_E_NS1_11comp_targetILNS1_3genE10ELNS1_11target_archE1201ELNS1_3gpuE5ELNS1_3repE0EEENS1_30default_config_static_selectorELNS0_4arch9wavefront6targetE1EEEvT1_,comdat
	.protected	_ZN7rocprim17ROCPRIM_400000_NS6detail17trampoline_kernelINS0_14default_configENS1_27scan_by_key_config_selectorIiiEEZZNS1_16scan_by_key_implILNS1_25lookback_scan_determinismE0ELb0ES3_N6thrust23THRUST_200600_302600_NS6detail15normal_iteratorINS9_10device_ptrIiEEEESE_SE_iNS9_10multipliesIiEENS9_8equal_toIiEEiEE10hipError_tPvRmT2_T3_T4_T5_mT6_T7_P12ihipStream_tbENKUlT_T0_E_clISt17integral_constantIbLb0EESY_IbLb1EEEEDaSU_SV_EUlSU_E_NS1_11comp_targetILNS1_3genE10ELNS1_11target_archE1201ELNS1_3gpuE5ELNS1_3repE0EEENS1_30default_config_static_selectorELNS0_4arch9wavefront6targetE1EEEvT1_ ; -- Begin function _ZN7rocprim17ROCPRIM_400000_NS6detail17trampoline_kernelINS0_14default_configENS1_27scan_by_key_config_selectorIiiEEZZNS1_16scan_by_key_implILNS1_25lookback_scan_determinismE0ELb0ES3_N6thrust23THRUST_200600_302600_NS6detail15normal_iteratorINS9_10device_ptrIiEEEESE_SE_iNS9_10multipliesIiEENS9_8equal_toIiEEiEE10hipError_tPvRmT2_T3_T4_T5_mT6_T7_P12ihipStream_tbENKUlT_T0_E_clISt17integral_constantIbLb0EESY_IbLb1EEEEDaSU_SV_EUlSU_E_NS1_11comp_targetILNS1_3genE10ELNS1_11target_archE1201ELNS1_3gpuE5ELNS1_3repE0EEENS1_30default_config_static_selectorELNS0_4arch9wavefront6targetE1EEEvT1_
	.globl	_ZN7rocprim17ROCPRIM_400000_NS6detail17trampoline_kernelINS0_14default_configENS1_27scan_by_key_config_selectorIiiEEZZNS1_16scan_by_key_implILNS1_25lookback_scan_determinismE0ELb0ES3_N6thrust23THRUST_200600_302600_NS6detail15normal_iteratorINS9_10device_ptrIiEEEESE_SE_iNS9_10multipliesIiEENS9_8equal_toIiEEiEE10hipError_tPvRmT2_T3_T4_T5_mT6_T7_P12ihipStream_tbENKUlT_T0_E_clISt17integral_constantIbLb0EESY_IbLb1EEEEDaSU_SV_EUlSU_E_NS1_11comp_targetILNS1_3genE10ELNS1_11target_archE1201ELNS1_3gpuE5ELNS1_3repE0EEENS1_30default_config_static_selectorELNS0_4arch9wavefront6targetE1EEEvT1_
	.p2align	8
	.type	_ZN7rocprim17ROCPRIM_400000_NS6detail17trampoline_kernelINS0_14default_configENS1_27scan_by_key_config_selectorIiiEEZZNS1_16scan_by_key_implILNS1_25lookback_scan_determinismE0ELb0ES3_N6thrust23THRUST_200600_302600_NS6detail15normal_iteratorINS9_10device_ptrIiEEEESE_SE_iNS9_10multipliesIiEENS9_8equal_toIiEEiEE10hipError_tPvRmT2_T3_T4_T5_mT6_T7_P12ihipStream_tbENKUlT_T0_E_clISt17integral_constantIbLb0EESY_IbLb1EEEEDaSU_SV_EUlSU_E_NS1_11comp_targetILNS1_3genE10ELNS1_11target_archE1201ELNS1_3gpuE5ELNS1_3repE0EEENS1_30default_config_static_selectorELNS0_4arch9wavefront6targetE1EEEvT1_,@function
_ZN7rocprim17ROCPRIM_400000_NS6detail17trampoline_kernelINS0_14default_configENS1_27scan_by_key_config_selectorIiiEEZZNS1_16scan_by_key_implILNS1_25lookback_scan_determinismE0ELb0ES3_N6thrust23THRUST_200600_302600_NS6detail15normal_iteratorINS9_10device_ptrIiEEEESE_SE_iNS9_10multipliesIiEENS9_8equal_toIiEEiEE10hipError_tPvRmT2_T3_T4_T5_mT6_T7_P12ihipStream_tbENKUlT_T0_E_clISt17integral_constantIbLb0EESY_IbLb1EEEEDaSU_SV_EUlSU_E_NS1_11comp_targetILNS1_3genE10ELNS1_11target_archE1201ELNS1_3gpuE5ELNS1_3repE0EEENS1_30default_config_static_selectorELNS0_4arch9wavefront6targetE1EEEvT1_: ; @_ZN7rocprim17ROCPRIM_400000_NS6detail17trampoline_kernelINS0_14default_configENS1_27scan_by_key_config_selectorIiiEEZZNS1_16scan_by_key_implILNS1_25lookback_scan_determinismE0ELb0ES3_N6thrust23THRUST_200600_302600_NS6detail15normal_iteratorINS9_10device_ptrIiEEEESE_SE_iNS9_10multipliesIiEENS9_8equal_toIiEEiEE10hipError_tPvRmT2_T3_T4_T5_mT6_T7_P12ihipStream_tbENKUlT_T0_E_clISt17integral_constantIbLb0EESY_IbLb1EEEEDaSU_SV_EUlSU_E_NS1_11comp_targetILNS1_3genE10ELNS1_11target_archE1201ELNS1_3gpuE5ELNS1_3repE0EEENS1_30default_config_static_selectorELNS0_4arch9wavefront6targetE1EEEvT1_
; %bb.0:
	.section	.rodata,"a",@progbits
	.p2align	6, 0x0
	.amdhsa_kernel _ZN7rocprim17ROCPRIM_400000_NS6detail17trampoline_kernelINS0_14default_configENS1_27scan_by_key_config_selectorIiiEEZZNS1_16scan_by_key_implILNS1_25lookback_scan_determinismE0ELb0ES3_N6thrust23THRUST_200600_302600_NS6detail15normal_iteratorINS9_10device_ptrIiEEEESE_SE_iNS9_10multipliesIiEENS9_8equal_toIiEEiEE10hipError_tPvRmT2_T3_T4_T5_mT6_T7_P12ihipStream_tbENKUlT_T0_E_clISt17integral_constantIbLb0EESY_IbLb1EEEEDaSU_SV_EUlSU_E_NS1_11comp_targetILNS1_3genE10ELNS1_11target_archE1201ELNS1_3gpuE5ELNS1_3repE0EEENS1_30default_config_static_selectorELNS0_4arch9wavefront6targetE1EEEvT1_
		.amdhsa_group_segment_fixed_size 0
		.amdhsa_private_segment_fixed_size 0
		.amdhsa_kernarg_size 112
		.amdhsa_user_sgpr_count 6
		.amdhsa_user_sgpr_private_segment_buffer 1
		.amdhsa_user_sgpr_dispatch_ptr 0
		.amdhsa_user_sgpr_queue_ptr 0
		.amdhsa_user_sgpr_kernarg_segment_ptr 1
		.amdhsa_user_sgpr_dispatch_id 0
		.amdhsa_user_sgpr_flat_scratch_init 0
		.amdhsa_user_sgpr_kernarg_preload_length 0
		.amdhsa_user_sgpr_kernarg_preload_offset 0
		.amdhsa_user_sgpr_private_segment_size 0
		.amdhsa_uses_dynamic_stack 0
		.amdhsa_system_sgpr_private_segment_wavefront_offset 0
		.amdhsa_system_sgpr_workgroup_id_x 1
		.amdhsa_system_sgpr_workgroup_id_y 0
		.amdhsa_system_sgpr_workgroup_id_z 0
		.amdhsa_system_sgpr_workgroup_info 0
		.amdhsa_system_vgpr_workitem_id 0
		.amdhsa_next_free_vgpr 1
		.amdhsa_next_free_sgpr 0
		.amdhsa_accum_offset 4
		.amdhsa_reserve_vcc 0
		.amdhsa_reserve_flat_scratch 0
		.amdhsa_float_round_mode_32 0
		.amdhsa_float_round_mode_16_64 0
		.amdhsa_float_denorm_mode_32 3
		.amdhsa_float_denorm_mode_16_64 3
		.amdhsa_dx10_clamp 1
		.amdhsa_ieee_mode 1
		.amdhsa_fp16_overflow 0
		.amdhsa_tg_split 0
		.amdhsa_exception_fp_ieee_invalid_op 0
		.amdhsa_exception_fp_denorm_src 0
		.amdhsa_exception_fp_ieee_div_zero 0
		.amdhsa_exception_fp_ieee_overflow 0
		.amdhsa_exception_fp_ieee_underflow 0
		.amdhsa_exception_fp_ieee_inexact 0
		.amdhsa_exception_int_div_zero 0
	.end_amdhsa_kernel
	.section	.text._ZN7rocprim17ROCPRIM_400000_NS6detail17trampoline_kernelINS0_14default_configENS1_27scan_by_key_config_selectorIiiEEZZNS1_16scan_by_key_implILNS1_25lookback_scan_determinismE0ELb0ES3_N6thrust23THRUST_200600_302600_NS6detail15normal_iteratorINS9_10device_ptrIiEEEESE_SE_iNS9_10multipliesIiEENS9_8equal_toIiEEiEE10hipError_tPvRmT2_T3_T4_T5_mT6_T7_P12ihipStream_tbENKUlT_T0_E_clISt17integral_constantIbLb0EESY_IbLb1EEEEDaSU_SV_EUlSU_E_NS1_11comp_targetILNS1_3genE10ELNS1_11target_archE1201ELNS1_3gpuE5ELNS1_3repE0EEENS1_30default_config_static_selectorELNS0_4arch9wavefront6targetE1EEEvT1_,"axG",@progbits,_ZN7rocprim17ROCPRIM_400000_NS6detail17trampoline_kernelINS0_14default_configENS1_27scan_by_key_config_selectorIiiEEZZNS1_16scan_by_key_implILNS1_25lookback_scan_determinismE0ELb0ES3_N6thrust23THRUST_200600_302600_NS6detail15normal_iteratorINS9_10device_ptrIiEEEESE_SE_iNS9_10multipliesIiEENS9_8equal_toIiEEiEE10hipError_tPvRmT2_T3_T4_T5_mT6_T7_P12ihipStream_tbENKUlT_T0_E_clISt17integral_constantIbLb0EESY_IbLb1EEEEDaSU_SV_EUlSU_E_NS1_11comp_targetILNS1_3genE10ELNS1_11target_archE1201ELNS1_3gpuE5ELNS1_3repE0EEENS1_30default_config_static_selectorELNS0_4arch9wavefront6targetE1EEEvT1_,comdat
.Lfunc_end192:
	.size	_ZN7rocprim17ROCPRIM_400000_NS6detail17trampoline_kernelINS0_14default_configENS1_27scan_by_key_config_selectorIiiEEZZNS1_16scan_by_key_implILNS1_25lookback_scan_determinismE0ELb0ES3_N6thrust23THRUST_200600_302600_NS6detail15normal_iteratorINS9_10device_ptrIiEEEESE_SE_iNS9_10multipliesIiEENS9_8equal_toIiEEiEE10hipError_tPvRmT2_T3_T4_T5_mT6_T7_P12ihipStream_tbENKUlT_T0_E_clISt17integral_constantIbLb0EESY_IbLb1EEEEDaSU_SV_EUlSU_E_NS1_11comp_targetILNS1_3genE10ELNS1_11target_archE1201ELNS1_3gpuE5ELNS1_3repE0EEENS1_30default_config_static_selectorELNS0_4arch9wavefront6targetE1EEEvT1_, .Lfunc_end192-_ZN7rocprim17ROCPRIM_400000_NS6detail17trampoline_kernelINS0_14default_configENS1_27scan_by_key_config_selectorIiiEEZZNS1_16scan_by_key_implILNS1_25lookback_scan_determinismE0ELb0ES3_N6thrust23THRUST_200600_302600_NS6detail15normal_iteratorINS9_10device_ptrIiEEEESE_SE_iNS9_10multipliesIiEENS9_8equal_toIiEEiEE10hipError_tPvRmT2_T3_T4_T5_mT6_T7_P12ihipStream_tbENKUlT_T0_E_clISt17integral_constantIbLb0EESY_IbLb1EEEEDaSU_SV_EUlSU_E_NS1_11comp_targetILNS1_3genE10ELNS1_11target_archE1201ELNS1_3gpuE5ELNS1_3repE0EEENS1_30default_config_static_selectorELNS0_4arch9wavefront6targetE1EEEvT1_
                                        ; -- End function
	.section	.AMDGPU.csdata,"",@progbits
; Kernel info:
; codeLenInByte = 0
; NumSgprs: 4
; NumVgprs: 0
; NumAgprs: 0
; TotalNumVgprs: 0
; ScratchSize: 0
; MemoryBound: 0
; FloatMode: 240
; IeeeMode: 1
; LDSByteSize: 0 bytes/workgroup (compile time only)
; SGPRBlocks: 0
; VGPRBlocks: 0
; NumSGPRsForWavesPerEU: 4
; NumVGPRsForWavesPerEU: 1
; AccumOffset: 4
; Occupancy: 8
; WaveLimiterHint : 0
; COMPUTE_PGM_RSRC2:SCRATCH_EN: 0
; COMPUTE_PGM_RSRC2:USER_SGPR: 6
; COMPUTE_PGM_RSRC2:TRAP_HANDLER: 0
; COMPUTE_PGM_RSRC2:TGID_X_EN: 1
; COMPUTE_PGM_RSRC2:TGID_Y_EN: 0
; COMPUTE_PGM_RSRC2:TGID_Z_EN: 0
; COMPUTE_PGM_RSRC2:TIDIG_COMP_CNT: 0
; COMPUTE_PGM_RSRC3_GFX90A:ACCUM_OFFSET: 0
; COMPUTE_PGM_RSRC3_GFX90A:TG_SPLIT: 0
	.section	.text._ZN7rocprim17ROCPRIM_400000_NS6detail17trampoline_kernelINS0_14default_configENS1_27scan_by_key_config_selectorIiiEEZZNS1_16scan_by_key_implILNS1_25lookback_scan_determinismE0ELb0ES3_N6thrust23THRUST_200600_302600_NS6detail15normal_iteratorINS9_10device_ptrIiEEEESE_SE_iNS9_10multipliesIiEENS9_8equal_toIiEEiEE10hipError_tPvRmT2_T3_T4_T5_mT6_T7_P12ihipStream_tbENKUlT_T0_E_clISt17integral_constantIbLb0EESY_IbLb1EEEEDaSU_SV_EUlSU_E_NS1_11comp_targetILNS1_3genE5ELNS1_11target_archE942ELNS1_3gpuE9ELNS1_3repE0EEENS1_30default_config_static_selectorELNS0_4arch9wavefront6targetE1EEEvT1_,"axG",@progbits,_ZN7rocprim17ROCPRIM_400000_NS6detail17trampoline_kernelINS0_14default_configENS1_27scan_by_key_config_selectorIiiEEZZNS1_16scan_by_key_implILNS1_25lookback_scan_determinismE0ELb0ES3_N6thrust23THRUST_200600_302600_NS6detail15normal_iteratorINS9_10device_ptrIiEEEESE_SE_iNS9_10multipliesIiEENS9_8equal_toIiEEiEE10hipError_tPvRmT2_T3_T4_T5_mT6_T7_P12ihipStream_tbENKUlT_T0_E_clISt17integral_constantIbLb0EESY_IbLb1EEEEDaSU_SV_EUlSU_E_NS1_11comp_targetILNS1_3genE5ELNS1_11target_archE942ELNS1_3gpuE9ELNS1_3repE0EEENS1_30default_config_static_selectorELNS0_4arch9wavefront6targetE1EEEvT1_,comdat
	.protected	_ZN7rocprim17ROCPRIM_400000_NS6detail17trampoline_kernelINS0_14default_configENS1_27scan_by_key_config_selectorIiiEEZZNS1_16scan_by_key_implILNS1_25lookback_scan_determinismE0ELb0ES3_N6thrust23THRUST_200600_302600_NS6detail15normal_iteratorINS9_10device_ptrIiEEEESE_SE_iNS9_10multipliesIiEENS9_8equal_toIiEEiEE10hipError_tPvRmT2_T3_T4_T5_mT6_T7_P12ihipStream_tbENKUlT_T0_E_clISt17integral_constantIbLb0EESY_IbLb1EEEEDaSU_SV_EUlSU_E_NS1_11comp_targetILNS1_3genE5ELNS1_11target_archE942ELNS1_3gpuE9ELNS1_3repE0EEENS1_30default_config_static_selectorELNS0_4arch9wavefront6targetE1EEEvT1_ ; -- Begin function _ZN7rocprim17ROCPRIM_400000_NS6detail17trampoline_kernelINS0_14default_configENS1_27scan_by_key_config_selectorIiiEEZZNS1_16scan_by_key_implILNS1_25lookback_scan_determinismE0ELb0ES3_N6thrust23THRUST_200600_302600_NS6detail15normal_iteratorINS9_10device_ptrIiEEEESE_SE_iNS9_10multipliesIiEENS9_8equal_toIiEEiEE10hipError_tPvRmT2_T3_T4_T5_mT6_T7_P12ihipStream_tbENKUlT_T0_E_clISt17integral_constantIbLb0EESY_IbLb1EEEEDaSU_SV_EUlSU_E_NS1_11comp_targetILNS1_3genE5ELNS1_11target_archE942ELNS1_3gpuE9ELNS1_3repE0EEENS1_30default_config_static_selectorELNS0_4arch9wavefront6targetE1EEEvT1_
	.globl	_ZN7rocprim17ROCPRIM_400000_NS6detail17trampoline_kernelINS0_14default_configENS1_27scan_by_key_config_selectorIiiEEZZNS1_16scan_by_key_implILNS1_25lookback_scan_determinismE0ELb0ES3_N6thrust23THRUST_200600_302600_NS6detail15normal_iteratorINS9_10device_ptrIiEEEESE_SE_iNS9_10multipliesIiEENS9_8equal_toIiEEiEE10hipError_tPvRmT2_T3_T4_T5_mT6_T7_P12ihipStream_tbENKUlT_T0_E_clISt17integral_constantIbLb0EESY_IbLb1EEEEDaSU_SV_EUlSU_E_NS1_11comp_targetILNS1_3genE5ELNS1_11target_archE942ELNS1_3gpuE9ELNS1_3repE0EEENS1_30default_config_static_selectorELNS0_4arch9wavefront6targetE1EEEvT1_
	.p2align	8
	.type	_ZN7rocprim17ROCPRIM_400000_NS6detail17trampoline_kernelINS0_14default_configENS1_27scan_by_key_config_selectorIiiEEZZNS1_16scan_by_key_implILNS1_25lookback_scan_determinismE0ELb0ES3_N6thrust23THRUST_200600_302600_NS6detail15normal_iteratorINS9_10device_ptrIiEEEESE_SE_iNS9_10multipliesIiEENS9_8equal_toIiEEiEE10hipError_tPvRmT2_T3_T4_T5_mT6_T7_P12ihipStream_tbENKUlT_T0_E_clISt17integral_constantIbLb0EESY_IbLb1EEEEDaSU_SV_EUlSU_E_NS1_11comp_targetILNS1_3genE5ELNS1_11target_archE942ELNS1_3gpuE9ELNS1_3repE0EEENS1_30default_config_static_selectorELNS0_4arch9wavefront6targetE1EEEvT1_,@function
_ZN7rocprim17ROCPRIM_400000_NS6detail17trampoline_kernelINS0_14default_configENS1_27scan_by_key_config_selectorIiiEEZZNS1_16scan_by_key_implILNS1_25lookback_scan_determinismE0ELb0ES3_N6thrust23THRUST_200600_302600_NS6detail15normal_iteratorINS9_10device_ptrIiEEEESE_SE_iNS9_10multipliesIiEENS9_8equal_toIiEEiEE10hipError_tPvRmT2_T3_T4_T5_mT6_T7_P12ihipStream_tbENKUlT_T0_E_clISt17integral_constantIbLb0EESY_IbLb1EEEEDaSU_SV_EUlSU_E_NS1_11comp_targetILNS1_3genE5ELNS1_11target_archE942ELNS1_3gpuE9ELNS1_3repE0EEENS1_30default_config_static_selectorELNS0_4arch9wavefront6targetE1EEEvT1_: ; @_ZN7rocprim17ROCPRIM_400000_NS6detail17trampoline_kernelINS0_14default_configENS1_27scan_by_key_config_selectorIiiEEZZNS1_16scan_by_key_implILNS1_25lookback_scan_determinismE0ELb0ES3_N6thrust23THRUST_200600_302600_NS6detail15normal_iteratorINS9_10device_ptrIiEEEESE_SE_iNS9_10multipliesIiEENS9_8equal_toIiEEiEE10hipError_tPvRmT2_T3_T4_T5_mT6_T7_P12ihipStream_tbENKUlT_T0_E_clISt17integral_constantIbLb0EESY_IbLb1EEEEDaSU_SV_EUlSU_E_NS1_11comp_targetILNS1_3genE5ELNS1_11target_archE942ELNS1_3gpuE9ELNS1_3repE0EEENS1_30default_config_static_selectorELNS0_4arch9wavefront6targetE1EEEvT1_
; %bb.0:
	.section	.rodata,"a",@progbits
	.p2align	6, 0x0
	.amdhsa_kernel _ZN7rocprim17ROCPRIM_400000_NS6detail17trampoline_kernelINS0_14default_configENS1_27scan_by_key_config_selectorIiiEEZZNS1_16scan_by_key_implILNS1_25lookback_scan_determinismE0ELb0ES3_N6thrust23THRUST_200600_302600_NS6detail15normal_iteratorINS9_10device_ptrIiEEEESE_SE_iNS9_10multipliesIiEENS9_8equal_toIiEEiEE10hipError_tPvRmT2_T3_T4_T5_mT6_T7_P12ihipStream_tbENKUlT_T0_E_clISt17integral_constantIbLb0EESY_IbLb1EEEEDaSU_SV_EUlSU_E_NS1_11comp_targetILNS1_3genE5ELNS1_11target_archE942ELNS1_3gpuE9ELNS1_3repE0EEENS1_30default_config_static_selectorELNS0_4arch9wavefront6targetE1EEEvT1_
		.amdhsa_group_segment_fixed_size 0
		.amdhsa_private_segment_fixed_size 0
		.amdhsa_kernarg_size 112
		.amdhsa_user_sgpr_count 6
		.amdhsa_user_sgpr_private_segment_buffer 1
		.amdhsa_user_sgpr_dispatch_ptr 0
		.amdhsa_user_sgpr_queue_ptr 0
		.amdhsa_user_sgpr_kernarg_segment_ptr 1
		.amdhsa_user_sgpr_dispatch_id 0
		.amdhsa_user_sgpr_flat_scratch_init 0
		.amdhsa_user_sgpr_kernarg_preload_length 0
		.amdhsa_user_sgpr_kernarg_preload_offset 0
		.amdhsa_user_sgpr_private_segment_size 0
		.amdhsa_uses_dynamic_stack 0
		.amdhsa_system_sgpr_private_segment_wavefront_offset 0
		.amdhsa_system_sgpr_workgroup_id_x 1
		.amdhsa_system_sgpr_workgroup_id_y 0
		.amdhsa_system_sgpr_workgroup_id_z 0
		.amdhsa_system_sgpr_workgroup_info 0
		.amdhsa_system_vgpr_workitem_id 0
		.amdhsa_next_free_vgpr 1
		.amdhsa_next_free_sgpr 0
		.amdhsa_accum_offset 4
		.amdhsa_reserve_vcc 0
		.amdhsa_reserve_flat_scratch 0
		.amdhsa_float_round_mode_32 0
		.amdhsa_float_round_mode_16_64 0
		.amdhsa_float_denorm_mode_32 3
		.amdhsa_float_denorm_mode_16_64 3
		.amdhsa_dx10_clamp 1
		.amdhsa_ieee_mode 1
		.amdhsa_fp16_overflow 0
		.amdhsa_tg_split 0
		.amdhsa_exception_fp_ieee_invalid_op 0
		.amdhsa_exception_fp_denorm_src 0
		.amdhsa_exception_fp_ieee_div_zero 0
		.amdhsa_exception_fp_ieee_overflow 0
		.amdhsa_exception_fp_ieee_underflow 0
		.amdhsa_exception_fp_ieee_inexact 0
		.amdhsa_exception_int_div_zero 0
	.end_amdhsa_kernel
	.section	.text._ZN7rocprim17ROCPRIM_400000_NS6detail17trampoline_kernelINS0_14default_configENS1_27scan_by_key_config_selectorIiiEEZZNS1_16scan_by_key_implILNS1_25lookback_scan_determinismE0ELb0ES3_N6thrust23THRUST_200600_302600_NS6detail15normal_iteratorINS9_10device_ptrIiEEEESE_SE_iNS9_10multipliesIiEENS9_8equal_toIiEEiEE10hipError_tPvRmT2_T3_T4_T5_mT6_T7_P12ihipStream_tbENKUlT_T0_E_clISt17integral_constantIbLb0EESY_IbLb1EEEEDaSU_SV_EUlSU_E_NS1_11comp_targetILNS1_3genE5ELNS1_11target_archE942ELNS1_3gpuE9ELNS1_3repE0EEENS1_30default_config_static_selectorELNS0_4arch9wavefront6targetE1EEEvT1_,"axG",@progbits,_ZN7rocprim17ROCPRIM_400000_NS6detail17trampoline_kernelINS0_14default_configENS1_27scan_by_key_config_selectorIiiEEZZNS1_16scan_by_key_implILNS1_25lookback_scan_determinismE0ELb0ES3_N6thrust23THRUST_200600_302600_NS6detail15normal_iteratorINS9_10device_ptrIiEEEESE_SE_iNS9_10multipliesIiEENS9_8equal_toIiEEiEE10hipError_tPvRmT2_T3_T4_T5_mT6_T7_P12ihipStream_tbENKUlT_T0_E_clISt17integral_constantIbLb0EESY_IbLb1EEEEDaSU_SV_EUlSU_E_NS1_11comp_targetILNS1_3genE5ELNS1_11target_archE942ELNS1_3gpuE9ELNS1_3repE0EEENS1_30default_config_static_selectorELNS0_4arch9wavefront6targetE1EEEvT1_,comdat
.Lfunc_end193:
	.size	_ZN7rocprim17ROCPRIM_400000_NS6detail17trampoline_kernelINS0_14default_configENS1_27scan_by_key_config_selectorIiiEEZZNS1_16scan_by_key_implILNS1_25lookback_scan_determinismE0ELb0ES3_N6thrust23THRUST_200600_302600_NS6detail15normal_iteratorINS9_10device_ptrIiEEEESE_SE_iNS9_10multipliesIiEENS9_8equal_toIiEEiEE10hipError_tPvRmT2_T3_T4_T5_mT6_T7_P12ihipStream_tbENKUlT_T0_E_clISt17integral_constantIbLb0EESY_IbLb1EEEEDaSU_SV_EUlSU_E_NS1_11comp_targetILNS1_3genE5ELNS1_11target_archE942ELNS1_3gpuE9ELNS1_3repE0EEENS1_30default_config_static_selectorELNS0_4arch9wavefront6targetE1EEEvT1_, .Lfunc_end193-_ZN7rocprim17ROCPRIM_400000_NS6detail17trampoline_kernelINS0_14default_configENS1_27scan_by_key_config_selectorIiiEEZZNS1_16scan_by_key_implILNS1_25lookback_scan_determinismE0ELb0ES3_N6thrust23THRUST_200600_302600_NS6detail15normal_iteratorINS9_10device_ptrIiEEEESE_SE_iNS9_10multipliesIiEENS9_8equal_toIiEEiEE10hipError_tPvRmT2_T3_T4_T5_mT6_T7_P12ihipStream_tbENKUlT_T0_E_clISt17integral_constantIbLb0EESY_IbLb1EEEEDaSU_SV_EUlSU_E_NS1_11comp_targetILNS1_3genE5ELNS1_11target_archE942ELNS1_3gpuE9ELNS1_3repE0EEENS1_30default_config_static_selectorELNS0_4arch9wavefront6targetE1EEEvT1_
                                        ; -- End function
	.section	.AMDGPU.csdata,"",@progbits
; Kernel info:
; codeLenInByte = 0
; NumSgprs: 4
; NumVgprs: 0
; NumAgprs: 0
; TotalNumVgprs: 0
; ScratchSize: 0
; MemoryBound: 0
; FloatMode: 240
; IeeeMode: 1
; LDSByteSize: 0 bytes/workgroup (compile time only)
; SGPRBlocks: 0
; VGPRBlocks: 0
; NumSGPRsForWavesPerEU: 4
; NumVGPRsForWavesPerEU: 1
; AccumOffset: 4
; Occupancy: 8
; WaveLimiterHint : 0
; COMPUTE_PGM_RSRC2:SCRATCH_EN: 0
; COMPUTE_PGM_RSRC2:USER_SGPR: 6
; COMPUTE_PGM_RSRC2:TRAP_HANDLER: 0
; COMPUTE_PGM_RSRC2:TGID_X_EN: 1
; COMPUTE_PGM_RSRC2:TGID_Y_EN: 0
; COMPUTE_PGM_RSRC2:TGID_Z_EN: 0
; COMPUTE_PGM_RSRC2:TIDIG_COMP_CNT: 0
; COMPUTE_PGM_RSRC3_GFX90A:ACCUM_OFFSET: 0
; COMPUTE_PGM_RSRC3_GFX90A:TG_SPLIT: 0
	.section	.text._ZN7rocprim17ROCPRIM_400000_NS6detail17trampoline_kernelINS0_14default_configENS1_27scan_by_key_config_selectorIiiEEZZNS1_16scan_by_key_implILNS1_25lookback_scan_determinismE0ELb0ES3_N6thrust23THRUST_200600_302600_NS6detail15normal_iteratorINS9_10device_ptrIiEEEESE_SE_iNS9_10multipliesIiEENS9_8equal_toIiEEiEE10hipError_tPvRmT2_T3_T4_T5_mT6_T7_P12ihipStream_tbENKUlT_T0_E_clISt17integral_constantIbLb0EESY_IbLb1EEEEDaSU_SV_EUlSU_E_NS1_11comp_targetILNS1_3genE4ELNS1_11target_archE910ELNS1_3gpuE8ELNS1_3repE0EEENS1_30default_config_static_selectorELNS0_4arch9wavefront6targetE1EEEvT1_,"axG",@progbits,_ZN7rocprim17ROCPRIM_400000_NS6detail17trampoline_kernelINS0_14default_configENS1_27scan_by_key_config_selectorIiiEEZZNS1_16scan_by_key_implILNS1_25lookback_scan_determinismE0ELb0ES3_N6thrust23THRUST_200600_302600_NS6detail15normal_iteratorINS9_10device_ptrIiEEEESE_SE_iNS9_10multipliesIiEENS9_8equal_toIiEEiEE10hipError_tPvRmT2_T3_T4_T5_mT6_T7_P12ihipStream_tbENKUlT_T0_E_clISt17integral_constantIbLb0EESY_IbLb1EEEEDaSU_SV_EUlSU_E_NS1_11comp_targetILNS1_3genE4ELNS1_11target_archE910ELNS1_3gpuE8ELNS1_3repE0EEENS1_30default_config_static_selectorELNS0_4arch9wavefront6targetE1EEEvT1_,comdat
	.protected	_ZN7rocprim17ROCPRIM_400000_NS6detail17trampoline_kernelINS0_14default_configENS1_27scan_by_key_config_selectorIiiEEZZNS1_16scan_by_key_implILNS1_25lookback_scan_determinismE0ELb0ES3_N6thrust23THRUST_200600_302600_NS6detail15normal_iteratorINS9_10device_ptrIiEEEESE_SE_iNS9_10multipliesIiEENS9_8equal_toIiEEiEE10hipError_tPvRmT2_T3_T4_T5_mT6_T7_P12ihipStream_tbENKUlT_T0_E_clISt17integral_constantIbLb0EESY_IbLb1EEEEDaSU_SV_EUlSU_E_NS1_11comp_targetILNS1_3genE4ELNS1_11target_archE910ELNS1_3gpuE8ELNS1_3repE0EEENS1_30default_config_static_selectorELNS0_4arch9wavefront6targetE1EEEvT1_ ; -- Begin function _ZN7rocprim17ROCPRIM_400000_NS6detail17trampoline_kernelINS0_14default_configENS1_27scan_by_key_config_selectorIiiEEZZNS1_16scan_by_key_implILNS1_25lookback_scan_determinismE0ELb0ES3_N6thrust23THRUST_200600_302600_NS6detail15normal_iteratorINS9_10device_ptrIiEEEESE_SE_iNS9_10multipliesIiEENS9_8equal_toIiEEiEE10hipError_tPvRmT2_T3_T4_T5_mT6_T7_P12ihipStream_tbENKUlT_T0_E_clISt17integral_constantIbLb0EESY_IbLb1EEEEDaSU_SV_EUlSU_E_NS1_11comp_targetILNS1_3genE4ELNS1_11target_archE910ELNS1_3gpuE8ELNS1_3repE0EEENS1_30default_config_static_selectorELNS0_4arch9wavefront6targetE1EEEvT1_
	.globl	_ZN7rocprim17ROCPRIM_400000_NS6detail17trampoline_kernelINS0_14default_configENS1_27scan_by_key_config_selectorIiiEEZZNS1_16scan_by_key_implILNS1_25lookback_scan_determinismE0ELb0ES3_N6thrust23THRUST_200600_302600_NS6detail15normal_iteratorINS9_10device_ptrIiEEEESE_SE_iNS9_10multipliesIiEENS9_8equal_toIiEEiEE10hipError_tPvRmT2_T3_T4_T5_mT6_T7_P12ihipStream_tbENKUlT_T0_E_clISt17integral_constantIbLb0EESY_IbLb1EEEEDaSU_SV_EUlSU_E_NS1_11comp_targetILNS1_3genE4ELNS1_11target_archE910ELNS1_3gpuE8ELNS1_3repE0EEENS1_30default_config_static_selectorELNS0_4arch9wavefront6targetE1EEEvT1_
	.p2align	8
	.type	_ZN7rocprim17ROCPRIM_400000_NS6detail17trampoline_kernelINS0_14default_configENS1_27scan_by_key_config_selectorIiiEEZZNS1_16scan_by_key_implILNS1_25lookback_scan_determinismE0ELb0ES3_N6thrust23THRUST_200600_302600_NS6detail15normal_iteratorINS9_10device_ptrIiEEEESE_SE_iNS9_10multipliesIiEENS9_8equal_toIiEEiEE10hipError_tPvRmT2_T3_T4_T5_mT6_T7_P12ihipStream_tbENKUlT_T0_E_clISt17integral_constantIbLb0EESY_IbLb1EEEEDaSU_SV_EUlSU_E_NS1_11comp_targetILNS1_3genE4ELNS1_11target_archE910ELNS1_3gpuE8ELNS1_3repE0EEENS1_30default_config_static_selectorELNS0_4arch9wavefront6targetE1EEEvT1_,@function
_ZN7rocprim17ROCPRIM_400000_NS6detail17trampoline_kernelINS0_14default_configENS1_27scan_by_key_config_selectorIiiEEZZNS1_16scan_by_key_implILNS1_25lookback_scan_determinismE0ELb0ES3_N6thrust23THRUST_200600_302600_NS6detail15normal_iteratorINS9_10device_ptrIiEEEESE_SE_iNS9_10multipliesIiEENS9_8equal_toIiEEiEE10hipError_tPvRmT2_T3_T4_T5_mT6_T7_P12ihipStream_tbENKUlT_T0_E_clISt17integral_constantIbLb0EESY_IbLb1EEEEDaSU_SV_EUlSU_E_NS1_11comp_targetILNS1_3genE4ELNS1_11target_archE910ELNS1_3gpuE8ELNS1_3repE0EEENS1_30default_config_static_selectorELNS0_4arch9wavefront6targetE1EEEvT1_: ; @_ZN7rocprim17ROCPRIM_400000_NS6detail17trampoline_kernelINS0_14default_configENS1_27scan_by_key_config_selectorIiiEEZZNS1_16scan_by_key_implILNS1_25lookback_scan_determinismE0ELb0ES3_N6thrust23THRUST_200600_302600_NS6detail15normal_iteratorINS9_10device_ptrIiEEEESE_SE_iNS9_10multipliesIiEENS9_8equal_toIiEEiEE10hipError_tPvRmT2_T3_T4_T5_mT6_T7_P12ihipStream_tbENKUlT_T0_E_clISt17integral_constantIbLb0EESY_IbLb1EEEEDaSU_SV_EUlSU_E_NS1_11comp_targetILNS1_3genE4ELNS1_11target_archE910ELNS1_3gpuE8ELNS1_3repE0EEENS1_30default_config_static_selectorELNS0_4arch9wavefront6targetE1EEEvT1_
; %bb.0:
	s_load_dwordx4 s[56:59], s[4:5], 0x28
	s_load_dwordx2 s[60:61], s[4:5], 0x38
	v_cmp_ne_u32_e64 s[36:37], 0, v0
	v_cmp_eq_u32_e64 s[0:1], 0, v0
	s_and_saveexec_b64 s[2:3], s[0:1]
	s_cbranch_execz .LBB194_4
; %bb.1:
	s_mov_b64 s[8:9], exec
	v_mbcnt_lo_u32_b32 v1, s8, 0
	v_mbcnt_hi_u32_b32 v1, s9, v1
	v_cmp_eq_u32_e32 vcc, 0, v1
                                        ; implicit-def: $vgpr2
	s_and_saveexec_b64 s[6:7], vcc
	s_cbranch_execz .LBB194_3
; %bb.2:
	s_load_dwordx2 s[10:11], s[4:5], 0x68
	s_bcnt1_i32_b64 s8, s[8:9]
	v_mov_b32_e32 v2, 0
	v_mov_b32_e32 v3, s8
	s_waitcnt lgkmcnt(0)
	global_atomic_add v2, v2, v3, s[10:11] glc
.LBB194_3:
	s_or_b64 exec, exec, s[6:7]
	s_waitcnt vmcnt(0)
	v_readfirstlane_b32 s6, v2
	v_add_u32_e32 v1, s6, v1
	v_mov_b32_e32 v2, 0
	ds_write_b32 v2, v1
.LBB194_4:
	s_or_b64 exec, exec, s[2:3]
	s_load_dwordx8 s[40:47], s[4:5], 0x0
	s_load_dword s2, s[4:5], 0x40
	s_load_dwordx8 s[48:55], s[4:5], 0x48
	v_mov_b32_e32 v1, 0
	s_waitcnt lgkmcnt(0)
	s_barrier
	ds_read_b32 v1, v1
	s_lshl_b64 s[38:39], s[42:43], 2
	s_add_u32 s4, s40, s38
	s_addc_u32 s5, s41, s39
	s_add_u32 s6, s44, s38
	s_mul_i32 s3, s61, s2
	s_mul_hi_u32 s8, s60, s2
	s_addc_u32 s7, s45, s39
	s_add_i32 s8, s8, s3
	s_waitcnt lgkmcnt(0)
	v_readfirstlane_b32 s59, v1
	s_mul_i32 s9, s60, s2
	s_cmp_lg_u64 s[52:53], 0
	s_mov_b32 s3, 0
	s_mul_i32 s2, s59, 0xe00
	s_cselect_b64 s[44:45], -1, 0
	s_lshl_b64 s[40:41], s[2:3], 2
	s_add_u32 s42, s4, s40
	s_addc_u32 s43, s5, s41
	s_add_u32 s62, s6, s40
	s_addc_u32 s63, s7, s41
	;; [unrolled: 2-line block ×3, first 2 shown]
	s_add_u32 s4, s48, -1
	s_addc_u32 s5, s49, -1
	v_pk_mov_b32 v[2:3], s[4:5], s[4:5] op_sel:[0,1]
	v_cmp_ge_u64_e64 s[2:3], s[52:53], v[2:3]
	s_mov_b64 s[18:19], 0
	s_mov_b64 s[12:13], -1
	s_and_b64 vcc, exec, s[2:3]
	s_mul_i32 s33, s4, 0xfffff200
	s_barrier
	s_barrier
	s_cbranch_vccz .LBB194_81
; %bb.5:
	v_pk_mov_b32 v[2:3], s[42:43], s[42:43] op_sel:[0,1]
	flat_load_dword v1, v[2:3]
	s_add_i32 s64, s33, s58
	v_cmp_gt_u32_e64 s[6:7], s64, v0
	s_waitcnt vmcnt(0) lgkmcnt(0)
	v_mov_b32_e32 v13, v1
	s_and_saveexec_b64 s[4:5], s[6:7]
	s_cbranch_execz .LBB194_7
; %bb.6:
	v_lshlrev_b32_e32 v2, 2, v0
	v_mov_b32_e32 v3, s43
	v_add_co_u32_e32 v2, vcc, s42, v2
	v_addc_co_u32_e32 v3, vcc, 0, v3, vcc
	flat_load_dword v13, v[2:3]
.LBB194_7:
	s_or_b64 exec, exec, s[4:5]
	v_or_b32_e32 v2, 0x100, v0
	v_cmp_gt_u32_e64 s[8:9], s64, v2
	v_mov_b32_e32 v14, v1
	s_and_saveexec_b64 s[4:5], s[8:9]
	s_cbranch_execz .LBB194_9
; %bb.8:
	v_lshlrev_b32_e32 v2, 2, v0
	v_mov_b32_e32 v3, s43
	v_add_co_u32_e32 v2, vcc, s42, v2
	v_addc_co_u32_e32 v3, vcc, 0, v3, vcc
	flat_load_dword v14, v[2:3] offset:1024
.LBB194_9:
	s_or_b64 exec, exec, s[4:5]
	v_or_b32_e32 v2, 0x200, v0
	v_cmp_gt_u32_e64 s[10:11], s64, v2
	v_mov_b32_e32 v15, v1
	s_and_saveexec_b64 s[4:5], s[10:11]
	s_cbranch_execz .LBB194_11
; %bb.10:
	v_lshlrev_b32_e32 v2, 2, v0
	v_mov_b32_e32 v3, s43
	v_add_co_u32_e32 v2, vcc, s42, v2
	v_addc_co_u32_e32 v3, vcc, 0, v3, vcc
	flat_load_dword v15, v[2:3] offset:2048
.LBB194_11:
	;; [unrolled: 13-line block ×3, first 2 shown]
	s_or_b64 exec, exec, s[4:5]
	v_or_b32_e32 v2, 0x400, v0
	v_cmp_gt_u32_e64 s[14:15], s64, v2
	v_lshlrev_b32_e32 v2, 2, v2
	v_mov_b32_e32 v17, v1
	s_and_saveexec_b64 s[4:5], s[14:15]
	s_cbranch_execz .LBB194_15
; %bb.14:
	v_mov_b32_e32 v3, s43
	v_add_co_u32_e32 v4, vcc, s42, v2
	v_addc_co_u32_e32 v5, vcc, 0, v3, vcc
	flat_load_dword v17, v[4:5]
.LBB194_15:
	s_or_b64 exec, exec, s[4:5]
	v_or_b32_e32 v3, 0x500, v0
	v_cmp_gt_u32_e64 s[16:17], s64, v3
	v_lshlrev_b32_e32 v3, 2, v3
	v_mov_b32_e32 v18, v1
	s_and_saveexec_b64 s[4:5], s[16:17]
	s_cbranch_execz .LBB194_17
; %bb.16:
	v_mov_b32_e32 v5, s43
	v_add_co_u32_e32 v4, vcc, s42, v3
	v_addc_co_u32_e32 v5, vcc, 0, v5, vcc
	flat_load_dword v18, v[4:5]
.LBB194_17:
	;; [unrolled: 13-line block ×9, first 2 shown]
	s_or_b64 exec, exec, s[4:5]
	v_or_b32_e32 v11, 0xd00, v0
	v_cmp_gt_u32_e64 s[34:35], s64, v11
	v_lshlrev_b32_e32 v11, 2, v11
	s_and_saveexec_b64 s[4:5], s[34:35]
	s_cbranch_execz .LBB194_33
; %bb.32:
	v_mov_b32_e32 v1, s43
	v_add_co_u32_e32 v26, vcc, s42, v11
	v_addc_co_u32_e32 v27, vcc, 0, v1, vcc
	flat_load_dword v1, v[26:27]
.LBB194_33:
	s_or_b64 exec, exec, s[4:5]
	v_lshlrev_b32_e32 v12, 2, v0
	s_waitcnt vmcnt(0) lgkmcnt(0)
	ds_write2st64_b32 v12, v13, v14 offset1:4
	ds_write2st64_b32 v12, v15, v16 offset0:8 offset1:12
	ds_write2st64_b32 v12, v17, v18 offset0:16 offset1:20
	;; [unrolled: 1-line block ×6, first 2 shown]
	v_mad_u32_u24 v1, v0, 52, v12
	s_waitcnt lgkmcnt(0)
	s_barrier
	ds_read2_b64 v[34:37], v1 offset1:1
	ds_read2_b64 v[30:33], v1 offset0:2 offset1:3
	ds_read2_b64 v[26:29], v1 offset0:4 offset1:5
	ds_read_b64 v[40:41], v1 offset:48
	s_cmp_eq_u64 s[52:53], 0
	s_mov_b64 s[4:5], s[42:43]
	s_cbranch_scc1 .LBB194_37
; %bb.34:
	s_andn2_b64 vcc, exec, s[44:45]
	s_cbranch_vccnz .LBB194_237
; %bb.35:
	s_lshl_b64 s[4:5], s[52:53], 2
	s_add_u32 s4, s54, s4
	s_addc_u32 s5, s55, s5
	s_add_u32 s4, s4, -4
	s_addc_u32 s5, s5, -1
	s_cbranch_execnz .LBB194_37
.LBB194_36:
	s_add_u32 s4, s42, -4
	s_addc_u32 s5, s43, -1
.LBB194_37:
	v_pk_mov_b32 v[14:15], s[4:5], s[4:5] op_sel:[0,1]
	flat_load_dword v44, v[14:15]
	s_movk_i32 s4, 0xffcc
	v_mad_i32_i24 v13, v0, s4, v1
	s_waitcnt lgkmcnt(0)
	ds_write_b32 v13, v41 offset:14336
	s_waitcnt lgkmcnt(0)
	s_barrier
	s_and_saveexec_b64 s[4:5], s[36:37]
	s_cbranch_execz .LBB194_39
; %bb.38:
	v_mul_i32_i24_e32 v13, 0xffffffcc, v0
	v_add_u32_e32 v13, v1, v13
	s_waitcnt vmcnt(0)
	ds_read_b32 v44, v13 offset:14332
.LBB194_39:
	s_or_b64 exec, exec, s[4:5]
	s_waitcnt lgkmcnt(0)
	s_barrier
	s_waitcnt lgkmcnt(0)
                                        ; implicit-def: $vgpr13
	s_and_saveexec_b64 s[4:5], s[6:7]
	s_cbranch_execnz .LBB194_224
; %bb.40:
	s_or_b64 exec, exec, s[4:5]
                                        ; implicit-def: $vgpr14
	s_and_saveexec_b64 s[4:5], s[8:9]
	s_cbranch_execnz .LBB194_225
.LBB194_41:
	s_or_b64 exec, exec, s[4:5]
                                        ; implicit-def: $vgpr15
	s_and_saveexec_b64 s[4:5], s[10:11]
	s_cbranch_execnz .LBB194_226
.LBB194_42:
	s_or_b64 exec, exec, s[4:5]
                                        ; implicit-def: $vgpr16
	s_and_saveexec_b64 s[4:5], s[12:13]
	s_cbranch_execnz .LBB194_227
.LBB194_43:
	s_or_b64 exec, exec, s[4:5]
                                        ; implicit-def: $vgpr17
	s_and_saveexec_b64 s[4:5], s[14:15]
	s_cbranch_execnz .LBB194_228
.LBB194_44:
	s_or_b64 exec, exec, s[4:5]
                                        ; implicit-def: $vgpr2
	s_and_saveexec_b64 s[4:5], s[16:17]
	s_cbranch_execnz .LBB194_229
.LBB194_45:
	s_or_b64 exec, exec, s[4:5]
                                        ; implicit-def: $vgpr3
	s_and_saveexec_b64 s[4:5], s[18:19]
	s_cbranch_execnz .LBB194_230
.LBB194_46:
	s_or_b64 exec, exec, s[4:5]
                                        ; implicit-def: $vgpr4
	s_and_saveexec_b64 s[4:5], s[20:21]
	s_cbranch_execnz .LBB194_231
.LBB194_47:
	s_or_b64 exec, exec, s[4:5]
                                        ; implicit-def: $vgpr5
	s_and_saveexec_b64 s[4:5], s[22:23]
	s_cbranch_execnz .LBB194_232
.LBB194_48:
	s_or_b64 exec, exec, s[4:5]
                                        ; implicit-def: $vgpr6
	s_and_saveexec_b64 s[4:5], s[24:25]
	s_cbranch_execnz .LBB194_233
.LBB194_49:
	s_or_b64 exec, exec, s[4:5]
                                        ; implicit-def: $vgpr7
	s_and_saveexec_b64 s[4:5], s[26:27]
	s_cbranch_execnz .LBB194_234
.LBB194_50:
	s_or_b64 exec, exec, s[4:5]
                                        ; implicit-def: $vgpr8
	s_and_saveexec_b64 s[4:5], s[28:29]
	s_cbranch_execnz .LBB194_235
.LBB194_51:
	s_or_b64 exec, exec, s[4:5]
                                        ; implicit-def: $vgpr9
	s_and_saveexec_b64 s[4:5], s[30:31]
	s_cbranch_execnz .LBB194_236
.LBB194_52:
	s_or_b64 exec, exec, s[4:5]
                                        ; implicit-def: $vgpr10
	s_and_saveexec_b64 s[4:5], s[34:35]
	s_cbranch_execz .LBB194_54
.LBB194_53:
	v_mov_b32_e32 v18, s63
	v_add_co_u32_e32 v10, vcc, s62, v11
	v_addc_co_u32_e32 v11, vcc, 0, v18, vcc
	flat_load_dword v10, v[10:11]
.LBB194_54:
	s_or_b64 exec, exec, s[4:5]
	s_mov_b32 s4, 0
	s_mov_b32 s5, s4
	s_waitcnt vmcnt(0) lgkmcnt(0)
	ds_write2st64_b32 v12, v13, v14 offset1:4
	ds_write2st64_b32 v12, v15, v16 offset0:8 offset1:12
	ds_write2st64_b32 v12, v17, v2 offset0:16 offset1:20
	;; [unrolled: 1-line block ×6, first 2 shown]
	s_mov_b32 s6, s4
	s_mov_b32 s7, s4
	;; [unrolled: 1-line block ×6, first 2 shown]
	v_pk_mov_b32 v[2:3], s[4:5], s[4:5] op_sel:[0,1]
	v_pk_mov_b32 v[8:9], s[10:11], s[10:11] op_sel:[0,1]
	v_mul_u32_u24_e32 v42, 14, v0
	v_pk_mov_b32 v[4:5], s[6:7], s[6:7] op_sel:[0,1]
	v_pk_mov_b32 v[6:7], s[8:9], s[8:9] op_sel:[0,1]
	;; [unrolled: 1-line block ×4, first 2 shown]
	v_cmp_gt_u32_e32 vcc, s64, v42
	s_mov_b64 s[12:13], 0
	v_pk_mov_b32 v[38:39], 0, 0
	s_mov_b64 s[18:19], 0
	v_pk_mov_b32 v[14:15], v[6:7], v[6:7] op_sel:[0,1]
	v_pk_mov_b32 v[12:13], v[4:5], v[4:5] op_sel:[0,1]
	;; [unrolled: 1-line block ×6, first 2 shown]
	s_waitcnt lgkmcnt(0)
	s_barrier
	s_waitcnt lgkmcnt(0)
                                        ; implicit-def: $sgpr16_sgpr17
                                        ; implicit-def: $vgpr43
	s_and_saveexec_b64 s[14:15], vcc
	s_cbranch_execz .LBB194_80
; %bb.55:
	v_or_b32_e32 v2, 1, v42
	ds_read_b32 v38, v1
	v_cmp_ne_u32_e32 vcc, v44, v34
	v_cndmask_b32_e64 v39, 0, 1, vcc
	v_cmp_gt_u32_e32 vcc, s64, v2
	v_pk_mov_b32 v[2:3], s[4:5], s[4:5] op_sel:[0,1]
	v_pk_mov_b32 v[8:9], s[10:11], s[10:11] op_sel:[0,1]
	;; [unrolled: 1-line block ×12, first 2 shown]
                                        ; implicit-def: $sgpr4_sgpr5
                                        ; implicit-def: $vgpr43
	s_and_saveexec_b64 s[16:17], vcc
	s_cbranch_execz .LBB194_79
; %bb.56:
	ds_read2_b32 v[44:45], v1 offset0:1 offset1:2
	s_mov_b32 s4, 0
	s_mov_b32 s10, s4
	s_mov_b32 s11, s4
	s_mov_b32 s5, s4
	s_mov_b32 s6, s4
	s_mov_b32 s7, s4
	s_mov_b32 s8, s4
	s_mov_b32 s9, s4
	v_pk_mov_b32 v[16:17], s[10:11], s[10:11] op_sel:[0,1]
	v_add_u32_e32 v2, 2, v42
	v_cmp_ne_u32_e32 vcc, v34, v35
	v_mov_b32_e32 v6, 0
	v_pk_mov_b32 v[14:15], s[8:9], s[8:9] op_sel:[0,1]
	v_pk_mov_b32 v[12:13], s[6:7], s[6:7] op_sel:[0,1]
	;; [unrolled: 1-line block ×4, first 2 shown]
	v_cndmask_b32_e64 v3, 0, 1, vcc
	v_cmp_gt_u32_e32 vcc, s64, v2
	s_waitcnt lgkmcnt(0)
	v_mov_b32_e32 v2, v44
	v_mov_b32_e32 v4, v6
	;; [unrolled: 1-line block ×6, first 2 shown]
	s_mov_b64 s[20:21], 0
	v_pk_mov_b32 v[22:23], v[14:15], v[14:15] op_sel:[0,1]
	v_pk_mov_b32 v[20:21], v[12:13], v[12:13] op_sel:[0,1]
	;; [unrolled: 1-line block ×3, first 2 shown]
                                        ; implicit-def: $sgpr24_sgpr25
                                        ; implicit-def: $vgpr43
	s_and_saveexec_b64 s[18:19], vcc
	s_cbranch_execz .LBB194_78
; %bb.57:
	v_pk_mov_b32 v[16:17], s[10:11], s[10:11] op_sel:[0,1]
	v_add_u32_e32 v2, 3, v42
	v_cmp_ne_u32_e32 vcc, v35, v36
	v_pk_mov_b32 v[14:15], s[8:9], s[8:9] op_sel:[0,1]
	v_pk_mov_b32 v[12:13], s[6:7], s[6:7] op_sel:[0,1]
	;; [unrolled: 1-line block ×4, first 2 shown]
	v_cndmask_b32_e64 v5, 0, 1, vcc
	v_cmp_gt_u32_e32 vcc, s64, v2
	v_mov_b32_e32 v2, v44
	v_mov_b32_e32 v4, v45
	v_mov_b32_e32 v7, v6
	v_mov_b32_e32 v8, v6
	v_mov_b32_e32 v9, v6
	s_mov_b64 s[22:23], 0
	v_pk_mov_b32 v[22:23], v[14:15], v[14:15] op_sel:[0,1]
	v_pk_mov_b32 v[20:21], v[12:13], v[12:13] op_sel:[0,1]
	;; [unrolled: 1-line block ×3, first 2 shown]
                                        ; implicit-def: $sgpr4_sgpr5
                                        ; implicit-def: $vgpr43
	s_and_saveexec_b64 s[20:21], vcc
	s_cbranch_execz .LBB194_77
; %bb.58:
	ds_read2_b32 v[34:35], v1 offset0:3 offset1:4
	s_mov_b32 s4, 0
	s_mov_b32 s10, s4
	;; [unrolled: 1-line block ×8, first 2 shown]
	v_pk_mov_b32 v[16:17], s[10:11], s[10:11] op_sel:[0,1]
	v_add_u32_e32 v6, 4, v42
	v_cmp_ne_u32_e32 vcc, v36, v37
	v_pk_mov_b32 v[14:15], s[8:9], s[8:9] op_sel:[0,1]
	v_pk_mov_b32 v[12:13], s[6:7], s[6:7] op_sel:[0,1]
	v_pk_mov_b32 v[10:11], s[4:5], s[4:5] op_sel:[0,1]
	v_pk_mov_b32 v[24:25], v[16:17], v[16:17] op_sel:[0,1]
	v_cndmask_b32_e64 v7, 0, 1, vcc
	v_cmp_gt_u32_e32 vcc, s64, v6
	s_waitcnt lgkmcnt(0)
	v_mov_b32_e32 v6, v34
	v_mov_b32_e32 v8, s4
	;; [unrolled: 1-line block ×3, first 2 shown]
	s_mov_b64 s[24:25], 0
	v_pk_mov_b32 v[22:23], v[14:15], v[14:15] op_sel:[0,1]
	v_pk_mov_b32 v[20:21], v[12:13], v[12:13] op_sel:[0,1]
	;; [unrolled: 1-line block ×3, first 2 shown]
                                        ; implicit-def: $sgpr26_sgpr27
                                        ; implicit-def: $vgpr43
	s_and_saveexec_b64 s[22:23], vcc
	s_cbranch_execz .LBB194_76
; %bb.59:
	v_pk_mov_b32 v[16:17], s[10:11], s[10:11] op_sel:[0,1]
	v_add_u32_e32 v8, 5, v42
	v_cmp_ne_u32_e32 vcc, v37, v30
	v_pk_mov_b32 v[14:15], s[8:9], s[8:9] op_sel:[0,1]
	v_pk_mov_b32 v[12:13], s[6:7], s[6:7] op_sel:[0,1]
	;; [unrolled: 1-line block ×4, first 2 shown]
	v_cndmask_b32_e64 v9, 0, 1, vcc
	v_cmp_gt_u32_e32 vcc, s64, v8
	v_mov_b32_e32 v8, v35
	s_mov_b64 s[28:29], 0
	v_pk_mov_b32 v[22:23], v[14:15], v[14:15] op_sel:[0,1]
	v_pk_mov_b32 v[20:21], v[12:13], v[12:13] op_sel:[0,1]
	;; [unrolled: 1-line block ×3, first 2 shown]
                                        ; implicit-def: $sgpr4_sgpr5
                                        ; implicit-def: $vgpr43
	s_and_saveexec_b64 s[24:25], vcc
	s_cbranch_execz .LBB194_75
; %bb.60:
	ds_read2_b32 v[34:35], v1 offset0:5 offset1:6
	s_mov_b32 s4, 0
	s_mov_b32 s10, s4
	;; [unrolled: 1-line block ×3, first 2 shown]
	v_add_u32_e32 v10, 6, v42
	v_cmp_ne_u32_e32 vcc, v30, v31
	v_mov_b32_e32 v14, 0
	s_mov_b32 s5, s4
	s_mov_b32 s6, s4
	s_mov_b32 s7, s4
	s_mov_b32 s8, s4
	s_mov_b32 s9, s4
	v_pk_mov_b32 v[24:25], s[10:11], s[10:11] op_sel:[0,1]
	v_cndmask_b32_e64 v11, 0, 1, vcc
	v_cmp_gt_u32_e32 vcc, s64, v10
	s_waitcnt lgkmcnt(0)
	v_mov_b32_e32 v10, v34
	v_mov_b32_e32 v12, v14
	;; [unrolled: 1-line block ×6, first 2 shown]
	v_pk_mov_b32 v[22:23], s[8:9], s[8:9] op_sel:[0,1]
	v_pk_mov_b32 v[20:21], s[6:7], s[6:7] op_sel:[0,1]
	;; [unrolled: 1-line block ×3, first 2 shown]
                                        ; implicit-def: $sgpr34_sgpr35
                                        ; implicit-def: $vgpr43
	s_and_saveexec_b64 s[26:27], vcc
	s_cbranch_execz .LBB194_74
; %bb.61:
	v_add_u32_e32 v10, 7, v42
	v_cmp_ne_u32_e32 vcc, v31, v32
	v_pk_mov_b32 v[24:25], s[10:11], s[10:11] op_sel:[0,1]
	v_cndmask_b32_e64 v13, 0, 1, vcc
	v_cmp_gt_u32_e32 vcc, s64, v10
	v_mov_b32_e32 v10, v34
	v_mov_b32_e32 v12, v35
	;; [unrolled: 1-line block ×5, first 2 shown]
	s_mov_b64 s[30:31], 0
	v_pk_mov_b32 v[22:23], s[8:9], s[8:9] op_sel:[0,1]
	v_pk_mov_b32 v[20:21], s[6:7], s[6:7] op_sel:[0,1]
	;; [unrolled: 1-line block ×3, first 2 shown]
                                        ; implicit-def: $sgpr4_sgpr5
                                        ; implicit-def: $vgpr43
	s_and_saveexec_b64 s[28:29], vcc
	s_cbranch_execz .LBB194_73
; %bb.62:
	ds_read2_b32 v[30:31], v1 offset0:7 offset1:8
	s_mov_b32 s4, 0
	s_mov_b32 s10, s4
	;; [unrolled: 1-line block ×3, first 2 shown]
	v_add_u32_e32 v14, 8, v42
	v_cmp_ne_u32_e32 vcc, v32, v33
	s_mov_b32 s5, s4
	s_mov_b32 s6, s4
	s_mov_b32 s7, s4
	s_mov_b32 s8, s4
	s_mov_b32 s9, s4
	v_pk_mov_b32 v[24:25], s[10:11], s[10:11] op_sel:[0,1]
	v_cndmask_b32_e64 v15, 0, 1, vcc
	v_cmp_gt_u32_e32 vcc, s64, v14
	s_waitcnt lgkmcnt(0)
	v_mov_b32_e32 v14, v30
	v_mov_b32_e32 v16, s4
	;; [unrolled: 1-line block ×3, first 2 shown]
	s_mov_b64 s[34:35], 0
	v_pk_mov_b32 v[22:23], s[8:9], s[8:9] op_sel:[0,1]
	v_pk_mov_b32 v[20:21], s[6:7], s[6:7] op_sel:[0,1]
	v_pk_mov_b32 v[18:19], s[4:5], s[4:5] op_sel:[0,1]
                                        ; implicit-def: $sgpr48_sgpr49
                                        ; implicit-def: $vgpr43
	s_and_saveexec_b64 s[30:31], vcc
	s_cbranch_execz .LBB194_72
; %bb.63:
	v_add_u32_e32 v16, 9, v42
	v_cmp_ne_u32_e32 vcc, v33, v26
	v_pk_mov_b32 v[24:25], s[10:11], s[10:11] op_sel:[0,1]
	v_cndmask_b32_e64 v17, 0, 1, vcc
	v_cmp_gt_u32_e32 vcc, s64, v16
	v_mov_b32_e32 v16, v31
	v_pk_mov_b32 v[22:23], s[8:9], s[8:9] op_sel:[0,1]
	v_pk_mov_b32 v[20:21], s[6:7], s[6:7] op_sel:[0,1]
	;; [unrolled: 1-line block ×3, first 2 shown]
                                        ; implicit-def: $sgpr8_sgpr9
                                        ; implicit-def: $vgpr43
	s_and_saveexec_b64 s[6:7], vcc
	s_cbranch_execz .LBB194_71
; %bb.64:
	ds_read2_b32 v[30:31], v1 offset0:9 offset1:10
	v_add_u32_e32 v18, 10, v42
	v_cmp_ne_u32_e32 vcc, v26, v27
	v_mov_b32_e32 v22, 0
	v_cndmask_b32_e64 v19, 0, 1, vcc
	v_cmp_gt_u32_e32 vcc, s64, v18
	s_waitcnt lgkmcnt(0)
	v_mov_b32_e32 v18, v30
	v_mov_b32_e32 v20, v22
	;; [unrolled: 1-line block ×6, first 2 shown]
	s_mov_b64 s[4:5], 0
                                        ; implicit-def: $sgpr10_sgpr11
                                        ; implicit-def: $vgpr43
	s_and_saveexec_b64 s[8:9], vcc
	s_cbranch_execz .LBB194_70
; %bb.65:
	v_add_u32_e32 v18, 11, v42
	v_cmp_ne_u32_e32 vcc, v27, v28
	v_cndmask_b32_e64 v21, 0, 1, vcc
	v_cmp_gt_u32_e32 vcc, s64, v18
	s_mov_b32 s48, 0
	v_mov_b32_e32 v18, v30
	v_mov_b32_e32 v20, v31
	;; [unrolled: 1-line block ×5, first 2 shown]
                                        ; implicit-def: $sgpr34_sgpr35
                                        ; implicit-def: $vgpr43
	s_and_saveexec_b64 s[10:11], vcc
	s_cbranch_execz .LBB194_69
; %bb.66:
	ds_read2_b32 v[26:27], v1 offset0:11 offset1:12
	v_add_u32_e32 v22, 12, v42
	v_cmp_ne_u32_e32 vcc, v28, v29
	v_cndmask_b32_e64 v23, 0, 1, vcc
	v_cmp_gt_u32_e32 vcc, s64, v22
	s_waitcnt lgkmcnt(0)
	v_mov_b32_e32 v22, v26
	v_mov_b32_e32 v24, s48
	;; [unrolled: 1-line block ×3, first 2 shown]
                                        ; implicit-def: $sgpr34_sgpr35
                                        ; implicit-def: $vgpr43
	s_and_saveexec_b64 s[48:49], vcc
	s_xor_b64 s[48:49], exec, s[48:49]
	s_cbranch_execz .LBB194_68
; %bb.67:
	ds_read_b32 v43, v1 offset:52
	v_add_u32_e32 v1, 13, v42
	v_cmp_ne_u32_e64 s[4:5], v29, v40
	v_cmp_ne_u32_e32 vcc, v40, v41
	v_cndmask_b32_e64 v25, 0, 1, s[4:5]
	v_cmp_gt_u32_e64 s[4:5], s64, v1
	v_mov_b32_e32 v24, v27
	s_and_b64 s[34:35], vcc, exec
	s_and_b64 s[4:5], s[4:5], exec
.LBB194_68:
	s_or_b64 exec, exec, s[48:49]
	s_and_b64 s[34:35], s[34:35], exec
	s_and_b64 s[4:5], s[4:5], exec
.LBB194_69:
	s_or_b64 exec, exec, s[10:11]
	s_and_b64 s[10:11], s[34:35], exec
	s_and_b64 s[4:5], s[4:5], exec
.LBB194_70:
	s_or_b64 exec, exec, s[8:9]
	s_and_b64 s[8:9], s[10:11], exec
	s_and_b64 s[34:35], s[4:5], exec
.LBB194_71:
	s_or_b64 exec, exec, s[6:7]
	s_and_b64 s[48:49], s[8:9], exec
	s_and_b64 s[34:35], s[34:35], exec
.LBB194_72:
	s_or_b64 exec, exec, s[30:31]
	s_and_b64 s[4:5], s[48:49], exec
	s_and_b64 s[30:31], s[34:35], exec
.LBB194_73:
	s_or_b64 exec, exec, s[28:29]
	s_and_b64 s[34:35], s[4:5], exec
	s_and_b64 s[28:29], s[30:31], exec
.LBB194_74:
	s_or_b64 exec, exec, s[26:27]
	s_and_b64 s[4:5], s[34:35], exec
	s_and_b64 s[28:29], s[28:29], exec
.LBB194_75:
	s_or_b64 exec, exec, s[24:25]
	s_and_b64 s[26:27], s[4:5], exec
	s_and_b64 s[24:25], s[28:29], exec
.LBB194_76:
	s_or_b64 exec, exec, s[22:23]
	s_and_b64 s[4:5], s[26:27], exec
	s_and_b64 s[22:23], s[24:25], exec
.LBB194_77:
	s_or_b64 exec, exec, s[20:21]
	s_and_b64 s[24:25], s[4:5], exec
	s_and_b64 s[20:21], s[22:23], exec
.LBB194_78:
	s_or_b64 exec, exec, s[18:19]
	s_and_b64 s[4:5], s[24:25], exec
	s_and_b64 s[18:19], s[20:21], exec
.LBB194_79:
	s_or_b64 exec, exec, s[16:17]
	s_and_b64 s[16:17], s[4:5], exec
	s_and_b64 s[18:19], s[18:19], exec
.LBB194_80:
	s_or_b64 exec, exec, s[14:15]
	s_and_b64 vcc, exec, s[12:13]
	v_lshlrev_b32_e32 v50, 2, v0
	s_cbranch_vccnz .LBB194_82
	s_branch .LBB194_90
.LBB194_81:
                                        ; implicit-def: $sgpr16_sgpr17
                                        ; implicit-def: $vgpr2_vgpr3_vgpr4_vgpr5_vgpr6_vgpr7_vgpr8_vgpr9
                                        ; implicit-def: $vgpr10_vgpr11_vgpr12_vgpr13_vgpr14_vgpr15_vgpr16_vgpr17
                                        ; implicit-def: $vgpr18_vgpr19_vgpr20_vgpr21_vgpr22_vgpr23_vgpr24_vgpr25
                                        ; implicit-def: $vgpr43
                                        ; implicit-def: $vgpr38_vgpr39
	s_and_b64 vcc, exec, s[12:13]
	v_lshlrev_b32_e32 v50, 2, v0
	s_cbranch_vccz .LBB194_90
.LBB194_82:
	v_mov_b32_e32 v1, s43
	v_add_co_u32_e32 v2, vcc, s42, v50
	v_addc_co_u32_e32 v3, vcc, 0, v1, vcc
	v_add_co_u32_e32 v4, vcc, 0x1000, v2
	v_addc_co_u32_e32 v5, vcc, 0, v3, vcc
	flat_load_dword v6, v[2:3]
	flat_load_dword v7, v[2:3] offset:1024
	flat_load_dword v8, v[2:3] offset:2048
	;; [unrolled: 1-line block ×3, first 2 shown]
	flat_load_dword v10, v[4:5]
	flat_load_dword v11, v[4:5] offset:1024
	flat_load_dword v12, v[4:5] offset:2048
	flat_load_dword v13, v[4:5] offset:3072
	v_add_co_u32_e32 v4, vcc, 0x2000, v2
	v_addc_co_u32_e32 v5, vcc, 0, v3, vcc
	v_add_co_u32_e32 v2, vcc, 0x3000, v2
	v_addc_co_u32_e32 v3, vcc, 0, v3, vcc
	flat_load_dword v14, v[4:5]
	flat_load_dword v15, v[4:5] offset:1024
	flat_load_dword v16, v[4:5] offset:2048
	;; [unrolled: 1-line block ×3, first 2 shown]
	flat_load_dword v18, v[2:3]
	flat_load_dword v19, v[2:3] offset:1024
	v_mad_u32_u24 v1, v0, 52, v50
	s_cmp_eq_u64 s[52:53], 0
	s_waitcnt vmcnt(0) lgkmcnt(0)
	ds_write2st64_b32 v50, v6, v7 offset1:4
	ds_write2st64_b32 v50, v8, v9 offset0:8 offset1:12
	ds_write2st64_b32 v50, v10, v11 offset0:16 offset1:20
	;; [unrolled: 1-line block ×6, first 2 shown]
	s_waitcnt lgkmcnt(0)
	s_barrier
	ds_read2_b64 v[2:5], v1 offset1:1
	ds_read2_b64 v[10:13], v1 offset0:2 offset1:3
	ds_read2_b64 v[18:21], v1 offset0:4 offset1:5
	ds_read_b64 v[6:7], v1 offset:48
	s_cbranch_scc1 .LBB194_87
; %bb.83:
	s_andn2_b64 vcc, exec, s[44:45]
	s_cbranch_vccnz .LBB194_238
; %bb.84:
	s_lshl_b64 s[4:5], s[52:53], 2
	s_add_u32 s4, s54, s4
	s_addc_u32 s5, s55, s5
	s_add_u32 s4, s4, -4
	s_addc_u32 s5, s5, -1
	s_cbranch_execnz .LBB194_86
.LBB194_85:
	s_add_u32 s4, s42, -4
	s_addc_u32 s5, s43, -1
.LBB194_86:
	s_mov_b64 s[42:43], s[4:5]
.LBB194_87:
	v_pk_mov_b32 v[8:9], s[42:43], s[42:43] op_sel:[0,1]
	flat_load_dword v8, v[8:9]
	s_movk_i32 s4, 0xffcc
	v_mad_i32_i24 v9, v0, s4, v1
	s_waitcnt lgkmcnt(0)
	ds_write_b32 v9, v7 offset:14336
	s_waitcnt lgkmcnt(0)
	s_barrier
	s_and_saveexec_b64 s[4:5], s[36:37]
	s_cbranch_execz .LBB194_89
; %bb.88:
	s_waitcnt vmcnt(0)
	v_mul_i32_i24_e32 v8, 0xffffffcc, v0
	v_add_u32_e32 v8, v1, v8
	ds_read_b32 v8, v8 offset:14332
.LBB194_89:
	s_or_b64 exec, exec, s[4:5]
	v_mov_b32_e32 v9, s63
	v_add_co_u32_e32 v14, vcc, s62, v50
	v_addc_co_u32_e32 v15, vcc, 0, v9, vcc
	s_movk_i32 s4, 0x1000
	v_add_co_u32_e32 v16, vcc, s4, v14
	v_addc_co_u32_e32 v17, vcc, 0, v15, vcc
	s_movk_i32 s4, 0x2000
	s_waitcnt lgkmcnt(0)
	s_barrier
	flat_load_dword v22, v[14:15]
	flat_load_dword v24, v[14:15] offset:1024
	flat_load_dword v26, v[14:15] offset:2048
	;; [unrolled: 1-line block ×3, first 2 shown]
	flat_load_dword v28, v[16:17]
	flat_load_dword v29, v[16:17] offset:1024
	flat_load_dword v30, v[16:17] offset:2048
	flat_load_dword v31, v[16:17] offset:3072
	v_add_co_u32_e32 v16, vcc, s4, v14
	v_addc_co_u32_e32 v17, vcc, 0, v15, vcc
	s_movk_i32 s4, 0x3000
	v_add_co_u32_e32 v14, vcc, s4, v14
	v_addc_co_u32_e32 v15, vcc, 0, v15, vcc
	flat_load_dword v32, v[16:17]
	flat_load_dword v33, v[16:17] offset:1024
	flat_load_dword v34, v[16:17] offset:2048
	;; [unrolled: 1-line block ×3, first 2 shown]
	flat_load_dword v36, v[14:15]
	flat_load_dword v37, v[14:15] offset:1024
	s_waitcnt vmcnt(0)
	v_cmp_ne_u32_e32 vcc, v8, v2
	v_cndmask_b32_e64 v39, 0, 1, vcc
	v_cmp_ne_u32_e32 vcc, v5, v10
	v_cndmask_b32_e64 v9, 0, 1, vcc
	v_cmp_ne_u32_e32 vcc, v4, v5
	v_cmp_ne_u32_e64 s[16:17], v6, v7
	v_cndmask_b32_e64 v7, 0, 1, vcc
	v_cmp_ne_u32_e32 vcc, v3, v4
	v_cndmask_b32_e64 v5, 0, 1, vcc
	v_cmp_ne_u32_e32 vcc, v2, v3
	;; [unrolled: 2-line block ×10, first 2 shown]
	v_cndmask_b32_e64 v19, 0, 1, vcc
	s_mov_b64 s[18:19], -1
                                        ; implicit-def: $sgpr12_sgpr13
	s_waitcnt lgkmcnt(0)
	ds_write2st64_b32 v50, v22, v24 offset1:4
	ds_write2st64_b32 v50, v26, v27 offset0:8 offset1:12
	ds_write2st64_b32 v50, v28, v29 offset0:16 offset1:20
	;; [unrolled: 1-line block ×6, first 2 shown]
	s_waitcnt lgkmcnt(0)
	s_barrier
	ds_read2_b32 v[42:43], v1 offset1:13
	ds_read2_b32 v[26:27], v1 offset0:7 offset1:8
	ds_read2_b32 v[28:29], v1 offset0:5 offset1:6
	;; [unrolled: 1-line block ×6, first 2 shown]
	s_waitcnt lgkmcnt(6)
	v_mov_b32_e32 v38, v42
	s_waitcnt lgkmcnt(4)
	v_mov_b32_e32 v10, v28
	;; [unrolled: 2-line block ×4, first 2 shown]
	v_mov_b32_e32 v4, v33
	v_mov_b32_e32 v8, v31
	;; [unrolled: 1-line block ×5, first 2 shown]
	s_waitcnt lgkmcnt(0)
	v_mov_b32_e32 v18, v36
	v_mov_b32_e32 v20, v37
	;; [unrolled: 1-line block ×4, first 2 shown]
.LBB194_90:
	v_pk_mov_b32 v[40:41], s[12:13], s[12:13] op_sel:[0,1]
	s_and_saveexec_b64 s[4:5], s[18:19]
	s_cbranch_execz .LBB194_92
; %bb.91:
	v_cndmask_b32_e64 v41, 0, 1, s[16:17]
	s_waitcnt lgkmcnt(0)
	v_mov_b32_e32 v40, v43
.LBB194_92:
	s_or_b64 exec, exec, s[4:5]
	s_mov_b32 s4, 0
	s_cmp_lg_u32 s59, 0
	v_mbcnt_lo_u32_b32 v1, -1, 0
	s_waitcnt lgkmcnt(0)
	s_barrier
	s_cbranch_scc0 .LBB194_161
; %bb.93:
	s_mov_b32 s5, 1
	v_cmp_gt_u64_e64 s[6:7], s[4:5], v[2:3]
	v_cndmask_b32_e64 v27, 1, v38, s[6:7]
	v_mul_lo_u32 v27, v27, v2
	v_cmp_gt_u64_e64 s[8:9], s[4:5], v[4:5]
	v_cndmask_b32_e64 v27, 1, v27, s[8:9]
	v_mul_lo_u32 v27, v27, v4
	;; [unrolled: 3-line block ×13, first 2 shown]
	v_or3_b32 v27, v41, v25, v23
	v_or3_b32 v27, v27, v21, v19
	;; [unrolled: 1-line block ×6, first 2 shown]
	v_mov_b32_e32 v26, 0
	v_and_b32_e32 v27, 1, v27
	v_cmp_eq_u64_e32 vcc, 0, v[26:27]
	v_mbcnt_hi_u32_b32 v37, -1, v1
	v_cndmask_b32_e32 v29, 1, v39, vcc
	v_and_b32_e32 v26, 15, v37
	v_mov_b32_dpp v30, v28 row_shr:1 row_mask:0xf bank_mask:0xf
	v_mov_b32_dpp v27, v29 row_shr:1 row_mask:0xf bank_mask:0xf
	v_cmp_ne_u32_e32 vcc, 0, v26
	s_and_saveexec_b64 s[4:5], vcc
; %bb.94:
	v_cmp_eq_u32_e32 vcc, 0, v29
	v_and_b32_e32 v29, 1, v29
	v_cndmask_b32_e32 v30, 1, v30, vcc
	v_and_b32_e32 v27, 1, v27
	v_cmp_eq_u32_e32 vcc, 1, v29
	v_mul_lo_u32 v28, v30, v28
	v_cndmask_b32_e64 v29, v27, 1, vcc
; %bb.95:
	s_or_b64 exec, exec, s[4:5]
	v_mov_b32_dpp v30, v28 row_shr:2 row_mask:0xf bank_mask:0xf
	v_mov_b32_dpp v27, v29 row_shr:2 row_mask:0xf bank_mask:0xf
	v_cmp_lt_u32_e32 vcc, 1, v26
	s_and_saveexec_b64 s[4:5], vcc
; %bb.96:
	v_cmp_eq_u32_e32 vcc, 0, v29
	v_and_b32_e32 v29, 1, v29
	v_cndmask_b32_e32 v30, 1, v30, vcc
	v_and_b32_e32 v27, 1, v27
	v_cmp_eq_u32_e32 vcc, 1, v29
	v_mul_lo_u32 v28, v30, v28
	v_cndmask_b32_e64 v29, v27, 1, vcc
; %bb.97:
	s_or_b64 exec, exec, s[4:5]
	v_mov_b32_dpp v30, v28 row_shr:4 row_mask:0xf bank_mask:0xf
	v_mov_b32_dpp v27, v29 row_shr:4 row_mask:0xf bank_mask:0xf
	v_cmp_lt_u32_e32 vcc, 3, v26
	;; [unrolled: 14-line block ×3, first 2 shown]
	s_and_saveexec_b64 s[4:5], vcc
; %bb.100:
	v_cmp_eq_u32_e32 vcc, 0, v29
	v_cndmask_b32_e32 v26, 1, v30, vcc
	v_mul_lo_u32 v28, v26, v28
	v_and_b32_e32 v26, 1, v29
	v_and_b32_e32 v27, 1, v27
	v_cmp_eq_u32_e32 vcc, 1, v26
	v_cndmask_b32_e64 v29, v27, 1, vcc
; %bb.101:
	s_or_b64 exec, exec, s[4:5]
	v_and_b32_e32 v30, 16, v37
	v_mov_b32_dpp v27, v28 row_bcast:15 row_mask:0xf bank_mask:0xf
	v_mov_b32_dpp v26, v29 row_bcast:15 row_mask:0xf bank_mask:0xf
	v_cmp_ne_u32_e32 vcc, 0, v30
	s_and_saveexec_b64 s[4:5], vcc
; %bb.102:
	v_cmp_eq_u32_e32 vcc, 0, v29
	v_cndmask_b32_e32 v27, 1, v27, vcc
	v_mul_lo_u32 v28, v27, v28
	v_and_b32_e32 v27, 1, v29
	v_and_b32_e32 v26, 1, v26
	v_cmp_eq_u32_e32 vcc, 1, v27
	v_cndmask_b32_e64 v29, v26, 1, vcc
; %bb.103:
	s_or_b64 exec, exec, s[4:5]
	v_mov_b32_dpp v27, v28 row_bcast:31 row_mask:0xf bank_mask:0xf
	v_mov_b32_dpp v26, v29 row_bcast:31 row_mask:0xf bank_mask:0xf
	v_cmp_lt_u32_e32 vcc, 31, v37
	s_and_saveexec_b64 s[4:5], vcc
; %bb.104:
	v_cmp_eq_u32_e32 vcc, 0, v29
	v_cndmask_b32_e32 v27, 1, v27, vcc
	v_mul_lo_u32 v28, v27, v28
	v_and_b32_e32 v27, 1, v29
	v_and_b32_e32 v26, 1, v26
	v_cmp_eq_u32_e32 vcc, 1, v27
	v_cndmask_b32_e64 v29, v26, 1, vcc
; %bb.105:
	s_or_b64 exec, exec, s[4:5]
	v_or_b32_e32 v26, 63, v0
	v_lshrrev_b32_e32 v30, 6, v0
	v_cmp_eq_u32_e32 vcc, v26, v0
	s_and_saveexec_b64 s[4:5], vcc
	s_cbranch_execz .LBB194_107
; %bb.106:
	v_lshlrev_b32_e32 v26, 3, v30
	ds_write_b32 v26, v28
	ds_write_b8 v26, v29 offset:4
.LBB194_107:
	s_or_b64 exec, exec, s[4:5]
	v_cmp_gt_u32_e32 vcc, 4, v0
	s_waitcnt lgkmcnt(0)
	s_barrier
	s_and_saveexec_b64 s[4:5], vcc
	s_cbranch_execz .LBB194_113
; %bb.108:
	v_lshlrev_b32_e32 v31, 3, v0
	ds_read_b64 v[26:27], v31
	v_and_b32_e32 v32, 3, v37
	v_cmp_ne_u32_e32 vcc, 0, v32
	s_waitcnt lgkmcnt(0)
	v_mov_b32_dpp v35, v26 row_shr:1 row_mask:0xf bank_mask:0xf
	v_mov_b32_dpp v34, v27 row_shr:1 row_mask:0xf bank_mask:0xf
	v_mov_b32_e32 v33, v27
	s_and_saveexec_b64 s[34:35], vcc
	s_cbranch_execz .LBB194_110
; %bb.109:
	v_mov_b32_e32 v33, 0
	v_cmp_eq_u16_sdwa vcc, v27, v33 src0_sel:BYTE_0 src1_sel:DWORD
	v_cndmask_b32_e32 v33, 1, v35, vcc
	v_mul_lo_u32 v26, v33, v26
	v_and_b32_e32 v33, 1, v27
	v_and_b32_e32 v34, 1, v34
	v_cmp_eq_u32_e32 vcc, 1, v33
	v_cndmask_b32_e64 v34, v34, 1, vcc
	v_and_b32_e32 v33, 0xffff, v34
	s_movk_i32 s42, 0xff00
	v_and_or_b32 v33, v27, s42, v33
	v_mov_b32_e32 v27, v34
.LBB194_110:
	s_or_b64 exec, exec, s[34:35]
	v_mov_b32_dpp v34, v26 row_shr:2 row_mask:0xf bank_mask:0xf
	v_mov_b32_dpp v33, v33 row_shr:2 row_mask:0xf bank_mask:0xf
	v_cmp_lt_u32_e32 vcc, 1, v32
	s_and_saveexec_b64 s[34:35], vcc
; %bb.111:
	v_mov_b32_e32 v32, 0
	v_cmp_eq_u16_sdwa vcc, v27, v32 src0_sel:BYTE_0 src1_sel:DWORD
	v_cndmask_b32_e32 v32, 1, v34, vcc
	v_and_b32_e32 v27, 1, v27
	v_mul_lo_u32 v26, v32, v26
	v_and_b32_e32 v32, 1, v33
	v_cmp_eq_u32_e32 vcc, 1, v27
	v_cndmask_b32_e64 v27, v32, 1, vcc
; %bb.112:
	s_or_b64 exec, exec, s[34:35]
	ds_write_b32 v31, v26
	ds_write_b8 v31, v27 offset:4
.LBB194_113:
	s_or_b64 exec, exec, s[4:5]
	v_mov_b32_e32 v34, v39
	v_cmp_gt_u32_e32 vcc, 64, v0
	v_cmp_lt_u32_e64 s[4:5], 63, v0
	v_mov_b32_e32 v35, 0
	v_mov_b32_e32 v44, 0
	s_waitcnt lgkmcnt(0)
	s_barrier
	s_and_saveexec_b64 s[34:35], s[4:5]
	s_cbranch_execz .LBB194_115
; %bb.114:
	v_lshl_add_u32 v26, v30, 3, -8
	ds_read_b32 v35, v26
	ds_read_u8 v44, v26 offset:4
	v_and_b32_e32 v26, 1, v29
	v_cmp_eq_u32_e64 s[4:5], 0, v29
	s_waitcnt lgkmcnt(1)
	v_cndmask_b32_e64 v27, 1, v35, s[4:5]
	s_waitcnt lgkmcnt(0)
	v_and_b32_e32 v29, 1, v44
	v_cmp_eq_u32_e64 s[4:5], 1, v26
	v_mul_lo_u32 v28, v27, v28
	v_cndmask_b32_e64 v29, v29, 1, s[4:5]
.LBB194_115:
	s_or_b64 exec, exec, s[34:35]
	v_add_u32_e32 v26, -1, v37
	v_and_b32_e32 v27, 64, v37
	v_cmp_lt_i32_e64 s[4:5], v26, v27
	v_cndmask_b32_e64 v26, v26, v37, s[4:5]
	v_lshlrev_b32_e32 v26, 2, v26
	ds_bpermute_b32 v45, v26, v28
	ds_bpermute_b32 v46, v26, v29
	v_cmp_eq_u32_e64 s[34:35], 0, v37
	s_and_saveexec_b64 s[4:5], vcc
	s_cbranch_execz .LBB194_158
; %bb.116:
	v_mov_b32_e32 v29, 0
	ds_read_b64 v[26:27], v29 offset:24
	s_waitcnt lgkmcnt(0)
	v_readfirstlane_b32 s52, v27
	s_and_saveexec_b64 s[42:43], s[34:35]
	s_cbranch_execz .LBB194_118
; %bb.117:
	s_add_i32 s44, s59, 64
	s_mov_b32 s45, 0
	s_lshl_b64 s[48:49], s[44:45], 4
	s_add_u32 s48, s56, s48
	s_addc_u32 s49, s57, s49
	s_and_b32 s55, s52, 0xff000000
	s_mov_b32 s54, s45
	s_and_b32 s63, s52, 0xff0000
	s_mov_b32 s62, s45
	s_or_b64 s[54:55], s[62:63], s[54:55]
	s_and_b32 s63, s52, 0xff00
	s_or_b64 s[54:55], s[54:55], s[62:63]
	s_and_b32 s63, s52, 0xff
	s_or_b64 s[44:45], s[54:55], s[62:63]
	v_mov_b32_e32 v27, s45
	v_mov_b32_e32 v28, 1
	v_pk_mov_b32 v[30:31], s[48:49], s[48:49] op_sel:[0,1]
	;;#ASMSTART
	global_store_dwordx4 v[30:31], v[26:29] off	
s_waitcnt vmcnt(0)
	;;#ASMEND
.LBB194_118:
	s_or_b64 exec, exec, s[42:43]
	v_xad_u32 v36, v37, -1, s59
	v_add_u32_e32 v28, 64, v36
	v_lshlrev_b64 v[30:31], 4, v[28:29]
	v_mov_b32_e32 v27, s57
	v_add_co_u32_e32 v42, vcc, s56, v30
	v_addc_co_u32_e32 v43, vcc, v27, v31, vcc
	;;#ASMSTART
	global_load_dwordx4 v[30:33], v[42:43] off glc	
s_waitcnt vmcnt(0)
	;;#ASMEND
	v_and_b32_e32 v27, 0xff0000, v30
	v_or_b32_sdwa v27, v30, v27 dst_sel:DWORD dst_unused:UNUSED_PAD src0_sel:WORD_0 src1_sel:DWORD
	v_and_b32_e32 v28, 0xff000000, v30
	v_and_b32_e32 v30, 0xff, v31
	v_or3_b32 v31, 0, 0, v30
	v_or3_b32 v30, v27, v28, 0
	v_cmp_eq_u16_sdwa s[44:45], v32, v29 src0_sel:BYTE_0 src1_sel:DWORD
	s_and_saveexec_b64 s[42:43], s[44:45]
	s_cbranch_execz .LBB194_122
; %bb.119:
	s_mov_b64 s[44:45], 0
	v_mov_b32_e32 v27, 0
.LBB194_120:                            ; =>This Inner Loop Header: Depth=1
	;;#ASMSTART
	global_load_dwordx4 v[30:33], v[42:43] off glc	
s_waitcnt vmcnt(0)
	;;#ASMEND
	v_cmp_ne_u16_sdwa s[48:49], v32, v27 src0_sel:BYTE_0 src1_sel:DWORD
	s_or_b64 s[44:45], s[48:49], s[44:45]
	s_andn2_b64 exec, exec, s[44:45]
	s_cbranch_execnz .LBB194_120
; %bb.121:
	s_or_b64 exec, exec, s[44:45]
	v_and_b32_e32 v31, 0xff, v31
.LBB194_122:
	s_or_b64 exec, exec, s[42:43]
	v_mov_b32_e32 v27, 2
	v_cmp_eq_u16_sdwa s[42:43], v32, v27 src0_sel:BYTE_0 src1_sel:DWORD
	v_lshlrev_b64 v[28:29], v37, -1
	v_and_b32_e32 v27, s43, v29
	v_or_b32_e32 v27, 0x80000000, v27
	v_ffbl_b32_e32 v27, v27
	v_add_u32_e32 v42, 32, v27
	v_and_b32_e32 v27, 63, v37
	v_cmp_ne_u32_e32 vcc, 63, v27
	v_addc_co_u32_e32 v43, vcc, 0, v37, vcc
	v_lshlrev_b32_e32 v47, 2, v43
	ds_bpermute_b32 v48, v47, v30
	ds_bpermute_b32 v43, v47, v31
	v_and_b32_e32 v33, s42, v28
	v_ffbl_b32_e32 v33, v33
	v_min_u32_e32 v33, v33, v42
	s_mov_b32 s44, 0
	v_cmp_lt_u32_e32 vcc, v27, v33
	v_mov_b32_e32 v42, v31
	s_and_saveexec_b64 s[42:43], vcc
	s_cbranch_execz .LBB194_124
; %bb.123:
	s_mov_b32 s45, 1
	v_cmp_gt_u64_e32 vcc, s[44:45], v[30:31]
	s_waitcnt lgkmcnt(1)
	v_cndmask_b32_e32 v42, 1, v48, vcc
	v_and_b32_e32 v31, 1, v31
	v_mul_lo_u32 v30, v42, v30
	s_waitcnt lgkmcnt(0)
	v_and_b32_e32 v42, 1, v43
	v_cmp_eq_u32_e32 vcc, 1, v31
	v_cndmask_b32_e64 v31, v42, 1, vcc
	v_and_b32_e32 v42, 0xffff, v31
.LBB194_124:
	s_or_b64 exec, exec, s[42:43]
	v_cmp_gt_u32_e32 vcc, 62, v27
	s_waitcnt lgkmcnt(0)
	v_cndmask_b32_e64 v43, 0, 1, vcc
	v_lshlrev_b32_e32 v43, 1, v43
	v_add_lshl_u32 v48, v43, v37, 2
	ds_bpermute_b32 v51, v48, v30
	ds_bpermute_b32 v43, v48, v42
	v_add_u32_e32 v49, 2, v27
	v_cmp_le_u32_e32 vcc, v49, v33
	s_and_saveexec_b64 s[42:43], vcc
	s_cbranch_execz .LBB194_126
; %bb.125:
	v_cmp_eq_u16_e32 vcc, 0, v31
	s_waitcnt lgkmcnt(1)
	v_cndmask_b32_e32 v42, 1, v51, vcc
	v_and_b32_e32 v31, 1, v31
	v_mul_lo_u32 v30, v42, v30
	s_waitcnt lgkmcnt(0)
	v_and_b32_e32 v42, 1, v43
	v_cmp_eq_u32_e32 vcc, 1, v31
	v_cndmask_b32_e64 v31, v42, 1, vcc
	v_and_b32_e32 v42, 0xffff, v31
.LBB194_126:
	s_or_b64 exec, exec, s[42:43]
	v_cmp_gt_u32_e32 vcc, 60, v27
	s_waitcnt lgkmcnt(0)
	v_cndmask_b32_e64 v43, 0, 1, vcc
	v_lshlrev_b32_e32 v43, 2, v43
	v_add_lshl_u32 v51, v43, v37, 2
	ds_bpermute_b32 v53, v51, v30
	ds_bpermute_b32 v43, v51, v42
	v_add_u32_e32 v52, 4, v27
	v_cmp_le_u32_e32 vcc, v52, v33
	s_and_saveexec_b64 s[42:43], vcc
	s_cbranch_execz .LBB194_128
; %bb.127:
	v_cmp_eq_u16_e32 vcc, 0, v31
	s_waitcnt lgkmcnt(1)
	v_cndmask_b32_e32 v42, 1, v53, vcc
	v_and_b32_e32 v31, 1, v31
	v_mul_lo_u32 v30, v42, v30
	s_waitcnt lgkmcnt(0)
	v_and_b32_e32 v42, 1, v43
	v_cmp_eq_u32_e32 vcc, 1, v31
	v_cndmask_b32_e64 v31, v42, 1, vcc
	v_and_b32_e32 v42, 0xffff, v31
.LBB194_128:
	;; [unrolled: 24-line block ×4, first 2 shown]
	s_or_b64 exec, exec, s[42:43]
	v_cmp_gt_u32_e32 vcc, 32, v27
	s_waitcnt lgkmcnt(0)
	v_cndmask_b32_e64 v43, 0, 1, vcc
	v_lshlrev_b32_e32 v43, 5, v43
	v_add_lshl_u32 v58, v43, v37, 2
	ds_bpermute_b32 v43, v58, v30
	ds_bpermute_b32 v37, v58, v42
	v_add_u32_e32 v59, 32, v27
	v_cmp_le_u32_e32 vcc, v59, v33
	s_and_saveexec_b64 s[42:43], vcc
	s_cbranch_execz .LBB194_134
; %bb.133:
	v_cmp_eq_u16_e32 vcc, 0, v31
	s_waitcnt lgkmcnt(1)
	v_cndmask_b32_e32 v33, 1, v43, vcc
	v_and_b32_e32 v31, 1, v31
	v_mul_lo_u32 v30, v33, v30
	s_waitcnt lgkmcnt(0)
	v_and_b32_e32 v33, 1, v37
	v_cmp_eq_u32_e32 vcc, 1, v31
	v_cndmask_b32_e64 v31, v33, 1, vcc
.LBB194_134:
	s_or_b64 exec, exec, s[42:43]
	s_mov_b32 s42, 0
	s_mov_b32 s43, 1
	s_waitcnt lgkmcnt(0)
	v_mov_b32_e32 v37, 0
	v_mov_b32_e32 v61, 2
	s_branch .LBB194_136
.LBB194_135:                            ;   in Loop: Header=BB194_136 Depth=1
	s_or_b64 exec, exec, s[44:45]
	v_cmp_eq_u16_sdwa vcc, v57, v37 src0_sel:BYTE_0 src1_sel:DWORD
	v_and_b32_e32 v33, 1, v57
	v_cndmask_b32_e32 v30, 1, v30, vcc
	v_and_b32_e32 v31, 1, v31
	v_cmp_eq_u32_e32 vcc, 1, v33
	v_subrev_u32_e32 v36, 64, v36
	v_mul_lo_u32 v30, v30, v60
	v_cndmask_b32_e64 v31, v31, 1, vcc
.LBB194_136:                            ; =>This Loop Header: Depth=1
                                        ;     Child Loop BB194_139 Depth 2
	v_cmp_ne_u16_sdwa s[44:45], v32, v61 src0_sel:BYTE_0 src1_sel:DWORD
	v_mov_b32_e32 v57, v31
	v_cndmask_b32_e64 v31, 0, 1, s[44:45]
	;;#ASMSTART
	;;#ASMEND
	v_cmp_ne_u32_e32 vcc, 0, v31
	s_cmp_lg_u64 vcc, exec
	v_mov_b32_e32 v60, v30
	s_cbranch_scc1 .LBB194_153
; %bb.137:                              ;   in Loop: Header=BB194_136 Depth=1
	v_lshlrev_b64 v[30:31], 4, v[36:37]
	v_mov_b32_e32 v32, s57
	s_waitcnt lgkmcnt(0)
	v_add_co_u32_e32 v42, vcc, s56, v30
	v_addc_co_u32_e32 v43, vcc, v32, v31, vcc
	;;#ASMSTART
	global_load_dwordx4 v[30:33], v[42:43] off glc	
s_waitcnt vmcnt(0)
	;;#ASMEND
	v_and_b32_e32 v33, 0xff0000, v30
	v_or_b32_sdwa v33, v30, v33 dst_sel:DWORD dst_unused:UNUSED_PAD src0_sel:WORD_0 src1_sel:DWORD
	v_and_b32_e32 v30, 0xff000000, v30
	v_and_b32_e32 v31, 0xff, v31
	v_or3_b32 v31, 0, 0, v31
	v_or3_b32 v30, v33, v30, 0
	v_cmp_eq_u16_sdwa s[48:49], v32, v37 src0_sel:BYTE_0 src1_sel:DWORD
	s_and_saveexec_b64 s[44:45], s[48:49]
	s_cbranch_execz .LBB194_141
; %bb.138:                              ;   in Loop: Header=BB194_136 Depth=1
	s_mov_b64 s[48:49], 0
.LBB194_139:                            ;   Parent Loop BB194_136 Depth=1
                                        ; =>  This Inner Loop Header: Depth=2
	;;#ASMSTART
	global_load_dwordx4 v[30:33], v[42:43] off glc	
s_waitcnt vmcnt(0)
	;;#ASMEND
	v_cmp_ne_u16_sdwa s[54:55], v32, v37 src0_sel:BYTE_0 src1_sel:DWORD
	s_or_b64 s[48:49], s[54:55], s[48:49]
	s_andn2_b64 exec, exec, s[48:49]
	s_cbranch_execnz .LBB194_139
; %bb.140:                              ;   in Loop: Header=BB194_136 Depth=1
	s_or_b64 exec, exec, s[48:49]
	v_and_b32_e32 v31, 0xff, v31
.LBB194_141:                            ;   in Loop: Header=BB194_136 Depth=1
	s_or_b64 exec, exec, s[44:45]
	v_cmp_eq_u16_sdwa s[44:45], v32, v61 src0_sel:BYTE_0 src1_sel:DWORD
	v_and_b32_e32 v33, s45, v29
	v_or_b32_e32 v33, 0x80000000, v33
	ds_bpermute_b32 v62, v47, v30
	ds_bpermute_b32 v43, v47, v31
	v_and_b32_e32 v42, s44, v28
	v_ffbl_b32_e32 v33, v33
	v_add_u32_e32 v33, 32, v33
	v_ffbl_b32_e32 v42, v42
	v_min_u32_e32 v33, v42, v33
	v_cmp_lt_u32_e32 vcc, v27, v33
	v_mov_b32_e32 v42, v31
	s_and_saveexec_b64 s[44:45], vcc
	s_cbranch_execz .LBB194_143
; %bb.142:                              ;   in Loop: Header=BB194_136 Depth=1
	v_cmp_gt_u64_e32 vcc, s[42:43], v[30:31]
	s_waitcnt lgkmcnt(1)
	v_cndmask_b32_e32 v42, 1, v62, vcc
	v_and_b32_e32 v31, 1, v31
	v_mul_lo_u32 v30, v42, v30
	s_waitcnt lgkmcnt(0)
	v_and_b32_e32 v42, 1, v43
	v_cmp_eq_u32_e32 vcc, 1, v31
	v_cndmask_b32_e64 v31, v42, 1, vcc
	v_and_b32_e32 v42, 0xffff, v31
.LBB194_143:                            ;   in Loop: Header=BB194_136 Depth=1
	s_or_b64 exec, exec, s[44:45]
	s_waitcnt lgkmcnt(1)
	ds_bpermute_b32 v62, v48, v30
	s_waitcnt lgkmcnt(1)
	ds_bpermute_b32 v43, v48, v42
	v_cmp_le_u32_e32 vcc, v49, v33
	s_and_saveexec_b64 s[44:45], vcc
	s_cbranch_execz .LBB194_145
; %bb.144:                              ;   in Loop: Header=BB194_136 Depth=1
	v_cmp_eq_u16_e32 vcc, 0, v31
	s_waitcnt lgkmcnt(1)
	v_cndmask_b32_e32 v42, 1, v62, vcc
	v_and_b32_e32 v31, 1, v31
	v_mul_lo_u32 v30, v42, v30
	s_waitcnt lgkmcnt(0)
	v_and_b32_e32 v42, 1, v43
	v_cmp_eq_u32_e32 vcc, 1, v31
	v_cndmask_b32_e64 v31, v42, 1, vcc
	v_and_b32_e32 v42, 0xffff, v31
.LBB194_145:                            ;   in Loop: Header=BB194_136 Depth=1
	s_or_b64 exec, exec, s[44:45]
	s_waitcnt lgkmcnt(1)
	ds_bpermute_b32 v62, v51, v30
	s_waitcnt lgkmcnt(1)
	ds_bpermute_b32 v43, v51, v42
	v_cmp_le_u32_e32 vcc, v52, v33
	s_and_saveexec_b64 s[44:45], vcc
	s_cbranch_execz .LBB194_147
; %bb.146:                              ;   in Loop: Header=BB194_136 Depth=1
	v_cmp_eq_u16_e32 vcc, 0, v31
	s_waitcnt lgkmcnt(1)
	v_cndmask_b32_e32 v42, 1, v62, vcc
	v_and_b32_e32 v31, 1, v31
	v_mul_lo_u32 v30, v42, v30
	s_waitcnt lgkmcnt(0)
	v_and_b32_e32 v42, 1, v43
	v_cmp_eq_u32_e32 vcc, 1, v31
	v_cndmask_b32_e64 v31, v42, 1, vcc
	v_and_b32_e32 v42, 0xffff, v31
.LBB194_147:                            ;   in Loop: Header=BB194_136 Depth=1
	;; [unrolled: 20-line block ×4, first 2 shown]
	s_or_b64 exec, exec, s[44:45]
	s_waitcnt lgkmcnt(0)
	ds_bpermute_b32 v43, v58, v30
	ds_bpermute_b32 v42, v58, v42
	v_cmp_le_u32_e32 vcc, v59, v33
	s_and_saveexec_b64 s[44:45], vcc
	s_cbranch_execz .LBB194_135
; %bb.152:                              ;   in Loop: Header=BB194_136 Depth=1
	v_cmp_eq_u16_e32 vcc, 0, v31
	v_and_b32_e32 v31, 1, v31
	s_waitcnt lgkmcnt(1)
	v_cndmask_b32_e32 v33, 1, v43, vcc
	v_cmp_eq_u32_e32 vcc, 1, v31
	v_mul_lo_u32 v30, v33, v30
	s_waitcnt lgkmcnt(0)
	v_cndmask_b32_e64 v31, v42, 1, vcc
	s_branch .LBB194_135
.LBB194_153:                            ;   in Loop: Header=BB194_136 Depth=1
                                        ; implicit-def: $vgpr31
	s_cbranch_execz .LBB194_136
; %bb.154:
	s_and_saveexec_b64 s[42:43], s[34:35]
	s_cbranch_execz .LBB194_156
; %bb.155:
	s_and_b32 s44, s52, 0xff
	s_cmp_eq_u32 s44, 0
	s_cselect_b64 vcc, -1, 0
	s_bitcmp1_b32 s52, 0
	s_mov_b32 s45, 0
	s_cselect_b64 s[48:49], -1, 0
	s_add_i32 s44, s59, 64
	s_lshl_b64 s[44:45], s[44:45], 4
	v_cndmask_b32_e32 v27, 1, v60, vcc
	s_add_u32 s44, s56, s44
	v_mul_lo_u32 v26, v27, v26
	v_and_b32_e32 v27, 1, v57
	s_addc_u32 s45, s57, s45
	v_cndmask_b32_e64 v27, v27, 1, s[48:49]
	v_mov_b32_e32 v28, 2
	v_mov_b32_e32 v29, 0
	v_pk_mov_b32 v[30:31], s[44:45], s[44:45] op_sel:[0,1]
	;;#ASMSTART
	global_store_dwordx4 v[30:31], v[26:29] off	
s_waitcnt vmcnt(0)
	;;#ASMEND
.LBB194_156:
	s_or_b64 exec, exec, s[42:43]
	s_and_b64 exec, exec, s[0:1]
	s_cbranch_execz .LBB194_158
; %bb.157:
	v_mov_b32_e32 v26, 0
	ds_write_b32 v26, v60 offset:24
	ds_write_b8 v26, v57 offset:28
.LBB194_158:
	s_or_b64 exec, exec, s[4:5]
	v_mov_b32_e32 v26, 0
	s_waitcnt lgkmcnt(0)
	s_barrier
	ds_read_b32 v27, v26 offset:24
	v_mov_b32_e32 v28, v38
	s_and_saveexec_b64 s[4:5], s[36:37]
; %bb.159:
	v_cndmask_b32_e64 v28, v45, v35, s[34:35]
	v_cndmask_b32_e64 v29, v46, v44, s[34:35]
	v_and_b32_e32 v30, 1, v39
	s_mov_b32 s34, 0
	s_mov_b32 s35, 1
	v_and_b32_e32 v29, 1, v29
	v_cmp_eq_u32_e32 vcc, 1, v30
	v_cndmask_b32_e64 v34, v29, 1, vcc
	v_cmp_gt_u64_e32 vcc, s[34:35], v[38:39]
	v_cndmask_b32_e32 v28, 1, v28, vcc
	v_mul_lo_u32 v28, v28, v38
; %bb.160:
	s_or_b64 exec, exec, s[4:5]
	v_cmp_eq_u16_sdwa vcc, v34, v26 src0_sel:BYTE_0 src1_sel:DWORD
	s_waitcnt lgkmcnt(0)
	v_cndmask_b32_e32 v26, 1, v27, vcc
	v_mul_lo_u32 v26, v26, v28
	v_cndmask_b32_e64 v27, 1, v26, s[6:7]
	v_mul_lo_u32 v27, v27, v2
	v_cndmask_b32_e64 v28, 1, v27, s[8:9]
	;; [unrolled: 2-line block ×13, first 2 shown]
	v_mul_lo_u32 v49, v28, v40
	s_branch .LBB194_191
.LBB194_161:
                                        ; implicit-def: $vgpr49
                                        ; implicit-def: $vgpr47
                                        ; implicit-def: $vgpr45
                                        ; implicit-def: $vgpr43
                                        ; implicit-def: $vgpr34_vgpr35_vgpr36_vgpr37
                                        ; implicit-def: $vgpr30_vgpr31_vgpr32_vgpr33
                                        ; implicit-def: $vgpr26_vgpr27_vgpr28_vgpr29
	s_cbranch_execz .LBB194_191
; %bb.162:
	s_cmp_lg_u64 s[60:61], 0
	s_cselect_b32 s9, s51, 0
	s_cselect_b32 s8, s50, 0
	s_cmp_lg_u64 s[8:9], 0
	s_cselect_b64 s[6:7], -1, 0
	s_mov_b32 s4, 0
	s_and_b64 s[10:11], s[0:1], s[6:7]
	s_and_saveexec_b64 s[6:7], s[10:11]
	s_cbranch_execz .LBB194_164
; %bb.163:
	v_mov_b32_e32 v26, 0
	global_load_dword v28, v26, s[8:9]
	global_load_ubyte v29, v26, s[8:9] offset:4
	s_mov_b32 s5, 1
	v_and_b32_e32 v27, 1, v39
	v_cmp_gt_u64_e32 vcc, s[4:5], v[38:39]
	s_waitcnt vmcnt(1)
	v_cndmask_b32_e32 v28, 1, v28, vcc
	s_waitcnt vmcnt(0)
	v_and_b32_e32 v29, 1, v29
	v_cmp_eq_u64_e32 vcc, 0, v[26:27]
	v_mul_lo_u32 v38, v28, v38
	v_cndmask_b32_e32 v39, 1, v29, vcc
.LBB194_164:
	s_or_b64 exec, exec, s[6:7]
	s_mov_b32 s5, 1
	v_cmp_gt_u64_e32 vcc, s[4:5], v[2:3]
	v_cndmask_b32_e32 v26, 1, v38, vcc
	v_mul_lo_u32 v27, v26, v2
	v_cmp_gt_u64_e64 s[6:7], s[4:5], v[4:5]
	v_cndmask_b32_e64 v26, 1, v27, s[6:7]
	v_mul_lo_u32 v42, v26, v4
	v_cmp_gt_u64_e64 s[8:9], s[4:5], v[6:7]
	v_cndmask_b32_e64 v26, 1, v42, s[8:9]
	;; [unrolled: 3-line block ×7, first 2 shown]
	v_or3_b32 v7, v23, v15, v7
	v_mov_b32_e32 v28, 0
	v_mul_lo_u32 v34, v26, v16
	v_cmp_gt_u64_e64 s[20:21], s[4:5], v[18:19]
	v_or3_b32 v9, v25, v17, v9
	v_and_b32_e32 v53, 1, v7
	v_mov_b32_e32 v52, v28
	v_cndmask_b32_e64 v26, 1, v34, s[20:21]
	v_or3_b32 v3, v19, v11, v3
	v_and_b32_e32 v37, 1, v9
	v_mov_b32_e32 v36, v28
	v_cmp_ne_u64_e64 s[30:31], 0, v[52:53]
	v_mul_lo_u32 v35, v26, v18
	v_cmp_gt_u64_e64 s[22:23], s[4:5], v[20:21]
	v_or3_b32 v5, v21, v13, v5
	v_and_b32_e32 v29, 1, v3
	v_cndmask_b32_e64 v3, 0, 1, s[30:31]
	v_cmp_ne_u64_e64 s[30:31], 0, v[36:37]
	v_cndmask_b32_e64 v26, 1, v35, s[22:23]
	v_and_b32_e32 v33, 1, v5
	v_mov_b32_e32 v32, v28
	v_cndmask_b32_e64 v5, 0, 1, s[30:31]
	v_mul_lo_u32 v46, v26, v20
	v_cmp_gt_u64_e64 s[24:25], s[4:5], v[22:23]
	v_lshlrev_b16_e32 v3, 2, v3
	v_lshlrev_b16_e32 v5, 3, v5
	v_cmp_ne_u64_e64 s[30:31], 0, v[32:33]
	v_cndmask_b32_e64 v26, 1, v46, s[24:25]
	v_or_b32_e32 v3, v5, v3
	v_cndmask_b32_e64 v5, 0, 1, s[30:31]
	v_cmp_ne_u64_e64 s[30:31], 0, v[28:29]
	v_mul_lo_u32 v47, v26, v22
	v_cmp_gt_u64_e64 s[26:27], s[4:5], v[24:25]
	v_lshlrev_b16_e32 v5, 1, v5
	v_cndmask_b32_e64 v7, 0, 1, s[30:31]
	v_cndmask_b32_e64 v26, 1, v47, s[26:27]
	v_or_b32_e32 v5, v7, v5
	v_mul_lo_u32 v48, v26, v24
	v_cmp_gt_u64_e64 s[28:29], s[4:5], v[40:41]
	v_and_b32_e32 v5, 3, v5
	v_cndmask_b32_e64 v26, 1, v48, s[28:29]
	v_or_b32_e32 v3, v5, v3
	v_mul_lo_u32 v49, v26, v40
	v_and_b32_e32 v26, 1, v41
	v_and_b32_e32 v3, 15, v3
	v_cmp_eq_u32_e64 s[4:5], 1, v26
	v_cmp_ne_u16_e64 s[30:31], 0, v3
	s_or_b64 s[4:5], s[4:5], s[30:31]
	v_mbcnt_hi_u32_b32 v1, -1, v1
	v_cndmask_b32_e64 v5, v39, 1, s[4:5]
	v_and_b32_e32 v7, 15, v1
	v_mov_b32_dpp v11, v49 row_shr:1 row_mask:0xf bank_mask:0xf
	v_mov_b32_dpp v9, v5 row_shr:1 row_mask:0xf bank_mask:0xf
	v_cmp_ne_u32_e64 s[4:5], 0, v7
	v_mov_b32_e32 v3, v49
	s_and_saveexec_b64 s[30:31], s[4:5]
; %bb.165:
	v_cmp_eq_u32_e64 s[4:5], 0, v5
	v_and_b32_e32 v5, 1, v5
	v_cndmask_b32_e64 v3, 1, v11, s[4:5]
	v_and_b32_e32 v9, 1, v9
	v_cmp_eq_u32_e64 s[4:5], 1, v5
	v_mul_lo_u32 v3, v49, v3
	v_cndmask_b32_e64 v5, v9, 1, s[4:5]
; %bb.166:
	s_or_b64 exec, exec, s[30:31]
	v_mov_b32_dpp v11, v3 row_shr:2 row_mask:0xf bank_mask:0xf
	v_mov_b32_dpp v9, v5 row_shr:2 row_mask:0xf bank_mask:0xf
	v_cmp_lt_u32_e64 s[4:5], 1, v7
	s_and_saveexec_b64 s[30:31], s[4:5]
; %bb.167:
	v_cmp_eq_u32_e64 s[4:5], 0, v5
	v_and_b32_e32 v5, 1, v5
	v_cndmask_b32_e64 v11, 1, v11, s[4:5]
	v_and_b32_e32 v9, 1, v9
	v_cmp_eq_u32_e64 s[4:5], 1, v5
	v_mul_lo_u32 v3, v11, v3
	v_cndmask_b32_e64 v5, v9, 1, s[4:5]
; %bb.168:
	s_or_b64 exec, exec, s[30:31]
	v_mov_b32_dpp v11, v3 row_shr:4 row_mask:0xf bank_mask:0xf
	v_mov_b32_dpp v9, v5 row_shr:4 row_mask:0xf bank_mask:0xf
	v_cmp_lt_u32_e64 s[4:5], 3, v7
	;; [unrolled: 14-line block ×3, first 2 shown]
	s_and_saveexec_b64 s[30:31], s[4:5]
; %bb.171:
	v_cmp_eq_u32_e64 s[4:5], 0, v5
	v_cndmask_b32_e64 v7, 1, v11, s[4:5]
	v_and_b32_e32 v5, 1, v5
	v_mul_lo_u32 v3, v7, v3
	v_and_b32_e32 v7, 1, v9
	v_cmp_eq_u32_e64 s[4:5], 1, v5
	v_cndmask_b32_e64 v5, v7, 1, s[4:5]
; %bb.172:
	s_or_b64 exec, exec, s[30:31]
	v_and_b32_e32 v11, 16, v1
	v_mov_b32_dpp v9, v3 row_bcast:15 row_mask:0xf bank_mask:0xf
	v_mov_b32_dpp v7, v5 row_bcast:15 row_mask:0xf bank_mask:0xf
	v_cmp_ne_u32_e64 s[4:5], 0, v11
	s_and_saveexec_b64 s[30:31], s[4:5]
; %bb.173:
	v_cmp_eq_u32_e64 s[4:5], 0, v5
	v_and_b32_e32 v5, 1, v5
	v_cndmask_b32_e64 v9, 1, v9, s[4:5]
	v_and_b32_e32 v7, 1, v7
	v_cmp_eq_u32_e64 s[4:5], 1, v5
	v_mul_lo_u32 v3, v9, v3
	v_cndmask_b32_e64 v5, v7, 1, s[4:5]
; %bb.174:
	s_or_b64 exec, exec, s[30:31]
	v_mov_b32_dpp v9, v3 row_bcast:31 row_mask:0xf bank_mask:0xf
	v_mov_b32_dpp v7, v5 row_bcast:31 row_mask:0xf bank_mask:0xf
	v_cmp_lt_u32_e64 s[4:5], 31, v1
	s_and_saveexec_b64 s[30:31], s[4:5]
; %bb.175:
	v_cmp_eq_u32_e64 s[4:5], 0, v5
	v_and_b32_e32 v5, 1, v5
	v_cndmask_b32_e64 v9, 1, v9, s[4:5]
	v_and_b32_e32 v7, 1, v7
	v_cmp_eq_u32_e64 s[4:5], 1, v5
	v_mul_lo_u32 v3, v9, v3
	v_cndmask_b32_e64 v5, v7, 1, s[4:5]
; %bb.176:
	s_or_b64 exec, exec, s[30:31]
	v_or_b32_e32 v9, 63, v0
	v_lshrrev_b32_e32 v7, 6, v0
	v_cmp_eq_u32_e64 s[4:5], v9, v0
	s_and_saveexec_b64 s[30:31], s[4:5]
	s_cbranch_execz .LBB194_178
; %bb.177:
	v_lshlrev_b32_e32 v9, 3, v7
	ds_write_b32 v9, v3
	ds_write_b8 v9, v5 offset:4
.LBB194_178:
	s_or_b64 exec, exec, s[30:31]
	v_cmp_gt_u32_e64 s[4:5], 4, v0
	s_waitcnt lgkmcnt(0)
	s_barrier
	s_and_saveexec_b64 s[30:31], s[4:5]
	s_cbranch_execz .LBB194_184
; %bb.179:
	v_lshlrev_b32_e32 v9, 3, v0
	ds_read_b64 v[28:29], v9
	v_and_b32_e32 v11, 3, v1
	v_cmp_ne_u32_e64 s[4:5], 0, v11
	s_waitcnt lgkmcnt(0)
	v_mov_b32_dpp v17, v28 row_shr:1 row_mask:0xf bank_mask:0xf
	v_mov_b32_dpp v15, v29 row_shr:1 row_mask:0xf bank_mask:0xf
	v_mov_b32_e32 v13, v29
	s_and_saveexec_b64 s[34:35], s[4:5]
	s_cbranch_execz .LBB194_181
; %bb.180:
	v_mov_b32_e32 v13, 0
	v_cmp_eq_u16_sdwa s[4:5], v29, v13 src0_sel:BYTE_0 src1_sel:DWORD
	v_cndmask_b32_e64 v13, 1, v17, s[4:5]
	v_mul_lo_u32 v28, v13, v28
	v_and_b32_e32 v13, 1, v29
	v_and_b32_e32 v15, 1, v15
	v_cmp_eq_u32_e64 s[4:5], 1, v13
	v_cndmask_b32_e64 v15, v15, 1, s[4:5]
	v_and_b32_e32 v13, 0xffff, v15
	s_movk_i32 s4, 0xff00
	v_and_or_b32 v13, v29, s4, v13
	v_mov_b32_e32 v29, v15
.LBB194_181:
	s_or_b64 exec, exec, s[34:35]
	v_mov_b32_dpp v15, v28 row_shr:2 row_mask:0xf bank_mask:0xf
	v_mov_b32_dpp v13, v13 row_shr:2 row_mask:0xf bank_mask:0xf
	v_cmp_lt_u32_e64 s[4:5], 1, v11
	s_and_saveexec_b64 s[34:35], s[4:5]
; %bb.182:
	v_mov_b32_e32 v11, 0
	v_cmp_eq_u16_sdwa s[4:5], v29, v11 src0_sel:BYTE_0 src1_sel:DWORD
	v_cndmask_b32_e64 v11, 1, v15, s[4:5]
	v_mul_lo_u32 v28, v11, v28
	v_and_b32_e32 v11, 1, v29
	v_and_b32_e32 v13, 1, v13
	v_cmp_eq_u32_e64 s[4:5], 1, v11
	v_cndmask_b32_e64 v29, v13, 1, s[4:5]
; %bb.183:
	s_or_b64 exec, exec, s[34:35]
	ds_write_b32 v9, v28
	ds_write_b8 v9, v29 offset:4
.LBB194_184:
	s_or_b64 exec, exec, s[30:31]
	v_cmp_lt_u32_e64 s[4:5], 63, v0
	v_mov_b32_e32 v9, 0
	s_waitcnt lgkmcnt(0)
	s_barrier
	s_and_saveexec_b64 s[30:31], s[4:5]
	s_cbranch_execz .LBB194_186
; %bb.185:
	v_lshl_add_u32 v7, v7, 3, -8
	ds_read_b32 v9, v7
	v_cmp_eq_u32_e64 s[4:5], 0, v5
	s_waitcnt lgkmcnt(0)
	v_cndmask_b32_e64 v5, 1, v9, s[4:5]
	v_mul_lo_u32 v3, v5, v3
.LBB194_186:
	s_or_b64 exec, exec, s[30:31]
	v_add_u32_e32 v5, -1, v1
	v_and_b32_e32 v7, 64, v1
	v_cmp_lt_i32_e64 s[4:5], v5, v7
	v_cndmask_b32_e64 v5, v5, v1, s[4:5]
	v_lshlrev_b32_e32 v5, 2, v5
	ds_bpermute_b32 v3, v5, v3
	s_and_saveexec_b64 s[30:31], s[36:37]
	s_cbranch_execz .LBB194_188
; %bb.187:
	v_cmp_eq_u32_e64 s[4:5], 0, v1
	v_and_b32_e32 v27, 0xff, v39
	v_mov_b32_e32 v26, 0
	s_waitcnt lgkmcnt(0)
	v_cndmask_b32_e64 v1, v3, v9, s[4:5]
	v_cmp_eq_u64_e64 s[4:5], 0, v[26:27]
	v_cndmask_b32_e64 v1, 1, v1, s[4:5]
	v_mul_lo_u32 v38, v1, v38
	v_cndmask_b32_e32 v1, 1, v38, vcc
	v_mul_lo_u32 v27, v1, v2
	v_cndmask_b32_e64 v1, 1, v27, s[6:7]
	v_mul_lo_u32 v42, v1, v4
	v_cndmask_b32_e64 v1, 1, v42, s[8:9]
	;; [unrolled: 2-line block ×12, first 2 shown]
	v_mul_lo_u32 v49, v1, v40
	;;#ASMSTART
	;;#ASMEND
.LBB194_188:
	s_or_b64 exec, exec, s[30:31]
	s_and_saveexec_b64 s[4:5], s[0:1]
	s_cbranch_execz .LBB194_190
; %bb.189:
	v_mov_b32_e32 v5, 0
	ds_read_b32 v2, v5 offset:24
	s_waitcnt lgkmcnt(1)
	ds_read_u8 v3, v5 offset:28
	s_add_u32 s0, s56, 0x400
	s_addc_u32 s1, s57, 0
	v_mov_b32_e32 v4, 2
	v_pk_mov_b32 v[6:7], s[0:1], s[0:1] op_sel:[0,1]
	s_waitcnt lgkmcnt(0)
	;;#ASMSTART
	global_store_dwordx4 v[6:7], v[2:5] off	
s_waitcnt vmcnt(0)
	;;#ASMEND
.LBB194_190:
	s_or_b64 exec, exec, s[4:5]
	v_mov_b32_e32 v26, v38
.LBB194_191:
	s_add_u32 s0, s46, s38
	s_addc_u32 s1, s47, s39
	s_add_u32 s4, s0, s40
	v_mul_u32_u24_e32 v1, 14, v0
	s_addc_u32 s5, s1, s41
	s_and_b64 vcc, exec, s[2:3]
	v_lshlrev_b32_e32 v2, 2, v1
	s_cbranch_vccz .LBB194_219
; %bb.192:
	s_movk_i32 s0, 0xffcc
	s_waitcnt lgkmcnt(0)
	v_mad_i32_i24 v3, v0, s0, v2
	s_barrier
	ds_write2_b64 v2, v[26:27], v[42:43] offset1:1
	ds_write2_b64 v2, v[30:31], v[44:45] offset0:2 offset1:3
	ds_write2_b64 v2, v[34:35], v[46:47] offset0:4 offset1:5
	ds_write_b64 v2, v[48:49] offset:48
	s_waitcnt lgkmcnt(0)
	s_barrier
	ds_read2st64_b32 v[16:17], v3 offset0:4 offset1:8
	ds_read2st64_b32 v[14:15], v3 offset0:12 offset1:16
	;; [unrolled: 1-line block ×6, first 2 shown]
	ds_read_b32 v3, v3 offset:13312
	v_mov_b32_e32 v7, s5
	v_add_co_u32_e32 v6, vcc, s4, v50
	s_add_i32 s33, s33, s58
	v_addc_co_u32_e32 v7, vcc, 0, v7, vcc
	v_mov_b32_e32 v1, 0
	v_cmp_gt_u32_e32 vcc, s33, v0
	s_and_saveexec_b64 s[0:1], vcc
	s_cbranch_execz .LBB194_194
; %bb.193:
	v_mul_i32_i24_e32 v18, 0xffffffcc, v0
	v_add_u32_e32 v18, v2, v18
	ds_read_b32 v18, v18
	s_waitcnt lgkmcnt(0)
	flat_store_dword v[6:7], v18
.LBB194_194:
	s_or_b64 exec, exec, s[0:1]
	v_or_b32_e32 v18, 0x100, v0
	v_cmp_gt_u32_e32 vcc, s33, v18
	s_and_saveexec_b64 s[0:1], vcc
	s_cbranch_execz .LBB194_196
; %bb.195:
	s_waitcnt lgkmcnt(0)
	flat_store_dword v[6:7], v16 offset:1024
.LBB194_196:
	s_or_b64 exec, exec, s[0:1]
	s_waitcnt lgkmcnt(0)
	v_or_b32_e32 v16, 0x200, v0
	v_cmp_gt_u32_e32 vcc, s33, v16
	s_and_saveexec_b64 s[0:1], vcc
	s_cbranch_execz .LBB194_198
; %bb.197:
	flat_store_dword v[6:7], v17 offset:2048
.LBB194_198:
	s_or_b64 exec, exec, s[0:1]
	v_or_b32_e32 v16, 0x300, v0
	v_cmp_gt_u32_e32 vcc, s33, v16
	s_and_saveexec_b64 s[0:1], vcc
	s_cbranch_execz .LBB194_200
; %bb.199:
	flat_store_dword v[6:7], v14 offset:3072
.LBB194_200:
	s_or_b64 exec, exec, s[0:1]
	v_or_b32_e32 v14, 0x400, v0
	v_cmp_gt_u32_e32 vcc, s33, v14
	s_and_saveexec_b64 s[0:1], vcc
	s_cbranch_execz .LBB194_202
; %bb.201:
	v_add_co_u32_e32 v16, vcc, 0x1000, v6
	v_addc_co_u32_e32 v17, vcc, 0, v7, vcc
	flat_store_dword v[16:17], v15
.LBB194_202:
	s_or_b64 exec, exec, s[0:1]
	v_or_b32_e32 v14, 0x500, v0
	v_cmp_gt_u32_e32 vcc, s33, v14
	s_and_saveexec_b64 s[0:1], vcc
	s_cbranch_execz .LBB194_204
; %bb.203:
	v_add_co_u32_e32 v14, vcc, 0x1000, v6
	v_addc_co_u32_e32 v15, vcc, 0, v7, vcc
	flat_store_dword v[14:15], v12 offset:1024
.LBB194_204:
	s_or_b64 exec, exec, s[0:1]
	v_or_b32_e32 v12, 0x600, v0
	v_cmp_gt_u32_e32 vcc, s33, v12
	s_and_saveexec_b64 s[0:1], vcc
	s_cbranch_execz .LBB194_206
; %bb.205:
	v_add_co_u32_e32 v14, vcc, 0x1000, v6
	v_addc_co_u32_e32 v15, vcc, 0, v7, vcc
	flat_store_dword v[14:15], v13 offset:2048
.LBB194_206:
	;; [unrolled: 10-line block ×3, first 2 shown]
	s_or_b64 exec, exec, s[0:1]
	v_or_b32_e32 v10, 0x800, v0
	v_cmp_gt_u32_e32 vcc, s33, v10
	s_and_saveexec_b64 s[0:1], vcc
	s_cbranch_execz .LBB194_210
; %bb.209:
	v_add_co_u32_e32 v12, vcc, 0x2000, v6
	v_addc_co_u32_e32 v13, vcc, 0, v7, vcc
	flat_store_dword v[12:13], v11
.LBB194_210:
	s_or_b64 exec, exec, s[0:1]
	v_or_b32_e32 v10, 0x900, v0
	v_cmp_gt_u32_e32 vcc, s33, v10
	s_and_saveexec_b64 s[0:1], vcc
	s_cbranch_execz .LBB194_212
; %bb.211:
	v_add_co_u32_e32 v10, vcc, 0x2000, v6
	v_addc_co_u32_e32 v11, vcc, 0, v7, vcc
	flat_store_dword v[10:11], v8 offset:1024
.LBB194_212:
	s_or_b64 exec, exec, s[0:1]
	v_or_b32_e32 v8, 0xa00, v0
	v_cmp_gt_u32_e32 vcc, s33, v8
	s_and_saveexec_b64 s[0:1], vcc
	s_cbranch_execz .LBB194_214
; %bb.213:
	v_add_co_u32_e32 v10, vcc, 0x2000, v6
	v_addc_co_u32_e32 v11, vcc, 0, v7, vcc
	flat_store_dword v[10:11], v9 offset:2048
.LBB194_214:
	;; [unrolled: 10-line block ×3, first 2 shown]
	s_or_b64 exec, exec, s[0:1]
	v_or_b32_e32 v4, 0xc00, v0
	v_cmp_gt_u32_e32 vcc, s33, v4
	s_and_saveexec_b64 s[0:1], vcc
	s_cbranch_execz .LBB194_218
; %bb.217:
	v_add_co_u32_e32 v6, vcc, 0x3000, v6
	v_addc_co_u32_e32 v7, vcc, 0, v7, vcc
	flat_store_dword v[6:7], v5
.LBB194_218:
	s_or_b64 exec, exec, s[0:1]
	v_or_b32_e32 v4, 0xd00, v0
	v_cmp_gt_u32_e64 s[0:1], s33, v4
	s_branch .LBB194_221
.LBB194_219:
	s_mov_b64 s[0:1], 0
                                        ; implicit-def: $vgpr3
	s_cbranch_execz .LBB194_221
; %bb.220:
	s_movk_i32 s2, 0xffcc
	s_waitcnt lgkmcnt(0)
	s_barrier
	ds_write2_b64 v2, v[26:27], v[42:43] offset1:1
	ds_write2_b64 v2, v[30:31], v[44:45] offset0:2 offset1:3
	ds_write2_b64 v2, v[34:35], v[46:47] offset0:4 offset1:5
	ds_write_b64 v2, v[48:49] offset:48
	v_mad_i32_i24 v2, v0, s2, v2
	v_mov_b32_e32 v17, s5
	v_add_co_u32_e32 v16, vcc, s4, v50
	s_waitcnt lgkmcnt(0)
	s_barrier
	ds_read2st64_b32 v[4:5], v2 offset1:4
	ds_read2st64_b32 v[6:7], v2 offset0:8 offset1:12
	ds_read2st64_b32 v[8:9], v2 offset0:16 offset1:20
	;; [unrolled: 1-line block ×6, first 2 shown]
	v_addc_co_u32_e32 v17, vcc, 0, v17, vcc
	s_movk_i32 s2, 0x1000
	s_waitcnt lgkmcnt(0)
	flat_store_dword v[16:17], v4
	flat_store_dword v[16:17], v5 offset:1024
	flat_store_dword v[16:17], v6 offset:2048
	;; [unrolled: 1-line block ×3, first 2 shown]
	v_add_co_u32_e32 v4, vcc, s2, v16
	v_addc_co_u32_e32 v5, vcc, 0, v17, vcc
	flat_store_dword v[4:5], v8
	flat_store_dword v[4:5], v9 offset:1024
	flat_store_dword v[4:5], v10 offset:2048
	;; [unrolled: 1-line block ×3, first 2 shown]
	v_add_co_u32_e32 v4, vcc, 0x2000, v16
	v_addc_co_u32_e32 v5, vcc, 0, v17, vcc
	flat_store_dword v[4:5], v12
	flat_store_dword v[4:5], v13 offset:1024
	flat_store_dword v[4:5], v14 offset:2048
	;; [unrolled: 1-line block ×3, first 2 shown]
	v_add_co_u32_e32 v4, vcc, 0x3000, v16
	v_mov_b32_e32 v1, 0
	v_addc_co_u32_e32 v5, vcc, 0, v17, vcc
	s_or_b64 s[0:1], s[0:1], exec
	flat_store_dword v[4:5], v2
.LBB194_221:
	s_and_saveexec_b64 s[2:3], s[0:1]
	s_cbranch_execnz .LBB194_223
; %bb.222:
	s_endpgm
.LBB194_223:
	v_lshlrev_b64 v[0:1], 2, v[0:1]
	v_mov_b32_e32 v2, s5
	v_add_co_u32_e32 v0, vcc, s4, v0
	v_addc_co_u32_e32 v1, vcc, v2, v1, vcc
	v_add_co_u32_e32 v0, vcc, 0x3000, v0
	v_addc_co_u32_e32 v1, vcc, 0, v1, vcc
	s_waitcnt lgkmcnt(0)
	flat_store_dword v[0:1], v3 offset:1024
	s_endpgm
.LBB194_224:
	v_mov_b32_e32 v13, s63
	v_add_co_u32_e32 v14, vcc, s62, v12
	v_addc_co_u32_e32 v15, vcc, 0, v13, vcc
	flat_load_dword v13, v[14:15]
	s_or_b64 exec, exec, s[4:5]
                                        ; implicit-def: $vgpr14
	s_and_saveexec_b64 s[4:5], s[8:9]
	s_cbranch_execz .LBB194_41
.LBB194_225:
	v_mov_b32_e32 v15, s63
	v_add_co_u32_e32 v14, vcc, s62, v12
	v_addc_co_u32_e32 v15, vcc, 0, v15, vcc
	flat_load_dword v14, v[14:15] offset:1024
	s_or_b64 exec, exec, s[4:5]
                                        ; implicit-def: $vgpr15
	s_and_saveexec_b64 s[4:5], s[10:11]
	s_cbranch_execz .LBB194_42
.LBB194_226:
	v_mov_b32_e32 v15, s63
	v_add_co_u32_e32 v16, vcc, s62, v12
	v_addc_co_u32_e32 v17, vcc, 0, v15, vcc
	flat_load_dword v15, v[16:17] offset:2048
	s_or_b64 exec, exec, s[4:5]
                                        ; implicit-def: $vgpr16
	s_and_saveexec_b64 s[4:5], s[12:13]
	s_cbranch_execz .LBB194_43
.LBB194_227:
	v_mov_b32_e32 v17, s63
	v_add_co_u32_e32 v16, vcc, s62, v12
	v_addc_co_u32_e32 v17, vcc, 0, v17, vcc
	flat_load_dword v16, v[16:17] offset:3072
	s_or_b64 exec, exec, s[4:5]
                                        ; implicit-def: $vgpr17
	s_and_saveexec_b64 s[4:5], s[14:15]
	s_cbranch_execz .LBB194_44
.LBB194_228:
	v_mov_b32_e32 v17, s63
	v_add_co_u32_e32 v18, vcc, s62, v2
	v_addc_co_u32_e32 v19, vcc, 0, v17, vcc
	flat_load_dword v17, v[18:19]
	s_or_b64 exec, exec, s[4:5]
                                        ; implicit-def: $vgpr2
	s_and_saveexec_b64 s[4:5], s[16:17]
	s_cbranch_execz .LBB194_45
.LBB194_229:
	v_mov_b32_e32 v18, s63
	v_add_co_u32_e32 v2, vcc, s62, v3
	v_addc_co_u32_e32 v3, vcc, 0, v18, vcc
	flat_load_dword v2, v[2:3]
	s_or_b64 exec, exec, s[4:5]
                                        ; implicit-def: $vgpr3
	s_and_saveexec_b64 s[4:5], s[18:19]
	s_cbranch_execz .LBB194_46
.LBB194_230:
	v_mov_b32_e32 v3, s63
	v_add_co_u32_e32 v18, vcc, s62, v4
	v_addc_co_u32_e32 v19, vcc, 0, v3, vcc
	flat_load_dword v3, v[18:19]
	s_or_b64 exec, exec, s[4:5]
                                        ; implicit-def: $vgpr4
	s_and_saveexec_b64 s[4:5], s[20:21]
	s_cbranch_execz .LBB194_47
.LBB194_231:
	v_mov_b32_e32 v18, s63
	v_add_co_u32_e32 v4, vcc, s62, v5
	v_addc_co_u32_e32 v5, vcc, 0, v18, vcc
	flat_load_dword v4, v[4:5]
	s_or_b64 exec, exec, s[4:5]
                                        ; implicit-def: $vgpr5
	s_and_saveexec_b64 s[4:5], s[22:23]
	s_cbranch_execz .LBB194_48
.LBB194_232:
	v_mov_b32_e32 v5, s63
	v_add_co_u32_e32 v18, vcc, s62, v6
	v_addc_co_u32_e32 v19, vcc, 0, v5, vcc
	flat_load_dword v5, v[18:19]
	s_or_b64 exec, exec, s[4:5]
                                        ; implicit-def: $vgpr6
	s_and_saveexec_b64 s[4:5], s[24:25]
	s_cbranch_execz .LBB194_49
.LBB194_233:
	v_mov_b32_e32 v18, s63
	v_add_co_u32_e32 v6, vcc, s62, v7
	v_addc_co_u32_e32 v7, vcc, 0, v18, vcc
	flat_load_dword v6, v[6:7]
	s_or_b64 exec, exec, s[4:5]
                                        ; implicit-def: $vgpr7
	s_and_saveexec_b64 s[4:5], s[26:27]
	s_cbranch_execz .LBB194_50
.LBB194_234:
	v_mov_b32_e32 v7, s63
	v_add_co_u32_e32 v18, vcc, s62, v8
	v_addc_co_u32_e32 v19, vcc, 0, v7, vcc
	flat_load_dword v7, v[18:19]
	s_or_b64 exec, exec, s[4:5]
                                        ; implicit-def: $vgpr8
	s_and_saveexec_b64 s[4:5], s[28:29]
	s_cbranch_execz .LBB194_51
.LBB194_235:
	v_mov_b32_e32 v18, s63
	v_add_co_u32_e32 v8, vcc, s62, v9
	v_addc_co_u32_e32 v9, vcc, 0, v18, vcc
	flat_load_dword v8, v[8:9]
	s_or_b64 exec, exec, s[4:5]
                                        ; implicit-def: $vgpr9
	s_and_saveexec_b64 s[4:5], s[30:31]
	s_cbranch_execz .LBB194_52
.LBB194_236:
	v_mov_b32_e32 v9, s63
	v_add_co_u32_e32 v18, vcc, s62, v10
	v_addc_co_u32_e32 v19, vcc, 0, v9, vcc
	flat_load_dword v9, v[18:19]
	s_or_b64 exec, exec, s[4:5]
                                        ; implicit-def: $vgpr10
	s_and_saveexec_b64 s[4:5], s[34:35]
	s_cbranch_execnz .LBB194_53
	s_branch .LBB194_54
.LBB194_237:
                                        ; implicit-def: $sgpr4_sgpr5
	s_branch .LBB194_36
.LBB194_238:
                                        ; implicit-def: $sgpr4_sgpr5
	s_branch .LBB194_85
	.section	.rodata,"a",@progbits
	.p2align	6, 0x0
	.amdhsa_kernel _ZN7rocprim17ROCPRIM_400000_NS6detail17trampoline_kernelINS0_14default_configENS1_27scan_by_key_config_selectorIiiEEZZNS1_16scan_by_key_implILNS1_25lookback_scan_determinismE0ELb0ES3_N6thrust23THRUST_200600_302600_NS6detail15normal_iteratorINS9_10device_ptrIiEEEESE_SE_iNS9_10multipliesIiEENS9_8equal_toIiEEiEE10hipError_tPvRmT2_T3_T4_T5_mT6_T7_P12ihipStream_tbENKUlT_T0_E_clISt17integral_constantIbLb0EESY_IbLb1EEEEDaSU_SV_EUlSU_E_NS1_11comp_targetILNS1_3genE4ELNS1_11target_archE910ELNS1_3gpuE8ELNS1_3repE0EEENS1_30default_config_static_selectorELNS0_4arch9wavefront6targetE1EEEvT1_
		.amdhsa_group_segment_fixed_size 16384
		.amdhsa_private_segment_fixed_size 0
		.amdhsa_kernarg_size 112
		.amdhsa_user_sgpr_count 6
		.amdhsa_user_sgpr_private_segment_buffer 1
		.amdhsa_user_sgpr_dispatch_ptr 0
		.amdhsa_user_sgpr_queue_ptr 0
		.amdhsa_user_sgpr_kernarg_segment_ptr 1
		.amdhsa_user_sgpr_dispatch_id 0
		.amdhsa_user_sgpr_flat_scratch_init 0
		.amdhsa_user_sgpr_kernarg_preload_length 0
		.amdhsa_user_sgpr_kernarg_preload_offset 0
		.amdhsa_user_sgpr_private_segment_size 0
		.amdhsa_uses_dynamic_stack 0
		.amdhsa_system_sgpr_private_segment_wavefront_offset 0
		.amdhsa_system_sgpr_workgroup_id_x 1
		.amdhsa_system_sgpr_workgroup_id_y 0
		.amdhsa_system_sgpr_workgroup_id_z 0
		.amdhsa_system_sgpr_workgroup_info 0
		.amdhsa_system_vgpr_workitem_id 0
		.amdhsa_next_free_vgpr 63
		.amdhsa_next_free_sgpr 65
		.amdhsa_accum_offset 64
		.amdhsa_reserve_vcc 1
		.amdhsa_reserve_flat_scratch 0
		.amdhsa_float_round_mode_32 0
		.amdhsa_float_round_mode_16_64 0
		.amdhsa_float_denorm_mode_32 3
		.amdhsa_float_denorm_mode_16_64 3
		.amdhsa_dx10_clamp 1
		.amdhsa_ieee_mode 1
		.amdhsa_fp16_overflow 0
		.amdhsa_tg_split 0
		.amdhsa_exception_fp_ieee_invalid_op 0
		.amdhsa_exception_fp_denorm_src 0
		.amdhsa_exception_fp_ieee_div_zero 0
		.amdhsa_exception_fp_ieee_overflow 0
		.amdhsa_exception_fp_ieee_underflow 0
		.amdhsa_exception_fp_ieee_inexact 0
		.amdhsa_exception_int_div_zero 0
	.end_amdhsa_kernel
	.section	.text._ZN7rocprim17ROCPRIM_400000_NS6detail17trampoline_kernelINS0_14default_configENS1_27scan_by_key_config_selectorIiiEEZZNS1_16scan_by_key_implILNS1_25lookback_scan_determinismE0ELb0ES3_N6thrust23THRUST_200600_302600_NS6detail15normal_iteratorINS9_10device_ptrIiEEEESE_SE_iNS9_10multipliesIiEENS9_8equal_toIiEEiEE10hipError_tPvRmT2_T3_T4_T5_mT6_T7_P12ihipStream_tbENKUlT_T0_E_clISt17integral_constantIbLb0EESY_IbLb1EEEEDaSU_SV_EUlSU_E_NS1_11comp_targetILNS1_3genE4ELNS1_11target_archE910ELNS1_3gpuE8ELNS1_3repE0EEENS1_30default_config_static_selectorELNS0_4arch9wavefront6targetE1EEEvT1_,"axG",@progbits,_ZN7rocprim17ROCPRIM_400000_NS6detail17trampoline_kernelINS0_14default_configENS1_27scan_by_key_config_selectorIiiEEZZNS1_16scan_by_key_implILNS1_25lookback_scan_determinismE0ELb0ES3_N6thrust23THRUST_200600_302600_NS6detail15normal_iteratorINS9_10device_ptrIiEEEESE_SE_iNS9_10multipliesIiEENS9_8equal_toIiEEiEE10hipError_tPvRmT2_T3_T4_T5_mT6_T7_P12ihipStream_tbENKUlT_T0_E_clISt17integral_constantIbLb0EESY_IbLb1EEEEDaSU_SV_EUlSU_E_NS1_11comp_targetILNS1_3genE4ELNS1_11target_archE910ELNS1_3gpuE8ELNS1_3repE0EEENS1_30default_config_static_selectorELNS0_4arch9wavefront6targetE1EEEvT1_,comdat
.Lfunc_end194:
	.size	_ZN7rocprim17ROCPRIM_400000_NS6detail17trampoline_kernelINS0_14default_configENS1_27scan_by_key_config_selectorIiiEEZZNS1_16scan_by_key_implILNS1_25lookback_scan_determinismE0ELb0ES3_N6thrust23THRUST_200600_302600_NS6detail15normal_iteratorINS9_10device_ptrIiEEEESE_SE_iNS9_10multipliesIiEENS9_8equal_toIiEEiEE10hipError_tPvRmT2_T3_T4_T5_mT6_T7_P12ihipStream_tbENKUlT_T0_E_clISt17integral_constantIbLb0EESY_IbLb1EEEEDaSU_SV_EUlSU_E_NS1_11comp_targetILNS1_3genE4ELNS1_11target_archE910ELNS1_3gpuE8ELNS1_3repE0EEENS1_30default_config_static_selectorELNS0_4arch9wavefront6targetE1EEEvT1_, .Lfunc_end194-_ZN7rocprim17ROCPRIM_400000_NS6detail17trampoline_kernelINS0_14default_configENS1_27scan_by_key_config_selectorIiiEEZZNS1_16scan_by_key_implILNS1_25lookback_scan_determinismE0ELb0ES3_N6thrust23THRUST_200600_302600_NS6detail15normal_iteratorINS9_10device_ptrIiEEEESE_SE_iNS9_10multipliesIiEENS9_8equal_toIiEEiEE10hipError_tPvRmT2_T3_T4_T5_mT6_T7_P12ihipStream_tbENKUlT_T0_E_clISt17integral_constantIbLb0EESY_IbLb1EEEEDaSU_SV_EUlSU_E_NS1_11comp_targetILNS1_3genE4ELNS1_11target_archE910ELNS1_3gpuE8ELNS1_3repE0EEENS1_30default_config_static_selectorELNS0_4arch9wavefront6targetE1EEEvT1_
                                        ; -- End function
	.section	.AMDGPU.csdata,"",@progbits
; Kernel info:
; codeLenInByte = 11288
; NumSgprs: 69
; NumVgprs: 63
; NumAgprs: 0
; TotalNumVgprs: 63
; ScratchSize: 0
; MemoryBound: 0
; FloatMode: 240
; IeeeMode: 1
; LDSByteSize: 16384 bytes/workgroup (compile time only)
; SGPRBlocks: 8
; VGPRBlocks: 7
; NumSGPRsForWavesPerEU: 69
; NumVGPRsForWavesPerEU: 63
; AccumOffset: 64
; Occupancy: 4
; WaveLimiterHint : 1
; COMPUTE_PGM_RSRC2:SCRATCH_EN: 0
; COMPUTE_PGM_RSRC2:USER_SGPR: 6
; COMPUTE_PGM_RSRC2:TRAP_HANDLER: 0
; COMPUTE_PGM_RSRC2:TGID_X_EN: 1
; COMPUTE_PGM_RSRC2:TGID_Y_EN: 0
; COMPUTE_PGM_RSRC2:TGID_Z_EN: 0
; COMPUTE_PGM_RSRC2:TIDIG_COMP_CNT: 0
; COMPUTE_PGM_RSRC3_GFX90A:ACCUM_OFFSET: 15
; COMPUTE_PGM_RSRC3_GFX90A:TG_SPLIT: 0
	.section	.text._ZN7rocprim17ROCPRIM_400000_NS6detail17trampoline_kernelINS0_14default_configENS1_27scan_by_key_config_selectorIiiEEZZNS1_16scan_by_key_implILNS1_25lookback_scan_determinismE0ELb0ES3_N6thrust23THRUST_200600_302600_NS6detail15normal_iteratorINS9_10device_ptrIiEEEESE_SE_iNS9_10multipliesIiEENS9_8equal_toIiEEiEE10hipError_tPvRmT2_T3_T4_T5_mT6_T7_P12ihipStream_tbENKUlT_T0_E_clISt17integral_constantIbLb0EESY_IbLb1EEEEDaSU_SV_EUlSU_E_NS1_11comp_targetILNS1_3genE3ELNS1_11target_archE908ELNS1_3gpuE7ELNS1_3repE0EEENS1_30default_config_static_selectorELNS0_4arch9wavefront6targetE1EEEvT1_,"axG",@progbits,_ZN7rocprim17ROCPRIM_400000_NS6detail17trampoline_kernelINS0_14default_configENS1_27scan_by_key_config_selectorIiiEEZZNS1_16scan_by_key_implILNS1_25lookback_scan_determinismE0ELb0ES3_N6thrust23THRUST_200600_302600_NS6detail15normal_iteratorINS9_10device_ptrIiEEEESE_SE_iNS9_10multipliesIiEENS9_8equal_toIiEEiEE10hipError_tPvRmT2_T3_T4_T5_mT6_T7_P12ihipStream_tbENKUlT_T0_E_clISt17integral_constantIbLb0EESY_IbLb1EEEEDaSU_SV_EUlSU_E_NS1_11comp_targetILNS1_3genE3ELNS1_11target_archE908ELNS1_3gpuE7ELNS1_3repE0EEENS1_30default_config_static_selectorELNS0_4arch9wavefront6targetE1EEEvT1_,comdat
	.protected	_ZN7rocprim17ROCPRIM_400000_NS6detail17trampoline_kernelINS0_14default_configENS1_27scan_by_key_config_selectorIiiEEZZNS1_16scan_by_key_implILNS1_25lookback_scan_determinismE0ELb0ES3_N6thrust23THRUST_200600_302600_NS6detail15normal_iteratorINS9_10device_ptrIiEEEESE_SE_iNS9_10multipliesIiEENS9_8equal_toIiEEiEE10hipError_tPvRmT2_T3_T4_T5_mT6_T7_P12ihipStream_tbENKUlT_T0_E_clISt17integral_constantIbLb0EESY_IbLb1EEEEDaSU_SV_EUlSU_E_NS1_11comp_targetILNS1_3genE3ELNS1_11target_archE908ELNS1_3gpuE7ELNS1_3repE0EEENS1_30default_config_static_selectorELNS0_4arch9wavefront6targetE1EEEvT1_ ; -- Begin function _ZN7rocprim17ROCPRIM_400000_NS6detail17trampoline_kernelINS0_14default_configENS1_27scan_by_key_config_selectorIiiEEZZNS1_16scan_by_key_implILNS1_25lookback_scan_determinismE0ELb0ES3_N6thrust23THRUST_200600_302600_NS6detail15normal_iteratorINS9_10device_ptrIiEEEESE_SE_iNS9_10multipliesIiEENS9_8equal_toIiEEiEE10hipError_tPvRmT2_T3_T4_T5_mT6_T7_P12ihipStream_tbENKUlT_T0_E_clISt17integral_constantIbLb0EESY_IbLb1EEEEDaSU_SV_EUlSU_E_NS1_11comp_targetILNS1_3genE3ELNS1_11target_archE908ELNS1_3gpuE7ELNS1_3repE0EEENS1_30default_config_static_selectorELNS0_4arch9wavefront6targetE1EEEvT1_
	.globl	_ZN7rocprim17ROCPRIM_400000_NS6detail17trampoline_kernelINS0_14default_configENS1_27scan_by_key_config_selectorIiiEEZZNS1_16scan_by_key_implILNS1_25lookback_scan_determinismE0ELb0ES3_N6thrust23THRUST_200600_302600_NS6detail15normal_iteratorINS9_10device_ptrIiEEEESE_SE_iNS9_10multipliesIiEENS9_8equal_toIiEEiEE10hipError_tPvRmT2_T3_T4_T5_mT6_T7_P12ihipStream_tbENKUlT_T0_E_clISt17integral_constantIbLb0EESY_IbLb1EEEEDaSU_SV_EUlSU_E_NS1_11comp_targetILNS1_3genE3ELNS1_11target_archE908ELNS1_3gpuE7ELNS1_3repE0EEENS1_30default_config_static_selectorELNS0_4arch9wavefront6targetE1EEEvT1_
	.p2align	8
	.type	_ZN7rocprim17ROCPRIM_400000_NS6detail17trampoline_kernelINS0_14default_configENS1_27scan_by_key_config_selectorIiiEEZZNS1_16scan_by_key_implILNS1_25lookback_scan_determinismE0ELb0ES3_N6thrust23THRUST_200600_302600_NS6detail15normal_iteratorINS9_10device_ptrIiEEEESE_SE_iNS9_10multipliesIiEENS9_8equal_toIiEEiEE10hipError_tPvRmT2_T3_T4_T5_mT6_T7_P12ihipStream_tbENKUlT_T0_E_clISt17integral_constantIbLb0EESY_IbLb1EEEEDaSU_SV_EUlSU_E_NS1_11comp_targetILNS1_3genE3ELNS1_11target_archE908ELNS1_3gpuE7ELNS1_3repE0EEENS1_30default_config_static_selectorELNS0_4arch9wavefront6targetE1EEEvT1_,@function
_ZN7rocprim17ROCPRIM_400000_NS6detail17trampoline_kernelINS0_14default_configENS1_27scan_by_key_config_selectorIiiEEZZNS1_16scan_by_key_implILNS1_25lookback_scan_determinismE0ELb0ES3_N6thrust23THRUST_200600_302600_NS6detail15normal_iteratorINS9_10device_ptrIiEEEESE_SE_iNS9_10multipliesIiEENS9_8equal_toIiEEiEE10hipError_tPvRmT2_T3_T4_T5_mT6_T7_P12ihipStream_tbENKUlT_T0_E_clISt17integral_constantIbLb0EESY_IbLb1EEEEDaSU_SV_EUlSU_E_NS1_11comp_targetILNS1_3genE3ELNS1_11target_archE908ELNS1_3gpuE7ELNS1_3repE0EEENS1_30default_config_static_selectorELNS0_4arch9wavefront6targetE1EEEvT1_: ; @_ZN7rocprim17ROCPRIM_400000_NS6detail17trampoline_kernelINS0_14default_configENS1_27scan_by_key_config_selectorIiiEEZZNS1_16scan_by_key_implILNS1_25lookback_scan_determinismE0ELb0ES3_N6thrust23THRUST_200600_302600_NS6detail15normal_iteratorINS9_10device_ptrIiEEEESE_SE_iNS9_10multipliesIiEENS9_8equal_toIiEEiEE10hipError_tPvRmT2_T3_T4_T5_mT6_T7_P12ihipStream_tbENKUlT_T0_E_clISt17integral_constantIbLb0EESY_IbLb1EEEEDaSU_SV_EUlSU_E_NS1_11comp_targetILNS1_3genE3ELNS1_11target_archE908ELNS1_3gpuE7ELNS1_3repE0EEENS1_30default_config_static_selectorELNS0_4arch9wavefront6targetE1EEEvT1_
; %bb.0:
	.section	.rodata,"a",@progbits
	.p2align	6, 0x0
	.amdhsa_kernel _ZN7rocprim17ROCPRIM_400000_NS6detail17trampoline_kernelINS0_14default_configENS1_27scan_by_key_config_selectorIiiEEZZNS1_16scan_by_key_implILNS1_25lookback_scan_determinismE0ELb0ES3_N6thrust23THRUST_200600_302600_NS6detail15normal_iteratorINS9_10device_ptrIiEEEESE_SE_iNS9_10multipliesIiEENS9_8equal_toIiEEiEE10hipError_tPvRmT2_T3_T4_T5_mT6_T7_P12ihipStream_tbENKUlT_T0_E_clISt17integral_constantIbLb0EESY_IbLb1EEEEDaSU_SV_EUlSU_E_NS1_11comp_targetILNS1_3genE3ELNS1_11target_archE908ELNS1_3gpuE7ELNS1_3repE0EEENS1_30default_config_static_selectorELNS0_4arch9wavefront6targetE1EEEvT1_
		.amdhsa_group_segment_fixed_size 0
		.amdhsa_private_segment_fixed_size 0
		.amdhsa_kernarg_size 112
		.amdhsa_user_sgpr_count 6
		.amdhsa_user_sgpr_private_segment_buffer 1
		.amdhsa_user_sgpr_dispatch_ptr 0
		.amdhsa_user_sgpr_queue_ptr 0
		.amdhsa_user_sgpr_kernarg_segment_ptr 1
		.amdhsa_user_sgpr_dispatch_id 0
		.amdhsa_user_sgpr_flat_scratch_init 0
		.amdhsa_user_sgpr_kernarg_preload_length 0
		.amdhsa_user_sgpr_kernarg_preload_offset 0
		.amdhsa_user_sgpr_private_segment_size 0
		.amdhsa_uses_dynamic_stack 0
		.amdhsa_system_sgpr_private_segment_wavefront_offset 0
		.amdhsa_system_sgpr_workgroup_id_x 1
		.amdhsa_system_sgpr_workgroup_id_y 0
		.amdhsa_system_sgpr_workgroup_id_z 0
		.amdhsa_system_sgpr_workgroup_info 0
		.amdhsa_system_vgpr_workitem_id 0
		.amdhsa_next_free_vgpr 1
		.amdhsa_next_free_sgpr 0
		.amdhsa_accum_offset 4
		.amdhsa_reserve_vcc 0
		.amdhsa_reserve_flat_scratch 0
		.amdhsa_float_round_mode_32 0
		.amdhsa_float_round_mode_16_64 0
		.amdhsa_float_denorm_mode_32 3
		.amdhsa_float_denorm_mode_16_64 3
		.amdhsa_dx10_clamp 1
		.amdhsa_ieee_mode 1
		.amdhsa_fp16_overflow 0
		.amdhsa_tg_split 0
		.amdhsa_exception_fp_ieee_invalid_op 0
		.amdhsa_exception_fp_denorm_src 0
		.amdhsa_exception_fp_ieee_div_zero 0
		.amdhsa_exception_fp_ieee_overflow 0
		.amdhsa_exception_fp_ieee_underflow 0
		.amdhsa_exception_fp_ieee_inexact 0
		.amdhsa_exception_int_div_zero 0
	.end_amdhsa_kernel
	.section	.text._ZN7rocprim17ROCPRIM_400000_NS6detail17trampoline_kernelINS0_14default_configENS1_27scan_by_key_config_selectorIiiEEZZNS1_16scan_by_key_implILNS1_25lookback_scan_determinismE0ELb0ES3_N6thrust23THRUST_200600_302600_NS6detail15normal_iteratorINS9_10device_ptrIiEEEESE_SE_iNS9_10multipliesIiEENS9_8equal_toIiEEiEE10hipError_tPvRmT2_T3_T4_T5_mT6_T7_P12ihipStream_tbENKUlT_T0_E_clISt17integral_constantIbLb0EESY_IbLb1EEEEDaSU_SV_EUlSU_E_NS1_11comp_targetILNS1_3genE3ELNS1_11target_archE908ELNS1_3gpuE7ELNS1_3repE0EEENS1_30default_config_static_selectorELNS0_4arch9wavefront6targetE1EEEvT1_,"axG",@progbits,_ZN7rocprim17ROCPRIM_400000_NS6detail17trampoline_kernelINS0_14default_configENS1_27scan_by_key_config_selectorIiiEEZZNS1_16scan_by_key_implILNS1_25lookback_scan_determinismE0ELb0ES3_N6thrust23THRUST_200600_302600_NS6detail15normal_iteratorINS9_10device_ptrIiEEEESE_SE_iNS9_10multipliesIiEENS9_8equal_toIiEEiEE10hipError_tPvRmT2_T3_T4_T5_mT6_T7_P12ihipStream_tbENKUlT_T0_E_clISt17integral_constantIbLb0EESY_IbLb1EEEEDaSU_SV_EUlSU_E_NS1_11comp_targetILNS1_3genE3ELNS1_11target_archE908ELNS1_3gpuE7ELNS1_3repE0EEENS1_30default_config_static_selectorELNS0_4arch9wavefront6targetE1EEEvT1_,comdat
.Lfunc_end195:
	.size	_ZN7rocprim17ROCPRIM_400000_NS6detail17trampoline_kernelINS0_14default_configENS1_27scan_by_key_config_selectorIiiEEZZNS1_16scan_by_key_implILNS1_25lookback_scan_determinismE0ELb0ES3_N6thrust23THRUST_200600_302600_NS6detail15normal_iteratorINS9_10device_ptrIiEEEESE_SE_iNS9_10multipliesIiEENS9_8equal_toIiEEiEE10hipError_tPvRmT2_T3_T4_T5_mT6_T7_P12ihipStream_tbENKUlT_T0_E_clISt17integral_constantIbLb0EESY_IbLb1EEEEDaSU_SV_EUlSU_E_NS1_11comp_targetILNS1_3genE3ELNS1_11target_archE908ELNS1_3gpuE7ELNS1_3repE0EEENS1_30default_config_static_selectorELNS0_4arch9wavefront6targetE1EEEvT1_, .Lfunc_end195-_ZN7rocprim17ROCPRIM_400000_NS6detail17trampoline_kernelINS0_14default_configENS1_27scan_by_key_config_selectorIiiEEZZNS1_16scan_by_key_implILNS1_25lookback_scan_determinismE0ELb0ES3_N6thrust23THRUST_200600_302600_NS6detail15normal_iteratorINS9_10device_ptrIiEEEESE_SE_iNS9_10multipliesIiEENS9_8equal_toIiEEiEE10hipError_tPvRmT2_T3_T4_T5_mT6_T7_P12ihipStream_tbENKUlT_T0_E_clISt17integral_constantIbLb0EESY_IbLb1EEEEDaSU_SV_EUlSU_E_NS1_11comp_targetILNS1_3genE3ELNS1_11target_archE908ELNS1_3gpuE7ELNS1_3repE0EEENS1_30default_config_static_selectorELNS0_4arch9wavefront6targetE1EEEvT1_
                                        ; -- End function
	.section	.AMDGPU.csdata,"",@progbits
; Kernel info:
; codeLenInByte = 0
; NumSgprs: 4
; NumVgprs: 0
; NumAgprs: 0
; TotalNumVgprs: 0
; ScratchSize: 0
; MemoryBound: 0
; FloatMode: 240
; IeeeMode: 1
; LDSByteSize: 0 bytes/workgroup (compile time only)
; SGPRBlocks: 0
; VGPRBlocks: 0
; NumSGPRsForWavesPerEU: 4
; NumVGPRsForWavesPerEU: 1
; AccumOffset: 4
; Occupancy: 8
; WaveLimiterHint : 0
; COMPUTE_PGM_RSRC2:SCRATCH_EN: 0
; COMPUTE_PGM_RSRC2:USER_SGPR: 6
; COMPUTE_PGM_RSRC2:TRAP_HANDLER: 0
; COMPUTE_PGM_RSRC2:TGID_X_EN: 1
; COMPUTE_PGM_RSRC2:TGID_Y_EN: 0
; COMPUTE_PGM_RSRC2:TGID_Z_EN: 0
; COMPUTE_PGM_RSRC2:TIDIG_COMP_CNT: 0
; COMPUTE_PGM_RSRC3_GFX90A:ACCUM_OFFSET: 0
; COMPUTE_PGM_RSRC3_GFX90A:TG_SPLIT: 0
	.section	.text._ZN7rocprim17ROCPRIM_400000_NS6detail17trampoline_kernelINS0_14default_configENS1_27scan_by_key_config_selectorIiiEEZZNS1_16scan_by_key_implILNS1_25lookback_scan_determinismE0ELb0ES3_N6thrust23THRUST_200600_302600_NS6detail15normal_iteratorINS9_10device_ptrIiEEEESE_SE_iNS9_10multipliesIiEENS9_8equal_toIiEEiEE10hipError_tPvRmT2_T3_T4_T5_mT6_T7_P12ihipStream_tbENKUlT_T0_E_clISt17integral_constantIbLb0EESY_IbLb1EEEEDaSU_SV_EUlSU_E_NS1_11comp_targetILNS1_3genE2ELNS1_11target_archE906ELNS1_3gpuE6ELNS1_3repE0EEENS1_30default_config_static_selectorELNS0_4arch9wavefront6targetE1EEEvT1_,"axG",@progbits,_ZN7rocprim17ROCPRIM_400000_NS6detail17trampoline_kernelINS0_14default_configENS1_27scan_by_key_config_selectorIiiEEZZNS1_16scan_by_key_implILNS1_25lookback_scan_determinismE0ELb0ES3_N6thrust23THRUST_200600_302600_NS6detail15normal_iteratorINS9_10device_ptrIiEEEESE_SE_iNS9_10multipliesIiEENS9_8equal_toIiEEiEE10hipError_tPvRmT2_T3_T4_T5_mT6_T7_P12ihipStream_tbENKUlT_T0_E_clISt17integral_constantIbLb0EESY_IbLb1EEEEDaSU_SV_EUlSU_E_NS1_11comp_targetILNS1_3genE2ELNS1_11target_archE906ELNS1_3gpuE6ELNS1_3repE0EEENS1_30default_config_static_selectorELNS0_4arch9wavefront6targetE1EEEvT1_,comdat
	.protected	_ZN7rocprim17ROCPRIM_400000_NS6detail17trampoline_kernelINS0_14default_configENS1_27scan_by_key_config_selectorIiiEEZZNS1_16scan_by_key_implILNS1_25lookback_scan_determinismE0ELb0ES3_N6thrust23THRUST_200600_302600_NS6detail15normal_iteratorINS9_10device_ptrIiEEEESE_SE_iNS9_10multipliesIiEENS9_8equal_toIiEEiEE10hipError_tPvRmT2_T3_T4_T5_mT6_T7_P12ihipStream_tbENKUlT_T0_E_clISt17integral_constantIbLb0EESY_IbLb1EEEEDaSU_SV_EUlSU_E_NS1_11comp_targetILNS1_3genE2ELNS1_11target_archE906ELNS1_3gpuE6ELNS1_3repE0EEENS1_30default_config_static_selectorELNS0_4arch9wavefront6targetE1EEEvT1_ ; -- Begin function _ZN7rocprim17ROCPRIM_400000_NS6detail17trampoline_kernelINS0_14default_configENS1_27scan_by_key_config_selectorIiiEEZZNS1_16scan_by_key_implILNS1_25lookback_scan_determinismE0ELb0ES3_N6thrust23THRUST_200600_302600_NS6detail15normal_iteratorINS9_10device_ptrIiEEEESE_SE_iNS9_10multipliesIiEENS9_8equal_toIiEEiEE10hipError_tPvRmT2_T3_T4_T5_mT6_T7_P12ihipStream_tbENKUlT_T0_E_clISt17integral_constantIbLb0EESY_IbLb1EEEEDaSU_SV_EUlSU_E_NS1_11comp_targetILNS1_3genE2ELNS1_11target_archE906ELNS1_3gpuE6ELNS1_3repE0EEENS1_30default_config_static_selectorELNS0_4arch9wavefront6targetE1EEEvT1_
	.globl	_ZN7rocprim17ROCPRIM_400000_NS6detail17trampoline_kernelINS0_14default_configENS1_27scan_by_key_config_selectorIiiEEZZNS1_16scan_by_key_implILNS1_25lookback_scan_determinismE0ELb0ES3_N6thrust23THRUST_200600_302600_NS6detail15normal_iteratorINS9_10device_ptrIiEEEESE_SE_iNS9_10multipliesIiEENS9_8equal_toIiEEiEE10hipError_tPvRmT2_T3_T4_T5_mT6_T7_P12ihipStream_tbENKUlT_T0_E_clISt17integral_constantIbLb0EESY_IbLb1EEEEDaSU_SV_EUlSU_E_NS1_11comp_targetILNS1_3genE2ELNS1_11target_archE906ELNS1_3gpuE6ELNS1_3repE0EEENS1_30default_config_static_selectorELNS0_4arch9wavefront6targetE1EEEvT1_
	.p2align	8
	.type	_ZN7rocprim17ROCPRIM_400000_NS6detail17trampoline_kernelINS0_14default_configENS1_27scan_by_key_config_selectorIiiEEZZNS1_16scan_by_key_implILNS1_25lookback_scan_determinismE0ELb0ES3_N6thrust23THRUST_200600_302600_NS6detail15normal_iteratorINS9_10device_ptrIiEEEESE_SE_iNS9_10multipliesIiEENS9_8equal_toIiEEiEE10hipError_tPvRmT2_T3_T4_T5_mT6_T7_P12ihipStream_tbENKUlT_T0_E_clISt17integral_constantIbLb0EESY_IbLb1EEEEDaSU_SV_EUlSU_E_NS1_11comp_targetILNS1_3genE2ELNS1_11target_archE906ELNS1_3gpuE6ELNS1_3repE0EEENS1_30default_config_static_selectorELNS0_4arch9wavefront6targetE1EEEvT1_,@function
_ZN7rocprim17ROCPRIM_400000_NS6detail17trampoline_kernelINS0_14default_configENS1_27scan_by_key_config_selectorIiiEEZZNS1_16scan_by_key_implILNS1_25lookback_scan_determinismE0ELb0ES3_N6thrust23THRUST_200600_302600_NS6detail15normal_iteratorINS9_10device_ptrIiEEEESE_SE_iNS9_10multipliesIiEENS9_8equal_toIiEEiEE10hipError_tPvRmT2_T3_T4_T5_mT6_T7_P12ihipStream_tbENKUlT_T0_E_clISt17integral_constantIbLb0EESY_IbLb1EEEEDaSU_SV_EUlSU_E_NS1_11comp_targetILNS1_3genE2ELNS1_11target_archE906ELNS1_3gpuE6ELNS1_3repE0EEENS1_30default_config_static_selectorELNS0_4arch9wavefront6targetE1EEEvT1_: ; @_ZN7rocprim17ROCPRIM_400000_NS6detail17trampoline_kernelINS0_14default_configENS1_27scan_by_key_config_selectorIiiEEZZNS1_16scan_by_key_implILNS1_25lookback_scan_determinismE0ELb0ES3_N6thrust23THRUST_200600_302600_NS6detail15normal_iteratorINS9_10device_ptrIiEEEESE_SE_iNS9_10multipliesIiEENS9_8equal_toIiEEiEE10hipError_tPvRmT2_T3_T4_T5_mT6_T7_P12ihipStream_tbENKUlT_T0_E_clISt17integral_constantIbLb0EESY_IbLb1EEEEDaSU_SV_EUlSU_E_NS1_11comp_targetILNS1_3genE2ELNS1_11target_archE906ELNS1_3gpuE6ELNS1_3repE0EEENS1_30default_config_static_selectorELNS0_4arch9wavefront6targetE1EEEvT1_
; %bb.0:
	.section	.rodata,"a",@progbits
	.p2align	6, 0x0
	.amdhsa_kernel _ZN7rocprim17ROCPRIM_400000_NS6detail17trampoline_kernelINS0_14default_configENS1_27scan_by_key_config_selectorIiiEEZZNS1_16scan_by_key_implILNS1_25lookback_scan_determinismE0ELb0ES3_N6thrust23THRUST_200600_302600_NS6detail15normal_iteratorINS9_10device_ptrIiEEEESE_SE_iNS9_10multipliesIiEENS9_8equal_toIiEEiEE10hipError_tPvRmT2_T3_T4_T5_mT6_T7_P12ihipStream_tbENKUlT_T0_E_clISt17integral_constantIbLb0EESY_IbLb1EEEEDaSU_SV_EUlSU_E_NS1_11comp_targetILNS1_3genE2ELNS1_11target_archE906ELNS1_3gpuE6ELNS1_3repE0EEENS1_30default_config_static_selectorELNS0_4arch9wavefront6targetE1EEEvT1_
		.amdhsa_group_segment_fixed_size 0
		.amdhsa_private_segment_fixed_size 0
		.amdhsa_kernarg_size 112
		.amdhsa_user_sgpr_count 6
		.amdhsa_user_sgpr_private_segment_buffer 1
		.amdhsa_user_sgpr_dispatch_ptr 0
		.amdhsa_user_sgpr_queue_ptr 0
		.amdhsa_user_sgpr_kernarg_segment_ptr 1
		.amdhsa_user_sgpr_dispatch_id 0
		.amdhsa_user_sgpr_flat_scratch_init 0
		.amdhsa_user_sgpr_kernarg_preload_length 0
		.amdhsa_user_sgpr_kernarg_preload_offset 0
		.amdhsa_user_sgpr_private_segment_size 0
		.amdhsa_uses_dynamic_stack 0
		.amdhsa_system_sgpr_private_segment_wavefront_offset 0
		.amdhsa_system_sgpr_workgroup_id_x 1
		.amdhsa_system_sgpr_workgroup_id_y 0
		.amdhsa_system_sgpr_workgroup_id_z 0
		.amdhsa_system_sgpr_workgroup_info 0
		.amdhsa_system_vgpr_workitem_id 0
		.amdhsa_next_free_vgpr 1
		.amdhsa_next_free_sgpr 0
		.amdhsa_accum_offset 4
		.amdhsa_reserve_vcc 0
		.amdhsa_reserve_flat_scratch 0
		.amdhsa_float_round_mode_32 0
		.amdhsa_float_round_mode_16_64 0
		.amdhsa_float_denorm_mode_32 3
		.amdhsa_float_denorm_mode_16_64 3
		.amdhsa_dx10_clamp 1
		.amdhsa_ieee_mode 1
		.amdhsa_fp16_overflow 0
		.amdhsa_tg_split 0
		.amdhsa_exception_fp_ieee_invalid_op 0
		.amdhsa_exception_fp_denorm_src 0
		.amdhsa_exception_fp_ieee_div_zero 0
		.amdhsa_exception_fp_ieee_overflow 0
		.amdhsa_exception_fp_ieee_underflow 0
		.amdhsa_exception_fp_ieee_inexact 0
		.amdhsa_exception_int_div_zero 0
	.end_amdhsa_kernel
	.section	.text._ZN7rocprim17ROCPRIM_400000_NS6detail17trampoline_kernelINS0_14default_configENS1_27scan_by_key_config_selectorIiiEEZZNS1_16scan_by_key_implILNS1_25lookback_scan_determinismE0ELb0ES3_N6thrust23THRUST_200600_302600_NS6detail15normal_iteratorINS9_10device_ptrIiEEEESE_SE_iNS9_10multipliesIiEENS9_8equal_toIiEEiEE10hipError_tPvRmT2_T3_T4_T5_mT6_T7_P12ihipStream_tbENKUlT_T0_E_clISt17integral_constantIbLb0EESY_IbLb1EEEEDaSU_SV_EUlSU_E_NS1_11comp_targetILNS1_3genE2ELNS1_11target_archE906ELNS1_3gpuE6ELNS1_3repE0EEENS1_30default_config_static_selectorELNS0_4arch9wavefront6targetE1EEEvT1_,"axG",@progbits,_ZN7rocprim17ROCPRIM_400000_NS6detail17trampoline_kernelINS0_14default_configENS1_27scan_by_key_config_selectorIiiEEZZNS1_16scan_by_key_implILNS1_25lookback_scan_determinismE0ELb0ES3_N6thrust23THRUST_200600_302600_NS6detail15normal_iteratorINS9_10device_ptrIiEEEESE_SE_iNS9_10multipliesIiEENS9_8equal_toIiEEiEE10hipError_tPvRmT2_T3_T4_T5_mT6_T7_P12ihipStream_tbENKUlT_T0_E_clISt17integral_constantIbLb0EESY_IbLb1EEEEDaSU_SV_EUlSU_E_NS1_11comp_targetILNS1_3genE2ELNS1_11target_archE906ELNS1_3gpuE6ELNS1_3repE0EEENS1_30default_config_static_selectorELNS0_4arch9wavefront6targetE1EEEvT1_,comdat
.Lfunc_end196:
	.size	_ZN7rocprim17ROCPRIM_400000_NS6detail17trampoline_kernelINS0_14default_configENS1_27scan_by_key_config_selectorIiiEEZZNS1_16scan_by_key_implILNS1_25lookback_scan_determinismE0ELb0ES3_N6thrust23THRUST_200600_302600_NS6detail15normal_iteratorINS9_10device_ptrIiEEEESE_SE_iNS9_10multipliesIiEENS9_8equal_toIiEEiEE10hipError_tPvRmT2_T3_T4_T5_mT6_T7_P12ihipStream_tbENKUlT_T0_E_clISt17integral_constantIbLb0EESY_IbLb1EEEEDaSU_SV_EUlSU_E_NS1_11comp_targetILNS1_3genE2ELNS1_11target_archE906ELNS1_3gpuE6ELNS1_3repE0EEENS1_30default_config_static_selectorELNS0_4arch9wavefront6targetE1EEEvT1_, .Lfunc_end196-_ZN7rocprim17ROCPRIM_400000_NS6detail17trampoline_kernelINS0_14default_configENS1_27scan_by_key_config_selectorIiiEEZZNS1_16scan_by_key_implILNS1_25lookback_scan_determinismE0ELb0ES3_N6thrust23THRUST_200600_302600_NS6detail15normal_iteratorINS9_10device_ptrIiEEEESE_SE_iNS9_10multipliesIiEENS9_8equal_toIiEEiEE10hipError_tPvRmT2_T3_T4_T5_mT6_T7_P12ihipStream_tbENKUlT_T0_E_clISt17integral_constantIbLb0EESY_IbLb1EEEEDaSU_SV_EUlSU_E_NS1_11comp_targetILNS1_3genE2ELNS1_11target_archE906ELNS1_3gpuE6ELNS1_3repE0EEENS1_30default_config_static_selectorELNS0_4arch9wavefront6targetE1EEEvT1_
                                        ; -- End function
	.section	.AMDGPU.csdata,"",@progbits
; Kernel info:
; codeLenInByte = 0
; NumSgprs: 4
; NumVgprs: 0
; NumAgprs: 0
; TotalNumVgprs: 0
; ScratchSize: 0
; MemoryBound: 0
; FloatMode: 240
; IeeeMode: 1
; LDSByteSize: 0 bytes/workgroup (compile time only)
; SGPRBlocks: 0
; VGPRBlocks: 0
; NumSGPRsForWavesPerEU: 4
; NumVGPRsForWavesPerEU: 1
; AccumOffset: 4
; Occupancy: 8
; WaveLimiterHint : 0
; COMPUTE_PGM_RSRC2:SCRATCH_EN: 0
; COMPUTE_PGM_RSRC2:USER_SGPR: 6
; COMPUTE_PGM_RSRC2:TRAP_HANDLER: 0
; COMPUTE_PGM_RSRC2:TGID_X_EN: 1
; COMPUTE_PGM_RSRC2:TGID_Y_EN: 0
; COMPUTE_PGM_RSRC2:TGID_Z_EN: 0
; COMPUTE_PGM_RSRC2:TIDIG_COMP_CNT: 0
; COMPUTE_PGM_RSRC3_GFX90A:ACCUM_OFFSET: 0
; COMPUTE_PGM_RSRC3_GFX90A:TG_SPLIT: 0
	.section	.text._ZN7rocprim17ROCPRIM_400000_NS6detail17trampoline_kernelINS0_14default_configENS1_27scan_by_key_config_selectorIiiEEZZNS1_16scan_by_key_implILNS1_25lookback_scan_determinismE0ELb0ES3_N6thrust23THRUST_200600_302600_NS6detail15normal_iteratorINS9_10device_ptrIiEEEESE_SE_iNS9_10multipliesIiEENS9_8equal_toIiEEiEE10hipError_tPvRmT2_T3_T4_T5_mT6_T7_P12ihipStream_tbENKUlT_T0_E_clISt17integral_constantIbLb0EESY_IbLb1EEEEDaSU_SV_EUlSU_E_NS1_11comp_targetILNS1_3genE10ELNS1_11target_archE1200ELNS1_3gpuE4ELNS1_3repE0EEENS1_30default_config_static_selectorELNS0_4arch9wavefront6targetE1EEEvT1_,"axG",@progbits,_ZN7rocprim17ROCPRIM_400000_NS6detail17trampoline_kernelINS0_14default_configENS1_27scan_by_key_config_selectorIiiEEZZNS1_16scan_by_key_implILNS1_25lookback_scan_determinismE0ELb0ES3_N6thrust23THRUST_200600_302600_NS6detail15normal_iteratorINS9_10device_ptrIiEEEESE_SE_iNS9_10multipliesIiEENS9_8equal_toIiEEiEE10hipError_tPvRmT2_T3_T4_T5_mT6_T7_P12ihipStream_tbENKUlT_T0_E_clISt17integral_constantIbLb0EESY_IbLb1EEEEDaSU_SV_EUlSU_E_NS1_11comp_targetILNS1_3genE10ELNS1_11target_archE1200ELNS1_3gpuE4ELNS1_3repE0EEENS1_30default_config_static_selectorELNS0_4arch9wavefront6targetE1EEEvT1_,comdat
	.protected	_ZN7rocprim17ROCPRIM_400000_NS6detail17trampoline_kernelINS0_14default_configENS1_27scan_by_key_config_selectorIiiEEZZNS1_16scan_by_key_implILNS1_25lookback_scan_determinismE0ELb0ES3_N6thrust23THRUST_200600_302600_NS6detail15normal_iteratorINS9_10device_ptrIiEEEESE_SE_iNS9_10multipliesIiEENS9_8equal_toIiEEiEE10hipError_tPvRmT2_T3_T4_T5_mT6_T7_P12ihipStream_tbENKUlT_T0_E_clISt17integral_constantIbLb0EESY_IbLb1EEEEDaSU_SV_EUlSU_E_NS1_11comp_targetILNS1_3genE10ELNS1_11target_archE1200ELNS1_3gpuE4ELNS1_3repE0EEENS1_30default_config_static_selectorELNS0_4arch9wavefront6targetE1EEEvT1_ ; -- Begin function _ZN7rocprim17ROCPRIM_400000_NS6detail17trampoline_kernelINS0_14default_configENS1_27scan_by_key_config_selectorIiiEEZZNS1_16scan_by_key_implILNS1_25lookback_scan_determinismE0ELb0ES3_N6thrust23THRUST_200600_302600_NS6detail15normal_iteratorINS9_10device_ptrIiEEEESE_SE_iNS9_10multipliesIiEENS9_8equal_toIiEEiEE10hipError_tPvRmT2_T3_T4_T5_mT6_T7_P12ihipStream_tbENKUlT_T0_E_clISt17integral_constantIbLb0EESY_IbLb1EEEEDaSU_SV_EUlSU_E_NS1_11comp_targetILNS1_3genE10ELNS1_11target_archE1200ELNS1_3gpuE4ELNS1_3repE0EEENS1_30default_config_static_selectorELNS0_4arch9wavefront6targetE1EEEvT1_
	.globl	_ZN7rocprim17ROCPRIM_400000_NS6detail17trampoline_kernelINS0_14default_configENS1_27scan_by_key_config_selectorIiiEEZZNS1_16scan_by_key_implILNS1_25lookback_scan_determinismE0ELb0ES3_N6thrust23THRUST_200600_302600_NS6detail15normal_iteratorINS9_10device_ptrIiEEEESE_SE_iNS9_10multipliesIiEENS9_8equal_toIiEEiEE10hipError_tPvRmT2_T3_T4_T5_mT6_T7_P12ihipStream_tbENKUlT_T0_E_clISt17integral_constantIbLb0EESY_IbLb1EEEEDaSU_SV_EUlSU_E_NS1_11comp_targetILNS1_3genE10ELNS1_11target_archE1200ELNS1_3gpuE4ELNS1_3repE0EEENS1_30default_config_static_selectorELNS0_4arch9wavefront6targetE1EEEvT1_
	.p2align	8
	.type	_ZN7rocprim17ROCPRIM_400000_NS6detail17trampoline_kernelINS0_14default_configENS1_27scan_by_key_config_selectorIiiEEZZNS1_16scan_by_key_implILNS1_25lookback_scan_determinismE0ELb0ES3_N6thrust23THRUST_200600_302600_NS6detail15normal_iteratorINS9_10device_ptrIiEEEESE_SE_iNS9_10multipliesIiEENS9_8equal_toIiEEiEE10hipError_tPvRmT2_T3_T4_T5_mT6_T7_P12ihipStream_tbENKUlT_T0_E_clISt17integral_constantIbLb0EESY_IbLb1EEEEDaSU_SV_EUlSU_E_NS1_11comp_targetILNS1_3genE10ELNS1_11target_archE1200ELNS1_3gpuE4ELNS1_3repE0EEENS1_30default_config_static_selectorELNS0_4arch9wavefront6targetE1EEEvT1_,@function
_ZN7rocprim17ROCPRIM_400000_NS6detail17trampoline_kernelINS0_14default_configENS1_27scan_by_key_config_selectorIiiEEZZNS1_16scan_by_key_implILNS1_25lookback_scan_determinismE0ELb0ES3_N6thrust23THRUST_200600_302600_NS6detail15normal_iteratorINS9_10device_ptrIiEEEESE_SE_iNS9_10multipliesIiEENS9_8equal_toIiEEiEE10hipError_tPvRmT2_T3_T4_T5_mT6_T7_P12ihipStream_tbENKUlT_T0_E_clISt17integral_constantIbLb0EESY_IbLb1EEEEDaSU_SV_EUlSU_E_NS1_11comp_targetILNS1_3genE10ELNS1_11target_archE1200ELNS1_3gpuE4ELNS1_3repE0EEENS1_30default_config_static_selectorELNS0_4arch9wavefront6targetE1EEEvT1_: ; @_ZN7rocprim17ROCPRIM_400000_NS6detail17trampoline_kernelINS0_14default_configENS1_27scan_by_key_config_selectorIiiEEZZNS1_16scan_by_key_implILNS1_25lookback_scan_determinismE0ELb0ES3_N6thrust23THRUST_200600_302600_NS6detail15normal_iteratorINS9_10device_ptrIiEEEESE_SE_iNS9_10multipliesIiEENS9_8equal_toIiEEiEE10hipError_tPvRmT2_T3_T4_T5_mT6_T7_P12ihipStream_tbENKUlT_T0_E_clISt17integral_constantIbLb0EESY_IbLb1EEEEDaSU_SV_EUlSU_E_NS1_11comp_targetILNS1_3genE10ELNS1_11target_archE1200ELNS1_3gpuE4ELNS1_3repE0EEENS1_30default_config_static_selectorELNS0_4arch9wavefront6targetE1EEEvT1_
; %bb.0:
	.section	.rodata,"a",@progbits
	.p2align	6, 0x0
	.amdhsa_kernel _ZN7rocprim17ROCPRIM_400000_NS6detail17trampoline_kernelINS0_14default_configENS1_27scan_by_key_config_selectorIiiEEZZNS1_16scan_by_key_implILNS1_25lookback_scan_determinismE0ELb0ES3_N6thrust23THRUST_200600_302600_NS6detail15normal_iteratorINS9_10device_ptrIiEEEESE_SE_iNS9_10multipliesIiEENS9_8equal_toIiEEiEE10hipError_tPvRmT2_T3_T4_T5_mT6_T7_P12ihipStream_tbENKUlT_T0_E_clISt17integral_constantIbLb0EESY_IbLb1EEEEDaSU_SV_EUlSU_E_NS1_11comp_targetILNS1_3genE10ELNS1_11target_archE1200ELNS1_3gpuE4ELNS1_3repE0EEENS1_30default_config_static_selectorELNS0_4arch9wavefront6targetE1EEEvT1_
		.amdhsa_group_segment_fixed_size 0
		.amdhsa_private_segment_fixed_size 0
		.amdhsa_kernarg_size 112
		.amdhsa_user_sgpr_count 6
		.amdhsa_user_sgpr_private_segment_buffer 1
		.amdhsa_user_sgpr_dispatch_ptr 0
		.amdhsa_user_sgpr_queue_ptr 0
		.amdhsa_user_sgpr_kernarg_segment_ptr 1
		.amdhsa_user_sgpr_dispatch_id 0
		.amdhsa_user_sgpr_flat_scratch_init 0
		.amdhsa_user_sgpr_kernarg_preload_length 0
		.amdhsa_user_sgpr_kernarg_preload_offset 0
		.amdhsa_user_sgpr_private_segment_size 0
		.amdhsa_uses_dynamic_stack 0
		.amdhsa_system_sgpr_private_segment_wavefront_offset 0
		.amdhsa_system_sgpr_workgroup_id_x 1
		.amdhsa_system_sgpr_workgroup_id_y 0
		.amdhsa_system_sgpr_workgroup_id_z 0
		.amdhsa_system_sgpr_workgroup_info 0
		.amdhsa_system_vgpr_workitem_id 0
		.amdhsa_next_free_vgpr 1
		.amdhsa_next_free_sgpr 0
		.amdhsa_accum_offset 4
		.amdhsa_reserve_vcc 0
		.amdhsa_reserve_flat_scratch 0
		.amdhsa_float_round_mode_32 0
		.amdhsa_float_round_mode_16_64 0
		.amdhsa_float_denorm_mode_32 3
		.amdhsa_float_denorm_mode_16_64 3
		.amdhsa_dx10_clamp 1
		.amdhsa_ieee_mode 1
		.amdhsa_fp16_overflow 0
		.amdhsa_tg_split 0
		.amdhsa_exception_fp_ieee_invalid_op 0
		.amdhsa_exception_fp_denorm_src 0
		.amdhsa_exception_fp_ieee_div_zero 0
		.amdhsa_exception_fp_ieee_overflow 0
		.amdhsa_exception_fp_ieee_underflow 0
		.amdhsa_exception_fp_ieee_inexact 0
		.amdhsa_exception_int_div_zero 0
	.end_amdhsa_kernel
	.section	.text._ZN7rocprim17ROCPRIM_400000_NS6detail17trampoline_kernelINS0_14default_configENS1_27scan_by_key_config_selectorIiiEEZZNS1_16scan_by_key_implILNS1_25lookback_scan_determinismE0ELb0ES3_N6thrust23THRUST_200600_302600_NS6detail15normal_iteratorINS9_10device_ptrIiEEEESE_SE_iNS9_10multipliesIiEENS9_8equal_toIiEEiEE10hipError_tPvRmT2_T3_T4_T5_mT6_T7_P12ihipStream_tbENKUlT_T0_E_clISt17integral_constantIbLb0EESY_IbLb1EEEEDaSU_SV_EUlSU_E_NS1_11comp_targetILNS1_3genE10ELNS1_11target_archE1200ELNS1_3gpuE4ELNS1_3repE0EEENS1_30default_config_static_selectorELNS0_4arch9wavefront6targetE1EEEvT1_,"axG",@progbits,_ZN7rocprim17ROCPRIM_400000_NS6detail17trampoline_kernelINS0_14default_configENS1_27scan_by_key_config_selectorIiiEEZZNS1_16scan_by_key_implILNS1_25lookback_scan_determinismE0ELb0ES3_N6thrust23THRUST_200600_302600_NS6detail15normal_iteratorINS9_10device_ptrIiEEEESE_SE_iNS9_10multipliesIiEENS9_8equal_toIiEEiEE10hipError_tPvRmT2_T3_T4_T5_mT6_T7_P12ihipStream_tbENKUlT_T0_E_clISt17integral_constantIbLb0EESY_IbLb1EEEEDaSU_SV_EUlSU_E_NS1_11comp_targetILNS1_3genE10ELNS1_11target_archE1200ELNS1_3gpuE4ELNS1_3repE0EEENS1_30default_config_static_selectorELNS0_4arch9wavefront6targetE1EEEvT1_,comdat
.Lfunc_end197:
	.size	_ZN7rocprim17ROCPRIM_400000_NS6detail17trampoline_kernelINS0_14default_configENS1_27scan_by_key_config_selectorIiiEEZZNS1_16scan_by_key_implILNS1_25lookback_scan_determinismE0ELb0ES3_N6thrust23THRUST_200600_302600_NS6detail15normal_iteratorINS9_10device_ptrIiEEEESE_SE_iNS9_10multipliesIiEENS9_8equal_toIiEEiEE10hipError_tPvRmT2_T3_T4_T5_mT6_T7_P12ihipStream_tbENKUlT_T0_E_clISt17integral_constantIbLb0EESY_IbLb1EEEEDaSU_SV_EUlSU_E_NS1_11comp_targetILNS1_3genE10ELNS1_11target_archE1200ELNS1_3gpuE4ELNS1_3repE0EEENS1_30default_config_static_selectorELNS0_4arch9wavefront6targetE1EEEvT1_, .Lfunc_end197-_ZN7rocprim17ROCPRIM_400000_NS6detail17trampoline_kernelINS0_14default_configENS1_27scan_by_key_config_selectorIiiEEZZNS1_16scan_by_key_implILNS1_25lookback_scan_determinismE0ELb0ES3_N6thrust23THRUST_200600_302600_NS6detail15normal_iteratorINS9_10device_ptrIiEEEESE_SE_iNS9_10multipliesIiEENS9_8equal_toIiEEiEE10hipError_tPvRmT2_T3_T4_T5_mT6_T7_P12ihipStream_tbENKUlT_T0_E_clISt17integral_constantIbLb0EESY_IbLb1EEEEDaSU_SV_EUlSU_E_NS1_11comp_targetILNS1_3genE10ELNS1_11target_archE1200ELNS1_3gpuE4ELNS1_3repE0EEENS1_30default_config_static_selectorELNS0_4arch9wavefront6targetE1EEEvT1_
                                        ; -- End function
	.section	.AMDGPU.csdata,"",@progbits
; Kernel info:
; codeLenInByte = 0
; NumSgprs: 4
; NumVgprs: 0
; NumAgprs: 0
; TotalNumVgprs: 0
; ScratchSize: 0
; MemoryBound: 0
; FloatMode: 240
; IeeeMode: 1
; LDSByteSize: 0 bytes/workgroup (compile time only)
; SGPRBlocks: 0
; VGPRBlocks: 0
; NumSGPRsForWavesPerEU: 4
; NumVGPRsForWavesPerEU: 1
; AccumOffset: 4
; Occupancy: 8
; WaveLimiterHint : 0
; COMPUTE_PGM_RSRC2:SCRATCH_EN: 0
; COMPUTE_PGM_RSRC2:USER_SGPR: 6
; COMPUTE_PGM_RSRC2:TRAP_HANDLER: 0
; COMPUTE_PGM_RSRC2:TGID_X_EN: 1
; COMPUTE_PGM_RSRC2:TGID_Y_EN: 0
; COMPUTE_PGM_RSRC2:TGID_Z_EN: 0
; COMPUTE_PGM_RSRC2:TIDIG_COMP_CNT: 0
; COMPUTE_PGM_RSRC3_GFX90A:ACCUM_OFFSET: 0
; COMPUTE_PGM_RSRC3_GFX90A:TG_SPLIT: 0
	.section	.text._ZN7rocprim17ROCPRIM_400000_NS6detail17trampoline_kernelINS0_14default_configENS1_27scan_by_key_config_selectorIiiEEZZNS1_16scan_by_key_implILNS1_25lookback_scan_determinismE0ELb0ES3_N6thrust23THRUST_200600_302600_NS6detail15normal_iteratorINS9_10device_ptrIiEEEESE_SE_iNS9_10multipliesIiEENS9_8equal_toIiEEiEE10hipError_tPvRmT2_T3_T4_T5_mT6_T7_P12ihipStream_tbENKUlT_T0_E_clISt17integral_constantIbLb0EESY_IbLb1EEEEDaSU_SV_EUlSU_E_NS1_11comp_targetILNS1_3genE9ELNS1_11target_archE1100ELNS1_3gpuE3ELNS1_3repE0EEENS1_30default_config_static_selectorELNS0_4arch9wavefront6targetE1EEEvT1_,"axG",@progbits,_ZN7rocprim17ROCPRIM_400000_NS6detail17trampoline_kernelINS0_14default_configENS1_27scan_by_key_config_selectorIiiEEZZNS1_16scan_by_key_implILNS1_25lookback_scan_determinismE0ELb0ES3_N6thrust23THRUST_200600_302600_NS6detail15normal_iteratorINS9_10device_ptrIiEEEESE_SE_iNS9_10multipliesIiEENS9_8equal_toIiEEiEE10hipError_tPvRmT2_T3_T4_T5_mT6_T7_P12ihipStream_tbENKUlT_T0_E_clISt17integral_constantIbLb0EESY_IbLb1EEEEDaSU_SV_EUlSU_E_NS1_11comp_targetILNS1_3genE9ELNS1_11target_archE1100ELNS1_3gpuE3ELNS1_3repE0EEENS1_30default_config_static_selectorELNS0_4arch9wavefront6targetE1EEEvT1_,comdat
	.protected	_ZN7rocprim17ROCPRIM_400000_NS6detail17trampoline_kernelINS0_14default_configENS1_27scan_by_key_config_selectorIiiEEZZNS1_16scan_by_key_implILNS1_25lookback_scan_determinismE0ELb0ES3_N6thrust23THRUST_200600_302600_NS6detail15normal_iteratorINS9_10device_ptrIiEEEESE_SE_iNS9_10multipliesIiEENS9_8equal_toIiEEiEE10hipError_tPvRmT2_T3_T4_T5_mT6_T7_P12ihipStream_tbENKUlT_T0_E_clISt17integral_constantIbLb0EESY_IbLb1EEEEDaSU_SV_EUlSU_E_NS1_11comp_targetILNS1_3genE9ELNS1_11target_archE1100ELNS1_3gpuE3ELNS1_3repE0EEENS1_30default_config_static_selectorELNS0_4arch9wavefront6targetE1EEEvT1_ ; -- Begin function _ZN7rocprim17ROCPRIM_400000_NS6detail17trampoline_kernelINS0_14default_configENS1_27scan_by_key_config_selectorIiiEEZZNS1_16scan_by_key_implILNS1_25lookback_scan_determinismE0ELb0ES3_N6thrust23THRUST_200600_302600_NS6detail15normal_iteratorINS9_10device_ptrIiEEEESE_SE_iNS9_10multipliesIiEENS9_8equal_toIiEEiEE10hipError_tPvRmT2_T3_T4_T5_mT6_T7_P12ihipStream_tbENKUlT_T0_E_clISt17integral_constantIbLb0EESY_IbLb1EEEEDaSU_SV_EUlSU_E_NS1_11comp_targetILNS1_3genE9ELNS1_11target_archE1100ELNS1_3gpuE3ELNS1_3repE0EEENS1_30default_config_static_selectorELNS0_4arch9wavefront6targetE1EEEvT1_
	.globl	_ZN7rocprim17ROCPRIM_400000_NS6detail17trampoline_kernelINS0_14default_configENS1_27scan_by_key_config_selectorIiiEEZZNS1_16scan_by_key_implILNS1_25lookback_scan_determinismE0ELb0ES3_N6thrust23THRUST_200600_302600_NS6detail15normal_iteratorINS9_10device_ptrIiEEEESE_SE_iNS9_10multipliesIiEENS9_8equal_toIiEEiEE10hipError_tPvRmT2_T3_T4_T5_mT6_T7_P12ihipStream_tbENKUlT_T0_E_clISt17integral_constantIbLb0EESY_IbLb1EEEEDaSU_SV_EUlSU_E_NS1_11comp_targetILNS1_3genE9ELNS1_11target_archE1100ELNS1_3gpuE3ELNS1_3repE0EEENS1_30default_config_static_selectorELNS0_4arch9wavefront6targetE1EEEvT1_
	.p2align	8
	.type	_ZN7rocprim17ROCPRIM_400000_NS6detail17trampoline_kernelINS0_14default_configENS1_27scan_by_key_config_selectorIiiEEZZNS1_16scan_by_key_implILNS1_25lookback_scan_determinismE0ELb0ES3_N6thrust23THRUST_200600_302600_NS6detail15normal_iteratorINS9_10device_ptrIiEEEESE_SE_iNS9_10multipliesIiEENS9_8equal_toIiEEiEE10hipError_tPvRmT2_T3_T4_T5_mT6_T7_P12ihipStream_tbENKUlT_T0_E_clISt17integral_constantIbLb0EESY_IbLb1EEEEDaSU_SV_EUlSU_E_NS1_11comp_targetILNS1_3genE9ELNS1_11target_archE1100ELNS1_3gpuE3ELNS1_3repE0EEENS1_30default_config_static_selectorELNS0_4arch9wavefront6targetE1EEEvT1_,@function
_ZN7rocprim17ROCPRIM_400000_NS6detail17trampoline_kernelINS0_14default_configENS1_27scan_by_key_config_selectorIiiEEZZNS1_16scan_by_key_implILNS1_25lookback_scan_determinismE0ELb0ES3_N6thrust23THRUST_200600_302600_NS6detail15normal_iteratorINS9_10device_ptrIiEEEESE_SE_iNS9_10multipliesIiEENS9_8equal_toIiEEiEE10hipError_tPvRmT2_T3_T4_T5_mT6_T7_P12ihipStream_tbENKUlT_T0_E_clISt17integral_constantIbLb0EESY_IbLb1EEEEDaSU_SV_EUlSU_E_NS1_11comp_targetILNS1_3genE9ELNS1_11target_archE1100ELNS1_3gpuE3ELNS1_3repE0EEENS1_30default_config_static_selectorELNS0_4arch9wavefront6targetE1EEEvT1_: ; @_ZN7rocprim17ROCPRIM_400000_NS6detail17trampoline_kernelINS0_14default_configENS1_27scan_by_key_config_selectorIiiEEZZNS1_16scan_by_key_implILNS1_25lookback_scan_determinismE0ELb0ES3_N6thrust23THRUST_200600_302600_NS6detail15normal_iteratorINS9_10device_ptrIiEEEESE_SE_iNS9_10multipliesIiEENS9_8equal_toIiEEiEE10hipError_tPvRmT2_T3_T4_T5_mT6_T7_P12ihipStream_tbENKUlT_T0_E_clISt17integral_constantIbLb0EESY_IbLb1EEEEDaSU_SV_EUlSU_E_NS1_11comp_targetILNS1_3genE9ELNS1_11target_archE1100ELNS1_3gpuE3ELNS1_3repE0EEENS1_30default_config_static_selectorELNS0_4arch9wavefront6targetE1EEEvT1_
; %bb.0:
	.section	.rodata,"a",@progbits
	.p2align	6, 0x0
	.amdhsa_kernel _ZN7rocprim17ROCPRIM_400000_NS6detail17trampoline_kernelINS0_14default_configENS1_27scan_by_key_config_selectorIiiEEZZNS1_16scan_by_key_implILNS1_25lookback_scan_determinismE0ELb0ES3_N6thrust23THRUST_200600_302600_NS6detail15normal_iteratorINS9_10device_ptrIiEEEESE_SE_iNS9_10multipliesIiEENS9_8equal_toIiEEiEE10hipError_tPvRmT2_T3_T4_T5_mT6_T7_P12ihipStream_tbENKUlT_T0_E_clISt17integral_constantIbLb0EESY_IbLb1EEEEDaSU_SV_EUlSU_E_NS1_11comp_targetILNS1_3genE9ELNS1_11target_archE1100ELNS1_3gpuE3ELNS1_3repE0EEENS1_30default_config_static_selectorELNS0_4arch9wavefront6targetE1EEEvT1_
		.amdhsa_group_segment_fixed_size 0
		.amdhsa_private_segment_fixed_size 0
		.amdhsa_kernarg_size 112
		.amdhsa_user_sgpr_count 6
		.amdhsa_user_sgpr_private_segment_buffer 1
		.amdhsa_user_sgpr_dispatch_ptr 0
		.amdhsa_user_sgpr_queue_ptr 0
		.amdhsa_user_sgpr_kernarg_segment_ptr 1
		.amdhsa_user_sgpr_dispatch_id 0
		.amdhsa_user_sgpr_flat_scratch_init 0
		.amdhsa_user_sgpr_kernarg_preload_length 0
		.amdhsa_user_sgpr_kernarg_preload_offset 0
		.amdhsa_user_sgpr_private_segment_size 0
		.amdhsa_uses_dynamic_stack 0
		.amdhsa_system_sgpr_private_segment_wavefront_offset 0
		.amdhsa_system_sgpr_workgroup_id_x 1
		.amdhsa_system_sgpr_workgroup_id_y 0
		.amdhsa_system_sgpr_workgroup_id_z 0
		.amdhsa_system_sgpr_workgroup_info 0
		.amdhsa_system_vgpr_workitem_id 0
		.amdhsa_next_free_vgpr 1
		.amdhsa_next_free_sgpr 0
		.amdhsa_accum_offset 4
		.amdhsa_reserve_vcc 0
		.amdhsa_reserve_flat_scratch 0
		.amdhsa_float_round_mode_32 0
		.amdhsa_float_round_mode_16_64 0
		.amdhsa_float_denorm_mode_32 3
		.amdhsa_float_denorm_mode_16_64 3
		.amdhsa_dx10_clamp 1
		.amdhsa_ieee_mode 1
		.amdhsa_fp16_overflow 0
		.amdhsa_tg_split 0
		.amdhsa_exception_fp_ieee_invalid_op 0
		.amdhsa_exception_fp_denorm_src 0
		.amdhsa_exception_fp_ieee_div_zero 0
		.amdhsa_exception_fp_ieee_overflow 0
		.amdhsa_exception_fp_ieee_underflow 0
		.amdhsa_exception_fp_ieee_inexact 0
		.amdhsa_exception_int_div_zero 0
	.end_amdhsa_kernel
	.section	.text._ZN7rocprim17ROCPRIM_400000_NS6detail17trampoline_kernelINS0_14default_configENS1_27scan_by_key_config_selectorIiiEEZZNS1_16scan_by_key_implILNS1_25lookback_scan_determinismE0ELb0ES3_N6thrust23THRUST_200600_302600_NS6detail15normal_iteratorINS9_10device_ptrIiEEEESE_SE_iNS9_10multipliesIiEENS9_8equal_toIiEEiEE10hipError_tPvRmT2_T3_T4_T5_mT6_T7_P12ihipStream_tbENKUlT_T0_E_clISt17integral_constantIbLb0EESY_IbLb1EEEEDaSU_SV_EUlSU_E_NS1_11comp_targetILNS1_3genE9ELNS1_11target_archE1100ELNS1_3gpuE3ELNS1_3repE0EEENS1_30default_config_static_selectorELNS0_4arch9wavefront6targetE1EEEvT1_,"axG",@progbits,_ZN7rocprim17ROCPRIM_400000_NS6detail17trampoline_kernelINS0_14default_configENS1_27scan_by_key_config_selectorIiiEEZZNS1_16scan_by_key_implILNS1_25lookback_scan_determinismE0ELb0ES3_N6thrust23THRUST_200600_302600_NS6detail15normal_iteratorINS9_10device_ptrIiEEEESE_SE_iNS9_10multipliesIiEENS9_8equal_toIiEEiEE10hipError_tPvRmT2_T3_T4_T5_mT6_T7_P12ihipStream_tbENKUlT_T0_E_clISt17integral_constantIbLb0EESY_IbLb1EEEEDaSU_SV_EUlSU_E_NS1_11comp_targetILNS1_3genE9ELNS1_11target_archE1100ELNS1_3gpuE3ELNS1_3repE0EEENS1_30default_config_static_selectorELNS0_4arch9wavefront6targetE1EEEvT1_,comdat
.Lfunc_end198:
	.size	_ZN7rocprim17ROCPRIM_400000_NS6detail17trampoline_kernelINS0_14default_configENS1_27scan_by_key_config_selectorIiiEEZZNS1_16scan_by_key_implILNS1_25lookback_scan_determinismE0ELb0ES3_N6thrust23THRUST_200600_302600_NS6detail15normal_iteratorINS9_10device_ptrIiEEEESE_SE_iNS9_10multipliesIiEENS9_8equal_toIiEEiEE10hipError_tPvRmT2_T3_T4_T5_mT6_T7_P12ihipStream_tbENKUlT_T0_E_clISt17integral_constantIbLb0EESY_IbLb1EEEEDaSU_SV_EUlSU_E_NS1_11comp_targetILNS1_3genE9ELNS1_11target_archE1100ELNS1_3gpuE3ELNS1_3repE0EEENS1_30default_config_static_selectorELNS0_4arch9wavefront6targetE1EEEvT1_, .Lfunc_end198-_ZN7rocprim17ROCPRIM_400000_NS6detail17trampoline_kernelINS0_14default_configENS1_27scan_by_key_config_selectorIiiEEZZNS1_16scan_by_key_implILNS1_25lookback_scan_determinismE0ELb0ES3_N6thrust23THRUST_200600_302600_NS6detail15normal_iteratorINS9_10device_ptrIiEEEESE_SE_iNS9_10multipliesIiEENS9_8equal_toIiEEiEE10hipError_tPvRmT2_T3_T4_T5_mT6_T7_P12ihipStream_tbENKUlT_T0_E_clISt17integral_constantIbLb0EESY_IbLb1EEEEDaSU_SV_EUlSU_E_NS1_11comp_targetILNS1_3genE9ELNS1_11target_archE1100ELNS1_3gpuE3ELNS1_3repE0EEENS1_30default_config_static_selectorELNS0_4arch9wavefront6targetE1EEEvT1_
                                        ; -- End function
	.section	.AMDGPU.csdata,"",@progbits
; Kernel info:
; codeLenInByte = 0
; NumSgprs: 4
; NumVgprs: 0
; NumAgprs: 0
; TotalNumVgprs: 0
; ScratchSize: 0
; MemoryBound: 0
; FloatMode: 240
; IeeeMode: 1
; LDSByteSize: 0 bytes/workgroup (compile time only)
; SGPRBlocks: 0
; VGPRBlocks: 0
; NumSGPRsForWavesPerEU: 4
; NumVGPRsForWavesPerEU: 1
; AccumOffset: 4
; Occupancy: 8
; WaveLimiterHint : 0
; COMPUTE_PGM_RSRC2:SCRATCH_EN: 0
; COMPUTE_PGM_RSRC2:USER_SGPR: 6
; COMPUTE_PGM_RSRC2:TRAP_HANDLER: 0
; COMPUTE_PGM_RSRC2:TGID_X_EN: 1
; COMPUTE_PGM_RSRC2:TGID_Y_EN: 0
; COMPUTE_PGM_RSRC2:TGID_Z_EN: 0
; COMPUTE_PGM_RSRC2:TIDIG_COMP_CNT: 0
; COMPUTE_PGM_RSRC3_GFX90A:ACCUM_OFFSET: 0
; COMPUTE_PGM_RSRC3_GFX90A:TG_SPLIT: 0
	.section	.text._ZN7rocprim17ROCPRIM_400000_NS6detail17trampoline_kernelINS0_14default_configENS1_27scan_by_key_config_selectorIiiEEZZNS1_16scan_by_key_implILNS1_25lookback_scan_determinismE0ELb0ES3_N6thrust23THRUST_200600_302600_NS6detail15normal_iteratorINS9_10device_ptrIiEEEESE_SE_iNS9_10multipliesIiEENS9_8equal_toIiEEiEE10hipError_tPvRmT2_T3_T4_T5_mT6_T7_P12ihipStream_tbENKUlT_T0_E_clISt17integral_constantIbLb0EESY_IbLb1EEEEDaSU_SV_EUlSU_E_NS1_11comp_targetILNS1_3genE8ELNS1_11target_archE1030ELNS1_3gpuE2ELNS1_3repE0EEENS1_30default_config_static_selectorELNS0_4arch9wavefront6targetE1EEEvT1_,"axG",@progbits,_ZN7rocprim17ROCPRIM_400000_NS6detail17trampoline_kernelINS0_14default_configENS1_27scan_by_key_config_selectorIiiEEZZNS1_16scan_by_key_implILNS1_25lookback_scan_determinismE0ELb0ES3_N6thrust23THRUST_200600_302600_NS6detail15normal_iteratorINS9_10device_ptrIiEEEESE_SE_iNS9_10multipliesIiEENS9_8equal_toIiEEiEE10hipError_tPvRmT2_T3_T4_T5_mT6_T7_P12ihipStream_tbENKUlT_T0_E_clISt17integral_constantIbLb0EESY_IbLb1EEEEDaSU_SV_EUlSU_E_NS1_11comp_targetILNS1_3genE8ELNS1_11target_archE1030ELNS1_3gpuE2ELNS1_3repE0EEENS1_30default_config_static_selectorELNS0_4arch9wavefront6targetE1EEEvT1_,comdat
	.protected	_ZN7rocprim17ROCPRIM_400000_NS6detail17trampoline_kernelINS0_14default_configENS1_27scan_by_key_config_selectorIiiEEZZNS1_16scan_by_key_implILNS1_25lookback_scan_determinismE0ELb0ES3_N6thrust23THRUST_200600_302600_NS6detail15normal_iteratorINS9_10device_ptrIiEEEESE_SE_iNS9_10multipliesIiEENS9_8equal_toIiEEiEE10hipError_tPvRmT2_T3_T4_T5_mT6_T7_P12ihipStream_tbENKUlT_T0_E_clISt17integral_constantIbLb0EESY_IbLb1EEEEDaSU_SV_EUlSU_E_NS1_11comp_targetILNS1_3genE8ELNS1_11target_archE1030ELNS1_3gpuE2ELNS1_3repE0EEENS1_30default_config_static_selectorELNS0_4arch9wavefront6targetE1EEEvT1_ ; -- Begin function _ZN7rocprim17ROCPRIM_400000_NS6detail17trampoline_kernelINS0_14default_configENS1_27scan_by_key_config_selectorIiiEEZZNS1_16scan_by_key_implILNS1_25lookback_scan_determinismE0ELb0ES3_N6thrust23THRUST_200600_302600_NS6detail15normal_iteratorINS9_10device_ptrIiEEEESE_SE_iNS9_10multipliesIiEENS9_8equal_toIiEEiEE10hipError_tPvRmT2_T3_T4_T5_mT6_T7_P12ihipStream_tbENKUlT_T0_E_clISt17integral_constantIbLb0EESY_IbLb1EEEEDaSU_SV_EUlSU_E_NS1_11comp_targetILNS1_3genE8ELNS1_11target_archE1030ELNS1_3gpuE2ELNS1_3repE0EEENS1_30default_config_static_selectorELNS0_4arch9wavefront6targetE1EEEvT1_
	.globl	_ZN7rocprim17ROCPRIM_400000_NS6detail17trampoline_kernelINS0_14default_configENS1_27scan_by_key_config_selectorIiiEEZZNS1_16scan_by_key_implILNS1_25lookback_scan_determinismE0ELb0ES3_N6thrust23THRUST_200600_302600_NS6detail15normal_iteratorINS9_10device_ptrIiEEEESE_SE_iNS9_10multipliesIiEENS9_8equal_toIiEEiEE10hipError_tPvRmT2_T3_T4_T5_mT6_T7_P12ihipStream_tbENKUlT_T0_E_clISt17integral_constantIbLb0EESY_IbLb1EEEEDaSU_SV_EUlSU_E_NS1_11comp_targetILNS1_3genE8ELNS1_11target_archE1030ELNS1_3gpuE2ELNS1_3repE0EEENS1_30default_config_static_selectorELNS0_4arch9wavefront6targetE1EEEvT1_
	.p2align	8
	.type	_ZN7rocprim17ROCPRIM_400000_NS6detail17trampoline_kernelINS0_14default_configENS1_27scan_by_key_config_selectorIiiEEZZNS1_16scan_by_key_implILNS1_25lookback_scan_determinismE0ELb0ES3_N6thrust23THRUST_200600_302600_NS6detail15normal_iteratorINS9_10device_ptrIiEEEESE_SE_iNS9_10multipliesIiEENS9_8equal_toIiEEiEE10hipError_tPvRmT2_T3_T4_T5_mT6_T7_P12ihipStream_tbENKUlT_T0_E_clISt17integral_constantIbLb0EESY_IbLb1EEEEDaSU_SV_EUlSU_E_NS1_11comp_targetILNS1_3genE8ELNS1_11target_archE1030ELNS1_3gpuE2ELNS1_3repE0EEENS1_30default_config_static_selectorELNS0_4arch9wavefront6targetE1EEEvT1_,@function
_ZN7rocprim17ROCPRIM_400000_NS6detail17trampoline_kernelINS0_14default_configENS1_27scan_by_key_config_selectorIiiEEZZNS1_16scan_by_key_implILNS1_25lookback_scan_determinismE0ELb0ES3_N6thrust23THRUST_200600_302600_NS6detail15normal_iteratorINS9_10device_ptrIiEEEESE_SE_iNS9_10multipliesIiEENS9_8equal_toIiEEiEE10hipError_tPvRmT2_T3_T4_T5_mT6_T7_P12ihipStream_tbENKUlT_T0_E_clISt17integral_constantIbLb0EESY_IbLb1EEEEDaSU_SV_EUlSU_E_NS1_11comp_targetILNS1_3genE8ELNS1_11target_archE1030ELNS1_3gpuE2ELNS1_3repE0EEENS1_30default_config_static_selectorELNS0_4arch9wavefront6targetE1EEEvT1_: ; @_ZN7rocprim17ROCPRIM_400000_NS6detail17trampoline_kernelINS0_14default_configENS1_27scan_by_key_config_selectorIiiEEZZNS1_16scan_by_key_implILNS1_25lookback_scan_determinismE0ELb0ES3_N6thrust23THRUST_200600_302600_NS6detail15normal_iteratorINS9_10device_ptrIiEEEESE_SE_iNS9_10multipliesIiEENS9_8equal_toIiEEiEE10hipError_tPvRmT2_T3_T4_T5_mT6_T7_P12ihipStream_tbENKUlT_T0_E_clISt17integral_constantIbLb0EESY_IbLb1EEEEDaSU_SV_EUlSU_E_NS1_11comp_targetILNS1_3genE8ELNS1_11target_archE1030ELNS1_3gpuE2ELNS1_3repE0EEENS1_30default_config_static_selectorELNS0_4arch9wavefront6targetE1EEEvT1_
; %bb.0:
	.section	.rodata,"a",@progbits
	.p2align	6, 0x0
	.amdhsa_kernel _ZN7rocprim17ROCPRIM_400000_NS6detail17trampoline_kernelINS0_14default_configENS1_27scan_by_key_config_selectorIiiEEZZNS1_16scan_by_key_implILNS1_25lookback_scan_determinismE0ELb0ES3_N6thrust23THRUST_200600_302600_NS6detail15normal_iteratorINS9_10device_ptrIiEEEESE_SE_iNS9_10multipliesIiEENS9_8equal_toIiEEiEE10hipError_tPvRmT2_T3_T4_T5_mT6_T7_P12ihipStream_tbENKUlT_T0_E_clISt17integral_constantIbLb0EESY_IbLb1EEEEDaSU_SV_EUlSU_E_NS1_11comp_targetILNS1_3genE8ELNS1_11target_archE1030ELNS1_3gpuE2ELNS1_3repE0EEENS1_30default_config_static_selectorELNS0_4arch9wavefront6targetE1EEEvT1_
		.amdhsa_group_segment_fixed_size 0
		.amdhsa_private_segment_fixed_size 0
		.amdhsa_kernarg_size 112
		.amdhsa_user_sgpr_count 6
		.amdhsa_user_sgpr_private_segment_buffer 1
		.amdhsa_user_sgpr_dispatch_ptr 0
		.amdhsa_user_sgpr_queue_ptr 0
		.amdhsa_user_sgpr_kernarg_segment_ptr 1
		.amdhsa_user_sgpr_dispatch_id 0
		.amdhsa_user_sgpr_flat_scratch_init 0
		.amdhsa_user_sgpr_kernarg_preload_length 0
		.amdhsa_user_sgpr_kernarg_preload_offset 0
		.amdhsa_user_sgpr_private_segment_size 0
		.amdhsa_uses_dynamic_stack 0
		.amdhsa_system_sgpr_private_segment_wavefront_offset 0
		.amdhsa_system_sgpr_workgroup_id_x 1
		.amdhsa_system_sgpr_workgroup_id_y 0
		.amdhsa_system_sgpr_workgroup_id_z 0
		.amdhsa_system_sgpr_workgroup_info 0
		.amdhsa_system_vgpr_workitem_id 0
		.amdhsa_next_free_vgpr 1
		.amdhsa_next_free_sgpr 0
		.amdhsa_accum_offset 4
		.amdhsa_reserve_vcc 0
		.amdhsa_reserve_flat_scratch 0
		.amdhsa_float_round_mode_32 0
		.amdhsa_float_round_mode_16_64 0
		.amdhsa_float_denorm_mode_32 3
		.amdhsa_float_denorm_mode_16_64 3
		.amdhsa_dx10_clamp 1
		.amdhsa_ieee_mode 1
		.amdhsa_fp16_overflow 0
		.amdhsa_tg_split 0
		.amdhsa_exception_fp_ieee_invalid_op 0
		.amdhsa_exception_fp_denorm_src 0
		.amdhsa_exception_fp_ieee_div_zero 0
		.amdhsa_exception_fp_ieee_overflow 0
		.amdhsa_exception_fp_ieee_underflow 0
		.amdhsa_exception_fp_ieee_inexact 0
		.amdhsa_exception_int_div_zero 0
	.end_amdhsa_kernel
	.section	.text._ZN7rocprim17ROCPRIM_400000_NS6detail17trampoline_kernelINS0_14default_configENS1_27scan_by_key_config_selectorIiiEEZZNS1_16scan_by_key_implILNS1_25lookback_scan_determinismE0ELb0ES3_N6thrust23THRUST_200600_302600_NS6detail15normal_iteratorINS9_10device_ptrIiEEEESE_SE_iNS9_10multipliesIiEENS9_8equal_toIiEEiEE10hipError_tPvRmT2_T3_T4_T5_mT6_T7_P12ihipStream_tbENKUlT_T0_E_clISt17integral_constantIbLb0EESY_IbLb1EEEEDaSU_SV_EUlSU_E_NS1_11comp_targetILNS1_3genE8ELNS1_11target_archE1030ELNS1_3gpuE2ELNS1_3repE0EEENS1_30default_config_static_selectorELNS0_4arch9wavefront6targetE1EEEvT1_,"axG",@progbits,_ZN7rocprim17ROCPRIM_400000_NS6detail17trampoline_kernelINS0_14default_configENS1_27scan_by_key_config_selectorIiiEEZZNS1_16scan_by_key_implILNS1_25lookback_scan_determinismE0ELb0ES3_N6thrust23THRUST_200600_302600_NS6detail15normal_iteratorINS9_10device_ptrIiEEEESE_SE_iNS9_10multipliesIiEENS9_8equal_toIiEEiEE10hipError_tPvRmT2_T3_T4_T5_mT6_T7_P12ihipStream_tbENKUlT_T0_E_clISt17integral_constantIbLb0EESY_IbLb1EEEEDaSU_SV_EUlSU_E_NS1_11comp_targetILNS1_3genE8ELNS1_11target_archE1030ELNS1_3gpuE2ELNS1_3repE0EEENS1_30default_config_static_selectorELNS0_4arch9wavefront6targetE1EEEvT1_,comdat
.Lfunc_end199:
	.size	_ZN7rocprim17ROCPRIM_400000_NS6detail17trampoline_kernelINS0_14default_configENS1_27scan_by_key_config_selectorIiiEEZZNS1_16scan_by_key_implILNS1_25lookback_scan_determinismE0ELb0ES3_N6thrust23THRUST_200600_302600_NS6detail15normal_iteratorINS9_10device_ptrIiEEEESE_SE_iNS9_10multipliesIiEENS9_8equal_toIiEEiEE10hipError_tPvRmT2_T3_T4_T5_mT6_T7_P12ihipStream_tbENKUlT_T0_E_clISt17integral_constantIbLb0EESY_IbLb1EEEEDaSU_SV_EUlSU_E_NS1_11comp_targetILNS1_3genE8ELNS1_11target_archE1030ELNS1_3gpuE2ELNS1_3repE0EEENS1_30default_config_static_selectorELNS0_4arch9wavefront6targetE1EEEvT1_, .Lfunc_end199-_ZN7rocprim17ROCPRIM_400000_NS6detail17trampoline_kernelINS0_14default_configENS1_27scan_by_key_config_selectorIiiEEZZNS1_16scan_by_key_implILNS1_25lookback_scan_determinismE0ELb0ES3_N6thrust23THRUST_200600_302600_NS6detail15normal_iteratorINS9_10device_ptrIiEEEESE_SE_iNS9_10multipliesIiEENS9_8equal_toIiEEiEE10hipError_tPvRmT2_T3_T4_T5_mT6_T7_P12ihipStream_tbENKUlT_T0_E_clISt17integral_constantIbLb0EESY_IbLb1EEEEDaSU_SV_EUlSU_E_NS1_11comp_targetILNS1_3genE8ELNS1_11target_archE1030ELNS1_3gpuE2ELNS1_3repE0EEENS1_30default_config_static_selectorELNS0_4arch9wavefront6targetE1EEEvT1_
                                        ; -- End function
	.section	.AMDGPU.csdata,"",@progbits
; Kernel info:
; codeLenInByte = 0
; NumSgprs: 4
; NumVgprs: 0
; NumAgprs: 0
; TotalNumVgprs: 0
; ScratchSize: 0
; MemoryBound: 0
; FloatMode: 240
; IeeeMode: 1
; LDSByteSize: 0 bytes/workgroup (compile time only)
; SGPRBlocks: 0
; VGPRBlocks: 0
; NumSGPRsForWavesPerEU: 4
; NumVGPRsForWavesPerEU: 1
; AccumOffset: 4
; Occupancy: 8
; WaveLimiterHint : 0
; COMPUTE_PGM_RSRC2:SCRATCH_EN: 0
; COMPUTE_PGM_RSRC2:USER_SGPR: 6
; COMPUTE_PGM_RSRC2:TRAP_HANDLER: 0
; COMPUTE_PGM_RSRC2:TGID_X_EN: 1
; COMPUTE_PGM_RSRC2:TGID_Y_EN: 0
; COMPUTE_PGM_RSRC2:TGID_Z_EN: 0
; COMPUTE_PGM_RSRC2:TIDIG_COMP_CNT: 0
; COMPUTE_PGM_RSRC3_GFX90A:ACCUM_OFFSET: 0
; COMPUTE_PGM_RSRC3_GFX90A:TG_SPLIT: 0
	.section	.text._ZN7rocprim17ROCPRIM_400000_NS6detail17trampoline_kernelINS0_14default_configENS1_27scan_by_key_config_selectorIiiEEZZNS1_16scan_by_key_implILNS1_25lookback_scan_determinismE0ELb0ES3_N6thrust23THRUST_200600_302600_NS6detail15normal_iteratorINS9_10device_ptrIiEEEESE_SE_iNS9_4plusIvEENS9_8equal_toIiEEiEE10hipError_tPvRmT2_T3_T4_T5_mT6_T7_P12ihipStream_tbENKUlT_T0_E_clISt17integral_constantIbLb0EESZ_EEDaSU_SV_EUlSU_E_NS1_11comp_targetILNS1_3genE0ELNS1_11target_archE4294967295ELNS1_3gpuE0ELNS1_3repE0EEENS1_30default_config_static_selectorELNS0_4arch9wavefront6targetE1EEEvT1_,"axG",@progbits,_ZN7rocprim17ROCPRIM_400000_NS6detail17trampoline_kernelINS0_14default_configENS1_27scan_by_key_config_selectorIiiEEZZNS1_16scan_by_key_implILNS1_25lookback_scan_determinismE0ELb0ES3_N6thrust23THRUST_200600_302600_NS6detail15normal_iteratorINS9_10device_ptrIiEEEESE_SE_iNS9_4plusIvEENS9_8equal_toIiEEiEE10hipError_tPvRmT2_T3_T4_T5_mT6_T7_P12ihipStream_tbENKUlT_T0_E_clISt17integral_constantIbLb0EESZ_EEDaSU_SV_EUlSU_E_NS1_11comp_targetILNS1_3genE0ELNS1_11target_archE4294967295ELNS1_3gpuE0ELNS1_3repE0EEENS1_30default_config_static_selectorELNS0_4arch9wavefront6targetE1EEEvT1_,comdat
	.protected	_ZN7rocprim17ROCPRIM_400000_NS6detail17trampoline_kernelINS0_14default_configENS1_27scan_by_key_config_selectorIiiEEZZNS1_16scan_by_key_implILNS1_25lookback_scan_determinismE0ELb0ES3_N6thrust23THRUST_200600_302600_NS6detail15normal_iteratorINS9_10device_ptrIiEEEESE_SE_iNS9_4plusIvEENS9_8equal_toIiEEiEE10hipError_tPvRmT2_T3_T4_T5_mT6_T7_P12ihipStream_tbENKUlT_T0_E_clISt17integral_constantIbLb0EESZ_EEDaSU_SV_EUlSU_E_NS1_11comp_targetILNS1_3genE0ELNS1_11target_archE4294967295ELNS1_3gpuE0ELNS1_3repE0EEENS1_30default_config_static_selectorELNS0_4arch9wavefront6targetE1EEEvT1_ ; -- Begin function _ZN7rocprim17ROCPRIM_400000_NS6detail17trampoline_kernelINS0_14default_configENS1_27scan_by_key_config_selectorIiiEEZZNS1_16scan_by_key_implILNS1_25lookback_scan_determinismE0ELb0ES3_N6thrust23THRUST_200600_302600_NS6detail15normal_iteratorINS9_10device_ptrIiEEEESE_SE_iNS9_4plusIvEENS9_8equal_toIiEEiEE10hipError_tPvRmT2_T3_T4_T5_mT6_T7_P12ihipStream_tbENKUlT_T0_E_clISt17integral_constantIbLb0EESZ_EEDaSU_SV_EUlSU_E_NS1_11comp_targetILNS1_3genE0ELNS1_11target_archE4294967295ELNS1_3gpuE0ELNS1_3repE0EEENS1_30default_config_static_selectorELNS0_4arch9wavefront6targetE1EEEvT1_
	.globl	_ZN7rocprim17ROCPRIM_400000_NS6detail17trampoline_kernelINS0_14default_configENS1_27scan_by_key_config_selectorIiiEEZZNS1_16scan_by_key_implILNS1_25lookback_scan_determinismE0ELb0ES3_N6thrust23THRUST_200600_302600_NS6detail15normal_iteratorINS9_10device_ptrIiEEEESE_SE_iNS9_4plusIvEENS9_8equal_toIiEEiEE10hipError_tPvRmT2_T3_T4_T5_mT6_T7_P12ihipStream_tbENKUlT_T0_E_clISt17integral_constantIbLb0EESZ_EEDaSU_SV_EUlSU_E_NS1_11comp_targetILNS1_3genE0ELNS1_11target_archE4294967295ELNS1_3gpuE0ELNS1_3repE0EEENS1_30default_config_static_selectorELNS0_4arch9wavefront6targetE1EEEvT1_
	.p2align	8
	.type	_ZN7rocprim17ROCPRIM_400000_NS6detail17trampoline_kernelINS0_14default_configENS1_27scan_by_key_config_selectorIiiEEZZNS1_16scan_by_key_implILNS1_25lookback_scan_determinismE0ELb0ES3_N6thrust23THRUST_200600_302600_NS6detail15normal_iteratorINS9_10device_ptrIiEEEESE_SE_iNS9_4plusIvEENS9_8equal_toIiEEiEE10hipError_tPvRmT2_T3_T4_T5_mT6_T7_P12ihipStream_tbENKUlT_T0_E_clISt17integral_constantIbLb0EESZ_EEDaSU_SV_EUlSU_E_NS1_11comp_targetILNS1_3genE0ELNS1_11target_archE4294967295ELNS1_3gpuE0ELNS1_3repE0EEENS1_30default_config_static_selectorELNS0_4arch9wavefront6targetE1EEEvT1_,@function
_ZN7rocprim17ROCPRIM_400000_NS6detail17trampoline_kernelINS0_14default_configENS1_27scan_by_key_config_selectorIiiEEZZNS1_16scan_by_key_implILNS1_25lookback_scan_determinismE0ELb0ES3_N6thrust23THRUST_200600_302600_NS6detail15normal_iteratorINS9_10device_ptrIiEEEESE_SE_iNS9_4plusIvEENS9_8equal_toIiEEiEE10hipError_tPvRmT2_T3_T4_T5_mT6_T7_P12ihipStream_tbENKUlT_T0_E_clISt17integral_constantIbLb0EESZ_EEDaSU_SV_EUlSU_E_NS1_11comp_targetILNS1_3genE0ELNS1_11target_archE4294967295ELNS1_3gpuE0ELNS1_3repE0EEENS1_30default_config_static_selectorELNS0_4arch9wavefront6targetE1EEEvT1_: ; @_ZN7rocprim17ROCPRIM_400000_NS6detail17trampoline_kernelINS0_14default_configENS1_27scan_by_key_config_selectorIiiEEZZNS1_16scan_by_key_implILNS1_25lookback_scan_determinismE0ELb0ES3_N6thrust23THRUST_200600_302600_NS6detail15normal_iteratorINS9_10device_ptrIiEEEESE_SE_iNS9_4plusIvEENS9_8equal_toIiEEiEE10hipError_tPvRmT2_T3_T4_T5_mT6_T7_P12ihipStream_tbENKUlT_T0_E_clISt17integral_constantIbLb0EESZ_EEDaSU_SV_EUlSU_E_NS1_11comp_targetILNS1_3genE0ELNS1_11target_archE4294967295ELNS1_3gpuE0ELNS1_3repE0EEENS1_30default_config_static_selectorELNS0_4arch9wavefront6targetE1EEEvT1_
; %bb.0:
	.section	.rodata,"a",@progbits
	.p2align	6, 0x0
	.amdhsa_kernel _ZN7rocprim17ROCPRIM_400000_NS6detail17trampoline_kernelINS0_14default_configENS1_27scan_by_key_config_selectorIiiEEZZNS1_16scan_by_key_implILNS1_25lookback_scan_determinismE0ELb0ES3_N6thrust23THRUST_200600_302600_NS6detail15normal_iteratorINS9_10device_ptrIiEEEESE_SE_iNS9_4plusIvEENS9_8equal_toIiEEiEE10hipError_tPvRmT2_T3_T4_T5_mT6_T7_P12ihipStream_tbENKUlT_T0_E_clISt17integral_constantIbLb0EESZ_EEDaSU_SV_EUlSU_E_NS1_11comp_targetILNS1_3genE0ELNS1_11target_archE4294967295ELNS1_3gpuE0ELNS1_3repE0EEENS1_30default_config_static_selectorELNS0_4arch9wavefront6targetE1EEEvT1_
		.amdhsa_group_segment_fixed_size 0
		.amdhsa_private_segment_fixed_size 0
		.amdhsa_kernarg_size 112
		.amdhsa_user_sgpr_count 6
		.amdhsa_user_sgpr_private_segment_buffer 1
		.amdhsa_user_sgpr_dispatch_ptr 0
		.amdhsa_user_sgpr_queue_ptr 0
		.amdhsa_user_sgpr_kernarg_segment_ptr 1
		.amdhsa_user_sgpr_dispatch_id 0
		.amdhsa_user_sgpr_flat_scratch_init 0
		.amdhsa_user_sgpr_kernarg_preload_length 0
		.amdhsa_user_sgpr_kernarg_preload_offset 0
		.amdhsa_user_sgpr_private_segment_size 0
		.amdhsa_uses_dynamic_stack 0
		.amdhsa_system_sgpr_private_segment_wavefront_offset 0
		.amdhsa_system_sgpr_workgroup_id_x 1
		.amdhsa_system_sgpr_workgroup_id_y 0
		.amdhsa_system_sgpr_workgroup_id_z 0
		.amdhsa_system_sgpr_workgroup_info 0
		.amdhsa_system_vgpr_workitem_id 0
		.amdhsa_next_free_vgpr 1
		.amdhsa_next_free_sgpr 0
		.amdhsa_accum_offset 4
		.amdhsa_reserve_vcc 0
		.amdhsa_reserve_flat_scratch 0
		.amdhsa_float_round_mode_32 0
		.amdhsa_float_round_mode_16_64 0
		.amdhsa_float_denorm_mode_32 3
		.amdhsa_float_denorm_mode_16_64 3
		.amdhsa_dx10_clamp 1
		.amdhsa_ieee_mode 1
		.amdhsa_fp16_overflow 0
		.amdhsa_tg_split 0
		.amdhsa_exception_fp_ieee_invalid_op 0
		.amdhsa_exception_fp_denorm_src 0
		.amdhsa_exception_fp_ieee_div_zero 0
		.amdhsa_exception_fp_ieee_overflow 0
		.amdhsa_exception_fp_ieee_underflow 0
		.amdhsa_exception_fp_ieee_inexact 0
		.amdhsa_exception_int_div_zero 0
	.end_amdhsa_kernel
	.section	.text._ZN7rocprim17ROCPRIM_400000_NS6detail17trampoline_kernelINS0_14default_configENS1_27scan_by_key_config_selectorIiiEEZZNS1_16scan_by_key_implILNS1_25lookback_scan_determinismE0ELb0ES3_N6thrust23THRUST_200600_302600_NS6detail15normal_iteratorINS9_10device_ptrIiEEEESE_SE_iNS9_4plusIvEENS9_8equal_toIiEEiEE10hipError_tPvRmT2_T3_T4_T5_mT6_T7_P12ihipStream_tbENKUlT_T0_E_clISt17integral_constantIbLb0EESZ_EEDaSU_SV_EUlSU_E_NS1_11comp_targetILNS1_3genE0ELNS1_11target_archE4294967295ELNS1_3gpuE0ELNS1_3repE0EEENS1_30default_config_static_selectorELNS0_4arch9wavefront6targetE1EEEvT1_,"axG",@progbits,_ZN7rocprim17ROCPRIM_400000_NS6detail17trampoline_kernelINS0_14default_configENS1_27scan_by_key_config_selectorIiiEEZZNS1_16scan_by_key_implILNS1_25lookback_scan_determinismE0ELb0ES3_N6thrust23THRUST_200600_302600_NS6detail15normal_iteratorINS9_10device_ptrIiEEEESE_SE_iNS9_4plusIvEENS9_8equal_toIiEEiEE10hipError_tPvRmT2_T3_T4_T5_mT6_T7_P12ihipStream_tbENKUlT_T0_E_clISt17integral_constantIbLb0EESZ_EEDaSU_SV_EUlSU_E_NS1_11comp_targetILNS1_3genE0ELNS1_11target_archE4294967295ELNS1_3gpuE0ELNS1_3repE0EEENS1_30default_config_static_selectorELNS0_4arch9wavefront6targetE1EEEvT1_,comdat
.Lfunc_end200:
	.size	_ZN7rocprim17ROCPRIM_400000_NS6detail17trampoline_kernelINS0_14default_configENS1_27scan_by_key_config_selectorIiiEEZZNS1_16scan_by_key_implILNS1_25lookback_scan_determinismE0ELb0ES3_N6thrust23THRUST_200600_302600_NS6detail15normal_iteratorINS9_10device_ptrIiEEEESE_SE_iNS9_4plusIvEENS9_8equal_toIiEEiEE10hipError_tPvRmT2_T3_T4_T5_mT6_T7_P12ihipStream_tbENKUlT_T0_E_clISt17integral_constantIbLb0EESZ_EEDaSU_SV_EUlSU_E_NS1_11comp_targetILNS1_3genE0ELNS1_11target_archE4294967295ELNS1_3gpuE0ELNS1_3repE0EEENS1_30default_config_static_selectorELNS0_4arch9wavefront6targetE1EEEvT1_, .Lfunc_end200-_ZN7rocprim17ROCPRIM_400000_NS6detail17trampoline_kernelINS0_14default_configENS1_27scan_by_key_config_selectorIiiEEZZNS1_16scan_by_key_implILNS1_25lookback_scan_determinismE0ELb0ES3_N6thrust23THRUST_200600_302600_NS6detail15normal_iteratorINS9_10device_ptrIiEEEESE_SE_iNS9_4plusIvEENS9_8equal_toIiEEiEE10hipError_tPvRmT2_T3_T4_T5_mT6_T7_P12ihipStream_tbENKUlT_T0_E_clISt17integral_constantIbLb0EESZ_EEDaSU_SV_EUlSU_E_NS1_11comp_targetILNS1_3genE0ELNS1_11target_archE4294967295ELNS1_3gpuE0ELNS1_3repE0EEENS1_30default_config_static_selectorELNS0_4arch9wavefront6targetE1EEEvT1_
                                        ; -- End function
	.section	.AMDGPU.csdata,"",@progbits
; Kernel info:
; codeLenInByte = 0
; NumSgprs: 4
; NumVgprs: 0
; NumAgprs: 0
; TotalNumVgprs: 0
; ScratchSize: 0
; MemoryBound: 0
; FloatMode: 240
; IeeeMode: 1
; LDSByteSize: 0 bytes/workgroup (compile time only)
; SGPRBlocks: 0
; VGPRBlocks: 0
; NumSGPRsForWavesPerEU: 4
; NumVGPRsForWavesPerEU: 1
; AccumOffset: 4
; Occupancy: 8
; WaveLimiterHint : 0
; COMPUTE_PGM_RSRC2:SCRATCH_EN: 0
; COMPUTE_PGM_RSRC2:USER_SGPR: 6
; COMPUTE_PGM_RSRC2:TRAP_HANDLER: 0
; COMPUTE_PGM_RSRC2:TGID_X_EN: 1
; COMPUTE_PGM_RSRC2:TGID_Y_EN: 0
; COMPUTE_PGM_RSRC2:TGID_Z_EN: 0
; COMPUTE_PGM_RSRC2:TIDIG_COMP_CNT: 0
; COMPUTE_PGM_RSRC3_GFX90A:ACCUM_OFFSET: 0
; COMPUTE_PGM_RSRC3_GFX90A:TG_SPLIT: 0
	.section	.text._ZN7rocprim17ROCPRIM_400000_NS6detail17trampoline_kernelINS0_14default_configENS1_27scan_by_key_config_selectorIiiEEZZNS1_16scan_by_key_implILNS1_25lookback_scan_determinismE0ELb0ES3_N6thrust23THRUST_200600_302600_NS6detail15normal_iteratorINS9_10device_ptrIiEEEESE_SE_iNS9_4plusIvEENS9_8equal_toIiEEiEE10hipError_tPvRmT2_T3_T4_T5_mT6_T7_P12ihipStream_tbENKUlT_T0_E_clISt17integral_constantIbLb0EESZ_EEDaSU_SV_EUlSU_E_NS1_11comp_targetILNS1_3genE10ELNS1_11target_archE1201ELNS1_3gpuE5ELNS1_3repE0EEENS1_30default_config_static_selectorELNS0_4arch9wavefront6targetE1EEEvT1_,"axG",@progbits,_ZN7rocprim17ROCPRIM_400000_NS6detail17trampoline_kernelINS0_14default_configENS1_27scan_by_key_config_selectorIiiEEZZNS1_16scan_by_key_implILNS1_25lookback_scan_determinismE0ELb0ES3_N6thrust23THRUST_200600_302600_NS6detail15normal_iteratorINS9_10device_ptrIiEEEESE_SE_iNS9_4plusIvEENS9_8equal_toIiEEiEE10hipError_tPvRmT2_T3_T4_T5_mT6_T7_P12ihipStream_tbENKUlT_T0_E_clISt17integral_constantIbLb0EESZ_EEDaSU_SV_EUlSU_E_NS1_11comp_targetILNS1_3genE10ELNS1_11target_archE1201ELNS1_3gpuE5ELNS1_3repE0EEENS1_30default_config_static_selectorELNS0_4arch9wavefront6targetE1EEEvT1_,comdat
	.protected	_ZN7rocprim17ROCPRIM_400000_NS6detail17trampoline_kernelINS0_14default_configENS1_27scan_by_key_config_selectorIiiEEZZNS1_16scan_by_key_implILNS1_25lookback_scan_determinismE0ELb0ES3_N6thrust23THRUST_200600_302600_NS6detail15normal_iteratorINS9_10device_ptrIiEEEESE_SE_iNS9_4plusIvEENS9_8equal_toIiEEiEE10hipError_tPvRmT2_T3_T4_T5_mT6_T7_P12ihipStream_tbENKUlT_T0_E_clISt17integral_constantIbLb0EESZ_EEDaSU_SV_EUlSU_E_NS1_11comp_targetILNS1_3genE10ELNS1_11target_archE1201ELNS1_3gpuE5ELNS1_3repE0EEENS1_30default_config_static_selectorELNS0_4arch9wavefront6targetE1EEEvT1_ ; -- Begin function _ZN7rocprim17ROCPRIM_400000_NS6detail17trampoline_kernelINS0_14default_configENS1_27scan_by_key_config_selectorIiiEEZZNS1_16scan_by_key_implILNS1_25lookback_scan_determinismE0ELb0ES3_N6thrust23THRUST_200600_302600_NS6detail15normal_iteratorINS9_10device_ptrIiEEEESE_SE_iNS9_4plusIvEENS9_8equal_toIiEEiEE10hipError_tPvRmT2_T3_T4_T5_mT6_T7_P12ihipStream_tbENKUlT_T0_E_clISt17integral_constantIbLb0EESZ_EEDaSU_SV_EUlSU_E_NS1_11comp_targetILNS1_3genE10ELNS1_11target_archE1201ELNS1_3gpuE5ELNS1_3repE0EEENS1_30default_config_static_selectorELNS0_4arch9wavefront6targetE1EEEvT1_
	.globl	_ZN7rocprim17ROCPRIM_400000_NS6detail17trampoline_kernelINS0_14default_configENS1_27scan_by_key_config_selectorIiiEEZZNS1_16scan_by_key_implILNS1_25lookback_scan_determinismE0ELb0ES3_N6thrust23THRUST_200600_302600_NS6detail15normal_iteratorINS9_10device_ptrIiEEEESE_SE_iNS9_4plusIvEENS9_8equal_toIiEEiEE10hipError_tPvRmT2_T3_T4_T5_mT6_T7_P12ihipStream_tbENKUlT_T0_E_clISt17integral_constantIbLb0EESZ_EEDaSU_SV_EUlSU_E_NS1_11comp_targetILNS1_3genE10ELNS1_11target_archE1201ELNS1_3gpuE5ELNS1_3repE0EEENS1_30default_config_static_selectorELNS0_4arch9wavefront6targetE1EEEvT1_
	.p2align	8
	.type	_ZN7rocprim17ROCPRIM_400000_NS6detail17trampoline_kernelINS0_14default_configENS1_27scan_by_key_config_selectorIiiEEZZNS1_16scan_by_key_implILNS1_25lookback_scan_determinismE0ELb0ES3_N6thrust23THRUST_200600_302600_NS6detail15normal_iteratorINS9_10device_ptrIiEEEESE_SE_iNS9_4plusIvEENS9_8equal_toIiEEiEE10hipError_tPvRmT2_T3_T4_T5_mT6_T7_P12ihipStream_tbENKUlT_T0_E_clISt17integral_constantIbLb0EESZ_EEDaSU_SV_EUlSU_E_NS1_11comp_targetILNS1_3genE10ELNS1_11target_archE1201ELNS1_3gpuE5ELNS1_3repE0EEENS1_30default_config_static_selectorELNS0_4arch9wavefront6targetE1EEEvT1_,@function
_ZN7rocprim17ROCPRIM_400000_NS6detail17trampoline_kernelINS0_14default_configENS1_27scan_by_key_config_selectorIiiEEZZNS1_16scan_by_key_implILNS1_25lookback_scan_determinismE0ELb0ES3_N6thrust23THRUST_200600_302600_NS6detail15normal_iteratorINS9_10device_ptrIiEEEESE_SE_iNS9_4plusIvEENS9_8equal_toIiEEiEE10hipError_tPvRmT2_T3_T4_T5_mT6_T7_P12ihipStream_tbENKUlT_T0_E_clISt17integral_constantIbLb0EESZ_EEDaSU_SV_EUlSU_E_NS1_11comp_targetILNS1_3genE10ELNS1_11target_archE1201ELNS1_3gpuE5ELNS1_3repE0EEENS1_30default_config_static_selectorELNS0_4arch9wavefront6targetE1EEEvT1_: ; @_ZN7rocprim17ROCPRIM_400000_NS6detail17trampoline_kernelINS0_14default_configENS1_27scan_by_key_config_selectorIiiEEZZNS1_16scan_by_key_implILNS1_25lookback_scan_determinismE0ELb0ES3_N6thrust23THRUST_200600_302600_NS6detail15normal_iteratorINS9_10device_ptrIiEEEESE_SE_iNS9_4plusIvEENS9_8equal_toIiEEiEE10hipError_tPvRmT2_T3_T4_T5_mT6_T7_P12ihipStream_tbENKUlT_T0_E_clISt17integral_constantIbLb0EESZ_EEDaSU_SV_EUlSU_E_NS1_11comp_targetILNS1_3genE10ELNS1_11target_archE1201ELNS1_3gpuE5ELNS1_3repE0EEENS1_30default_config_static_selectorELNS0_4arch9wavefront6targetE1EEEvT1_
; %bb.0:
	.section	.rodata,"a",@progbits
	.p2align	6, 0x0
	.amdhsa_kernel _ZN7rocprim17ROCPRIM_400000_NS6detail17trampoline_kernelINS0_14default_configENS1_27scan_by_key_config_selectorIiiEEZZNS1_16scan_by_key_implILNS1_25lookback_scan_determinismE0ELb0ES3_N6thrust23THRUST_200600_302600_NS6detail15normal_iteratorINS9_10device_ptrIiEEEESE_SE_iNS9_4plusIvEENS9_8equal_toIiEEiEE10hipError_tPvRmT2_T3_T4_T5_mT6_T7_P12ihipStream_tbENKUlT_T0_E_clISt17integral_constantIbLb0EESZ_EEDaSU_SV_EUlSU_E_NS1_11comp_targetILNS1_3genE10ELNS1_11target_archE1201ELNS1_3gpuE5ELNS1_3repE0EEENS1_30default_config_static_selectorELNS0_4arch9wavefront6targetE1EEEvT1_
		.amdhsa_group_segment_fixed_size 0
		.amdhsa_private_segment_fixed_size 0
		.amdhsa_kernarg_size 112
		.amdhsa_user_sgpr_count 6
		.amdhsa_user_sgpr_private_segment_buffer 1
		.amdhsa_user_sgpr_dispatch_ptr 0
		.amdhsa_user_sgpr_queue_ptr 0
		.amdhsa_user_sgpr_kernarg_segment_ptr 1
		.amdhsa_user_sgpr_dispatch_id 0
		.amdhsa_user_sgpr_flat_scratch_init 0
		.amdhsa_user_sgpr_kernarg_preload_length 0
		.amdhsa_user_sgpr_kernarg_preload_offset 0
		.amdhsa_user_sgpr_private_segment_size 0
		.amdhsa_uses_dynamic_stack 0
		.amdhsa_system_sgpr_private_segment_wavefront_offset 0
		.amdhsa_system_sgpr_workgroup_id_x 1
		.amdhsa_system_sgpr_workgroup_id_y 0
		.amdhsa_system_sgpr_workgroup_id_z 0
		.amdhsa_system_sgpr_workgroup_info 0
		.amdhsa_system_vgpr_workitem_id 0
		.amdhsa_next_free_vgpr 1
		.amdhsa_next_free_sgpr 0
		.amdhsa_accum_offset 4
		.amdhsa_reserve_vcc 0
		.amdhsa_reserve_flat_scratch 0
		.amdhsa_float_round_mode_32 0
		.amdhsa_float_round_mode_16_64 0
		.amdhsa_float_denorm_mode_32 3
		.amdhsa_float_denorm_mode_16_64 3
		.amdhsa_dx10_clamp 1
		.amdhsa_ieee_mode 1
		.amdhsa_fp16_overflow 0
		.amdhsa_tg_split 0
		.amdhsa_exception_fp_ieee_invalid_op 0
		.amdhsa_exception_fp_denorm_src 0
		.amdhsa_exception_fp_ieee_div_zero 0
		.amdhsa_exception_fp_ieee_overflow 0
		.amdhsa_exception_fp_ieee_underflow 0
		.amdhsa_exception_fp_ieee_inexact 0
		.amdhsa_exception_int_div_zero 0
	.end_amdhsa_kernel
	.section	.text._ZN7rocprim17ROCPRIM_400000_NS6detail17trampoline_kernelINS0_14default_configENS1_27scan_by_key_config_selectorIiiEEZZNS1_16scan_by_key_implILNS1_25lookback_scan_determinismE0ELb0ES3_N6thrust23THRUST_200600_302600_NS6detail15normal_iteratorINS9_10device_ptrIiEEEESE_SE_iNS9_4plusIvEENS9_8equal_toIiEEiEE10hipError_tPvRmT2_T3_T4_T5_mT6_T7_P12ihipStream_tbENKUlT_T0_E_clISt17integral_constantIbLb0EESZ_EEDaSU_SV_EUlSU_E_NS1_11comp_targetILNS1_3genE10ELNS1_11target_archE1201ELNS1_3gpuE5ELNS1_3repE0EEENS1_30default_config_static_selectorELNS0_4arch9wavefront6targetE1EEEvT1_,"axG",@progbits,_ZN7rocprim17ROCPRIM_400000_NS6detail17trampoline_kernelINS0_14default_configENS1_27scan_by_key_config_selectorIiiEEZZNS1_16scan_by_key_implILNS1_25lookback_scan_determinismE0ELb0ES3_N6thrust23THRUST_200600_302600_NS6detail15normal_iteratorINS9_10device_ptrIiEEEESE_SE_iNS9_4plusIvEENS9_8equal_toIiEEiEE10hipError_tPvRmT2_T3_T4_T5_mT6_T7_P12ihipStream_tbENKUlT_T0_E_clISt17integral_constantIbLb0EESZ_EEDaSU_SV_EUlSU_E_NS1_11comp_targetILNS1_3genE10ELNS1_11target_archE1201ELNS1_3gpuE5ELNS1_3repE0EEENS1_30default_config_static_selectorELNS0_4arch9wavefront6targetE1EEEvT1_,comdat
.Lfunc_end201:
	.size	_ZN7rocprim17ROCPRIM_400000_NS6detail17trampoline_kernelINS0_14default_configENS1_27scan_by_key_config_selectorIiiEEZZNS1_16scan_by_key_implILNS1_25lookback_scan_determinismE0ELb0ES3_N6thrust23THRUST_200600_302600_NS6detail15normal_iteratorINS9_10device_ptrIiEEEESE_SE_iNS9_4plusIvEENS9_8equal_toIiEEiEE10hipError_tPvRmT2_T3_T4_T5_mT6_T7_P12ihipStream_tbENKUlT_T0_E_clISt17integral_constantIbLb0EESZ_EEDaSU_SV_EUlSU_E_NS1_11comp_targetILNS1_3genE10ELNS1_11target_archE1201ELNS1_3gpuE5ELNS1_3repE0EEENS1_30default_config_static_selectorELNS0_4arch9wavefront6targetE1EEEvT1_, .Lfunc_end201-_ZN7rocprim17ROCPRIM_400000_NS6detail17trampoline_kernelINS0_14default_configENS1_27scan_by_key_config_selectorIiiEEZZNS1_16scan_by_key_implILNS1_25lookback_scan_determinismE0ELb0ES3_N6thrust23THRUST_200600_302600_NS6detail15normal_iteratorINS9_10device_ptrIiEEEESE_SE_iNS9_4plusIvEENS9_8equal_toIiEEiEE10hipError_tPvRmT2_T3_T4_T5_mT6_T7_P12ihipStream_tbENKUlT_T0_E_clISt17integral_constantIbLb0EESZ_EEDaSU_SV_EUlSU_E_NS1_11comp_targetILNS1_3genE10ELNS1_11target_archE1201ELNS1_3gpuE5ELNS1_3repE0EEENS1_30default_config_static_selectorELNS0_4arch9wavefront6targetE1EEEvT1_
                                        ; -- End function
	.section	.AMDGPU.csdata,"",@progbits
; Kernel info:
; codeLenInByte = 0
; NumSgprs: 4
; NumVgprs: 0
; NumAgprs: 0
; TotalNumVgprs: 0
; ScratchSize: 0
; MemoryBound: 0
; FloatMode: 240
; IeeeMode: 1
; LDSByteSize: 0 bytes/workgroup (compile time only)
; SGPRBlocks: 0
; VGPRBlocks: 0
; NumSGPRsForWavesPerEU: 4
; NumVGPRsForWavesPerEU: 1
; AccumOffset: 4
; Occupancy: 8
; WaveLimiterHint : 0
; COMPUTE_PGM_RSRC2:SCRATCH_EN: 0
; COMPUTE_PGM_RSRC2:USER_SGPR: 6
; COMPUTE_PGM_RSRC2:TRAP_HANDLER: 0
; COMPUTE_PGM_RSRC2:TGID_X_EN: 1
; COMPUTE_PGM_RSRC2:TGID_Y_EN: 0
; COMPUTE_PGM_RSRC2:TGID_Z_EN: 0
; COMPUTE_PGM_RSRC2:TIDIG_COMP_CNT: 0
; COMPUTE_PGM_RSRC3_GFX90A:ACCUM_OFFSET: 0
; COMPUTE_PGM_RSRC3_GFX90A:TG_SPLIT: 0
	.section	.text._ZN7rocprim17ROCPRIM_400000_NS6detail17trampoline_kernelINS0_14default_configENS1_27scan_by_key_config_selectorIiiEEZZNS1_16scan_by_key_implILNS1_25lookback_scan_determinismE0ELb0ES3_N6thrust23THRUST_200600_302600_NS6detail15normal_iteratorINS9_10device_ptrIiEEEESE_SE_iNS9_4plusIvEENS9_8equal_toIiEEiEE10hipError_tPvRmT2_T3_T4_T5_mT6_T7_P12ihipStream_tbENKUlT_T0_E_clISt17integral_constantIbLb0EESZ_EEDaSU_SV_EUlSU_E_NS1_11comp_targetILNS1_3genE5ELNS1_11target_archE942ELNS1_3gpuE9ELNS1_3repE0EEENS1_30default_config_static_selectorELNS0_4arch9wavefront6targetE1EEEvT1_,"axG",@progbits,_ZN7rocprim17ROCPRIM_400000_NS6detail17trampoline_kernelINS0_14default_configENS1_27scan_by_key_config_selectorIiiEEZZNS1_16scan_by_key_implILNS1_25lookback_scan_determinismE0ELb0ES3_N6thrust23THRUST_200600_302600_NS6detail15normal_iteratorINS9_10device_ptrIiEEEESE_SE_iNS9_4plusIvEENS9_8equal_toIiEEiEE10hipError_tPvRmT2_T3_T4_T5_mT6_T7_P12ihipStream_tbENKUlT_T0_E_clISt17integral_constantIbLb0EESZ_EEDaSU_SV_EUlSU_E_NS1_11comp_targetILNS1_3genE5ELNS1_11target_archE942ELNS1_3gpuE9ELNS1_3repE0EEENS1_30default_config_static_selectorELNS0_4arch9wavefront6targetE1EEEvT1_,comdat
	.protected	_ZN7rocprim17ROCPRIM_400000_NS6detail17trampoline_kernelINS0_14default_configENS1_27scan_by_key_config_selectorIiiEEZZNS1_16scan_by_key_implILNS1_25lookback_scan_determinismE0ELb0ES3_N6thrust23THRUST_200600_302600_NS6detail15normal_iteratorINS9_10device_ptrIiEEEESE_SE_iNS9_4plusIvEENS9_8equal_toIiEEiEE10hipError_tPvRmT2_T3_T4_T5_mT6_T7_P12ihipStream_tbENKUlT_T0_E_clISt17integral_constantIbLb0EESZ_EEDaSU_SV_EUlSU_E_NS1_11comp_targetILNS1_3genE5ELNS1_11target_archE942ELNS1_3gpuE9ELNS1_3repE0EEENS1_30default_config_static_selectorELNS0_4arch9wavefront6targetE1EEEvT1_ ; -- Begin function _ZN7rocprim17ROCPRIM_400000_NS6detail17trampoline_kernelINS0_14default_configENS1_27scan_by_key_config_selectorIiiEEZZNS1_16scan_by_key_implILNS1_25lookback_scan_determinismE0ELb0ES3_N6thrust23THRUST_200600_302600_NS6detail15normal_iteratorINS9_10device_ptrIiEEEESE_SE_iNS9_4plusIvEENS9_8equal_toIiEEiEE10hipError_tPvRmT2_T3_T4_T5_mT6_T7_P12ihipStream_tbENKUlT_T0_E_clISt17integral_constantIbLb0EESZ_EEDaSU_SV_EUlSU_E_NS1_11comp_targetILNS1_3genE5ELNS1_11target_archE942ELNS1_3gpuE9ELNS1_3repE0EEENS1_30default_config_static_selectorELNS0_4arch9wavefront6targetE1EEEvT1_
	.globl	_ZN7rocprim17ROCPRIM_400000_NS6detail17trampoline_kernelINS0_14default_configENS1_27scan_by_key_config_selectorIiiEEZZNS1_16scan_by_key_implILNS1_25lookback_scan_determinismE0ELb0ES3_N6thrust23THRUST_200600_302600_NS6detail15normal_iteratorINS9_10device_ptrIiEEEESE_SE_iNS9_4plusIvEENS9_8equal_toIiEEiEE10hipError_tPvRmT2_T3_T4_T5_mT6_T7_P12ihipStream_tbENKUlT_T0_E_clISt17integral_constantIbLb0EESZ_EEDaSU_SV_EUlSU_E_NS1_11comp_targetILNS1_3genE5ELNS1_11target_archE942ELNS1_3gpuE9ELNS1_3repE0EEENS1_30default_config_static_selectorELNS0_4arch9wavefront6targetE1EEEvT1_
	.p2align	8
	.type	_ZN7rocprim17ROCPRIM_400000_NS6detail17trampoline_kernelINS0_14default_configENS1_27scan_by_key_config_selectorIiiEEZZNS1_16scan_by_key_implILNS1_25lookback_scan_determinismE0ELb0ES3_N6thrust23THRUST_200600_302600_NS6detail15normal_iteratorINS9_10device_ptrIiEEEESE_SE_iNS9_4plusIvEENS9_8equal_toIiEEiEE10hipError_tPvRmT2_T3_T4_T5_mT6_T7_P12ihipStream_tbENKUlT_T0_E_clISt17integral_constantIbLb0EESZ_EEDaSU_SV_EUlSU_E_NS1_11comp_targetILNS1_3genE5ELNS1_11target_archE942ELNS1_3gpuE9ELNS1_3repE0EEENS1_30default_config_static_selectorELNS0_4arch9wavefront6targetE1EEEvT1_,@function
_ZN7rocprim17ROCPRIM_400000_NS6detail17trampoline_kernelINS0_14default_configENS1_27scan_by_key_config_selectorIiiEEZZNS1_16scan_by_key_implILNS1_25lookback_scan_determinismE0ELb0ES3_N6thrust23THRUST_200600_302600_NS6detail15normal_iteratorINS9_10device_ptrIiEEEESE_SE_iNS9_4plusIvEENS9_8equal_toIiEEiEE10hipError_tPvRmT2_T3_T4_T5_mT6_T7_P12ihipStream_tbENKUlT_T0_E_clISt17integral_constantIbLb0EESZ_EEDaSU_SV_EUlSU_E_NS1_11comp_targetILNS1_3genE5ELNS1_11target_archE942ELNS1_3gpuE9ELNS1_3repE0EEENS1_30default_config_static_selectorELNS0_4arch9wavefront6targetE1EEEvT1_: ; @_ZN7rocprim17ROCPRIM_400000_NS6detail17trampoline_kernelINS0_14default_configENS1_27scan_by_key_config_selectorIiiEEZZNS1_16scan_by_key_implILNS1_25lookback_scan_determinismE0ELb0ES3_N6thrust23THRUST_200600_302600_NS6detail15normal_iteratorINS9_10device_ptrIiEEEESE_SE_iNS9_4plusIvEENS9_8equal_toIiEEiEE10hipError_tPvRmT2_T3_T4_T5_mT6_T7_P12ihipStream_tbENKUlT_T0_E_clISt17integral_constantIbLb0EESZ_EEDaSU_SV_EUlSU_E_NS1_11comp_targetILNS1_3genE5ELNS1_11target_archE942ELNS1_3gpuE9ELNS1_3repE0EEENS1_30default_config_static_selectorELNS0_4arch9wavefront6targetE1EEEvT1_
; %bb.0:
	.section	.rodata,"a",@progbits
	.p2align	6, 0x0
	.amdhsa_kernel _ZN7rocprim17ROCPRIM_400000_NS6detail17trampoline_kernelINS0_14default_configENS1_27scan_by_key_config_selectorIiiEEZZNS1_16scan_by_key_implILNS1_25lookback_scan_determinismE0ELb0ES3_N6thrust23THRUST_200600_302600_NS6detail15normal_iteratorINS9_10device_ptrIiEEEESE_SE_iNS9_4plusIvEENS9_8equal_toIiEEiEE10hipError_tPvRmT2_T3_T4_T5_mT6_T7_P12ihipStream_tbENKUlT_T0_E_clISt17integral_constantIbLb0EESZ_EEDaSU_SV_EUlSU_E_NS1_11comp_targetILNS1_3genE5ELNS1_11target_archE942ELNS1_3gpuE9ELNS1_3repE0EEENS1_30default_config_static_selectorELNS0_4arch9wavefront6targetE1EEEvT1_
		.amdhsa_group_segment_fixed_size 0
		.amdhsa_private_segment_fixed_size 0
		.amdhsa_kernarg_size 112
		.amdhsa_user_sgpr_count 6
		.amdhsa_user_sgpr_private_segment_buffer 1
		.amdhsa_user_sgpr_dispatch_ptr 0
		.amdhsa_user_sgpr_queue_ptr 0
		.amdhsa_user_sgpr_kernarg_segment_ptr 1
		.amdhsa_user_sgpr_dispatch_id 0
		.amdhsa_user_sgpr_flat_scratch_init 0
		.amdhsa_user_sgpr_kernarg_preload_length 0
		.amdhsa_user_sgpr_kernarg_preload_offset 0
		.amdhsa_user_sgpr_private_segment_size 0
		.amdhsa_uses_dynamic_stack 0
		.amdhsa_system_sgpr_private_segment_wavefront_offset 0
		.amdhsa_system_sgpr_workgroup_id_x 1
		.amdhsa_system_sgpr_workgroup_id_y 0
		.amdhsa_system_sgpr_workgroup_id_z 0
		.amdhsa_system_sgpr_workgroup_info 0
		.amdhsa_system_vgpr_workitem_id 0
		.amdhsa_next_free_vgpr 1
		.amdhsa_next_free_sgpr 0
		.amdhsa_accum_offset 4
		.amdhsa_reserve_vcc 0
		.amdhsa_reserve_flat_scratch 0
		.amdhsa_float_round_mode_32 0
		.amdhsa_float_round_mode_16_64 0
		.amdhsa_float_denorm_mode_32 3
		.amdhsa_float_denorm_mode_16_64 3
		.amdhsa_dx10_clamp 1
		.amdhsa_ieee_mode 1
		.amdhsa_fp16_overflow 0
		.amdhsa_tg_split 0
		.amdhsa_exception_fp_ieee_invalid_op 0
		.amdhsa_exception_fp_denorm_src 0
		.amdhsa_exception_fp_ieee_div_zero 0
		.amdhsa_exception_fp_ieee_overflow 0
		.amdhsa_exception_fp_ieee_underflow 0
		.amdhsa_exception_fp_ieee_inexact 0
		.amdhsa_exception_int_div_zero 0
	.end_amdhsa_kernel
	.section	.text._ZN7rocprim17ROCPRIM_400000_NS6detail17trampoline_kernelINS0_14default_configENS1_27scan_by_key_config_selectorIiiEEZZNS1_16scan_by_key_implILNS1_25lookback_scan_determinismE0ELb0ES3_N6thrust23THRUST_200600_302600_NS6detail15normal_iteratorINS9_10device_ptrIiEEEESE_SE_iNS9_4plusIvEENS9_8equal_toIiEEiEE10hipError_tPvRmT2_T3_T4_T5_mT6_T7_P12ihipStream_tbENKUlT_T0_E_clISt17integral_constantIbLb0EESZ_EEDaSU_SV_EUlSU_E_NS1_11comp_targetILNS1_3genE5ELNS1_11target_archE942ELNS1_3gpuE9ELNS1_3repE0EEENS1_30default_config_static_selectorELNS0_4arch9wavefront6targetE1EEEvT1_,"axG",@progbits,_ZN7rocprim17ROCPRIM_400000_NS6detail17trampoline_kernelINS0_14default_configENS1_27scan_by_key_config_selectorIiiEEZZNS1_16scan_by_key_implILNS1_25lookback_scan_determinismE0ELb0ES3_N6thrust23THRUST_200600_302600_NS6detail15normal_iteratorINS9_10device_ptrIiEEEESE_SE_iNS9_4plusIvEENS9_8equal_toIiEEiEE10hipError_tPvRmT2_T3_T4_T5_mT6_T7_P12ihipStream_tbENKUlT_T0_E_clISt17integral_constantIbLb0EESZ_EEDaSU_SV_EUlSU_E_NS1_11comp_targetILNS1_3genE5ELNS1_11target_archE942ELNS1_3gpuE9ELNS1_3repE0EEENS1_30default_config_static_selectorELNS0_4arch9wavefront6targetE1EEEvT1_,comdat
.Lfunc_end202:
	.size	_ZN7rocprim17ROCPRIM_400000_NS6detail17trampoline_kernelINS0_14default_configENS1_27scan_by_key_config_selectorIiiEEZZNS1_16scan_by_key_implILNS1_25lookback_scan_determinismE0ELb0ES3_N6thrust23THRUST_200600_302600_NS6detail15normal_iteratorINS9_10device_ptrIiEEEESE_SE_iNS9_4plusIvEENS9_8equal_toIiEEiEE10hipError_tPvRmT2_T3_T4_T5_mT6_T7_P12ihipStream_tbENKUlT_T0_E_clISt17integral_constantIbLb0EESZ_EEDaSU_SV_EUlSU_E_NS1_11comp_targetILNS1_3genE5ELNS1_11target_archE942ELNS1_3gpuE9ELNS1_3repE0EEENS1_30default_config_static_selectorELNS0_4arch9wavefront6targetE1EEEvT1_, .Lfunc_end202-_ZN7rocprim17ROCPRIM_400000_NS6detail17trampoline_kernelINS0_14default_configENS1_27scan_by_key_config_selectorIiiEEZZNS1_16scan_by_key_implILNS1_25lookback_scan_determinismE0ELb0ES3_N6thrust23THRUST_200600_302600_NS6detail15normal_iteratorINS9_10device_ptrIiEEEESE_SE_iNS9_4plusIvEENS9_8equal_toIiEEiEE10hipError_tPvRmT2_T3_T4_T5_mT6_T7_P12ihipStream_tbENKUlT_T0_E_clISt17integral_constantIbLb0EESZ_EEDaSU_SV_EUlSU_E_NS1_11comp_targetILNS1_3genE5ELNS1_11target_archE942ELNS1_3gpuE9ELNS1_3repE0EEENS1_30default_config_static_selectorELNS0_4arch9wavefront6targetE1EEEvT1_
                                        ; -- End function
	.section	.AMDGPU.csdata,"",@progbits
; Kernel info:
; codeLenInByte = 0
; NumSgprs: 4
; NumVgprs: 0
; NumAgprs: 0
; TotalNumVgprs: 0
; ScratchSize: 0
; MemoryBound: 0
; FloatMode: 240
; IeeeMode: 1
; LDSByteSize: 0 bytes/workgroup (compile time only)
; SGPRBlocks: 0
; VGPRBlocks: 0
; NumSGPRsForWavesPerEU: 4
; NumVGPRsForWavesPerEU: 1
; AccumOffset: 4
; Occupancy: 8
; WaveLimiterHint : 0
; COMPUTE_PGM_RSRC2:SCRATCH_EN: 0
; COMPUTE_PGM_RSRC2:USER_SGPR: 6
; COMPUTE_PGM_RSRC2:TRAP_HANDLER: 0
; COMPUTE_PGM_RSRC2:TGID_X_EN: 1
; COMPUTE_PGM_RSRC2:TGID_Y_EN: 0
; COMPUTE_PGM_RSRC2:TGID_Z_EN: 0
; COMPUTE_PGM_RSRC2:TIDIG_COMP_CNT: 0
; COMPUTE_PGM_RSRC3_GFX90A:ACCUM_OFFSET: 0
; COMPUTE_PGM_RSRC3_GFX90A:TG_SPLIT: 0
	.section	.text._ZN7rocprim17ROCPRIM_400000_NS6detail17trampoline_kernelINS0_14default_configENS1_27scan_by_key_config_selectorIiiEEZZNS1_16scan_by_key_implILNS1_25lookback_scan_determinismE0ELb0ES3_N6thrust23THRUST_200600_302600_NS6detail15normal_iteratorINS9_10device_ptrIiEEEESE_SE_iNS9_4plusIvEENS9_8equal_toIiEEiEE10hipError_tPvRmT2_T3_T4_T5_mT6_T7_P12ihipStream_tbENKUlT_T0_E_clISt17integral_constantIbLb0EESZ_EEDaSU_SV_EUlSU_E_NS1_11comp_targetILNS1_3genE4ELNS1_11target_archE910ELNS1_3gpuE8ELNS1_3repE0EEENS1_30default_config_static_selectorELNS0_4arch9wavefront6targetE1EEEvT1_,"axG",@progbits,_ZN7rocprim17ROCPRIM_400000_NS6detail17trampoline_kernelINS0_14default_configENS1_27scan_by_key_config_selectorIiiEEZZNS1_16scan_by_key_implILNS1_25lookback_scan_determinismE0ELb0ES3_N6thrust23THRUST_200600_302600_NS6detail15normal_iteratorINS9_10device_ptrIiEEEESE_SE_iNS9_4plusIvEENS9_8equal_toIiEEiEE10hipError_tPvRmT2_T3_T4_T5_mT6_T7_P12ihipStream_tbENKUlT_T0_E_clISt17integral_constantIbLb0EESZ_EEDaSU_SV_EUlSU_E_NS1_11comp_targetILNS1_3genE4ELNS1_11target_archE910ELNS1_3gpuE8ELNS1_3repE0EEENS1_30default_config_static_selectorELNS0_4arch9wavefront6targetE1EEEvT1_,comdat
	.protected	_ZN7rocprim17ROCPRIM_400000_NS6detail17trampoline_kernelINS0_14default_configENS1_27scan_by_key_config_selectorIiiEEZZNS1_16scan_by_key_implILNS1_25lookback_scan_determinismE0ELb0ES3_N6thrust23THRUST_200600_302600_NS6detail15normal_iteratorINS9_10device_ptrIiEEEESE_SE_iNS9_4plusIvEENS9_8equal_toIiEEiEE10hipError_tPvRmT2_T3_T4_T5_mT6_T7_P12ihipStream_tbENKUlT_T0_E_clISt17integral_constantIbLb0EESZ_EEDaSU_SV_EUlSU_E_NS1_11comp_targetILNS1_3genE4ELNS1_11target_archE910ELNS1_3gpuE8ELNS1_3repE0EEENS1_30default_config_static_selectorELNS0_4arch9wavefront6targetE1EEEvT1_ ; -- Begin function _ZN7rocprim17ROCPRIM_400000_NS6detail17trampoline_kernelINS0_14default_configENS1_27scan_by_key_config_selectorIiiEEZZNS1_16scan_by_key_implILNS1_25lookback_scan_determinismE0ELb0ES3_N6thrust23THRUST_200600_302600_NS6detail15normal_iteratorINS9_10device_ptrIiEEEESE_SE_iNS9_4plusIvEENS9_8equal_toIiEEiEE10hipError_tPvRmT2_T3_T4_T5_mT6_T7_P12ihipStream_tbENKUlT_T0_E_clISt17integral_constantIbLb0EESZ_EEDaSU_SV_EUlSU_E_NS1_11comp_targetILNS1_3genE4ELNS1_11target_archE910ELNS1_3gpuE8ELNS1_3repE0EEENS1_30default_config_static_selectorELNS0_4arch9wavefront6targetE1EEEvT1_
	.globl	_ZN7rocprim17ROCPRIM_400000_NS6detail17trampoline_kernelINS0_14default_configENS1_27scan_by_key_config_selectorIiiEEZZNS1_16scan_by_key_implILNS1_25lookback_scan_determinismE0ELb0ES3_N6thrust23THRUST_200600_302600_NS6detail15normal_iteratorINS9_10device_ptrIiEEEESE_SE_iNS9_4plusIvEENS9_8equal_toIiEEiEE10hipError_tPvRmT2_T3_T4_T5_mT6_T7_P12ihipStream_tbENKUlT_T0_E_clISt17integral_constantIbLb0EESZ_EEDaSU_SV_EUlSU_E_NS1_11comp_targetILNS1_3genE4ELNS1_11target_archE910ELNS1_3gpuE8ELNS1_3repE0EEENS1_30default_config_static_selectorELNS0_4arch9wavefront6targetE1EEEvT1_
	.p2align	8
	.type	_ZN7rocprim17ROCPRIM_400000_NS6detail17trampoline_kernelINS0_14default_configENS1_27scan_by_key_config_selectorIiiEEZZNS1_16scan_by_key_implILNS1_25lookback_scan_determinismE0ELb0ES3_N6thrust23THRUST_200600_302600_NS6detail15normal_iteratorINS9_10device_ptrIiEEEESE_SE_iNS9_4plusIvEENS9_8equal_toIiEEiEE10hipError_tPvRmT2_T3_T4_T5_mT6_T7_P12ihipStream_tbENKUlT_T0_E_clISt17integral_constantIbLb0EESZ_EEDaSU_SV_EUlSU_E_NS1_11comp_targetILNS1_3genE4ELNS1_11target_archE910ELNS1_3gpuE8ELNS1_3repE0EEENS1_30default_config_static_selectorELNS0_4arch9wavefront6targetE1EEEvT1_,@function
_ZN7rocprim17ROCPRIM_400000_NS6detail17trampoline_kernelINS0_14default_configENS1_27scan_by_key_config_selectorIiiEEZZNS1_16scan_by_key_implILNS1_25lookback_scan_determinismE0ELb0ES3_N6thrust23THRUST_200600_302600_NS6detail15normal_iteratorINS9_10device_ptrIiEEEESE_SE_iNS9_4plusIvEENS9_8equal_toIiEEiEE10hipError_tPvRmT2_T3_T4_T5_mT6_T7_P12ihipStream_tbENKUlT_T0_E_clISt17integral_constantIbLb0EESZ_EEDaSU_SV_EUlSU_E_NS1_11comp_targetILNS1_3genE4ELNS1_11target_archE910ELNS1_3gpuE8ELNS1_3repE0EEENS1_30default_config_static_selectorELNS0_4arch9wavefront6targetE1EEEvT1_: ; @_ZN7rocprim17ROCPRIM_400000_NS6detail17trampoline_kernelINS0_14default_configENS1_27scan_by_key_config_selectorIiiEEZZNS1_16scan_by_key_implILNS1_25lookback_scan_determinismE0ELb0ES3_N6thrust23THRUST_200600_302600_NS6detail15normal_iteratorINS9_10device_ptrIiEEEESE_SE_iNS9_4plusIvEENS9_8equal_toIiEEiEE10hipError_tPvRmT2_T3_T4_T5_mT6_T7_P12ihipStream_tbENKUlT_T0_E_clISt17integral_constantIbLb0EESZ_EEDaSU_SV_EUlSU_E_NS1_11comp_targetILNS1_3genE4ELNS1_11target_archE910ELNS1_3gpuE8ELNS1_3repE0EEENS1_30default_config_static_selectorELNS0_4arch9wavefront6targetE1EEEvT1_
; %bb.0:
	s_load_dwordx8 s[36:43], s[4:5], 0x0
	s_load_dwordx4 s[52:55], s[4:5], 0x28
	s_load_dwordx2 s[56:57], s[4:5], 0x38
	s_load_dword s0, s[4:5], 0x40
	s_load_dwordx8 s[44:51], s[4:5], 0x48
	s_waitcnt lgkmcnt(0)
	s_lshl_b64 s[38:39], s[38:39], 2
	s_add_u32 s2, s36, s38
	s_addc_u32 s3, s37, s39
	s_add_u32 s4, s40, s38
	s_mul_i32 s1, s57, s0
	s_mul_hi_u32 s7, s56, s0
	s_addc_u32 s5, s41, s39
	s_add_i32 s8, s7, s1
	s_mul_i32 s9, s56, s0
	s_cmp_lg_u64 s[48:49], 0
	s_mul_i32 s0, s6, 0xe00
	s_mov_b32 s1, 0
	s_cselect_b64 s[40:41], -1, 0
	s_lshl_b64 s[36:37], s[0:1], 2
	s_add_u32 s34, s2, s36
	s_addc_u32 s35, s3, s37
	s_add_u32 s7, s4, s36
	s_addc_u32 s55, s5, s37
	;; [unrolled: 2-line block ×3, first 2 shown]
	s_add_u32 s2, s44, -1
	s_addc_u32 s3, s45, -1
	v_pk_mov_b32 v[2:3], s[2:3], s[2:3] op_sel:[0,1]
	v_cmp_ge_u64_e64 s[0:1], s[48:49], v[2:3]
	s_mov_b64 s[18:19], 0
	s_mov_b64 s[4:5], -1
	s_and_b64 vcc, exec, s[0:1]
	s_mul_i32 s33, s2, 0xfffff200
	s_barrier
	s_cbranch_vccz .LBB203_77
; %bb.1:
	v_pk_mov_b32 v[2:3], s[34:35], s[34:35] op_sel:[0,1]
	flat_load_dword v1, v[2:3]
	s_add_i32 s60, s33, s54
	v_cmp_gt_u32_e64 s[2:3], s60, v0
	s_waitcnt vmcnt(0) lgkmcnt(0)
	v_mov_b32_e32 v13, v1
	s_and_saveexec_b64 s[4:5], s[2:3]
	s_cbranch_execz .LBB203_3
; %bb.2:
	v_lshlrev_b32_e32 v2, 2, v0
	v_mov_b32_e32 v3, s35
	v_add_co_u32_e32 v2, vcc, s34, v2
	v_addc_co_u32_e32 v3, vcc, 0, v3, vcc
	flat_load_dword v13, v[2:3]
.LBB203_3:
	s_or_b64 exec, exec, s[4:5]
	v_or_b32_e32 v2, 0x100, v0
	v_cmp_gt_u32_e64 s[4:5], s60, v2
	v_mov_b32_e32 v14, v1
	s_and_saveexec_b64 s[8:9], s[4:5]
	s_cbranch_execz .LBB203_5
; %bb.4:
	v_lshlrev_b32_e32 v2, 2, v0
	v_mov_b32_e32 v3, s35
	v_add_co_u32_e32 v2, vcc, s34, v2
	v_addc_co_u32_e32 v3, vcc, 0, v3, vcc
	flat_load_dword v14, v[2:3] offset:1024
.LBB203_5:
	s_or_b64 exec, exec, s[8:9]
	v_or_b32_e32 v2, 0x200, v0
	v_cmp_gt_u32_e64 s[30:31], s60, v2
	v_mov_b32_e32 v15, v1
	s_and_saveexec_b64 s[8:9], s[30:31]
	s_cbranch_execz .LBB203_7
; %bb.6:
	v_lshlrev_b32_e32 v2, 2, v0
	v_mov_b32_e32 v3, s35
	v_add_co_u32_e32 v2, vcc, s34, v2
	v_addc_co_u32_e32 v3, vcc, 0, v3, vcc
	flat_load_dword v15, v[2:3] offset:2048
.LBB203_7:
	;; [unrolled: 13-line block ×3, first 2 shown]
	s_or_b64 exec, exec, s[10:11]
	v_or_b32_e32 v2, 0x400, v0
	v_cmp_gt_u32_e64 s[10:11], s60, v2
	v_lshlrev_b32_e32 v2, 2, v2
	v_mov_b32_e32 v17, v1
	s_and_saveexec_b64 s[12:13], s[10:11]
	s_cbranch_execz .LBB203_11
; %bb.10:
	v_mov_b32_e32 v3, s35
	v_add_co_u32_e32 v4, vcc, s34, v2
	v_addc_co_u32_e32 v5, vcc, 0, v3, vcc
	flat_load_dword v17, v[4:5]
.LBB203_11:
	s_or_b64 exec, exec, s[12:13]
	v_or_b32_e32 v3, 0x500, v0
	v_cmp_gt_u32_e64 s[12:13], s60, v3
	v_lshlrev_b32_e32 v3, 2, v3
	v_mov_b32_e32 v18, v1
	s_and_saveexec_b64 s[14:15], s[12:13]
	s_cbranch_execz .LBB203_13
; %bb.12:
	v_mov_b32_e32 v5, s35
	v_add_co_u32_e32 v4, vcc, s34, v3
	v_addc_co_u32_e32 v5, vcc, 0, v5, vcc
	flat_load_dword v18, v[4:5]
.LBB203_13:
	;; [unrolled: 13-line block ×9, first 2 shown]
	s_or_b64 exec, exec, s[28:29]
	v_or_b32_e32 v11, 0xd00, v0
	v_cmp_gt_u32_e64 s[28:29], s60, v11
	v_lshlrev_b32_e32 v11, 2, v11
	s_and_saveexec_b64 s[44:45], s[28:29]
	s_cbranch_execz .LBB203_29
; %bb.28:
	v_mov_b32_e32 v1, s35
	v_add_co_u32_e32 v26, vcc, s34, v11
	v_addc_co_u32_e32 v27, vcc, 0, v1, vcc
	flat_load_dword v1, v[26:27]
.LBB203_29:
	s_or_b64 exec, exec, s[44:45]
	v_lshlrev_b32_e32 v12, 2, v0
	s_waitcnt vmcnt(0) lgkmcnt(0)
	ds_write2st64_b32 v12, v13, v14 offset1:4
	ds_write2st64_b32 v12, v15, v16 offset0:8 offset1:12
	ds_write2st64_b32 v12, v17, v18 offset0:16 offset1:20
	;; [unrolled: 1-line block ×6, first 2 shown]
	v_mad_u32_u24 v1, v0, 52, v12
	s_waitcnt lgkmcnt(0)
	s_barrier
	ds_read2_b64 v[34:37], v1 offset1:1
	ds_read2_b64 v[30:33], v1 offset0:2 offset1:3
	ds_read2_b64 v[26:29], v1 offset0:4 offset1:5
	ds_read_b64 v[40:41], v1 offset:48
	s_cmp_eq_u64 s[48:49], 0
	s_mov_b64 s[44:45], s[34:35]
	s_cbranch_scc1 .LBB203_33
; %bb.30:
	s_andn2_b64 vcc, exec, s[40:41]
	s_cbranch_vccnz .LBB203_179
; %bb.31:
	s_lshl_b64 s[44:45], s[48:49], 2
	s_add_u32 s44, s50, s44
	s_addc_u32 s45, s51, s45
	s_add_u32 s44, s44, -4
	s_addc_u32 s45, s45, -1
	s_cbranch_execnz .LBB203_33
.LBB203_32:
	s_add_u32 s44, s34, -4
	s_addc_u32 s45, s35, -1
.LBB203_33:
	v_pk_mov_b32 v[14:15], s[44:45], s[44:45] op_sel:[0,1]
	flat_load_dword v44, v[14:15]
	s_movk_i32 s44, 0xffcc
	v_mad_i32_i24 v13, v0, s44, v1
	v_cmp_ne_u32_e32 vcc, 0, v0
	s_waitcnt lgkmcnt(0)
	ds_write_b32 v13, v41 offset:14336
	s_waitcnt lgkmcnt(0)
	s_barrier
	s_and_saveexec_b64 s[44:45], vcc
	s_cbranch_execz .LBB203_35
; %bb.34:
	v_mul_i32_i24_e32 v13, 0xffffffcc, v0
	v_add_u32_e32 v13, v1, v13
	s_waitcnt vmcnt(0)
	ds_read_b32 v44, v13 offset:14332
.LBB203_35:
	s_or_b64 exec, exec, s[44:45]
	s_waitcnt lgkmcnt(0)
	s_barrier
	s_waitcnt lgkmcnt(0)
                                        ; implicit-def: $vgpr13
	s_and_saveexec_b64 s[44:45], s[2:3]
	s_cbranch_execnz .LBB203_166
; %bb.36:
	s_or_b64 exec, exec, s[44:45]
                                        ; implicit-def: $vgpr14
	s_and_saveexec_b64 s[2:3], s[4:5]
	s_cbranch_execnz .LBB203_167
.LBB203_37:
	s_or_b64 exec, exec, s[2:3]
                                        ; implicit-def: $vgpr15
	s_and_saveexec_b64 s[2:3], s[30:31]
	s_cbranch_execnz .LBB203_168
.LBB203_38:
	s_or_b64 exec, exec, s[2:3]
                                        ; implicit-def: $vgpr16
	s_and_saveexec_b64 s[2:3], s[8:9]
	s_cbranch_execnz .LBB203_169
.LBB203_39:
	s_or_b64 exec, exec, s[2:3]
                                        ; implicit-def: $vgpr17
	s_and_saveexec_b64 s[2:3], s[10:11]
	s_cbranch_execnz .LBB203_170
.LBB203_40:
	s_or_b64 exec, exec, s[2:3]
                                        ; implicit-def: $vgpr2
	s_and_saveexec_b64 s[2:3], s[12:13]
	s_cbranch_execnz .LBB203_171
.LBB203_41:
	s_or_b64 exec, exec, s[2:3]
                                        ; implicit-def: $vgpr3
	s_and_saveexec_b64 s[2:3], s[14:15]
	s_cbranch_execnz .LBB203_172
.LBB203_42:
	s_or_b64 exec, exec, s[2:3]
                                        ; implicit-def: $vgpr4
	s_and_saveexec_b64 s[2:3], s[16:17]
	s_cbranch_execnz .LBB203_173
.LBB203_43:
	s_or_b64 exec, exec, s[2:3]
                                        ; implicit-def: $vgpr5
	s_and_saveexec_b64 s[2:3], s[18:19]
	s_cbranch_execnz .LBB203_174
.LBB203_44:
	s_or_b64 exec, exec, s[2:3]
                                        ; implicit-def: $vgpr6
	s_and_saveexec_b64 s[2:3], s[20:21]
	s_cbranch_execnz .LBB203_175
.LBB203_45:
	s_or_b64 exec, exec, s[2:3]
                                        ; implicit-def: $vgpr7
	s_and_saveexec_b64 s[2:3], s[22:23]
	s_cbranch_execnz .LBB203_176
.LBB203_46:
	s_or_b64 exec, exec, s[2:3]
                                        ; implicit-def: $vgpr8
	s_and_saveexec_b64 s[2:3], s[24:25]
	s_cbranch_execnz .LBB203_177
.LBB203_47:
	s_or_b64 exec, exec, s[2:3]
                                        ; implicit-def: $vgpr9
	s_and_saveexec_b64 s[2:3], s[26:27]
	s_cbranch_execnz .LBB203_178
.LBB203_48:
	s_or_b64 exec, exec, s[2:3]
                                        ; implicit-def: $vgpr10
	s_and_saveexec_b64 s[2:3], s[28:29]
	s_cbranch_execz .LBB203_50
.LBB203_49:
	v_mov_b32_e32 v18, s55
	v_add_co_u32_e32 v10, vcc, s7, v11
	v_addc_co_u32_e32 v11, vcc, 0, v18, vcc
	flat_load_dword v10, v[10:11]
.LBB203_50:
	s_or_b64 exec, exec, s[2:3]
	s_mov_b32 s8, 0
	s_mov_b32 s9, s8
	s_waitcnt vmcnt(0) lgkmcnt(0)
	ds_write2st64_b32 v12, v13, v14 offset1:4
	ds_write2st64_b32 v12, v15, v16 offset0:8 offset1:12
	ds_write2st64_b32 v12, v17, v2 offset0:16 offset1:20
	;; [unrolled: 1-line block ×6, first 2 shown]
	s_mov_b32 s10, s8
	s_mov_b32 s11, s8
	;; [unrolled: 1-line block ×6, first 2 shown]
	v_pk_mov_b32 v[2:3], s[8:9], s[8:9] op_sel:[0,1]
	v_pk_mov_b32 v[8:9], s[14:15], s[14:15] op_sel:[0,1]
	v_mul_u32_u24_e32 v42, 14, v0
	v_pk_mov_b32 v[4:5], s[10:11], s[10:11] op_sel:[0,1]
	v_pk_mov_b32 v[6:7], s[12:13], s[12:13] op_sel:[0,1]
	;; [unrolled: 1-line block ×4, first 2 shown]
	v_cmp_gt_u32_e32 vcc, s60, v42
	s_mov_b64 s[4:5], 0
	v_pk_mov_b32 v[38:39], 0, 0
	s_mov_b64 s[18:19], 0
	v_pk_mov_b32 v[14:15], v[6:7], v[6:7] op_sel:[0,1]
	v_pk_mov_b32 v[12:13], v[4:5], v[4:5] op_sel:[0,1]
	;; [unrolled: 1-line block ×6, first 2 shown]
	s_waitcnt lgkmcnt(0)
	s_barrier
	s_waitcnt lgkmcnt(0)
                                        ; implicit-def: $sgpr2_sgpr3
                                        ; implicit-def: $vgpr43
	s_and_saveexec_b64 s[16:17], vcc
	s_cbranch_execz .LBB203_76
; %bb.51:
	v_or_b32_e32 v2, 1, v42
	ds_read_b32 v38, v1
	v_cmp_ne_u32_e32 vcc, v44, v34
	v_cndmask_b32_e64 v39, 0, 1, vcc
	v_cmp_gt_u32_e32 vcc, s60, v2
	v_pk_mov_b32 v[2:3], s[8:9], s[8:9] op_sel:[0,1]
	v_pk_mov_b32 v[8:9], s[14:15], s[14:15] op_sel:[0,1]
	;; [unrolled: 1-line block ×6, first 2 shown]
	s_mov_b64 s[20:21], 0
	v_pk_mov_b32 v[14:15], v[6:7], v[6:7] op_sel:[0,1]
	v_pk_mov_b32 v[12:13], v[4:5], v[4:5] op_sel:[0,1]
	;; [unrolled: 1-line block ×6, first 2 shown]
                                        ; implicit-def: $sgpr8_sgpr9
                                        ; implicit-def: $vgpr43
	s_and_saveexec_b64 s[18:19], vcc
	s_cbranch_execz .LBB203_75
; %bb.52:
	ds_read2_b32 v[44:45], v1 offset0:1 offset1:2
	s_mov_b32 s8, 0
	s_mov_b32 s14, s8
	;; [unrolled: 1-line block ×8, first 2 shown]
	v_pk_mov_b32 v[16:17], s[14:15], s[14:15] op_sel:[0,1]
	v_add_u32_e32 v2, 2, v42
	v_cmp_ne_u32_e32 vcc, v34, v35
	v_mov_b32_e32 v6, 0
	v_pk_mov_b32 v[14:15], s[12:13], s[12:13] op_sel:[0,1]
	v_pk_mov_b32 v[12:13], s[10:11], s[10:11] op_sel:[0,1]
	;; [unrolled: 1-line block ×4, first 2 shown]
	v_cndmask_b32_e64 v3, 0, 1, vcc
	v_cmp_gt_u32_e32 vcc, s60, v2
	s_waitcnt lgkmcnt(0)
	v_mov_b32_e32 v2, v44
	v_mov_b32_e32 v4, v6
	;; [unrolled: 1-line block ×6, first 2 shown]
	s_mov_b64 s[2:3], 0
	v_pk_mov_b32 v[22:23], v[14:15], v[14:15] op_sel:[0,1]
	v_pk_mov_b32 v[20:21], v[12:13], v[12:13] op_sel:[0,1]
	;; [unrolled: 1-line block ×3, first 2 shown]
                                        ; implicit-def: $sgpr22_sgpr23
                                        ; implicit-def: $vgpr43
	s_and_saveexec_b64 s[20:21], vcc
	s_cbranch_execz .LBB203_74
; %bb.53:
	v_pk_mov_b32 v[16:17], s[14:15], s[14:15] op_sel:[0,1]
	v_add_u32_e32 v2, 3, v42
	v_cmp_ne_u32_e32 vcc, v35, v36
	v_pk_mov_b32 v[14:15], s[12:13], s[12:13] op_sel:[0,1]
	v_pk_mov_b32 v[12:13], s[10:11], s[10:11] op_sel:[0,1]
	;; [unrolled: 1-line block ×4, first 2 shown]
	v_cndmask_b32_e64 v5, 0, 1, vcc
	v_cmp_gt_u32_e32 vcc, s60, v2
	v_mov_b32_e32 v2, v44
	v_mov_b32_e32 v4, v45
	;; [unrolled: 1-line block ×5, first 2 shown]
	v_pk_mov_b32 v[22:23], v[14:15], v[14:15] op_sel:[0,1]
	v_pk_mov_b32 v[20:21], v[12:13], v[12:13] op_sel:[0,1]
	;; [unrolled: 1-line block ×3, first 2 shown]
                                        ; implicit-def: $sgpr8_sgpr9
                                        ; implicit-def: $vgpr43
	s_and_saveexec_b64 s[22:23], vcc
	s_cbranch_execz .LBB203_73
; %bb.54:
	ds_read2_b32 v[34:35], v1 offset0:3 offset1:4
	s_mov_b32 s8, 0
	s_mov_b32 s14, s8
	;; [unrolled: 1-line block ×8, first 2 shown]
	v_pk_mov_b32 v[16:17], s[14:15], s[14:15] op_sel:[0,1]
	v_add_u32_e32 v6, 4, v42
	v_cmp_ne_u32_e32 vcc, v36, v37
	v_pk_mov_b32 v[14:15], s[12:13], s[12:13] op_sel:[0,1]
	v_pk_mov_b32 v[12:13], s[10:11], s[10:11] op_sel:[0,1]
	v_pk_mov_b32 v[10:11], s[8:9], s[8:9] op_sel:[0,1]
	v_pk_mov_b32 v[24:25], v[16:17], v[16:17] op_sel:[0,1]
	v_cndmask_b32_e64 v7, 0, 1, vcc
	v_cmp_gt_u32_e32 vcc, s60, v6
	s_waitcnt lgkmcnt(0)
	v_mov_b32_e32 v6, v34
	v_mov_b32_e32 v8, s8
	;; [unrolled: 1-line block ×3, first 2 shown]
	v_pk_mov_b32 v[22:23], v[14:15], v[14:15] op_sel:[0,1]
	v_pk_mov_b32 v[20:21], v[12:13], v[12:13] op_sel:[0,1]
	;; [unrolled: 1-line block ×3, first 2 shown]
                                        ; implicit-def: $sgpr26_sgpr27
                                        ; implicit-def: $vgpr43
	s_and_saveexec_b64 s[24:25], vcc
	s_cbranch_execz .LBB203_72
; %bb.55:
	v_pk_mov_b32 v[16:17], s[14:15], s[14:15] op_sel:[0,1]
	v_add_u32_e32 v8, 5, v42
	v_cmp_ne_u32_e32 vcc, v37, v30
	v_pk_mov_b32 v[14:15], s[12:13], s[12:13] op_sel:[0,1]
	v_pk_mov_b32 v[12:13], s[10:11], s[10:11] op_sel:[0,1]
	;; [unrolled: 1-line block ×4, first 2 shown]
	v_cndmask_b32_e64 v9, 0, 1, vcc
	v_cmp_gt_u32_e32 vcc, s60, v8
	v_mov_b32_e32 v8, v35
	v_pk_mov_b32 v[22:23], v[14:15], v[14:15] op_sel:[0,1]
	v_pk_mov_b32 v[20:21], v[12:13], v[12:13] op_sel:[0,1]
	;; [unrolled: 1-line block ×3, first 2 shown]
                                        ; implicit-def: $sgpr8_sgpr9
                                        ; implicit-def: $vgpr43
	s_and_saveexec_b64 s[26:27], vcc
	s_cbranch_execz .LBB203_71
; %bb.56:
	ds_read2_b32 v[34:35], v1 offset0:5 offset1:6
	s_mov_b32 s8, 0
	s_mov_b32 s14, s8
	;; [unrolled: 1-line block ×3, first 2 shown]
	v_add_u32_e32 v10, 6, v42
	v_cmp_ne_u32_e32 vcc, v30, v31
	v_mov_b32_e32 v14, 0
	s_mov_b32 s9, s8
	s_mov_b32 s10, s8
	;; [unrolled: 1-line block ×5, first 2 shown]
	v_pk_mov_b32 v[24:25], s[14:15], s[14:15] op_sel:[0,1]
	v_cndmask_b32_e64 v11, 0, 1, vcc
	v_cmp_gt_u32_e32 vcc, s60, v10
	s_waitcnt lgkmcnt(0)
	v_mov_b32_e32 v10, v34
	v_mov_b32_e32 v12, v14
	;; [unrolled: 1-line block ×6, first 2 shown]
	v_pk_mov_b32 v[22:23], s[12:13], s[12:13] op_sel:[0,1]
	v_pk_mov_b32 v[20:21], s[10:11], s[10:11] op_sel:[0,1]
	;; [unrolled: 1-line block ×3, first 2 shown]
                                        ; implicit-def: $sgpr30_sgpr31
                                        ; implicit-def: $vgpr43
	s_and_saveexec_b64 s[28:29], vcc
	s_cbranch_execz .LBB203_70
; %bb.57:
	v_add_u32_e32 v10, 7, v42
	v_cmp_ne_u32_e32 vcc, v31, v32
	v_pk_mov_b32 v[24:25], s[14:15], s[14:15] op_sel:[0,1]
	v_cndmask_b32_e64 v13, 0, 1, vcc
	v_cmp_gt_u32_e32 vcc, s60, v10
	v_mov_b32_e32 v10, v34
	v_mov_b32_e32 v12, v35
	;; [unrolled: 1-line block ×5, first 2 shown]
	v_pk_mov_b32 v[22:23], s[12:13], s[12:13] op_sel:[0,1]
	v_pk_mov_b32 v[20:21], s[10:11], s[10:11] op_sel:[0,1]
	;; [unrolled: 1-line block ×3, first 2 shown]
                                        ; implicit-def: $sgpr8_sgpr9
                                        ; implicit-def: $vgpr43
	s_and_saveexec_b64 s[30:31], vcc
	s_cbranch_execz .LBB203_69
; %bb.58:
	ds_read2_b32 v[30:31], v1 offset0:7 offset1:8
	s_mov_b32 s8, 0
	s_mov_b32 s14, s8
	;; [unrolled: 1-line block ×3, first 2 shown]
	v_add_u32_e32 v14, 8, v42
	v_cmp_ne_u32_e32 vcc, v32, v33
	s_mov_b32 s9, s8
	s_mov_b32 s10, s8
	;; [unrolled: 1-line block ×5, first 2 shown]
	v_pk_mov_b32 v[24:25], s[14:15], s[14:15] op_sel:[0,1]
	v_cndmask_b32_e64 v15, 0, 1, vcc
	v_cmp_gt_u32_e32 vcc, s60, v14
	s_waitcnt lgkmcnt(0)
	v_mov_b32_e32 v14, v30
	v_mov_b32_e32 v16, s8
	;; [unrolled: 1-line block ×3, first 2 shown]
	v_pk_mov_b32 v[22:23], s[12:13], s[12:13] op_sel:[0,1]
	v_pk_mov_b32 v[20:21], s[10:11], s[10:11] op_sel:[0,1]
	;; [unrolled: 1-line block ×3, first 2 shown]
                                        ; implicit-def: $sgpr58_sgpr59
                                        ; implicit-def: $vgpr43
	s_and_saveexec_b64 s[44:45], vcc
	s_cbranch_execz .LBB203_68
; %bb.59:
	v_add_u32_e32 v16, 9, v42
	v_cmp_ne_u32_e32 vcc, v33, v26
	v_pk_mov_b32 v[24:25], s[14:15], s[14:15] op_sel:[0,1]
	v_cndmask_b32_e64 v17, 0, 1, vcc
	v_cmp_gt_u32_e32 vcc, s60, v16
	v_mov_b32_e32 v16, v31
	v_pk_mov_b32 v[22:23], s[12:13], s[12:13] op_sel:[0,1]
	v_pk_mov_b32 v[20:21], s[10:11], s[10:11] op_sel:[0,1]
	;; [unrolled: 1-line block ×3, first 2 shown]
                                        ; implicit-def: $sgpr10_sgpr11
                                        ; implicit-def: $vgpr43
	s_and_saveexec_b64 s[8:9], vcc
	s_cbranch_execz .LBB203_67
; %bb.60:
	ds_read2_b32 v[30:31], v1 offset0:9 offset1:10
	v_add_u32_e32 v18, 10, v42
	v_cmp_ne_u32_e32 vcc, v26, v27
	v_mov_b32_e32 v22, 0
	v_cndmask_b32_e64 v19, 0, 1, vcc
	v_cmp_gt_u32_e32 vcc, s60, v18
	s_waitcnt lgkmcnt(0)
	v_mov_b32_e32 v18, v30
	v_mov_b32_e32 v20, v22
	;; [unrolled: 1-line block ×6, first 2 shown]
                                        ; implicit-def: $sgpr12_sgpr13
                                        ; implicit-def: $vgpr43
	s_and_saveexec_b64 s[10:11], vcc
	s_cbranch_execz .LBB203_66
; %bb.61:
	v_add_u32_e32 v18, 11, v42
	v_cmp_ne_u32_e32 vcc, v27, v28
	v_cndmask_b32_e64 v21, 0, 1, vcc
	v_cmp_gt_u32_e32 vcc, s60, v18
	s_mov_b32 s58, 0
	v_mov_b32_e32 v18, v30
	v_mov_b32_e32 v20, v31
	;; [unrolled: 1-line block ×5, first 2 shown]
                                        ; implicit-def: $sgpr14_sgpr15
                                        ; implicit-def: $vgpr43
	s_and_saveexec_b64 s[12:13], vcc
	s_cbranch_execz .LBB203_65
; %bb.62:
	ds_read2_b32 v[26:27], v1 offset0:11 offset1:12
	v_add_u32_e32 v22, 12, v42
	v_cmp_ne_u32_e32 vcc, v28, v29
	v_cndmask_b32_e64 v23, 0, 1, vcc
	v_cmp_gt_u32_e32 vcc, s60, v22
	s_waitcnt lgkmcnt(0)
	v_mov_b32_e32 v22, v26
	v_mov_b32_e32 v24, s58
	;; [unrolled: 1-line block ×3, first 2 shown]
                                        ; implicit-def: $sgpr14_sgpr15
                                        ; implicit-def: $vgpr43
	s_and_saveexec_b64 s[58:59], vcc
	s_xor_b64 s[58:59], exec, s[58:59]
	s_cbranch_execz .LBB203_64
; %bb.63:
	ds_read_b32 v43, v1 offset:52
	v_add_u32_e32 v1, 13, v42
	v_cmp_ne_u32_e64 s[2:3], v29, v40
	v_cmp_ne_u32_e32 vcc, v40, v41
	v_cndmask_b32_e64 v25, 0, 1, s[2:3]
	v_cmp_gt_u32_e64 s[2:3], s60, v1
	v_mov_b32_e32 v24, v27
	s_and_b64 s[14:15], vcc, exec
	s_and_b64 s[2:3], s[2:3], exec
.LBB203_64:
	s_or_b64 exec, exec, s[58:59]
	s_and_b64 s[14:15], s[14:15], exec
	s_and_b64 s[2:3], s[2:3], exec
.LBB203_65:
	s_or_b64 exec, exec, s[12:13]
	s_and_b64 s[12:13], s[14:15], exec
	s_and_b64 s[2:3], s[2:3], exec
.LBB203_66:
	s_or_b64 exec, exec, s[10:11]
	s_and_b64 s[10:11], s[12:13], exec
	s_and_b64 s[2:3], s[2:3], exec
.LBB203_67:
	s_or_b64 exec, exec, s[8:9]
	s_and_b64 s[58:59], s[10:11], exec
	s_and_b64 s[2:3], s[2:3], exec
.LBB203_68:
	s_or_b64 exec, exec, s[44:45]
	s_and_b64 s[8:9], s[58:59], exec
	s_and_b64 s[2:3], s[2:3], exec
.LBB203_69:
	s_or_b64 exec, exec, s[30:31]
	s_and_b64 s[30:31], s[8:9], exec
	s_and_b64 s[2:3], s[2:3], exec
.LBB203_70:
	s_or_b64 exec, exec, s[28:29]
	s_and_b64 s[8:9], s[30:31], exec
	s_and_b64 s[2:3], s[2:3], exec
.LBB203_71:
	s_or_b64 exec, exec, s[26:27]
	s_and_b64 s[26:27], s[8:9], exec
	s_and_b64 s[2:3], s[2:3], exec
.LBB203_72:
	s_or_b64 exec, exec, s[24:25]
	s_and_b64 s[8:9], s[26:27], exec
	s_and_b64 s[2:3], s[2:3], exec
.LBB203_73:
	s_or_b64 exec, exec, s[22:23]
	s_and_b64 s[22:23], s[8:9], exec
	s_and_b64 s[2:3], s[2:3], exec
.LBB203_74:
	s_or_b64 exec, exec, s[20:21]
	s_and_b64 s[8:9], s[22:23], exec
	s_and_b64 s[20:21], s[2:3], exec
.LBB203_75:
	s_or_b64 exec, exec, s[18:19]
	s_and_b64 s[2:3], s[8:9], exec
	s_and_b64 s[18:19], s[20:21], exec
.LBB203_76:
	s_or_b64 exec, exec, s[16:17]
	s_and_b64 vcc, exec, s[4:5]
	v_lshlrev_b32_e32 v50, 2, v0
	s_cbranch_vccnz .LBB203_78
	s_branch .LBB203_86
.LBB203_77:
                                        ; implicit-def: $sgpr2_sgpr3
                                        ; implicit-def: $vgpr2_vgpr3_vgpr4_vgpr5_vgpr6_vgpr7_vgpr8_vgpr9
                                        ; implicit-def: $vgpr10_vgpr11_vgpr12_vgpr13_vgpr14_vgpr15_vgpr16_vgpr17
                                        ; implicit-def: $vgpr18_vgpr19_vgpr20_vgpr21_vgpr22_vgpr23_vgpr24_vgpr25
                                        ; implicit-def: $vgpr43
                                        ; implicit-def: $vgpr38_vgpr39
	s_and_b64 vcc, exec, s[4:5]
	v_lshlrev_b32_e32 v50, 2, v0
	s_cbranch_vccz .LBB203_86
.LBB203_78:
	v_mov_b32_e32 v1, s35
	v_add_co_u32_e32 v2, vcc, s34, v50
	v_addc_co_u32_e32 v3, vcc, 0, v1, vcc
	v_add_co_u32_e32 v4, vcc, 0x1000, v2
	v_addc_co_u32_e32 v5, vcc, 0, v3, vcc
	flat_load_dword v6, v[2:3]
	flat_load_dword v7, v[2:3] offset:1024
	flat_load_dword v8, v[2:3] offset:2048
	;; [unrolled: 1-line block ×3, first 2 shown]
	flat_load_dword v10, v[4:5]
	flat_load_dword v11, v[4:5] offset:1024
	flat_load_dword v12, v[4:5] offset:2048
	flat_load_dword v13, v[4:5] offset:3072
	v_add_co_u32_e32 v4, vcc, 0x2000, v2
	v_addc_co_u32_e32 v5, vcc, 0, v3, vcc
	v_add_co_u32_e32 v2, vcc, 0x3000, v2
	v_addc_co_u32_e32 v3, vcc, 0, v3, vcc
	flat_load_dword v14, v[4:5]
	flat_load_dword v15, v[4:5] offset:1024
	flat_load_dword v16, v[4:5] offset:2048
	;; [unrolled: 1-line block ×3, first 2 shown]
	flat_load_dword v18, v[2:3]
	flat_load_dword v19, v[2:3] offset:1024
	v_mad_u32_u24 v1, v0, 52, v50
	s_cmp_eq_u64 s[48:49], 0
	s_waitcnt vmcnt(0) lgkmcnt(0)
	ds_write2st64_b32 v50, v6, v7 offset1:4
	ds_write2st64_b32 v50, v8, v9 offset0:8 offset1:12
	ds_write2st64_b32 v50, v10, v11 offset0:16 offset1:20
	;; [unrolled: 1-line block ×6, first 2 shown]
	s_waitcnt lgkmcnt(0)
	s_barrier
	ds_read2_b64 v[2:5], v1 offset1:1
	ds_read2_b64 v[10:13], v1 offset0:2 offset1:3
	ds_read2_b64 v[18:21], v1 offset0:4 offset1:5
	ds_read_b64 v[6:7], v1 offset:48
	s_cbranch_scc1 .LBB203_83
; %bb.79:
	s_andn2_b64 vcc, exec, s[40:41]
	s_cbranch_vccnz .LBB203_180
; %bb.80:
	s_lshl_b64 s[2:3], s[48:49], 2
	s_add_u32 s2, s50, s2
	s_addc_u32 s3, s51, s3
	s_add_u32 s2, s2, -4
	s_addc_u32 s3, s3, -1
	s_cbranch_execnz .LBB203_82
.LBB203_81:
	s_add_u32 s2, s34, -4
	s_addc_u32 s3, s35, -1
.LBB203_82:
	s_mov_b64 s[34:35], s[2:3]
.LBB203_83:
	v_pk_mov_b32 v[8:9], s[34:35], s[34:35] op_sel:[0,1]
	flat_load_dword v8, v[8:9]
	s_movk_i32 s2, 0xffcc
	v_mad_i32_i24 v9, v0, s2, v1
	v_cmp_ne_u32_e32 vcc, 0, v0
	s_waitcnt lgkmcnt(0)
	ds_write_b32 v9, v7 offset:14336
	s_waitcnt lgkmcnt(0)
	s_barrier
	s_and_saveexec_b64 s[2:3], vcc
	s_cbranch_execz .LBB203_85
; %bb.84:
	s_waitcnt vmcnt(0)
	v_mul_i32_i24_e32 v8, 0xffffffcc, v0
	v_add_u32_e32 v8, v1, v8
	ds_read_b32 v8, v8 offset:14332
.LBB203_85:
	s_or_b64 exec, exec, s[2:3]
	v_mov_b32_e32 v9, s55
	v_add_co_u32_e32 v14, vcc, s7, v50
	v_addc_co_u32_e32 v15, vcc, 0, v9, vcc
	s_movk_i32 s2, 0x1000
	v_add_co_u32_e32 v16, vcc, s2, v14
	v_addc_co_u32_e32 v17, vcc, 0, v15, vcc
	s_movk_i32 s2, 0x2000
	s_waitcnt lgkmcnt(0)
	s_barrier
	flat_load_dword v22, v[14:15]
	flat_load_dword v24, v[14:15] offset:1024
	flat_load_dword v26, v[14:15] offset:2048
	;; [unrolled: 1-line block ×3, first 2 shown]
	flat_load_dword v28, v[16:17]
	flat_load_dword v29, v[16:17] offset:1024
	flat_load_dword v30, v[16:17] offset:2048
	flat_load_dword v31, v[16:17] offset:3072
	v_add_co_u32_e32 v16, vcc, s2, v14
	v_addc_co_u32_e32 v17, vcc, 0, v15, vcc
	s_movk_i32 s2, 0x3000
	v_add_co_u32_e32 v14, vcc, s2, v14
	v_addc_co_u32_e32 v15, vcc, 0, v15, vcc
	flat_load_dword v32, v[16:17]
	flat_load_dword v33, v[16:17] offset:1024
	flat_load_dword v34, v[16:17] offset:2048
	;; [unrolled: 1-line block ×3, first 2 shown]
	flat_load_dword v36, v[14:15]
	flat_load_dword v37, v[14:15] offset:1024
	s_waitcnt vmcnt(0)
	v_cmp_ne_u32_e32 vcc, v8, v2
	v_cndmask_b32_e64 v39, 0, 1, vcc
	v_cmp_ne_u32_e32 vcc, v5, v10
	v_cndmask_b32_e64 v9, 0, 1, vcc
	v_cmp_ne_u32_e32 vcc, v4, v5
	v_cmp_ne_u32_e64 s[2:3], v6, v7
	v_cndmask_b32_e64 v7, 0, 1, vcc
	v_cmp_ne_u32_e32 vcc, v3, v4
	v_cndmask_b32_e64 v5, 0, 1, vcc
	v_cmp_ne_u32_e32 vcc, v2, v3
	;; [unrolled: 2-line block ×10, first 2 shown]
	v_cndmask_b32_e64 v19, 0, 1, vcc
	s_mov_b64 s[18:19], -1
                                        ; implicit-def: $sgpr4_sgpr5
	s_waitcnt lgkmcnt(0)
	ds_write2st64_b32 v50, v22, v24 offset1:4
	ds_write2st64_b32 v50, v26, v27 offset0:8 offset1:12
	ds_write2st64_b32 v50, v28, v29 offset0:16 offset1:20
	ds_write2st64_b32 v50, v30, v31 offset0:24 offset1:28
	ds_write2st64_b32 v50, v32, v33 offset0:32 offset1:36
	ds_write2st64_b32 v50, v34, v35 offset0:40 offset1:44
	ds_write2st64_b32 v50, v36, v37 offset0:48 offset1:52
	s_waitcnt lgkmcnt(0)
	s_barrier
	ds_read2_b32 v[42:43], v1 offset1:13
	ds_read2_b32 v[26:27], v1 offset0:7 offset1:8
	ds_read2_b32 v[28:29], v1 offset0:5 offset1:6
	;; [unrolled: 1-line block ×6, first 2 shown]
	s_waitcnt lgkmcnt(6)
	v_mov_b32_e32 v38, v42
	s_waitcnt lgkmcnt(4)
	v_mov_b32_e32 v10, v28
	s_waitcnt lgkmcnt(3)
	v_mov_b32_e32 v6, v30
	s_waitcnt lgkmcnt(2)
	v_mov_b32_e32 v2, v32
	v_mov_b32_e32 v4, v33
	v_mov_b32_e32 v8, v31
	;; [unrolled: 1-line block ×5, first 2 shown]
	s_waitcnt lgkmcnt(0)
	v_mov_b32_e32 v18, v36
	v_mov_b32_e32 v20, v37
	;; [unrolled: 1-line block ×4, first 2 shown]
.LBB203_86:
	v_pk_mov_b32 v[40:41], s[4:5], s[4:5] op_sel:[0,1]
	s_and_saveexec_b64 s[4:5], s[18:19]
	s_cbranch_execz .LBB203_88
; %bb.87:
	v_cndmask_b32_e64 v41, 0, 1, s[2:3]
	s_waitcnt lgkmcnt(0)
	v_mov_b32_e32 v40, v43
.LBB203_88:
	s_or_b64 exec, exec, s[4:5]
	s_mov_b32 s26, 0
	s_cmp_lg_u32 s6, 0
	v_mbcnt_lo_u32_b32 v52, -1, 0
	v_lshrrev_b32_e32 v1, 6, v0
	v_or_b32_e32 v51, 63, v0
	s_waitcnt lgkmcnt(0)
	s_barrier
	s_cbranch_scc0 .LBB203_117
; %bb.89:
	s_mov_b32 s27, 1
	v_cmp_gt_u64_e64 s[2:3], s[26:27], v[2:3]
	v_cndmask_b32_e64 v27, 0, v38, s[2:3]
	v_add_u32_e32 v27, v27, v2
	v_cmp_gt_u64_e64 s[4:5], s[26:27], v[4:5]
	v_cndmask_b32_e64 v27, 0, v27, s[4:5]
	v_add_u32_e32 v27, v27, v4
	;; [unrolled: 3-line block ×13, first 2 shown]
	v_or3_b32 v27, v41, v25, v23
	v_or3_b32 v27, v27, v21, v19
	;; [unrolled: 1-line block ×6, first 2 shown]
	v_mov_b32_e32 v26, 0
	v_and_b32_e32 v27, 1, v27
	v_cmp_eq_u64_e32 vcc, 0, v[26:27]
	v_cndmask_b32_e32 v26, 1, v39, vcc
	v_mbcnt_hi_u32_b32 v46, -1, v52
	v_mov_b32_dpp v29, v28 row_shr:1 row_mask:0xf bank_mask:0xf
	v_mov_b32_dpp v30, v26 row_shr:1 row_mask:0xf bank_mask:0xf
	v_cmp_eq_u32_e32 vcc, 0, v26
	v_and_b32_e32 v31, 1, v26
	v_and_b32_e32 v27, 15, v46
	v_cndmask_b32_e32 v29, 0, v29, vcc
	v_and_b32_e32 v30, 1, v30
	v_cmp_eq_u32_e32 vcc, 1, v31
	v_cndmask_b32_e64 v30, v30, 1, vcc
	v_cmp_eq_u32_e32 vcc, 0, v27
	v_cndmask_b32_e32 v26, v30, v26, vcc
	v_and_b32_e32 v31, 1, v26
	v_cmp_eq_u32_e64 s[28:29], 1, v31
	v_mov_b32_dpp v30, v26 row_shr:2 row_mask:0xf bank_mask:0xf
	v_and_b32_e32 v30, 1, v30
	v_cndmask_b32_e64 v30, v30, 1, s[28:29]
	v_cmp_lt_u32_e64 s[28:29], 1, v27
	v_cndmask_b32_e64 v29, v29, 0, vcc
	v_cmp_eq_u32_e32 vcc, 0, v26
	v_cndmask_b32_e64 v26, v26, v30, s[28:29]
	v_add_u32_e32 v28, v29, v28
	v_and_b32_e32 v31, 1, v26
	v_mov_b32_dpp v30, v26 row_shr:4 row_mask:0xf bank_mask:0xf
	v_mov_b32_dpp v29, v28 row_shr:2 row_mask:0xf bank_mask:0xf
	s_and_b64 vcc, s[28:29], vcc
	v_and_b32_e32 v30, 1, v30
	v_cmp_eq_u32_e64 s[28:29], 1, v31
	v_cndmask_b32_e32 v29, 0, v29, vcc
	v_cndmask_b32_e64 v30, v30, 1, s[28:29]
	v_cmp_lt_u32_e64 s[28:29], 3, v27
	v_add_u32_e32 v28, v29, v28
	v_cmp_eq_u32_e32 vcc, 0, v26
	v_cndmask_b32_e64 v26, v26, v30, s[28:29]
	v_mov_b32_dpp v29, v28 row_shr:4 row_mask:0xf bank_mask:0xf
	s_and_b64 vcc, s[28:29], vcc
	v_mov_b32_dpp v30, v26 row_shr:8 row_mask:0xf bank_mask:0xf
	v_and_b32_e32 v31, 1, v26
	v_cndmask_b32_e32 v29, 0, v29, vcc
	v_and_b32_e32 v30, 1, v30
	v_cmp_eq_u32_e64 s[28:29], 1, v31
	v_add_u32_e32 v28, v29, v28
	v_cmp_eq_u32_e32 vcc, 0, v26
	v_cndmask_b32_e64 v30, v30, 1, s[28:29]
	v_cmp_lt_u32_e64 s[28:29], 7, v27
	v_mov_b32_dpp v29, v28 row_shr:8 row_mask:0xf bank_mask:0xf
	s_and_b64 vcc, s[28:29], vcc
	v_cndmask_b32_e32 v27, 0, v29, vcc
	v_cndmask_b32_e64 v26, v26, v30, s[28:29]
	v_add_u32_e32 v27, v27, v28
	v_cmp_eq_u32_e32 vcc, 0, v26
	v_mov_b32_dpp v29, v26 row_bcast:15 row_mask:0xf bank_mask:0xf
	v_mov_b32_dpp v28, v27 row_bcast:15 row_mask:0xf bank_mask:0xf
	v_and_b32_e32 v32, 1, v26
	v_and_b32_e32 v31, 16, v46
	v_cndmask_b32_e32 v28, 0, v28, vcc
	v_and_b32_e32 v29, 1, v29
	v_cmp_eq_u32_e32 vcc, 1, v32
	v_bfe_i32 v30, v46, 4, 1
	v_cndmask_b32_e64 v29, v29, 1, vcc
	v_cmp_eq_u32_e32 vcc, 0, v31
	v_and_b32_e32 v28, v30, v28
	v_cndmask_b32_e32 v26, v29, v26, vcc
	v_add_u32_e32 v27, v28, v27
	v_and_b32_e32 v30, 1, v26
	v_mov_b32_dpp v28, v26 row_bcast:31 row_mask:0xf bank_mask:0xf
	v_and_b32_e32 v28, 1, v28
	v_cmp_eq_u32_e64 s[28:29], 1, v30
	v_cmp_eq_u32_e32 vcc, 0, v26
	v_cndmask_b32_e64 v28, v28, 1, s[28:29]
	v_cmp_lt_u32_e64 s[28:29], 31, v46
	v_mov_b32_dpp v29, v27 row_bcast:31 row_mask:0xf bank_mask:0xf
	s_and_b64 vcc, s[28:29], vcc
	v_cndmask_b32_e64 v28, v26, v28, s[28:29]
	v_cndmask_b32_e32 v26, 0, v29, vcc
	v_add_u32_e32 v29, v26, v27
	v_cmp_eq_u32_e32 vcc, v51, v0
	s_and_saveexec_b64 s[28:29], vcc
	s_cbranch_execz .LBB203_91
; %bb.90:
	v_lshlrev_b32_e32 v26, 3, v1
	ds_write_b32 v26, v29
	ds_write_b8 v26, v28 offset:4
.LBB203_91:
	s_or_b64 exec, exec, s[28:29]
	v_cmp_gt_u32_e32 vcc, 4, v0
	s_waitcnt lgkmcnt(0)
	s_barrier
	s_and_saveexec_b64 s[28:29], vcc
	s_cbranch_execz .LBB203_95
; %bb.92:
	v_lshlrev_b32_e32 v30, 3, v0
	ds_read_b64 v[26:27], v30
	v_and_b32_e32 v31, 3, v46
	v_cmp_ne_u32_e32 vcc, 0, v31
	s_waitcnt lgkmcnt(0)
	v_mov_b32_dpp v32, v26 row_shr:1 row_mask:0xf bank_mask:0xf
	v_mov_b32_dpp v34, v27 row_shr:1 row_mask:0xf bank_mask:0xf
	v_mov_b32_e32 v33, v27
	s_and_saveexec_b64 s[34:35], vcc
	s_cbranch_execz .LBB203_94
; %bb.93:
	v_and_b32_e32 v33, 1, v27
	v_and_b32_e32 v34, 1, v34
	v_cmp_eq_u32_e32 vcc, 1, v33
	v_mov_b32_e32 v33, 0
	v_cndmask_b32_e64 v34, v34, 1, vcc
	v_cmp_eq_u16_sdwa vcc, v27, v33 src0_sel:BYTE_0 src1_sel:DWORD
	v_cndmask_b32_e32 v32, 0, v32, vcc
	v_add_u32_e32 v26, v32, v26
	v_and_b32_e32 v32, 0xffff, v34
	s_movk_i32 s7, 0xff00
	v_and_or_b32 v33, v27, s7, v32
	v_mov_b32_e32 v27, v34
.LBB203_94:
	s_or_b64 exec, exec, s[34:35]
	v_mov_b32_dpp v33, v33 row_shr:2 row_mask:0xf bank_mask:0xf
	v_and_b32_e32 v34, 1, v27
	v_and_b32_e32 v33, 1, v33
	v_cmp_eq_u32_e32 vcc, 1, v34
	v_mov_b32_e32 v34, 0
	v_cndmask_b32_e64 v33, v33, 1, vcc
	v_cmp_eq_u16_sdwa s[34:35], v27, v34 src0_sel:BYTE_0 src1_sel:DWORD
	v_cmp_lt_u32_e32 vcc, 1, v31
	v_mov_b32_dpp v32, v26 row_shr:2 row_mask:0xf bank_mask:0xf
	v_cndmask_b32_e32 v27, v27, v33, vcc
	s_and_b64 vcc, vcc, s[34:35]
	v_cndmask_b32_e32 v31, 0, v32, vcc
	v_add_u32_e32 v26, v31, v26
	ds_write_b32 v30, v26
	ds_write_b8 v30, v27 offset:4
.LBB203_95:
	s_or_b64 exec, exec, s[28:29]
	v_cmp_gt_u32_e32 vcc, 64, v0
	v_cmp_lt_u32_e64 s[28:29], 63, v0
	v_mov_b32_e32 v42, 0
	v_mov_b32_e32 v43, 0
	s_waitcnt lgkmcnt(0)
	s_barrier
	s_and_saveexec_b64 s[34:35], s[28:29]
	s_cbranch_execz .LBB203_97
; %bb.96:
	v_lshl_add_u32 v26, v1, 3, -8
	ds_read_b32 v42, v26
	ds_read_u8 v43, v26 offset:4
	v_and_b32_e32 v27, 1, v28
	v_cmp_eq_u32_e64 s[28:29], 0, v28
	s_waitcnt lgkmcnt(1)
	v_cndmask_b32_e64 v26, 0, v42, s[28:29]
	v_cmp_eq_u32_e64 s[28:29], 1, v27
	v_add_u32_e32 v29, v26, v29
	s_waitcnt lgkmcnt(0)
	v_cndmask_b32_e64 v28, v43, 1, s[28:29]
.LBB203_97:
	s_or_b64 exec, exec, s[34:35]
	v_add_u32_e32 v26, -1, v46
	v_and_b32_e32 v27, 64, v46
	v_cmp_lt_i32_e64 s[28:29], v26, v27
	v_cndmask_b32_e64 v26, v26, v46, s[28:29]
	v_lshlrev_b32_e32 v26, 2, v26
	ds_bpermute_b32 v44, v26, v29
	ds_bpermute_b32 v45, v26, v28
	v_cmp_eq_u32_e64 s[28:29], 0, v46
	s_and_saveexec_b64 s[40:41], vcc
	s_cbranch_execz .LBB203_116
; %bb.98:
	v_mov_b32_e32 v29, 0
	ds_read_b64 v[26:27], v29 offset:24
	s_waitcnt lgkmcnt(0)
	v_readfirstlane_b32 s7, v27
	s_and_saveexec_b64 s[34:35], s[28:29]
	s_cbranch_execz .LBB203_100
; %bb.99:
	s_add_i32 s44, s6, 64
	s_mov_b32 s45, 0
	s_lshl_b64 s[48:49], s[44:45], 4
	s_add_u32 s48, s52, s48
	s_addc_u32 s49, s53, s49
	s_and_b32 s51, s7, 0xff000000
	s_mov_b32 s50, s45
	s_and_b32 s59, s7, 0xff0000
	s_mov_b32 s58, s45
	s_or_b64 s[50:51], s[58:59], s[50:51]
	s_and_b32 s59, s7, 0xff00
	s_or_b64 s[50:51], s[50:51], s[58:59]
	s_and_b32 s59, s7, 0xff
	s_or_b64 s[44:45], s[50:51], s[58:59]
	v_mov_b32_e32 v27, s45
	v_mov_b32_e32 v28, 1
	v_pk_mov_b32 v[30:31], s[48:49], s[48:49] op_sel:[0,1]
	;;#ASMSTART
	global_store_dwordx4 v[30:31], v[26:29] off	
s_waitcnt vmcnt(0)
	;;#ASMEND
.LBB203_100:
	s_or_b64 exec, exec, s[34:35]
	v_xad_u32 v34, v46, -1, s6
	v_add_u32_e32 v28, 64, v34
	v_lshlrev_b64 v[30:31], 4, v[28:29]
	v_mov_b32_e32 v27, s53
	v_add_co_u32_e32 v36, vcc, s52, v30
	v_addc_co_u32_e32 v37, vcc, v27, v31, vcc
	;;#ASMSTART
	global_load_dwordx4 v[30:33], v[36:37] off glc	
s_waitcnt vmcnt(0)
	;;#ASMEND
	v_and_b32_e32 v27, 0xff0000, v30
	v_or_b32_sdwa v27, v30, v27 dst_sel:DWORD dst_unused:UNUSED_PAD src0_sel:WORD_0 src1_sel:DWORD
	v_and_b32_e32 v28, 0xff000000, v30
	v_and_b32_e32 v30, 0xff, v31
	v_or3_b32 v31, 0, 0, v30
	v_or3_b32 v30, v27, v28, 0
	v_cmp_eq_u16_sdwa s[44:45], v32, v29 src0_sel:BYTE_0 src1_sel:DWORD
	s_and_saveexec_b64 s[34:35], s[44:45]
	s_cbranch_execz .LBB203_104
; %bb.101:
	s_mov_b64 s[44:45], 0
	v_mov_b32_e32 v27, 0
.LBB203_102:                            ; =>This Inner Loop Header: Depth=1
	;;#ASMSTART
	global_load_dwordx4 v[30:33], v[36:37] off glc	
s_waitcnt vmcnt(0)
	;;#ASMEND
	v_cmp_ne_u16_sdwa s[48:49], v32, v27 src0_sel:BYTE_0 src1_sel:DWORD
	s_or_b64 s[44:45], s[48:49], s[44:45]
	s_andn2_b64 exec, exec, s[44:45]
	s_cbranch_execnz .LBB203_102
; %bb.103:
	s_or_b64 exec, exec, s[44:45]
	v_and_b32_e32 v31, 0xff, v31
.LBB203_104:
	s_or_b64 exec, exec, s[34:35]
	v_mov_b32_e32 v27, 2
	v_cmp_eq_u16_sdwa s[34:35], v32, v27 src0_sel:BYTE_0 src1_sel:DWORD
	v_lshlrev_b64 v[28:29], v46, -1
	v_and_b32_e32 v33, s35, v29
	v_or_b32_e32 v33, 0x80000000, v33
	v_and_b32_e32 v35, s34, v28
	v_ffbl_b32_e32 v33, v33
	v_and_b32_e32 v47, 63, v46
	v_add_u32_e32 v33, 32, v33
	v_ffbl_b32_e32 v35, v35
	v_cmp_ne_u32_e32 vcc, 63, v47
	v_min_u32_e32 v33, v35, v33
	v_addc_co_u32_e32 v35, vcc, 0, v46, vcc
	v_lshlrev_b32_e32 v48, 2, v35
	ds_bpermute_b32 v35, v48, v31
	ds_bpermute_b32 v36, v48, v30
	s_mov_b32 s44, 0
	v_and_b32_e32 v37, 1, v31
	s_mov_b32 s45, 1
	s_waitcnt lgkmcnt(1)
	v_and_b32_e32 v35, 1, v35
	v_cmp_eq_u32_e32 vcc, 1, v37
	v_cndmask_b32_e64 v35, v35, 1, vcc
	v_cmp_gt_u64_e32 vcc, s[44:45], v[30:31]
	v_cmp_lt_u32_e64 s[34:35], v47, v33
	s_and_b64 vcc, s[34:35], vcc
	v_and_b32_e32 v37, 0xffff, v35
	v_cndmask_b32_e64 v54, v31, v35, s[34:35]
	s_waitcnt lgkmcnt(0)
	v_cndmask_b32_e32 v35, 0, v36, vcc
	v_cmp_gt_u32_e32 vcc, 62, v47
	v_cndmask_b32_e64 v36, 0, 1, vcc
	v_lshlrev_b32_e32 v36, 1, v36
	v_cndmask_b32_e64 v31, v31, v37, s[34:35]
	v_add_lshl_u32 v49, v36, v46, 2
	ds_bpermute_b32 v36, v49, v31
	v_add_u32_e32 v30, v35, v30
	ds_bpermute_b32 v37, v49, v30
	v_and_b32_e32 v35, 1, v54
	v_cmp_eq_u32_e32 vcc, 1, v35
	s_waitcnt lgkmcnt(1)
	v_and_b32_e32 v36, 1, v36
	v_mov_b32_e32 v35, 0
	v_add_u32_e32 v53, 2, v47
	v_cndmask_b32_e64 v36, v36, 1, vcc
	v_cmp_eq_u16_sdwa vcc, v54, v35 src0_sel:BYTE_0 src1_sel:DWORD
	v_and_b32_e32 v55, 0xffff, v36
	s_waitcnt lgkmcnt(0)
	v_cndmask_b32_e32 v37, 0, v37, vcc
	v_cmp_gt_u32_e32 vcc, v53, v33
	v_cndmask_b32_e32 v36, v36, v54, vcc
	v_cndmask_b32_e64 v37, v37, 0, vcc
	v_cndmask_b32_e32 v31, v55, v31, vcc
	v_cmp_gt_u32_e32 vcc, 60, v47
	v_cndmask_b32_e64 v54, 0, 1, vcc
	v_lshlrev_b32_e32 v54, 2, v54
	v_add_lshl_u32 v54, v54, v46, 2
	ds_bpermute_b32 v56, v54, v31
	v_add_u32_e32 v30, v37, v30
	ds_bpermute_b32 v37, v54, v30
	v_and_b32_e32 v57, 1, v36
	v_cmp_eq_u32_e32 vcc, 1, v57
	s_waitcnt lgkmcnt(1)
	v_and_b32_e32 v56, 1, v56
	v_add_u32_e32 v55, 4, v47
	v_cndmask_b32_e64 v56, v56, 1, vcc
	v_cmp_eq_u16_sdwa vcc, v36, v35 src0_sel:BYTE_0 src1_sel:DWORD
	v_and_b32_e32 v57, 0xffff, v56
	s_waitcnt lgkmcnt(0)
	v_cndmask_b32_e32 v37, 0, v37, vcc
	v_cmp_gt_u32_e32 vcc, v55, v33
	v_cndmask_b32_e32 v36, v56, v36, vcc
	v_cndmask_b32_e64 v37, v37, 0, vcc
	v_cndmask_b32_e32 v31, v57, v31, vcc
	v_cmp_gt_u32_e32 vcc, 56, v47
	v_cndmask_b32_e64 v56, 0, 1, vcc
	v_lshlrev_b32_e32 v56, 3, v56
	v_add_lshl_u32 v56, v56, v46, 2
	ds_bpermute_b32 v58, v56, v31
	v_add_u32_e32 v30, v37, v30
	ds_bpermute_b32 v37, v56, v30
	v_and_b32_e32 v59, 1, v36
	v_cmp_eq_u32_e32 vcc, 1, v59
	s_waitcnt lgkmcnt(1)
	v_and_b32_e32 v58, 1, v58
	v_add_u32_e32 v57, 8, v47
	v_cndmask_b32_e64 v58, v58, 1, vcc
	v_cmp_eq_u16_sdwa vcc, v36, v35 src0_sel:BYTE_0 src1_sel:DWORD
	v_and_b32_e32 v59, 0xffff, v58
	s_waitcnt lgkmcnt(0)
	v_cndmask_b32_e32 v37, 0, v37, vcc
	v_cmp_gt_u32_e32 vcc, v57, v33
	v_cndmask_b32_e32 v36, v58, v36, vcc
	v_cndmask_b32_e64 v37, v37, 0, vcc
	v_cndmask_b32_e32 v31, v59, v31, vcc
	v_cmp_gt_u32_e32 vcc, 48, v47
	v_cndmask_b32_e64 v58, 0, 1, vcc
	v_lshlrev_b32_e32 v58, 4, v58
	v_add_lshl_u32 v58, v58, v46, 2
	ds_bpermute_b32 v60, v58, v31
	v_add_u32_e32 v30, v37, v30
	ds_bpermute_b32 v37, v58, v30
	v_and_b32_e32 v61, 1, v36
	v_cmp_eq_u32_e32 vcc, 1, v61
	s_waitcnt lgkmcnt(1)
	v_and_b32_e32 v60, 1, v60
	v_add_u32_e32 v59, 16, v47
	v_cndmask_b32_e64 v60, v60, 1, vcc
	v_cmp_eq_u16_sdwa vcc, v36, v35 src0_sel:BYTE_0 src1_sel:DWORD
	v_and_b32_e32 v61, 0xffff, v60
	s_waitcnt lgkmcnt(0)
	v_cndmask_b32_e32 v37, 0, v37, vcc
	v_cmp_gt_u32_e32 vcc, v59, v33
	v_cndmask_b32_e32 v36, v60, v36, vcc
	v_cndmask_b32_e64 v37, v37, 0, vcc
	v_cndmask_b32_e32 v31, v61, v31, vcc
	v_cmp_gt_u32_e32 vcc, 32, v47
	v_cndmask_b32_e64 v60, 0, 1, vcc
	v_lshlrev_b32_e32 v60, 5, v60
	v_add_lshl_u32 v61, v60, v46, 2
	ds_bpermute_b32 v31, v61, v31
	v_add_u32_e32 v30, v37, v30
	ds_bpermute_b32 v37, v61, v30
	v_and_b32_e32 v46, 1, v36
	v_cmp_eq_u32_e32 vcc, 1, v46
	s_waitcnt lgkmcnt(1)
	v_and_b32_e32 v31, 1, v31
	v_add_u32_e32 v62, 32, v47
	v_cndmask_b32_e64 v31, v31, 1, vcc
	v_cmp_eq_u16_sdwa vcc, v36, v35 src0_sel:BYTE_0 src1_sel:DWORD
	s_waitcnt lgkmcnt(0)
	v_cndmask_b32_e32 v37, 0, v37, vcc
	v_cmp_gt_u32_e32 vcc, v62, v33
	v_cndmask_b32_e64 v33, v37, 0, vcc
	v_cndmask_b32_e32 v31, v31, v36, vcc
	v_add_u32_e32 v30, v33, v30
	s_branch .LBB203_106
.LBB203_105:                            ;   in Loop: Header=BB203_106 Depth=1
	s_or_b64 exec, exec, s[34:35]
	v_cmp_eq_u16_sdwa s[34:35], v32, v27 src0_sel:BYTE_0 src1_sel:DWORD
	v_and_b32_e32 v33, s35, v29
	ds_bpermute_b32 v37, v48, v31
	v_or_b32_e32 v33, 0x80000000, v33
	v_and_b32_e32 v36, s34, v28
	v_ffbl_b32_e32 v33, v33
	v_add_u32_e32 v33, 32, v33
	v_ffbl_b32_e32 v36, v36
	v_min_u32_e32 v33, v36, v33
	ds_bpermute_b32 v36, v48, v30
	v_and_b32_e32 v63, 1, v31
	s_waitcnt lgkmcnt(1)
	v_and_b32_e32 v37, 1, v37
	v_cmp_eq_u32_e32 vcc, 1, v63
	v_cndmask_b32_e64 v37, v37, 1, vcc
	v_cmp_gt_u64_e32 vcc, s[44:45], v[30:31]
	v_and_b32_e32 v63, 0xffff, v37
	v_cmp_lt_u32_e64 s[34:35], v47, v33
	v_cndmask_b32_e64 v37, v31, v37, s[34:35]
	v_cndmask_b32_e64 v31, v31, v63, s[34:35]
	s_and_b64 vcc, s[34:35], vcc
	ds_bpermute_b32 v63, v49, v31
	s_waitcnt lgkmcnt(1)
	v_cndmask_b32_e32 v36, 0, v36, vcc
	v_add_u32_e32 v30, v36, v30
	ds_bpermute_b32 v36, v49, v30
	v_and_b32_e32 v64, 1, v37
	s_waitcnt lgkmcnt(1)
	v_and_b32_e32 v63, 1, v63
	v_cmp_eq_u32_e32 vcc, 1, v64
	v_cndmask_b32_e64 v63, v63, 1, vcc
	v_cmp_eq_u16_sdwa vcc, v37, v35 src0_sel:BYTE_0 src1_sel:DWORD
	v_and_b32_e32 v64, 0xffff, v63
	s_waitcnt lgkmcnt(0)
	v_cndmask_b32_e32 v36, 0, v36, vcc
	v_cmp_gt_u32_e32 vcc, v53, v33
	v_cndmask_b32_e32 v31, v64, v31, vcc
	v_cndmask_b32_e32 v37, v63, v37, vcc
	ds_bpermute_b32 v63, v54, v31
	v_cndmask_b32_e64 v36, v36, 0, vcc
	v_add_u32_e32 v30, v36, v30
	ds_bpermute_b32 v36, v54, v30
	v_and_b32_e32 v64, 1, v37
	s_waitcnt lgkmcnt(1)
	v_and_b32_e32 v63, 1, v63
	v_cmp_eq_u32_e32 vcc, 1, v64
	v_cndmask_b32_e64 v63, v63, 1, vcc
	v_cmp_eq_u16_sdwa vcc, v37, v35 src0_sel:BYTE_0 src1_sel:DWORD
	v_and_b32_e32 v64, 0xffff, v63
	s_waitcnt lgkmcnt(0)
	v_cndmask_b32_e32 v36, 0, v36, vcc
	v_cmp_gt_u32_e32 vcc, v55, v33
	v_cndmask_b32_e32 v31, v64, v31, vcc
	v_cndmask_b32_e32 v37, v63, v37, vcc
	ds_bpermute_b32 v63, v56, v31
	v_cndmask_b32_e64 v36, v36, 0, vcc
	;; [unrolled: 16-line block ×3, first 2 shown]
	v_add_u32_e32 v30, v36, v30
	ds_bpermute_b32 v36, v58, v30
	v_and_b32_e32 v64, 1, v37
	s_waitcnt lgkmcnt(1)
	v_and_b32_e32 v63, 1, v63
	v_cmp_eq_u32_e32 vcc, 1, v64
	v_cndmask_b32_e64 v63, v63, 1, vcc
	v_cmp_eq_u16_sdwa vcc, v37, v35 src0_sel:BYTE_0 src1_sel:DWORD
	v_and_b32_e32 v64, 0xffff, v63
	s_waitcnt lgkmcnt(0)
	v_cndmask_b32_e32 v36, 0, v36, vcc
	v_cmp_gt_u32_e32 vcc, v59, v33
	v_cndmask_b32_e64 v36, v36, 0, vcc
	v_cndmask_b32_e32 v31, v64, v31, vcc
	ds_bpermute_b32 v31, v61, v31
	v_add_u32_e32 v30, v36, v30
	ds_bpermute_b32 v36, v61, v30
	v_cndmask_b32_e32 v37, v63, v37, vcc
	v_and_b32_e32 v63, 1, v37
	v_cmp_eq_u32_e32 vcc, 1, v63
	s_waitcnt lgkmcnt(1)
	v_cndmask_b32_e64 v31, v31, 1, vcc
	v_cmp_eq_u16_sdwa vcc, v37, v35 src0_sel:BYTE_0 src1_sel:DWORD
	s_waitcnt lgkmcnt(0)
	v_cndmask_b32_e32 v36, 0, v36, vcc
	v_cmp_gt_u32_e32 vcc, v62, v33
	v_cndmask_b32_e64 v33, v36, 0, vcc
	v_cndmask_b32_e32 v31, v31, v37, vcc
	v_add_u32_e32 v30, v33, v30
	v_cmp_eq_u16_sdwa vcc, v46, v35 src0_sel:BYTE_0 src1_sel:DWORD
	v_and_b32_e32 v33, 1, v46
	v_cndmask_b32_e32 v30, 0, v30, vcc
	v_and_b32_e32 v31, 1, v31
	v_cmp_eq_u32_e32 vcc, 1, v33
	v_subrev_u32_e32 v34, 64, v34
	v_add_u32_e32 v30, v30, v60
	v_cndmask_b32_e64 v31, v31, 1, vcc
.LBB203_106:                            ; =>This Loop Header: Depth=1
                                        ;     Child Loop BB203_109 Depth 2
	v_cmp_ne_u16_sdwa s[34:35], v32, v27 src0_sel:BYTE_0 src1_sel:DWORD
	v_mov_b32_e32 v46, v31
	v_cndmask_b32_e64 v31, 0, 1, s[34:35]
	;;#ASMSTART
	;;#ASMEND
	v_cmp_ne_u32_e32 vcc, 0, v31
	s_cmp_lg_u64 vcc, exec
	v_mov_b32_e32 v60, v30
	s_cbranch_scc1 .LBB203_111
; %bb.107:                              ;   in Loop: Header=BB203_106 Depth=1
	v_lshlrev_b64 v[30:31], 4, v[34:35]
	v_mov_b32_e32 v32, s53
	v_add_co_u32_e32 v36, vcc, s52, v30
	v_addc_co_u32_e32 v37, vcc, v32, v31, vcc
	;;#ASMSTART
	global_load_dwordx4 v[30:33], v[36:37] off glc	
s_waitcnt vmcnt(0)
	;;#ASMEND
	v_and_b32_e32 v33, 0xff0000, v30
	v_or_b32_sdwa v33, v30, v33 dst_sel:DWORD dst_unused:UNUSED_PAD src0_sel:WORD_0 src1_sel:DWORD
	v_and_b32_e32 v30, 0xff000000, v30
	v_and_b32_e32 v31, 0xff, v31
	v_or3_b32 v31, 0, 0, v31
	v_or3_b32 v30, v33, v30, 0
	v_cmp_eq_u16_sdwa s[48:49], v32, v35 src0_sel:BYTE_0 src1_sel:DWORD
	s_and_saveexec_b64 s[34:35], s[48:49]
	s_cbranch_execz .LBB203_105
; %bb.108:                              ;   in Loop: Header=BB203_106 Depth=1
	s_mov_b64 s[48:49], 0
.LBB203_109:                            ;   Parent Loop BB203_106 Depth=1
                                        ; =>  This Inner Loop Header: Depth=2
	;;#ASMSTART
	global_load_dwordx4 v[30:33], v[36:37] off glc	
s_waitcnt vmcnt(0)
	;;#ASMEND
	v_cmp_ne_u16_sdwa s[50:51], v32, v35 src0_sel:BYTE_0 src1_sel:DWORD
	s_or_b64 s[48:49], s[50:51], s[48:49]
	s_andn2_b64 exec, exec, s[48:49]
	s_cbranch_execnz .LBB203_109
; %bb.110:                              ;   in Loop: Header=BB203_106 Depth=1
	s_or_b64 exec, exec, s[48:49]
	v_and_b32_e32 v31, 0xff, v31
	s_branch .LBB203_105
.LBB203_111:                            ;   in Loop: Header=BB203_106 Depth=1
                                        ; implicit-def: $vgpr31
                                        ; implicit-def: $vgpr30
                                        ; implicit-def: $vgpr32
	s_cbranch_execz .LBB203_106
; %bb.112:
	s_and_saveexec_b64 s[34:35], s[28:29]
	s_cbranch_execz .LBB203_114
; %bb.113:
	s_and_b32 s44, s7, 0xff
	s_cmp_eq_u32 s44, 0
	s_cselect_b64 vcc, -1, 0
	s_bitcmp1_b32 s7, 0
	s_mov_b32 s45, 0
	s_cselect_b64 s[48:49], -1, 0
	s_add_i32 s44, s6, 64
	s_lshl_b64 s[6:7], s[44:45], 4
	v_cndmask_b32_e32 v27, 0, v60, vcc
	s_add_u32 s6, s52, s6
	v_add_u32_e32 v26, v27, v26
	v_and_b32_e32 v27, 1, v46
	s_addc_u32 s7, s53, s7
	v_mov_b32_e32 v29, 0
	v_cndmask_b32_e64 v27, v27, 1, s[48:49]
	v_mov_b32_e32 v28, 2
	v_pk_mov_b32 v[30:31], s[6:7], s[6:7] op_sel:[0,1]
	;;#ASMSTART
	global_store_dwordx4 v[30:31], v[26:29] off	
s_waitcnt vmcnt(0)
	;;#ASMEND
.LBB203_114:
	s_or_b64 exec, exec, s[34:35]
	v_cmp_eq_u32_e32 vcc, 0, v0
	s_and_b64 exec, exec, vcc
	s_cbranch_execz .LBB203_116
; %bb.115:
	v_mov_b32_e32 v26, 0
	ds_write_b32 v26, v60 offset:24
	ds_write_b8 v26, v46 offset:28
.LBB203_116:
	s_or_b64 exec, exec, s[40:41]
	s_mov_b32 s6, 0
	v_mov_b32_e32 v28, 0
	s_mov_b32 s7, 1
	s_waitcnt lgkmcnt(0)
	v_cndmask_b32_e64 v26, v45, v43, s[28:29]
	v_cndmask_b32_e64 v27, v44, v42, s[28:29]
	s_barrier
	ds_read_b32 v29, v28 offset:24
	v_cmp_gt_u64_e32 vcc, s[6:7], v[38:39]
	v_and_b32_e32 v30, 1, v39
	v_cndmask_b32_e32 v27, 0, v27, vcc
	v_and_b32_e32 v26, 1, v26
	v_cmp_eq_u32_e32 vcc, 1, v30
	v_cndmask_b32_e64 v26, v26, 1, vcc
	v_cmp_eq_u32_e32 vcc, 0, v0
	v_cndmask_b32_e32 v26, v26, v39, vcc
	v_cndmask_b32_e64 v27, v27, 0, vcc
	v_cmp_eq_u16_sdwa vcc, v26, v28 src0_sel:BYTE_0 src1_sel:DWORD
	s_waitcnt lgkmcnt(0)
	v_cndmask_b32_e32 v26, 0, v29, vcc
	v_add3_u32 v26, v27, v38, v26
	v_cndmask_b32_e64 v27, 0, v26, s[2:3]
	v_add_u32_e32 v27, v27, v2
	v_cndmask_b32_e64 v28, 0, v27, s[4:5]
	v_add_u32_e32 v42, v28, v4
	;; [unrolled: 2-line block ×13, first 2 shown]
	s_branch .LBB203_133
.LBB203_117:
                                        ; implicit-def: $vgpr49
                                        ; implicit-def: $vgpr47
                                        ; implicit-def: $vgpr45
                                        ; implicit-def: $vgpr43
                                        ; implicit-def: $vgpr34_vgpr35_vgpr36_vgpr37
                                        ; implicit-def: $vgpr30_vgpr31_vgpr32_vgpr33
                                        ; implicit-def: $vgpr26_vgpr27_vgpr28_vgpr29
	s_cbranch_execz .LBB203_133
; %bb.118:
	s_cmp_lg_u64 s[56:57], 0
	s_cselect_b32 s5, s47, 0
	s_cselect_b32 s4, s46, 0
	s_cmp_lg_u64 s[4:5], 0
	s_cselect_b64 s[6:7], -1, 0
	v_cmp_eq_u32_e32 vcc, 0, v0
	s_mov_b32 s28, 0
	v_cmp_ne_u32_e64 s[2:3], 0, v0
	s_and_b64 s[8:9], vcc, s[6:7]
	s_and_saveexec_b64 s[6:7], s[8:9]
	s_cbranch_execz .LBB203_120
; %bb.119:
	v_mov_b32_e32 v26, 0
	global_load_dword v28, v26, s[4:5]
	global_load_ubyte v29, v26, s[4:5] offset:4
	s_mov_b32 s29, 1
	v_and_b32_e32 v27, 1, v39
	v_cmp_gt_u64_e64 s[4:5], s[28:29], v[38:39]
	s_waitcnt vmcnt(1)
	v_cndmask_b32_e64 v28, 0, v28, s[4:5]
	s_waitcnt vmcnt(0)
	v_and_b32_e32 v29, 1, v29
	v_cmp_eq_u64_e64 s[4:5], 0, v[26:27]
	v_add_u32_e32 v38, v28, v38
	v_cndmask_b32_e64 v39, 1, v29, s[4:5]
.LBB203_120:
	s_or_b64 exec, exec, s[6:7]
	s_mov_b32 s29, 1
	v_cmp_gt_u64_e64 s[4:5], s[28:29], v[2:3]
	v_cndmask_b32_e64 v26, 0, v38, s[4:5]
	v_add_u32_e32 v27, v26, v2
	v_cmp_gt_u64_e64 s[6:7], s[28:29], v[4:5]
	v_cndmask_b32_e64 v26, 0, v27, s[6:7]
	v_add_u32_e32 v42, v26, v4
	;; [unrolled: 3-line block ×7, first 2 shown]
	v_cmp_gt_u64_e64 s[18:19], s[28:29], v[16:17]
	v_mov_b32_e32 v28, 0
	v_cndmask_b32_e64 v26, 0, v45, s[18:19]
	v_or3_b32 v7, v23, v15, v7
	v_add_u32_e32 v34, v26, v16
	v_cmp_gt_u64_e64 s[20:21], s[28:29], v[18:19]
	v_or3_b32 v9, v25, v17, v9
	v_and_b32_e32 v55, 1, v7
	v_mov_b32_e32 v54, v28
	v_cndmask_b32_e64 v26, 0, v34, s[20:21]
	v_or3_b32 v3, v19, v11, v3
	v_and_b32_e32 v37, 1, v9
	v_mov_b32_e32 v36, v28
	v_cmp_ne_u64_e64 s[34:35], 0, v[54:55]
	v_add_u32_e32 v35, v26, v18
	v_cmp_gt_u64_e64 s[22:23], s[28:29], v[20:21]
	v_or3_b32 v5, v21, v13, v5
	v_and_b32_e32 v29, 1, v3
	v_cndmask_b32_e64 v3, 0, 1, s[34:35]
	v_cmp_ne_u64_e64 s[34:35], 0, v[36:37]
	v_cndmask_b32_e64 v26, 0, v35, s[22:23]
	v_and_b32_e32 v33, 1, v5
	v_mov_b32_e32 v32, v28
	v_cndmask_b32_e64 v5, 0, 1, s[34:35]
	v_add_u32_e32 v46, v26, v20
	v_cmp_gt_u64_e64 s[24:25], s[28:29], v[22:23]
	v_lshlrev_b16_e32 v3, 2, v3
	v_lshlrev_b16_e32 v5, 3, v5
	v_cmp_ne_u64_e64 s[34:35], 0, v[32:33]
	v_cndmask_b32_e64 v26, 0, v46, s[24:25]
	v_or_b32_e32 v3, v5, v3
	v_cndmask_b32_e64 v5, 0, 1, s[34:35]
	v_cmp_ne_u64_e64 s[34:35], 0, v[28:29]
	v_add_u32_e32 v47, v26, v22
	v_cmp_gt_u64_e64 s[26:27], s[28:29], v[24:25]
	v_lshlrev_b16_e32 v5, 1, v5
	v_cndmask_b32_e64 v7, 0, 1, s[34:35]
	v_cndmask_b32_e64 v26, 0, v47, s[26:27]
	v_or_b32_e32 v5, v7, v5
	v_add_u32_e32 v48, v26, v24
	v_cmp_gt_u64_e64 s[28:29], s[28:29], v[40:41]
	v_and_b32_e32 v5, 3, v5
	v_cndmask_b32_e64 v26, 0, v48, s[28:29]
	v_or_b32_e32 v3, v5, v3
	v_add_u32_e32 v49, v26, v40
	v_and_b32_e32 v26, 1, v41
	v_and_b32_e32 v3, 15, v3
	v_cmp_eq_u32_e64 s[30:31], 1, v26
	v_cmp_ne_u16_e64 s[34:35], 0, v3
	s_or_b64 s[30:31], s[30:31], s[34:35]
	v_cndmask_b32_e64 v5, v39, 1, s[30:31]
	v_mbcnt_hi_u32_b32 v3, -1, v52
	v_mov_b32_dpp v9, v49 row_shr:1 row_mask:0xf bank_mask:0xf
	v_mov_b32_dpp v11, v5 row_shr:1 row_mask:0xf bank_mask:0xf
	v_cmp_eq_u32_e64 s[30:31], 0, v5
	v_and_b32_e32 v13, 1, v5
	v_and_b32_e32 v7, 15, v3
	v_cndmask_b32_e64 v9, 0, v9, s[30:31]
	v_and_b32_e32 v11, 1, v11
	v_cmp_eq_u32_e64 s[30:31], 1, v13
	v_cndmask_b32_e64 v11, v11, 1, s[30:31]
	v_cmp_eq_u32_e64 s[30:31], 0, v7
	v_cndmask_b32_e64 v5, v11, v5, s[30:31]
	v_and_b32_e32 v15, 1, v5
	v_cmp_eq_u32_e64 s[34:35], 1, v15
	v_mov_b32_dpp v13, v5 row_shr:2 row_mask:0xf bank_mask:0xf
	v_and_b32_e32 v13, 1, v13
	v_cndmask_b32_e64 v13, v13, 1, s[34:35]
	v_cmp_lt_u32_e64 s[34:35], 1, v7
	v_cndmask_b32_e64 v9, v9, 0, s[30:31]
	v_cmp_eq_u32_e64 s[30:31], 0, v5
	v_cndmask_b32_e64 v5, v5, v13, s[34:35]
	v_add_u32_e32 v9, v49, v9
	v_and_b32_e32 v15, 1, v5
	v_mov_b32_dpp v13, v5 row_shr:4 row_mask:0xf bank_mask:0xf
	v_mov_b32_dpp v11, v9 row_shr:2 row_mask:0xf bank_mask:0xf
	s_and_b64 s[30:31], s[34:35], s[30:31]
	v_and_b32_e32 v13, 1, v13
	v_cmp_eq_u32_e64 s[34:35], 1, v15
	v_cndmask_b32_e64 v11, 0, v11, s[30:31]
	v_cndmask_b32_e64 v13, v13, 1, s[34:35]
	v_cmp_lt_u32_e64 s[34:35], 3, v7
	v_add_u32_e32 v9, v9, v11
	v_cmp_eq_u32_e64 s[30:31], 0, v5
	v_cndmask_b32_e64 v5, v5, v13, s[34:35]
	v_mov_b32_dpp v11, v9 row_shr:4 row_mask:0xf bank_mask:0xf
	s_and_b64 s[30:31], s[34:35], s[30:31]
	v_mov_b32_dpp v13, v5 row_shr:8 row_mask:0xf bank_mask:0xf
	v_and_b32_e32 v15, 1, v5
	v_cndmask_b32_e64 v11, 0, v11, s[30:31]
	v_and_b32_e32 v13, 1, v13
	v_cmp_eq_u32_e64 s[34:35], 1, v15
	v_add_u32_e32 v9, v9, v11
	v_cmp_eq_u32_e64 s[30:31], 0, v5
	v_cndmask_b32_e64 v13, v13, 1, s[34:35]
	v_cmp_lt_u32_e64 s[34:35], 7, v7
	v_mov_b32_dpp v11, v9 row_shr:8 row_mask:0xf bank_mask:0xf
	s_and_b64 s[30:31], s[34:35], s[30:31]
	v_cndmask_b32_e64 v7, 0, v11, s[30:31]
	v_cndmask_b32_e64 v5, v5, v13, s[34:35]
	v_add_u32_e32 v7, v9, v7
	v_cmp_eq_u32_e64 s[30:31], 0, v5
	v_mov_b32_dpp v11, v5 row_bcast:15 row_mask:0xf bank_mask:0xf
	v_mov_b32_dpp v9, v7 row_bcast:15 row_mask:0xf bank_mask:0xf
	v_and_b32_e32 v17, 1, v5
	v_and_b32_e32 v15, 16, v3
	v_cndmask_b32_e64 v9, 0, v9, s[30:31]
	v_and_b32_e32 v11, 1, v11
	v_cmp_eq_u32_e64 s[30:31], 1, v17
	v_bfe_i32 v13, v3, 4, 1
	v_cndmask_b32_e64 v11, v11, 1, s[30:31]
	v_cmp_eq_u32_e64 s[30:31], 0, v15
	v_and_b32_e32 v9, v13, v9
	v_cndmask_b32_e64 v5, v11, v5, s[30:31]
	v_add_u32_e32 v9, v7, v9
	v_and_b32_e32 v13, 1, v5
	v_mov_b32_dpp v7, v5 row_bcast:31 row_mask:0xf bank_mask:0xf
	v_and_b32_e32 v7, 1, v7
	v_cmp_eq_u32_e64 s[34:35], 1, v13
	v_cmp_eq_u32_e64 s[30:31], 0, v5
	v_cndmask_b32_e64 v7, v7, 1, s[34:35]
	v_cmp_lt_u32_e64 s[34:35], 31, v3
	v_mov_b32_dpp v11, v9 row_bcast:31 row_mask:0xf bank_mask:0xf
	s_and_b64 s[30:31], s[34:35], s[30:31]
	v_cndmask_b32_e64 v7, v5, v7, s[34:35]
	v_cndmask_b32_e64 v5, 0, v11, s[30:31]
	v_add_u32_e32 v5, v9, v5
	v_cmp_eq_u32_e64 s[30:31], v51, v0
	s_and_saveexec_b64 s[34:35], s[30:31]
	s_cbranch_execz .LBB203_122
; %bb.121:
	v_lshlrev_b32_e32 v9, 3, v1
	ds_write_b32 v9, v5
	ds_write_b8 v9, v7 offset:4
.LBB203_122:
	s_or_b64 exec, exec, s[34:35]
	v_cmp_gt_u32_e64 s[30:31], 4, v0
	s_waitcnt lgkmcnt(0)
	s_barrier
	s_and_saveexec_b64 s[34:35], s[30:31]
	s_cbranch_execz .LBB203_126
; %bb.123:
	v_lshlrev_b32_e32 v9, 3, v0
	ds_read_b64 v[28:29], v9
	v_and_b32_e32 v11, 3, v3
	v_cmp_ne_u32_e64 s[30:31], 0, v11
	s_waitcnt lgkmcnt(0)
	v_mov_b32_dpp v13, v28 row_shr:1 row_mask:0xf bank_mask:0xf
	v_mov_b32_dpp v17, v29 row_shr:1 row_mask:0xf bank_mask:0xf
	v_mov_b32_e32 v15, v29
	s_and_saveexec_b64 s[40:41], s[30:31]
	s_cbranch_execz .LBB203_125
; %bb.124:
	v_and_b32_e32 v15, 1, v29
	v_and_b32_e32 v17, 1, v17
	v_cmp_eq_u32_e64 s[30:31], 1, v15
	v_mov_b32_e32 v15, 0
	v_cndmask_b32_e64 v17, v17, 1, s[30:31]
	v_cmp_eq_u16_sdwa s[30:31], v29, v15 src0_sel:BYTE_0 src1_sel:DWORD
	v_cndmask_b32_e64 v13, 0, v13, s[30:31]
	v_add_u32_e32 v28, v13, v28
	v_and_b32_e32 v13, 0xffff, v17
	s_movk_i32 s30, 0xff00
	v_and_or_b32 v15, v29, s30, v13
	v_mov_b32_e32 v29, v17
.LBB203_125:
	s_or_b64 exec, exec, s[40:41]
	v_mov_b32_dpp v15, v15 row_shr:2 row_mask:0xf bank_mask:0xf
	v_and_b32_e32 v17, 1, v29
	v_and_b32_e32 v15, 1, v15
	v_cmp_eq_u32_e64 s[30:31], 1, v17
	v_mov_b32_e32 v17, 0
	v_cndmask_b32_e64 v15, v15, 1, s[30:31]
	v_cmp_eq_u16_sdwa s[40:41], v29, v17 src0_sel:BYTE_0 src1_sel:DWORD
	v_cmp_lt_u32_e64 s[30:31], 1, v11
	v_mov_b32_dpp v13, v28 row_shr:2 row_mask:0xf bank_mask:0xf
	v_cndmask_b32_e64 v11, v29, v15, s[30:31]
	s_and_b64 s[30:31], s[30:31], s[40:41]
	v_cndmask_b32_e64 v13, 0, v13, s[30:31]
	v_add_u32_e32 v13, v13, v28
	ds_write_b32 v9, v13
	ds_write_b8 v9, v11 offset:4
.LBB203_126:
	s_or_b64 exec, exec, s[34:35]
	v_cmp_lt_u32_e64 s[30:31], 63, v0
	v_mov_b32_e32 v9, 0
	s_waitcnt lgkmcnt(0)
	s_barrier
	s_and_saveexec_b64 s[34:35], s[30:31]
	s_cbranch_execz .LBB203_128
; %bb.127:
	v_lshl_add_u32 v1, v1, 3, -8
	ds_read_b32 v9, v1
	v_cmp_eq_u32_e64 s[30:31], 0, v7
	s_waitcnt lgkmcnt(0)
	v_cndmask_b32_e64 v1, 0, v9, s[30:31]
	v_add_u32_e32 v5, v1, v5
.LBB203_128:
	s_or_b64 exec, exec, s[34:35]
	v_add_u32_e32 v1, -1, v3
	v_and_b32_e32 v7, 64, v3
	v_cmp_lt_i32_e64 s[30:31], v1, v7
	v_cndmask_b32_e64 v1, v1, v3, s[30:31]
	v_lshlrev_b32_e32 v1, 2, v1
	ds_bpermute_b32 v1, v1, v5
	s_and_saveexec_b64 s[30:31], s[2:3]
	s_cbranch_execz .LBB203_130
; %bb.129:
	v_and_b32_e32 v27, 0xff, v39
	v_mov_b32_e32 v26, 0
	v_cmp_eq_u32_e64 s[2:3], 0, v3
	s_waitcnt lgkmcnt(0)
	v_cndmask_b32_e64 v1, v1, v9, s[2:3]
	v_cmp_eq_u64_e64 s[2:3], 0, v[26:27]
	v_cndmask_b32_e64 v1, 0, v1, s[2:3]
	v_add_u32_e32 v38, v1, v38
	v_cndmask_b32_e64 v1, 0, v38, s[4:5]
	v_add_u32_e32 v27, v1, v2
	;; [unrolled: 2-line block ×14, first 2 shown]
	;;#ASMSTART
	;;#ASMEND
.LBB203_130:
	s_or_b64 exec, exec, s[30:31]
	s_and_saveexec_b64 s[2:3], vcc
	s_cbranch_execz .LBB203_132
; %bb.131:
	v_mov_b32_e32 v5, 0
	ds_read_b32 v2, v5 offset:24
	ds_read_u8 v3, v5 offset:28
	s_add_u32 s4, s52, 0x400
	s_addc_u32 s5, s53, 0
	v_mov_b32_e32 v4, 2
	v_pk_mov_b32 v[6:7], s[4:5], s[4:5] op_sel:[0,1]
	s_waitcnt lgkmcnt(0)
	;;#ASMSTART
	global_store_dwordx4 v[6:7], v[2:5] off	
s_waitcnt vmcnt(0)
	;;#ASMEND
.LBB203_132:
	s_or_b64 exec, exec, s[2:3]
	v_mov_b32_e32 v26, v38
.LBB203_133:
	s_add_u32 s2, s42, s38
	s_addc_u32 s3, s43, s39
	s_add_u32 s4, s2, s36
	s_waitcnt lgkmcnt(0)
	v_mul_u32_u24_e32 v1, 14, v0
	s_addc_u32 s5, s3, s37
	s_and_b64 vcc, exec, s[0:1]
	v_lshlrev_b32_e32 v2, 2, v1
	s_cbranch_vccz .LBB203_161
; %bb.134:
	s_movk_i32 s0, 0xffcc
	v_mad_i32_i24 v3, v0, s0, v2
	s_barrier
	ds_write2_b64 v2, v[26:27], v[42:43] offset1:1
	ds_write2_b64 v2, v[30:31], v[44:45] offset0:2 offset1:3
	ds_write2_b64 v2, v[34:35], v[46:47] offset0:4 offset1:5
	ds_write_b64 v2, v[48:49] offset:48
	s_waitcnt lgkmcnt(0)
	s_barrier
	ds_read2st64_b32 v[16:17], v3 offset0:4 offset1:8
	ds_read2st64_b32 v[14:15], v3 offset0:12 offset1:16
	;; [unrolled: 1-line block ×6, first 2 shown]
	ds_read_b32 v3, v3 offset:13312
	v_mov_b32_e32 v7, s5
	v_add_co_u32_e32 v6, vcc, s4, v50
	s_add_i32 s33, s33, s54
	v_addc_co_u32_e32 v7, vcc, 0, v7, vcc
	v_mov_b32_e32 v1, 0
	v_cmp_gt_u32_e32 vcc, s33, v0
	s_and_saveexec_b64 s[0:1], vcc
	s_cbranch_execz .LBB203_136
; %bb.135:
	v_mul_i32_i24_e32 v18, 0xffffffcc, v0
	v_add_u32_e32 v18, v2, v18
	ds_read_b32 v18, v18
	s_waitcnt lgkmcnt(0)
	flat_store_dword v[6:7], v18
.LBB203_136:
	s_or_b64 exec, exec, s[0:1]
	v_or_b32_e32 v18, 0x100, v0
	v_cmp_gt_u32_e32 vcc, s33, v18
	s_and_saveexec_b64 s[0:1], vcc
	s_cbranch_execz .LBB203_138
; %bb.137:
	s_waitcnt lgkmcnt(0)
	flat_store_dword v[6:7], v16 offset:1024
.LBB203_138:
	s_or_b64 exec, exec, s[0:1]
	s_waitcnt lgkmcnt(0)
	v_or_b32_e32 v16, 0x200, v0
	v_cmp_gt_u32_e32 vcc, s33, v16
	s_and_saveexec_b64 s[0:1], vcc
	s_cbranch_execz .LBB203_140
; %bb.139:
	flat_store_dword v[6:7], v17 offset:2048
.LBB203_140:
	s_or_b64 exec, exec, s[0:1]
	v_or_b32_e32 v16, 0x300, v0
	v_cmp_gt_u32_e32 vcc, s33, v16
	s_and_saveexec_b64 s[0:1], vcc
	s_cbranch_execz .LBB203_142
; %bb.141:
	flat_store_dword v[6:7], v14 offset:3072
.LBB203_142:
	s_or_b64 exec, exec, s[0:1]
	v_or_b32_e32 v14, 0x400, v0
	v_cmp_gt_u32_e32 vcc, s33, v14
	s_and_saveexec_b64 s[0:1], vcc
	s_cbranch_execz .LBB203_144
; %bb.143:
	v_add_co_u32_e32 v16, vcc, 0x1000, v6
	v_addc_co_u32_e32 v17, vcc, 0, v7, vcc
	flat_store_dword v[16:17], v15
.LBB203_144:
	s_or_b64 exec, exec, s[0:1]
	v_or_b32_e32 v14, 0x500, v0
	v_cmp_gt_u32_e32 vcc, s33, v14
	s_and_saveexec_b64 s[0:1], vcc
	s_cbranch_execz .LBB203_146
; %bb.145:
	v_add_co_u32_e32 v14, vcc, 0x1000, v6
	v_addc_co_u32_e32 v15, vcc, 0, v7, vcc
	flat_store_dword v[14:15], v12 offset:1024
.LBB203_146:
	s_or_b64 exec, exec, s[0:1]
	v_or_b32_e32 v12, 0x600, v0
	v_cmp_gt_u32_e32 vcc, s33, v12
	s_and_saveexec_b64 s[0:1], vcc
	s_cbranch_execz .LBB203_148
; %bb.147:
	v_add_co_u32_e32 v14, vcc, 0x1000, v6
	v_addc_co_u32_e32 v15, vcc, 0, v7, vcc
	flat_store_dword v[14:15], v13 offset:2048
.LBB203_148:
	;; [unrolled: 10-line block ×3, first 2 shown]
	s_or_b64 exec, exec, s[0:1]
	v_or_b32_e32 v10, 0x800, v0
	v_cmp_gt_u32_e32 vcc, s33, v10
	s_and_saveexec_b64 s[0:1], vcc
	s_cbranch_execz .LBB203_152
; %bb.151:
	v_add_co_u32_e32 v12, vcc, 0x2000, v6
	v_addc_co_u32_e32 v13, vcc, 0, v7, vcc
	flat_store_dword v[12:13], v11
.LBB203_152:
	s_or_b64 exec, exec, s[0:1]
	v_or_b32_e32 v10, 0x900, v0
	v_cmp_gt_u32_e32 vcc, s33, v10
	s_and_saveexec_b64 s[0:1], vcc
	s_cbranch_execz .LBB203_154
; %bb.153:
	v_add_co_u32_e32 v10, vcc, 0x2000, v6
	v_addc_co_u32_e32 v11, vcc, 0, v7, vcc
	flat_store_dword v[10:11], v8 offset:1024
.LBB203_154:
	s_or_b64 exec, exec, s[0:1]
	v_or_b32_e32 v8, 0xa00, v0
	v_cmp_gt_u32_e32 vcc, s33, v8
	s_and_saveexec_b64 s[0:1], vcc
	s_cbranch_execz .LBB203_156
; %bb.155:
	v_add_co_u32_e32 v10, vcc, 0x2000, v6
	v_addc_co_u32_e32 v11, vcc, 0, v7, vcc
	flat_store_dword v[10:11], v9 offset:2048
.LBB203_156:
	;; [unrolled: 10-line block ×3, first 2 shown]
	s_or_b64 exec, exec, s[0:1]
	v_or_b32_e32 v4, 0xc00, v0
	v_cmp_gt_u32_e32 vcc, s33, v4
	s_and_saveexec_b64 s[0:1], vcc
	s_cbranch_execz .LBB203_160
; %bb.159:
	v_add_co_u32_e32 v6, vcc, 0x3000, v6
	v_addc_co_u32_e32 v7, vcc, 0, v7, vcc
	flat_store_dword v[6:7], v5
.LBB203_160:
	s_or_b64 exec, exec, s[0:1]
	v_or_b32_e32 v4, 0xd00, v0
	v_cmp_gt_u32_e64 s[0:1], s33, v4
	s_branch .LBB203_163
.LBB203_161:
	s_mov_b64 s[0:1], 0
                                        ; implicit-def: $vgpr3
	s_cbranch_execz .LBB203_163
; %bb.162:
	s_movk_i32 s2, 0xffcc
	s_waitcnt lgkmcnt(0)
	s_barrier
	ds_write2_b64 v2, v[26:27], v[42:43] offset1:1
	ds_write2_b64 v2, v[30:31], v[44:45] offset0:2 offset1:3
	ds_write2_b64 v2, v[34:35], v[46:47] offset0:4 offset1:5
	ds_write_b64 v2, v[48:49] offset:48
	v_mad_i32_i24 v2, v0, s2, v2
	v_mov_b32_e32 v17, s5
	v_add_co_u32_e32 v16, vcc, s4, v50
	s_waitcnt lgkmcnt(0)
	s_barrier
	ds_read2st64_b32 v[4:5], v2 offset1:4
	ds_read2st64_b32 v[6:7], v2 offset0:8 offset1:12
	ds_read2st64_b32 v[8:9], v2 offset0:16 offset1:20
	;; [unrolled: 1-line block ×6, first 2 shown]
	v_addc_co_u32_e32 v17, vcc, 0, v17, vcc
	s_movk_i32 s2, 0x1000
	s_waitcnt lgkmcnt(0)
	flat_store_dword v[16:17], v4
	flat_store_dword v[16:17], v5 offset:1024
	flat_store_dword v[16:17], v6 offset:2048
	;; [unrolled: 1-line block ×3, first 2 shown]
	v_add_co_u32_e32 v4, vcc, s2, v16
	v_addc_co_u32_e32 v5, vcc, 0, v17, vcc
	flat_store_dword v[4:5], v8
	flat_store_dword v[4:5], v9 offset:1024
	flat_store_dword v[4:5], v10 offset:2048
	;; [unrolled: 1-line block ×3, first 2 shown]
	v_add_co_u32_e32 v4, vcc, 0x2000, v16
	v_addc_co_u32_e32 v5, vcc, 0, v17, vcc
	flat_store_dword v[4:5], v12
	flat_store_dword v[4:5], v13 offset:1024
	flat_store_dword v[4:5], v14 offset:2048
	;; [unrolled: 1-line block ×3, first 2 shown]
	v_add_co_u32_e32 v4, vcc, 0x3000, v16
	v_mov_b32_e32 v1, 0
	v_addc_co_u32_e32 v5, vcc, 0, v17, vcc
	s_or_b64 s[0:1], s[0:1], exec
	flat_store_dword v[4:5], v2
.LBB203_163:
	s_and_saveexec_b64 s[2:3], s[0:1]
	s_cbranch_execnz .LBB203_165
; %bb.164:
	s_endpgm
.LBB203_165:
	v_lshlrev_b64 v[0:1], 2, v[0:1]
	v_mov_b32_e32 v2, s5
	v_add_co_u32_e32 v0, vcc, s4, v0
	v_addc_co_u32_e32 v1, vcc, v2, v1, vcc
	v_add_co_u32_e32 v0, vcc, 0x3000, v0
	v_addc_co_u32_e32 v1, vcc, 0, v1, vcc
	flat_store_dword v[0:1], v3 offset:1024
	s_endpgm
.LBB203_166:
	v_mov_b32_e32 v13, s55
	v_add_co_u32_e32 v14, vcc, s7, v12
	v_addc_co_u32_e32 v15, vcc, 0, v13, vcc
	flat_load_dword v13, v[14:15]
	s_or_b64 exec, exec, s[44:45]
                                        ; implicit-def: $vgpr14
	s_and_saveexec_b64 s[2:3], s[4:5]
	s_cbranch_execz .LBB203_37
.LBB203_167:
	v_mov_b32_e32 v15, s55
	v_add_co_u32_e32 v14, vcc, s7, v12
	v_addc_co_u32_e32 v15, vcc, 0, v15, vcc
	flat_load_dword v14, v[14:15] offset:1024
	s_or_b64 exec, exec, s[2:3]
                                        ; implicit-def: $vgpr15
	s_and_saveexec_b64 s[2:3], s[30:31]
	s_cbranch_execz .LBB203_38
.LBB203_168:
	v_mov_b32_e32 v15, s55
	v_add_co_u32_e32 v16, vcc, s7, v12
	v_addc_co_u32_e32 v17, vcc, 0, v15, vcc
	flat_load_dword v15, v[16:17] offset:2048
	s_or_b64 exec, exec, s[2:3]
                                        ; implicit-def: $vgpr16
	s_and_saveexec_b64 s[2:3], s[8:9]
	s_cbranch_execz .LBB203_39
.LBB203_169:
	v_mov_b32_e32 v17, s55
	v_add_co_u32_e32 v16, vcc, s7, v12
	v_addc_co_u32_e32 v17, vcc, 0, v17, vcc
	flat_load_dword v16, v[16:17] offset:3072
	s_or_b64 exec, exec, s[2:3]
                                        ; implicit-def: $vgpr17
	s_and_saveexec_b64 s[2:3], s[10:11]
	s_cbranch_execz .LBB203_40
.LBB203_170:
	v_mov_b32_e32 v17, s55
	v_add_co_u32_e32 v18, vcc, s7, v2
	v_addc_co_u32_e32 v19, vcc, 0, v17, vcc
	flat_load_dword v17, v[18:19]
	s_or_b64 exec, exec, s[2:3]
                                        ; implicit-def: $vgpr2
	s_and_saveexec_b64 s[2:3], s[12:13]
	s_cbranch_execz .LBB203_41
.LBB203_171:
	v_mov_b32_e32 v18, s55
	v_add_co_u32_e32 v2, vcc, s7, v3
	v_addc_co_u32_e32 v3, vcc, 0, v18, vcc
	flat_load_dword v2, v[2:3]
	s_or_b64 exec, exec, s[2:3]
                                        ; implicit-def: $vgpr3
	s_and_saveexec_b64 s[2:3], s[14:15]
	s_cbranch_execz .LBB203_42
.LBB203_172:
	v_mov_b32_e32 v3, s55
	v_add_co_u32_e32 v18, vcc, s7, v4
	v_addc_co_u32_e32 v19, vcc, 0, v3, vcc
	flat_load_dword v3, v[18:19]
	s_or_b64 exec, exec, s[2:3]
                                        ; implicit-def: $vgpr4
	s_and_saveexec_b64 s[2:3], s[16:17]
	s_cbranch_execz .LBB203_43
.LBB203_173:
	v_mov_b32_e32 v18, s55
	v_add_co_u32_e32 v4, vcc, s7, v5
	v_addc_co_u32_e32 v5, vcc, 0, v18, vcc
	flat_load_dword v4, v[4:5]
	s_or_b64 exec, exec, s[2:3]
                                        ; implicit-def: $vgpr5
	s_and_saveexec_b64 s[2:3], s[18:19]
	s_cbranch_execz .LBB203_44
.LBB203_174:
	v_mov_b32_e32 v5, s55
	v_add_co_u32_e32 v18, vcc, s7, v6
	v_addc_co_u32_e32 v19, vcc, 0, v5, vcc
	flat_load_dword v5, v[18:19]
	s_or_b64 exec, exec, s[2:3]
                                        ; implicit-def: $vgpr6
	s_and_saveexec_b64 s[2:3], s[20:21]
	s_cbranch_execz .LBB203_45
.LBB203_175:
	v_mov_b32_e32 v18, s55
	v_add_co_u32_e32 v6, vcc, s7, v7
	v_addc_co_u32_e32 v7, vcc, 0, v18, vcc
	flat_load_dword v6, v[6:7]
	s_or_b64 exec, exec, s[2:3]
                                        ; implicit-def: $vgpr7
	s_and_saveexec_b64 s[2:3], s[22:23]
	s_cbranch_execz .LBB203_46
.LBB203_176:
	v_mov_b32_e32 v7, s55
	v_add_co_u32_e32 v18, vcc, s7, v8
	v_addc_co_u32_e32 v19, vcc, 0, v7, vcc
	flat_load_dword v7, v[18:19]
	s_or_b64 exec, exec, s[2:3]
                                        ; implicit-def: $vgpr8
	s_and_saveexec_b64 s[2:3], s[24:25]
	s_cbranch_execz .LBB203_47
.LBB203_177:
	v_mov_b32_e32 v18, s55
	v_add_co_u32_e32 v8, vcc, s7, v9
	v_addc_co_u32_e32 v9, vcc, 0, v18, vcc
	flat_load_dword v8, v[8:9]
	s_or_b64 exec, exec, s[2:3]
                                        ; implicit-def: $vgpr9
	s_and_saveexec_b64 s[2:3], s[26:27]
	s_cbranch_execz .LBB203_48
.LBB203_178:
	v_mov_b32_e32 v9, s55
	v_add_co_u32_e32 v18, vcc, s7, v10
	v_addc_co_u32_e32 v19, vcc, 0, v9, vcc
	flat_load_dword v9, v[18:19]
	s_or_b64 exec, exec, s[2:3]
                                        ; implicit-def: $vgpr10
	s_and_saveexec_b64 s[2:3], s[28:29]
	s_cbranch_execnz .LBB203_49
	s_branch .LBB203_50
.LBB203_179:
                                        ; implicit-def: $sgpr44_sgpr45
	s_branch .LBB203_32
.LBB203_180:
                                        ; implicit-def: $sgpr2_sgpr3
	s_branch .LBB203_81
	.section	.rodata,"a",@progbits
	.p2align	6, 0x0
	.amdhsa_kernel _ZN7rocprim17ROCPRIM_400000_NS6detail17trampoline_kernelINS0_14default_configENS1_27scan_by_key_config_selectorIiiEEZZNS1_16scan_by_key_implILNS1_25lookback_scan_determinismE0ELb0ES3_N6thrust23THRUST_200600_302600_NS6detail15normal_iteratorINS9_10device_ptrIiEEEESE_SE_iNS9_4plusIvEENS9_8equal_toIiEEiEE10hipError_tPvRmT2_T3_T4_T5_mT6_T7_P12ihipStream_tbENKUlT_T0_E_clISt17integral_constantIbLb0EESZ_EEDaSU_SV_EUlSU_E_NS1_11comp_targetILNS1_3genE4ELNS1_11target_archE910ELNS1_3gpuE8ELNS1_3repE0EEENS1_30default_config_static_selectorELNS0_4arch9wavefront6targetE1EEEvT1_
		.amdhsa_group_segment_fixed_size 16384
		.amdhsa_private_segment_fixed_size 0
		.amdhsa_kernarg_size 112
		.amdhsa_user_sgpr_count 6
		.amdhsa_user_sgpr_private_segment_buffer 1
		.amdhsa_user_sgpr_dispatch_ptr 0
		.amdhsa_user_sgpr_queue_ptr 0
		.amdhsa_user_sgpr_kernarg_segment_ptr 1
		.amdhsa_user_sgpr_dispatch_id 0
		.amdhsa_user_sgpr_flat_scratch_init 0
		.amdhsa_user_sgpr_kernarg_preload_length 0
		.amdhsa_user_sgpr_kernarg_preload_offset 0
		.amdhsa_user_sgpr_private_segment_size 0
		.amdhsa_uses_dynamic_stack 0
		.amdhsa_system_sgpr_private_segment_wavefront_offset 0
		.amdhsa_system_sgpr_workgroup_id_x 1
		.amdhsa_system_sgpr_workgroup_id_y 0
		.amdhsa_system_sgpr_workgroup_id_z 0
		.amdhsa_system_sgpr_workgroup_info 0
		.amdhsa_system_vgpr_workitem_id 0
		.amdhsa_next_free_vgpr 65
		.amdhsa_next_free_sgpr 61
		.amdhsa_accum_offset 68
		.amdhsa_reserve_vcc 1
		.amdhsa_reserve_flat_scratch 0
		.amdhsa_float_round_mode_32 0
		.amdhsa_float_round_mode_16_64 0
		.amdhsa_float_denorm_mode_32 3
		.amdhsa_float_denorm_mode_16_64 3
		.amdhsa_dx10_clamp 1
		.amdhsa_ieee_mode 1
		.amdhsa_fp16_overflow 0
		.amdhsa_tg_split 0
		.amdhsa_exception_fp_ieee_invalid_op 0
		.amdhsa_exception_fp_denorm_src 0
		.amdhsa_exception_fp_ieee_div_zero 0
		.amdhsa_exception_fp_ieee_overflow 0
		.amdhsa_exception_fp_ieee_underflow 0
		.amdhsa_exception_fp_ieee_inexact 0
		.amdhsa_exception_int_div_zero 0
	.end_amdhsa_kernel
	.section	.text._ZN7rocprim17ROCPRIM_400000_NS6detail17trampoline_kernelINS0_14default_configENS1_27scan_by_key_config_selectorIiiEEZZNS1_16scan_by_key_implILNS1_25lookback_scan_determinismE0ELb0ES3_N6thrust23THRUST_200600_302600_NS6detail15normal_iteratorINS9_10device_ptrIiEEEESE_SE_iNS9_4plusIvEENS9_8equal_toIiEEiEE10hipError_tPvRmT2_T3_T4_T5_mT6_T7_P12ihipStream_tbENKUlT_T0_E_clISt17integral_constantIbLb0EESZ_EEDaSU_SV_EUlSU_E_NS1_11comp_targetILNS1_3genE4ELNS1_11target_archE910ELNS1_3gpuE8ELNS1_3repE0EEENS1_30default_config_static_selectorELNS0_4arch9wavefront6targetE1EEEvT1_,"axG",@progbits,_ZN7rocprim17ROCPRIM_400000_NS6detail17trampoline_kernelINS0_14default_configENS1_27scan_by_key_config_selectorIiiEEZZNS1_16scan_by_key_implILNS1_25lookback_scan_determinismE0ELb0ES3_N6thrust23THRUST_200600_302600_NS6detail15normal_iteratorINS9_10device_ptrIiEEEESE_SE_iNS9_4plusIvEENS9_8equal_toIiEEiEE10hipError_tPvRmT2_T3_T4_T5_mT6_T7_P12ihipStream_tbENKUlT_T0_E_clISt17integral_constantIbLb0EESZ_EEDaSU_SV_EUlSU_E_NS1_11comp_targetILNS1_3genE4ELNS1_11target_archE910ELNS1_3gpuE8ELNS1_3repE0EEENS1_30default_config_static_selectorELNS0_4arch9wavefront6targetE1EEEvT1_,comdat
.Lfunc_end203:
	.size	_ZN7rocprim17ROCPRIM_400000_NS6detail17trampoline_kernelINS0_14default_configENS1_27scan_by_key_config_selectorIiiEEZZNS1_16scan_by_key_implILNS1_25lookback_scan_determinismE0ELb0ES3_N6thrust23THRUST_200600_302600_NS6detail15normal_iteratorINS9_10device_ptrIiEEEESE_SE_iNS9_4plusIvEENS9_8equal_toIiEEiEE10hipError_tPvRmT2_T3_T4_T5_mT6_T7_P12ihipStream_tbENKUlT_T0_E_clISt17integral_constantIbLb0EESZ_EEDaSU_SV_EUlSU_E_NS1_11comp_targetILNS1_3genE4ELNS1_11target_archE910ELNS1_3gpuE8ELNS1_3repE0EEENS1_30default_config_static_selectorELNS0_4arch9wavefront6targetE1EEEvT1_, .Lfunc_end203-_ZN7rocprim17ROCPRIM_400000_NS6detail17trampoline_kernelINS0_14default_configENS1_27scan_by_key_config_selectorIiiEEZZNS1_16scan_by_key_implILNS1_25lookback_scan_determinismE0ELb0ES3_N6thrust23THRUST_200600_302600_NS6detail15normal_iteratorINS9_10device_ptrIiEEEESE_SE_iNS9_4plusIvEENS9_8equal_toIiEEiEE10hipError_tPvRmT2_T3_T4_T5_mT6_T7_P12ihipStream_tbENKUlT_T0_E_clISt17integral_constantIbLb0EESZ_EEDaSU_SV_EUlSU_E_NS1_11comp_targetILNS1_3genE4ELNS1_11target_archE910ELNS1_3gpuE8ELNS1_3repE0EEENS1_30default_config_static_selectorELNS0_4arch9wavefront6targetE1EEEvT1_
                                        ; -- End function
	.section	.AMDGPU.csdata,"",@progbits
; Kernel info:
; codeLenInByte = 10908
; NumSgprs: 65
; NumVgprs: 65
; NumAgprs: 0
; TotalNumVgprs: 65
; ScratchSize: 0
; MemoryBound: 0
; FloatMode: 240
; IeeeMode: 1
; LDSByteSize: 16384 bytes/workgroup (compile time only)
; SGPRBlocks: 8
; VGPRBlocks: 8
; NumSGPRsForWavesPerEU: 65
; NumVGPRsForWavesPerEU: 65
; AccumOffset: 68
; Occupancy: 4
; WaveLimiterHint : 1
; COMPUTE_PGM_RSRC2:SCRATCH_EN: 0
; COMPUTE_PGM_RSRC2:USER_SGPR: 6
; COMPUTE_PGM_RSRC2:TRAP_HANDLER: 0
; COMPUTE_PGM_RSRC2:TGID_X_EN: 1
; COMPUTE_PGM_RSRC2:TGID_Y_EN: 0
; COMPUTE_PGM_RSRC2:TGID_Z_EN: 0
; COMPUTE_PGM_RSRC2:TIDIG_COMP_CNT: 0
; COMPUTE_PGM_RSRC3_GFX90A:ACCUM_OFFSET: 16
; COMPUTE_PGM_RSRC3_GFX90A:TG_SPLIT: 0
	.section	.text._ZN7rocprim17ROCPRIM_400000_NS6detail17trampoline_kernelINS0_14default_configENS1_27scan_by_key_config_selectorIiiEEZZNS1_16scan_by_key_implILNS1_25lookback_scan_determinismE0ELb0ES3_N6thrust23THRUST_200600_302600_NS6detail15normal_iteratorINS9_10device_ptrIiEEEESE_SE_iNS9_4plusIvEENS9_8equal_toIiEEiEE10hipError_tPvRmT2_T3_T4_T5_mT6_T7_P12ihipStream_tbENKUlT_T0_E_clISt17integral_constantIbLb0EESZ_EEDaSU_SV_EUlSU_E_NS1_11comp_targetILNS1_3genE3ELNS1_11target_archE908ELNS1_3gpuE7ELNS1_3repE0EEENS1_30default_config_static_selectorELNS0_4arch9wavefront6targetE1EEEvT1_,"axG",@progbits,_ZN7rocprim17ROCPRIM_400000_NS6detail17trampoline_kernelINS0_14default_configENS1_27scan_by_key_config_selectorIiiEEZZNS1_16scan_by_key_implILNS1_25lookback_scan_determinismE0ELb0ES3_N6thrust23THRUST_200600_302600_NS6detail15normal_iteratorINS9_10device_ptrIiEEEESE_SE_iNS9_4plusIvEENS9_8equal_toIiEEiEE10hipError_tPvRmT2_T3_T4_T5_mT6_T7_P12ihipStream_tbENKUlT_T0_E_clISt17integral_constantIbLb0EESZ_EEDaSU_SV_EUlSU_E_NS1_11comp_targetILNS1_3genE3ELNS1_11target_archE908ELNS1_3gpuE7ELNS1_3repE0EEENS1_30default_config_static_selectorELNS0_4arch9wavefront6targetE1EEEvT1_,comdat
	.protected	_ZN7rocprim17ROCPRIM_400000_NS6detail17trampoline_kernelINS0_14default_configENS1_27scan_by_key_config_selectorIiiEEZZNS1_16scan_by_key_implILNS1_25lookback_scan_determinismE0ELb0ES3_N6thrust23THRUST_200600_302600_NS6detail15normal_iteratorINS9_10device_ptrIiEEEESE_SE_iNS9_4plusIvEENS9_8equal_toIiEEiEE10hipError_tPvRmT2_T3_T4_T5_mT6_T7_P12ihipStream_tbENKUlT_T0_E_clISt17integral_constantIbLb0EESZ_EEDaSU_SV_EUlSU_E_NS1_11comp_targetILNS1_3genE3ELNS1_11target_archE908ELNS1_3gpuE7ELNS1_3repE0EEENS1_30default_config_static_selectorELNS0_4arch9wavefront6targetE1EEEvT1_ ; -- Begin function _ZN7rocprim17ROCPRIM_400000_NS6detail17trampoline_kernelINS0_14default_configENS1_27scan_by_key_config_selectorIiiEEZZNS1_16scan_by_key_implILNS1_25lookback_scan_determinismE0ELb0ES3_N6thrust23THRUST_200600_302600_NS6detail15normal_iteratorINS9_10device_ptrIiEEEESE_SE_iNS9_4plusIvEENS9_8equal_toIiEEiEE10hipError_tPvRmT2_T3_T4_T5_mT6_T7_P12ihipStream_tbENKUlT_T0_E_clISt17integral_constantIbLb0EESZ_EEDaSU_SV_EUlSU_E_NS1_11comp_targetILNS1_3genE3ELNS1_11target_archE908ELNS1_3gpuE7ELNS1_3repE0EEENS1_30default_config_static_selectorELNS0_4arch9wavefront6targetE1EEEvT1_
	.globl	_ZN7rocprim17ROCPRIM_400000_NS6detail17trampoline_kernelINS0_14default_configENS1_27scan_by_key_config_selectorIiiEEZZNS1_16scan_by_key_implILNS1_25lookback_scan_determinismE0ELb0ES3_N6thrust23THRUST_200600_302600_NS6detail15normal_iteratorINS9_10device_ptrIiEEEESE_SE_iNS9_4plusIvEENS9_8equal_toIiEEiEE10hipError_tPvRmT2_T3_T4_T5_mT6_T7_P12ihipStream_tbENKUlT_T0_E_clISt17integral_constantIbLb0EESZ_EEDaSU_SV_EUlSU_E_NS1_11comp_targetILNS1_3genE3ELNS1_11target_archE908ELNS1_3gpuE7ELNS1_3repE0EEENS1_30default_config_static_selectorELNS0_4arch9wavefront6targetE1EEEvT1_
	.p2align	8
	.type	_ZN7rocprim17ROCPRIM_400000_NS6detail17trampoline_kernelINS0_14default_configENS1_27scan_by_key_config_selectorIiiEEZZNS1_16scan_by_key_implILNS1_25lookback_scan_determinismE0ELb0ES3_N6thrust23THRUST_200600_302600_NS6detail15normal_iteratorINS9_10device_ptrIiEEEESE_SE_iNS9_4plusIvEENS9_8equal_toIiEEiEE10hipError_tPvRmT2_T3_T4_T5_mT6_T7_P12ihipStream_tbENKUlT_T0_E_clISt17integral_constantIbLb0EESZ_EEDaSU_SV_EUlSU_E_NS1_11comp_targetILNS1_3genE3ELNS1_11target_archE908ELNS1_3gpuE7ELNS1_3repE0EEENS1_30default_config_static_selectorELNS0_4arch9wavefront6targetE1EEEvT1_,@function
_ZN7rocprim17ROCPRIM_400000_NS6detail17trampoline_kernelINS0_14default_configENS1_27scan_by_key_config_selectorIiiEEZZNS1_16scan_by_key_implILNS1_25lookback_scan_determinismE0ELb0ES3_N6thrust23THRUST_200600_302600_NS6detail15normal_iteratorINS9_10device_ptrIiEEEESE_SE_iNS9_4plusIvEENS9_8equal_toIiEEiEE10hipError_tPvRmT2_T3_T4_T5_mT6_T7_P12ihipStream_tbENKUlT_T0_E_clISt17integral_constantIbLb0EESZ_EEDaSU_SV_EUlSU_E_NS1_11comp_targetILNS1_3genE3ELNS1_11target_archE908ELNS1_3gpuE7ELNS1_3repE0EEENS1_30default_config_static_selectorELNS0_4arch9wavefront6targetE1EEEvT1_: ; @_ZN7rocprim17ROCPRIM_400000_NS6detail17trampoline_kernelINS0_14default_configENS1_27scan_by_key_config_selectorIiiEEZZNS1_16scan_by_key_implILNS1_25lookback_scan_determinismE0ELb0ES3_N6thrust23THRUST_200600_302600_NS6detail15normal_iteratorINS9_10device_ptrIiEEEESE_SE_iNS9_4plusIvEENS9_8equal_toIiEEiEE10hipError_tPvRmT2_T3_T4_T5_mT6_T7_P12ihipStream_tbENKUlT_T0_E_clISt17integral_constantIbLb0EESZ_EEDaSU_SV_EUlSU_E_NS1_11comp_targetILNS1_3genE3ELNS1_11target_archE908ELNS1_3gpuE7ELNS1_3repE0EEENS1_30default_config_static_selectorELNS0_4arch9wavefront6targetE1EEEvT1_
; %bb.0:
	.section	.rodata,"a",@progbits
	.p2align	6, 0x0
	.amdhsa_kernel _ZN7rocprim17ROCPRIM_400000_NS6detail17trampoline_kernelINS0_14default_configENS1_27scan_by_key_config_selectorIiiEEZZNS1_16scan_by_key_implILNS1_25lookback_scan_determinismE0ELb0ES3_N6thrust23THRUST_200600_302600_NS6detail15normal_iteratorINS9_10device_ptrIiEEEESE_SE_iNS9_4plusIvEENS9_8equal_toIiEEiEE10hipError_tPvRmT2_T3_T4_T5_mT6_T7_P12ihipStream_tbENKUlT_T0_E_clISt17integral_constantIbLb0EESZ_EEDaSU_SV_EUlSU_E_NS1_11comp_targetILNS1_3genE3ELNS1_11target_archE908ELNS1_3gpuE7ELNS1_3repE0EEENS1_30default_config_static_selectorELNS0_4arch9wavefront6targetE1EEEvT1_
		.amdhsa_group_segment_fixed_size 0
		.amdhsa_private_segment_fixed_size 0
		.amdhsa_kernarg_size 112
		.amdhsa_user_sgpr_count 6
		.amdhsa_user_sgpr_private_segment_buffer 1
		.amdhsa_user_sgpr_dispatch_ptr 0
		.amdhsa_user_sgpr_queue_ptr 0
		.amdhsa_user_sgpr_kernarg_segment_ptr 1
		.amdhsa_user_sgpr_dispatch_id 0
		.amdhsa_user_sgpr_flat_scratch_init 0
		.amdhsa_user_sgpr_kernarg_preload_length 0
		.amdhsa_user_sgpr_kernarg_preload_offset 0
		.amdhsa_user_sgpr_private_segment_size 0
		.amdhsa_uses_dynamic_stack 0
		.amdhsa_system_sgpr_private_segment_wavefront_offset 0
		.amdhsa_system_sgpr_workgroup_id_x 1
		.amdhsa_system_sgpr_workgroup_id_y 0
		.amdhsa_system_sgpr_workgroup_id_z 0
		.amdhsa_system_sgpr_workgroup_info 0
		.amdhsa_system_vgpr_workitem_id 0
		.amdhsa_next_free_vgpr 1
		.amdhsa_next_free_sgpr 0
		.amdhsa_accum_offset 4
		.amdhsa_reserve_vcc 0
		.amdhsa_reserve_flat_scratch 0
		.amdhsa_float_round_mode_32 0
		.amdhsa_float_round_mode_16_64 0
		.amdhsa_float_denorm_mode_32 3
		.amdhsa_float_denorm_mode_16_64 3
		.amdhsa_dx10_clamp 1
		.amdhsa_ieee_mode 1
		.amdhsa_fp16_overflow 0
		.amdhsa_tg_split 0
		.amdhsa_exception_fp_ieee_invalid_op 0
		.amdhsa_exception_fp_denorm_src 0
		.amdhsa_exception_fp_ieee_div_zero 0
		.amdhsa_exception_fp_ieee_overflow 0
		.amdhsa_exception_fp_ieee_underflow 0
		.amdhsa_exception_fp_ieee_inexact 0
		.amdhsa_exception_int_div_zero 0
	.end_amdhsa_kernel
	.section	.text._ZN7rocprim17ROCPRIM_400000_NS6detail17trampoline_kernelINS0_14default_configENS1_27scan_by_key_config_selectorIiiEEZZNS1_16scan_by_key_implILNS1_25lookback_scan_determinismE0ELb0ES3_N6thrust23THRUST_200600_302600_NS6detail15normal_iteratorINS9_10device_ptrIiEEEESE_SE_iNS9_4plusIvEENS9_8equal_toIiEEiEE10hipError_tPvRmT2_T3_T4_T5_mT6_T7_P12ihipStream_tbENKUlT_T0_E_clISt17integral_constantIbLb0EESZ_EEDaSU_SV_EUlSU_E_NS1_11comp_targetILNS1_3genE3ELNS1_11target_archE908ELNS1_3gpuE7ELNS1_3repE0EEENS1_30default_config_static_selectorELNS0_4arch9wavefront6targetE1EEEvT1_,"axG",@progbits,_ZN7rocprim17ROCPRIM_400000_NS6detail17trampoline_kernelINS0_14default_configENS1_27scan_by_key_config_selectorIiiEEZZNS1_16scan_by_key_implILNS1_25lookback_scan_determinismE0ELb0ES3_N6thrust23THRUST_200600_302600_NS6detail15normal_iteratorINS9_10device_ptrIiEEEESE_SE_iNS9_4plusIvEENS9_8equal_toIiEEiEE10hipError_tPvRmT2_T3_T4_T5_mT6_T7_P12ihipStream_tbENKUlT_T0_E_clISt17integral_constantIbLb0EESZ_EEDaSU_SV_EUlSU_E_NS1_11comp_targetILNS1_3genE3ELNS1_11target_archE908ELNS1_3gpuE7ELNS1_3repE0EEENS1_30default_config_static_selectorELNS0_4arch9wavefront6targetE1EEEvT1_,comdat
.Lfunc_end204:
	.size	_ZN7rocprim17ROCPRIM_400000_NS6detail17trampoline_kernelINS0_14default_configENS1_27scan_by_key_config_selectorIiiEEZZNS1_16scan_by_key_implILNS1_25lookback_scan_determinismE0ELb0ES3_N6thrust23THRUST_200600_302600_NS6detail15normal_iteratorINS9_10device_ptrIiEEEESE_SE_iNS9_4plusIvEENS9_8equal_toIiEEiEE10hipError_tPvRmT2_T3_T4_T5_mT6_T7_P12ihipStream_tbENKUlT_T0_E_clISt17integral_constantIbLb0EESZ_EEDaSU_SV_EUlSU_E_NS1_11comp_targetILNS1_3genE3ELNS1_11target_archE908ELNS1_3gpuE7ELNS1_3repE0EEENS1_30default_config_static_selectorELNS0_4arch9wavefront6targetE1EEEvT1_, .Lfunc_end204-_ZN7rocprim17ROCPRIM_400000_NS6detail17trampoline_kernelINS0_14default_configENS1_27scan_by_key_config_selectorIiiEEZZNS1_16scan_by_key_implILNS1_25lookback_scan_determinismE0ELb0ES3_N6thrust23THRUST_200600_302600_NS6detail15normal_iteratorINS9_10device_ptrIiEEEESE_SE_iNS9_4plusIvEENS9_8equal_toIiEEiEE10hipError_tPvRmT2_T3_T4_T5_mT6_T7_P12ihipStream_tbENKUlT_T0_E_clISt17integral_constantIbLb0EESZ_EEDaSU_SV_EUlSU_E_NS1_11comp_targetILNS1_3genE3ELNS1_11target_archE908ELNS1_3gpuE7ELNS1_3repE0EEENS1_30default_config_static_selectorELNS0_4arch9wavefront6targetE1EEEvT1_
                                        ; -- End function
	.section	.AMDGPU.csdata,"",@progbits
; Kernel info:
; codeLenInByte = 0
; NumSgprs: 4
; NumVgprs: 0
; NumAgprs: 0
; TotalNumVgprs: 0
; ScratchSize: 0
; MemoryBound: 0
; FloatMode: 240
; IeeeMode: 1
; LDSByteSize: 0 bytes/workgroup (compile time only)
; SGPRBlocks: 0
; VGPRBlocks: 0
; NumSGPRsForWavesPerEU: 4
; NumVGPRsForWavesPerEU: 1
; AccumOffset: 4
; Occupancy: 8
; WaveLimiterHint : 0
; COMPUTE_PGM_RSRC2:SCRATCH_EN: 0
; COMPUTE_PGM_RSRC2:USER_SGPR: 6
; COMPUTE_PGM_RSRC2:TRAP_HANDLER: 0
; COMPUTE_PGM_RSRC2:TGID_X_EN: 1
; COMPUTE_PGM_RSRC2:TGID_Y_EN: 0
; COMPUTE_PGM_RSRC2:TGID_Z_EN: 0
; COMPUTE_PGM_RSRC2:TIDIG_COMP_CNT: 0
; COMPUTE_PGM_RSRC3_GFX90A:ACCUM_OFFSET: 0
; COMPUTE_PGM_RSRC3_GFX90A:TG_SPLIT: 0
	.section	.text._ZN7rocprim17ROCPRIM_400000_NS6detail17trampoline_kernelINS0_14default_configENS1_27scan_by_key_config_selectorIiiEEZZNS1_16scan_by_key_implILNS1_25lookback_scan_determinismE0ELb0ES3_N6thrust23THRUST_200600_302600_NS6detail15normal_iteratorINS9_10device_ptrIiEEEESE_SE_iNS9_4plusIvEENS9_8equal_toIiEEiEE10hipError_tPvRmT2_T3_T4_T5_mT6_T7_P12ihipStream_tbENKUlT_T0_E_clISt17integral_constantIbLb0EESZ_EEDaSU_SV_EUlSU_E_NS1_11comp_targetILNS1_3genE2ELNS1_11target_archE906ELNS1_3gpuE6ELNS1_3repE0EEENS1_30default_config_static_selectorELNS0_4arch9wavefront6targetE1EEEvT1_,"axG",@progbits,_ZN7rocprim17ROCPRIM_400000_NS6detail17trampoline_kernelINS0_14default_configENS1_27scan_by_key_config_selectorIiiEEZZNS1_16scan_by_key_implILNS1_25lookback_scan_determinismE0ELb0ES3_N6thrust23THRUST_200600_302600_NS6detail15normal_iteratorINS9_10device_ptrIiEEEESE_SE_iNS9_4plusIvEENS9_8equal_toIiEEiEE10hipError_tPvRmT2_T3_T4_T5_mT6_T7_P12ihipStream_tbENKUlT_T0_E_clISt17integral_constantIbLb0EESZ_EEDaSU_SV_EUlSU_E_NS1_11comp_targetILNS1_3genE2ELNS1_11target_archE906ELNS1_3gpuE6ELNS1_3repE0EEENS1_30default_config_static_selectorELNS0_4arch9wavefront6targetE1EEEvT1_,comdat
	.protected	_ZN7rocprim17ROCPRIM_400000_NS6detail17trampoline_kernelINS0_14default_configENS1_27scan_by_key_config_selectorIiiEEZZNS1_16scan_by_key_implILNS1_25lookback_scan_determinismE0ELb0ES3_N6thrust23THRUST_200600_302600_NS6detail15normal_iteratorINS9_10device_ptrIiEEEESE_SE_iNS9_4plusIvEENS9_8equal_toIiEEiEE10hipError_tPvRmT2_T3_T4_T5_mT6_T7_P12ihipStream_tbENKUlT_T0_E_clISt17integral_constantIbLb0EESZ_EEDaSU_SV_EUlSU_E_NS1_11comp_targetILNS1_3genE2ELNS1_11target_archE906ELNS1_3gpuE6ELNS1_3repE0EEENS1_30default_config_static_selectorELNS0_4arch9wavefront6targetE1EEEvT1_ ; -- Begin function _ZN7rocprim17ROCPRIM_400000_NS6detail17trampoline_kernelINS0_14default_configENS1_27scan_by_key_config_selectorIiiEEZZNS1_16scan_by_key_implILNS1_25lookback_scan_determinismE0ELb0ES3_N6thrust23THRUST_200600_302600_NS6detail15normal_iteratorINS9_10device_ptrIiEEEESE_SE_iNS9_4plusIvEENS9_8equal_toIiEEiEE10hipError_tPvRmT2_T3_T4_T5_mT6_T7_P12ihipStream_tbENKUlT_T0_E_clISt17integral_constantIbLb0EESZ_EEDaSU_SV_EUlSU_E_NS1_11comp_targetILNS1_3genE2ELNS1_11target_archE906ELNS1_3gpuE6ELNS1_3repE0EEENS1_30default_config_static_selectorELNS0_4arch9wavefront6targetE1EEEvT1_
	.globl	_ZN7rocprim17ROCPRIM_400000_NS6detail17trampoline_kernelINS0_14default_configENS1_27scan_by_key_config_selectorIiiEEZZNS1_16scan_by_key_implILNS1_25lookback_scan_determinismE0ELb0ES3_N6thrust23THRUST_200600_302600_NS6detail15normal_iteratorINS9_10device_ptrIiEEEESE_SE_iNS9_4plusIvEENS9_8equal_toIiEEiEE10hipError_tPvRmT2_T3_T4_T5_mT6_T7_P12ihipStream_tbENKUlT_T0_E_clISt17integral_constantIbLb0EESZ_EEDaSU_SV_EUlSU_E_NS1_11comp_targetILNS1_3genE2ELNS1_11target_archE906ELNS1_3gpuE6ELNS1_3repE0EEENS1_30default_config_static_selectorELNS0_4arch9wavefront6targetE1EEEvT1_
	.p2align	8
	.type	_ZN7rocprim17ROCPRIM_400000_NS6detail17trampoline_kernelINS0_14default_configENS1_27scan_by_key_config_selectorIiiEEZZNS1_16scan_by_key_implILNS1_25lookback_scan_determinismE0ELb0ES3_N6thrust23THRUST_200600_302600_NS6detail15normal_iteratorINS9_10device_ptrIiEEEESE_SE_iNS9_4plusIvEENS9_8equal_toIiEEiEE10hipError_tPvRmT2_T3_T4_T5_mT6_T7_P12ihipStream_tbENKUlT_T0_E_clISt17integral_constantIbLb0EESZ_EEDaSU_SV_EUlSU_E_NS1_11comp_targetILNS1_3genE2ELNS1_11target_archE906ELNS1_3gpuE6ELNS1_3repE0EEENS1_30default_config_static_selectorELNS0_4arch9wavefront6targetE1EEEvT1_,@function
_ZN7rocprim17ROCPRIM_400000_NS6detail17trampoline_kernelINS0_14default_configENS1_27scan_by_key_config_selectorIiiEEZZNS1_16scan_by_key_implILNS1_25lookback_scan_determinismE0ELb0ES3_N6thrust23THRUST_200600_302600_NS6detail15normal_iteratorINS9_10device_ptrIiEEEESE_SE_iNS9_4plusIvEENS9_8equal_toIiEEiEE10hipError_tPvRmT2_T3_T4_T5_mT6_T7_P12ihipStream_tbENKUlT_T0_E_clISt17integral_constantIbLb0EESZ_EEDaSU_SV_EUlSU_E_NS1_11comp_targetILNS1_3genE2ELNS1_11target_archE906ELNS1_3gpuE6ELNS1_3repE0EEENS1_30default_config_static_selectorELNS0_4arch9wavefront6targetE1EEEvT1_: ; @_ZN7rocprim17ROCPRIM_400000_NS6detail17trampoline_kernelINS0_14default_configENS1_27scan_by_key_config_selectorIiiEEZZNS1_16scan_by_key_implILNS1_25lookback_scan_determinismE0ELb0ES3_N6thrust23THRUST_200600_302600_NS6detail15normal_iteratorINS9_10device_ptrIiEEEESE_SE_iNS9_4plusIvEENS9_8equal_toIiEEiEE10hipError_tPvRmT2_T3_T4_T5_mT6_T7_P12ihipStream_tbENKUlT_T0_E_clISt17integral_constantIbLb0EESZ_EEDaSU_SV_EUlSU_E_NS1_11comp_targetILNS1_3genE2ELNS1_11target_archE906ELNS1_3gpuE6ELNS1_3repE0EEENS1_30default_config_static_selectorELNS0_4arch9wavefront6targetE1EEEvT1_
; %bb.0:
	.section	.rodata,"a",@progbits
	.p2align	6, 0x0
	.amdhsa_kernel _ZN7rocprim17ROCPRIM_400000_NS6detail17trampoline_kernelINS0_14default_configENS1_27scan_by_key_config_selectorIiiEEZZNS1_16scan_by_key_implILNS1_25lookback_scan_determinismE0ELb0ES3_N6thrust23THRUST_200600_302600_NS6detail15normal_iteratorINS9_10device_ptrIiEEEESE_SE_iNS9_4plusIvEENS9_8equal_toIiEEiEE10hipError_tPvRmT2_T3_T4_T5_mT6_T7_P12ihipStream_tbENKUlT_T0_E_clISt17integral_constantIbLb0EESZ_EEDaSU_SV_EUlSU_E_NS1_11comp_targetILNS1_3genE2ELNS1_11target_archE906ELNS1_3gpuE6ELNS1_3repE0EEENS1_30default_config_static_selectorELNS0_4arch9wavefront6targetE1EEEvT1_
		.amdhsa_group_segment_fixed_size 0
		.amdhsa_private_segment_fixed_size 0
		.amdhsa_kernarg_size 112
		.amdhsa_user_sgpr_count 6
		.amdhsa_user_sgpr_private_segment_buffer 1
		.amdhsa_user_sgpr_dispatch_ptr 0
		.amdhsa_user_sgpr_queue_ptr 0
		.amdhsa_user_sgpr_kernarg_segment_ptr 1
		.amdhsa_user_sgpr_dispatch_id 0
		.amdhsa_user_sgpr_flat_scratch_init 0
		.amdhsa_user_sgpr_kernarg_preload_length 0
		.amdhsa_user_sgpr_kernarg_preload_offset 0
		.amdhsa_user_sgpr_private_segment_size 0
		.amdhsa_uses_dynamic_stack 0
		.amdhsa_system_sgpr_private_segment_wavefront_offset 0
		.amdhsa_system_sgpr_workgroup_id_x 1
		.amdhsa_system_sgpr_workgroup_id_y 0
		.amdhsa_system_sgpr_workgroup_id_z 0
		.amdhsa_system_sgpr_workgroup_info 0
		.amdhsa_system_vgpr_workitem_id 0
		.amdhsa_next_free_vgpr 1
		.amdhsa_next_free_sgpr 0
		.amdhsa_accum_offset 4
		.amdhsa_reserve_vcc 0
		.amdhsa_reserve_flat_scratch 0
		.amdhsa_float_round_mode_32 0
		.amdhsa_float_round_mode_16_64 0
		.amdhsa_float_denorm_mode_32 3
		.amdhsa_float_denorm_mode_16_64 3
		.amdhsa_dx10_clamp 1
		.amdhsa_ieee_mode 1
		.amdhsa_fp16_overflow 0
		.amdhsa_tg_split 0
		.amdhsa_exception_fp_ieee_invalid_op 0
		.amdhsa_exception_fp_denorm_src 0
		.amdhsa_exception_fp_ieee_div_zero 0
		.amdhsa_exception_fp_ieee_overflow 0
		.amdhsa_exception_fp_ieee_underflow 0
		.amdhsa_exception_fp_ieee_inexact 0
		.amdhsa_exception_int_div_zero 0
	.end_amdhsa_kernel
	.section	.text._ZN7rocprim17ROCPRIM_400000_NS6detail17trampoline_kernelINS0_14default_configENS1_27scan_by_key_config_selectorIiiEEZZNS1_16scan_by_key_implILNS1_25lookback_scan_determinismE0ELb0ES3_N6thrust23THRUST_200600_302600_NS6detail15normal_iteratorINS9_10device_ptrIiEEEESE_SE_iNS9_4plusIvEENS9_8equal_toIiEEiEE10hipError_tPvRmT2_T3_T4_T5_mT6_T7_P12ihipStream_tbENKUlT_T0_E_clISt17integral_constantIbLb0EESZ_EEDaSU_SV_EUlSU_E_NS1_11comp_targetILNS1_3genE2ELNS1_11target_archE906ELNS1_3gpuE6ELNS1_3repE0EEENS1_30default_config_static_selectorELNS0_4arch9wavefront6targetE1EEEvT1_,"axG",@progbits,_ZN7rocprim17ROCPRIM_400000_NS6detail17trampoline_kernelINS0_14default_configENS1_27scan_by_key_config_selectorIiiEEZZNS1_16scan_by_key_implILNS1_25lookback_scan_determinismE0ELb0ES3_N6thrust23THRUST_200600_302600_NS6detail15normal_iteratorINS9_10device_ptrIiEEEESE_SE_iNS9_4plusIvEENS9_8equal_toIiEEiEE10hipError_tPvRmT2_T3_T4_T5_mT6_T7_P12ihipStream_tbENKUlT_T0_E_clISt17integral_constantIbLb0EESZ_EEDaSU_SV_EUlSU_E_NS1_11comp_targetILNS1_3genE2ELNS1_11target_archE906ELNS1_3gpuE6ELNS1_3repE0EEENS1_30default_config_static_selectorELNS0_4arch9wavefront6targetE1EEEvT1_,comdat
.Lfunc_end205:
	.size	_ZN7rocprim17ROCPRIM_400000_NS6detail17trampoline_kernelINS0_14default_configENS1_27scan_by_key_config_selectorIiiEEZZNS1_16scan_by_key_implILNS1_25lookback_scan_determinismE0ELb0ES3_N6thrust23THRUST_200600_302600_NS6detail15normal_iteratorINS9_10device_ptrIiEEEESE_SE_iNS9_4plusIvEENS9_8equal_toIiEEiEE10hipError_tPvRmT2_T3_T4_T5_mT6_T7_P12ihipStream_tbENKUlT_T0_E_clISt17integral_constantIbLb0EESZ_EEDaSU_SV_EUlSU_E_NS1_11comp_targetILNS1_3genE2ELNS1_11target_archE906ELNS1_3gpuE6ELNS1_3repE0EEENS1_30default_config_static_selectorELNS0_4arch9wavefront6targetE1EEEvT1_, .Lfunc_end205-_ZN7rocprim17ROCPRIM_400000_NS6detail17trampoline_kernelINS0_14default_configENS1_27scan_by_key_config_selectorIiiEEZZNS1_16scan_by_key_implILNS1_25lookback_scan_determinismE0ELb0ES3_N6thrust23THRUST_200600_302600_NS6detail15normal_iteratorINS9_10device_ptrIiEEEESE_SE_iNS9_4plusIvEENS9_8equal_toIiEEiEE10hipError_tPvRmT2_T3_T4_T5_mT6_T7_P12ihipStream_tbENKUlT_T0_E_clISt17integral_constantIbLb0EESZ_EEDaSU_SV_EUlSU_E_NS1_11comp_targetILNS1_3genE2ELNS1_11target_archE906ELNS1_3gpuE6ELNS1_3repE0EEENS1_30default_config_static_selectorELNS0_4arch9wavefront6targetE1EEEvT1_
                                        ; -- End function
	.section	.AMDGPU.csdata,"",@progbits
; Kernel info:
; codeLenInByte = 0
; NumSgprs: 4
; NumVgprs: 0
; NumAgprs: 0
; TotalNumVgprs: 0
; ScratchSize: 0
; MemoryBound: 0
; FloatMode: 240
; IeeeMode: 1
; LDSByteSize: 0 bytes/workgroup (compile time only)
; SGPRBlocks: 0
; VGPRBlocks: 0
; NumSGPRsForWavesPerEU: 4
; NumVGPRsForWavesPerEU: 1
; AccumOffset: 4
; Occupancy: 8
; WaveLimiterHint : 0
; COMPUTE_PGM_RSRC2:SCRATCH_EN: 0
; COMPUTE_PGM_RSRC2:USER_SGPR: 6
; COMPUTE_PGM_RSRC2:TRAP_HANDLER: 0
; COMPUTE_PGM_RSRC2:TGID_X_EN: 1
; COMPUTE_PGM_RSRC2:TGID_Y_EN: 0
; COMPUTE_PGM_RSRC2:TGID_Z_EN: 0
; COMPUTE_PGM_RSRC2:TIDIG_COMP_CNT: 0
; COMPUTE_PGM_RSRC3_GFX90A:ACCUM_OFFSET: 0
; COMPUTE_PGM_RSRC3_GFX90A:TG_SPLIT: 0
	.section	.text._ZN7rocprim17ROCPRIM_400000_NS6detail17trampoline_kernelINS0_14default_configENS1_27scan_by_key_config_selectorIiiEEZZNS1_16scan_by_key_implILNS1_25lookback_scan_determinismE0ELb0ES3_N6thrust23THRUST_200600_302600_NS6detail15normal_iteratorINS9_10device_ptrIiEEEESE_SE_iNS9_4plusIvEENS9_8equal_toIiEEiEE10hipError_tPvRmT2_T3_T4_T5_mT6_T7_P12ihipStream_tbENKUlT_T0_E_clISt17integral_constantIbLb0EESZ_EEDaSU_SV_EUlSU_E_NS1_11comp_targetILNS1_3genE10ELNS1_11target_archE1200ELNS1_3gpuE4ELNS1_3repE0EEENS1_30default_config_static_selectorELNS0_4arch9wavefront6targetE1EEEvT1_,"axG",@progbits,_ZN7rocprim17ROCPRIM_400000_NS6detail17trampoline_kernelINS0_14default_configENS1_27scan_by_key_config_selectorIiiEEZZNS1_16scan_by_key_implILNS1_25lookback_scan_determinismE0ELb0ES3_N6thrust23THRUST_200600_302600_NS6detail15normal_iteratorINS9_10device_ptrIiEEEESE_SE_iNS9_4plusIvEENS9_8equal_toIiEEiEE10hipError_tPvRmT2_T3_T4_T5_mT6_T7_P12ihipStream_tbENKUlT_T0_E_clISt17integral_constantIbLb0EESZ_EEDaSU_SV_EUlSU_E_NS1_11comp_targetILNS1_3genE10ELNS1_11target_archE1200ELNS1_3gpuE4ELNS1_3repE0EEENS1_30default_config_static_selectorELNS0_4arch9wavefront6targetE1EEEvT1_,comdat
	.protected	_ZN7rocprim17ROCPRIM_400000_NS6detail17trampoline_kernelINS0_14default_configENS1_27scan_by_key_config_selectorIiiEEZZNS1_16scan_by_key_implILNS1_25lookback_scan_determinismE0ELb0ES3_N6thrust23THRUST_200600_302600_NS6detail15normal_iteratorINS9_10device_ptrIiEEEESE_SE_iNS9_4plusIvEENS9_8equal_toIiEEiEE10hipError_tPvRmT2_T3_T4_T5_mT6_T7_P12ihipStream_tbENKUlT_T0_E_clISt17integral_constantIbLb0EESZ_EEDaSU_SV_EUlSU_E_NS1_11comp_targetILNS1_3genE10ELNS1_11target_archE1200ELNS1_3gpuE4ELNS1_3repE0EEENS1_30default_config_static_selectorELNS0_4arch9wavefront6targetE1EEEvT1_ ; -- Begin function _ZN7rocprim17ROCPRIM_400000_NS6detail17trampoline_kernelINS0_14default_configENS1_27scan_by_key_config_selectorIiiEEZZNS1_16scan_by_key_implILNS1_25lookback_scan_determinismE0ELb0ES3_N6thrust23THRUST_200600_302600_NS6detail15normal_iteratorINS9_10device_ptrIiEEEESE_SE_iNS9_4plusIvEENS9_8equal_toIiEEiEE10hipError_tPvRmT2_T3_T4_T5_mT6_T7_P12ihipStream_tbENKUlT_T0_E_clISt17integral_constantIbLb0EESZ_EEDaSU_SV_EUlSU_E_NS1_11comp_targetILNS1_3genE10ELNS1_11target_archE1200ELNS1_3gpuE4ELNS1_3repE0EEENS1_30default_config_static_selectorELNS0_4arch9wavefront6targetE1EEEvT1_
	.globl	_ZN7rocprim17ROCPRIM_400000_NS6detail17trampoline_kernelINS0_14default_configENS1_27scan_by_key_config_selectorIiiEEZZNS1_16scan_by_key_implILNS1_25lookback_scan_determinismE0ELb0ES3_N6thrust23THRUST_200600_302600_NS6detail15normal_iteratorINS9_10device_ptrIiEEEESE_SE_iNS9_4plusIvEENS9_8equal_toIiEEiEE10hipError_tPvRmT2_T3_T4_T5_mT6_T7_P12ihipStream_tbENKUlT_T0_E_clISt17integral_constantIbLb0EESZ_EEDaSU_SV_EUlSU_E_NS1_11comp_targetILNS1_3genE10ELNS1_11target_archE1200ELNS1_3gpuE4ELNS1_3repE0EEENS1_30default_config_static_selectorELNS0_4arch9wavefront6targetE1EEEvT1_
	.p2align	8
	.type	_ZN7rocprim17ROCPRIM_400000_NS6detail17trampoline_kernelINS0_14default_configENS1_27scan_by_key_config_selectorIiiEEZZNS1_16scan_by_key_implILNS1_25lookback_scan_determinismE0ELb0ES3_N6thrust23THRUST_200600_302600_NS6detail15normal_iteratorINS9_10device_ptrIiEEEESE_SE_iNS9_4plusIvEENS9_8equal_toIiEEiEE10hipError_tPvRmT2_T3_T4_T5_mT6_T7_P12ihipStream_tbENKUlT_T0_E_clISt17integral_constantIbLb0EESZ_EEDaSU_SV_EUlSU_E_NS1_11comp_targetILNS1_3genE10ELNS1_11target_archE1200ELNS1_3gpuE4ELNS1_3repE0EEENS1_30default_config_static_selectorELNS0_4arch9wavefront6targetE1EEEvT1_,@function
_ZN7rocprim17ROCPRIM_400000_NS6detail17trampoline_kernelINS0_14default_configENS1_27scan_by_key_config_selectorIiiEEZZNS1_16scan_by_key_implILNS1_25lookback_scan_determinismE0ELb0ES3_N6thrust23THRUST_200600_302600_NS6detail15normal_iteratorINS9_10device_ptrIiEEEESE_SE_iNS9_4plusIvEENS9_8equal_toIiEEiEE10hipError_tPvRmT2_T3_T4_T5_mT6_T7_P12ihipStream_tbENKUlT_T0_E_clISt17integral_constantIbLb0EESZ_EEDaSU_SV_EUlSU_E_NS1_11comp_targetILNS1_3genE10ELNS1_11target_archE1200ELNS1_3gpuE4ELNS1_3repE0EEENS1_30default_config_static_selectorELNS0_4arch9wavefront6targetE1EEEvT1_: ; @_ZN7rocprim17ROCPRIM_400000_NS6detail17trampoline_kernelINS0_14default_configENS1_27scan_by_key_config_selectorIiiEEZZNS1_16scan_by_key_implILNS1_25lookback_scan_determinismE0ELb0ES3_N6thrust23THRUST_200600_302600_NS6detail15normal_iteratorINS9_10device_ptrIiEEEESE_SE_iNS9_4plusIvEENS9_8equal_toIiEEiEE10hipError_tPvRmT2_T3_T4_T5_mT6_T7_P12ihipStream_tbENKUlT_T0_E_clISt17integral_constantIbLb0EESZ_EEDaSU_SV_EUlSU_E_NS1_11comp_targetILNS1_3genE10ELNS1_11target_archE1200ELNS1_3gpuE4ELNS1_3repE0EEENS1_30default_config_static_selectorELNS0_4arch9wavefront6targetE1EEEvT1_
; %bb.0:
	.section	.rodata,"a",@progbits
	.p2align	6, 0x0
	.amdhsa_kernel _ZN7rocprim17ROCPRIM_400000_NS6detail17trampoline_kernelINS0_14default_configENS1_27scan_by_key_config_selectorIiiEEZZNS1_16scan_by_key_implILNS1_25lookback_scan_determinismE0ELb0ES3_N6thrust23THRUST_200600_302600_NS6detail15normal_iteratorINS9_10device_ptrIiEEEESE_SE_iNS9_4plusIvEENS9_8equal_toIiEEiEE10hipError_tPvRmT2_T3_T4_T5_mT6_T7_P12ihipStream_tbENKUlT_T0_E_clISt17integral_constantIbLb0EESZ_EEDaSU_SV_EUlSU_E_NS1_11comp_targetILNS1_3genE10ELNS1_11target_archE1200ELNS1_3gpuE4ELNS1_3repE0EEENS1_30default_config_static_selectorELNS0_4arch9wavefront6targetE1EEEvT1_
		.amdhsa_group_segment_fixed_size 0
		.amdhsa_private_segment_fixed_size 0
		.amdhsa_kernarg_size 112
		.amdhsa_user_sgpr_count 6
		.amdhsa_user_sgpr_private_segment_buffer 1
		.amdhsa_user_sgpr_dispatch_ptr 0
		.amdhsa_user_sgpr_queue_ptr 0
		.amdhsa_user_sgpr_kernarg_segment_ptr 1
		.amdhsa_user_sgpr_dispatch_id 0
		.amdhsa_user_sgpr_flat_scratch_init 0
		.amdhsa_user_sgpr_kernarg_preload_length 0
		.amdhsa_user_sgpr_kernarg_preload_offset 0
		.amdhsa_user_sgpr_private_segment_size 0
		.amdhsa_uses_dynamic_stack 0
		.amdhsa_system_sgpr_private_segment_wavefront_offset 0
		.amdhsa_system_sgpr_workgroup_id_x 1
		.amdhsa_system_sgpr_workgroup_id_y 0
		.amdhsa_system_sgpr_workgroup_id_z 0
		.amdhsa_system_sgpr_workgroup_info 0
		.amdhsa_system_vgpr_workitem_id 0
		.amdhsa_next_free_vgpr 1
		.amdhsa_next_free_sgpr 0
		.amdhsa_accum_offset 4
		.amdhsa_reserve_vcc 0
		.amdhsa_reserve_flat_scratch 0
		.amdhsa_float_round_mode_32 0
		.amdhsa_float_round_mode_16_64 0
		.amdhsa_float_denorm_mode_32 3
		.amdhsa_float_denorm_mode_16_64 3
		.amdhsa_dx10_clamp 1
		.amdhsa_ieee_mode 1
		.amdhsa_fp16_overflow 0
		.amdhsa_tg_split 0
		.amdhsa_exception_fp_ieee_invalid_op 0
		.amdhsa_exception_fp_denorm_src 0
		.amdhsa_exception_fp_ieee_div_zero 0
		.amdhsa_exception_fp_ieee_overflow 0
		.amdhsa_exception_fp_ieee_underflow 0
		.amdhsa_exception_fp_ieee_inexact 0
		.amdhsa_exception_int_div_zero 0
	.end_amdhsa_kernel
	.section	.text._ZN7rocprim17ROCPRIM_400000_NS6detail17trampoline_kernelINS0_14default_configENS1_27scan_by_key_config_selectorIiiEEZZNS1_16scan_by_key_implILNS1_25lookback_scan_determinismE0ELb0ES3_N6thrust23THRUST_200600_302600_NS6detail15normal_iteratorINS9_10device_ptrIiEEEESE_SE_iNS9_4plusIvEENS9_8equal_toIiEEiEE10hipError_tPvRmT2_T3_T4_T5_mT6_T7_P12ihipStream_tbENKUlT_T0_E_clISt17integral_constantIbLb0EESZ_EEDaSU_SV_EUlSU_E_NS1_11comp_targetILNS1_3genE10ELNS1_11target_archE1200ELNS1_3gpuE4ELNS1_3repE0EEENS1_30default_config_static_selectorELNS0_4arch9wavefront6targetE1EEEvT1_,"axG",@progbits,_ZN7rocprim17ROCPRIM_400000_NS6detail17trampoline_kernelINS0_14default_configENS1_27scan_by_key_config_selectorIiiEEZZNS1_16scan_by_key_implILNS1_25lookback_scan_determinismE0ELb0ES3_N6thrust23THRUST_200600_302600_NS6detail15normal_iteratorINS9_10device_ptrIiEEEESE_SE_iNS9_4plusIvEENS9_8equal_toIiEEiEE10hipError_tPvRmT2_T3_T4_T5_mT6_T7_P12ihipStream_tbENKUlT_T0_E_clISt17integral_constantIbLb0EESZ_EEDaSU_SV_EUlSU_E_NS1_11comp_targetILNS1_3genE10ELNS1_11target_archE1200ELNS1_3gpuE4ELNS1_3repE0EEENS1_30default_config_static_selectorELNS0_4arch9wavefront6targetE1EEEvT1_,comdat
.Lfunc_end206:
	.size	_ZN7rocprim17ROCPRIM_400000_NS6detail17trampoline_kernelINS0_14default_configENS1_27scan_by_key_config_selectorIiiEEZZNS1_16scan_by_key_implILNS1_25lookback_scan_determinismE0ELb0ES3_N6thrust23THRUST_200600_302600_NS6detail15normal_iteratorINS9_10device_ptrIiEEEESE_SE_iNS9_4plusIvEENS9_8equal_toIiEEiEE10hipError_tPvRmT2_T3_T4_T5_mT6_T7_P12ihipStream_tbENKUlT_T0_E_clISt17integral_constantIbLb0EESZ_EEDaSU_SV_EUlSU_E_NS1_11comp_targetILNS1_3genE10ELNS1_11target_archE1200ELNS1_3gpuE4ELNS1_3repE0EEENS1_30default_config_static_selectorELNS0_4arch9wavefront6targetE1EEEvT1_, .Lfunc_end206-_ZN7rocprim17ROCPRIM_400000_NS6detail17trampoline_kernelINS0_14default_configENS1_27scan_by_key_config_selectorIiiEEZZNS1_16scan_by_key_implILNS1_25lookback_scan_determinismE0ELb0ES3_N6thrust23THRUST_200600_302600_NS6detail15normal_iteratorINS9_10device_ptrIiEEEESE_SE_iNS9_4plusIvEENS9_8equal_toIiEEiEE10hipError_tPvRmT2_T3_T4_T5_mT6_T7_P12ihipStream_tbENKUlT_T0_E_clISt17integral_constantIbLb0EESZ_EEDaSU_SV_EUlSU_E_NS1_11comp_targetILNS1_3genE10ELNS1_11target_archE1200ELNS1_3gpuE4ELNS1_3repE0EEENS1_30default_config_static_selectorELNS0_4arch9wavefront6targetE1EEEvT1_
                                        ; -- End function
	.section	.AMDGPU.csdata,"",@progbits
; Kernel info:
; codeLenInByte = 0
; NumSgprs: 4
; NumVgprs: 0
; NumAgprs: 0
; TotalNumVgprs: 0
; ScratchSize: 0
; MemoryBound: 0
; FloatMode: 240
; IeeeMode: 1
; LDSByteSize: 0 bytes/workgroup (compile time only)
; SGPRBlocks: 0
; VGPRBlocks: 0
; NumSGPRsForWavesPerEU: 4
; NumVGPRsForWavesPerEU: 1
; AccumOffset: 4
; Occupancy: 8
; WaveLimiterHint : 0
; COMPUTE_PGM_RSRC2:SCRATCH_EN: 0
; COMPUTE_PGM_RSRC2:USER_SGPR: 6
; COMPUTE_PGM_RSRC2:TRAP_HANDLER: 0
; COMPUTE_PGM_RSRC2:TGID_X_EN: 1
; COMPUTE_PGM_RSRC2:TGID_Y_EN: 0
; COMPUTE_PGM_RSRC2:TGID_Z_EN: 0
; COMPUTE_PGM_RSRC2:TIDIG_COMP_CNT: 0
; COMPUTE_PGM_RSRC3_GFX90A:ACCUM_OFFSET: 0
; COMPUTE_PGM_RSRC3_GFX90A:TG_SPLIT: 0
	.section	.text._ZN7rocprim17ROCPRIM_400000_NS6detail17trampoline_kernelINS0_14default_configENS1_27scan_by_key_config_selectorIiiEEZZNS1_16scan_by_key_implILNS1_25lookback_scan_determinismE0ELb0ES3_N6thrust23THRUST_200600_302600_NS6detail15normal_iteratorINS9_10device_ptrIiEEEESE_SE_iNS9_4plusIvEENS9_8equal_toIiEEiEE10hipError_tPvRmT2_T3_T4_T5_mT6_T7_P12ihipStream_tbENKUlT_T0_E_clISt17integral_constantIbLb0EESZ_EEDaSU_SV_EUlSU_E_NS1_11comp_targetILNS1_3genE9ELNS1_11target_archE1100ELNS1_3gpuE3ELNS1_3repE0EEENS1_30default_config_static_selectorELNS0_4arch9wavefront6targetE1EEEvT1_,"axG",@progbits,_ZN7rocprim17ROCPRIM_400000_NS6detail17trampoline_kernelINS0_14default_configENS1_27scan_by_key_config_selectorIiiEEZZNS1_16scan_by_key_implILNS1_25lookback_scan_determinismE0ELb0ES3_N6thrust23THRUST_200600_302600_NS6detail15normal_iteratorINS9_10device_ptrIiEEEESE_SE_iNS9_4plusIvEENS9_8equal_toIiEEiEE10hipError_tPvRmT2_T3_T4_T5_mT6_T7_P12ihipStream_tbENKUlT_T0_E_clISt17integral_constantIbLb0EESZ_EEDaSU_SV_EUlSU_E_NS1_11comp_targetILNS1_3genE9ELNS1_11target_archE1100ELNS1_3gpuE3ELNS1_3repE0EEENS1_30default_config_static_selectorELNS0_4arch9wavefront6targetE1EEEvT1_,comdat
	.protected	_ZN7rocprim17ROCPRIM_400000_NS6detail17trampoline_kernelINS0_14default_configENS1_27scan_by_key_config_selectorIiiEEZZNS1_16scan_by_key_implILNS1_25lookback_scan_determinismE0ELb0ES3_N6thrust23THRUST_200600_302600_NS6detail15normal_iteratorINS9_10device_ptrIiEEEESE_SE_iNS9_4plusIvEENS9_8equal_toIiEEiEE10hipError_tPvRmT2_T3_T4_T5_mT6_T7_P12ihipStream_tbENKUlT_T0_E_clISt17integral_constantIbLb0EESZ_EEDaSU_SV_EUlSU_E_NS1_11comp_targetILNS1_3genE9ELNS1_11target_archE1100ELNS1_3gpuE3ELNS1_3repE0EEENS1_30default_config_static_selectorELNS0_4arch9wavefront6targetE1EEEvT1_ ; -- Begin function _ZN7rocprim17ROCPRIM_400000_NS6detail17trampoline_kernelINS0_14default_configENS1_27scan_by_key_config_selectorIiiEEZZNS1_16scan_by_key_implILNS1_25lookback_scan_determinismE0ELb0ES3_N6thrust23THRUST_200600_302600_NS6detail15normal_iteratorINS9_10device_ptrIiEEEESE_SE_iNS9_4plusIvEENS9_8equal_toIiEEiEE10hipError_tPvRmT2_T3_T4_T5_mT6_T7_P12ihipStream_tbENKUlT_T0_E_clISt17integral_constantIbLb0EESZ_EEDaSU_SV_EUlSU_E_NS1_11comp_targetILNS1_3genE9ELNS1_11target_archE1100ELNS1_3gpuE3ELNS1_3repE0EEENS1_30default_config_static_selectorELNS0_4arch9wavefront6targetE1EEEvT1_
	.globl	_ZN7rocprim17ROCPRIM_400000_NS6detail17trampoline_kernelINS0_14default_configENS1_27scan_by_key_config_selectorIiiEEZZNS1_16scan_by_key_implILNS1_25lookback_scan_determinismE0ELb0ES3_N6thrust23THRUST_200600_302600_NS6detail15normal_iteratorINS9_10device_ptrIiEEEESE_SE_iNS9_4plusIvEENS9_8equal_toIiEEiEE10hipError_tPvRmT2_T3_T4_T5_mT6_T7_P12ihipStream_tbENKUlT_T0_E_clISt17integral_constantIbLb0EESZ_EEDaSU_SV_EUlSU_E_NS1_11comp_targetILNS1_3genE9ELNS1_11target_archE1100ELNS1_3gpuE3ELNS1_3repE0EEENS1_30default_config_static_selectorELNS0_4arch9wavefront6targetE1EEEvT1_
	.p2align	8
	.type	_ZN7rocprim17ROCPRIM_400000_NS6detail17trampoline_kernelINS0_14default_configENS1_27scan_by_key_config_selectorIiiEEZZNS1_16scan_by_key_implILNS1_25lookback_scan_determinismE0ELb0ES3_N6thrust23THRUST_200600_302600_NS6detail15normal_iteratorINS9_10device_ptrIiEEEESE_SE_iNS9_4plusIvEENS9_8equal_toIiEEiEE10hipError_tPvRmT2_T3_T4_T5_mT6_T7_P12ihipStream_tbENKUlT_T0_E_clISt17integral_constantIbLb0EESZ_EEDaSU_SV_EUlSU_E_NS1_11comp_targetILNS1_3genE9ELNS1_11target_archE1100ELNS1_3gpuE3ELNS1_3repE0EEENS1_30default_config_static_selectorELNS0_4arch9wavefront6targetE1EEEvT1_,@function
_ZN7rocprim17ROCPRIM_400000_NS6detail17trampoline_kernelINS0_14default_configENS1_27scan_by_key_config_selectorIiiEEZZNS1_16scan_by_key_implILNS1_25lookback_scan_determinismE0ELb0ES3_N6thrust23THRUST_200600_302600_NS6detail15normal_iteratorINS9_10device_ptrIiEEEESE_SE_iNS9_4plusIvEENS9_8equal_toIiEEiEE10hipError_tPvRmT2_T3_T4_T5_mT6_T7_P12ihipStream_tbENKUlT_T0_E_clISt17integral_constantIbLb0EESZ_EEDaSU_SV_EUlSU_E_NS1_11comp_targetILNS1_3genE9ELNS1_11target_archE1100ELNS1_3gpuE3ELNS1_3repE0EEENS1_30default_config_static_selectorELNS0_4arch9wavefront6targetE1EEEvT1_: ; @_ZN7rocprim17ROCPRIM_400000_NS6detail17trampoline_kernelINS0_14default_configENS1_27scan_by_key_config_selectorIiiEEZZNS1_16scan_by_key_implILNS1_25lookback_scan_determinismE0ELb0ES3_N6thrust23THRUST_200600_302600_NS6detail15normal_iteratorINS9_10device_ptrIiEEEESE_SE_iNS9_4plusIvEENS9_8equal_toIiEEiEE10hipError_tPvRmT2_T3_T4_T5_mT6_T7_P12ihipStream_tbENKUlT_T0_E_clISt17integral_constantIbLb0EESZ_EEDaSU_SV_EUlSU_E_NS1_11comp_targetILNS1_3genE9ELNS1_11target_archE1100ELNS1_3gpuE3ELNS1_3repE0EEENS1_30default_config_static_selectorELNS0_4arch9wavefront6targetE1EEEvT1_
; %bb.0:
	.section	.rodata,"a",@progbits
	.p2align	6, 0x0
	.amdhsa_kernel _ZN7rocprim17ROCPRIM_400000_NS6detail17trampoline_kernelINS0_14default_configENS1_27scan_by_key_config_selectorIiiEEZZNS1_16scan_by_key_implILNS1_25lookback_scan_determinismE0ELb0ES3_N6thrust23THRUST_200600_302600_NS6detail15normal_iteratorINS9_10device_ptrIiEEEESE_SE_iNS9_4plusIvEENS9_8equal_toIiEEiEE10hipError_tPvRmT2_T3_T4_T5_mT6_T7_P12ihipStream_tbENKUlT_T0_E_clISt17integral_constantIbLb0EESZ_EEDaSU_SV_EUlSU_E_NS1_11comp_targetILNS1_3genE9ELNS1_11target_archE1100ELNS1_3gpuE3ELNS1_3repE0EEENS1_30default_config_static_selectorELNS0_4arch9wavefront6targetE1EEEvT1_
		.amdhsa_group_segment_fixed_size 0
		.amdhsa_private_segment_fixed_size 0
		.amdhsa_kernarg_size 112
		.amdhsa_user_sgpr_count 6
		.amdhsa_user_sgpr_private_segment_buffer 1
		.amdhsa_user_sgpr_dispatch_ptr 0
		.amdhsa_user_sgpr_queue_ptr 0
		.amdhsa_user_sgpr_kernarg_segment_ptr 1
		.amdhsa_user_sgpr_dispatch_id 0
		.amdhsa_user_sgpr_flat_scratch_init 0
		.amdhsa_user_sgpr_kernarg_preload_length 0
		.amdhsa_user_sgpr_kernarg_preload_offset 0
		.amdhsa_user_sgpr_private_segment_size 0
		.amdhsa_uses_dynamic_stack 0
		.amdhsa_system_sgpr_private_segment_wavefront_offset 0
		.amdhsa_system_sgpr_workgroup_id_x 1
		.amdhsa_system_sgpr_workgroup_id_y 0
		.amdhsa_system_sgpr_workgroup_id_z 0
		.amdhsa_system_sgpr_workgroup_info 0
		.amdhsa_system_vgpr_workitem_id 0
		.amdhsa_next_free_vgpr 1
		.amdhsa_next_free_sgpr 0
		.amdhsa_accum_offset 4
		.amdhsa_reserve_vcc 0
		.amdhsa_reserve_flat_scratch 0
		.amdhsa_float_round_mode_32 0
		.amdhsa_float_round_mode_16_64 0
		.amdhsa_float_denorm_mode_32 3
		.amdhsa_float_denorm_mode_16_64 3
		.amdhsa_dx10_clamp 1
		.amdhsa_ieee_mode 1
		.amdhsa_fp16_overflow 0
		.amdhsa_tg_split 0
		.amdhsa_exception_fp_ieee_invalid_op 0
		.amdhsa_exception_fp_denorm_src 0
		.amdhsa_exception_fp_ieee_div_zero 0
		.amdhsa_exception_fp_ieee_overflow 0
		.amdhsa_exception_fp_ieee_underflow 0
		.amdhsa_exception_fp_ieee_inexact 0
		.amdhsa_exception_int_div_zero 0
	.end_amdhsa_kernel
	.section	.text._ZN7rocprim17ROCPRIM_400000_NS6detail17trampoline_kernelINS0_14default_configENS1_27scan_by_key_config_selectorIiiEEZZNS1_16scan_by_key_implILNS1_25lookback_scan_determinismE0ELb0ES3_N6thrust23THRUST_200600_302600_NS6detail15normal_iteratorINS9_10device_ptrIiEEEESE_SE_iNS9_4plusIvEENS9_8equal_toIiEEiEE10hipError_tPvRmT2_T3_T4_T5_mT6_T7_P12ihipStream_tbENKUlT_T0_E_clISt17integral_constantIbLb0EESZ_EEDaSU_SV_EUlSU_E_NS1_11comp_targetILNS1_3genE9ELNS1_11target_archE1100ELNS1_3gpuE3ELNS1_3repE0EEENS1_30default_config_static_selectorELNS0_4arch9wavefront6targetE1EEEvT1_,"axG",@progbits,_ZN7rocprim17ROCPRIM_400000_NS6detail17trampoline_kernelINS0_14default_configENS1_27scan_by_key_config_selectorIiiEEZZNS1_16scan_by_key_implILNS1_25lookback_scan_determinismE0ELb0ES3_N6thrust23THRUST_200600_302600_NS6detail15normal_iteratorINS9_10device_ptrIiEEEESE_SE_iNS9_4plusIvEENS9_8equal_toIiEEiEE10hipError_tPvRmT2_T3_T4_T5_mT6_T7_P12ihipStream_tbENKUlT_T0_E_clISt17integral_constantIbLb0EESZ_EEDaSU_SV_EUlSU_E_NS1_11comp_targetILNS1_3genE9ELNS1_11target_archE1100ELNS1_3gpuE3ELNS1_3repE0EEENS1_30default_config_static_selectorELNS0_4arch9wavefront6targetE1EEEvT1_,comdat
.Lfunc_end207:
	.size	_ZN7rocprim17ROCPRIM_400000_NS6detail17trampoline_kernelINS0_14default_configENS1_27scan_by_key_config_selectorIiiEEZZNS1_16scan_by_key_implILNS1_25lookback_scan_determinismE0ELb0ES3_N6thrust23THRUST_200600_302600_NS6detail15normal_iteratorINS9_10device_ptrIiEEEESE_SE_iNS9_4plusIvEENS9_8equal_toIiEEiEE10hipError_tPvRmT2_T3_T4_T5_mT6_T7_P12ihipStream_tbENKUlT_T0_E_clISt17integral_constantIbLb0EESZ_EEDaSU_SV_EUlSU_E_NS1_11comp_targetILNS1_3genE9ELNS1_11target_archE1100ELNS1_3gpuE3ELNS1_3repE0EEENS1_30default_config_static_selectorELNS0_4arch9wavefront6targetE1EEEvT1_, .Lfunc_end207-_ZN7rocprim17ROCPRIM_400000_NS6detail17trampoline_kernelINS0_14default_configENS1_27scan_by_key_config_selectorIiiEEZZNS1_16scan_by_key_implILNS1_25lookback_scan_determinismE0ELb0ES3_N6thrust23THRUST_200600_302600_NS6detail15normal_iteratorINS9_10device_ptrIiEEEESE_SE_iNS9_4plusIvEENS9_8equal_toIiEEiEE10hipError_tPvRmT2_T3_T4_T5_mT6_T7_P12ihipStream_tbENKUlT_T0_E_clISt17integral_constantIbLb0EESZ_EEDaSU_SV_EUlSU_E_NS1_11comp_targetILNS1_3genE9ELNS1_11target_archE1100ELNS1_3gpuE3ELNS1_3repE0EEENS1_30default_config_static_selectorELNS0_4arch9wavefront6targetE1EEEvT1_
                                        ; -- End function
	.section	.AMDGPU.csdata,"",@progbits
; Kernel info:
; codeLenInByte = 0
; NumSgprs: 4
; NumVgprs: 0
; NumAgprs: 0
; TotalNumVgprs: 0
; ScratchSize: 0
; MemoryBound: 0
; FloatMode: 240
; IeeeMode: 1
; LDSByteSize: 0 bytes/workgroup (compile time only)
; SGPRBlocks: 0
; VGPRBlocks: 0
; NumSGPRsForWavesPerEU: 4
; NumVGPRsForWavesPerEU: 1
; AccumOffset: 4
; Occupancy: 8
; WaveLimiterHint : 0
; COMPUTE_PGM_RSRC2:SCRATCH_EN: 0
; COMPUTE_PGM_RSRC2:USER_SGPR: 6
; COMPUTE_PGM_RSRC2:TRAP_HANDLER: 0
; COMPUTE_PGM_RSRC2:TGID_X_EN: 1
; COMPUTE_PGM_RSRC2:TGID_Y_EN: 0
; COMPUTE_PGM_RSRC2:TGID_Z_EN: 0
; COMPUTE_PGM_RSRC2:TIDIG_COMP_CNT: 0
; COMPUTE_PGM_RSRC3_GFX90A:ACCUM_OFFSET: 0
; COMPUTE_PGM_RSRC3_GFX90A:TG_SPLIT: 0
	.section	.text._ZN7rocprim17ROCPRIM_400000_NS6detail17trampoline_kernelINS0_14default_configENS1_27scan_by_key_config_selectorIiiEEZZNS1_16scan_by_key_implILNS1_25lookback_scan_determinismE0ELb0ES3_N6thrust23THRUST_200600_302600_NS6detail15normal_iteratorINS9_10device_ptrIiEEEESE_SE_iNS9_4plusIvEENS9_8equal_toIiEEiEE10hipError_tPvRmT2_T3_T4_T5_mT6_T7_P12ihipStream_tbENKUlT_T0_E_clISt17integral_constantIbLb0EESZ_EEDaSU_SV_EUlSU_E_NS1_11comp_targetILNS1_3genE8ELNS1_11target_archE1030ELNS1_3gpuE2ELNS1_3repE0EEENS1_30default_config_static_selectorELNS0_4arch9wavefront6targetE1EEEvT1_,"axG",@progbits,_ZN7rocprim17ROCPRIM_400000_NS6detail17trampoline_kernelINS0_14default_configENS1_27scan_by_key_config_selectorIiiEEZZNS1_16scan_by_key_implILNS1_25lookback_scan_determinismE0ELb0ES3_N6thrust23THRUST_200600_302600_NS6detail15normal_iteratorINS9_10device_ptrIiEEEESE_SE_iNS9_4plusIvEENS9_8equal_toIiEEiEE10hipError_tPvRmT2_T3_T4_T5_mT6_T7_P12ihipStream_tbENKUlT_T0_E_clISt17integral_constantIbLb0EESZ_EEDaSU_SV_EUlSU_E_NS1_11comp_targetILNS1_3genE8ELNS1_11target_archE1030ELNS1_3gpuE2ELNS1_3repE0EEENS1_30default_config_static_selectorELNS0_4arch9wavefront6targetE1EEEvT1_,comdat
	.protected	_ZN7rocprim17ROCPRIM_400000_NS6detail17trampoline_kernelINS0_14default_configENS1_27scan_by_key_config_selectorIiiEEZZNS1_16scan_by_key_implILNS1_25lookback_scan_determinismE0ELb0ES3_N6thrust23THRUST_200600_302600_NS6detail15normal_iteratorINS9_10device_ptrIiEEEESE_SE_iNS9_4plusIvEENS9_8equal_toIiEEiEE10hipError_tPvRmT2_T3_T4_T5_mT6_T7_P12ihipStream_tbENKUlT_T0_E_clISt17integral_constantIbLb0EESZ_EEDaSU_SV_EUlSU_E_NS1_11comp_targetILNS1_3genE8ELNS1_11target_archE1030ELNS1_3gpuE2ELNS1_3repE0EEENS1_30default_config_static_selectorELNS0_4arch9wavefront6targetE1EEEvT1_ ; -- Begin function _ZN7rocprim17ROCPRIM_400000_NS6detail17trampoline_kernelINS0_14default_configENS1_27scan_by_key_config_selectorIiiEEZZNS1_16scan_by_key_implILNS1_25lookback_scan_determinismE0ELb0ES3_N6thrust23THRUST_200600_302600_NS6detail15normal_iteratorINS9_10device_ptrIiEEEESE_SE_iNS9_4plusIvEENS9_8equal_toIiEEiEE10hipError_tPvRmT2_T3_T4_T5_mT6_T7_P12ihipStream_tbENKUlT_T0_E_clISt17integral_constantIbLb0EESZ_EEDaSU_SV_EUlSU_E_NS1_11comp_targetILNS1_3genE8ELNS1_11target_archE1030ELNS1_3gpuE2ELNS1_3repE0EEENS1_30default_config_static_selectorELNS0_4arch9wavefront6targetE1EEEvT1_
	.globl	_ZN7rocprim17ROCPRIM_400000_NS6detail17trampoline_kernelINS0_14default_configENS1_27scan_by_key_config_selectorIiiEEZZNS1_16scan_by_key_implILNS1_25lookback_scan_determinismE0ELb0ES3_N6thrust23THRUST_200600_302600_NS6detail15normal_iteratorINS9_10device_ptrIiEEEESE_SE_iNS9_4plusIvEENS9_8equal_toIiEEiEE10hipError_tPvRmT2_T3_T4_T5_mT6_T7_P12ihipStream_tbENKUlT_T0_E_clISt17integral_constantIbLb0EESZ_EEDaSU_SV_EUlSU_E_NS1_11comp_targetILNS1_3genE8ELNS1_11target_archE1030ELNS1_3gpuE2ELNS1_3repE0EEENS1_30default_config_static_selectorELNS0_4arch9wavefront6targetE1EEEvT1_
	.p2align	8
	.type	_ZN7rocprim17ROCPRIM_400000_NS6detail17trampoline_kernelINS0_14default_configENS1_27scan_by_key_config_selectorIiiEEZZNS1_16scan_by_key_implILNS1_25lookback_scan_determinismE0ELb0ES3_N6thrust23THRUST_200600_302600_NS6detail15normal_iteratorINS9_10device_ptrIiEEEESE_SE_iNS9_4plusIvEENS9_8equal_toIiEEiEE10hipError_tPvRmT2_T3_T4_T5_mT6_T7_P12ihipStream_tbENKUlT_T0_E_clISt17integral_constantIbLb0EESZ_EEDaSU_SV_EUlSU_E_NS1_11comp_targetILNS1_3genE8ELNS1_11target_archE1030ELNS1_3gpuE2ELNS1_3repE0EEENS1_30default_config_static_selectorELNS0_4arch9wavefront6targetE1EEEvT1_,@function
_ZN7rocprim17ROCPRIM_400000_NS6detail17trampoline_kernelINS0_14default_configENS1_27scan_by_key_config_selectorIiiEEZZNS1_16scan_by_key_implILNS1_25lookback_scan_determinismE0ELb0ES3_N6thrust23THRUST_200600_302600_NS6detail15normal_iteratorINS9_10device_ptrIiEEEESE_SE_iNS9_4plusIvEENS9_8equal_toIiEEiEE10hipError_tPvRmT2_T3_T4_T5_mT6_T7_P12ihipStream_tbENKUlT_T0_E_clISt17integral_constantIbLb0EESZ_EEDaSU_SV_EUlSU_E_NS1_11comp_targetILNS1_3genE8ELNS1_11target_archE1030ELNS1_3gpuE2ELNS1_3repE0EEENS1_30default_config_static_selectorELNS0_4arch9wavefront6targetE1EEEvT1_: ; @_ZN7rocprim17ROCPRIM_400000_NS6detail17trampoline_kernelINS0_14default_configENS1_27scan_by_key_config_selectorIiiEEZZNS1_16scan_by_key_implILNS1_25lookback_scan_determinismE0ELb0ES3_N6thrust23THRUST_200600_302600_NS6detail15normal_iteratorINS9_10device_ptrIiEEEESE_SE_iNS9_4plusIvEENS9_8equal_toIiEEiEE10hipError_tPvRmT2_T3_T4_T5_mT6_T7_P12ihipStream_tbENKUlT_T0_E_clISt17integral_constantIbLb0EESZ_EEDaSU_SV_EUlSU_E_NS1_11comp_targetILNS1_3genE8ELNS1_11target_archE1030ELNS1_3gpuE2ELNS1_3repE0EEENS1_30default_config_static_selectorELNS0_4arch9wavefront6targetE1EEEvT1_
; %bb.0:
	.section	.rodata,"a",@progbits
	.p2align	6, 0x0
	.amdhsa_kernel _ZN7rocprim17ROCPRIM_400000_NS6detail17trampoline_kernelINS0_14default_configENS1_27scan_by_key_config_selectorIiiEEZZNS1_16scan_by_key_implILNS1_25lookback_scan_determinismE0ELb0ES3_N6thrust23THRUST_200600_302600_NS6detail15normal_iteratorINS9_10device_ptrIiEEEESE_SE_iNS9_4plusIvEENS9_8equal_toIiEEiEE10hipError_tPvRmT2_T3_T4_T5_mT6_T7_P12ihipStream_tbENKUlT_T0_E_clISt17integral_constantIbLb0EESZ_EEDaSU_SV_EUlSU_E_NS1_11comp_targetILNS1_3genE8ELNS1_11target_archE1030ELNS1_3gpuE2ELNS1_3repE0EEENS1_30default_config_static_selectorELNS0_4arch9wavefront6targetE1EEEvT1_
		.amdhsa_group_segment_fixed_size 0
		.amdhsa_private_segment_fixed_size 0
		.amdhsa_kernarg_size 112
		.amdhsa_user_sgpr_count 6
		.amdhsa_user_sgpr_private_segment_buffer 1
		.amdhsa_user_sgpr_dispatch_ptr 0
		.amdhsa_user_sgpr_queue_ptr 0
		.amdhsa_user_sgpr_kernarg_segment_ptr 1
		.amdhsa_user_sgpr_dispatch_id 0
		.amdhsa_user_sgpr_flat_scratch_init 0
		.amdhsa_user_sgpr_kernarg_preload_length 0
		.amdhsa_user_sgpr_kernarg_preload_offset 0
		.amdhsa_user_sgpr_private_segment_size 0
		.amdhsa_uses_dynamic_stack 0
		.amdhsa_system_sgpr_private_segment_wavefront_offset 0
		.amdhsa_system_sgpr_workgroup_id_x 1
		.amdhsa_system_sgpr_workgroup_id_y 0
		.amdhsa_system_sgpr_workgroup_id_z 0
		.amdhsa_system_sgpr_workgroup_info 0
		.amdhsa_system_vgpr_workitem_id 0
		.amdhsa_next_free_vgpr 1
		.amdhsa_next_free_sgpr 0
		.amdhsa_accum_offset 4
		.amdhsa_reserve_vcc 0
		.amdhsa_reserve_flat_scratch 0
		.amdhsa_float_round_mode_32 0
		.amdhsa_float_round_mode_16_64 0
		.amdhsa_float_denorm_mode_32 3
		.amdhsa_float_denorm_mode_16_64 3
		.amdhsa_dx10_clamp 1
		.amdhsa_ieee_mode 1
		.amdhsa_fp16_overflow 0
		.amdhsa_tg_split 0
		.amdhsa_exception_fp_ieee_invalid_op 0
		.amdhsa_exception_fp_denorm_src 0
		.amdhsa_exception_fp_ieee_div_zero 0
		.amdhsa_exception_fp_ieee_overflow 0
		.amdhsa_exception_fp_ieee_underflow 0
		.amdhsa_exception_fp_ieee_inexact 0
		.amdhsa_exception_int_div_zero 0
	.end_amdhsa_kernel
	.section	.text._ZN7rocprim17ROCPRIM_400000_NS6detail17trampoline_kernelINS0_14default_configENS1_27scan_by_key_config_selectorIiiEEZZNS1_16scan_by_key_implILNS1_25lookback_scan_determinismE0ELb0ES3_N6thrust23THRUST_200600_302600_NS6detail15normal_iteratorINS9_10device_ptrIiEEEESE_SE_iNS9_4plusIvEENS9_8equal_toIiEEiEE10hipError_tPvRmT2_T3_T4_T5_mT6_T7_P12ihipStream_tbENKUlT_T0_E_clISt17integral_constantIbLb0EESZ_EEDaSU_SV_EUlSU_E_NS1_11comp_targetILNS1_3genE8ELNS1_11target_archE1030ELNS1_3gpuE2ELNS1_3repE0EEENS1_30default_config_static_selectorELNS0_4arch9wavefront6targetE1EEEvT1_,"axG",@progbits,_ZN7rocprim17ROCPRIM_400000_NS6detail17trampoline_kernelINS0_14default_configENS1_27scan_by_key_config_selectorIiiEEZZNS1_16scan_by_key_implILNS1_25lookback_scan_determinismE0ELb0ES3_N6thrust23THRUST_200600_302600_NS6detail15normal_iteratorINS9_10device_ptrIiEEEESE_SE_iNS9_4plusIvEENS9_8equal_toIiEEiEE10hipError_tPvRmT2_T3_T4_T5_mT6_T7_P12ihipStream_tbENKUlT_T0_E_clISt17integral_constantIbLb0EESZ_EEDaSU_SV_EUlSU_E_NS1_11comp_targetILNS1_3genE8ELNS1_11target_archE1030ELNS1_3gpuE2ELNS1_3repE0EEENS1_30default_config_static_selectorELNS0_4arch9wavefront6targetE1EEEvT1_,comdat
.Lfunc_end208:
	.size	_ZN7rocprim17ROCPRIM_400000_NS6detail17trampoline_kernelINS0_14default_configENS1_27scan_by_key_config_selectorIiiEEZZNS1_16scan_by_key_implILNS1_25lookback_scan_determinismE0ELb0ES3_N6thrust23THRUST_200600_302600_NS6detail15normal_iteratorINS9_10device_ptrIiEEEESE_SE_iNS9_4plusIvEENS9_8equal_toIiEEiEE10hipError_tPvRmT2_T3_T4_T5_mT6_T7_P12ihipStream_tbENKUlT_T0_E_clISt17integral_constantIbLb0EESZ_EEDaSU_SV_EUlSU_E_NS1_11comp_targetILNS1_3genE8ELNS1_11target_archE1030ELNS1_3gpuE2ELNS1_3repE0EEENS1_30default_config_static_selectorELNS0_4arch9wavefront6targetE1EEEvT1_, .Lfunc_end208-_ZN7rocprim17ROCPRIM_400000_NS6detail17trampoline_kernelINS0_14default_configENS1_27scan_by_key_config_selectorIiiEEZZNS1_16scan_by_key_implILNS1_25lookback_scan_determinismE0ELb0ES3_N6thrust23THRUST_200600_302600_NS6detail15normal_iteratorINS9_10device_ptrIiEEEESE_SE_iNS9_4plusIvEENS9_8equal_toIiEEiEE10hipError_tPvRmT2_T3_T4_T5_mT6_T7_P12ihipStream_tbENKUlT_T0_E_clISt17integral_constantIbLb0EESZ_EEDaSU_SV_EUlSU_E_NS1_11comp_targetILNS1_3genE8ELNS1_11target_archE1030ELNS1_3gpuE2ELNS1_3repE0EEENS1_30default_config_static_selectorELNS0_4arch9wavefront6targetE1EEEvT1_
                                        ; -- End function
	.section	.AMDGPU.csdata,"",@progbits
; Kernel info:
; codeLenInByte = 0
; NumSgprs: 4
; NumVgprs: 0
; NumAgprs: 0
; TotalNumVgprs: 0
; ScratchSize: 0
; MemoryBound: 0
; FloatMode: 240
; IeeeMode: 1
; LDSByteSize: 0 bytes/workgroup (compile time only)
; SGPRBlocks: 0
; VGPRBlocks: 0
; NumSGPRsForWavesPerEU: 4
; NumVGPRsForWavesPerEU: 1
; AccumOffset: 4
; Occupancy: 8
; WaveLimiterHint : 0
; COMPUTE_PGM_RSRC2:SCRATCH_EN: 0
; COMPUTE_PGM_RSRC2:USER_SGPR: 6
; COMPUTE_PGM_RSRC2:TRAP_HANDLER: 0
; COMPUTE_PGM_RSRC2:TGID_X_EN: 1
; COMPUTE_PGM_RSRC2:TGID_Y_EN: 0
; COMPUTE_PGM_RSRC2:TGID_Z_EN: 0
; COMPUTE_PGM_RSRC2:TIDIG_COMP_CNT: 0
; COMPUTE_PGM_RSRC3_GFX90A:ACCUM_OFFSET: 0
; COMPUTE_PGM_RSRC3_GFX90A:TG_SPLIT: 0
	.section	.text._ZN7rocprim17ROCPRIM_400000_NS6detail17trampoline_kernelINS0_14default_configENS1_27scan_by_key_config_selectorIiiEEZZNS1_16scan_by_key_implILNS1_25lookback_scan_determinismE0ELb0ES3_N6thrust23THRUST_200600_302600_NS6detail15normal_iteratorINS9_10device_ptrIiEEEESE_SE_iNS9_4plusIvEENS9_8equal_toIiEEiEE10hipError_tPvRmT2_T3_T4_T5_mT6_T7_P12ihipStream_tbENKUlT_T0_E_clISt17integral_constantIbLb1EESZ_EEDaSU_SV_EUlSU_E_NS1_11comp_targetILNS1_3genE0ELNS1_11target_archE4294967295ELNS1_3gpuE0ELNS1_3repE0EEENS1_30default_config_static_selectorELNS0_4arch9wavefront6targetE1EEEvT1_,"axG",@progbits,_ZN7rocprim17ROCPRIM_400000_NS6detail17trampoline_kernelINS0_14default_configENS1_27scan_by_key_config_selectorIiiEEZZNS1_16scan_by_key_implILNS1_25lookback_scan_determinismE0ELb0ES3_N6thrust23THRUST_200600_302600_NS6detail15normal_iteratorINS9_10device_ptrIiEEEESE_SE_iNS9_4plusIvEENS9_8equal_toIiEEiEE10hipError_tPvRmT2_T3_T4_T5_mT6_T7_P12ihipStream_tbENKUlT_T0_E_clISt17integral_constantIbLb1EESZ_EEDaSU_SV_EUlSU_E_NS1_11comp_targetILNS1_3genE0ELNS1_11target_archE4294967295ELNS1_3gpuE0ELNS1_3repE0EEENS1_30default_config_static_selectorELNS0_4arch9wavefront6targetE1EEEvT1_,comdat
	.protected	_ZN7rocprim17ROCPRIM_400000_NS6detail17trampoline_kernelINS0_14default_configENS1_27scan_by_key_config_selectorIiiEEZZNS1_16scan_by_key_implILNS1_25lookback_scan_determinismE0ELb0ES3_N6thrust23THRUST_200600_302600_NS6detail15normal_iteratorINS9_10device_ptrIiEEEESE_SE_iNS9_4plusIvEENS9_8equal_toIiEEiEE10hipError_tPvRmT2_T3_T4_T5_mT6_T7_P12ihipStream_tbENKUlT_T0_E_clISt17integral_constantIbLb1EESZ_EEDaSU_SV_EUlSU_E_NS1_11comp_targetILNS1_3genE0ELNS1_11target_archE4294967295ELNS1_3gpuE0ELNS1_3repE0EEENS1_30default_config_static_selectorELNS0_4arch9wavefront6targetE1EEEvT1_ ; -- Begin function _ZN7rocprim17ROCPRIM_400000_NS6detail17trampoline_kernelINS0_14default_configENS1_27scan_by_key_config_selectorIiiEEZZNS1_16scan_by_key_implILNS1_25lookback_scan_determinismE0ELb0ES3_N6thrust23THRUST_200600_302600_NS6detail15normal_iteratorINS9_10device_ptrIiEEEESE_SE_iNS9_4plusIvEENS9_8equal_toIiEEiEE10hipError_tPvRmT2_T3_T4_T5_mT6_T7_P12ihipStream_tbENKUlT_T0_E_clISt17integral_constantIbLb1EESZ_EEDaSU_SV_EUlSU_E_NS1_11comp_targetILNS1_3genE0ELNS1_11target_archE4294967295ELNS1_3gpuE0ELNS1_3repE0EEENS1_30default_config_static_selectorELNS0_4arch9wavefront6targetE1EEEvT1_
	.globl	_ZN7rocprim17ROCPRIM_400000_NS6detail17trampoline_kernelINS0_14default_configENS1_27scan_by_key_config_selectorIiiEEZZNS1_16scan_by_key_implILNS1_25lookback_scan_determinismE0ELb0ES3_N6thrust23THRUST_200600_302600_NS6detail15normal_iteratorINS9_10device_ptrIiEEEESE_SE_iNS9_4plusIvEENS9_8equal_toIiEEiEE10hipError_tPvRmT2_T3_T4_T5_mT6_T7_P12ihipStream_tbENKUlT_T0_E_clISt17integral_constantIbLb1EESZ_EEDaSU_SV_EUlSU_E_NS1_11comp_targetILNS1_3genE0ELNS1_11target_archE4294967295ELNS1_3gpuE0ELNS1_3repE0EEENS1_30default_config_static_selectorELNS0_4arch9wavefront6targetE1EEEvT1_
	.p2align	8
	.type	_ZN7rocprim17ROCPRIM_400000_NS6detail17trampoline_kernelINS0_14default_configENS1_27scan_by_key_config_selectorIiiEEZZNS1_16scan_by_key_implILNS1_25lookback_scan_determinismE0ELb0ES3_N6thrust23THRUST_200600_302600_NS6detail15normal_iteratorINS9_10device_ptrIiEEEESE_SE_iNS9_4plusIvEENS9_8equal_toIiEEiEE10hipError_tPvRmT2_T3_T4_T5_mT6_T7_P12ihipStream_tbENKUlT_T0_E_clISt17integral_constantIbLb1EESZ_EEDaSU_SV_EUlSU_E_NS1_11comp_targetILNS1_3genE0ELNS1_11target_archE4294967295ELNS1_3gpuE0ELNS1_3repE0EEENS1_30default_config_static_selectorELNS0_4arch9wavefront6targetE1EEEvT1_,@function
_ZN7rocprim17ROCPRIM_400000_NS6detail17trampoline_kernelINS0_14default_configENS1_27scan_by_key_config_selectorIiiEEZZNS1_16scan_by_key_implILNS1_25lookback_scan_determinismE0ELb0ES3_N6thrust23THRUST_200600_302600_NS6detail15normal_iteratorINS9_10device_ptrIiEEEESE_SE_iNS9_4plusIvEENS9_8equal_toIiEEiEE10hipError_tPvRmT2_T3_T4_T5_mT6_T7_P12ihipStream_tbENKUlT_T0_E_clISt17integral_constantIbLb1EESZ_EEDaSU_SV_EUlSU_E_NS1_11comp_targetILNS1_3genE0ELNS1_11target_archE4294967295ELNS1_3gpuE0ELNS1_3repE0EEENS1_30default_config_static_selectorELNS0_4arch9wavefront6targetE1EEEvT1_: ; @_ZN7rocprim17ROCPRIM_400000_NS6detail17trampoline_kernelINS0_14default_configENS1_27scan_by_key_config_selectorIiiEEZZNS1_16scan_by_key_implILNS1_25lookback_scan_determinismE0ELb0ES3_N6thrust23THRUST_200600_302600_NS6detail15normal_iteratorINS9_10device_ptrIiEEEESE_SE_iNS9_4plusIvEENS9_8equal_toIiEEiEE10hipError_tPvRmT2_T3_T4_T5_mT6_T7_P12ihipStream_tbENKUlT_T0_E_clISt17integral_constantIbLb1EESZ_EEDaSU_SV_EUlSU_E_NS1_11comp_targetILNS1_3genE0ELNS1_11target_archE4294967295ELNS1_3gpuE0ELNS1_3repE0EEENS1_30default_config_static_selectorELNS0_4arch9wavefront6targetE1EEEvT1_
; %bb.0:
	.section	.rodata,"a",@progbits
	.p2align	6, 0x0
	.amdhsa_kernel _ZN7rocprim17ROCPRIM_400000_NS6detail17trampoline_kernelINS0_14default_configENS1_27scan_by_key_config_selectorIiiEEZZNS1_16scan_by_key_implILNS1_25lookback_scan_determinismE0ELb0ES3_N6thrust23THRUST_200600_302600_NS6detail15normal_iteratorINS9_10device_ptrIiEEEESE_SE_iNS9_4plusIvEENS9_8equal_toIiEEiEE10hipError_tPvRmT2_T3_T4_T5_mT6_T7_P12ihipStream_tbENKUlT_T0_E_clISt17integral_constantIbLb1EESZ_EEDaSU_SV_EUlSU_E_NS1_11comp_targetILNS1_3genE0ELNS1_11target_archE4294967295ELNS1_3gpuE0ELNS1_3repE0EEENS1_30default_config_static_selectorELNS0_4arch9wavefront6targetE1EEEvT1_
		.amdhsa_group_segment_fixed_size 0
		.amdhsa_private_segment_fixed_size 0
		.amdhsa_kernarg_size 112
		.amdhsa_user_sgpr_count 6
		.amdhsa_user_sgpr_private_segment_buffer 1
		.amdhsa_user_sgpr_dispatch_ptr 0
		.amdhsa_user_sgpr_queue_ptr 0
		.amdhsa_user_sgpr_kernarg_segment_ptr 1
		.amdhsa_user_sgpr_dispatch_id 0
		.amdhsa_user_sgpr_flat_scratch_init 0
		.amdhsa_user_sgpr_kernarg_preload_length 0
		.amdhsa_user_sgpr_kernarg_preload_offset 0
		.amdhsa_user_sgpr_private_segment_size 0
		.amdhsa_uses_dynamic_stack 0
		.amdhsa_system_sgpr_private_segment_wavefront_offset 0
		.amdhsa_system_sgpr_workgroup_id_x 1
		.amdhsa_system_sgpr_workgroup_id_y 0
		.amdhsa_system_sgpr_workgroup_id_z 0
		.amdhsa_system_sgpr_workgroup_info 0
		.amdhsa_system_vgpr_workitem_id 0
		.amdhsa_next_free_vgpr 1
		.amdhsa_next_free_sgpr 0
		.amdhsa_accum_offset 4
		.amdhsa_reserve_vcc 0
		.amdhsa_reserve_flat_scratch 0
		.amdhsa_float_round_mode_32 0
		.amdhsa_float_round_mode_16_64 0
		.amdhsa_float_denorm_mode_32 3
		.amdhsa_float_denorm_mode_16_64 3
		.amdhsa_dx10_clamp 1
		.amdhsa_ieee_mode 1
		.amdhsa_fp16_overflow 0
		.amdhsa_tg_split 0
		.amdhsa_exception_fp_ieee_invalid_op 0
		.amdhsa_exception_fp_denorm_src 0
		.amdhsa_exception_fp_ieee_div_zero 0
		.amdhsa_exception_fp_ieee_overflow 0
		.amdhsa_exception_fp_ieee_underflow 0
		.amdhsa_exception_fp_ieee_inexact 0
		.amdhsa_exception_int_div_zero 0
	.end_amdhsa_kernel
	.section	.text._ZN7rocprim17ROCPRIM_400000_NS6detail17trampoline_kernelINS0_14default_configENS1_27scan_by_key_config_selectorIiiEEZZNS1_16scan_by_key_implILNS1_25lookback_scan_determinismE0ELb0ES3_N6thrust23THRUST_200600_302600_NS6detail15normal_iteratorINS9_10device_ptrIiEEEESE_SE_iNS9_4plusIvEENS9_8equal_toIiEEiEE10hipError_tPvRmT2_T3_T4_T5_mT6_T7_P12ihipStream_tbENKUlT_T0_E_clISt17integral_constantIbLb1EESZ_EEDaSU_SV_EUlSU_E_NS1_11comp_targetILNS1_3genE0ELNS1_11target_archE4294967295ELNS1_3gpuE0ELNS1_3repE0EEENS1_30default_config_static_selectorELNS0_4arch9wavefront6targetE1EEEvT1_,"axG",@progbits,_ZN7rocprim17ROCPRIM_400000_NS6detail17trampoline_kernelINS0_14default_configENS1_27scan_by_key_config_selectorIiiEEZZNS1_16scan_by_key_implILNS1_25lookback_scan_determinismE0ELb0ES3_N6thrust23THRUST_200600_302600_NS6detail15normal_iteratorINS9_10device_ptrIiEEEESE_SE_iNS9_4plusIvEENS9_8equal_toIiEEiEE10hipError_tPvRmT2_T3_T4_T5_mT6_T7_P12ihipStream_tbENKUlT_T0_E_clISt17integral_constantIbLb1EESZ_EEDaSU_SV_EUlSU_E_NS1_11comp_targetILNS1_3genE0ELNS1_11target_archE4294967295ELNS1_3gpuE0ELNS1_3repE0EEENS1_30default_config_static_selectorELNS0_4arch9wavefront6targetE1EEEvT1_,comdat
.Lfunc_end209:
	.size	_ZN7rocprim17ROCPRIM_400000_NS6detail17trampoline_kernelINS0_14default_configENS1_27scan_by_key_config_selectorIiiEEZZNS1_16scan_by_key_implILNS1_25lookback_scan_determinismE0ELb0ES3_N6thrust23THRUST_200600_302600_NS6detail15normal_iteratorINS9_10device_ptrIiEEEESE_SE_iNS9_4plusIvEENS9_8equal_toIiEEiEE10hipError_tPvRmT2_T3_T4_T5_mT6_T7_P12ihipStream_tbENKUlT_T0_E_clISt17integral_constantIbLb1EESZ_EEDaSU_SV_EUlSU_E_NS1_11comp_targetILNS1_3genE0ELNS1_11target_archE4294967295ELNS1_3gpuE0ELNS1_3repE0EEENS1_30default_config_static_selectorELNS0_4arch9wavefront6targetE1EEEvT1_, .Lfunc_end209-_ZN7rocprim17ROCPRIM_400000_NS6detail17trampoline_kernelINS0_14default_configENS1_27scan_by_key_config_selectorIiiEEZZNS1_16scan_by_key_implILNS1_25lookback_scan_determinismE0ELb0ES3_N6thrust23THRUST_200600_302600_NS6detail15normal_iteratorINS9_10device_ptrIiEEEESE_SE_iNS9_4plusIvEENS9_8equal_toIiEEiEE10hipError_tPvRmT2_T3_T4_T5_mT6_T7_P12ihipStream_tbENKUlT_T0_E_clISt17integral_constantIbLb1EESZ_EEDaSU_SV_EUlSU_E_NS1_11comp_targetILNS1_3genE0ELNS1_11target_archE4294967295ELNS1_3gpuE0ELNS1_3repE0EEENS1_30default_config_static_selectorELNS0_4arch9wavefront6targetE1EEEvT1_
                                        ; -- End function
	.section	.AMDGPU.csdata,"",@progbits
; Kernel info:
; codeLenInByte = 0
; NumSgprs: 4
; NumVgprs: 0
; NumAgprs: 0
; TotalNumVgprs: 0
; ScratchSize: 0
; MemoryBound: 0
; FloatMode: 240
; IeeeMode: 1
; LDSByteSize: 0 bytes/workgroup (compile time only)
; SGPRBlocks: 0
; VGPRBlocks: 0
; NumSGPRsForWavesPerEU: 4
; NumVGPRsForWavesPerEU: 1
; AccumOffset: 4
; Occupancy: 8
; WaveLimiterHint : 0
; COMPUTE_PGM_RSRC2:SCRATCH_EN: 0
; COMPUTE_PGM_RSRC2:USER_SGPR: 6
; COMPUTE_PGM_RSRC2:TRAP_HANDLER: 0
; COMPUTE_PGM_RSRC2:TGID_X_EN: 1
; COMPUTE_PGM_RSRC2:TGID_Y_EN: 0
; COMPUTE_PGM_RSRC2:TGID_Z_EN: 0
; COMPUTE_PGM_RSRC2:TIDIG_COMP_CNT: 0
; COMPUTE_PGM_RSRC3_GFX90A:ACCUM_OFFSET: 0
; COMPUTE_PGM_RSRC3_GFX90A:TG_SPLIT: 0
	.section	.text._ZN7rocprim17ROCPRIM_400000_NS6detail17trampoline_kernelINS0_14default_configENS1_27scan_by_key_config_selectorIiiEEZZNS1_16scan_by_key_implILNS1_25lookback_scan_determinismE0ELb0ES3_N6thrust23THRUST_200600_302600_NS6detail15normal_iteratorINS9_10device_ptrIiEEEESE_SE_iNS9_4plusIvEENS9_8equal_toIiEEiEE10hipError_tPvRmT2_T3_T4_T5_mT6_T7_P12ihipStream_tbENKUlT_T0_E_clISt17integral_constantIbLb1EESZ_EEDaSU_SV_EUlSU_E_NS1_11comp_targetILNS1_3genE10ELNS1_11target_archE1201ELNS1_3gpuE5ELNS1_3repE0EEENS1_30default_config_static_selectorELNS0_4arch9wavefront6targetE1EEEvT1_,"axG",@progbits,_ZN7rocprim17ROCPRIM_400000_NS6detail17trampoline_kernelINS0_14default_configENS1_27scan_by_key_config_selectorIiiEEZZNS1_16scan_by_key_implILNS1_25lookback_scan_determinismE0ELb0ES3_N6thrust23THRUST_200600_302600_NS6detail15normal_iteratorINS9_10device_ptrIiEEEESE_SE_iNS9_4plusIvEENS9_8equal_toIiEEiEE10hipError_tPvRmT2_T3_T4_T5_mT6_T7_P12ihipStream_tbENKUlT_T0_E_clISt17integral_constantIbLb1EESZ_EEDaSU_SV_EUlSU_E_NS1_11comp_targetILNS1_3genE10ELNS1_11target_archE1201ELNS1_3gpuE5ELNS1_3repE0EEENS1_30default_config_static_selectorELNS0_4arch9wavefront6targetE1EEEvT1_,comdat
	.protected	_ZN7rocprim17ROCPRIM_400000_NS6detail17trampoline_kernelINS0_14default_configENS1_27scan_by_key_config_selectorIiiEEZZNS1_16scan_by_key_implILNS1_25lookback_scan_determinismE0ELb0ES3_N6thrust23THRUST_200600_302600_NS6detail15normal_iteratorINS9_10device_ptrIiEEEESE_SE_iNS9_4plusIvEENS9_8equal_toIiEEiEE10hipError_tPvRmT2_T3_T4_T5_mT6_T7_P12ihipStream_tbENKUlT_T0_E_clISt17integral_constantIbLb1EESZ_EEDaSU_SV_EUlSU_E_NS1_11comp_targetILNS1_3genE10ELNS1_11target_archE1201ELNS1_3gpuE5ELNS1_3repE0EEENS1_30default_config_static_selectorELNS0_4arch9wavefront6targetE1EEEvT1_ ; -- Begin function _ZN7rocprim17ROCPRIM_400000_NS6detail17trampoline_kernelINS0_14default_configENS1_27scan_by_key_config_selectorIiiEEZZNS1_16scan_by_key_implILNS1_25lookback_scan_determinismE0ELb0ES3_N6thrust23THRUST_200600_302600_NS6detail15normal_iteratorINS9_10device_ptrIiEEEESE_SE_iNS9_4plusIvEENS9_8equal_toIiEEiEE10hipError_tPvRmT2_T3_T4_T5_mT6_T7_P12ihipStream_tbENKUlT_T0_E_clISt17integral_constantIbLb1EESZ_EEDaSU_SV_EUlSU_E_NS1_11comp_targetILNS1_3genE10ELNS1_11target_archE1201ELNS1_3gpuE5ELNS1_3repE0EEENS1_30default_config_static_selectorELNS0_4arch9wavefront6targetE1EEEvT1_
	.globl	_ZN7rocprim17ROCPRIM_400000_NS6detail17trampoline_kernelINS0_14default_configENS1_27scan_by_key_config_selectorIiiEEZZNS1_16scan_by_key_implILNS1_25lookback_scan_determinismE0ELb0ES3_N6thrust23THRUST_200600_302600_NS6detail15normal_iteratorINS9_10device_ptrIiEEEESE_SE_iNS9_4plusIvEENS9_8equal_toIiEEiEE10hipError_tPvRmT2_T3_T4_T5_mT6_T7_P12ihipStream_tbENKUlT_T0_E_clISt17integral_constantIbLb1EESZ_EEDaSU_SV_EUlSU_E_NS1_11comp_targetILNS1_3genE10ELNS1_11target_archE1201ELNS1_3gpuE5ELNS1_3repE0EEENS1_30default_config_static_selectorELNS0_4arch9wavefront6targetE1EEEvT1_
	.p2align	8
	.type	_ZN7rocprim17ROCPRIM_400000_NS6detail17trampoline_kernelINS0_14default_configENS1_27scan_by_key_config_selectorIiiEEZZNS1_16scan_by_key_implILNS1_25lookback_scan_determinismE0ELb0ES3_N6thrust23THRUST_200600_302600_NS6detail15normal_iteratorINS9_10device_ptrIiEEEESE_SE_iNS9_4plusIvEENS9_8equal_toIiEEiEE10hipError_tPvRmT2_T3_T4_T5_mT6_T7_P12ihipStream_tbENKUlT_T0_E_clISt17integral_constantIbLb1EESZ_EEDaSU_SV_EUlSU_E_NS1_11comp_targetILNS1_3genE10ELNS1_11target_archE1201ELNS1_3gpuE5ELNS1_3repE0EEENS1_30default_config_static_selectorELNS0_4arch9wavefront6targetE1EEEvT1_,@function
_ZN7rocprim17ROCPRIM_400000_NS6detail17trampoline_kernelINS0_14default_configENS1_27scan_by_key_config_selectorIiiEEZZNS1_16scan_by_key_implILNS1_25lookback_scan_determinismE0ELb0ES3_N6thrust23THRUST_200600_302600_NS6detail15normal_iteratorINS9_10device_ptrIiEEEESE_SE_iNS9_4plusIvEENS9_8equal_toIiEEiEE10hipError_tPvRmT2_T3_T4_T5_mT6_T7_P12ihipStream_tbENKUlT_T0_E_clISt17integral_constantIbLb1EESZ_EEDaSU_SV_EUlSU_E_NS1_11comp_targetILNS1_3genE10ELNS1_11target_archE1201ELNS1_3gpuE5ELNS1_3repE0EEENS1_30default_config_static_selectorELNS0_4arch9wavefront6targetE1EEEvT1_: ; @_ZN7rocprim17ROCPRIM_400000_NS6detail17trampoline_kernelINS0_14default_configENS1_27scan_by_key_config_selectorIiiEEZZNS1_16scan_by_key_implILNS1_25lookback_scan_determinismE0ELb0ES3_N6thrust23THRUST_200600_302600_NS6detail15normal_iteratorINS9_10device_ptrIiEEEESE_SE_iNS9_4plusIvEENS9_8equal_toIiEEiEE10hipError_tPvRmT2_T3_T4_T5_mT6_T7_P12ihipStream_tbENKUlT_T0_E_clISt17integral_constantIbLb1EESZ_EEDaSU_SV_EUlSU_E_NS1_11comp_targetILNS1_3genE10ELNS1_11target_archE1201ELNS1_3gpuE5ELNS1_3repE0EEENS1_30default_config_static_selectorELNS0_4arch9wavefront6targetE1EEEvT1_
; %bb.0:
	.section	.rodata,"a",@progbits
	.p2align	6, 0x0
	.amdhsa_kernel _ZN7rocprim17ROCPRIM_400000_NS6detail17trampoline_kernelINS0_14default_configENS1_27scan_by_key_config_selectorIiiEEZZNS1_16scan_by_key_implILNS1_25lookback_scan_determinismE0ELb0ES3_N6thrust23THRUST_200600_302600_NS6detail15normal_iteratorINS9_10device_ptrIiEEEESE_SE_iNS9_4plusIvEENS9_8equal_toIiEEiEE10hipError_tPvRmT2_T3_T4_T5_mT6_T7_P12ihipStream_tbENKUlT_T0_E_clISt17integral_constantIbLb1EESZ_EEDaSU_SV_EUlSU_E_NS1_11comp_targetILNS1_3genE10ELNS1_11target_archE1201ELNS1_3gpuE5ELNS1_3repE0EEENS1_30default_config_static_selectorELNS0_4arch9wavefront6targetE1EEEvT1_
		.amdhsa_group_segment_fixed_size 0
		.amdhsa_private_segment_fixed_size 0
		.amdhsa_kernarg_size 112
		.amdhsa_user_sgpr_count 6
		.amdhsa_user_sgpr_private_segment_buffer 1
		.amdhsa_user_sgpr_dispatch_ptr 0
		.amdhsa_user_sgpr_queue_ptr 0
		.amdhsa_user_sgpr_kernarg_segment_ptr 1
		.amdhsa_user_sgpr_dispatch_id 0
		.amdhsa_user_sgpr_flat_scratch_init 0
		.amdhsa_user_sgpr_kernarg_preload_length 0
		.amdhsa_user_sgpr_kernarg_preload_offset 0
		.amdhsa_user_sgpr_private_segment_size 0
		.amdhsa_uses_dynamic_stack 0
		.amdhsa_system_sgpr_private_segment_wavefront_offset 0
		.amdhsa_system_sgpr_workgroup_id_x 1
		.amdhsa_system_sgpr_workgroup_id_y 0
		.amdhsa_system_sgpr_workgroup_id_z 0
		.amdhsa_system_sgpr_workgroup_info 0
		.amdhsa_system_vgpr_workitem_id 0
		.amdhsa_next_free_vgpr 1
		.amdhsa_next_free_sgpr 0
		.amdhsa_accum_offset 4
		.amdhsa_reserve_vcc 0
		.amdhsa_reserve_flat_scratch 0
		.amdhsa_float_round_mode_32 0
		.amdhsa_float_round_mode_16_64 0
		.amdhsa_float_denorm_mode_32 3
		.amdhsa_float_denorm_mode_16_64 3
		.amdhsa_dx10_clamp 1
		.amdhsa_ieee_mode 1
		.amdhsa_fp16_overflow 0
		.amdhsa_tg_split 0
		.amdhsa_exception_fp_ieee_invalid_op 0
		.amdhsa_exception_fp_denorm_src 0
		.amdhsa_exception_fp_ieee_div_zero 0
		.amdhsa_exception_fp_ieee_overflow 0
		.amdhsa_exception_fp_ieee_underflow 0
		.amdhsa_exception_fp_ieee_inexact 0
		.amdhsa_exception_int_div_zero 0
	.end_amdhsa_kernel
	.section	.text._ZN7rocprim17ROCPRIM_400000_NS6detail17trampoline_kernelINS0_14default_configENS1_27scan_by_key_config_selectorIiiEEZZNS1_16scan_by_key_implILNS1_25lookback_scan_determinismE0ELb0ES3_N6thrust23THRUST_200600_302600_NS6detail15normal_iteratorINS9_10device_ptrIiEEEESE_SE_iNS9_4plusIvEENS9_8equal_toIiEEiEE10hipError_tPvRmT2_T3_T4_T5_mT6_T7_P12ihipStream_tbENKUlT_T0_E_clISt17integral_constantIbLb1EESZ_EEDaSU_SV_EUlSU_E_NS1_11comp_targetILNS1_3genE10ELNS1_11target_archE1201ELNS1_3gpuE5ELNS1_3repE0EEENS1_30default_config_static_selectorELNS0_4arch9wavefront6targetE1EEEvT1_,"axG",@progbits,_ZN7rocprim17ROCPRIM_400000_NS6detail17trampoline_kernelINS0_14default_configENS1_27scan_by_key_config_selectorIiiEEZZNS1_16scan_by_key_implILNS1_25lookback_scan_determinismE0ELb0ES3_N6thrust23THRUST_200600_302600_NS6detail15normal_iteratorINS9_10device_ptrIiEEEESE_SE_iNS9_4plusIvEENS9_8equal_toIiEEiEE10hipError_tPvRmT2_T3_T4_T5_mT6_T7_P12ihipStream_tbENKUlT_T0_E_clISt17integral_constantIbLb1EESZ_EEDaSU_SV_EUlSU_E_NS1_11comp_targetILNS1_3genE10ELNS1_11target_archE1201ELNS1_3gpuE5ELNS1_3repE0EEENS1_30default_config_static_selectorELNS0_4arch9wavefront6targetE1EEEvT1_,comdat
.Lfunc_end210:
	.size	_ZN7rocprim17ROCPRIM_400000_NS6detail17trampoline_kernelINS0_14default_configENS1_27scan_by_key_config_selectorIiiEEZZNS1_16scan_by_key_implILNS1_25lookback_scan_determinismE0ELb0ES3_N6thrust23THRUST_200600_302600_NS6detail15normal_iteratorINS9_10device_ptrIiEEEESE_SE_iNS9_4plusIvEENS9_8equal_toIiEEiEE10hipError_tPvRmT2_T3_T4_T5_mT6_T7_P12ihipStream_tbENKUlT_T0_E_clISt17integral_constantIbLb1EESZ_EEDaSU_SV_EUlSU_E_NS1_11comp_targetILNS1_3genE10ELNS1_11target_archE1201ELNS1_3gpuE5ELNS1_3repE0EEENS1_30default_config_static_selectorELNS0_4arch9wavefront6targetE1EEEvT1_, .Lfunc_end210-_ZN7rocprim17ROCPRIM_400000_NS6detail17trampoline_kernelINS0_14default_configENS1_27scan_by_key_config_selectorIiiEEZZNS1_16scan_by_key_implILNS1_25lookback_scan_determinismE0ELb0ES3_N6thrust23THRUST_200600_302600_NS6detail15normal_iteratorINS9_10device_ptrIiEEEESE_SE_iNS9_4plusIvEENS9_8equal_toIiEEiEE10hipError_tPvRmT2_T3_T4_T5_mT6_T7_P12ihipStream_tbENKUlT_T0_E_clISt17integral_constantIbLb1EESZ_EEDaSU_SV_EUlSU_E_NS1_11comp_targetILNS1_3genE10ELNS1_11target_archE1201ELNS1_3gpuE5ELNS1_3repE0EEENS1_30default_config_static_selectorELNS0_4arch9wavefront6targetE1EEEvT1_
                                        ; -- End function
	.section	.AMDGPU.csdata,"",@progbits
; Kernel info:
; codeLenInByte = 0
; NumSgprs: 4
; NumVgprs: 0
; NumAgprs: 0
; TotalNumVgprs: 0
; ScratchSize: 0
; MemoryBound: 0
; FloatMode: 240
; IeeeMode: 1
; LDSByteSize: 0 bytes/workgroup (compile time only)
; SGPRBlocks: 0
; VGPRBlocks: 0
; NumSGPRsForWavesPerEU: 4
; NumVGPRsForWavesPerEU: 1
; AccumOffset: 4
; Occupancy: 8
; WaveLimiterHint : 0
; COMPUTE_PGM_RSRC2:SCRATCH_EN: 0
; COMPUTE_PGM_RSRC2:USER_SGPR: 6
; COMPUTE_PGM_RSRC2:TRAP_HANDLER: 0
; COMPUTE_PGM_RSRC2:TGID_X_EN: 1
; COMPUTE_PGM_RSRC2:TGID_Y_EN: 0
; COMPUTE_PGM_RSRC2:TGID_Z_EN: 0
; COMPUTE_PGM_RSRC2:TIDIG_COMP_CNT: 0
; COMPUTE_PGM_RSRC3_GFX90A:ACCUM_OFFSET: 0
; COMPUTE_PGM_RSRC3_GFX90A:TG_SPLIT: 0
	.section	.text._ZN7rocprim17ROCPRIM_400000_NS6detail17trampoline_kernelINS0_14default_configENS1_27scan_by_key_config_selectorIiiEEZZNS1_16scan_by_key_implILNS1_25lookback_scan_determinismE0ELb0ES3_N6thrust23THRUST_200600_302600_NS6detail15normal_iteratorINS9_10device_ptrIiEEEESE_SE_iNS9_4plusIvEENS9_8equal_toIiEEiEE10hipError_tPvRmT2_T3_T4_T5_mT6_T7_P12ihipStream_tbENKUlT_T0_E_clISt17integral_constantIbLb1EESZ_EEDaSU_SV_EUlSU_E_NS1_11comp_targetILNS1_3genE5ELNS1_11target_archE942ELNS1_3gpuE9ELNS1_3repE0EEENS1_30default_config_static_selectorELNS0_4arch9wavefront6targetE1EEEvT1_,"axG",@progbits,_ZN7rocprim17ROCPRIM_400000_NS6detail17trampoline_kernelINS0_14default_configENS1_27scan_by_key_config_selectorIiiEEZZNS1_16scan_by_key_implILNS1_25lookback_scan_determinismE0ELb0ES3_N6thrust23THRUST_200600_302600_NS6detail15normal_iteratorINS9_10device_ptrIiEEEESE_SE_iNS9_4plusIvEENS9_8equal_toIiEEiEE10hipError_tPvRmT2_T3_T4_T5_mT6_T7_P12ihipStream_tbENKUlT_T0_E_clISt17integral_constantIbLb1EESZ_EEDaSU_SV_EUlSU_E_NS1_11comp_targetILNS1_3genE5ELNS1_11target_archE942ELNS1_3gpuE9ELNS1_3repE0EEENS1_30default_config_static_selectorELNS0_4arch9wavefront6targetE1EEEvT1_,comdat
	.protected	_ZN7rocprim17ROCPRIM_400000_NS6detail17trampoline_kernelINS0_14default_configENS1_27scan_by_key_config_selectorIiiEEZZNS1_16scan_by_key_implILNS1_25lookback_scan_determinismE0ELb0ES3_N6thrust23THRUST_200600_302600_NS6detail15normal_iteratorINS9_10device_ptrIiEEEESE_SE_iNS9_4plusIvEENS9_8equal_toIiEEiEE10hipError_tPvRmT2_T3_T4_T5_mT6_T7_P12ihipStream_tbENKUlT_T0_E_clISt17integral_constantIbLb1EESZ_EEDaSU_SV_EUlSU_E_NS1_11comp_targetILNS1_3genE5ELNS1_11target_archE942ELNS1_3gpuE9ELNS1_3repE0EEENS1_30default_config_static_selectorELNS0_4arch9wavefront6targetE1EEEvT1_ ; -- Begin function _ZN7rocprim17ROCPRIM_400000_NS6detail17trampoline_kernelINS0_14default_configENS1_27scan_by_key_config_selectorIiiEEZZNS1_16scan_by_key_implILNS1_25lookback_scan_determinismE0ELb0ES3_N6thrust23THRUST_200600_302600_NS6detail15normal_iteratorINS9_10device_ptrIiEEEESE_SE_iNS9_4plusIvEENS9_8equal_toIiEEiEE10hipError_tPvRmT2_T3_T4_T5_mT6_T7_P12ihipStream_tbENKUlT_T0_E_clISt17integral_constantIbLb1EESZ_EEDaSU_SV_EUlSU_E_NS1_11comp_targetILNS1_3genE5ELNS1_11target_archE942ELNS1_3gpuE9ELNS1_3repE0EEENS1_30default_config_static_selectorELNS0_4arch9wavefront6targetE1EEEvT1_
	.globl	_ZN7rocprim17ROCPRIM_400000_NS6detail17trampoline_kernelINS0_14default_configENS1_27scan_by_key_config_selectorIiiEEZZNS1_16scan_by_key_implILNS1_25lookback_scan_determinismE0ELb0ES3_N6thrust23THRUST_200600_302600_NS6detail15normal_iteratorINS9_10device_ptrIiEEEESE_SE_iNS9_4plusIvEENS9_8equal_toIiEEiEE10hipError_tPvRmT2_T3_T4_T5_mT6_T7_P12ihipStream_tbENKUlT_T0_E_clISt17integral_constantIbLb1EESZ_EEDaSU_SV_EUlSU_E_NS1_11comp_targetILNS1_3genE5ELNS1_11target_archE942ELNS1_3gpuE9ELNS1_3repE0EEENS1_30default_config_static_selectorELNS0_4arch9wavefront6targetE1EEEvT1_
	.p2align	8
	.type	_ZN7rocprim17ROCPRIM_400000_NS6detail17trampoline_kernelINS0_14default_configENS1_27scan_by_key_config_selectorIiiEEZZNS1_16scan_by_key_implILNS1_25lookback_scan_determinismE0ELb0ES3_N6thrust23THRUST_200600_302600_NS6detail15normal_iteratorINS9_10device_ptrIiEEEESE_SE_iNS9_4plusIvEENS9_8equal_toIiEEiEE10hipError_tPvRmT2_T3_T4_T5_mT6_T7_P12ihipStream_tbENKUlT_T0_E_clISt17integral_constantIbLb1EESZ_EEDaSU_SV_EUlSU_E_NS1_11comp_targetILNS1_3genE5ELNS1_11target_archE942ELNS1_3gpuE9ELNS1_3repE0EEENS1_30default_config_static_selectorELNS0_4arch9wavefront6targetE1EEEvT1_,@function
_ZN7rocprim17ROCPRIM_400000_NS6detail17trampoline_kernelINS0_14default_configENS1_27scan_by_key_config_selectorIiiEEZZNS1_16scan_by_key_implILNS1_25lookback_scan_determinismE0ELb0ES3_N6thrust23THRUST_200600_302600_NS6detail15normal_iteratorINS9_10device_ptrIiEEEESE_SE_iNS9_4plusIvEENS9_8equal_toIiEEiEE10hipError_tPvRmT2_T3_T4_T5_mT6_T7_P12ihipStream_tbENKUlT_T0_E_clISt17integral_constantIbLb1EESZ_EEDaSU_SV_EUlSU_E_NS1_11comp_targetILNS1_3genE5ELNS1_11target_archE942ELNS1_3gpuE9ELNS1_3repE0EEENS1_30default_config_static_selectorELNS0_4arch9wavefront6targetE1EEEvT1_: ; @_ZN7rocprim17ROCPRIM_400000_NS6detail17trampoline_kernelINS0_14default_configENS1_27scan_by_key_config_selectorIiiEEZZNS1_16scan_by_key_implILNS1_25lookback_scan_determinismE0ELb0ES3_N6thrust23THRUST_200600_302600_NS6detail15normal_iteratorINS9_10device_ptrIiEEEESE_SE_iNS9_4plusIvEENS9_8equal_toIiEEiEE10hipError_tPvRmT2_T3_T4_T5_mT6_T7_P12ihipStream_tbENKUlT_T0_E_clISt17integral_constantIbLb1EESZ_EEDaSU_SV_EUlSU_E_NS1_11comp_targetILNS1_3genE5ELNS1_11target_archE942ELNS1_3gpuE9ELNS1_3repE0EEENS1_30default_config_static_selectorELNS0_4arch9wavefront6targetE1EEEvT1_
; %bb.0:
	.section	.rodata,"a",@progbits
	.p2align	6, 0x0
	.amdhsa_kernel _ZN7rocprim17ROCPRIM_400000_NS6detail17trampoline_kernelINS0_14default_configENS1_27scan_by_key_config_selectorIiiEEZZNS1_16scan_by_key_implILNS1_25lookback_scan_determinismE0ELb0ES3_N6thrust23THRUST_200600_302600_NS6detail15normal_iteratorINS9_10device_ptrIiEEEESE_SE_iNS9_4plusIvEENS9_8equal_toIiEEiEE10hipError_tPvRmT2_T3_T4_T5_mT6_T7_P12ihipStream_tbENKUlT_T0_E_clISt17integral_constantIbLb1EESZ_EEDaSU_SV_EUlSU_E_NS1_11comp_targetILNS1_3genE5ELNS1_11target_archE942ELNS1_3gpuE9ELNS1_3repE0EEENS1_30default_config_static_selectorELNS0_4arch9wavefront6targetE1EEEvT1_
		.amdhsa_group_segment_fixed_size 0
		.amdhsa_private_segment_fixed_size 0
		.amdhsa_kernarg_size 112
		.amdhsa_user_sgpr_count 6
		.amdhsa_user_sgpr_private_segment_buffer 1
		.amdhsa_user_sgpr_dispatch_ptr 0
		.amdhsa_user_sgpr_queue_ptr 0
		.amdhsa_user_sgpr_kernarg_segment_ptr 1
		.amdhsa_user_sgpr_dispatch_id 0
		.amdhsa_user_sgpr_flat_scratch_init 0
		.amdhsa_user_sgpr_kernarg_preload_length 0
		.amdhsa_user_sgpr_kernarg_preload_offset 0
		.amdhsa_user_sgpr_private_segment_size 0
		.amdhsa_uses_dynamic_stack 0
		.amdhsa_system_sgpr_private_segment_wavefront_offset 0
		.amdhsa_system_sgpr_workgroup_id_x 1
		.amdhsa_system_sgpr_workgroup_id_y 0
		.amdhsa_system_sgpr_workgroup_id_z 0
		.amdhsa_system_sgpr_workgroup_info 0
		.amdhsa_system_vgpr_workitem_id 0
		.amdhsa_next_free_vgpr 1
		.amdhsa_next_free_sgpr 0
		.amdhsa_accum_offset 4
		.amdhsa_reserve_vcc 0
		.amdhsa_reserve_flat_scratch 0
		.amdhsa_float_round_mode_32 0
		.amdhsa_float_round_mode_16_64 0
		.amdhsa_float_denorm_mode_32 3
		.amdhsa_float_denorm_mode_16_64 3
		.amdhsa_dx10_clamp 1
		.amdhsa_ieee_mode 1
		.amdhsa_fp16_overflow 0
		.amdhsa_tg_split 0
		.amdhsa_exception_fp_ieee_invalid_op 0
		.amdhsa_exception_fp_denorm_src 0
		.amdhsa_exception_fp_ieee_div_zero 0
		.amdhsa_exception_fp_ieee_overflow 0
		.amdhsa_exception_fp_ieee_underflow 0
		.amdhsa_exception_fp_ieee_inexact 0
		.amdhsa_exception_int_div_zero 0
	.end_amdhsa_kernel
	.section	.text._ZN7rocprim17ROCPRIM_400000_NS6detail17trampoline_kernelINS0_14default_configENS1_27scan_by_key_config_selectorIiiEEZZNS1_16scan_by_key_implILNS1_25lookback_scan_determinismE0ELb0ES3_N6thrust23THRUST_200600_302600_NS6detail15normal_iteratorINS9_10device_ptrIiEEEESE_SE_iNS9_4plusIvEENS9_8equal_toIiEEiEE10hipError_tPvRmT2_T3_T4_T5_mT6_T7_P12ihipStream_tbENKUlT_T0_E_clISt17integral_constantIbLb1EESZ_EEDaSU_SV_EUlSU_E_NS1_11comp_targetILNS1_3genE5ELNS1_11target_archE942ELNS1_3gpuE9ELNS1_3repE0EEENS1_30default_config_static_selectorELNS0_4arch9wavefront6targetE1EEEvT1_,"axG",@progbits,_ZN7rocprim17ROCPRIM_400000_NS6detail17trampoline_kernelINS0_14default_configENS1_27scan_by_key_config_selectorIiiEEZZNS1_16scan_by_key_implILNS1_25lookback_scan_determinismE0ELb0ES3_N6thrust23THRUST_200600_302600_NS6detail15normal_iteratorINS9_10device_ptrIiEEEESE_SE_iNS9_4plusIvEENS9_8equal_toIiEEiEE10hipError_tPvRmT2_T3_T4_T5_mT6_T7_P12ihipStream_tbENKUlT_T0_E_clISt17integral_constantIbLb1EESZ_EEDaSU_SV_EUlSU_E_NS1_11comp_targetILNS1_3genE5ELNS1_11target_archE942ELNS1_3gpuE9ELNS1_3repE0EEENS1_30default_config_static_selectorELNS0_4arch9wavefront6targetE1EEEvT1_,comdat
.Lfunc_end211:
	.size	_ZN7rocprim17ROCPRIM_400000_NS6detail17trampoline_kernelINS0_14default_configENS1_27scan_by_key_config_selectorIiiEEZZNS1_16scan_by_key_implILNS1_25lookback_scan_determinismE0ELb0ES3_N6thrust23THRUST_200600_302600_NS6detail15normal_iteratorINS9_10device_ptrIiEEEESE_SE_iNS9_4plusIvEENS9_8equal_toIiEEiEE10hipError_tPvRmT2_T3_T4_T5_mT6_T7_P12ihipStream_tbENKUlT_T0_E_clISt17integral_constantIbLb1EESZ_EEDaSU_SV_EUlSU_E_NS1_11comp_targetILNS1_3genE5ELNS1_11target_archE942ELNS1_3gpuE9ELNS1_3repE0EEENS1_30default_config_static_selectorELNS0_4arch9wavefront6targetE1EEEvT1_, .Lfunc_end211-_ZN7rocprim17ROCPRIM_400000_NS6detail17trampoline_kernelINS0_14default_configENS1_27scan_by_key_config_selectorIiiEEZZNS1_16scan_by_key_implILNS1_25lookback_scan_determinismE0ELb0ES3_N6thrust23THRUST_200600_302600_NS6detail15normal_iteratorINS9_10device_ptrIiEEEESE_SE_iNS9_4plusIvEENS9_8equal_toIiEEiEE10hipError_tPvRmT2_T3_T4_T5_mT6_T7_P12ihipStream_tbENKUlT_T0_E_clISt17integral_constantIbLb1EESZ_EEDaSU_SV_EUlSU_E_NS1_11comp_targetILNS1_3genE5ELNS1_11target_archE942ELNS1_3gpuE9ELNS1_3repE0EEENS1_30default_config_static_selectorELNS0_4arch9wavefront6targetE1EEEvT1_
                                        ; -- End function
	.section	.AMDGPU.csdata,"",@progbits
; Kernel info:
; codeLenInByte = 0
; NumSgprs: 4
; NumVgprs: 0
; NumAgprs: 0
; TotalNumVgprs: 0
; ScratchSize: 0
; MemoryBound: 0
; FloatMode: 240
; IeeeMode: 1
; LDSByteSize: 0 bytes/workgroup (compile time only)
; SGPRBlocks: 0
; VGPRBlocks: 0
; NumSGPRsForWavesPerEU: 4
; NumVGPRsForWavesPerEU: 1
; AccumOffset: 4
; Occupancy: 8
; WaveLimiterHint : 0
; COMPUTE_PGM_RSRC2:SCRATCH_EN: 0
; COMPUTE_PGM_RSRC2:USER_SGPR: 6
; COMPUTE_PGM_RSRC2:TRAP_HANDLER: 0
; COMPUTE_PGM_RSRC2:TGID_X_EN: 1
; COMPUTE_PGM_RSRC2:TGID_Y_EN: 0
; COMPUTE_PGM_RSRC2:TGID_Z_EN: 0
; COMPUTE_PGM_RSRC2:TIDIG_COMP_CNT: 0
; COMPUTE_PGM_RSRC3_GFX90A:ACCUM_OFFSET: 0
; COMPUTE_PGM_RSRC3_GFX90A:TG_SPLIT: 0
	.section	.text._ZN7rocprim17ROCPRIM_400000_NS6detail17trampoline_kernelINS0_14default_configENS1_27scan_by_key_config_selectorIiiEEZZNS1_16scan_by_key_implILNS1_25lookback_scan_determinismE0ELb0ES3_N6thrust23THRUST_200600_302600_NS6detail15normal_iteratorINS9_10device_ptrIiEEEESE_SE_iNS9_4plusIvEENS9_8equal_toIiEEiEE10hipError_tPvRmT2_T3_T4_T5_mT6_T7_P12ihipStream_tbENKUlT_T0_E_clISt17integral_constantIbLb1EESZ_EEDaSU_SV_EUlSU_E_NS1_11comp_targetILNS1_3genE4ELNS1_11target_archE910ELNS1_3gpuE8ELNS1_3repE0EEENS1_30default_config_static_selectorELNS0_4arch9wavefront6targetE1EEEvT1_,"axG",@progbits,_ZN7rocprim17ROCPRIM_400000_NS6detail17trampoline_kernelINS0_14default_configENS1_27scan_by_key_config_selectorIiiEEZZNS1_16scan_by_key_implILNS1_25lookback_scan_determinismE0ELb0ES3_N6thrust23THRUST_200600_302600_NS6detail15normal_iteratorINS9_10device_ptrIiEEEESE_SE_iNS9_4plusIvEENS9_8equal_toIiEEiEE10hipError_tPvRmT2_T3_T4_T5_mT6_T7_P12ihipStream_tbENKUlT_T0_E_clISt17integral_constantIbLb1EESZ_EEDaSU_SV_EUlSU_E_NS1_11comp_targetILNS1_3genE4ELNS1_11target_archE910ELNS1_3gpuE8ELNS1_3repE0EEENS1_30default_config_static_selectorELNS0_4arch9wavefront6targetE1EEEvT1_,comdat
	.protected	_ZN7rocprim17ROCPRIM_400000_NS6detail17trampoline_kernelINS0_14default_configENS1_27scan_by_key_config_selectorIiiEEZZNS1_16scan_by_key_implILNS1_25lookback_scan_determinismE0ELb0ES3_N6thrust23THRUST_200600_302600_NS6detail15normal_iteratorINS9_10device_ptrIiEEEESE_SE_iNS9_4plusIvEENS9_8equal_toIiEEiEE10hipError_tPvRmT2_T3_T4_T5_mT6_T7_P12ihipStream_tbENKUlT_T0_E_clISt17integral_constantIbLb1EESZ_EEDaSU_SV_EUlSU_E_NS1_11comp_targetILNS1_3genE4ELNS1_11target_archE910ELNS1_3gpuE8ELNS1_3repE0EEENS1_30default_config_static_selectorELNS0_4arch9wavefront6targetE1EEEvT1_ ; -- Begin function _ZN7rocprim17ROCPRIM_400000_NS6detail17trampoline_kernelINS0_14default_configENS1_27scan_by_key_config_selectorIiiEEZZNS1_16scan_by_key_implILNS1_25lookback_scan_determinismE0ELb0ES3_N6thrust23THRUST_200600_302600_NS6detail15normal_iteratorINS9_10device_ptrIiEEEESE_SE_iNS9_4plusIvEENS9_8equal_toIiEEiEE10hipError_tPvRmT2_T3_T4_T5_mT6_T7_P12ihipStream_tbENKUlT_T0_E_clISt17integral_constantIbLb1EESZ_EEDaSU_SV_EUlSU_E_NS1_11comp_targetILNS1_3genE4ELNS1_11target_archE910ELNS1_3gpuE8ELNS1_3repE0EEENS1_30default_config_static_selectorELNS0_4arch9wavefront6targetE1EEEvT1_
	.globl	_ZN7rocprim17ROCPRIM_400000_NS6detail17trampoline_kernelINS0_14default_configENS1_27scan_by_key_config_selectorIiiEEZZNS1_16scan_by_key_implILNS1_25lookback_scan_determinismE0ELb0ES3_N6thrust23THRUST_200600_302600_NS6detail15normal_iteratorINS9_10device_ptrIiEEEESE_SE_iNS9_4plusIvEENS9_8equal_toIiEEiEE10hipError_tPvRmT2_T3_T4_T5_mT6_T7_P12ihipStream_tbENKUlT_T0_E_clISt17integral_constantIbLb1EESZ_EEDaSU_SV_EUlSU_E_NS1_11comp_targetILNS1_3genE4ELNS1_11target_archE910ELNS1_3gpuE8ELNS1_3repE0EEENS1_30default_config_static_selectorELNS0_4arch9wavefront6targetE1EEEvT1_
	.p2align	8
	.type	_ZN7rocprim17ROCPRIM_400000_NS6detail17trampoline_kernelINS0_14default_configENS1_27scan_by_key_config_selectorIiiEEZZNS1_16scan_by_key_implILNS1_25lookback_scan_determinismE0ELb0ES3_N6thrust23THRUST_200600_302600_NS6detail15normal_iteratorINS9_10device_ptrIiEEEESE_SE_iNS9_4plusIvEENS9_8equal_toIiEEiEE10hipError_tPvRmT2_T3_T4_T5_mT6_T7_P12ihipStream_tbENKUlT_T0_E_clISt17integral_constantIbLb1EESZ_EEDaSU_SV_EUlSU_E_NS1_11comp_targetILNS1_3genE4ELNS1_11target_archE910ELNS1_3gpuE8ELNS1_3repE0EEENS1_30default_config_static_selectorELNS0_4arch9wavefront6targetE1EEEvT1_,@function
_ZN7rocprim17ROCPRIM_400000_NS6detail17trampoline_kernelINS0_14default_configENS1_27scan_by_key_config_selectorIiiEEZZNS1_16scan_by_key_implILNS1_25lookback_scan_determinismE0ELb0ES3_N6thrust23THRUST_200600_302600_NS6detail15normal_iteratorINS9_10device_ptrIiEEEESE_SE_iNS9_4plusIvEENS9_8equal_toIiEEiEE10hipError_tPvRmT2_T3_T4_T5_mT6_T7_P12ihipStream_tbENKUlT_T0_E_clISt17integral_constantIbLb1EESZ_EEDaSU_SV_EUlSU_E_NS1_11comp_targetILNS1_3genE4ELNS1_11target_archE910ELNS1_3gpuE8ELNS1_3repE0EEENS1_30default_config_static_selectorELNS0_4arch9wavefront6targetE1EEEvT1_: ; @_ZN7rocprim17ROCPRIM_400000_NS6detail17trampoline_kernelINS0_14default_configENS1_27scan_by_key_config_selectorIiiEEZZNS1_16scan_by_key_implILNS1_25lookback_scan_determinismE0ELb0ES3_N6thrust23THRUST_200600_302600_NS6detail15normal_iteratorINS9_10device_ptrIiEEEESE_SE_iNS9_4plusIvEENS9_8equal_toIiEEiEE10hipError_tPvRmT2_T3_T4_T5_mT6_T7_P12ihipStream_tbENKUlT_T0_E_clISt17integral_constantIbLb1EESZ_EEDaSU_SV_EUlSU_E_NS1_11comp_targetILNS1_3genE4ELNS1_11target_archE910ELNS1_3gpuE8ELNS1_3repE0EEENS1_30default_config_static_selectorELNS0_4arch9wavefront6targetE1EEEvT1_
; %bb.0:
	s_load_dwordx4 s[56:59], s[4:5], 0x28
	s_load_dwordx2 s[60:61], s[4:5], 0x38
	v_cmp_ne_u32_e64 s[36:37], 0, v0
	v_cmp_eq_u32_e64 s[0:1], 0, v0
	s_and_saveexec_b64 s[2:3], s[0:1]
	s_cbranch_execz .LBB212_4
; %bb.1:
	s_mov_b64 s[8:9], exec
	v_mbcnt_lo_u32_b32 v1, s8, 0
	v_mbcnt_hi_u32_b32 v1, s9, v1
	v_cmp_eq_u32_e32 vcc, 0, v1
                                        ; implicit-def: $vgpr2
	s_and_saveexec_b64 s[6:7], vcc
	s_cbranch_execz .LBB212_3
; %bb.2:
	s_load_dwordx2 s[10:11], s[4:5], 0x68
	s_bcnt1_i32_b64 s8, s[8:9]
	v_mov_b32_e32 v2, 0
	v_mov_b32_e32 v3, s8
	s_waitcnt lgkmcnt(0)
	global_atomic_add v2, v2, v3, s[10:11] glc
.LBB212_3:
	s_or_b64 exec, exec, s[6:7]
	s_waitcnt vmcnt(0)
	v_readfirstlane_b32 s6, v2
	v_add_u32_e32 v1, s6, v1
	v_mov_b32_e32 v2, 0
	ds_write_b32 v2, v1
.LBB212_4:
	s_or_b64 exec, exec, s[2:3]
	s_load_dwordx8 s[40:47], s[4:5], 0x0
	s_load_dword s2, s[4:5], 0x40
	s_load_dwordx8 s[48:55], s[4:5], 0x48
	v_mov_b32_e32 v1, 0
	s_waitcnt lgkmcnt(0)
	s_barrier
	ds_read_b32 v1, v1
	s_lshl_b64 s[38:39], s[42:43], 2
	s_add_u32 s4, s40, s38
	s_addc_u32 s5, s41, s39
	s_add_u32 s6, s44, s38
	s_mul_i32 s3, s61, s2
	s_mul_hi_u32 s8, s60, s2
	s_addc_u32 s7, s45, s39
	s_add_i32 s8, s8, s3
	s_waitcnt lgkmcnt(0)
	v_readfirstlane_b32 s59, v1
	s_mul_i32 s9, s60, s2
	s_cmp_lg_u64 s[52:53], 0
	s_mov_b32 s3, 0
	s_mul_i32 s2, s59, 0xe00
	s_cselect_b64 s[44:45], -1, 0
	s_lshl_b64 s[40:41], s[2:3], 2
	s_add_u32 s42, s4, s40
	s_addc_u32 s43, s5, s41
	s_add_u32 s62, s6, s40
	s_addc_u32 s63, s7, s41
	;; [unrolled: 2-line block ×3, first 2 shown]
	s_add_u32 s4, s48, -1
	s_addc_u32 s5, s49, -1
	v_pk_mov_b32 v[2:3], s[4:5], s[4:5] op_sel:[0,1]
	v_cmp_ge_u64_e64 s[2:3], s[52:53], v[2:3]
	s_mov_b64 s[18:19], 0
	s_mov_b64 s[12:13], -1
	s_and_b64 vcc, exec, s[2:3]
	s_mul_i32 s33, s4, 0xfffff200
	s_barrier
	s_barrier
	s_cbranch_vccz .LBB212_81
; %bb.5:
	v_pk_mov_b32 v[2:3], s[42:43], s[42:43] op_sel:[0,1]
	flat_load_dword v1, v[2:3]
	s_add_i32 s64, s33, s58
	v_cmp_gt_u32_e64 s[6:7], s64, v0
	s_waitcnt vmcnt(0) lgkmcnt(0)
	v_mov_b32_e32 v13, v1
	s_and_saveexec_b64 s[4:5], s[6:7]
	s_cbranch_execz .LBB212_7
; %bb.6:
	v_lshlrev_b32_e32 v2, 2, v0
	v_mov_b32_e32 v3, s43
	v_add_co_u32_e32 v2, vcc, s42, v2
	v_addc_co_u32_e32 v3, vcc, 0, v3, vcc
	flat_load_dword v13, v[2:3]
.LBB212_7:
	s_or_b64 exec, exec, s[4:5]
	v_or_b32_e32 v2, 0x100, v0
	v_cmp_gt_u32_e64 s[8:9], s64, v2
	v_mov_b32_e32 v14, v1
	s_and_saveexec_b64 s[4:5], s[8:9]
	s_cbranch_execz .LBB212_9
; %bb.8:
	v_lshlrev_b32_e32 v2, 2, v0
	v_mov_b32_e32 v3, s43
	v_add_co_u32_e32 v2, vcc, s42, v2
	v_addc_co_u32_e32 v3, vcc, 0, v3, vcc
	flat_load_dword v14, v[2:3] offset:1024
.LBB212_9:
	s_or_b64 exec, exec, s[4:5]
	v_or_b32_e32 v2, 0x200, v0
	v_cmp_gt_u32_e64 s[10:11], s64, v2
	v_mov_b32_e32 v15, v1
	s_and_saveexec_b64 s[4:5], s[10:11]
	s_cbranch_execz .LBB212_11
; %bb.10:
	v_lshlrev_b32_e32 v2, 2, v0
	v_mov_b32_e32 v3, s43
	v_add_co_u32_e32 v2, vcc, s42, v2
	v_addc_co_u32_e32 v3, vcc, 0, v3, vcc
	flat_load_dword v15, v[2:3] offset:2048
.LBB212_11:
	;; [unrolled: 13-line block ×3, first 2 shown]
	s_or_b64 exec, exec, s[4:5]
	v_or_b32_e32 v2, 0x400, v0
	v_cmp_gt_u32_e64 s[14:15], s64, v2
	v_mov_b32_e32 v17, v1
	s_and_saveexec_b64 s[4:5], s[14:15]
	s_cbranch_execz .LBB212_15
; %bb.14:
	v_lshlrev_b32_e32 v3, 2, v2
	v_mov_b32_e32 v5, s43
	v_add_co_u32_e32 v4, vcc, s42, v3
	v_addc_co_u32_e32 v5, vcc, 0, v5, vcc
	flat_load_dword v17, v[4:5]
.LBB212_15:
	s_or_b64 exec, exec, s[4:5]
	v_or_b32_e32 v3, 0x500, v0
	v_cmp_gt_u32_e64 s[16:17], s64, v3
	v_mov_b32_e32 v18, v1
	s_and_saveexec_b64 s[4:5], s[16:17]
	s_cbranch_execz .LBB212_17
; %bb.16:
	v_lshlrev_b32_e32 v4, 2, v3
	v_mov_b32_e32 v5, s43
	v_add_co_u32_e32 v4, vcc, s42, v4
	v_addc_co_u32_e32 v5, vcc, 0, v5, vcc
	flat_load_dword v18, v[4:5]
.LBB212_17:
	;; [unrolled: 13-line block ×9, first 2 shown]
	s_or_b64 exec, exec, s[4:5]
	v_or_b32_e32 v11, 0xd00, v0
	v_cmp_gt_u32_e64 s[34:35], s64, v11
	s_and_saveexec_b64 s[4:5], s[34:35]
	s_cbranch_execz .LBB212_33
; %bb.32:
	v_lshlrev_b32_e32 v1, 2, v11
	v_mov_b32_e32 v12, s43
	v_add_co_u32_e32 v26, vcc, s42, v1
	v_addc_co_u32_e32 v27, vcc, 0, v12, vcc
	flat_load_dword v1, v[26:27]
.LBB212_33:
	s_or_b64 exec, exec, s[4:5]
	v_lshlrev_b32_e32 v12, 2, v0
	s_waitcnt vmcnt(0) lgkmcnt(0)
	ds_write2st64_b32 v12, v13, v14 offset1:4
	ds_write2st64_b32 v12, v15, v16 offset0:8 offset1:12
	ds_write2st64_b32 v12, v17, v18 offset0:16 offset1:20
	;; [unrolled: 1-line block ×6, first 2 shown]
	v_mad_u32_u24 v1, v0, 52, v12
	s_waitcnt lgkmcnt(0)
	s_barrier
	ds_read2_b64 v[34:37], v1 offset1:1
	ds_read2_b64 v[30:33], v1 offset0:2 offset1:3
	ds_read2_b64 v[26:29], v1 offset0:4 offset1:5
	ds_read_b64 v[40:41], v1 offset:48
	s_cmp_eq_u64 s[52:53], 0
	s_mov_b64 s[4:5], s[42:43]
	s_cbranch_scc1 .LBB212_37
; %bb.34:
	s_andn2_b64 vcc, exec, s[44:45]
	s_cbranch_vccnz .LBB212_187
; %bb.35:
	s_lshl_b64 s[4:5], s[52:53], 2
	s_add_u32 s4, s54, s4
	s_addc_u32 s5, s55, s5
	s_add_u32 s4, s4, -4
	s_addc_u32 s5, s5, -1
	s_cbranch_execnz .LBB212_37
.LBB212_36:
	s_add_u32 s4, s42, -4
	s_addc_u32 s5, s43, -1
.LBB212_37:
	v_pk_mov_b32 v[14:15], s[4:5], s[4:5] op_sel:[0,1]
	flat_load_dword v44, v[14:15]
	s_movk_i32 s4, 0xffcc
	v_mad_i32_i24 v13, v0, s4, v1
	s_waitcnt lgkmcnt(0)
	ds_write_b32 v13, v41 offset:14336
	s_waitcnt lgkmcnt(0)
	s_barrier
	s_and_saveexec_b64 s[4:5], s[36:37]
	s_cbranch_execz .LBB212_39
; %bb.38:
	v_mul_i32_i24_e32 v13, 0xffffffcc, v0
	v_add_u32_e32 v13, v1, v13
	s_waitcnt vmcnt(0)
	ds_read_b32 v44, v13 offset:14332
.LBB212_39:
	s_or_b64 exec, exec, s[4:5]
	s_waitcnt lgkmcnt(0)
	s_barrier
	s_waitcnt lgkmcnt(0)
                                        ; implicit-def: $vgpr13
	s_and_saveexec_b64 s[4:5], s[6:7]
	s_cbranch_execnz .LBB212_174
; %bb.40:
	s_or_b64 exec, exec, s[4:5]
                                        ; implicit-def: $vgpr14
	s_and_saveexec_b64 s[4:5], s[8:9]
	s_cbranch_execnz .LBB212_175
.LBB212_41:
	s_or_b64 exec, exec, s[4:5]
                                        ; implicit-def: $vgpr15
	s_and_saveexec_b64 s[4:5], s[10:11]
	s_cbranch_execnz .LBB212_176
.LBB212_42:
	s_or_b64 exec, exec, s[4:5]
                                        ; implicit-def: $vgpr16
	s_and_saveexec_b64 s[4:5], s[12:13]
	s_cbranch_execnz .LBB212_177
.LBB212_43:
	s_or_b64 exec, exec, s[4:5]
                                        ; implicit-def: $vgpr17
	s_and_saveexec_b64 s[4:5], s[14:15]
	s_cbranch_execnz .LBB212_178
.LBB212_44:
	s_or_b64 exec, exec, s[4:5]
                                        ; implicit-def: $vgpr2
	s_and_saveexec_b64 s[4:5], s[16:17]
	s_cbranch_execnz .LBB212_179
.LBB212_45:
	s_or_b64 exec, exec, s[4:5]
                                        ; implicit-def: $vgpr3
	s_and_saveexec_b64 s[4:5], s[18:19]
	s_cbranch_execnz .LBB212_180
.LBB212_46:
	s_or_b64 exec, exec, s[4:5]
                                        ; implicit-def: $vgpr4
	s_and_saveexec_b64 s[4:5], s[20:21]
	s_cbranch_execnz .LBB212_181
.LBB212_47:
	s_or_b64 exec, exec, s[4:5]
                                        ; implicit-def: $vgpr5
	s_and_saveexec_b64 s[4:5], s[22:23]
	s_cbranch_execnz .LBB212_182
.LBB212_48:
	s_or_b64 exec, exec, s[4:5]
                                        ; implicit-def: $vgpr6
	s_and_saveexec_b64 s[4:5], s[24:25]
	s_cbranch_execnz .LBB212_183
.LBB212_49:
	s_or_b64 exec, exec, s[4:5]
                                        ; implicit-def: $vgpr7
	s_and_saveexec_b64 s[4:5], s[26:27]
	s_cbranch_execnz .LBB212_184
.LBB212_50:
	s_or_b64 exec, exec, s[4:5]
                                        ; implicit-def: $vgpr8
	s_and_saveexec_b64 s[4:5], s[28:29]
	s_cbranch_execnz .LBB212_185
.LBB212_51:
	s_or_b64 exec, exec, s[4:5]
                                        ; implicit-def: $vgpr9
	s_and_saveexec_b64 s[4:5], s[30:31]
	s_cbranch_execnz .LBB212_186
.LBB212_52:
	s_or_b64 exec, exec, s[4:5]
                                        ; implicit-def: $vgpr10
	s_and_saveexec_b64 s[4:5], s[34:35]
	s_cbranch_execz .LBB212_54
.LBB212_53:
	v_lshlrev_b32_e32 v10, 2, v11
	v_mov_b32_e32 v11, s63
	v_add_co_u32_e32 v10, vcc, s62, v10
	v_addc_co_u32_e32 v11, vcc, 0, v11, vcc
	flat_load_dword v10, v[10:11]
.LBB212_54:
	s_or_b64 exec, exec, s[4:5]
	s_mov_b32 s4, 0
	s_mov_b32 s5, s4
	s_waitcnt vmcnt(0) lgkmcnt(0)
	ds_write2st64_b32 v12, v13, v14 offset1:4
	ds_write2st64_b32 v12, v15, v16 offset0:8 offset1:12
	ds_write2st64_b32 v12, v17, v2 offset0:16 offset1:20
	;; [unrolled: 1-line block ×6, first 2 shown]
	s_mov_b32 s6, s4
	s_mov_b32 s7, s4
	;; [unrolled: 1-line block ×6, first 2 shown]
	v_pk_mov_b32 v[2:3], s[4:5], s[4:5] op_sel:[0,1]
	v_pk_mov_b32 v[8:9], s[10:11], s[10:11] op_sel:[0,1]
	v_mul_u32_u24_e32 v42, 14, v0
	v_pk_mov_b32 v[4:5], s[6:7], s[6:7] op_sel:[0,1]
	v_pk_mov_b32 v[6:7], s[8:9], s[8:9] op_sel:[0,1]
	v_pk_mov_b32 v[16:17], v[8:9], v[8:9] op_sel:[0,1]
	v_pk_mov_b32 v[24:25], v[8:9], v[8:9] op_sel:[0,1]
	v_cmp_gt_u32_e32 vcc, s64, v42
	s_mov_b64 s[12:13], 0
	v_pk_mov_b32 v[38:39], 0, 0
	s_mov_b64 s[18:19], 0
	v_pk_mov_b32 v[14:15], v[6:7], v[6:7] op_sel:[0,1]
	v_pk_mov_b32 v[12:13], v[4:5], v[4:5] op_sel:[0,1]
	;; [unrolled: 1-line block ×6, first 2 shown]
	s_waitcnt lgkmcnt(0)
	s_barrier
	s_waitcnt lgkmcnt(0)
                                        ; implicit-def: $sgpr16_sgpr17
                                        ; implicit-def: $vgpr43
	s_and_saveexec_b64 s[14:15], vcc
	s_cbranch_execz .LBB212_80
; %bb.55:
	v_or_b32_e32 v2, 1, v42
	ds_read_b32 v38, v1
	v_cmp_ne_u32_e32 vcc, v44, v34
	v_cndmask_b32_e64 v39, 0, 1, vcc
	v_cmp_gt_u32_e32 vcc, s64, v2
	v_pk_mov_b32 v[2:3], s[4:5], s[4:5] op_sel:[0,1]
	v_pk_mov_b32 v[8:9], s[10:11], s[10:11] op_sel:[0,1]
	v_pk_mov_b32 v[4:5], s[6:7], s[6:7] op_sel:[0,1]
	v_pk_mov_b32 v[6:7], s[8:9], s[8:9] op_sel:[0,1]
	v_pk_mov_b32 v[16:17], v[8:9], v[8:9] op_sel:[0,1]
	v_pk_mov_b32 v[24:25], v[8:9], v[8:9] op_sel:[0,1]
	v_pk_mov_b32 v[14:15], v[6:7], v[6:7] op_sel:[0,1]
	v_pk_mov_b32 v[12:13], v[4:5], v[4:5] op_sel:[0,1]
	v_pk_mov_b32 v[10:11], v[2:3], v[2:3] op_sel:[0,1]
	v_pk_mov_b32 v[22:23], v[6:7], v[6:7] op_sel:[0,1]
	v_pk_mov_b32 v[20:21], v[4:5], v[4:5] op_sel:[0,1]
	v_pk_mov_b32 v[18:19], v[2:3], v[2:3] op_sel:[0,1]
                                        ; implicit-def: $sgpr4_sgpr5
                                        ; implicit-def: $vgpr43
	s_and_saveexec_b64 s[16:17], vcc
	s_cbranch_execz .LBB212_79
; %bb.56:
	ds_read2_b32 v[44:45], v1 offset0:1 offset1:2
	s_mov_b32 s4, 0
	s_mov_b32 s10, s4
	s_mov_b32 s11, s4
	s_mov_b32 s5, s4
	s_mov_b32 s6, s4
	s_mov_b32 s7, s4
	s_mov_b32 s8, s4
	s_mov_b32 s9, s4
	v_pk_mov_b32 v[16:17], s[10:11], s[10:11] op_sel:[0,1]
	v_add_u32_e32 v2, 2, v42
	v_cmp_ne_u32_e32 vcc, v34, v35
	v_mov_b32_e32 v6, 0
	v_pk_mov_b32 v[14:15], s[8:9], s[8:9] op_sel:[0,1]
	v_pk_mov_b32 v[12:13], s[6:7], s[6:7] op_sel:[0,1]
	;; [unrolled: 1-line block ×4, first 2 shown]
	v_cndmask_b32_e64 v3, 0, 1, vcc
	v_cmp_gt_u32_e32 vcc, s64, v2
	s_waitcnt lgkmcnt(0)
	v_mov_b32_e32 v2, v44
	v_mov_b32_e32 v4, v6
	;; [unrolled: 1-line block ×6, first 2 shown]
	s_mov_b64 s[20:21], 0
	v_pk_mov_b32 v[22:23], v[14:15], v[14:15] op_sel:[0,1]
	v_pk_mov_b32 v[20:21], v[12:13], v[12:13] op_sel:[0,1]
	;; [unrolled: 1-line block ×3, first 2 shown]
                                        ; implicit-def: $sgpr24_sgpr25
                                        ; implicit-def: $vgpr43
	s_and_saveexec_b64 s[18:19], vcc
	s_cbranch_execz .LBB212_78
; %bb.57:
	v_pk_mov_b32 v[16:17], s[10:11], s[10:11] op_sel:[0,1]
	v_add_u32_e32 v2, 3, v42
	v_cmp_ne_u32_e32 vcc, v35, v36
	v_pk_mov_b32 v[14:15], s[8:9], s[8:9] op_sel:[0,1]
	v_pk_mov_b32 v[12:13], s[6:7], s[6:7] op_sel:[0,1]
	;; [unrolled: 1-line block ×4, first 2 shown]
	v_cndmask_b32_e64 v5, 0, 1, vcc
	v_cmp_gt_u32_e32 vcc, s64, v2
	v_mov_b32_e32 v2, v44
	v_mov_b32_e32 v4, v45
	;; [unrolled: 1-line block ×5, first 2 shown]
	s_mov_b64 s[22:23], 0
	v_pk_mov_b32 v[22:23], v[14:15], v[14:15] op_sel:[0,1]
	v_pk_mov_b32 v[20:21], v[12:13], v[12:13] op_sel:[0,1]
	;; [unrolled: 1-line block ×3, first 2 shown]
                                        ; implicit-def: $sgpr4_sgpr5
                                        ; implicit-def: $vgpr43
	s_and_saveexec_b64 s[20:21], vcc
	s_cbranch_execz .LBB212_77
; %bb.58:
	ds_read2_b32 v[34:35], v1 offset0:3 offset1:4
	s_mov_b32 s4, 0
	s_mov_b32 s10, s4
	;; [unrolled: 1-line block ×8, first 2 shown]
	v_pk_mov_b32 v[16:17], s[10:11], s[10:11] op_sel:[0,1]
	v_add_u32_e32 v6, 4, v42
	v_cmp_ne_u32_e32 vcc, v36, v37
	v_pk_mov_b32 v[14:15], s[8:9], s[8:9] op_sel:[0,1]
	v_pk_mov_b32 v[12:13], s[6:7], s[6:7] op_sel:[0,1]
	;; [unrolled: 1-line block ×4, first 2 shown]
	v_cndmask_b32_e64 v7, 0, 1, vcc
	v_cmp_gt_u32_e32 vcc, s64, v6
	s_waitcnt lgkmcnt(0)
	v_mov_b32_e32 v6, v34
	v_mov_b32_e32 v8, s4
	;; [unrolled: 1-line block ×3, first 2 shown]
	s_mov_b64 s[24:25], 0
	v_pk_mov_b32 v[22:23], v[14:15], v[14:15] op_sel:[0,1]
	v_pk_mov_b32 v[20:21], v[12:13], v[12:13] op_sel:[0,1]
	;; [unrolled: 1-line block ×3, first 2 shown]
                                        ; implicit-def: $sgpr26_sgpr27
                                        ; implicit-def: $vgpr43
	s_and_saveexec_b64 s[22:23], vcc
	s_cbranch_execz .LBB212_76
; %bb.59:
	v_pk_mov_b32 v[16:17], s[10:11], s[10:11] op_sel:[0,1]
	v_add_u32_e32 v8, 5, v42
	v_cmp_ne_u32_e32 vcc, v37, v30
	v_pk_mov_b32 v[14:15], s[8:9], s[8:9] op_sel:[0,1]
	v_pk_mov_b32 v[12:13], s[6:7], s[6:7] op_sel:[0,1]
	;; [unrolled: 1-line block ×4, first 2 shown]
	v_cndmask_b32_e64 v9, 0, 1, vcc
	v_cmp_gt_u32_e32 vcc, s64, v8
	v_mov_b32_e32 v8, v35
	s_mov_b64 s[28:29], 0
	v_pk_mov_b32 v[22:23], v[14:15], v[14:15] op_sel:[0,1]
	v_pk_mov_b32 v[20:21], v[12:13], v[12:13] op_sel:[0,1]
	;; [unrolled: 1-line block ×3, first 2 shown]
                                        ; implicit-def: $sgpr4_sgpr5
                                        ; implicit-def: $vgpr43
	s_and_saveexec_b64 s[24:25], vcc
	s_cbranch_execz .LBB212_75
; %bb.60:
	ds_read2_b32 v[34:35], v1 offset0:5 offset1:6
	s_mov_b32 s4, 0
	s_mov_b32 s10, s4
	;; [unrolled: 1-line block ×3, first 2 shown]
	v_add_u32_e32 v10, 6, v42
	v_cmp_ne_u32_e32 vcc, v30, v31
	v_mov_b32_e32 v14, 0
	s_mov_b32 s5, s4
	s_mov_b32 s6, s4
	;; [unrolled: 1-line block ×5, first 2 shown]
	v_pk_mov_b32 v[24:25], s[10:11], s[10:11] op_sel:[0,1]
	v_cndmask_b32_e64 v11, 0, 1, vcc
	v_cmp_gt_u32_e32 vcc, s64, v10
	s_waitcnt lgkmcnt(0)
	v_mov_b32_e32 v10, v34
	v_mov_b32_e32 v12, v14
	;; [unrolled: 1-line block ×6, first 2 shown]
	v_pk_mov_b32 v[22:23], s[8:9], s[8:9] op_sel:[0,1]
	v_pk_mov_b32 v[20:21], s[6:7], s[6:7] op_sel:[0,1]
	;; [unrolled: 1-line block ×3, first 2 shown]
                                        ; implicit-def: $sgpr34_sgpr35
                                        ; implicit-def: $vgpr43
	s_and_saveexec_b64 s[26:27], vcc
	s_cbranch_execz .LBB212_74
; %bb.61:
	v_add_u32_e32 v10, 7, v42
	v_cmp_ne_u32_e32 vcc, v31, v32
	v_pk_mov_b32 v[24:25], s[10:11], s[10:11] op_sel:[0,1]
	v_cndmask_b32_e64 v13, 0, 1, vcc
	v_cmp_gt_u32_e32 vcc, s64, v10
	v_mov_b32_e32 v10, v34
	v_mov_b32_e32 v12, v35
	;; [unrolled: 1-line block ×5, first 2 shown]
	s_mov_b64 s[30:31], 0
	v_pk_mov_b32 v[22:23], s[8:9], s[8:9] op_sel:[0,1]
	v_pk_mov_b32 v[20:21], s[6:7], s[6:7] op_sel:[0,1]
	;; [unrolled: 1-line block ×3, first 2 shown]
                                        ; implicit-def: $sgpr4_sgpr5
                                        ; implicit-def: $vgpr43
	s_and_saveexec_b64 s[28:29], vcc
	s_cbranch_execz .LBB212_73
; %bb.62:
	ds_read2_b32 v[30:31], v1 offset0:7 offset1:8
	s_mov_b32 s4, 0
	s_mov_b32 s10, s4
	;; [unrolled: 1-line block ×3, first 2 shown]
	v_add_u32_e32 v14, 8, v42
	v_cmp_ne_u32_e32 vcc, v32, v33
	s_mov_b32 s5, s4
	s_mov_b32 s6, s4
	;; [unrolled: 1-line block ×5, first 2 shown]
	v_pk_mov_b32 v[24:25], s[10:11], s[10:11] op_sel:[0,1]
	v_cndmask_b32_e64 v15, 0, 1, vcc
	v_cmp_gt_u32_e32 vcc, s64, v14
	s_waitcnt lgkmcnt(0)
	v_mov_b32_e32 v14, v30
	v_mov_b32_e32 v16, s4
	v_mov_b32_e32 v17, s4
	s_mov_b64 s[34:35], 0
	v_pk_mov_b32 v[22:23], s[8:9], s[8:9] op_sel:[0,1]
	v_pk_mov_b32 v[20:21], s[6:7], s[6:7] op_sel:[0,1]
	;; [unrolled: 1-line block ×3, first 2 shown]
                                        ; implicit-def: $sgpr48_sgpr49
                                        ; implicit-def: $vgpr43
	s_and_saveexec_b64 s[30:31], vcc
	s_cbranch_execz .LBB212_72
; %bb.63:
	v_add_u32_e32 v16, 9, v42
	v_cmp_ne_u32_e32 vcc, v33, v26
	v_pk_mov_b32 v[24:25], s[10:11], s[10:11] op_sel:[0,1]
	v_cndmask_b32_e64 v17, 0, 1, vcc
	v_cmp_gt_u32_e32 vcc, s64, v16
	v_mov_b32_e32 v16, v31
	v_pk_mov_b32 v[22:23], s[8:9], s[8:9] op_sel:[0,1]
	v_pk_mov_b32 v[20:21], s[6:7], s[6:7] op_sel:[0,1]
	;; [unrolled: 1-line block ×3, first 2 shown]
                                        ; implicit-def: $sgpr8_sgpr9
                                        ; implicit-def: $vgpr43
	s_and_saveexec_b64 s[6:7], vcc
	s_cbranch_execz .LBB212_71
; %bb.64:
	ds_read2_b32 v[30:31], v1 offset0:9 offset1:10
	v_add_u32_e32 v18, 10, v42
	v_cmp_ne_u32_e32 vcc, v26, v27
	v_mov_b32_e32 v22, 0
	v_cndmask_b32_e64 v19, 0, 1, vcc
	v_cmp_gt_u32_e32 vcc, s64, v18
	s_waitcnt lgkmcnt(0)
	v_mov_b32_e32 v18, v30
	v_mov_b32_e32 v20, v22
	;; [unrolled: 1-line block ×6, first 2 shown]
	s_mov_b64 s[4:5], 0
                                        ; implicit-def: $sgpr10_sgpr11
                                        ; implicit-def: $vgpr43
	s_and_saveexec_b64 s[8:9], vcc
	s_cbranch_execz .LBB212_70
; %bb.65:
	v_add_u32_e32 v18, 11, v42
	v_cmp_ne_u32_e32 vcc, v27, v28
	v_cndmask_b32_e64 v21, 0, 1, vcc
	v_cmp_gt_u32_e32 vcc, s64, v18
	s_mov_b32 s48, 0
	v_mov_b32_e32 v18, v30
	v_mov_b32_e32 v20, v31
	;; [unrolled: 1-line block ×5, first 2 shown]
                                        ; implicit-def: $sgpr34_sgpr35
                                        ; implicit-def: $vgpr43
	s_and_saveexec_b64 s[10:11], vcc
	s_cbranch_execz .LBB212_69
; %bb.66:
	ds_read2_b32 v[26:27], v1 offset0:11 offset1:12
	v_add_u32_e32 v22, 12, v42
	v_cmp_ne_u32_e32 vcc, v28, v29
	v_cndmask_b32_e64 v23, 0, 1, vcc
	v_cmp_gt_u32_e32 vcc, s64, v22
	s_waitcnt lgkmcnt(0)
	v_mov_b32_e32 v22, v26
	v_mov_b32_e32 v24, s48
	;; [unrolled: 1-line block ×3, first 2 shown]
                                        ; implicit-def: $sgpr34_sgpr35
                                        ; implicit-def: $vgpr43
	s_and_saveexec_b64 s[48:49], vcc
	s_xor_b64 s[48:49], exec, s[48:49]
	s_cbranch_execz .LBB212_68
; %bb.67:
	ds_read_b32 v43, v1 offset:52
	v_add_u32_e32 v1, 13, v42
	v_cmp_ne_u32_e64 s[4:5], v29, v40
	v_cmp_ne_u32_e32 vcc, v40, v41
	v_cndmask_b32_e64 v25, 0, 1, s[4:5]
	v_cmp_gt_u32_e64 s[4:5], s64, v1
	v_mov_b32_e32 v24, v27
	s_and_b64 s[34:35], vcc, exec
	s_and_b64 s[4:5], s[4:5], exec
.LBB212_68:
	s_or_b64 exec, exec, s[48:49]
	s_and_b64 s[34:35], s[34:35], exec
	s_and_b64 s[4:5], s[4:5], exec
.LBB212_69:
	s_or_b64 exec, exec, s[10:11]
	s_and_b64 s[10:11], s[34:35], exec
	s_and_b64 s[4:5], s[4:5], exec
.LBB212_70:
	s_or_b64 exec, exec, s[8:9]
	s_and_b64 s[8:9], s[10:11], exec
	s_and_b64 s[34:35], s[4:5], exec
.LBB212_71:
	s_or_b64 exec, exec, s[6:7]
	s_and_b64 s[48:49], s[8:9], exec
	s_and_b64 s[34:35], s[34:35], exec
.LBB212_72:
	s_or_b64 exec, exec, s[30:31]
	s_and_b64 s[4:5], s[48:49], exec
	s_and_b64 s[30:31], s[34:35], exec
.LBB212_73:
	s_or_b64 exec, exec, s[28:29]
	s_and_b64 s[34:35], s[4:5], exec
	s_and_b64 s[28:29], s[30:31], exec
.LBB212_74:
	s_or_b64 exec, exec, s[26:27]
	s_and_b64 s[4:5], s[34:35], exec
	s_and_b64 s[28:29], s[28:29], exec
.LBB212_75:
	s_or_b64 exec, exec, s[24:25]
	s_and_b64 s[26:27], s[4:5], exec
	s_and_b64 s[24:25], s[28:29], exec
.LBB212_76:
	s_or_b64 exec, exec, s[22:23]
	s_and_b64 s[4:5], s[26:27], exec
	s_and_b64 s[22:23], s[24:25], exec
.LBB212_77:
	s_or_b64 exec, exec, s[20:21]
	s_and_b64 s[24:25], s[4:5], exec
	s_and_b64 s[20:21], s[22:23], exec
.LBB212_78:
	s_or_b64 exec, exec, s[18:19]
	s_and_b64 s[4:5], s[24:25], exec
	s_and_b64 s[18:19], s[20:21], exec
.LBB212_79:
	s_or_b64 exec, exec, s[16:17]
	s_and_b64 s[16:17], s[4:5], exec
	s_and_b64 s[18:19], s[18:19], exec
.LBB212_80:
	s_or_b64 exec, exec, s[14:15]
	s_and_b64 vcc, exec, s[12:13]
	v_lshlrev_b32_e32 v50, 2, v0
	s_cbranch_vccnz .LBB212_82
	s_branch .LBB212_90
.LBB212_81:
                                        ; implicit-def: $sgpr16_sgpr17
                                        ; implicit-def: $vgpr2_vgpr3_vgpr4_vgpr5_vgpr6_vgpr7_vgpr8_vgpr9
                                        ; implicit-def: $vgpr10_vgpr11_vgpr12_vgpr13_vgpr14_vgpr15_vgpr16_vgpr17
                                        ; implicit-def: $vgpr18_vgpr19_vgpr20_vgpr21_vgpr22_vgpr23_vgpr24_vgpr25
                                        ; implicit-def: $vgpr43
                                        ; implicit-def: $vgpr38_vgpr39
	s_and_b64 vcc, exec, s[12:13]
	v_lshlrev_b32_e32 v50, 2, v0
	s_cbranch_vccz .LBB212_90
.LBB212_82:
	v_mov_b32_e32 v1, s43
	v_add_co_u32_e32 v2, vcc, s42, v50
	v_addc_co_u32_e32 v3, vcc, 0, v1, vcc
	v_add_co_u32_e32 v4, vcc, 0x1000, v2
	v_addc_co_u32_e32 v5, vcc, 0, v3, vcc
	flat_load_dword v6, v[2:3]
	flat_load_dword v7, v[2:3] offset:1024
	flat_load_dword v8, v[2:3] offset:2048
	;; [unrolled: 1-line block ×3, first 2 shown]
	flat_load_dword v10, v[4:5]
	flat_load_dword v11, v[4:5] offset:1024
	flat_load_dword v12, v[4:5] offset:2048
	;; [unrolled: 1-line block ×3, first 2 shown]
	v_add_co_u32_e32 v4, vcc, 0x2000, v2
	v_addc_co_u32_e32 v5, vcc, 0, v3, vcc
	v_add_co_u32_e32 v2, vcc, 0x3000, v2
	v_addc_co_u32_e32 v3, vcc, 0, v3, vcc
	flat_load_dword v14, v[4:5]
	flat_load_dword v15, v[4:5] offset:1024
	flat_load_dword v16, v[4:5] offset:2048
	;; [unrolled: 1-line block ×3, first 2 shown]
	flat_load_dword v18, v[2:3]
	flat_load_dword v19, v[2:3] offset:1024
	v_mad_u32_u24 v1, v0, 52, v50
	s_cmp_eq_u64 s[52:53], 0
	s_waitcnt vmcnt(0) lgkmcnt(0)
	ds_write2st64_b32 v50, v6, v7 offset1:4
	ds_write2st64_b32 v50, v8, v9 offset0:8 offset1:12
	ds_write2st64_b32 v50, v10, v11 offset0:16 offset1:20
	;; [unrolled: 1-line block ×6, first 2 shown]
	s_waitcnt lgkmcnt(0)
	s_barrier
	ds_read2_b64 v[2:5], v1 offset1:1
	ds_read2_b64 v[10:13], v1 offset0:2 offset1:3
	ds_read2_b64 v[18:21], v1 offset0:4 offset1:5
	ds_read_b64 v[6:7], v1 offset:48
	s_cbranch_scc1 .LBB212_87
; %bb.83:
	s_andn2_b64 vcc, exec, s[44:45]
	s_cbranch_vccnz .LBB212_188
; %bb.84:
	s_lshl_b64 s[4:5], s[52:53], 2
	s_add_u32 s4, s54, s4
	s_addc_u32 s5, s55, s5
	s_add_u32 s4, s4, -4
	s_addc_u32 s5, s5, -1
	s_cbranch_execnz .LBB212_86
.LBB212_85:
	s_add_u32 s4, s42, -4
	s_addc_u32 s5, s43, -1
.LBB212_86:
	s_mov_b64 s[42:43], s[4:5]
.LBB212_87:
	v_pk_mov_b32 v[8:9], s[42:43], s[42:43] op_sel:[0,1]
	flat_load_dword v8, v[8:9]
	s_movk_i32 s4, 0xffcc
	v_mad_i32_i24 v9, v0, s4, v1
	s_waitcnt lgkmcnt(0)
	ds_write_b32 v9, v7 offset:14336
	s_waitcnt lgkmcnt(0)
	s_barrier
	s_and_saveexec_b64 s[4:5], s[36:37]
	s_cbranch_execz .LBB212_89
; %bb.88:
	s_waitcnt vmcnt(0)
	v_mul_i32_i24_e32 v8, 0xffffffcc, v0
	v_add_u32_e32 v8, v1, v8
	ds_read_b32 v8, v8 offset:14332
.LBB212_89:
	s_or_b64 exec, exec, s[4:5]
	v_mov_b32_e32 v9, s63
	v_add_co_u32_e32 v14, vcc, s62, v50
	v_addc_co_u32_e32 v15, vcc, 0, v9, vcc
	s_movk_i32 s4, 0x1000
	v_add_co_u32_e32 v16, vcc, s4, v14
	v_addc_co_u32_e32 v17, vcc, 0, v15, vcc
	s_movk_i32 s4, 0x2000
	s_waitcnt lgkmcnt(0)
	s_barrier
	flat_load_dword v22, v[14:15]
	flat_load_dword v24, v[14:15] offset:1024
	flat_load_dword v26, v[14:15] offset:2048
	;; [unrolled: 1-line block ×3, first 2 shown]
	flat_load_dword v28, v[16:17]
	flat_load_dword v29, v[16:17] offset:1024
	flat_load_dword v30, v[16:17] offset:2048
	;; [unrolled: 1-line block ×3, first 2 shown]
	v_add_co_u32_e32 v16, vcc, s4, v14
	v_addc_co_u32_e32 v17, vcc, 0, v15, vcc
	s_movk_i32 s4, 0x3000
	v_add_co_u32_e32 v14, vcc, s4, v14
	v_addc_co_u32_e32 v15, vcc, 0, v15, vcc
	flat_load_dword v32, v[16:17]
	flat_load_dword v33, v[16:17] offset:1024
	flat_load_dword v34, v[16:17] offset:2048
	flat_load_dword v35, v[16:17] offset:3072
	flat_load_dword v36, v[14:15]
	flat_load_dword v37, v[14:15] offset:1024
	s_waitcnt vmcnt(0)
	v_cmp_ne_u32_e32 vcc, v8, v2
	v_cndmask_b32_e64 v39, 0, 1, vcc
	v_cmp_ne_u32_e32 vcc, v5, v10
	v_cndmask_b32_e64 v9, 0, 1, vcc
	v_cmp_ne_u32_e32 vcc, v4, v5
	v_cmp_ne_u32_e64 s[16:17], v6, v7
	v_cndmask_b32_e64 v7, 0, 1, vcc
	v_cmp_ne_u32_e32 vcc, v3, v4
	v_cndmask_b32_e64 v5, 0, 1, vcc
	v_cmp_ne_u32_e32 vcc, v2, v3
	;; [unrolled: 2-line block ×10, first 2 shown]
	v_cndmask_b32_e64 v19, 0, 1, vcc
	s_mov_b64 s[18:19], -1
                                        ; implicit-def: $sgpr12_sgpr13
	s_waitcnt lgkmcnt(0)
	ds_write2st64_b32 v50, v22, v24 offset1:4
	ds_write2st64_b32 v50, v26, v27 offset0:8 offset1:12
	ds_write2st64_b32 v50, v28, v29 offset0:16 offset1:20
	;; [unrolled: 1-line block ×6, first 2 shown]
	s_waitcnt lgkmcnt(0)
	s_barrier
	ds_read2_b32 v[42:43], v1 offset1:13
	ds_read2_b32 v[26:27], v1 offset0:7 offset1:8
	ds_read2_b32 v[28:29], v1 offset0:5 offset1:6
	;; [unrolled: 1-line block ×6, first 2 shown]
	s_waitcnt lgkmcnt(6)
	v_mov_b32_e32 v38, v42
	s_waitcnt lgkmcnt(4)
	v_mov_b32_e32 v10, v28
	;; [unrolled: 2-line block ×4, first 2 shown]
	v_mov_b32_e32 v4, v33
	v_mov_b32_e32 v8, v31
	;; [unrolled: 1-line block ×5, first 2 shown]
	s_waitcnt lgkmcnt(0)
	v_mov_b32_e32 v18, v36
	v_mov_b32_e32 v20, v37
	;; [unrolled: 1-line block ×4, first 2 shown]
.LBB212_90:
	v_pk_mov_b32 v[40:41], s[12:13], s[12:13] op_sel:[0,1]
	s_and_saveexec_b64 s[4:5], s[18:19]
	s_cbranch_execz .LBB212_92
; %bb.91:
	v_cndmask_b32_e64 v41, 0, 1, s[16:17]
	s_waitcnt lgkmcnt(0)
	v_mov_b32_e32 v40, v43
.LBB212_92:
	s_or_b64 exec, exec, s[4:5]
	s_mov_b32 s4, 0
	s_cmp_lg_u32 s59, 0
	v_mbcnt_lo_u32_b32 v52, -1, 0
	v_lshrrev_b32_e32 v1, 6, v0
	v_or_b32_e32 v51, 63, v0
	s_waitcnt lgkmcnt(0)
	s_barrier
	s_cbranch_scc0 .LBB212_125
; %bb.93:
	s_mov_b32 s5, 1
	v_cmp_gt_u64_e64 s[6:7], s[4:5], v[2:3]
	v_cndmask_b32_e64 v27, 0, v38, s[6:7]
	v_add_u32_e32 v27, v27, v2
	v_cmp_gt_u64_e64 s[8:9], s[4:5], v[4:5]
	v_cndmask_b32_e64 v27, 0, v27, s[8:9]
	v_add_u32_e32 v27, v27, v4
	;; [unrolled: 3-line block ×13, first 2 shown]
	v_or3_b32 v27, v41, v25, v23
	v_or3_b32 v27, v27, v21, v19
	;; [unrolled: 1-line block ×6, first 2 shown]
	v_mov_b32_e32 v26, 0
	v_and_b32_e32 v27, 1, v27
	v_cmp_eq_u64_e32 vcc, 0, v[26:27]
	v_cndmask_b32_e32 v26, 1, v39, vcc
	v_mbcnt_hi_u32_b32 v46, -1, v52
	v_mov_b32_dpp v29, v28 row_shr:1 row_mask:0xf bank_mask:0xf
	v_mov_b32_dpp v30, v26 row_shr:1 row_mask:0xf bank_mask:0xf
	v_cmp_eq_u32_e32 vcc, 0, v26
	v_and_b32_e32 v31, 1, v26
	v_and_b32_e32 v27, 15, v46
	v_cndmask_b32_e32 v29, 0, v29, vcc
	v_and_b32_e32 v30, 1, v30
	v_cmp_eq_u32_e32 vcc, 1, v31
	v_cndmask_b32_e64 v30, v30, 1, vcc
	v_cmp_eq_u32_e32 vcc, 0, v27
	v_cndmask_b32_e32 v26, v30, v26, vcc
	v_and_b32_e32 v31, 1, v26
	v_cmp_eq_u32_e64 s[4:5], 1, v31
	v_mov_b32_dpp v30, v26 row_shr:2 row_mask:0xf bank_mask:0xf
	v_and_b32_e32 v30, 1, v30
	v_cndmask_b32_e64 v30, v30, 1, s[4:5]
	v_cmp_lt_u32_e64 s[4:5], 1, v27
	v_cndmask_b32_e64 v29, v29, 0, vcc
	v_cmp_eq_u32_e32 vcc, 0, v26
	v_cndmask_b32_e64 v26, v26, v30, s[4:5]
	v_add_u32_e32 v28, v29, v28
	v_and_b32_e32 v31, 1, v26
	v_mov_b32_dpp v30, v26 row_shr:4 row_mask:0xf bank_mask:0xf
	v_mov_b32_dpp v29, v28 row_shr:2 row_mask:0xf bank_mask:0xf
	s_and_b64 vcc, s[4:5], vcc
	v_and_b32_e32 v30, 1, v30
	v_cmp_eq_u32_e64 s[4:5], 1, v31
	v_cndmask_b32_e32 v29, 0, v29, vcc
	v_cndmask_b32_e64 v30, v30, 1, s[4:5]
	v_cmp_lt_u32_e64 s[4:5], 3, v27
	v_add_u32_e32 v28, v29, v28
	v_cmp_eq_u32_e32 vcc, 0, v26
	v_cndmask_b32_e64 v26, v26, v30, s[4:5]
	v_mov_b32_dpp v29, v28 row_shr:4 row_mask:0xf bank_mask:0xf
	s_and_b64 vcc, s[4:5], vcc
	v_mov_b32_dpp v30, v26 row_shr:8 row_mask:0xf bank_mask:0xf
	v_and_b32_e32 v31, 1, v26
	v_cndmask_b32_e32 v29, 0, v29, vcc
	v_and_b32_e32 v30, 1, v30
	v_cmp_eq_u32_e64 s[4:5], 1, v31
	v_add_u32_e32 v28, v29, v28
	v_cmp_eq_u32_e32 vcc, 0, v26
	v_cndmask_b32_e64 v30, v30, 1, s[4:5]
	v_cmp_lt_u32_e64 s[4:5], 7, v27
	v_mov_b32_dpp v29, v28 row_shr:8 row_mask:0xf bank_mask:0xf
	s_and_b64 vcc, s[4:5], vcc
	v_cndmask_b32_e32 v27, 0, v29, vcc
	v_cndmask_b32_e64 v26, v26, v30, s[4:5]
	v_add_u32_e32 v27, v27, v28
	v_cmp_eq_u32_e32 vcc, 0, v26
	v_mov_b32_dpp v29, v26 row_bcast:15 row_mask:0xf bank_mask:0xf
	v_mov_b32_dpp v28, v27 row_bcast:15 row_mask:0xf bank_mask:0xf
	v_and_b32_e32 v32, 1, v26
	v_and_b32_e32 v31, 16, v46
	v_cndmask_b32_e32 v28, 0, v28, vcc
	v_and_b32_e32 v29, 1, v29
	v_cmp_eq_u32_e32 vcc, 1, v32
	v_bfe_i32 v30, v46, 4, 1
	v_cndmask_b32_e64 v29, v29, 1, vcc
	v_cmp_eq_u32_e32 vcc, 0, v31
	v_and_b32_e32 v28, v30, v28
	v_cndmask_b32_e32 v26, v29, v26, vcc
	v_add_u32_e32 v27, v28, v27
	v_and_b32_e32 v30, 1, v26
	v_mov_b32_dpp v28, v26 row_bcast:31 row_mask:0xf bank_mask:0xf
	v_and_b32_e32 v28, 1, v28
	v_cmp_eq_u32_e64 s[4:5], 1, v30
	v_cmp_eq_u32_e32 vcc, 0, v26
	v_cndmask_b32_e64 v28, v28, 1, s[4:5]
	v_cmp_lt_u32_e64 s[4:5], 31, v46
	v_mov_b32_dpp v29, v27 row_bcast:31 row_mask:0xf bank_mask:0xf
	s_and_b64 vcc, s[4:5], vcc
	v_cndmask_b32_e64 v28, v26, v28, s[4:5]
	v_cndmask_b32_e32 v26, 0, v29, vcc
	v_add_u32_e32 v29, v26, v27
	v_cmp_eq_u32_e32 vcc, v51, v0
	s_and_saveexec_b64 s[4:5], vcc
	s_cbranch_execz .LBB212_95
; %bb.94:
	v_lshlrev_b32_e32 v26, 3, v1
	ds_write_b32 v26, v29
	ds_write_b8 v26, v28 offset:4
.LBB212_95:
	s_or_b64 exec, exec, s[4:5]
	v_cmp_gt_u32_e32 vcc, 4, v0
	s_waitcnt lgkmcnt(0)
	s_barrier
	s_and_saveexec_b64 s[4:5], vcc
	s_cbranch_execz .LBB212_99
; %bb.96:
	v_lshlrev_b32_e32 v30, 3, v0
	ds_read_b64 v[26:27], v30
	v_and_b32_e32 v31, 3, v46
	v_cmp_ne_u32_e32 vcc, 0, v31
	s_waitcnt lgkmcnt(0)
	v_mov_b32_dpp v32, v26 row_shr:1 row_mask:0xf bank_mask:0xf
	v_mov_b32_dpp v34, v27 row_shr:1 row_mask:0xf bank_mask:0xf
	v_mov_b32_e32 v33, v27
	s_and_saveexec_b64 s[34:35], vcc
	s_cbranch_execz .LBB212_98
; %bb.97:
	v_and_b32_e32 v33, 1, v27
	v_and_b32_e32 v34, 1, v34
	v_cmp_eq_u32_e32 vcc, 1, v33
	v_mov_b32_e32 v33, 0
	v_cndmask_b32_e64 v34, v34, 1, vcc
	v_cmp_eq_u16_sdwa vcc, v27, v33 src0_sel:BYTE_0 src1_sel:DWORD
	v_cndmask_b32_e32 v32, 0, v32, vcc
	v_add_u32_e32 v26, v32, v26
	v_and_b32_e32 v32, 0xffff, v34
	s_movk_i32 s42, 0xff00
	v_and_or_b32 v33, v27, s42, v32
	v_mov_b32_e32 v27, v34
.LBB212_98:
	s_or_b64 exec, exec, s[34:35]
	v_mov_b32_dpp v33, v33 row_shr:2 row_mask:0xf bank_mask:0xf
	v_and_b32_e32 v34, 1, v27
	v_and_b32_e32 v33, 1, v33
	v_cmp_eq_u32_e32 vcc, 1, v34
	v_mov_b32_e32 v34, 0
	v_cndmask_b32_e64 v33, v33, 1, vcc
	v_cmp_eq_u16_sdwa s[34:35], v27, v34 src0_sel:BYTE_0 src1_sel:DWORD
	v_cmp_lt_u32_e32 vcc, 1, v31
	v_mov_b32_dpp v32, v26 row_shr:2 row_mask:0xf bank_mask:0xf
	v_cndmask_b32_e32 v27, v27, v33, vcc
	s_and_b64 vcc, vcc, s[34:35]
	v_cndmask_b32_e32 v31, 0, v32, vcc
	v_add_u32_e32 v26, v31, v26
	ds_write_b32 v30, v26
	ds_write_b8 v30, v27 offset:4
.LBB212_99:
	s_or_b64 exec, exec, s[4:5]
	v_cmp_gt_u32_e32 vcc, 64, v0
	v_cmp_lt_u32_e64 s[4:5], 63, v0
	v_mov_b32_e32 v42, 0
	v_mov_b32_e32 v43, 0
	s_waitcnt lgkmcnt(0)
	s_barrier
	s_and_saveexec_b64 s[34:35], s[4:5]
	s_cbranch_execz .LBB212_101
; %bb.100:
	v_lshl_add_u32 v26, v1, 3, -8
	ds_read_b32 v42, v26
	ds_read_u8 v43, v26 offset:4
	v_and_b32_e32 v27, 1, v28
	v_cmp_eq_u32_e64 s[4:5], 0, v28
	s_waitcnt lgkmcnt(1)
	v_cndmask_b32_e64 v26, 0, v42, s[4:5]
	v_cmp_eq_u32_e64 s[4:5], 1, v27
	v_add_u32_e32 v29, v26, v29
	s_waitcnt lgkmcnt(0)
	v_cndmask_b32_e64 v28, v43, 1, s[4:5]
.LBB212_101:
	s_or_b64 exec, exec, s[34:35]
	v_add_u32_e32 v26, -1, v46
	v_and_b32_e32 v27, 64, v46
	v_cmp_lt_i32_e64 s[4:5], v26, v27
	v_cndmask_b32_e64 v26, v26, v46, s[4:5]
	v_lshlrev_b32_e32 v26, 2, v26
	ds_bpermute_b32 v44, v26, v29
	ds_bpermute_b32 v45, v26, v28
	v_cmp_eq_u32_e64 s[34:35], 0, v46
	s_and_saveexec_b64 s[42:43], vcc
	s_cbranch_execz .LBB212_124
; %bb.102:
	v_mov_b32_e32 v29, 0
	ds_read_b64 v[26:27], v29 offset:24
	s_waitcnt lgkmcnt(0)
	v_readfirstlane_b32 s52, v27
	s_and_saveexec_b64 s[4:5], s[34:35]
	s_cbranch_execz .LBB212_104
; %bb.103:
	s_add_i32 s44, s59, 64
	s_mov_b32 s45, 0
	s_lshl_b64 s[48:49], s[44:45], 4
	s_add_u32 s48, s56, s48
	s_addc_u32 s49, s57, s49
	s_and_b32 s55, s52, 0xff000000
	s_mov_b32 s54, s45
	s_and_b32 s63, s52, 0xff0000
	s_mov_b32 s62, s45
	s_or_b64 s[54:55], s[62:63], s[54:55]
	s_and_b32 s63, s52, 0xff00
	s_or_b64 s[54:55], s[54:55], s[62:63]
	s_and_b32 s63, s52, 0xff
	s_or_b64 s[44:45], s[54:55], s[62:63]
	v_mov_b32_e32 v27, s45
	v_mov_b32_e32 v28, 1
	v_pk_mov_b32 v[30:31], s[48:49], s[48:49] op_sel:[0,1]
	;;#ASMSTART
	global_store_dwordx4 v[30:31], v[26:29] off	
s_waitcnt vmcnt(0)
	;;#ASMEND
.LBB212_104:
	s_or_b64 exec, exec, s[4:5]
	v_xad_u32 v34, v46, -1, s59
	v_add_u32_e32 v28, 64, v34
	v_lshlrev_b64 v[30:31], 4, v[28:29]
	v_mov_b32_e32 v27, s57
	v_add_co_u32_e32 v36, vcc, s56, v30
	v_addc_co_u32_e32 v37, vcc, v27, v31, vcc
	;;#ASMSTART
	global_load_dwordx4 v[30:33], v[36:37] off glc	
s_waitcnt vmcnt(0)
	;;#ASMEND
	v_and_b32_e32 v27, 0xff0000, v30
	v_or_b32_sdwa v27, v30, v27 dst_sel:DWORD dst_unused:UNUSED_PAD src0_sel:WORD_0 src1_sel:DWORD
	v_and_b32_e32 v28, 0xff000000, v30
	v_and_b32_e32 v30, 0xff, v31
	v_or3_b32 v31, 0, 0, v30
	v_or3_b32 v30, v27, v28, 0
	v_cmp_eq_u16_sdwa s[44:45], v32, v29 src0_sel:BYTE_0 src1_sel:DWORD
	s_and_saveexec_b64 s[4:5], s[44:45]
	s_cbranch_execz .LBB212_110
; %bb.105:
	s_mov_b32 s48, 1
	s_mov_b64 s[44:45], 0
	v_mov_b32_e32 v27, 0
.LBB212_106:                            ; =>This Loop Header: Depth=1
                                        ;     Child Loop BB212_107 Depth 2
	s_max_u32 s49, s48, 1
.LBB212_107:                            ;   Parent Loop BB212_106 Depth=1
                                        ; =>  This Inner Loop Header: Depth=2
	s_add_i32 s49, s49, -1
	s_cmp_eq_u32 s49, 0
	s_sleep 1
	s_cbranch_scc0 .LBB212_107
; %bb.108:                              ;   in Loop: Header=BB212_106 Depth=1
	s_cmp_lt_u32 s48, 32
	s_cselect_b64 s[54:55], -1, 0
	s_cmp_lg_u64 s[54:55], 0
	s_addc_u32 s48, s48, 0
	;;#ASMSTART
	global_load_dwordx4 v[30:33], v[36:37] off glc	
s_waitcnt vmcnt(0)
	;;#ASMEND
	v_cmp_ne_u16_sdwa s[54:55], v32, v27 src0_sel:BYTE_0 src1_sel:DWORD
	s_or_b64 s[44:45], s[54:55], s[44:45]
	s_andn2_b64 exec, exec, s[44:45]
	s_cbranch_execnz .LBB212_106
; %bb.109:
	s_or_b64 exec, exec, s[44:45]
	v_and_b32_e32 v31, 0xff, v31
.LBB212_110:
	s_or_b64 exec, exec, s[4:5]
	v_mov_b32_e32 v27, 2
	v_cmp_eq_u16_sdwa s[4:5], v32, v27 src0_sel:BYTE_0 src1_sel:DWORD
	v_lshlrev_b64 v[28:29], v46, -1
	v_and_b32_e32 v33, s5, v29
	v_or_b32_e32 v33, 0x80000000, v33
	v_and_b32_e32 v35, s4, v28
	v_ffbl_b32_e32 v33, v33
	v_and_b32_e32 v47, 63, v46
	v_add_u32_e32 v33, 32, v33
	v_ffbl_b32_e32 v35, v35
	v_cmp_ne_u32_e32 vcc, 63, v47
	v_min_u32_e32 v33, v35, v33
	v_addc_co_u32_e32 v35, vcc, 0, v46, vcc
	v_lshlrev_b32_e32 v48, 2, v35
	ds_bpermute_b32 v35, v48, v31
	ds_bpermute_b32 v36, v48, v30
	s_mov_b32 s44, 0
	v_and_b32_e32 v37, 1, v31
	s_mov_b32 s45, 1
	s_waitcnt lgkmcnt(1)
	v_and_b32_e32 v35, 1, v35
	v_cmp_eq_u32_e32 vcc, 1, v37
	v_cndmask_b32_e64 v35, v35, 1, vcc
	v_cmp_gt_u64_e32 vcc, s[44:45], v[30:31]
	v_cmp_lt_u32_e64 s[4:5], v47, v33
	s_and_b64 vcc, s[4:5], vcc
	v_and_b32_e32 v37, 0xffff, v35
	v_cndmask_b32_e64 v54, v31, v35, s[4:5]
	s_waitcnt lgkmcnt(0)
	v_cndmask_b32_e32 v35, 0, v36, vcc
	v_cmp_gt_u32_e32 vcc, 62, v47
	v_cndmask_b32_e64 v36, 0, 1, vcc
	v_lshlrev_b32_e32 v36, 1, v36
	v_cndmask_b32_e64 v31, v31, v37, s[4:5]
	v_add_lshl_u32 v49, v36, v46, 2
	ds_bpermute_b32 v36, v49, v31
	v_add_u32_e32 v30, v35, v30
	ds_bpermute_b32 v37, v49, v30
	v_and_b32_e32 v35, 1, v54
	v_cmp_eq_u32_e32 vcc, 1, v35
	s_waitcnt lgkmcnt(1)
	v_and_b32_e32 v36, 1, v36
	v_mov_b32_e32 v35, 0
	v_add_u32_e32 v53, 2, v47
	v_cndmask_b32_e64 v36, v36, 1, vcc
	v_cmp_eq_u16_sdwa vcc, v54, v35 src0_sel:BYTE_0 src1_sel:DWORD
	v_and_b32_e32 v55, 0xffff, v36
	s_waitcnt lgkmcnt(0)
	v_cndmask_b32_e32 v37, 0, v37, vcc
	v_cmp_gt_u32_e32 vcc, v53, v33
	v_cndmask_b32_e32 v36, v36, v54, vcc
	v_cndmask_b32_e64 v37, v37, 0, vcc
	v_cndmask_b32_e32 v31, v55, v31, vcc
	v_cmp_gt_u32_e32 vcc, 60, v47
	v_cndmask_b32_e64 v54, 0, 1, vcc
	v_lshlrev_b32_e32 v54, 2, v54
	v_add_lshl_u32 v54, v54, v46, 2
	ds_bpermute_b32 v56, v54, v31
	v_add_u32_e32 v30, v37, v30
	ds_bpermute_b32 v37, v54, v30
	v_and_b32_e32 v57, 1, v36
	v_cmp_eq_u32_e32 vcc, 1, v57
	s_waitcnt lgkmcnt(1)
	v_and_b32_e32 v56, 1, v56
	v_add_u32_e32 v55, 4, v47
	v_cndmask_b32_e64 v56, v56, 1, vcc
	v_cmp_eq_u16_sdwa vcc, v36, v35 src0_sel:BYTE_0 src1_sel:DWORD
	v_and_b32_e32 v57, 0xffff, v56
	s_waitcnt lgkmcnt(0)
	v_cndmask_b32_e32 v37, 0, v37, vcc
	v_cmp_gt_u32_e32 vcc, v55, v33
	v_cndmask_b32_e32 v36, v56, v36, vcc
	v_cndmask_b32_e64 v37, v37, 0, vcc
	v_cndmask_b32_e32 v31, v57, v31, vcc
	v_cmp_gt_u32_e32 vcc, 56, v47
	v_cndmask_b32_e64 v56, 0, 1, vcc
	v_lshlrev_b32_e32 v56, 3, v56
	v_add_lshl_u32 v56, v56, v46, 2
	ds_bpermute_b32 v58, v56, v31
	v_add_u32_e32 v30, v37, v30
	ds_bpermute_b32 v37, v56, v30
	v_and_b32_e32 v59, 1, v36
	v_cmp_eq_u32_e32 vcc, 1, v59
	s_waitcnt lgkmcnt(1)
	v_and_b32_e32 v58, 1, v58
	;; [unrolled: 21-line block ×4, first 2 shown]
	v_add_u32_e32 v62, 32, v47
	v_cndmask_b32_e64 v31, v31, 1, vcc
	v_cmp_eq_u16_sdwa vcc, v36, v35 src0_sel:BYTE_0 src1_sel:DWORD
	s_waitcnt lgkmcnt(0)
	v_cndmask_b32_e32 v37, 0, v37, vcc
	v_cmp_gt_u32_e32 vcc, v62, v33
	v_cndmask_b32_e64 v33, v37, 0, vcc
	v_cndmask_b32_e32 v31, v31, v36, vcc
	v_add_u32_e32 v30, v33, v30
	s_branch .LBB212_112
.LBB212_111:                            ;   in Loop: Header=BB212_112 Depth=1
	s_or_b64 exec, exec, s[4:5]
	v_cmp_eq_u16_sdwa s[4:5], v32, v27 src0_sel:BYTE_0 src1_sel:DWORD
	v_and_b32_e32 v33, s5, v29
	ds_bpermute_b32 v37, v48, v31
	v_or_b32_e32 v33, 0x80000000, v33
	v_and_b32_e32 v36, s4, v28
	v_ffbl_b32_e32 v33, v33
	v_add_u32_e32 v33, 32, v33
	v_ffbl_b32_e32 v36, v36
	v_min_u32_e32 v33, v36, v33
	ds_bpermute_b32 v36, v48, v30
	v_and_b32_e32 v63, 1, v31
	s_waitcnt lgkmcnt(1)
	v_and_b32_e32 v37, 1, v37
	v_cmp_eq_u32_e32 vcc, 1, v63
	v_cndmask_b32_e64 v37, v37, 1, vcc
	v_cmp_gt_u64_e32 vcc, s[44:45], v[30:31]
	v_and_b32_e32 v63, 0xffff, v37
	v_cmp_lt_u32_e64 s[4:5], v47, v33
	v_cndmask_b32_e64 v37, v31, v37, s[4:5]
	v_cndmask_b32_e64 v31, v31, v63, s[4:5]
	s_and_b64 vcc, s[4:5], vcc
	ds_bpermute_b32 v63, v49, v31
	s_waitcnt lgkmcnt(1)
	v_cndmask_b32_e32 v36, 0, v36, vcc
	v_add_u32_e32 v30, v36, v30
	ds_bpermute_b32 v36, v49, v30
	v_and_b32_e32 v64, 1, v37
	s_waitcnt lgkmcnt(1)
	v_and_b32_e32 v63, 1, v63
	v_cmp_eq_u32_e32 vcc, 1, v64
	v_cndmask_b32_e64 v63, v63, 1, vcc
	v_cmp_eq_u16_sdwa vcc, v37, v35 src0_sel:BYTE_0 src1_sel:DWORD
	v_and_b32_e32 v64, 0xffff, v63
	s_waitcnt lgkmcnt(0)
	v_cndmask_b32_e32 v36, 0, v36, vcc
	v_cmp_gt_u32_e32 vcc, v53, v33
	v_cndmask_b32_e32 v31, v64, v31, vcc
	v_cndmask_b32_e32 v37, v63, v37, vcc
	ds_bpermute_b32 v63, v54, v31
	v_cndmask_b32_e64 v36, v36, 0, vcc
	v_add_u32_e32 v30, v36, v30
	ds_bpermute_b32 v36, v54, v30
	v_and_b32_e32 v64, 1, v37
	s_waitcnt lgkmcnt(1)
	v_and_b32_e32 v63, 1, v63
	v_cmp_eq_u32_e32 vcc, 1, v64
	v_cndmask_b32_e64 v63, v63, 1, vcc
	v_cmp_eq_u16_sdwa vcc, v37, v35 src0_sel:BYTE_0 src1_sel:DWORD
	v_and_b32_e32 v64, 0xffff, v63
	s_waitcnt lgkmcnt(0)
	v_cndmask_b32_e32 v36, 0, v36, vcc
	v_cmp_gt_u32_e32 vcc, v55, v33
	v_cndmask_b32_e32 v31, v64, v31, vcc
	v_cndmask_b32_e32 v37, v63, v37, vcc
	ds_bpermute_b32 v63, v56, v31
	v_cndmask_b32_e64 v36, v36, 0, vcc
	v_add_u32_e32 v30, v36, v30
	ds_bpermute_b32 v36, v56, v30
	v_and_b32_e32 v64, 1, v37
	s_waitcnt lgkmcnt(1)
	v_and_b32_e32 v63, 1, v63
	v_cmp_eq_u32_e32 vcc, 1, v64
	v_cndmask_b32_e64 v63, v63, 1, vcc
	v_cmp_eq_u16_sdwa vcc, v37, v35 src0_sel:BYTE_0 src1_sel:DWORD
	v_and_b32_e32 v64, 0xffff, v63
	s_waitcnt lgkmcnt(0)
	v_cndmask_b32_e32 v36, 0, v36, vcc
	v_cmp_gt_u32_e32 vcc, v57, v33
	v_cndmask_b32_e32 v31, v64, v31, vcc
	v_cndmask_b32_e32 v37, v63, v37, vcc
	ds_bpermute_b32 v63, v58, v31
	v_cndmask_b32_e64 v36, v36, 0, vcc
	v_add_u32_e32 v30, v36, v30
	ds_bpermute_b32 v36, v58, v30
	v_and_b32_e32 v64, 1, v37
	s_waitcnt lgkmcnt(1)
	v_and_b32_e32 v63, 1, v63
	v_cmp_eq_u32_e32 vcc, 1, v64
	v_cndmask_b32_e64 v63, v63, 1, vcc
	v_cmp_eq_u16_sdwa vcc, v37, v35 src0_sel:BYTE_0 src1_sel:DWORD
	v_and_b32_e32 v64, 0xffff, v63
	s_waitcnt lgkmcnt(0)
	v_cndmask_b32_e32 v36, 0, v36, vcc
	v_cmp_gt_u32_e32 vcc, v59, v33
	v_cndmask_b32_e64 v36, v36, 0, vcc
	v_cndmask_b32_e32 v31, v64, v31, vcc
	ds_bpermute_b32 v31, v61, v31
	v_add_u32_e32 v30, v36, v30
	ds_bpermute_b32 v36, v61, v30
	v_cndmask_b32_e32 v37, v63, v37, vcc
	v_and_b32_e32 v63, 1, v37
	v_cmp_eq_u32_e32 vcc, 1, v63
	s_waitcnt lgkmcnt(1)
	v_cndmask_b32_e64 v31, v31, 1, vcc
	v_cmp_eq_u16_sdwa vcc, v37, v35 src0_sel:BYTE_0 src1_sel:DWORD
	s_waitcnt lgkmcnt(0)
	v_cndmask_b32_e32 v36, 0, v36, vcc
	v_cmp_gt_u32_e32 vcc, v62, v33
	v_cndmask_b32_e64 v33, v36, 0, vcc
	v_cndmask_b32_e32 v31, v31, v37, vcc
	v_add_u32_e32 v30, v33, v30
	v_cmp_eq_u16_sdwa vcc, v46, v35 src0_sel:BYTE_0 src1_sel:DWORD
	v_and_b32_e32 v33, 1, v46
	v_cndmask_b32_e32 v30, 0, v30, vcc
	v_and_b32_e32 v31, 1, v31
	v_cmp_eq_u32_e32 vcc, 1, v33
	v_subrev_u32_e32 v34, 64, v34
	v_add_u32_e32 v30, v30, v60
	v_cndmask_b32_e64 v31, v31, 1, vcc
.LBB212_112:                            ; =>This Loop Header: Depth=1
                                        ;     Child Loop BB212_115 Depth 2
                                        ;       Child Loop BB212_116 Depth 3
	v_cmp_ne_u16_sdwa s[4:5], v32, v27 src0_sel:BYTE_0 src1_sel:DWORD
	v_mov_b32_e32 v46, v31
	v_cndmask_b32_e64 v31, 0, 1, s[4:5]
	;;#ASMSTART
	;;#ASMEND
	v_cmp_ne_u32_e32 vcc, 0, v31
	s_cmp_lg_u64 vcc, exec
	v_mov_b32_e32 v60, v30
	s_cbranch_scc1 .LBB212_119
; %bb.113:                              ;   in Loop: Header=BB212_112 Depth=1
	v_lshlrev_b64 v[30:31], 4, v[34:35]
	v_mov_b32_e32 v32, s57
	v_add_co_u32_e32 v36, vcc, s56, v30
	v_addc_co_u32_e32 v37, vcc, v32, v31, vcc
	;;#ASMSTART
	global_load_dwordx4 v[30:33], v[36:37] off glc	
s_waitcnt vmcnt(0)
	;;#ASMEND
	v_and_b32_e32 v33, 0xff0000, v30
	v_or_b32_sdwa v33, v30, v33 dst_sel:DWORD dst_unused:UNUSED_PAD src0_sel:WORD_0 src1_sel:DWORD
	v_and_b32_e32 v30, 0xff000000, v30
	v_and_b32_e32 v31, 0xff, v31
	v_or3_b32 v31, 0, 0, v31
	v_or3_b32 v30, v33, v30, 0
	v_cmp_eq_u16_sdwa s[48:49], v32, v35 src0_sel:BYTE_0 src1_sel:DWORD
	s_and_saveexec_b64 s[4:5], s[48:49]
	s_cbranch_execz .LBB212_111
; %bb.114:                              ;   in Loop: Header=BB212_112 Depth=1
	s_mov_b32 s53, 1
	s_mov_b64 s[48:49], 0
.LBB212_115:                            ;   Parent Loop BB212_112 Depth=1
                                        ; =>  This Loop Header: Depth=2
                                        ;       Child Loop BB212_116 Depth 3
	s_max_u32 s54, s53, 1
.LBB212_116:                            ;   Parent Loop BB212_112 Depth=1
                                        ;     Parent Loop BB212_115 Depth=2
                                        ; =>    This Inner Loop Header: Depth=3
	s_add_i32 s54, s54, -1
	s_cmp_eq_u32 s54, 0
	s_sleep 1
	s_cbranch_scc0 .LBB212_116
; %bb.117:                              ;   in Loop: Header=BB212_115 Depth=2
	s_cmp_lt_u32 s53, 32
	s_cselect_b64 s[54:55], -1, 0
	s_cmp_lg_u64 s[54:55], 0
	s_addc_u32 s53, s53, 0
	;;#ASMSTART
	global_load_dwordx4 v[30:33], v[36:37] off glc	
s_waitcnt vmcnt(0)
	;;#ASMEND
	v_cmp_ne_u16_sdwa s[54:55], v32, v35 src0_sel:BYTE_0 src1_sel:DWORD
	s_or_b64 s[48:49], s[54:55], s[48:49]
	s_andn2_b64 exec, exec, s[48:49]
	s_cbranch_execnz .LBB212_115
; %bb.118:                              ;   in Loop: Header=BB212_112 Depth=1
	s_or_b64 exec, exec, s[48:49]
	v_and_b32_e32 v31, 0xff, v31
	s_branch .LBB212_111
.LBB212_119:                            ;   in Loop: Header=BB212_112 Depth=1
                                        ; implicit-def: $vgpr31
                                        ; implicit-def: $vgpr30
                                        ; implicit-def: $vgpr32
	s_cbranch_execz .LBB212_112
; %bb.120:
	s_and_saveexec_b64 s[4:5], s[34:35]
	s_cbranch_execz .LBB212_122
; %bb.121:
	s_and_b32 s44, s52, 0xff
	s_cmp_eq_u32 s44, 0
	s_cselect_b64 vcc, -1, 0
	s_bitcmp1_b32 s52, 0
	s_mov_b32 s45, 0
	s_cselect_b64 s[48:49], -1, 0
	s_add_i32 s44, s59, 64
	s_lshl_b64 s[44:45], s[44:45], 4
	v_cndmask_b32_e32 v27, 0, v60, vcc
	s_add_u32 s44, s56, s44
	v_add_u32_e32 v26, v27, v26
	v_and_b32_e32 v27, 1, v46
	s_addc_u32 s45, s57, s45
	v_mov_b32_e32 v29, 0
	v_cndmask_b32_e64 v27, v27, 1, s[48:49]
	v_mov_b32_e32 v28, 2
	v_pk_mov_b32 v[30:31], s[44:45], s[44:45] op_sel:[0,1]
	;;#ASMSTART
	global_store_dwordx4 v[30:31], v[26:29] off	
s_waitcnt vmcnt(0)
	;;#ASMEND
.LBB212_122:
	s_or_b64 exec, exec, s[4:5]
	s_and_b64 exec, exec, s[0:1]
	s_cbranch_execz .LBB212_124
; %bb.123:
	v_mov_b32_e32 v26, 0
	ds_write_b32 v26, v60 offset:24
	ds_write_b8 v26, v46 offset:28
.LBB212_124:
	s_or_b64 exec, exec, s[42:43]
	s_mov_b32 s4, 0
	v_mov_b32_e32 v28, 0
	s_mov_b32 s5, 1
	s_waitcnt lgkmcnt(0)
	v_cndmask_b32_e64 v26, v45, v43, s[34:35]
	v_cndmask_b32_e64 v27, v44, v42, s[34:35]
	s_barrier
	ds_read_b32 v29, v28 offset:24
	v_cmp_gt_u64_e32 vcc, s[4:5], v[38:39]
	v_and_b32_e32 v30, 1, v39
	v_cndmask_b32_e32 v27, 0, v27, vcc
	v_and_b32_e32 v26, 1, v26
	v_cmp_eq_u32_e32 vcc, 1, v30
	v_cndmask_b32_e64 v26, v26, 1, vcc
	v_cndmask_b32_e64 v26, v26, v39, s[0:1]
	v_cmp_eq_u16_sdwa vcc, v26, v28 src0_sel:BYTE_0 src1_sel:DWORD
	v_cndmask_b32_e64 v27, v27, 0, s[0:1]
	s_waitcnt lgkmcnt(0)
	v_cndmask_b32_e32 v26, 0, v29, vcc
	v_add3_u32 v26, v27, v38, v26
	v_cndmask_b32_e64 v27, 0, v26, s[6:7]
	v_add_u32_e32 v27, v27, v2
	v_cndmask_b32_e64 v28, 0, v27, s[8:9]
	v_add_u32_e32 v42, v28, v4
	;; [unrolled: 2-line block ×13, first 2 shown]
	s_branch .LBB212_141
.LBB212_125:
                                        ; implicit-def: $vgpr49
                                        ; implicit-def: $vgpr47
                                        ; implicit-def: $vgpr45
                                        ; implicit-def: $vgpr43
                                        ; implicit-def: $vgpr34_vgpr35_vgpr36_vgpr37
                                        ; implicit-def: $vgpr30_vgpr31_vgpr32_vgpr33
                                        ; implicit-def: $vgpr26_vgpr27_vgpr28_vgpr29
	s_cbranch_execz .LBB212_141
; %bb.126:
	s_cmp_lg_u64 s[60:61], 0
	s_cselect_b32 s9, s51, 0
	s_cselect_b32 s8, s50, 0
	s_cmp_lg_u64 s[8:9], 0
	s_cselect_b64 s[6:7], -1, 0
	s_mov_b32 s4, 0
	s_and_b64 s[10:11], s[0:1], s[6:7]
	s_and_saveexec_b64 s[6:7], s[10:11]
	s_cbranch_execz .LBB212_128
; %bb.127:
	v_mov_b32_e32 v26, 0
	global_load_dword v28, v26, s[8:9]
	global_load_ubyte v29, v26, s[8:9] offset:4
	s_mov_b32 s5, 1
	v_and_b32_e32 v27, 1, v39
	v_cmp_gt_u64_e32 vcc, s[4:5], v[38:39]
	s_waitcnt vmcnt(1)
	v_cndmask_b32_e32 v28, 0, v28, vcc
	s_waitcnt vmcnt(0)
	v_and_b32_e32 v29, 1, v29
	v_cmp_eq_u64_e32 vcc, 0, v[26:27]
	v_add_u32_e32 v38, v28, v38
	v_cndmask_b32_e32 v39, 1, v29, vcc
.LBB212_128:
	s_or_b64 exec, exec, s[6:7]
	s_mov_b32 s5, 1
	v_cmp_gt_u64_e32 vcc, s[4:5], v[2:3]
	v_cndmask_b32_e32 v26, 0, v38, vcc
	v_add_u32_e32 v27, v26, v2
	v_cmp_gt_u64_e64 s[6:7], s[4:5], v[4:5]
	v_cndmask_b32_e64 v26, 0, v27, s[6:7]
	v_add_u32_e32 v42, v26, v4
	v_cmp_gt_u64_e64 s[8:9], s[4:5], v[6:7]
	v_cndmask_b32_e64 v26, 0, v42, s[8:9]
	;; [unrolled: 3-line block ×6, first 2 shown]
	v_add_u32_e32 v45, v26, v14
	v_cmp_gt_u64_e64 s[18:19], s[4:5], v[16:17]
	v_mov_b32_e32 v28, 0
	v_cndmask_b32_e64 v26, 0, v45, s[18:19]
	v_or3_b32 v7, v23, v15, v7
	v_add_u32_e32 v34, v26, v16
	v_cmp_gt_u64_e64 s[20:21], s[4:5], v[18:19]
	v_or3_b32 v9, v25, v17, v9
	v_and_b32_e32 v55, 1, v7
	v_mov_b32_e32 v54, v28
	v_cndmask_b32_e64 v26, 0, v34, s[20:21]
	v_or3_b32 v3, v19, v11, v3
	v_and_b32_e32 v37, 1, v9
	v_mov_b32_e32 v36, v28
	v_cmp_ne_u64_e64 s[30:31], 0, v[54:55]
	v_add_u32_e32 v35, v26, v18
	v_cmp_gt_u64_e64 s[22:23], s[4:5], v[20:21]
	v_or3_b32 v5, v21, v13, v5
	v_and_b32_e32 v29, 1, v3
	v_cndmask_b32_e64 v3, 0, 1, s[30:31]
	v_cmp_ne_u64_e64 s[30:31], 0, v[36:37]
	v_cndmask_b32_e64 v26, 0, v35, s[22:23]
	v_and_b32_e32 v33, 1, v5
	v_mov_b32_e32 v32, v28
	v_cndmask_b32_e64 v5, 0, 1, s[30:31]
	v_add_u32_e32 v46, v26, v20
	v_cmp_gt_u64_e64 s[24:25], s[4:5], v[22:23]
	v_lshlrev_b16_e32 v3, 2, v3
	v_lshlrev_b16_e32 v5, 3, v5
	v_cmp_ne_u64_e64 s[30:31], 0, v[32:33]
	v_cndmask_b32_e64 v26, 0, v46, s[24:25]
	v_or_b32_e32 v3, v5, v3
	v_cndmask_b32_e64 v5, 0, 1, s[30:31]
	v_cmp_ne_u64_e64 s[30:31], 0, v[28:29]
	v_add_u32_e32 v47, v26, v22
	v_cmp_gt_u64_e64 s[26:27], s[4:5], v[24:25]
	v_lshlrev_b16_e32 v5, 1, v5
	v_cndmask_b32_e64 v7, 0, 1, s[30:31]
	v_cndmask_b32_e64 v26, 0, v47, s[26:27]
	v_or_b32_e32 v5, v7, v5
	v_add_u32_e32 v48, v26, v24
	v_cmp_gt_u64_e64 s[28:29], s[4:5], v[40:41]
	v_and_b32_e32 v5, 3, v5
	v_cndmask_b32_e64 v26, 0, v48, s[28:29]
	v_or_b32_e32 v3, v5, v3
	v_add_u32_e32 v49, v26, v40
	v_and_b32_e32 v26, 1, v41
	v_and_b32_e32 v3, 15, v3
	v_cmp_eq_u32_e64 s[4:5], 1, v26
	v_cmp_ne_u16_e64 s[30:31], 0, v3
	s_or_b64 s[4:5], s[4:5], s[30:31]
	v_cndmask_b32_e64 v5, v39, 1, s[4:5]
	v_mbcnt_hi_u32_b32 v3, -1, v52
	v_mov_b32_dpp v9, v49 row_shr:1 row_mask:0xf bank_mask:0xf
	v_mov_b32_dpp v11, v5 row_shr:1 row_mask:0xf bank_mask:0xf
	v_cmp_eq_u32_e64 s[4:5], 0, v5
	v_and_b32_e32 v13, 1, v5
	v_and_b32_e32 v7, 15, v3
	v_cndmask_b32_e64 v9, 0, v9, s[4:5]
	v_and_b32_e32 v11, 1, v11
	v_cmp_eq_u32_e64 s[4:5], 1, v13
	v_cndmask_b32_e64 v11, v11, 1, s[4:5]
	v_cmp_eq_u32_e64 s[4:5], 0, v7
	v_cndmask_b32_e64 v5, v11, v5, s[4:5]
	v_and_b32_e32 v15, 1, v5
	v_cmp_eq_u32_e64 s[30:31], 1, v15
	v_mov_b32_dpp v13, v5 row_shr:2 row_mask:0xf bank_mask:0xf
	v_and_b32_e32 v13, 1, v13
	v_cndmask_b32_e64 v13, v13, 1, s[30:31]
	v_cmp_lt_u32_e64 s[30:31], 1, v7
	v_cndmask_b32_e64 v9, v9, 0, s[4:5]
	v_cmp_eq_u32_e64 s[4:5], 0, v5
	v_cndmask_b32_e64 v5, v5, v13, s[30:31]
	v_add_u32_e32 v9, v49, v9
	v_and_b32_e32 v15, 1, v5
	v_mov_b32_dpp v13, v5 row_shr:4 row_mask:0xf bank_mask:0xf
	v_mov_b32_dpp v11, v9 row_shr:2 row_mask:0xf bank_mask:0xf
	s_and_b64 s[4:5], s[30:31], s[4:5]
	v_and_b32_e32 v13, 1, v13
	v_cmp_eq_u32_e64 s[30:31], 1, v15
	v_cndmask_b32_e64 v11, 0, v11, s[4:5]
	v_cndmask_b32_e64 v13, v13, 1, s[30:31]
	v_cmp_lt_u32_e64 s[30:31], 3, v7
	v_add_u32_e32 v9, v9, v11
	v_cmp_eq_u32_e64 s[4:5], 0, v5
	v_cndmask_b32_e64 v5, v5, v13, s[30:31]
	v_mov_b32_dpp v11, v9 row_shr:4 row_mask:0xf bank_mask:0xf
	s_and_b64 s[4:5], s[30:31], s[4:5]
	v_mov_b32_dpp v13, v5 row_shr:8 row_mask:0xf bank_mask:0xf
	v_and_b32_e32 v15, 1, v5
	v_cndmask_b32_e64 v11, 0, v11, s[4:5]
	v_and_b32_e32 v13, 1, v13
	v_cmp_eq_u32_e64 s[30:31], 1, v15
	v_add_u32_e32 v9, v9, v11
	v_cmp_eq_u32_e64 s[4:5], 0, v5
	v_cndmask_b32_e64 v13, v13, 1, s[30:31]
	v_cmp_lt_u32_e64 s[30:31], 7, v7
	v_mov_b32_dpp v11, v9 row_shr:8 row_mask:0xf bank_mask:0xf
	s_and_b64 s[4:5], s[30:31], s[4:5]
	v_cndmask_b32_e64 v7, 0, v11, s[4:5]
	v_cndmask_b32_e64 v5, v5, v13, s[30:31]
	v_add_u32_e32 v7, v9, v7
	v_cmp_eq_u32_e64 s[4:5], 0, v5
	v_mov_b32_dpp v11, v5 row_bcast:15 row_mask:0xf bank_mask:0xf
	v_mov_b32_dpp v9, v7 row_bcast:15 row_mask:0xf bank_mask:0xf
	v_and_b32_e32 v17, 1, v5
	v_and_b32_e32 v15, 16, v3
	v_cndmask_b32_e64 v9, 0, v9, s[4:5]
	v_and_b32_e32 v11, 1, v11
	v_cmp_eq_u32_e64 s[4:5], 1, v17
	v_bfe_i32 v13, v3, 4, 1
	v_cndmask_b32_e64 v11, v11, 1, s[4:5]
	v_cmp_eq_u32_e64 s[4:5], 0, v15
	v_and_b32_e32 v9, v13, v9
	v_cndmask_b32_e64 v5, v11, v5, s[4:5]
	v_add_u32_e32 v9, v7, v9
	v_and_b32_e32 v13, 1, v5
	v_mov_b32_dpp v7, v5 row_bcast:31 row_mask:0xf bank_mask:0xf
	v_and_b32_e32 v7, 1, v7
	v_cmp_eq_u32_e64 s[30:31], 1, v13
	v_cmp_eq_u32_e64 s[4:5], 0, v5
	v_cndmask_b32_e64 v7, v7, 1, s[30:31]
	v_cmp_lt_u32_e64 s[30:31], 31, v3
	v_mov_b32_dpp v11, v9 row_bcast:31 row_mask:0xf bank_mask:0xf
	s_and_b64 s[4:5], s[30:31], s[4:5]
	v_cndmask_b32_e64 v7, v5, v7, s[30:31]
	v_cndmask_b32_e64 v5, 0, v11, s[4:5]
	v_add_u32_e32 v5, v9, v5
	v_cmp_eq_u32_e64 s[4:5], v51, v0
	s_and_saveexec_b64 s[30:31], s[4:5]
	s_cbranch_execz .LBB212_130
; %bb.129:
	v_lshlrev_b32_e32 v9, 3, v1
	ds_write_b32 v9, v5
	ds_write_b8 v9, v7 offset:4
.LBB212_130:
	s_or_b64 exec, exec, s[30:31]
	v_cmp_gt_u32_e64 s[4:5], 4, v0
	s_waitcnt lgkmcnt(0)
	s_barrier
	s_and_saveexec_b64 s[30:31], s[4:5]
	s_cbranch_execz .LBB212_134
; %bb.131:
	v_lshlrev_b32_e32 v9, 3, v0
	ds_read_b64 v[28:29], v9
	v_and_b32_e32 v11, 3, v3
	v_cmp_ne_u32_e64 s[4:5], 0, v11
	s_waitcnt lgkmcnt(0)
	v_mov_b32_dpp v13, v28 row_shr:1 row_mask:0xf bank_mask:0xf
	v_mov_b32_dpp v17, v29 row_shr:1 row_mask:0xf bank_mask:0xf
	v_mov_b32_e32 v15, v29
	s_and_saveexec_b64 s[34:35], s[4:5]
	s_cbranch_execz .LBB212_133
; %bb.132:
	v_and_b32_e32 v15, 1, v29
	v_and_b32_e32 v17, 1, v17
	v_cmp_eq_u32_e64 s[4:5], 1, v15
	v_mov_b32_e32 v15, 0
	v_cndmask_b32_e64 v17, v17, 1, s[4:5]
	v_cmp_eq_u16_sdwa s[4:5], v29, v15 src0_sel:BYTE_0 src1_sel:DWORD
	v_cndmask_b32_e64 v13, 0, v13, s[4:5]
	v_add_u32_e32 v28, v13, v28
	v_and_b32_e32 v13, 0xffff, v17
	s_movk_i32 s4, 0xff00
	v_and_or_b32 v15, v29, s4, v13
	v_mov_b32_e32 v29, v17
.LBB212_133:
	s_or_b64 exec, exec, s[34:35]
	v_mov_b32_dpp v15, v15 row_shr:2 row_mask:0xf bank_mask:0xf
	v_and_b32_e32 v17, 1, v29
	v_and_b32_e32 v15, 1, v15
	v_cmp_eq_u32_e64 s[4:5], 1, v17
	v_mov_b32_e32 v17, 0
	v_cndmask_b32_e64 v15, v15, 1, s[4:5]
	v_cmp_eq_u16_sdwa s[34:35], v29, v17 src0_sel:BYTE_0 src1_sel:DWORD
	v_cmp_lt_u32_e64 s[4:5], 1, v11
	v_mov_b32_dpp v13, v28 row_shr:2 row_mask:0xf bank_mask:0xf
	v_cndmask_b32_e64 v11, v29, v15, s[4:5]
	s_and_b64 s[4:5], s[4:5], s[34:35]
	v_cndmask_b32_e64 v13, 0, v13, s[4:5]
	v_add_u32_e32 v13, v13, v28
	ds_write_b32 v9, v13
	ds_write_b8 v9, v11 offset:4
.LBB212_134:
	s_or_b64 exec, exec, s[30:31]
	v_cmp_lt_u32_e64 s[4:5], 63, v0
	v_mov_b32_e32 v9, 0
	s_waitcnt lgkmcnt(0)
	s_barrier
	s_and_saveexec_b64 s[30:31], s[4:5]
	s_cbranch_execz .LBB212_136
; %bb.135:
	v_lshl_add_u32 v1, v1, 3, -8
	ds_read_b32 v9, v1
	v_cmp_eq_u32_e64 s[4:5], 0, v7
	s_waitcnt lgkmcnt(0)
	v_cndmask_b32_e64 v1, 0, v9, s[4:5]
	v_add_u32_e32 v5, v1, v5
.LBB212_136:
	s_or_b64 exec, exec, s[30:31]
	v_add_u32_e32 v1, -1, v3
	v_and_b32_e32 v7, 64, v3
	v_cmp_lt_i32_e64 s[4:5], v1, v7
	v_cndmask_b32_e64 v1, v1, v3, s[4:5]
	v_lshlrev_b32_e32 v1, 2, v1
	ds_bpermute_b32 v1, v1, v5
	s_and_saveexec_b64 s[30:31], s[36:37]
	s_cbranch_execz .LBB212_138
; %bb.137:
	v_and_b32_e32 v27, 0xff, v39
	v_mov_b32_e32 v26, 0
	v_cmp_eq_u32_e64 s[4:5], 0, v3
	s_waitcnt lgkmcnt(0)
	v_cndmask_b32_e64 v1, v1, v9, s[4:5]
	v_cmp_eq_u64_e64 s[4:5], 0, v[26:27]
	v_cndmask_b32_e64 v1, 0, v1, s[4:5]
	v_add_u32_e32 v38, v1, v38
	v_cndmask_b32_e32 v1, 0, v38, vcc
	v_add_u32_e32 v27, v1, v2
	v_cndmask_b32_e64 v1, 0, v27, s[6:7]
	v_add_u32_e32 v42, v1, v4
	v_cndmask_b32_e64 v1, 0, v42, s[8:9]
	;; [unrolled: 2-line block ×12, first 2 shown]
	v_add_u32_e32 v49, v1, v40
	;;#ASMSTART
	;;#ASMEND
.LBB212_138:
	s_or_b64 exec, exec, s[30:31]
	s_and_saveexec_b64 s[4:5], s[0:1]
	s_cbranch_execz .LBB212_140
; %bb.139:
	v_mov_b32_e32 v5, 0
	ds_read_b32 v2, v5 offset:24
	ds_read_u8 v3, v5 offset:28
	s_add_u32 s0, s56, 0x400
	s_addc_u32 s1, s57, 0
	v_mov_b32_e32 v4, 2
	v_pk_mov_b32 v[6:7], s[0:1], s[0:1] op_sel:[0,1]
	s_waitcnt lgkmcnt(0)
	;;#ASMSTART
	global_store_dwordx4 v[6:7], v[2:5] off	
s_waitcnt vmcnt(0)
	;;#ASMEND
.LBB212_140:
	s_or_b64 exec, exec, s[4:5]
	v_mov_b32_e32 v26, v38
.LBB212_141:
	s_add_u32 s0, s46, s38
	s_addc_u32 s1, s47, s39
	s_add_u32 s4, s0, s40
	s_waitcnt lgkmcnt(0)
	v_mul_u32_u24_e32 v1, 14, v0
	s_addc_u32 s5, s1, s41
	s_and_b64 vcc, exec, s[2:3]
	v_lshlrev_b32_e32 v2, 2, v1
	s_cbranch_vccz .LBB212_169
; %bb.142:
	s_movk_i32 s0, 0xffcc
	v_mad_i32_i24 v3, v0, s0, v2
	s_barrier
	ds_write2_b64 v2, v[26:27], v[42:43] offset1:1
	ds_write2_b64 v2, v[30:31], v[44:45] offset0:2 offset1:3
	ds_write2_b64 v2, v[34:35], v[46:47] offset0:4 offset1:5
	ds_write_b64 v2, v[48:49] offset:48
	s_waitcnt lgkmcnt(0)
	s_barrier
	ds_read2st64_b32 v[16:17], v3 offset0:4 offset1:8
	ds_read2st64_b32 v[14:15], v3 offset0:12 offset1:16
	;; [unrolled: 1-line block ×6, first 2 shown]
	ds_read_b32 v3, v3 offset:13312
	v_mov_b32_e32 v7, s5
	v_add_co_u32_e32 v6, vcc, s4, v50
	s_add_i32 s33, s33, s58
	v_addc_co_u32_e32 v7, vcc, 0, v7, vcc
	v_mov_b32_e32 v1, 0
	v_cmp_gt_u32_e32 vcc, s33, v0
	s_and_saveexec_b64 s[0:1], vcc
	s_cbranch_execz .LBB212_144
; %bb.143:
	v_mul_i32_i24_e32 v18, 0xffffffcc, v0
	v_add_u32_e32 v18, v2, v18
	ds_read_b32 v18, v18
	s_waitcnt lgkmcnt(0)
	flat_store_dword v[6:7], v18
.LBB212_144:
	s_or_b64 exec, exec, s[0:1]
	v_or_b32_e32 v18, 0x100, v0
	v_cmp_gt_u32_e32 vcc, s33, v18
	s_and_saveexec_b64 s[0:1], vcc
	s_cbranch_execz .LBB212_146
; %bb.145:
	s_waitcnt lgkmcnt(0)
	flat_store_dword v[6:7], v16 offset:1024
.LBB212_146:
	s_or_b64 exec, exec, s[0:1]
	s_waitcnt lgkmcnt(0)
	v_or_b32_e32 v16, 0x200, v0
	v_cmp_gt_u32_e32 vcc, s33, v16
	s_and_saveexec_b64 s[0:1], vcc
	s_cbranch_execz .LBB212_148
; %bb.147:
	flat_store_dword v[6:7], v17 offset:2048
.LBB212_148:
	s_or_b64 exec, exec, s[0:1]
	v_or_b32_e32 v16, 0x300, v0
	v_cmp_gt_u32_e32 vcc, s33, v16
	s_and_saveexec_b64 s[0:1], vcc
	s_cbranch_execz .LBB212_150
; %bb.149:
	flat_store_dword v[6:7], v14 offset:3072
.LBB212_150:
	s_or_b64 exec, exec, s[0:1]
	v_or_b32_e32 v14, 0x400, v0
	v_cmp_gt_u32_e32 vcc, s33, v14
	s_and_saveexec_b64 s[0:1], vcc
	s_cbranch_execz .LBB212_152
; %bb.151:
	v_add_co_u32_e32 v16, vcc, 0x1000, v6
	v_addc_co_u32_e32 v17, vcc, 0, v7, vcc
	flat_store_dword v[16:17], v15
.LBB212_152:
	s_or_b64 exec, exec, s[0:1]
	v_or_b32_e32 v14, 0x500, v0
	v_cmp_gt_u32_e32 vcc, s33, v14
	s_and_saveexec_b64 s[0:1], vcc
	s_cbranch_execz .LBB212_154
; %bb.153:
	v_add_co_u32_e32 v14, vcc, 0x1000, v6
	v_addc_co_u32_e32 v15, vcc, 0, v7, vcc
	flat_store_dword v[14:15], v12 offset:1024
.LBB212_154:
	s_or_b64 exec, exec, s[0:1]
	v_or_b32_e32 v12, 0x600, v0
	v_cmp_gt_u32_e32 vcc, s33, v12
	s_and_saveexec_b64 s[0:1], vcc
	s_cbranch_execz .LBB212_156
; %bb.155:
	v_add_co_u32_e32 v14, vcc, 0x1000, v6
	v_addc_co_u32_e32 v15, vcc, 0, v7, vcc
	flat_store_dword v[14:15], v13 offset:2048
.LBB212_156:
	;; [unrolled: 10-line block ×3, first 2 shown]
	s_or_b64 exec, exec, s[0:1]
	v_or_b32_e32 v10, 0x800, v0
	v_cmp_gt_u32_e32 vcc, s33, v10
	s_and_saveexec_b64 s[0:1], vcc
	s_cbranch_execz .LBB212_160
; %bb.159:
	v_add_co_u32_e32 v12, vcc, 0x2000, v6
	v_addc_co_u32_e32 v13, vcc, 0, v7, vcc
	flat_store_dword v[12:13], v11
.LBB212_160:
	s_or_b64 exec, exec, s[0:1]
	v_or_b32_e32 v10, 0x900, v0
	v_cmp_gt_u32_e32 vcc, s33, v10
	s_and_saveexec_b64 s[0:1], vcc
	s_cbranch_execz .LBB212_162
; %bb.161:
	v_add_co_u32_e32 v10, vcc, 0x2000, v6
	v_addc_co_u32_e32 v11, vcc, 0, v7, vcc
	flat_store_dword v[10:11], v8 offset:1024
.LBB212_162:
	s_or_b64 exec, exec, s[0:1]
	v_or_b32_e32 v8, 0xa00, v0
	v_cmp_gt_u32_e32 vcc, s33, v8
	s_and_saveexec_b64 s[0:1], vcc
	s_cbranch_execz .LBB212_164
; %bb.163:
	v_add_co_u32_e32 v10, vcc, 0x2000, v6
	v_addc_co_u32_e32 v11, vcc, 0, v7, vcc
	flat_store_dword v[10:11], v9 offset:2048
.LBB212_164:
	;; [unrolled: 10-line block ×3, first 2 shown]
	s_or_b64 exec, exec, s[0:1]
	v_or_b32_e32 v4, 0xc00, v0
	v_cmp_gt_u32_e32 vcc, s33, v4
	s_and_saveexec_b64 s[0:1], vcc
	s_cbranch_execz .LBB212_168
; %bb.167:
	v_add_co_u32_e32 v6, vcc, 0x3000, v6
	v_addc_co_u32_e32 v7, vcc, 0, v7, vcc
	flat_store_dword v[6:7], v5
.LBB212_168:
	s_or_b64 exec, exec, s[0:1]
	v_or_b32_e32 v4, 0xd00, v0
	v_cmp_gt_u32_e64 s[0:1], s33, v4
	s_branch .LBB212_171
.LBB212_169:
	s_mov_b64 s[0:1], 0
                                        ; implicit-def: $vgpr3
	s_cbranch_execz .LBB212_171
; %bb.170:
	s_movk_i32 s2, 0xffcc
	s_waitcnt lgkmcnt(0)
	s_barrier
	ds_write2_b64 v2, v[26:27], v[42:43] offset1:1
	ds_write2_b64 v2, v[30:31], v[44:45] offset0:2 offset1:3
	ds_write2_b64 v2, v[34:35], v[46:47] offset0:4 offset1:5
	ds_write_b64 v2, v[48:49] offset:48
	v_mad_i32_i24 v2, v0, s2, v2
	v_mov_b32_e32 v17, s5
	v_add_co_u32_e32 v16, vcc, s4, v50
	s_waitcnt lgkmcnt(0)
	s_barrier
	ds_read2st64_b32 v[4:5], v2 offset1:4
	ds_read2st64_b32 v[6:7], v2 offset0:8 offset1:12
	ds_read2st64_b32 v[8:9], v2 offset0:16 offset1:20
	;; [unrolled: 1-line block ×6, first 2 shown]
	v_addc_co_u32_e32 v17, vcc, 0, v17, vcc
	s_movk_i32 s2, 0x1000
	s_waitcnt lgkmcnt(0)
	flat_store_dword v[16:17], v4
	flat_store_dword v[16:17], v5 offset:1024
	flat_store_dword v[16:17], v6 offset:2048
	flat_store_dword v[16:17], v7 offset:3072
	v_add_co_u32_e32 v4, vcc, s2, v16
	v_addc_co_u32_e32 v5, vcc, 0, v17, vcc
	flat_store_dword v[4:5], v8
	flat_store_dword v[4:5], v9 offset:1024
	flat_store_dword v[4:5], v10 offset:2048
	;; [unrolled: 1-line block ×3, first 2 shown]
	v_add_co_u32_e32 v4, vcc, 0x2000, v16
	v_addc_co_u32_e32 v5, vcc, 0, v17, vcc
	flat_store_dword v[4:5], v12
	flat_store_dword v[4:5], v13 offset:1024
	flat_store_dword v[4:5], v14 offset:2048
	flat_store_dword v[4:5], v15 offset:3072
	v_add_co_u32_e32 v4, vcc, 0x3000, v16
	v_mov_b32_e32 v1, 0
	v_addc_co_u32_e32 v5, vcc, 0, v17, vcc
	s_or_b64 s[0:1], s[0:1], exec
	flat_store_dword v[4:5], v2
.LBB212_171:
	s_and_saveexec_b64 s[2:3], s[0:1]
	s_cbranch_execnz .LBB212_173
; %bb.172:
	s_endpgm
.LBB212_173:
	v_lshlrev_b64 v[0:1], 2, v[0:1]
	v_mov_b32_e32 v2, s5
	v_add_co_u32_e32 v0, vcc, s4, v0
	v_addc_co_u32_e32 v1, vcc, v2, v1, vcc
	v_add_co_u32_e32 v0, vcc, 0x3000, v0
	v_addc_co_u32_e32 v1, vcc, 0, v1, vcc
	flat_store_dword v[0:1], v3 offset:1024
	s_endpgm
.LBB212_174:
	v_mov_b32_e32 v13, s63
	v_add_co_u32_e32 v14, vcc, s62, v12
	v_addc_co_u32_e32 v15, vcc, 0, v13, vcc
	flat_load_dword v13, v[14:15]
	s_or_b64 exec, exec, s[4:5]
                                        ; implicit-def: $vgpr14
	s_and_saveexec_b64 s[4:5], s[8:9]
	s_cbranch_execz .LBB212_41
.LBB212_175:
	v_mov_b32_e32 v15, s63
	v_add_co_u32_e32 v14, vcc, s62, v12
	v_addc_co_u32_e32 v15, vcc, 0, v15, vcc
	flat_load_dword v14, v[14:15] offset:1024
	s_or_b64 exec, exec, s[4:5]
                                        ; implicit-def: $vgpr15
	s_and_saveexec_b64 s[4:5], s[10:11]
	s_cbranch_execz .LBB212_42
.LBB212_176:
	v_mov_b32_e32 v15, s63
	v_add_co_u32_e32 v16, vcc, s62, v12
	v_addc_co_u32_e32 v17, vcc, 0, v15, vcc
	flat_load_dword v15, v[16:17] offset:2048
	s_or_b64 exec, exec, s[4:5]
                                        ; implicit-def: $vgpr16
	s_and_saveexec_b64 s[4:5], s[12:13]
	s_cbranch_execz .LBB212_43
.LBB212_177:
	v_mov_b32_e32 v17, s63
	v_add_co_u32_e32 v16, vcc, s62, v12
	v_addc_co_u32_e32 v17, vcc, 0, v17, vcc
	flat_load_dword v16, v[16:17] offset:3072
	s_or_b64 exec, exec, s[4:5]
                                        ; implicit-def: $vgpr17
	s_and_saveexec_b64 s[4:5], s[14:15]
	s_cbranch_execz .LBB212_44
.LBB212_178:
	v_lshlrev_b32_e32 v2, 2, v2
	v_mov_b32_e32 v17, s63
	v_add_co_u32_e32 v18, vcc, s62, v2
	v_addc_co_u32_e32 v19, vcc, 0, v17, vcc
	flat_load_dword v17, v[18:19]
	s_or_b64 exec, exec, s[4:5]
                                        ; implicit-def: $vgpr2
	s_and_saveexec_b64 s[4:5], s[16:17]
	s_cbranch_execz .LBB212_45
.LBB212_179:
	v_lshlrev_b32_e32 v2, 2, v3
	v_mov_b32_e32 v3, s63
	v_add_co_u32_e32 v2, vcc, s62, v2
	v_addc_co_u32_e32 v3, vcc, 0, v3, vcc
	flat_load_dword v2, v[2:3]
	s_or_b64 exec, exec, s[4:5]
                                        ; implicit-def: $vgpr3
	s_and_saveexec_b64 s[4:5], s[18:19]
	s_cbranch_execz .LBB212_46
.LBB212_180:
	v_lshlrev_b32_e32 v3, 2, v4
	v_mov_b32_e32 v4, s63
	v_add_co_u32_e32 v18, vcc, s62, v3
	v_addc_co_u32_e32 v19, vcc, 0, v4, vcc
	flat_load_dword v3, v[18:19]
	s_or_b64 exec, exec, s[4:5]
                                        ; implicit-def: $vgpr4
	s_and_saveexec_b64 s[4:5], s[20:21]
	s_cbranch_execz .LBB212_47
.LBB212_181:
	v_lshlrev_b32_e32 v4, 2, v5
	v_mov_b32_e32 v5, s63
	v_add_co_u32_e32 v4, vcc, s62, v4
	v_addc_co_u32_e32 v5, vcc, 0, v5, vcc
	flat_load_dword v4, v[4:5]
	s_or_b64 exec, exec, s[4:5]
                                        ; implicit-def: $vgpr5
	s_and_saveexec_b64 s[4:5], s[22:23]
	s_cbranch_execz .LBB212_48
.LBB212_182:
	v_lshlrev_b32_e32 v5, 2, v6
	v_mov_b32_e32 v6, s63
	v_add_co_u32_e32 v18, vcc, s62, v5
	v_addc_co_u32_e32 v19, vcc, 0, v6, vcc
	flat_load_dword v5, v[18:19]
	s_or_b64 exec, exec, s[4:5]
                                        ; implicit-def: $vgpr6
	s_and_saveexec_b64 s[4:5], s[24:25]
	s_cbranch_execz .LBB212_49
.LBB212_183:
	v_lshlrev_b32_e32 v6, 2, v7
	v_mov_b32_e32 v7, s63
	v_add_co_u32_e32 v6, vcc, s62, v6
	v_addc_co_u32_e32 v7, vcc, 0, v7, vcc
	flat_load_dword v6, v[6:7]
	s_or_b64 exec, exec, s[4:5]
                                        ; implicit-def: $vgpr7
	s_and_saveexec_b64 s[4:5], s[26:27]
	s_cbranch_execz .LBB212_50
.LBB212_184:
	v_lshlrev_b32_e32 v7, 2, v8
	v_mov_b32_e32 v8, s63
	v_add_co_u32_e32 v18, vcc, s62, v7
	v_addc_co_u32_e32 v19, vcc, 0, v8, vcc
	flat_load_dword v7, v[18:19]
	s_or_b64 exec, exec, s[4:5]
                                        ; implicit-def: $vgpr8
	s_and_saveexec_b64 s[4:5], s[28:29]
	s_cbranch_execz .LBB212_51
.LBB212_185:
	v_lshlrev_b32_e32 v8, 2, v9
	v_mov_b32_e32 v9, s63
	v_add_co_u32_e32 v8, vcc, s62, v8
	v_addc_co_u32_e32 v9, vcc, 0, v9, vcc
	flat_load_dword v8, v[8:9]
	s_or_b64 exec, exec, s[4:5]
                                        ; implicit-def: $vgpr9
	s_and_saveexec_b64 s[4:5], s[30:31]
	s_cbranch_execz .LBB212_52
.LBB212_186:
	v_lshlrev_b32_e32 v9, 2, v10
	v_mov_b32_e32 v10, s63
	v_add_co_u32_e32 v18, vcc, s62, v9
	v_addc_co_u32_e32 v19, vcc, 0, v10, vcc
	flat_load_dword v9, v[18:19]
	s_or_b64 exec, exec, s[4:5]
                                        ; implicit-def: $vgpr10
	s_and_saveexec_b64 s[4:5], s[34:35]
	s_cbranch_execnz .LBB212_53
	s_branch .LBB212_54
.LBB212_187:
                                        ; implicit-def: $sgpr4_sgpr5
	s_branch .LBB212_36
.LBB212_188:
                                        ; implicit-def: $sgpr4_sgpr5
	s_branch .LBB212_85
	.section	.rodata,"a",@progbits
	.p2align	6, 0x0
	.amdhsa_kernel _ZN7rocprim17ROCPRIM_400000_NS6detail17trampoline_kernelINS0_14default_configENS1_27scan_by_key_config_selectorIiiEEZZNS1_16scan_by_key_implILNS1_25lookback_scan_determinismE0ELb0ES3_N6thrust23THRUST_200600_302600_NS6detail15normal_iteratorINS9_10device_ptrIiEEEESE_SE_iNS9_4plusIvEENS9_8equal_toIiEEiEE10hipError_tPvRmT2_T3_T4_T5_mT6_T7_P12ihipStream_tbENKUlT_T0_E_clISt17integral_constantIbLb1EESZ_EEDaSU_SV_EUlSU_E_NS1_11comp_targetILNS1_3genE4ELNS1_11target_archE910ELNS1_3gpuE8ELNS1_3repE0EEENS1_30default_config_static_selectorELNS0_4arch9wavefront6targetE1EEEvT1_
		.amdhsa_group_segment_fixed_size 16384
		.amdhsa_private_segment_fixed_size 0
		.amdhsa_kernarg_size 112
		.amdhsa_user_sgpr_count 6
		.amdhsa_user_sgpr_private_segment_buffer 1
		.amdhsa_user_sgpr_dispatch_ptr 0
		.amdhsa_user_sgpr_queue_ptr 0
		.amdhsa_user_sgpr_kernarg_segment_ptr 1
		.amdhsa_user_sgpr_dispatch_id 0
		.amdhsa_user_sgpr_flat_scratch_init 0
		.amdhsa_user_sgpr_kernarg_preload_length 0
		.amdhsa_user_sgpr_kernarg_preload_offset 0
		.amdhsa_user_sgpr_private_segment_size 0
		.amdhsa_uses_dynamic_stack 0
		.amdhsa_system_sgpr_private_segment_wavefront_offset 0
		.amdhsa_system_sgpr_workgroup_id_x 1
		.amdhsa_system_sgpr_workgroup_id_y 0
		.amdhsa_system_sgpr_workgroup_id_z 0
		.amdhsa_system_sgpr_workgroup_info 0
		.amdhsa_system_vgpr_workitem_id 0
		.amdhsa_next_free_vgpr 65
		.amdhsa_next_free_sgpr 65
		.amdhsa_accum_offset 68
		.amdhsa_reserve_vcc 1
		.amdhsa_reserve_flat_scratch 0
		.amdhsa_float_round_mode_32 0
		.amdhsa_float_round_mode_16_64 0
		.amdhsa_float_denorm_mode_32 3
		.amdhsa_float_denorm_mode_16_64 3
		.amdhsa_dx10_clamp 1
		.amdhsa_ieee_mode 1
		.amdhsa_fp16_overflow 0
		.amdhsa_tg_split 0
		.amdhsa_exception_fp_ieee_invalid_op 0
		.amdhsa_exception_fp_denorm_src 0
		.amdhsa_exception_fp_ieee_div_zero 0
		.amdhsa_exception_fp_ieee_overflow 0
		.amdhsa_exception_fp_ieee_underflow 0
		.amdhsa_exception_fp_ieee_inexact 0
		.amdhsa_exception_int_div_zero 0
	.end_amdhsa_kernel
	.section	.text._ZN7rocprim17ROCPRIM_400000_NS6detail17trampoline_kernelINS0_14default_configENS1_27scan_by_key_config_selectorIiiEEZZNS1_16scan_by_key_implILNS1_25lookback_scan_determinismE0ELb0ES3_N6thrust23THRUST_200600_302600_NS6detail15normal_iteratorINS9_10device_ptrIiEEEESE_SE_iNS9_4plusIvEENS9_8equal_toIiEEiEE10hipError_tPvRmT2_T3_T4_T5_mT6_T7_P12ihipStream_tbENKUlT_T0_E_clISt17integral_constantIbLb1EESZ_EEDaSU_SV_EUlSU_E_NS1_11comp_targetILNS1_3genE4ELNS1_11target_archE910ELNS1_3gpuE8ELNS1_3repE0EEENS1_30default_config_static_selectorELNS0_4arch9wavefront6targetE1EEEvT1_,"axG",@progbits,_ZN7rocprim17ROCPRIM_400000_NS6detail17trampoline_kernelINS0_14default_configENS1_27scan_by_key_config_selectorIiiEEZZNS1_16scan_by_key_implILNS1_25lookback_scan_determinismE0ELb0ES3_N6thrust23THRUST_200600_302600_NS6detail15normal_iteratorINS9_10device_ptrIiEEEESE_SE_iNS9_4plusIvEENS9_8equal_toIiEEiEE10hipError_tPvRmT2_T3_T4_T5_mT6_T7_P12ihipStream_tbENKUlT_T0_E_clISt17integral_constantIbLb1EESZ_EEDaSU_SV_EUlSU_E_NS1_11comp_targetILNS1_3genE4ELNS1_11target_archE910ELNS1_3gpuE8ELNS1_3repE0EEENS1_30default_config_static_selectorELNS0_4arch9wavefront6targetE1EEEvT1_,comdat
.Lfunc_end212:
	.size	_ZN7rocprim17ROCPRIM_400000_NS6detail17trampoline_kernelINS0_14default_configENS1_27scan_by_key_config_selectorIiiEEZZNS1_16scan_by_key_implILNS1_25lookback_scan_determinismE0ELb0ES3_N6thrust23THRUST_200600_302600_NS6detail15normal_iteratorINS9_10device_ptrIiEEEESE_SE_iNS9_4plusIvEENS9_8equal_toIiEEiEE10hipError_tPvRmT2_T3_T4_T5_mT6_T7_P12ihipStream_tbENKUlT_T0_E_clISt17integral_constantIbLb1EESZ_EEDaSU_SV_EUlSU_E_NS1_11comp_targetILNS1_3genE4ELNS1_11target_archE910ELNS1_3gpuE8ELNS1_3repE0EEENS1_30default_config_static_selectorELNS0_4arch9wavefront6targetE1EEEvT1_, .Lfunc_end212-_ZN7rocprim17ROCPRIM_400000_NS6detail17trampoline_kernelINS0_14default_configENS1_27scan_by_key_config_selectorIiiEEZZNS1_16scan_by_key_implILNS1_25lookback_scan_determinismE0ELb0ES3_N6thrust23THRUST_200600_302600_NS6detail15normal_iteratorINS9_10device_ptrIiEEEESE_SE_iNS9_4plusIvEENS9_8equal_toIiEEiEE10hipError_tPvRmT2_T3_T4_T5_mT6_T7_P12ihipStream_tbENKUlT_T0_E_clISt17integral_constantIbLb1EESZ_EEDaSU_SV_EUlSU_E_NS1_11comp_targetILNS1_3genE4ELNS1_11target_archE910ELNS1_3gpuE8ELNS1_3repE0EEENS1_30default_config_static_selectorELNS0_4arch9wavefront6targetE1EEEvT1_
                                        ; -- End function
	.section	.AMDGPU.csdata,"",@progbits
; Kernel info:
; codeLenInByte = 11144
; NumSgprs: 69
; NumVgprs: 65
; NumAgprs: 0
; TotalNumVgprs: 65
; ScratchSize: 0
; MemoryBound: 0
; FloatMode: 240
; IeeeMode: 1
; LDSByteSize: 16384 bytes/workgroup (compile time only)
; SGPRBlocks: 8
; VGPRBlocks: 8
; NumSGPRsForWavesPerEU: 69
; NumVGPRsForWavesPerEU: 65
; AccumOffset: 68
; Occupancy: 4
; WaveLimiterHint : 1
; COMPUTE_PGM_RSRC2:SCRATCH_EN: 0
; COMPUTE_PGM_RSRC2:USER_SGPR: 6
; COMPUTE_PGM_RSRC2:TRAP_HANDLER: 0
; COMPUTE_PGM_RSRC2:TGID_X_EN: 1
; COMPUTE_PGM_RSRC2:TGID_Y_EN: 0
; COMPUTE_PGM_RSRC2:TGID_Z_EN: 0
; COMPUTE_PGM_RSRC2:TIDIG_COMP_CNT: 0
; COMPUTE_PGM_RSRC3_GFX90A:ACCUM_OFFSET: 16
; COMPUTE_PGM_RSRC3_GFX90A:TG_SPLIT: 0
	.section	.text._ZN7rocprim17ROCPRIM_400000_NS6detail17trampoline_kernelINS0_14default_configENS1_27scan_by_key_config_selectorIiiEEZZNS1_16scan_by_key_implILNS1_25lookback_scan_determinismE0ELb0ES3_N6thrust23THRUST_200600_302600_NS6detail15normal_iteratorINS9_10device_ptrIiEEEESE_SE_iNS9_4plusIvEENS9_8equal_toIiEEiEE10hipError_tPvRmT2_T3_T4_T5_mT6_T7_P12ihipStream_tbENKUlT_T0_E_clISt17integral_constantIbLb1EESZ_EEDaSU_SV_EUlSU_E_NS1_11comp_targetILNS1_3genE3ELNS1_11target_archE908ELNS1_3gpuE7ELNS1_3repE0EEENS1_30default_config_static_selectorELNS0_4arch9wavefront6targetE1EEEvT1_,"axG",@progbits,_ZN7rocprim17ROCPRIM_400000_NS6detail17trampoline_kernelINS0_14default_configENS1_27scan_by_key_config_selectorIiiEEZZNS1_16scan_by_key_implILNS1_25lookback_scan_determinismE0ELb0ES3_N6thrust23THRUST_200600_302600_NS6detail15normal_iteratorINS9_10device_ptrIiEEEESE_SE_iNS9_4plusIvEENS9_8equal_toIiEEiEE10hipError_tPvRmT2_T3_T4_T5_mT6_T7_P12ihipStream_tbENKUlT_T0_E_clISt17integral_constantIbLb1EESZ_EEDaSU_SV_EUlSU_E_NS1_11comp_targetILNS1_3genE3ELNS1_11target_archE908ELNS1_3gpuE7ELNS1_3repE0EEENS1_30default_config_static_selectorELNS0_4arch9wavefront6targetE1EEEvT1_,comdat
	.protected	_ZN7rocprim17ROCPRIM_400000_NS6detail17trampoline_kernelINS0_14default_configENS1_27scan_by_key_config_selectorIiiEEZZNS1_16scan_by_key_implILNS1_25lookback_scan_determinismE0ELb0ES3_N6thrust23THRUST_200600_302600_NS6detail15normal_iteratorINS9_10device_ptrIiEEEESE_SE_iNS9_4plusIvEENS9_8equal_toIiEEiEE10hipError_tPvRmT2_T3_T4_T5_mT6_T7_P12ihipStream_tbENKUlT_T0_E_clISt17integral_constantIbLb1EESZ_EEDaSU_SV_EUlSU_E_NS1_11comp_targetILNS1_3genE3ELNS1_11target_archE908ELNS1_3gpuE7ELNS1_3repE0EEENS1_30default_config_static_selectorELNS0_4arch9wavefront6targetE1EEEvT1_ ; -- Begin function _ZN7rocprim17ROCPRIM_400000_NS6detail17trampoline_kernelINS0_14default_configENS1_27scan_by_key_config_selectorIiiEEZZNS1_16scan_by_key_implILNS1_25lookback_scan_determinismE0ELb0ES3_N6thrust23THRUST_200600_302600_NS6detail15normal_iteratorINS9_10device_ptrIiEEEESE_SE_iNS9_4plusIvEENS9_8equal_toIiEEiEE10hipError_tPvRmT2_T3_T4_T5_mT6_T7_P12ihipStream_tbENKUlT_T0_E_clISt17integral_constantIbLb1EESZ_EEDaSU_SV_EUlSU_E_NS1_11comp_targetILNS1_3genE3ELNS1_11target_archE908ELNS1_3gpuE7ELNS1_3repE0EEENS1_30default_config_static_selectorELNS0_4arch9wavefront6targetE1EEEvT1_
	.globl	_ZN7rocprim17ROCPRIM_400000_NS6detail17trampoline_kernelINS0_14default_configENS1_27scan_by_key_config_selectorIiiEEZZNS1_16scan_by_key_implILNS1_25lookback_scan_determinismE0ELb0ES3_N6thrust23THRUST_200600_302600_NS6detail15normal_iteratorINS9_10device_ptrIiEEEESE_SE_iNS9_4plusIvEENS9_8equal_toIiEEiEE10hipError_tPvRmT2_T3_T4_T5_mT6_T7_P12ihipStream_tbENKUlT_T0_E_clISt17integral_constantIbLb1EESZ_EEDaSU_SV_EUlSU_E_NS1_11comp_targetILNS1_3genE3ELNS1_11target_archE908ELNS1_3gpuE7ELNS1_3repE0EEENS1_30default_config_static_selectorELNS0_4arch9wavefront6targetE1EEEvT1_
	.p2align	8
	.type	_ZN7rocprim17ROCPRIM_400000_NS6detail17trampoline_kernelINS0_14default_configENS1_27scan_by_key_config_selectorIiiEEZZNS1_16scan_by_key_implILNS1_25lookback_scan_determinismE0ELb0ES3_N6thrust23THRUST_200600_302600_NS6detail15normal_iteratorINS9_10device_ptrIiEEEESE_SE_iNS9_4plusIvEENS9_8equal_toIiEEiEE10hipError_tPvRmT2_T3_T4_T5_mT6_T7_P12ihipStream_tbENKUlT_T0_E_clISt17integral_constantIbLb1EESZ_EEDaSU_SV_EUlSU_E_NS1_11comp_targetILNS1_3genE3ELNS1_11target_archE908ELNS1_3gpuE7ELNS1_3repE0EEENS1_30default_config_static_selectorELNS0_4arch9wavefront6targetE1EEEvT1_,@function
_ZN7rocprim17ROCPRIM_400000_NS6detail17trampoline_kernelINS0_14default_configENS1_27scan_by_key_config_selectorIiiEEZZNS1_16scan_by_key_implILNS1_25lookback_scan_determinismE0ELb0ES3_N6thrust23THRUST_200600_302600_NS6detail15normal_iteratorINS9_10device_ptrIiEEEESE_SE_iNS9_4plusIvEENS9_8equal_toIiEEiEE10hipError_tPvRmT2_T3_T4_T5_mT6_T7_P12ihipStream_tbENKUlT_T0_E_clISt17integral_constantIbLb1EESZ_EEDaSU_SV_EUlSU_E_NS1_11comp_targetILNS1_3genE3ELNS1_11target_archE908ELNS1_3gpuE7ELNS1_3repE0EEENS1_30default_config_static_selectorELNS0_4arch9wavefront6targetE1EEEvT1_: ; @_ZN7rocprim17ROCPRIM_400000_NS6detail17trampoline_kernelINS0_14default_configENS1_27scan_by_key_config_selectorIiiEEZZNS1_16scan_by_key_implILNS1_25lookback_scan_determinismE0ELb0ES3_N6thrust23THRUST_200600_302600_NS6detail15normal_iteratorINS9_10device_ptrIiEEEESE_SE_iNS9_4plusIvEENS9_8equal_toIiEEiEE10hipError_tPvRmT2_T3_T4_T5_mT6_T7_P12ihipStream_tbENKUlT_T0_E_clISt17integral_constantIbLb1EESZ_EEDaSU_SV_EUlSU_E_NS1_11comp_targetILNS1_3genE3ELNS1_11target_archE908ELNS1_3gpuE7ELNS1_3repE0EEENS1_30default_config_static_selectorELNS0_4arch9wavefront6targetE1EEEvT1_
; %bb.0:
	.section	.rodata,"a",@progbits
	.p2align	6, 0x0
	.amdhsa_kernel _ZN7rocprim17ROCPRIM_400000_NS6detail17trampoline_kernelINS0_14default_configENS1_27scan_by_key_config_selectorIiiEEZZNS1_16scan_by_key_implILNS1_25lookback_scan_determinismE0ELb0ES3_N6thrust23THRUST_200600_302600_NS6detail15normal_iteratorINS9_10device_ptrIiEEEESE_SE_iNS9_4plusIvEENS9_8equal_toIiEEiEE10hipError_tPvRmT2_T3_T4_T5_mT6_T7_P12ihipStream_tbENKUlT_T0_E_clISt17integral_constantIbLb1EESZ_EEDaSU_SV_EUlSU_E_NS1_11comp_targetILNS1_3genE3ELNS1_11target_archE908ELNS1_3gpuE7ELNS1_3repE0EEENS1_30default_config_static_selectorELNS0_4arch9wavefront6targetE1EEEvT1_
		.amdhsa_group_segment_fixed_size 0
		.amdhsa_private_segment_fixed_size 0
		.amdhsa_kernarg_size 112
		.amdhsa_user_sgpr_count 6
		.amdhsa_user_sgpr_private_segment_buffer 1
		.amdhsa_user_sgpr_dispatch_ptr 0
		.amdhsa_user_sgpr_queue_ptr 0
		.amdhsa_user_sgpr_kernarg_segment_ptr 1
		.amdhsa_user_sgpr_dispatch_id 0
		.amdhsa_user_sgpr_flat_scratch_init 0
		.amdhsa_user_sgpr_kernarg_preload_length 0
		.amdhsa_user_sgpr_kernarg_preload_offset 0
		.amdhsa_user_sgpr_private_segment_size 0
		.amdhsa_uses_dynamic_stack 0
		.amdhsa_system_sgpr_private_segment_wavefront_offset 0
		.amdhsa_system_sgpr_workgroup_id_x 1
		.amdhsa_system_sgpr_workgroup_id_y 0
		.amdhsa_system_sgpr_workgroup_id_z 0
		.amdhsa_system_sgpr_workgroup_info 0
		.amdhsa_system_vgpr_workitem_id 0
		.amdhsa_next_free_vgpr 1
		.amdhsa_next_free_sgpr 0
		.amdhsa_accum_offset 4
		.amdhsa_reserve_vcc 0
		.amdhsa_reserve_flat_scratch 0
		.amdhsa_float_round_mode_32 0
		.amdhsa_float_round_mode_16_64 0
		.amdhsa_float_denorm_mode_32 3
		.amdhsa_float_denorm_mode_16_64 3
		.amdhsa_dx10_clamp 1
		.amdhsa_ieee_mode 1
		.amdhsa_fp16_overflow 0
		.amdhsa_tg_split 0
		.amdhsa_exception_fp_ieee_invalid_op 0
		.amdhsa_exception_fp_denorm_src 0
		.amdhsa_exception_fp_ieee_div_zero 0
		.amdhsa_exception_fp_ieee_overflow 0
		.amdhsa_exception_fp_ieee_underflow 0
		.amdhsa_exception_fp_ieee_inexact 0
		.amdhsa_exception_int_div_zero 0
	.end_amdhsa_kernel
	.section	.text._ZN7rocprim17ROCPRIM_400000_NS6detail17trampoline_kernelINS0_14default_configENS1_27scan_by_key_config_selectorIiiEEZZNS1_16scan_by_key_implILNS1_25lookback_scan_determinismE0ELb0ES3_N6thrust23THRUST_200600_302600_NS6detail15normal_iteratorINS9_10device_ptrIiEEEESE_SE_iNS9_4plusIvEENS9_8equal_toIiEEiEE10hipError_tPvRmT2_T3_T4_T5_mT6_T7_P12ihipStream_tbENKUlT_T0_E_clISt17integral_constantIbLb1EESZ_EEDaSU_SV_EUlSU_E_NS1_11comp_targetILNS1_3genE3ELNS1_11target_archE908ELNS1_3gpuE7ELNS1_3repE0EEENS1_30default_config_static_selectorELNS0_4arch9wavefront6targetE1EEEvT1_,"axG",@progbits,_ZN7rocprim17ROCPRIM_400000_NS6detail17trampoline_kernelINS0_14default_configENS1_27scan_by_key_config_selectorIiiEEZZNS1_16scan_by_key_implILNS1_25lookback_scan_determinismE0ELb0ES3_N6thrust23THRUST_200600_302600_NS6detail15normal_iteratorINS9_10device_ptrIiEEEESE_SE_iNS9_4plusIvEENS9_8equal_toIiEEiEE10hipError_tPvRmT2_T3_T4_T5_mT6_T7_P12ihipStream_tbENKUlT_T0_E_clISt17integral_constantIbLb1EESZ_EEDaSU_SV_EUlSU_E_NS1_11comp_targetILNS1_3genE3ELNS1_11target_archE908ELNS1_3gpuE7ELNS1_3repE0EEENS1_30default_config_static_selectorELNS0_4arch9wavefront6targetE1EEEvT1_,comdat
.Lfunc_end213:
	.size	_ZN7rocprim17ROCPRIM_400000_NS6detail17trampoline_kernelINS0_14default_configENS1_27scan_by_key_config_selectorIiiEEZZNS1_16scan_by_key_implILNS1_25lookback_scan_determinismE0ELb0ES3_N6thrust23THRUST_200600_302600_NS6detail15normal_iteratorINS9_10device_ptrIiEEEESE_SE_iNS9_4plusIvEENS9_8equal_toIiEEiEE10hipError_tPvRmT2_T3_T4_T5_mT6_T7_P12ihipStream_tbENKUlT_T0_E_clISt17integral_constantIbLb1EESZ_EEDaSU_SV_EUlSU_E_NS1_11comp_targetILNS1_3genE3ELNS1_11target_archE908ELNS1_3gpuE7ELNS1_3repE0EEENS1_30default_config_static_selectorELNS0_4arch9wavefront6targetE1EEEvT1_, .Lfunc_end213-_ZN7rocprim17ROCPRIM_400000_NS6detail17trampoline_kernelINS0_14default_configENS1_27scan_by_key_config_selectorIiiEEZZNS1_16scan_by_key_implILNS1_25lookback_scan_determinismE0ELb0ES3_N6thrust23THRUST_200600_302600_NS6detail15normal_iteratorINS9_10device_ptrIiEEEESE_SE_iNS9_4plusIvEENS9_8equal_toIiEEiEE10hipError_tPvRmT2_T3_T4_T5_mT6_T7_P12ihipStream_tbENKUlT_T0_E_clISt17integral_constantIbLb1EESZ_EEDaSU_SV_EUlSU_E_NS1_11comp_targetILNS1_3genE3ELNS1_11target_archE908ELNS1_3gpuE7ELNS1_3repE0EEENS1_30default_config_static_selectorELNS0_4arch9wavefront6targetE1EEEvT1_
                                        ; -- End function
	.section	.AMDGPU.csdata,"",@progbits
; Kernel info:
; codeLenInByte = 0
; NumSgprs: 4
; NumVgprs: 0
; NumAgprs: 0
; TotalNumVgprs: 0
; ScratchSize: 0
; MemoryBound: 0
; FloatMode: 240
; IeeeMode: 1
; LDSByteSize: 0 bytes/workgroup (compile time only)
; SGPRBlocks: 0
; VGPRBlocks: 0
; NumSGPRsForWavesPerEU: 4
; NumVGPRsForWavesPerEU: 1
; AccumOffset: 4
; Occupancy: 8
; WaveLimiterHint : 0
; COMPUTE_PGM_RSRC2:SCRATCH_EN: 0
; COMPUTE_PGM_RSRC2:USER_SGPR: 6
; COMPUTE_PGM_RSRC2:TRAP_HANDLER: 0
; COMPUTE_PGM_RSRC2:TGID_X_EN: 1
; COMPUTE_PGM_RSRC2:TGID_Y_EN: 0
; COMPUTE_PGM_RSRC2:TGID_Z_EN: 0
; COMPUTE_PGM_RSRC2:TIDIG_COMP_CNT: 0
; COMPUTE_PGM_RSRC3_GFX90A:ACCUM_OFFSET: 0
; COMPUTE_PGM_RSRC3_GFX90A:TG_SPLIT: 0
	.section	.text._ZN7rocprim17ROCPRIM_400000_NS6detail17trampoline_kernelINS0_14default_configENS1_27scan_by_key_config_selectorIiiEEZZNS1_16scan_by_key_implILNS1_25lookback_scan_determinismE0ELb0ES3_N6thrust23THRUST_200600_302600_NS6detail15normal_iteratorINS9_10device_ptrIiEEEESE_SE_iNS9_4plusIvEENS9_8equal_toIiEEiEE10hipError_tPvRmT2_T3_T4_T5_mT6_T7_P12ihipStream_tbENKUlT_T0_E_clISt17integral_constantIbLb1EESZ_EEDaSU_SV_EUlSU_E_NS1_11comp_targetILNS1_3genE2ELNS1_11target_archE906ELNS1_3gpuE6ELNS1_3repE0EEENS1_30default_config_static_selectorELNS0_4arch9wavefront6targetE1EEEvT1_,"axG",@progbits,_ZN7rocprim17ROCPRIM_400000_NS6detail17trampoline_kernelINS0_14default_configENS1_27scan_by_key_config_selectorIiiEEZZNS1_16scan_by_key_implILNS1_25lookback_scan_determinismE0ELb0ES3_N6thrust23THRUST_200600_302600_NS6detail15normal_iteratorINS9_10device_ptrIiEEEESE_SE_iNS9_4plusIvEENS9_8equal_toIiEEiEE10hipError_tPvRmT2_T3_T4_T5_mT6_T7_P12ihipStream_tbENKUlT_T0_E_clISt17integral_constantIbLb1EESZ_EEDaSU_SV_EUlSU_E_NS1_11comp_targetILNS1_3genE2ELNS1_11target_archE906ELNS1_3gpuE6ELNS1_3repE0EEENS1_30default_config_static_selectorELNS0_4arch9wavefront6targetE1EEEvT1_,comdat
	.protected	_ZN7rocprim17ROCPRIM_400000_NS6detail17trampoline_kernelINS0_14default_configENS1_27scan_by_key_config_selectorIiiEEZZNS1_16scan_by_key_implILNS1_25lookback_scan_determinismE0ELb0ES3_N6thrust23THRUST_200600_302600_NS6detail15normal_iteratorINS9_10device_ptrIiEEEESE_SE_iNS9_4plusIvEENS9_8equal_toIiEEiEE10hipError_tPvRmT2_T3_T4_T5_mT6_T7_P12ihipStream_tbENKUlT_T0_E_clISt17integral_constantIbLb1EESZ_EEDaSU_SV_EUlSU_E_NS1_11comp_targetILNS1_3genE2ELNS1_11target_archE906ELNS1_3gpuE6ELNS1_3repE0EEENS1_30default_config_static_selectorELNS0_4arch9wavefront6targetE1EEEvT1_ ; -- Begin function _ZN7rocprim17ROCPRIM_400000_NS6detail17trampoline_kernelINS0_14default_configENS1_27scan_by_key_config_selectorIiiEEZZNS1_16scan_by_key_implILNS1_25lookback_scan_determinismE0ELb0ES3_N6thrust23THRUST_200600_302600_NS6detail15normal_iteratorINS9_10device_ptrIiEEEESE_SE_iNS9_4plusIvEENS9_8equal_toIiEEiEE10hipError_tPvRmT2_T3_T4_T5_mT6_T7_P12ihipStream_tbENKUlT_T0_E_clISt17integral_constantIbLb1EESZ_EEDaSU_SV_EUlSU_E_NS1_11comp_targetILNS1_3genE2ELNS1_11target_archE906ELNS1_3gpuE6ELNS1_3repE0EEENS1_30default_config_static_selectorELNS0_4arch9wavefront6targetE1EEEvT1_
	.globl	_ZN7rocprim17ROCPRIM_400000_NS6detail17trampoline_kernelINS0_14default_configENS1_27scan_by_key_config_selectorIiiEEZZNS1_16scan_by_key_implILNS1_25lookback_scan_determinismE0ELb0ES3_N6thrust23THRUST_200600_302600_NS6detail15normal_iteratorINS9_10device_ptrIiEEEESE_SE_iNS9_4plusIvEENS9_8equal_toIiEEiEE10hipError_tPvRmT2_T3_T4_T5_mT6_T7_P12ihipStream_tbENKUlT_T0_E_clISt17integral_constantIbLb1EESZ_EEDaSU_SV_EUlSU_E_NS1_11comp_targetILNS1_3genE2ELNS1_11target_archE906ELNS1_3gpuE6ELNS1_3repE0EEENS1_30default_config_static_selectorELNS0_4arch9wavefront6targetE1EEEvT1_
	.p2align	8
	.type	_ZN7rocprim17ROCPRIM_400000_NS6detail17trampoline_kernelINS0_14default_configENS1_27scan_by_key_config_selectorIiiEEZZNS1_16scan_by_key_implILNS1_25lookback_scan_determinismE0ELb0ES3_N6thrust23THRUST_200600_302600_NS6detail15normal_iteratorINS9_10device_ptrIiEEEESE_SE_iNS9_4plusIvEENS9_8equal_toIiEEiEE10hipError_tPvRmT2_T3_T4_T5_mT6_T7_P12ihipStream_tbENKUlT_T0_E_clISt17integral_constantIbLb1EESZ_EEDaSU_SV_EUlSU_E_NS1_11comp_targetILNS1_3genE2ELNS1_11target_archE906ELNS1_3gpuE6ELNS1_3repE0EEENS1_30default_config_static_selectorELNS0_4arch9wavefront6targetE1EEEvT1_,@function
_ZN7rocprim17ROCPRIM_400000_NS6detail17trampoline_kernelINS0_14default_configENS1_27scan_by_key_config_selectorIiiEEZZNS1_16scan_by_key_implILNS1_25lookback_scan_determinismE0ELb0ES3_N6thrust23THRUST_200600_302600_NS6detail15normal_iteratorINS9_10device_ptrIiEEEESE_SE_iNS9_4plusIvEENS9_8equal_toIiEEiEE10hipError_tPvRmT2_T3_T4_T5_mT6_T7_P12ihipStream_tbENKUlT_T0_E_clISt17integral_constantIbLb1EESZ_EEDaSU_SV_EUlSU_E_NS1_11comp_targetILNS1_3genE2ELNS1_11target_archE906ELNS1_3gpuE6ELNS1_3repE0EEENS1_30default_config_static_selectorELNS0_4arch9wavefront6targetE1EEEvT1_: ; @_ZN7rocprim17ROCPRIM_400000_NS6detail17trampoline_kernelINS0_14default_configENS1_27scan_by_key_config_selectorIiiEEZZNS1_16scan_by_key_implILNS1_25lookback_scan_determinismE0ELb0ES3_N6thrust23THRUST_200600_302600_NS6detail15normal_iteratorINS9_10device_ptrIiEEEESE_SE_iNS9_4plusIvEENS9_8equal_toIiEEiEE10hipError_tPvRmT2_T3_T4_T5_mT6_T7_P12ihipStream_tbENKUlT_T0_E_clISt17integral_constantIbLb1EESZ_EEDaSU_SV_EUlSU_E_NS1_11comp_targetILNS1_3genE2ELNS1_11target_archE906ELNS1_3gpuE6ELNS1_3repE0EEENS1_30default_config_static_selectorELNS0_4arch9wavefront6targetE1EEEvT1_
; %bb.0:
	.section	.rodata,"a",@progbits
	.p2align	6, 0x0
	.amdhsa_kernel _ZN7rocprim17ROCPRIM_400000_NS6detail17trampoline_kernelINS0_14default_configENS1_27scan_by_key_config_selectorIiiEEZZNS1_16scan_by_key_implILNS1_25lookback_scan_determinismE0ELb0ES3_N6thrust23THRUST_200600_302600_NS6detail15normal_iteratorINS9_10device_ptrIiEEEESE_SE_iNS9_4plusIvEENS9_8equal_toIiEEiEE10hipError_tPvRmT2_T3_T4_T5_mT6_T7_P12ihipStream_tbENKUlT_T0_E_clISt17integral_constantIbLb1EESZ_EEDaSU_SV_EUlSU_E_NS1_11comp_targetILNS1_3genE2ELNS1_11target_archE906ELNS1_3gpuE6ELNS1_3repE0EEENS1_30default_config_static_selectorELNS0_4arch9wavefront6targetE1EEEvT1_
		.amdhsa_group_segment_fixed_size 0
		.amdhsa_private_segment_fixed_size 0
		.amdhsa_kernarg_size 112
		.amdhsa_user_sgpr_count 6
		.amdhsa_user_sgpr_private_segment_buffer 1
		.amdhsa_user_sgpr_dispatch_ptr 0
		.amdhsa_user_sgpr_queue_ptr 0
		.amdhsa_user_sgpr_kernarg_segment_ptr 1
		.amdhsa_user_sgpr_dispatch_id 0
		.amdhsa_user_sgpr_flat_scratch_init 0
		.amdhsa_user_sgpr_kernarg_preload_length 0
		.amdhsa_user_sgpr_kernarg_preload_offset 0
		.amdhsa_user_sgpr_private_segment_size 0
		.amdhsa_uses_dynamic_stack 0
		.amdhsa_system_sgpr_private_segment_wavefront_offset 0
		.amdhsa_system_sgpr_workgroup_id_x 1
		.amdhsa_system_sgpr_workgroup_id_y 0
		.amdhsa_system_sgpr_workgroup_id_z 0
		.amdhsa_system_sgpr_workgroup_info 0
		.amdhsa_system_vgpr_workitem_id 0
		.amdhsa_next_free_vgpr 1
		.amdhsa_next_free_sgpr 0
		.amdhsa_accum_offset 4
		.amdhsa_reserve_vcc 0
		.amdhsa_reserve_flat_scratch 0
		.amdhsa_float_round_mode_32 0
		.amdhsa_float_round_mode_16_64 0
		.amdhsa_float_denorm_mode_32 3
		.amdhsa_float_denorm_mode_16_64 3
		.amdhsa_dx10_clamp 1
		.amdhsa_ieee_mode 1
		.amdhsa_fp16_overflow 0
		.amdhsa_tg_split 0
		.amdhsa_exception_fp_ieee_invalid_op 0
		.amdhsa_exception_fp_denorm_src 0
		.amdhsa_exception_fp_ieee_div_zero 0
		.amdhsa_exception_fp_ieee_overflow 0
		.amdhsa_exception_fp_ieee_underflow 0
		.amdhsa_exception_fp_ieee_inexact 0
		.amdhsa_exception_int_div_zero 0
	.end_amdhsa_kernel
	.section	.text._ZN7rocprim17ROCPRIM_400000_NS6detail17trampoline_kernelINS0_14default_configENS1_27scan_by_key_config_selectorIiiEEZZNS1_16scan_by_key_implILNS1_25lookback_scan_determinismE0ELb0ES3_N6thrust23THRUST_200600_302600_NS6detail15normal_iteratorINS9_10device_ptrIiEEEESE_SE_iNS9_4plusIvEENS9_8equal_toIiEEiEE10hipError_tPvRmT2_T3_T4_T5_mT6_T7_P12ihipStream_tbENKUlT_T0_E_clISt17integral_constantIbLb1EESZ_EEDaSU_SV_EUlSU_E_NS1_11comp_targetILNS1_3genE2ELNS1_11target_archE906ELNS1_3gpuE6ELNS1_3repE0EEENS1_30default_config_static_selectorELNS0_4arch9wavefront6targetE1EEEvT1_,"axG",@progbits,_ZN7rocprim17ROCPRIM_400000_NS6detail17trampoline_kernelINS0_14default_configENS1_27scan_by_key_config_selectorIiiEEZZNS1_16scan_by_key_implILNS1_25lookback_scan_determinismE0ELb0ES3_N6thrust23THRUST_200600_302600_NS6detail15normal_iteratorINS9_10device_ptrIiEEEESE_SE_iNS9_4plusIvEENS9_8equal_toIiEEiEE10hipError_tPvRmT2_T3_T4_T5_mT6_T7_P12ihipStream_tbENKUlT_T0_E_clISt17integral_constantIbLb1EESZ_EEDaSU_SV_EUlSU_E_NS1_11comp_targetILNS1_3genE2ELNS1_11target_archE906ELNS1_3gpuE6ELNS1_3repE0EEENS1_30default_config_static_selectorELNS0_4arch9wavefront6targetE1EEEvT1_,comdat
.Lfunc_end214:
	.size	_ZN7rocprim17ROCPRIM_400000_NS6detail17trampoline_kernelINS0_14default_configENS1_27scan_by_key_config_selectorIiiEEZZNS1_16scan_by_key_implILNS1_25lookback_scan_determinismE0ELb0ES3_N6thrust23THRUST_200600_302600_NS6detail15normal_iteratorINS9_10device_ptrIiEEEESE_SE_iNS9_4plusIvEENS9_8equal_toIiEEiEE10hipError_tPvRmT2_T3_T4_T5_mT6_T7_P12ihipStream_tbENKUlT_T0_E_clISt17integral_constantIbLb1EESZ_EEDaSU_SV_EUlSU_E_NS1_11comp_targetILNS1_3genE2ELNS1_11target_archE906ELNS1_3gpuE6ELNS1_3repE0EEENS1_30default_config_static_selectorELNS0_4arch9wavefront6targetE1EEEvT1_, .Lfunc_end214-_ZN7rocprim17ROCPRIM_400000_NS6detail17trampoline_kernelINS0_14default_configENS1_27scan_by_key_config_selectorIiiEEZZNS1_16scan_by_key_implILNS1_25lookback_scan_determinismE0ELb0ES3_N6thrust23THRUST_200600_302600_NS6detail15normal_iteratorINS9_10device_ptrIiEEEESE_SE_iNS9_4plusIvEENS9_8equal_toIiEEiEE10hipError_tPvRmT2_T3_T4_T5_mT6_T7_P12ihipStream_tbENKUlT_T0_E_clISt17integral_constantIbLb1EESZ_EEDaSU_SV_EUlSU_E_NS1_11comp_targetILNS1_3genE2ELNS1_11target_archE906ELNS1_3gpuE6ELNS1_3repE0EEENS1_30default_config_static_selectorELNS0_4arch9wavefront6targetE1EEEvT1_
                                        ; -- End function
	.section	.AMDGPU.csdata,"",@progbits
; Kernel info:
; codeLenInByte = 0
; NumSgprs: 4
; NumVgprs: 0
; NumAgprs: 0
; TotalNumVgprs: 0
; ScratchSize: 0
; MemoryBound: 0
; FloatMode: 240
; IeeeMode: 1
; LDSByteSize: 0 bytes/workgroup (compile time only)
; SGPRBlocks: 0
; VGPRBlocks: 0
; NumSGPRsForWavesPerEU: 4
; NumVGPRsForWavesPerEU: 1
; AccumOffset: 4
; Occupancy: 8
; WaveLimiterHint : 0
; COMPUTE_PGM_RSRC2:SCRATCH_EN: 0
; COMPUTE_PGM_RSRC2:USER_SGPR: 6
; COMPUTE_PGM_RSRC2:TRAP_HANDLER: 0
; COMPUTE_PGM_RSRC2:TGID_X_EN: 1
; COMPUTE_PGM_RSRC2:TGID_Y_EN: 0
; COMPUTE_PGM_RSRC2:TGID_Z_EN: 0
; COMPUTE_PGM_RSRC2:TIDIG_COMP_CNT: 0
; COMPUTE_PGM_RSRC3_GFX90A:ACCUM_OFFSET: 0
; COMPUTE_PGM_RSRC3_GFX90A:TG_SPLIT: 0
	.section	.text._ZN7rocprim17ROCPRIM_400000_NS6detail17trampoline_kernelINS0_14default_configENS1_27scan_by_key_config_selectorIiiEEZZNS1_16scan_by_key_implILNS1_25lookback_scan_determinismE0ELb0ES3_N6thrust23THRUST_200600_302600_NS6detail15normal_iteratorINS9_10device_ptrIiEEEESE_SE_iNS9_4plusIvEENS9_8equal_toIiEEiEE10hipError_tPvRmT2_T3_T4_T5_mT6_T7_P12ihipStream_tbENKUlT_T0_E_clISt17integral_constantIbLb1EESZ_EEDaSU_SV_EUlSU_E_NS1_11comp_targetILNS1_3genE10ELNS1_11target_archE1200ELNS1_3gpuE4ELNS1_3repE0EEENS1_30default_config_static_selectorELNS0_4arch9wavefront6targetE1EEEvT1_,"axG",@progbits,_ZN7rocprim17ROCPRIM_400000_NS6detail17trampoline_kernelINS0_14default_configENS1_27scan_by_key_config_selectorIiiEEZZNS1_16scan_by_key_implILNS1_25lookback_scan_determinismE0ELb0ES3_N6thrust23THRUST_200600_302600_NS6detail15normal_iteratorINS9_10device_ptrIiEEEESE_SE_iNS9_4plusIvEENS9_8equal_toIiEEiEE10hipError_tPvRmT2_T3_T4_T5_mT6_T7_P12ihipStream_tbENKUlT_T0_E_clISt17integral_constantIbLb1EESZ_EEDaSU_SV_EUlSU_E_NS1_11comp_targetILNS1_3genE10ELNS1_11target_archE1200ELNS1_3gpuE4ELNS1_3repE0EEENS1_30default_config_static_selectorELNS0_4arch9wavefront6targetE1EEEvT1_,comdat
	.protected	_ZN7rocprim17ROCPRIM_400000_NS6detail17trampoline_kernelINS0_14default_configENS1_27scan_by_key_config_selectorIiiEEZZNS1_16scan_by_key_implILNS1_25lookback_scan_determinismE0ELb0ES3_N6thrust23THRUST_200600_302600_NS6detail15normal_iteratorINS9_10device_ptrIiEEEESE_SE_iNS9_4plusIvEENS9_8equal_toIiEEiEE10hipError_tPvRmT2_T3_T4_T5_mT6_T7_P12ihipStream_tbENKUlT_T0_E_clISt17integral_constantIbLb1EESZ_EEDaSU_SV_EUlSU_E_NS1_11comp_targetILNS1_3genE10ELNS1_11target_archE1200ELNS1_3gpuE4ELNS1_3repE0EEENS1_30default_config_static_selectorELNS0_4arch9wavefront6targetE1EEEvT1_ ; -- Begin function _ZN7rocprim17ROCPRIM_400000_NS6detail17trampoline_kernelINS0_14default_configENS1_27scan_by_key_config_selectorIiiEEZZNS1_16scan_by_key_implILNS1_25lookback_scan_determinismE0ELb0ES3_N6thrust23THRUST_200600_302600_NS6detail15normal_iteratorINS9_10device_ptrIiEEEESE_SE_iNS9_4plusIvEENS9_8equal_toIiEEiEE10hipError_tPvRmT2_T3_T4_T5_mT6_T7_P12ihipStream_tbENKUlT_T0_E_clISt17integral_constantIbLb1EESZ_EEDaSU_SV_EUlSU_E_NS1_11comp_targetILNS1_3genE10ELNS1_11target_archE1200ELNS1_3gpuE4ELNS1_3repE0EEENS1_30default_config_static_selectorELNS0_4arch9wavefront6targetE1EEEvT1_
	.globl	_ZN7rocprim17ROCPRIM_400000_NS6detail17trampoline_kernelINS0_14default_configENS1_27scan_by_key_config_selectorIiiEEZZNS1_16scan_by_key_implILNS1_25lookback_scan_determinismE0ELb0ES3_N6thrust23THRUST_200600_302600_NS6detail15normal_iteratorINS9_10device_ptrIiEEEESE_SE_iNS9_4plusIvEENS9_8equal_toIiEEiEE10hipError_tPvRmT2_T3_T4_T5_mT6_T7_P12ihipStream_tbENKUlT_T0_E_clISt17integral_constantIbLb1EESZ_EEDaSU_SV_EUlSU_E_NS1_11comp_targetILNS1_3genE10ELNS1_11target_archE1200ELNS1_3gpuE4ELNS1_3repE0EEENS1_30default_config_static_selectorELNS0_4arch9wavefront6targetE1EEEvT1_
	.p2align	8
	.type	_ZN7rocprim17ROCPRIM_400000_NS6detail17trampoline_kernelINS0_14default_configENS1_27scan_by_key_config_selectorIiiEEZZNS1_16scan_by_key_implILNS1_25lookback_scan_determinismE0ELb0ES3_N6thrust23THRUST_200600_302600_NS6detail15normal_iteratorINS9_10device_ptrIiEEEESE_SE_iNS9_4plusIvEENS9_8equal_toIiEEiEE10hipError_tPvRmT2_T3_T4_T5_mT6_T7_P12ihipStream_tbENKUlT_T0_E_clISt17integral_constantIbLb1EESZ_EEDaSU_SV_EUlSU_E_NS1_11comp_targetILNS1_3genE10ELNS1_11target_archE1200ELNS1_3gpuE4ELNS1_3repE0EEENS1_30default_config_static_selectorELNS0_4arch9wavefront6targetE1EEEvT1_,@function
_ZN7rocprim17ROCPRIM_400000_NS6detail17trampoline_kernelINS0_14default_configENS1_27scan_by_key_config_selectorIiiEEZZNS1_16scan_by_key_implILNS1_25lookback_scan_determinismE0ELb0ES3_N6thrust23THRUST_200600_302600_NS6detail15normal_iteratorINS9_10device_ptrIiEEEESE_SE_iNS9_4plusIvEENS9_8equal_toIiEEiEE10hipError_tPvRmT2_T3_T4_T5_mT6_T7_P12ihipStream_tbENKUlT_T0_E_clISt17integral_constantIbLb1EESZ_EEDaSU_SV_EUlSU_E_NS1_11comp_targetILNS1_3genE10ELNS1_11target_archE1200ELNS1_3gpuE4ELNS1_3repE0EEENS1_30default_config_static_selectorELNS0_4arch9wavefront6targetE1EEEvT1_: ; @_ZN7rocprim17ROCPRIM_400000_NS6detail17trampoline_kernelINS0_14default_configENS1_27scan_by_key_config_selectorIiiEEZZNS1_16scan_by_key_implILNS1_25lookback_scan_determinismE0ELb0ES3_N6thrust23THRUST_200600_302600_NS6detail15normal_iteratorINS9_10device_ptrIiEEEESE_SE_iNS9_4plusIvEENS9_8equal_toIiEEiEE10hipError_tPvRmT2_T3_T4_T5_mT6_T7_P12ihipStream_tbENKUlT_T0_E_clISt17integral_constantIbLb1EESZ_EEDaSU_SV_EUlSU_E_NS1_11comp_targetILNS1_3genE10ELNS1_11target_archE1200ELNS1_3gpuE4ELNS1_3repE0EEENS1_30default_config_static_selectorELNS0_4arch9wavefront6targetE1EEEvT1_
; %bb.0:
	.section	.rodata,"a",@progbits
	.p2align	6, 0x0
	.amdhsa_kernel _ZN7rocprim17ROCPRIM_400000_NS6detail17trampoline_kernelINS0_14default_configENS1_27scan_by_key_config_selectorIiiEEZZNS1_16scan_by_key_implILNS1_25lookback_scan_determinismE0ELb0ES3_N6thrust23THRUST_200600_302600_NS6detail15normal_iteratorINS9_10device_ptrIiEEEESE_SE_iNS9_4plusIvEENS9_8equal_toIiEEiEE10hipError_tPvRmT2_T3_T4_T5_mT6_T7_P12ihipStream_tbENKUlT_T0_E_clISt17integral_constantIbLb1EESZ_EEDaSU_SV_EUlSU_E_NS1_11comp_targetILNS1_3genE10ELNS1_11target_archE1200ELNS1_3gpuE4ELNS1_3repE0EEENS1_30default_config_static_selectorELNS0_4arch9wavefront6targetE1EEEvT1_
		.amdhsa_group_segment_fixed_size 0
		.amdhsa_private_segment_fixed_size 0
		.amdhsa_kernarg_size 112
		.amdhsa_user_sgpr_count 6
		.amdhsa_user_sgpr_private_segment_buffer 1
		.amdhsa_user_sgpr_dispatch_ptr 0
		.amdhsa_user_sgpr_queue_ptr 0
		.amdhsa_user_sgpr_kernarg_segment_ptr 1
		.amdhsa_user_sgpr_dispatch_id 0
		.amdhsa_user_sgpr_flat_scratch_init 0
		.amdhsa_user_sgpr_kernarg_preload_length 0
		.amdhsa_user_sgpr_kernarg_preload_offset 0
		.amdhsa_user_sgpr_private_segment_size 0
		.amdhsa_uses_dynamic_stack 0
		.amdhsa_system_sgpr_private_segment_wavefront_offset 0
		.amdhsa_system_sgpr_workgroup_id_x 1
		.amdhsa_system_sgpr_workgroup_id_y 0
		.amdhsa_system_sgpr_workgroup_id_z 0
		.amdhsa_system_sgpr_workgroup_info 0
		.amdhsa_system_vgpr_workitem_id 0
		.amdhsa_next_free_vgpr 1
		.amdhsa_next_free_sgpr 0
		.amdhsa_accum_offset 4
		.amdhsa_reserve_vcc 0
		.amdhsa_reserve_flat_scratch 0
		.amdhsa_float_round_mode_32 0
		.amdhsa_float_round_mode_16_64 0
		.amdhsa_float_denorm_mode_32 3
		.amdhsa_float_denorm_mode_16_64 3
		.amdhsa_dx10_clamp 1
		.amdhsa_ieee_mode 1
		.amdhsa_fp16_overflow 0
		.amdhsa_tg_split 0
		.amdhsa_exception_fp_ieee_invalid_op 0
		.amdhsa_exception_fp_denorm_src 0
		.amdhsa_exception_fp_ieee_div_zero 0
		.amdhsa_exception_fp_ieee_overflow 0
		.amdhsa_exception_fp_ieee_underflow 0
		.amdhsa_exception_fp_ieee_inexact 0
		.amdhsa_exception_int_div_zero 0
	.end_amdhsa_kernel
	.section	.text._ZN7rocprim17ROCPRIM_400000_NS6detail17trampoline_kernelINS0_14default_configENS1_27scan_by_key_config_selectorIiiEEZZNS1_16scan_by_key_implILNS1_25lookback_scan_determinismE0ELb0ES3_N6thrust23THRUST_200600_302600_NS6detail15normal_iteratorINS9_10device_ptrIiEEEESE_SE_iNS9_4plusIvEENS9_8equal_toIiEEiEE10hipError_tPvRmT2_T3_T4_T5_mT6_T7_P12ihipStream_tbENKUlT_T0_E_clISt17integral_constantIbLb1EESZ_EEDaSU_SV_EUlSU_E_NS1_11comp_targetILNS1_3genE10ELNS1_11target_archE1200ELNS1_3gpuE4ELNS1_3repE0EEENS1_30default_config_static_selectorELNS0_4arch9wavefront6targetE1EEEvT1_,"axG",@progbits,_ZN7rocprim17ROCPRIM_400000_NS6detail17trampoline_kernelINS0_14default_configENS1_27scan_by_key_config_selectorIiiEEZZNS1_16scan_by_key_implILNS1_25lookback_scan_determinismE0ELb0ES3_N6thrust23THRUST_200600_302600_NS6detail15normal_iteratorINS9_10device_ptrIiEEEESE_SE_iNS9_4plusIvEENS9_8equal_toIiEEiEE10hipError_tPvRmT2_T3_T4_T5_mT6_T7_P12ihipStream_tbENKUlT_T0_E_clISt17integral_constantIbLb1EESZ_EEDaSU_SV_EUlSU_E_NS1_11comp_targetILNS1_3genE10ELNS1_11target_archE1200ELNS1_3gpuE4ELNS1_3repE0EEENS1_30default_config_static_selectorELNS0_4arch9wavefront6targetE1EEEvT1_,comdat
.Lfunc_end215:
	.size	_ZN7rocprim17ROCPRIM_400000_NS6detail17trampoline_kernelINS0_14default_configENS1_27scan_by_key_config_selectorIiiEEZZNS1_16scan_by_key_implILNS1_25lookback_scan_determinismE0ELb0ES3_N6thrust23THRUST_200600_302600_NS6detail15normal_iteratorINS9_10device_ptrIiEEEESE_SE_iNS9_4plusIvEENS9_8equal_toIiEEiEE10hipError_tPvRmT2_T3_T4_T5_mT6_T7_P12ihipStream_tbENKUlT_T0_E_clISt17integral_constantIbLb1EESZ_EEDaSU_SV_EUlSU_E_NS1_11comp_targetILNS1_3genE10ELNS1_11target_archE1200ELNS1_3gpuE4ELNS1_3repE0EEENS1_30default_config_static_selectorELNS0_4arch9wavefront6targetE1EEEvT1_, .Lfunc_end215-_ZN7rocprim17ROCPRIM_400000_NS6detail17trampoline_kernelINS0_14default_configENS1_27scan_by_key_config_selectorIiiEEZZNS1_16scan_by_key_implILNS1_25lookback_scan_determinismE0ELb0ES3_N6thrust23THRUST_200600_302600_NS6detail15normal_iteratorINS9_10device_ptrIiEEEESE_SE_iNS9_4plusIvEENS9_8equal_toIiEEiEE10hipError_tPvRmT2_T3_T4_T5_mT6_T7_P12ihipStream_tbENKUlT_T0_E_clISt17integral_constantIbLb1EESZ_EEDaSU_SV_EUlSU_E_NS1_11comp_targetILNS1_3genE10ELNS1_11target_archE1200ELNS1_3gpuE4ELNS1_3repE0EEENS1_30default_config_static_selectorELNS0_4arch9wavefront6targetE1EEEvT1_
                                        ; -- End function
	.section	.AMDGPU.csdata,"",@progbits
; Kernel info:
; codeLenInByte = 0
; NumSgprs: 4
; NumVgprs: 0
; NumAgprs: 0
; TotalNumVgprs: 0
; ScratchSize: 0
; MemoryBound: 0
; FloatMode: 240
; IeeeMode: 1
; LDSByteSize: 0 bytes/workgroup (compile time only)
; SGPRBlocks: 0
; VGPRBlocks: 0
; NumSGPRsForWavesPerEU: 4
; NumVGPRsForWavesPerEU: 1
; AccumOffset: 4
; Occupancy: 8
; WaveLimiterHint : 0
; COMPUTE_PGM_RSRC2:SCRATCH_EN: 0
; COMPUTE_PGM_RSRC2:USER_SGPR: 6
; COMPUTE_PGM_RSRC2:TRAP_HANDLER: 0
; COMPUTE_PGM_RSRC2:TGID_X_EN: 1
; COMPUTE_PGM_RSRC2:TGID_Y_EN: 0
; COMPUTE_PGM_RSRC2:TGID_Z_EN: 0
; COMPUTE_PGM_RSRC2:TIDIG_COMP_CNT: 0
; COMPUTE_PGM_RSRC3_GFX90A:ACCUM_OFFSET: 0
; COMPUTE_PGM_RSRC3_GFX90A:TG_SPLIT: 0
	.section	.text._ZN7rocprim17ROCPRIM_400000_NS6detail17trampoline_kernelINS0_14default_configENS1_27scan_by_key_config_selectorIiiEEZZNS1_16scan_by_key_implILNS1_25lookback_scan_determinismE0ELb0ES3_N6thrust23THRUST_200600_302600_NS6detail15normal_iteratorINS9_10device_ptrIiEEEESE_SE_iNS9_4plusIvEENS9_8equal_toIiEEiEE10hipError_tPvRmT2_T3_T4_T5_mT6_T7_P12ihipStream_tbENKUlT_T0_E_clISt17integral_constantIbLb1EESZ_EEDaSU_SV_EUlSU_E_NS1_11comp_targetILNS1_3genE9ELNS1_11target_archE1100ELNS1_3gpuE3ELNS1_3repE0EEENS1_30default_config_static_selectorELNS0_4arch9wavefront6targetE1EEEvT1_,"axG",@progbits,_ZN7rocprim17ROCPRIM_400000_NS6detail17trampoline_kernelINS0_14default_configENS1_27scan_by_key_config_selectorIiiEEZZNS1_16scan_by_key_implILNS1_25lookback_scan_determinismE0ELb0ES3_N6thrust23THRUST_200600_302600_NS6detail15normal_iteratorINS9_10device_ptrIiEEEESE_SE_iNS9_4plusIvEENS9_8equal_toIiEEiEE10hipError_tPvRmT2_T3_T4_T5_mT6_T7_P12ihipStream_tbENKUlT_T0_E_clISt17integral_constantIbLb1EESZ_EEDaSU_SV_EUlSU_E_NS1_11comp_targetILNS1_3genE9ELNS1_11target_archE1100ELNS1_3gpuE3ELNS1_3repE0EEENS1_30default_config_static_selectorELNS0_4arch9wavefront6targetE1EEEvT1_,comdat
	.protected	_ZN7rocprim17ROCPRIM_400000_NS6detail17trampoline_kernelINS0_14default_configENS1_27scan_by_key_config_selectorIiiEEZZNS1_16scan_by_key_implILNS1_25lookback_scan_determinismE0ELb0ES3_N6thrust23THRUST_200600_302600_NS6detail15normal_iteratorINS9_10device_ptrIiEEEESE_SE_iNS9_4plusIvEENS9_8equal_toIiEEiEE10hipError_tPvRmT2_T3_T4_T5_mT6_T7_P12ihipStream_tbENKUlT_T0_E_clISt17integral_constantIbLb1EESZ_EEDaSU_SV_EUlSU_E_NS1_11comp_targetILNS1_3genE9ELNS1_11target_archE1100ELNS1_3gpuE3ELNS1_3repE0EEENS1_30default_config_static_selectorELNS0_4arch9wavefront6targetE1EEEvT1_ ; -- Begin function _ZN7rocprim17ROCPRIM_400000_NS6detail17trampoline_kernelINS0_14default_configENS1_27scan_by_key_config_selectorIiiEEZZNS1_16scan_by_key_implILNS1_25lookback_scan_determinismE0ELb0ES3_N6thrust23THRUST_200600_302600_NS6detail15normal_iteratorINS9_10device_ptrIiEEEESE_SE_iNS9_4plusIvEENS9_8equal_toIiEEiEE10hipError_tPvRmT2_T3_T4_T5_mT6_T7_P12ihipStream_tbENKUlT_T0_E_clISt17integral_constantIbLb1EESZ_EEDaSU_SV_EUlSU_E_NS1_11comp_targetILNS1_3genE9ELNS1_11target_archE1100ELNS1_3gpuE3ELNS1_3repE0EEENS1_30default_config_static_selectorELNS0_4arch9wavefront6targetE1EEEvT1_
	.globl	_ZN7rocprim17ROCPRIM_400000_NS6detail17trampoline_kernelINS0_14default_configENS1_27scan_by_key_config_selectorIiiEEZZNS1_16scan_by_key_implILNS1_25lookback_scan_determinismE0ELb0ES3_N6thrust23THRUST_200600_302600_NS6detail15normal_iteratorINS9_10device_ptrIiEEEESE_SE_iNS9_4plusIvEENS9_8equal_toIiEEiEE10hipError_tPvRmT2_T3_T4_T5_mT6_T7_P12ihipStream_tbENKUlT_T0_E_clISt17integral_constantIbLb1EESZ_EEDaSU_SV_EUlSU_E_NS1_11comp_targetILNS1_3genE9ELNS1_11target_archE1100ELNS1_3gpuE3ELNS1_3repE0EEENS1_30default_config_static_selectorELNS0_4arch9wavefront6targetE1EEEvT1_
	.p2align	8
	.type	_ZN7rocprim17ROCPRIM_400000_NS6detail17trampoline_kernelINS0_14default_configENS1_27scan_by_key_config_selectorIiiEEZZNS1_16scan_by_key_implILNS1_25lookback_scan_determinismE0ELb0ES3_N6thrust23THRUST_200600_302600_NS6detail15normal_iteratorINS9_10device_ptrIiEEEESE_SE_iNS9_4plusIvEENS9_8equal_toIiEEiEE10hipError_tPvRmT2_T3_T4_T5_mT6_T7_P12ihipStream_tbENKUlT_T0_E_clISt17integral_constantIbLb1EESZ_EEDaSU_SV_EUlSU_E_NS1_11comp_targetILNS1_3genE9ELNS1_11target_archE1100ELNS1_3gpuE3ELNS1_3repE0EEENS1_30default_config_static_selectorELNS0_4arch9wavefront6targetE1EEEvT1_,@function
_ZN7rocprim17ROCPRIM_400000_NS6detail17trampoline_kernelINS0_14default_configENS1_27scan_by_key_config_selectorIiiEEZZNS1_16scan_by_key_implILNS1_25lookback_scan_determinismE0ELb0ES3_N6thrust23THRUST_200600_302600_NS6detail15normal_iteratorINS9_10device_ptrIiEEEESE_SE_iNS9_4plusIvEENS9_8equal_toIiEEiEE10hipError_tPvRmT2_T3_T4_T5_mT6_T7_P12ihipStream_tbENKUlT_T0_E_clISt17integral_constantIbLb1EESZ_EEDaSU_SV_EUlSU_E_NS1_11comp_targetILNS1_3genE9ELNS1_11target_archE1100ELNS1_3gpuE3ELNS1_3repE0EEENS1_30default_config_static_selectorELNS0_4arch9wavefront6targetE1EEEvT1_: ; @_ZN7rocprim17ROCPRIM_400000_NS6detail17trampoline_kernelINS0_14default_configENS1_27scan_by_key_config_selectorIiiEEZZNS1_16scan_by_key_implILNS1_25lookback_scan_determinismE0ELb0ES3_N6thrust23THRUST_200600_302600_NS6detail15normal_iteratorINS9_10device_ptrIiEEEESE_SE_iNS9_4plusIvEENS9_8equal_toIiEEiEE10hipError_tPvRmT2_T3_T4_T5_mT6_T7_P12ihipStream_tbENKUlT_T0_E_clISt17integral_constantIbLb1EESZ_EEDaSU_SV_EUlSU_E_NS1_11comp_targetILNS1_3genE9ELNS1_11target_archE1100ELNS1_3gpuE3ELNS1_3repE0EEENS1_30default_config_static_selectorELNS0_4arch9wavefront6targetE1EEEvT1_
; %bb.0:
	.section	.rodata,"a",@progbits
	.p2align	6, 0x0
	.amdhsa_kernel _ZN7rocprim17ROCPRIM_400000_NS6detail17trampoline_kernelINS0_14default_configENS1_27scan_by_key_config_selectorIiiEEZZNS1_16scan_by_key_implILNS1_25lookback_scan_determinismE0ELb0ES3_N6thrust23THRUST_200600_302600_NS6detail15normal_iteratorINS9_10device_ptrIiEEEESE_SE_iNS9_4plusIvEENS9_8equal_toIiEEiEE10hipError_tPvRmT2_T3_T4_T5_mT6_T7_P12ihipStream_tbENKUlT_T0_E_clISt17integral_constantIbLb1EESZ_EEDaSU_SV_EUlSU_E_NS1_11comp_targetILNS1_3genE9ELNS1_11target_archE1100ELNS1_3gpuE3ELNS1_3repE0EEENS1_30default_config_static_selectorELNS0_4arch9wavefront6targetE1EEEvT1_
		.amdhsa_group_segment_fixed_size 0
		.amdhsa_private_segment_fixed_size 0
		.amdhsa_kernarg_size 112
		.amdhsa_user_sgpr_count 6
		.amdhsa_user_sgpr_private_segment_buffer 1
		.amdhsa_user_sgpr_dispatch_ptr 0
		.amdhsa_user_sgpr_queue_ptr 0
		.amdhsa_user_sgpr_kernarg_segment_ptr 1
		.amdhsa_user_sgpr_dispatch_id 0
		.amdhsa_user_sgpr_flat_scratch_init 0
		.amdhsa_user_sgpr_kernarg_preload_length 0
		.amdhsa_user_sgpr_kernarg_preload_offset 0
		.amdhsa_user_sgpr_private_segment_size 0
		.amdhsa_uses_dynamic_stack 0
		.amdhsa_system_sgpr_private_segment_wavefront_offset 0
		.amdhsa_system_sgpr_workgroup_id_x 1
		.amdhsa_system_sgpr_workgroup_id_y 0
		.amdhsa_system_sgpr_workgroup_id_z 0
		.amdhsa_system_sgpr_workgroup_info 0
		.amdhsa_system_vgpr_workitem_id 0
		.amdhsa_next_free_vgpr 1
		.amdhsa_next_free_sgpr 0
		.amdhsa_accum_offset 4
		.amdhsa_reserve_vcc 0
		.amdhsa_reserve_flat_scratch 0
		.amdhsa_float_round_mode_32 0
		.amdhsa_float_round_mode_16_64 0
		.amdhsa_float_denorm_mode_32 3
		.amdhsa_float_denorm_mode_16_64 3
		.amdhsa_dx10_clamp 1
		.amdhsa_ieee_mode 1
		.amdhsa_fp16_overflow 0
		.amdhsa_tg_split 0
		.amdhsa_exception_fp_ieee_invalid_op 0
		.amdhsa_exception_fp_denorm_src 0
		.amdhsa_exception_fp_ieee_div_zero 0
		.amdhsa_exception_fp_ieee_overflow 0
		.amdhsa_exception_fp_ieee_underflow 0
		.amdhsa_exception_fp_ieee_inexact 0
		.amdhsa_exception_int_div_zero 0
	.end_amdhsa_kernel
	.section	.text._ZN7rocprim17ROCPRIM_400000_NS6detail17trampoline_kernelINS0_14default_configENS1_27scan_by_key_config_selectorIiiEEZZNS1_16scan_by_key_implILNS1_25lookback_scan_determinismE0ELb0ES3_N6thrust23THRUST_200600_302600_NS6detail15normal_iteratorINS9_10device_ptrIiEEEESE_SE_iNS9_4plusIvEENS9_8equal_toIiEEiEE10hipError_tPvRmT2_T3_T4_T5_mT6_T7_P12ihipStream_tbENKUlT_T0_E_clISt17integral_constantIbLb1EESZ_EEDaSU_SV_EUlSU_E_NS1_11comp_targetILNS1_3genE9ELNS1_11target_archE1100ELNS1_3gpuE3ELNS1_3repE0EEENS1_30default_config_static_selectorELNS0_4arch9wavefront6targetE1EEEvT1_,"axG",@progbits,_ZN7rocprim17ROCPRIM_400000_NS6detail17trampoline_kernelINS0_14default_configENS1_27scan_by_key_config_selectorIiiEEZZNS1_16scan_by_key_implILNS1_25lookback_scan_determinismE0ELb0ES3_N6thrust23THRUST_200600_302600_NS6detail15normal_iteratorINS9_10device_ptrIiEEEESE_SE_iNS9_4plusIvEENS9_8equal_toIiEEiEE10hipError_tPvRmT2_T3_T4_T5_mT6_T7_P12ihipStream_tbENKUlT_T0_E_clISt17integral_constantIbLb1EESZ_EEDaSU_SV_EUlSU_E_NS1_11comp_targetILNS1_3genE9ELNS1_11target_archE1100ELNS1_3gpuE3ELNS1_3repE0EEENS1_30default_config_static_selectorELNS0_4arch9wavefront6targetE1EEEvT1_,comdat
.Lfunc_end216:
	.size	_ZN7rocprim17ROCPRIM_400000_NS6detail17trampoline_kernelINS0_14default_configENS1_27scan_by_key_config_selectorIiiEEZZNS1_16scan_by_key_implILNS1_25lookback_scan_determinismE0ELb0ES3_N6thrust23THRUST_200600_302600_NS6detail15normal_iteratorINS9_10device_ptrIiEEEESE_SE_iNS9_4plusIvEENS9_8equal_toIiEEiEE10hipError_tPvRmT2_T3_T4_T5_mT6_T7_P12ihipStream_tbENKUlT_T0_E_clISt17integral_constantIbLb1EESZ_EEDaSU_SV_EUlSU_E_NS1_11comp_targetILNS1_3genE9ELNS1_11target_archE1100ELNS1_3gpuE3ELNS1_3repE0EEENS1_30default_config_static_selectorELNS0_4arch9wavefront6targetE1EEEvT1_, .Lfunc_end216-_ZN7rocprim17ROCPRIM_400000_NS6detail17trampoline_kernelINS0_14default_configENS1_27scan_by_key_config_selectorIiiEEZZNS1_16scan_by_key_implILNS1_25lookback_scan_determinismE0ELb0ES3_N6thrust23THRUST_200600_302600_NS6detail15normal_iteratorINS9_10device_ptrIiEEEESE_SE_iNS9_4plusIvEENS9_8equal_toIiEEiEE10hipError_tPvRmT2_T3_T4_T5_mT6_T7_P12ihipStream_tbENKUlT_T0_E_clISt17integral_constantIbLb1EESZ_EEDaSU_SV_EUlSU_E_NS1_11comp_targetILNS1_3genE9ELNS1_11target_archE1100ELNS1_3gpuE3ELNS1_3repE0EEENS1_30default_config_static_selectorELNS0_4arch9wavefront6targetE1EEEvT1_
                                        ; -- End function
	.section	.AMDGPU.csdata,"",@progbits
; Kernel info:
; codeLenInByte = 0
; NumSgprs: 4
; NumVgprs: 0
; NumAgprs: 0
; TotalNumVgprs: 0
; ScratchSize: 0
; MemoryBound: 0
; FloatMode: 240
; IeeeMode: 1
; LDSByteSize: 0 bytes/workgroup (compile time only)
; SGPRBlocks: 0
; VGPRBlocks: 0
; NumSGPRsForWavesPerEU: 4
; NumVGPRsForWavesPerEU: 1
; AccumOffset: 4
; Occupancy: 8
; WaveLimiterHint : 0
; COMPUTE_PGM_RSRC2:SCRATCH_EN: 0
; COMPUTE_PGM_RSRC2:USER_SGPR: 6
; COMPUTE_PGM_RSRC2:TRAP_HANDLER: 0
; COMPUTE_PGM_RSRC2:TGID_X_EN: 1
; COMPUTE_PGM_RSRC2:TGID_Y_EN: 0
; COMPUTE_PGM_RSRC2:TGID_Z_EN: 0
; COMPUTE_PGM_RSRC2:TIDIG_COMP_CNT: 0
; COMPUTE_PGM_RSRC3_GFX90A:ACCUM_OFFSET: 0
; COMPUTE_PGM_RSRC3_GFX90A:TG_SPLIT: 0
	.section	.text._ZN7rocprim17ROCPRIM_400000_NS6detail17trampoline_kernelINS0_14default_configENS1_27scan_by_key_config_selectorIiiEEZZNS1_16scan_by_key_implILNS1_25lookback_scan_determinismE0ELb0ES3_N6thrust23THRUST_200600_302600_NS6detail15normal_iteratorINS9_10device_ptrIiEEEESE_SE_iNS9_4plusIvEENS9_8equal_toIiEEiEE10hipError_tPvRmT2_T3_T4_T5_mT6_T7_P12ihipStream_tbENKUlT_T0_E_clISt17integral_constantIbLb1EESZ_EEDaSU_SV_EUlSU_E_NS1_11comp_targetILNS1_3genE8ELNS1_11target_archE1030ELNS1_3gpuE2ELNS1_3repE0EEENS1_30default_config_static_selectorELNS0_4arch9wavefront6targetE1EEEvT1_,"axG",@progbits,_ZN7rocprim17ROCPRIM_400000_NS6detail17trampoline_kernelINS0_14default_configENS1_27scan_by_key_config_selectorIiiEEZZNS1_16scan_by_key_implILNS1_25lookback_scan_determinismE0ELb0ES3_N6thrust23THRUST_200600_302600_NS6detail15normal_iteratorINS9_10device_ptrIiEEEESE_SE_iNS9_4plusIvEENS9_8equal_toIiEEiEE10hipError_tPvRmT2_T3_T4_T5_mT6_T7_P12ihipStream_tbENKUlT_T0_E_clISt17integral_constantIbLb1EESZ_EEDaSU_SV_EUlSU_E_NS1_11comp_targetILNS1_3genE8ELNS1_11target_archE1030ELNS1_3gpuE2ELNS1_3repE0EEENS1_30default_config_static_selectorELNS0_4arch9wavefront6targetE1EEEvT1_,comdat
	.protected	_ZN7rocprim17ROCPRIM_400000_NS6detail17trampoline_kernelINS0_14default_configENS1_27scan_by_key_config_selectorIiiEEZZNS1_16scan_by_key_implILNS1_25lookback_scan_determinismE0ELb0ES3_N6thrust23THRUST_200600_302600_NS6detail15normal_iteratorINS9_10device_ptrIiEEEESE_SE_iNS9_4plusIvEENS9_8equal_toIiEEiEE10hipError_tPvRmT2_T3_T4_T5_mT6_T7_P12ihipStream_tbENKUlT_T0_E_clISt17integral_constantIbLb1EESZ_EEDaSU_SV_EUlSU_E_NS1_11comp_targetILNS1_3genE8ELNS1_11target_archE1030ELNS1_3gpuE2ELNS1_3repE0EEENS1_30default_config_static_selectorELNS0_4arch9wavefront6targetE1EEEvT1_ ; -- Begin function _ZN7rocprim17ROCPRIM_400000_NS6detail17trampoline_kernelINS0_14default_configENS1_27scan_by_key_config_selectorIiiEEZZNS1_16scan_by_key_implILNS1_25lookback_scan_determinismE0ELb0ES3_N6thrust23THRUST_200600_302600_NS6detail15normal_iteratorINS9_10device_ptrIiEEEESE_SE_iNS9_4plusIvEENS9_8equal_toIiEEiEE10hipError_tPvRmT2_T3_T4_T5_mT6_T7_P12ihipStream_tbENKUlT_T0_E_clISt17integral_constantIbLb1EESZ_EEDaSU_SV_EUlSU_E_NS1_11comp_targetILNS1_3genE8ELNS1_11target_archE1030ELNS1_3gpuE2ELNS1_3repE0EEENS1_30default_config_static_selectorELNS0_4arch9wavefront6targetE1EEEvT1_
	.globl	_ZN7rocprim17ROCPRIM_400000_NS6detail17trampoline_kernelINS0_14default_configENS1_27scan_by_key_config_selectorIiiEEZZNS1_16scan_by_key_implILNS1_25lookback_scan_determinismE0ELb0ES3_N6thrust23THRUST_200600_302600_NS6detail15normal_iteratorINS9_10device_ptrIiEEEESE_SE_iNS9_4plusIvEENS9_8equal_toIiEEiEE10hipError_tPvRmT2_T3_T4_T5_mT6_T7_P12ihipStream_tbENKUlT_T0_E_clISt17integral_constantIbLb1EESZ_EEDaSU_SV_EUlSU_E_NS1_11comp_targetILNS1_3genE8ELNS1_11target_archE1030ELNS1_3gpuE2ELNS1_3repE0EEENS1_30default_config_static_selectorELNS0_4arch9wavefront6targetE1EEEvT1_
	.p2align	8
	.type	_ZN7rocprim17ROCPRIM_400000_NS6detail17trampoline_kernelINS0_14default_configENS1_27scan_by_key_config_selectorIiiEEZZNS1_16scan_by_key_implILNS1_25lookback_scan_determinismE0ELb0ES3_N6thrust23THRUST_200600_302600_NS6detail15normal_iteratorINS9_10device_ptrIiEEEESE_SE_iNS9_4plusIvEENS9_8equal_toIiEEiEE10hipError_tPvRmT2_T3_T4_T5_mT6_T7_P12ihipStream_tbENKUlT_T0_E_clISt17integral_constantIbLb1EESZ_EEDaSU_SV_EUlSU_E_NS1_11comp_targetILNS1_3genE8ELNS1_11target_archE1030ELNS1_3gpuE2ELNS1_3repE0EEENS1_30default_config_static_selectorELNS0_4arch9wavefront6targetE1EEEvT1_,@function
_ZN7rocprim17ROCPRIM_400000_NS6detail17trampoline_kernelINS0_14default_configENS1_27scan_by_key_config_selectorIiiEEZZNS1_16scan_by_key_implILNS1_25lookback_scan_determinismE0ELb0ES3_N6thrust23THRUST_200600_302600_NS6detail15normal_iteratorINS9_10device_ptrIiEEEESE_SE_iNS9_4plusIvEENS9_8equal_toIiEEiEE10hipError_tPvRmT2_T3_T4_T5_mT6_T7_P12ihipStream_tbENKUlT_T0_E_clISt17integral_constantIbLb1EESZ_EEDaSU_SV_EUlSU_E_NS1_11comp_targetILNS1_3genE8ELNS1_11target_archE1030ELNS1_3gpuE2ELNS1_3repE0EEENS1_30default_config_static_selectorELNS0_4arch9wavefront6targetE1EEEvT1_: ; @_ZN7rocprim17ROCPRIM_400000_NS6detail17trampoline_kernelINS0_14default_configENS1_27scan_by_key_config_selectorIiiEEZZNS1_16scan_by_key_implILNS1_25lookback_scan_determinismE0ELb0ES3_N6thrust23THRUST_200600_302600_NS6detail15normal_iteratorINS9_10device_ptrIiEEEESE_SE_iNS9_4plusIvEENS9_8equal_toIiEEiEE10hipError_tPvRmT2_T3_T4_T5_mT6_T7_P12ihipStream_tbENKUlT_T0_E_clISt17integral_constantIbLb1EESZ_EEDaSU_SV_EUlSU_E_NS1_11comp_targetILNS1_3genE8ELNS1_11target_archE1030ELNS1_3gpuE2ELNS1_3repE0EEENS1_30default_config_static_selectorELNS0_4arch9wavefront6targetE1EEEvT1_
; %bb.0:
	.section	.rodata,"a",@progbits
	.p2align	6, 0x0
	.amdhsa_kernel _ZN7rocprim17ROCPRIM_400000_NS6detail17trampoline_kernelINS0_14default_configENS1_27scan_by_key_config_selectorIiiEEZZNS1_16scan_by_key_implILNS1_25lookback_scan_determinismE0ELb0ES3_N6thrust23THRUST_200600_302600_NS6detail15normal_iteratorINS9_10device_ptrIiEEEESE_SE_iNS9_4plusIvEENS9_8equal_toIiEEiEE10hipError_tPvRmT2_T3_T4_T5_mT6_T7_P12ihipStream_tbENKUlT_T0_E_clISt17integral_constantIbLb1EESZ_EEDaSU_SV_EUlSU_E_NS1_11comp_targetILNS1_3genE8ELNS1_11target_archE1030ELNS1_3gpuE2ELNS1_3repE0EEENS1_30default_config_static_selectorELNS0_4arch9wavefront6targetE1EEEvT1_
		.amdhsa_group_segment_fixed_size 0
		.amdhsa_private_segment_fixed_size 0
		.amdhsa_kernarg_size 112
		.amdhsa_user_sgpr_count 6
		.amdhsa_user_sgpr_private_segment_buffer 1
		.amdhsa_user_sgpr_dispatch_ptr 0
		.amdhsa_user_sgpr_queue_ptr 0
		.amdhsa_user_sgpr_kernarg_segment_ptr 1
		.amdhsa_user_sgpr_dispatch_id 0
		.amdhsa_user_sgpr_flat_scratch_init 0
		.amdhsa_user_sgpr_kernarg_preload_length 0
		.amdhsa_user_sgpr_kernarg_preload_offset 0
		.amdhsa_user_sgpr_private_segment_size 0
		.amdhsa_uses_dynamic_stack 0
		.amdhsa_system_sgpr_private_segment_wavefront_offset 0
		.amdhsa_system_sgpr_workgroup_id_x 1
		.amdhsa_system_sgpr_workgroup_id_y 0
		.amdhsa_system_sgpr_workgroup_id_z 0
		.amdhsa_system_sgpr_workgroup_info 0
		.amdhsa_system_vgpr_workitem_id 0
		.amdhsa_next_free_vgpr 1
		.amdhsa_next_free_sgpr 0
		.amdhsa_accum_offset 4
		.amdhsa_reserve_vcc 0
		.amdhsa_reserve_flat_scratch 0
		.amdhsa_float_round_mode_32 0
		.amdhsa_float_round_mode_16_64 0
		.amdhsa_float_denorm_mode_32 3
		.amdhsa_float_denorm_mode_16_64 3
		.amdhsa_dx10_clamp 1
		.amdhsa_ieee_mode 1
		.amdhsa_fp16_overflow 0
		.amdhsa_tg_split 0
		.amdhsa_exception_fp_ieee_invalid_op 0
		.amdhsa_exception_fp_denorm_src 0
		.amdhsa_exception_fp_ieee_div_zero 0
		.amdhsa_exception_fp_ieee_overflow 0
		.amdhsa_exception_fp_ieee_underflow 0
		.amdhsa_exception_fp_ieee_inexact 0
		.amdhsa_exception_int_div_zero 0
	.end_amdhsa_kernel
	.section	.text._ZN7rocprim17ROCPRIM_400000_NS6detail17trampoline_kernelINS0_14default_configENS1_27scan_by_key_config_selectorIiiEEZZNS1_16scan_by_key_implILNS1_25lookback_scan_determinismE0ELb0ES3_N6thrust23THRUST_200600_302600_NS6detail15normal_iteratorINS9_10device_ptrIiEEEESE_SE_iNS9_4plusIvEENS9_8equal_toIiEEiEE10hipError_tPvRmT2_T3_T4_T5_mT6_T7_P12ihipStream_tbENKUlT_T0_E_clISt17integral_constantIbLb1EESZ_EEDaSU_SV_EUlSU_E_NS1_11comp_targetILNS1_3genE8ELNS1_11target_archE1030ELNS1_3gpuE2ELNS1_3repE0EEENS1_30default_config_static_selectorELNS0_4arch9wavefront6targetE1EEEvT1_,"axG",@progbits,_ZN7rocprim17ROCPRIM_400000_NS6detail17trampoline_kernelINS0_14default_configENS1_27scan_by_key_config_selectorIiiEEZZNS1_16scan_by_key_implILNS1_25lookback_scan_determinismE0ELb0ES3_N6thrust23THRUST_200600_302600_NS6detail15normal_iteratorINS9_10device_ptrIiEEEESE_SE_iNS9_4plusIvEENS9_8equal_toIiEEiEE10hipError_tPvRmT2_T3_T4_T5_mT6_T7_P12ihipStream_tbENKUlT_T0_E_clISt17integral_constantIbLb1EESZ_EEDaSU_SV_EUlSU_E_NS1_11comp_targetILNS1_3genE8ELNS1_11target_archE1030ELNS1_3gpuE2ELNS1_3repE0EEENS1_30default_config_static_selectorELNS0_4arch9wavefront6targetE1EEEvT1_,comdat
.Lfunc_end217:
	.size	_ZN7rocprim17ROCPRIM_400000_NS6detail17trampoline_kernelINS0_14default_configENS1_27scan_by_key_config_selectorIiiEEZZNS1_16scan_by_key_implILNS1_25lookback_scan_determinismE0ELb0ES3_N6thrust23THRUST_200600_302600_NS6detail15normal_iteratorINS9_10device_ptrIiEEEESE_SE_iNS9_4plusIvEENS9_8equal_toIiEEiEE10hipError_tPvRmT2_T3_T4_T5_mT6_T7_P12ihipStream_tbENKUlT_T0_E_clISt17integral_constantIbLb1EESZ_EEDaSU_SV_EUlSU_E_NS1_11comp_targetILNS1_3genE8ELNS1_11target_archE1030ELNS1_3gpuE2ELNS1_3repE0EEENS1_30default_config_static_selectorELNS0_4arch9wavefront6targetE1EEEvT1_, .Lfunc_end217-_ZN7rocprim17ROCPRIM_400000_NS6detail17trampoline_kernelINS0_14default_configENS1_27scan_by_key_config_selectorIiiEEZZNS1_16scan_by_key_implILNS1_25lookback_scan_determinismE0ELb0ES3_N6thrust23THRUST_200600_302600_NS6detail15normal_iteratorINS9_10device_ptrIiEEEESE_SE_iNS9_4plusIvEENS9_8equal_toIiEEiEE10hipError_tPvRmT2_T3_T4_T5_mT6_T7_P12ihipStream_tbENKUlT_T0_E_clISt17integral_constantIbLb1EESZ_EEDaSU_SV_EUlSU_E_NS1_11comp_targetILNS1_3genE8ELNS1_11target_archE1030ELNS1_3gpuE2ELNS1_3repE0EEENS1_30default_config_static_selectorELNS0_4arch9wavefront6targetE1EEEvT1_
                                        ; -- End function
	.section	.AMDGPU.csdata,"",@progbits
; Kernel info:
; codeLenInByte = 0
; NumSgprs: 4
; NumVgprs: 0
; NumAgprs: 0
; TotalNumVgprs: 0
; ScratchSize: 0
; MemoryBound: 0
; FloatMode: 240
; IeeeMode: 1
; LDSByteSize: 0 bytes/workgroup (compile time only)
; SGPRBlocks: 0
; VGPRBlocks: 0
; NumSGPRsForWavesPerEU: 4
; NumVGPRsForWavesPerEU: 1
; AccumOffset: 4
; Occupancy: 8
; WaveLimiterHint : 0
; COMPUTE_PGM_RSRC2:SCRATCH_EN: 0
; COMPUTE_PGM_RSRC2:USER_SGPR: 6
; COMPUTE_PGM_RSRC2:TRAP_HANDLER: 0
; COMPUTE_PGM_RSRC2:TGID_X_EN: 1
; COMPUTE_PGM_RSRC2:TGID_Y_EN: 0
; COMPUTE_PGM_RSRC2:TGID_Z_EN: 0
; COMPUTE_PGM_RSRC2:TIDIG_COMP_CNT: 0
; COMPUTE_PGM_RSRC3_GFX90A:ACCUM_OFFSET: 0
; COMPUTE_PGM_RSRC3_GFX90A:TG_SPLIT: 0
	.section	.text._ZN7rocprim17ROCPRIM_400000_NS6detail17trampoline_kernelINS0_14default_configENS1_27scan_by_key_config_selectorIiiEEZZNS1_16scan_by_key_implILNS1_25lookback_scan_determinismE0ELb0ES3_N6thrust23THRUST_200600_302600_NS6detail15normal_iteratorINS9_10device_ptrIiEEEESE_SE_iNS9_4plusIvEENS9_8equal_toIiEEiEE10hipError_tPvRmT2_T3_T4_T5_mT6_T7_P12ihipStream_tbENKUlT_T0_E_clISt17integral_constantIbLb1EESY_IbLb0EEEEDaSU_SV_EUlSU_E_NS1_11comp_targetILNS1_3genE0ELNS1_11target_archE4294967295ELNS1_3gpuE0ELNS1_3repE0EEENS1_30default_config_static_selectorELNS0_4arch9wavefront6targetE1EEEvT1_,"axG",@progbits,_ZN7rocprim17ROCPRIM_400000_NS6detail17trampoline_kernelINS0_14default_configENS1_27scan_by_key_config_selectorIiiEEZZNS1_16scan_by_key_implILNS1_25lookback_scan_determinismE0ELb0ES3_N6thrust23THRUST_200600_302600_NS6detail15normal_iteratorINS9_10device_ptrIiEEEESE_SE_iNS9_4plusIvEENS9_8equal_toIiEEiEE10hipError_tPvRmT2_T3_T4_T5_mT6_T7_P12ihipStream_tbENKUlT_T0_E_clISt17integral_constantIbLb1EESY_IbLb0EEEEDaSU_SV_EUlSU_E_NS1_11comp_targetILNS1_3genE0ELNS1_11target_archE4294967295ELNS1_3gpuE0ELNS1_3repE0EEENS1_30default_config_static_selectorELNS0_4arch9wavefront6targetE1EEEvT1_,comdat
	.protected	_ZN7rocprim17ROCPRIM_400000_NS6detail17trampoline_kernelINS0_14default_configENS1_27scan_by_key_config_selectorIiiEEZZNS1_16scan_by_key_implILNS1_25lookback_scan_determinismE0ELb0ES3_N6thrust23THRUST_200600_302600_NS6detail15normal_iteratorINS9_10device_ptrIiEEEESE_SE_iNS9_4plusIvEENS9_8equal_toIiEEiEE10hipError_tPvRmT2_T3_T4_T5_mT6_T7_P12ihipStream_tbENKUlT_T0_E_clISt17integral_constantIbLb1EESY_IbLb0EEEEDaSU_SV_EUlSU_E_NS1_11comp_targetILNS1_3genE0ELNS1_11target_archE4294967295ELNS1_3gpuE0ELNS1_3repE0EEENS1_30default_config_static_selectorELNS0_4arch9wavefront6targetE1EEEvT1_ ; -- Begin function _ZN7rocprim17ROCPRIM_400000_NS6detail17trampoline_kernelINS0_14default_configENS1_27scan_by_key_config_selectorIiiEEZZNS1_16scan_by_key_implILNS1_25lookback_scan_determinismE0ELb0ES3_N6thrust23THRUST_200600_302600_NS6detail15normal_iteratorINS9_10device_ptrIiEEEESE_SE_iNS9_4plusIvEENS9_8equal_toIiEEiEE10hipError_tPvRmT2_T3_T4_T5_mT6_T7_P12ihipStream_tbENKUlT_T0_E_clISt17integral_constantIbLb1EESY_IbLb0EEEEDaSU_SV_EUlSU_E_NS1_11comp_targetILNS1_3genE0ELNS1_11target_archE4294967295ELNS1_3gpuE0ELNS1_3repE0EEENS1_30default_config_static_selectorELNS0_4arch9wavefront6targetE1EEEvT1_
	.globl	_ZN7rocprim17ROCPRIM_400000_NS6detail17trampoline_kernelINS0_14default_configENS1_27scan_by_key_config_selectorIiiEEZZNS1_16scan_by_key_implILNS1_25lookback_scan_determinismE0ELb0ES3_N6thrust23THRUST_200600_302600_NS6detail15normal_iteratorINS9_10device_ptrIiEEEESE_SE_iNS9_4plusIvEENS9_8equal_toIiEEiEE10hipError_tPvRmT2_T3_T4_T5_mT6_T7_P12ihipStream_tbENKUlT_T0_E_clISt17integral_constantIbLb1EESY_IbLb0EEEEDaSU_SV_EUlSU_E_NS1_11comp_targetILNS1_3genE0ELNS1_11target_archE4294967295ELNS1_3gpuE0ELNS1_3repE0EEENS1_30default_config_static_selectorELNS0_4arch9wavefront6targetE1EEEvT1_
	.p2align	8
	.type	_ZN7rocprim17ROCPRIM_400000_NS6detail17trampoline_kernelINS0_14default_configENS1_27scan_by_key_config_selectorIiiEEZZNS1_16scan_by_key_implILNS1_25lookback_scan_determinismE0ELb0ES3_N6thrust23THRUST_200600_302600_NS6detail15normal_iteratorINS9_10device_ptrIiEEEESE_SE_iNS9_4plusIvEENS9_8equal_toIiEEiEE10hipError_tPvRmT2_T3_T4_T5_mT6_T7_P12ihipStream_tbENKUlT_T0_E_clISt17integral_constantIbLb1EESY_IbLb0EEEEDaSU_SV_EUlSU_E_NS1_11comp_targetILNS1_3genE0ELNS1_11target_archE4294967295ELNS1_3gpuE0ELNS1_3repE0EEENS1_30default_config_static_selectorELNS0_4arch9wavefront6targetE1EEEvT1_,@function
_ZN7rocprim17ROCPRIM_400000_NS6detail17trampoline_kernelINS0_14default_configENS1_27scan_by_key_config_selectorIiiEEZZNS1_16scan_by_key_implILNS1_25lookback_scan_determinismE0ELb0ES3_N6thrust23THRUST_200600_302600_NS6detail15normal_iteratorINS9_10device_ptrIiEEEESE_SE_iNS9_4plusIvEENS9_8equal_toIiEEiEE10hipError_tPvRmT2_T3_T4_T5_mT6_T7_P12ihipStream_tbENKUlT_T0_E_clISt17integral_constantIbLb1EESY_IbLb0EEEEDaSU_SV_EUlSU_E_NS1_11comp_targetILNS1_3genE0ELNS1_11target_archE4294967295ELNS1_3gpuE0ELNS1_3repE0EEENS1_30default_config_static_selectorELNS0_4arch9wavefront6targetE1EEEvT1_: ; @_ZN7rocprim17ROCPRIM_400000_NS6detail17trampoline_kernelINS0_14default_configENS1_27scan_by_key_config_selectorIiiEEZZNS1_16scan_by_key_implILNS1_25lookback_scan_determinismE0ELb0ES3_N6thrust23THRUST_200600_302600_NS6detail15normal_iteratorINS9_10device_ptrIiEEEESE_SE_iNS9_4plusIvEENS9_8equal_toIiEEiEE10hipError_tPvRmT2_T3_T4_T5_mT6_T7_P12ihipStream_tbENKUlT_T0_E_clISt17integral_constantIbLb1EESY_IbLb0EEEEDaSU_SV_EUlSU_E_NS1_11comp_targetILNS1_3genE0ELNS1_11target_archE4294967295ELNS1_3gpuE0ELNS1_3repE0EEENS1_30default_config_static_selectorELNS0_4arch9wavefront6targetE1EEEvT1_
; %bb.0:
	.section	.rodata,"a",@progbits
	.p2align	6, 0x0
	.amdhsa_kernel _ZN7rocprim17ROCPRIM_400000_NS6detail17trampoline_kernelINS0_14default_configENS1_27scan_by_key_config_selectorIiiEEZZNS1_16scan_by_key_implILNS1_25lookback_scan_determinismE0ELb0ES3_N6thrust23THRUST_200600_302600_NS6detail15normal_iteratorINS9_10device_ptrIiEEEESE_SE_iNS9_4plusIvEENS9_8equal_toIiEEiEE10hipError_tPvRmT2_T3_T4_T5_mT6_T7_P12ihipStream_tbENKUlT_T0_E_clISt17integral_constantIbLb1EESY_IbLb0EEEEDaSU_SV_EUlSU_E_NS1_11comp_targetILNS1_3genE0ELNS1_11target_archE4294967295ELNS1_3gpuE0ELNS1_3repE0EEENS1_30default_config_static_selectorELNS0_4arch9wavefront6targetE1EEEvT1_
		.amdhsa_group_segment_fixed_size 0
		.amdhsa_private_segment_fixed_size 0
		.amdhsa_kernarg_size 112
		.amdhsa_user_sgpr_count 6
		.amdhsa_user_sgpr_private_segment_buffer 1
		.amdhsa_user_sgpr_dispatch_ptr 0
		.amdhsa_user_sgpr_queue_ptr 0
		.amdhsa_user_sgpr_kernarg_segment_ptr 1
		.amdhsa_user_sgpr_dispatch_id 0
		.amdhsa_user_sgpr_flat_scratch_init 0
		.amdhsa_user_sgpr_kernarg_preload_length 0
		.amdhsa_user_sgpr_kernarg_preload_offset 0
		.amdhsa_user_sgpr_private_segment_size 0
		.amdhsa_uses_dynamic_stack 0
		.amdhsa_system_sgpr_private_segment_wavefront_offset 0
		.amdhsa_system_sgpr_workgroup_id_x 1
		.amdhsa_system_sgpr_workgroup_id_y 0
		.amdhsa_system_sgpr_workgroup_id_z 0
		.amdhsa_system_sgpr_workgroup_info 0
		.amdhsa_system_vgpr_workitem_id 0
		.amdhsa_next_free_vgpr 1
		.amdhsa_next_free_sgpr 0
		.amdhsa_accum_offset 4
		.amdhsa_reserve_vcc 0
		.amdhsa_reserve_flat_scratch 0
		.amdhsa_float_round_mode_32 0
		.amdhsa_float_round_mode_16_64 0
		.amdhsa_float_denorm_mode_32 3
		.amdhsa_float_denorm_mode_16_64 3
		.amdhsa_dx10_clamp 1
		.amdhsa_ieee_mode 1
		.amdhsa_fp16_overflow 0
		.amdhsa_tg_split 0
		.amdhsa_exception_fp_ieee_invalid_op 0
		.amdhsa_exception_fp_denorm_src 0
		.amdhsa_exception_fp_ieee_div_zero 0
		.amdhsa_exception_fp_ieee_overflow 0
		.amdhsa_exception_fp_ieee_underflow 0
		.amdhsa_exception_fp_ieee_inexact 0
		.amdhsa_exception_int_div_zero 0
	.end_amdhsa_kernel
	.section	.text._ZN7rocprim17ROCPRIM_400000_NS6detail17trampoline_kernelINS0_14default_configENS1_27scan_by_key_config_selectorIiiEEZZNS1_16scan_by_key_implILNS1_25lookback_scan_determinismE0ELb0ES3_N6thrust23THRUST_200600_302600_NS6detail15normal_iteratorINS9_10device_ptrIiEEEESE_SE_iNS9_4plusIvEENS9_8equal_toIiEEiEE10hipError_tPvRmT2_T3_T4_T5_mT6_T7_P12ihipStream_tbENKUlT_T0_E_clISt17integral_constantIbLb1EESY_IbLb0EEEEDaSU_SV_EUlSU_E_NS1_11comp_targetILNS1_3genE0ELNS1_11target_archE4294967295ELNS1_3gpuE0ELNS1_3repE0EEENS1_30default_config_static_selectorELNS0_4arch9wavefront6targetE1EEEvT1_,"axG",@progbits,_ZN7rocprim17ROCPRIM_400000_NS6detail17trampoline_kernelINS0_14default_configENS1_27scan_by_key_config_selectorIiiEEZZNS1_16scan_by_key_implILNS1_25lookback_scan_determinismE0ELb0ES3_N6thrust23THRUST_200600_302600_NS6detail15normal_iteratorINS9_10device_ptrIiEEEESE_SE_iNS9_4plusIvEENS9_8equal_toIiEEiEE10hipError_tPvRmT2_T3_T4_T5_mT6_T7_P12ihipStream_tbENKUlT_T0_E_clISt17integral_constantIbLb1EESY_IbLb0EEEEDaSU_SV_EUlSU_E_NS1_11comp_targetILNS1_3genE0ELNS1_11target_archE4294967295ELNS1_3gpuE0ELNS1_3repE0EEENS1_30default_config_static_selectorELNS0_4arch9wavefront6targetE1EEEvT1_,comdat
.Lfunc_end218:
	.size	_ZN7rocprim17ROCPRIM_400000_NS6detail17trampoline_kernelINS0_14default_configENS1_27scan_by_key_config_selectorIiiEEZZNS1_16scan_by_key_implILNS1_25lookback_scan_determinismE0ELb0ES3_N6thrust23THRUST_200600_302600_NS6detail15normal_iteratorINS9_10device_ptrIiEEEESE_SE_iNS9_4plusIvEENS9_8equal_toIiEEiEE10hipError_tPvRmT2_T3_T4_T5_mT6_T7_P12ihipStream_tbENKUlT_T0_E_clISt17integral_constantIbLb1EESY_IbLb0EEEEDaSU_SV_EUlSU_E_NS1_11comp_targetILNS1_3genE0ELNS1_11target_archE4294967295ELNS1_3gpuE0ELNS1_3repE0EEENS1_30default_config_static_selectorELNS0_4arch9wavefront6targetE1EEEvT1_, .Lfunc_end218-_ZN7rocprim17ROCPRIM_400000_NS6detail17trampoline_kernelINS0_14default_configENS1_27scan_by_key_config_selectorIiiEEZZNS1_16scan_by_key_implILNS1_25lookback_scan_determinismE0ELb0ES3_N6thrust23THRUST_200600_302600_NS6detail15normal_iteratorINS9_10device_ptrIiEEEESE_SE_iNS9_4plusIvEENS9_8equal_toIiEEiEE10hipError_tPvRmT2_T3_T4_T5_mT6_T7_P12ihipStream_tbENKUlT_T0_E_clISt17integral_constantIbLb1EESY_IbLb0EEEEDaSU_SV_EUlSU_E_NS1_11comp_targetILNS1_3genE0ELNS1_11target_archE4294967295ELNS1_3gpuE0ELNS1_3repE0EEENS1_30default_config_static_selectorELNS0_4arch9wavefront6targetE1EEEvT1_
                                        ; -- End function
	.section	.AMDGPU.csdata,"",@progbits
; Kernel info:
; codeLenInByte = 0
; NumSgprs: 4
; NumVgprs: 0
; NumAgprs: 0
; TotalNumVgprs: 0
; ScratchSize: 0
; MemoryBound: 0
; FloatMode: 240
; IeeeMode: 1
; LDSByteSize: 0 bytes/workgroup (compile time only)
; SGPRBlocks: 0
; VGPRBlocks: 0
; NumSGPRsForWavesPerEU: 4
; NumVGPRsForWavesPerEU: 1
; AccumOffset: 4
; Occupancy: 8
; WaveLimiterHint : 0
; COMPUTE_PGM_RSRC2:SCRATCH_EN: 0
; COMPUTE_PGM_RSRC2:USER_SGPR: 6
; COMPUTE_PGM_RSRC2:TRAP_HANDLER: 0
; COMPUTE_PGM_RSRC2:TGID_X_EN: 1
; COMPUTE_PGM_RSRC2:TGID_Y_EN: 0
; COMPUTE_PGM_RSRC2:TGID_Z_EN: 0
; COMPUTE_PGM_RSRC2:TIDIG_COMP_CNT: 0
; COMPUTE_PGM_RSRC3_GFX90A:ACCUM_OFFSET: 0
; COMPUTE_PGM_RSRC3_GFX90A:TG_SPLIT: 0
	.section	.text._ZN7rocprim17ROCPRIM_400000_NS6detail17trampoline_kernelINS0_14default_configENS1_27scan_by_key_config_selectorIiiEEZZNS1_16scan_by_key_implILNS1_25lookback_scan_determinismE0ELb0ES3_N6thrust23THRUST_200600_302600_NS6detail15normal_iteratorINS9_10device_ptrIiEEEESE_SE_iNS9_4plusIvEENS9_8equal_toIiEEiEE10hipError_tPvRmT2_T3_T4_T5_mT6_T7_P12ihipStream_tbENKUlT_T0_E_clISt17integral_constantIbLb1EESY_IbLb0EEEEDaSU_SV_EUlSU_E_NS1_11comp_targetILNS1_3genE10ELNS1_11target_archE1201ELNS1_3gpuE5ELNS1_3repE0EEENS1_30default_config_static_selectorELNS0_4arch9wavefront6targetE1EEEvT1_,"axG",@progbits,_ZN7rocprim17ROCPRIM_400000_NS6detail17trampoline_kernelINS0_14default_configENS1_27scan_by_key_config_selectorIiiEEZZNS1_16scan_by_key_implILNS1_25lookback_scan_determinismE0ELb0ES3_N6thrust23THRUST_200600_302600_NS6detail15normal_iteratorINS9_10device_ptrIiEEEESE_SE_iNS9_4plusIvEENS9_8equal_toIiEEiEE10hipError_tPvRmT2_T3_T4_T5_mT6_T7_P12ihipStream_tbENKUlT_T0_E_clISt17integral_constantIbLb1EESY_IbLb0EEEEDaSU_SV_EUlSU_E_NS1_11comp_targetILNS1_3genE10ELNS1_11target_archE1201ELNS1_3gpuE5ELNS1_3repE0EEENS1_30default_config_static_selectorELNS0_4arch9wavefront6targetE1EEEvT1_,comdat
	.protected	_ZN7rocprim17ROCPRIM_400000_NS6detail17trampoline_kernelINS0_14default_configENS1_27scan_by_key_config_selectorIiiEEZZNS1_16scan_by_key_implILNS1_25lookback_scan_determinismE0ELb0ES3_N6thrust23THRUST_200600_302600_NS6detail15normal_iteratorINS9_10device_ptrIiEEEESE_SE_iNS9_4plusIvEENS9_8equal_toIiEEiEE10hipError_tPvRmT2_T3_T4_T5_mT6_T7_P12ihipStream_tbENKUlT_T0_E_clISt17integral_constantIbLb1EESY_IbLb0EEEEDaSU_SV_EUlSU_E_NS1_11comp_targetILNS1_3genE10ELNS1_11target_archE1201ELNS1_3gpuE5ELNS1_3repE0EEENS1_30default_config_static_selectorELNS0_4arch9wavefront6targetE1EEEvT1_ ; -- Begin function _ZN7rocprim17ROCPRIM_400000_NS6detail17trampoline_kernelINS0_14default_configENS1_27scan_by_key_config_selectorIiiEEZZNS1_16scan_by_key_implILNS1_25lookback_scan_determinismE0ELb0ES3_N6thrust23THRUST_200600_302600_NS6detail15normal_iteratorINS9_10device_ptrIiEEEESE_SE_iNS9_4plusIvEENS9_8equal_toIiEEiEE10hipError_tPvRmT2_T3_T4_T5_mT6_T7_P12ihipStream_tbENKUlT_T0_E_clISt17integral_constantIbLb1EESY_IbLb0EEEEDaSU_SV_EUlSU_E_NS1_11comp_targetILNS1_3genE10ELNS1_11target_archE1201ELNS1_3gpuE5ELNS1_3repE0EEENS1_30default_config_static_selectorELNS0_4arch9wavefront6targetE1EEEvT1_
	.globl	_ZN7rocprim17ROCPRIM_400000_NS6detail17trampoline_kernelINS0_14default_configENS1_27scan_by_key_config_selectorIiiEEZZNS1_16scan_by_key_implILNS1_25lookback_scan_determinismE0ELb0ES3_N6thrust23THRUST_200600_302600_NS6detail15normal_iteratorINS9_10device_ptrIiEEEESE_SE_iNS9_4plusIvEENS9_8equal_toIiEEiEE10hipError_tPvRmT2_T3_T4_T5_mT6_T7_P12ihipStream_tbENKUlT_T0_E_clISt17integral_constantIbLb1EESY_IbLb0EEEEDaSU_SV_EUlSU_E_NS1_11comp_targetILNS1_3genE10ELNS1_11target_archE1201ELNS1_3gpuE5ELNS1_3repE0EEENS1_30default_config_static_selectorELNS0_4arch9wavefront6targetE1EEEvT1_
	.p2align	8
	.type	_ZN7rocprim17ROCPRIM_400000_NS6detail17trampoline_kernelINS0_14default_configENS1_27scan_by_key_config_selectorIiiEEZZNS1_16scan_by_key_implILNS1_25lookback_scan_determinismE0ELb0ES3_N6thrust23THRUST_200600_302600_NS6detail15normal_iteratorINS9_10device_ptrIiEEEESE_SE_iNS9_4plusIvEENS9_8equal_toIiEEiEE10hipError_tPvRmT2_T3_T4_T5_mT6_T7_P12ihipStream_tbENKUlT_T0_E_clISt17integral_constantIbLb1EESY_IbLb0EEEEDaSU_SV_EUlSU_E_NS1_11comp_targetILNS1_3genE10ELNS1_11target_archE1201ELNS1_3gpuE5ELNS1_3repE0EEENS1_30default_config_static_selectorELNS0_4arch9wavefront6targetE1EEEvT1_,@function
_ZN7rocprim17ROCPRIM_400000_NS6detail17trampoline_kernelINS0_14default_configENS1_27scan_by_key_config_selectorIiiEEZZNS1_16scan_by_key_implILNS1_25lookback_scan_determinismE0ELb0ES3_N6thrust23THRUST_200600_302600_NS6detail15normal_iteratorINS9_10device_ptrIiEEEESE_SE_iNS9_4plusIvEENS9_8equal_toIiEEiEE10hipError_tPvRmT2_T3_T4_T5_mT6_T7_P12ihipStream_tbENKUlT_T0_E_clISt17integral_constantIbLb1EESY_IbLb0EEEEDaSU_SV_EUlSU_E_NS1_11comp_targetILNS1_3genE10ELNS1_11target_archE1201ELNS1_3gpuE5ELNS1_3repE0EEENS1_30default_config_static_selectorELNS0_4arch9wavefront6targetE1EEEvT1_: ; @_ZN7rocprim17ROCPRIM_400000_NS6detail17trampoline_kernelINS0_14default_configENS1_27scan_by_key_config_selectorIiiEEZZNS1_16scan_by_key_implILNS1_25lookback_scan_determinismE0ELb0ES3_N6thrust23THRUST_200600_302600_NS6detail15normal_iteratorINS9_10device_ptrIiEEEESE_SE_iNS9_4plusIvEENS9_8equal_toIiEEiEE10hipError_tPvRmT2_T3_T4_T5_mT6_T7_P12ihipStream_tbENKUlT_T0_E_clISt17integral_constantIbLb1EESY_IbLb0EEEEDaSU_SV_EUlSU_E_NS1_11comp_targetILNS1_3genE10ELNS1_11target_archE1201ELNS1_3gpuE5ELNS1_3repE0EEENS1_30default_config_static_selectorELNS0_4arch9wavefront6targetE1EEEvT1_
; %bb.0:
	.section	.rodata,"a",@progbits
	.p2align	6, 0x0
	.amdhsa_kernel _ZN7rocprim17ROCPRIM_400000_NS6detail17trampoline_kernelINS0_14default_configENS1_27scan_by_key_config_selectorIiiEEZZNS1_16scan_by_key_implILNS1_25lookback_scan_determinismE0ELb0ES3_N6thrust23THRUST_200600_302600_NS6detail15normal_iteratorINS9_10device_ptrIiEEEESE_SE_iNS9_4plusIvEENS9_8equal_toIiEEiEE10hipError_tPvRmT2_T3_T4_T5_mT6_T7_P12ihipStream_tbENKUlT_T0_E_clISt17integral_constantIbLb1EESY_IbLb0EEEEDaSU_SV_EUlSU_E_NS1_11comp_targetILNS1_3genE10ELNS1_11target_archE1201ELNS1_3gpuE5ELNS1_3repE0EEENS1_30default_config_static_selectorELNS0_4arch9wavefront6targetE1EEEvT1_
		.amdhsa_group_segment_fixed_size 0
		.amdhsa_private_segment_fixed_size 0
		.amdhsa_kernarg_size 112
		.amdhsa_user_sgpr_count 6
		.amdhsa_user_sgpr_private_segment_buffer 1
		.amdhsa_user_sgpr_dispatch_ptr 0
		.amdhsa_user_sgpr_queue_ptr 0
		.amdhsa_user_sgpr_kernarg_segment_ptr 1
		.amdhsa_user_sgpr_dispatch_id 0
		.amdhsa_user_sgpr_flat_scratch_init 0
		.amdhsa_user_sgpr_kernarg_preload_length 0
		.amdhsa_user_sgpr_kernarg_preload_offset 0
		.amdhsa_user_sgpr_private_segment_size 0
		.amdhsa_uses_dynamic_stack 0
		.amdhsa_system_sgpr_private_segment_wavefront_offset 0
		.amdhsa_system_sgpr_workgroup_id_x 1
		.amdhsa_system_sgpr_workgroup_id_y 0
		.amdhsa_system_sgpr_workgroup_id_z 0
		.amdhsa_system_sgpr_workgroup_info 0
		.amdhsa_system_vgpr_workitem_id 0
		.amdhsa_next_free_vgpr 1
		.amdhsa_next_free_sgpr 0
		.amdhsa_accum_offset 4
		.amdhsa_reserve_vcc 0
		.amdhsa_reserve_flat_scratch 0
		.amdhsa_float_round_mode_32 0
		.amdhsa_float_round_mode_16_64 0
		.amdhsa_float_denorm_mode_32 3
		.amdhsa_float_denorm_mode_16_64 3
		.amdhsa_dx10_clamp 1
		.amdhsa_ieee_mode 1
		.amdhsa_fp16_overflow 0
		.amdhsa_tg_split 0
		.amdhsa_exception_fp_ieee_invalid_op 0
		.amdhsa_exception_fp_denorm_src 0
		.amdhsa_exception_fp_ieee_div_zero 0
		.amdhsa_exception_fp_ieee_overflow 0
		.amdhsa_exception_fp_ieee_underflow 0
		.amdhsa_exception_fp_ieee_inexact 0
		.amdhsa_exception_int_div_zero 0
	.end_amdhsa_kernel
	.section	.text._ZN7rocprim17ROCPRIM_400000_NS6detail17trampoline_kernelINS0_14default_configENS1_27scan_by_key_config_selectorIiiEEZZNS1_16scan_by_key_implILNS1_25lookback_scan_determinismE0ELb0ES3_N6thrust23THRUST_200600_302600_NS6detail15normal_iteratorINS9_10device_ptrIiEEEESE_SE_iNS9_4plusIvEENS9_8equal_toIiEEiEE10hipError_tPvRmT2_T3_T4_T5_mT6_T7_P12ihipStream_tbENKUlT_T0_E_clISt17integral_constantIbLb1EESY_IbLb0EEEEDaSU_SV_EUlSU_E_NS1_11comp_targetILNS1_3genE10ELNS1_11target_archE1201ELNS1_3gpuE5ELNS1_3repE0EEENS1_30default_config_static_selectorELNS0_4arch9wavefront6targetE1EEEvT1_,"axG",@progbits,_ZN7rocprim17ROCPRIM_400000_NS6detail17trampoline_kernelINS0_14default_configENS1_27scan_by_key_config_selectorIiiEEZZNS1_16scan_by_key_implILNS1_25lookback_scan_determinismE0ELb0ES3_N6thrust23THRUST_200600_302600_NS6detail15normal_iteratorINS9_10device_ptrIiEEEESE_SE_iNS9_4plusIvEENS9_8equal_toIiEEiEE10hipError_tPvRmT2_T3_T4_T5_mT6_T7_P12ihipStream_tbENKUlT_T0_E_clISt17integral_constantIbLb1EESY_IbLb0EEEEDaSU_SV_EUlSU_E_NS1_11comp_targetILNS1_3genE10ELNS1_11target_archE1201ELNS1_3gpuE5ELNS1_3repE0EEENS1_30default_config_static_selectorELNS0_4arch9wavefront6targetE1EEEvT1_,comdat
.Lfunc_end219:
	.size	_ZN7rocprim17ROCPRIM_400000_NS6detail17trampoline_kernelINS0_14default_configENS1_27scan_by_key_config_selectorIiiEEZZNS1_16scan_by_key_implILNS1_25lookback_scan_determinismE0ELb0ES3_N6thrust23THRUST_200600_302600_NS6detail15normal_iteratorINS9_10device_ptrIiEEEESE_SE_iNS9_4plusIvEENS9_8equal_toIiEEiEE10hipError_tPvRmT2_T3_T4_T5_mT6_T7_P12ihipStream_tbENKUlT_T0_E_clISt17integral_constantIbLb1EESY_IbLb0EEEEDaSU_SV_EUlSU_E_NS1_11comp_targetILNS1_3genE10ELNS1_11target_archE1201ELNS1_3gpuE5ELNS1_3repE0EEENS1_30default_config_static_selectorELNS0_4arch9wavefront6targetE1EEEvT1_, .Lfunc_end219-_ZN7rocprim17ROCPRIM_400000_NS6detail17trampoline_kernelINS0_14default_configENS1_27scan_by_key_config_selectorIiiEEZZNS1_16scan_by_key_implILNS1_25lookback_scan_determinismE0ELb0ES3_N6thrust23THRUST_200600_302600_NS6detail15normal_iteratorINS9_10device_ptrIiEEEESE_SE_iNS9_4plusIvEENS9_8equal_toIiEEiEE10hipError_tPvRmT2_T3_T4_T5_mT6_T7_P12ihipStream_tbENKUlT_T0_E_clISt17integral_constantIbLb1EESY_IbLb0EEEEDaSU_SV_EUlSU_E_NS1_11comp_targetILNS1_3genE10ELNS1_11target_archE1201ELNS1_3gpuE5ELNS1_3repE0EEENS1_30default_config_static_selectorELNS0_4arch9wavefront6targetE1EEEvT1_
                                        ; -- End function
	.section	.AMDGPU.csdata,"",@progbits
; Kernel info:
; codeLenInByte = 0
; NumSgprs: 4
; NumVgprs: 0
; NumAgprs: 0
; TotalNumVgprs: 0
; ScratchSize: 0
; MemoryBound: 0
; FloatMode: 240
; IeeeMode: 1
; LDSByteSize: 0 bytes/workgroup (compile time only)
; SGPRBlocks: 0
; VGPRBlocks: 0
; NumSGPRsForWavesPerEU: 4
; NumVGPRsForWavesPerEU: 1
; AccumOffset: 4
; Occupancy: 8
; WaveLimiterHint : 0
; COMPUTE_PGM_RSRC2:SCRATCH_EN: 0
; COMPUTE_PGM_RSRC2:USER_SGPR: 6
; COMPUTE_PGM_RSRC2:TRAP_HANDLER: 0
; COMPUTE_PGM_RSRC2:TGID_X_EN: 1
; COMPUTE_PGM_RSRC2:TGID_Y_EN: 0
; COMPUTE_PGM_RSRC2:TGID_Z_EN: 0
; COMPUTE_PGM_RSRC2:TIDIG_COMP_CNT: 0
; COMPUTE_PGM_RSRC3_GFX90A:ACCUM_OFFSET: 0
; COMPUTE_PGM_RSRC3_GFX90A:TG_SPLIT: 0
	.section	.text._ZN7rocprim17ROCPRIM_400000_NS6detail17trampoline_kernelINS0_14default_configENS1_27scan_by_key_config_selectorIiiEEZZNS1_16scan_by_key_implILNS1_25lookback_scan_determinismE0ELb0ES3_N6thrust23THRUST_200600_302600_NS6detail15normal_iteratorINS9_10device_ptrIiEEEESE_SE_iNS9_4plusIvEENS9_8equal_toIiEEiEE10hipError_tPvRmT2_T3_T4_T5_mT6_T7_P12ihipStream_tbENKUlT_T0_E_clISt17integral_constantIbLb1EESY_IbLb0EEEEDaSU_SV_EUlSU_E_NS1_11comp_targetILNS1_3genE5ELNS1_11target_archE942ELNS1_3gpuE9ELNS1_3repE0EEENS1_30default_config_static_selectorELNS0_4arch9wavefront6targetE1EEEvT1_,"axG",@progbits,_ZN7rocprim17ROCPRIM_400000_NS6detail17trampoline_kernelINS0_14default_configENS1_27scan_by_key_config_selectorIiiEEZZNS1_16scan_by_key_implILNS1_25lookback_scan_determinismE0ELb0ES3_N6thrust23THRUST_200600_302600_NS6detail15normal_iteratorINS9_10device_ptrIiEEEESE_SE_iNS9_4plusIvEENS9_8equal_toIiEEiEE10hipError_tPvRmT2_T3_T4_T5_mT6_T7_P12ihipStream_tbENKUlT_T0_E_clISt17integral_constantIbLb1EESY_IbLb0EEEEDaSU_SV_EUlSU_E_NS1_11comp_targetILNS1_3genE5ELNS1_11target_archE942ELNS1_3gpuE9ELNS1_3repE0EEENS1_30default_config_static_selectorELNS0_4arch9wavefront6targetE1EEEvT1_,comdat
	.protected	_ZN7rocprim17ROCPRIM_400000_NS6detail17trampoline_kernelINS0_14default_configENS1_27scan_by_key_config_selectorIiiEEZZNS1_16scan_by_key_implILNS1_25lookback_scan_determinismE0ELb0ES3_N6thrust23THRUST_200600_302600_NS6detail15normal_iteratorINS9_10device_ptrIiEEEESE_SE_iNS9_4plusIvEENS9_8equal_toIiEEiEE10hipError_tPvRmT2_T3_T4_T5_mT6_T7_P12ihipStream_tbENKUlT_T0_E_clISt17integral_constantIbLb1EESY_IbLb0EEEEDaSU_SV_EUlSU_E_NS1_11comp_targetILNS1_3genE5ELNS1_11target_archE942ELNS1_3gpuE9ELNS1_3repE0EEENS1_30default_config_static_selectorELNS0_4arch9wavefront6targetE1EEEvT1_ ; -- Begin function _ZN7rocprim17ROCPRIM_400000_NS6detail17trampoline_kernelINS0_14default_configENS1_27scan_by_key_config_selectorIiiEEZZNS1_16scan_by_key_implILNS1_25lookback_scan_determinismE0ELb0ES3_N6thrust23THRUST_200600_302600_NS6detail15normal_iteratorINS9_10device_ptrIiEEEESE_SE_iNS9_4plusIvEENS9_8equal_toIiEEiEE10hipError_tPvRmT2_T3_T4_T5_mT6_T7_P12ihipStream_tbENKUlT_T0_E_clISt17integral_constantIbLb1EESY_IbLb0EEEEDaSU_SV_EUlSU_E_NS1_11comp_targetILNS1_3genE5ELNS1_11target_archE942ELNS1_3gpuE9ELNS1_3repE0EEENS1_30default_config_static_selectorELNS0_4arch9wavefront6targetE1EEEvT1_
	.globl	_ZN7rocprim17ROCPRIM_400000_NS6detail17trampoline_kernelINS0_14default_configENS1_27scan_by_key_config_selectorIiiEEZZNS1_16scan_by_key_implILNS1_25lookback_scan_determinismE0ELb0ES3_N6thrust23THRUST_200600_302600_NS6detail15normal_iteratorINS9_10device_ptrIiEEEESE_SE_iNS9_4plusIvEENS9_8equal_toIiEEiEE10hipError_tPvRmT2_T3_T4_T5_mT6_T7_P12ihipStream_tbENKUlT_T0_E_clISt17integral_constantIbLb1EESY_IbLb0EEEEDaSU_SV_EUlSU_E_NS1_11comp_targetILNS1_3genE5ELNS1_11target_archE942ELNS1_3gpuE9ELNS1_3repE0EEENS1_30default_config_static_selectorELNS0_4arch9wavefront6targetE1EEEvT1_
	.p2align	8
	.type	_ZN7rocprim17ROCPRIM_400000_NS6detail17trampoline_kernelINS0_14default_configENS1_27scan_by_key_config_selectorIiiEEZZNS1_16scan_by_key_implILNS1_25lookback_scan_determinismE0ELb0ES3_N6thrust23THRUST_200600_302600_NS6detail15normal_iteratorINS9_10device_ptrIiEEEESE_SE_iNS9_4plusIvEENS9_8equal_toIiEEiEE10hipError_tPvRmT2_T3_T4_T5_mT6_T7_P12ihipStream_tbENKUlT_T0_E_clISt17integral_constantIbLb1EESY_IbLb0EEEEDaSU_SV_EUlSU_E_NS1_11comp_targetILNS1_3genE5ELNS1_11target_archE942ELNS1_3gpuE9ELNS1_3repE0EEENS1_30default_config_static_selectorELNS0_4arch9wavefront6targetE1EEEvT1_,@function
_ZN7rocprim17ROCPRIM_400000_NS6detail17trampoline_kernelINS0_14default_configENS1_27scan_by_key_config_selectorIiiEEZZNS1_16scan_by_key_implILNS1_25lookback_scan_determinismE0ELb0ES3_N6thrust23THRUST_200600_302600_NS6detail15normal_iteratorINS9_10device_ptrIiEEEESE_SE_iNS9_4plusIvEENS9_8equal_toIiEEiEE10hipError_tPvRmT2_T3_T4_T5_mT6_T7_P12ihipStream_tbENKUlT_T0_E_clISt17integral_constantIbLb1EESY_IbLb0EEEEDaSU_SV_EUlSU_E_NS1_11comp_targetILNS1_3genE5ELNS1_11target_archE942ELNS1_3gpuE9ELNS1_3repE0EEENS1_30default_config_static_selectorELNS0_4arch9wavefront6targetE1EEEvT1_: ; @_ZN7rocprim17ROCPRIM_400000_NS6detail17trampoline_kernelINS0_14default_configENS1_27scan_by_key_config_selectorIiiEEZZNS1_16scan_by_key_implILNS1_25lookback_scan_determinismE0ELb0ES3_N6thrust23THRUST_200600_302600_NS6detail15normal_iteratorINS9_10device_ptrIiEEEESE_SE_iNS9_4plusIvEENS9_8equal_toIiEEiEE10hipError_tPvRmT2_T3_T4_T5_mT6_T7_P12ihipStream_tbENKUlT_T0_E_clISt17integral_constantIbLb1EESY_IbLb0EEEEDaSU_SV_EUlSU_E_NS1_11comp_targetILNS1_3genE5ELNS1_11target_archE942ELNS1_3gpuE9ELNS1_3repE0EEENS1_30default_config_static_selectorELNS0_4arch9wavefront6targetE1EEEvT1_
; %bb.0:
	.section	.rodata,"a",@progbits
	.p2align	6, 0x0
	.amdhsa_kernel _ZN7rocprim17ROCPRIM_400000_NS6detail17trampoline_kernelINS0_14default_configENS1_27scan_by_key_config_selectorIiiEEZZNS1_16scan_by_key_implILNS1_25lookback_scan_determinismE0ELb0ES3_N6thrust23THRUST_200600_302600_NS6detail15normal_iteratorINS9_10device_ptrIiEEEESE_SE_iNS9_4plusIvEENS9_8equal_toIiEEiEE10hipError_tPvRmT2_T3_T4_T5_mT6_T7_P12ihipStream_tbENKUlT_T0_E_clISt17integral_constantIbLb1EESY_IbLb0EEEEDaSU_SV_EUlSU_E_NS1_11comp_targetILNS1_3genE5ELNS1_11target_archE942ELNS1_3gpuE9ELNS1_3repE0EEENS1_30default_config_static_selectorELNS0_4arch9wavefront6targetE1EEEvT1_
		.amdhsa_group_segment_fixed_size 0
		.amdhsa_private_segment_fixed_size 0
		.amdhsa_kernarg_size 112
		.amdhsa_user_sgpr_count 6
		.amdhsa_user_sgpr_private_segment_buffer 1
		.amdhsa_user_sgpr_dispatch_ptr 0
		.amdhsa_user_sgpr_queue_ptr 0
		.amdhsa_user_sgpr_kernarg_segment_ptr 1
		.amdhsa_user_sgpr_dispatch_id 0
		.amdhsa_user_sgpr_flat_scratch_init 0
		.amdhsa_user_sgpr_kernarg_preload_length 0
		.amdhsa_user_sgpr_kernarg_preload_offset 0
		.amdhsa_user_sgpr_private_segment_size 0
		.amdhsa_uses_dynamic_stack 0
		.amdhsa_system_sgpr_private_segment_wavefront_offset 0
		.amdhsa_system_sgpr_workgroup_id_x 1
		.amdhsa_system_sgpr_workgroup_id_y 0
		.amdhsa_system_sgpr_workgroup_id_z 0
		.amdhsa_system_sgpr_workgroup_info 0
		.amdhsa_system_vgpr_workitem_id 0
		.amdhsa_next_free_vgpr 1
		.amdhsa_next_free_sgpr 0
		.amdhsa_accum_offset 4
		.amdhsa_reserve_vcc 0
		.amdhsa_reserve_flat_scratch 0
		.amdhsa_float_round_mode_32 0
		.amdhsa_float_round_mode_16_64 0
		.amdhsa_float_denorm_mode_32 3
		.amdhsa_float_denorm_mode_16_64 3
		.amdhsa_dx10_clamp 1
		.amdhsa_ieee_mode 1
		.amdhsa_fp16_overflow 0
		.amdhsa_tg_split 0
		.amdhsa_exception_fp_ieee_invalid_op 0
		.amdhsa_exception_fp_denorm_src 0
		.amdhsa_exception_fp_ieee_div_zero 0
		.amdhsa_exception_fp_ieee_overflow 0
		.amdhsa_exception_fp_ieee_underflow 0
		.amdhsa_exception_fp_ieee_inexact 0
		.amdhsa_exception_int_div_zero 0
	.end_amdhsa_kernel
	.section	.text._ZN7rocprim17ROCPRIM_400000_NS6detail17trampoline_kernelINS0_14default_configENS1_27scan_by_key_config_selectorIiiEEZZNS1_16scan_by_key_implILNS1_25lookback_scan_determinismE0ELb0ES3_N6thrust23THRUST_200600_302600_NS6detail15normal_iteratorINS9_10device_ptrIiEEEESE_SE_iNS9_4plusIvEENS9_8equal_toIiEEiEE10hipError_tPvRmT2_T3_T4_T5_mT6_T7_P12ihipStream_tbENKUlT_T0_E_clISt17integral_constantIbLb1EESY_IbLb0EEEEDaSU_SV_EUlSU_E_NS1_11comp_targetILNS1_3genE5ELNS1_11target_archE942ELNS1_3gpuE9ELNS1_3repE0EEENS1_30default_config_static_selectorELNS0_4arch9wavefront6targetE1EEEvT1_,"axG",@progbits,_ZN7rocprim17ROCPRIM_400000_NS6detail17trampoline_kernelINS0_14default_configENS1_27scan_by_key_config_selectorIiiEEZZNS1_16scan_by_key_implILNS1_25lookback_scan_determinismE0ELb0ES3_N6thrust23THRUST_200600_302600_NS6detail15normal_iteratorINS9_10device_ptrIiEEEESE_SE_iNS9_4plusIvEENS9_8equal_toIiEEiEE10hipError_tPvRmT2_T3_T4_T5_mT6_T7_P12ihipStream_tbENKUlT_T0_E_clISt17integral_constantIbLb1EESY_IbLb0EEEEDaSU_SV_EUlSU_E_NS1_11comp_targetILNS1_3genE5ELNS1_11target_archE942ELNS1_3gpuE9ELNS1_3repE0EEENS1_30default_config_static_selectorELNS0_4arch9wavefront6targetE1EEEvT1_,comdat
.Lfunc_end220:
	.size	_ZN7rocprim17ROCPRIM_400000_NS6detail17trampoline_kernelINS0_14default_configENS1_27scan_by_key_config_selectorIiiEEZZNS1_16scan_by_key_implILNS1_25lookback_scan_determinismE0ELb0ES3_N6thrust23THRUST_200600_302600_NS6detail15normal_iteratorINS9_10device_ptrIiEEEESE_SE_iNS9_4plusIvEENS9_8equal_toIiEEiEE10hipError_tPvRmT2_T3_T4_T5_mT6_T7_P12ihipStream_tbENKUlT_T0_E_clISt17integral_constantIbLb1EESY_IbLb0EEEEDaSU_SV_EUlSU_E_NS1_11comp_targetILNS1_3genE5ELNS1_11target_archE942ELNS1_3gpuE9ELNS1_3repE0EEENS1_30default_config_static_selectorELNS0_4arch9wavefront6targetE1EEEvT1_, .Lfunc_end220-_ZN7rocprim17ROCPRIM_400000_NS6detail17trampoline_kernelINS0_14default_configENS1_27scan_by_key_config_selectorIiiEEZZNS1_16scan_by_key_implILNS1_25lookback_scan_determinismE0ELb0ES3_N6thrust23THRUST_200600_302600_NS6detail15normal_iteratorINS9_10device_ptrIiEEEESE_SE_iNS9_4plusIvEENS9_8equal_toIiEEiEE10hipError_tPvRmT2_T3_T4_T5_mT6_T7_P12ihipStream_tbENKUlT_T0_E_clISt17integral_constantIbLb1EESY_IbLb0EEEEDaSU_SV_EUlSU_E_NS1_11comp_targetILNS1_3genE5ELNS1_11target_archE942ELNS1_3gpuE9ELNS1_3repE0EEENS1_30default_config_static_selectorELNS0_4arch9wavefront6targetE1EEEvT1_
                                        ; -- End function
	.section	.AMDGPU.csdata,"",@progbits
; Kernel info:
; codeLenInByte = 0
; NumSgprs: 4
; NumVgprs: 0
; NumAgprs: 0
; TotalNumVgprs: 0
; ScratchSize: 0
; MemoryBound: 0
; FloatMode: 240
; IeeeMode: 1
; LDSByteSize: 0 bytes/workgroup (compile time only)
; SGPRBlocks: 0
; VGPRBlocks: 0
; NumSGPRsForWavesPerEU: 4
; NumVGPRsForWavesPerEU: 1
; AccumOffset: 4
; Occupancy: 8
; WaveLimiterHint : 0
; COMPUTE_PGM_RSRC2:SCRATCH_EN: 0
; COMPUTE_PGM_RSRC2:USER_SGPR: 6
; COMPUTE_PGM_RSRC2:TRAP_HANDLER: 0
; COMPUTE_PGM_RSRC2:TGID_X_EN: 1
; COMPUTE_PGM_RSRC2:TGID_Y_EN: 0
; COMPUTE_PGM_RSRC2:TGID_Z_EN: 0
; COMPUTE_PGM_RSRC2:TIDIG_COMP_CNT: 0
; COMPUTE_PGM_RSRC3_GFX90A:ACCUM_OFFSET: 0
; COMPUTE_PGM_RSRC3_GFX90A:TG_SPLIT: 0
	.section	.text._ZN7rocprim17ROCPRIM_400000_NS6detail17trampoline_kernelINS0_14default_configENS1_27scan_by_key_config_selectorIiiEEZZNS1_16scan_by_key_implILNS1_25lookback_scan_determinismE0ELb0ES3_N6thrust23THRUST_200600_302600_NS6detail15normal_iteratorINS9_10device_ptrIiEEEESE_SE_iNS9_4plusIvEENS9_8equal_toIiEEiEE10hipError_tPvRmT2_T3_T4_T5_mT6_T7_P12ihipStream_tbENKUlT_T0_E_clISt17integral_constantIbLb1EESY_IbLb0EEEEDaSU_SV_EUlSU_E_NS1_11comp_targetILNS1_3genE4ELNS1_11target_archE910ELNS1_3gpuE8ELNS1_3repE0EEENS1_30default_config_static_selectorELNS0_4arch9wavefront6targetE1EEEvT1_,"axG",@progbits,_ZN7rocprim17ROCPRIM_400000_NS6detail17trampoline_kernelINS0_14default_configENS1_27scan_by_key_config_selectorIiiEEZZNS1_16scan_by_key_implILNS1_25lookback_scan_determinismE0ELb0ES3_N6thrust23THRUST_200600_302600_NS6detail15normal_iteratorINS9_10device_ptrIiEEEESE_SE_iNS9_4plusIvEENS9_8equal_toIiEEiEE10hipError_tPvRmT2_T3_T4_T5_mT6_T7_P12ihipStream_tbENKUlT_T0_E_clISt17integral_constantIbLb1EESY_IbLb0EEEEDaSU_SV_EUlSU_E_NS1_11comp_targetILNS1_3genE4ELNS1_11target_archE910ELNS1_3gpuE8ELNS1_3repE0EEENS1_30default_config_static_selectorELNS0_4arch9wavefront6targetE1EEEvT1_,comdat
	.protected	_ZN7rocprim17ROCPRIM_400000_NS6detail17trampoline_kernelINS0_14default_configENS1_27scan_by_key_config_selectorIiiEEZZNS1_16scan_by_key_implILNS1_25lookback_scan_determinismE0ELb0ES3_N6thrust23THRUST_200600_302600_NS6detail15normal_iteratorINS9_10device_ptrIiEEEESE_SE_iNS9_4plusIvEENS9_8equal_toIiEEiEE10hipError_tPvRmT2_T3_T4_T5_mT6_T7_P12ihipStream_tbENKUlT_T0_E_clISt17integral_constantIbLb1EESY_IbLb0EEEEDaSU_SV_EUlSU_E_NS1_11comp_targetILNS1_3genE4ELNS1_11target_archE910ELNS1_3gpuE8ELNS1_3repE0EEENS1_30default_config_static_selectorELNS0_4arch9wavefront6targetE1EEEvT1_ ; -- Begin function _ZN7rocprim17ROCPRIM_400000_NS6detail17trampoline_kernelINS0_14default_configENS1_27scan_by_key_config_selectorIiiEEZZNS1_16scan_by_key_implILNS1_25lookback_scan_determinismE0ELb0ES3_N6thrust23THRUST_200600_302600_NS6detail15normal_iteratorINS9_10device_ptrIiEEEESE_SE_iNS9_4plusIvEENS9_8equal_toIiEEiEE10hipError_tPvRmT2_T3_T4_T5_mT6_T7_P12ihipStream_tbENKUlT_T0_E_clISt17integral_constantIbLb1EESY_IbLb0EEEEDaSU_SV_EUlSU_E_NS1_11comp_targetILNS1_3genE4ELNS1_11target_archE910ELNS1_3gpuE8ELNS1_3repE0EEENS1_30default_config_static_selectorELNS0_4arch9wavefront6targetE1EEEvT1_
	.globl	_ZN7rocprim17ROCPRIM_400000_NS6detail17trampoline_kernelINS0_14default_configENS1_27scan_by_key_config_selectorIiiEEZZNS1_16scan_by_key_implILNS1_25lookback_scan_determinismE0ELb0ES3_N6thrust23THRUST_200600_302600_NS6detail15normal_iteratorINS9_10device_ptrIiEEEESE_SE_iNS9_4plusIvEENS9_8equal_toIiEEiEE10hipError_tPvRmT2_T3_T4_T5_mT6_T7_P12ihipStream_tbENKUlT_T0_E_clISt17integral_constantIbLb1EESY_IbLb0EEEEDaSU_SV_EUlSU_E_NS1_11comp_targetILNS1_3genE4ELNS1_11target_archE910ELNS1_3gpuE8ELNS1_3repE0EEENS1_30default_config_static_selectorELNS0_4arch9wavefront6targetE1EEEvT1_
	.p2align	8
	.type	_ZN7rocprim17ROCPRIM_400000_NS6detail17trampoline_kernelINS0_14default_configENS1_27scan_by_key_config_selectorIiiEEZZNS1_16scan_by_key_implILNS1_25lookback_scan_determinismE0ELb0ES3_N6thrust23THRUST_200600_302600_NS6detail15normal_iteratorINS9_10device_ptrIiEEEESE_SE_iNS9_4plusIvEENS9_8equal_toIiEEiEE10hipError_tPvRmT2_T3_T4_T5_mT6_T7_P12ihipStream_tbENKUlT_T0_E_clISt17integral_constantIbLb1EESY_IbLb0EEEEDaSU_SV_EUlSU_E_NS1_11comp_targetILNS1_3genE4ELNS1_11target_archE910ELNS1_3gpuE8ELNS1_3repE0EEENS1_30default_config_static_selectorELNS0_4arch9wavefront6targetE1EEEvT1_,@function
_ZN7rocprim17ROCPRIM_400000_NS6detail17trampoline_kernelINS0_14default_configENS1_27scan_by_key_config_selectorIiiEEZZNS1_16scan_by_key_implILNS1_25lookback_scan_determinismE0ELb0ES3_N6thrust23THRUST_200600_302600_NS6detail15normal_iteratorINS9_10device_ptrIiEEEESE_SE_iNS9_4plusIvEENS9_8equal_toIiEEiEE10hipError_tPvRmT2_T3_T4_T5_mT6_T7_P12ihipStream_tbENKUlT_T0_E_clISt17integral_constantIbLb1EESY_IbLb0EEEEDaSU_SV_EUlSU_E_NS1_11comp_targetILNS1_3genE4ELNS1_11target_archE910ELNS1_3gpuE8ELNS1_3repE0EEENS1_30default_config_static_selectorELNS0_4arch9wavefront6targetE1EEEvT1_: ; @_ZN7rocprim17ROCPRIM_400000_NS6detail17trampoline_kernelINS0_14default_configENS1_27scan_by_key_config_selectorIiiEEZZNS1_16scan_by_key_implILNS1_25lookback_scan_determinismE0ELb0ES3_N6thrust23THRUST_200600_302600_NS6detail15normal_iteratorINS9_10device_ptrIiEEEESE_SE_iNS9_4plusIvEENS9_8equal_toIiEEiEE10hipError_tPvRmT2_T3_T4_T5_mT6_T7_P12ihipStream_tbENKUlT_T0_E_clISt17integral_constantIbLb1EESY_IbLb0EEEEDaSU_SV_EUlSU_E_NS1_11comp_targetILNS1_3genE4ELNS1_11target_archE910ELNS1_3gpuE8ELNS1_3repE0EEENS1_30default_config_static_selectorELNS0_4arch9wavefront6targetE1EEEvT1_
; %bb.0:
	s_load_dwordx8 s[36:43], s[4:5], 0x0
	s_load_dwordx4 s[52:55], s[4:5], 0x28
	s_load_dwordx2 s[56:57], s[4:5], 0x38
	s_load_dword s0, s[4:5], 0x40
	s_load_dwordx8 s[44:51], s[4:5], 0x48
	s_waitcnt lgkmcnt(0)
	s_lshl_b64 s[38:39], s[38:39], 2
	s_add_u32 s2, s36, s38
	s_addc_u32 s3, s37, s39
	s_add_u32 s4, s40, s38
	s_mul_i32 s1, s57, s0
	s_mul_hi_u32 s7, s56, s0
	s_addc_u32 s5, s41, s39
	s_add_i32 s8, s7, s1
	s_mul_i32 s9, s56, s0
	s_cmp_lg_u64 s[48:49], 0
	s_mul_i32 s0, s6, 0xe00
	s_mov_b32 s1, 0
	s_cselect_b64 s[40:41], -1, 0
	s_lshl_b64 s[36:37], s[0:1], 2
	s_add_u32 s34, s2, s36
	s_addc_u32 s35, s3, s37
	s_add_u32 s7, s4, s36
	s_addc_u32 s55, s5, s37
	;; [unrolled: 2-line block ×3, first 2 shown]
	s_add_u32 s2, s44, -1
	s_addc_u32 s3, s45, -1
	v_pk_mov_b32 v[2:3], s[2:3], s[2:3] op_sel:[0,1]
	v_cmp_ge_u64_e64 s[0:1], s[48:49], v[2:3]
	s_mov_b64 s[18:19], 0
	s_mov_b64 s[4:5], -1
	s_and_b64 vcc, exec, s[0:1]
	s_mul_i32 s33, s2, 0xfffff200
	s_barrier
	s_cbranch_vccz .LBB221_77
; %bb.1:
	v_pk_mov_b32 v[2:3], s[34:35], s[34:35] op_sel:[0,1]
	flat_load_dword v1, v[2:3]
	s_add_i32 s60, s33, s54
	v_cmp_gt_u32_e64 s[2:3], s60, v0
	s_waitcnt vmcnt(0) lgkmcnt(0)
	v_mov_b32_e32 v13, v1
	s_and_saveexec_b64 s[4:5], s[2:3]
	s_cbranch_execz .LBB221_3
; %bb.2:
	v_lshlrev_b32_e32 v2, 2, v0
	v_mov_b32_e32 v3, s35
	v_add_co_u32_e32 v2, vcc, s34, v2
	v_addc_co_u32_e32 v3, vcc, 0, v3, vcc
	flat_load_dword v13, v[2:3]
.LBB221_3:
	s_or_b64 exec, exec, s[4:5]
	v_or_b32_e32 v2, 0x100, v0
	v_cmp_gt_u32_e64 s[4:5], s60, v2
	v_mov_b32_e32 v14, v1
	s_and_saveexec_b64 s[8:9], s[4:5]
	s_cbranch_execz .LBB221_5
; %bb.4:
	v_lshlrev_b32_e32 v2, 2, v0
	v_mov_b32_e32 v3, s35
	v_add_co_u32_e32 v2, vcc, s34, v2
	v_addc_co_u32_e32 v3, vcc, 0, v3, vcc
	flat_load_dword v14, v[2:3] offset:1024
.LBB221_5:
	s_or_b64 exec, exec, s[8:9]
	v_or_b32_e32 v2, 0x200, v0
	v_cmp_gt_u32_e64 s[30:31], s60, v2
	v_mov_b32_e32 v15, v1
	s_and_saveexec_b64 s[8:9], s[30:31]
	s_cbranch_execz .LBB221_7
; %bb.6:
	v_lshlrev_b32_e32 v2, 2, v0
	v_mov_b32_e32 v3, s35
	v_add_co_u32_e32 v2, vcc, s34, v2
	v_addc_co_u32_e32 v3, vcc, 0, v3, vcc
	flat_load_dword v15, v[2:3] offset:2048
.LBB221_7:
	;; [unrolled: 13-line block ×3, first 2 shown]
	s_or_b64 exec, exec, s[10:11]
	v_or_b32_e32 v2, 0x400, v0
	v_cmp_gt_u32_e64 s[10:11], s60, v2
	v_mov_b32_e32 v17, v1
	s_and_saveexec_b64 s[12:13], s[10:11]
	s_cbranch_execz .LBB221_11
; %bb.10:
	v_lshlrev_b32_e32 v3, 2, v2
	v_mov_b32_e32 v5, s35
	v_add_co_u32_e32 v4, vcc, s34, v3
	v_addc_co_u32_e32 v5, vcc, 0, v5, vcc
	flat_load_dword v17, v[4:5]
.LBB221_11:
	s_or_b64 exec, exec, s[12:13]
	v_or_b32_e32 v3, 0x500, v0
	v_cmp_gt_u32_e64 s[12:13], s60, v3
	v_mov_b32_e32 v18, v1
	s_and_saveexec_b64 s[14:15], s[12:13]
	s_cbranch_execz .LBB221_13
; %bb.12:
	v_lshlrev_b32_e32 v4, 2, v3
	v_mov_b32_e32 v5, s35
	v_add_co_u32_e32 v4, vcc, s34, v4
	v_addc_co_u32_e32 v5, vcc, 0, v5, vcc
	flat_load_dword v18, v[4:5]
.LBB221_13:
	;; [unrolled: 13-line block ×9, first 2 shown]
	s_or_b64 exec, exec, s[28:29]
	v_or_b32_e32 v11, 0xd00, v0
	v_cmp_gt_u32_e64 s[28:29], s60, v11
	s_and_saveexec_b64 s[44:45], s[28:29]
	s_cbranch_execz .LBB221_29
; %bb.28:
	v_lshlrev_b32_e32 v1, 2, v11
	v_mov_b32_e32 v12, s35
	v_add_co_u32_e32 v26, vcc, s34, v1
	v_addc_co_u32_e32 v27, vcc, 0, v12, vcc
	flat_load_dword v1, v[26:27]
.LBB221_29:
	s_or_b64 exec, exec, s[44:45]
	v_lshlrev_b32_e32 v12, 2, v0
	s_waitcnt vmcnt(0) lgkmcnt(0)
	ds_write2st64_b32 v12, v13, v14 offset1:4
	ds_write2st64_b32 v12, v15, v16 offset0:8 offset1:12
	ds_write2st64_b32 v12, v17, v18 offset0:16 offset1:20
	ds_write2st64_b32 v12, v19, v20 offset0:24 offset1:28
	ds_write2st64_b32 v12, v21, v22 offset0:32 offset1:36
	ds_write2st64_b32 v12, v23, v24 offset0:40 offset1:44
	ds_write2st64_b32 v12, v25, v1 offset0:48 offset1:52
	v_mad_u32_u24 v1, v0, 52, v12
	s_waitcnt lgkmcnt(0)
	s_barrier
	ds_read2_b64 v[34:37], v1 offset1:1
	ds_read2_b64 v[30:33], v1 offset0:2 offset1:3
	ds_read2_b64 v[26:29], v1 offset0:4 offset1:5
	ds_read_b64 v[40:41], v1 offset:48
	s_cmp_eq_u64 s[48:49], 0
	s_mov_b64 s[44:45], s[34:35]
	s_cbranch_scc1 .LBB221_33
; %bb.30:
	s_andn2_b64 vcc, exec, s[40:41]
	s_cbranch_vccnz .LBB221_183
; %bb.31:
	s_lshl_b64 s[44:45], s[48:49], 2
	s_add_u32 s44, s50, s44
	s_addc_u32 s45, s51, s45
	s_add_u32 s44, s44, -4
	s_addc_u32 s45, s45, -1
	s_cbranch_execnz .LBB221_33
.LBB221_32:
	s_add_u32 s44, s34, -4
	s_addc_u32 s45, s35, -1
.LBB221_33:
	v_pk_mov_b32 v[14:15], s[44:45], s[44:45] op_sel:[0,1]
	flat_load_dword v44, v[14:15]
	s_movk_i32 s44, 0xffcc
	v_mad_i32_i24 v13, v0, s44, v1
	v_cmp_ne_u32_e32 vcc, 0, v0
	s_waitcnt lgkmcnt(0)
	ds_write_b32 v13, v41 offset:14336
	s_waitcnt lgkmcnt(0)
	s_barrier
	s_and_saveexec_b64 s[44:45], vcc
	s_cbranch_execz .LBB221_35
; %bb.34:
	v_mul_i32_i24_e32 v13, 0xffffffcc, v0
	v_add_u32_e32 v13, v1, v13
	s_waitcnt vmcnt(0)
	ds_read_b32 v44, v13 offset:14332
.LBB221_35:
	s_or_b64 exec, exec, s[44:45]
	s_waitcnt lgkmcnt(0)
	s_barrier
	s_waitcnt lgkmcnt(0)
                                        ; implicit-def: $vgpr13
	s_and_saveexec_b64 s[44:45], s[2:3]
	s_cbranch_execnz .LBB221_170
; %bb.36:
	s_or_b64 exec, exec, s[44:45]
                                        ; implicit-def: $vgpr14
	s_and_saveexec_b64 s[2:3], s[4:5]
	s_cbranch_execnz .LBB221_171
.LBB221_37:
	s_or_b64 exec, exec, s[2:3]
                                        ; implicit-def: $vgpr15
	s_and_saveexec_b64 s[2:3], s[30:31]
	s_cbranch_execnz .LBB221_172
.LBB221_38:
	s_or_b64 exec, exec, s[2:3]
                                        ; implicit-def: $vgpr16
	s_and_saveexec_b64 s[2:3], s[8:9]
	s_cbranch_execnz .LBB221_173
.LBB221_39:
	s_or_b64 exec, exec, s[2:3]
                                        ; implicit-def: $vgpr17
	s_and_saveexec_b64 s[2:3], s[10:11]
	s_cbranch_execnz .LBB221_174
.LBB221_40:
	s_or_b64 exec, exec, s[2:3]
                                        ; implicit-def: $vgpr2
	s_and_saveexec_b64 s[2:3], s[12:13]
	s_cbranch_execnz .LBB221_175
.LBB221_41:
	s_or_b64 exec, exec, s[2:3]
                                        ; implicit-def: $vgpr3
	s_and_saveexec_b64 s[2:3], s[14:15]
	s_cbranch_execnz .LBB221_176
.LBB221_42:
	s_or_b64 exec, exec, s[2:3]
                                        ; implicit-def: $vgpr4
	s_and_saveexec_b64 s[2:3], s[16:17]
	s_cbranch_execnz .LBB221_177
.LBB221_43:
	s_or_b64 exec, exec, s[2:3]
                                        ; implicit-def: $vgpr5
	s_and_saveexec_b64 s[2:3], s[18:19]
	s_cbranch_execnz .LBB221_178
.LBB221_44:
	s_or_b64 exec, exec, s[2:3]
                                        ; implicit-def: $vgpr6
	s_and_saveexec_b64 s[2:3], s[20:21]
	s_cbranch_execnz .LBB221_179
.LBB221_45:
	s_or_b64 exec, exec, s[2:3]
                                        ; implicit-def: $vgpr7
	s_and_saveexec_b64 s[2:3], s[22:23]
	s_cbranch_execnz .LBB221_180
.LBB221_46:
	s_or_b64 exec, exec, s[2:3]
                                        ; implicit-def: $vgpr8
	s_and_saveexec_b64 s[2:3], s[24:25]
	s_cbranch_execnz .LBB221_181
.LBB221_47:
	s_or_b64 exec, exec, s[2:3]
                                        ; implicit-def: $vgpr9
	s_and_saveexec_b64 s[2:3], s[26:27]
	s_cbranch_execnz .LBB221_182
.LBB221_48:
	s_or_b64 exec, exec, s[2:3]
                                        ; implicit-def: $vgpr10
	s_and_saveexec_b64 s[2:3], s[28:29]
	s_cbranch_execz .LBB221_50
.LBB221_49:
	v_lshlrev_b32_e32 v10, 2, v11
	v_mov_b32_e32 v11, s55
	v_add_co_u32_e32 v10, vcc, s7, v10
	v_addc_co_u32_e32 v11, vcc, 0, v11, vcc
	flat_load_dword v10, v[10:11]
.LBB221_50:
	s_or_b64 exec, exec, s[2:3]
	s_mov_b32 s8, 0
	s_mov_b32 s9, s8
	s_waitcnt vmcnt(0) lgkmcnt(0)
	ds_write2st64_b32 v12, v13, v14 offset1:4
	ds_write2st64_b32 v12, v15, v16 offset0:8 offset1:12
	ds_write2st64_b32 v12, v17, v2 offset0:16 offset1:20
	ds_write2st64_b32 v12, v3, v4 offset0:24 offset1:28
	ds_write2st64_b32 v12, v5, v6 offset0:32 offset1:36
	ds_write2st64_b32 v12, v7, v8 offset0:40 offset1:44
	ds_write2st64_b32 v12, v9, v10 offset0:48 offset1:52
	s_mov_b32 s10, s8
	s_mov_b32 s11, s8
	;; [unrolled: 1-line block ×6, first 2 shown]
	v_pk_mov_b32 v[2:3], s[8:9], s[8:9] op_sel:[0,1]
	v_pk_mov_b32 v[8:9], s[14:15], s[14:15] op_sel:[0,1]
	v_mul_u32_u24_e32 v42, 14, v0
	v_pk_mov_b32 v[4:5], s[10:11], s[10:11] op_sel:[0,1]
	v_pk_mov_b32 v[6:7], s[12:13], s[12:13] op_sel:[0,1]
	;; [unrolled: 1-line block ×4, first 2 shown]
	v_cmp_gt_u32_e32 vcc, s60, v42
	s_mov_b64 s[4:5], 0
	v_pk_mov_b32 v[38:39], 0, 0
	s_mov_b64 s[18:19], 0
	v_pk_mov_b32 v[14:15], v[6:7], v[6:7] op_sel:[0,1]
	v_pk_mov_b32 v[12:13], v[4:5], v[4:5] op_sel:[0,1]
	;; [unrolled: 1-line block ×6, first 2 shown]
	s_waitcnt lgkmcnt(0)
	s_barrier
	s_waitcnt lgkmcnt(0)
                                        ; implicit-def: $sgpr2_sgpr3
                                        ; implicit-def: $vgpr43
	s_and_saveexec_b64 s[16:17], vcc
	s_cbranch_execz .LBB221_76
; %bb.51:
	v_or_b32_e32 v2, 1, v42
	ds_read_b32 v38, v1
	v_cmp_ne_u32_e32 vcc, v44, v34
	v_cndmask_b32_e64 v39, 0, 1, vcc
	v_cmp_gt_u32_e32 vcc, s60, v2
	v_pk_mov_b32 v[2:3], s[8:9], s[8:9] op_sel:[0,1]
	v_pk_mov_b32 v[8:9], s[14:15], s[14:15] op_sel:[0,1]
	v_pk_mov_b32 v[4:5], s[10:11], s[10:11] op_sel:[0,1]
	v_pk_mov_b32 v[6:7], s[12:13], s[12:13] op_sel:[0,1]
	v_pk_mov_b32 v[16:17], v[8:9], v[8:9] op_sel:[0,1]
	v_pk_mov_b32 v[24:25], v[8:9], v[8:9] op_sel:[0,1]
	s_mov_b64 s[20:21], 0
	v_pk_mov_b32 v[14:15], v[6:7], v[6:7] op_sel:[0,1]
	v_pk_mov_b32 v[12:13], v[4:5], v[4:5] op_sel:[0,1]
	v_pk_mov_b32 v[10:11], v[2:3], v[2:3] op_sel:[0,1]
	v_pk_mov_b32 v[22:23], v[6:7], v[6:7] op_sel:[0,1]
	v_pk_mov_b32 v[20:21], v[4:5], v[4:5] op_sel:[0,1]
	v_pk_mov_b32 v[18:19], v[2:3], v[2:3] op_sel:[0,1]
                                        ; implicit-def: $sgpr8_sgpr9
                                        ; implicit-def: $vgpr43
	s_and_saveexec_b64 s[18:19], vcc
	s_cbranch_execz .LBB221_75
; %bb.52:
	ds_read2_b32 v[44:45], v1 offset0:1 offset1:2
	s_mov_b32 s8, 0
	s_mov_b32 s14, s8
	;; [unrolled: 1-line block ×8, first 2 shown]
	v_pk_mov_b32 v[16:17], s[14:15], s[14:15] op_sel:[0,1]
	v_add_u32_e32 v2, 2, v42
	v_cmp_ne_u32_e32 vcc, v34, v35
	v_mov_b32_e32 v6, 0
	v_pk_mov_b32 v[14:15], s[12:13], s[12:13] op_sel:[0,1]
	v_pk_mov_b32 v[12:13], s[10:11], s[10:11] op_sel:[0,1]
	;; [unrolled: 1-line block ×4, first 2 shown]
	v_cndmask_b32_e64 v3, 0, 1, vcc
	v_cmp_gt_u32_e32 vcc, s60, v2
	s_waitcnt lgkmcnt(0)
	v_mov_b32_e32 v2, v44
	v_mov_b32_e32 v4, v6
	;; [unrolled: 1-line block ×6, first 2 shown]
	s_mov_b64 s[2:3], 0
	v_pk_mov_b32 v[22:23], v[14:15], v[14:15] op_sel:[0,1]
	v_pk_mov_b32 v[20:21], v[12:13], v[12:13] op_sel:[0,1]
	;; [unrolled: 1-line block ×3, first 2 shown]
                                        ; implicit-def: $sgpr22_sgpr23
                                        ; implicit-def: $vgpr43
	s_and_saveexec_b64 s[20:21], vcc
	s_cbranch_execz .LBB221_74
; %bb.53:
	v_pk_mov_b32 v[16:17], s[14:15], s[14:15] op_sel:[0,1]
	v_add_u32_e32 v2, 3, v42
	v_cmp_ne_u32_e32 vcc, v35, v36
	v_pk_mov_b32 v[14:15], s[12:13], s[12:13] op_sel:[0,1]
	v_pk_mov_b32 v[12:13], s[10:11], s[10:11] op_sel:[0,1]
	;; [unrolled: 1-line block ×4, first 2 shown]
	v_cndmask_b32_e64 v5, 0, 1, vcc
	v_cmp_gt_u32_e32 vcc, s60, v2
	v_mov_b32_e32 v2, v44
	v_mov_b32_e32 v4, v45
	;; [unrolled: 1-line block ×5, first 2 shown]
	v_pk_mov_b32 v[22:23], v[14:15], v[14:15] op_sel:[0,1]
	v_pk_mov_b32 v[20:21], v[12:13], v[12:13] op_sel:[0,1]
	;; [unrolled: 1-line block ×3, first 2 shown]
                                        ; implicit-def: $sgpr8_sgpr9
                                        ; implicit-def: $vgpr43
	s_and_saveexec_b64 s[22:23], vcc
	s_cbranch_execz .LBB221_73
; %bb.54:
	ds_read2_b32 v[34:35], v1 offset0:3 offset1:4
	s_mov_b32 s8, 0
	s_mov_b32 s14, s8
	;; [unrolled: 1-line block ×8, first 2 shown]
	v_pk_mov_b32 v[16:17], s[14:15], s[14:15] op_sel:[0,1]
	v_add_u32_e32 v6, 4, v42
	v_cmp_ne_u32_e32 vcc, v36, v37
	v_pk_mov_b32 v[14:15], s[12:13], s[12:13] op_sel:[0,1]
	v_pk_mov_b32 v[12:13], s[10:11], s[10:11] op_sel:[0,1]
	;; [unrolled: 1-line block ×4, first 2 shown]
	v_cndmask_b32_e64 v7, 0, 1, vcc
	v_cmp_gt_u32_e32 vcc, s60, v6
	s_waitcnt lgkmcnt(0)
	v_mov_b32_e32 v6, v34
	v_mov_b32_e32 v8, s8
	;; [unrolled: 1-line block ×3, first 2 shown]
	v_pk_mov_b32 v[22:23], v[14:15], v[14:15] op_sel:[0,1]
	v_pk_mov_b32 v[20:21], v[12:13], v[12:13] op_sel:[0,1]
	v_pk_mov_b32 v[18:19], v[10:11], v[10:11] op_sel:[0,1]
                                        ; implicit-def: $sgpr26_sgpr27
                                        ; implicit-def: $vgpr43
	s_and_saveexec_b64 s[24:25], vcc
	s_cbranch_execz .LBB221_72
; %bb.55:
	v_pk_mov_b32 v[16:17], s[14:15], s[14:15] op_sel:[0,1]
	v_add_u32_e32 v8, 5, v42
	v_cmp_ne_u32_e32 vcc, v37, v30
	v_pk_mov_b32 v[14:15], s[12:13], s[12:13] op_sel:[0,1]
	v_pk_mov_b32 v[12:13], s[10:11], s[10:11] op_sel:[0,1]
	;; [unrolled: 1-line block ×4, first 2 shown]
	v_cndmask_b32_e64 v9, 0, 1, vcc
	v_cmp_gt_u32_e32 vcc, s60, v8
	v_mov_b32_e32 v8, v35
	v_pk_mov_b32 v[22:23], v[14:15], v[14:15] op_sel:[0,1]
	v_pk_mov_b32 v[20:21], v[12:13], v[12:13] op_sel:[0,1]
	;; [unrolled: 1-line block ×3, first 2 shown]
                                        ; implicit-def: $sgpr8_sgpr9
                                        ; implicit-def: $vgpr43
	s_and_saveexec_b64 s[26:27], vcc
	s_cbranch_execz .LBB221_71
; %bb.56:
	ds_read2_b32 v[34:35], v1 offset0:5 offset1:6
	s_mov_b32 s8, 0
	s_mov_b32 s14, s8
	;; [unrolled: 1-line block ×3, first 2 shown]
	v_add_u32_e32 v10, 6, v42
	v_cmp_ne_u32_e32 vcc, v30, v31
	v_mov_b32_e32 v14, 0
	s_mov_b32 s9, s8
	s_mov_b32 s10, s8
	;; [unrolled: 1-line block ×5, first 2 shown]
	v_pk_mov_b32 v[24:25], s[14:15], s[14:15] op_sel:[0,1]
	v_cndmask_b32_e64 v11, 0, 1, vcc
	v_cmp_gt_u32_e32 vcc, s60, v10
	s_waitcnt lgkmcnt(0)
	v_mov_b32_e32 v10, v34
	v_mov_b32_e32 v12, v14
	;; [unrolled: 1-line block ×6, first 2 shown]
	v_pk_mov_b32 v[22:23], s[12:13], s[12:13] op_sel:[0,1]
	v_pk_mov_b32 v[20:21], s[10:11], s[10:11] op_sel:[0,1]
	;; [unrolled: 1-line block ×3, first 2 shown]
                                        ; implicit-def: $sgpr30_sgpr31
                                        ; implicit-def: $vgpr43
	s_and_saveexec_b64 s[28:29], vcc
	s_cbranch_execz .LBB221_70
; %bb.57:
	v_add_u32_e32 v10, 7, v42
	v_cmp_ne_u32_e32 vcc, v31, v32
	v_pk_mov_b32 v[24:25], s[14:15], s[14:15] op_sel:[0,1]
	v_cndmask_b32_e64 v13, 0, 1, vcc
	v_cmp_gt_u32_e32 vcc, s60, v10
	v_mov_b32_e32 v10, v34
	v_mov_b32_e32 v12, v35
	;; [unrolled: 1-line block ×5, first 2 shown]
	v_pk_mov_b32 v[22:23], s[12:13], s[12:13] op_sel:[0,1]
	v_pk_mov_b32 v[20:21], s[10:11], s[10:11] op_sel:[0,1]
	;; [unrolled: 1-line block ×3, first 2 shown]
                                        ; implicit-def: $sgpr8_sgpr9
                                        ; implicit-def: $vgpr43
	s_and_saveexec_b64 s[30:31], vcc
	s_cbranch_execz .LBB221_69
; %bb.58:
	ds_read2_b32 v[30:31], v1 offset0:7 offset1:8
	s_mov_b32 s8, 0
	s_mov_b32 s14, s8
	s_mov_b32 s15, s8
	v_add_u32_e32 v14, 8, v42
	v_cmp_ne_u32_e32 vcc, v32, v33
	s_mov_b32 s9, s8
	s_mov_b32 s10, s8
	s_mov_b32 s11, s8
	s_mov_b32 s12, s8
	s_mov_b32 s13, s8
	v_pk_mov_b32 v[24:25], s[14:15], s[14:15] op_sel:[0,1]
	v_cndmask_b32_e64 v15, 0, 1, vcc
	v_cmp_gt_u32_e32 vcc, s60, v14
	s_waitcnt lgkmcnt(0)
	v_mov_b32_e32 v14, v30
	v_mov_b32_e32 v16, s8
	;; [unrolled: 1-line block ×3, first 2 shown]
	v_pk_mov_b32 v[22:23], s[12:13], s[12:13] op_sel:[0,1]
	v_pk_mov_b32 v[20:21], s[10:11], s[10:11] op_sel:[0,1]
	v_pk_mov_b32 v[18:19], s[8:9], s[8:9] op_sel:[0,1]
                                        ; implicit-def: $sgpr58_sgpr59
                                        ; implicit-def: $vgpr43
	s_and_saveexec_b64 s[44:45], vcc
	s_cbranch_execz .LBB221_68
; %bb.59:
	v_add_u32_e32 v16, 9, v42
	v_cmp_ne_u32_e32 vcc, v33, v26
	v_pk_mov_b32 v[24:25], s[14:15], s[14:15] op_sel:[0,1]
	v_cndmask_b32_e64 v17, 0, 1, vcc
	v_cmp_gt_u32_e32 vcc, s60, v16
	v_mov_b32_e32 v16, v31
	v_pk_mov_b32 v[22:23], s[12:13], s[12:13] op_sel:[0,1]
	v_pk_mov_b32 v[20:21], s[10:11], s[10:11] op_sel:[0,1]
	v_pk_mov_b32 v[18:19], s[8:9], s[8:9] op_sel:[0,1]
                                        ; implicit-def: $sgpr10_sgpr11
                                        ; implicit-def: $vgpr43
	s_and_saveexec_b64 s[8:9], vcc
	s_cbranch_execz .LBB221_67
; %bb.60:
	ds_read2_b32 v[30:31], v1 offset0:9 offset1:10
	v_add_u32_e32 v18, 10, v42
	v_cmp_ne_u32_e32 vcc, v26, v27
	v_mov_b32_e32 v22, 0
	v_cndmask_b32_e64 v19, 0, 1, vcc
	v_cmp_gt_u32_e32 vcc, s60, v18
	s_waitcnt lgkmcnt(0)
	v_mov_b32_e32 v18, v30
	v_mov_b32_e32 v20, v22
	;; [unrolled: 1-line block ×6, first 2 shown]
                                        ; implicit-def: $sgpr12_sgpr13
                                        ; implicit-def: $vgpr43
	s_and_saveexec_b64 s[10:11], vcc
	s_cbranch_execz .LBB221_66
; %bb.61:
	v_add_u32_e32 v18, 11, v42
	v_cmp_ne_u32_e32 vcc, v27, v28
	v_cndmask_b32_e64 v21, 0, 1, vcc
	v_cmp_gt_u32_e32 vcc, s60, v18
	s_mov_b32 s58, 0
	v_mov_b32_e32 v18, v30
	v_mov_b32_e32 v20, v31
	;; [unrolled: 1-line block ×5, first 2 shown]
                                        ; implicit-def: $sgpr14_sgpr15
                                        ; implicit-def: $vgpr43
	s_and_saveexec_b64 s[12:13], vcc
	s_cbranch_execz .LBB221_65
; %bb.62:
	ds_read2_b32 v[26:27], v1 offset0:11 offset1:12
	v_add_u32_e32 v22, 12, v42
	v_cmp_ne_u32_e32 vcc, v28, v29
	v_cndmask_b32_e64 v23, 0, 1, vcc
	v_cmp_gt_u32_e32 vcc, s60, v22
	s_waitcnt lgkmcnt(0)
	v_mov_b32_e32 v22, v26
	v_mov_b32_e32 v24, s58
	;; [unrolled: 1-line block ×3, first 2 shown]
                                        ; implicit-def: $sgpr14_sgpr15
                                        ; implicit-def: $vgpr43
	s_and_saveexec_b64 s[58:59], vcc
	s_xor_b64 s[58:59], exec, s[58:59]
	s_cbranch_execz .LBB221_64
; %bb.63:
	ds_read_b32 v43, v1 offset:52
	v_add_u32_e32 v1, 13, v42
	v_cmp_ne_u32_e64 s[2:3], v29, v40
	v_cmp_ne_u32_e32 vcc, v40, v41
	v_cndmask_b32_e64 v25, 0, 1, s[2:3]
	v_cmp_gt_u32_e64 s[2:3], s60, v1
	v_mov_b32_e32 v24, v27
	s_and_b64 s[14:15], vcc, exec
	s_and_b64 s[2:3], s[2:3], exec
.LBB221_64:
	s_or_b64 exec, exec, s[58:59]
	s_and_b64 s[14:15], s[14:15], exec
	s_and_b64 s[2:3], s[2:3], exec
.LBB221_65:
	s_or_b64 exec, exec, s[12:13]
	s_and_b64 s[12:13], s[14:15], exec
	s_and_b64 s[2:3], s[2:3], exec
.LBB221_66:
	s_or_b64 exec, exec, s[10:11]
	s_and_b64 s[10:11], s[12:13], exec
	s_and_b64 s[2:3], s[2:3], exec
.LBB221_67:
	s_or_b64 exec, exec, s[8:9]
	s_and_b64 s[58:59], s[10:11], exec
	s_and_b64 s[2:3], s[2:3], exec
.LBB221_68:
	s_or_b64 exec, exec, s[44:45]
	s_and_b64 s[8:9], s[58:59], exec
	s_and_b64 s[2:3], s[2:3], exec
.LBB221_69:
	s_or_b64 exec, exec, s[30:31]
	s_and_b64 s[30:31], s[8:9], exec
	s_and_b64 s[2:3], s[2:3], exec
.LBB221_70:
	s_or_b64 exec, exec, s[28:29]
	s_and_b64 s[8:9], s[30:31], exec
	s_and_b64 s[2:3], s[2:3], exec
.LBB221_71:
	s_or_b64 exec, exec, s[26:27]
	s_and_b64 s[26:27], s[8:9], exec
	s_and_b64 s[2:3], s[2:3], exec
.LBB221_72:
	s_or_b64 exec, exec, s[24:25]
	s_and_b64 s[8:9], s[26:27], exec
	s_and_b64 s[2:3], s[2:3], exec
.LBB221_73:
	s_or_b64 exec, exec, s[22:23]
	s_and_b64 s[22:23], s[8:9], exec
	s_and_b64 s[2:3], s[2:3], exec
.LBB221_74:
	s_or_b64 exec, exec, s[20:21]
	s_and_b64 s[8:9], s[22:23], exec
	s_and_b64 s[20:21], s[2:3], exec
.LBB221_75:
	s_or_b64 exec, exec, s[18:19]
	s_and_b64 s[2:3], s[8:9], exec
	s_and_b64 s[18:19], s[20:21], exec
.LBB221_76:
	s_or_b64 exec, exec, s[16:17]
	s_and_b64 vcc, exec, s[4:5]
	v_lshlrev_b32_e32 v50, 2, v0
	s_cbranch_vccnz .LBB221_78
	s_branch .LBB221_86
.LBB221_77:
                                        ; implicit-def: $sgpr2_sgpr3
                                        ; implicit-def: $vgpr2_vgpr3_vgpr4_vgpr5_vgpr6_vgpr7_vgpr8_vgpr9
                                        ; implicit-def: $vgpr10_vgpr11_vgpr12_vgpr13_vgpr14_vgpr15_vgpr16_vgpr17
                                        ; implicit-def: $vgpr18_vgpr19_vgpr20_vgpr21_vgpr22_vgpr23_vgpr24_vgpr25
                                        ; implicit-def: $vgpr43
                                        ; implicit-def: $vgpr38_vgpr39
	s_and_b64 vcc, exec, s[4:5]
	v_lshlrev_b32_e32 v50, 2, v0
	s_cbranch_vccz .LBB221_86
.LBB221_78:
	v_mov_b32_e32 v1, s35
	v_add_co_u32_e32 v2, vcc, s34, v50
	v_addc_co_u32_e32 v3, vcc, 0, v1, vcc
	v_add_co_u32_e32 v4, vcc, 0x1000, v2
	v_addc_co_u32_e32 v5, vcc, 0, v3, vcc
	flat_load_dword v6, v[2:3]
	flat_load_dword v7, v[2:3] offset:1024
	flat_load_dword v8, v[2:3] offset:2048
	;; [unrolled: 1-line block ×3, first 2 shown]
	flat_load_dword v10, v[4:5]
	flat_load_dword v11, v[4:5] offset:1024
	flat_load_dword v12, v[4:5] offset:2048
	;; [unrolled: 1-line block ×3, first 2 shown]
	v_add_co_u32_e32 v4, vcc, 0x2000, v2
	v_addc_co_u32_e32 v5, vcc, 0, v3, vcc
	v_add_co_u32_e32 v2, vcc, 0x3000, v2
	v_addc_co_u32_e32 v3, vcc, 0, v3, vcc
	flat_load_dword v14, v[4:5]
	flat_load_dword v15, v[4:5] offset:1024
	flat_load_dword v16, v[4:5] offset:2048
	;; [unrolled: 1-line block ×3, first 2 shown]
	flat_load_dword v18, v[2:3]
	flat_load_dword v19, v[2:3] offset:1024
	v_mad_u32_u24 v1, v0, 52, v50
	s_cmp_eq_u64 s[48:49], 0
	s_waitcnt vmcnt(0) lgkmcnt(0)
	ds_write2st64_b32 v50, v6, v7 offset1:4
	ds_write2st64_b32 v50, v8, v9 offset0:8 offset1:12
	ds_write2st64_b32 v50, v10, v11 offset0:16 offset1:20
	;; [unrolled: 1-line block ×6, first 2 shown]
	s_waitcnt lgkmcnt(0)
	s_barrier
	ds_read2_b64 v[2:5], v1 offset1:1
	ds_read2_b64 v[10:13], v1 offset0:2 offset1:3
	ds_read2_b64 v[18:21], v1 offset0:4 offset1:5
	ds_read_b64 v[6:7], v1 offset:48
	s_cbranch_scc1 .LBB221_83
; %bb.79:
	s_andn2_b64 vcc, exec, s[40:41]
	s_cbranch_vccnz .LBB221_184
; %bb.80:
	s_lshl_b64 s[2:3], s[48:49], 2
	s_add_u32 s2, s50, s2
	s_addc_u32 s3, s51, s3
	s_add_u32 s2, s2, -4
	s_addc_u32 s3, s3, -1
	s_cbranch_execnz .LBB221_82
.LBB221_81:
	s_add_u32 s2, s34, -4
	s_addc_u32 s3, s35, -1
.LBB221_82:
	s_mov_b64 s[34:35], s[2:3]
.LBB221_83:
	v_pk_mov_b32 v[8:9], s[34:35], s[34:35] op_sel:[0,1]
	flat_load_dword v8, v[8:9]
	s_movk_i32 s2, 0xffcc
	v_mad_i32_i24 v9, v0, s2, v1
	v_cmp_ne_u32_e32 vcc, 0, v0
	s_waitcnt lgkmcnt(0)
	ds_write_b32 v9, v7 offset:14336
	s_waitcnt lgkmcnt(0)
	s_barrier
	s_and_saveexec_b64 s[2:3], vcc
	s_cbranch_execz .LBB221_85
; %bb.84:
	s_waitcnt vmcnt(0)
	v_mul_i32_i24_e32 v8, 0xffffffcc, v0
	v_add_u32_e32 v8, v1, v8
	ds_read_b32 v8, v8 offset:14332
.LBB221_85:
	s_or_b64 exec, exec, s[2:3]
	v_mov_b32_e32 v9, s55
	v_add_co_u32_e32 v14, vcc, s7, v50
	v_addc_co_u32_e32 v15, vcc, 0, v9, vcc
	s_movk_i32 s2, 0x1000
	v_add_co_u32_e32 v16, vcc, s2, v14
	v_addc_co_u32_e32 v17, vcc, 0, v15, vcc
	s_movk_i32 s2, 0x2000
	s_waitcnt lgkmcnt(0)
	s_barrier
	flat_load_dword v22, v[14:15]
	flat_load_dword v24, v[14:15] offset:1024
	flat_load_dword v26, v[14:15] offset:2048
	;; [unrolled: 1-line block ×3, first 2 shown]
	flat_load_dword v28, v[16:17]
	flat_load_dword v29, v[16:17] offset:1024
	flat_load_dword v30, v[16:17] offset:2048
	;; [unrolled: 1-line block ×3, first 2 shown]
	v_add_co_u32_e32 v16, vcc, s2, v14
	v_addc_co_u32_e32 v17, vcc, 0, v15, vcc
	s_movk_i32 s2, 0x3000
	v_add_co_u32_e32 v14, vcc, s2, v14
	v_addc_co_u32_e32 v15, vcc, 0, v15, vcc
	flat_load_dword v32, v[16:17]
	flat_load_dword v33, v[16:17] offset:1024
	flat_load_dword v34, v[16:17] offset:2048
	;; [unrolled: 1-line block ×3, first 2 shown]
	flat_load_dword v36, v[14:15]
	flat_load_dword v37, v[14:15] offset:1024
	s_waitcnt vmcnt(0)
	v_cmp_ne_u32_e32 vcc, v8, v2
	v_cndmask_b32_e64 v39, 0, 1, vcc
	v_cmp_ne_u32_e32 vcc, v5, v10
	v_cndmask_b32_e64 v9, 0, 1, vcc
	v_cmp_ne_u32_e32 vcc, v4, v5
	v_cmp_ne_u32_e64 s[2:3], v6, v7
	v_cndmask_b32_e64 v7, 0, 1, vcc
	v_cmp_ne_u32_e32 vcc, v3, v4
	v_cndmask_b32_e64 v5, 0, 1, vcc
	v_cmp_ne_u32_e32 vcc, v2, v3
	;; [unrolled: 2-line block ×10, first 2 shown]
	v_cndmask_b32_e64 v19, 0, 1, vcc
	s_mov_b64 s[18:19], -1
                                        ; implicit-def: $sgpr4_sgpr5
	s_waitcnt lgkmcnt(0)
	ds_write2st64_b32 v50, v22, v24 offset1:4
	ds_write2st64_b32 v50, v26, v27 offset0:8 offset1:12
	ds_write2st64_b32 v50, v28, v29 offset0:16 offset1:20
	;; [unrolled: 1-line block ×6, first 2 shown]
	s_waitcnt lgkmcnt(0)
	s_barrier
	ds_read2_b32 v[42:43], v1 offset1:13
	ds_read2_b32 v[26:27], v1 offset0:7 offset1:8
	ds_read2_b32 v[28:29], v1 offset0:5 offset1:6
	;; [unrolled: 1-line block ×6, first 2 shown]
	s_waitcnt lgkmcnt(6)
	v_mov_b32_e32 v38, v42
	s_waitcnt lgkmcnt(4)
	v_mov_b32_e32 v10, v28
	;; [unrolled: 2-line block ×4, first 2 shown]
	v_mov_b32_e32 v4, v33
	v_mov_b32_e32 v8, v31
	;; [unrolled: 1-line block ×5, first 2 shown]
	s_waitcnt lgkmcnt(0)
	v_mov_b32_e32 v18, v36
	v_mov_b32_e32 v20, v37
	;; [unrolled: 1-line block ×4, first 2 shown]
.LBB221_86:
	v_pk_mov_b32 v[40:41], s[4:5], s[4:5] op_sel:[0,1]
	s_and_saveexec_b64 s[4:5], s[18:19]
	s_cbranch_execz .LBB221_88
; %bb.87:
	v_cndmask_b32_e64 v41, 0, 1, s[2:3]
	s_waitcnt lgkmcnt(0)
	v_mov_b32_e32 v40, v43
.LBB221_88:
	s_or_b64 exec, exec, s[4:5]
	s_mov_b32 s26, 0
	s_cmp_lg_u32 s6, 0
	v_mbcnt_lo_u32_b32 v52, -1, 0
	v_lshrrev_b32_e32 v1, 6, v0
	v_or_b32_e32 v51, 63, v0
	s_waitcnt lgkmcnt(0)
	s_barrier
	s_cbranch_scc0 .LBB221_121
; %bb.89:
	s_mov_b32 s27, 1
	v_cmp_gt_u64_e64 s[2:3], s[26:27], v[2:3]
	v_cndmask_b32_e64 v27, 0, v38, s[2:3]
	v_add_u32_e32 v27, v27, v2
	v_cmp_gt_u64_e64 s[4:5], s[26:27], v[4:5]
	v_cndmask_b32_e64 v27, 0, v27, s[4:5]
	v_add_u32_e32 v27, v27, v4
	;; [unrolled: 3-line block ×13, first 2 shown]
	v_or3_b32 v27, v41, v25, v23
	v_or3_b32 v27, v27, v21, v19
	;; [unrolled: 1-line block ×6, first 2 shown]
	v_mov_b32_e32 v26, 0
	v_and_b32_e32 v27, 1, v27
	v_cmp_eq_u64_e32 vcc, 0, v[26:27]
	v_cndmask_b32_e32 v26, 1, v39, vcc
	v_mbcnt_hi_u32_b32 v46, -1, v52
	v_mov_b32_dpp v29, v28 row_shr:1 row_mask:0xf bank_mask:0xf
	v_mov_b32_dpp v30, v26 row_shr:1 row_mask:0xf bank_mask:0xf
	v_cmp_eq_u32_e32 vcc, 0, v26
	v_and_b32_e32 v31, 1, v26
	v_and_b32_e32 v27, 15, v46
	v_cndmask_b32_e32 v29, 0, v29, vcc
	v_and_b32_e32 v30, 1, v30
	v_cmp_eq_u32_e32 vcc, 1, v31
	v_cndmask_b32_e64 v30, v30, 1, vcc
	v_cmp_eq_u32_e32 vcc, 0, v27
	v_cndmask_b32_e32 v26, v30, v26, vcc
	v_and_b32_e32 v31, 1, v26
	v_cmp_eq_u32_e64 s[28:29], 1, v31
	v_mov_b32_dpp v30, v26 row_shr:2 row_mask:0xf bank_mask:0xf
	v_and_b32_e32 v30, 1, v30
	v_cndmask_b32_e64 v30, v30, 1, s[28:29]
	v_cmp_lt_u32_e64 s[28:29], 1, v27
	v_cndmask_b32_e64 v29, v29, 0, vcc
	v_cmp_eq_u32_e32 vcc, 0, v26
	v_cndmask_b32_e64 v26, v26, v30, s[28:29]
	v_add_u32_e32 v28, v29, v28
	v_and_b32_e32 v31, 1, v26
	v_mov_b32_dpp v30, v26 row_shr:4 row_mask:0xf bank_mask:0xf
	v_mov_b32_dpp v29, v28 row_shr:2 row_mask:0xf bank_mask:0xf
	s_and_b64 vcc, s[28:29], vcc
	v_and_b32_e32 v30, 1, v30
	v_cmp_eq_u32_e64 s[28:29], 1, v31
	v_cndmask_b32_e32 v29, 0, v29, vcc
	v_cndmask_b32_e64 v30, v30, 1, s[28:29]
	v_cmp_lt_u32_e64 s[28:29], 3, v27
	v_add_u32_e32 v28, v29, v28
	v_cmp_eq_u32_e32 vcc, 0, v26
	v_cndmask_b32_e64 v26, v26, v30, s[28:29]
	v_mov_b32_dpp v29, v28 row_shr:4 row_mask:0xf bank_mask:0xf
	s_and_b64 vcc, s[28:29], vcc
	v_mov_b32_dpp v30, v26 row_shr:8 row_mask:0xf bank_mask:0xf
	v_and_b32_e32 v31, 1, v26
	v_cndmask_b32_e32 v29, 0, v29, vcc
	v_and_b32_e32 v30, 1, v30
	v_cmp_eq_u32_e64 s[28:29], 1, v31
	v_add_u32_e32 v28, v29, v28
	v_cmp_eq_u32_e32 vcc, 0, v26
	v_cndmask_b32_e64 v30, v30, 1, s[28:29]
	v_cmp_lt_u32_e64 s[28:29], 7, v27
	v_mov_b32_dpp v29, v28 row_shr:8 row_mask:0xf bank_mask:0xf
	s_and_b64 vcc, s[28:29], vcc
	v_cndmask_b32_e32 v27, 0, v29, vcc
	v_cndmask_b32_e64 v26, v26, v30, s[28:29]
	v_add_u32_e32 v27, v27, v28
	v_cmp_eq_u32_e32 vcc, 0, v26
	v_mov_b32_dpp v29, v26 row_bcast:15 row_mask:0xf bank_mask:0xf
	v_mov_b32_dpp v28, v27 row_bcast:15 row_mask:0xf bank_mask:0xf
	v_and_b32_e32 v32, 1, v26
	v_and_b32_e32 v31, 16, v46
	v_cndmask_b32_e32 v28, 0, v28, vcc
	v_and_b32_e32 v29, 1, v29
	v_cmp_eq_u32_e32 vcc, 1, v32
	v_bfe_i32 v30, v46, 4, 1
	v_cndmask_b32_e64 v29, v29, 1, vcc
	v_cmp_eq_u32_e32 vcc, 0, v31
	v_and_b32_e32 v28, v30, v28
	v_cndmask_b32_e32 v26, v29, v26, vcc
	v_add_u32_e32 v27, v28, v27
	v_and_b32_e32 v30, 1, v26
	v_mov_b32_dpp v28, v26 row_bcast:31 row_mask:0xf bank_mask:0xf
	v_and_b32_e32 v28, 1, v28
	v_cmp_eq_u32_e64 s[28:29], 1, v30
	v_cmp_eq_u32_e32 vcc, 0, v26
	v_cndmask_b32_e64 v28, v28, 1, s[28:29]
	v_cmp_lt_u32_e64 s[28:29], 31, v46
	v_mov_b32_dpp v29, v27 row_bcast:31 row_mask:0xf bank_mask:0xf
	s_and_b64 vcc, s[28:29], vcc
	v_cndmask_b32_e64 v28, v26, v28, s[28:29]
	v_cndmask_b32_e32 v26, 0, v29, vcc
	v_add_u32_e32 v29, v26, v27
	v_cmp_eq_u32_e32 vcc, v51, v0
	s_and_saveexec_b64 s[28:29], vcc
	s_cbranch_execz .LBB221_91
; %bb.90:
	v_lshlrev_b32_e32 v26, 3, v1
	ds_write_b32 v26, v29
	ds_write_b8 v26, v28 offset:4
.LBB221_91:
	s_or_b64 exec, exec, s[28:29]
	v_cmp_gt_u32_e32 vcc, 4, v0
	s_waitcnt lgkmcnt(0)
	s_barrier
	s_and_saveexec_b64 s[28:29], vcc
	s_cbranch_execz .LBB221_95
; %bb.92:
	v_lshlrev_b32_e32 v30, 3, v0
	ds_read_b64 v[26:27], v30
	v_and_b32_e32 v31, 3, v46
	v_cmp_ne_u32_e32 vcc, 0, v31
	s_waitcnt lgkmcnt(0)
	v_mov_b32_dpp v32, v26 row_shr:1 row_mask:0xf bank_mask:0xf
	v_mov_b32_dpp v34, v27 row_shr:1 row_mask:0xf bank_mask:0xf
	v_mov_b32_e32 v33, v27
	s_and_saveexec_b64 s[34:35], vcc
	s_cbranch_execz .LBB221_94
; %bb.93:
	v_and_b32_e32 v33, 1, v27
	v_and_b32_e32 v34, 1, v34
	v_cmp_eq_u32_e32 vcc, 1, v33
	v_mov_b32_e32 v33, 0
	v_cndmask_b32_e64 v34, v34, 1, vcc
	v_cmp_eq_u16_sdwa vcc, v27, v33 src0_sel:BYTE_0 src1_sel:DWORD
	v_cndmask_b32_e32 v32, 0, v32, vcc
	v_add_u32_e32 v26, v32, v26
	v_and_b32_e32 v32, 0xffff, v34
	s_movk_i32 s7, 0xff00
	v_and_or_b32 v33, v27, s7, v32
	v_mov_b32_e32 v27, v34
.LBB221_94:
	s_or_b64 exec, exec, s[34:35]
	v_mov_b32_dpp v33, v33 row_shr:2 row_mask:0xf bank_mask:0xf
	v_and_b32_e32 v34, 1, v27
	v_and_b32_e32 v33, 1, v33
	v_cmp_eq_u32_e32 vcc, 1, v34
	v_mov_b32_e32 v34, 0
	v_cndmask_b32_e64 v33, v33, 1, vcc
	v_cmp_eq_u16_sdwa s[34:35], v27, v34 src0_sel:BYTE_0 src1_sel:DWORD
	v_cmp_lt_u32_e32 vcc, 1, v31
	v_mov_b32_dpp v32, v26 row_shr:2 row_mask:0xf bank_mask:0xf
	v_cndmask_b32_e32 v27, v27, v33, vcc
	s_and_b64 vcc, vcc, s[34:35]
	v_cndmask_b32_e32 v31, 0, v32, vcc
	v_add_u32_e32 v26, v31, v26
	ds_write_b32 v30, v26
	ds_write_b8 v30, v27 offset:4
.LBB221_95:
	s_or_b64 exec, exec, s[28:29]
	v_cmp_gt_u32_e32 vcc, 64, v0
	v_cmp_lt_u32_e64 s[28:29], 63, v0
	v_mov_b32_e32 v42, 0
	v_mov_b32_e32 v43, 0
	s_waitcnt lgkmcnt(0)
	s_barrier
	s_and_saveexec_b64 s[34:35], s[28:29]
	s_cbranch_execz .LBB221_97
; %bb.96:
	v_lshl_add_u32 v26, v1, 3, -8
	ds_read_b32 v42, v26
	ds_read_u8 v43, v26 offset:4
	v_and_b32_e32 v27, 1, v28
	v_cmp_eq_u32_e64 s[28:29], 0, v28
	s_waitcnt lgkmcnt(1)
	v_cndmask_b32_e64 v26, 0, v42, s[28:29]
	v_cmp_eq_u32_e64 s[28:29], 1, v27
	v_add_u32_e32 v29, v26, v29
	s_waitcnt lgkmcnt(0)
	v_cndmask_b32_e64 v28, v43, 1, s[28:29]
.LBB221_97:
	s_or_b64 exec, exec, s[34:35]
	v_add_u32_e32 v26, -1, v46
	v_and_b32_e32 v27, 64, v46
	v_cmp_lt_i32_e64 s[28:29], v26, v27
	v_cndmask_b32_e64 v26, v26, v46, s[28:29]
	v_lshlrev_b32_e32 v26, 2, v26
	ds_bpermute_b32 v44, v26, v29
	ds_bpermute_b32 v45, v26, v28
	v_cmp_eq_u32_e64 s[28:29], 0, v46
	s_and_saveexec_b64 s[40:41], vcc
	s_cbranch_execz .LBB221_120
; %bb.98:
	v_mov_b32_e32 v29, 0
	ds_read_b64 v[26:27], v29 offset:24
	s_waitcnt lgkmcnt(0)
	v_readfirstlane_b32 s7, v27
	s_and_saveexec_b64 s[34:35], s[28:29]
	s_cbranch_execz .LBB221_100
; %bb.99:
	s_add_i32 s44, s6, 64
	s_mov_b32 s45, 0
	s_lshl_b64 s[48:49], s[44:45], 4
	s_add_u32 s48, s52, s48
	s_addc_u32 s49, s53, s49
	s_and_b32 s51, s7, 0xff000000
	s_mov_b32 s50, s45
	s_and_b32 s59, s7, 0xff0000
	s_mov_b32 s58, s45
	s_or_b64 s[50:51], s[58:59], s[50:51]
	s_and_b32 s59, s7, 0xff00
	s_or_b64 s[50:51], s[50:51], s[58:59]
	s_and_b32 s59, s7, 0xff
	s_or_b64 s[44:45], s[50:51], s[58:59]
	v_mov_b32_e32 v27, s45
	v_mov_b32_e32 v28, 1
	v_pk_mov_b32 v[30:31], s[48:49], s[48:49] op_sel:[0,1]
	;;#ASMSTART
	global_store_dwordx4 v[30:31], v[26:29] off	
s_waitcnt vmcnt(0)
	;;#ASMEND
.LBB221_100:
	s_or_b64 exec, exec, s[34:35]
	v_xad_u32 v34, v46, -1, s6
	v_add_u32_e32 v28, 64, v34
	v_lshlrev_b64 v[30:31], 4, v[28:29]
	v_mov_b32_e32 v27, s53
	v_add_co_u32_e32 v36, vcc, s52, v30
	v_addc_co_u32_e32 v37, vcc, v27, v31, vcc
	;;#ASMSTART
	global_load_dwordx4 v[30:33], v[36:37] off glc	
s_waitcnt vmcnt(0)
	;;#ASMEND
	v_and_b32_e32 v27, 0xff0000, v30
	v_or_b32_sdwa v27, v30, v27 dst_sel:DWORD dst_unused:UNUSED_PAD src0_sel:WORD_0 src1_sel:DWORD
	v_and_b32_e32 v28, 0xff000000, v30
	v_and_b32_e32 v30, 0xff, v31
	v_or3_b32 v31, 0, 0, v30
	v_or3_b32 v30, v27, v28, 0
	v_cmp_eq_u16_sdwa s[44:45], v32, v29 src0_sel:BYTE_0 src1_sel:DWORD
	s_and_saveexec_b64 s[34:35], s[44:45]
	s_cbranch_execz .LBB221_106
; %bb.101:
	s_mov_b32 s48, 1
	s_mov_b64 s[44:45], 0
	v_mov_b32_e32 v27, 0
.LBB221_102:                            ; =>This Loop Header: Depth=1
                                        ;     Child Loop BB221_103 Depth 2
	s_max_u32 s49, s48, 1
.LBB221_103:                            ;   Parent Loop BB221_102 Depth=1
                                        ; =>  This Inner Loop Header: Depth=2
	s_add_i32 s49, s49, -1
	s_cmp_eq_u32 s49, 0
	s_sleep 1
	s_cbranch_scc0 .LBB221_103
; %bb.104:                              ;   in Loop: Header=BB221_102 Depth=1
	s_cmp_lt_u32 s48, 32
	s_cselect_b64 s[50:51], -1, 0
	s_cmp_lg_u64 s[50:51], 0
	s_addc_u32 s48, s48, 0
	;;#ASMSTART
	global_load_dwordx4 v[30:33], v[36:37] off glc	
s_waitcnt vmcnt(0)
	;;#ASMEND
	v_cmp_ne_u16_sdwa s[50:51], v32, v27 src0_sel:BYTE_0 src1_sel:DWORD
	s_or_b64 s[44:45], s[50:51], s[44:45]
	s_andn2_b64 exec, exec, s[44:45]
	s_cbranch_execnz .LBB221_102
; %bb.105:
	s_or_b64 exec, exec, s[44:45]
	v_and_b32_e32 v31, 0xff, v31
.LBB221_106:
	s_or_b64 exec, exec, s[34:35]
	v_mov_b32_e32 v27, 2
	v_cmp_eq_u16_sdwa s[34:35], v32, v27 src0_sel:BYTE_0 src1_sel:DWORD
	v_lshlrev_b64 v[28:29], v46, -1
	v_and_b32_e32 v33, s35, v29
	v_or_b32_e32 v33, 0x80000000, v33
	v_and_b32_e32 v35, s34, v28
	v_ffbl_b32_e32 v33, v33
	v_and_b32_e32 v47, 63, v46
	v_add_u32_e32 v33, 32, v33
	v_ffbl_b32_e32 v35, v35
	v_cmp_ne_u32_e32 vcc, 63, v47
	v_min_u32_e32 v33, v35, v33
	v_addc_co_u32_e32 v35, vcc, 0, v46, vcc
	v_lshlrev_b32_e32 v48, 2, v35
	ds_bpermute_b32 v35, v48, v31
	ds_bpermute_b32 v36, v48, v30
	s_mov_b32 s44, 0
	v_and_b32_e32 v37, 1, v31
	s_mov_b32 s45, 1
	s_waitcnt lgkmcnt(1)
	v_and_b32_e32 v35, 1, v35
	v_cmp_eq_u32_e32 vcc, 1, v37
	v_cndmask_b32_e64 v35, v35, 1, vcc
	v_cmp_gt_u64_e32 vcc, s[44:45], v[30:31]
	v_cmp_lt_u32_e64 s[34:35], v47, v33
	s_and_b64 vcc, s[34:35], vcc
	v_and_b32_e32 v37, 0xffff, v35
	v_cndmask_b32_e64 v54, v31, v35, s[34:35]
	s_waitcnt lgkmcnt(0)
	v_cndmask_b32_e32 v35, 0, v36, vcc
	v_cmp_gt_u32_e32 vcc, 62, v47
	v_cndmask_b32_e64 v36, 0, 1, vcc
	v_lshlrev_b32_e32 v36, 1, v36
	v_cndmask_b32_e64 v31, v31, v37, s[34:35]
	v_add_lshl_u32 v49, v36, v46, 2
	ds_bpermute_b32 v36, v49, v31
	v_add_u32_e32 v30, v35, v30
	ds_bpermute_b32 v37, v49, v30
	v_and_b32_e32 v35, 1, v54
	v_cmp_eq_u32_e32 vcc, 1, v35
	s_waitcnt lgkmcnt(1)
	v_and_b32_e32 v36, 1, v36
	v_mov_b32_e32 v35, 0
	v_add_u32_e32 v53, 2, v47
	v_cndmask_b32_e64 v36, v36, 1, vcc
	v_cmp_eq_u16_sdwa vcc, v54, v35 src0_sel:BYTE_0 src1_sel:DWORD
	v_and_b32_e32 v55, 0xffff, v36
	s_waitcnt lgkmcnt(0)
	v_cndmask_b32_e32 v37, 0, v37, vcc
	v_cmp_gt_u32_e32 vcc, v53, v33
	v_cndmask_b32_e32 v36, v36, v54, vcc
	v_cndmask_b32_e64 v37, v37, 0, vcc
	v_cndmask_b32_e32 v31, v55, v31, vcc
	v_cmp_gt_u32_e32 vcc, 60, v47
	v_cndmask_b32_e64 v54, 0, 1, vcc
	v_lshlrev_b32_e32 v54, 2, v54
	v_add_lshl_u32 v54, v54, v46, 2
	ds_bpermute_b32 v56, v54, v31
	v_add_u32_e32 v30, v37, v30
	ds_bpermute_b32 v37, v54, v30
	v_and_b32_e32 v57, 1, v36
	v_cmp_eq_u32_e32 vcc, 1, v57
	s_waitcnt lgkmcnt(1)
	v_and_b32_e32 v56, 1, v56
	v_add_u32_e32 v55, 4, v47
	v_cndmask_b32_e64 v56, v56, 1, vcc
	v_cmp_eq_u16_sdwa vcc, v36, v35 src0_sel:BYTE_0 src1_sel:DWORD
	v_and_b32_e32 v57, 0xffff, v56
	s_waitcnt lgkmcnt(0)
	v_cndmask_b32_e32 v37, 0, v37, vcc
	v_cmp_gt_u32_e32 vcc, v55, v33
	v_cndmask_b32_e32 v36, v56, v36, vcc
	v_cndmask_b32_e64 v37, v37, 0, vcc
	v_cndmask_b32_e32 v31, v57, v31, vcc
	v_cmp_gt_u32_e32 vcc, 56, v47
	v_cndmask_b32_e64 v56, 0, 1, vcc
	v_lshlrev_b32_e32 v56, 3, v56
	v_add_lshl_u32 v56, v56, v46, 2
	ds_bpermute_b32 v58, v56, v31
	v_add_u32_e32 v30, v37, v30
	ds_bpermute_b32 v37, v56, v30
	v_and_b32_e32 v59, 1, v36
	v_cmp_eq_u32_e32 vcc, 1, v59
	s_waitcnt lgkmcnt(1)
	v_and_b32_e32 v58, 1, v58
	;; [unrolled: 21-line block ×4, first 2 shown]
	v_add_u32_e32 v62, 32, v47
	v_cndmask_b32_e64 v31, v31, 1, vcc
	v_cmp_eq_u16_sdwa vcc, v36, v35 src0_sel:BYTE_0 src1_sel:DWORD
	s_waitcnt lgkmcnt(0)
	v_cndmask_b32_e32 v37, 0, v37, vcc
	v_cmp_gt_u32_e32 vcc, v62, v33
	v_cndmask_b32_e64 v33, v37, 0, vcc
	v_cndmask_b32_e32 v31, v31, v36, vcc
	v_add_u32_e32 v30, v33, v30
	s_branch .LBB221_108
.LBB221_107:                            ;   in Loop: Header=BB221_108 Depth=1
	s_or_b64 exec, exec, s[34:35]
	v_cmp_eq_u16_sdwa s[34:35], v32, v27 src0_sel:BYTE_0 src1_sel:DWORD
	v_and_b32_e32 v33, s35, v29
	ds_bpermute_b32 v37, v48, v31
	v_or_b32_e32 v33, 0x80000000, v33
	v_and_b32_e32 v36, s34, v28
	v_ffbl_b32_e32 v33, v33
	v_add_u32_e32 v33, 32, v33
	v_ffbl_b32_e32 v36, v36
	v_min_u32_e32 v33, v36, v33
	ds_bpermute_b32 v36, v48, v30
	v_and_b32_e32 v63, 1, v31
	s_waitcnt lgkmcnt(1)
	v_and_b32_e32 v37, 1, v37
	v_cmp_eq_u32_e32 vcc, 1, v63
	v_cndmask_b32_e64 v37, v37, 1, vcc
	v_cmp_gt_u64_e32 vcc, s[44:45], v[30:31]
	v_and_b32_e32 v63, 0xffff, v37
	v_cmp_lt_u32_e64 s[34:35], v47, v33
	v_cndmask_b32_e64 v37, v31, v37, s[34:35]
	v_cndmask_b32_e64 v31, v31, v63, s[34:35]
	s_and_b64 vcc, s[34:35], vcc
	ds_bpermute_b32 v63, v49, v31
	s_waitcnt lgkmcnt(1)
	v_cndmask_b32_e32 v36, 0, v36, vcc
	v_add_u32_e32 v30, v36, v30
	ds_bpermute_b32 v36, v49, v30
	v_and_b32_e32 v64, 1, v37
	s_waitcnt lgkmcnt(1)
	v_and_b32_e32 v63, 1, v63
	v_cmp_eq_u32_e32 vcc, 1, v64
	v_cndmask_b32_e64 v63, v63, 1, vcc
	v_cmp_eq_u16_sdwa vcc, v37, v35 src0_sel:BYTE_0 src1_sel:DWORD
	v_and_b32_e32 v64, 0xffff, v63
	s_waitcnt lgkmcnt(0)
	v_cndmask_b32_e32 v36, 0, v36, vcc
	v_cmp_gt_u32_e32 vcc, v53, v33
	v_cndmask_b32_e32 v31, v64, v31, vcc
	v_cndmask_b32_e32 v37, v63, v37, vcc
	ds_bpermute_b32 v63, v54, v31
	v_cndmask_b32_e64 v36, v36, 0, vcc
	v_add_u32_e32 v30, v36, v30
	ds_bpermute_b32 v36, v54, v30
	v_and_b32_e32 v64, 1, v37
	s_waitcnt lgkmcnt(1)
	v_and_b32_e32 v63, 1, v63
	v_cmp_eq_u32_e32 vcc, 1, v64
	v_cndmask_b32_e64 v63, v63, 1, vcc
	v_cmp_eq_u16_sdwa vcc, v37, v35 src0_sel:BYTE_0 src1_sel:DWORD
	v_and_b32_e32 v64, 0xffff, v63
	s_waitcnt lgkmcnt(0)
	v_cndmask_b32_e32 v36, 0, v36, vcc
	v_cmp_gt_u32_e32 vcc, v55, v33
	v_cndmask_b32_e32 v31, v64, v31, vcc
	v_cndmask_b32_e32 v37, v63, v37, vcc
	ds_bpermute_b32 v63, v56, v31
	v_cndmask_b32_e64 v36, v36, 0, vcc
	;; [unrolled: 16-line block ×3, first 2 shown]
	v_add_u32_e32 v30, v36, v30
	ds_bpermute_b32 v36, v58, v30
	v_and_b32_e32 v64, 1, v37
	s_waitcnt lgkmcnt(1)
	v_and_b32_e32 v63, 1, v63
	v_cmp_eq_u32_e32 vcc, 1, v64
	v_cndmask_b32_e64 v63, v63, 1, vcc
	v_cmp_eq_u16_sdwa vcc, v37, v35 src0_sel:BYTE_0 src1_sel:DWORD
	v_and_b32_e32 v64, 0xffff, v63
	s_waitcnt lgkmcnt(0)
	v_cndmask_b32_e32 v36, 0, v36, vcc
	v_cmp_gt_u32_e32 vcc, v59, v33
	v_cndmask_b32_e64 v36, v36, 0, vcc
	v_cndmask_b32_e32 v31, v64, v31, vcc
	ds_bpermute_b32 v31, v61, v31
	v_add_u32_e32 v30, v36, v30
	ds_bpermute_b32 v36, v61, v30
	v_cndmask_b32_e32 v37, v63, v37, vcc
	v_and_b32_e32 v63, 1, v37
	v_cmp_eq_u32_e32 vcc, 1, v63
	s_waitcnt lgkmcnt(1)
	v_cndmask_b32_e64 v31, v31, 1, vcc
	v_cmp_eq_u16_sdwa vcc, v37, v35 src0_sel:BYTE_0 src1_sel:DWORD
	s_waitcnt lgkmcnt(0)
	v_cndmask_b32_e32 v36, 0, v36, vcc
	v_cmp_gt_u32_e32 vcc, v62, v33
	v_cndmask_b32_e64 v33, v36, 0, vcc
	v_cndmask_b32_e32 v31, v31, v37, vcc
	v_add_u32_e32 v30, v33, v30
	v_cmp_eq_u16_sdwa vcc, v46, v35 src0_sel:BYTE_0 src1_sel:DWORD
	v_and_b32_e32 v33, 1, v46
	v_cndmask_b32_e32 v30, 0, v30, vcc
	v_and_b32_e32 v31, 1, v31
	v_cmp_eq_u32_e32 vcc, 1, v33
	v_subrev_u32_e32 v34, 64, v34
	v_add_u32_e32 v30, v30, v60
	v_cndmask_b32_e64 v31, v31, 1, vcc
.LBB221_108:                            ; =>This Loop Header: Depth=1
                                        ;     Child Loop BB221_111 Depth 2
                                        ;       Child Loop BB221_112 Depth 3
	v_cmp_ne_u16_sdwa s[34:35], v32, v27 src0_sel:BYTE_0 src1_sel:DWORD
	v_mov_b32_e32 v46, v31
	v_cndmask_b32_e64 v31, 0, 1, s[34:35]
	;;#ASMSTART
	;;#ASMEND
	v_cmp_ne_u32_e32 vcc, 0, v31
	s_cmp_lg_u64 vcc, exec
	v_mov_b32_e32 v60, v30
	s_cbranch_scc1 .LBB221_115
; %bb.109:                              ;   in Loop: Header=BB221_108 Depth=1
	v_lshlrev_b64 v[30:31], 4, v[34:35]
	v_mov_b32_e32 v32, s53
	v_add_co_u32_e32 v36, vcc, s52, v30
	v_addc_co_u32_e32 v37, vcc, v32, v31, vcc
	;;#ASMSTART
	global_load_dwordx4 v[30:33], v[36:37] off glc	
s_waitcnt vmcnt(0)
	;;#ASMEND
	v_and_b32_e32 v33, 0xff0000, v30
	v_or_b32_sdwa v33, v30, v33 dst_sel:DWORD dst_unused:UNUSED_PAD src0_sel:WORD_0 src1_sel:DWORD
	v_and_b32_e32 v30, 0xff000000, v30
	v_and_b32_e32 v31, 0xff, v31
	v_or3_b32 v31, 0, 0, v31
	v_or3_b32 v30, v33, v30, 0
	v_cmp_eq_u16_sdwa s[48:49], v32, v35 src0_sel:BYTE_0 src1_sel:DWORD
	s_and_saveexec_b64 s[34:35], s[48:49]
	s_cbranch_execz .LBB221_107
; %bb.110:                              ;   in Loop: Header=BB221_108 Depth=1
	s_mov_b32 s50, 1
	s_mov_b64 s[48:49], 0
.LBB221_111:                            ;   Parent Loop BB221_108 Depth=1
                                        ; =>  This Loop Header: Depth=2
                                        ;       Child Loop BB221_112 Depth 3
	s_max_u32 s51, s50, 1
.LBB221_112:                            ;   Parent Loop BB221_108 Depth=1
                                        ;     Parent Loop BB221_111 Depth=2
                                        ; =>    This Inner Loop Header: Depth=3
	s_add_i32 s51, s51, -1
	s_cmp_eq_u32 s51, 0
	s_sleep 1
	s_cbranch_scc0 .LBB221_112
; %bb.113:                              ;   in Loop: Header=BB221_111 Depth=2
	s_cmp_lt_u32 s50, 32
	s_cselect_b64 s[58:59], -1, 0
	s_cmp_lg_u64 s[58:59], 0
	s_addc_u32 s50, s50, 0
	;;#ASMSTART
	global_load_dwordx4 v[30:33], v[36:37] off glc	
s_waitcnt vmcnt(0)
	;;#ASMEND
	v_cmp_ne_u16_sdwa s[58:59], v32, v35 src0_sel:BYTE_0 src1_sel:DWORD
	s_or_b64 s[48:49], s[58:59], s[48:49]
	s_andn2_b64 exec, exec, s[48:49]
	s_cbranch_execnz .LBB221_111
; %bb.114:                              ;   in Loop: Header=BB221_108 Depth=1
	s_or_b64 exec, exec, s[48:49]
	v_and_b32_e32 v31, 0xff, v31
	s_branch .LBB221_107
.LBB221_115:                            ;   in Loop: Header=BB221_108 Depth=1
                                        ; implicit-def: $vgpr31
                                        ; implicit-def: $vgpr30
                                        ; implicit-def: $vgpr32
	s_cbranch_execz .LBB221_108
; %bb.116:
	s_and_saveexec_b64 s[34:35], s[28:29]
	s_cbranch_execz .LBB221_118
; %bb.117:
	s_and_b32 s44, s7, 0xff
	s_cmp_eq_u32 s44, 0
	s_cselect_b64 vcc, -1, 0
	s_bitcmp1_b32 s7, 0
	s_mov_b32 s45, 0
	s_cselect_b64 s[48:49], -1, 0
	s_add_i32 s44, s6, 64
	s_lshl_b64 s[6:7], s[44:45], 4
	v_cndmask_b32_e32 v27, 0, v60, vcc
	s_add_u32 s6, s52, s6
	v_add_u32_e32 v26, v27, v26
	v_and_b32_e32 v27, 1, v46
	s_addc_u32 s7, s53, s7
	v_mov_b32_e32 v29, 0
	v_cndmask_b32_e64 v27, v27, 1, s[48:49]
	v_mov_b32_e32 v28, 2
	v_pk_mov_b32 v[30:31], s[6:7], s[6:7] op_sel:[0,1]
	;;#ASMSTART
	global_store_dwordx4 v[30:31], v[26:29] off	
s_waitcnt vmcnt(0)
	;;#ASMEND
.LBB221_118:
	s_or_b64 exec, exec, s[34:35]
	v_cmp_eq_u32_e32 vcc, 0, v0
	s_and_b64 exec, exec, vcc
	s_cbranch_execz .LBB221_120
; %bb.119:
	v_mov_b32_e32 v26, 0
	ds_write_b32 v26, v60 offset:24
	ds_write_b8 v26, v46 offset:28
.LBB221_120:
	s_or_b64 exec, exec, s[40:41]
	s_mov_b32 s6, 0
	v_mov_b32_e32 v28, 0
	s_mov_b32 s7, 1
	s_waitcnt lgkmcnt(0)
	v_cndmask_b32_e64 v26, v45, v43, s[28:29]
	v_cndmask_b32_e64 v27, v44, v42, s[28:29]
	s_barrier
	ds_read_b32 v29, v28 offset:24
	v_cmp_gt_u64_e32 vcc, s[6:7], v[38:39]
	v_and_b32_e32 v30, 1, v39
	v_cndmask_b32_e32 v27, 0, v27, vcc
	v_and_b32_e32 v26, 1, v26
	v_cmp_eq_u32_e32 vcc, 1, v30
	v_cndmask_b32_e64 v26, v26, 1, vcc
	v_cmp_eq_u32_e32 vcc, 0, v0
	v_cndmask_b32_e32 v26, v26, v39, vcc
	v_cndmask_b32_e64 v27, v27, 0, vcc
	v_cmp_eq_u16_sdwa vcc, v26, v28 src0_sel:BYTE_0 src1_sel:DWORD
	s_waitcnt lgkmcnt(0)
	v_cndmask_b32_e32 v26, 0, v29, vcc
	v_add3_u32 v26, v27, v38, v26
	v_cndmask_b32_e64 v27, 0, v26, s[2:3]
	v_add_u32_e32 v27, v27, v2
	v_cndmask_b32_e64 v28, 0, v27, s[4:5]
	v_add_u32_e32 v42, v28, v4
	v_cndmask_b32_e64 v28, 0, v42, s[30:31]
	v_add_u32_e32 v43, v28, v6
	v_cndmask_b32_e64 v28, 0, v43, s[8:9]
	v_add_u32_e32 v30, v28, v8
	v_cndmask_b32_e64 v28, 0, v30, s[10:11]
	v_add_u32_e32 v31, v28, v10
	v_cndmask_b32_e64 v28, 0, v31, s[12:13]
	v_add_u32_e32 v44, v28, v12
	v_cndmask_b32_e64 v28, 0, v44, s[14:15]
	v_add_u32_e32 v45, v28, v14
	v_cndmask_b32_e64 v28, 0, v45, s[16:17]
	v_add_u32_e32 v34, v28, v16
	v_cndmask_b32_e64 v28, 0, v34, s[18:19]
	v_add_u32_e32 v35, v28, v18
	v_cndmask_b32_e64 v28, 0, v35, s[20:21]
	v_add_u32_e32 v46, v28, v20
	v_cndmask_b32_e64 v28, 0, v46, s[22:23]
	v_add_u32_e32 v47, v28, v22
	v_cndmask_b32_e64 v28, 0, v47, s[24:25]
	v_add_u32_e32 v48, v28, v24
	v_cndmask_b32_e64 v28, 0, v48, s[26:27]
	v_add_u32_e32 v49, v28, v40
	s_branch .LBB221_137
.LBB221_121:
                                        ; implicit-def: $vgpr49
                                        ; implicit-def: $vgpr47
                                        ; implicit-def: $vgpr45
                                        ; implicit-def: $vgpr43
                                        ; implicit-def: $vgpr34_vgpr35_vgpr36_vgpr37
                                        ; implicit-def: $vgpr30_vgpr31_vgpr32_vgpr33
                                        ; implicit-def: $vgpr26_vgpr27_vgpr28_vgpr29
	s_cbranch_execz .LBB221_137
; %bb.122:
	s_cmp_lg_u64 s[56:57], 0
	s_cselect_b32 s5, s47, 0
	s_cselect_b32 s4, s46, 0
	s_cmp_lg_u64 s[4:5], 0
	s_cselect_b64 s[6:7], -1, 0
	v_cmp_eq_u32_e32 vcc, 0, v0
	s_mov_b32 s28, 0
	v_cmp_ne_u32_e64 s[2:3], 0, v0
	s_and_b64 s[8:9], vcc, s[6:7]
	s_and_saveexec_b64 s[6:7], s[8:9]
	s_cbranch_execz .LBB221_124
; %bb.123:
	v_mov_b32_e32 v26, 0
	global_load_dword v28, v26, s[4:5]
	global_load_ubyte v29, v26, s[4:5] offset:4
	s_mov_b32 s29, 1
	v_and_b32_e32 v27, 1, v39
	v_cmp_gt_u64_e64 s[4:5], s[28:29], v[38:39]
	s_waitcnt vmcnt(1)
	v_cndmask_b32_e64 v28, 0, v28, s[4:5]
	s_waitcnt vmcnt(0)
	v_and_b32_e32 v29, 1, v29
	v_cmp_eq_u64_e64 s[4:5], 0, v[26:27]
	v_add_u32_e32 v38, v28, v38
	v_cndmask_b32_e64 v39, 1, v29, s[4:5]
.LBB221_124:
	s_or_b64 exec, exec, s[6:7]
	s_mov_b32 s29, 1
	v_cmp_gt_u64_e64 s[4:5], s[28:29], v[2:3]
	v_cndmask_b32_e64 v26, 0, v38, s[4:5]
	v_add_u32_e32 v27, v26, v2
	v_cmp_gt_u64_e64 s[6:7], s[28:29], v[4:5]
	v_cndmask_b32_e64 v26, 0, v27, s[6:7]
	v_add_u32_e32 v42, v26, v4
	;; [unrolled: 3-line block ×7, first 2 shown]
	v_cmp_gt_u64_e64 s[18:19], s[28:29], v[16:17]
	v_mov_b32_e32 v28, 0
	v_cndmask_b32_e64 v26, 0, v45, s[18:19]
	v_or3_b32 v7, v23, v15, v7
	v_add_u32_e32 v34, v26, v16
	v_cmp_gt_u64_e64 s[20:21], s[28:29], v[18:19]
	v_or3_b32 v9, v25, v17, v9
	v_and_b32_e32 v55, 1, v7
	v_mov_b32_e32 v54, v28
	v_cndmask_b32_e64 v26, 0, v34, s[20:21]
	v_or3_b32 v3, v19, v11, v3
	v_and_b32_e32 v37, 1, v9
	v_mov_b32_e32 v36, v28
	v_cmp_ne_u64_e64 s[34:35], 0, v[54:55]
	v_add_u32_e32 v35, v26, v18
	v_cmp_gt_u64_e64 s[22:23], s[28:29], v[20:21]
	v_or3_b32 v5, v21, v13, v5
	v_and_b32_e32 v29, 1, v3
	v_cndmask_b32_e64 v3, 0, 1, s[34:35]
	v_cmp_ne_u64_e64 s[34:35], 0, v[36:37]
	v_cndmask_b32_e64 v26, 0, v35, s[22:23]
	v_and_b32_e32 v33, 1, v5
	v_mov_b32_e32 v32, v28
	v_cndmask_b32_e64 v5, 0, 1, s[34:35]
	v_add_u32_e32 v46, v26, v20
	v_cmp_gt_u64_e64 s[24:25], s[28:29], v[22:23]
	v_lshlrev_b16_e32 v3, 2, v3
	v_lshlrev_b16_e32 v5, 3, v5
	v_cmp_ne_u64_e64 s[34:35], 0, v[32:33]
	v_cndmask_b32_e64 v26, 0, v46, s[24:25]
	v_or_b32_e32 v3, v5, v3
	v_cndmask_b32_e64 v5, 0, 1, s[34:35]
	v_cmp_ne_u64_e64 s[34:35], 0, v[28:29]
	v_add_u32_e32 v47, v26, v22
	v_cmp_gt_u64_e64 s[26:27], s[28:29], v[24:25]
	v_lshlrev_b16_e32 v5, 1, v5
	v_cndmask_b32_e64 v7, 0, 1, s[34:35]
	v_cndmask_b32_e64 v26, 0, v47, s[26:27]
	v_or_b32_e32 v5, v7, v5
	v_add_u32_e32 v48, v26, v24
	v_cmp_gt_u64_e64 s[28:29], s[28:29], v[40:41]
	v_and_b32_e32 v5, 3, v5
	v_cndmask_b32_e64 v26, 0, v48, s[28:29]
	v_or_b32_e32 v3, v5, v3
	v_add_u32_e32 v49, v26, v40
	v_and_b32_e32 v26, 1, v41
	v_and_b32_e32 v3, 15, v3
	v_cmp_eq_u32_e64 s[30:31], 1, v26
	v_cmp_ne_u16_e64 s[34:35], 0, v3
	s_or_b64 s[30:31], s[30:31], s[34:35]
	v_cndmask_b32_e64 v5, v39, 1, s[30:31]
	v_mbcnt_hi_u32_b32 v3, -1, v52
	v_mov_b32_dpp v9, v49 row_shr:1 row_mask:0xf bank_mask:0xf
	v_mov_b32_dpp v11, v5 row_shr:1 row_mask:0xf bank_mask:0xf
	v_cmp_eq_u32_e64 s[30:31], 0, v5
	v_and_b32_e32 v13, 1, v5
	v_and_b32_e32 v7, 15, v3
	v_cndmask_b32_e64 v9, 0, v9, s[30:31]
	v_and_b32_e32 v11, 1, v11
	v_cmp_eq_u32_e64 s[30:31], 1, v13
	v_cndmask_b32_e64 v11, v11, 1, s[30:31]
	v_cmp_eq_u32_e64 s[30:31], 0, v7
	v_cndmask_b32_e64 v5, v11, v5, s[30:31]
	v_and_b32_e32 v15, 1, v5
	v_cmp_eq_u32_e64 s[34:35], 1, v15
	v_mov_b32_dpp v13, v5 row_shr:2 row_mask:0xf bank_mask:0xf
	v_and_b32_e32 v13, 1, v13
	v_cndmask_b32_e64 v13, v13, 1, s[34:35]
	v_cmp_lt_u32_e64 s[34:35], 1, v7
	v_cndmask_b32_e64 v9, v9, 0, s[30:31]
	v_cmp_eq_u32_e64 s[30:31], 0, v5
	v_cndmask_b32_e64 v5, v5, v13, s[34:35]
	v_add_u32_e32 v9, v49, v9
	v_and_b32_e32 v15, 1, v5
	v_mov_b32_dpp v13, v5 row_shr:4 row_mask:0xf bank_mask:0xf
	v_mov_b32_dpp v11, v9 row_shr:2 row_mask:0xf bank_mask:0xf
	s_and_b64 s[30:31], s[34:35], s[30:31]
	v_and_b32_e32 v13, 1, v13
	v_cmp_eq_u32_e64 s[34:35], 1, v15
	v_cndmask_b32_e64 v11, 0, v11, s[30:31]
	v_cndmask_b32_e64 v13, v13, 1, s[34:35]
	v_cmp_lt_u32_e64 s[34:35], 3, v7
	v_add_u32_e32 v9, v9, v11
	v_cmp_eq_u32_e64 s[30:31], 0, v5
	v_cndmask_b32_e64 v5, v5, v13, s[34:35]
	v_mov_b32_dpp v11, v9 row_shr:4 row_mask:0xf bank_mask:0xf
	s_and_b64 s[30:31], s[34:35], s[30:31]
	v_mov_b32_dpp v13, v5 row_shr:8 row_mask:0xf bank_mask:0xf
	v_and_b32_e32 v15, 1, v5
	v_cndmask_b32_e64 v11, 0, v11, s[30:31]
	v_and_b32_e32 v13, 1, v13
	v_cmp_eq_u32_e64 s[34:35], 1, v15
	v_add_u32_e32 v9, v9, v11
	v_cmp_eq_u32_e64 s[30:31], 0, v5
	v_cndmask_b32_e64 v13, v13, 1, s[34:35]
	v_cmp_lt_u32_e64 s[34:35], 7, v7
	v_mov_b32_dpp v11, v9 row_shr:8 row_mask:0xf bank_mask:0xf
	s_and_b64 s[30:31], s[34:35], s[30:31]
	v_cndmask_b32_e64 v7, 0, v11, s[30:31]
	v_cndmask_b32_e64 v5, v5, v13, s[34:35]
	v_add_u32_e32 v7, v9, v7
	v_cmp_eq_u32_e64 s[30:31], 0, v5
	v_mov_b32_dpp v11, v5 row_bcast:15 row_mask:0xf bank_mask:0xf
	v_mov_b32_dpp v9, v7 row_bcast:15 row_mask:0xf bank_mask:0xf
	v_and_b32_e32 v17, 1, v5
	v_and_b32_e32 v15, 16, v3
	v_cndmask_b32_e64 v9, 0, v9, s[30:31]
	v_and_b32_e32 v11, 1, v11
	v_cmp_eq_u32_e64 s[30:31], 1, v17
	v_bfe_i32 v13, v3, 4, 1
	v_cndmask_b32_e64 v11, v11, 1, s[30:31]
	v_cmp_eq_u32_e64 s[30:31], 0, v15
	v_and_b32_e32 v9, v13, v9
	v_cndmask_b32_e64 v5, v11, v5, s[30:31]
	v_add_u32_e32 v9, v7, v9
	v_and_b32_e32 v13, 1, v5
	v_mov_b32_dpp v7, v5 row_bcast:31 row_mask:0xf bank_mask:0xf
	v_and_b32_e32 v7, 1, v7
	v_cmp_eq_u32_e64 s[34:35], 1, v13
	v_cmp_eq_u32_e64 s[30:31], 0, v5
	v_cndmask_b32_e64 v7, v7, 1, s[34:35]
	v_cmp_lt_u32_e64 s[34:35], 31, v3
	v_mov_b32_dpp v11, v9 row_bcast:31 row_mask:0xf bank_mask:0xf
	s_and_b64 s[30:31], s[34:35], s[30:31]
	v_cndmask_b32_e64 v7, v5, v7, s[34:35]
	v_cndmask_b32_e64 v5, 0, v11, s[30:31]
	v_add_u32_e32 v5, v9, v5
	v_cmp_eq_u32_e64 s[30:31], v51, v0
	s_and_saveexec_b64 s[34:35], s[30:31]
	s_cbranch_execz .LBB221_126
; %bb.125:
	v_lshlrev_b32_e32 v9, 3, v1
	ds_write_b32 v9, v5
	ds_write_b8 v9, v7 offset:4
.LBB221_126:
	s_or_b64 exec, exec, s[34:35]
	v_cmp_gt_u32_e64 s[30:31], 4, v0
	s_waitcnt lgkmcnt(0)
	s_barrier
	s_and_saveexec_b64 s[34:35], s[30:31]
	s_cbranch_execz .LBB221_130
; %bb.127:
	v_lshlrev_b32_e32 v9, 3, v0
	ds_read_b64 v[28:29], v9
	v_and_b32_e32 v11, 3, v3
	v_cmp_ne_u32_e64 s[30:31], 0, v11
	s_waitcnt lgkmcnt(0)
	v_mov_b32_dpp v13, v28 row_shr:1 row_mask:0xf bank_mask:0xf
	v_mov_b32_dpp v17, v29 row_shr:1 row_mask:0xf bank_mask:0xf
	v_mov_b32_e32 v15, v29
	s_and_saveexec_b64 s[40:41], s[30:31]
	s_cbranch_execz .LBB221_129
; %bb.128:
	v_and_b32_e32 v15, 1, v29
	v_and_b32_e32 v17, 1, v17
	v_cmp_eq_u32_e64 s[30:31], 1, v15
	v_mov_b32_e32 v15, 0
	v_cndmask_b32_e64 v17, v17, 1, s[30:31]
	v_cmp_eq_u16_sdwa s[30:31], v29, v15 src0_sel:BYTE_0 src1_sel:DWORD
	v_cndmask_b32_e64 v13, 0, v13, s[30:31]
	v_add_u32_e32 v28, v13, v28
	v_and_b32_e32 v13, 0xffff, v17
	s_movk_i32 s30, 0xff00
	v_and_or_b32 v15, v29, s30, v13
	v_mov_b32_e32 v29, v17
.LBB221_129:
	s_or_b64 exec, exec, s[40:41]
	v_mov_b32_dpp v15, v15 row_shr:2 row_mask:0xf bank_mask:0xf
	v_and_b32_e32 v17, 1, v29
	v_and_b32_e32 v15, 1, v15
	v_cmp_eq_u32_e64 s[30:31], 1, v17
	v_mov_b32_e32 v17, 0
	v_cndmask_b32_e64 v15, v15, 1, s[30:31]
	v_cmp_eq_u16_sdwa s[40:41], v29, v17 src0_sel:BYTE_0 src1_sel:DWORD
	v_cmp_lt_u32_e64 s[30:31], 1, v11
	v_mov_b32_dpp v13, v28 row_shr:2 row_mask:0xf bank_mask:0xf
	v_cndmask_b32_e64 v11, v29, v15, s[30:31]
	s_and_b64 s[30:31], s[30:31], s[40:41]
	v_cndmask_b32_e64 v13, 0, v13, s[30:31]
	v_add_u32_e32 v13, v13, v28
	ds_write_b32 v9, v13
	ds_write_b8 v9, v11 offset:4
.LBB221_130:
	s_or_b64 exec, exec, s[34:35]
	v_cmp_lt_u32_e64 s[30:31], 63, v0
	v_mov_b32_e32 v9, 0
	s_waitcnt lgkmcnt(0)
	s_barrier
	s_and_saveexec_b64 s[34:35], s[30:31]
	s_cbranch_execz .LBB221_132
; %bb.131:
	v_lshl_add_u32 v1, v1, 3, -8
	ds_read_b32 v9, v1
	v_cmp_eq_u32_e64 s[30:31], 0, v7
	s_waitcnt lgkmcnt(0)
	v_cndmask_b32_e64 v1, 0, v9, s[30:31]
	v_add_u32_e32 v5, v1, v5
.LBB221_132:
	s_or_b64 exec, exec, s[34:35]
	v_add_u32_e32 v1, -1, v3
	v_and_b32_e32 v7, 64, v3
	v_cmp_lt_i32_e64 s[30:31], v1, v7
	v_cndmask_b32_e64 v1, v1, v3, s[30:31]
	v_lshlrev_b32_e32 v1, 2, v1
	ds_bpermute_b32 v1, v1, v5
	s_and_saveexec_b64 s[30:31], s[2:3]
	s_cbranch_execz .LBB221_134
; %bb.133:
	v_and_b32_e32 v27, 0xff, v39
	v_mov_b32_e32 v26, 0
	v_cmp_eq_u32_e64 s[2:3], 0, v3
	s_waitcnt lgkmcnt(0)
	v_cndmask_b32_e64 v1, v1, v9, s[2:3]
	v_cmp_eq_u64_e64 s[2:3], 0, v[26:27]
	v_cndmask_b32_e64 v1, 0, v1, s[2:3]
	v_add_u32_e32 v38, v1, v38
	v_cndmask_b32_e64 v1, 0, v38, s[4:5]
	v_add_u32_e32 v27, v1, v2
	;; [unrolled: 2-line block ×14, first 2 shown]
	;;#ASMSTART
	;;#ASMEND
.LBB221_134:
	s_or_b64 exec, exec, s[30:31]
	s_and_saveexec_b64 s[2:3], vcc
	s_cbranch_execz .LBB221_136
; %bb.135:
	v_mov_b32_e32 v5, 0
	ds_read_b32 v2, v5 offset:24
	ds_read_u8 v3, v5 offset:28
	s_add_u32 s4, s52, 0x400
	s_addc_u32 s5, s53, 0
	v_mov_b32_e32 v4, 2
	v_pk_mov_b32 v[6:7], s[4:5], s[4:5] op_sel:[0,1]
	s_waitcnt lgkmcnt(0)
	;;#ASMSTART
	global_store_dwordx4 v[6:7], v[2:5] off	
s_waitcnt vmcnt(0)
	;;#ASMEND
.LBB221_136:
	s_or_b64 exec, exec, s[2:3]
	v_mov_b32_e32 v26, v38
.LBB221_137:
	s_add_u32 s2, s42, s38
	s_addc_u32 s3, s43, s39
	s_add_u32 s4, s2, s36
	s_waitcnt lgkmcnt(0)
	v_mul_u32_u24_e32 v1, 14, v0
	s_addc_u32 s5, s3, s37
	s_and_b64 vcc, exec, s[0:1]
	v_lshlrev_b32_e32 v2, 2, v1
	s_cbranch_vccz .LBB221_165
; %bb.138:
	s_movk_i32 s0, 0xffcc
	v_mad_i32_i24 v3, v0, s0, v2
	s_barrier
	ds_write2_b64 v2, v[26:27], v[42:43] offset1:1
	ds_write2_b64 v2, v[30:31], v[44:45] offset0:2 offset1:3
	ds_write2_b64 v2, v[34:35], v[46:47] offset0:4 offset1:5
	ds_write_b64 v2, v[48:49] offset:48
	s_waitcnt lgkmcnt(0)
	s_barrier
	ds_read2st64_b32 v[16:17], v3 offset0:4 offset1:8
	ds_read2st64_b32 v[14:15], v3 offset0:12 offset1:16
	;; [unrolled: 1-line block ×6, first 2 shown]
	ds_read_b32 v3, v3 offset:13312
	v_mov_b32_e32 v7, s5
	v_add_co_u32_e32 v6, vcc, s4, v50
	s_add_i32 s33, s33, s54
	v_addc_co_u32_e32 v7, vcc, 0, v7, vcc
	v_mov_b32_e32 v1, 0
	v_cmp_gt_u32_e32 vcc, s33, v0
	s_and_saveexec_b64 s[0:1], vcc
	s_cbranch_execz .LBB221_140
; %bb.139:
	v_mul_i32_i24_e32 v18, 0xffffffcc, v0
	v_add_u32_e32 v18, v2, v18
	ds_read_b32 v18, v18
	s_waitcnt lgkmcnt(0)
	flat_store_dword v[6:7], v18
.LBB221_140:
	s_or_b64 exec, exec, s[0:1]
	v_or_b32_e32 v18, 0x100, v0
	v_cmp_gt_u32_e32 vcc, s33, v18
	s_and_saveexec_b64 s[0:1], vcc
	s_cbranch_execz .LBB221_142
; %bb.141:
	s_waitcnt lgkmcnt(0)
	flat_store_dword v[6:7], v16 offset:1024
.LBB221_142:
	s_or_b64 exec, exec, s[0:1]
	s_waitcnt lgkmcnt(0)
	v_or_b32_e32 v16, 0x200, v0
	v_cmp_gt_u32_e32 vcc, s33, v16
	s_and_saveexec_b64 s[0:1], vcc
	s_cbranch_execz .LBB221_144
; %bb.143:
	flat_store_dword v[6:7], v17 offset:2048
.LBB221_144:
	s_or_b64 exec, exec, s[0:1]
	v_or_b32_e32 v16, 0x300, v0
	v_cmp_gt_u32_e32 vcc, s33, v16
	s_and_saveexec_b64 s[0:1], vcc
	s_cbranch_execz .LBB221_146
; %bb.145:
	flat_store_dword v[6:7], v14 offset:3072
.LBB221_146:
	s_or_b64 exec, exec, s[0:1]
	v_or_b32_e32 v14, 0x400, v0
	v_cmp_gt_u32_e32 vcc, s33, v14
	s_and_saveexec_b64 s[0:1], vcc
	s_cbranch_execz .LBB221_148
; %bb.147:
	v_add_co_u32_e32 v16, vcc, 0x1000, v6
	v_addc_co_u32_e32 v17, vcc, 0, v7, vcc
	flat_store_dword v[16:17], v15
.LBB221_148:
	s_or_b64 exec, exec, s[0:1]
	v_or_b32_e32 v14, 0x500, v0
	v_cmp_gt_u32_e32 vcc, s33, v14
	s_and_saveexec_b64 s[0:1], vcc
	s_cbranch_execz .LBB221_150
; %bb.149:
	v_add_co_u32_e32 v14, vcc, 0x1000, v6
	v_addc_co_u32_e32 v15, vcc, 0, v7, vcc
	flat_store_dword v[14:15], v12 offset:1024
.LBB221_150:
	s_or_b64 exec, exec, s[0:1]
	v_or_b32_e32 v12, 0x600, v0
	v_cmp_gt_u32_e32 vcc, s33, v12
	s_and_saveexec_b64 s[0:1], vcc
	s_cbranch_execz .LBB221_152
; %bb.151:
	v_add_co_u32_e32 v14, vcc, 0x1000, v6
	v_addc_co_u32_e32 v15, vcc, 0, v7, vcc
	flat_store_dword v[14:15], v13 offset:2048
.LBB221_152:
	;; [unrolled: 10-line block ×3, first 2 shown]
	s_or_b64 exec, exec, s[0:1]
	v_or_b32_e32 v10, 0x800, v0
	v_cmp_gt_u32_e32 vcc, s33, v10
	s_and_saveexec_b64 s[0:1], vcc
	s_cbranch_execz .LBB221_156
; %bb.155:
	v_add_co_u32_e32 v12, vcc, 0x2000, v6
	v_addc_co_u32_e32 v13, vcc, 0, v7, vcc
	flat_store_dword v[12:13], v11
.LBB221_156:
	s_or_b64 exec, exec, s[0:1]
	v_or_b32_e32 v10, 0x900, v0
	v_cmp_gt_u32_e32 vcc, s33, v10
	s_and_saveexec_b64 s[0:1], vcc
	s_cbranch_execz .LBB221_158
; %bb.157:
	v_add_co_u32_e32 v10, vcc, 0x2000, v6
	v_addc_co_u32_e32 v11, vcc, 0, v7, vcc
	flat_store_dword v[10:11], v8 offset:1024
.LBB221_158:
	s_or_b64 exec, exec, s[0:1]
	v_or_b32_e32 v8, 0xa00, v0
	v_cmp_gt_u32_e32 vcc, s33, v8
	s_and_saveexec_b64 s[0:1], vcc
	s_cbranch_execz .LBB221_160
; %bb.159:
	v_add_co_u32_e32 v10, vcc, 0x2000, v6
	v_addc_co_u32_e32 v11, vcc, 0, v7, vcc
	flat_store_dword v[10:11], v9 offset:2048
.LBB221_160:
	;; [unrolled: 10-line block ×3, first 2 shown]
	s_or_b64 exec, exec, s[0:1]
	v_or_b32_e32 v4, 0xc00, v0
	v_cmp_gt_u32_e32 vcc, s33, v4
	s_and_saveexec_b64 s[0:1], vcc
	s_cbranch_execz .LBB221_164
; %bb.163:
	v_add_co_u32_e32 v6, vcc, 0x3000, v6
	v_addc_co_u32_e32 v7, vcc, 0, v7, vcc
	flat_store_dword v[6:7], v5
.LBB221_164:
	s_or_b64 exec, exec, s[0:1]
	v_or_b32_e32 v4, 0xd00, v0
	v_cmp_gt_u32_e64 s[0:1], s33, v4
	s_branch .LBB221_167
.LBB221_165:
	s_mov_b64 s[0:1], 0
                                        ; implicit-def: $vgpr3
	s_cbranch_execz .LBB221_167
; %bb.166:
	s_movk_i32 s2, 0xffcc
	s_waitcnt lgkmcnt(0)
	s_barrier
	ds_write2_b64 v2, v[26:27], v[42:43] offset1:1
	ds_write2_b64 v2, v[30:31], v[44:45] offset0:2 offset1:3
	ds_write2_b64 v2, v[34:35], v[46:47] offset0:4 offset1:5
	ds_write_b64 v2, v[48:49] offset:48
	v_mad_i32_i24 v2, v0, s2, v2
	v_mov_b32_e32 v17, s5
	v_add_co_u32_e32 v16, vcc, s4, v50
	s_waitcnt lgkmcnt(0)
	s_barrier
	ds_read2st64_b32 v[4:5], v2 offset1:4
	ds_read2st64_b32 v[6:7], v2 offset0:8 offset1:12
	ds_read2st64_b32 v[8:9], v2 offset0:16 offset1:20
	;; [unrolled: 1-line block ×6, first 2 shown]
	v_addc_co_u32_e32 v17, vcc, 0, v17, vcc
	s_movk_i32 s2, 0x1000
	s_waitcnt lgkmcnt(0)
	flat_store_dword v[16:17], v4
	flat_store_dword v[16:17], v5 offset:1024
	flat_store_dword v[16:17], v6 offset:2048
	;; [unrolled: 1-line block ×3, first 2 shown]
	v_add_co_u32_e32 v4, vcc, s2, v16
	v_addc_co_u32_e32 v5, vcc, 0, v17, vcc
	flat_store_dword v[4:5], v8
	flat_store_dword v[4:5], v9 offset:1024
	flat_store_dword v[4:5], v10 offset:2048
	;; [unrolled: 1-line block ×3, first 2 shown]
	v_add_co_u32_e32 v4, vcc, 0x2000, v16
	v_addc_co_u32_e32 v5, vcc, 0, v17, vcc
	flat_store_dword v[4:5], v12
	flat_store_dword v[4:5], v13 offset:1024
	flat_store_dword v[4:5], v14 offset:2048
	;; [unrolled: 1-line block ×3, first 2 shown]
	v_add_co_u32_e32 v4, vcc, 0x3000, v16
	v_mov_b32_e32 v1, 0
	v_addc_co_u32_e32 v5, vcc, 0, v17, vcc
	s_or_b64 s[0:1], s[0:1], exec
	flat_store_dword v[4:5], v2
.LBB221_167:
	s_and_saveexec_b64 s[2:3], s[0:1]
	s_cbranch_execnz .LBB221_169
; %bb.168:
	s_endpgm
.LBB221_169:
	v_lshlrev_b64 v[0:1], 2, v[0:1]
	v_mov_b32_e32 v2, s5
	v_add_co_u32_e32 v0, vcc, s4, v0
	v_addc_co_u32_e32 v1, vcc, v2, v1, vcc
	v_add_co_u32_e32 v0, vcc, 0x3000, v0
	v_addc_co_u32_e32 v1, vcc, 0, v1, vcc
	flat_store_dword v[0:1], v3 offset:1024
	s_endpgm
.LBB221_170:
	v_mov_b32_e32 v13, s55
	v_add_co_u32_e32 v14, vcc, s7, v12
	v_addc_co_u32_e32 v15, vcc, 0, v13, vcc
	flat_load_dword v13, v[14:15]
	s_or_b64 exec, exec, s[44:45]
                                        ; implicit-def: $vgpr14
	s_and_saveexec_b64 s[2:3], s[4:5]
	s_cbranch_execz .LBB221_37
.LBB221_171:
	v_mov_b32_e32 v15, s55
	v_add_co_u32_e32 v14, vcc, s7, v12
	v_addc_co_u32_e32 v15, vcc, 0, v15, vcc
	flat_load_dword v14, v[14:15] offset:1024
	s_or_b64 exec, exec, s[2:3]
                                        ; implicit-def: $vgpr15
	s_and_saveexec_b64 s[2:3], s[30:31]
	s_cbranch_execz .LBB221_38
.LBB221_172:
	v_mov_b32_e32 v15, s55
	v_add_co_u32_e32 v16, vcc, s7, v12
	v_addc_co_u32_e32 v17, vcc, 0, v15, vcc
	flat_load_dword v15, v[16:17] offset:2048
	s_or_b64 exec, exec, s[2:3]
                                        ; implicit-def: $vgpr16
	s_and_saveexec_b64 s[2:3], s[8:9]
	s_cbranch_execz .LBB221_39
.LBB221_173:
	v_mov_b32_e32 v17, s55
	v_add_co_u32_e32 v16, vcc, s7, v12
	v_addc_co_u32_e32 v17, vcc, 0, v17, vcc
	flat_load_dword v16, v[16:17] offset:3072
	s_or_b64 exec, exec, s[2:3]
                                        ; implicit-def: $vgpr17
	s_and_saveexec_b64 s[2:3], s[10:11]
	s_cbranch_execz .LBB221_40
.LBB221_174:
	v_lshlrev_b32_e32 v2, 2, v2
	v_mov_b32_e32 v17, s55
	v_add_co_u32_e32 v18, vcc, s7, v2
	v_addc_co_u32_e32 v19, vcc, 0, v17, vcc
	flat_load_dword v17, v[18:19]
	s_or_b64 exec, exec, s[2:3]
                                        ; implicit-def: $vgpr2
	s_and_saveexec_b64 s[2:3], s[12:13]
	s_cbranch_execz .LBB221_41
.LBB221_175:
	v_lshlrev_b32_e32 v2, 2, v3
	v_mov_b32_e32 v3, s55
	v_add_co_u32_e32 v2, vcc, s7, v2
	v_addc_co_u32_e32 v3, vcc, 0, v3, vcc
	flat_load_dword v2, v[2:3]
	s_or_b64 exec, exec, s[2:3]
                                        ; implicit-def: $vgpr3
	s_and_saveexec_b64 s[2:3], s[14:15]
	s_cbranch_execz .LBB221_42
.LBB221_176:
	v_lshlrev_b32_e32 v3, 2, v4
	v_mov_b32_e32 v4, s55
	v_add_co_u32_e32 v18, vcc, s7, v3
	v_addc_co_u32_e32 v19, vcc, 0, v4, vcc
	flat_load_dword v3, v[18:19]
	s_or_b64 exec, exec, s[2:3]
                                        ; implicit-def: $vgpr4
	s_and_saveexec_b64 s[2:3], s[16:17]
	s_cbranch_execz .LBB221_43
.LBB221_177:
	v_lshlrev_b32_e32 v4, 2, v5
	v_mov_b32_e32 v5, s55
	v_add_co_u32_e32 v4, vcc, s7, v4
	v_addc_co_u32_e32 v5, vcc, 0, v5, vcc
	flat_load_dword v4, v[4:5]
	s_or_b64 exec, exec, s[2:3]
                                        ; implicit-def: $vgpr5
	s_and_saveexec_b64 s[2:3], s[18:19]
	s_cbranch_execz .LBB221_44
.LBB221_178:
	v_lshlrev_b32_e32 v5, 2, v6
	v_mov_b32_e32 v6, s55
	v_add_co_u32_e32 v18, vcc, s7, v5
	v_addc_co_u32_e32 v19, vcc, 0, v6, vcc
	flat_load_dword v5, v[18:19]
	s_or_b64 exec, exec, s[2:3]
                                        ; implicit-def: $vgpr6
	s_and_saveexec_b64 s[2:3], s[20:21]
	s_cbranch_execz .LBB221_45
.LBB221_179:
	v_lshlrev_b32_e32 v6, 2, v7
	v_mov_b32_e32 v7, s55
	v_add_co_u32_e32 v6, vcc, s7, v6
	v_addc_co_u32_e32 v7, vcc, 0, v7, vcc
	flat_load_dword v6, v[6:7]
	s_or_b64 exec, exec, s[2:3]
                                        ; implicit-def: $vgpr7
	s_and_saveexec_b64 s[2:3], s[22:23]
	s_cbranch_execz .LBB221_46
.LBB221_180:
	v_lshlrev_b32_e32 v7, 2, v8
	v_mov_b32_e32 v8, s55
	v_add_co_u32_e32 v18, vcc, s7, v7
	v_addc_co_u32_e32 v19, vcc, 0, v8, vcc
	flat_load_dword v7, v[18:19]
	s_or_b64 exec, exec, s[2:3]
                                        ; implicit-def: $vgpr8
	s_and_saveexec_b64 s[2:3], s[24:25]
	s_cbranch_execz .LBB221_47
.LBB221_181:
	v_lshlrev_b32_e32 v8, 2, v9
	v_mov_b32_e32 v9, s55
	v_add_co_u32_e32 v8, vcc, s7, v8
	v_addc_co_u32_e32 v9, vcc, 0, v9, vcc
	flat_load_dword v8, v[8:9]
	s_or_b64 exec, exec, s[2:3]
                                        ; implicit-def: $vgpr9
	s_and_saveexec_b64 s[2:3], s[26:27]
	s_cbranch_execz .LBB221_48
.LBB221_182:
	v_lshlrev_b32_e32 v9, 2, v10
	v_mov_b32_e32 v10, s55
	v_add_co_u32_e32 v18, vcc, s7, v9
	v_addc_co_u32_e32 v19, vcc, 0, v10, vcc
	flat_load_dword v9, v[18:19]
	s_or_b64 exec, exec, s[2:3]
                                        ; implicit-def: $vgpr10
	s_and_saveexec_b64 s[2:3], s[28:29]
	s_cbranch_execnz .LBB221_49
	s_branch .LBB221_50
.LBB221_183:
                                        ; implicit-def: $sgpr44_sgpr45
	s_branch .LBB221_32
.LBB221_184:
                                        ; implicit-def: $sgpr2_sgpr3
	s_branch .LBB221_81
	.section	.rodata,"a",@progbits
	.p2align	6, 0x0
	.amdhsa_kernel _ZN7rocprim17ROCPRIM_400000_NS6detail17trampoline_kernelINS0_14default_configENS1_27scan_by_key_config_selectorIiiEEZZNS1_16scan_by_key_implILNS1_25lookback_scan_determinismE0ELb0ES3_N6thrust23THRUST_200600_302600_NS6detail15normal_iteratorINS9_10device_ptrIiEEEESE_SE_iNS9_4plusIvEENS9_8equal_toIiEEiEE10hipError_tPvRmT2_T3_T4_T5_mT6_T7_P12ihipStream_tbENKUlT_T0_E_clISt17integral_constantIbLb1EESY_IbLb0EEEEDaSU_SV_EUlSU_E_NS1_11comp_targetILNS1_3genE4ELNS1_11target_archE910ELNS1_3gpuE8ELNS1_3repE0EEENS1_30default_config_static_selectorELNS0_4arch9wavefront6targetE1EEEvT1_
		.amdhsa_group_segment_fixed_size 16384
		.amdhsa_private_segment_fixed_size 0
		.amdhsa_kernarg_size 112
		.amdhsa_user_sgpr_count 6
		.amdhsa_user_sgpr_private_segment_buffer 1
		.amdhsa_user_sgpr_dispatch_ptr 0
		.amdhsa_user_sgpr_queue_ptr 0
		.amdhsa_user_sgpr_kernarg_segment_ptr 1
		.amdhsa_user_sgpr_dispatch_id 0
		.amdhsa_user_sgpr_flat_scratch_init 0
		.amdhsa_user_sgpr_kernarg_preload_length 0
		.amdhsa_user_sgpr_kernarg_preload_offset 0
		.amdhsa_user_sgpr_private_segment_size 0
		.amdhsa_uses_dynamic_stack 0
		.amdhsa_system_sgpr_private_segment_wavefront_offset 0
		.amdhsa_system_sgpr_workgroup_id_x 1
		.amdhsa_system_sgpr_workgroup_id_y 0
		.amdhsa_system_sgpr_workgroup_id_z 0
		.amdhsa_system_sgpr_workgroup_info 0
		.amdhsa_system_vgpr_workitem_id 0
		.amdhsa_next_free_vgpr 65
		.amdhsa_next_free_sgpr 61
		.amdhsa_accum_offset 68
		.amdhsa_reserve_vcc 1
		.amdhsa_reserve_flat_scratch 0
		.amdhsa_float_round_mode_32 0
		.amdhsa_float_round_mode_16_64 0
		.amdhsa_float_denorm_mode_32 3
		.amdhsa_float_denorm_mode_16_64 3
		.amdhsa_dx10_clamp 1
		.amdhsa_ieee_mode 1
		.amdhsa_fp16_overflow 0
		.amdhsa_tg_split 0
		.amdhsa_exception_fp_ieee_invalid_op 0
		.amdhsa_exception_fp_denorm_src 0
		.amdhsa_exception_fp_ieee_div_zero 0
		.amdhsa_exception_fp_ieee_overflow 0
		.amdhsa_exception_fp_ieee_underflow 0
		.amdhsa_exception_fp_ieee_inexact 0
		.amdhsa_exception_int_div_zero 0
	.end_amdhsa_kernel
	.section	.text._ZN7rocprim17ROCPRIM_400000_NS6detail17trampoline_kernelINS0_14default_configENS1_27scan_by_key_config_selectorIiiEEZZNS1_16scan_by_key_implILNS1_25lookback_scan_determinismE0ELb0ES3_N6thrust23THRUST_200600_302600_NS6detail15normal_iteratorINS9_10device_ptrIiEEEESE_SE_iNS9_4plusIvEENS9_8equal_toIiEEiEE10hipError_tPvRmT2_T3_T4_T5_mT6_T7_P12ihipStream_tbENKUlT_T0_E_clISt17integral_constantIbLb1EESY_IbLb0EEEEDaSU_SV_EUlSU_E_NS1_11comp_targetILNS1_3genE4ELNS1_11target_archE910ELNS1_3gpuE8ELNS1_3repE0EEENS1_30default_config_static_selectorELNS0_4arch9wavefront6targetE1EEEvT1_,"axG",@progbits,_ZN7rocprim17ROCPRIM_400000_NS6detail17trampoline_kernelINS0_14default_configENS1_27scan_by_key_config_selectorIiiEEZZNS1_16scan_by_key_implILNS1_25lookback_scan_determinismE0ELb0ES3_N6thrust23THRUST_200600_302600_NS6detail15normal_iteratorINS9_10device_ptrIiEEEESE_SE_iNS9_4plusIvEENS9_8equal_toIiEEiEE10hipError_tPvRmT2_T3_T4_T5_mT6_T7_P12ihipStream_tbENKUlT_T0_E_clISt17integral_constantIbLb1EESY_IbLb0EEEEDaSU_SV_EUlSU_E_NS1_11comp_targetILNS1_3genE4ELNS1_11target_archE910ELNS1_3gpuE8ELNS1_3repE0EEENS1_30default_config_static_selectorELNS0_4arch9wavefront6targetE1EEEvT1_,comdat
.Lfunc_end221:
	.size	_ZN7rocprim17ROCPRIM_400000_NS6detail17trampoline_kernelINS0_14default_configENS1_27scan_by_key_config_selectorIiiEEZZNS1_16scan_by_key_implILNS1_25lookback_scan_determinismE0ELb0ES3_N6thrust23THRUST_200600_302600_NS6detail15normal_iteratorINS9_10device_ptrIiEEEESE_SE_iNS9_4plusIvEENS9_8equal_toIiEEiEE10hipError_tPvRmT2_T3_T4_T5_mT6_T7_P12ihipStream_tbENKUlT_T0_E_clISt17integral_constantIbLb1EESY_IbLb0EEEEDaSU_SV_EUlSU_E_NS1_11comp_targetILNS1_3genE4ELNS1_11target_archE910ELNS1_3gpuE8ELNS1_3repE0EEENS1_30default_config_static_selectorELNS0_4arch9wavefront6targetE1EEEvT1_, .Lfunc_end221-_ZN7rocprim17ROCPRIM_400000_NS6detail17trampoline_kernelINS0_14default_configENS1_27scan_by_key_config_selectorIiiEEZZNS1_16scan_by_key_implILNS1_25lookback_scan_determinismE0ELb0ES3_N6thrust23THRUST_200600_302600_NS6detail15normal_iteratorINS9_10device_ptrIiEEEESE_SE_iNS9_4plusIvEENS9_8equal_toIiEEiEE10hipError_tPvRmT2_T3_T4_T5_mT6_T7_P12ihipStream_tbENKUlT_T0_E_clISt17integral_constantIbLb1EESY_IbLb0EEEEDaSU_SV_EUlSU_E_NS1_11comp_targetILNS1_3genE4ELNS1_11target_archE910ELNS1_3gpuE8ELNS1_3repE0EEENS1_30default_config_static_selectorELNS0_4arch9wavefront6targetE1EEEvT1_
                                        ; -- End function
	.section	.AMDGPU.csdata,"",@progbits
; Kernel info:
; codeLenInByte = 11028
; NumSgprs: 65
; NumVgprs: 65
; NumAgprs: 0
; TotalNumVgprs: 65
; ScratchSize: 0
; MemoryBound: 0
; FloatMode: 240
; IeeeMode: 1
; LDSByteSize: 16384 bytes/workgroup (compile time only)
; SGPRBlocks: 8
; VGPRBlocks: 8
; NumSGPRsForWavesPerEU: 65
; NumVGPRsForWavesPerEU: 65
; AccumOffset: 68
; Occupancy: 4
; WaveLimiterHint : 1
; COMPUTE_PGM_RSRC2:SCRATCH_EN: 0
; COMPUTE_PGM_RSRC2:USER_SGPR: 6
; COMPUTE_PGM_RSRC2:TRAP_HANDLER: 0
; COMPUTE_PGM_RSRC2:TGID_X_EN: 1
; COMPUTE_PGM_RSRC2:TGID_Y_EN: 0
; COMPUTE_PGM_RSRC2:TGID_Z_EN: 0
; COMPUTE_PGM_RSRC2:TIDIG_COMP_CNT: 0
; COMPUTE_PGM_RSRC3_GFX90A:ACCUM_OFFSET: 16
; COMPUTE_PGM_RSRC3_GFX90A:TG_SPLIT: 0
	.section	.text._ZN7rocprim17ROCPRIM_400000_NS6detail17trampoline_kernelINS0_14default_configENS1_27scan_by_key_config_selectorIiiEEZZNS1_16scan_by_key_implILNS1_25lookback_scan_determinismE0ELb0ES3_N6thrust23THRUST_200600_302600_NS6detail15normal_iteratorINS9_10device_ptrIiEEEESE_SE_iNS9_4plusIvEENS9_8equal_toIiEEiEE10hipError_tPvRmT2_T3_T4_T5_mT6_T7_P12ihipStream_tbENKUlT_T0_E_clISt17integral_constantIbLb1EESY_IbLb0EEEEDaSU_SV_EUlSU_E_NS1_11comp_targetILNS1_3genE3ELNS1_11target_archE908ELNS1_3gpuE7ELNS1_3repE0EEENS1_30default_config_static_selectorELNS0_4arch9wavefront6targetE1EEEvT1_,"axG",@progbits,_ZN7rocprim17ROCPRIM_400000_NS6detail17trampoline_kernelINS0_14default_configENS1_27scan_by_key_config_selectorIiiEEZZNS1_16scan_by_key_implILNS1_25lookback_scan_determinismE0ELb0ES3_N6thrust23THRUST_200600_302600_NS6detail15normal_iteratorINS9_10device_ptrIiEEEESE_SE_iNS9_4plusIvEENS9_8equal_toIiEEiEE10hipError_tPvRmT2_T3_T4_T5_mT6_T7_P12ihipStream_tbENKUlT_T0_E_clISt17integral_constantIbLb1EESY_IbLb0EEEEDaSU_SV_EUlSU_E_NS1_11comp_targetILNS1_3genE3ELNS1_11target_archE908ELNS1_3gpuE7ELNS1_3repE0EEENS1_30default_config_static_selectorELNS0_4arch9wavefront6targetE1EEEvT1_,comdat
	.protected	_ZN7rocprim17ROCPRIM_400000_NS6detail17trampoline_kernelINS0_14default_configENS1_27scan_by_key_config_selectorIiiEEZZNS1_16scan_by_key_implILNS1_25lookback_scan_determinismE0ELb0ES3_N6thrust23THRUST_200600_302600_NS6detail15normal_iteratorINS9_10device_ptrIiEEEESE_SE_iNS9_4plusIvEENS9_8equal_toIiEEiEE10hipError_tPvRmT2_T3_T4_T5_mT6_T7_P12ihipStream_tbENKUlT_T0_E_clISt17integral_constantIbLb1EESY_IbLb0EEEEDaSU_SV_EUlSU_E_NS1_11comp_targetILNS1_3genE3ELNS1_11target_archE908ELNS1_3gpuE7ELNS1_3repE0EEENS1_30default_config_static_selectorELNS0_4arch9wavefront6targetE1EEEvT1_ ; -- Begin function _ZN7rocprim17ROCPRIM_400000_NS6detail17trampoline_kernelINS0_14default_configENS1_27scan_by_key_config_selectorIiiEEZZNS1_16scan_by_key_implILNS1_25lookback_scan_determinismE0ELb0ES3_N6thrust23THRUST_200600_302600_NS6detail15normal_iteratorINS9_10device_ptrIiEEEESE_SE_iNS9_4plusIvEENS9_8equal_toIiEEiEE10hipError_tPvRmT2_T3_T4_T5_mT6_T7_P12ihipStream_tbENKUlT_T0_E_clISt17integral_constantIbLb1EESY_IbLb0EEEEDaSU_SV_EUlSU_E_NS1_11comp_targetILNS1_3genE3ELNS1_11target_archE908ELNS1_3gpuE7ELNS1_3repE0EEENS1_30default_config_static_selectorELNS0_4arch9wavefront6targetE1EEEvT1_
	.globl	_ZN7rocprim17ROCPRIM_400000_NS6detail17trampoline_kernelINS0_14default_configENS1_27scan_by_key_config_selectorIiiEEZZNS1_16scan_by_key_implILNS1_25lookback_scan_determinismE0ELb0ES3_N6thrust23THRUST_200600_302600_NS6detail15normal_iteratorINS9_10device_ptrIiEEEESE_SE_iNS9_4plusIvEENS9_8equal_toIiEEiEE10hipError_tPvRmT2_T3_T4_T5_mT6_T7_P12ihipStream_tbENKUlT_T0_E_clISt17integral_constantIbLb1EESY_IbLb0EEEEDaSU_SV_EUlSU_E_NS1_11comp_targetILNS1_3genE3ELNS1_11target_archE908ELNS1_3gpuE7ELNS1_3repE0EEENS1_30default_config_static_selectorELNS0_4arch9wavefront6targetE1EEEvT1_
	.p2align	8
	.type	_ZN7rocprim17ROCPRIM_400000_NS6detail17trampoline_kernelINS0_14default_configENS1_27scan_by_key_config_selectorIiiEEZZNS1_16scan_by_key_implILNS1_25lookback_scan_determinismE0ELb0ES3_N6thrust23THRUST_200600_302600_NS6detail15normal_iteratorINS9_10device_ptrIiEEEESE_SE_iNS9_4plusIvEENS9_8equal_toIiEEiEE10hipError_tPvRmT2_T3_T4_T5_mT6_T7_P12ihipStream_tbENKUlT_T0_E_clISt17integral_constantIbLb1EESY_IbLb0EEEEDaSU_SV_EUlSU_E_NS1_11comp_targetILNS1_3genE3ELNS1_11target_archE908ELNS1_3gpuE7ELNS1_3repE0EEENS1_30default_config_static_selectorELNS0_4arch9wavefront6targetE1EEEvT1_,@function
_ZN7rocprim17ROCPRIM_400000_NS6detail17trampoline_kernelINS0_14default_configENS1_27scan_by_key_config_selectorIiiEEZZNS1_16scan_by_key_implILNS1_25lookback_scan_determinismE0ELb0ES3_N6thrust23THRUST_200600_302600_NS6detail15normal_iteratorINS9_10device_ptrIiEEEESE_SE_iNS9_4plusIvEENS9_8equal_toIiEEiEE10hipError_tPvRmT2_T3_T4_T5_mT6_T7_P12ihipStream_tbENKUlT_T0_E_clISt17integral_constantIbLb1EESY_IbLb0EEEEDaSU_SV_EUlSU_E_NS1_11comp_targetILNS1_3genE3ELNS1_11target_archE908ELNS1_3gpuE7ELNS1_3repE0EEENS1_30default_config_static_selectorELNS0_4arch9wavefront6targetE1EEEvT1_: ; @_ZN7rocprim17ROCPRIM_400000_NS6detail17trampoline_kernelINS0_14default_configENS1_27scan_by_key_config_selectorIiiEEZZNS1_16scan_by_key_implILNS1_25lookback_scan_determinismE0ELb0ES3_N6thrust23THRUST_200600_302600_NS6detail15normal_iteratorINS9_10device_ptrIiEEEESE_SE_iNS9_4plusIvEENS9_8equal_toIiEEiEE10hipError_tPvRmT2_T3_T4_T5_mT6_T7_P12ihipStream_tbENKUlT_T0_E_clISt17integral_constantIbLb1EESY_IbLb0EEEEDaSU_SV_EUlSU_E_NS1_11comp_targetILNS1_3genE3ELNS1_11target_archE908ELNS1_3gpuE7ELNS1_3repE0EEENS1_30default_config_static_selectorELNS0_4arch9wavefront6targetE1EEEvT1_
; %bb.0:
	.section	.rodata,"a",@progbits
	.p2align	6, 0x0
	.amdhsa_kernel _ZN7rocprim17ROCPRIM_400000_NS6detail17trampoline_kernelINS0_14default_configENS1_27scan_by_key_config_selectorIiiEEZZNS1_16scan_by_key_implILNS1_25lookback_scan_determinismE0ELb0ES3_N6thrust23THRUST_200600_302600_NS6detail15normal_iteratorINS9_10device_ptrIiEEEESE_SE_iNS9_4plusIvEENS9_8equal_toIiEEiEE10hipError_tPvRmT2_T3_T4_T5_mT6_T7_P12ihipStream_tbENKUlT_T0_E_clISt17integral_constantIbLb1EESY_IbLb0EEEEDaSU_SV_EUlSU_E_NS1_11comp_targetILNS1_3genE3ELNS1_11target_archE908ELNS1_3gpuE7ELNS1_3repE0EEENS1_30default_config_static_selectorELNS0_4arch9wavefront6targetE1EEEvT1_
		.amdhsa_group_segment_fixed_size 0
		.amdhsa_private_segment_fixed_size 0
		.amdhsa_kernarg_size 112
		.amdhsa_user_sgpr_count 6
		.amdhsa_user_sgpr_private_segment_buffer 1
		.amdhsa_user_sgpr_dispatch_ptr 0
		.amdhsa_user_sgpr_queue_ptr 0
		.amdhsa_user_sgpr_kernarg_segment_ptr 1
		.amdhsa_user_sgpr_dispatch_id 0
		.amdhsa_user_sgpr_flat_scratch_init 0
		.amdhsa_user_sgpr_kernarg_preload_length 0
		.amdhsa_user_sgpr_kernarg_preload_offset 0
		.amdhsa_user_sgpr_private_segment_size 0
		.amdhsa_uses_dynamic_stack 0
		.amdhsa_system_sgpr_private_segment_wavefront_offset 0
		.amdhsa_system_sgpr_workgroup_id_x 1
		.amdhsa_system_sgpr_workgroup_id_y 0
		.amdhsa_system_sgpr_workgroup_id_z 0
		.amdhsa_system_sgpr_workgroup_info 0
		.amdhsa_system_vgpr_workitem_id 0
		.amdhsa_next_free_vgpr 1
		.amdhsa_next_free_sgpr 0
		.amdhsa_accum_offset 4
		.amdhsa_reserve_vcc 0
		.amdhsa_reserve_flat_scratch 0
		.amdhsa_float_round_mode_32 0
		.amdhsa_float_round_mode_16_64 0
		.amdhsa_float_denorm_mode_32 3
		.amdhsa_float_denorm_mode_16_64 3
		.amdhsa_dx10_clamp 1
		.amdhsa_ieee_mode 1
		.amdhsa_fp16_overflow 0
		.amdhsa_tg_split 0
		.amdhsa_exception_fp_ieee_invalid_op 0
		.amdhsa_exception_fp_denorm_src 0
		.amdhsa_exception_fp_ieee_div_zero 0
		.amdhsa_exception_fp_ieee_overflow 0
		.amdhsa_exception_fp_ieee_underflow 0
		.amdhsa_exception_fp_ieee_inexact 0
		.amdhsa_exception_int_div_zero 0
	.end_amdhsa_kernel
	.section	.text._ZN7rocprim17ROCPRIM_400000_NS6detail17trampoline_kernelINS0_14default_configENS1_27scan_by_key_config_selectorIiiEEZZNS1_16scan_by_key_implILNS1_25lookback_scan_determinismE0ELb0ES3_N6thrust23THRUST_200600_302600_NS6detail15normal_iteratorINS9_10device_ptrIiEEEESE_SE_iNS9_4plusIvEENS9_8equal_toIiEEiEE10hipError_tPvRmT2_T3_T4_T5_mT6_T7_P12ihipStream_tbENKUlT_T0_E_clISt17integral_constantIbLb1EESY_IbLb0EEEEDaSU_SV_EUlSU_E_NS1_11comp_targetILNS1_3genE3ELNS1_11target_archE908ELNS1_3gpuE7ELNS1_3repE0EEENS1_30default_config_static_selectorELNS0_4arch9wavefront6targetE1EEEvT1_,"axG",@progbits,_ZN7rocprim17ROCPRIM_400000_NS6detail17trampoline_kernelINS0_14default_configENS1_27scan_by_key_config_selectorIiiEEZZNS1_16scan_by_key_implILNS1_25lookback_scan_determinismE0ELb0ES3_N6thrust23THRUST_200600_302600_NS6detail15normal_iteratorINS9_10device_ptrIiEEEESE_SE_iNS9_4plusIvEENS9_8equal_toIiEEiEE10hipError_tPvRmT2_T3_T4_T5_mT6_T7_P12ihipStream_tbENKUlT_T0_E_clISt17integral_constantIbLb1EESY_IbLb0EEEEDaSU_SV_EUlSU_E_NS1_11comp_targetILNS1_3genE3ELNS1_11target_archE908ELNS1_3gpuE7ELNS1_3repE0EEENS1_30default_config_static_selectorELNS0_4arch9wavefront6targetE1EEEvT1_,comdat
.Lfunc_end222:
	.size	_ZN7rocprim17ROCPRIM_400000_NS6detail17trampoline_kernelINS0_14default_configENS1_27scan_by_key_config_selectorIiiEEZZNS1_16scan_by_key_implILNS1_25lookback_scan_determinismE0ELb0ES3_N6thrust23THRUST_200600_302600_NS6detail15normal_iteratorINS9_10device_ptrIiEEEESE_SE_iNS9_4plusIvEENS9_8equal_toIiEEiEE10hipError_tPvRmT2_T3_T4_T5_mT6_T7_P12ihipStream_tbENKUlT_T0_E_clISt17integral_constantIbLb1EESY_IbLb0EEEEDaSU_SV_EUlSU_E_NS1_11comp_targetILNS1_3genE3ELNS1_11target_archE908ELNS1_3gpuE7ELNS1_3repE0EEENS1_30default_config_static_selectorELNS0_4arch9wavefront6targetE1EEEvT1_, .Lfunc_end222-_ZN7rocprim17ROCPRIM_400000_NS6detail17trampoline_kernelINS0_14default_configENS1_27scan_by_key_config_selectorIiiEEZZNS1_16scan_by_key_implILNS1_25lookback_scan_determinismE0ELb0ES3_N6thrust23THRUST_200600_302600_NS6detail15normal_iteratorINS9_10device_ptrIiEEEESE_SE_iNS9_4plusIvEENS9_8equal_toIiEEiEE10hipError_tPvRmT2_T3_T4_T5_mT6_T7_P12ihipStream_tbENKUlT_T0_E_clISt17integral_constantIbLb1EESY_IbLb0EEEEDaSU_SV_EUlSU_E_NS1_11comp_targetILNS1_3genE3ELNS1_11target_archE908ELNS1_3gpuE7ELNS1_3repE0EEENS1_30default_config_static_selectorELNS0_4arch9wavefront6targetE1EEEvT1_
                                        ; -- End function
	.section	.AMDGPU.csdata,"",@progbits
; Kernel info:
; codeLenInByte = 0
; NumSgprs: 4
; NumVgprs: 0
; NumAgprs: 0
; TotalNumVgprs: 0
; ScratchSize: 0
; MemoryBound: 0
; FloatMode: 240
; IeeeMode: 1
; LDSByteSize: 0 bytes/workgroup (compile time only)
; SGPRBlocks: 0
; VGPRBlocks: 0
; NumSGPRsForWavesPerEU: 4
; NumVGPRsForWavesPerEU: 1
; AccumOffset: 4
; Occupancy: 8
; WaveLimiterHint : 0
; COMPUTE_PGM_RSRC2:SCRATCH_EN: 0
; COMPUTE_PGM_RSRC2:USER_SGPR: 6
; COMPUTE_PGM_RSRC2:TRAP_HANDLER: 0
; COMPUTE_PGM_RSRC2:TGID_X_EN: 1
; COMPUTE_PGM_RSRC2:TGID_Y_EN: 0
; COMPUTE_PGM_RSRC2:TGID_Z_EN: 0
; COMPUTE_PGM_RSRC2:TIDIG_COMP_CNT: 0
; COMPUTE_PGM_RSRC3_GFX90A:ACCUM_OFFSET: 0
; COMPUTE_PGM_RSRC3_GFX90A:TG_SPLIT: 0
	.section	.text._ZN7rocprim17ROCPRIM_400000_NS6detail17trampoline_kernelINS0_14default_configENS1_27scan_by_key_config_selectorIiiEEZZNS1_16scan_by_key_implILNS1_25lookback_scan_determinismE0ELb0ES3_N6thrust23THRUST_200600_302600_NS6detail15normal_iteratorINS9_10device_ptrIiEEEESE_SE_iNS9_4plusIvEENS9_8equal_toIiEEiEE10hipError_tPvRmT2_T3_T4_T5_mT6_T7_P12ihipStream_tbENKUlT_T0_E_clISt17integral_constantIbLb1EESY_IbLb0EEEEDaSU_SV_EUlSU_E_NS1_11comp_targetILNS1_3genE2ELNS1_11target_archE906ELNS1_3gpuE6ELNS1_3repE0EEENS1_30default_config_static_selectorELNS0_4arch9wavefront6targetE1EEEvT1_,"axG",@progbits,_ZN7rocprim17ROCPRIM_400000_NS6detail17trampoline_kernelINS0_14default_configENS1_27scan_by_key_config_selectorIiiEEZZNS1_16scan_by_key_implILNS1_25lookback_scan_determinismE0ELb0ES3_N6thrust23THRUST_200600_302600_NS6detail15normal_iteratorINS9_10device_ptrIiEEEESE_SE_iNS9_4plusIvEENS9_8equal_toIiEEiEE10hipError_tPvRmT2_T3_T4_T5_mT6_T7_P12ihipStream_tbENKUlT_T0_E_clISt17integral_constantIbLb1EESY_IbLb0EEEEDaSU_SV_EUlSU_E_NS1_11comp_targetILNS1_3genE2ELNS1_11target_archE906ELNS1_3gpuE6ELNS1_3repE0EEENS1_30default_config_static_selectorELNS0_4arch9wavefront6targetE1EEEvT1_,comdat
	.protected	_ZN7rocprim17ROCPRIM_400000_NS6detail17trampoline_kernelINS0_14default_configENS1_27scan_by_key_config_selectorIiiEEZZNS1_16scan_by_key_implILNS1_25lookback_scan_determinismE0ELb0ES3_N6thrust23THRUST_200600_302600_NS6detail15normal_iteratorINS9_10device_ptrIiEEEESE_SE_iNS9_4plusIvEENS9_8equal_toIiEEiEE10hipError_tPvRmT2_T3_T4_T5_mT6_T7_P12ihipStream_tbENKUlT_T0_E_clISt17integral_constantIbLb1EESY_IbLb0EEEEDaSU_SV_EUlSU_E_NS1_11comp_targetILNS1_3genE2ELNS1_11target_archE906ELNS1_3gpuE6ELNS1_3repE0EEENS1_30default_config_static_selectorELNS0_4arch9wavefront6targetE1EEEvT1_ ; -- Begin function _ZN7rocprim17ROCPRIM_400000_NS6detail17trampoline_kernelINS0_14default_configENS1_27scan_by_key_config_selectorIiiEEZZNS1_16scan_by_key_implILNS1_25lookback_scan_determinismE0ELb0ES3_N6thrust23THRUST_200600_302600_NS6detail15normal_iteratorINS9_10device_ptrIiEEEESE_SE_iNS9_4plusIvEENS9_8equal_toIiEEiEE10hipError_tPvRmT2_T3_T4_T5_mT6_T7_P12ihipStream_tbENKUlT_T0_E_clISt17integral_constantIbLb1EESY_IbLb0EEEEDaSU_SV_EUlSU_E_NS1_11comp_targetILNS1_3genE2ELNS1_11target_archE906ELNS1_3gpuE6ELNS1_3repE0EEENS1_30default_config_static_selectorELNS0_4arch9wavefront6targetE1EEEvT1_
	.globl	_ZN7rocprim17ROCPRIM_400000_NS6detail17trampoline_kernelINS0_14default_configENS1_27scan_by_key_config_selectorIiiEEZZNS1_16scan_by_key_implILNS1_25lookback_scan_determinismE0ELb0ES3_N6thrust23THRUST_200600_302600_NS6detail15normal_iteratorINS9_10device_ptrIiEEEESE_SE_iNS9_4plusIvEENS9_8equal_toIiEEiEE10hipError_tPvRmT2_T3_T4_T5_mT6_T7_P12ihipStream_tbENKUlT_T0_E_clISt17integral_constantIbLb1EESY_IbLb0EEEEDaSU_SV_EUlSU_E_NS1_11comp_targetILNS1_3genE2ELNS1_11target_archE906ELNS1_3gpuE6ELNS1_3repE0EEENS1_30default_config_static_selectorELNS0_4arch9wavefront6targetE1EEEvT1_
	.p2align	8
	.type	_ZN7rocprim17ROCPRIM_400000_NS6detail17trampoline_kernelINS0_14default_configENS1_27scan_by_key_config_selectorIiiEEZZNS1_16scan_by_key_implILNS1_25lookback_scan_determinismE0ELb0ES3_N6thrust23THRUST_200600_302600_NS6detail15normal_iteratorINS9_10device_ptrIiEEEESE_SE_iNS9_4plusIvEENS9_8equal_toIiEEiEE10hipError_tPvRmT2_T3_T4_T5_mT6_T7_P12ihipStream_tbENKUlT_T0_E_clISt17integral_constantIbLb1EESY_IbLb0EEEEDaSU_SV_EUlSU_E_NS1_11comp_targetILNS1_3genE2ELNS1_11target_archE906ELNS1_3gpuE6ELNS1_3repE0EEENS1_30default_config_static_selectorELNS0_4arch9wavefront6targetE1EEEvT1_,@function
_ZN7rocprim17ROCPRIM_400000_NS6detail17trampoline_kernelINS0_14default_configENS1_27scan_by_key_config_selectorIiiEEZZNS1_16scan_by_key_implILNS1_25lookback_scan_determinismE0ELb0ES3_N6thrust23THRUST_200600_302600_NS6detail15normal_iteratorINS9_10device_ptrIiEEEESE_SE_iNS9_4plusIvEENS9_8equal_toIiEEiEE10hipError_tPvRmT2_T3_T4_T5_mT6_T7_P12ihipStream_tbENKUlT_T0_E_clISt17integral_constantIbLb1EESY_IbLb0EEEEDaSU_SV_EUlSU_E_NS1_11comp_targetILNS1_3genE2ELNS1_11target_archE906ELNS1_3gpuE6ELNS1_3repE0EEENS1_30default_config_static_selectorELNS0_4arch9wavefront6targetE1EEEvT1_: ; @_ZN7rocprim17ROCPRIM_400000_NS6detail17trampoline_kernelINS0_14default_configENS1_27scan_by_key_config_selectorIiiEEZZNS1_16scan_by_key_implILNS1_25lookback_scan_determinismE0ELb0ES3_N6thrust23THRUST_200600_302600_NS6detail15normal_iteratorINS9_10device_ptrIiEEEESE_SE_iNS9_4plusIvEENS9_8equal_toIiEEiEE10hipError_tPvRmT2_T3_T4_T5_mT6_T7_P12ihipStream_tbENKUlT_T0_E_clISt17integral_constantIbLb1EESY_IbLb0EEEEDaSU_SV_EUlSU_E_NS1_11comp_targetILNS1_3genE2ELNS1_11target_archE906ELNS1_3gpuE6ELNS1_3repE0EEENS1_30default_config_static_selectorELNS0_4arch9wavefront6targetE1EEEvT1_
; %bb.0:
	.section	.rodata,"a",@progbits
	.p2align	6, 0x0
	.amdhsa_kernel _ZN7rocprim17ROCPRIM_400000_NS6detail17trampoline_kernelINS0_14default_configENS1_27scan_by_key_config_selectorIiiEEZZNS1_16scan_by_key_implILNS1_25lookback_scan_determinismE0ELb0ES3_N6thrust23THRUST_200600_302600_NS6detail15normal_iteratorINS9_10device_ptrIiEEEESE_SE_iNS9_4plusIvEENS9_8equal_toIiEEiEE10hipError_tPvRmT2_T3_T4_T5_mT6_T7_P12ihipStream_tbENKUlT_T0_E_clISt17integral_constantIbLb1EESY_IbLb0EEEEDaSU_SV_EUlSU_E_NS1_11comp_targetILNS1_3genE2ELNS1_11target_archE906ELNS1_3gpuE6ELNS1_3repE0EEENS1_30default_config_static_selectorELNS0_4arch9wavefront6targetE1EEEvT1_
		.amdhsa_group_segment_fixed_size 0
		.amdhsa_private_segment_fixed_size 0
		.amdhsa_kernarg_size 112
		.amdhsa_user_sgpr_count 6
		.amdhsa_user_sgpr_private_segment_buffer 1
		.amdhsa_user_sgpr_dispatch_ptr 0
		.amdhsa_user_sgpr_queue_ptr 0
		.amdhsa_user_sgpr_kernarg_segment_ptr 1
		.amdhsa_user_sgpr_dispatch_id 0
		.amdhsa_user_sgpr_flat_scratch_init 0
		.amdhsa_user_sgpr_kernarg_preload_length 0
		.amdhsa_user_sgpr_kernarg_preload_offset 0
		.amdhsa_user_sgpr_private_segment_size 0
		.amdhsa_uses_dynamic_stack 0
		.amdhsa_system_sgpr_private_segment_wavefront_offset 0
		.amdhsa_system_sgpr_workgroup_id_x 1
		.amdhsa_system_sgpr_workgroup_id_y 0
		.amdhsa_system_sgpr_workgroup_id_z 0
		.amdhsa_system_sgpr_workgroup_info 0
		.amdhsa_system_vgpr_workitem_id 0
		.amdhsa_next_free_vgpr 1
		.amdhsa_next_free_sgpr 0
		.amdhsa_accum_offset 4
		.amdhsa_reserve_vcc 0
		.amdhsa_reserve_flat_scratch 0
		.amdhsa_float_round_mode_32 0
		.amdhsa_float_round_mode_16_64 0
		.amdhsa_float_denorm_mode_32 3
		.amdhsa_float_denorm_mode_16_64 3
		.amdhsa_dx10_clamp 1
		.amdhsa_ieee_mode 1
		.amdhsa_fp16_overflow 0
		.amdhsa_tg_split 0
		.amdhsa_exception_fp_ieee_invalid_op 0
		.amdhsa_exception_fp_denorm_src 0
		.amdhsa_exception_fp_ieee_div_zero 0
		.amdhsa_exception_fp_ieee_overflow 0
		.amdhsa_exception_fp_ieee_underflow 0
		.amdhsa_exception_fp_ieee_inexact 0
		.amdhsa_exception_int_div_zero 0
	.end_amdhsa_kernel
	.section	.text._ZN7rocprim17ROCPRIM_400000_NS6detail17trampoline_kernelINS0_14default_configENS1_27scan_by_key_config_selectorIiiEEZZNS1_16scan_by_key_implILNS1_25lookback_scan_determinismE0ELb0ES3_N6thrust23THRUST_200600_302600_NS6detail15normal_iteratorINS9_10device_ptrIiEEEESE_SE_iNS9_4plusIvEENS9_8equal_toIiEEiEE10hipError_tPvRmT2_T3_T4_T5_mT6_T7_P12ihipStream_tbENKUlT_T0_E_clISt17integral_constantIbLb1EESY_IbLb0EEEEDaSU_SV_EUlSU_E_NS1_11comp_targetILNS1_3genE2ELNS1_11target_archE906ELNS1_3gpuE6ELNS1_3repE0EEENS1_30default_config_static_selectorELNS0_4arch9wavefront6targetE1EEEvT1_,"axG",@progbits,_ZN7rocprim17ROCPRIM_400000_NS6detail17trampoline_kernelINS0_14default_configENS1_27scan_by_key_config_selectorIiiEEZZNS1_16scan_by_key_implILNS1_25lookback_scan_determinismE0ELb0ES3_N6thrust23THRUST_200600_302600_NS6detail15normal_iteratorINS9_10device_ptrIiEEEESE_SE_iNS9_4plusIvEENS9_8equal_toIiEEiEE10hipError_tPvRmT2_T3_T4_T5_mT6_T7_P12ihipStream_tbENKUlT_T0_E_clISt17integral_constantIbLb1EESY_IbLb0EEEEDaSU_SV_EUlSU_E_NS1_11comp_targetILNS1_3genE2ELNS1_11target_archE906ELNS1_3gpuE6ELNS1_3repE0EEENS1_30default_config_static_selectorELNS0_4arch9wavefront6targetE1EEEvT1_,comdat
.Lfunc_end223:
	.size	_ZN7rocprim17ROCPRIM_400000_NS6detail17trampoline_kernelINS0_14default_configENS1_27scan_by_key_config_selectorIiiEEZZNS1_16scan_by_key_implILNS1_25lookback_scan_determinismE0ELb0ES3_N6thrust23THRUST_200600_302600_NS6detail15normal_iteratorINS9_10device_ptrIiEEEESE_SE_iNS9_4plusIvEENS9_8equal_toIiEEiEE10hipError_tPvRmT2_T3_T4_T5_mT6_T7_P12ihipStream_tbENKUlT_T0_E_clISt17integral_constantIbLb1EESY_IbLb0EEEEDaSU_SV_EUlSU_E_NS1_11comp_targetILNS1_3genE2ELNS1_11target_archE906ELNS1_3gpuE6ELNS1_3repE0EEENS1_30default_config_static_selectorELNS0_4arch9wavefront6targetE1EEEvT1_, .Lfunc_end223-_ZN7rocprim17ROCPRIM_400000_NS6detail17trampoline_kernelINS0_14default_configENS1_27scan_by_key_config_selectorIiiEEZZNS1_16scan_by_key_implILNS1_25lookback_scan_determinismE0ELb0ES3_N6thrust23THRUST_200600_302600_NS6detail15normal_iteratorINS9_10device_ptrIiEEEESE_SE_iNS9_4plusIvEENS9_8equal_toIiEEiEE10hipError_tPvRmT2_T3_T4_T5_mT6_T7_P12ihipStream_tbENKUlT_T0_E_clISt17integral_constantIbLb1EESY_IbLb0EEEEDaSU_SV_EUlSU_E_NS1_11comp_targetILNS1_3genE2ELNS1_11target_archE906ELNS1_3gpuE6ELNS1_3repE0EEENS1_30default_config_static_selectorELNS0_4arch9wavefront6targetE1EEEvT1_
                                        ; -- End function
	.section	.AMDGPU.csdata,"",@progbits
; Kernel info:
; codeLenInByte = 0
; NumSgprs: 4
; NumVgprs: 0
; NumAgprs: 0
; TotalNumVgprs: 0
; ScratchSize: 0
; MemoryBound: 0
; FloatMode: 240
; IeeeMode: 1
; LDSByteSize: 0 bytes/workgroup (compile time only)
; SGPRBlocks: 0
; VGPRBlocks: 0
; NumSGPRsForWavesPerEU: 4
; NumVGPRsForWavesPerEU: 1
; AccumOffset: 4
; Occupancy: 8
; WaveLimiterHint : 0
; COMPUTE_PGM_RSRC2:SCRATCH_EN: 0
; COMPUTE_PGM_RSRC2:USER_SGPR: 6
; COMPUTE_PGM_RSRC2:TRAP_HANDLER: 0
; COMPUTE_PGM_RSRC2:TGID_X_EN: 1
; COMPUTE_PGM_RSRC2:TGID_Y_EN: 0
; COMPUTE_PGM_RSRC2:TGID_Z_EN: 0
; COMPUTE_PGM_RSRC2:TIDIG_COMP_CNT: 0
; COMPUTE_PGM_RSRC3_GFX90A:ACCUM_OFFSET: 0
; COMPUTE_PGM_RSRC3_GFX90A:TG_SPLIT: 0
	.section	.text._ZN7rocprim17ROCPRIM_400000_NS6detail17trampoline_kernelINS0_14default_configENS1_27scan_by_key_config_selectorIiiEEZZNS1_16scan_by_key_implILNS1_25lookback_scan_determinismE0ELb0ES3_N6thrust23THRUST_200600_302600_NS6detail15normal_iteratorINS9_10device_ptrIiEEEESE_SE_iNS9_4plusIvEENS9_8equal_toIiEEiEE10hipError_tPvRmT2_T3_T4_T5_mT6_T7_P12ihipStream_tbENKUlT_T0_E_clISt17integral_constantIbLb1EESY_IbLb0EEEEDaSU_SV_EUlSU_E_NS1_11comp_targetILNS1_3genE10ELNS1_11target_archE1200ELNS1_3gpuE4ELNS1_3repE0EEENS1_30default_config_static_selectorELNS0_4arch9wavefront6targetE1EEEvT1_,"axG",@progbits,_ZN7rocprim17ROCPRIM_400000_NS6detail17trampoline_kernelINS0_14default_configENS1_27scan_by_key_config_selectorIiiEEZZNS1_16scan_by_key_implILNS1_25lookback_scan_determinismE0ELb0ES3_N6thrust23THRUST_200600_302600_NS6detail15normal_iteratorINS9_10device_ptrIiEEEESE_SE_iNS9_4plusIvEENS9_8equal_toIiEEiEE10hipError_tPvRmT2_T3_T4_T5_mT6_T7_P12ihipStream_tbENKUlT_T0_E_clISt17integral_constantIbLb1EESY_IbLb0EEEEDaSU_SV_EUlSU_E_NS1_11comp_targetILNS1_3genE10ELNS1_11target_archE1200ELNS1_3gpuE4ELNS1_3repE0EEENS1_30default_config_static_selectorELNS0_4arch9wavefront6targetE1EEEvT1_,comdat
	.protected	_ZN7rocprim17ROCPRIM_400000_NS6detail17trampoline_kernelINS0_14default_configENS1_27scan_by_key_config_selectorIiiEEZZNS1_16scan_by_key_implILNS1_25lookback_scan_determinismE0ELb0ES3_N6thrust23THRUST_200600_302600_NS6detail15normal_iteratorINS9_10device_ptrIiEEEESE_SE_iNS9_4plusIvEENS9_8equal_toIiEEiEE10hipError_tPvRmT2_T3_T4_T5_mT6_T7_P12ihipStream_tbENKUlT_T0_E_clISt17integral_constantIbLb1EESY_IbLb0EEEEDaSU_SV_EUlSU_E_NS1_11comp_targetILNS1_3genE10ELNS1_11target_archE1200ELNS1_3gpuE4ELNS1_3repE0EEENS1_30default_config_static_selectorELNS0_4arch9wavefront6targetE1EEEvT1_ ; -- Begin function _ZN7rocprim17ROCPRIM_400000_NS6detail17trampoline_kernelINS0_14default_configENS1_27scan_by_key_config_selectorIiiEEZZNS1_16scan_by_key_implILNS1_25lookback_scan_determinismE0ELb0ES3_N6thrust23THRUST_200600_302600_NS6detail15normal_iteratorINS9_10device_ptrIiEEEESE_SE_iNS9_4plusIvEENS9_8equal_toIiEEiEE10hipError_tPvRmT2_T3_T4_T5_mT6_T7_P12ihipStream_tbENKUlT_T0_E_clISt17integral_constantIbLb1EESY_IbLb0EEEEDaSU_SV_EUlSU_E_NS1_11comp_targetILNS1_3genE10ELNS1_11target_archE1200ELNS1_3gpuE4ELNS1_3repE0EEENS1_30default_config_static_selectorELNS0_4arch9wavefront6targetE1EEEvT1_
	.globl	_ZN7rocprim17ROCPRIM_400000_NS6detail17trampoline_kernelINS0_14default_configENS1_27scan_by_key_config_selectorIiiEEZZNS1_16scan_by_key_implILNS1_25lookback_scan_determinismE0ELb0ES3_N6thrust23THRUST_200600_302600_NS6detail15normal_iteratorINS9_10device_ptrIiEEEESE_SE_iNS9_4plusIvEENS9_8equal_toIiEEiEE10hipError_tPvRmT2_T3_T4_T5_mT6_T7_P12ihipStream_tbENKUlT_T0_E_clISt17integral_constantIbLb1EESY_IbLb0EEEEDaSU_SV_EUlSU_E_NS1_11comp_targetILNS1_3genE10ELNS1_11target_archE1200ELNS1_3gpuE4ELNS1_3repE0EEENS1_30default_config_static_selectorELNS0_4arch9wavefront6targetE1EEEvT1_
	.p2align	8
	.type	_ZN7rocprim17ROCPRIM_400000_NS6detail17trampoline_kernelINS0_14default_configENS1_27scan_by_key_config_selectorIiiEEZZNS1_16scan_by_key_implILNS1_25lookback_scan_determinismE0ELb0ES3_N6thrust23THRUST_200600_302600_NS6detail15normal_iteratorINS9_10device_ptrIiEEEESE_SE_iNS9_4plusIvEENS9_8equal_toIiEEiEE10hipError_tPvRmT2_T3_T4_T5_mT6_T7_P12ihipStream_tbENKUlT_T0_E_clISt17integral_constantIbLb1EESY_IbLb0EEEEDaSU_SV_EUlSU_E_NS1_11comp_targetILNS1_3genE10ELNS1_11target_archE1200ELNS1_3gpuE4ELNS1_3repE0EEENS1_30default_config_static_selectorELNS0_4arch9wavefront6targetE1EEEvT1_,@function
_ZN7rocprim17ROCPRIM_400000_NS6detail17trampoline_kernelINS0_14default_configENS1_27scan_by_key_config_selectorIiiEEZZNS1_16scan_by_key_implILNS1_25lookback_scan_determinismE0ELb0ES3_N6thrust23THRUST_200600_302600_NS6detail15normal_iteratorINS9_10device_ptrIiEEEESE_SE_iNS9_4plusIvEENS9_8equal_toIiEEiEE10hipError_tPvRmT2_T3_T4_T5_mT6_T7_P12ihipStream_tbENKUlT_T0_E_clISt17integral_constantIbLb1EESY_IbLb0EEEEDaSU_SV_EUlSU_E_NS1_11comp_targetILNS1_3genE10ELNS1_11target_archE1200ELNS1_3gpuE4ELNS1_3repE0EEENS1_30default_config_static_selectorELNS0_4arch9wavefront6targetE1EEEvT1_: ; @_ZN7rocprim17ROCPRIM_400000_NS6detail17trampoline_kernelINS0_14default_configENS1_27scan_by_key_config_selectorIiiEEZZNS1_16scan_by_key_implILNS1_25lookback_scan_determinismE0ELb0ES3_N6thrust23THRUST_200600_302600_NS6detail15normal_iteratorINS9_10device_ptrIiEEEESE_SE_iNS9_4plusIvEENS9_8equal_toIiEEiEE10hipError_tPvRmT2_T3_T4_T5_mT6_T7_P12ihipStream_tbENKUlT_T0_E_clISt17integral_constantIbLb1EESY_IbLb0EEEEDaSU_SV_EUlSU_E_NS1_11comp_targetILNS1_3genE10ELNS1_11target_archE1200ELNS1_3gpuE4ELNS1_3repE0EEENS1_30default_config_static_selectorELNS0_4arch9wavefront6targetE1EEEvT1_
; %bb.0:
	.section	.rodata,"a",@progbits
	.p2align	6, 0x0
	.amdhsa_kernel _ZN7rocprim17ROCPRIM_400000_NS6detail17trampoline_kernelINS0_14default_configENS1_27scan_by_key_config_selectorIiiEEZZNS1_16scan_by_key_implILNS1_25lookback_scan_determinismE0ELb0ES3_N6thrust23THRUST_200600_302600_NS6detail15normal_iteratorINS9_10device_ptrIiEEEESE_SE_iNS9_4plusIvEENS9_8equal_toIiEEiEE10hipError_tPvRmT2_T3_T4_T5_mT6_T7_P12ihipStream_tbENKUlT_T0_E_clISt17integral_constantIbLb1EESY_IbLb0EEEEDaSU_SV_EUlSU_E_NS1_11comp_targetILNS1_3genE10ELNS1_11target_archE1200ELNS1_3gpuE4ELNS1_3repE0EEENS1_30default_config_static_selectorELNS0_4arch9wavefront6targetE1EEEvT1_
		.amdhsa_group_segment_fixed_size 0
		.amdhsa_private_segment_fixed_size 0
		.amdhsa_kernarg_size 112
		.amdhsa_user_sgpr_count 6
		.amdhsa_user_sgpr_private_segment_buffer 1
		.amdhsa_user_sgpr_dispatch_ptr 0
		.amdhsa_user_sgpr_queue_ptr 0
		.amdhsa_user_sgpr_kernarg_segment_ptr 1
		.amdhsa_user_sgpr_dispatch_id 0
		.amdhsa_user_sgpr_flat_scratch_init 0
		.amdhsa_user_sgpr_kernarg_preload_length 0
		.amdhsa_user_sgpr_kernarg_preload_offset 0
		.amdhsa_user_sgpr_private_segment_size 0
		.amdhsa_uses_dynamic_stack 0
		.amdhsa_system_sgpr_private_segment_wavefront_offset 0
		.amdhsa_system_sgpr_workgroup_id_x 1
		.amdhsa_system_sgpr_workgroup_id_y 0
		.amdhsa_system_sgpr_workgroup_id_z 0
		.amdhsa_system_sgpr_workgroup_info 0
		.amdhsa_system_vgpr_workitem_id 0
		.amdhsa_next_free_vgpr 1
		.amdhsa_next_free_sgpr 0
		.amdhsa_accum_offset 4
		.amdhsa_reserve_vcc 0
		.amdhsa_reserve_flat_scratch 0
		.amdhsa_float_round_mode_32 0
		.amdhsa_float_round_mode_16_64 0
		.amdhsa_float_denorm_mode_32 3
		.amdhsa_float_denorm_mode_16_64 3
		.amdhsa_dx10_clamp 1
		.amdhsa_ieee_mode 1
		.amdhsa_fp16_overflow 0
		.amdhsa_tg_split 0
		.amdhsa_exception_fp_ieee_invalid_op 0
		.amdhsa_exception_fp_denorm_src 0
		.amdhsa_exception_fp_ieee_div_zero 0
		.amdhsa_exception_fp_ieee_overflow 0
		.amdhsa_exception_fp_ieee_underflow 0
		.amdhsa_exception_fp_ieee_inexact 0
		.amdhsa_exception_int_div_zero 0
	.end_amdhsa_kernel
	.section	.text._ZN7rocprim17ROCPRIM_400000_NS6detail17trampoline_kernelINS0_14default_configENS1_27scan_by_key_config_selectorIiiEEZZNS1_16scan_by_key_implILNS1_25lookback_scan_determinismE0ELb0ES3_N6thrust23THRUST_200600_302600_NS6detail15normal_iteratorINS9_10device_ptrIiEEEESE_SE_iNS9_4plusIvEENS9_8equal_toIiEEiEE10hipError_tPvRmT2_T3_T4_T5_mT6_T7_P12ihipStream_tbENKUlT_T0_E_clISt17integral_constantIbLb1EESY_IbLb0EEEEDaSU_SV_EUlSU_E_NS1_11comp_targetILNS1_3genE10ELNS1_11target_archE1200ELNS1_3gpuE4ELNS1_3repE0EEENS1_30default_config_static_selectorELNS0_4arch9wavefront6targetE1EEEvT1_,"axG",@progbits,_ZN7rocprim17ROCPRIM_400000_NS6detail17trampoline_kernelINS0_14default_configENS1_27scan_by_key_config_selectorIiiEEZZNS1_16scan_by_key_implILNS1_25lookback_scan_determinismE0ELb0ES3_N6thrust23THRUST_200600_302600_NS6detail15normal_iteratorINS9_10device_ptrIiEEEESE_SE_iNS9_4plusIvEENS9_8equal_toIiEEiEE10hipError_tPvRmT2_T3_T4_T5_mT6_T7_P12ihipStream_tbENKUlT_T0_E_clISt17integral_constantIbLb1EESY_IbLb0EEEEDaSU_SV_EUlSU_E_NS1_11comp_targetILNS1_3genE10ELNS1_11target_archE1200ELNS1_3gpuE4ELNS1_3repE0EEENS1_30default_config_static_selectorELNS0_4arch9wavefront6targetE1EEEvT1_,comdat
.Lfunc_end224:
	.size	_ZN7rocprim17ROCPRIM_400000_NS6detail17trampoline_kernelINS0_14default_configENS1_27scan_by_key_config_selectorIiiEEZZNS1_16scan_by_key_implILNS1_25lookback_scan_determinismE0ELb0ES3_N6thrust23THRUST_200600_302600_NS6detail15normal_iteratorINS9_10device_ptrIiEEEESE_SE_iNS9_4plusIvEENS9_8equal_toIiEEiEE10hipError_tPvRmT2_T3_T4_T5_mT6_T7_P12ihipStream_tbENKUlT_T0_E_clISt17integral_constantIbLb1EESY_IbLb0EEEEDaSU_SV_EUlSU_E_NS1_11comp_targetILNS1_3genE10ELNS1_11target_archE1200ELNS1_3gpuE4ELNS1_3repE0EEENS1_30default_config_static_selectorELNS0_4arch9wavefront6targetE1EEEvT1_, .Lfunc_end224-_ZN7rocprim17ROCPRIM_400000_NS6detail17trampoline_kernelINS0_14default_configENS1_27scan_by_key_config_selectorIiiEEZZNS1_16scan_by_key_implILNS1_25lookback_scan_determinismE0ELb0ES3_N6thrust23THRUST_200600_302600_NS6detail15normal_iteratorINS9_10device_ptrIiEEEESE_SE_iNS9_4plusIvEENS9_8equal_toIiEEiEE10hipError_tPvRmT2_T3_T4_T5_mT6_T7_P12ihipStream_tbENKUlT_T0_E_clISt17integral_constantIbLb1EESY_IbLb0EEEEDaSU_SV_EUlSU_E_NS1_11comp_targetILNS1_3genE10ELNS1_11target_archE1200ELNS1_3gpuE4ELNS1_3repE0EEENS1_30default_config_static_selectorELNS0_4arch9wavefront6targetE1EEEvT1_
                                        ; -- End function
	.section	.AMDGPU.csdata,"",@progbits
; Kernel info:
; codeLenInByte = 0
; NumSgprs: 4
; NumVgprs: 0
; NumAgprs: 0
; TotalNumVgprs: 0
; ScratchSize: 0
; MemoryBound: 0
; FloatMode: 240
; IeeeMode: 1
; LDSByteSize: 0 bytes/workgroup (compile time only)
; SGPRBlocks: 0
; VGPRBlocks: 0
; NumSGPRsForWavesPerEU: 4
; NumVGPRsForWavesPerEU: 1
; AccumOffset: 4
; Occupancy: 8
; WaveLimiterHint : 0
; COMPUTE_PGM_RSRC2:SCRATCH_EN: 0
; COMPUTE_PGM_RSRC2:USER_SGPR: 6
; COMPUTE_PGM_RSRC2:TRAP_HANDLER: 0
; COMPUTE_PGM_RSRC2:TGID_X_EN: 1
; COMPUTE_PGM_RSRC2:TGID_Y_EN: 0
; COMPUTE_PGM_RSRC2:TGID_Z_EN: 0
; COMPUTE_PGM_RSRC2:TIDIG_COMP_CNT: 0
; COMPUTE_PGM_RSRC3_GFX90A:ACCUM_OFFSET: 0
; COMPUTE_PGM_RSRC3_GFX90A:TG_SPLIT: 0
	.section	.text._ZN7rocprim17ROCPRIM_400000_NS6detail17trampoline_kernelINS0_14default_configENS1_27scan_by_key_config_selectorIiiEEZZNS1_16scan_by_key_implILNS1_25lookback_scan_determinismE0ELb0ES3_N6thrust23THRUST_200600_302600_NS6detail15normal_iteratorINS9_10device_ptrIiEEEESE_SE_iNS9_4plusIvEENS9_8equal_toIiEEiEE10hipError_tPvRmT2_T3_T4_T5_mT6_T7_P12ihipStream_tbENKUlT_T0_E_clISt17integral_constantIbLb1EESY_IbLb0EEEEDaSU_SV_EUlSU_E_NS1_11comp_targetILNS1_3genE9ELNS1_11target_archE1100ELNS1_3gpuE3ELNS1_3repE0EEENS1_30default_config_static_selectorELNS0_4arch9wavefront6targetE1EEEvT1_,"axG",@progbits,_ZN7rocprim17ROCPRIM_400000_NS6detail17trampoline_kernelINS0_14default_configENS1_27scan_by_key_config_selectorIiiEEZZNS1_16scan_by_key_implILNS1_25lookback_scan_determinismE0ELb0ES3_N6thrust23THRUST_200600_302600_NS6detail15normal_iteratorINS9_10device_ptrIiEEEESE_SE_iNS9_4plusIvEENS9_8equal_toIiEEiEE10hipError_tPvRmT2_T3_T4_T5_mT6_T7_P12ihipStream_tbENKUlT_T0_E_clISt17integral_constantIbLb1EESY_IbLb0EEEEDaSU_SV_EUlSU_E_NS1_11comp_targetILNS1_3genE9ELNS1_11target_archE1100ELNS1_3gpuE3ELNS1_3repE0EEENS1_30default_config_static_selectorELNS0_4arch9wavefront6targetE1EEEvT1_,comdat
	.protected	_ZN7rocprim17ROCPRIM_400000_NS6detail17trampoline_kernelINS0_14default_configENS1_27scan_by_key_config_selectorIiiEEZZNS1_16scan_by_key_implILNS1_25lookback_scan_determinismE0ELb0ES3_N6thrust23THRUST_200600_302600_NS6detail15normal_iteratorINS9_10device_ptrIiEEEESE_SE_iNS9_4plusIvEENS9_8equal_toIiEEiEE10hipError_tPvRmT2_T3_T4_T5_mT6_T7_P12ihipStream_tbENKUlT_T0_E_clISt17integral_constantIbLb1EESY_IbLb0EEEEDaSU_SV_EUlSU_E_NS1_11comp_targetILNS1_3genE9ELNS1_11target_archE1100ELNS1_3gpuE3ELNS1_3repE0EEENS1_30default_config_static_selectorELNS0_4arch9wavefront6targetE1EEEvT1_ ; -- Begin function _ZN7rocprim17ROCPRIM_400000_NS6detail17trampoline_kernelINS0_14default_configENS1_27scan_by_key_config_selectorIiiEEZZNS1_16scan_by_key_implILNS1_25lookback_scan_determinismE0ELb0ES3_N6thrust23THRUST_200600_302600_NS6detail15normal_iteratorINS9_10device_ptrIiEEEESE_SE_iNS9_4plusIvEENS9_8equal_toIiEEiEE10hipError_tPvRmT2_T3_T4_T5_mT6_T7_P12ihipStream_tbENKUlT_T0_E_clISt17integral_constantIbLb1EESY_IbLb0EEEEDaSU_SV_EUlSU_E_NS1_11comp_targetILNS1_3genE9ELNS1_11target_archE1100ELNS1_3gpuE3ELNS1_3repE0EEENS1_30default_config_static_selectorELNS0_4arch9wavefront6targetE1EEEvT1_
	.globl	_ZN7rocprim17ROCPRIM_400000_NS6detail17trampoline_kernelINS0_14default_configENS1_27scan_by_key_config_selectorIiiEEZZNS1_16scan_by_key_implILNS1_25lookback_scan_determinismE0ELb0ES3_N6thrust23THRUST_200600_302600_NS6detail15normal_iteratorINS9_10device_ptrIiEEEESE_SE_iNS9_4plusIvEENS9_8equal_toIiEEiEE10hipError_tPvRmT2_T3_T4_T5_mT6_T7_P12ihipStream_tbENKUlT_T0_E_clISt17integral_constantIbLb1EESY_IbLb0EEEEDaSU_SV_EUlSU_E_NS1_11comp_targetILNS1_3genE9ELNS1_11target_archE1100ELNS1_3gpuE3ELNS1_3repE0EEENS1_30default_config_static_selectorELNS0_4arch9wavefront6targetE1EEEvT1_
	.p2align	8
	.type	_ZN7rocprim17ROCPRIM_400000_NS6detail17trampoline_kernelINS0_14default_configENS1_27scan_by_key_config_selectorIiiEEZZNS1_16scan_by_key_implILNS1_25lookback_scan_determinismE0ELb0ES3_N6thrust23THRUST_200600_302600_NS6detail15normal_iteratorINS9_10device_ptrIiEEEESE_SE_iNS9_4plusIvEENS9_8equal_toIiEEiEE10hipError_tPvRmT2_T3_T4_T5_mT6_T7_P12ihipStream_tbENKUlT_T0_E_clISt17integral_constantIbLb1EESY_IbLb0EEEEDaSU_SV_EUlSU_E_NS1_11comp_targetILNS1_3genE9ELNS1_11target_archE1100ELNS1_3gpuE3ELNS1_3repE0EEENS1_30default_config_static_selectorELNS0_4arch9wavefront6targetE1EEEvT1_,@function
_ZN7rocprim17ROCPRIM_400000_NS6detail17trampoline_kernelINS0_14default_configENS1_27scan_by_key_config_selectorIiiEEZZNS1_16scan_by_key_implILNS1_25lookback_scan_determinismE0ELb0ES3_N6thrust23THRUST_200600_302600_NS6detail15normal_iteratorINS9_10device_ptrIiEEEESE_SE_iNS9_4plusIvEENS9_8equal_toIiEEiEE10hipError_tPvRmT2_T3_T4_T5_mT6_T7_P12ihipStream_tbENKUlT_T0_E_clISt17integral_constantIbLb1EESY_IbLb0EEEEDaSU_SV_EUlSU_E_NS1_11comp_targetILNS1_3genE9ELNS1_11target_archE1100ELNS1_3gpuE3ELNS1_3repE0EEENS1_30default_config_static_selectorELNS0_4arch9wavefront6targetE1EEEvT1_: ; @_ZN7rocprim17ROCPRIM_400000_NS6detail17trampoline_kernelINS0_14default_configENS1_27scan_by_key_config_selectorIiiEEZZNS1_16scan_by_key_implILNS1_25lookback_scan_determinismE0ELb0ES3_N6thrust23THRUST_200600_302600_NS6detail15normal_iteratorINS9_10device_ptrIiEEEESE_SE_iNS9_4plusIvEENS9_8equal_toIiEEiEE10hipError_tPvRmT2_T3_T4_T5_mT6_T7_P12ihipStream_tbENKUlT_T0_E_clISt17integral_constantIbLb1EESY_IbLb0EEEEDaSU_SV_EUlSU_E_NS1_11comp_targetILNS1_3genE9ELNS1_11target_archE1100ELNS1_3gpuE3ELNS1_3repE0EEENS1_30default_config_static_selectorELNS0_4arch9wavefront6targetE1EEEvT1_
; %bb.0:
	.section	.rodata,"a",@progbits
	.p2align	6, 0x0
	.amdhsa_kernel _ZN7rocprim17ROCPRIM_400000_NS6detail17trampoline_kernelINS0_14default_configENS1_27scan_by_key_config_selectorIiiEEZZNS1_16scan_by_key_implILNS1_25lookback_scan_determinismE0ELb0ES3_N6thrust23THRUST_200600_302600_NS6detail15normal_iteratorINS9_10device_ptrIiEEEESE_SE_iNS9_4plusIvEENS9_8equal_toIiEEiEE10hipError_tPvRmT2_T3_T4_T5_mT6_T7_P12ihipStream_tbENKUlT_T0_E_clISt17integral_constantIbLb1EESY_IbLb0EEEEDaSU_SV_EUlSU_E_NS1_11comp_targetILNS1_3genE9ELNS1_11target_archE1100ELNS1_3gpuE3ELNS1_3repE0EEENS1_30default_config_static_selectorELNS0_4arch9wavefront6targetE1EEEvT1_
		.amdhsa_group_segment_fixed_size 0
		.amdhsa_private_segment_fixed_size 0
		.amdhsa_kernarg_size 112
		.amdhsa_user_sgpr_count 6
		.amdhsa_user_sgpr_private_segment_buffer 1
		.amdhsa_user_sgpr_dispatch_ptr 0
		.amdhsa_user_sgpr_queue_ptr 0
		.amdhsa_user_sgpr_kernarg_segment_ptr 1
		.amdhsa_user_sgpr_dispatch_id 0
		.amdhsa_user_sgpr_flat_scratch_init 0
		.amdhsa_user_sgpr_kernarg_preload_length 0
		.amdhsa_user_sgpr_kernarg_preload_offset 0
		.amdhsa_user_sgpr_private_segment_size 0
		.amdhsa_uses_dynamic_stack 0
		.amdhsa_system_sgpr_private_segment_wavefront_offset 0
		.amdhsa_system_sgpr_workgroup_id_x 1
		.amdhsa_system_sgpr_workgroup_id_y 0
		.amdhsa_system_sgpr_workgroup_id_z 0
		.amdhsa_system_sgpr_workgroup_info 0
		.amdhsa_system_vgpr_workitem_id 0
		.amdhsa_next_free_vgpr 1
		.amdhsa_next_free_sgpr 0
		.amdhsa_accum_offset 4
		.amdhsa_reserve_vcc 0
		.amdhsa_reserve_flat_scratch 0
		.amdhsa_float_round_mode_32 0
		.amdhsa_float_round_mode_16_64 0
		.amdhsa_float_denorm_mode_32 3
		.amdhsa_float_denorm_mode_16_64 3
		.amdhsa_dx10_clamp 1
		.amdhsa_ieee_mode 1
		.amdhsa_fp16_overflow 0
		.amdhsa_tg_split 0
		.amdhsa_exception_fp_ieee_invalid_op 0
		.amdhsa_exception_fp_denorm_src 0
		.amdhsa_exception_fp_ieee_div_zero 0
		.amdhsa_exception_fp_ieee_overflow 0
		.amdhsa_exception_fp_ieee_underflow 0
		.amdhsa_exception_fp_ieee_inexact 0
		.amdhsa_exception_int_div_zero 0
	.end_amdhsa_kernel
	.section	.text._ZN7rocprim17ROCPRIM_400000_NS6detail17trampoline_kernelINS0_14default_configENS1_27scan_by_key_config_selectorIiiEEZZNS1_16scan_by_key_implILNS1_25lookback_scan_determinismE0ELb0ES3_N6thrust23THRUST_200600_302600_NS6detail15normal_iteratorINS9_10device_ptrIiEEEESE_SE_iNS9_4plusIvEENS9_8equal_toIiEEiEE10hipError_tPvRmT2_T3_T4_T5_mT6_T7_P12ihipStream_tbENKUlT_T0_E_clISt17integral_constantIbLb1EESY_IbLb0EEEEDaSU_SV_EUlSU_E_NS1_11comp_targetILNS1_3genE9ELNS1_11target_archE1100ELNS1_3gpuE3ELNS1_3repE0EEENS1_30default_config_static_selectorELNS0_4arch9wavefront6targetE1EEEvT1_,"axG",@progbits,_ZN7rocprim17ROCPRIM_400000_NS6detail17trampoline_kernelINS0_14default_configENS1_27scan_by_key_config_selectorIiiEEZZNS1_16scan_by_key_implILNS1_25lookback_scan_determinismE0ELb0ES3_N6thrust23THRUST_200600_302600_NS6detail15normal_iteratorINS9_10device_ptrIiEEEESE_SE_iNS9_4plusIvEENS9_8equal_toIiEEiEE10hipError_tPvRmT2_T3_T4_T5_mT6_T7_P12ihipStream_tbENKUlT_T0_E_clISt17integral_constantIbLb1EESY_IbLb0EEEEDaSU_SV_EUlSU_E_NS1_11comp_targetILNS1_3genE9ELNS1_11target_archE1100ELNS1_3gpuE3ELNS1_3repE0EEENS1_30default_config_static_selectorELNS0_4arch9wavefront6targetE1EEEvT1_,comdat
.Lfunc_end225:
	.size	_ZN7rocprim17ROCPRIM_400000_NS6detail17trampoline_kernelINS0_14default_configENS1_27scan_by_key_config_selectorIiiEEZZNS1_16scan_by_key_implILNS1_25lookback_scan_determinismE0ELb0ES3_N6thrust23THRUST_200600_302600_NS6detail15normal_iteratorINS9_10device_ptrIiEEEESE_SE_iNS9_4plusIvEENS9_8equal_toIiEEiEE10hipError_tPvRmT2_T3_T4_T5_mT6_T7_P12ihipStream_tbENKUlT_T0_E_clISt17integral_constantIbLb1EESY_IbLb0EEEEDaSU_SV_EUlSU_E_NS1_11comp_targetILNS1_3genE9ELNS1_11target_archE1100ELNS1_3gpuE3ELNS1_3repE0EEENS1_30default_config_static_selectorELNS0_4arch9wavefront6targetE1EEEvT1_, .Lfunc_end225-_ZN7rocprim17ROCPRIM_400000_NS6detail17trampoline_kernelINS0_14default_configENS1_27scan_by_key_config_selectorIiiEEZZNS1_16scan_by_key_implILNS1_25lookback_scan_determinismE0ELb0ES3_N6thrust23THRUST_200600_302600_NS6detail15normal_iteratorINS9_10device_ptrIiEEEESE_SE_iNS9_4plusIvEENS9_8equal_toIiEEiEE10hipError_tPvRmT2_T3_T4_T5_mT6_T7_P12ihipStream_tbENKUlT_T0_E_clISt17integral_constantIbLb1EESY_IbLb0EEEEDaSU_SV_EUlSU_E_NS1_11comp_targetILNS1_3genE9ELNS1_11target_archE1100ELNS1_3gpuE3ELNS1_3repE0EEENS1_30default_config_static_selectorELNS0_4arch9wavefront6targetE1EEEvT1_
                                        ; -- End function
	.section	.AMDGPU.csdata,"",@progbits
; Kernel info:
; codeLenInByte = 0
; NumSgprs: 4
; NumVgprs: 0
; NumAgprs: 0
; TotalNumVgprs: 0
; ScratchSize: 0
; MemoryBound: 0
; FloatMode: 240
; IeeeMode: 1
; LDSByteSize: 0 bytes/workgroup (compile time only)
; SGPRBlocks: 0
; VGPRBlocks: 0
; NumSGPRsForWavesPerEU: 4
; NumVGPRsForWavesPerEU: 1
; AccumOffset: 4
; Occupancy: 8
; WaveLimiterHint : 0
; COMPUTE_PGM_RSRC2:SCRATCH_EN: 0
; COMPUTE_PGM_RSRC2:USER_SGPR: 6
; COMPUTE_PGM_RSRC2:TRAP_HANDLER: 0
; COMPUTE_PGM_RSRC2:TGID_X_EN: 1
; COMPUTE_PGM_RSRC2:TGID_Y_EN: 0
; COMPUTE_PGM_RSRC2:TGID_Z_EN: 0
; COMPUTE_PGM_RSRC2:TIDIG_COMP_CNT: 0
; COMPUTE_PGM_RSRC3_GFX90A:ACCUM_OFFSET: 0
; COMPUTE_PGM_RSRC3_GFX90A:TG_SPLIT: 0
	.section	.text._ZN7rocprim17ROCPRIM_400000_NS6detail17trampoline_kernelINS0_14default_configENS1_27scan_by_key_config_selectorIiiEEZZNS1_16scan_by_key_implILNS1_25lookback_scan_determinismE0ELb0ES3_N6thrust23THRUST_200600_302600_NS6detail15normal_iteratorINS9_10device_ptrIiEEEESE_SE_iNS9_4plusIvEENS9_8equal_toIiEEiEE10hipError_tPvRmT2_T3_T4_T5_mT6_T7_P12ihipStream_tbENKUlT_T0_E_clISt17integral_constantIbLb1EESY_IbLb0EEEEDaSU_SV_EUlSU_E_NS1_11comp_targetILNS1_3genE8ELNS1_11target_archE1030ELNS1_3gpuE2ELNS1_3repE0EEENS1_30default_config_static_selectorELNS0_4arch9wavefront6targetE1EEEvT1_,"axG",@progbits,_ZN7rocprim17ROCPRIM_400000_NS6detail17trampoline_kernelINS0_14default_configENS1_27scan_by_key_config_selectorIiiEEZZNS1_16scan_by_key_implILNS1_25lookback_scan_determinismE0ELb0ES3_N6thrust23THRUST_200600_302600_NS6detail15normal_iteratorINS9_10device_ptrIiEEEESE_SE_iNS9_4plusIvEENS9_8equal_toIiEEiEE10hipError_tPvRmT2_T3_T4_T5_mT6_T7_P12ihipStream_tbENKUlT_T0_E_clISt17integral_constantIbLb1EESY_IbLb0EEEEDaSU_SV_EUlSU_E_NS1_11comp_targetILNS1_3genE8ELNS1_11target_archE1030ELNS1_3gpuE2ELNS1_3repE0EEENS1_30default_config_static_selectorELNS0_4arch9wavefront6targetE1EEEvT1_,comdat
	.protected	_ZN7rocprim17ROCPRIM_400000_NS6detail17trampoline_kernelINS0_14default_configENS1_27scan_by_key_config_selectorIiiEEZZNS1_16scan_by_key_implILNS1_25lookback_scan_determinismE0ELb0ES3_N6thrust23THRUST_200600_302600_NS6detail15normal_iteratorINS9_10device_ptrIiEEEESE_SE_iNS9_4plusIvEENS9_8equal_toIiEEiEE10hipError_tPvRmT2_T3_T4_T5_mT6_T7_P12ihipStream_tbENKUlT_T0_E_clISt17integral_constantIbLb1EESY_IbLb0EEEEDaSU_SV_EUlSU_E_NS1_11comp_targetILNS1_3genE8ELNS1_11target_archE1030ELNS1_3gpuE2ELNS1_3repE0EEENS1_30default_config_static_selectorELNS0_4arch9wavefront6targetE1EEEvT1_ ; -- Begin function _ZN7rocprim17ROCPRIM_400000_NS6detail17trampoline_kernelINS0_14default_configENS1_27scan_by_key_config_selectorIiiEEZZNS1_16scan_by_key_implILNS1_25lookback_scan_determinismE0ELb0ES3_N6thrust23THRUST_200600_302600_NS6detail15normal_iteratorINS9_10device_ptrIiEEEESE_SE_iNS9_4plusIvEENS9_8equal_toIiEEiEE10hipError_tPvRmT2_T3_T4_T5_mT6_T7_P12ihipStream_tbENKUlT_T0_E_clISt17integral_constantIbLb1EESY_IbLb0EEEEDaSU_SV_EUlSU_E_NS1_11comp_targetILNS1_3genE8ELNS1_11target_archE1030ELNS1_3gpuE2ELNS1_3repE0EEENS1_30default_config_static_selectorELNS0_4arch9wavefront6targetE1EEEvT1_
	.globl	_ZN7rocprim17ROCPRIM_400000_NS6detail17trampoline_kernelINS0_14default_configENS1_27scan_by_key_config_selectorIiiEEZZNS1_16scan_by_key_implILNS1_25lookback_scan_determinismE0ELb0ES3_N6thrust23THRUST_200600_302600_NS6detail15normal_iteratorINS9_10device_ptrIiEEEESE_SE_iNS9_4plusIvEENS9_8equal_toIiEEiEE10hipError_tPvRmT2_T3_T4_T5_mT6_T7_P12ihipStream_tbENKUlT_T0_E_clISt17integral_constantIbLb1EESY_IbLb0EEEEDaSU_SV_EUlSU_E_NS1_11comp_targetILNS1_3genE8ELNS1_11target_archE1030ELNS1_3gpuE2ELNS1_3repE0EEENS1_30default_config_static_selectorELNS0_4arch9wavefront6targetE1EEEvT1_
	.p2align	8
	.type	_ZN7rocprim17ROCPRIM_400000_NS6detail17trampoline_kernelINS0_14default_configENS1_27scan_by_key_config_selectorIiiEEZZNS1_16scan_by_key_implILNS1_25lookback_scan_determinismE0ELb0ES3_N6thrust23THRUST_200600_302600_NS6detail15normal_iteratorINS9_10device_ptrIiEEEESE_SE_iNS9_4plusIvEENS9_8equal_toIiEEiEE10hipError_tPvRmT2_T3_T4_T5_mT6_T7_P12ihipStream_tbENKUlT_T0_E_clISt17integral_constantIbLb1EESY_IbLb0EEEEDaSU_SV_EUlSU_E_NS1_11comp_targetILNS1_3genE8ELNS1_11target_archE1030ELNS1_3gpuE2ELNS1_3repE0EEENS1_30default_config_static_selectorELNS0_4arch9wavefront6targetE1EEEvT1_,@function
_ZN7rocprim17ROCPRIM_400000_NS6detail17trampoline_kernelINS0_14default_configENS1_27scan_by_key_config_selectorIiiEEZZNS1_16scan_by_key_implILNS1_25lookback_scan_determinismE0ELb0ES3_N6thrust23THRUST_200600_302600_NS6detail15normal_iteratorINS9_10device_ptrIiEEEESE_SE_iNS9_4plusIvEENS9_8equal_toIiEEiEE10hipError_tPvRmT2_T3_T4_T5_mT6_T7_P12ihipStream_tbENKUlT_T0_E_clISt17integral_constantIbLb1EESY_IbLb0EEEEDaSU_SV_EUlSU_E_NS1_11comp_targetILNS1_3genE8ELNS1_11target_archE1030ELNS1_3gpuE2ELNS1_3repE0EEENS1_30default_config_static_selectorELNS0_4arch9wavefront6targetE1EEEvT1_: ; @_ZN7rocprim17ROCPRIM_400000_NS6detail17trampoline_kernelINS0_14default_configENS1_27scan_by_key_config_selectorIiiEEZZNS1_16scan_by_key_implILNS1_25lookback_scan_determinismE0ELb0ES3_N6thrust23THRUST_200600_302600_NS6detail15normal_iteratorINS9_10device_ptrIiEEEESE_SE_iNS9_4plusIvEENS9_8equal_toIiEEiEE10hipError_tPvRmT2_T3_T4_T5_mT6_T7_P12ihipStream_tbENKUlT_T0_E_clISt17integral_constantIbLb1EESY_IbLb0EEEEDaSU_SV_EUlSU_E_NS1_11comp_targetILNS1_3genE8ELNS1_11target_archE1030ELNS1_3gpuE2ELNS1_3repE0EEENS1_30default_config_static_selectorELNS0_4arch9wavefront6targetE1EEEvT1_
; %bb.0:
	.section	.rodata,"a",@progbits
	.p2align	6, 0x0
	.amdhsa_kernel _ZN7rocprim17ROCPRIM_400000_NS6detail17trampoline_kernelINS0_14default_configENS1_27scan_by_key_config_selectorIiiEEZZNS1_16scan_by_key_implILNS1_25lookback_scan_determinismE0ELb0ES3_N6thrust23THRUST_200600_302600_NS6detail15normal_iteratorINS9_10device_ptrIiEEEESE_SE_iNS9_4plusIvEENS9_8equal_toIiEEiEE10hipError_tPvRmT2_T3_T4_T5_mT6_T7_P12ihipStream_tbENKUlT_T0_E_clISt17integral_constantIbLb1EESY_IbLb0EEEEDaSU_SV_EUlSU_E_NS1_11comp_targetILNS1_3genE8ELNS1_11target_archE1030ELNS1_3gpuE2ELNS1_3repE0EEENS1_30default_config_static_selectorELNS0_4arch9wavefront6targetE1EEEvT1_
		.amdhsa_group_segment_fixed_size 0
		.amdhsa_private_segment_fixed_size 0
		.amdhsa_kernarg_size 112
		.amdhsa_user_sgpr_count 6
		.amdhsa_user_sgpr_private_segment_buffer 1
		.amdhsa_user_sgpr_dispatch_ptr 0
		.amdhsa_user_sgpr_queue_ptr 0
		.amdhsa_user_sgpr_kernarg_segment_ptr 1
		.amdhsa_user_sgpr_dispatch_id 0
		.amdhsa_user_sgpr_flat_scratch_init 0
		.amdhsa_user_sgpr_kernarg_preload_length 0
		.amdhsa_user_sgpr_kernarg_preload_offset 0
		.amdhsa_user_sgpr_private_segment_size 0
		.amdhsa_uses_dynamic_stack 0
		.amdhsa_system_sgpr_private_segment_wavefront_offset 0
		.amdhsa_system_sgpr_workgroup_id_x 1
		.amdhsa_system_sgpr_workgroup_id_y 0
		.amdhsa_system_sgpr_workgroup_id_z 0
		.amdhsa_system_sgpr_workgroup_info 0
		.amdhsa_system_vgpr_workitem_id 0
		.amdhsa_next_free_vgpr 1
		.amdhsa_next_free_sgpr 0
		.amdhsa_accum_offset 4
		.amdhsa_reserve_vcc 0
		.amdhsa_reserve_flat_scratch 0
		.amdhsa_float_round_mode_32 0
		.amdhsa_float_round_mode_16_64 0
		.amdhsa_float_denorm_mode_32 3
		.amdhsa_float_denorm_mode_16_64 3
		.amdhsa_dx10_clamp 1
		.amdhsa_ieee_mode 1
		.amdhsa_fp16_overflow 0
		.amdhsa_tg_split 0
		.amdhsa_exception_fp_ieee_invalid_op 0
		.amdhsa_exception_fp_denorm_src 0
		.amdhsa_exception_fp_ieee_div_zero 0
		.amdhsa_exception_fp_ieee_overflow 0
		.amdhsa_exception_fp_ieee_underflow 0
		.amdhsa_exception_fp_ieee_inexact 0
		.amdhsa_exception_int_div_zero 0
	.end_amdhsa_kernel
	.section	.text._ZN7rocprim17ROCPRIM_400000_NS6detail17trampoline_kernelINS0_14default_configENS1_27scan_by_key_config_selectorIiiEEZZNS1_16scan_by_key_implILNS1_25lookback_scan_determinismE0ELb0ES3_N6thrust23THRUST_200600_302600_NS6detail15normal_iteratorINS9_10device_ptrIiEEEESE_SE_iNS9_4plusIvEENS9_8equal_toIiEEiEE10hipError_tPvRmT2_T3_T4_T5_mT6_T7_P12ihipStream_tbENKUlT_T0_E_clISt17integral_constantIbLb1EESY_IbLb0EEEEDaSU_SV_EUlSU_E_NS1_11comp_targetILNS1_3genE8ELNS1_11target_archE1030ELNS1_3gpuE2ELNS1_3repE0EEENS1_30default_config_static_selectorELNS0_4arch9wavefront6targetE1EEEvT1_,"axG",@progbits,_ZN7rocprim17ROCPRIM_400000_NS6detail17trampoline_kernelINS0_14default_configENS1_27scan_by_key_config_selectorIiiEEZZNS1_16scan_by_key_implILNS1_25lookback_scan_determinismE0ELb0ES3_N6thrust23THRUST_200600_302600_NS6detail15normal_iteratorINS9_10device_ptrIiEEEESE_SE_iNS9_4plusIvEENS9_8equal_toIiEEiEE10hipError_tPvRmT2_T3_T4_T5_mT6_T7_P12ihipStream_tbENKUlT_T0_E_clISt17integral_constantIbLb1EESY_IbLb0EEEEDaSU_SV_EUlSU_E_NS1_11comp_targetILNS1_3genE8ELNS1_11target_archE1030ELNS1_3gpuE2ELNS1_3repE0EEENS1_30default_config_static_selectorELNS0_4arch9wavefront6targetE1EEEvT1_,comdat
.Lfunc_end226:
	.size	_ZN7rocprim17ROCPRIM_400000_NS6detail17trampoline_kernelINS0_14default_configENS1_27scan_by_key_config_selectorIiiEEZZNS1_16scan_by_key_implILNS1_25lookback_scan_determinismE0ELb0ES3_N6thrust23THRUST_200600_302600_NS6detail15normal_iteratorINS9_10device_ptrIiEEEESE_SE_iNS9_4plusIvEENS9_8equal_toIiEEiEE10hipError_tPvRmT2_T3_T4_T5_mT6_T7_P12ihipStream_tbENKUlT_T0_E_clISt17integral_constantIbLb1EESY_IbLb0EEEEDaSU_SV_EUlSU_E_NS1_11comp_targetILNS1_3genE8ELNS1_11target_archE1030ELNS1_3gpuE2ELNS1_3repE0EEENS1_30default_config_static_selectorELNS0_4arch9wavefront6targetE1EEEvT1_, .Lfunc_end226-_ZN7rocprim17ROCPRIM_400000_NS6detail17trampoline_kernelINS0_14default_configENS1_27scan_by_key_config_selectorIiiEEZZNS1_16scan_by_key_implILNS1_25lookback_scan_determinismE0ELb0ES3_N6thrust23THRUST_200600_302600_NS6detail15normal_iteratorINS9_10device_ptrIiEEEESE_SE_iNS9_4plusIvEENS9_8equal_toIiEEiEE10hipError_tPvRmT2_T3_T4_T5_mT6_T7_P12ihipStream_tbENKUlT_T0_E_clISt17integral_constantIbLb1EESY_IbLb0EEEEDaSU_SV_EUlSU_E_NS1_11comp_targetILNS1_3genE8ELNS1_11target_archE1030ELNS1_3gpuE2ELNS1_3repE0EEENS1_30default_config_static_selectorELNS0_4arch9wavefront6targetE1EEEvT1_
                                        ; -- End function
	.section	.AMDGPU.csdata,"",@progbits
; Kernel info:
; codeLenInByte = 0
; NumSgprs: 4
; NumVgprs: 0
; NumAgprs: 0
; TotalNumVgprs: 0
; ScratchSize: 0
; MemoryBound: 0
; FloatMode: 240
; IeeeMode: 1
; LDSByteSize: 0 bytes/workgroup (compile time only)
; SGPRBlocks: 0
; VGPRBlocks: 0
; NumSGPRsForWavesPerEU: 4
; NumVGPRsForWavesPerEU: 1
; AccumOffset: 4
; Occupancy: 8
; WaveLimiterHint : 0
; COMPUTE_PGM_RSRC2:SCRATCH_EN: 0
; COMPUTE_PGM_RSRC2:USER_SGPR: 6
; COMPUTE_PGM_RSRC2:TRAP_HANDLER: 0
; COMPUTE_PGM_RSRC2:TGID_X_EN: 1
; COMPUTE_PGM_RSRC2:TGID_Y_EN: 0
; COMPUTE_PGM_RSRC2:TGID_Z_EN: 0
; COMPUTE_PGM_RSRC2:TIDIG_COMP_CNT: 0
; COMPUTE_PGM_RSRC3_GFX90A:ACCUM_OFFSET: 0
; COMPUTE_PGM_RSRC3_GFX90A:TG_SPLIT: 0
	.section	.text._ZN7rocprim17ROCPRIM_400000_NS6detail17trampoline_kernelINS0_14default_configENS1_27scan_by_key_config_selectorIiiEEZZNS1_16scan_by_key_implILNS1_25lookback_scan_determinismE0ELb0ES3_N6thrust23THRUST_200600_302600_NS6detail15normal_iteratorINS9_10device_ptrIiEEEESE_SE_iNS9_4plusIvEENS9_8equal_toIiEEiEE10hipError_tPvRmT2_T3_T4_T5_mT6_T7_P12ihipStream_tbENKUlT_T0_E_clISt17integral_constantIbLb0EESY_IbLb1EEEEDaSU_SV_EUlSU_E_NS1_11comp_targetILNS1_3genE0ELNS1_11target_archE4294967295ELNS1_3gpuE0ELNS1_3repE0EEENS1_30default_config_static_selectorELNS0_4arch9wavefront6targetE1EEEvT1_,"axG",@progbits,_ZN7rocprim17ROCPRIM_400000_NS6detail17trampoline_kernelINS0_14default_configENS1_27scan_by_key_config_selectorIiiEEZZNS1_16scan_by_key_implILNS1_25lookback_scan_determinismE0ELb0ES3_N6thrust23THRUST_200600_302600_NS6detail15normal_iteratorINS9_10device_ptrIiEEEESE_SE_iNS9_4plusIvEENS9_8equal_toIiEEiEE10hipError_tPvRmT2_T3_T4_T5_mT6_T7_P12ihipStream_tbENKUlT_T0_E_clISt17integral_constantIbLb0EESY_IbLb1EEEEDaSU_SV_EUlSU_E_NS1_11comp_targetILNS1_3genE0ELNS1_11target_archE4294967295ELNS1_3gpuE0ELNS1_3repE0EEENS1_30default_config_static_selectorELNS0_4arch9wavefront6targetE1EEEvT1_,comdat
	.protected	_ZN7rocprim17ROCPRIM_400000_NS6detail17trampoline_kernelINS0_14default_configENS1_27scan_by_key_config_selectorIiiEEZZNS1_16scan_by_key_implILNS1_25lookback_scan_determinismE0ELb0ES3_N6thrust23THRUST_200600_302600_NS6detail15normal_iteratorINS9_10device_ptrIiEEEESE_SE_iNS9_4plusIvEENS9_8equal_toIiEEiEE10hipError_tPvRmT2_T3_T4_T5_mT6_T7_P12ihipStream_tbENKUlT_T0_E_clISt17integral_constantIbLb0EESY_IbLb1EEEEDaSU_SV_EUlSU_E_NS1_11comp_targetILNS1_3genE0ELNS1_11target_archE4294967295ELNS1_3gpuE0ELNS1_3repE0EEENS1_30default_config_static_selectorELNS0_4arch9wavefront6targetE1EEEvT1_ ; -- Begin function _ZN7rocprim17ROCPRIM_400000_NS6detail17trampoline_kernelINS0_14default_configENS1_27scan_by_key_config_selectorIiiEEZZNS1_16scan_by_key_implILNS1_25lookback_scan_determinismE0ELb0ES3_N6thrust23THRUST_200600_302600_NS6detail15normal_iteratorINS9_10device_ptrIiEEEESE_SE_iNS9_4plusIvEENS9_8equal_toIiEEiEE10hipError_tPvRmT2_T3_T4_T5_mT6_T7_P12ihipStream_tbENKUlT_T0_E_clISt17integral_constantIbLb0EESY_IbLb1EEEEDaSU_SV_EUlSU_E_NS1_11comp_targetILNS1_3genE0ELNS1_11target_archE4294967295ELNS1_3gpuE0ELNS1_3repE0EEENS1_30default_config_static_selectorELNS0_4arch9wavefront6targetE1EEEvT1_
	.globl	_ZN7rocprim17ROCPRIM_400000_NS6detail17trampoline_kernelINS0_14default_configENS1_27scan_by_key_config_selectorIiiEEZZNS1_16scan_by_key_implILNS1_25lookback_scan_determinismE0ELb0ES3_N6thrust23THRUST_200600_302600_NS6detail15normal_iteratorINS9_10device_ptrIiEEEESE_SE_iNS9_4plusIvEENS9_8equal_toIiEEiEE10hipError_tPvRmT2_T3_T4_T5_mT6_T7_P12ihipStream_tbENKUlT_T0_E_clISt17integral_constantIbLb0EESY_IbLb1EEEEDaSU_SV_EUlSU_E_NS1_11comp_targetILNS1_3genE0ELNS1_11target_archE4294967295ELNS1_3gpuE0ELNS1_3repE0EEENS1_30default_config_static_selectorELNS0_4arch9wavefront6targetE1EEEvT1_
	.p2align	8
	.type	_ZN7rocprim17ROCPRIM_400000_NS6detail17trampoline_kernelINS0_14default_configENS1_27scan_by_key_config_selectorIiiEEZZNS1_16scan_by_key_implILNS1_25lookback_scan_determinismE0ELb0ES3_N6thrust23THRUST_200600_302600_NS6detail15normal_iteratorINS9_10device_ptrIiEEEESE_SE_iNS9_4plusIvEENS9_8equal_toIiEEiEE10hipError_tPvRmT2_T3_T4_T5_mT6_T7_P12ihipStream_tbENKUlT_T0_E_clISt17integral_constantIbLb0EESY_IbLb1EEEEDaSU_SV_EUlSU_E_NS1_11comp_targetILNS1_3genE0ELNS1_11target_archE4294967295ELNS1_3gpuE0ELNS1_3repE0EEENS1_30default_config_static_selectorELNS0_4arch9wavefront6targetE1EEEvT1_,@function
_ZN7rocprim17ROCPRIM_400000_NS6detail17trampoline_kernelINS0_14default_configENS1_27scan_by_key_config_selectorIiiEEZZNS1_16scan_by_key_implILNS1_25lookback_scan_determinismE0ELb0ES3_N6thrust23THRUST_200600_302600_NS6detail15normal_iteratorINS9_10device_ptrIiEEEESE_SE_iNS9_4plusIvEENS9_8equal_toIiEEiEE10hipError_tPvRmT2_T3_T4_T5_mT6_T7_P12ihipStream_tbENKUlT_T0_E_clISt17integral_constantIbLb0EESY_IbLb1EEEEDaSU_SV_EUlSU_E_NS1_11comp_targetILNS1_3genE0ELNS1_11target_archE4294967295ELNS1_3gpuE0ELNS1_3repE0EEENS1_30default_config_static_selectorELNS0_4arch9wavefront6targetE1EEEvT1_: ; @_ZN7rocprim17ROCPRIM_400000_NS6detail17trampoline_kernelINS0_14default_configENS1_27scan_by_key_config_selectorIiiEEZZNS1_16scan_by_key_implILNS1_25lookback_scan_determinismE0ELb0ES3_N6thrust23THRUST_200600_302600_NS6detail15normal_iteratorINS9_10device_ptrIiEEEESE_SE_iNS9_4plusIvEENS9_8equal_toIiEEiEE10hipError_tPvRmT2_T3_T4_T5_mT6_T7_P12ihipStream_tbENKUlT_T0_E_clISt17integral_constantIbLb0EESY_IbLb1EEEEDaSU_SV_EUlSU_E_NS1_11comp_targetILNS1_3genE0ELNS1_11target_archE4294967295ELNS1_3gpuE0ELNS1_3repE0EEENS1_30default_config_static_selectorELNS0_4arch9wavefront6targetE1EEEvT1_
; %bb.0:
	.section	.rodata,"a",@progbits
	.p2align	6, 0x0
	.amdhsa_kernel _ZN7rocprim17ROCPRIM_400000_NS6detail17trampoline_kernelINS0_14default_configENS1_27scan_by_key_config_selectorIiiEEZZNS1_16scan_by_key_implILNS1_25lookback_scan_determinismE0ELb0ES3_N6thrust23THRUST_200600_302600_NS6detail15normal_iteratorINS9_10device_ptrIiEEEESE_SE_iNS9_4plusIvEENS9_8equal_toIiEEiEE10hipError_tPvRmT2_T3_T4_T5_mT6_T7_P12ihipStream_tbENKUlT_T0_E_clISt17integral_constantIbLb0EESY_IbLb1EEEEDaSU_SV_EUlSU_E_NS1_11comp_targetILNS1_3genE0ELNS1_11target_archE4294967295ELNS1_3gpuE0ELNS1_3repE0EEENS1_30default_config_static_selectorELNS0_4arch9wavefront6targetE1EEEvT1_
		.amdhsa_group_segment_fixed_size 0
		.amdhsa_private_segment_fixed_size 0
		.amdhsa_kernarg_size 112
		.amdhsa_user_sgpr_count 6
		.amdhsa_user_sgpr_private_segment_buffer 1
		.amdhsa_user_sgpr_dispatch_ptr 0
		.amdhsa_user_sgpr_queue_ptr 0
		.amdhsa_user_sgpr_kernarg_segment_ptr 1
		.amdhsa_user_sgpr_dispatch_id 0
		.amdhsa_user_sgpr_flat_scratch_init 0
		.amdhsa_user_sgpr_kernarg_preload_length 0
		.amdhsa_user_sgpr_kernarg_preload_offset 0
		.amdhsa_user_sgpr_private_segment_size 0
		.amdhsa_uses_dynamic_stack 0
		.amdhsa_system_sgpr_private_segment_wavefront_offset 0
		.amdhsa_system_sgpr_workgroup_id_x 1
		.amdhsa_system_sgpr_workgroup_id_y 0
		.amdhsa_system_sgpr_workgroup_id_z 0
		.amdhsa_system_sgpr_workgroup_info 0
		.amdhsa_system_vgpr_workitem_id 0
		.amdhsa_next_free_vgpr 1
		.amdhsa_next_free_sgpr 0
		.amdhsa_accum_offset 4
		.amdhsa_reserve_vcc 0
		.amdhsa_reserve_flat_scratch 0
		.amdhsa_float_round_mode_32 0
		.amdhsa_float_round_mode_16_64 0
		.amdhsa_float_denorm_mode_32 3
		.amdhsa_float_denorm_mode_16_64 3
		.amdhsa_dx10_clamp 1
		.amdhsa_ieee_mode 1
		.amdhsa_fp16_overflow 0
		.amdhsa_tg_split 0
		.amdhsa_exception_fp_ieee_invalid_op 0
		.amdhsa_exception_fp_denorm_src 0
		.amdhsa_exception_fp_ieee_div_zero 0
		.amdhsa_exception_fp_ieee_overflow 0
		.amdhsa_exception_fp_ieee_underflow 0
		.amdhsa_exception_fp_ieee_inexact 0
		.amdhsa_exception_int_div_zero 0
	.end_amdhsa_kernel
	.section	.text._ZN7rocprim17ROCPRIM_400000_NS6detail17trampoline_kernelINS0_14default_configENS1_27scan_by_key_config_selectorIiiEEZZNS1_16scan_by_key_implILNS1_25lookback_scan_determinismE0ELb0ES3_N6thrust23THRUST_200600_302600_NS6detail15normal_iteratorINS9_10device_ptrIiEEEESE_SE_iNS9_4plusIvEENS9_8equal_toIiEEiEE10hipError_tPvRmT2_T3_T4_T5_mT6_T7_P12ihipStream_tbENKUlT_T0_E_clISt17integral_constantIbLb0EESY_IbLb1EEEEDaSU_SV_EUlSU_E_NS1_11comp_targetILNS1_3genE0ELNS1_11target_archE4294967295ELNS1_3gpuE0ELNS1_3repE0EEENS1_30default_config_static_selectorELNS0_4arch9wavefront6targetE1EEEvT1_,"axG",@progbits,_ZN7rocprim17ROCPRIM_400000_NS6detail17trampoline_kernelINS0_14default_configENS1_27scan_by_key_config_selectorIiiEEZZNS1_16scan_by_key_implILNS1_25lookback_scan_determinismE0ELb0ES3_N6thrust23THRUST_200600_302600_NS6detail15normal_iteratorINS9_10device_ptrIiEEEESE_SE_iNS9_4plusIvEENS9_8equal_toIiEEiEE10hipError_tPvRmT2_T3_T4_T5_mT6_T7_P12ihipStream_tbENKUlT_T0_E_clISt17integral_constantIbLb0EESY_IbLb1EEEEDaSU_SV_EUlSU_E_NS1_11comp_targetILNS1_3genE0ELNS1_11target_archE4294967295ELNS1_3gpuE0ELNS1_3repE0EEENS1_30default_config_static_selectorELNS0_4arch9wavefront6targetE1EEEvT1_,comdat
.Lfunc_end227:
	.size	_ZN7rocprim17ROCPRIM_400000_NS6detail17trampoline_kernelINS0_14default_configENS1_27scan_by_key_config_selectorIiiEEZZNS1_16scan_by_key_implILNS1_25lookback_scan_determinismE0ELb0ES3_N6thrust23THRUST_200600_302600_NS6detail15normal_iteratorINS9_10device_ptrIiEEEESE_SE_iNS9_4plusIvEENS9_8equal_toIiEEiEE10hipError_tPvRmT2_T3_T4_T5_mT6_T7_P12ihipStream_tbENKUlT_T0_E_clISt17integral_constantIbLb0EESY_IbLb1EEEEDaSU_SV_EUlSU_E_NS1_11comp_targetILNS1_3genE0ELNS1_11target_archE4294967295ELNS1_3gpuE0ELNS1_3repE0EEENS1_30default_config_static_selectorELNS0_4arch9wavefront6targetE1EEEvT1_, .Lfunc_end227-_ZN7rocprim17ROCPRIM_400000_NS6detail17trampoline_kernelINS0_14default_configENS1_27scan_by_key_config_selectorIiiEEZZNS1_16scan_by_key_implILNS1_25lookback_scan_determinismE0ELb0ES3_N6thrust23THRUST_200600_302600_NS6detail15normal_iteratorINS9_10device_ptrIiEEEESE_SE_iNS9_4plusIvEENS9_8equal_toIiEEiEE10hipError_tPvRmT2_T3_T4_T5_mT6_T7_P12ihipStream_tbENKUlT_T0_E_clISt17integral_constantIbLb0EESY_IbLb1EEEEDaSU_SV_EUlSU_E_NS1_11comp_targetILNS1_3genE0ELNS1_11target_archE4294967295ELNS1_3gpuE0ELNS1_3repE0EEENS1_30default_config_static_selectorELNS0_4arch9wavefront6targetE1EEEvT1_
                                        ; -- End function
	.section	.AMDGPU.csdata,"",@progbits
; Kernel info:
; codeLenInByte = 0
; NumSgprs: 4
; NumVgprs: 0
; NumAgprs: 0
; TotalNumVgprs: 0
; ScratchSize: 0
; MemoryBound: 0
; FloatMode: 240
; IeeeMode: 1
; LDSByteSize: 0 bytes/workgroup (compile time only)
; SGPRBlocks: 0
; VGPRBlocks: 0
; NumSGPRsForWavesPerEU: 4
; NumVGPRsForWavesPerEU: 1
; AccumOffset: 4
; Occupancy: 8
; WaveLimiterHint : 0
; COMPUTE_PGM_RSRC2:SCRATCH_EN: 0
; COMPUTE_PGM_RSRC2:USER_SGPR: 6
; COMPUTE_PGM_RSRC2:TRAP_HANDLER: 0
; COMPUTE_PGM_RSRC2:TGID_X_EN: 1
; COMPUTE_PGM_RSRC2:TGID_Y_EN: 0
; COMPUTE_PGM_RSRC2:TGID_Z_EN: 0
; COMPUTE_PGM_RSRC2:TIDIG_COMP_CNT: 0
; COMPUTE_PGM_RSRC3_GFX90A:ACCUM_OFFSET: 0
; COMPUTE_PGM_RSRC3_GFX90A:TG_SPLIT: 0
	.section	.text._ZN7rocprim17ROCPRIM_400000_NS6detail17trampoline_kernelINS0_14default_configENS1_27scan_by_key_config_selectorIiiEEZZNS1_16scan_by_key_implILNS1_25lookback_scan_determinismE0ELb0ES3_N6thrust23THRUST_200600_302600_NS6detail15normal_iteratorINS9_10device_ptrIiEEEESE_SE_iNS9_4plusIvEENS9_8equal_toIiEEiEE10hipError_tPvRmT2_T3_T4_T5_mT6_T7_P12ihipStream_tbENKUlT_T0_E_clISt17integral_constantIbLb0EESY_IbLb1EEEEDaSU_SV_EUlSU_E_NS1_11comp_targetILNS1_3genE10ELNS1_11target_archE1201ELNS1_3gpuE5ELNS1_3repE0EEENS1_30default_config_static_selectorELNS0_4arch9wavefront6targetE1EEEvT1_,"axG",@progbits,_ZN7rocprim17ROCPRIM_400000_NS6detail17trampoline_kernelINS0_14default_configENS1_27scan_by_key_config_selectorIiiEEZZNS1_16scan_by_key_implILNS1_25lookback_scan_determinismE0ELb0ES3_N6thrust23THRUST_200600_302600_NS6detail15normal_iteratorINS9_10device_ptrIiEEEESE_SE_iNS9_4plusIvEENS9_8equal_toIiEEiEE10hipError_tPvRmT2_T3_T4_T5_mT6_T7_P12ihipStream_tbENKUlT_T0_E_clISt17integral_constantIbLb0EESY_IbLb1EEEEDaSU_SV_EUlSU_E_NS1_11comp_targetILNS1_3genE10ELNS1_11target_archE1201ELNS1_3gpuE5ELNS1_3repE0EEENS1_30default_config_static_selectorELNS0_4arch9wavefront6targetE1EEEvT1_,comdat
	.protected	_ZN7rocprim17ROCPRIM_400000_NS6detail17trampoline_kernelINS0_14default_configENS1_27scan_by_key_config_selectorIiiEEZZNS1_16scan_by_key_implILNS1_25lookback_scan_determinismE0ELb0ES3_N6thrust23THRUST_200600_302600_NS6detail15normal_iteratorINS9_10device_ptrIiEEEESE_SE_iNS9_4plusIvEENS9_8equal_toIiEEiEE10hipError_tPvRmT2_T3_T4_T5_mT6_T7_P12ihipStream_tbENKUlT_T0_E_clISt17integral_constantIbLb0EESY_IbLb1EEEEDaSU_SV_EUlSU_E_NS1_11comp_targetILNS1_3genE10ELNS1_11target_archE1201ELNS1_3gpuE5ELNS1_3repE0EEENS1_30default_config_static_selectorELNS0_4arch9wavefront6targetE1EEEvT1_ ; -- Begin function _ZN7rocprim17ROCPRIM_400000_NS6detail17trampoline_kernelINS0_14default_configENS1_27scan_by_key_config_selectorIiiEEZZNS1_16scan_by_key_implILNS1_25lookback_scan_determinismE0ELb0ES3_N6thrust23THRUST_200600_302600_NS6detail15normal_iteratorINS9_10device_ptrIiEEEESE_SE_iNS9_4plusIvEENS9_8equal_toIiEEiEE10hipError_tPvRmT2_T3_T4_T5_mT6_T7_P12ihipStream_tbENKUlT_T0_E_clISt17integral_constantIbLb0EESY_IbLb1EEEEDaSU_SV_EUlSU_E_NS1_11comp_targetILNS1_3genE10ELNS1_11target_archE1201ELNS1_3gpuE5ELNS1_3repE0EEENS1_30default_config_static_selectorELNS0_4arch9wavefront6targetE1EEEvT1_
	.globl	_ZN7rocprim17ROCPRIM_400000_NS6detail17trampoline_kernelINS0_14default_configENS1_27scan_by_key_config_selectorIiiEEZZNS1_16scan_by_key_implILNS1_25lookback_scan_determinismE0ELb0ES3_N6thrust23THRUST_200600_302600_NS6detail15normal_iteratorINS9_10device_ptrIiEEEESE_SE_iNS9_4plusIvEENS9_8equal_toIiEEiEE10hipError_tPvRmT2_T3_T4_T5_mT6_T7_P12ihipStream_tbENKUlT_T0_E_clISt17integral_constantIbLb0EESY_IbLb1EEEEDaSU_SV_EUlSU_E_NS1_11comp_targetILNS1_3genE10ELNS1_11target_archE1201ELNS1_3gpuE5ELNS1_3repE0EEENS1_30default_config_static_selectorELNS0_4arch9wavefront6targetE1EEEvT1_
	.p2align	8
	.type	_ZN7rocprim17ROCPRIM_400000_NS6detail17trampoline_kernelINS0_14default_configENS1_27scan_by_key_config_selectorIiiEEZZNS1_16scan_by_key_implILNS1_25lookback_scan_determinismE0ELb0ES3_N6thrust23THRUST_200600_302600_NS6detail15normal_iteratorINS9_10device_ptrIiEEEESE_SE_iNS9_4plusIvEENS9_8equal_toIiEEiEE10hipError_tPvRmT2_T3_T4_T5_mT6_T7_P12ihipStream_tbENKUlT_T0_E_clISt17integral_constantIbLb0EESY_IbLb1EEEEDaSU_SV_EUlSU_E_NS1_11comp_targetILNS1_3genE10ELNS1_11target_archE1201ELNS1_3gpuE5ELNS1_3repE0EEENS1_30default_config_static_selectorELNS0_4arch9wavefront6targetE1EEEvT1_,@function
_ZN7rocprim17ROCPRIM_400000_NS6detail17trampoline_kernelINS0_14default_configENS1_27scan_by_key_config_selectorIiiEEZZNS1_16scan_by_key_implILNS1_25lookback_scan_determinismE0ELb0ES3_N6thrust23THRUST_200600_302600_NS6detail15normal_iteratorINS9_10device_ptrIiEEEESE_SE_iNS9_4plusIvEENS9_8equal_toIiEEiEE10hipError_tPvRmT2_T3_T4_T5_mT6_T7_P12ihipStream_tbENKUlT_T0_E_clISt17integral_constantIbLb0EESY_IbLb1EEEEDaSU_SV_EUlSU_E_NS1_11comp_targetILNS1_3genE10ELNS1_11target_archE1201ELNS1_3gpuE5ELNS1_3repE0EEENS1_30default_config_static_selectorELNS0_4arch9wavefront6targetE1EEEvT1_: ; @_ZN7rocprim17ROCPRIM_400000_NS6detail17trampoline_kernelINS0_14default_configENS1_27scan_by_key_config_selectorIiiEEZZNS1_16scan_by_key_implILNS1_25lookback_scan_determinismE0ELb0ES3_N6thrust23THRUST_200600_302600_NS6detail15normal_iteratorINS9_10device_ptrIiEEEESE_SE_iNS9_4plusIvEENS9_8equal_toIiEEiEE10hipError_tPvRmT2_T3_T4_T5_mT6_T7_P12ihipStream_tbENKUlT_T0_E_clISt17integral_constantIbLb0EESY_IbLb1EEEEDaSU_SV_EUlSU_E_NS1_11comp_targetILNS1_3genE10ELNS1_11target_archE1201ELNS1_3gpuE5ELNS1_3repE0EEENS1_30default_config_static_selectorELNS0_4arch9wavefront6targetE1EEEvT1_
; %bb.0:
	.section	.rodata,"a",@progbits
	.p2align	6, 0x0
	.amdhsa_kernel _ZN7rocprim17ROCPRIM_400000_NS6detail17trampoline_kernelINS0_14default_configENS1_27scan_by_key_config_selectorIiiEEZZNS1_16scan_by_key_implILNS1_25lookback_scan_determinismE0ELb0ES3_N6thrust23THRUST_200600_302600_NS6detail15normal_iteratorINS9_10device_ptrIiEEEESE_SE_iNS9_4plusIvEENS9_8equal_toIiEEiEE10hipError_tPvRmT2_T3_T4_T5_mT6_T7_P12ihipStream_tbENKUlT_T0_E_clISt17integral_constantIbLb0EESY_IbLb1EEEEDaSU_SV_EUlSU_E_NS1_11comp_targetILNS1_3genE10ELNS1_11target_archE1201ELNS1_3gpuE5ELNS1_3repE0EEENS1_30default_config_static_selectorELNS0_4arch9wavefront6targetE1EEEvT1_
		.amdhsa_group_segment_fixed_size 0
		.amdhsa_private_segment_fixed_size 0
		.amdhsa_kernarg_size 112
		.amdhsa_user_sgpr_count 6
		.amdhsa_user_sgpr_private_segment_buffer 1
		.amdhsa_user_sgpr_dispatch_ptr 0
		.amdhsa_user_sgpr_queue_ptr 0
		.amdhsa_user_sgpr_kernarg_segment_ptr 1
		.amdhsa_user_sgpr_dispatch_id 0
		.amdhsa_user_sgpr_flat_scratch_init 0
		.amdhsa_user_sgpr_kernarg_preload_length 0
		.amdhsa_user_sgpr_kernarg_preload_offset 0
		.amdhsa_user_sgpr_private_segment_size 0
		.amdhsa_uses_dynamic_stack 0
		.amdhsa_system_sgpr_private_segment_wavefront_offset 0
		.amdhsa_system_sgpr_workgroup_id_x 1
		.amdhsa_system_sgpr_workgroup_id_y 0
		.amdhsa_system_sgpr_workgroup_id_z 0
		.amdhsa_system_sgpr_workgroup_info 0
		.amdhsa_system_vgpr_workitem_id 0
		.amdhsa_next_free_vgpr 1
		.amdhsa_next_free_sgpr 0
		.amdhsa_accum_offset 4
		.amdhsa_reserve_vcc 0
		.amdhsa_reserve_flat_scratch 0
		.amdhsa_float_round_mode_32 0
		.amdhsa_float_round_mode_16_64 0
		.amdhsa_float_denorm_mode_32 3
		.amdhsa_float_denorm_mode_16_64 3
		.amdhsa_dx10_clamp 1
		.amdhsa_ieee_mode 1
		.amdhsa_fp16_overflow 0
		.amdhsa_tg_split 0
		.amdhsa_exception_fp_ieee_invalid_op 0
		.amdhsa_exception_fp_denorm_src 0
		.amdhsa_exception_fp_ieee_div_zero 0
		.amdhsa_exception_fp_ieee_overflow 0
		.amdhsa_exception_fp_ieee_underflow 0
		.amdhsa_exception_fp_ieee_inexact 0
		.amdhsa_exception_int_div_zero 0
	.end_amdhsa_kernel
	.section	.text._ZN7rocprim17ROCPRIM_400000_NS6detail17trampoline_kernelINS0_14default_configENS1_27scan_by_key_config_selectorIiiEEZZNS1_16scan_by_key_implILNS1_25lookback_scan_determinismE0ELb0ES3_N6thrust23THRUST_200600_302600_NS6detail15normal_iteratorINS9_10device_ptrIiEEEESE_SE_iNS9_4plusIvEENS9_8equal_toIiEEiEE10hipError_tPvRmT2_T3_T4_T5_mT6_T7_P12ihipStream_tbENKUlT_T0_E_clISt17integral_constantIbLb0EESY_IbLb1EEEEDaSU_SV_EUlSU_E_NS1_11comp_targetILNS1_3genE10ELNS1_11target_archE1201ELNS1_3gpuE5ELNS1_3repE0EEENS1_30default_config_static_selectorELNS0_4arch9wavefront6targetE1EEEvT1_,"axG",@progbits,_ZN7rocprim17ROCPRIM_400000_NS6detail17trampoline_kernelINS0_14default_configENS1_27scan_by_key_config_selectorIiiEEZZNS1_16scan_by_key_implILNS1_25lookback_scan_determinismE0ELb0ES3_N6thrust23THRUST_200600_302600_NS6detail15normal_iteratorINS9_10device_ptrIiEEEESE_SE_iNS9_4plusIvEENS9_8equal_toIiEEiEE10hipError_tPvRmT2_T3_T4_T5_mT6_T7_P12ihipStream_tbENKUlT_T0_E_clISt17integral_constantIbLb0EESY_IbLb1EEEEDaSU_SV_EUlSU_E_NS1_11comp_targetILNS1_3genE10ELNS1_11target_archE1201ELNS1_3gpuE5ELNS1_3repE0EEENS1_30default_config_static_selectorELNS0_4arch9wavefront6targetE1EEEvT1_,comdat
.Lfunc_end228:
	.size	_ZN7rocprim17ROCPRIM_400000_NS6detail17trampoline_kernelINS0_14default_configENS1_27scan_by_key_config_selectorIiiEEZZNS1_16scan_by_key_implILNS1_25lookback_scan_determinismE0ELb0ES3_N6thrust23THRUST_200600_302600_NS6detail15normal_iteratorINS9_10device_ptrIiEEEESE_SE_iNS9_4plusIvEENS9_8equal_toIiEEiEE10hipError_tPvRmT2_T3_T4_T5_mT6_T7_P12ihipStream_tbENKUlT_T0_E_clISt17integral_constantIbLb0EESY_IbLb1EEEEDaSU_SV_EUlSU_E_NS1_11comp_targetILNS1_3genE10ELNS1_11target_archE1201ELNS1_3gpuE5ELNS1_3repE0EEENS1_30default_config_static_selectorELNS0_4arch9wavefront6targetE1EEEvT1_, .Lfunc_end228-_ZN7rocprim17ROCPRIM_400000_NS6detail17trampoline_kernelINS0_14default_configENS1_27scan_by_key_config_selectorIiiEEZZNS1_16scan_by_key_implILNS1_25lookback_scan_determinismE0ELb0ES3_N6thrust23THRUST_200600_302600_NS6detail15normal_iteratorINS9_10device_ptrIiEEEESE_SE_iNS9_4plusIvEENS9_8equal_toIiEEiEE10hipError_tPvRmT2_T3_T4_T5_mT6_T7_P12ihipStream_tbENKUlT_T0_E_clISt17integral_constantIbLb0EESY_IbLb1EEEEDaSU_SV_EUlSU_E_NS1_11comp_targetILNS1_3genE10ELNS1_11target_archE1201ELNS1_3gpuE5ELNS1_3repE0EEENS1_30default_config_static_selectorELNS0_4arch9wavefront6targetE1EEEvT1_
                                        ; -- End function
	.section	.AMDGPU.csdata,"",@progbits
; Kernel info:
; codeLenInByte = 0
; NumSgprs: 4
; NumVgprs: 0
; NumAgprs: 0
; TotalNumVgprs: 0
; ScratchSize: 0
; MemoryBound: 0
; FloatMode: 240
; IeeeMode: 1
; LDSByteSize: 0 bytes/workgroup (compile time only)
; SGPRBlocks: 0
; VGPRBlocks: 0
; NumSGPRsForWavesPerEU: 4
; NumVGPRsForWavesPerEU: 1
; AccumOffset: 4
; Occupancy: 8
; WaveLimiterHint : 0
; COMPUTE_PGM_RSRC2:SCRATCH_EN: 0
; COMPUTE_PGM_RSRC2:USER_SGPR: 6
; COMPUTE_PGM_RSRC2:TRAP_HANDLER: 0
; COMPUTE_PGM_RSRC2:TGID_X_EN: 1
; COMPUTE_PGM_RSRC2:TGID_Y_EN: 0
; COMPUTE_PGM_RSRC2:TGID_Z_EN: 0
; COMPUTE_PGM_RSRC2:TIDIG_COMP_CNT: 0
; COMPUTE_PGM_RSRC3_GFX90A:ACCUM_OFFSET: 0
; COMPUTE_PGM_RSRC3_GFX90A:TG_SPLIT: 0
	.section	.text._ZN7rocprim17ROCPRIM_400000_NS6detail17trampoline_kernelINS0_14default_configENS1_27scan_by_key_config_selectorIiiEEZZNS1_16scan_by_key_implILNS1_25lookback_scan_determinismE0ELb0ES3_N6thrust23THRUST_200600_302600_NS6detail15normal_iteratorINS9_10device_ptrIiEEEESE_SE_iNS9_4plusIvEENS9_8equal_toIiEEiEE10hipError_tPvRmT2_T3_T4_T5_mT6_T7_P12ihipStream_tbENKUlT_T0_E_clISt17integral_constantIbLb0EESY_IbLb1EEEEDaSU_SV_EUlSU_E_NS1_11comp_targetILNS1_3genE5ELNS1_11target_archE942ELNS1_3gpuE9ELNS1_3repE0EEENS1_30default_config_static_selectorELNS0_4arch9wavefront6targetE1EEEvT1_,"axG",@progbits,_ZN7rocprim17ROCPRIM_400000_NS6detail17trampoline_kernelINS0_14default_configENS1_27scan_by_key_config_selectorIiiEEZZNS1_16scan_by_key_implILNS1_25lookback_scan_determinismE0ELb0ES3_N6thrust23THRUST_200600_302600_NS6detail15normal_iteratorINS9_10device_ptrIiEEEESE_SE_iNS9_4plusIvEENS9_8equal_toIiEEiEE10hipError_tPvRmT2_T3_T4_T5_mT6_T7_P12ihipStream_tbENKUlT_T0_E_clISt17integral_constantIbLb0EESY_IbLb1EEEEDaSU_SV_EUlSU_E_NS1_11comp_targetILNS1_3genE5ELNS1_11target_archE942ELNS1_3gpuE9ELNS1_3repE0EEENS1_30default_config_static_selectorELNS0_4arch9wavefront6targetE1EEEvT1_,comdat
	.protected	_ZN7rocprim17ROCPRIM_400000_NS6detail17trampoline_kernelINS0_14default_configENS1_27scan_by_key_config_selectorIiiEEZZNS1_16scan_by_key_implILNS1_25lookback_scan_determinismE0ELb0ES3_N6thrust23THRUST_200600_302600_NS6detail15normal_iteratorINS9_10device_ptrIiEEEESE_SE_iNS9_4plusIvEENS9_8equal_toIiEEiEE10hipError_tPvRmT2_T3_T4_T5_mT6_T7_P12ihipStream_tbENKUlT_T0_E_clISt17integral_constantIbLb0EESY_IbLb1EEEEDaSU_SV_EUlSU_E_NS1_11comp_targetILNS1_3genE5ELNS1_11target_archE942ELNS1_3gpuE9ELNS1_3repE0EEENS1_30default_config_static_selectorELNS0_4arch9wavefront6targetE1EEEvT1_ ; -- Begin function _ZN7rocprim17ROCPRIM_400000_NS6detail17trampoline_kernelINS0_14default_configENS1_27scan_by_key_config_selectorIiiEEZZNS1_16scan_by_key_implILNS1_25lookback_scan_determinismE0ELb0ES3_N6thrust23THRUST_200600_302600_NS6detail15normal_iteratorINS9_10device_ptrIiEEEESE_SE_iNS9_4plusIvEENS9_8equal_toIiEEiEE10hipError_tPvRmT2_T3_T4_T5_mT6_T7_P12ihipStream_tbENKUlT_T0_E_clISt17integral_constantIbLb0EESY_IbLb1EEEEDaSU_SV_EUlSU_E_NS1_11comp_targetILNS1_3genE5ELNS1_11target_archE942ELNS1_3gpuE9ELNS1_3repE0EEENS1_30default_config_static_selectorELNS0_4arch9wavefront6targetE1EEEvT1_
	.globl	_ZN7rocprim17ROCPRIM_400000_NS6detail17trampoline_kernelINS0_14default_configENS1_27scan_by_key_config_selectorIiiEEZZNS1_16scan_by_key_implILNS1_25lookback_scan_determinismE0ELb0ES3_N6thrust23THRUST_200600_302600_NS6detail15normal_iteratorINS9_10device_ptrIiEEEESE_SE_iNS9_4plusIvEENS9_8equal_toIiEEiEE10hipError_tPvRmT2_T3_T4_T5_mT6_T7_P12ihipStream_tbENKUlT_T0_E_clISt17integral_constantIbLb0EESY_IbLb1EEEEDaSU_SV_EUlSU_E_NS1_11comp_targetILNS1_3genE5ELNS1_11target_archE942ELNS1_3gpuE9ELNS1_3repE0EEENS1_30default_config_static_selectorELNS0_4arch9wavefront6targetE1EEEvT1_
	.p2align	8
	.type	_ZN7rocprim17ROCPRIM_400000_NS6detail17trampoline_kernelINS0_14default_configENS1_27scan_by_key_config_selectorIiiEEZZNS1_16scan_by_key_implILNS1_25lookback_scan_determinismE0ELb0ES3_N6thrust23THRUST_200600_302600_NS6detail15normal_iteratorINS9_10device_ptrIiEEEESE_SE_iNS9_4plusIvEENS9_8equal_toIiEEiEE10hipError_tPvRmT2_T3_T4_T5_mT6_T7_P12ihipStream_tbENKUlT_T0_E_clISt17integral_constantIbLb0EESY_IbLb1EEEEDaSU_SV_EUlSU_E_NS1_11comp_targetILNS1_3genE5ELNS1_11target_archE942ELNS1_3gpuE9ELNS1_3repE0EEENS1_30default_config_static_selectorELNS0_4arch9wavefront6targetE1EEEvT1_,@function
_ZN7rocprim17ROCPRIM_400000_NS6detail17trampoline_kernelINS0_14default_configENS1_27scan_by_key_config_selectorIiiEEZZNS1_16scan_by_key_implILNS1_25lookback_scan_determinismE0ELb0ES3_N6thrust23THRUST_200600_302600_NS6detail15normal_iteratorINS9_10device_ptrIiEEEESE_SE_iNS9_4plusIvEENS9_8equal_toIiEEiEE10hipError_tPvRmT2_T3_T4_T5_mT6_T7_P12ihipStream_tbENKUlT_T0_E_clISt17integral_constantIbLb0EESY_IbLb1EEEEDaSU_SV_EUlSU_E_NS1_11comp_targetILNS1_3genE5ELNS1_11target_archE942ELNS1_3gpuE9ELNS1_3repE0EEENS1_30default_config_static_selectorELNS0_4arch9wavefront6targetE1EEEvT1_: ; @_ZN7rocprim17ROCPRIM_400000_NS6detail17trampoline_kernelINS0_14default_configENS1_27scan_by_key_config_selectorIiiEEZZNS1_16scan_by_key_implILNS1_25lookback_scan_determinismE0ELb0ES3_N6thrust23THRUST_200600_302600_NS6detail15normal_iteratorINS9_10device_ptrIiEEEESE_SE_iNS9_4plusIvEENS9_8equal_toIiEEiEE10hipError_tPvRmT2_T3_T4_T5_mT6_T7_P12ihipStream_tbENKUlT_T0_E_clISt17integral_constantIbLb0EESY_IbLb1EEEEDaSU_SV_EUlSU_E_NS1_11comp_targetILNS1_3genE5ELNS1_11target_archE942ELNS1_3gpuE9ELNS1_3repE0EEENS1_30default_config_static_selectorELNS0_4arch9wavefront6targetE1EEEvT1_
; %bb.0:
	.section	.rodata,"a",@progbits
	.p2align	6, 0x0
	.amdhsa_kernel _ZN7rocprim17ROCPRIM_400000_NS6detail17trampoline_kernelINS0_14default_configENS1_27scan_by_key_config_selectorIiiEEZZNS1_16scan_by_key_implILNS1_25lookback_scan_determinismE0ELb0ES3_N6thrust23THRUST_200600_302600_NS6detail15normal_iteratorINS9_10device_ptrIiEEEESE_SE_iNS9_4plusIvEENS9_8equal_toIiEEiEE10hipError_tPvRmT2_T3_T4_T5_mT6_T7_P12ihipStream_tbENKUlT_T0_E_clISt17integral_constantIbLb0EESY_IbLb1EEEEDaSU_SV_EUlSU_E_NS1_11comp_targetILNS1_3genE5ELNS1_11target_archE942ELNS1_3gpuE9ELNS1_3repE0EEENS1_30default_config_static_selectorELNS0_4arch9wavefront6targetE1EEEvT1_
		.amdhsa_group_segment_fixed_size 0
		.amdhsa_private_segment_fixed_size 0
		.amdhsa_kernarg_size 112
		.amdhsa_user_sgpr_count 6
		.amdhsa_user_sgpr_private_segment_buffer 1
		.amdhsa_user_sgpr_dispatch_ptr 0
		.amdhsa_user_sgpr_queue_ptr 0
		.amdhsa_user_sgpr_kernarg_segment_ptr 1
		.amdhsa_user_sgpr_dispatch_id 0
		.amdhsa_user_sgpr_flat_scratch_init 0
		.amdhsa_user_sgpr_kernarg_preload_length 0
		.amdhsa_user_sgpr_kernarg_preload_offset 0
		.amdhsa_user_sgpr_private_segment_size 0
		.amdhsa_uses_dynamic_stack 0
		.amdhsa_system_sgpr_private_segment_wavefront_offset 0
		.amdhsa_system_sgpr_workgroup_id_x 1
		.amdhsa_system_sgpr_workgroup_id_y 0
		.amdhsa_system_sgpr_workgroup_id_z 0
		.amdhsa_system_sgpr_workgroup_info 0
		.amdhsa_system_vgpr_workitem_id 0
		.amdhsa_next_free_vgpr 1
		.amdhsa_next_free_sgpr 0
		.amdhsa_accum_offset 4
		.amdhsa_reserve_vcc 0
		.amdhsa_reserve_flat_scratch 0
		.amdhsa_float_round_mode_32 0
		.amdhsa_float_round_mode_16_64 0
		.amdhsa_float_denorm_mode_32 3
		.amdhsa_float_denorm_mode_16_64 3
		.amdhsa_dx10_clamp 1
		.amdhsa_ieee_mode 1
		.amdhsa_fp16_overflow 0
		.amdhsa_tg_split 0
		.amdhsa_exception_fp_ieee_invalid_op 0
		.amdhsa_exception_fp_denorm_src 0
		.amdhsa_exception_fp_ieee_div_zero 0
		.amdhsa_exception_fp_ieee_overflow 0
		.amdhsa_exception_fp_ieee_underflow 0
		.amdhsa_exception_fp_ieee_inexact 0
		.amdhsa_exception_int_div_zero 0
	.end_amdhsa_kernel
	.section	.text._ZN7rocprim17ROCPRIM_400000_NS6detail17trampoline_kernelINS0_14default_configENS1_27scan_by_key_config_selectorIiiEEZZNS1_16scan_by_key_implILNS1_25lookback_scan_determinismE0ELb0ES3_N6thrust23THRUST_200600_302600_NS6detail15normal_iteratorINS9_10device_ptrIiEEEESE_SE_iNS9_4plusIvEENS9_8equal_toIiEEiEE10hipError_tPvRmT2_T3_T4_T5_mT6_T7_P12ihipStream_tbENKUlT_T0_E_clISt17integral_constantIbLb0EESY_IbLb1EEEEDaSU_SV_EUlSU_E_NS1_11comp_targetILNS1_3genE5ELNS1_11target_archE942ELNS1_3gpuE9ELNS1_3repE0EEENS1_30default_config_static_selectorELNS0_4arch9wavefront6targetE1EEEvT1_,"axG",@progbits,_ZN7rocprim17ROCPRIM_400000_NS6detail17trampoline_kernelINS0_14default_configENS1_27scan_by_key_config_selectorIiiEEZZNS1_16scan_by_key_implILNS1_25lookback_scan_determinismE0ELb0ES3_N6thrust23THRUST_200600_302600_NS6detail15normal_iteratorINS9_10device_ptrIiEEEESE_SE_iNS9_4plusIvEENS9_8equal_toIiEEiEE10hipError_tPvRmT2_T3_T4_T5_mT6_T7_P12ihipStream_tbENKUlT_T0_E_clISt17integral_constantIbLb0EESY_IbLb1EEEEDaSU_SV_EUlSU_E_NS1_11comp_targetILNS1_3genE5ELNS1_11target_archE942ELNS1_3gpuE9ELNS1_3repE0EEENS1_30default_config_static_selectorELNS0_4arch9wavefront6targetE1EEEvT1_,comdat
.Lfunc_end229:
	.size	_ZN7rocprim17ROCPRIM_400000_NS6detail17trampoline_kernelINS0_14default_configENS1_27scan_by_key_config_selectorIiiEEZZNS1_16scan_by_key_implILNS1_25lookback_scan_determinismE0ELb0ES3_N6thrust23THRUST_200600_302600_NS6detail15normal_iteratorINS9_10device_ptrIiEEEESE_SE_iNS9_4plusIvEENS9_8equal_toIiEEiEE10hipError_tPvRmT2_T3_T4_T5_mT6_T7_P12ihipStream_tbENKUlT_T0_E_clISt17integral_constantIbLb0EESY_IbLb1EEEEDaSU_SV_EUlSU_E_NS1_11comp_targetILNS1_3genE5ELNS1_11target_archE942ELNS1_3gpuE9ELNS1_3repE0EEENS1_30default_config_static_selectorELNS0_4arch9wavefront6targetE1EEEvT1_, .Lfunc_end229-_ZN7rocprim17ROCPRIM_400000_NS6detail17trampoline_kernelINS0_14default_configENS1_27scan_by_key_config_selectorIiiEEZZNS1_16scan_by_key_implILNS1_25lookback_scan_determinismE0ELb0ES3_N6thrust23THRUST_200600_302600_NS6detail15normal_iteratorINS9_10device_ptrIiEEEESE_SE_iNS9_4plusIvEENS9_8equal_toIiEEiEE10hipError_tPvRmT2_T3_T4_T5_mT6_T7_P12ihipStream_tbENKUlT_T0_E_clISt17integral_constantIbLb0EESY_IbLb1EEEEDaSU_SV_EUlSU_E_NS1_11comp_targetILNS1_3genE5ELNS1_11target_archE942ELNS1_3gpuE9ELNS1_3repE0EEENS1_30default_config_static_selectorELNS0_4arch9wavefront6targetE1EEEvT1_
                                        ; -- End function
	.section	.AMDGPU.csdata,"",@progbits
; Kernel info:
; codeLenInByte = 0
; NumSgprs: 4
; NumVgprs: 0
; NumAgprs: 0
; TotalNumVgprs: 0
; ScratchSize: 0
; MemoryBound: 0
; FloatMode: 240
; IeeeMode: 1
; LDSByteSize: 0 bytes/workgroup (compile time only)
; SGPRBlocks: 0
; VGPRBlocks: 0
; NumSGPRsForWavesPerEU: 4
; NumVGPRsForWavesPerEU: 1
; AccumOffset: 4
; Occupancy: 8
; WaveLimiterHint : 0
; COMPUTE_PGM_RSRC2:SCRATCH_EN: 0
; COMPUTE_PGM_RSRC2:USER_SGPR: 6
; COMPUTE_PGM_RSRC2:TRAP_HANDLER: 0
; COMPUTE_PGM_RSRC2:TGID_X_EN: 1
; COMPUTE_PGM_RSRC2:TGID_Y_EN: 0
; COMPUTE_PGM_RSRC2:TGID_Z_EN: 0
; COMPUTE_PGM_RSRC2:TIDIG_COMP_CNT: 0
; COMPUTE_PGM_RSRC3_GFX90A:ACCUM_OFFSET: 0
; COMPUTE_PGM_RSRC3_GFX90A:TG_SPLIT: 0
	.section	.text._ZN7rocprim17ROCPRIM_400000_NS6detail17trampoline_kernelINS0_14default_configENS1_27scan_by_key_config_selectorIiiEEZZNS1_16scan_by_key_implILNS1_25lookback_scan_determinismE0ELb0ES3_N6thrust23THRUST_200600_302600_NS6detail15normal_iteratorINS9_10device_ptrIiEEEESE_SE_iNS9_4plusIvEENS9_8equal_toIiEEiEE10hipError_tPvRmT2_T3_T4_T5_mT6_T7_P12ihipStream_tbENKUlT_T0_E_clISt17integral_constantIbLb0EESY_IbLb1EEEEDaSU_SV_EUlSU_E_NS1_11comp_targetILNS1_3genE4ELNS1_11target_archE910ELNS1_3gpuE8ELNS1_3repE0EEENS1_30default_config_static_selectorELNS0_4arch9wavefront6targetE1EEEvT1_,"axG",@progbits,_ZN7rocprim17ROCPRIM_400000_NS6detail17trampoline_kernelINS0_14default_configENS1_27scan_by_key_config_selectorIiiEEZZNS1_16scan_by_key_implILNS1_25lookback_scan_determinismE0ELb0ES3_N6thrust23THRUST_200600_302600_NS6detail15normal_iteratorINS9_10device_ptrIiEEEESE_SE_iNS9_4plusIvEENS9_8equal_toIiEEiEE10hipError_tPvRmT2_T3_T4_T5_mT6_T7_P12ihipStream_tbENKUlT_T0_E_clISt17integral_constantIbLb0EESY_IbLb1EEEEDaSU_SV_EUlSU_E_NS1_11comp_targetILNS1_3genE4ELNS1_11target_archE910ELNS1_3gpuE8ELNS1_3repE0EEENS1_30default_config_static_selectorELNS0_4arch9wavefront6targetE1EEEvT1_,comdat
	.protected	_ZN7rocprim17ROCPRIM_400000_NS6detail17trampoline_kernelINS0_14default_configENS1_27scan_by_key_config_selectorIiiEEZZNS1_16scan_by_key_implILNS1_25lookback_scan_determinismE0ELb0ES3_N6thrust23THRUST_200600_302600_NS6detail15normal_iteratorINS9_10device_ptrIiEEEESE_SE_iNS9_4plusIvEENS9_8equal_toIiEEiEE10hipError_tPvRmT2_T3_T4_T5_mT6_T7_P12ihipStream_tbENKUlT_T0_E_clISt17integral_constantIbLb0EESY_IbLb1EEEEDaSU_SV_EUlSU_E_NS1_11comp_targetILNS1_3genE4ELNS1_11target_archE910ELNS1_3gpuE8ELNS1_3repE0EEENS1_30default_config_static_selectorELNS0_4arch9wavefront6targetE1EEEvT1_ ; -- Begin function _ZN7rocprim17ROCPRIM_400000_NS6detail17trampoline_kernelINS0_14default_configENS1_27scan_by_key_config_selectorIiiEEZZNS1_16scan_by_key_implILNS1_25lookback_scan_determinismE0ELb0ES3_N6thrust23THRUST_200600_302600_NS6detail15normal_iteratorINS9_10device_ptrIiEEEESE_SE_iNS9_4plusIvEENS9_8equal_toIiEEiEE10hipError_tPvRmT2_T3_T4_T5_mT6_T7_P12ihipStream_tbENKUlT_T0_E_clISt17integral_constantIbLb0EESY_IbLb1EEEEDaSU_SV_EUlSU_E_NS1_11comp_targetILNS1_3genE4ELNS1_11target_archE910ELNS1_3gpuE8ELNS1_3repE0EEENS1_30default_config_static_selectorELNS0_4arch9wavefront6targetE1EEEvT1_
	.globl	_ZN7rocprim17ROCPRIM_400000_NS6detail17trampoline_kernelINS0_14default_configENS1_27scan_by_key_config_selectorIiiEEZZNS1_16scan_by_key_implILNS1_25lookback_scan_determinismE0ELb0ES3_N6thrust23THRUST_200600_302600_NS6detail15normal_iteratorINS9_10device_ptrIiEEEESE_SE_iNS9_4plusIvEENS9_8equal_toIiEEiEE10hipError_tPvRmT2_T3_T4_T5_mT6_T7_P12ihipStream_tbENKUlT_T0_E_clISt17integral_constantIbLb0EESY_IbLb1EEEEDaSU_SV_EUlSU_E_NS1_11comp_targetILNS1_3genE4ELNS1_11target_archE910ELNS1_3gpuE8ELNS1_3repE0EEENS1_30default_config_static_selectorELNS0_4arch9wavefront6targetE1EEEvT1_
	.p2align	8
	.type	_ZN7rocprim17ROCPRIM_400000_NS6detail17trampoline_kernelINS0_14default_configENS1_27scan_by_key_config_selectorIiiEEZZNS1_16scan_by_key_implILNS1_25lookback_scan_determinismE0ELb0ES3_N6thrust23THRUST_200600_302600_NS6detail15normal_iteratorINS9_10device_ptrIiEEEESE_SE_iNS9_4plusIvEENS9_8equal_toIiEEiEE10hipError_tPvRmT2_T3_T4_T5_mT6_T7_P12ihipStream_tbENKUlT_T0_E_clISt17integral_constantIbLb0EESY_IbLb1EEEEDaSU_SV_EUlSU_E_NS1_11comp_targetILNS1_3genE4ELNS1_11target_archE910ELNS1_3gpuE8ELNS1_3repE0EEENS1_30default_config_static_selectorELNS0_4arch9wavefront6targetE1EEEvT1_,@function
_ZN7rocprim17ROCPRIM_400000_NS6detail17trampoline_kernelINS0_14default_configENS1_27scan_by_key_config_selectorIiiEEZZNS1_16scan_by_key_implILNS1_25lookback_scan_determinismE0ELb0ES3_N6thrust23THRUST_200600_302600_NS6detail15normal_iteratorINS9_10device_ptrIiEEEESE_SE_iNS9_4plusIvEENS9_8equal_toIiEEiEE10hipError_tPvRmT2_T3_T4_T5_mT6_T7_P12ihipStream_tbENKUlT_T0_E_clISt17integral_constantIbLb0EESY_IbLb1EEEEDaSU_SV_EUlSU_E_NS1_11comp_targetILNS1_3genE4ELNS1_11target_archE910ELNS1_3gpuE8ELNS1_3repE0EEENS1_30default_config_static_selectorELNS0_4arch9wavefront6targetE1EEEvT1_: ; @_ZN7rocprim17ROCPRIM_400000_NS6detail17trampoline_kernelINS0_14default_configENS1_27scan_by_key_config_selectorIiiEEZZNS1_16scan_by_key_implILNS1_25lookback_scan_determinismE0ELb0ES3_N6thrust23THRUST_200600_302600_NS6detail15normal_iteratorINS9_10device_ptrIiEEEESE_SE_iNS9_4plusIvEENS9_8equal_toIiEEiEE10hipError_tPvRmT2_T3_T4_T5_mT6_T7_P12ihipStream_tbENKUlT_T0_E_clISt17integral_constantIbLb0EESY_IbLb1EEEEDaSU_SV_EUlSU_E_NS1_11comp_targetILNS1_3genE4ELNS1_11target_archE910ELNS1_3gpuE8ELNS1_3repE0EEENS1_30default_config_static_selectorELNS0_4arch9wavefront6targetE1EEEvT1_
; %bb.0:
	s_load_dwordx4 s[56:59], s[4:5], 0x28
	s_load_dwordx2 s[60:61], s[4:5], 0x38
	v_cmp_ne_u32_e64 s[36:37], 0, v0
	v_cmp_eq_u32_e64 s[0:1], 0, v0
	s_and_saveexec_b64 s[2:3], s[0:1]
	s_cbranch_execz .LBB230_4
; %bb.1:
	s_mov_b64 s[8:9], exec
	v_mbcnt_lo_u32_b32 v1, s8, 0
	v_mbcnt_hi_u32_b32 v1, s9, v1
	v_cmp_eq_u32_e32 vcc, 0, v1
                                        ; implicit-def: $vgpr2
	s_and_saveexec_b64 s[6:7], vcc
	s_cbranch_execz .LBB230_3
; %bb.2:
	s_load_dwordx2 s[10:11], s[4:5], 0x68
	s_bcnt1_i32_b64 s8, s[8:9]
	v_mov_b32_e32 v2, 0
	v_mov_b32_e32 v3, s8
	s_waitcnt lgkmcnt(0)
	global_atomic_add v2, v2, v3, s[10:11] glc
.LBB230_3:
	s_or_b64 exec, exec, s[6:7]
	s_waitcnt vmcnt(0)
	v_readfirstlane_b32 s6, v2
	v_add_u32_e32 v1, s6, v1
	v_mov_b32_e32 v2, 0
	ds_write_b32 v2, v1
.LBB230_4:
	s_or_b64 exec, exec, s[2:3]
	s_load_dwordx8 s[40:47], s[4:5], 0x0
	s_load_dword s2, s[4:5], 0x40
	s_load_dwordx8 s[48:55], s[4:5], 0x48
	v_mov_b32_e32 v1, 0
	s_waitcnt lgkmcnt(0)
	s_barrier
	ds_read_b32 v1, v1
	s_lshl_b64 s[38:39], s[42:43], 2
	s_add_u32 s4, s40, s38
	s_addc_u32 s5, s41, s39
	s_add_u32 s6, s44, s38
	s_mul_i32 s3, s61, s2
	s_mul_hi_u32 s8, s60, s2
	s_addc_u32 s7, s45, s39
	s_add_i32 s8, s8, s3
	s_waitcnt lgkmcnt(0)
	v_readfirstlane_b32 s59, v1
	s_mul_i32 s9, s60, s2
	s_cmp_lg_u64 s[52:53], 0
	s_mov_b32 s3, 0
	s_mul_i32 s2, s59, 0xe00
	s_cselect_b64 s[44:45], -1, 0
	s_lshl_b64 s[40:41], s[2:3], 2
	s_add_u32 s42, s4, s40
	s_addc_u32 s43, s5, s41
	s_add_u32 s62, s6, s40
	s_addc_u32 s63, s7, s41
	;; [unrolled: 2-line block ×3, first 2 shown]
	s_add_u32 s4, s48, -1
	s_addc_u32 s5, s49, -1
	v_pk_mov_b32 v[2:3], s[4:5], s[4:5] op_sel:[0,1]
	v_cmp_ge_u64_e64 s[2:3], s[52:53], v[2:3]
	s_mov_b64 s[18:19], 0
	s_mov_b64 s[12:13], -1
	s_and_b64 vcc, exec, s[2:3]
	s_mul_i32 s33, s4, 0xfffff200
	s_barrier
	s_barrier
	s_cbranch_vccz .LBB230_81
; %bb.5:
	v_pk_mov_b32 v[2:3], s[42:43], s[42:43] op_sel:[0,1]
	flat_load_dword v1, v[2:3]
	s_add_i32 s64, s33, s58
	v_cmp_gt_u32_e64 s[6:7], s64, v0
	s_waitcnt vmcnt(0) lgkmcnt(0)
	v_mov_b32_e32 v13, v1
	s_and_saveexec_b64 s[4:5], s[6:7]
	s_cbranch_execz .LBB230_7
; %bb.6:
	v_lshlrev_b32_e32 v2, 2, v0
	v_mov_b32_e32 v3, s43
	v_add_co_u32_e32 v2, vcc, s42, v2
	v_addc_co_u32_e32 v3, vcc, 0, v3, vcc
	flat_load_dword v13, v[2:3]
.LBB230_7:
	s_or_b64 exec, exec, s[4:5]
	v_or_b32_e32 v2, 0x100, v0
	v_cmp_gt_u32_e64 s[8:9], s64, v2
	v_mov_b32_e32 v14, v1
	s_and_saveexec_b64 s[4:5], s[8:9]
	s_cbranch_execz .LBB230_9
; %bb.8:
	v_lshlrev_b32_e32 v2, 2, v0
	v_mov_b32_e32 v3, s43
	v_add_co_u32_e32 v2, vcc, s42, v2
	v_addc_co_u32_e32 v3, vcc, 0, v3, vcc
	flat_load_dword v14, v[2:3] offset:1024
.LBB230_9:
	s_or_b64 exec, exec, s[4:5]
	v_or_b32_e32 v2, 0x200, v0
	v_cmp_gt_u32_e64 s[10:11], s64, v2
	v_mov_b32_e32 v15, v1
	s_and_saveexec_b64 s[4:5], s[10:11]
	s_cbranch_execz .LBB230_11
; %bb.10:
	v_lshlrev_b32_e32 v2, 2, v0
	v_mov_b32_e32 v3, s43
	v_add_co_u32_e32 v2, vcc, s42, v2
	v_addc_co_u32_e32 v3, vcc, 0, v3, vcc
	flat_load_dword v15, v[2:3] offset:2048
.LBB230_11:
	;; [unrolled: 13-line block ×3, first 2 shown]
	s_or_b64 exec, exec, s[4:5]
	v_or_b32_e32 v2, 0x400, v0
	v_cmp_gt_u32_e64 s[14:15], s64, v2
	v_lshlrev_b32_e32 v2, 2, v2
	v_mov_b32_e32 v17, v1
	s_and_saveexec_b64 s[4:5], s[14:15]
	s_cbranch_execz .LBB230_15
; %bb.14:
	v_mov_b32_e32 v3, s43
	v_add_co_u32_e32 v4, vcc, s42, v2
	v_addc_co_u32_e32 v5, vcc, 0, v3, vcc
	flat_load_dword v17, v[4:5]
.LBB230_15:
	s_or_b64 exec, exec, s[4:5]
	v_or_b32_e32 v3, 0x500, v0
	v_cmp_gt_u32_e64 s[16:17], s64, v3
	v_lshlrev_b32_e32 v3, 2, v3
	v_mov_b32_e32 v18, v1
	s_and_saveexec_b64 s[4:5], s[16:17]
	s_cbranch_execz .LBB230_17
; %bb.16:
	v_mov_b32_e32 v5, s43
	v_add_co_u32_e32 v4, vcc, s42, v3
	v_addc_co_u32_e32 v5, vcc, 0, v5, vcc
	flat_load_dword v18, v[4:5]
.LBB230_17:
	;; [unrolled: 13-line block ×9, first 2 shown]
	s_or_b64 exec, exec, s[4:5]
	v_or_b32_e32 v11, 0xd00, v0
	v_cmp_gt_u32_e64 s[34:35], s64, v11
	v_lshlrev_b32_e32 v11, 2, v11
	s_and_saveexec_b64 s[4:5], s[34:35]
	s_cbranch_execz .LBB230_33
; %bb.32:
	v_mov_b32_e32 v1, s43
	v_add_co_u32_e32 v26, vcc, s42, v11
	v_addc_co_u32_e32 v27, vcc, 0, v1, vcc
	flat_load_dword v1, v[26:27]
.LBB230_33:
	s_or_b64 exec, exec, s[4:5]
	v_lshlrev_b32_e32 v12, 2, v0
	s_waitcnt vmcnt(0) lgkmcnt(0)
	ds_write2st64_b32 v12, v13, v14 offset1:4
	ds_write2st64_b32 v12, v15, v16 offset0:8 offset1:12
	ds_write2st64_b32 v12, v17, v18 offset0:16 offset1:20
	;; [unrolled: 1-line block ×6, first 2 shown]
	v_mad_u32_u24 v1, v0, 52, v12
	s_waitcnt lgkmcnt(0)
	s_barrier
	ds_read2_b64 v[34:37], v1 offset1:1
	ds_read2_b64 v[30:33], v1 offset0:2 offset1:3
	ds_read2_b64 v[26:29], v1 offset0:4 offset1:5
	ds_read_b64 v[40:41], v1 offset:48
	s_cmp_eq_u64 s[52:53], 0
	s_mov_b64 s[4:5], s[42:43]
	s_cbranch_scc1 .LBB230_37
; %bb.34:
	s_andn2_b64 vcc, exec, s[44:45]
	s_cbranch_vccnz .LBB230_183
; %bb.35:
	s_lshl_b64 s[4:5], s[52:53], 2
	s_add_u32 s4, s54, s4
	s_addc_u32 s5, s55, s5
	s_add_u32 s4, s4, -4
	s_addc_u32 s5, s5, -1
	s_cbranch_execnz .LBB230_37
.LBB230_36:
	s_add_u32 s4, s42, -4
	s_addc_u32 s5, s43, -1
.LBB230_37:
	v_pk_mov_b32 v[14:15], s[4:5], s[4:5] op_sel:[0,1]
	flat_load_dword v44, v[14:15]
	s_movk_i32 s4, 0xffcc
	v_mad_i32_i24 v13, v0, s4, v1
	s_waitcnt lgkmcnt(0)
	ds_write_b32 v13, v41 offset:14336
	s_waitcnt lgkmcnt(0)
	s_barrier
	s_and_saveexec_b64 s[4:5], s[36:37]
	s_cbranch_execz .LBB230_39
; %bb.38:
	v_mul_i32_i24_e32 v13, 0xffffffcc, v0
	v_add_u32_e32 v13, v1, v13
	s_waitcnt vmcnt(0)
	ds_read_b32 v44, v13 offset:14332
.LBB230_39:
	s_or_b64 exec, exec, s[4:5]
	s_waitcnt lgkmcnt(0)
	s_barrier
	s_waitcnt lgkmcnt(0)
                                        ; implicit-def: $vgpr13
	s_and_saveexec_b64 s[4:5], s[6:7]
	s_cbranch_execnz .LBB230_170
; %bb.40:
	s_or_b64 exec, exec, s[4:5]
                                        ; implicit-def: $vgpr14
	s_and_saveexec_b64 s[4:5], s[8:9]
	s_cbranch_execnz .LBB230_171
.LBB230_41:
	s_or_b64 exec, exec, s[4:5]
                                        ; implicit-def: $vgpr15
	s_and_saveexec_b64 s[4:5], s[10:11]
	s_cbranch_execnz .LBB230_172
.LBB230_42:
	s_or_b64 exec, exec, s[4:5]
                                        ; implicit-def: $vgpr16
	s_and_saveexec_b64 s[4:5], s[12:13]
	s_cbranch_execnz .LBB230_173
.LBB230_43:
	s_or_b64 exec, exec, s[4:5]
                                        ; implicit-def: $vgpr17
	s_and_saveexec_b64 s[4:5], s[14:15]
	s_cbranch_execnz .LBB230_174
.LBB230_44:
	s_or_b64 exec, exec, s[4:5]
                                        ; implicit-def: $vgpr2
	s_and_saveexec_b64 s[4:5], s[16:17]
	s_cbranch_execnz .LBB230_175
.LBB230_45:
	s_or_b64 exec, exec, s[4:5]
                                        ; implicit-def: $vgpr3
	s_and_saveexec_b64 s[4:5], s[18:19]
	s_cbranch_execnz .LBB230_176
.LBB230_46:
	s_or_b64 exec, exec, s[4:5]
                                        ; implicit-def: $vgpr4
	s_and_saveexec_b64 s[4:5], s[20:21]
	s_cbranch_execnz .LBB230_177
.LBB230_47:
	s_or_b64 exec, exec, s[4:5]
                                        ; implicit-def: $vgpr5
	s_and_saveexec_b64 s[4:5], s[22:23]
	s_cbranch_execnz .LBB230_178
.LBB230_48:
	s_or_b64 exec, exec, s[4:5]
                                        ; implicit-def: $vgpr6
	s_and_saveexec_b64 s[4:5], s[24:25]
	s_cbranch_execnz .LBB230_179
.LBB230_49:
	s_or_b64 exec, exec, s[4:5]
                                        ; implicit-def: $vgpr7
	s_and_saveexec_b64 s[4:5], s[26:27]
	s_cbranch_execnz .LBB230_180
.LBB230_50:
	s_or_b64 exec, exec, s[4:5]
                                        ; implicit-def: $vgpr8
	s_and_saveexec_b64 s[4:5], s[28:29]
	s_cbranch_execnz .LBB230_181
.LBB230_51:
	s_or_b64 exec, exec, s[4:5]
                                        ; implicit-def: $vgpr9
	s_and_saveexec_b64 s[4:5], s[30:31]
	s_cbranch_execnz .LBB230_182
.LBB230_52:
	s_or_b64 exec, exec, s[4:5]
                                        ; implicit-def: $vgpr10
	s_and_saveexec_b64 s[4:5], s[34:35]
	s_cbranch_execz .LBB230_54
.LBB230_53:
	v_mov_b32_e32 v18, s63
	v_add_co_u32_e32 v10, vcc, s62, v11
	v_addc_co_u32_e32 v11, vcc, 0, v18, vcc
	flat_load_dword v10, v[10:11]
.LBB230_54:
	s_or_b64 exec, exec, s[4:5]
	s_mov_b32 s4, 0
	s_mov_b32 s5, s4
	s_waitcnt vmcnt(0) lgkmcnt(0)
	ds_write2st64_b32 v12, v13, v14 offset1:4
	ds_write2st64_b32 v12, v15, v16 offset0:8 offset1:12
	ds_write2st64_b32 v12, v17, v2 offset0:16 offset1:20
	;; [unrolled: 1-line block ×6, first 2 shown]
	s_mov_b32 s6, s4
	s_mov_b32 s7, s4
	;; [unrolled: 1-line block ×6, first 2 shown]
	v_pk_mov_b32 v[2:3], s[4:5], s[4:5] op_sel:[0,1]
	v_pk_mov_b32 v[8:9], s[10:11], s[10:11] op_sel:[0,1]
	v_mul_u32_u24_e32 v42, 14, v0
	v_pk_mov_b32 v[4:5], s[6:7], s[6:7] op_sel:[0,1]
	v_pk_mov_b32 v[6:7], s[8:9], s[8:9] op_sel:[0,1]
	v_pk_mov_b32 v[16:17], v[8:9], v[8:9] op_sel:[0,1]
	v_pk_mov_b32 v[24:25], v[8:9], v[8:9] op_sel:[0,1]
	v_cmp_gt_u32_e32 vcc, s64, v42
	s_mov_b64 s[12:13], 0
	v_pk_mov_b32 v[38:39], 0, 0
	s_mov_b64 s[18:19], 0
	v_pk_mov_b32 v[14:15], v[6:7], v[6:7] op_sel:[0,1]
	v_pk_mov_b32 v[12:13], v[4:5], v[4:5] op_sel:[0,1]
	;; [unrolled: 1-line block ×6, first 2 shown]
	s_waitcnt lgkmcnt(0)
	s_barrier
	s_waitcnt lgkmcnt(0)
                                        ; implicit-def: $sgpr16_sgpr17
                                        ; implicit-def: $vgpr43
	s_and_saveexec_b64 s[14:15], vcc
	s_cbranch_execz .LBB230_80
; %bb.55:
	v_or_b32_e32 v2, 1, v42
	ds_read_b32 v38, v1
	v_cmp_ne_u32_e32 vcc, v44, v34
	v_cndmask_b32_e64 v39, 0, 1, vcc
	v_cmp_gt_u32_e32 vcc, s64, v2
	v_pk_mov_b32 v[2:3], s[4:5], s[4:5] op_sel:[0,1]
	v_pk_mov_b32 v[8:9], s[10:11], s[10:11] op_sel:[0,1]
	;; [unrolled: 1-line block ×12, first 2 shown]
                                        ; implicit-def: $sgpr4_sgpr5
                                        ; implicit-def: $vgpr43
	s_and_saveexec_b64 s[16:17], vcc
	s_cbranch_execz .LBB230_79
; %bb.56:
	ds_read2_b32 v[44:45], v1 offset0:1 offset1:2
	s_mov_b32 s4, 0
	s_mov_b32 s10, s4
	;; [unrolled: 1-line block ×8, first 2 shown]
	v_pk_mov_b32 v[16:17], s[10:11], s[10:11] op_sel:[0,1]
	v_add_u32_e32 v2, 2, v42
	v_cmp_ne_u32_e32 vcc, v34, v35
	v_mov_b32_e32 v6, 0
	v_pk_mov_b32 v[14:15], s[8:9], s[8:9] op_sel:[0,1]
	v_pk_mov_b32 v[12:13], s[6:7], s[6:7] op_sel:[0,1]
	;; [unrolled: 1-line block ×4, first 2 shown]
	v_cndmask_b32_e64 v3, 0, 1, vcc
	v_cmp_gt_u32_e32 vcc, s64, v2
	s_waitcnt lgkmcnt(0)
	v_mov_b32_e32 v2, v44
	v_mov_b32_e32 v4, v6
	;; [unrolled: 1-line block ×6, first 2 shown]
	s_mov_b64 s[20:21], 0
	v_pk_mov_b32 v[22:23], v[14:15], v[14:15] op_sel:[0,1]
	v_pk_mov_b32 v[20:21], v[12:13], v[12:13] op_sel:[0,1]
	;; [unrolled: 1-line block ×3, first 2 shown]
                                        ; implicit-def: $sgpr24_sgpr25
                                        ; implicit-def: $vgpr43
	s_and_saveexec_b64 s[18:19], vcc
	s_cbranch_execz .LBB230_78
; %bb.57:
	v_pk_mov_b32 v[16:17], s[10:11], s[10:11] op_sel:[0,1]
	v_add_u32_e32 v2, 3, v42
	v_cmp_ne_u32_e32 vcc, v35, v36
	v_pk_mov_b32 v[14:15], s[8:9], s[8:9] op_sel:[0,1]
	v_pk_mov_b32 v[12:13], s[6:7], s[6:7] op_sel:[0,1]
	;; [unrolled: 1-line block ×4, first 2 shown]
	v_cndmask_b32_e64 v5, 0, 1, vcc
	v_cmp_gt_u32_e32 vcc, s64, v2
	v_mov_b32_e32 v2, v44
	v_mov_b32_e32 v4, v45
	;; [unrolled: 1-line block ×5, first 2 shown]
	s_mov_b64 s[22:23], 0
	v_pk_mov_b32 v[22:23], v[14:15], v[14:15] op_sel:[0,1]
	v_pk_mov_b32 v[20:21], v[12:13], v[12:13] op_sel:[0,1]
	;; [unrolled: 1-line block ×3, first 2 shown]
                                        ; implicit-def: $sgpr4_sgpr5
                                        ; implicit-def: $vgpr43
	s_and_saveexec_b64 s[20:21], vcc
	s_cbranch_execz .LBB230_77
; %bb.58:
	ds_read2_b32 v[34:35], v1 offset0:3 offset1:4
	s_mov_b32 s4, 0
	s_mov_b32 s10, s4
	;; [unrolled: 1-line block ×8, first 2 shown]
	v_pk_mov_b32 v[16:17], s[10:11], s[10:11] op_sel:[0,1]
	v_add_u32_e32 v6, 4, v42
	v_cmp_ne_u32_e32 vcc, v36, v37
	v_pk_mov_b32 v[14:15], s[8:9], s[8:9] op_sel:[0,1]
	v_pk_mov_b32 v[12:13], s[6:7], s[6:7] op_sel:[0,1]
	;; [unrolled: 1-line block ×4, first 2 shown]
	v_cndmask_b32_e64 v7, 0, 1, vcc
	v_cmp_gt_u32_e32 vcc, s64, v6
	s_waitcnt lgkmcnt(0)
	v_mov_b32_e32 v6, v34
	v_mov_b32_e32 v8, s4
	v_mov_b32_e32 v9, s4
	s_mov_b64 s[24:25], 0
	v_pk_mov_b32 v[22:23], v[14:15], v[14:15] op_sel:[0,1]
	v_pk_mov_b32 v[20:21], v[12:13], v[12:13] op_sel:[0,1]
	;; [unrolled: 1-line block ×3, first 2 shown]
                                        ; implicit-def: $sgpr26_sgpr27
                                        ; implicit-def: $vgpr43
	s_and_saveexec_b64 s[22:23], vcc
	s_cbranch_execz .LBB230_76
; %bb.59:
	v_pk_mov_b32 v[16:17], s[10:11], s[10:11] op_sel:[0,1]
	v_add_u32_e32 v8, 5, v42
	v_cmp_ne_u32_e32 vcc, v37, v30
	v_pk_mov_b32 v[14:15], s[8:9], s[8:9] op_sel:[0,1]
	v_pk_mov_b32 v[12:13], s[6:7], s[6:7] op_sel:[0,1]
	;; [unrolled: 1-line block ×4, first 2 shown]
	v_cndmask_b32_e64 v9, 0, 1, vcc
	v_cmp_gt_u32_e32 vcc, s64, v8
	v_mov_b32_e32 v8, v35
	s_mov_b64 s[28:29], 0
	v_pk_mov_b32 v[22:23], v[14:15], v[14:15] op_sel:[0,1]
	v_pk_mov_b32 v[20:21], v[12:13], v[12:13] op_sel:[0,1]
	;; [unrolled: 1-line block ×3, first 2 shown]
                                        ; implicit-def: $sgpr4_sgpr5
                                        ; implicit-def: $vgpr43
	s_and_saveexec_b64 s[24:25], vcc
	s_cbranch_execz .LBB230_75
; %bb.60:
	ds_read2_b32 v[34:35], v1 offset0:5 offset1:6
	s_mov_b32 s4, 0
	s_mov_b32 s10, s4
	;; [unrolled: 1-line block ×3, first 2 shown]
	v_add_u32_e32 v10, 6, v42
	v_cmp_ne_u32_e32 vcc, v30, v31
	v_mov_b32_e32 v14, 0
	s_mov_b32 s5, s4
	s_mov_b32 s6, s4
	;; [unrolled: 1-line block ×5, first 2 shown]
	v_pk_mov_b32 v[24:25], s[10:11], s[10:11] op_sel:[0,1]
	v_cndmask_b32_e64 v11, 0, 1, vcc
	v_cmp_gt_u32_e32 vcc, s64, v10
	s_waitcnt lgkmcnt(0)
	v_mov_b32_e32 v10, v34
	v_mov_b32_e32 v12, v14
	;; [unrolled: 1-line block ×6, first 2 shown]
	v_pk_mov_b32 v[22:23], s[8:9], s[8:9] op_sel:[0,1]
	v_pk_mov_b32 v[20:21], s[6:7], s[6:7] op_sel:[0,1]
	;; [unrolled: 1-line block ×3, first 2 shown]
                                        ; implicit-def: $sgpr34_sgpr35
                                        ; implicit-def: $vgpr43
	s_and_saveexec_b64 s[26:27], vcc
	s_cbranch_execz .LBB230_74
; %bb.61:
	v_add_u32_e32 v10, 7, v42
	v_cmp_ne_u32_e32 vcc, v31, v32
	v_pk_mov_b32 v[24:25], s[10:11], s[10:11] op_sel:[0,1]
	v_cndmask_b32_e64 v13, 0, 1, vcc
	v_cmp_gt_u32_e32 vcc, s64, v10
	v_mov_b32_e32 v10, v34
	v_mov_b32_e32 v12, v35
	;; [unrolled: 1-line block ×5, first 2 shown]
	s_mov_b64 s[30:31], 0
	v_pk_mov_b32 v[22:23], s[8:9], s[8:9] op_sel:[0,1]
	v_pk_mov_b32 v[20:21], s[6:7], s[6:7] op_sel:[0,1]
	;; [unrolled: 1-line block ×3, first 2 shown]
                                        ; implicit-def: $sgpr4_sgpr5
                                        ; implicit-def: $vgpr43
	s_and_saveexec_b64 s[28:29], vcc
	s_cbranch_execz .LBB230_73
; %bb.62:
	ds_read2_b32 v[30:31], v1 offset0:7 offset1:8
	s_mov_b32 s4, 0
	s_mov_b32 s10, s4
	;; [unrolled: 1-line block ×3, first 2 shown]
	v_add_u32_e32 v14, 8, v42
	v_cmp_ne_u32_e32 vcc, v32, v33
	s_mov_b32 s5, s4
	s_mov_b32 s6, s4
	;; [unrolled: 1-line block ×5, first 2 shown]
	v_pk_mov_b32 v[24:25], s[10:11], s[10:11] op_sel:[0,1]
	v_cndmask_b32_e64 v15, 0, 1, vcc
	v_cmp_gt_u32_e32 vcc, s64, v14
	s_waitcnt lgkmcnt(0)
	v_mov_b32_e32 v14, v30
	v_mov_b32_e32 v16, s4
	v_mov_b32_e32 v17, s4
	s_mov_b64 s[34:35], 0
	v_pk_mov_b32 v[22:23], s[8:9], s[8:9] op_sel:[0,1]
	v_pk_mov_b32 v[20:21], s[6:7], s[6:7] op_sel:[0,1]
	;; [unrolled: 1-line block ×3, first 2 shown]
                                        ; implicit-def: $sgpr48_sgpr49
                                        ; implicit-def: $vgpr43
	s_and_saveexec_b64 s[30:31], vcc
	s_cbranch_execz .LBB230_72
; %bb.63:
	v_add_u32_e32 v16, 9, v42
	v_cmp_ne_u32_e32 vcc, v33, v26
	v_pk_mov_b32 v[24:25], s[10:11], s[10:11] op_sel:[0,1]
	v_cndmask_b32_e64 v17, 0, 1, vcc
	v_cmp_gt_u32_e32 vcc, s64, v16
	v_mov_b32_e32 v16, v31
	v_pk_mov_b32 v[22:23], s[8:9], s[8:9] op_sel:[0,1]
	v_pk_mov_b32 v[20:21], s[6:7], s[6:7] op_sel:[0,1]
	;; [unrolled: 1-line block ×3, first 2 shown]
                                        ; implicit-def: $sgpr8_sgpr9
                                        ; implicit-def: $vgpr43
	s_and_saveexec_b64 s[6:7], vcc
	s_cbranch_execz .LBB230_71
; %bb.64:
	ds_read2_b32 v[30:31], v1 offset0:9 offset1:10
	v_add_u32_e32 v18, 10, v42
	v_cmp_ne_u32_e32 vcc, v26, v27
	v_mov_b32_e32 v22, 0
	v_cndmask_b32_e64 v19, 0, 1, vcc
	v_cmp_gt_u32_e32 vcc, s64, v18
	s_waitcnt lgkmcnt(0)
	v_mov_b32_e32 v18, v30
	v_mov_b32_e32 v20, v22
	v_mov_b32_e32 v21, v22
	v_mov_b32_e32 v23, v22
	v_mov_b32_e32 v24, v22
	v_mov_b32_e32 v25, v22
	s_mov_b64 s[4:5], 0
                                        ; implicit-def: $sgpr10_sgpr11
                                        ; implicit-def: $vgpr43
	s_and_saveexec_b64 s[8:9], vcc
	s_cbranch_execz .LBB230_70
; %bb.65:
	v_add_u32_e32 v18, 11, v42
	v_cmp_ne_u32_e32 vcc, v27, v28
	v_cndmask_b32_e64 v21, 0, 1, vcc
	v_cmp_gt_u32_e32 vcc, s64, v18
	s_mov_b32 s48, 0
	v_mov_b32_e32 v18, v30
	v_mov_b32_e32 v20, v31
	;; [unrolled: 1-line block ×5, first 2 shown]
                                        ; implicit-def: $sgpr34_sgpr35
                                        ; implicit-def: $vgpr43
	s_and_saveexec_b64 s[10:11], vcc
	s_cbranch_execz .LBB230_69
; %bb.66:
	ds_read2_b32 v[26:27], v1 offset0:11 offset1:12
	v_add_u32_e32 v22, 12, v42
	v_cmp_ne_u32_e32 vcc, v28, v29
	v_cndmask_b32_e64 v23, 0, 1, vcc
	v_cmp_gt_u32_e32 vcc, s64, v22
	s_waitcnt lgkmcnt(0)
	v_mov_b32_e32 v22, v26
	v_mov_b32_e32 v24, s48
	;; [unrolled: 1-line block ×3, first 2 shown]
                                        ; implicit-def: $sgpr34_sgpr35
                                        ; implicit-def: $vgpr43
	s_and_saveexec_b64 s[48:49], vcc
	s_xor_b64 s[48:49], exec, s[48:49]
	s_cbranch_execz .LBB230_68
; %bb.67:
	ds_read_b32 v43, v1 offset:52
	v_add_u32_e32 v1, 13, v42
	v_cmp_ne_u32_e64 s[4:5], v29, v40
	v_cmp_ne_u32_e32 vcc, v40, v41
	v_cndmask_b32_e64 v25, 0, 1, s[4:5]
	v_cmp_gt_u32_e64 s[4:5], s64, v1
	v_mov_b32_e32 v24, v27
	s_and_b64 s[34:35], vcc, exec
	s_and_b64 s[4:5], s[4:5], exec
.LBB230_68:
	s_or_b64 exec, exec, s[48:49]
	s_and_b64 s[34:35], s[34:35], exec
	s_and_b64 s[4:5], s[4:5], exec
.LBB230_69:
	s_or_b64 exec, exec, s[10:11]
	s_and_b64 s[10:11], s[34:35], exec
	s_and_b64 s[4:5], s[4:5], exec
.LBB230_70:
	s_or_b64 exec, exec, s[8:9]
	s_and_b64 s[8:9], s[10:11], exec
	s_and_b64 s[34:35], s[4:5], exec
.LBB230_71:
	s_or_b64 exec, exec, s[6:7]
	s_and_b64 s[48:49], s[8:9], exec
	s_and_b64 s[34:35], s[34:35], exec
.LBB230_72:
	s_or_b64 exec, exec, s[30:31]
	s_and_b64 s[4:5], s[48:49], exec
	s_and_b64 s[30:31], s[34:35], exec
.LBB230_73:
	s_or_b64 exec, exec, s[28:29]
	s_and_b64 s[34:35], s[4:5], exec
	s_and_b64 s[28:29], s[30:31], exec
.LBB230_74:
	s_or_b64 exec, exec, s[26:27]
	s_and_b64 s[4:5], s[34:35], exec
	s_and_b64 s[28:29], s[28:29], exec
.LBB230_75:
	s_or_b64 exec, exec, s[24:25]
	s_and_b64 s[26:27], s[4:5], exec
	s_and_b64 s[24:25], s[28:29], exec
.LBB230_76:
	s_or_b64 exec, exec, s[22:23]
	s_and_b64 s[4:5], s[26:27], exec
	s_and_b64 s[22:23], s[24:25], exec
.LBB230_77:
	s_or_b64 exec, exec, s[20:21]
	s_and_b64 s[24:25], s[4:5], exec
	s_and_b64 s[20:21], s[22:23], exec
.LBB230_78:
	s_or_b64 exec, exec, s[18:19]
	s_and_b64 s[4:5], s[24:25], exec
	s_and_b64 s[18:19], s[20:21], exec
.LBB230_79:
	s_or_b64 exec, exec, s[16:17]
	s_and_b64 s[16:17], s[4:5], exec
	s_and_b64 s[18:19], s[18:19], exec
.LBB230_80:
	s_or_b64 exec, exec, s[14:15]
	s_and_b64 vcc, exec, s[12:13]
	v_lshlrev_b32_e32 v50, 2, v0
	s_cbranch_vccnz .LBB230_82
	s_branch .LBB230_90
.LBB230_81:
                                        ; implicit-def: $sgpr16_sgpr17
                                        ; implicit-def: $vgpr2_vgpr3_vgpr4_vgpr5_vgpr6_vgpr7_vgpr8_vgpr9
                                        ; implicit-def: $vgpr10_vgpr11_vgpr12_vgpr13_vgpr14_vgpr15_vgpr16_vgpr17
                                        ; implicit-def: $vgpr18_vgpr19_vgpr20_vgpr21_vgpr22_vgpr23_vgpr24_vgpr25
                                        ; implicit-def: $vgpr43
                                        ; implicit-def: $vgpr38_vgpr39
	s_and_b64 vcc, exec, s[12:13]
	v_lshlrev_b32_e32 v50, 2, v0
	s_cbranch_vccz .LBB230_90
.LBB230_82:
	v_mov_b32_e32 v1, s43
	v_add_co_u32_e32 v2, vcc, s42, v50
	v_addc_co_u32_e32 v3, vcc, 0, v1, vcc
	v_add_co_u32_e32 v4, vcc, 0x1000, v2
	v_addc_co_u32_e32 v5, vcc, 0, v3, vcc
	flat_load_dword v6, v[2:3]
	flat_load_dword v7, v[2:3] offset:1024
	flat_load_dword v8, v[2:3] offset:2048
	;; [unrolled: 1-line block ×3, first 2 shown]
	flat_load_dword v10, v[4:5]
	flat_load_dword v11, v[4:5] offset:1024
	flat_load_dword v12, v[4:5] offset:2048
	;; [unrolled: 1-line block ×3, first 2 shown]
	v_add_co_u32_e32 v4, vcc, 0x2000, v2
	v_addc_co_u32_e32 v5, vcc, 0, v3, vcc
	v_add_co_u32_e32 v2, vcc, 0x3000, v2
	v_addc_co_u32_e32 v3, vcc, 0, v3, vcc
	flat_load_dword v14, v[4:5]
	flat_load_dword v15, v[4:5] offset:1024
	flat_load_dword v16, v[4:5] offset:2048
	;; [unrolled: 1-line block ×3, first 2 shown]
	flat_load_dword v18, v[2:3]
	flat_load_dword v19, v[2:3] offset:1024
	v_mad_u32_u24 v1, v0, 52, v50
	s_cmp_eq_u64 s[52:53], 0
	s_waitcnt vmcnt(0) lgkmcnt(0)
	ds_write2st64_b32 v50, v6, v7 offset1:4
	ds_write2st64_b32 v50, v8, v9 offset0:8 offset1:12
	ds_write2st64_b32 v50, v10, v11 offset0:16 offset1:20
	;; [unrolled: 1-line block ×6, first 2 shown]
	s_waitcnt lgkmcnt(0)
	s_barrier
	ds_read2_b64 v[2:5], v1 offset1:1
	ds_read2_b64 v[10:13], v1 offset0:2 offset1:3
	ds_read2_b64 v[18:21], v1 offset0:4 offset1:5
	ds_read_b64 v[6:7], v1 offset:48
	s_cbranch_scc1 .LBB230_87
; %bb.83:
	s_andn2_b64 vcc, exec, s[44:45]
	s_cbranch_vccnz .LBB230_184
; %bb.84:
	s_lshl_b64 s[4:5], s[52:53], 2
	s_add_u32 s4, s54, s4
	s_addc_u32 s5, s55, s5
	s_add_u32 s4, s4, -4
	s_addc_u32 s5, s5, -1
	s_cbranch_execnz .LBB230_86
.LBB230_85:
	s_add_u32 s4, s42, -4
	s_addc_u32 s5, s43, -1
.LBB230_86:
	s_mov_b64 s[42:43], s[4:5]
.LBB230_87:
	v_pk_mov_b32 v[8:9], s[42:43], s[42:43] op_sel:[0,1]
	flat_load_dword v8, v[8:9]
	s_movk_i32 s4, 0xffcc
	v_mad_i32_i24 v9, v0, s4, v1
	s_waitcnt lgkmcnt(0)
	ds_write_b32 v9, v7 offset:14336
	s_waitcnt lgkmcnt(0)
	s_barrier
	s_and_saveexec_b64 s[4:5], s[36:37]
	s_cbranch_execz .LBB230_89
; %bb.88:
	s_waitcnt vmcnt(0)
	v_mul_i32_i24_e32 v8, 0xffffffcc, v0
	v_add_u32_e32 v8, v1, v8
	ds_read_b32 v8, v8 offset:14332
.LBB230_89:
	s_or_b64 exec, exec, s[4:5]
	v_mov_b32_e32 v9, s63
	v_add_co_u32_e32 v14, vcc, s62, v50
	v_addc_co_u32_e32 v15, vcc, 0, v9, vcc
	s_movk_i32 s4, 0x1000
	v_add_co_u32_e32 v16, vcc, s4, v14
	v_addc_co_u32_e32 v17, vcc, 0, v15, vcc
	s_movk_i32 s4, 0x2000
	s_waitcnt lgkmcnt(0)
	s_barrier
	flat_load_dword v22, v[14:15]
	flat_load_dword v24, v[14:15] offset:1024
	flat_load_dword v26, v[14:15] offset:2048
	;; [unrolled: 1-line block ×3, first 2 shown]
	flat_load_dword v28, v[16:17]
	flat_load_dword v29, v[16:17] offset:1024
	flat_load_dword v30, v[16:17] offset:2048
	;; [unrolled: 1-line block ×3, first 2 shown]
	v_add_co_u32_e32 v16, vcc, s4, v14
	v_addc_co_u32_e32 v17, vcc, 0, v15, vcc
	s_movk_i32 s4, 0x3000
	v_add_co_u32_e32 v14, vcc, s4, v14
	v_addc_co_u32_e32 v15, vcc, 0, v15, vcc
	flat_load_dword v32, v[16:17]
	flat_load_dword v33, v[16:17] offset:1024
	flat_load_dword v34, v[16:17] offset:2048
	;; [unrolled: 1-line block ×3, first 2 shown]
	flat_load_dword v36, v[14:15]
	flat_load_dword v37, v[14:15] offset:1024
	s_waitcnt vmcnt(0)
	v_cmp_ne_u32_e32 vcc, v8, v2
	v_cndmask_b32_e64 v39, 0, 1, vcc
	v_cmp_ne_u32_e32 vcc, v5, v10
	v_cndmask_b32_e64 v9, 0, 1, vcc
	v_cmp_ne_u32_e32 vcc, v4, v5
	v_cmp_ne_u32_e64 s[16:17], v6, v7
	v_cndmask_b32_e64 v7, 0, 1, vcc
	v_cmp_ne_u32_e32 vcc, v3, v4
	v_cndmask_b32_e64 v5, 0, 1, vcc
	v_cmp_ne_u32_e32 vcc, v2, v3
	;; [unrolled: 2-line block ×10, first 2 shown]
	v_cndmask_b32_e64 v19, 0, 1, vcc
	s_mov_b64 s[18:19], -1
                                        ; implicit-def: $sgpr12_sgpr13
	s_waitcnt lgkmcnt(0)
	ds_write2st64_b32 v50, v22, v24 offset1:4
	ds_write2st64_b32 v50, v26, v27 offset0:8 offset1:12
	ds_write2st64_b32 v50, v28, v29 offset0:16 offset1:20
	;; [unrolled: 1-line block ×6, first 2 shown]
	s_waitcnt lgkmcnt(0)
	s_barrier
	ds_read2_b32 v[42:43], v1 offset1:13
	ds_read2_b32 v[26:27], v1 offset0:7 offset1:8
	ds_read2_b32 v[28:29], v1 offset0:5 offset1:6
	;; [unrolled: 1-line block ×6, first 2 shown]
	s_waitcnt lgkmcnt(6)
	v_mov_b32_e32 v38, v42
	s_waitcnt lgkmcnt(4)
	v_mov_b32_e32 v10, v28
	;; [unrolled: 2-line block ×4, first 2 shown]
	v_mov_b32_e32 v4, v33
	v_mov_b32_e32 v8, v31
	;; [unrolled: 1-line block ×5, first 2 shown]
	s_waitcnt lgkmcnt(0)
	v_mov_b32_e32 v18, v36
	v_mov_b32_e32 v20, v37
	;; [unrolled: 1-line block ×4, first 2 shown]
.LBB230_90:
	v_pk_mov_b32 v[40:41], s[12:13], s[12:13] op_sel:[0,1]
	s_and_saveexec_b64 s[4:5], s[18:19]
	s_cbranch_execz .LBB230_92
; %bb.91:
	v_cndmask_b32_e64 v41, 0, 1, s[16:17]
	s_waitcnt lgkmcnt(0)
	v_mov_b32_e32 v40, v43
.LBB230_92:
	s_or_b64 exec, exec, s[4:5]
	s_mov_b32 s4, 0
	s_cmp_lg_u32 s59, 0
	v_mbcnt_lo_u32_b32 v52, -1, 0
	v_lshrrev_b32_e32 v1, 6, v0
	v_or_b32_e32 v51, 63, v0
	s_waitcnt lgkmcnt(0)
	s_barrier
	s_cbranch_scc0 .LBB230_121
; %bb.93:
	s_mov_b32 s5, 1
	v_cmp_gt_u64_e64 s[6:7], s[4:5], v[2:3]
	v_cndmask_b32_e64 v27, 0, v38, s[6:7]
	v_add_u32_e32 v27, v27, v2
	v_cmp_gt_u64_e64 s[8:9], s[4:5], v[4:5]
	v_cndmask_b32_e64 v27, 0, v27, s[8:9]
	v_add_u32_e32 v27, v27, v4
	;; [unrolled: 3-line block ×13, first 2 shown]
	v_or3_b32 v27, v41, v25, v23
	v_or3_b32 v27, v27, v21, v19
	;; [unrolled: 1-line block ×6, first 2 shown]
	v_mov_b32_e32 v26, 0
	v_and_b32_e32 v27, 1, v27
	v_cmp_eq_u64_e32 vcc, 0, v[26:27]
	v_cndmask_b32_e32 v26, 1, v39, vcc
	v_mbcnt_hi_u32_b32 v46, -1, v52
	v_mov_b32_dpp v29, v28 row_shr:1 row_mask:0xf bank_mask:0xf
	v_mov_b32_dpp v30, v26 row_shr:1 row_mask:0xf bank_mask:0xf
	v_cmp_eq_u32_e32 vcc, 0, v26
	v_and_b32_e32 v31, 1, v26
	v_and_b32_e32 v27, 15, v46
	v_cndmask_b32_e32 v29, 0, v29, vcc
	v_and_b32_e32 v30, 1, v30
	v_cmp_eq_u32_e32 vcc, 1, v31
	v_cndmask_b32_e64 v30, v30, 1, vcc
	v_cmp_eq_u32_e32 vcc, 0, v27
	v_cndmask_b32_e32 v26, v30, v26, vcc
	v_and_b32_e32 v31, 1, v26
	v_cmp_eq_u32_e64 s[4:5], 1, v31
	v_mov_b32_dpp v30, v26 row_shr:2 row_mask:0xf bank_mask:0xf
	v_and_b32_e32 v30, 1, v30
	v_cndmask_b32_e64 v30, v30, 1, s[4:5]
	v_cmp_lt_u32_e64 s[4:5], 1, v27
	v_cndmask_b32_e64 v29, v29, 0, vcc
	v_cmp_eq_u32_e32 vcc, 0, v26
	v_cndmask_b32_e64 v26, v26, v30, s[4:5]
	v_add_u32_e32 v28, v29, v28
	v_and_b32_e32 v31, 1, v26
	v_mov_b32_dpp v30, v26 row_shr:4 row_mask:0xf bank_mask:0xf
	v_mov_b32_dpp v29, v28 row_shr:2 row_mask:0xf bank_mask:0xf
	s_and_b64 vcc, s[4:5], vcc
	v_and_b32_e32 v30, 1, v30
	v_cmp_eq_u32_e64 s[4:5], 1, v31
	v_cndmask_b32_e32 v29, 0, v29, vcc
	v_cndmask_b32_e64 v30, v30, 1, s[4:5]
	v_cmp_lt_u32_e64 s[4:5], 3, v27
	v_add_u32_e32 v28, v29, v28
	v_cmp_eq_u32_e32 vcc, 0, v26
	v_cndmask_b32_e64 v26, v26, v30, s[4:5]
	v_mov_b32_dpp v29, v28 row_shr:4 row_mask:0xf bank_mask:0xf
	s_and_b64 vcc, s[4:5], vcc
	v_mov_b32_dpp v30, v26 row_shr:8 row_mask:0xf bank_mask:0xf
	v_and_b32_e32 v31, 1, v26
	v_cndmask_b32_e32 v29, 0, v29, vcc
	v_and_b32_e32 v30, 1, v30
	v_cmp_eq_u32_e64 s[4:5], 1, v31
	v_add_u32_e32 v28, v29, v28
	v_cmp_eq_u32_e32 vcc, 0, v26
	v_cndmask_b32_e64 v30, v30, 1, s[4:5]
	v_cmp_lt_u32_e64 s[4:5], 7, v27
	v_mov_b32_dpp v29, v28 row_shr:8 row_mask:0xf bank_mask:0xf
	s_and_b64 vcc, s[4:5], vcc
	v_cndmask_b32_e32 v27, 0, v29, vcc
	v_cndmask_b32_e64 v26, v26, v30, s[4:5]
	v_add_u32_e32 v27, v27, v28
	v_cmp_eq_u32_e32 vcc, 0, v26
	v_mov_b32_dpp v29, v26 row_bcast:15 row_mask:0xf bank_mask:0xf
	v_mov_b32_dpp v28, v27 row_bcast:15 row_mask:0xf bank_mask:0xf
	v_and_b32_e32 v32, 1, v26
	v_and_b32_e32 v31, 16, v46
	v_cndmask_b32_e32 v28, 0, v28, vcc
	v_and_b32_e32 v29, 1, v29
	v_cmp_eq_u32_e32 vcc, 1, v32
	v_bfe_i32 v30, v46, 4, 1
	v_cndmask_b32_e64 v29, v29, 1, vcc
	v_cmp_eq_u32_e32 vcc, 0, v31
	v_and_b32_e32 v28, v30, v28
	v_cndmask_b32_e32 v26, v29, v26, vcc
	v_add_u32_e32 v27, v28, v27
	v_and_b32_e32 v30, 1, v26
	v_mov_b32_dpp v28, v26 row_bcast:31 row_mask:0xf bank_mask:0xf
	v_and_b32_e32 v28, 1, v28
	v_cmp_eq_u32_e64 s[4:5], 1, v30
	v_cmp_eq_u32_e32 vcc, 0, v26
	v_cndmask_b32_e64 v28, v28, 1, s[4:5]
	v_cmp_lt_u32_e64 s[4:5], 31, v46
	v_mov_b32_dpp v29, v27 row_bcast:31 row_mask:0xf bank_mask:0xf
	s_and_b64 vcc, s[4:5], vcc
	v_cndmask_b32_e64 v28, v26, v28, s[4:5]
	v_cndmask_b32_e32 v26, 0, v29, vcc
	v_add_u32_e32 v29, v26, v27
	v_cmp_eq_u32_e32 vcc, v51, v0
	s_and_saveexec_b64 s[4:5], vcc
	s_cbranch_execz .LBB230_95
; %bb.94:
	v_lshlrev_b32_e32 v26, 3, v1
	ds_write_b32 v26, v29
	ds_write_b8 v26, v28 offset:4
.LBB230_95:
	s_or_b64 exec, exec, s[4:5]
	v_cmp_gt_u32_e32 vcc, 4, v0
	s_waitcnt lgkmcnt(0)
	s_barrier
	s_and_saveexec_b64 s[4:5], vcc
	s_cbranch_execz .LBB230_99
; %bb.96:
	v_lshlrev_b32_e32 v30, 3, v0
	ds_read_b64 v[26:27], v30
	v_and_b32_e32 v31, 3, v46
	v_cmp_ne_u32_e32 vcc, 0, v31
	s_waitcnt lgkmcnt(0)
	v_mov_b32_dpp v32, v26 row_shr:1 row_mask:0xf bank_mask:0xf
	v_mov_b32_dpp v34, v27 row_shr:1 row_mask:0xf bank_mask:0xf
	v_mov_b32_e32 v33, v27
	s_and_saveexec_b64 s[34:35], vcc
	s_cbranch_execz .LBB230_98
; %bb.97:
	v_and_b32_e32 v33, 1, v27
	v_and_b32_e32 v34, 1, v34
	v_cmp_eq_u32_e32 vcc, 1, v33
	v_mov_b32_e32 v33, 0
	v_cndmask_b32_e64 v34, v34, 1, vcc
	v_cmp_eq_u16_sdwa vcc, v27, v33 src0_sel:BYTE_0 src1_sel:DWORD
	v_cndmask_b32_e32 v32, 0, v32, vcc
	v_add_u32_e32 v26, v32, v26
	v_and_b32_e32 v32, 0xffff, v34
	s_movk_i32 s42, 0xff00
	v_and_or_b32 v33, v27, s42, v32
	v_mov_b32_e32 v27, v34
.LBB230_98:
	s_or_b64 exec, exec, s[34:35]
	v_mov_b32_dpp v33, v33 row_shr:2 row_mask:0xf bank_mask:0xf
	v_and_b32_e32 v34, 1, v27
	v_and_b32_e32 v33, 1, v33
	v_cmp_eq_u32_e32 vcc, 1, v34
	v_mov_b32_e32 v34, 0
	v_cndmask_b32_e64 v33, v33, 1, vcc
	v_cmp_eq_u16_sdwa s[34:35], v27, v34 src0_sel:BYTE_0 src1_sel:DWORD
	v_cmp_lt_u32_e32 vcc, 1, v31
	v_mov_b32_dpp v32, v26 row_shr:2 row_mask:0xf bank_mask:0xf
	v_cndmask_b32_e32 v27, v27, v33, vcc
	s_and_b64 vcc, vcc, s[34:35]
	v_cndmask_b32_e32 v31, 0, v32, vcc
	v_add_u32_e32 v26, v31, v26
	ds_write_b32 v30, v26
	ds_write_b8 v30, v27 offset:4
.LBB230_99:
	s_or_b64 exec, exec, s[4:5]
	v_cmp_gt_u32_e32 vcc, 64, v0
	v_cmp_lt_u32_e64 s[4:5], 63, v0
	v_mov_b32_e32 v42, 0
	v_mov_b32_e32 v43, 0
	s_waitcnt lgkmcnt(0)
	s_barrier
	s_and_saveexec_b64 s[34:35], s[4:5]
	s_cbranch_execz .LBB230_101
; %bb.100:
	v_lshl_add_u32 v26, v1, 3, -8
	ds_read_b32 v42, v26
	ds_read_u8 v43, v26 offset:4
	v_and_b32_e32 v27, 1, v28
	v_cmp_eq_u32_e64 s[4:5], 0, v28
	s_waitcnt lgkmcnt(1)
	v_cndmask_b32_e64 v26, 0, v42, s[4:5]
	v_cmp_eq_u32_e64 s[4:5], 1, v27
	v_add_u32_e32 v29, v26, v29
	s_waitcnt lgkmcnt(0)
	v_cndmask_b32_e64 v28, v43, 1, s[4:5]
.LBB230_101:
	s_or_b64 exec, exec, s[34:35]
	v_add_u32_e32 v26, -1, v46
	v_and_b32_e32 v27, 64, v46
	v_cmp_lt_i32_e64 s[4:5], v26, v27
	v_cndmask_b32_e64 v26, v26, v46, s[4:5]
	v_lshlrev_b32_e32 v26, 2, v26
	ds_bpermute_b32 v44, v26, v29
	ds_bpermute_b32 v45, v26, v28
	v_cmp_eq_u32_e64 s[34:35], 0, v46
	s_and_saveexec_b64 s[42:43], vcc
	s_cbranch_execz .LBB230_120
; %bb.102:
	v_mov_b32_e32 v29, 0
	ds_read_b64 v[26:27], v29 offset:24
	s_waitcnt lgkmcnt(0)
	v_readfirstlane_b32 s52, v27
	s_and_saveexec_b64 s[4:5], s[34:35]
	s_cbranch_execz .LBB230_104
; %bb.103:
	s_add_i32 s44, s59, 64
	s_mov_b32 s45, 0
	s_lshl_b64 s[48:49], s[44:45], 4
	s_add_u32 s48, s56, s48
	s_addc_u32 s49, s57, s49
	s_and_b32 s55, s52, 0xff000000
	s_mov_b32 s54, s45
	s_and_b32 s63, s52, 0xff0000
	s_mov_b32 s62, s45
	s_or_b64 s[54:55], s[62:63], s[54:55]
	s_and_b32 s63, s52, 0xff00
	s_or_b64 s[54:55], s[54:55], s[62:63]
	s_and_b32 s63, s52, 0xff
	s_or_b64 s[44:45], s[54:55], s[62:63]
	v_mov_b32_e32 v27, s45
	v_mov_b32_e32 v28, 1
	v_pk_mov_b32 v[30:31], s[48:49], s[48:49] op_sel:[0,1]
	;;#ASMSTART
	global_store_dwordx4 v[30:31], v[26:29] off	
s_waitcnt vmcnt(0)
	;;#ASMEND
.LBB230_104:
	s_or_b64 exec, exec, s[4:5]
	v_xad_u32 v34, v46, -1, s59
	v_add_u32_e32 v28, 64, v34
	v_lshlrev_b64 v[30:31], 4, v[28:29]
	v_mov_b32_e32 v27, s57
	v_add_co_u32_e32 v36, vcc, s56, v30
	v_addc_co_u32_e32 v37, vcc, v27, v31, vcc
	;;#ASMSTART
	global_load_dwordx4 v[30:33], v[36:37] off glc	
s_waitcnt vmcnt(0)
	;;#ASMEND
	v_and_b32_e32 v27, 0xff0000, v30
	v_or_b32_sdwa v27, v30, v27 dst_sel:DWORD dst_unused:UNUSED_PAD src0_sel:WORD_0 src1_sel:DWORD
	v_and_b32_e32 v28, 0xff000000, v30
	v_and_b32_e32 v30, 0xff, v31
	v_or3_b32 v31, 0, 0, v30
	v_or3_b32 v30, v27, v28, 0
	v_cmp_eq_u16_sdwa s[44:45], v32, v29 src0_sel:BYTE_0 src1_sel:DWORD
	s_and_saveexec_b64 s[4:5], s[44:45]
	s_cbranch_execz .LBB230_108
; %bb.105:
	s_mov_b64 s[44:45], 0
	v_mov_b32_e32 v27, 0
.LBB230_106:                            ; =>This Inner Loop Header: Depth=1
	;;#ASMSTART
	global_load_dwordx4 v[30:33], v[36:37] off glc	
s_waitcnt vmcnt(0)
	;;#ASMEND
	v_cmp_ne_u16_sdwa s[48:49], v32, v27 src0_sel:BYTE_0 src1_sel:DWORD
	s_or_b64 s[44:45], s[48:49], s[44:45]
	s_andn2_b64 exec, exec, s[44:45]
	s_cbranch_execnz .LBB230_106
; %bb.107:
	s_or_b64 exec, exec, s[44:45]
	v_and_b32_e32 v31, 0xff, v31
.LBB230_108:
	s_or_b64 exec, exec, s[4:5]
	v_mov_b32_e32 v27, 2
	v_cmp_eq_u16_sdwa s[4:5], v32, v27 src0_sel:BYTE_0 src1_sel:DWORD
	v_lshlrev_b64 v[28:29], v46, -1
	v_and_b32_e32 v33, s5, v29
	v_or_b32_e32 v33, 0x80000000, v33
	v_and_b32_e32 v35, s4, v28
	v_ffbl_b32_e32 v33, v33
	v_and_b32_e32 v47, 63, v46
	v_add_u32_e32 v33, 32, v33
	v_ffbl_b32_e32 v35, v35
	v_cmp_ne_u32_e32 vcc, 63, v47
	v_min_u32_e32 v33, v35, v33
	v_addc_co_u32_e32 v35, vcc, 0, v46, vcc
	v_lshlrev_b32_e32 v48, 2, v35
	ds_bpermute_b32 v35, v48, v31
	ds_bpermute_b32 v36, v48, v30
	s_mov_b32 s44, 0
	v_and_b32_e32 v37, 1, v31
	s_mov_b32 s45, 1
	s_waitcnt lgkmcnt(1)
	v_and_b32_e32 v35, 1, v35
	v_cmp_eq_u32_e32 vcc, 1, v37
	v_cndmask_b32_e64 v35, v35, 1, vcc
	v_cmp_gt_u64_e32 vcc, s[44:45], v[30:31]
	v_cmp_lt_u32_e64 s[4:5], v47, v33
	s_and_b64 vcc, s[4:5], vcc
	v_and_b32_e32 v37, 0xffff, v35
	v_cndmask_b32_e64 v54, v31, v35, s[4:5]
	s_waitcnt lgkmcnt(0)
	v_cndmask_b32_e32 v35, 0, v36, vcc
	v_cmp_gt_u32_e32 vcc, 62, v47
	v_cndmask_b32_e64 v36, 0, 1, vcc
	v_lshlrev_b32_e32 v36, 1, v36
	v_cndmask_b32_e64 v31, v31, v37, s[4:5]
	v_add_lshl_u32 v49, v36, v46, 2
	ds_bpermute_b32 v36, v49, v31
	v_add_u32_e32 v30, v35, v30
	ds_bpermute_b32 v37, v49, v30
	v_and_b32_e32 v35, 1, v54
	v_cmp_eq_u32_e32 vcc, 1, v35
	s_waitcnt lgkmcnt(1)
	v_and_b32_e32 v36, 1, v36
	v_mov_b32_e32 v35, 0
	v_add_u32_e32 v53, 2, v47
	v_cndmask_b32_e64 v36, v36, 1, vcc
	v_cmp_eq_u16_sdwa vcc, v54, v35 src0_sel:BYTE_0 src1_sel:DWORD
	v_and_b32_e32 v55, 0xffff, v36
	s_waitcnt lgkmcnt(0)
	v_cndmask_b32_e32 v37, 0, v37, vcc
	v_cmp_gt_u32_e32 vcc, v53, v33
	v_cndmask_b32_e32 v36, v36, v54, vcc
	v_cndmask_b32_e64 v37, v37, 0, vcc
	v_cndmask_b32_e32 v31, v55, v31, vcc
	v_cmp_gt_u32_e32 vcc, 60, v47
	v_cndmask_b32_e64 v54, 0, 1, vcc
	v_lshlrev_b32_e32 v54, 2, v54
	v_add_lshl_u32 v54, v54, v46, 2
	ds_bpermute_b32 v56, v54, v31
	v_add_u32_e32 v30, v37, v30
	ds_bpermute_b32 v37, v54, v30
	v_and_b32_e32 v57, 1, v36
	v_cmp_eq_u32_e32 vcc, 1, v57
	s_waitcnt lgkmcnt(1)
	v_and_b32_e32 v56, 1, v56
	v_add_u32_e32 v55, 4, v47
	v_cndmask_b32_e64 v56, v56, 1, vcc
	v_cmp_eq_u16_sdwa vcc, v36, v35 src0_sel:BYTE_0 src1_sel:DWORD
	v_and_b32_e32 v57, 0xffff, v56
	s_waitcnt lgkmcnt(0)
	v_cndmask_b32_e32 v37, 0, v37, vcc
	v_cmp_gt_u32_e32 vcc, v55, v33
	v_cndmask_b32_e32 v36, v56, v36, vcc
	v_cndmask_b32_e64 v37, v37, 0, vcc
	v_cndmask_b32_e32 v31, v57, v31, vcc
	v_cmp_gt_u32_e32 vcc, 56, v47
	v_cndmask_b32_e64 v56, 0, 1, vcc
	v_lshlrev_b32_e32 v56, 3, v56
	v_add_lshl_u32 v56, v56, v46, 2
	ds_bpermute_b32 v58, v56, v31
	v_add_u32_e32 v30, v37, v30
	ds_bpermute_b32 v37, v56, v30
	v_and_b32_e32 v59, 1, v36
	v_cmp_eq_u32_e32 vcc, 1, v59
	s_waitcnt lgkmcnt(1)
	v_and_b32_e32 v58, 1, v58
	;; [unrolled: 21-line block ×4, first 2 shown]
	v_add_u32_e32 v62, 32, v47
	v_cndmask_b32_e64 v31, v31, 1, vcc
	v_cmp_eq_u16_sdwa vcc, v36, v35 src0_sel:BYTE_0 src1_sel:DWORD
	s_waitcnt lgkmcnt(0)
	v_cndmask_b32_e32 v37, 0, v37, vcc
	v_cmp_gt_u32_e32 vcc, v62, v33
	v_cndmask_b32_e64 v33, v37, 0, vcc
	v_cndmask_b32_e32 v31, v31, v36, vcc
	v_add_u32_e32 v30, v33, v30
	s_branch .LBB230_110
.LBB230_109:                            ;   in Loop: Header=BB230_110 Depth=1
	s_or_b64 exec, exec, s[4:5]
	v_cmp_eq_u16_sdwa s[4:5], v32, v27 src0_sel:BYTE_0 src1_sel:DWORD
	v_and_b32_e32 v33, s5, v29
	ds_bpermute_b32 v37, v48, v31
	v_or_b32_e32 v33, 0x80000000, v33
	v_and_b32_e32 v36, s4, v28
	v_ffbl_b32_e32 v33, v33
	v_add_u32_e32 v33, 32, v33
	v_ffbl_b32_e32 v36, v36
	v_min_u32_e32 v33, v36, v33
	ds_bpermute_b32 v36, v48, v30
	v_and_b32_e32 v63, 1, v31
	s_waitcnt lgkmcnt(1)
	v_and_b32_e32 v37, 1, v37
	v_cmp_eq_u32_e32 vcc, 1, v63
	v_cndmask_b32_e64 v37, v37, 1, vcc
	v_cmp_gt_u64_e32 vcc, s[44:45], v[30:31]
	v_and_b32_e32 v63, 0xffff, v37
	v_cmp_lt_u32_e64 s[4:5], v47, v33
	v_cndmask_b32_e64 v37, v31, v37, s[4:5]
	v_cndmask_b32_e64 v31, v31, v63, s[4:5]
	s_and_b64 vcc, s[4:5], vcc
	ds_bpermute_b32 v63, v49, v31
	s_waitcnt lgkmcnt(1)
	v_cndmask_b32_e32 v36, 0, v36, vcc
	v_add_u32_e32 v30, v36, v30
	ds_bpermute_b32 v36, v49, v30
	v_and_b32_e32 v64, 1, v37
	s_waitcnt lgkmcnt(1)
	v_and_b32_e32 v63, 1, v63
	v_cmp_eq_u32_e32 vcc, 1, v64
	v_cndmask_b32_e64 v63, v63, 1, vcc
	v_cmp_eq_u16_sdwa vcc, v37, v35 src0_sel:BYTE_0 src1_sel:DWORD
	v_and_b32_e32 v64, 0xffff, v63
	s_waitcnt lgkmcnt(0)
	v_cndmask_b32_e32 v36, 0, v36, vcc
	v_cmp_gt_u32_e32 vcc, v53, v33
	v_cndmask_b32_e32 v31, v64, v31, vcc
	v_cndmask_b32_e32 v37, v63, v37, vcc
	ds_bpermute_b32 v63, v54, v31
	v_cndmask_b32_e64 v36, v36, 0, vcc
	v_add_u32_e32 v30, v36, v30
	ds_bpermute_b32 v36, v54, v30
	v_and_b32_e32 v64, 1, v37
	s_waitcnt lgkmcnt(1)
	v_and_b32_e32 v63, 1, v63
	v_cmp_eq_u32_e32 vcc, 1, v64
	v_cndmask_b32_e64 v63, v63, 1, vcc
	v_cmp_eq_u16_sdwa vcc, v37, v35 src0_sel:BYTE_0 src1_sel:DWORD
	v_and_b32_e32 v64, 0xffff, v63
	s_waitcnt lgkmcnt(0)
	v_cndmask_b32_e32 v36, 0, v36, vcc
	v_cmp_gt_u32_e32 vcc, v55, v33
	v_cndmask_b32_e32 v31, v64, v31, vcc
	v_cndmask_b32_e32 v37, v63, v37, vcc
	ds_bpermute_b32 v63, v56, v31
	v_cndmask_b32_e64 v36, v36, 0, vcc
	;; [unrolled: 16-line block ×3, first 2 shown]
	v_add_u32_e32 v30, v36, v30
	ds_bpermute_b32 v36, v58, v30
	v_and_b32_e32 v64, 1, v37
	s_waitcnt lgkmcnt(1)
	v_and_b32_e32 v63, 1, v63
	v_cmp_eq_u32_e32 vcc, 1, v64
	v_cndmask_b32_e64 v63, v63, 1, vcc
	v_cmp_eq_u16_sdwa vcc, v37, v35 src0_sel:BYTE_0 src1_sel:DWORD
	v_and_b32_e32 v64, 0xffff, v63
	s_waitcnt lgkmcnt(0)
	v_cndmask_b32_e32 v36, 0, v36, vcc
	v_cmp_gt_u32_e32 vcc, v59, v33
	v_cndmask_b32_e64 v36, v36, 0, vcc
	v_cndmask_b32_e32 v31, v64, v31, vcc
	ds_bpermute_b32 v31, v61, v31
	v_add_u32_e32 v30, v36, v30
	ds_bpermute_b32 v36, v61, v30
	v_cndmask_b32_e32 v37, v63, v37, vcc
	v_and_b32_e32 v63, 1, v37
	v_cmp_eq_u32_e32 vcc, 1, v63
	s_waitcnt lgkmcnt(1)
	v_cndmask_b32_e64 v31, v31, 1, vcc
	v_cmp_eq_u16_sdwa vcc, v37, v35 src0_sel:BYTE_0 src1_sel:DWORD
	s_waitcnt lgkmcnt(0)
	v_cndmask_b32_e32 v36, 0, v36, vcc
	v_cmp_gt_u32_e32 vcc, v62, v33
	v_cndmask_b32_e64 v33, v36, 0, vcc
	v_cndmask_b32_e32 v31, v31, v37, vcc
	v_add_u32_e32 v30, v33, v30
	v_cmp_eq_u16_sdwa vcc, v46, v35 src0_sel:BYTE_0 src1_sel:DWORD
	v_and_b32_e32 v33, 1, v46
	v_cndmask_b32_e32 v30, 0, v30, vcc
	v_and_b32_e32 v31, 1, v31
	v_cmp_eq_u32_e32 vcc, 1, v33
	v_subrev_u32_e32 v34, 64, v34
	v_add_u32_e32 v30, v30, v60
	v_cndmask_b32_e64 v31, v31, 1, vcc
.LBB230_110:                            ; =>This Loop Header: Depth=1
                                        ;     Child Loop BB230_113 Depth 2
	v_cmp_ne_u16_sdwa s[4:5], v32, v27 src0_sel:BYTE_0 src1_sel:DWORD
	v_mov_b32_e32 v46, v31
	v_cndmask_b32_e64 v31, 0, 1, s[4:5]
	;;#ASMSTART
	;;#ASMEND
	v_cmp_ne_u32_e32 vcc, 0, v31
	s_cmp_lg_u64 vcc, exec
	v_mov_b32_e32 v60, v30
	s_cbranch_scc1 .LBB230_115
; %bb.111:                              ;   in Loop: Header=BB230_110 Depth=1
	v_lshlrev_b64 v[30:31], 4, v[34:35]
	v_mov_b32_e32 v32, s57
	v_add_co_u32_e32 v36, vcc, s56, v30
	v_addc_co_u32_e32 v37, vcc, v32, v31, vcc
	;;#ASMSTART
	global_load_dwordx4 v[30:33], v[36:37] off glc	
s_waitcnt vmcnt(0)
	;;#ASMEND
	v_and_b32_e32 v33, 0xff0000, v30
	v_or_b32_sdwa v33, v30, v33 dst_sel:DWORD dst_unused:UNUSED_PAD src0_sel:WORD_0 src1_sel:DWORD
	v_and_b32_e32 v30, 0xff000000, v30
	v_and_b32_e32 v31, 0xff, v31
	v_or3_b32 v31, 0, 0, v31
	v_or3_b32 v30, v33, v30, 0
	v_cmp_eq_u16_sdwa s[48:49], v32, v35 src0_sel:BYTE_0 src1_sel:DWORD
	s_and_saveexec_b64 s[4:5], s[48:49]
	s_cbranch_execz .LBB230_109
; %bb.112:                              ;   in Loop: Header=BB230_110 Depth=1
	s_mov_b64 s[48:49], 0
.LBB230_113:                            ;   Parent Loop BB230_110 Depth=1
                                        ; =>  This Inner Loop Header: Depth=2
	;;#ASMSTART
	global_load_dwordx4 v[30:33], v[36:37] off glc	
s_waitcnt vmcnt(0)
	;;#ASMEND
	v_cmp_ne_u16_sdwa s[54:55], v32, v35 src0_sel:BYTE_0 src1_sel:DWORD
	s_or_b64 s[48:49], s[54:55], s[48:49]
	s_andn2_b64 exec, exec, s[48:49]
	s_cbranch_execnz .LBB230_113
; %bb.114:                              ;   in Loop: Header=BB230_110 Depth=1
	s_or_b64 exec, exec, s[48:49]
	v_and_b32_e32 v31, 0xff, v31
	s_branch .LBB230_109
.LBB230_115:                            ;   in Loop: Header=BB230_110 Depth=1
                                        ; implicit-def: $vgpr31
                                        ; implicit-def: $vgpr30
                                        ; implicit-def: $vgpr32
	s_cbranch_execz .LBB230_110
; %bb.116:
	s_and_saveexec_b64 s[4:5], s[34:35]
	s_cbranch_execz .LBB230_118
; %bb.117:
	s_and_b32 s44, s52, 0xff
	s_cmp_eq_u32 s44, 0
	s_cselect_b64 vcc, -1, 0
	s_bitcmp1_b32 s52, 0
	s_mov_b32 s45, 0
	s_cselect_b64 s[48:49], -1, 0
	s_add_i32 s44, s59, 64
	s_lshl_b64 s[44:45], s[44:45], 4
	v_cndmask_b32_e32 v27, 0, v60, vcc
	s_add_u32 s44, s56, s44
	v_add_u32_e32 v26, v27, v26
	v_and_b32_e32 v27, 1, v46
	s_addc_u32 s45, s57, s45
	v_mov_b32_e32 v29, 0
	v_cndmask_b32_e64 v27, v27, 1, s[48:49]
	v_mov_b32_e32 v28, 2
	v_pk_mov_b32 v[30:31], s[44:45], s[44:45] op_sel:[0,1]
	;;#ASMSTART
	global_store_dwordx4 v[30:31], v[26:29] off	
s_waitcnt vmcnt(0)
	;;#ASMEND
.LBB230_118:
	s_or_b64 exec, exec, s[4:5]
	s_and_b64 exec, exec, s[0:1]
	s_cbranch_execz .LBB230_120
; %bb.119:
	v_mov_b32_e32 v26, 0
	ds_write_b32 v26, v60 offset:24
	ds_write_b8 v26, v46 offset:28
.LBB230_120:
	s_or_b64 exec, exec, s[42:43]
	s_mov_b32 s4, 0
	v_mov_b32_e32 v28, 0
	s_mov_b32 s5, 1
	s_waitcnt lgkmcnt(0)
	v_cndmask_b32_e64 v26, v45, v43, s[34:35]
	v_cndmask_b32_e64 v27, v44, v42, s[34:35]
	s_barrier
	ds_read_b32 v29, v28 offset:24
	v_cmp_gt_u64_e32 vcc, s[4:5], v[38:39]
	v_and_b32_e32 v30, 1, v39
	v_cndmask_b32_e32 v27, 0, v27, vcc
	v_and_b32_e32 v26, 1, v26
	v_cmp_eq_u32_e32 vcc, 1, v30
	v_cndmask_b32_e64 v26, v26, 1, vcc
	v_cndmask_b32_e64 v26, v26, v39, s[0:1]
	v_cmp_eq_u16_sdwa vcc, v26, v28 src0_sel:BYTE_0 src1_sel:DWORD
	v_cndmask_b32_e64 v27, v27, 0, s[0:1]
	s_waitcnt lgkmcnt(0)
	v_cndmask_b32_e32 v26, 0, v29, vcc
	v_add3_u32 v26, v27, v38, v26
	v_cndmask_b32_e64 v27, 0, v26, s[6:7]
	v_add_u32_e32 v27, v27, v2
	v_cndmask_b32_e64 v28, 0, v27, s[8:9]
	v_add_u32_e32 v42, v28, v4
	;; [unrolled: 2-line block ×13, first 2 shown]
	s_branch .LBB230_137
.LBB230_121:
                                        ; implicit-def: $vgpr49
                                        ; implicit-def: $vgpr47
                                        ; implicit-def: $vgpr45
                                        ; implicit-def: $vgpr43
                                        ; implicit-def: $vgpr34_vgpr35_vgpr36_vgpr37
                                        ; implicit-def: $vgpr30_vgpr31_vgpr32_vgpr33
                                        ; implicit-def: $vgpr26_vgpr27_vgpr28_vgpr29
	s_cbranch_execz .LBB230_137
; %bb.122:
	s_cmp_lg_u64 s[60:61], 0
	s_cselect_b32 s9, s51, 0
	s_cselect_b32 s8, s50, 0
	s_cmp_lg_u64 s[8:9], 0
	s_cselect_b64 s[6:7], -1, 0
	s_mov_b32 s4, 0
	s_and_b64 s[10:11], s[0:1], s[6:7]
	s_and_saveexec_b64 s[6:7], s[10:11]
	s_cbranch_execz .LBB230_124
; %bb.123:
	v_mov_b32_e32 v26, 0
	global_load_dword v28, v26, s[8:9]
	global_load_ubyte v29, v26, s[8:9] offset:4
	s_mov_b32 s5, 1
	v_and_b32_e32 v27, 1, v39
	v_cmp_gt_u64_e32 vcc, s[4:5], v[38:39]
	s_waitcnt vmcnt(1)
	v_cndmask_b32_e32 v28, 0, v28, vcc
	s_waitcnt vmcnt(0)
	v_and_b32_e32 v29, 1, v29
	v_cmp_eq_u64_e32 vcc, 0, v[26:27]
	v_add_u32_e32 v38, v28, v38
	v_cndmask_b32_e32 v39, 1, v29, vcc
.LBB230_124:
	s_or_b64 exec, exec, s[6:7]
	s_mov_b32 s5, 1
	v_cmp_gt_u64_e32 vcc, s[4:5], v[2:3]
	v_cndmask_b32_e32 v26, 0, v38, vcc
	v_add_u32_e32 v27, v26, v2
	v_cmp_gt_u64_e64 s[6:7], s[4:5], v[4:5]
	v_cndmask_b32_e64 v26, 0, v27, s[6:7]
	v_add_u32_e32 v42, v26, v4
	v_cmp_gt_u64_e64 s[8:9], s[4:5], v[6:7]
	v_cndmask_b32_e64 v26, 0, v42, s[8:9]
	;; [unrolled: 3-line block ×6, first 2 shown]
	v_add_u32_e32 v45, v26, v14
	v_cmp_gt_u64_e64 s[18:19], s[4:5], v[16:17]
	v_mov_b32_e32 v28, 0
	v_cndmask_b32_e64 v26, 0, v45, s[18:19]
	v_or3_b32 v7, v23, v15, v7
	v_add_u32_e32 v34, v26, v16
	v_cmp_gt_u64_e64 s[20:21], s[4:5], v[18:19]
	v_or3_b32 v9, v25, v17, v9
	v_and_b32_e32 v55, 1, v7
	v_mov_b32_e32 v54, v28
	v_cndmask_b32_e64 v26, 0, v34, s[20:21]
	v_or3_b32 v3, v19, v11, v3
	v_and_b32_e32 v37, 1, v9
	v_mov_b32_e32 v36, v28
	v_cmp_ne_u64_e64 s[30:31], 0, v[54:55]
	v_add_u32_e32 v35, v26, v18
	v_cmp_gt_u64_e64 s[22:23], s[4:5], v[20:21]
	v_or3_b32 v5, v21, v13, v5
	v_and_b32_e32 v29, 1, v3
	v_cndmask_b32_e64 v3, 0, 1, s[30:31]
	v_cmp_ne_u64_e64 s[30:31], 0, v[36:37]
	v_cndmask_b32_e64 v26, 0, v35, s[22:23]
	v_and_b32_e32 v33, 1, v5
	v_mov_b32_e32 v32, v28
	v_cndmask_b32_e64 v5, 0, 1, s[30:31]
	v_add_u32_e32 v46, v26, v20
	v_cmp_gt_u64_e64 s[24:25], s[4:5], v[22:23]
	v_lshlrev_b16_e32 v3, 2, v3
	v_lshlrev_b16_e32 v5, 3, v5
	v_cmp_ne_u64_e64 s[30:31], 0, v[32:33]
	v_cndmask_b32_e64 v26, 0, v46, s[24:25]
	v_or_b32_e32 v3, v5, v3
	v_cndmask_b32_e64 v5, 0, 1, s[30:31]
	v_cmp_ne_u64_e64 s[30:31], 0, v[28:29]
	v_add_u32_e32 v47, v26, v22
	v_cmp_gt_u64_e64 s[26:27], s[4:5], v[24:25]
	v_lshlrev_b16_e32 v5, 1, v5
	v_cndmask_b32_e64 v7, 0, 1, s[30:31]
	v_cndmask_b32_e64 v26, 0, v47, s[26:27]
	v_or_b32_e32 v5, v7, v5
	v_add_u32_e32 v48, v26, v24
	v_cmp_gt_u64_e64 s[28:29], s[4:5], v[40:41]
	v_and_b32_e32 v5, 3, v5
	v_cndmask_b32_e64 v26, 0, v48, s[28:29]
	v_or_b32_e32 v3, v5, v3
	v_add_u32_e32 v49, v26, v40
	v_and_b32_e32 v26, 1, v41
	v_and_b32_e32 v3, 15, v3
	v_cmp_eq_u32_e64 s[4:5], 1, v26
	v_cmp_ne_u16_e64 s[30:31], 0, v3
	s_or_b64 s[4:5], s[4:5], s[30:31]
	v_cndmask_b32_e64 v5, v39, 1, s[4:5]
	v_mbcnt_hi_u32_b32 v3, -1, v52
	v_mov_b32_dpp v9, v49 row_shr:1 row_mask:0xf bank_mask:0xf
	v_mov_b32_dpp v11, v5 row_shr:1 row_mask:0xf bank_mask:0xf
	v_cmp_eq_u32_e64 s[4:5], 0, v5
	v_and_b32_e32 v13, 1, v5
	v_and_b32_e32 v7, 15, v3
	v_cndmask_b32_e64 v9, 0, v9, s[4:5]
	v_and_b32_e32 v11, 1, v11
	v_cmp_eq_u32_e64 s[4:5], 1, v13
	v_cndmask_b32_e64 v11, v11, 1, s[4:5]
	v_cmp_eq_u32_e64 s[4:5], 0, v7
	v_cndmask_b32_e64 v5, v11, v5, s[4:5]
	v_and_b32_e32 v15, 1, v5
	v_cmp_eq_u32_e64 s[30:31], 1, v15
	v_mov_b32_dpp v13, v5 row_shr:2 row_mask:0xf bank_mask:0xf
	v_and_b32_e32 v13, 1, v13
	v_cndmask_b32_e64 v13, v13, 1, s[30:31]
	v_cmp_lt_u32_e64 s[30:31], 1, v7
	v_cndmask_b32_e64 v9, v9, 0, s[4:5]
	v_cmp_eq_u32_e64 s[4:5], 0, v5
	v_cndmask_b32_e64 v5, v5, v13, s[30:31]
	v_add_u32_e32 v9, v49, v9
	v_and_b32_e32 v15, 1, v5
	v_mov_b32_dpp v13, v5 row_shr:4 row_mask:0xf bank_mask:0xf
	v_mov_b32_dpp v11, v9 row_shr:2 row_mask:0xf bank_mask:0xf
	s_and_b64 s[4:5], s[30:31], s[4:5]
	v_and_b32_e32 v13, 1, v13
	v_cmp_eq_u32_e64 s[30:31], 1, v15
	v_cndmask_b32_e64 v11, 0, v11, s[4:5]
	v_cndmask_b32_e64 v13, v13, 1, s[30:31]
	v_cmp_lt_u32_e64 s[30:31], 3, v7
	v_add_u32_e32 v9, v9, v11
	v_cmp_eq_u32_e64 s[4:5], 0, v5
	v_cndmask_b32_e64 v5, v5, v13, s[30:31]
	v_mov_b32_dpp v11, v9 row_shr:4 row_mask:0xf bank_mask:0xf
	s_and_b64 s[4:5], s[30:31], s[4:5]
	v_mov_b32_dpp v13, v5 row_shr:8 row_mask:0xf bank_mask:0xf
	v_and_b32_e32 v15, 1, v5
	v_cndmask_b32_e64 v11, 0, v11, s[4:5]
	v_and_b32_e32 v13, 1, v13
	v_cmp_eq_u32_e64 s[30:31], 1, v15
	v_add_u32_e32 v9, v9, v11
	v_cmp_eq_u32_e64 s[4:5], 0, v5
	v_cndmask_b32_e64 v13, v13, 1, s[30:31]
	v_cmp_lt_u32_e64 s[30:31], 7, v7
	v_mov_b32_dpp v11, v9 row_shr:8 row_mask:0xf bank_mask:0xf
	s_and_b64 s[4:5], s[30:31], s[4:5]
	v_cndmask_b32_e64 v7, 0, v11, s[4:5]
	v_cndmask_b32_e64 v5, v5, v13, s[30:31]
	v_add_u32_e32 v7, v9, v7
	v_cmp_eq_u32_e64 s[4:5], 0, v5
	v_mov_b32_dpp v11, v5 row_bcast:15 row_mask:0xf bank_mask:0xf
	v_mov_b32_dpp v9, v7 row_bcast:15 row_mask:0xf bank_mask:0xf
	v_and_b32_e32 v17, 1, v5
	v_and_b32_e32 v15, 16, v3
	v_cndmask_b32_e64 v9, 0, v9, s[4:5]
	v_and_b32_e32 v11, 1, v11
	v_cmp_eq_u32_e64 s[4:5], 1, v17
	v_bfe_i32 v13, v3, 4, 1
	v_cndmask_b32_e64 v11, v11, 1, s[4:5]
	v_cmp_eq_u32_e64 s[4:5], 0, v15
	v_and_b32_e32 v9, v13, v9
	v_cndmask_b32_e64 v5, v11, v5, s[4:5]
	v_add_u32_e32 v9, v7, v9
	v_and_b32_e32 v13, 1, v5
	v_mov_b32_dpp v7, v5 row_bcast:31 row_mask:0xf bank_mask:0xf
	v_and_b32_e32 v7, 1, v7
	v_cmp_eq_u32_e64 s[30:31], 1, v13
	v_cmp_eq_u32_e64 s[4:5], 0, v5
	v_cndmask_b32_e64 v7, v7, 1, s[30:31]
	v_cmp_lt_u32_e64 s[30:31], 31, v3
	v_mov_b32_dpp v11, v9 row_bcast:31 row_mask:0xf bank_mask:0xf
	s_and_b64 s[4:5], s[30:31], s[4:5]
	v_cndmask_b32_e64 v7, v5, v7, s[30:31]
	v_cndmask_b32_e64 v5, 0, v11, s[4:5]
	v_add_u32_e32 v5, v9, v5
	v_cmp_eq_u32_e64 s[4:5], v51, v0
	s_and_saveexec_b64 s[30:31], s[4:5]
	s_cbranch_execz .LBB230_126
; %bb.125:
	v_lshlrev_b32_e32 v9, 3, v1
	ds_write_b32 v9, v5
	ds_write_b8 v9, v7 offset:4
.LBB230_126:
	s_or_b64 exec, exec, s[30:31]
	v_cmp_gt_u32_e64 s[4:5], 4, v0
	s_waitcnt lgkmcnt(0)
	s_barrier
	s_and_saveexec_b64 s[30:31], s[4:5]
	s_cbranch_execz .LBB230_130
; %bb.127:
	v_lshlrev_b32_e32 v9, 3, v0
	ds_read_b64 v[28:29], v9
	v_and_b32_e32 v11, 3, v3
	v_cmp_ne_u32_e64 s[4:5], 0, v11
	s_waitcnt lgkmcnt(0)
	v_mov_b32_dpp v13, v28 row_shr:1 row_mask:0xf bank_mask:0xf
	v_mov_b32_dpp v17, v29 row_shr:1 row_mask:0xf bank_mask:0xf
	v_mov_b32_e32 v15, v29
	s_and_saveexec_b64 s[34:35], s[4:5]
	s_cbranch_execz .LBB230_129
; %bb.128:
	v_and_b32_e32 v15, 1, v29
	v_and_b32_e32 v17, 1, v17
	v_cmp_eq_u32_e64 s[4:5], 1, v15
	v_mov_b32_e32 v15, 0
	v_cndmask_b32_e64 v17, v17, 1, s[4:5]
	v_cmp_eq_u16_sdwa s[4:5], v29, v15 src0_sel:BYTE_0 src1_sel:DWORD
	v_cndmask_b32_e64 v13, 0, v13, s[4:5]
	v_add_u32_e32 v28, v13, v28
	v_and_b32_e32 v13, 0xffff, v17
	s_movk_i32 s4, 0xff00
	v_and_or_b32 v15, v29, s4, v13
	v_mov_b32_e32 v29, v17
.LBB230_129:
	s_or_b64 exec, exec, s[34:35]
	v_mov_b32_dpp v15, v15 row_shr:2 row_mask:0xf bank_mask:0xf
	v_and_b32_e32 v17, 1, v29
	v_and_b32_e32 v15, 1, v15
	v_cmp_eq_u32_e64 s[4:5], 1, v17
	v_mov_b32_e32 v17, 0
	v_cndmask_b32_e64 v15, v15, 1, s[4:5]
	v_cmp_eq_u16_sdwa s[34:35], v29, v17 src0_sel:BYTE_0 src1_sel:DWORD
	v_cmp_lt_u32_e64 s[4:5], 1, v11
	v_mov_b32_dpp v13, v28 row_shr:2 row_mask:0xf bank_mask:0xf
	v_cndmask_b32_e64 v11, v29, v15, s[4:5]
	s_and_b64 s[4:5], s[4:5], s[34:35]
	v_cndmask_b32_e64 v13, 0, v13, s[4:5]
	v_add_u32_e32 v13, v13, v28
	ds_write_b32 v9, v13
	ds_write_b8 v9, v11 offset:4
.LBB230_130:
	s_or_b64 exec, exec, s[30:31]
	v_cmp_lt_u32_e64 s[4:5], 63, v0
	v_mov_b32_e32 v9, 0
	s_waitcnt lgkmcnt(0)
	s_barrier
	s_and_saveexec_b64 s[30:31], s[4:5]
	s_cbranch_execz .LBB230_132
; %bb.131:
	v_lshl_add_u32 v1, v1, 3, -8
	ds_read_b32 v9, v1
	v_cmp_eq_u32_e64 s[4:5], 0, v7
	s_waitcnt lgkmcnt(0)
	v_cndmask_b32_e64 v1, 0, v9, s[4:5]
	v_add_u32_e32 v5, v1, v5
.LBB230_132:
	s_or_b64 exec, exec, s[30:31]
	v_add_u32_e32 v1, -1, v3
	v_and_b32_e32 v7, 64, v3
	v_cmp_lt_i32_e64 s[4:5], v1, v7
	v_cndmask_b32_e64 v1, v1, v3, s[4:5]
	v_lshlrev_b32_e32 v1, 2, v1
	ds_bpermute_b32 v1, v1, v5
	s_and_saveexec_b64 s[30:31], s[36:37]
	s_cbranch_execz .LBB230_134
; %bb.133:
	v_and_b32_e32 v27, 0xff, v39
	v_mov_b32_e32 v26, 0
	v_cmp_eq_u32_e64 s[4:5], 0, v3
	s_waitcnt lgkmcnt(0)
	v_cndmask_b32_e64 v1, v1, v9, s[4:5]
	v_cmp_eq_u64_e64 s[4:5], 0, v[26:27]
	v_cndmask_b32_e64 v1, 0, v1, s[4:5]
	v_add_u32_e32 v38, v1, v38
	v_cndmask_b32_e32 v1, 0, v38, vcc
	v_add_u32_e32 v27, v1, v2
	v_cndmask_b32_e64 v1, 0, v27, s[6:7]
	v_add_u32_e32 v42, v1, v4
	v_cndmask_b32_e64 v1, 0, v42, s[8:9]
	;; [unrolled: 2-line block ×12, first 2 shown]
	v_add_u32_e32 v49, v1, v40
	;;#ASMSTART
	;;#ASMEND
.LBB230_134:
	s_or_b64 exec, exec, s[30:31]
	s_and_saveexec_b64 s[4:5], s[0:1]
	s_cbranch_execz .LBB230_136
; %bb.135:
	v_mov_b32_e32 v5, 0
	ds_read_b32 v2, v5 offset:24
	ds_read_u8 v3, v5 offset:28
	s_add_u32 s0, s56, 0x400
	s_addc_u32 s1, s57, 0
	v_mov_b32_e32 v4, 2
	v_pk_mov_b32 v[6:7], s[0:1], s[0:1] op_sel:[0,1]
	s_waitcnt lgkmcnt(0)
	;;#ASMSTART
	global_store_dwordx4 v[6:7], v[2:5] off	
s_waitcnt vmcnt(0)
	;;#ASMEND
.LBB230_136:
	s_or_b64 exec, exec, s[4:5]
	v_mov_b32_e32 v26, v38
.LBB230_137:
	s_add_u32 s0, s46, s38
	s_addc_u32 s1, s47, s39
	s_add_u32 s4, s0, s40
	s_waitcnt lgkmcnt(0)
	v_mul_u32_u24_e32 v1, 14, v0
	s_addc_u32 s5, s1, s41
	s_and_b64 vcc, exec, s[2:3]
	v_lshlrev_b32_e32 v2, 2, v1
	s_cbranch_vccz .LBB230_165
; %bb.138:
	s_movk_i32 s0, 0xffcc
	v_mad_i32_i24 v3, v0, s0, v2
	s_barrier
	ds_write2_b64 v2, v[26:27], v[42:43] offset1:1
	ds_write2_b64 v2, v[30:31], v[44:45] offset0:2 offset1:3
	ds_write2_b64 v2, v[34:35], v[46:47] offset0:4 offset1:5
	ds_write_b64 v2, v[48:49] offset:48
	s_waitcnt lgkmcnt(0)
	s_barrier
	ds_read2st64_b32 v[16:17], v3 offset0:4 offset1:8
	ds_read2st64_b32 v[14:15], v3 offset0:12 offset1:16
	;; [unrolled: 1-line block ×6, first 2 shown]
	ds_read_b32 v3, v3 offset:13312
	v_mov_b32_e32 v7, s5
	v_add_co_u32_e32 v6, vcc, s4, v50
	s_add_i32 s33, s33, s58
	v_addc_co_u32_e32 v7, vcc, 0, v7, vcc
	v_mov_b32_e32 v1, 0
	v_cmp_gt_u32_e32 vcc, s33, v0
	s_and_saveexec_b64 s[0:1], vcc
	s_cbranch_execz .LBB230_140
; %bb.139:
	v_mul_i32_i24_e32 v18, 0xffffffcc, v0
	v_add_u32_e32 v18, v2, v18
	ds_read_b32 v18, v18
	s_waitcnt lgkmcnt(0)
	flat_store_dword v[6:7], v18
.LBB230_140:
	s_or_b64 exec, exec, s[0:1]
	v_or_b32_e32 v18, 0x100, v0
	v_cmp_gt_u32_e32 vcc, s33, v18
	s_and_saveexec_b64 s[0:1], vcc
	s_cbranch_execz .LBB230_142
; %bb.141:
	s_waitcnt lgkmcnt(0)
	flat_store_dword v[6:7], v16 offset:1024
.LBB230_142:
	s_or_b64 exec, exec, s[0:1]
	s_waitcnt lgkmcnt(0)
	v_or_b32_e32 v16, 0x200, v0
	v_cmp_gt_u32_e32 vcc, s33, v16
	s_and_saveexec_b64 s[0:1], vcc
	s_cbranch_execz .LBB230_144
; %bb.143:
	flat_store_dword v[6:7], v17 offset:2048
.LBB230_144:
	s_or_b64 exec, exec, s[0:1]
	v_or_b32_e32 v16, 0x300, v0
	v_cmp_gt_u32_e32 vcc, s33, v16
	s_and_saveexec_b64 s[0:1], vcc
	s_cbranch_execz .LBB230_146
; %bb.145:
	flat_store_dword v[6:7], v14 offset:3072
.LBB230_146:
	s_or_b64 exec, exec, s[0:1]
	v_or_b32_e32 v14, 0x400, v0
	v_cmp_gt_u32_e32 vcc, s33, v14
	s_and_saveexec_b64 s[0:1], vcc
	s_cbranch_execz .LBB230_148
; %bb.147:
	v_add_co_u32_e32 v16, vcc, 0x1000, v6
	v_addc_co_u32_e32 v17, vcc, 0, v7, vcc
	flat_store_dword v[16:17], v15
.LBB230_148:
	s_or_b64 exec, exec, s[0:1]
	v_or_b32_e32 v14, 0x500, v0
	v_cmp_gt_u32_e32 vcc, s33, v14
	s_and_saveexec_b64 s[0:1], vcc
	s_cbranch_execz .LBB230_150
; %bb.149:
	v_add_co_u32_e32 v14, vcc, 0x1000, v6
	v_addc_co_u32_e32 v15, vcc, 0, v7, vcc
	flat_store_dword v[14:15], v12 offset:1024
.LBB230_150:
	s_or_b64 exec, exec, s[0:1]
	v_or_b32_e32 v12, 0x600, v0
	v_cmp_gt_u32_e32 vcc, s33, v12
	s_and_saveexec_b64 s[0:1], vcc
	s_cbranch_execz .LBB230_152
; %bb.151:
	v_add_co_u32_e32 v14, vcc, 0x1000, v6
	v_addc_co_u32_e32 v15, vcc, 0, v7, vcc
	flat_store_dword v[14:15], v13 offset:2048
.LBB230_152:
	;; [unrolled: 10-line block ×3, first 2 shown]
	s_or_b64 exec, exec, s[0:1]
	v_or_b32_e32 v10, 0x800, v0
	v_cmp_gt_u32_e32 vcc, s33, v10
	s_and_saveexec_b64 s[0:1], vcc
	s_cbranch_execz .LBB230_156
; %bb.155:
	v_add_co_u32_e32 v12, vcc, 0x2000, v6
	v_addc_co_u32_e32 v13, vcc, 0, v7, vcc
	flat_store_dword v[12:13], v11
.LBB230_156:
	s_or_b64 exec, exec, s[0:1]
	v_or_b32_e32 v10, 0x900, v0
	v_cmp_gt_u32_e32 vcc, s33, v10
	s_and_saveexec_b64 s[0:1], vcc
	s_cbranch_execz .LBB230_158
; %bb.157:
	v_add_co_u32_e32 v10, vcc, 0x2000, v6
	v_addc_co_u32_e32 v11, vcc, 0, v7, vcc
	flat_store_dword v[10:11], v8 offset:1024
.LBB230_158:
	s_or_b64 exec, exec, s[0:1]
	v_or_b32_e32 v8, 0xa00, v0
	v_cmp_gt_u32_e32 vcc, s33, v8
	s_and_saveexec_b64 s[0:1], vcc
	s_cbranch_execz .LBB230_160
; %bb.159:
	v_add_co_u32_e32 v10, vcc, 0x2000, v6
	v_addc_co_u32_e32 v11, vcc, 0, v7, vcc
	flat_store_dword v[10:11], v9 offset:2048
.LBB230_160:
	;; [unrolled: 10-line block ×3, first 2 shown]
	s_or_b64 exec, exec, s[0:1]
	v_or_b32_e32 v4, 0xc00, v0
	v_cmp_gt_u32_e32 vcc, s33, v4
	s_and_saveexec_b64 s[0:1], vcc
	s_cbranch_execz .LBB230_164
; %bb.163:
	v_add_co_u32_e32 v6, vcc, 0x3000, v6
	v_addc_co_u32_e32 v7, vcc, 0, v7, vcc
	flat_store_dword v[6:7], v5
.LBB230_164:
	s_or_b64 exec, exec, s[0:1]
	v_or_b32_e32 v4, 0xd00, v0
	v_cmp_gt_u32_e64 s[0:1], s33, v4
	s_branch .LBB230_167
.LBB230_165:
	s_mov_b64 s[0:1], 0
                                        ; implicit-def: $vgpr3
	s_cbranch_execz .LBB230_167
; %bb.166:
	s_movk_i32 s2, 0xffcc
	s_waitcnt lgkmcnt(0)
	s_barrier
	ds_write2_b64 v2, v[26:27], v[42:43] offset1:1
	ds_write2_b64 v2, v[30:31], v[44:45] offset0:2 offset1:3
	ds_write2_b64 v2, v[34:35], v[46:47] offset0:4 offset1:5
	ds_write_b64 v2, v[48:49] offset:48
	v_mad_i32_i24 v2, v0, s2, v2
	v_mov_b32_e32 v17, s5
	v_add_co_u32_e32 v16, vcc, s4, v50
	s_waitcnt lgkmcnt(0)
	s_barrier
	ds_read2st64_b32 v[4:5], v2 offset1:4
	ds_read2st64_b32 v[6:7], v2 offset0:8 offset1:12
	ds_read2st64_b32 v[8:9], v2 offset0:16 offset1:20
	;; [unrolled: 1-line block ×6, first 2 shown]
	v_addc_co_u32_e32 v17, vcc, 0, v17, vcc
	s_movk_i32 s2, 0x1000
	s_waitcnt lgkmcnt(0)
	flat_store_dword v[16:17], v4
	flat_store_dword v[16:17], v5 offset:1024
	flat_store_dword v[16:17], v6 offset:2048
	;; [unrolled: 1-line block ×3, first 2 shown]
	v_add_co_u32_e32 v4, vcc, s2, v16
	v_addc_co_u32_e32 v5, vcc, 0, v17, vcc
	flat_store_dword v[4:5], v8
	flat_store_dword v[4:5], v9 offset:1024
	flat_store_dword v[4:5], v10 offset:2048
	;; [unrolled: 1-line block ×3, first 2 shown]
	v_add_co_u32_e32 v4, vcc, 0x2000, v16
	v_addc_co_u32_e32 v5, vcc, 0, v17, vcc
	flat_store_dword v[4:5], v12
	flat_store_dword v[4:5], v13 offset:1024
	flat_store_dword v[4:5], v14 offset:2048
	;; [unrolled: 1-line block ×3, first 2 shown]
	v_add_co_u32_e32 v4, vcc, 0x3000, v16
	v_mov_b32_e32 v1, 0
	v_addc_co_u32_e32 v5, vcc, 0, v17, vcc
	s_or_b64 s[0:1], s[0:1], exec
	flat_store_dword v[4:5], v2
.LBB230_167:
	s_and_saveexec_b64 s[2:3], s[0:1]
	s_cbranch_execnz .LBB230_169
; %bb.168:
	s_endpgm
.LBB230_169:
	v_lshlrev_b64 v[0:1], 2, v[0:1]
	v_mov_b32_e32 v2, s5
	v_add_co_u32_e32 v0, vcc, s4, v0
	v_addc_co_u32_e32 v1, vcc, v2, v1, vcc
	v_add_co_u32_e32 v0, vcc, 0x3000, v0
	v_addc_co_u32_e32 v1, vcc, 0, v1, vcc
	flat_store_dword v[0:1], v3 offset:1024
	s_endpgm
.LBB230_170:
	v_mov_b32_e32 v13, s63
	v_add_co_u32_e32 v14, vcc, s62, v12
	v_addc_co_u32_e32 v15, vcc, 0, v13, vcc
	flat_load_dword v13, v[14:15]
	s_or_b64 exec, exec, s[4:5]
                                        ; implicit-def: $vgpr14
	s_and_saveexec_b64 s[4:5], s[8:9]
	s_cbranch_execz .LBB230_41
.LBB230_171:
	v_mov_b32_e32 v15, s63
	v_add_co_u32_e32 v14, vcc, s62, v12
	v_addc_co_u32_e32 v15, vcc, 0, v15, vcc
	flat_load_dword v14, v[14:15] offset:1024
	s_or_b64 exec, exec, s[4:5]
                                        ; implicit-def: $vgpr15
	s_and_saveexec_b64 s[4:5], s[10:11]
	s_cbranch_execz .LBB230_42
.LBB230_172:
	v_mov_b32_e32 v15, s63
	v_add_co_u32_e32 v16, vcc, s62, v12
	v_addc_co_u32_e32 v17, vcc, 0, v15, vcc
	flat_load_dword v15, v[16:17] offset:2048
	s_or_b64 exec, exec, s[4:5]
                                        ; implicit-def: $vgpr16
	s_and_saveexec_b64 s[4:5], s[12:13]
	s_cbranch_execz .LBB230_43
.LBB230_173:
	v_mov_b32_e32 v17, s63
	v_add_co_u32_e32 v16, vcc, s62, v12
	v_addc_co_u32_e32 v17, vcc, 0, v17, vcc
	flat_load_dword v16, v[16:17] offset:3072
	s_or_b64 exec, exec, s[4:5]
                                        ; implicit-def: $vgpr17
	s_and_saveexec_b64 s[4:5], s[14:15]
	s_cbranch_execz .LBB230_44
.LBB230_174:
	v_mov_b32_e32 v17, s63
	v_add_co_u32_e32 v18, vcc, s62, v2
	v_addc_co_u32_e32 v19, vcc, 0, v17, vcc
	flat_load_dword v17, v[18:19]
	s_or_b64 exec, exec, s[4:5]
                                        ; implicit-def: $vgpr2
	s_and_saveexec_b64 s[4:5], s[16:17]
	s_cbranch_execz .LBB230_45
.LBB230_175:
	v_mov_b32_e32 v18, s63
	v_add_co_u32_e32 v2, vcc, s62, v3
	v_addc_co_u32_e32 v3, vcc, 0, v18, vcc
	flat_load_dword v2, v[2:3]
	s_or_b64 exec, exec, s[4:5]
                                        ; implicit-def: $vgpr3
	s_and_saveexec_b64 s[4:5], s[18:19]
	s_cbranch_execz .LBB230_46
.LBB230_176:
	v_mov_b32_e32 v3, s63
	v_add_co_u32_e32 v18, vcc, s62, v4
	v_addc_co_u32_e32 v19, vcc, 0, v3, vcc
	flat_load_dword v3, v[18:19]
	s_or_b64 exec, exec, s[4:5]
                                        ; implicit-def: $vgpr4
	s_and_saveexec_b64 s[4:5], s[20:21]
	s_cbranch_execz .LBB230_47
.LBB230_177:
	v_mov_b32_e32 v18, s63
	v_add_co_u32_e32 v4, vcc, s62, v5
	v_addc_co_u32_e32 v5, vcc, 0, v18, vcc
	flat_load_dword v4, v[4:5]
	s_or_b64 exec, exec, s[4:5]
                                        ; implicit-def: $vgpr5
	s_and_saveexec_b64 s[4:5], s[22:23]
	s_cbranch_execz .LBB230_48
.LBB230_178:
	v_mov_b32_e32 v5, s63
	v_add_co_u32_e32 v18, vcc, s62, v6
	v_addc_co_u32_e32 v19, vcc, 0, v5, vcc
	flat_load_dword v5, v[18:19]
	s_or_b64 exec, exec, s[4:5]
                                        ; implicit-def: $vgpr6
	s_and_saveexec_b64 s[4:5], s[24:25]
	s_cbranch_execz .LBB230_49
.LBB230_179:
	v_mov_b32_e32 v18, s63
	v_add_co_u32_e32 v6, vcc, s62, v7
	v_addc_co_u32_e32 v7, vcc, 0, v18, vcc
	flat_load_dword v6, v[6:7]
	s_or_b64 exec, exec, s[4:5]
                                        ; implicit-def: $vgpr7
	s_and_saveexec_b64 s[4:5], s[26:27]
	s_cbranch_execz .LBB230_50
.LBB230_180:
	v_mov_b32_e32 v7, s63
	v_add_co_u32_e32 v18, vcc, s62, v8
	v_addc_co_u32_e32 v19, vcc, 0, v7, vcc
	flat_load_dword v7, v[18:19]
	s_or_b64 exec, exec, s[4:5]
                                        ; implicit-def: $vgpr8
	s_and_saveexec_b64 s[4:5], s[28:29]
	s_cbranch_execz .LBB230_51
.LBB230_181:
	v_mov_b32_e32 v18, s63
	v_add_co_u32_e32 v8, vcc, s62, v9
	v_addc_co_u32_e32 v9, vcc, 0, v18, vcc
	flat_load_dword v8, v[8:9]
	s_or_b64 exec, exec, s[4:5]
                                        ; implicit-def: $vgpr9
	s_and_saveexec_b64 s[4:5], s[30:31]
	s_cbranch_execz .LBB230_52
.LBB230_182:
	v_mov_b32_e32 v9, s63
	v_add_co_u32_e32 v18, vcc, s62, v10
	v_addc_co_u32_e32 v19, vcc, 0, v9, vcc
	flat_load_dword v9, v[18:19]
	s_or_b64 exec, exec, s[4:5]
                                        ; implicit-def: $vgpr10
	s_and_saveexec_b64 s[4:5], s[34:35]
	s_cbranch_execnz .LBB230_53
	s_branch .LBB230_54
.LBB230_183:
                                        ; implicit-def: $sgpr4_sgpr5
	s_branch .LBB230_36
.LBB230_184:
                                        ; implicit-def: $sgpr4_sgpr5
	s_branch .LBB230_85
	.section	.rodata,"a",@progbits
	.p2align	6, 0x0
	.amdhsa_kernel _ZN7rocprim17ROCPRIM_400000_NS6detail17trampoline_kernelINS0_14default_configENS1_27scan_by_key_config_selectorIiiEEZZNS1_16scan_by_key_implILNS1_25lookback_scan_determinismE0ELb0ES3_N6thrust23THRUST_200600_302600_NS6detail15normal_iteratorINS9_10device_ptrIiEEEESE_SE_iNS9_4plusIvEENS9_8equal_toIiEEiEE10hipError_tPvRmT2_T3_T4_T5_mT6_T7_P12ihipStream_tbENKUlT_T0_E_clISt17integral_constantIbLb0EESY_IbLb1EEEEDaSU_SV_EUlSU_E_NS1_11comp_targetILNS1_3genE4ELNS1_11target_archE910ELNS1_3gpuE8ELNS1_3repE0EEENS1_30default_config_static_selectorELNS0_4arch9wavefront6targetE1EEEvT1_
		.amdhsa_group_segment_fixed_size 16384
		.amdhsa_private_segment_fixed_size 0
		.amdhsa_kernarg_size 112
		.amdhsa_user_sgpr_count 6
		.amdhsa_user_sgpr_private_segment_buffer 1
		.amdhsa_user_sgpr_dispatch_ptr 0
		.amdhsa_user_sgpr_queue_ptr 0
		.amdhsa_user_sgpr_kernarg_segment_ptr 1
		.amdhsa_user_sgpr_dispatch_id 0
		.amdhsa_user_sgpr_flat_scratch_init 0
		.amdhsa_user_sgpr_kernarg_preload_length 0
		.amdhsa_user_sgpr_kernarg_preload_offset 0
		.amdhsa_user_sgpr_private_segment_size 0
		.amdhsa_uses_dynamic_stack 0
		.amdhsa_system_sgpr_private_segment_wavefront_offset 0
		.amdhsa_system_sgpr_workgroup_id_x 1
		.amdhsa_system_sgpr_workgroup_id_y 0
		.amdhsa_system_sgpr_workgroup_id_z 0
		.amdhsa_system_sgpr_workgroup_info 0
		.amdhsa_system_vgpr_workitem_id 0
		.amdhsa_next_free_vgpr 65
		.amdhsa_next_free_sgpr 65
		.amdhsa_accum_offset 68
		.amdhsa_reserve_vcc 1
		.amdhsa_reserve_flat_scratch 0
		.amdhsa_float_round_mode_32 0
		.amdhsa_float_round_mode_16_64 0
		.amdhsa_float_denorm_mode_32 3
		.amdhsa_float_denorm_mode_16_64 3
		.amdhsa_dx10_clamp 1
		.amdhsa_ieee_mode 1
		.amdhsa_fp16_overflow 0
		.amdhsa_tg_split 0
		.amdhsa_exception_fp_ieee_invalid_op 0
		.amdhsa_exception_fp_denorm_src 0
		.amdhsa_exception_fp_ieee_div_zero 0
		.amdhsa_exception_fp_ieee_overflow 0
		.amdhsa_exception_fp_ieee_underflow 0
		.amdhsa_exception_fp_ieee_inexact 0
		.amdhsa_exception_int_div_zero 0
	.end_amdhsa_kernel
	.section	.text._ZN7rocprim17ROCPRIM_400000_NS6detail17trampoline_kernelINS0_14default_configENS1_27scan_by_key_config_selectorIiiEEZZNS1_16scan_by_key_implILNS1_25lookback_scan_determinismE0ELb0ES3_N6thrust23THRUST_200600_302600_NS6detail15normal_iteratorINS9_10device_ptrIiEEEESE_SE_iNS9_4plusIvEENS9_8equal_toIiEEiEE10hipError_tPvRmT2_T3_T4_T5_mT6_T7_P12ihipStream_tbENKUlT_T0_E_clISt17integral_constantIbLb0EESY_IbLb1EEEEDaSU_SV_EUlSU_E_NS1_11comp_targetILNS1_3genE4ELNS1_11target_archE910ELNS1_3gpuE8ELNS1_3repE0EEENS1_30default_config_static_selectorELNS0_4arch9wavefront6targetE1EEEvT1_,"axG",@progbits,_ZN7rocprim17ROCPRIM_400000_NS6detail17trampoline_kernelINS0_14default_configENS1_27scan_by_key_config_selectorIiiEEZZNS1_16scan_by_key_implILNS1_25lookback_scan_determinismE0ELb0ES3_N6thrust23THRUST_200600_302600_NS6detail15normal_iteratorINS9_10device_ptrIiEEEESE_SE_iNS9_4plusIvEENS9_8equal_toIiEEiEE10hipError_tPvRmT2_T3_T4_T5_mT6_T7_P12ihipStream_tbENKUlT_T0_E_clISt17integral_constantIbLb0EESY_IbLb1EEEEDaSU_SV_EUlSU_E_NS1_11comp_targetILNS1_3genE4ELNS1_11target_archE910ELNS1_3gpuE8ELNS1_3repE0EEENS1_30default_config_static_selectorELNS0_4arch9wavefront6targetE1EEEvT1_,comdat
.Lfunc_end230:
	.size	_ZN7rocprim17ROCPRIM_400000_NS6detail17trampoline_kernelINS0_14default_configENS1_27scan_by_key_config_selectorIiiEEZZNS1_16scan_by_key_implILNS1_25lookback_scan_determinismE0ELb0ES3_N6thrust23THRUST_200600_302600_NS6detail15normal_iteratorINS9_10device_ptrIiEEEESE_SE_iNS9_4plusIvEENS9_8equal_toIiEEiEE10hipError_tPvRmT2_T3_T4_T5_mT6_T7_P12ihipStream_tbENKUlT_T0_E_clISt17integral_constantIbLb0EESY_IbLb1EEEEDaSU_SV_EUlSU_E_NS1_11comp_targetILNS1_3genE4ELNS1_11target_archE910ELNS1_3gpuE8ELNS1_3repE0EEENS1_30default_config_static_selectorELNS0_4arch9wavefront6targetE1EEEvT1_, .Lfunc_end230-_ZN7rocprim17ROCPRIM_400000_NS6detail17trampoline_kernelINS0_14default_configENS1_27scan_by_key_config_selectorIiiEEZZNS1_16scan_by_key_implILNS1_25lookback_scan_determinismE0ELb0ES3_N6thrust23THRUST_200600_302600_NS6detail15normal_iteratorINS9_10device_ptrIiEEEESE_SE_iNS9_4plusIvEENS9_8equal_toIiEEiEE10hipError_tPvRmT2_T3_T4_T5_mT6_T7_P12ihipStream_tbENKUlT_T0_E_clISt17integral_constantIbLb0EESY_IbLb1EEEEDaSU_SV_EUlSU_E_NS1_11comp_targetILNS1_3genE4ELNS1_11target_archE910ELNS1_3gpuE8ELNS1_3repE0EEENS1_30default_config_static_selectorELNS0_4arch9wavefront6targetE1EEEvT1_
                                        ; -- End function
	.section	.AMDGPU.csdata,"",@progbits
; Kernel info:
; codeLenInByte = 11024
; NumSgprs: 69
; NumVgprs: 65
; NumAgprs: 0
; TotalNumVgprs: 65
; ScratchSize: 0
; MemoryBound: 0
; FloatMode: 240
; IeeeMode: 1
; LDSByteSize: 16384 bytes/workgroup (compile time only)
; SGPRBlocks: 8
; VGPRBlocks: 8
; NumSGPRsForWavesPerEU: 69
; NumVGPRsForWavesPerEU: 65
; AccumOffset: 68
; Occupancy: 4
; WaveLimiterHint : 1
; COMPUTE_PGM_RSRC2:SCRATCH_EN: 0
; COMPUTE_PGM_RSRC2:USER_SGPR: 6
; COMPUTE_PGM_RSRC2:TRAP_HANDLER: 0
; COMPUTE_PGM_RSRC2:TGID_X_EN: 1
; COMPUTE_PGM_RSRC2:TGID_Y_EN: 0
; COMPUTE_PGM_RSRC2:TGID_Z_EN: 0
; COMPUTE_PGM_RSRC2:TIDIG_COMP_CNT: 0
; COMPUTE_PGM_RSRC3_GFX90A:ACCUM_OFFSET: 16
; COMPUTE_PGM_RSRC3_GFX90A:TG_SPLIT: 0
	.section	.text._ZN7rocprim17ROCPRIM_400000_NS6detail17trampoline_kernelINS0_14default_configENS1_27scan_by_key_config_selectorIiiEEZZNS1_16scan_by_key_implILNS1_25lookback_scan_determinismE0ELb0ES3_N6thrust23THRUST_200600_302600_NS6detail15normal_iteratorINS9_10device_ptrIiEEEESE_SE_iNS9_4plusIvEENS9_8equal_toIiEEiEE10hipError_tPvRmT2_T3_T4_T5_mT6_T7_P12ihipStream_tbENKUlT_T0_E_clISt17integral_constantIbLb0EESY_IbLb1EEEEDaSU_SV_EUlSU_E_NS1_11comp_targetILNS1_3genE3ELNS1_11target_archE908ELNS1_3gpuE7ELNS1_3repE0EEENS1_30default_config_static_selectorELNS0_4arch9wavefront6targetE1EEEvT1_,"axG",@progbits,_ZN7rocprim17ROCPRIM_400000_NS6detail17trampoline_kernelINS0_14default_configENS1_27scan_by_key_config_selectorIiiEEZZNS1_16scan_by_key_implILNS1_25lookback_scan_determinismE0ELb0ES3_N6thrust23THRUST_200600_302600_NS6detail15normal_iteratorINS9_10device_ptrIiEEEESE_SE_iNS9_4plusIvEENS9_8equal_toIiEEiEE10hipError_tPvRmT2_T3_T4_T5_mT6_T7_P12ihipStream_tbENKUlT_T0_E_clISt17integral_constantIbLb0EESY_IbLb1EEEEDaSU_SV_EUlSU_E_NS1_11comp_targetILNS1_3genE3ELNS1_11target_archE908ELNS1_3gpuE7ELNS1_3repE0EEENS1_30default_config_static_selectorELNS0_4arch9wavefront6targetE1EEEvT1_,comdat
	.protected	_ZN7rocprim17ROCPRIM_400000_NS6detail17trampoline_kernelINS0_14default_configENS1_27scan_by_key_config_selectorIiiEEZZNS1_16scan_by_key_implILNS1_25lookback_scan_determinismE0ELb0ES3_N6thrust23THRUST_200600_302600_NS6detail15normal_iteratorINS9_10device_ptrIiEEEESE_SE_iNS9_4plusIvEENS9_8equal_toIiEEiEE10hipError_tPvRmT2_T3_T4_T5_mT6_T7_P12ihipStream_tbENKUlT_T0_E_clISt17integral_constantIbLb0EESY_IbLb1EEEEDaSU_SV_EUlSU_E_NS1_11comp_targetILNS1_3genE3ELNS1_11target_archE908ELNS1_3gpuE7ELNS1_3repE0EEENS1_30default_config_static_selectorELNS0_4arch9wavefront6targetE1EEEvT1_ ; -- Begin function _ZN7rocprim17ROCPRIM_400000_NS6detail17trampoline_kernelINS0_14default_configENS1_27scan_by_key_config_selectorIiiEEZZNS1_16scan_by_key_implILNS1_25lookback_scan_determinismE0ELb0ES3_N6thrust23THRUST_200600_302600_NS6detail15normal_iteratorINS9_10device_ptrIiEEEESE_SE_iNS9_4plusIvEENS9_8equal_toIiEEiEE10hipError_tPvRmT2_T3_T4_T5_mT6_T7_P12ihipStream_tbENKUlT_T0_E_clISt17integral_constantIbLb0EESY_IbLb1EEEEDaSU_SV_EUlSU_E_NS1_11comp_targetILNS1_3genE3ELNS1_11target_archE908ELNS1_3gpuE7ELNS1_3repE0EEENS1_30default_config_static_selectorELNS0_4arch9wavefront6targetE1EEEvT1_
	.globl	_ZN7rocprim17ROCPRIM_400000_NS6detail17trampoline_kernelINS0_14default_configENS1_27scan_by_key_config_selectorIiiEEZZNS1_16scan_by_key_implILNS1_25lookback_scan_determinismE0ELb0ES3_N6thrust23THRUST_200600_302600_NS6detail15normal_iteratorINS9_10device_ptrIiEEEESE_SE_iNS9_4plusIvEENS9_8equal_toIiEEiEE10hipError_tPvRmT2_T3_T4_T5_mT6_T7_P12ihipStream_tbENKUlT_T0_E_clISt17integral_constantIbLb0EESY_IbLb1EEEEDaSU_SV_EUlSU_E_NS1_11comp_targetILNS1_3genE3ELNS1_11target_archE908ELNS1_3gpuE7ELNS1_3repE0EEENS1_30default_config_static_selectorELNS0_4arch9wavefront6targetE1EEEvT1_
	.p2align	8
	.type	_ZN7rocprim17ROCPRIM_400000_NS6detail17trampoline_kernelINS0_14default_configENS1_27scan_by_key_config_selectorIiiEEZZNS1_16scan_by_key_implILNS1_25lookback_scan_determinismE0ELb0ES3_N6thrust23THRUST_200600_302600_NS6detail15normal_iteratorINS9_10device_ptrIiEEEESE_SE_iNS9_4plusIvEENS9_8equal_toIiEEiEE10hipError_tPvRmT2_T3_T4_T5_mT6_T7_P12ihipStream_tbENKUlT_T0_E_clISt17integral_constantIbLb0EESY_IbLb1EEEEDaSU_SV_EUlSU_E_NS1_11comp_targetILNS1_3genE3ELNS1_11target_archE908ELNS1_3gpuE7ELNS1_3repE0EEENS1_30default_config_static_selectorELNS0_4arch9wavefront6targetE1EEEvT1_,@function
_ZN7rocprim17ROCPRIM_400000_NS6detail17trampoline_kernelINS0_14default_configENS1_27scan_by_key_config_selectorIiiEEZZNS1_16scan_by_key_implILNS1_25lookback_scan_determinismE0ELb0ES3_N6thrust23THRUST_200600_302600_NS6detail15normal_iteratorINS9_10device_ptrIiEEEESE_SE_iNS9_4plusIvEENS9_8equal_toIiEEiEE10hipError_tPvRmT2_T3_T4_T5_mT6_T7_P12ihipStream_tbENKUlT_T0_E_clISt17integral_constantIbLb0EESY_IbLb1EEEEDaSU_SV_EUlSU_E_NS1_11comp_targetILNS1_3genE3ELNS1_11target_archE908ELNS1_3gpuE7ELNS1_3repE0EEENS1_30default_config_static_selectorELNS0_4arch9wavefront6targetE1EEEvT1_: ; @_ZN7rocprim17ROCPRIM_400000_NS6detail17trampoline_kernelINS0_14default_configENS1_27scan_by_key_config_selectorIiiEEZZNS1_16scan_by_key_implILNS1_25lookback_scan_determinismE0ELb0ES3_N6thrust23THRUST_200600_302600_NS6detail15normal_iteratorINS9_10device_ptrIiEEEESE_SE_iNS9_4plusIvEENS9_8equal_toIiEEiEE10hipError_tPvRmT2_T3_T4_T5_mT6_T7_P12ihipStream_tbENKUlT_T0_E_clISt17integral_constantIbLb0EESY_IbLb1EEEEDaSU_SV_EUlSU_E_NS1_11comp_targetILNS1_3genE3ELNS1_11target_archE908ELNS1_3gpuE7ELNS1_3repE0EEENS1_30default_config_static_selectorELNS0_4arch9wavefront6targetE1EEEvT1_
; %bb.0:
	.section	.rodata,"a",@progbits
	.p2align	6, 0x0
	.amdhsa_kernel _ZN7rocprim17ROCPRIM_400000_NS6detail17trampoline_kernelINS0_14default_configENS1_27scan_by_key_config_selectorIiiEEZZNS1_16scan_by_key_implILNS1_25lookback_scan_determinismE0ELb0ES3_N6thrust23THRUST_200600_302600_NS6detail15normal_iteratorINS9_10device_ptrIiEEEESE_SE_iNS9_4plusIvEENS9_8equal_toIiEEiEE10hipError_tPvRmT2_T3_T4_T5_mT6_T7_P12ihipStream_tbENKUlT_T0_E_clISt17integral_constantIbLb0EESY_IbLb1EEEEDaSU_SV_EUlSU_E_NS1_11comp_targetILNS1_3genE3ELNS1_11target_archE908ELNS1_3gpuE7ELNS1_3repE0EEENS1_30default_config_static_selectorELNS0_4arch9wavefront6targetE1EEEvT1_
		.amdhsa_group_segment_fixed_size 0
		.amdhsa_private_segment_fixed_size 0
		.amdhsa_kernarg_size 112
		.amdhsa_user_sgpr_count 6
		.amdhsa_user_sgpr_private_segment_buffer 1
		.amdhsa_user_sgpr_dispatch_ptr 0
		.amdhsa_user_sgpr_queue_ptr 0
		.amdhsa_user_sgpr_kernarg_segment_ptr 1
		.amdhsa_user_sgpr_dispatch_id 0
		.amdhsa_user_sgpr_flat_scratch_init 0
		.amdhsa_user_sgpr_kernarg_preload_length 0
		.amdhsa_user_sgpr_kernarg_preload_offset 0
		.amdhsa_user_sgpr_private_segment_size 0
		.amdhsa_uses_dynamic_stack 0
		.amdhsa_system_sgpr_private_segment_wavefront_offset 0
		.amdhsa_system_sgpr_workgroup_id_x 1
		.amdhsa_system_sgpr_workgroup_id_y 0
		.amdhsa_system_sgpr_workgroup_id_z 0
		.amdhsa_system_sgpr_workgroup_info 0
		.amdhsa_system_vgpr_workitem_id 0
		.amdhsa_next_free_vgpr 1
		.amdhsa_next_free_sgpr 0
		.amdhsa_accum_offset 4
		.amdhsa_reserve_vcc 0
		.amdhsa_reserve_flat_scratch 0
		.amdhsa_float_round_mode_32 0
		.amdhsa_float_round_mode_16_64 0
		.amdhsa_float_denorm_mode_32 3
		.amdhsa_float_denorm_mode_16_64 3
		.amdhsa_dx10_clamp 1
		.amdhsa_ieee_mode 1
		.amdhsa_fp16_overflow 0
		.amdhsa_tg_split 0
		.amdhsa_exception_fp_ieee_invalid_op 0
		.amdhsa_exception_fp_denorm_src 0
		.amdhsa_exception_fp_ieee_div_zero 0
		.amdhsa_exception_fp_ieee_overflow 0
		.amdhsa_exception_fp_ieee_underflow 0
		.amdhsa_exception_fp_ieee_inexact 0
		.amdhsa_exception_int_div_zero 0
	.end_amdhsa_kernel
	.section	.text._ZN7rocprim17ROCPRIM_400000_NS6detail17trampoline_kernelINS0_14default_configENS1_27scan_by_key_config_selectorIiiEEZZNS1_16scan_by_key_implILNS1_25lookback_scan_determinismE0ELb0ES3_N6thrust23THRUST_200600_302600_NS6detail15normal_iteratorINS9_10device_ptrIiEEEESE_SE_iNS9_4plusIvEENS9_8equal_toIiEEiEE10hipError_tPvRmT2_T3_T4_T5_mT6_T7_P12ihipStream_tbENKUlT_T0_E_clISt17integral_constantIbLb0EESY_IbLb1EEEEDaSU_SV_EUlSU_E_NS1_11comp_targetILNS1_3genE3ELNS1_11target_archE908ELNS1_3gpuE7ELNS1_3repE0EEENS1_30default_config_static_selectorELNS0_4arch9wavefront6targetE1EEEvT1_,"axG",@progbits,_ZN7rocprim17ROCPRIM_400000_NS6detail17trampoline_kernelINS0_14default_configENS1_27scan_by_key_config_selectorIiiEEZZNS1_16scan_by_key_implILNS1_25lookback_scan_determinismE0ELb0ES3_N6thrust23THRUST_200600_302600_NS6detail15normal_iteratorINS9_10device_ptrIiEEEESE_SE_iNS9_4plusIvEENS9_8equal_toIiEEiEE10hipError_tPvRmT2_T3_T4_T5_mT6_T7_P12ihipStream_tbENKUlT_T0_E_clISt17integral_constantIbLb0EESY_IbLb1EEEEDaSU_SV_EUlSU_E_NS1_11comp_targetILNS1_3genE3ELNS1_11target_archE908ELNS1_3gpuE7ELNS1_3repE0EEENS1_30default_config_static_selectorELNS0_4arch9wavefront6targetE1EEEvT1_,comdat
.Lfunc_end231:
	.size	_ZN7rocprim17ROCPRIM_400000_NS6detail17trampoline_kernelINS0_14default_configENS1_27scan_by_key_config_selectorIiiEEZZNS1_16scan_by_key_implILNS1_25lookback_scan_determinismE0ELb0ES3_N6thrust23THRUST_200600_302600_NS6detail15normal_iteratorINS9_10device_ptrIiEEEESE_SE_iNS9_4plusIvEENS9_8equal_toIiEEiEE10hipError_tPvRmT2_T3_T4_T5_mT6_T7_P12ihipStream_tbENKUlT_T0_E_clISt17integral_constantIbLb0EESY_IbLb1EEEEDaSU_SV_EUlSU_E_NS1_11comp_targetILNS1_3genE3ELNS1_11target_archE908ELNS1_3gpuE7ELNS1_3repE0EEENS1_30default_config_static_selectorELNS0_4arch9wavefront6targetE1EEEvT1_, .Lfunc_end231-_ZN7rocprim17ROCPRIM_400000_NS6detail17trampoline_kernelINS0_14default_configENS1_27scan_by_key_config_selectorIiiEEZZNS1_16scan_by_key_implILNS1_25lookback_scan_determinismE0ELb0ES3_N6thrust23THRUST_200600_302600_NS6detail15normal_iteratorINS9_10device_ptrIiEEEESE_SE_iNS9_4plusIvEENS9_8equal_toIiEEiEE10hipError_tPvRmT2_T3_T4_T5_mT6_T7_P12ihipStream_tbENKUlT_T0_E_clISt17integral_constantIbLb0EESY_IbLb1EEEEDaSU_SV_EUlSU_E_NS1_11comp_targetILNS1_3genE3ELNS1_11target_archE908ELNS1_3gpuE7ELNS1_3repE0EEENS1_30default_config_static_selectorELNS0_4arch9wavefront6targetE1EEEvT1_
                                        ; -- End function
	.section	.AMDGPU.csdata,"",@progbits
; Kernel info:
; codeLenInByte = 0
; NumSgprs: 4
; NumVgprs: 0
; NumAgprs: 0
; TotalNumVgprs: 0
; ScratchSize: 0
; MemoryBound: 0
; FloatMode: 240
; IeeeMode: 1
; LDSByteSize: 0 bytes/workgroup (compile time only)
; SGPRBlocks: 0
; VGPRBlocks: 0
; NumSGPRsForWavesPerEU: 4
; NumVGPRsForWavesPerEU: 1
; AccumOffset: 4
; Occupancy: 8
; WaveLimiterHint : 0
; COMPUTE_PGM_RSRC2:SCRATCH_EN: 0
; COMPUTE_PGM_RSRC2:USER_SGPR: 6
; COMPUTE_PGM_RSRC2:TRAP_HANDLER: 0
; COMPUTE_PGM_RSRC2:TGID_X_EN: 1
; COMPUTE_PGM_RSRC2:TGID_Y_EN: 0
; COMPUTE_PGM_RSRC2:TGID_Z_EN: 0
; COMPUTE_PGM_RSRC2:TIDIG_COMP_CNT: 0
; COMPUTE_PGM_RSRC3_GFX90A:ACCUM_OFFSET: 0
; COMPUTE_PGM_RSRC3_GFX90A:TG_SPLIT: 0
	.section	.text._ZN7rocprim17ROCPRIM_400000_NS6detail17trampoline_kernelINS0_14default_configENS1_27scan_by_key_config_selectorIiiEEZZNS1_16scan_by_key_implILNS1_25lookback_scan_determinismE0ELb0ES3_N6thrust23THRUST_200600_302600_NS6detail15normal_iteratorINS9_10device_ptrIiEEEESE_SE_iNS9_4plusIvEENS9_8equal_toIiEEiEE10hipError_tPvRmT2_T3_T4_T5_mT6_T7_P12ihipStream_tbENKUlT_T0_E_clISt17integral_constantIbLb0EESY_IbLb1EEEEDaSU_SV_EUlSU_E_NS1_11comp_targetILNS1_3genE2ELNS1_11target_archE906ELNS1_3gpuE6ELNS1_3repE0EEENS1_30default_config_static_selectorELNS0_4arch9wavefront6targetE1EEEvT1_,"axG",@progbits,_ZN7rocprim17ROCPRIM_400000_NS6detail17trampoline_kernelINS0_14default_configENS1_27scan_by_key_config_selectorIiiEEZZNS1_16scan_by_key_implILNS1_25lookback_scan_determinismE0ELb0ES3_N6thrust23THRUST_200600_302600_NS6detail15normal_iteratorINS9_10device_ptrIiEEEESE_SE_iNS9_4plusIvEENS9_8equal_toIiEEiEE10hipError_tPvRmT2_T3_T4_T5_mT6_T7_P12ihipStream_tbENKUlT_T0_E_clISt17integral_constantIbLb0EESY_IbLb1EEEEDaSU_SV_EUlSU_E_NS1_11comp_targetILNS1_3genE2ELNS1_11target_archE906ELNS1_3gpuE6ELNS1_3repE0EEENS1_30default_config_static_selectorELNS0_4arch9wavefront6targetE1EEEvT1_,comdat
	.protected	_ZN7rocprim17ROCPRIM_400000_NS6detail17trampoline_kernelINS0_14default_configENS1_27scan_by_key_config_selectorIiiEEZZNS1_16scan_by_key_implILNS1_25lookback_scan_determinismE0ELb0ES3_N6thrust23THRUST_200600_302600_NS6detail15normal_iteratorINS9_10device_ptrIiEEEESE_SE_iNS9_4plusIvEENS9_8equal_toIiEEiEE10hipError_tPvRmT2_T3_T4_T5_mT6_T7_P12ihipStream_tbENKUlT_T0_E_clISt17integral_constantIbLb0EESY_IbLb1EEEEDaSU_SV_EUlSU_E_NS1_11comp_targetILNS1_3genE2ELNS1_11target_archE906ELNS1_3gpuE6ELNS1_3repE0EEENS1_30default_config_static_selectorELNS0_4arch9wavefront6targetE1EEEvT1_ ; -- Begin function _ZN7rocprim17ROCPRIM_400000_NS6detail17trampoline_kernelINS0_14default_configENS1_27scan_by_key_config_selectorIiiEEZZNS1_16scan_by_key_implILNS1_25lookback_scan_determinismE0ELb0ES3_N6thrust23THRUST_200600_302600_NS6detail15normal_iteratorINS9_10device_ptrIiEEEESE_SE_iNS9_4plusIvEENS9_8equal_toIiEEiEE10hipError_tPvRmT2_T3_T4_T5_mT6_T7_P12ihipStream_tbENKUlT_T0_E_clISt17integral_constantIbLb0EESY_IbLb1EEEEDaSU_SV_EUlSU_E_NS1_11comp_targetILNS1_3genE2ELNS1_11target_archE906ELNS1_3gpuE6ELNS1_3repE0EEENS1_30default_config_static_selectorELNS0_4arch9wavefront6targetE1EEEvT1_
	.globl	_ZN7rocprim17ROCPRIM_400000_NS6detail17trampoline_kernelINS0_14default_configENS1_27scan_by_key_config_selectorIiiEEZZNS1_16scan_by_key_implILNS1_25lookback_scan_determinismE0ELb0ES3_N6thrust23THRUST_200600_302600_NS6detail15normal_iteratorINS9_10device_ptrIiEEEESE_SE_iNS9_4plusIvEENS9_8equal_toIiEEiEE10hipError_tPvRmT2_T3_T4_T5_mT6_T7_P12ihipStream_tbENKUlT_T0_E_clISt17integral_constantIbLb0EESY_IbLb1EEEEDaSU_SV_EUlSU_E_NS1_11comp_targetILNS1_3genE2ELNS1_11target_archE906ELNS1_3gpuE6ELNS1_3repE0EEENS1_30default_config_static_selectorELNS0_4arch9wavefront6targetE1EEEvT1_
	.p2align	8
	.type	_ZN7rocprim17ROCPRIM_400000_NS6detail17trampoline_kernelINS0_14default_configENS1_27scan_by_key_config_selectorIiiEEZZNS1_16scan_by_key_implILNS1_25lookback_scan_determinismE0ELb0ES3_N6thrust23THRUST_200600_302600_NS6detail15normal_iteratorINS9_10device_ptrIiEEEESE_SE_iNS9_4plusIvEENS9_8equal_toIiEEiEE10hipError_tPvRmT2_T3_T4_T5_mT6_T7_P12ihipStream_tbENKUlT_T0_E_clISt17integral_constantIbLb0EESY_IbLb1EEEEDaSU_SV_EUlSU_E_NS1_11comp_targetILNS1_3genE2ELNS1_11target_archE906ELNS1_3gpuE6ELNS1_3repE0EEENS1_30default_config_static_selectorELNS0_4arch9wavefront6targetE1EEEvT1_,@function
_ZN7rocprim17ROCPRIM_400000_NS6detail17trampoline_kernelINS0_14default_configENS1_27scan_by_key_config_selectorIiiEEZZNS1_16scan_by_key_implILNS1_25lookback_scan_determinismE0ELb0ES3_N6thrust23THRUST_200600_302600_NS6detail15normal_iteratorINS9_10device_ptrIiEEEESE_SE_iNS9_4plusIvEENS9_8equal_toIiEEiEE10hipError_tPvRmT2_T3_T4_T5_mT6_T7_P12ihipStream_tbENKUlT_T0_E_clISt17integral_constantIbLb0EESY_IbLb1EEEEDaSU_SV_EUlSU_E_NS1_11comp_targetILNS1_3genE2ELNS1_11target_archE906ELNS1_3gpuE6ELNS1_3repE0EEENS1_30default_config_static_selectorELNS0_4arch9wavefront6targetE1EEEvT1_: ; @_ZN7rocprim17ROCPRIM_400000_NS6detail17trampoline_kernelINS0_14default_configENS1_27scan_by_key_config_selectorIiiEEZZNS1_16scan_by_key_implILNS1_25lookback_scan_determinismE0ELb0ES3_N6thrust23THRUST_200600_302600_NS6detail15normal_iteratorINS9_10device_ptrIiEEEESE_SE_iNS9_4plusIvEENS9_8equal_toIiEEiEE10hipError_tPvRmT2_T3_T4_T5_mT6_T7_P12ihipStream_tbENKUlT_T0_E_clISt17integral_constantIbLb0EESY_IbLb1EEEEDaSU_SV_EUlSU_E_NS1_11comp_targetILNS1_3genE2ELNS1_11target_archE906ELNS1_3gpuE6ELNS1_3repE0EEENS1_30default_config_static_selectorELNS0_4arch9wavefront6targetE1EEEvT1_
; %bb.0:
	.section	.rodata,"a",@progbits
	.p2align	6, 0x0
	.amdhsa_kernel _ZN7rocprim17ROCPRIM_400000_NS6detail17trampoline_kernelINS0_14default_configENS1_27scan_by_key_config_selectorIiiEEZZNS1_16scan_by_key_implILNS1_25lookback_scan_determinismE0ELb0ES3_N6thrust23THRUST_200600_302600_NS6detail15normal_iteratorINS9_10device_ptrIiEEEESE_SE_iNS9_4plusIvEENS9_8equal_toIiEEiEE10hipError_tPvRmT2_T3_T4_T5_mT6_T7_P12ihipStream_tbENKUlT_T0_E_clISt17integral_constantIbLb0EESY_IbLb1EEEEDaSU_SV_EUlSU_E_NS1_11comp_targetILNS1_3genE2ELNS1_11target_archE906ELNS1_3gpuE6ELNS1_3repE0EEENS1_30default_config_static_selectorELNS0_4arch9wavefront6targetE1EEEvT1_
		.amdhsa_group_segment_fixed_size 0
		.amdhsa_private_segment_fixed_size 0
		.amdhsa_kernarg_size 112
		.amdhsa_user_sgpr_count 6
		.amdhsa_user_sgpr_private_segment_buffer 1
		.amdhsa_user_sgpr_dispatch_ptr 0
		.amdhsa_user_sgpr_queue_ptr 0
		.amdhsa_user_sgpr_kernarg_segment_ptr 1
		.amdhsa_user_sgpr_dispatch_id 0
		.amdhsa_user_sgpr_flat_scratch_init 0
		.amdhsa_user_sgpr_kernarg_preload_length 0
		.amdhsa_user_sgpr_kernarg_preload_offset 0
		.amdhsa_user_sgpr_private_segment_size 0
		.amdhsa_uses_dynamic_stack 0
		.amdhsa_system_sgpr_private_segment_wavefront_offset 0
		.amdhsa_system_sgpr_workgroup_id_x 1
		.amdhsa_system_sgpr_workgroup_id_y 0
		.amdhsa_system_sgpr_workgroup_id_z 0
		.amdhsa_system_sgpr_workgroup_info 0
		.amdhsa_system_vgpr_workitem_id 0
		.amdhsa_next_free_vgpr 1
		.amdhsa_next_free_sgpr 0
		.amdhsa_accum_offset 4
		.amdhsa_reserve_vcc 0
		.amdhsa_reserve_flat_scratch 0
		.amdhsa_float_round_mode_32 0
		.amdhsa_float_round_mode_16_64 0
		.amdhsa_float_denorm_mode_32 3
		.amdhsa_float_denorm_mode_16_64 3
		.amdhsa_dx10_clamp 1
		.amdhsa_ieee_mode 1
		.amdhsa_fp16_overflow 0
		.amdhsa_tg_split 0
		.amdhsa_exception_fp_ieee_invalid_op 0
		.amdhsa_exception_fp_denorm_src 0
		.amdhsa_exception_fp_ieee_div_zero 0
		.amdhsa_exception_fp_ieee_overflow 0
		.amdhsa_exception_fp_ieee_underflow 0
		.amdhsa_exception_fp_ieee_inexact 0
		.amdhsa_exception_int_div_zero 0
	.end_amdhsa_kernel
	.section	.text._ZN7rocprim17ROCPRIM_400000_NS6detail17trampoline_kernelINS0_14default_configENS1_27scan_by_key_config_selectorIiiEEZZNS1_16scan_by_key_implILNS1_25lookback_scan_determinismE0ELb0ES3_N6thrust23THRUST_200600_302600_NS6detail15normal_iteratorINS9_10device_ptrIiEEEESE_SE_iNS9_4plusIvEENS9_8equal_toIiEEiEE10hipError_tPvRmT2_T3_T4_T5_mT6_T7_P12ihipStream_tbENKUlT_T0_E_clISt17integral_constantIbLb0EESY_IbLb1EEEEDaSU_SV_EUlSU_E_NS1_11comp_targetILNS1_3genE2ELNS1_11target_archE906ELNS1_3gpuE6ELNS1_3repE0EEENS1_30default_config_static_selectorELNS0_4arch9wavefront6targetE1EEEvT1_,"axG",@progbits,_ZN7rocprim17ROCPRIM_400000_NS6detail17trampoline_kernelINS0_14default_configENS1_27scan_by_key_config_selectorIiiEEZZNS1_16scan_by_key_implILNS1_25lookback_scan_determinismE0ELb0ES3_N6thrust23THRUST_200600_302600_NS6detail15normal_iteratorINS9_10device_ptrIiEEEESE_SE_iNS9_4plusIvEENS9_8equal_toIiEEiEE10hipError_tPvRmT2_T3_T4_T5_mT6_T7_P12ihipStream_tbENKUlT_T0_E_clISt17integral_constantIbLb0EESY_IbLb1EEEEDaSU_SV_EUlSU_E_NS1_11comp_targetILNS1_3genE2ELNS1_11target_archE906ELNS1_3gpuE6ELNS1_3repE0EEENS1_30default_config_static_selectorELNS0_4arch9wavefront6targetE1EEEvT1_,comdat
.Lfunc_end232:
	.size	_ZN7rocprim17ROCPRIM_400000_NS6detail17trampoline_kernelINS0_14default_configENS1_27scan_by_key_config_selectorIiiEEZZNS1_16scan_by_key_implILNS1_25lookback_scan_determinismE0ELb0ES3_N6thrust23THRUST_200600_302600_NS6detail15normal_iteratorINS9_10device_ptrIiEEEESE_SE_iNS9_4plusIvEENS9_8equal_toIiEEiEE10hipError_tPvRmT2_T3_T4_T5_mT6_T7_P12ihipStream_tbENKUlT_T0_E_clISt17integral_constantIbLb0EESY_IbLb1EEEEDaSU_SV_EUlSU_E_NS1_11comp_targetILNS1_3genE2ELNS1_11target_archE906ELNS1_3gpuE6ELNS1_3repE0EEENS1_30default_config_static_selectorELNS0_4arch9wavefront6targetE1EEEvT1_, .Lfunc_end232-_ZN7rocprim17ROCPRIM_400000_NS6detail17trampoline_kernelINS0_14default_configENS1_27scan_by_key_config_selectorIiiEEZZNS1_16scan_by_key_implILNS1_25lookback_scan_determinismE0ELb0ES3_N6thrust23THRUST_200600_302600_NS6detail15normal_iteratorINS9_10device_ptrIiEEEESE_SE_iNS9_4plusIvEENS9_8equal_toIiEEiEE10hipError_tPvRmT2_T3_T4_T5_mT6_T7_P12ihipStream_tbENKUlT_T0_E_clISt17integral_constantIbLb0EESY_IbLb1EEEEDaSU_SV_EUlSU_E_NS1_11comp_targetILNS1_3genE2ELNS1_11target_archE906ELNS1_3gpuE6ELNS1_3repE0EEENS1_30default_config_static_selectorELNS0_4arch9wavefront6targetE1EEEvT1_
                                        ; -- End function
	.section	.AMDGPU.csdata,"",@progbits
; Kernel info:
; codeLenInByte = 0
; NumSgprs: 4
; NumVgprs: 0
; NumAgprs: 0
; TotalNumVgprs: 0
; ScratchSize: 0
; MemoryBound: 0
; FloatMode: 240
; IeeeMode: 1
; LDSByteSize: 0 bytes/workgroup (compile time only)
; SGPRBlocks: 0
; VGPRBlocks: 0
; NumSGPRsForWavesPerEU: 4
; NumVGPRsForWavesPerEU: 1
; AccumOffset: 4
; Occupancy: 8
; WaveLimiterHint : 0
; COMPUTE_PGM_RSRC2:SCRATCH_EN: 0
; COMPUTE_PGM_RSRC2:USER_SGPR: 6
; COMPUTE_PGM_RSRC2:TRAP_HANDLER: 0
; COMPUTE_PGM_RSRC2:TGID_X_EN: 1
; COMPUTE_PGM_RSRC2:TGID_Y_EN: 0
; COMPUTE_PGM_RSRC2:TGID_Z_EN: 0
; COMPUTE_PGM_RSRC2:TIDIG_COMP_CNT: 0
; COMPUTE_PGM_RSRC3_GFX90A:ACCUM_OFFSET: 0
; COMPUTE_PGM_RSRC3_GFX90A:TG_SPLIT: 0
	.section	.text._ZN7rocprim17ROCPRIM_400000_NS6detail17trampoline_kernelINS0_14default_configENS1_27scan_by_key_config_selectorIiiEEZZNS1_16scan_by_key_implILNS1_25lookback_scan_determinismE0ELb0ES3_N6thrust23THRUST_200600_302600_NS6detail15normal_iteratorINS9_10device_ptrIiEEEESE_SE_iNS9_4plusIvEENS9_8equal_toIiEEiEE10hipError_tPvRmT2_T3_T4_T5_mT6_T7_P12ihipStream_tbENKUlT_T0_E_clISt17integral_constantIbLb0EESY_IbLb1EEEEDaSU_SV_EUlSU_E_NS1_11comp_targetILNS1_3genE10ELNS1_11target_archE1200ELNS1_3gpuE4ELNS1_3repE0EEENS1_30default_config_static_selectorELNS0_4arch9wavefront6targetE1EEEvT1_,"axG",@progbits,_ZN7rocprim17ROCPRIM_400000_NS6detail17trampoline_kernelINS0_14default_configENS1_27scan_by_key_config_selectorIiiEEZZNS1_16scan_by_key_implILNS1_25lookback_scan_determinismE0ELb0ES3_N6thrust23THRUST_200600_302600_NS6detail15normal_iteratorINS9_10device_ptrIiEEEESE_SE_iNS9_4plusIvEENS9_8equal_toIiEEiEE10hipError_tPvRmT2_T3_T4_T5_mT6_T7_P12ihipStream_tbENKUlT_T0_E_clISt17integral_constantIbLb0EESY_IbLb1EEEEDaSU_SV_EUlSU_E_NS1_11comp_targetILNS1_3genE10ELNS1_11target_archE1200ELNS1_3gpuE4ELNS1_3repE0EEENS1_30default_config_static_selectorELNS0_4arch9wavefront6targetE1EEEvT1_,comdat
	.protected	_ZN7rocprim17ROCPRIM_400000_NS6detail17trampoline_kernelINS0_14default_configENS1_27scan_by_key_config_selectorIiiEEZZNS1_16scan_by_key_implILNS1_25lookback_scan_determinismE0ELb0ES3_N6thrust23THRUST_200600_302600_NS6detail15normal_iteratorINS9_10device_ptrIiEEEESE_SE_iNS9_4plusIvEENS9_8equal_toIiEEiEE10hipError_tPvRmT2_T3_T4_T5_mT6_T7_P12ihipStream_tbENKUlT_T0_E_clISt17integral_constantIbLb0EESY_IbLb1EEEEDaSU_SV_EUlSU_E_NS1_11comp_targetILNS1_3genE10ELNS1_11target_archE1200ELNS1_3gpuE4ELNS1_3repE0EEENS1_30default_config_static_selectorELNS0_4arch9wavefront6targetE1EEEvT1_ ; -- Begin function _ZN7rocprim17ROCPRIM_400000_NS6detail17trampoline_kernelINS0_14default_configENS1_27scan_by_key_config_selectorIiiEEZZNS1_16scan_by_key_implILNS1_25lookback_scan_determinismE0ELb0ES3_N6thrust23THRUST_200600_302600_NS6detail15normal_iteratorINS9_10device_ptrIiEEEESE_SE_iNS9_4plusIvEENS9_8equal_toIiEEiEE10hipError_tPvRmT2_T3_T4_T5_mT6_T7_P12ihipStream_tbENKUlT_T0_E_clISt17integral_constantIbLb0EESY_IbLb1EEEEDaSU_SV_EUlSU_E_NS1_11comp_targetILNS1_3genE10ELNS1_11target_archE1200ELNS1_3gpuE4ELNS1_3repE0EEENS1_30default_config_static_selectorELNS0_4arch9wavefront6targetE1EEEvT1_
	.globl	_ZN7rocprim17ROCPRIM_400000_NS6detail17trampoline_kernelINS0_14default_configENS1_27scan_by_key_config_selectorIiiEEZZNS1_16scan_by_key_implILNS1_25lookback_scan_determinismE0ELb0ES3_N6thrust23THRUST_200600_302600_NS6detail15normal_iteratorINS9_10device_ptrIiEEEESE_SE_iNS9_4plusIvEENS9_8equal_toIiEEiEE10hipError_tPvRmT2_T3_T4_T5_mT6_T7_P12ihipStream_tbENKUlT_T0_E_clISt17integral_constantIbLb0EESY_IbLb1EEEEDaSU_SV_EUlSU_E_NS1_11comp_targetILNS1_3genE10ELNS1_11target_archE1200ELNS1_3gpuE4ELNS1_3repE0EEENS1_30default_config_static_selectorELNS0_4arch9wavefront6targetE1EEEvT1_
	.p2align	8
	.type	_ZN7rocprim17ROCPRIM_400000_NS6detail17trampoline_kernelINS0_14default_configENS1_27scan_by_key_config_selectorIiiEEZZNS1_16scan_by_key_implILNS1_25lookback_scan_determinismE0ELb0ES3_N6thrust23THRUST_200600_302600_NS6detail15normal_iteratorINS9_10device_ptrIiEEEESE_SE_iNS9_4plusIvEENS9_8equal_toIiEEiEE10hipError_tPvRmT2_T3_T4_T5_mT6_T7_P12ihipStream_tbENKUlT_T0_E_clISt17integral_constantIbLb0EESY_IbLb1EEEEDaSU_SV_EUlSU_E_NS1_11comp_targetILNS1_3genE10ELNS1_11target_archE1200ELNS1_3gpuE4ELNS1_3repE0EEENS1_30default_config_static_selectorELNS0_4arch9wavefront6targetE1EEEvT1_,@function
_ZN7rocprim17ROCPRIM_400000_NS6detail17trampoline_kernelINS0_14default_configENS1_27scan_by_key_config_selectorIiiEEZZNS1_16scan_by_key_implILNS1_25lookback_scan_determinismE0ELb0ES3_N6thrust23THRUST_200600_302600_NS6detail15normal_iteratorINS9_10device_ptrIiEEEESE_SE_iNS9_4plusIvEENS9_8equal_toIiEEiEE10hipError_tPvRmT2_T3_T4_T5_mT6_T7_P12ihipStream_tbENKUlT_T0_E_clISt17integral_constantIbLb0EESY_IbLb1EEEEDaSU_SV_EUlSU_E_NS1_11comp_targetILNS1_3genE10ELNS1_11target_archE1200ELNS1_3gpuE4ELNS1_3repE0EEENS1_30default_config_static_selectorELNS0_4arch9wavefront6targetE1EEEvT1_: ; @_ZN7rocprim17ROCPRIM_400000_NS6detail17trampoline_kernelINS0_14default_configENS1_27scan_by_key_config_selectorIiiEEZZNS1_16scan_by_key_implILNS1_25lookback_scan_determinismE0ELb0ES3_N6thrust23THRUST_200600_302600_NS6detail15normal_iteratorINS9_10device_ptrIiEEEESE_SE_iNS9_4plusIvEENS9_8equal_toIiEEiEE10hipError_tPvRmT2_T3_T4_T5_mT6_T7_P12ihipStream_tbENKUlT_T0_E_clISt17integral_constantIbLb0EESY_IbLb1EEEEDaSU_SV_EUlSU_E_NS1_11comp_targetILNS1_3genE10ELNS1_11target_archE1200ELNS1_3gpuE4ELNS1_3repE0EEENS1_30default_config_static_selectorELNS0_4arch9wavefront6targetE1EEEvT1_
; %bb.0:
	.section	.rodata,"a",@progbits
	.p2align	6, 0x0
	.amdhsa_kernel _ZN7rocprim17ROCPRIM_400000_NS6detail17trampoline_kernelINS0_14default_configENS1_27scan_by_key_config_selectorIiiEEZZNS1_16scan_by_key_implILNS1_25lookback_scan_determinismE0ELb0ES3_N6thrust23THRUST_200600_302600_NS6detail15normal_iteratorINS9_10device_ptrIiEEEESE_SE_iNS9_4plusIvEENS9_8equal_toIiEEiEE10hipError_tPvRmT2_T3_T4_T5_mT6_T7_P12ihipStream_tbENKUlT_T0_E_clISt17integral_constantIbLb0EESY_IbLb1EEEEDaSU_SV_EUlSU_E_NS1_11comp_targetILNS1_3genE10ELNS1_11target_archE1200ELNS1_3gpuE4ELNS1_3repE0EEENS1_30default_config_static_selectorELNS0_4arch9wavefront6targetE1EEEvT1_
		.amdhsa_group_segment_fixed_size 0
		.amdhsa_private_segment_fixed_size 0
		.amdhsa_kernarg_size 112
		.amdhsa_user_sgpr_count 6
		.amdhsa_user_sgpr_private_segment_buffer 1
		.amdhsa_user_sgpr_dispatch_ptr 0
		.amdhsa_user_sgpr_queue_ptr 0
		.amdhsa_user_sgpr_kernarg_segment_ptr 1
		.amdhsa_user_sgpr_dispatch_id 0
		.amdhsa_user_sgpr_flat_scratch_init 0
		.amdhsa_user_sgpr_kernarg_preload_length 0
		.amdhsa_user_sgpr_kernarg_preload_offset 0
		.amdhsa_user_sgpr_private_segment_size 0
		.amdhsa_uses_dynamic_stack 0
		.amdhsa_system_sgpr_private_segment_wavefront_offset 0
		.amdhsa_system_sgpr_workgroup_id_x 1
		.amdhsa_system_sgpr_workgroup_id_y 0
		.amdhsa_system_sgpr_workgroup_id_z 0
		.amdhsa_system_sgpr_workgroup_info 0
		.amdhsa_system_vgpr_workitem_id 0
		.amdhsa_next_free_vgpr 1
		.amdhsa_next_free_sgpr 0
		.amdhsa_accum_offset 4
		.amdhsa_reserve_vcc 0
		.amdhsa_reserve_flat_scratch 0
		.amdhsa_float_round_mode_32 0
		.amdhsa_float_round_mode_16_64 0
		.amdhsa_float_denorm_mode_32 3
		.amdhsa_float_denorm_mode_16_64 3
		.amdhsa_dx10_clamp 1
		.amdhsa_ieee_mode 1
		.amdhsa_fp16_overflow 0
		.amdhsa_tg_split 0
		.amdhsa_exception_fp_ieee_invalid_op 0
		.amdhsa_exception_fp_denorm_src 0
		.amdhsa_exception_fp_ieee_div_zero 0
		.amdhsa_exception_fp_ieee_overflow 0
		.amdhsa_exception_fp_ieee_underflow 0
		.amdhsa_exception_fp_ieee_inexact 0
		.amdhsa_exception_int_div_zero 0
	.end_amdhsa_kernel
	.section	.text._ZN7rocprim17ROCPRIM_400000_NS6detail17trampoline_kernelINS0_14default_configENS1_27scan_by_key_config_selectorIiiEEZZNS1_16scan_by_key_implILNS1_25lookback_scan_determinismE0ELb0ES3_N6thrust23THRUST_200600_302600_NS6detail15normal_iteratorINS9_10device_ptrIiEEEESE_SE_iNS9_4plusIvEENS9_8equal_toIiEEiEE10hipError_tPvRmT2_T3_T4_T5_mT6_T7_P12ihipStream_tbENKUlT_T0_E_clISt17integral_constantIbLb0EESY_IbLb1EEEEDaSU_SV_EUlSU_E_NS1_11comp_targetILNS1_3genE10ELNS1_11target_archE1200ELNS1_3gpuE4ELNS1_3repE0EEENS1_30default_config_static_selectorELNS0_4arch9wavefront6targetE1EEEvT1_,"axG",@progbits,_ZN7rocprim17ROCPRIM_400000_NS6detail17trampoline_kernelINS0_14default_configENS1_27scan_by_key_config_selectorIiiEEZZNS1_16scan_by_key_implILNS1_25lookback_scan_determinismE0ELb0ES3_N6thrust23THRUST_200600_302600_NS6detail15normal_iteratorINS9_10device_ptrIiEEEESE_SE_iNS9_4plusIvEENS9_8equal_toIiEEiEE10hipError_tPvRmT2_T3_T4_T5_mT6_T7_P12ihipStream_tbENKUlT_T0_E_clISt17integral_constantIbLb0EESY_IbLb1EEEEDaSU_SV_EUlSU_E_NS1_11comp_targetILNS1_3genE10ELNS1_11target_archE1200ELNS1_3gpuE4ELNS1_3repE0EEENS1_30default_config_static_selectorELNS0_4arch9wavefront6targetE1EEEvT1_,comdat
.Lfunc_end233:
	.size	_ZN7rocprim17ROCPRIM_400000_NS6detail17trampoline_kernelINS0_14default_configENS1_27scan_by_key_config_selectorIiiEEZZNS1_16scan_by_key_implILNS1_25lookback_scan_determinismE0ELb0ES3_N6thrust23THRUST_200600_302600_NS6detail15normal_iteratorINS9_10device_ptrIiEEEESE_SE_iNS9_4plusIvEENS9_8equal_toIiEEiEE10hipError_tPvRmT2_T3_T4_T5_mT6_T7_P12ihipStream_tbENKUlT_T0_E_clISt17integral_constantIbLb0EESY_IbLb1EEEEDaSU_SV_EUlSU_E_NS1_11comp_targetILNS1_3genE10ELNS1_11target_archE1200ELNS1_3gpuE4ELNS1_3repE0EEENS1_30default_config_static_selectorELNS0_4arch9wavefront6targetE1EEEvT1_, .Lfunc_end233-_ZN7rocprim17ROCPRIM_400000_NS6detail17trampoline_kernelINS0_14default_configENS1_27scan_by_key_config_selectorIiiEEZZNS1_16scan_by_key_implILNS1_25lookback_scan_determinismE0ELb0ES3_N6thrust23THRUST_200600_302600_NS6detail15normal_iteratorINS9_10device_ptrIiEEEESE_SE_iNS9_4plusIvEENS9_8equal_toIiEEiEE10hipError_tPvRmT2_T3_T4_T5_mT6_T7_P12ihipStream_tbENKUlT_T0_E_clISt17integral_constantIbLb0EESY_IbLb1EEEEDaSU_SV_EUlSU_E_NS1_11comp_targetILNS1_3genE10ELNS1_11target_archE1200ELNS1_3gpuE4ELNS1_3repE0EEENS1_30default_config_static_selectorELNS0_4arch9wavefront6targetE1EEEvT1_
                                        ; -- End function
	.section	.AMDGPU.csdata,"",@progbits
; Kernel info:
; codeLenInByte = 0
; NumSgprs: 4
; NumVgprs: 0
; NumAgprs: 0
; TotalNumVgprs: 0
; ScratchSize: 0
; MemoryBound: 0
; FloatMode: 240
; IeeeMode: 1
; LDSByteSize: 0 bytes/workgroup (compile time only)
; SGPRBlocks: 0
; VGPRBlocks: 0
; NumSGPRsForWavesPerEU: 4
; NumVGPRsForWavesPerEU: 1
; AccumOffset: 4
; Occupancy: 8
; WaveLimiterHint : 0
; COMPUTE_PGM_RSRC2:SCRATCH_EN: 0
; COMPUTE_PGM_RSRC2:USER_SGPR: 6
; COMPUTE_PGM_RSRC2:TRAP_HANDLER: 0
; COMPUTE_PGM_RSRC2:TGID_X_EN: 1
; COMPUTE_PGM_RSRC2:TGID_Y_EN: 0
; COMPUTE_PGM_RSRC2:TGID_Z_EN: 0
; COMPUTE_PGM_RSRC2:TIDIG_COMP_CNT: 0
; COMPUTE_PGM_RSRC3_GFX90A:ACCUM_OFFSET: 0
; COMPUTE_PGM_RSRC3_GFX90A:TG_SPLIT: 0
	.section	.text._ZN7rocprim17ROCPRIM_400000_NS6detail17trampoline_kernelINS0_14default_configENS1_27scan_by_key_config_selectorIiiEEZZNS1_16scan_by_key_implILNS1_25lookback_scan_determinismE0ELb0ES3_N6thrust23THRUST_200600_302600_NS6detail15normal_iteratorINS9_10device_ptrIiEEEESE_SE_iNS9_4plusIvEENS9_8equal_toIiEEiEE10hipError_tPvRmT2_T3_T4_T5_mT6_T7_P12ihipStream_tbENKUlT_T0_E_clISt17integral_constantIbLb0EESY_IbLb1EEEEDaSU_SV_EUlSU_E_NS1_11comp_targetILNS1_3genE9ELNS1_11target_archE1100ELNS1_3gpuE3ELNS1_3repE0EEENS1_30default_config_static_selectorELNS0_4arch9wavefront6targetE1EEEvT1_,"axG",@progbits,_ZN7rocprim17ROCPRIM_400000_NS6detail17trampoline_kernelINS0_14default_configENS1_27scan_by_key_config_selectorIiiEEZZNS1_16scan_by_key_implILNS1_25lookback_scan_determinismE0ELb0ES3_N6thrust23THRUST_200600_302600_NS6detail15normal_iteratorINS9_10device_ptrIiEEEESE_SE_iNS9_4plusIvEENS9_8equal_toIiEEiEE10hipError_tPvRmT2_T3_T4_T5_mT6_T7_P12ihipStream_tbENKUlT_T0_E_clISt17integral_constantIbLb0EESY_IbLb1EEEEDaSU_SV_EUlSU_E_NS1_11comp_targetILNS1_3genE9ELNS1_11target_archE1100ELNS1_3gpuE3ELNS1_3repE0EEENS1_30default_config_static_selectorELNS0_4arch9wavefront6targetE1EEEvT1_,comdat
	.protected	_ZN7rocprim17ROCPRIM_400000_NS6detail17trampoline_kernelINS0_14default_configENS1_27scan_by_key_config_selectorIiiEEZZNS1_16scan_by_key_implILNS1_25lookback_scan_determinismE0ELb0ES3_N6thrust23THRUST_200600_302600_NS6detail15normal_iteratorINS9_10device_ptrIiEEEESE_SE_iNS9_4plusIvEENS9_8equal_toIiEEiEE10hipError_tPvRmT2_T3_T4_T5_mT6_T7_P12ihipStream_tbENKUlT_T0_E_clISt17integral_constantIbLb0EESY_IbLb1EEEEDaSU_SV_EUlSU_E_NS1_11comp_targetILNS1_3genE9ELNS1_11target_archE1100ELNS1_3gpuE3ELNS1_3repE0EEENS1_30default_config_static_selectorELNS0_4arch9wavefront6targetE1EEEvT1_ ; -- Begin function _ZN7rocprim17ROCPRIM_400000_NS6detail17trampoline_kernelINS0_14default_configENS1_27scan_by_key_config_selectorIiiEEZZNS1_16scan_by_key_implILNS1_25lookback_scan_determinismE0ELb0ES3_N6thrust23THRUST_200600_302600_NS6detail15normal_iteratorINS9_10device_ptrIiEEEESE_SE_iNS9_4plusIvEENS9_8equal_toIiEEiEE10hipError_tPvRmT2_T3_T4_T5_mT6_T7_P12ihipStream_tbENKUlT_T0_E_clISt17integral_constantIbLb0EESY_IbLb1EEEEDaSU_SV_EUlSU_E_NS1_11comp_targetILNS1_3genE9ELNS1_11target_archE1100ELNS1_3gpuE3ELNS1_3repE0EEENS1_30default_config_static_selectorELNS0_4arch9wavefront6targetE1EEEvT1_
	.globl	_ZN7rocprim17ROCPRIM_400000_NS6detail17trampoline_kernelINS0_14default_configENS1_27scan_by_key_config_selectorIiiEEZZNS1_16scan_by_key_implILNS1_25lookback_scan_determinismE0ELb0ES3_N6thrust23THRUST_200600_302600_NS6detail15normal_iteratorINS9_10device_ptrIiEEEESE_SE_iNS9_4plusIvEENS9_8equal_toIiEEiEE10hipError_tPvRmT2_T3_T4_T5_mT6_T7_P12ihipStream_tbENKUlT_T0_E_clISt17integral_constantIbLb0EESY_IbLb1EEEEDaSU_SV_EUlSU_E_NS1_11comp_targetILNS1_3genE9ELNS1_11target_archE1100ELNS1_3gpuE3ELNS1_3repE0EEENS1_30default_config_static_selectorELNS0_4arch9wavefront6targetE1EEEvT1_
	.p2align	8
	.type	_ZN7rocprim17ROCPRIM_400000_NS6detail17trampoline_kernelINS0_14default_configENS1_27scan_by_key_config_selectorIiiEEZZNS1_16scan_by_key_implILNS1_25lookback_scan_determinismE0ELb0ES3_N6thrust23THRUST_200600_302600_NS6detail15normal_iteratorINS9_10device_ptrIiEEEESE_SE_iNS9_4plusIvEENS9_8equal_toIiEEiEE10hipError_tPvRmT2_T3_T4_T5_mT6_T7_P12ihipStream_tbENKUlT_T0_E_clISt17integral_constantIbLb0EESY_IbLb1EEEEDaSU_SV_EUlSU_E_NS1_11comp_targetILNS1_3genE9ELNS1_11target_archE1100ELNS1_3gpuE3ELNS1_3repE0EEENS1_30default_config_static_selectorELNS0_4arch9wavefront6targetE1EEEvT1_,@function
_ZN7rocprim17ROCPRIM_400000_NS6detail17trampoline_kernelINS0_14default_configENS1_27scan_by_key_config_selectorIiiEEZZNS1_16scan_by_key_implILNS1_25lookback_scan_determinismE0ELb0ES3_N6thrust23THRUST_200600_302600_NS6detail15normal_iteratorINS9_10device_ptrIiEEEESE_SE_iNS9_4plusIvEENS9_8equal_toIiEEiEE10hipError_tPvRmT2_T3_T4_T5_mT6_T7_P12ihipStream_tbENKUlT_T0_E_clISt17integral_constantIbLb0EESY_IbLb1EEEEDaSU_SV_EUlSU_E_NS1_11comp_targetILNS1_3genE9ELNS1_11target_archE1100ELNS1_3gpuE3ELNS1_3repE0EEENS1_30default_config_static_selectorELNS0_4arch9wavefront6targetE1EEEvT1_: ; @_ZN7rocprim17ROCPRIM_400000_NS6detail17trampoline_kernelINS0_14default_configENS1_27scan_by_key_config_selectorIiiEEZZNS1_16scan_by_key_implILNS1_25lookback_scan_determinismE0ELb0ES3_N6thrust23THRUST_200600_302600_NS6detail15normal_iteratorINS9_10device_ptrIiEEEESE_SE_iNS9_4plusIvEENS9_8equal_toIiEEiEE10hipError_tPvRmT2_T3_T4_T5_mT6_T7_P12ihipStream_tbENKUlT_T0_E_clISt17integral_constantIbLb0EESY_IbLb1EEEEDaSU_SV_EUlSU_E_NS1_11comp_targetILNS1_3genE9ELNS1_11target_archE1100ELNS1_3gpuE3ELNS1_3repE0EEENS1_30default_config_static_selectorELNS0_4arch9wavefront6targetE1EEEvT1_
; %bb.0:
	.section	.rodata,"a",@progbits
	.p2align	6, 0x0
	.amdhsa_kernel _ZN7rocprim17ROCPRIM_400000_NS6detail17trampoline_kernelINS0_14default_configENS1_27scan_by_key_config_selectorIiiEEZZNS1_16scan_by_key_implILNS1_25lookback_scan_determinismE0ELb0ES3_N6thrust23THRUST_200600_302600_NS6detail15normal_iteratorINS9_10device_ptrIiEEEESE_SE_iNS9_4plusIvEENS9_8equal_toIiEEiEE10hipError_tPvRmT2_T3_T4_T5_mT6_T7_P12ihipStream_tbENKUlT_T0_E_clISt17integral_constantIbLb0EESY_IbLb1EEEEDaSU_SV_EUlSU_E_NS1_11comp_targetILNS1_3genE9ELNS1_11target_archE1100ELNS1_3gpuE3ELNS1_3repE0EEENS1_30default_config_static_selectorELNS0_4arch9wavefront6targetE1EEEvT1_
		.amdhsa_group_segment_fixed_size 0
		.amdhsa_private_segment_fixed_size 0
		.amdhsa_kernarg_size 112
		.amdhsa_user_sgpr_count 6
		.amdhsa_user_sgpr_private_segment_buffer 1
		.amdhsa_user_sgpr_dispatch_ptr 0
		.amdhsa_user_sgpr_queue_ptr 0
		.amdhsa_user_sgpr_kernarg_segment_ptr 1
		.amdhsa_user_sgpr_dispatch_id 0
		.amdhsa_user_sgpr_flat_scratch_init 0
		.amdhsa_user_sgpr_kernarg_preload_length 0
		.amdhsa_user_sgpr_kernarg_preload_offset 0
		.amdhsa_user_sgpr_private_segment_size 0
		.amdhsa_uses_dynamic_stack 0
		.amdhsa_system_sgpr_private_segment_wavefront_offset 0
		.amdhsa_system_sgpr_workgroup_id_x 1
		.amdhsa_system_sgpr_workgroup_id_y 0
		.amdhsa_system_sgpr_workgroup_id_z 0
		.amdhsa_system_sgpr_workgroup_info 0
		.amdhsa_system_vgpr_workitem_id 0
		.amdhsa_next_free_vgpr 1
		.amdhsa_next_free_sgpr 0
		.amdhsa_accum_offset 4
		.amdhsa_reserve_vcc 0
		.amdhsa_reserve_flat_scratch 0
		.amdhsa_float_round_mode_32 0
		.amdhsa_float_round_mode_16_64 0
		.amdhsa_float_denorm_mode_32 3
		.amdhsa_float_denorm_mode_16_64 3
		.amdhsa_dx10_clamp 1
		.amdhsa_ieee_mode 1
		.amdhsa_fp16_overflow 0
		.amdhsa_tg_split 0
		.amdhsa_exception_fp_ieee_invalid_op 0
		.amdhsa_exception_fp_denorm_src 0
		.amdhsa_exception_fp_ieee_div_zero 0
		.amdhsa_exception_fp_ieee_overflow 0
		.amdhsa_exception_fp_ieee_underflow 0
		.amdhsa_exception_fp_ieee_inexact 0
		.amdhsa_exception_int_div_zero 0
	.end_amdhsa_kernel
	.section	.text._ZN7rocprim17ROCPRIM_400000_NS6detail17trampoline_kernelINS0_14default_configENS1_27scan_by_key_config_selectorIiiEEZZNS1_16scan_by_key_implILNS1_25lookback_scan_determinismE0ELb0ES3_N6thrust23THRUST_200600_302600_NS6detail15normal_iteratorINS9_10device_ptrIiEEEESE_SE_iNS9_4plusIvEENS9_8equal_toIiEEiEE10hipError_tPvRmT2_T3_T4_T5_mT6_T7_P12ihipStream_tbENKUlT_T0_E_clISt17integral_constantIbLb0EESY_IbLb1EEEEDaSU_SV_EUlSU_E_NS1_11comp_targetILNS1_3genE9ELNS1_11target_archE1100ELNS1_3gpuE3ELNS1_3repE0EEENS1_30default_config_static_selectorELNS0_4arch9wavefront6targetE1EEEvT1_,"axG",@progbits,_ZN7rocprim17ROCPRIM_400000_NS6detail17trampoline_kernelINS0_14default_configENS1_27scan_by_key_config_selectorIiiEEZZNS1_16scan_by_key_implILNS1_25lookback_scan_determinismE0ELb0ES3_N6thrust23THRUST_200600_302600_NS6detail15normal_iteratorINS9_10device_ptrIiEEEESE_SE_iNS9_4plusIvEENS9_8equal_toIiEEiEE10hipError_tPvRmT2_T3_T4_T5_mT6_T7_P12ihipStream_tbENKUlT_T0_E_clISt17integral_constantIbLb0EESY_IbLb1EEEEDaSU_SV_EUlSU_E_NS1_11comp_targetILNS1_3genE9ELNS1_11target_archE1100ELNS1_3gpuE3ELNS1_3repE0EEENS1_30default_config_static_selectorELNS0_4arch9wavefront6targetE1EEEvT1_,comdat
.Lfunc_end234:
	.size	_ZN7rocprim17ROCPRIM_400000_NS6detail17trampoline_kernelINS0_14default_configENS1_27scan_by_key_config_selectorIiiEEZZNS1_16scan_by_key_implILNS1_25lookback_scan_determinismE0ELb0ES3_N6thrust23THRUST_200600_302600_NS6detail15normal_iteratorINS9_10device_ptrIiEEEESE_SE_iNS9_4plusIvEENS9_8equal_toIiEEiEE10hipError_tPvRmT2_T3_T4_T5_mT6_T7_P12ihipStream_tbENKUlT_T0_E_clISt17integral_constantIbLb0EESY_IbLb1EEEEDaSU_SV_EUlSU_E_NS1_11comp_targetILNS1_3genE9ELNS1_11target_archE1100ELNS1_3gpuE3ELNS1_3repE0EEENS1_30default_config_static_selectorELNS0_4arch9wavefront6targetE1EEEvT1_, .Lfunc_end234-_ZN7rocprim17ROCPRIM_400000_NS6detail17trampoline_kernelINS0_14default_configENS1_27scan_by_key_config_selectorIiiEEZZNS1_16scan_by_key_implILNS1_25lookback_scan_determinismE0ELb0ES3_N6thrust23THRUST_200600_302600_NS6detail15normal_iteratorINS9_10device_ptrIiEEEESE_SE_iNS9_4plusIvEENS9_8equal_toIiEEiEE10hipError_tPvRmT2_T3_T4_T5_mT6_T7_P12ihipStream_tbENKUlT_T0_E_clISt17integral_constantIbLb0EESY_IbLb1EEEEDaSU_SV_EUlSU_E_NS1_11comp_targetILNS1_3genE9ELNS1_11target_archE1100ELNS1_3gpuE3ELNS1_3repE0EEENS1_30default_config_static_selectorELNS0_4arch9wavefront6targetE1EEEvT1_
                                        ; -- End function
	.section	.AMDGPU.csdata,"",@progbits
; Kernel info:
; codeLenInByte = 0
; NumSgprs: 4
; NumVgprs: 0
; NumAgprs: 0
; TotalNumVgprs: 0
; ScratchSize: 0
; MemoryBound: 0
; FloatMode: 240
; IeeeMode: 1
; LDSByteSize: 0 bytes/workgroup (compile time only)
; SGPRBlocks: 0
; VGPRBlocks: 0
; NumSGPRsForWavesPerEU: 4
; NumVGPRsForWavesPerEU: 1
; AccumOffset: 4
; Occupancy: 8
; WaveLimiterHint : 0
; COMPUTE_PGM_RSRC2:SCRATCH_EN: 0
; COMPUTE_PGM_RSRC2:USER_SGPR: 6
; COMPUTE_PGM_RSRC2:TRAP_HANDLER: 0
; COMPUTE_PGM_RSRC2:TGID_X_EN: 1
; COMPUTE_PGM_RSRC2:TGID_Y_EN: 0
; COMPUTE_PGM_RSRC2:TGID_Z_EN: 0
; COMPUTE_PGM_RSRC2:TIDIG_COMP_CNT: 0
; COMPUTE_PGM_RSRC3_GFX90A:ACCUM_OFFSET: 0
; COMPUTE_PGM_RSRC3_GFX90A:TG_SPLIT: 0
	.section	.text._ZN7rocprim17ROCPRIM_400000_NS6detail17trampoline_kernelINS0_14default_configENS1_27scan_by_key_config_selectorIiiEEZZNS1_16scan_by_key_implILNS1_25lookback_scan_determinismE0ELb0ES3_N6thrust23THRUST_200600_302600_NS6detail15normal_iteratorINS9_10device_ptrIiEEEESE_SE_iNS9_4plusIvEENS9_8equal_toIiEEiEE10hipError_tPvRmT2_T3_T4_T5_mT6_T7_P12ihipStream_tbENKUlT_T0_E_clISt17integral_constantIbLb0EESY_IbLb1EEEEDaSU_SV_EUlSU_E_NS1_11comp_targetILNS1_3genE8ELNS1_11target_archE1030ELNS1_3gpuE2ELNS1_3repE0EEENS1_30default_config_static_selectorELNS0_4arch9wavefront6targetE1EEEvT1_,"axG",@progbits,_ZN7rocprim17ROCPRIM_400000_NS6detail17trampoline_kernelINS0_14default_configENS1_27scan_by_key_config_selectorIiiEEZZNS1_16scan_by_key_implILNS1_25lookback_scan_determinismE0ELb0ES3_N6thrust23THRUST_200600_302600_NS6detail15normal_iteratorINS9_10device_ptrIiEEEESE_SE_iNS9_4plusIvEENS9_8equal_toIiEEiEE10hipError_tPvRmT2_T3_T4_T5_mT6_T7_P12ihipStream_tbENKUlT_T0_E_clISt17integral_constantIbLb0EESY_IbLb1EEEEDaSU_SV_EUlSU_E_NS1_11comp_targetILNS1_3genE8ELNS1_11target_archE1030ELNS1_3gpuE2ELNS1_3repE0EEENS1_30default_config_static_selectorELNS0_4arch9wavefront6targetE1EEEvT1_,comdat
	.protected	_ZN7rocprim17ROCPRIM_400000_NS6detail17trampoline_kernelINS0_14default_configENS1_27scan_by_key_config_selectorIiiEEZZNS1_16scan_by_key_implILNS1_25lookback_scan_determinismE0ELb0ES3_N6thrust23THRUST_200600_302600_NS6detail15normal_iteratorINS9_10device_ptrIiEEEESE_SE_iNS9_4plusIvEENS9_8equal_toIiEEiEE10hipError_tPvRmT2_T3_T4_T5_mT6_T7_P12ihipStream_tbENKUlT_T0_E_clISt17integral_constantIbLb0EESY_IbLb1EEEEDaSU_SV_EUlSU_E_NS1_11comp_targetILNS1_3genE8ELNS1_11target_archE1030ELNS1_3gpuE2ELNS1_3repE0EEENS1_30default_config_static_selectorELNS0_4arch9wavefront6targetE1EEEvT1_ ; -- Begin function _ZN7rocprim17ROCPRIM_400000_NS6detail17trampoline_kernelINS0_14default_configENS1_27scan_by_key_config_selectorIiiEEZZNS1_16scan_by_key_implILNS1_25lookback_scan_determinismE0ELb0ES3_N6thrust23THRUST_200600_302600_NS6detail15normal_iteratorINS9_10device_ptrIiEEEESE_SE_iNS9_4plusIvEENS9_8equal_toIiEEiEE10hipError_tPvRmT2_T3_T4_T5_mT6_T7_P12ihipStream_tbENKUlT_T0_E_clISt17integral_constantIbLb0EESY_IbLb1EEEEDaSU_SV_EUlSU_E_NS1_11comp_targetILNS1_3genE8ELNS1_11target_archE1030ELNS1_3gpuE2ELNS1_3repE0EEENS1_30default_config_static_selectorELNS0_4arch9wavefront6targetE1EEEvT1_
	.globl	_ZN7rocprim17ROCPRIM_400000_NS6detail17trampoline_kernelINS0_14default_configENS1_27scan_by_key_config_selectorIiiEEZZNS1_16scan_by_key_implILNS1_25lookback_scan_determinismE0ELb0ES3_N6thrust23THRUST_200600_302600_NS6detail15normal_iteratorINS9_10device_ptrIiEEEESE_SE_iNS9_4plusIvEENS9_8equal_toIiEEiEE10hipError_tPvRmT2_T3_T4_T5_mT6_T7_P12ihipStream_tbENKUlT_T0_E_clISt17integral_constantIbLb0EESY_IbLb1EEEEDaSU_SV_EUlSU_E_NS1_11comp_targetILNS1_3genE8ELNS1_11target_archE1030ELNS1_3gpuE2ELNS1_3repE0EEENS1_30default_config_static_selectorELNS0_4arch9wavefront6targetE1EEEvT1_
	.p2align	8
	.type	_ZN7rocprim17ROCPRIM_400000_NS6detail17trampoline_kernelINS0_14default_configENS1_27scan_by_key_config_selectorIiiEEZZNS1_16scan_by_key_implILNS1_25lookback_scan_determinismE0ELb0ES3_N6thrust23THRUST_200600_302600_NS6detail15normal_iteratorINS9_10device_ptrIiEEEESE_SE_iNS9_4plusIvEENS9_8equal_toIiEEiEE10hipError_tPvRmT2_T3_T4_T5_mT6_T7_P12ihipStream_tbENKUlT_T0_E_clISt17integral_constantIbLb0EESY_IbLb1EEEEDaSU_SV_EUlSU_E_NS1_11comp_targetILNS1_3genE8ELNS1_11target_archE1030ELNS1_3gpuE2ELNS1_3repE0EEENS1_30default_config_static_selectorELNS0_4arch9wavefront6targetE1EEEvT1_,@function
_ZN7rocprim17ROCPRIM_400000_NS6detail17trampoline_kernelINS0_14default_configENS1_27scan_by_key_config_selectorIiiEEZZNS1_16scan_by_key_implILNS1_25lookback_scan_determinismE0ELb0ES3_N6thrust23THRUST_200600_302600_NS6detail15normal_iteratorINS9_10device_ptrIiEEEESE_SE_iNS9_4plusIvEENS9_8equal_toIiEEiEE10hipError_tPvRmT2_T3_T4_T5_mT6_T7_P12ihipStream_tbENKUlT_T0_E_clISt17integral_constantIbLb0EESY_IbLb1EEEEDaSU_SV_EUlSU_E_NS1_11comp_targetILNS1_3genE8ELNS1_11target_archE1030ELNS1_3gpuE2ELNS1_3repE0EEENS1_30default_config_static_selectorELNS0_4arch9wavefront6targetE1EEEvT1_: ; @_ZN7rocprim17ROCPRIM_400000_NS6detail17trampoline_kernelINS0_14default_configENS1_27scan_by_key_config_selectorIiiEEZZNS1_16scan_by_key_implILNS1_25lookback_scan_determinismE0ELb0ES3_N6thrust23THRUST_200600_302600_NS6detail15normal_iteratorINS9_10device_ptrIiEEEESE_SE_iNS9_4plusIvEENS9_8equal_toIiEEiEE10hipError_tPvRmT2_T3_T4_T5_mT6_T7_P12ihipStream_tbENKUlT_T0_E_clISt17integral_constantIbLb0EESY_IbLb1EEEEDaSU_SV_EUlSU_E_NS1_11comp_targetILNS1_3genE8ELNS1_11target_archE1030ELNS1_3gpuE2ELNS1_3repE0EEENS1_30default_config_static_selectorELNS0_4arch9wavefront6targetE1EEEvT1_
; %bb.0:
	.section	.rodata,"a",@progbits
	.p2align	6, 0x0
	.amdhsa_kernel _ZN7rocprim17ROCPRIM_400000_NS6detail17trampoline_kernelINS0_14default_configENS1_27scan_by_key_config_selectorIiiEEZZNS1_16scan_by_key_implILNS1_25lookback_scan_determinismE0ELb0ES3_N6thrust23THRUST_200600_302600_NS6detail15normal_iteratorINS9_10device_ptrIiEEEESE_SE_iNS9_4plusIvEENS9_8equal_toIiEEiEE10hipError_tPvRmT2_T3_T4_T5_mT6_T7_P12ihipStream_tbENKUlT_T0_E_clISt17integral_constantIbLb0EESY_IbLb1EEEEDaSU_SV_EUlSU_E_NS1_11comp_targetILNS1_3genE8ELNS1_11target_archE1030ELNS1_3gpuE2ELNS1_3repE0EEENS1_30default_config_static_selectorELNS0_4arch9wavefront6targetE1EEEvT1_
		.amdhsa_group_segment_fixed_size 0
		.amdhsa_private_segment_fixed_size 0
		.amdhsa_kernarg_size 112
		.amdhsa_user_sgpr_count 6
		.amdhsa_user_sgpr_private_segment_buffer 1
		.amdhsa_user_sgpr_dispatch_ptr 0
		.amdhsa_user_sgpr_queue_ptr 0
		.amdhsa_user_sgpr_kernarg_segment_ptr 1
		.amdhsa_user_sgpr_dispatch_id 0
		.amdhsa_user_sgpr_flat_scratch_init 0
		.amdhsa_user_sgpr_kernarg_preload_length 0
		.amdhsa_user_sgpr_kernarg_preload_offset 0
		.amdhsa_user_sgpr_private_segment_size 0
		.amdhsa_uses_dynamic_stack 0
		.amdhsa_system_sgpr_private_segment_wavefront_offset 0
		.amdhsa_system_sgpr_workgroup_id_x 1
		.amdhsa_system_sgpr_workgroup_id_y 0
		.amdhsa_system_sgpr_workgroup_id_z 0
		.amdhsa_system_sgpr_workgroup_info 0
		.amdhsa_system_vgpr_workitem_id 0
		.amdhsa_next_free_vgpr 1
		.amdhsa_next_free_sgpr 0
		.amdhsa_accum_offset 4
		.amdhsa_reserve_vcc 0
		.amdhsa_reserve_flat_scratch 0
		.amdhsa_float_round_mode_32 0
		.amdhsa_float_round_mode_16_64 0
		.amdhsa_float_denorm_mode_32 3
		.amdhsa_float_denorm_mode_16_64 3
		.amdhsa_dx10_clamp 1
		.amdhsa_ieee_mode 1
		.amdhsa_fp16_overflow 0
		.amdhsa_tg_split 0
		.amdhsa_exception_fp_ieee_invalid_op 0
		.amdhsa_exception_fp_denorm_src 0
		.amdhsa_exception_fp_ieee_div_zero 0
		.amdhsa_exception_fp_ieee_overflow 0
		.amdhsa_exception_fp_ieee_underflow 0
		.amdhsa_exception_fp_ieee_inexact 0
		.amdhsa_exception_int_div_zero 0
	.end_amdhsa_kernel
	.section	.text._ZN7rocprim17ROCPRIM_400000_NS6detail17trampoline_kernelINS0_14default_configENS1_27scan_by_key_config_selectorIiiEEZZNS1_16scan_by_key_implILNS1_25lookback_scan_determinismE0ELb0ES3_N6thrust23THRUST_200600_302600_NS6detail15normal_iteratorINS9_10device_ptrIiEEEESE_SE_iNS9_4plusIvEENS9_8equal_toIiEEiEE10hipError_tPvRmT2_T3_T4_T5_mT6_T7_P12ihipStream_tbENKUlT_T0_E_clISt17integral_constantIbLb0EESY_IbLb1EEEEDaSU_SV_EUlSU_E_NS1_11comp_targetILNS1_3genE8ELNS1_11target_archE1030ELNS1_3gpuE2ELNS1_3repE0EEENS1_30default_config_static_selectorELNS0_4arch9wavefront6targetE1EEEvT1_,"axG",@progbits,_ZN7rocprim17ROCPRIM_400000_NS6detail17trampoline_kernelINS0_14default_configENS1_27scan_by_key_config_selectorIiiEEZZNS1_16scan_by_key_implILNS1_25lookback_scan_determinismE0ELb0ES3_N6thrust23THRUST_200600_302600_NS6detail15normal_iteratorINS9_10device_ptrIiEEEESE_SE_iNS9_4plusIvEENS9_8equal_toIiEEiEE10hipError_tPvRmT2_T3_T4_T5_mT6_T7_P12ihipStream_tbENKUlT_T0_E_clISt17integral_constantIbLb0EESY_IbLb1EEEEDaSU_SV_EUlSU_E_NS1_11comp_targetILNS1_3genE8ELNS1_11target_archE1030ELNS1_3gpuE2ELNS1_3repE0EEENS1_30default_config_static_selectorELNS0_4arch9wavefront6targetE1EEEvT1_,comdat
.Lfunc_end235:
	.size	_ZN7rocprim17ROCPRIM_400000_NS6detail17trampoline_kernelINS0_14default_configENS1_27scan_by_key_config_selectorIiiEEZZNS1_16scan_by_key_implILNS1_25lookback_scan_determinismE0ELb0ES3_N6thrust23THRUST_200600_302600_NS6detail15normal_iteratorINS9_10device_ptrIiEEEESE_SE_iNS9_4plusIvEENS9_8equal_toIiEEiEE10hipError_tPvRmT2_T3_T4_T5_mT6_T7_P12ihipStream_tbENKUlT_T0_E_clISt17integral_constantIbLb0EESY_IbLb1EEEEDaSU_SV_EUlSU_E_NS1_11comp_targetILNS1_3genE8ELNS1_11target_archE1030ELNS1_3gpuE2ELNS1_3repE0EEENS1_30default_config_static_selectorELNS0_4arch9wavefront6targetE1EEEvT1_, .Lfunc_end235-_ZN7rocprim17ROCPRIM_400000_NS6detail17trampoline_kernelINS0_14default_configENS1_27scan_by_key_config_selectorIiiEEZZNS1_16scan_by_key_implILNS1_25lookback_scan_determinismE0ELb0ES3_N6thrust23THRUST_200600_302600_NS6detail15normal_iteratorINS9_10device_ptrIiEEEESE_SE_iNS9_4plusIvEENS9_8equal_toIiEEiEE10hipError_tPvRmT2_T3_T4_T5_mT6_T7_P12ihipStream_tbENKUlT_T0_E_clISt17integral_constantIbLb0EESY_IbLb1EEEEDaSU_SV_EUlSU_E_NS1_11comp_targetILNS1_3genE8ELNS1_11target_archE1030ELNS1_3gpuE2ELNS1_3repE0EEENS1_30default_config_static_selectorELNS0_4arch9wavefront6targetE1EEEvT1_
                                        ; -- End function
	.section	.AMDGPU.csdata,"",@progbits
; Kernel info:
; codeLenInByte = 0
; NumSgprs: 4
; NumVgprs: 0
; NumAgprs: 0
; TotalNumVgprs: 0
; ScratchSize: 0
; MemoryBound: 0
; FloatMode: 240
; IeeeMode: 1
; LDSByteSize: 0 bytes/workgroup (compile time only)
; SGPRBlocks: 0
; VGPRBlocks: 0
; NumSGPRsForWavesPerEU: 4
; NumVGPRsForWavesPerEU: 1
; AccumOffset: 4
; Occupancy: 8
; WaveLimiterHint : 0
; COMPUTE_PGM_RSRC2:SCRATCH_EN: 0
; COMPUTE_PGM_RSRC2:USER_SGPR: 6
; COMPUTE_PGM_RSRC2:TRAP_HANDLER: 0
; COMPUTE_PGM_RSRC2:TGID_X_EN: 1
; COMPUTE_PGM_RSRC2:TGID_Y_EN: 0
; COMPUTE_PGM_RSRC2:TGID_Z_EN: 0
; COMPUTE_PGM_RSRC2:TIDIG_COMP_CNT: 0
; COMPUTE_PGM_RSRC3_GFX90A:ACCUM_OFFSET: 0
; COMPUTE_PGM_RSRC3_GFX90A:TG_SPLIT: 0
	.section	.text._ZN6thrust23THRUST_200600_302600_NS11hip_rocprim14__parallel_for6kernelILj256ENS1_20__uninitialized_fill7functorINS0_10device_ptrIsEEsEEmLj1EEEvT0_T1_SA_,"axG",@progbits,_ZN6thrust23THRUST_200600_302600_NS11hip_rocprim14__parallel_for6kernelILj256ENS1_20__uninitialized_fill7functorINS0_10device_ptrIsEEsEEmLj1EEEvT0_T1_SA_,comdat
	.protected	_ZN6thrust23THRUST_200600_302600_NS11hip_rocprim14__parallel_for6kernelILj256ENS1_20__uninitialized_fill7functorINS0_10device_ptrIsEEsEEmLj1EEEvT0_T1_SA_ ; -- Begin function _ZN6thrust23THRUST_200600_302600_NS11hip_rocprim14__parallel_for6kernelILj256ENS1_20__uninitialized_fill7functorINS0_10device_ptrIsEEsEEmLj1EEEvT0_T1_SA_
	.globl	_ZN6thrust23THRUST_200600_302600_NS11hip_rocprim14__parallel_for6kernelILj256ENS1_20__uninitialized_fill7functorINS0_10device_ptrIsEEsEEmLj1EEEvT0_T1_SA_
	.p2align	8
	.type	_ZN6thrust23THRUST_200600_302600_NS11hip_rocprim14__parallel_for6kernelILj256ENS1_20__uninitialized_fill7functorINS0_10device_ptrIsEEsEEmLj1EEEvT0_T1_SA_,@function
_ZN6thrust23THRUST_200600_302600_NS11hip_rocprim14__parallel_for6kernelILj256ENS1_20__uninitialized_fill7functorINS0_10device_ptrIsEEsEEmLj1EEEvT0_T1_SA_: ; @_ZN6thrust23THRUST_200600_302600_NS11hip_rocprim14__parallel_for6kernelILj256ENS1_20__uninitialized_fill7functorINS0_10device_ptrIsEEsEEmLj1EEEvT0_T1_SA_
; %bb.0:
	s_load_dwordx4 s[8:11], s[4:5], 0x10
	s_lshl_b32 s0, s6, 8
	v_mov_b32_e32 v2, 0x100
	v_mov_b32_e32 v3, 0
	s_waitcnt lgkmcnt(0)
	s_add_u32 s0, s0, s10
	s_addc_u32 s1, 0, s11
	s_sub_u32 s2, s8, s0
	s_subb_u32 s3, s9, s1
	v_cmp_lt_u64_e32 vcc, s[2:3], v[2:3]
	s_cbranch_vccz .LBB236_2
; %bb.1:
	v_cmp_gt_u32_e32 vcc, s2, v0
	s_and_b64 s[2:3], vcc, exec
	s_cbranch_execz .LBB236_3
	s_branch .LBB236_4
.LBB236_2:
	s_mov_b64 s[2:3], 0
.LBB236_3:
	s_or_b64 s[2:3], s[2:3], exec
.LBB236_4:
	s_and_saveexec_b64 s[6:7], s[2:3]
	s_cbranch_execnz .LBB236_6
; %bb.5:
	s_endpgm
.LBB236_6:
	s_load_dwordx2 s[2:3], s[4:5], 0x0
	s_load_dword s6, s[4:5], 0x8
	s_lshl_b64 s[0:1], s[0:1], 1
	v_mov_b32_e32 v1, 0
	v_lshlrev_b64 v[0:1], 1, v[0:1]
	s_waitcnt lgkmcnt(0)
	s_add_u32 s0, s2, s0
	s_addc_u32 s1, s3, s1
	v_mov_b32_e32 v2, s1
	v_add_co_u32_e32 v0, vcc, s0, v0
	v_addc_co_u32_e32 v1, vcc, v2, v1, vcc
	v_mov_b32_e32 v2, s6
	flat_store_short v[0:1], v2
	s_endpgm
	.section	.rodata,"a",@progbits
	.p2align	6, 0x0
	.amdhsa_kernel _ZN6thrust23THRUST_200600_302600_NS11hip_rocprim14__parallel_for6kernelILj256ENS1_20__uninitialized_fill7functorINS0_10device_ptrIsEEsEEmLj1EEEvT0_T1_SA_
		.amdhsa_group_segment_fixed_size 0
		.amdhsa_private_segment_fixed_size 0
		.amdhsa_kernarg_size 32
		.amdhsa_user_sgpr_count 6
		.amdhsa_user_sgpr_private_segment_buffer 1
		.amdhsa_user_sgpr_dispatch_ptr 0
		.amdhsa_user_sgpr_queue_ptr 0
		.amdhsa_user_sgpr_kernarg_segment_ptr 1
		.amdhsa_user_sgpr_dispatch_id 0
		.amdhsa_user_sgpr_flat_scratch_init 0
		.amdhsa_user_sgpr_kernarg_preload_length 0
		.amdhsa_user_sgpr_kernarg_preload_offset 0
		.amdhsa_user_sgpr_private_segment_size 0
		.amdhsa_uses_dynamic_stack 0
		.amdhsa_system_sgpr_private_segment_wavefront_offset 0
		.amdhsa_system_sgpr_workgroup_id_x 1
		.amdhsa_system_sgpr_workgroup_id_y 0
		.amdhsa_system_sgpr_workgroup_id_z 0
		.amdhsa_system_sgpr_workgroup_info 0
		.amdhsa_system_vgpr_workitem_id 0
		.amdhsa_next_free_vgpr 4
		.amdhsa_next_free_sgpr 12
		.amdhsa_accum_offset 4
		.amdhsa_reserve_vcc 1
		.amdhsa_reserve_flat_scratch 0
		.amdhsa_float_round_mode_32 0
		.amdhsa_float_round_mode_16_64 0
		.amdhsa_float_denorm_mode_32 3
		.amdhsa_float_denorm_mode_16_64 3
		.amdhsa_dx10_clamp 1
		.amdhsa_ieee_mode 1
		.amdhsa_fp16_overflow 0
		.amdhsa_tg_split 0
		.amdhsa_exception_fp_ieee_invalid_op 0
		.amdhsa_exception_fp_denorm_src 0
		.amdhsa_exception_fp_ieee_div_zero 0
		.amdhsa_exception_fp_ieee_overflow 0
		.amdhsa_exception_fp_ieee_underflow 0
		.amdhsa_exception_fp_ieee_inexact 0
		.amdhsa_exception_int_div_zero 0
	.end_amdhsa_kernel
	.section	.text._ZN6thrust23THRUST_200600_302600_NS11hip_rocprim14__parallel_for6kernelILj256ENS1_20__uninitialized_fill7functorINS0_10device_ptrIsEEsEEmLj1EEEvT0_T1_SA_,"axG",@progbits,_ZN6thrust23THRUST_200600_302600_NS11hip_rocprim14__parallel_for6kernelILj256ENS1_20__uninitialized_fill7functorINS0_10device_ptrIsEEsEEmLj1EEEvT0_T1_SA_,comdat
.Lfunc_end236:
	.size	_ZN6thrust23THRUST_200600_302600_NS11hip_rocprim14__parallel_for6kernelILj256ENS1_20__uninitialized_fill7functorINS0_10device_ptrIsEEsEEmLj1EEEvT0_T1_SA_, .Lfunc_end236-_ZN6thrust23THRUST_200600_302600_NS11hip_rocprim14__parallel_for6kernelILj256ENS1_20__uninitialized_fill7functorINS0_10device_ptrIsEEsEEmLj1EEEvT0_T1_SA_
                                        ; -- End function
	.section	.AMDGPU.csdata,"",@progbits
; Kernel info:
; codeLenInByte = 160
; NumSgprs: 16
; NumVgprs: 4
; NumAgprs: 0
; TotalNumVgprs: 4
; ScratchSize: 0
; MemoryBound: 0
; FloatMode: 240
; IeeeMode: 1
; LDSByteSize: 0 bytes/workgroup (compile time only)
; SGPRBlocks: 1
; VGPRBlocks: 0
; NumSGPRsForWavesPerEU: 16
; NumVGPRsForWavesPerEU: 4
; AccumOffset: 4
; Occupancy: 8
; WaveLimiterHint : 0
; COMPUTE_PGM_RSRC2:SCRATCH_EN: 0
; COMPUTE_PGM_RSRC2:USER_SGPR: 6
; COMPUTE_PGM_RSRC2:TRAP_HANDLER: 0
; COMPUTE_PGM_RSRC2:TGID_X_EN: 1
; COMPUTE_PGM_RSRC2:TGID_Y_EN: 0
; COMPUTE_PGM_RSRC2:TGID_Z_EN: 0
; COMPUTE_PGM_RSRC2:TIDIG_COMP_CNT: 0
; COMPUTE_PGM_RSRC3_GFX90A:ACCUM_OFFSET: 0
; COMPUTE_PGM_RSRC3_GFX90A:TG_SPLIT: 0
	.section	.text._ZN7rocprim17ROCPRIM_400000_NS6detail30init_device_scan_by_key_kernelINS1_19lookback_scan_stateINS0_5tupleIJsbEEELb0ELb1EEEN6thrust23THRUST_200600_302600_NS6detail15normal_iteratorINS8_10device_ptrIsEEEEjNS1_16block_id_wrapperIjLb0EEEEEvT_jjPNSG_10value_typeET0_PNSt15iterator_traitsISJ_E10value_typeEmT1_T2_,"axG",@progbits,_ZN7rocprim17ROCPRIM_400000_NS6detail30init_device_scan_by_key_kernelINS1_19lookback_scan_stateINS0_5tupleIJsbEEELb0ELb1EEEN6thrust23THRUST_200600_302600_NS6detail15normal_iteratorINS8_10device_ptrIsEEEEjNS1_16block_id_wrapperIjLb0EEEEEvT_jjPNSG_10value_typeET0_PNSt15iterator_traitsISJ_E10value_typeEmT1_T2_,comdat
	.protected	_ZN7rocprim17ROCPRIM_400000_NS6detail30init_device_scan_by_key_kernelINS1_19lookback_scan_stateINS0_5tupleIJsbEEELb0ELb1EEEN6thrust23THRUST_200600_302600_NS6detail15normal_iteratorINS8_10device_ptrIsEEEEjNS1_16block_id_wrapperIjLb0EEEEEvT_jjPNSG_10value_typeET0_PNSt15iterator_traitsISJ_E10value_typeEmT1_T2_ ; -- Begin function _ZN7rocprim17ROCPRIM_400000_NS6detail30init_device_scan_by_key_kernelINS1_19lookback_scan_stateINS0_5tupleIJsbEEELb0ELb1EEEN6thrust23THRUST_200600_302600_NS6detail15normal_iteratorINS8_10device_ptrIsEEEEjNS1_16block_id_wrapperIjLb0EEEEEvT_jjPNSG_10value_typeET0_PNSt15iterator_traitsISJ_E10value_typeEmT1_T2_
	.globl	_ZN7rocprim17ROCPRIM_400000_NS6detail30init_device_scan_by_key_kernelINS1_19lookback_scan_stateINS0_5tupleIJsbEEELb0ELb1EEEN6thrust23THRUST_200600_302600_NS6detail15normal_iteratorINS8_10device_ptrIsEEEEjNS1_16block_id_wrapperIjLb0EEEEEvT_jjPNSG_10value_typeET0_PNSt15iterator_traitsISJ_E10value_typeEmT1_T2_
	.p2align	8
	.type	_ZN7rocprim17ROCPRIM_400000_NS6detail30init_device_scan_by_key_kernelINS1_19lookback_scan_stateINS0_5tupleIJsbEEELb0ELb1EEEN6thrust23THRUST_200600_302600_NS6detail15normal_iteratorINS8_10device_ptrIsEEEEjNS1_16block_id_wrapperIjLb0EEEEEvT_jjPNSG_10value_typeET0_PNSt15iterator_traitsISJ_E10value_typeEmT1_T2_,@function
_ZN7rocprim17ROCPRIM_400000_NS6detail30init_device_scan_by_key_kernelINS1_19lookback_scan_stateINS0_5tupleIJsbEEELb0ELb1EEEN6thrust23THRUST_200600_302600_NS6detail15normal_iteratorINS8_10device_ptrIsEEEEjNS1_16block_id_wrapperIjLb0EEEEEvT_jjPNSG_10value_typeET0_PNSt15iterator_traitsISJ_E10value_typeEmT1_T2_: ; @_ZN7rocprim17ROCPRIM_400000_NS6detail30init_device_scan_by_key_kernelINS1_19lookback_scan_stateINS0_5tupleIJsbEEELb0ELb1EEEN6thrust23THRUST_200600_302600_NS6detail15normal_iteratorINS8_10device_ptrIsEEEEjNS1_16block_id_wrapperIjLb0EEEEEvT_jjPNSG_10value_typeET0_PNSt15iterator_traitsISJ_E10value_typeEmT1_T2_
; %bb.0:
	s_load_dword s0, s[4:5], 0x44
	s_load_dwordx8 s[8:15], s[4:5], 0x0
	s_load_dword s7, s[4:5], 0x38
	s_waitcnt lgkmcnt(0)
	s_and_b32 s16, s0, 0xffff
	s_mul_i32 s6, s6, s16
	s_cmp_eq_u64 s[12:13], 0
	v_add_u32_e32 v0, s6, v0
	s_cbranch_scc1 .LBB237_6
; %bb.1:
	s_cmp_lt_u32 s11, s10
	s_cselect_b32 s0, s11, 0
	s_mov_b32 s3, 0
	v_cmp_eq_u32_e32 vcc, s0, v0
	s_and_saveexec_b64 s[0:1], vcc
	s_cbranch_execz .LBB237_5
; %bb.2:
	s_add_i32 s2, s11, 64
	s_lshl_b64 s[2:3], s[2:3], 3
	s_add_u32 s2, s8, s2
	s_addc_u32 s3, s9, s3
	v_mov_b32_e32 v4, 0
	global_load_dwordx2 v[2:3], v4, s[2:3] glc
	s_waitcnt vmcnt(0)
	v_and_b32_e32 v5, 0xff, v3
	v_cmp_ne_u64_e32 vcc, 0, v[4:5]
	s_cbranch_vccnz .LBB237_4
.LBB237_3:                              ; =>This Inner Loop Header: Depth=1
	global_load_dwordx2 v[2:3], v4, s[2:3] glc
	s_waitcnt vmcnt(0)
	v_and_b32_e32 v5, 0xff, v3
	v_cmp_eq_u64_e32 vcc, 0, v[4:5]
	s_cbranch_vccnz .LBB237_3
.LBB237_4:
	v_mov_b32_e32 v1, 0
	global_store_short v1, v2, s[12:13]
	global_store_byte_d16_hi v1, v2, s[12:13] offset:2
.LBB237_5:
	s_or_b64 exec, exec, s[0:1]
.LBB237_6:
	v_cmp_gt_u32_e32 vcc, s10, v0
	s_and_saveexec_b64 s[0:1], vcc
	s_cbranch_execz .LBB237_8
; %bb.7:
	v_add_u32_e32 v2, 64, v0
	v_mov_b32_e32 v3, 0
	v_lshlrev_b64 v[4:5], 3, v[2:3]
	v_mov_b32_e32 v1, s9
	v_add_co_u32_e32 v4, vcc, s8, v4
	v_addc_co_u32_e32 v5, vcc, v1, v5, vcc
	v_mov_b32_e32 v2, v3
	global_store_dwordx2 v[4:5], v[2:3], off
.LBB237_8:
	s_or_b64 exec, exec, s[0:1]
	v_cmp_gt_u32_e32 vcc, 64, v0
	v_mov_b32_e32 v1, 0
	s_and_saveexec_b64 s[0:1], vcc
	s_cbranch_execz .LBB237_10
; %bb.9:
	v_lshlrev_b64 v[2:3], 3, v[0:1]
	v_mov_b32_e32 v4, s9
	v_add_co_u32_e32 v2, vcc, s8, v2
	v_addc_co_u32_e32 v3, vcc, v4, v3, vcc
	v_mov_b32_e32 v5, 0xff
	v_mov_b32_e32 v4, v1
	global_store_dwordx2 v[2:3], v[4:5], off
.LBB237_10:
	s_or_b64 exec, exec, s[0:1]
	s_load_dwordx2 s[0:1], s[4:5], 0x28
	s_waitcnt lgkmcnt(0)
	v_cmp_gt_u64_e32 vcc, s[0:1], v[0:1]
	s_and_saveexec_b64 s[2:3], vcc
	s_cbranch_execz .LBB237_13
; %bb.11:
	s_load_dword s10, s[4:5], 0x30
	s_load_dwordx2 s[8:9], s[4:5], 0x20
	s_mov_b32 s5, 0
	s_mov_b32 s3, s5
	s_mul_i32 s2, s7, s16
	s_waitcnt lgkmcnt(0)
	s_add_i32 s4, s10, -1
	s_lshl_b64 s[4:5], s[4:5], 1
	v_mad_u64_u32 v[2:3], s[6:7], s10, v0, 0
	s_add_u32 s4, s14, s4
	v_lshlrev_b64 v[2:3], 1, v[2:3]
	s_addc_u32 s5, s15, s5
	v_mov_b32_e32 v4, s5
	v_add_co_u32_e32 v2, vcc, s4, v2
	v_addc_co_u32_e32 v3, vcc, v4, v3, vcc
	s_mul_hi_u32 s5, s10, s2
	s_mul_i32 s4, s10, s2
	v_lshlrev_b64 v[4:5], 1, v[0:1]
	s_lshl_b64 s[4:5], s[4:5], 1
	v_mov_b32_e32 v6, s9
	v_add_co_u32_e32 v4, vcc, s8, v4
	s_lshl_b64 s[6:7], s[2:3], 1
	v_addc_co_u32_e32 v5, vcc, v6, v5, vcc
	s_mov_b64 s[8:9], 0
	v_mov_b32_e32 v6, s3
	v_mov_b32_e32 v7, s5
	;; [unrolled: 1-line block ×3, first 2 shown]
.LBB237_12:                             ; =>This Inner Loop Header: Depth=1
	global_load_ushort v9, v[2:3], off
	v_add_co_u32_e32 v0, vcc, s2, v0
	v_addc_co_u32_e32 v1, vcc, v1, v6, vcc
	v_add_co_u32_e32 v2, vcc, s4, v2
	v_addc_co_u32_e32 v3, vcc, v3, v7, vcc
	v_cmp_le_u64_e32 vcc, s[0:1], v[0:1]
	s_or_b64 s[8:9], vcc, s[8:9]
	s_waitcnt vmcnt(0)
	global_store_short v[4:5], v9, off
	v_add_co_u32_e32 v4, vcc, s6, v4
	v_addc_co_u32_e32 v5, vcc, v5, v8, vcc
	s_andn2_b64 exec, exec, s[8:9]
	s_cbranch_execnz .LBB237_12
.LBB237_13:
	s_endpgm
	.section	.rodata,"a",@progbits
	.p2align	6, 0x0
	.amdhsa_kernel _ZN7rocprim17ROCPRIM_400000_NS6detail30init_device_scan_by_key_kernelINS1_19lookback_scan_stateINS0_5tupleIJsbEEELb0ELb1EEEN6thrust23THRUST_200600_302600_NS6detail15normal_iteratorINS8_10device_ptrIsEEEEjNS1_16block_id_wrapperIjLb0EEEEEvT_jjPNSG_10value_typeET0_PNSt15iterator_traitsISJ_E10value_typeEmT1_T2_
		.amdhsa_group_segment_fixed_size 0
		.amdhsa_private_segment_fixed_size 0
		.amdhsa_kernarg_size 312
		.amdhsa_user_sgpr_count 6
		.amdhsa_user_sgpr_private_segment_buffer 1
		.amdhsa_user_sgpr_dispatch_ptr 0
		.amdhsa_user_sgpr_queue_ptr 0
		.amdhsa_user_sgpr_kernarg_segment_ptr 1
		.amdhsa_user_sgpr_dispatch_id 0
		.amdhsa_user_sgpr_flat_scratch_init 0
		.amdhsa_user_sgpr_kernarg_preload_length 0
		.amdhsa_user_sgpr_kernarg_preload_offset 0
		.amdhsa_user_sgpr_private_segment_size 0
		.amdhsa_uses_dynamic_stack 0
		.amdhsa_system_sgpr_private_segment_wavefront_offset 0
		.amdhsa_system_sgpr_workgroup_id_x 1
		.amdhsa_system_sgpr_workgroup_id_y 0
		.amdhsa_system_sgpr_workgroup_id_z 0
		.amdhsa_system_sgpr_workgroup_info 0
		.amdhsa_system_vgpr_workitem_id 0
		.amdhsa_next_free_vgpr 10
		.amdhsa_next_free_sgpr 17
		.amdhsa_accum_offset 12
		.amdhsa_reserve_vcc 1
		.amdhsa_reserve_flat_scratch 0
		.amdhsa_float_round_mode_32 0
		.amdhsa_float_round_mode_16_64 0
		.amdhsa_float_denorm_mode_32 3
		.amdhsa_float_denorm_mode_16_64 3
		.amdhsa_dx10_clamp 1
		.amdhsa_ieee_mode 1
		.amdhsa_fp16_overflow 0
		.amdhsa_tg_split 0
		.amdhsa_exception_fp_ieee_invalid_op 0
		.amdhsa_exception_fp_denorm_src 0
		.amdhsa_exception_fp_ieee_div_zero 0
		.amdhsa_exception_fp_ieee_overflow 0
		.amdhsa_exception_fp_ieee_underflow 0
		.amdhsa_exception_fp_ieee_inexact 0
		.amdhsa_exception_int_div_zero 0
	.end_amdhsa_kernel
	.section	.text._ZN7rocprim17ROCPRIM_400000_NS6detail30init_device_scan_by_key_kernelINS1_19lookback_scan_stateINS0_5tupleIJsbEEELb0ELb1EEEN6thrust23THRUST_200600_302600_NS6detail15normal_iteratorINS8_10device_ptrIsEEEEjNS1_16block_id_wrapperIjLb0EEEEEvT_jjPNSG_10value_typeET0_PNSt15iterator_traitsISJ_E10value_typeEmT1_T2_,"axG",@progbits,_ZN7rocprim17ROCPRIM_400000_NS6detail30init_device_scan_by_key_kernelINS1_19lookback_scan_stateINS0_5tupleIJsbEEELb0ELb1EEEN6thrust23THRUST_200600_302600_NS6detail15normal_iteratorINS8_10device_ptrIsEEEEjNS1_16block_id_wrapperIjLb0EEEEEvT_jjPNSG_10value_typeET0_PNSt15iterator_traitsISJ_E10value_typeEmT1_T2_,comdat
.Lfunc_end237:
	.size	_ZN7rocprim17ROCPRIM_400000_NS6detail30init_device_scan_by_key_kernelINS1_19lookback_scan_stateINS0_5tupleIJsbEEELb0ELb1EEEN6thrust23THRUST_200600_302600_NS6detail15normal_iteratorINS8_10device_ptrIsEEEEjNS1_16block_id_wrapperIjLb0EEEEEvT_jjPNSG_10value_typeET0_PNSt15iterator_traitsISJ_E10value_typeEmT1_T2_, .Lfunc_end237-_ZN7rocprim17ROCPRIM_400000_NS6detail30init_device_scan_by_key_kernelINS1_19lookback_scan_stateINS0_5tupleIJsbEEELb0ELb1EEEN6thrust23THRUST_200600_302600_NS6detail15normal_iteratorINS8_10device_ptrIsEEEEjNS1_16block_id_wrapperIjLb0EEEEEvT_jjPNSG_10value_typeET0_PNSt15iterator_traitsISJ_E10value_typeEmT1_T2_
                                        ; -- End function
	.section	.AMDGPU.csdata,"",@progbits
; Kernel info:
; codeLenInByte = 508
; NumSgprs: 21
; NumVgprs: 10
; NumAgprs: 0
; TotalNumVgprs: 10
; ScratchSize: 0
; MemoryBound: 0
; FloatMode: 240
; IeeeMode: 1
; LDSByteSize: 0 bytes/workgroup (compile time only)
; SGPRBlocks: 2
; VGPRBlocks: 1
; NumSGPRsForWavesPerEU: 21
; NumVGPRsForWavesPerEU: 10
; AccumOffset: 12
; Occupancy: 8
; WaveLimiterHint : 0
; COMPUTE_PGM_RSRC2:SCRATCH_EN: 0
; COMPUTE_PGM_RSRC2:USER_SGPR: 6
; COMPUTE_PGM_RSRC2:TRAP_HANDLER: 0
; COMPUTE_PGM_RSRC2:TGID_X_EN: 1
; COMPUTE_PGM_RSRC2:TGID_Y_EN: 0
; COMPUTE_PGM_RSRC2:TGID_Z_EN: 0
; COMPUTE_PGM_RSRC2:TIDIG_COMP_CNT: 0
; COMPUTE_PGM_RSRC3_GFX90A:ACCUM_OFFSET: 2
; COMPUTE_PGM_RSRC3_GFX90A:TG_SPLIT: 0
	.section	.text._ZN7rocprim17ROCPRIM_400000_NS6detail30init_device_scan_by_key_kernelINS1_19lookback_scan_stateINS0_5tupleIJsbEEELb0ELb1EEENS1_16block_id_wrapperIjLb0EEEEEvT_jjPNS9_10value_typeET0_,"axG",@progbits,_ZN7rocprim17ROCPRIM_400000_NS6detail30init_device_scan_by_key_kernelINS1_19lookback_scan_stateINS0_5tupleIJsbEEELb0ELb1EEENS1_16block_id_wrapperIjLb0EEEEEvT_jjPNS9_10value_typeET0_,comdat
	.protected	_ZN7rocprim17ROCPRIM_400000_NS6detail30init_device_scan_by_key_kernelINS1_19lookback_scan_stateINS0_5tupleIJsbEEELb0ELb1EEENS1_16block_id_wrapperIjLb0EEEEEvT_jjPNS9_10value_typeET0_ ; -- Begin function _ZN7rocprim17ROCPRIM_400000_NS6detail30init_device_scan_by_key_kernelINS1_19lookback_scan_stateINS0_5tupleIJsbEEELb0ELb1EEENS1_16block_id_wrapperIjLb0EEEEEvT_jjPNS9_10value_typeET0_
	.globl	_ZN7rocprim17ROCPRIM_400000_NS6detail30init_device_scan_by_key_kernelINS1_19lookback_scan_stateINS0_5tupleIJsbEEELb0ELb1EEENS1_16block_id_wrapperIjLb0EEEEEvT_jjPNS9_10value_typeET0_
	.p2align	8
	.type	_ZN7rocprim17ROCPRIM_400000_NS6detail30init_device_scan_by_key_kernelINS1_19lookback_scan_stateINS0_5tupleIJsbEEELb0ELb1EEENS1_16block_id_wrapperIjLb0EEEEEvT_jjPNS9_10value_typeET0_,@function
_ZN7rocprim17ROCPRIM_400000_NS6detail30init_device_scan_by_key_kernelINS1_19lookback_scan_stateINS0_5tupleIJsbEEELb0ELb1EEENS1_16block_id_wrapperIjLb0EEEEEvT_jjPNS9_10value_typeET0_: ; @_ZN7rocprim17ROCPRIM_400000_NS6detail30init_device_scan_by_key_kernelINS1_19lookback_scan_stateINS0_5tupleIJsbEEELb0ELb1EEENS1_16block_id_wrapperIjLb0EEEEEvT_jjPNS9_10value_typeET0_
; %bb.0:
	s_load_dword s7, s[4:5], 0x2c
	s_load_dwordx2 s[8:9], s[4:5], 0x10
	s_load_dwordx4 s[0:3], s[4:5], 0x0
	s_waitcnt lgkmcnt(0)
	s_and_b32 s4, s7, 0xffff
	s_mul_i32 s6, s6, s4
	s_cmp_eq_u64 s[8:9], 0
	v_add_u32_e32 v0, s6, v0
	s_cbranch_scc1 .LBB238_6
; %bb.1:
	s_cmp_lt_u32 s3, s2
	s_cselect_b32 s4, s3, 0
	s_mov_b32 s7, 0
	v_cmp_eq_u32_e32 vcc, s4, v0
	s_and_saveexec_b64 s[4:5], vcc
	s_cbranch_execz .LBB238_5
; %bb.2:
	s_add_i32 s6, s3, 64
	s_lshl_b64 s[6:7], s[6:7], 3
	s_add_u32 s6, s0, s6
	s_addc_u32 s7, s1, s7
	v_mov_b32_e32 v4, 0
	global_load_dwordx2 v[2:3], v4, s[6:7] glc
	s_waitcnt vmcnt(0)
	v_and_b32_e32 v5, 0xff, v3
	v_cmp_ne_u64_e32 vcc, 0, v[4:5]
	s_cbranch_vccnz .LBB238_4
.LBB238_3:                              ; =>This Inner Loop Header: Depth=1
	global_load_dwordx2 v[2:3], v4, s[6:7] glc
	s_waitcnt vmcnt(0)
	v_and_b32_e32 v5, 0xff, v3
	v_cmp_eq_u64_e32 vcc, 0, v[4:5]
	s_cbranch_vccnz .LBB238_3
.LBB238_4:
	v_mov_b32_e32 v1, 0
	global_store_short v1, v2, s[8:9]
	global_store_byte_d16_hi v1, v2, s[8:9] offset:2
.LBB238_5:
	s_or_b64 exec, exec, s[4:5]
.LBB238_6:
	v_cmp_gt_u32_e32 vcc, s2, v0
	s_and_saveexec_b64 s[2:3], vcc
	s_cbranch_execnz .LBB238_9
; %bb.7:
	s_or_b64 exec, exec, s[2:3]
	v_cmp_gt_u32_e32 vcc, 64, v0
	s_and_saveexec_b64 s[2:3], vcc
	s_cbranch_execnz .LBB238_10
.LBB238_8:
	s_endpgm
.LBB238_9:
	v_add_u32_e32 v2, 64, v0
	v_mov_b32_e32 v3, 0
	v_lshlrev_b64 v[4:5], 3, v[2:3]
	v_mov_b32_e32 v1, s1
	v_add_co_u32_e32 v4, vcc, s0, v4
	v_addc_co_u32_e32 v5, vcc, v1, v5, vcc
	v_mov_b32_e32 v2, v3
	global_store_dwordx2 v[4:5], v[2:3], off
	s_or_b64 exec, exec, s[2:3]
	v_cmp_gt_u32_e32 vcc, 64, v0
	s_and_saveexec_b64 s[2:3], vcc
	s_cbranch_execz .LBB238_8
.LBB238_10:
	v_mov_b32_e32 v1, 0
	v_lshlrev_b64 v[2:3], 3, v[0:1]
	v_mov_b32_e32 v0, s1
	v_add_co_u32_e32 v2, vcc, s0, v2
	v_addc_co_u32_e32 v3, vcc, v0, v3, vcc
	v_mov_b32_e32 v5, 0xff
	v_mov_b32_e32 v4, v1
	global_store_dwordx2 v[2:3], v[4:5], off
	s_endpgm
	.section	.rodata,"a",@progbits
	.p2align	6, 0x0
	.amdhsa_kernel _ZN7rocprim17ROCPRIM_400000_NS6detail30init_device_scan_by_key_kernelINS1_19lookback_scan_stateINS0_5tupleIJsbEEELb0ELb1EEENS1_16block_id_wrapperIjLb0EEEEEvT_jjPNS9_10value_typeET0_
		.amdhsa_group_segment_fixed_size 0
		.amdhsa_private_segment_fixed_size 0
		.amdhsa_kernarg_size 288
		.amdhsa_user_sgpr_count 6
		.amdhsa_user_sgpr_private_segment_buffer 1
		.amdhsa_user_sgpr_dispatch_ptr 0
		.amdhsa_user_sgpr_queue_ptr 0
		.amdhsa_user_sgpr_kernarg_segment_ptr 1
		.amdhsa_user_sgpr_dispatch_id 0
		.amdhsa_user_sgpr_flat_scratch_init 0
		.amdhsa_user_sgpr_kernarg_preload_length 0
		.amdhsa_user_sgpr_kernarg_preload_offset 0
		.amdhsa_user_sgpr_private_segment_size 0
		.amdhsa_uses_dynamic_stack 0
		.amdhsa_system_sgpr_private_segment_wavefront_offset 0
		.amdhsa_system_sgpr_workgroup_id_x 1
		.amdhsa_system_sgpr_workgroup_id_y 0
		.amdhsa_system_sgpr_workgroup_id_z 0
		.amdhsa_system_sgpr_workgroup_info 0
		.amdhsa_system_vgpr_workitem_id 0
		.amdhsa_next_free_vgpr 6
		.amdhsa_next_free_sgpr 10
		.amdhsa_accum_offset 8
		.amdhsa_reserve_vcc 1
		.amdhsa_reserve_flat_scratch 0
		.amdhsa_float_round_mode_32 0
		.amdhsa_float_round_mode_16_64 0
		.amdhsa_float_denorm_mode_32 3
		.amdhsa_float_denorm_mode_16_64 3
		.amdhsa_dx10_clamp 1
		.amdhsa_ieee_mode 1
		.amdhsa_fp16_overflow 0
		.amdhsa_tg_split 0
		.amdhsa_exception_fp_ieee_invalid_op 0
		.amdhsa_exception_fp_denorm_src 0
		.amdhsa_exception_fp_ieee_div_zero 0
		.amdhsa_exception_fp_ieee_overflow 0
		.amdhsa_exception_fp_ieee_underflow 0
		.amdhsa_exception_fp_ieee_inexact 0
		.amdhsa_exception_int_div_zero 0
	.end_amdhsa_kernel
	.section	.text._ZN7rocprim17ROCPRIM_400000_NS6detail30init_device_scan_by_key_kernelINS1_19lookback_scan_stateINS0_5tupleIJsbEEELb0ELb1EEENS1_16block_id_wrapperIjLb0EEEEEvT_jjPNS9_10value_typeET0_,"axG",@progbits,_ZN7rocprim17ROCPRIM_400000_NS6detail30init_device_scan_by_key_kernelINS1_19lookback_scan_stateINS0_5tupleIJsbEEELb0ELb1EEENS1_16block_id_wrapperIjLb0EEEEEvT_jjPNS9_10value_typeET0_,comdat
.Lfunc_end238:
	.size	_ZN7rocprim17ROCPRIM_400000_NS6detail30init_device_scan_by_key_kernelINS1_19lookback_scan_stateINS0_5tupleIJsbEEELb0ELb1EEENS1_16block_id_wrapperIjLb0EEEEEvT_jjPNS9_10value_typeET0_, .Lfunc_end238-_ZN7rocprim17ROCPRIM_400000_NS6detail30init_device_scan_by_key_kernelINS1_19lookback_scan_stateINS0_5tupleIJsbEEELb0ELb1EEENS1_16block_id_wrapperIjLb0EEEEEvT_jjPNS9_10value_typeET0_
                                        ; -- End function
	.section	.AMDGPU.csdata,"",@progbits
; Kernel info:
; codeLenInByte = 312
; NumSgprs: 14
; NumVgprs: 6
; NumAgprs: 0
; TotalNumVgprs: 6
; ScratchSize: 0
; MemoryBound: 0
; FloatMode: 240
; IeeeMode: 1
; LDSByteSize: 0 bytes/workgroup (compile time only)
; SGPRBlocks: 1
; VGPRBlocks: 0
; NumSGPRsForWavesPerEU: 14
; NumVGPRsForWavesPerEU: 6
; AccumOffset: 8
; Occupancy: 8
; WaveLimiterHint : 0
; COMPUTE_PGM_RSRC2:SCRATCH_EN: 0
; COMPUTE_PGM_RSRC2:USER_SGPR: 6
; COMPUTE_PGM_RSRC2:TRAP_HANDLER: 0
; COMPUTE_PGM_RSRC2:TGID_X_EN: 1
; COMPUTE_PGM_RSRC2:TGID_Y_EN: 0
; COMPUTE_PGM_RSRC2:TGID_Z_EN: 0
; COMPUTE_PGM_RSRC2:TIDIG_COMP_CNT: 0
; COMPUTE_PGM_RSRC3_GFX90A:ACCUM_OFFSET: 1
; COMPUTE_PGM_RSRC3_GFX90A:TG_SPLIT: 0
	.section	.text._ZN7rocprim17ROCPRIM_400000_NS6detail17trampoline_kernelINS0_14default_configENS1_27scan_by_key_config_selectorIssEEZZNS1_16scan_by_key_implILNS1_25lookback_scan_determinismE0ELb0ES3_N6thrust23THRUST_200600_302600_NS6detail15normal_iteratorINS9_10device_ptrIsEEEESE_SE_sNS9_4plusIvEENS9_8equal_toIvEEsEE10hipError_tPvRmT2_T3_T4_T5_mT6_T7_P12ihipStream_tbENKUlT_T0_E_clISt17integral_constantIbLb0EESZ_EEDaSU_SV_EUlSU_E_NS1_11comp_targetILNS1_3genE0ELNS1_11target_archE4294967295ELNS1_3gpuE0ELNS1_3repE0EEENS1_30default_config_static_selectorELNS0_4arch9wavefront6targetE1EEEvT1_,"axG",@progbits,_ZN7rocprim17ROCPRIM_400000_NS6detail17trampoline_kernelINS0_14default_configENS1_27scan_by_key_config_selectorIssEEZZNS1_16scan_by_key_implILNS1_25lookback_scan_determinismE0ELb0ES3_N6thrust23THRUST_200600_302600_NS6detail15normal_iteratorINS9_10device_ptrIsEEEESE_SE_sNS9_4plusIvEENS9_8equal_toIvEEsEE10hipError_tPvRmT2_T3_T4_T5_mT6_T7_P12ihipStream_tbENKUlT_T0_E_clISt17integral_constantIbLb0EESZ_EEDaSU_SV_EUlSU_E_NS1_11comp_targetILNS1_3genE0ELNS1_11target_archE4294967295ELNS1_3gpuE0ELNS1_3repE0EEENS1_30default_config_static_selectorELNS0_4arch9wavefront6targetE1EEEvT1_,comdat
	.protected	_ZN7rocprim17ROCPRIM_400000_NS6detail17trampoline_kernelINS0_14default_configENS1_27scan_by_key_config_selectorIssEEZZNS1_16scan_by_key_implILNS1_25lookback_scan_determinismE0ELb0ES3_N6thrust23THRUST_200600_302600_NS6detail15normal_iteratorINS9_10device_ptrIsEEEESE_SE_sNS9_4plusIvEENS9_8equal_toIvEEsEE10hipError_tPvRmT2_T3_T4_T5_mT6_T7_P12ihipStream_tbENKUlT_T0_E_clISt17integral_constantIbLb0EESZ_EEDaSU_SV_EUlSU_E_NS1_11comp_targetILNS1_3genE0ELNS1_11target_archE4294967295ELNS1_3gpuE0ELNS1_3repE0EEENS1_30default_config_static_selectorELNS0_4arch9wavefront6targetE1EEEvT1_ ; -- Begin function _ZN7rocprim17ROCPRIM_400000_NS6detail17trampoline_kernelINS0_14default_configENS1_27scan_by_key_config_selectorIssEEZZNS1_16scan_by_key_implILNS1_25lookback_scan_determinismE0ELb0ES3_N6thrust23THRUST_200600_302600_NS6detail15normal_iteratorINS9_10device_ptrIsEEEESE_SE_sNS9_4plusIvEENS9_8equal_toIvEEsEE10hipError_tPvRmT2_T3_T4_T5_mT6_T7_P12ihipStream_tbENKUlT_T0_E_clISt17integral_constantIbLb0EESZ_EEDaSU_SV_EUlSU_E_NS1_11comp_targetILNS1_3genE0ELNS1_11target_archE4294967295ELNS1_3gpuE0ELNS1_3repE0EEENS1_30default_config_static_selectorELNS0_4arch9wavefront6targetE1EEEvT1_
	.globl	_ZN7rocprim17ROCPRIM_400000_NS6detail17trampoline_kernelINS0_14default_configENS1_27scan_by_key_config_selectorIssEEZZNS1_16scan_by_key_implILNS1_25lookback_scan_determinismE0ELb0ES3_N6thrust23THRUST_200600_302600_NS6detail15normal_iteratorINS9_10device_ptrIsEEEESE_SE_sNS9_4plusIvEENS9_8equal_toIvEEsEE10hipError_tPvRmT2_T3_T4_T5_mT6_T7_P12ihipStream_tbENKUlT_T0_E_clISt17integral_constantIbLb0EESZ_EEDaSU_SV_EUlSU_E_NS1_11comp_targetILNS1_3genE0ELNS1_11target_archE4294967295ELNS1_3gpuE0ELNS1_3repE0EEENS1_30default_config_static_selectorELNS0_4arch9wavefront6targetE1EEEvT1_
	.p2align	8
	.type	_ZN7rocprim17ROCPRIM_400000_NS6detail17trampoline_kernelINS0_14default_configENS1_27scan_by_key_config_selectorIssEEZZNS1_16scan_by_key_implILNS1_25lookback_scan_determinismE0ELb0ES3_N6thrust23THRUST_200600_302600_NS6detail15normal_iteratorINS9_10device_ptrIsEEEESE_SE_sNS9_4plusIvEENS9_8equal_toIvEEsEE10hipError_tPvRmT2_T3_T4_T5_mT6_T7_P12ihipStream_tbENKUlT_T0_E_clISt17integral_constantIbLb0EESZ_EEDaSU_SV_EUlSU_E_NS1_11comp_targetILNS1_3genE0ELNS1_11target_archE4294967295ELNS1_3gpuE0ELNS1_3repE0EEENS1_30default_config_static_selectorELNS0_4arch9wavefront6targetE1EEEvT1_,@function
_ZN7rocprim17ROCPRIM_400000_NS6detail17trampoline_kernelINS0_14default_configENS1_27scan_by_key_config_selectorIssEEZZNS1_16scan_by_key_implILNS1_25lookback_scan_determinismE0ELb0ES3_N6thrust23THRUST_200600_302600_NS6detail15normal_iteratorINS9_10device_ptrIsEEEESE_SE_sNS9_4plusIvEENS9_8equal_toIvEEsEE10hipError_tPvRmT2_T3_T4_T5_mT6_T7_P12ihipStream_tbENKUlT_T0_E_clISt17integral_constantIbLb0EESZ_EEDaSU_SV_EUlSU_E_NS1_11comp_targetILNS1_3genE0ELNS1_11target_archE4294967295ELNS1_3gpuE0ELNS1_3repE0EEENS1_30default_config_static_selectorELNS0_4arch9wavefront6targetE1EEEvT1_: ; @_ZN7rocprim17ROCPRIM_400000_NS6detail17trampoline_kernelINS0_14default_configENS1_27scan_by_key_config_selectorIssEEZZNS1_16scan_by_key_implILNS1_25lookback_scan_determinismE0ELb0ES3_N6thrust23THRUST_200600_302600_NS6detail15normal_iteratorINS9_10device_ptrIsEEEESE_SE_sNS9_4plusIvEENS9_8equal_toIvEEsEE10hipError_tPvRmT2_T3_T4_T5_mT6_T7_P12ihipStream_tbENKUlT_T0_E_clISt17integral_constantIbLb0EESZ_EEDaSU_SV_EUlSU_E_NS1_11comp_targetILNS1_3genE0ELNS1_11target_archE4294967295ELNS1_3gpuE0ELNS1_3repE0EEENS1_30default_config_static_selectorELNS0_4arch9wavefront6targetE1EEEvT1_
; %bb.0:
	.section	.rodata,"a",@progbits
	.p2align	6, 0x0
	.amdhsa_kernel _ZN7rocprim17ROCPRIM_400000_NS6detail17trampoline_kernelINS0_14default_configENS1_27scan_by_key_config_selectorIssEEZZNS1_16scan_by_key_implILNS1_25lookback_scan_determinismE0ELb0ES3_N6thrust23THRUST_200600_302600_NS6detail15normal_iteratorINS9_10device_ptrIsEEEESE_SE_sNS9_4plusIvEENS9_8equal_toIvEEsEE10hipError_tPvRmT2_T3_T4_T5_mT6_T7_P12ihipStream_tbENKUlT_T0_E_clISt17integral_constantIbLb0EESZ_EEDaSU_SV_EUlSU_E_NS1_11comp_targetILNS1_3genE0ELNS1_11target_archE4294967295ELNS1_3gpuE0ELNS1_3repE0EEENS1_30default_config_static_selectorELNS0_4arch9wavefront6targetE1EEEvT1_
		.amdhsa_group_segment_fixed_size 0
		.amdhsa_private_segment_fixed_size 0
		.amdhsa_kernarg_size 112
		.amdhsa_user_sgpr_count 6
		.amdhsa_user_sgpr_private_segment_buffer 1
		.amdhsa_user_sgpr_dispatch_ptr 0
		.amdhsa_user_sgpr_queue_ptr 0
		.amdhsa_user_sgpr_kernarg_segment_ptr 1
		.amdhsa_user_sgpr_dispatch_id 0
		.amdhsa_user_sgpr_flat_scratch_init 0
		.amdhsa_user_sgpr_kernarg_preload_length 0
		.amdhsa_user_sgpr_kernarg_preload_offset 0
		.amdhsa_user_sgpr_private_segment_size 0
		.amdhsa_uses_dynamic_stack 0
		.amdhsa_system_sgpr_private_segment_wavefront_offset 0
		.amdhsa_system_sgpr_workgroup_id_x 1
		.amdhsa_system_sgpr_workgroup_id_y 0
		.amdhsa_system_sgpr_workgroup_id_z 0
		.amdhsa_system_sgpr_workgroup_info 0
		.amdhsa_system_vgpr_workitem_id 0
		.amdhsa_next_free_vgpr 1
		.amdhsa_next_free_sgpr 0
		.amdhsa_accum_offset 4
		.amdhsa_reserve_vcc 0
		.amdhsa_reserve_flat_scratch 0
		.amdhsa_float_round_mode_32 0
		.amdhsa_float_round_mode_16_64 0
		.amdhsa_float_denorm_mode_32 3
		.amdhsa_float_denorm_mode_16_64 3
		.amdhsa_dx10_clamp 1
		.amdhsa_ieee_mode 1
		.amdhsa_fp16_overflow 0
		.amdhsa_tg_split 0
		.amdhsa_exception_fp_ieee_invalid_op 0
		.amdhsa_exception_fp_denorm_src 0
		.amdhsa_exception_fp_ieee_div_zero 0
		.amdhsa_exception_fp_ieee_overflow 0
		.amdhsa_exception_fp_ieee_underflow 0
		.amdhsa_exception_fp_ieee_inexact 0
		.amdhsa_exception_int_div_zero 0
	.end_amdhsa_kernel
	.section	.text._ZN7rocprim17ROCPRIM_400000_NS6detail17trampoline_kernelINS0_14default_configENS1_27scan_by_key_config_selectorIssEEZZNS1_16scan_by_key_implILNS1_25lookback_scan_determinismE0ELb0ES3_N6thrust23THRUST_200600_302600_NS6detail15normal_iteratorINS9_10device_ptrIsEEEESE_SE_sNS9_4plusIvEENS9_8equal_toIvEEsEE10hipError_tPvRmT2_T3_T4_T5_mT6_T7_P12ihipStream_tbENKUlT_T0_E_clISt17integral_constantIbLb0EESZ_EEDaSU_SV_EUlSU_E_NS1_11comp_targetILNS1_3genE0ELNS1_11target_archE4294967295ELNS1_3gpuE0ELNS1_3repE0EEENS1_30default_config_static_selectorELNS0_4arch9wavefront6targetE1EEEvT1_,"axG",@progbits,_ZN7rocprim17ROCPRIM_400000_NS6detail17trampoline_kernelINS0_14default_configENS1_27scan_by_key_config_selectorIssEEZZNS1_16scan_by_key_implILNS1_25lookback_scan_determinismE0ELb0ES3_N6thrust23THRUST_200600_302600_NS6detail15normal_iteratorINS9_10device_ptrIsEEEESE_SE_sNS9_4plusIvEENS9_8equal_toIvEEsEE10hipError_tPvRmT2_T3_T4_T5_mT6_T7_P12ihipStream_tbENKUlT_T0_E_clISt17integral_constantIbLb0EESZ_EEDaSU_SV_EUlSU_E_NS1_11comp_targetILNS1_3genE0ELNS1_11target_archE4294967295ELNS1_3gpuE0ELNS1_3repE0EEENS1_30default_config_static_selectorELNS0_4arch9wavefront6targetE1EEEvT1_,comdat
.Lfunc_end239:
	.size	_ZN7rocprim17ROCPRIM_400000_NS6detail17trampoline_kernelINS0_14default_configENS1_27scan_by_key_config_selectorIssEEZZNS1_16scan_by_key_implILNS1_25lookback_scan_determinismE0ELb0ES3_N6thrust23THRUST_200600_302600_NS6detail15normal_iteratorINS9_10device_ptrIsEEEESE_SE_sNS9_4plusIvEENS9_8equal_toIvEEsEE10hipError_tPvRmT2_T3_T4_T5_mT6_T7_P12ihipStream_tbENKUlT_T0_E_clISt17integral_constantIbLb0EESZ_EEDaSU_SV_EUlSU_E_NS1_11comp_targetILNS1_3genE0ELNS1_11target_archE4294967295ELNS1_3gpuE0ELNS1_3repE0EEENS1_30default_config_static_selectorELNS0_4arch9wavefront6targetE1EEEvT1_, .Lfunc_end239-_ZN7rocprim17ROCPRIM_400000_NS6detail17trampoline_kernelINS0_14default_configENS1_27scan_by_key_config_selectorIssEEZZNS1_16scan_by_key_implILNS1_25lookback_scan_determinismE0ELb0ES3_N6thrust23THRUST_200600_302600_NS6detail15normal_iteratorINS9_10device_ptrIsEEEESE_SE_sNS9_4plusIvEENS9_8equal_toIvEEsEE10hipError_tPvRmT2_T3_T4_T5_mT6_T7_P12ihipStream_tbENKUlT_T0_E_clISt17integral_constantIbLb0EESZ_EEDaSU_SV_EUlSU_E_NS1_11comp_targetILNS1_3genE0ELNS1_11target_archE4294967295ELNS1_3gpuE0ELNS1_3repE0EEENS1_30default_config_static_selectorELNS0_4arch9wavefront6targetE1EEEvT1_
                                        ; -- End function
	.section	.AMDGPU.csdata,"",@progbits
; Kernel info:
; codeLenInByte = 0
; NumSgprs: 4
; NumVgprs: 0
; NumAgprs: 0
; TotalNumVgprs: 0
; ScratchSize: 0
; MemoryBound: 0
; FloatMode: 240
; IeeeMode: 1
; LDSByteSize: 0 bytes/workgroup (compile time only)
; SGPRBlocks: 0
; VGPRBlocks: 0
; NumSGPRsForWavesPerEU: 4
; NumVGPRsForWavesPerEU: 1
; AccumOffset: 4
; Occupancy: 8
; WaveLimiterHint : 0
; COMPUTE_PGM_RSRC2:SCRATCH_EN: 0
; COMPUTE_PGM_RSRC2:USER_SGPR: 6
; COMPUTE_PGM_RSRC2:TRAP_HANDLER: 0
; COMPUTE_PGM_RSRC2:TGID_X_EN: 1
; COMPUTE_PGM_RSRC2:TGID_Y_EN: 0
; COMPUTE_PGM_RSRC2:TGID_Z_EN: 0
; COMPUTE_PGM_RSRC2:TIDIG_COMP_CNT: 0
; COMPUTE_PGM_RSRC3_GFX90A:ACCUM_OFFSET: 0
; COMPUTE_PGM_RSRC3_GFX90A:TG_SPLIT: 0
	.section	.text._ZN7rocprim17ROCPRIM_400000_NS6detail17trampoline_kernelINS0_14default_configENS1_27scan_by_key_config_selectorIssEEZZNS1_16scan_by_key_implILNS1_25lookback_scan_determinismE0ELb0ES3_N6thrust23THRUST_200600_302600_NS6detail15normal_iteratorINS9_10device_ptrIsEEEESE_SE_sNS9_4plusIvEENS9_8equal_toIvEEsEE10hipError_tPvRmT2_T3_T4_T5_mT6_T7_P12ihipStream_tbENKUlT_T0_E_clISt17integral_constantIbLb0EESZ_EEDaSU_SV_EUlSU_E_NS1_11comp_targetILNS1_3genE10ELNS1_11target_archE1201ELNS1_3gpuE5ELNS1_3repE0EEENS1_30default_config_static_selectorELNS0_4arch9wavefront6targetE1EEEvT1_,"axG",@progbits,_ZN7rocprim17ROCPRIM_400000_NS6detail17trampoline_kernelINS0_14default_configENS1_27scan_by_key_config_selectorIssEEZZNS1_16scan_by_key_implILNS1_25lookback_scan_determinismE0ELb0ES3_N6thrust23THRUST_200600_302600_NS6detail15normal_iteratorINS9_10device_ptrIsEEEESE_SE_sNS9_4plusIvEENS9_8equal_toIvEEsEE10hipError_tPvRmT2_T3_T4_T5_mT6_T7_P12ihipStream_tbENKUlT_T0_E_clISt17integral_constantIbLb0EESZ_EEDaSU_SV_EUlSU_E_NS1_11comp_targetILNS1_3genE10ELNS1_11target_archE1201ELNS1_3gpuE5ELNS1_3repE0EEENS1_30default_config_static_selectorELNS0_4arch9wavefront6targetE1EEEvT1_,comdat
	.protected	_ZN7rocprim17ROCPRIM_400000_NS6detail17trampoline_kernelINS0_14default_configENS1_27scan_by_key_config_selectorIssEEZZNS1_16scan_by_key_implILNS1_25lookback_scan_determinismE0ELb0ES3_N6thrust23THRUST_200600_302600_NS6detail15normal_iteratorINS9_10device_ptrIsEEEESE_SE_sNS9_4plusIvEENS9_8equal_toIvEEsEE10hipError_tPvRmT2_T3_T4_T5_mT6_T7_P12ihipStream_tbENKUlT_T0_E_clISt17integral_constantIbLb0EESZ_EEDaSU_SV_EUlSU_E_NS1_11comp_targetILNS1_3genE10ELNS1_11target_archE1201ELNS1_3gpuE5ELNS1_3repE0EEENS1_30default_config_static_selectorELNS0_4arch9wavefront6targetE1EEEvT1_ ; -- Begin function _ZN7rocprim17ROCPRIM_400000_NS6detail17trampoline_kernelINS0_14default_configENS1_27scan_by_key_config_selectorIssEEZZNS1_16scan_by_key_implILNS1_25lookback_scan_determinismE0ELb0ES3_N6thrust23THRUST_200600_302600_NS6detail15normal_iteratorINS9_10device_ptrIsEEEESE_SE_sNS9_4plusIvEENS9_8equal_toIvEEsEE10hipError_tPvRmT2_T3_T4_T5_mT6_T7_P12ihipStream_tbENKUlT_T0_E_clISt17integral_constantIbLb0EESZ_EEDaSU_SV_EUlSU_E_NS1_11comp_targetILNS1_3genE10ELNS1_11target_archE1201ELNS1_3gpuE5ELNS1_3repE0EEENS1_30default_config_static_selectorELNS0_4arch9wavefront6targetE1EEEvT1_
	.globl	_ZN7rocprim17ROCPRIM_400000_NS6detail17trampoline_kernelINS0_14default_configENS1_27scan_by_key_config_selectorIssEEZZNS1_16scan_by_key_implILNS1_25lookback_scan_determinismE0ELb0ES3_N6thrust23THRUST_200600_302600_NS6detail15normal_iteratorINS9_10device_ptrIsEEEESE_SE_sNS9_4plusIvEENS9_8equal_toIvEEsEE10hipError_tPvRmT2_T3_T4_T5_mT6_T7_P12ihipStream_tbENKUlT_T0_E_clISt17integral_constantIbLb0EESZ_EEDaSU_SV_EUlSU_E_NS1_11comp_targetILNS1_3genE10ELNS1_11target_archE1201ELNS1_3gpuE5ELNS1_3repE0EEENS1_30default_config_static_selectorELNS0_4arch9wavefront6targetE1EEEvT1_
	.p2align	8
	.type	_ZN7rocprim17ROCPRIM_400000_NS6detail17trampoline_kernelINS0_14default_configENS1_27scan_by_key_config_selectorIssEEZZNS1_16scan_by_key_implILNS1_25lookback_scan_determinismE0ELb0ES3_N6thrust23THRUST_200600_302600_NS6detail15normal_iteratorINS9_10device_ptrIsEEEESE_SE_sNS9_4plusIvEENS9_8equal_toIvEEsEE10hipError_tPvRmT2_T3_T4_T5_mT6_T7_P12ihipStream_tbENKUlT_T0_E_clISt17integral_constantIbLb0EESZ_EEDaSU_SV_EUlSU_E_NS1_11comp_targetILNS1_3genE10ELNS1_11target_archE1201ELNS1_3gpuE5ELNS1_3repE0EEENS1_30default_config_static_selectorELNS0_4arch9wavefront6targetE1EEEvT1_,@function
_ZN7rocprim17ROCPRIM_400000_NS6detail17trampoline_kernelINS0_14default_configENS1_27scan_by_key_config_selectorIssEEZZNS1_16scan_by_key_implILNS1_25lookback_scan_determinismE0ELb0ES3_N6thrust23THRUST_200600_302600_NS6detail15normal_iteratorINS9_10device_ptrIsEEEESE_SE_sNS9_4plusIvEENS9_8equal_toIvEEsEE10hipError_tPvRmT2_T3_T4_T5_mT6_T7_P12ihipStream_tbENKUlT_T0_E_clISt17integral_constantIbLb0EESZ_EEDaSU_SV_EUlSU_E_NS1_11comp_targetILNS1_3genE10ELNS1_11target_archE1201ELNS1_3gpuE5ELNS1_3repE0EEENS1_30default_config_static_selectorELNS0_4arch9wavefront6targetE1EEEvT1_: ; @_ZN7rocprim17ROCPRIM_400000_NS6detail17trampoline_kernelINS0_14default_configENS1_27scan_by_key_config_selectorIssEEZZNS1_16scan_by_key_implILNS1_25lookback_scan_determinismE0ELb0ES3_N6thrust23THRUST_200600_302600_NS6detail15normal_iteratorINS9_10device_ptrIsEEEESE_SE_sNS9_4plusIvEENS9_8equal_toIvEEsEE10hipError_tPvRmT2_T3_T4_T5_mT6_T7_P12ihipStream_tbENKUlT_T0_E_clISt17integral_constantIbLb0EESZ_EEDaSU_SV_EUlSU_E_NS1_11comp_targetILNS1_3genE10ELNS1_11target_archE1201ELNS1_3gpuE5ELNS1_3repE0EEENS1_30default_config_static_selectorELNS0_4arch9wavefront6targetE1EEEvT1_
; %bb.0:
	.section	.rodata,"a",@progbits
	.p2align	6, 0x0
	.amdhsa_kernel _ZN7rocprim17ROCPRIM_400000_NS6detail17trampoline_kernelINS0_14default_configENS1_27scan_by_key_config_selectorIssEEZZNS1_16scan_by_key_implILNS1_25lookback_scan_determinismE0ELb0ES3_N6thrust23THRUST_200600_302600_NS6detail15normal_iteratorINS9_10device_ptrIsEEEESE_SE_sNS9_4plusIvEENS9_8equal_toIvEEsEE10hipError_tPvRmT2_T3_T4_T5_mT6_T7_P12ihipStream_tbENKUlT_T0_E_clISt17integral_constantIbLb0EESZ_EEDaSU_SV_EUlSU_E_NS1_11comp_targetILNS1_3genE10ELNS1_11target_archE1201ELNS1_3gpuE5ELNS1_3repE0EEENS1_30default_config_static_selectorELNS0_4arch9wavefront6targetE1EEEvT1_
		.amdhsa_group_segment_fixed_size 0
		.amdhsa_private_segment_fixed_size 0
		.amdhsa_kernarg_size 112
		.amdhsa_user_sgpr_count 6
		.amdhsa_user_sgpr_private_segment_buffer 1
		.amdhsa_user_sgpr_dispatch_ptr 0
		.amdhsa_user_sgpr_queue_ptr 0
		.amdhsa_user_sgpr_kernarg_segment_ptr 1
		.amdhsa_user_sgpr_dispatch_id 0
		.amdhsa_user_sgpr_flat_scratch_init 0
		.amdhsa_user_sgpr_kernarg_preload_length 0
		.amdhsa_user_sgpr_kernarg_preload_offset 0
		.amdhsa_user_sgpr_private_segment_size 0
		.amdhsa_uses_dynamic_stack 0
		.amdhsa_system_sgpr_private_segment_wavefront_offset 0
		.amdhsa_system_sgpr_workgroup_id_x 1
		.amdhsa_system_sgpr_workgroup_id_y 0
		.amdhsa_system_sgpr_workgroup_id_z 0
		.amdhsa_system_sgpr_workgroup_info 0
		.amdhsa_system_vgpr_workitem_id 0
		.amdhsa_next_free_vgpr 1
		.amdhsa_next_free_sgpr 0
		.amdhsa_accum_offset 4
		.amdhsa_reserve_vcc 0
		.amdhsa_reserve_flat_scratch 0
		.amdhsa_float_round_mode_32 0
		.amdhsa_float_round_mode_16_64 0
		.amdhsa_float_denorm_mode_32 3
		.amdhsa_float_denorm_mode_16_64 3
		.amdhsa_dx10_clamp 1
		.amdhsa_ieee_mode 1
		.amdhsa_fp16_overflow 0
		.amdhsa_tg_split 0
		.amdhsa_exception_fp_ieee_invalid_op 0
		.amdhsa_exception_fp_denorm_src 0
		.amdhsa_exception_fp_ieee_div_zero 0
		.amdhsa_exception_fp_ieee_overflow 0
		.amdhsa_exception_fp_ieee_underflow 0
		.amdhsa_exception_fp_ieee_inexact 0
		.amdhsa_exception_int_div_zero 0
	.end_amdhsa_kernel
	.section	.text._ZN7rocprim17ROCPRIM_400000_NS6detail17trampoline_kernelINS0_14default_configENS1_27scan_by_key_config_selectorIssEEZZNS1_16scan_by_key_implILNS1_25lookback_scan_determinismE0ELb0ES3_N6thrust23THRUST_200600_302600_NS6detail15normal_iteratorINS9_10device_ptrIsEEEESE_SE_sNS9_4plusIvEENS9_8equal_toIvEEsEE10hipError_tPvRmT2_T3_T4_T5_mT6_T7_P12ihipStream_tbENKUlT_T0_E_clISt17integral_constantIbLb0EESZ_EEDaSU_SV_EUlSU_E_NS1_11comp_targetILNS1_3genE10ELNS1_11target_archE1201ELNS1_3gpuE5ELNS1_3repE0EEENS1_30default_config_static_selectorELNS0_4arch9wavefront6targetE1EEEvT1_,"axG",@progbits,_ZN7rocprim17ROCPRIM_400000_NS6detail17trampoline_kernelINS0_14default_configENS1_27scan_by_key_config_selectorIssEEZZNS1_16scan_by_key_implILNS1_25lookback_scan_determinismE0ELb0ES3_N6thrust23THRUST_200600_302600_NS6detail15normal_iteratorINS9_10device_ptrIsEEEESE_SE_sNS9_4plusIvEENS9_8equal_toIvEEsEE10hipError_tPvRmT2_T3_T4_T5_mT6_T7_P12ihipStream_tbENKUlT_T0_E_clISt17integral_constantIbLb0EESZ_EEDaSU_SV_EUlSU_E_NS1_11comp_targetILNS1_3genE10ELNS1_11target_archE1201ELNS1_3gpuE5ELNS1_3repE0EEENS1_30default_config_static_selectorELNS0_4arch9wavefront6targetE1EEEvT1_,comdat
.Lfunc_end240:
	.size	_ZN7rocprim17ROCPRIM_400000_NS6detail17trampoline_kernelINS0_14default_configENS1_27scan_by_key_config_selectorIssEEZZNS1_16scan_by_key_implILNS1_25lookback_scan_determinismE0ELb0ES3_N6thrust23THRUST_200600_302600_NS6detail15normal_iteratorINS9_10device_ptrIsEEEESE_SE_sNS9_4plusIvEENS9_8equal_toIvEEsEE10hipError_tPvRmT2_T3_T4_T5_mT6_T7_P12ihipStream_tbENKUlT_T0_E_clISt17integral_constantIbLb0EESZ_EEDaSU_SV_EUlSU_E_NS1_11comp_targetILNS1_3genE10ELNS1_11target_archE1201ELNS1_3gpuE5ELNS1_3repE0EEENS1_30default_config_static_selectorELNS0_4arch9wavefront6targetE1EEEvT1_, .Lfunc_end240-_ZN7rocprim17ROCPRIM_400000_NS6detail17trampoline_kernelINS0_14default_configENS1_27scan_by_key_config_selectorIssEEZZNS1_16scan_by_key_implILNS1_25lookback_scan_determinismE0ELb0ES3_N6thrust23THRUST_200600_302600_NS6detail15normal_iteratorINS9_10device_ptrIsEEEESE_SE_sNS9_4plusIvEENS9_8equal_toIvEEsEE10hipError_tPvRmT2_T3_T4_T5_mT6_T7_P12ihipStream_tbENKUlT_T0_E_clISt17integral_constantIbLb0EESZ_EEDaSU_SV_EUlSU_E_NS1_11comp_targetILNS1_3genE10ELNS1_11target_archE1201ELNS1_3gpuE5ELNS1_3repE0EEENS1_30default_config_static_selectorELNS0_4arch9wavefront6targetE1EEEvT1_
                                        ; -- End function
	.section	.AMDGPU.csdata,"",@progbits
; Kernel info:
; codeLenInByte = 0
; NumSgprs: 4
; NumVgprs: 0
; NumAgprs: 0
; TotalNumVgprs: 0
; ScratchSize: 0
; MemoryBound: 0
; FloatMode: 240
; IeeeMode: 1
; LDSByteSize: 0 bytes/workgroup (compile time only)
; SGPRBlocks: 0
; VGPRBlocks: 0
; NumSGPRsForWavesPerEU: 4
; NumVGPRsForWavesPerEU: 1
; AccumOffset: 4
; Occupancy: 8
; WaveLimiterHint : 0
; COMPUTE_PGM_RSRC2:SCRATCH_EN: 0
; COMPUTE_PGM_RSRC2:USER_SGPR: 6
; COMPUTE_PGM_RSRC2:TRAP_HANDLER: 0
; COMPUTE_PGM_RSRC2:TGID_X_EN: 1
; COMPUTE_PGM_RSRC2:TGID_Y_EN: 0
; COMPUTE_PGM_RSRC2:TGID_Z_EN: 0
; COMPUTE_PGM_RSRC2:TIDIG_COMP_CNT: 0
; COMPUTE_PGM_RSRC3_GFX90A:ACCUM_OFFSET: 0
; COMPUTE_PGM_RSRC3_GFX90A:TG_SPLIT: 0
	.section	.text._ZN7rocprim17ROCPRIM_400000_NS6detail17trampoline_kernelINS0_14default_configENS1_27scan_by_key_config_selectorIssEEZZNS1_16scan_by_key_implILNS1_25lookback_scan_determinismE0ELb0ES3_N6thrust23THRUST_200600_302600_NS6detail15normal_iteratorINS9_10device_ptrIsEEEESE_SE_sNS9_4plusIvEENS9_8equal_toIvEEsEE10hipError_tPvRmT2_T3_T4_T5_mT6_T7_P12ihipStream_tbENKUlT_T0_E_clISt17integral_constantIbLb0EESZ_EEDaSU_SV_EUlSU_E_NS1_11comp_targetILNS1_3genE5ELNS1_11target_archE942ELNS1_3gpuE9ELNS1_3repE0EEENS1_30default_config_static_selectorELNS0_4arch9wavefront6targetE1EEEvT1_,"axG",@progbits,_ZN7rocprim17ROCPRIM_400000_NS6detail17trampoline_kernelINS0_14default_configENS1_27scan_by_key_config_selectorIssEEZZNS1_16scan_by_key_implILNS1_25lookback_scan_determinismE0ELb0ES3_N6thrust23THRUST_200600_302600_NS6detail15normal_iteratorINS9_10device_ptrIsEEEESE_SE_sNS9_4plusIvEENS9_8equal_toIvEEsEE10hipError_tPvRmT2_T3_T4_T5_mT6_T7_P12ihipStream_tbENKUlT_T0_E_clISt17integral_constantIbLb0EESZ_EEDaSU_SV_EUlSU_E_NS1_11comp_targetILNS1_3genE5ELNS1_11target_archE942ELNS1_3gpuE9ELNS1_3repE0EEENS1_30default_config_static_selectorELNS0_4arch9wavefront6targetE1EEEvT1_,comdat
	.protected	_ZN7rocprim17ROCPRIM_400000_NS6detail17trampoline_kernelINS0_14default_configENS1_27scan_by_key_config_selectorIssEEZZNS1_16scan_by_key_implILNS1_25lookback_scan_determinismE0ELb0ES3_N6thrust23THRUST_200600_302600_NS6detail15normal_iteratorINS9_10device_ptrIsEEEESE_SE_sNS9_4plusIvEENS9_8equal_toIvEEsEE10hipError_tPvRmT2_T3_T4_T5_mT6_T7_P12ihipStream_tbENKUlT_T0_E_clISt17integral_constantIbLb0EESZ_EEDaSU_SV_EUlSU_E_NS1_11comp_targetILNS1_3genE5ELNS1_11target_archE942ELNS1_3gpuE9ELNS1_3repE0EEENS1_30default_config_static_selectorELNS0_4arch9wavefront6targetE1EEEvT1_ ; -- Begin function _ZN7rocprim17ROCPRIM_400000_NS6detail17trampoline_kernelINS0_14default_configENS1_27scan_by_key_config_selectorIssEEZZNS1_16scan_by_key_implILNS1_25lookback_scan_determinismE0ELb0ES3_N6thrust23THRUST_200600_302600_NS6detail15normal_iteratorINS9_10device_ptrIsEEEESE_SE_sNS9_4plusIvEENS9_8equal_toIvEEsEE10hipError_tPvRmT2_T3_T4_T5_mT6_T7_P12ihipStream_tbENKUlT_T0_E_clISt17integral_constantIbLb0EESZ_EEDaSU_SV_EUlSU_E_NS1_11comp_targetILNS1_3genE5ELNS1_11target_archE942ELNS1_3gpuE9ELNS1_3repE0EEENS1_30default_config_static_selectorELNS0_4arch9wavefront6targetE1EEEvT1_
	.globl	_ZN7rocprim17ROCPRIM_400000_NS6detail17trampoline_kernelINS0_14default_configENS1_27scan_by_key_config_selectorIssEEZZNS1_16scan_by_key_implILNS1_25lookback_scan_determinismE0ELb0ES3_N6thrust23THRUST_200600_302600_NS6detail15normal_iteratorINS9_10device_ptrIsEEEESE_SE_sNS9_4plusIvEENS9_8equal_toIvEEsEE10hipError_tPvRmT2_T3_T4_T5_mT6_T7_P12ihipStream_tbENKUlT_T0_E_clISt17integral_constantIbLb0EESZ_EEDaSU_SV_EUlSU_E_NS1_11comp_targetILNS1_3genE5ELNS1_11target_archE942ELNS1_3gpuE9ELNS1_3repE0EEENS1_30default_config_static_selectorELNS0_4arch9wavefront6targetE1EEEvT1_
	.p2align	8
	.type	_ZN7rocprim17ROCPRIM_400000_NS6detail17trampoline_kernelINS0_14default_configENS1_27scan_by_key_config_selectorIssEEZZNS1_16scan_by_key_implILNS1_25lookback_scan_determinismE0ELb0ES3_N6thrust23THRUST_200600_302600_NS6detail15normal_iteratorINS9_10device_ptrIsEEEESE_SE_sNS9_4plusIvEENS9_8equal_toIvEEsEE10hipError_tPvRmT2_T3_T4_T5_mT6_T7_P12ihipStream_tbENKUlT_T0_E_clISt17integral_constantIbLb0EESZ_EEDaSU_SV_EUlSU_E_NS1_11comp_targetILNS1_3genE5ELNS1_11target_archE942ELNS1_3gpuE9ELNS1_3repE0EEENS1_30default_config_static_selectorELNS0_4arch9wavefront6targetE1EEEvT1_,@function
_ZN7rocprim17ROCPRIM_400000_NS6detail17trampoline_kernelINS0_14default_configENS1_27scan_by_key_config_selectorIssEEZZNS1_16scan_by_key_implILNS1_25lookback_scan_determinismE0ELb0ES3_N6thrust23THRUST_200600_302600_NS6detail15normal_iteratorINS9_10device_ptrIsEEEESE_SE_sNS9_4plusIvEENS9_8equal_toIvEEsEE10hipError_tPvRmT2_T3_T4_T5_mT6_T7_P12ihipStream_tbENKUlT_T0_E_clISt17integral_constantIbLb0EESZ_EEDaSU_SV_EUlSU_E_NS1_11comp_targetILNS1_3genE5ELNS1_11target_archE942ELNS1_3gpuE9ELNS1_3repE0EEENS1_30default_config_static_selectorELNS0_4arch9wavefront6targetE1EEEvT1_: ; @_ZN7rocprim17ROCPRIM_400000_NS6detail17trampoline_kernelINS0_14default_configENS1_27scan_by_key_config_selectorIssEEZZNS1_16scan_by_key_implILNS1_25lookback_scan_determinismE0ELb0ES3_N6thrust23THRUST_200600_302600_NS6detail15normal_iteratorINS9_10device_ptrIsEEEESE_SE_sNS9_4plusIvEENS9_8equal_toIvEEsEE10hipError_tPvRmT2_T3_T4_T5_mT6_T7_P12ihipStream_tbENKUlT_T0_E_clISt17integral_constantIbLb0EESZ_EEDaSU_SV_EUlSU_E_NS1_11comp_targetILNS1_3genE5ELNS1_11target_archE942ELNS1_3gpuE9ELNS1_3repE0EEENS1_30default_config_static_selectorELNS0_4arch9wavefront6targetE1EEEvT1_
; %bb.0:
	.section	.rodata,"a",@progbits
	.p2align	6, 0x0
	.amdhsa_kernel _ZN7rocprim17ROCPRIM_400000_NS6detail17trampoline_kernelINS0_14default_configENS1_27scan_by_key_config_selectorIssEEZZNS1_16scan_by_key_implILNS1_25lookback_scan_determinismE0ELb0ES3_N6thrust23THRUST_200600_302600_NS6detail15normal_iteratorINS9_10device_ptrIsEEEESE_SE_sNS9_4plusIvEENS9_8equal_toIvEEsEE10hipError_tPvRmT2_T3_T4_T5_mT6_T7_P12ihipStream_tbENKUlT_T0_E_clISt17integral_constantIbLb0EESZ_EEDaSU_SV_EUlSU_E_NS1_11comp_targetILNS1_3genE5ELNS1_11target_archE942ELNS1_3gpuE9ELNS1_3repE0EEENS1_30default_config_static_selectorELNS0_4arch9wavefront6targetE1EEEvT1_
		.amdhsa_group_segment_fixed_size 0
		.amdhsa_private_segment_fixed_size 0
		.amdhsa_kernarg_size 112
		.amdhsa_user_sgpr_count 6
		.amdhsa_user_sgpr_private_segment_buffer 1
		.amdhsa_user_sgpr_dispatch_ptr 0
		.amdhsa_user_sgpr_queue_ptr 0
		.amdhsa_user_sgpr_kernarg_segment_ptr 1
		.amdhsa_user_sgpr_dispatch_id 0
		.amdhsa_user_sgpr_flat_scratch_init 0
		.amdhsa_user_sgpr_kernarg_preload_length 0
		.amdhsa_user_sgpr_kernarg_preload_offset 0
		.amdhsa_user_sgpr_private_segment_size 0
		.amdhsa_uses_dynamic_stack 0
		.amdhsa_system_sgpr_private_segment_wavefront_offset 0
		.amdhsa_system_sgpr_workgroup_id_x 1
		.amdhsa_system_sgpr_workgroup_id_y 0
		.amdhsa_system_sgpr_workgroup_id_z 0
		.amdhsa_system_sgpr_workgroup_info 0
		.amdhsa_system_vgpr_workitem_id 0
		.amdhsa_next_free_vgpr 1
		.amdhsa_next_free_sgpr 0
		.amdhsa_accum_offset 4
		.amdhsa_reserve_vcc 0
		.amdhsa_reserve_flat_scratch 0
		.amdhsa_float_round_mode_32 0
		.amdhsa_float_round_mode_16_64 0
		.amdhsa_float_denorm_mode_32 3
		.amdhsa_float_denorm_mode_16_64 3
		.amdhsa_dx10_clamp 1
		.amdhsa_ieee_mode 1
		.amdhsa_fp16_overflow 0
		.amdhsa_tg_split 0
		.amdhsa_exception_fp_ieee_invalid_op 0
		.amdhsa_exception_fp_denorm_src 0
		.amdhsa_exception_fp_ieee_div_zero 0
		.amdhsa_exception_fp_ieee_overflow 0
		.amdhsa_exception_fp_ieee_underflow 0
		.amdhsa_exception_fp_ieee_inexact 0
		.amdhsa_exception_int_div_zero 0
	.end_amdhsa_kernel
	.section	.text._ZN7rocprim17ROCPRIM_400000_NS6detail17trampoline_kernelINS0_14default_configENS1_27scan_by_key_config_selectorIssEEZZNS1_16scan_by_key_implILNS1_25lookback_scan_determinismE0ELb0ES3_N6thrust23THRUST_200600_302600_NS6detail15normal_iteratorINS9_10device_ptrIsEEEESE_SE_sNS9_4plusIvEENS9_8equal_toIvEEsEE10hipError_tPvRmT2_T3_T4_T5_mT6_T7_P12ihipStream_tbENKUlT_T0_E_clISt17integral_constantIbLb0EESZ_EEDaSU_SV_EUlSU_E_NS1_11comp_targetILNS1_3genE5ELNS1_11target_archE942ELNS1_3gpuE9ELNS1_3repE0EEENS1_30default_config_static_selectorELNS0_4arch9wavefront6targetE1EEEvT1_,"axG",@progbits,_ZN7rocprim17ROCPRIM_400000_NS6detail17trampoline_kernelINS0_14default_configENS1_27scan_by_key_config_selectorIssEEZZNS1_16scan_by_key_implILNS1_25lookback_scan_determinismE0ELb0ES3_N6thrust23THRUST_200600_302600_NS6detail15normal_iteratorINS9_10device_ptrIsEEEESE_SE_sNS9_4plusIvEENS9_8equal_toIvEEsEE10hipError_tPvRmT2_T3_T4_T5_mT6_T7_P12ihipStream_tbENKUlT_T0_E_clISt17integral_constantIbLb0EESZ_EEDaSU_SV_EUlSU_E_NS1_11comp_targetILNS1_3genE5ELNS1_11target_archE942ELNS1_3gpuE9ELNS1_3repE0EEENS1_30default_config_static_selectorELNS0_4arch9wavefront6targetE1EEEvT1_,comdat
.Lfunc_end241:
	.size	_ZN7rocprim17ROCPRIM_400000_NS6detail17trampoline_kernelINS0_14default_configENS1_27scan_by_key_config_selectorIssEEZZNS1_16scan_by_key_implILNS1_25lookback_scan_determinismE0ELb0ES3_N6thrust23THRUST_200600_302600_NS6detail15normal_iteratorINS9_10device_ptrIsEEEESE_SE_sNS9_4plusIvEENS9_8equal_toIvEEsEE10hipError_tPvRmT2_T3_T4_T5_mT6_T7_P12ihipStream_tbENKUlT_T0_E_clISt17integral_constantIbLb0EESZ_EEDaSU_SV_EUlSU_E_NS1_11comp_targetILNS1_3genE5ELNS1_11target_archE942ELNS1_3gpuE9ELNS1_3repE0EEENS1_30default_config_static_selectorELNS0_4arch9wavefront6targetE1EEEvT1_, .Lfunc_end241-_ZN7rocprim17ROCPRIM_400000_NS6detail17trampoline_kernelINS0_14default_configENS1_27scan_by_key_config_selectorIssEEZZNS1_16scan_by_key_implILNS1_25lookback_scan_determinismE0ELb0ES3_N6thrust23THRUST_200600_302600_NS6detail15normal_iteratorINS9_10device_ptrIsEEEESE_SE_sNS9_4plusIvEENS9_8equal_toIvEEsEE10hipError_tPvRmT2_T3_T4_T5_mT6_T7_P12ihipStream_tbENKUlT_T0_E_clISt17integral_constantIbLb0EESZ_EEDaSU_SV_EUlSU_E_NS1_11comp_targetILNS1_3genE5ELNS1_11target_archE942ELNS1_3gpuE9ELNS1_3repE0EEENS1_30default_config_static_selectorELNS0_4arch9wavefront6targetE1EEEvT1_
                                        ; -- End function
	.section	.AMDGPU.csdata,"",@progbits
; Kernel info:
; codeLenInByte = 0
; NumSgprs: 4
; NumVgprs: 0
; NumAgprs: 0
; TotalNumVgprs: 0
; ScratchSize: 0
; MemoryBound: 0
; FloatMode: 240
; IeeeMode: 1
; LDSByteSize: 0 bytes/workgroup (compile time only)
; SGPRBlocks: 0
; VGPRBlocks: 0
; NumSGPRsForWavesPerEU: 4
; NumVGPRsForWavesPerEU: 1
; AccumOffset: 4
; Occupancy: 8
; WaveLimiterHint : 0
; COMPUTE_PGM_RSRC2:SCRATCH_EN: 0
; COMPUTE_PGM_RSRC2:USER_SGPR: 6
; COMPUTE_PGM_RSRC2:TRAP_HANDLER: 0
; COMPUTE_PGM_RSRC2:TGID_X_EN: 1
; COMPUTE_PGM_RSRC2:TGID_Y_EN: 0
; COMPUTE_PGM_RSRC2:TGID_Z_EN: 0
; COMPUTE_PGM_RSRC2:TIDIG_COMP_CNT: 0
; COMPUTE_PGM_RSRC3_GFX90A:ACCUM_OFFSET: 0
; COMPUTE_PGM_RSRC3_GFX90A:TG_SPLIT: 0
	.section	.text._ZN7rocprim17ROCPRIM_400000_NS6detail17trampoline_kernelINS0_14default_configENS1_27scan_by_key_config_selectorIssEEZZNS1_16scan_by_key_implILNS1_25lookback_scan_determinismE0ELb0ES3_N6thrust23THRUST_200600_302600_NS6detail15normal_iteratorINS9_10device_ptrIsEEEESE_SE_sNS9_4plusIvEENS9_8equal_toIvEEsEE10hipError_tPvRmT2_T3_T4_T5_mT6_T7_P12ihipStream_tbENKUlT_T0_E_clISt17integral_constantIbLb0EESZ_EEDaSU_SV_EUlSU_E_NS1_11comp_targetILNS1_3genE4ELNS1_11target_archE910ELNS1_3gpuE8ELNS1_3repE0EEENS1_30default_config_static_selectorELNS0_4arch9wavefront6targetE1EEEvT1_,"axG",@progbits,_ZN7rocprim17ROCPRIM_400000_NS6detail17trampoline_kernelINS0_14default_configENS1_27scan_by_key_config_selectorIssEEZZNS1_16scan_by_key_implILNS1_25lookback_scan_determinismE0ELb0ES3_N6thrust23THRUST_200600_302600_NS6detail15normal_iteratorINS9_10device_ptrIsEEEESE_SE_sNS9_4plusIvEENS9_8equal_toIvEEsEE10hipError_tPvRmT2_T3_T4_T5_mT6_T7_P12ihipStream_tbENKUlT_T0_E_clISt17integral_constantIbLb0EESZ_EEDaSU_SV_EUlSU_E_NS1_11comp_targetILNS1_3genE4ELNS1_11target_archE910ELNS1_3gpuE8ELNS1_3repE0EEENS1_30default_config_static_selectorELNS0_4arch9wavefront6targetE1EEEvT1_,comdat
	.protected	_ZN7rocprim17ROCPRIM_400000_NS6detail17trampoline_kernelINS0_14default_configENS1_27scan_by_key_config_selectorIssEEZZNS1_16scan_by_key_implILNS1_25lookback_scan_determinismE0ELb0ES3_N6thrust23THRUST_200600_302600_NS6detail15normal_iteratorINS9_10device_ptrIsEEEESE_SE_sNS9_4plusIvEENS9_8equal_toIvEEsEE10hipError_tPvRmT2_T3_T4_T5_mT6_T7_P12ihipStream_tbENKUlT_T0_E_clISt17integral_constantIbLb0EESZ_EEDaSU_SV_EUlSU_E_NS1_11comp_targetILNS1_3genE4ELNS1_11target_archE910ELNS1_3gpuE8ELNS1_3repE0EEENS1_30default_config_static_selectorELNS0_4arch9wavefront6targetE1EEEvT1_ ; -- Begin function _ZN7rocprim17ROCPRIM_400000_NS6detail17trampoline_kernelINS0_14default_configENS1_27scan_by_key_config_selectorIssEEZZNS1_16scan_by_key_implILNS1_25lookback_scan_determinismE0ELb0ES3_N6thrust23THRUST_200600_302600_NS6detail15normal_iteratorINS9_10device_ptrIsEEEESE_SE_sNS9_4plusIvEENS9_8equal_toIvEEsEE10hipError_tPvRmT2_T3_T4_T5_mT6_T7_P12ihipStream_tbENKUlT_T0_E_clISt17integral_constantIbLb0EESZ_EEDaSU_SV_EUlSU_E_NS1_11comp_targetILNS1_3genE4ELNS1_11target_archE910ELNS1_3gpuE8ELNS1_3repE0EEENS1_30default_config_static_selectorELNS0_4arch9wavefront6targetE1EEEvT1_
	.globl	_ZN7rocprim17ROCPRIM_400000_NS6detail17trampoline_kernelINS0_14default_configENS1_27scan_by_key_config_selectorIssEEZZNS1_16scan_by_key_implILNS1_25lookback_scan_determinismE0ELb0ES3_N6thrust23THRUST_200600_302600_NS6detail15normal_iteratorINS9_10device_ptrIsEEEESE_SE_sNS9_4plusIvEENS9_8equal_toIvEEsEE10hipError_tPvRmT2_T3_T4_T5_mT6_T7_P12ihipStream_tbENKUlT_T0_E_clISt17integral_constantIbLb0EESZ_EEDaSU_SV_EUlSU_E_NS1_11comp_targetILNS1_3genE4ELNS1_11target_archE910ELNS1_3gpuE8ELNS1_3repE0EEENS1_30default_config_static_selectorELNS0_4arch9wavefront6targetE1EEEvT1_
	.p2align	8
	.type	_ZN7rocprim17ROCPRIM_400000_NS6detail17trampoline_kernelINS0_14default_configENS1_27scan_by_key_config_selectorIssEEZZNS1_16scan_by_key_implILNS1_25lookback_scan_determinismE0ELb0ES3_N6thrust23THRUST_200600_302600_NS6detail15normal_iteratorINS9_10device_ptrIsEEEESE_SE_sNS9_4plusIvEENS9_8equal_toIvEEsEE10hipError_tPvRmT2_T3_T4_T5_mT6_T7_P12ihipStream_tbENKUlT_T0_E_clISt17integral_constantIbLb0EESZ_EEDaSU_SV_EUlSU_E_NS1_11comp_targetILNS1_3genE4ELNS1_11target_archE910ELNS1_3gpuE8ELNS1_3repE0EEENS1_30default_config_static_selectorELNS0_4arch9wavefront6targetE1EEEvT1_,@function
_ZN7rocprim17ROCPRIM_400000_NS6detail17trampoline_kernelINS0_14default_configENS1_27scan_by_key_config_selectorIssEEZZNS1_16scan_by_key_implILNS1_25lookback_scan_determinismE0ELb0ES3_N6thrust23THRUST_200600_302600_NS6detail15normal_iteratorINS9_10device_ptrIsEEEESE_SE_sNS9_4plusIvEENS9_8equal_toIvEEsEE10hipError_tPvRmT2_T3_T4_T5_mT6_T7_P12ihipStream_tbENKUlT_T0_E_clISt17integral_constantIbLb0EESZ_EEDaSU_SV_EUlSU_E_NS1_11comp_targetILNS1_3genE4ELNS1_11target_archE910ELNS1_3gpuE8ELNS1_3repE0EEENS1_30default_config_static_selectorELNS0_4arch9wavefront6targetE1EEEvT1_: ; @_ZN7rocprim17ROCPRIM_400000_NS6detail17trampoline_kernelINS0_14default_configENS1_27scan_by_key_config_selectorIssEEZZNS1_16scan_by_key_implILNS1_25lookback_scan_determinismE0ELb0ES3_N6thrust23THRUST_200600_302600_NS6detail15normal_iteratorINS9_10device_ptrIsEEEESE_SE_sNS9_4plusIvEENS9_8equal_toIvEEsEE10hipError_tPvRmT2_T3_T4_T5_mT6_T7_P12ihipStream_tbENKUlT_T0_E_clISt17integral_constantIbLb0EESZ_EEDaSU_SV_EUlSU_E_NS1_11comp_targetILNS1_3genE4ELNS1_11target_archE910ELNS1_3gpuE8ELNS1_3repE0EEENS1_30default_config_static_selectorELNS0_4arch9wavefront6targetE1EEEvT1_
; %bb.0:
	s_load_dwordx8 s[48:55], s[4:5], 0x0
	s_load_dwordx4 s[64:67], s[4:5], 0x28
	s_load_dwordx2 s[70:71], s[4:5], 0x38
	s_load_dword s0, s[4:5], 0x40
	s_load_dwordx8 s[56:63], s[4:5], 0x48
	s_waitcnt lgkmcnt(0)
	s_lshl_b64 s[68:69], s[50:51], 1
	s_add_u32 s2, s48, s68
	s_addc_u32 s3, s49, s69
	s_add_u32 s4, s52, s68
	s_mul_i32 s1, s71, s0
	s_mul_hi_u32 s7, s70, s0
	s_addc_u32 s5, s53, s69
	s_add_i32 s8, s7, s1
	s_mul_i32 s9, s70, s0
	s_cmp_lg_u64 s[60:61], 0
	s_mul_i32 s0, s6, 0x1600
	s_mov_b32 s1, 0
	s_cselect_b64 s[60:61], -1, 0
	s_lshl_b64 s[52:53], s[0:1], 1
	s_add_u32 s50, s2, s52
	s_addc_u32 s51, s3, s53
	s_add_u32 s7, s4, s52
	s_addc_u32 s67, s5, s53
	;; [unrolled: 2-line block ×3, first 2 shown]
	s_add_u32 s2, s56, -1
	s_addc_u32 s3, s57, -1
	v_pk_mov_b32 v[2:3], s[2:3], s[2:3] op_sel:[0,1]
	v_cmp_ge_u64_e64 s[0:1], s[72:73], v[2:3]
	s_mov_b64 s[10:11], 0
	s_mov_b64 s[4:5], -1
	s_and_b64 vcc, exec, s[0:1]
	s_mul_i32 s33, s2, 0xffffea00
	s_barrier
	s_cbranch_vccz .LBB242_117
; %bb.1:
	v_pk_mov_b32 v[2:3], s[50:51], s[50:51] op_sel:[0,1]
	flat_load_ushort v6, v[2:3]
	s_add_i32 s77, s33, s66
	v_cmp_gt_u32_e64 s[2:3], s77, v0
	s_waitcnt vmcnt(0) lgkmcnt(0)
	v_mov_b32_e32 v7, v6
	s_and_saveexec_b64 s[4:5], s[2:3]
	s_cbranch_execz .LBB242_3
; %bb.2:
	v_lshlrev_b32_e32 v1, 1, v0
	v_mov_b32_e32 v3, s51
	v_add_co_u32_e32 v2, vcc, s50, v1
	v_addc_co_u32_e32 v3, vcc, 0, v3, vcc
	flat_load_ushort v7, v[2:3]
.LBB242_3:
	s_or_b64 exec, exec, s[4:5]
	v_or_b32_e32 v1, 0x100, v0
	v_cmp_gt_u32_e64 s[4:5], s77, v1
	v_mov_b32_e32 v8, v6
	s_and_saveexec_b64 s[8:9], s[4:5]
	s_cbranch_execz .LBB242_5
; %bb.4:
	v_lshlrev_b32_e32 v1, 1, v0
	v_mov_b32_e32 v3, s51
	v_add_co_u32_e32 v2, vcc, s50, v1
	v_addc_co_u32_e32 v3, vcc, 0, v3, vcc
	flat_load_ushort v8, v[2:3] offset:512
.LBB242_5:
	s_or_b64 exec, exec, s[8:9]
	v_or_b32_e32 v1, 0x200, v0
	v_cmp_gt_u32_e64 s[48:49], s77, v1
	v_mov_b32_e32 v9, v6
	s_and_saveexec_b64 s[8:9], s[48:49]
	s_cbranch_execz .LBB242_7
; %bb.6:
	v_lshlrev_b32_e32 v1, 1, v0
	v_mov_b32_e32 v3, s51
	v_add_co_u32_e32 v2, vcc, s50, v1
	v_addc_co_u32_e32 v3, vcc, 0, v3, vcc
	flat_load_ushort v9, v[2:3] offset:1024
.LBB242_7:
	;; [unrolled: 13-line block ×7, first 2 shown]
	s_or_b64 exec, exec, s[18:19]
	v_or_b32_e32 v1, 0x800, v0
	v_cmp_gt_u32_e64 s[18:19], s77, v1
	v_lshlrev_b32_e32 v1, 1, v1
	v_mov_b32_e32 v15, v6
	s_and_saveexec_b64 s[20:21], s[18:19]
	s_cbranch_execz .LBB242_19
; %bb.18:
	v_mov_b32_e32 v3, s51
	v_add_co_u32_e32 v2, vcc, s50, v1
	v_addc_co_u32_e32 v3, vcc, 0, v3, vcc
	flat_load_ushort v15, v[2:3]
.LBB242_19:
	s_or_b64 exec, exec, s[20:21]
	v_or_b32_e32 v2, 0x900, v0
	v_cmp_gt_u32_e64 s[20:21], s77, v2
	v_lshlrev_b32_e32 v2, 1, v2
	v_mov_b32_e32 v26, v6
	s_and_saveexec_b64 s[22:23], s[20:21]
	s_cbranch_execz .LBB242_21
; %bb.20:
	v_mov_b32_e32 v3, s51
	v_add_co_u32_e32 v4, vcc, s50, v2
	v_addc_co_u32_e32 v5, vcc, 0, v3, vcc
	flat_load_ushort v26, v[4:5]
.LBB242_21:
	;; [unrolled: 13-line block ×13, first 2 shown]
	s_or_b64 exec, exec, s[46:47]
	v_or_b32_e32 v20, 0x1500, v0
	v_cmp_gt_u32_e64 s[46:47], s77, v20
	v_lshlrev_b32_e32 v25, 1, v20
	s_and_saveexec_b64 s[56:57], s[46:47]
	s_cbranch_execz .LBB242_45
; %bb.44:
	v_mov_b32_e32 v6, s51
	v_add_co_u32_e32 v38, vcc, s50, v25
	v_addc_co_u32_e32 v39, vcc, 0, v6, vcc
	flat_load_ushort v6, v[38:39]
.LBB242_45:
	s_or_b64 exec, exec, s[56:57]
	v_lshlrev_b32_e32 v20, 1, v0
	s_waitcnt vmcnt(0) lgkmcnt(0)
	ds_write_b16 v20, v7
	ds_write_b16 v20, v8 offset:512
	ds_write_b16 v20, v9 offset:1024
	;; [unrolled: 1-line block ×21, first 2 shown]
	v_mad_u32_u24 v37, v0, 42, v20
	s_waitcnt lgkmcnt(0)
	s_barrier
	ds_read2_b32 v[14:15], v37 offset1:1
	ds_read2_b32 v[12:13], v37 offset0:2 offset1:3
	ds_read2_b32 v[10:11], v37 offset0:4 offset1:5
	;; [unrolled: 1-line block ×4, first 2 shown]
	ds_read_b32 v38, v37 offset:40
	s_cmp_eq_u64 s[72:73], 0
	s_mov_b64 s[56:57], s[50:51]
	s_cbranch_scc1 .LBB242_49
; %bb.46:
	s_andn2_b64 vcc, exec, s[60:61]
	s_cbranch_vccnz .LBB242_283
; %bb.47:
	s_lshl_b64 s[56:57], s[72:73], 1
	s_add_u32 s56, s62, s56
	s_addc_u32 s57, s63, s57
	s_add_u32 s56, s56, -2
	s_addc_u32 s57, s57, -1
	s_cbranch_execnz .LBB242_49
.LBB242_48:
	s_add_u32 s56, s50, -2
	s_addc_u32 s57, s51, -1
.LBB242_49:
	v_pk_mov_b32 v[26:27], s[56:57], s[56:57] op_sel:[0,1]
	flat_load_ushort v41, v[26:27]
	s_movk_i32 s56, 0xffd6
	s_waitcnt lgkmcnt(0)
	v_lshrrev_b32_e32 v39, 16, v38
	v_mad_i32_i24 v26, v0, s56, v37
	v_cmp_ne_u32_e32 vcc, 0, v0
	ds_write_b16 v26, v39 offset:11264
	s_waitcnt lgkmcnt(0)
	s_barrier
	s_and_saveexec_b64 s[56:57], vcc
	s_cbranch_execz .LBB242_51
; %bb.50:
	v_mul_i32_i24_e32 v26, 0xffffffd6, v0
	v_add_u32_e32 v26, v37, v26
	s_waitcnt vmcnt(0)
	ds_read_u16 v41, v26 offset:11262
.LBB242_51:
	s_or_b64 exec, exec, s[56:57]
	s_waitcnt lgkmcnt(0)
	s_barrier
	s_waitcnt lgkmcnt(0)
                                        ; implicit-def: $vgpr26
	s_and_saveexec_b64 s[56:57], s[2:3]
	s_cbranch_execnz .LBB242_260
; %bb.52:
	s_or_b64 exec, exec, s[56:57]
                                        ; implicit-def: $vgpr27
	s_and_saveexec_b64 s[2:3], s[4:5]
	s_cbranch_execnz .LBB242_261
.LBB242_53:
	s_or_b64 exec, exec, s[2:3]
                                        ; implicit-def: $vgpr28
	s_and_saveexec_b64 s[2:3], s[48:49]
	s_cbranch_execnz .LBB242_262
.LBB242_54:
	s_or_b64 exec, exec, s[2:3]
                                        ; implicit-def: $vgpr29
	s_and_saveexec_b64 s[2:3], s[8:9]
	s_cbranch_execnz .LBB242_263
.LBB242_55:
	s_or_b64 exec, exec, s[2:3]
                                        ; implicit-def: $vgpr30
	s_and_saveexec_b64 s[2:3], s[10:11]
	s_cbranch_execnz .LBB242_264
.LBB242_56:
	s_or_b64 exec, exec, s[2:3]
                                        ; implicit-def: $vgpr31
	s_and_saveexec_b64 s[2:3], s[12:13]
	s_cbranch_execnz .LBB242_265
.LBB242_57:
	s_or_b64 exec, exec, s[2:3]
                                        ; implicit-def: $vgpr32
	s_and_saveexec_b64 s[2:3], s[14:15]
	s_cbranch_execnz .LBB242_266
.LBB242_58:
	s_or_b64 exec, exec, s[2:3]
                                        ; implicit-def: $vgpr33
	s_and_saveexec_b64 s[2:3], s[16:17]
	s_cbranch_execnz .LBB242_267
.LBB242_59:
	s_or_b64 exec, exec, s[2:3]
                                        ; implicit-def: $vgpr34
	s_and_saveexec_b64 s[2:3], s[18:19]
	s_cbranch_execnz .LBB242_268
.LBB242_60:
	s_or_b64 exec, exec, s[2:3]
                                        ; implicit-def: $vgpr1
	s_and_saveexec_b64 s[2:3], s[20:21]
	s_cbranch_execnz .LBB242_269
.LBB242_61:
	s_or_b64 exec, exec, s[2:3]
                                        ; implicit-def: $vgpr2
	s_and_saveexec_b64 s[2:3], s[22:23]
	s_cbranch_execnz .LBB242_270
.LBB242_62:
	s_or_b64 exec, exec, s[2:3]
                                        ; implicit-def: $vgpr3
	s_and_saveexec_b64 s[2:3], s[24:25]
	s_cbranch_execnz .LBB242_271
.LBB242_63:
	s_or_b64 exec, exec, s[2:3]
                                        ; implicit-def: $vgpr4
	s_and_saveexec_b64 s[2:3], s[26:27]
	s_cbranch_execnz .LBB242_272
.LBB242_64:
	s_or_b64 exec, exec, s[2:3]
                                        ; implicit-def: $vgpr5
	s_and_saveexec_b64 s[2:3], s[28:29]
	s_cbranch_execnz .LBB242_273
.LBB242_65:
	s_or_b64 exec, exec, s[2:3]
                                        ; implicit-def: $vgpr16
	s_and_saveexec_b64 s[2:3], s[30:31]
	s_cbranch_execnz .LBB242_274
.LBB242_66:
	s_or_b64 exec, exec, s[2:3]
                                        ; implicit-def: $vgpr17
	s_and_saveexec_b64 s[2:3], s[34:35]
	s_cbranch_execnz .LBB242_275
.LBB242_67:
	s_or_b64 exec, exec, s[2:3]
                                        ; implicit-def: $vgpr18
	s_and_saveexec_b64 s[2:3], s[36:37]
	s_cbranch_execnz .LBB242_276
.LBB242_68:
	s_or_b64 exec, exec, s[2:3]
                                        ; implicit-def: $vgpr19
	s_and_saveexec_b64 s[2:3], s[38:39]
	s_cbranch_execnz .LBB242_277
.LBB242_69:
	s_or_b64 exec, exec, s[2:3]
                                        ; implicit-def: $vgpr21
	s_and_saveexec_b64 s[2:3], s[40:41]
	s_cbranch_execnz .LBB242_278
.LBB242_70:
	s_or_b64 exec, exec, s[2:3]
                                        ; implicit-def: $vgpr22
	s_and_saveexec_b64 s[2:3], s[42:43]
	s_cbranch_execnz .LBB242_279
.LBB242_71:
	s_or_b64 exec, exec, s[2:3]
                                        ; implicit-def: $vgpr23
	s_and_saveexec_b64 s[2:3], s[44:45]
	s_cbranch_execnz .LBB242_280
.LBB242_72:
	s_or_b64 exec, exec, s[2:3]
                                        ; implicit-def: $vgpr24
	s_and_saveexec_b64 s[2:3], s[46:47]
	s_cbranch_execz .LBB242_74
.LBB242_73:
	v_mov_b32_e32 v35, s67
	v_add_co_u32_e32 v24, vcc, s7, v25
	v_addc_co_u32_e32 v25, vcc, 0, v35, vcc
	flat_load_ushort v24, v[24:25]
.LBB242_74:
	s_or_b64 exec, exec, s[2:3]
	v_mul_u32_u24_e32 v40, 22, v0
	s_waitcnt vmcnt(0) lgkmcnt(0)
	ds_write_b16 v20, v26
	ds_write_b16 v20, v27 offset:512
	ds_write_b16 v20, v28 offset:1024
	ds_write_b16 v20, v29 offset:1536
	ds_write_b16 v20, v30 offset:2048
	ds_write_b16 v20, v31 offset:2560
	ds_write_b16 v20, v32 offset:3072
	ds_write_b16 v20, v33 offset:3584
	ds_write_b16 v20, v34 offset:4096
	ds_write_b16 v20, v1 offset:4608
	ds_write_b16 v20, v2 offset:5120
	ds_write_b16 v20, v3 offset:5632
	ds_write_b16 v20, v4 offset:6144
	ds_write_b16 v20, v5 offset:6656
	ds_write_b16 v20, v16 offset:7168
	ds_write_b16 v20, v17 offset:7680
	ds_write_b16 v20, v18 offset:8192
	ds_write_b16 v20, v19 offset:8704
	ds_write_b16 v20, v21 offset:9216
	ds_write_b16 v20, v22 offset:9728
	ds_write_b16 v20, v23 offset:10240
	ds_write_b16 v20, v24 offset:10752
	v_cmp_gt_u32_e32 vcc, s77, v40
	s_mov_b64 s[4:5], 0
	s_mov_b32 s76, 0
	v_mov_b32_e32 v1, 0
	s_mov_b64 s[10:11], 0
	v_mov_b32_e32 v16, 0
	v_mov_b32_e32 v17, 0
	;; [unrolled: 1-line block ×20, first 2 shown]
	s_waitcnt lgkmcnt(0)
	s_barrier
	s_waitcnt lgkmcnt(0)
                                        ; implicit-def: $sgpr2_sgpr3
                                        ; implicit-def: $vgpr36
	s_and_saveexec_b64 s[8:9], vcc
	s_cbranch_execz .LBB242_116
; %bb.75:
	ds_read_u16 v1, v37
	v_cmp_ne_u16_e32 vcc, v41, v14
	v_or_b32_e32 v2, 1, v40
	v_cndmask_b32_e64 v3, 0, 1, vcc
	v_cmp_gt_u32_e32 vcc, s77, v2
	s_waitcnt lgkmcnt(0)
	v_lshl_or_b32 v1, v3, 16, v1
	s_mov_b64 s[12:13], 0
	v_mov_b32_e32 v16, 0
	v_mov_b32_e32 v17, 0
	;; [unrolled: 1-line block ×20, first 2 shown]
                                        ; implicit-def: $sgpr2_sgpr3
                                        ; implicit-def: $vgpr36
	s_and_saveexec_b64 s[10:11], vcc
	s_cbranch_execz .LBB242_115
; %bb.76:
	ds_read_b128 v[2:5], v37 offset:2
	v_add_u32_e32 v16, 2, v40
	v_cmp_ne_u16_sdwa s[2:3], v14, v14 src0_sel:DWORD src1_sel:WORD_1
	v_cndmask_b32_e64 v17, 0, 1, s[2:3]
	v_cmp_gt_u32_e32 vcc, s77, v16
	s_waitcnt lgkmcnt(0)
	v_and_b32_e32 v16, 0xffff, v2
	v_lshl_or_b32 v16, v17, 16, v16
	s_mov_b64 s[14:15], 0
	v_mov_b32_e32 v17, 0
	v_mov_b32_e32 v18, 0
	;; [unrolled: 1-line block ×19, first 2 shown]
                                        ; implicit-def: $sgpr2_sgpr3
                                        ; implicit-def: $vgpr36
	s_and_saveexec_b64 s[12:13], vcc
	s_cbranch_execz .LBB242_114
; %bb.77:
	v_cmp_ne_u16_sdwa s[2:3], v14, v15 src0_sel:WORD_1 src1_sel:DWORD
	v_add_u32_e32 v18, 3, v40
	v_cndmask_b32_e64 v14, 0, 1, s[2:3]
	v_alignbit_b32 v17, v14, v2, 16
	v_cmp_gt_u32_e32 vcc, s77, v18
	s_mov_b64 s[16:17], 0
	v_mov_b32_e32 v18, 0
	v_mov_b32_e32 v19, 0
	;; [unrolled: 1-line block ×18, first 2 shown]
                                        ; implicit-def: $sgpr2_sgpr3
                                        ; implicit-def: $vgpr36
	s_and_saveexec_b64 s[14:15], vcc
	s_cbranch_execz .LBB242_113
; %bb.78:
	v_cmp_ne_u16_sdwa s[2:3], v15, v15 src0_sel:DWORD src1_sel:WORD_1
	v_and_b32_e32 v2, 0xffff, v3
	v_add_u32_e32 v14, 4, v40
	v_cndmask_b32_e64 v18, 0, 1, s[2:3]
	v_lshl_or_b32 v18, v18, 16, v2
	v_cmp_gt_u32_e32 vcc, s77, v14
	s_mov_b64 s[18:19], 0
	v_mov_b32_e32 v19, 0
	v_mov_b32_e32 v20, 0
	;; [unrolled: 1-line block ×17, first 2 shown]
                                        ; implicit-def: $sgpr2_sgpr3
                                        ; implicit-def: $vgpr36
	s_and_saveexec_b64 s[16:17], vcc
	s_cbranch_execz .LBB242_112
; %bb.79:
	v_cmp_ne_u16_sdwa s[2:3], v15, v12 src0_sel:WORD_1 src1_sel:DWORD
	v_add_u32_e32 v2, 5, v40
	v_cndmask_b32_e64 v14, 0, 1, s[2:3]
	v_alignbit_b32 v19, v14, v3, 16
	v_cmp_gt_u32_e32 vcc, s77, v2
	s_mov_b64 s[20:21], 0
	v_mov_b32_e32 v20, 0
	v_mov_b32_e32 v21, 0
	;; [unrolled: 1-line block ×16, first 2 shown]
                                        ; implicit-def: $sgpr2_sgpr3
                                        ; implicit-def: $vgpr36
	s_and_saveexec_b64 s[18:19], vcc
	s_cbranch_execz .LBB242_111
; %bb.80:
	v_cmp_ne_u16_sdwa s[2:3], v12, v12 src0_sel:DWORD src1_sel:WORD_1
	v_and_b32_e32 v2, 0xffff, v4
	v_add_u32_e32 v3, 6, v40
	v_cndmask_b32_e64 v14, 0, 1, s[2:3]
	v_lshl_or_b32 v20, v14, 16, v2
	v_cmp_gt_u32_e32 vcc, s77, v3
	s_mov_b64 s[22:23], 0
	v_mov_b32_e32 v21, 0
	v_mov_b32_e32 v22, 0
	;; [unrolled: 1-line block ×15, first 2 shown]
                                        ; implicit-def: $sgpr2_sgpr3
                                        ; implicit-def: $vgpr36
	s_and_saveexec_b64 s[20:21], vcc
	s_cbranch_execz .LBB242_110
; %bb.81:
	v_cmp_ne_u16_sdwa s[2:3], v12, v13 src0_sel:WORD_1 src1_sel:DWORD
	v_add_u32_e32 v2, 7, v40
	v_cndmask_b32_e64 v3, 0, 1, s[2:3]
	v_alignbit_b32 v21, v3, v4, 16
	v_cmp_gt_u32_e32 vcc, s77, v2
	s_mov_b64 s[24:25], 0
	v_mov_b32_e32 v22, 0
	v_mov_b32_e32 v23, 0
	;; [unrolled: 1-line block ×14, first 2 shown]
                                        ; implicit-def: $sgpr2_sgpr3
                                        ; implicit-def: $vgpr36
	s_and_saveexec_b64 s[22:23], vcc
	s_cbranch_execz .LBB242_109
; %bb.82:
	v_cmp_ne_u16_sdwa s[2:3], v13, v13 src0_sel:DWORD src1_sel:WORD_1
	v_and_b32_e32 v2, 0xffff, v5
	v_add_u32_e32 v3, 8, v40
	v_cndmask_b32_e64 v4, 0, 1, s[2:3]
	v_lshl_or_b32 v22, v4, 16, v2
	v_cmp_gt_u32_e32 vcc, s77, v3
	s_mov_b64 s[26:27], 0
	v_mov_b32_e32 v23, 0
	v_mov_b32_e32 v24, 0
	;; [unrolled: 1-line block ×13, first 2 shown]
                                        ; implicit-def: $sgpr2_sgpr3
                                        ; implicit-def: $vgpr36
	s_and_saveexec_b64 s[24:25], vcc
	s_cbranch_execz .LBB242_108
; %bb.83:
	v_cmp_ne_u16_sdwa s[2:3], v13, v10 src0_sel:WORD_1 src1_sel:DWORD
	v_add_u32_e32 v2, 9, v40
	v_cndmask_b32_e64 v3, 0, 1, s[2:3]
	v_alignbit_b32 v23, v3, v5, 16
	v_cmp_gt_u32_e32 vcc, s77, v2
	s_mov_b64 s[28:29], 0
	v_mov_b32_e32 v24, 0
	v_mov_b32_e32 v25, 0
	;; [unrolled: 1-line block ×12, first 2 shown]
                                        ; implicit-def: $sgpr2_sgpr3
                                        ; implicit-def: $vgpr36
	s_and_saveexec_b64 s[26:27], vcc
	s_cbranch_execz .LBB242_107
; %bb.84:
	ds_read_b128 v[2:5], v37 offset:18
	v_add_u32_e32 v12, 10, v40
	v_cmp_ne_u16_sdwa s[2:3], v10, v10 src0_sel:DWORD src1_sel:WORD_1
	v_cndmask_b32_e64 v13, 0, 1, s[2:3]
	v_cmp_gt_u32_e32 vcc, s77, v12
	s_waitcnt lgkmcnt(0)
	v_and_b32_e32 v12, 0xffff, v2
	v_lshl_or_b32 v24, v13, 16, v12
	s_mov_b64 s[30:31], 0
	v_mov_b32_e32 v25, 0
	v_mov_b32_e32 v26, 0
	;; [unrolled: 1-line block ×11, first 2 shown]
                                        ; implicit-def: $sgpr2_sgpr3
                                        ; implicit-def: $vgpr36
	s_and_saveexec_b64 s[28:29], vcc
	s_cbranch_execz .LBB242_106
; %bb.85:
	v_cmp_ne_u16_sdwa s[2:3], v10, v11 src0_sel:WORD_1 src1_sel:DWORD
	v_add_u32_e32 v12, 11, v40
	v_cndmask_b32_e64 v10, 0, 1, s[2:3]
	v_alignbit_b32 v25, v10, v2, 16
	v_cmp_gt_u32_e32 vcc, s77, v12
	s_mov_b64 s[34:35], 0
	v_mov_b32_e32 v26, 0
	v_mov_b32_e32 v27, 0
	;; [unrolled: 1-line block ×10, first 2 shown]
                                        ; implicit-def: $sgpr2_sgpr3
                                        ; implicit-def: $vgpr36
	s_and_saveexec_b64 s[30:31], vcc
	s_cbranch_execz .LBB242_105
; %bb.86:
	v_cmp_ne_u16_sdwa s[2:3], v11, v11 src0_sel:DWORD src1_sel:WORD_1
	v_and_b32_e32 v2, 0xffff, v3
	v_add_u32_e32 v10, 12, v40
	v_cndmask_b32_e64 v12, 0, 1, s[2:3]
	v_lshl_or_b32 v26, v12, 16, v2
	v_cmp_gt_u32_e32 vcc, s77, v10
	s_mov_b64 s[36:37], 0
	v_mov_b32_e32 v27, 0
	v_mov_b32_e32 v28, 0
	;; [unrolled: 1-line block ×9, first 2 shown]
                                        ; implicit-def: $sgpr2_sgpr3
                                        ; implicit-def: $vgpr36
	s_and_saveexec_b64 s[34:35], vcc
	s_cbranch_execz .LBB242_104
; %bb.87:
	v_cmp_ne_u16_sdwa s[2:3], v11, v8 src0_sel:WORD_1 src1_sel:DWORD
	v_add_u32_e32 v2, 13, v40
	v_cndmask_b32_e64 v10, 0, 1, s[2:3]
	v_alignbit_b32 v27, v10, v3, 16
	v_cmp_gt_u32_e32 vcc, s77, v2
	s_mov_b64 s[38:39], 0
	v_mov_b32_e32 v28, 0
	v_mov_b32_e32 v29, 0
	;; [unrolled: 1-line block ×8, first 2 shown]
                                        ; implicit-def: $sgpr2_sgpr3
                                        ; implicit-def: $vgpr36
	s_and_saveexec_b64 s[36:37], vcc
	s_cbranch_execz .LBB242_103
; %bb.88:
	v_cmp_ne_u16_sdwa s[2:3], v8, v8 src0_sel:DWORD src1_sel:WORD_1
	v_and_b32_e32 v2, 0xffff, v4
	v_add_u32_e32 v3, 14, v40
	v_cndmask_b32_e64 v10, 0, 1, s[2:3]
	v_lshl_or_b32 v28, v10, 16, v2
	v_cmp_gt_u32_e32 vcc, s77, v3
	s_mov_b64 s[40:41], 0
	v_mov_b32_e32 v29, 0
	v_mov_b32_e32 v30, 0
	;; [unrolled: 1-line block ×7, first 2 shown]
                                        ; implicit-def: $sgpr2_sgpr3
                                        ; implicit-def: $vgpr36
	s_and_saveexec_b64 s[38:39], vcc
	s_cbranch_execz .LBB242_102
; %bb.89:
	v_cmp_ne_u16_sdwa s[2:3], v8, v9 src0_sel:WORD_1 src1_sel:DWORD
	v_add_u32_e32 v2, 15, v40
	v_cndmask_b32_e64 v3, 0, 1, s[2:3]
	v_alignbit_b32 v29, v3, v4, 16
	v_cmp_gt_u32_e32 vcc, s77, v2
	s_mov_b64 s[42:43], 0
	v_mov_b32_e32 v30, 0
	v_mov_b32_e32 v31, 0
	;; [unrolled: 1-line block ×6, first 2 shown]
                                        ; implicit-def: $sgpr2_sgpr3
                                        ; implicit-def: $vgpr36
	s_and_saveexec_b64 s[40:41], vcc
	s_cbranch_execz .LBB242_101
; %bb.90:
	v_cmp_ne_u16_sdwa s[2:3], v9, v9 src0_sel:DWORD src1_sel:WORD_1
	v_and_b32_e32 v2, 0xffff, v5
	v_add_u32_e32 v3, 16, v40
	v_cndmask_b32_e64 v4, 0, 1, s[2:3]
	v_lshl_or_b32 v30, v4, 16, v2
	v_cmp_gt_u32_e32 vcc, s77, v3
	s_mov_b64 s[44:45], 0
	v_mov_b32_e32 v31, 0
	v_mov_b32_e32 v32, 0
	;; [unrolled: 1-line block ×5, first 2 shown]
                                        ; implicit-def: $sgpr2_sgpr3
                                        ; implicit-def: $vgpr36
	s_and_saveexec_b64 s[42:43], vcc
	s_cbranch_execz .LBB242_100
; %bb.91:
	v_cmp_ne_u16_sdwa s[2:3], v9, v6 src0_sel:WORD_1 src1_sel:DWORD
	v_add_u32_e32 v2, 17, v40
	v_cndmask_b32_e64 v3, 0, 1, s[2:3]
	v_alignbit_b32 v31, v3, v5, 16
	v_cmp_gt_u32_e32 vcc, s77, v2
	s_mov_b64 s[46:47], 0
	v_mov_b32_e32 v32, 0
	v_mov_b32_e32 v33, 0
	;; [unrolled: 1-line block ×4, first 2 shown]
                                        ; implicit-def: $sgpr2_sgpr3
                                        ; implicit-def: $vgpr36
	s_and_saveexec_b64 s[44:45], vcc
	s_cbranch_execz .LBB242_99
; %bb.92:
	ds_read_b64 v[2:3], v37 offset:34
	v_add_u32_e32 v4, 18, v40
	v_cmp_ne_u16_sdwa s[2:3], v6, v6 src0_sel:DWORD src1_sel:WORD_1
	v_cndmask_b32_e64 v5, 0, 1, s[2:3]
	v_cmp_gt_u32_e32 vcc, s77, v4
	s_waitcnt lgkmcnt(0)
	v_and_b32_e32 v4, 0xffff, v2
	v_lshl_or_b32 v32, v5, 16, v4
	s_mov_b64 s[48:49], 0
	v_mov_b32_e32 v33, 0
	v_mov_b32_e32 v34, 0
	;; [unrolled: 1-line block ×3, first 2 shown]
                                        ; implicit-def: $sgpr2_sgpr3
                                        ; implicit-def: $vgpr36
	s_and_saveexec_b64 s[46:47], vcc
	s_cbranch_execz .LBB242_98
; %bb.93:
	v_cmp_ne_u16_sdwa s[2:3], v6, v7 src0_sel:WORD_1 src1_sel:DWORD
	v_add_u32_e32 v4, 19, v40
	v_cndmask_b32_e64 v5, 0, 1, s[2:3]
	v_alignbit_b32 v33, v5, v2, 16
	v_cmp_gt_u32_e32 vcc, s77, v4
	s_mov_b64 s[56:57], 0
	v_mov_b32_e32 v34, 0
	v_mov_b32_e32 v35, 0
                                        ; implicit-def: $sgpr74_sgpr75
                                        ; implicit-def: $vgpr36
	s_and_saveexec_b64 s[48:49], vcc
	s_cbranch_execz .LBB242_97
; %bb.94:
	v_cmp_ne_u16_sdwa s[2:3], v7, v7 src0_sel:DWORD src1_sel:WORD_1
	v_and_b32_e32 v2, 0xffff, v3
	v_add_u32_e32 v4, 20, v40
	v_cndmask_b32_e64 v5, 0, 1, s[2:3]
	v_lshl_or_b32 v34, v5, 16, v2
	v_cmp_gt_u32_e32 vcc, s77, v4
	s_mov_b64 s[2:3], 0
	v_mov_b32_e32 v35, 0
                                        ; implicit-def: $sgpr56_sgpr57
                                        ; implicit-def: $vgpr36
	s_and_saveexec_b64 s[74:75], vcc
	s_xor_b64 s[74:75], exec, s[74:75]
	s_cbranch_execz .LBB242_96
; %bb.95:
	ds_read_u16 v36, v37 offset:42
	v_add_u32_e32 v2, 21, v40
	v_cmp_ne_u16_sdwa s[2:3], v7, v38 src0_sel:WORD_1 src1_sel:DWORD
	v_cmp_ne_u16_e32 vcc, v38, v39
	v_cndmask_b32_e64 v4, 0, 1, s[2:3]
	v_cmp_gt_u32_e64 s[2:3], s77, v2
	v_alignbit_b32 v35, v4, v3, 16
	s_and_b64 s[56:57], vcc, exec
	s_and_b64 s[2:3], s[2:3], exec
.LBB242_96:
	s_or_b64 exec, exec, s[74:75]
	s_and_b64 s[74:75], s[56:57], exec
	s_and_b64 s[56:57], s[2:3], exec
.LBB242_97:
	s_or_b64 exec, exec, s[48:49]
	s_and_b64 s[2:3], s[74:75], exec
	s_and_b64 s[48:49], s[56:57], exec
.LBB242_98:
	s_or_b64 exec, exec, s[46:47]
	s_and_b64 s[2:3], s[2:3], exec
	s_and_b64 s[46:47], s[48:49], exec
.LBB242_99:
	s_or_b64 exec, exec, s[44:45]
	s_and_b64 s[2:3], s[2:3], exec
	s_and_b64 s[44:45], s[46:47], exec
.LBB242_100:
	s_or_b64 exec, exec, s[42:43]
	s_and_b64 s[2:3], s[2:3], exec
	s_and_b64 s[42:43], s[44:45], exec
.LBB242_101:
	s_or_b64 exec, exec, s[40:41]
	s_and_b64 s[2:3], s[2:3], exec
	s_and_b64 s[40:41], s[42:43], exec
.LBB242_102:
	s_or_b64 exec, exec, s[38:39]
	s_and_b64 s[2:3], s[2:3], exec
	s_and_b64 s[38:39], s[40:41], exec
.LBB242_103:
	s_or_b64 exec, exec, s[36:37]
	s_and_b64 s[2:3], s[2:3], exec
	s_and_b64 s[36:37], s[38:39], exec
.LBB242_104:
	s_or_b64 exec, exec, s[34:35]
	s_and_b64 s[2:3], s[2:3], exec
	s_and_b64 s[34:35], s[36:37], exec
.LBB242_105:
	s_or_b64 exec, exec, s[30:31]
	s_and_b64 s[2:3], s[2:3], exec
	s_and_b64 s[30:31], s[34:35], exec
.LBB242_106:
	s_or_b64 exec, exec, s[28:29]
	s_and_b64 s[2:3], s[2:3], exec
	s_and_b64 s[28:29], s[30:31], exec
.LBB242_107:
	s_or_b64 exec, exec, s[26:27]
	s_and_b64 s[2:3], s[2:3], exec
	s_and_b64 s[26:27], s[28:29], exec
.LBB242_108:
	s_or_b64 exec, exec, s[24:25]
	s_and_b64 s[2:3], s[2:3], exec
	s_and_b64 s[24:25], s[26:27], exec
.LBB242_109:
	s_or_b64 exec, exec, s[22:23]
	s_and_b64 s[2:3], s[2:3], exec
	s_and_b64 s[22:23], s[24:25], exec
.LBB242_110:
	s_or_b64 exec, exec, s[20:21]
	s_and_b64 s[2:3], s[2:3], exec
	s_and_b64 s[20:21], s[22:23], exec
.LBB242_111:
	s_or_b64 exec, exec, s[18:19]
	s_and_b64 s[2:3], s[2:3], exec
	s_and_b64 s[18:19], s[20:21], exec
.LBB242_112:
	s_or_b64 exec, exec, s[16:17]
	s_and_b64 s[2:3], s[2:3], exec
	s_and_b64 s[16:17], s[18:19], exec
.LBB242_113:
	s_or_b64 exec, exec, s[14:15]
	s_and_b64 s[2:3], s[2:3], exec
	s_and_b64 s[14:15], s[16:17], exec
.LBB242_114:
	s_or_b64 exec, exec, s[12:13]
	s_and_b64 s[2:3], s[2:3], exec
	s_and_b64 s[12:13], s[14:15], exec
.LBB242_115:
	s_or_b64 exec, exec, s[10:11]
	s_and_b64 s[2:3], s[2:3], exec
	s_and_b64 s[10:11], s[12:13], exec
.LBB242_116:
	s_or_b64 exec, exec, s[8:9]
	s_and_b64 vcc, exec, s[4:5]
	v_lshlrev_b32_e32 v12, 1, v0
	s_cbranch_vccnz .LBB242_118
	s_branch .LBB242_126
.LBB242_117:
                                        ; implicit-def: $sgpr2_sgpr3
                                        ; implicit-def: $vgpr36
                                        ; implicit-def: $vgpr1
                                        ; implicit-def: $vgpr16
                                        ; implicit-def: $vgpr17
                                        ; implicit-def: $vgpr18
                                        ; implicit-def: $vgpr19
                                        ; implicit-def: $vgpr20
                                        ; implicit-def: $vgpr21
                                        ; implicit-def: $vgpr22
                                        ; implicit-def: $vgpr23
                                        ; implicit-def: $vgpr24
                                        ; implicit-def: $vgpr25
                                        ; implicit-def: $vgpr26
                                        ; implicit-def: $vgpr27
                                        ; implicit-def: $vgpr28
                                        ; implicit-def: $vgpr29
                                        ; implicit-def: $vgpr30
                                        ; implicit-def: $vgpr31
                                        ; implicit-def: $vgpr32
                                        ; implicit-def: $vgpr33
                                        ; implicit-def: $vgpr34
                                        ; implicit-def: $vgpr35
                                        ; implicit-def: $sgpr76
	s_and_b64 vcc, exec, s[4:5]
	v_lshlrev_b32_e32 v12, 1, v0
	s_cbranch_vccz .LBB242_126
.LBB242_118:
	v_mov_b32_e32 v1, s51
	v_add_co_u32_e32 v2, vcc, s50, v12
	v_addc_co_u32_e32 v3, vcc, 0, v1, vcc
	v_add_co_u32_e32 v4, vcc, 0x1000, v2
	v_addc_co_u32_e32 v5, vcc, 0, v3, vcc
	flat_load_ushort v6, v[2:3]
	flat_load_ushort v7, v[2:3] offset:512
	flat_load_ushort v8, v[2:3] offset:1024
	;; [unrolled: 1-line block ×7, first 2 shown]
	v_add_co_u32_e32 v2, vcc, 0x2000, v2
	v_addc_co_u32_e32 v3, vcc, 0, v3, vcc
	flat_load_ushort v15, v[4:5]
	flat_load_ushort v16, v[4:5] offset:512
	flat_load_ushort v17, v[4:5] offset:1024
	;; [unrolled: 1-line block ×7, first 2 shown]
	s_nop 0
	flat_load_ushort v4, v[2:3]
	flat_load_ushort v5, v[2:3] offset:512
	flat_load_ushort v23, v[2:3] offset:1024
	;; [unrolled: 1-line block ×5, first 2 shown]
	v_mad_u32_u24 v1, v0, 42, v12
	s_cmp_eq_u64 s[72:73], 0
	s_waitcnt vmcnt(0) lgkmcnt(0)
	ds_write_b16 v12, v6
	ds_write_b16 v12, v7 offset:512
	ds_write_b16 v12, v8 offset:1024
	;; [unrolled: 1-line block ×21, first 2 shown]
	s_waitcnt lgkmcnt(0)
	s_barrier
	ds_read2_b32 v[10:11], v1 offset1:1
	ds_read2_b32 v[8:9], v1 offset0:2 offset1:3
	ds_read2_b32 v[6:7], v1 offset0:4 offset1:5
	;; [unrolled: 1-line block ×4, first 2 shown]
	ds_read_b32 v13, v1 offset:40
	s_cbranch_scc1 .LBB242_123
; %bb.119:
	s_andn2_b64 vcc, exec, s[60:61]
	s_cbranch_vccnz .LBB242_284
; %bb.120:
	s_lshl_b64 s[2:3], s[72:73], 1
	s_add_u32 s2, s62, s2
	s_addc_u32 s3, s63, s3
	s_add_u32 s2, s2, -2
	s_addc_u32 s3, s3, -1
	s_cbranch_execnz .LBB242_122
.LBB242_121:
	s_add_u32 s2, s50, -2
	s_addc_u32 s3, s51, -1
.LBB242_122:
	s_mov_b64 s[50:51], s[2:3]
.LBB242_123:
	v_pk_mov_b32 v[14:15], s[50:51], s[50:51] op_sel:[0,1]
	flat_load_ushort v15, v[14:15]
	s_movk_i32 s2, 0xffd6
	s_waitcnt lgkmcnt(0)
	v_lshrrev_b32_e32 v14, 16, v13
	v_mad_i32_i24 v16, v0, s2, v1
	v_cmp_ne_u32_e32 vcc, 0, v0
	ds_write_b16 v16, v14 offset:11264
	s_waitcnt lgkmcnt(0)
	s_barrier
	s_and_saveexec_b64 s[2:3], vcc
	s_cbranch_execz .LBB242_125
; %bb.124:
	s_waitcnt vmcnt(0)
	v_mul_i32_i24_e32 v15, 0xffffffd6, v0
	v_add_u32_e32 v15, v1, v15
	ds_read_u16 v15, v15 offset:11262
.LBB242_125:
	s_or_b64 exec, exec, s[2:3]
	v_mov_b32_e32 v17, s67
	v_add_co_u32_e32 v16, vcc, s7, v12
	v_addc_co_u32_e32 v17, vcc, 0, v17, vcc
	s_movk_i32 s2, 0x1000
	v_add_co_u32_e32 v18, vcc, s2, v16
	v_addc_co_u32_e32 v19, vcc, 0, v17, vcc
	s_movk_i32 s2, 0x2000
	s_waitcnt lgkmcnt(0)
	s_barrier
	flat_load_ushort v20, v[16:17]
	flat_load_ushort v21, v[16:17] offset:512
	flat_load_ushort v22, v[16:17] offset:1024
	;; [unrolled: 1-line block ×7, first 2 shown]
	v_add_co_u32_e32 v16, vcc, s2, v16
	v_addc_co_u32_e32 v17, vcc, 0, v17, vcc
	flat_load_ushort v28, v[18:19]
	flat_load_ushort v29, v[18:19] offset:512
	flat_load_ushort v30, v[18:19] offset:1024
	;; [unrolled: 1-line block ×7, first 2 shown]
	s_nop 0
	flat_load_ushort v18, v[16:17]
	flat_load_ushort v19, v[16:17] offset:512
	flat_load_ushort v36, v[16:17] offset:1024
	;; [unrolled: 1-line block ×5, first 2 shown]
	v_cmp_ne_u16_sdwa s[4:5], v10, v10 src0_sel:DWORD src1_sel:WORD_1
	v_cndmask_b32_e64 v16, 0, 1, s[4:5]
	v_cmp_ne_u16_sdwa s[4:5], v10, v11 src0_sel:WORD_1 src1_sel:DWORD
	v_cndmask_b32_e64 v40, 0, 1, s[4:5]
	v_cmp_ne_u16_sdwa s[4:5], v11, v11 src0_sel:DWORD src1_sel:WORD_1
	v_cmp_ne_u16_e64 s[2:3], v13, v14
	s_waitcnt vmcnt(0)
	v_cmp_ne_u16_e32 vcc, v15, v10
	v_cndmask_b32_e64 v41, 0, 1, s[4:5]
	v_cmp_ne_u16_sdwa s[4:5], v11, v8 src0_sel:WORD_1 src1_sel:DWORD
	v_cndmask_b32_e64 v17, 0, 1, vcc
	v_cndmask_b32_e64 v42, 0, 1, s[4:5]
	v_cmp_ne_u16_sdwa s[4:5], v8, v8 src0_sel:DWORD src1_sel:WORD_1
	s_mov_b64 s[10:11], -1
                                        ; implicit-def: $sgpr76
	s_waitcnt lgkmcnt(0)
	ds_write_b16 v12, v20
	ds_write_b16 v12, v21 offset:512
	ds_write_b16 v12, v22 offset:1024
	;; [unrolled: 1-line block ×21, first 2 shown]
	s_waitcnt lgkmcnt(0)
	s_barrier
	ds_read2_b32 v[10:11], v1 offset0:8 offset1:9
	ds_read_b32 v35, v1 offset:40
	ds_read2_b32 v[14:15], v1 offset1:1
	ds_read2_b32 v[22:23], v1 offset0:2 offset1:3
	ds_read2_b32 v[26:27], v1 offset0:4 offset1:5
	;; [unrolled: 1-line block ×3, first 2 shown]
	s_waitcnt lgkmcnt(4)
	v_lshrrev_b32_e32 v36, 16, v35
	s_waitcnt lgkmcnt(3)
	v_and_b32_e32 v1, 0xffff, v14
	v_alignbit_b32 v16, v16, v14, 16
	v_and_b32_e32 v14, 0xffff, v15
	v_lshl_or_b32 v1, v17, 16, v1
	v_lshl_or_b32 v17, v40, 16, v14
	v_cndmask_b32_e64 v14, 0, 1, s[4:5]
	v_cmp_ne_u16_sdwa s[4:5], v8, v9 src0_sel:WORD_1 src1_sel:DWORD
	s_waitcnt lgkmcnt(2)
	v_alignbit_b32 v20, v14, v22, 16
	v_and_b32_e32 v14, 0xffff, v23
	v_cndmask_b32_e64 v8, 0, 1, s[4:5]
	v_cmp_ne_u16_sdwa s[4:5], v9, v9 src0_sel:DWORD src1_sel:WORD_1
	v_lshl_or_b32 v21, v8, 16, v14
	v_cndmask_b32_e64 v8, 0, 1, s[4:5]
	v_cmp_ne_u16_sdwa s[4:5], v9, v6 src0_sel:WORD_1 src1_sel:DWORD
	v_alignbit_b32 v18, v41, v15, 16
	v_and_b32_e32 v15, 0xffff, v22
	v_alignbit_b32 v22, v8, v23, 16
	s_waitcnt lgkmcnt(1)
	v_and_b32_e32 v8, 0xffff, v26
	v_cndmask_b32_e64 v9, 0, 1, s[4:5]
	v_cmp_ne_u16_sdwa s[4:5], v6, v6 src0_sel:DWORD src1_sel:WORD_1
	v_lshl_or_b32 v23, v9, 16, v8
	v_cndmask_b32_e64 v8, 0, 1, s[4:5]
	v_cmp_ne_u16_sdwa s[4:5], v6, v7 src0_sel:WORD_1 src1_sel:DWORD
	v_alignbit_b32 v24, v8, v26, 16
	v_and_b32_e32 v8, 0xffff, v27
	v_cndmask_b32_e64 v6, 0, 1, s[4:5]
	v_cmp_ne_u16_sdwa s[4:5], v7, v7 src0_sel:DWORD src1_sel:WORD_1
	v_lshl_or_b32 v25, v6, 16, v8
	v_cndmask_b32_e64 v6, 0, 1, s[4:5]
	v_cmp_ne_u16_sdwa s[4:5], v7, v4 src0_sel:WORD_1 src1_sel:DWORD
	v_alignbit_b32 v26, v6, v27, 16
	s_waitcnt lgkmcnt(0)
	v_and_b32_e32 v6, 0xffff, v30
	v_cndmask_b32_e64 v7, 0, 1, s[4:5]
	v_cmp_ne_u16_sdwa s[4:5], v4, v4 src0_sel:DWORD src1_sel:WORD_1
	v_lshl_or_b32 v27, v7, 16, v6
	v_cndmask_b32_e64 v6, 0, 1, s[4:5]
	v_cmp_ne_u16_sdwa s[4:5], v4, v5 src0_sel:WORD_1 src1_sel:DWORD
	v_alignbit_b32 v28, v6, v30, 16
	v_and_b32_e32 v6, 0xffff, v31
	v_cndmask_b32_e64 v4, 0, 1, s[4:5]
	v_cmp_ne_u16_sdwa s[4:5], v5, v5 src0_sel:DWORD src1_sel:WORD_1
	v_lshl_or_b32 v29, v4, 16, v6
	v_cndmask_b32_e64 v4, 0, 1, s[4:5]
	v_cmp_ne_u16_sdwa s[4:5], v5, v2 src0_sel:WORD_1 src1_sel:DWORD
	v_alignbit_b32 v30, v4, v31, 16
	;; [unrolled: 7-line block ×4, first 2 shown]
	v_and_b32_e32 v2, 0xffff, v35
	v_cndmask_b32_e64 v3, 0, 1, s[4:5]
	v_lshl_or_b32 v19, v42, 16, v15
	v_lshl_or_b32 v35, v3, 16, v2
.LBB242_126:
	v_mov_b32_e32 v13, s76
	s_and_saveexec_b64 s[4:5], s[10:11]
	s_cbranch_execz .LBB242_128
; %bb.127:
	v_mov_b32_e32 v2, 0x10000
	v_cndmask_b32_e64 v2, 0, v2, s[2:3]
	s_waitcnt lgkmcnt(0)
	v_or_b32_sdwa v13, v2, v36 dst_sel:DWORD dst_unused:UNUSED_PAD src0_sel:DWORD src1_sel:WORD_0
.LBB242_128:
	s_or_b64 exec, exec, s[4:5]
	v_or3_b32 v2, v13, v35, v34
	s_cmp_lg_u32 s6, 0
	v_or3_b32 v15, v2, v33, v32
	v_lshrrev_b32_e32 v14, 5, v0
	v_cmp_gt_u32_e32 vcc, 64, v0
	s_waitcnt lgkmcnt(0)
	s_barrier
	s_cbranch_scc0 .LBB242_189
; %bb.129:
	s_mov_b32 s7, 0x10000
	v_cmp_gt_u32_e64 s[2:3], s7, v16
	v_cndmask_b32_e64 v2, 0, v1, s[2:3]
	v_add_u16_e32 v2, v2, v16
	v_cmp_gt_u32_e64 s[4:5], s7, v17
	v_cndmask_b32_e64 v2, 0, v2, s[4:5]
	v_add_u16_e32 v2, v2, v17
	;; [unrolled: 3-line block ×21, first 2 shown]
	v_or3_b32 v2, v15, v31, v30
	v_or3_b32 v2, v2, v29, v28
	;; [unrolled: 1-line block ×8, first 2 shown]
	v_and_b32_e32 v2, 0x10000, v2
	v_lshrrev_b32_e32 v36, 16, v1
	v_cmp_ne_u32_e64 s[46:47], 0, v2
	v_mov_b32_e32 v5, 0x10000
	v_cndmask_b32_e64 v38, v36, 1, s[46:47]
	v_add_lshl_u32 v2, v14, v0, 2
	ds_write_b16 v2, v37
	ds_write_b8 v2, v38 offset:2
	s_waitcnt lgkmcnt(0)
	s_barrier
	s_and_saveexec_b64 s[48:49], vcc
	s_cbranch_execz .LBB242_143
; %bb.130:
	v_lshlrev_b32_e32 v2, 2, v0
	v_lshrrev_b32_e32 v3, 3, v0
	v_add_lshl_u32 v2, v3, v2, 2
	ds_read_b32 v3, v2
	ds_read_u16 v4, v2 offset:4
	ds_read_u8 v6, v2 offset:6
	ds_read_u16 v7, v2 offset:8
	ds_read_u8 v8, v2 offset:10
	;; [unrolled: 2-line block ×3, first 2 shown]
	v_mov_b32_e32 v11, 0
	s_waitcnt lgkmcnt(4)
	v_cmp_eq_u16_sdwa s[46:47], v6, v11 src0_sel:BYTE_0 src1_sel:DWORD
	v_cndmask_b32_e64 v39, 0, v3, s[46:47]
	v_add_u16_e32 v39, v39, v4
	s_waitcnt lgkmcnt(2)
	v_cmp_eq_u16_sdwa s[46:47], v8, v11 src0_sel:BYTE_0 src1_sel:DWORD
	s_waitcnt lgkmcnt(0)
	v_or_b32_e32 v8, v10, v8
	v_cndmask_b32_e64 v11, 0, v39, s[46:47]
	v_or_b32_e32 v6, v8, v6
	v_add_u16_e32 v7, v11, v7
	v_cmp_eq_u16_e64 s[46:47], 0, v10
	v_and_b32_e32 v6, 1, v6
	v_and_b32_e32 v4, 0x10000, v3
	v_cndmask_b32_e64 v11, 0, v7, s[46:47]
	v_cmp_eq_u32_e64 s[46:47], 1, v6
	v_mbcnt_lo_u32_b32 v6, -1, 0
	v_add_u16_e32 v7, v11, v9
	v_cndmask_b32_e64 v39, v4, v5, s[46:47]
	v_add_u16_e32 v9, v11, v9
	v_and_b32_e32 v5, 0xff000000, v3
	v_mbcnt_hi_u32_b32 v6, -1, v6
	v_or_b32_e32 v10, v39, v5
	v_and_b32_e32 v11, 15, v6
	v_or3_b32 v9, v5, v9, v39
	s_movk_i32 s7, 0xff
	v_lshrrev_b32_e32 v8, 16, v10
	v_mov_b32_dpp v39, v9 row_shr:1 row_mask:0xf bank_mask:0xf
	v_cmp_ne_u32_e64 s[46:47], 0, v11
	s_and_saveexec_b64 s[56:57], s[46:47]
	s_cbranch_execz .LBB242_132
; %bb.131:
	v_and_b32_sdwa v8, v10, s7 dst_sel:DWORD dst_unused:UNUSED_PAD src0_sel:WORD_1 src1_sel:DWORD
	v_cmp_eq_u16_e64 s[46:47], 0, v8
	v_and_b32_e32 v8, 0x10000, v10
	v_mov_b32_e32 v10, 1
	v_cndmask_b32_e64 v9, 0, v39, s[46:47]
	v_and_b32_sdwa v10, v39, v10 dst_sel:DWORD dst_unused:UNUSED_PAD src0_sel:WORD_1 src1_sel:DWORD
	v_cmp_ne_u32_e64 s[46:47], 0, v8
	v_cndmask_b32_e64 v8, v10, 1, s[46:47]
	v_add_u16_e32 v40, v9, v7
	v_lshlrev_b32_e32 v10, 16, v8
	v_add_u16_e32 v7, v9, v7
	v_or3_b32 v9, v10, v7, v5
	v_mov_b32_e32 v7, v40
.LBB242_132:
	s_or_b64 exec, exec, s[56:57]
	v_lshrrev_b32_e32 v10, 16, v9
	v_mov_b32_dpp v39, v9 row_shr:2 row_mask:0xf bank_mask:0xf
	v_cmp_lt_u32_e64 s[46:47], 1, v11
	s_and_saveexec_b64 s[56:57], s[46:47]
	s_cbranch_execz .LBB242_134
; %bb.133:
	v_mov_b32_e32 v8, 0
	v_cmp_eq_u16_sdwa s[46:47], v10, v8 src0_sel:BYTE_0 src1_sel:DWORD
	v_and_b32_e32 v8, 0x10000, v9
	v_mov_b32_e32 v9, 1
	v_cndmask_b32_e64 v10, 0, v39, s[46:47]
	v_and_b32_sdwa v9, v39, v9 dst_sel:DWORD dst_unused:UNUSED_PAD src0_sel:WORD_1 src1_sel:DWORD
	v_cmp_ne_u32_e64 s[46:47], 0, v8
	v_cndmask_b32_e64 v8, v9, 1, s[46:47]
	v_add_u16_e32 v40, v10, v7
	v_lshlrev_b32_e32 v9, 16, v8
	v_add_u16_e32 v7, v10, v7
	v_or3_b32 v9, v9, v7, v5
	v_mov_b32_e32 v10, v8
	v_mov_b32_e32 v7, v40
.LBB242_134:
	s_or_b64 exec, exec, s[56:57]
	v_mov_b32_dpp v39, v9 row_shr:4 row_mask:0xf bank_mask:0xf
	v_cmp_lt_u32_e64 s[46:47], 3, v11
	s_and_saveexec_b64 s[56:57], s[46:47]
	s_cbranch_execz .LBB242_136
; %bb.135:
	v_mov_b32_e32 v8, 0
	v_cmp_eq_u16_sdwa s[46:47], v10, v8 src0_sel:BYTE_0 src1_sel:DWORD
	v_and_b32_e32 v8, 1, v10
	v_mov_b32_e32 v10, 1
	v_cndmask_b32_e64 v9, 0, v39, s[46:47]
	v_and_b32_sdwa v10, v39, v10 dst_sel:DWORD dst_unused:UNUSED_PAD src0_sel:WORD_1 src1_sel:DWORD
	v_cmp_eq_u32_e64 s[46:47], 1, v8
	v_cndmask_b32_e64 v8, v10, 1, s[46:47]
	v_add_u16_e32 v40, v9, v7
	v_lshlrev_b32_e32 v10, 16, v8
	v_add_u16_e32 v7, v9, v7
	v_or3_b32 v9, v10, v7, v5
	v_mov_b32_e32 v10, v8
	v_mov_b32_e32 v7, v40
.LBB242_136:
	s_or_b64 exec, exec, s[56:57]
	v_mov_b32_dpp v39, v9 row_shr:8 row_mask:0xf bank_mask:0xf
	v_cmp_lt_u32_e64 s[46:47], 7, v11
	s_and_saveexec_b64 s[56:57], s[46:47]
	s_cbranch_execz .LBB242_138
; %bb.137:
	v_mov_b32_e32 v8, 0
	v_cmp_eq_u16_sdwa s[46:47], v10, v8 src0_sel:BYTE_0 src1_sel:DWORD
	v_and_b32_e32 v8, 1, v10
	v_mov_b32_e32 v10, 1
	v_cndmask_b32_e64 v9, 0, v39, s[46:47]
	v_and_b32_sdwa v10, v39, v10 dst_sel:DWORD dst_unused:UNUSED_PAD src0_sel:WORD_1 src1_sel:DWORD
	v_cmp_eq_u32_e64 s[46:47], 1, v8
	v_cndmask_b32_e64 v8, v10, 1, s[46:47]
	v_add_u16_e32 v11, v9, v7
	v_lshlrev_b32_e32 v10, 16, v8
	v_add_u16_e32 v7, v9, v7
	v_or3_b32 v9, v10, v7, v5
	v_mov_b32_e32 v10, v8
	v_mov_b32_e32 v7, v11
.LBB242_138:
	s_or_b64 exec, exec, s[56:57]
	v_and_b32_e32 v39, 16, v6
	v_mov_b32_dpp v11, v9 row_bcast:15 row_mask:0xf bank_mask:0xf
	v_cmp_ne_u32_e64 s[46:47], 0, v39
	s_and_saveexec_b64 s[56:57], s[46:47]
	s_cbranch_execz .LBB242_140
; %bb.139:
	v_mov_b32_e32 v8, 0
	v_cmp_eq_u16_sdwa s[46:47], v10, v8 src0_sel:BYTE_0 src1_sel:DWORD
	v_and_b32_e32 v8, 1, v10
	v_mov_b32_e32 v10, 1
	v_cndmask_b32_e64 v9, 0, v11, s[46:47]
	v_and_b32_sdwa v10, v11, v10 dst_sel:DWORD dst_unused:UNUSED_PAD src0_sel:WORD_1 src1_sel:DWORD
	v_cmp_eq_u32_e64 s[46:47], 1, v8
	v_cndmask_b32_e64 v8, v10, 1, s[46:47]
	v_add_u16_e32 v39, v9, v7
	v_lshlrev_b32_e32 v10, 16, v8
	v_add_u16_e32 v7, v9, v7
	v_or3_b32 v9, v10, v7, v5
	v_mov_b32_e32 v10, v8
	v_mov_b32_e32 v7, v39
.LBB242_140:
	s_or_b64 exec, exec, s[56:57]
	v_mov_b32_dpp v9, v9 row_bcast:31 row_mask:0xf bank_mask:0xf
	v_cmp_lt_u32_e64 s[46:47], 31, v6
	s_and_saveexec_b64 s[56:57], s[46:47]
; %bb.141:
	v_mov_b32_e32 v8, 0
	v_cmp_eq_u16_sdwa s[46:47], v10, v8 src0_sel:BYTE_0 src1_sel:DWORD
	v_cndmask_b32_e64 v8, 0, v9, s[46:47]
	v_add_u16_e32 v7, v8, v7
	v_and_b32_e32 v8, 1, v10
	v_mov_b32_e32 v10, 1
	v_and_b32_sdwa v9, v9, v10 dst_sel:DWORD dst_unused:UNUSED_PAD src0_sel:WORD_1 src1_sel:DWORD
	v_cmp_eq_u32_e64 s[46:47], 1, v8
	v_cndmask_b32_e64 v8, v9, 1, s[46:47]
; %bb.142:
	s_or_b64 exec, exec, s[56:57]
	v_and_b32_e32 v8, 0xff, v8
	v_lshlrev_b32_e32 v8, 16, v8
	v_and_b32_e32 v7, 0xffff, v7
	v_or3_b32 v5, v8, v7, v5
	v_add_u32_e32 v7, -1, v6
	v_and_b32_e32 v8, 64, v6
	v_cmp_lt_i32_e64 s[46:47], v7, v8
	v_cndmask_b32_e64 v6, v7, v6, s[46:47]
	v_lshlrev_b32_e32 v6, 2, v6
	ds_bpermute_b32 v5, v6, v5
	v_and_b32_e32 v6, 0xff0000, v3
	v_cmp_eq_u32_e64 s[46:47], 0, v6
	; wave barrier
	s_waitcnt lgkmcnt(0)
	v_cndmask_b32_e64 v6, 0, v5, s[46:47]
	v_add_u16_e32 v3, v6, v3
	v_mov_b32_e32 v6, 1
	v_and_b32_sdwa v5, v5, v6 dst_sel:DWORD dst_unused:UNUSED_PAD src0_sel:WORD_1 src1_sel:DWORD
	v_cmp_eq_u32_e64 s[46:47], 0, v4
	v_cndmask_b32_e64 v4, 1, v5, s[46:47]
	v_cmp_eq_u32_e64 s[46:47], 0, v0
	v_cndmask_b32_e64 v3, v3, v37, s[46:47]
	v_cndmask_b32_e64 v4, v4, v38, s[46:47]
	ds_write_b16 v2, v3
	ds_write_b8 v2, v4 offset:2
	; wave barrier
	ds_read_u16 v5, v2 offset:4
	ds_read_u8 v6, v2 offset:6
	ds_read_u16 v7, v2 offset:8
	ds_read_u8 v8, v2 offset:10
	ds_read_u16 v9, v2 offset:12
	ds_read_u8 v10, v2 offset:14
	s_waitcnt lgkmcnt(4)
	v_cmp_eq_u16_e64 s[46:47], 0, v6
	v_cndmask_b32_e64 v3, 0, v3, s[46:47]
	v_add_u16_e32 v3, v3, v5
	v_and_b32_e32 v5, 1, v6
	v_cmp_eq_u32_e64 s[46:47], 1, v5
	v_cndmask_b32_e64 v4, v4, 1, s[46:47]
	s_waitcnt lgkmcnt(2)
	v_cmp_eq_u16_e64 s[46:47], 0, v8
	v_and_b32_e32 v5, 1, v8
	ds_write_b16 v2, v3 offset:4
	ds_write_b8 v2, v4 offset:6
	v_cndmask_b32_e64 v3, 0, v3, s[46:47]
	v_cmp_eq_u32_e64 s[46:47], 1, v5
	v_add_u16_e32 v3, v3, v7
	v_cndmask_b32_e64 v4, v4, 1, s[46:47]
	s_waitcnt lgkmcnt(2)
	v_cmp_eq_u16_e64 s[46:47], 0, v10
	ds_write_b16 v2, v3 offset:8
	ds_write_b8 v2, v4 offset:10
	v_cndmask_b32_e64 v3, 0, v3, s[46:47]
	v_and_b32_e32 v5, 1, v10
	v_add_u16_e32 v3, v3, v9
	v_cmp_eq_u32_e64 s[46:47], 1, v5
	v_cndmask_b32_e64 v4, v4, 1, s[46:47]
	ds_write_b16 v2, v3 offset:12
	ds_write_b8 v2, v4 offset:14
.LBB242_143:
	s_or_b64 exec, exec, s[48:49]
	v_cmp_eq_u32_e64 s[46:47], 0, v0
	v_cmp_ne_u32_e64 s[48:49], 0, v0
	s_waitcnt lgkmcnt(0)
	s_barrier
	s_and_saveexec_b64 s[56:57], s[48:49]
	s_cbranch_execz .LBB242_145
; %bb.144:
	v_add_u32_e32 v2, -1, v0
	v_lshrrev_b32_e32 v3, 5, v2
	v_add_lshl_u32 v2, v3, v2, 2
	ds_read_u16 v37, v2
	ds_read_u8 v38, v2 offset:2
.LBB242_145:
	s_or_b64 exec, exec, s[56:57]
	s_and_saveexec_b64 s[56:57], vcc
	s_cbranch_execz .LBB242_188
; %bb.146:
	v_mov_b32_e32 v9, 0
	ds_read_b32 v2, v9 offset:1048
	v_mbcnt_lo_u32_b32 v3, -1, 0
	v_mbcnt_hi_u32_b32 v5, -1, v3
	s_mov_b32 s63, 0
	v_cmp_eq_u32_e64 s[48:49], 0, v5
	s_and_saveexec_b64 s[60:61], s[48:49]
	s_cbranch_execz .LBB242_148
; %bb.147:
	s_add_i32 s62, s6, 64
	s_lshl_b64 s[62:63], s[62:63], 3
	s_add_u32 s62, s64, s62
	v_mov_b32_e32 v3, 1
	s_addc_u32 s63, s65, s63
	s_waitcnt lgkmcnt(0)
	global_store_dwordx2 v9, v[2:3], s[62:63]
.LBB242_148:
	s_or_b64 exec, exec, s[60:61]
	v_xad_u32 v4, v5, -1, s6
	v_add_u32_e32 v8, 64, v4
	v_lshlrev_b64 v[6:7], 3, v[8:9]
	v_mov_b32_e32 v3, s65
	v_add_co_u32_e32 v10, vcc, s64, v6
	v_addc_co_u32_e32 v11, vcc, v3, v7, vcc
	global_load_dwordx2 v[6:7], v[10:11], off glc
	s_waitcnt vmcnt(0)
	v_cmp_eq_u16_sdwa s[62:63], v7, v9 src0_sel:BYTE_0 src1_sel:DWORD
	s_and_saveexec_b64 s[60:61], s[62:63]
	s_cbranch_execz .LBB242_152
; %bb.149:
	s_mov_b64 s[62:63], 0
	v_mov_b32_e32 v3, 0
.LBB242_150:                            ; =>This Inner Loop Header: Depth=1
	global_load_dwordx2 v[6:7], v[10:11], off glc
	s_waitcnt vmcnt(0)
	v_cmp_ne_u16_sdwa s[72:73], v7, v3 src0_sel:BYTE_0 src1_sel:DWORD
	s_or_b64 s[62:63], s[72:73], s[62:63]
	s_andn2_b64 exec, exec, s[62:63]
	s_cbranch_execnz .LBB242_150
; %bb.151:
	s_or_b64 exec, exec, s[62:63]
.LBB242_152:
	s_or_b64 exec, exec, s[60:61]
	v_mov_b32_e32 v3, 2
	v_cmp_eq_u16_sdwa s[60:61], v7, v3 src0_sel:BYTE_0 src1_sel:DWORD
	v_lshlrev_b64 v[8:9], v5, -1
	v_and_b32_e32 v3, s61, v9
	v_or_b32_e32 v3, 0x80000000, v3
	v_ffbl_b32_e32 v3, v3
	v_add_u32_e32 v11, 32, v3
	v_and_b32_e32 v3, 63, v5
	v_cmp_ne_u32_e32 vcc, 63, v3
	v_addc_co_u32_e32 v39, vcc, 0, v5, vcc
	v_and_b32_e32 v50, 0xffffff, v6
	v_lshlrev_b32_e32 v39, 2, v39
	ds_bpermute_b32 v40, v39, v50
	v_and_b32_e32 v10, s60, v8
	v_ffbl_b32_e32 v10, v10
	v_min_u32_e32 v11, v10, v11
	v_lshrrev_b32_e32 v10, 16, v6
	v_cmp_lt_u32_e32 vcc, v3, v11
	v_bfe_u32 v48, v6, 16, 8
	s_and_saveexec_b64 s[60:61], vcc
	s_cbranch_execz .LBB242_154
; %bb.153:
	v_and_b32_e32 v10, 0xff0000, v6
	v_cmp_eq_u32_e32 vcc, 0, v10
	v_and_b32_e32 v10, 0x10000, v10
	v_mov_b32_e32 v43, 1
	s_waitcnt lgkmcnt(0)
	v_cndmask_b32_e32 v41, 0, v40, vcc
	v_and_b32_sdwa v40, v40, v43 dst_sel:DWORD dst_unused:UNUSED_PAD src0_sel:WORD_1 src1_sel:DWORD
	v_cmp_ne_u32_e32 vcc, 0, v10
	v_cndmask_b32_e64 v10, v40, 1, vcc
	v_add_u16_e32 v42, v41, v6
	v_lshlrev_b32_e32 v40, 16, v10
	v_add_u16_e32 v6, v41, v6
	v_or_b32_e32 v50, v40, v6
	v_mov_b32_e32 v6, v42
	v_mov_b32_e32 v48, v10
.LBB242_154:
	s_or_b64 exec, exec, s[60:61]
	v_cmp_gt_u32_e32 vcc, 62, v3
	s_waitcnt lgkmcnt(0)
	v_cndmask_b32_e64 v40, 0, 1, vcc
	v_lshlrev_b32_e32 v40, 1, v40
	v_add_lshl_u32 v40, v40, v5, 2
	ds_bpermute_b32 v42, v40, v50
	v_add_u32_e32 v41, 2, v3
	v_cmp_le_u32_e32 vcc, v41, v11
	s_and_saveexec_b64 s[60:61], vcc
	s_cbranch_execz .LBB242_156
; %bb.155:
	v_cmp_eq_u16_e32 vcc, 0, v48
	v_and_b32_e32 v10, 1, v48
	v_mov_b32_e32 v45, 1
	s_waitcnt lgkmcnt(0)
	v_cndmask_b32_e32 v43, 0, v42, vcc
	v_and_b32_sdwa v42, v42, v45 dst_sel:DWORD dst_unused:UNUSED_PAD src0_sel:WORD_1 src1_sel:DWORD
	v_cmp_eq_u32_e32 vcc, 1, v10
	v_cndmask_b32_e64 v10, v42, 1, vcc
	v_add_u16_e32 v44, v43, v6
	v_lshlrev_b32_e32 v42, 16, v10
	v_add_u16_e32 v6, v43, v6
	v_or_b32_e32 v50, v42, v6
	v_mov_b32_e32 v6, v44
	v_mov_b32_e32 v48, v10
.LBB242_156:
	s_or_b64 exec, exec, s[60:61]
	v_cmp_gt_u32_e32 vcc, 60, v3
	s_waitcnt lgkmcnt(0)
	v_cndmask_b32_e64 v42, 0, 1, vcc
	v_lshlrev_b32_e32 v42, 2, v42
	v_add_lshl_u32 v42, v42, v5, 2
	ds_bpermute_b32 v44, v42, v50
	v_add_u32_e32 v43, 4, v3
	v_cmp_le_u32_e32 vcc, v43, v11
	s_and_saveexec_b64 s[60:61], vcc
	s_cbranch_execz .LBB242_158
; %bb.157:
	v_cmp_eq_u16_e32 vcc, 0, v48
	v_and_b32_e32 v10, 1, v48
	v_mov_b32_e32 v47, 1
	s_waitcnt lgkmcnt(0)
	v_cndmask_b32_e32 v45, 0, v44, vcc
	v_and_b32_sdwa v44, v44, v47 dst_sel:DWORD dst_unused:UNUSED_PAD src0_sel:WORD_1 src1_sel:DWORD
	v_cmp_eq_u32_e32 vcc, 1, v10
	v_cndmask_b32_e64 v10, v44, 1, vcc
	v_add_u16_e32 v46, v45, v6
	v_lshlrev_b32_e32 v44, 16, v10
	v_add_u16_e32 v6, v45, v6
	v_or_b32_e32 v50, v44, v6
	v_mov_b32_e32 v6, v46
	v_mov_b32_e32 v48, v10
.LBB242_158:
	;; [unrolled: 27-line block ×4, first 2 shown]
	s_or_b64 exec, exec, s[60:61]
	v_cmp_gt_u32_e32 vcc, 32, v3
	s_waitcnt lgkmcnt(0)
	v_cndmask_b32_e64 v49, 0, 1, vcc
	v_lshlrev_b32_e32 v49, 5, v49
	v_add_lshl_u32 v49, v49, v5, 2
	ds_bpermute_b32 v5, v49, v50
	v_add_u32_e32 v50, 32, v3
	v_cmp_le_u32_e32 vcc, v50, v11
	s_and_saveexec_b64 s[60:61], vcc
	s_cbranch_execz .LBB242_164
; %bb.163:
	v_cmp_eq_u16_e32 vcc, 0, v48
	s_waitcnt lgkmcnt(0)
	v_cndmask_b32_e32 v10, 0, v5, vcc
	v_add_u16_e32 v6, v10, v6
	v_and_b32_e32 v10, 1, v48
	v_mov_b32_e32 v11, 1
	v_and_b32_sdwa v5, v5, v11 dst_sel:DWORD dst_unused:UNUSED_PAD src0_sel:WORD_1 src1_sel:DWORD
	v_cmp_eq_u32_e32 vcc, 1, v10
	v_cndmask_b32_e64 v10, v5, 1, vcc
.LBB242_164:
	s_or_b64 exec, exec, s[60:61]
	s_waitcnt lgkmcnt(0)
	v_mov_b32_e32 v5, 0
	v_mov_b32_e32 v52, 2
	;; [unrolled: 1-line block ×3, first 2 shown]
	s_branch .LBB242_166
.LBB242_165:                            ;   in Loop: Header=BB242_166 Depth=1
	s_or_b64 exec, exec, s[60:61]
	v_cmp_eq_u16_sdwa vcc, v48, v5 src0_sel:BYTE_0 src1_sel:DWORD
	v_and_b32_e32 v10, 1, v48
	v_cndmask_b32_e32 v6, 0, v6, vcc
	v_and_b32_e32 v11, 1, v11
	v_cmp_eq_u32_e32 vcc, 1, v10
	v_subrev_u32_e32 v4, 64, v4
	v_add_u16_e32 v6, v6, v51
	v_cndmask_b32_e64 v10, v11, 1, vcc
.LBB242_166:                            ; =>This Loop Header: Depth=1
                                        ;     Child Loop BB242_169 Depth 2
	v_cmp_ne_u16_sdwa s[60:61], v7, v52 src0_sel:BYTE_0 src1_sel:DWORD
	v_cndmask_b32_e64 v7, 0, 1, s[60:61]
	;;#ASMSTART
	;;#ASMEND
	v_cmp_ne_u32_e32 vcc, 0, v7
	v_mov_b32_e32 v48, v10
	s_cmp_lg_u64 vcc, exec
	v_mov_b32_e32 v51, v6
	s_cbranch_scc1 .LBB242_183
; %bb.167:                              ;   in Loop: Header=BB242_166 Depth=1
	v_lshlrev_b64 v[6:7], 3, v[4:5]
	v_mov_b32_e32 v11, s65
	v_add_co_u32_e32 v10, vcc, s64, v6
	v_addc_co_u32_e32 v11, vcc, v11, v7, vcc
	global_load_dwordx2 v[6:7], v[10:11], off glc
	s_waitcnt vmcnt(0)
	v_cmp_eq_u16_sdwa s[62:63], v7, v5 src0_sel:BYTE_0 src1_sel:DWORD
	s_and_saveexec_b64 s[60:61], s[62:63]
	s_cbranch_execz .LBB242_171
; %bb.168:                              ;   in Loop: Header=BB242_166 Depth=1
	s_mov_b64 s[62:63], 0
.LBB242_169:                            ;   Parent Loop BB242_166 Depth=1
                                        ; =>  This Inner Loop Header: Depth=2
	global_load_dwordx2 v[6:7], v[10:11], off glc
	s_waitcnt vmcnt(0)
	v_cmp_ne_u16_sdwa s[72:73], v7, v5 src0_sel:BYTE_0 src1_sel:DWORD
	s_or_b64 s[62:63], s[72:73], s[62:63]
	s_andn2_b64 exec, exec, s[62:63]
	s_cbranch_execnz .LBB242_169
; %bb.170:                              ;   in Loop: Header=BB242_166 Depth=1
	s_or_b64 exec, exec, s[62:63]
.LBB242_171:                            ;   in Loop: Header=BB242_166 Depth=1
	s_or_b64 exec, exec, s[60:61]
	v_cmp_eq_u16_sdwa s[60:61], v7, v52 src0_sel:BYTE_0 src1_sel:DWORD
	v_and_b32_e32 v10, s61, v9
	s_waitcnt lgkmcnt(0)
	v_and_b32_e32 v55, 0xffffff, v6
	v_or_b32_e32 v10, 0x80000000, v10
	ds_bpermute_b32 v56, v39, v55
	v_and_b32_e32 v11, s60, v8
	v_ffbl_b32_e32 v10, v10
	v_add_u32_e32 v10, 32, v10
	v_ffbl_b32_e32 v11, v11
	v_min_u32_e32 v10, v11, v10
	v_lshrrev_b32_e32 v11, 16, v6
	v_cmp_lt_u32_e32 vcc, v3, v10
	v_bfe_u32 v54, v6, 16, 8
	s_and_saveexec_b64 s[60:61], vcc
	s_cbranch_execz .LBB242_173
; %bb.172:                              ;   in Loop: Header=BB242_166 Depth=1
	v_and_b32_e32 v11, 0xff0000, v6
	v_cmp_eq_u32_e32 vcc, 0, v11
	v_and_b32_e32 v11, 0x10000, v11
	s_waitcnt lgkmcnt(0)
	v_cndmask_b32_e32 v54, 0, v56, vcc
	v_and_b32_sdwa v55, v56, v53 dst_sel:DWORD dst_unused:UNUSED_PAD src0_sel:WORD_1 src1_sel:DWORD
	v_cmp_ne_u32_e32 vcc, 0, v11
	v_cndmask_b32_e64 v11, v55, 1, vcc
	v_add_u16_e32 v57, v54, v6
	v_lshlrev_b32_e32 v55, 16, v11
	v_add_u16_e32 v6, v54, v6
	v_or_b32_e32 v55, v55, v6
	v_mov_b32_e32 v6, v57
	v_mov_b32_e32 v54, v11
.LBB242_173:                            ;   in Loop: Header=BB242_166 Depth=1
	s_or_b64 exec, exec, s[60:61]
	s_waitcnt lgkmcnt(0)
	ds_bpermute_b32 v56, v40, v55
	v_cmp_le_u32_e32 vcc, v41, v10
	s_and_saveexec_b64 s[60:61], vcc
	s_cbranch_execz .LBB242_175
; %bb.174:                              ;   in Loop: Header=BB242_166 Depth=1
	v_cmp_eq_u16_e32 vcc, 0, v54
	v_and_b32_e32 v11, 1, v54
	s_waitcnt lgkmcnt(0)
	v_cndmask_b32_e32 v55, 0, v56, vcc
	v_and_b32_sdwa v54, v56, v53 dst_sel:DWORD dst_unused:UNUSED_PAD src0_sel:WORD_1 src1_sel:DWORD
	v_cmp_eq_u32_e32 vcc, 1, v11
	v_cndmask_b32_e64 v11, v54, 1, vcc
	v_add_u16_e32 v57, v55, v6
	v_lshlrev_b32_e32 v54, 16, v11
	v_add_u16_e32 v6, v55, v6
	v_or_b32_e32 v55, v54, v6
	v_mov_b32_e32 v6, v57
	v_mov_b32_e32 v54, v11
.LBB242_175:                            ;   in Loop: Header=BB242_166 Depth=1
	s_or_b64 exec, exec, s[60:61]
	s_waitcnt lgkmcnt(0)
	ds_bpermute_b32 v56, v42, v55
	v_cmp_le_u32_e32 vcc, v43, v10
	s_and_saveexec_b64 s[60:61], vcc
	s_cbranch_execz .LBB242_177
; %bb.176:                              ;   in Loop: Header=BB242_166 Depth=1
	v_cmp_eq_u16_e32 vcc, 0, v54
	v_and_b32_e32 v11, 1, v54
	s_waitcnt lgkmcnt(0)
	v_cndmask_b32_e32 v55, 0, v56, vcc
	v_and_b32_sdwa v54, v56, v53 dst_sel:DWORD dst_unused:UNUSED_PAD src0_sel:WORD_1 src1_sel:DWORD
	v_cmp_eq_u32_e32 vcc, 1, v11
	v_cndmask_b32_e64 v11, v54, 1, vcc
	v_add_u16_e32 v57, v55, v6
	v_lshlrev_b32_e32 v54, 16, v11
	v_add_u16_e32 v6, v55, v6
	v_or_b32_e32 v55, v54, v6
	v_mov_b32_e32 v6, v57
	v_mov_b32_e32 v54, v11
.LBB242_177:                            ;   in Loop: Header=BB242_166 Depth=1
	;; [unrolled: 21-line block ×4, first 2 shown]
	s_or_b64 exec, exec, s[60:61]
	ds_bpermute_b32 v55, v49, v55
	v_cmp_le_u32_e32 vcc, v50, v10
	s_and_saveexec_b64 s[60:61], vcc
	s_cbranch_execz .LBB242_165
; %bb.182:                              ;   in Loop: Header=BB242_166 Depth=1
	v_cmp_eq_u16_e32 vcc, 0, v54
	s_waitcnt lgkmcnt(0)
	v_cndmask_b32_e32 v10, 0, v55, vcc
	v_add_u16_e32 v6, v10, v6
	v_and_b32_e32 v10, 1, v54
	v_lshrrev_b32_e32 v11, 16, v55
	v_cmp_eq_u32_e32 vcc, 1, v10
	v_cndmask_b32_e64 v11, v11, 1, vcc
	s_branch .LBB242_165
.LBB242_183:                            ;   in Loop: Header=BB242_166 Depth=1
                                        ; implicit-def: $vgpr10
                                        ; implicit-def: $vgpr6
	s_cbranch_execz .LBB242_166
; %bb.184:
	s_and_saveexec_b64 s[60:61], s[48:49]
	s_cbranch_execz .LBB242_186
; %bb.185:
	v_and_b32_e32 v3, 0xff0000, v2
	s_mov_b32 s7, 0
	v_cmp_eq_u32_e32 vcc, 0, v3
	v_and_b32_e32 v4, 0x10000, v2
	v_mov_b32_e32 v5, 1
	s_add_i32 s6, s6, 64
	v_cndmask_b32_e32 v3, 0, v51, vcc
	v_and_b32_sdwa v5, v48, v5 dst_sel:WORD_1 dst_unused:UNUSED_PAD src0_sel:DWORD src1_sel:DWORD
	v_mov_b32_e32 v6, 0x10000
	v_cmp_eq_u32_e32 vcc, 0, v4
	s_lshl_b64 s[6:7], s[6:7], 3
	v_cndmask_b32_e32 v4, v6, v5, vcc
	s_add_u32 s6, s64, s6
	v_add_u16_e32 v2, v3, v2
	s_addc_u32 s7, s65, s7
	v_mov_b32_e32 v5, 0
	v_or_b32_e32 v2, v4, v2
	v_mov_b32_e32 v3, 2
	global_store_dwordx2 v5, v[2:3], s[6:7]
.LBB242_186:
	s_or_b64 exec, exec, s[60:61]
	s_and_b64 exec, exec, s[46:47]
	s_cbranch_execz .LBB242_188
; %bb.187:
	v_mov_b32_e32 v2, 0
	ds_write_b16 v2, v51
	ds_write_b8 v2, v48 offset:2
.LBB242_188:
	s_or_b64 exec, exec, s[56:57]
	v_mov_b32_e32 v2, 0
	s_mov_b32 s6, 0x10000
	s_waitcnt lgkmcnt(0)
	s_barrier
	ds_read_b32 v3, v2
	v_cmp_gt_u32_e32 vcc, s6, v1
	v_and_b32_e32 v5, 0x10000, v1
	v_cndmask_b32_e32 v4, 0, v37, vcc
	v_and_b32_e32 v6, 1, v38
	v_cmp_ne_u32_e32 vcc, 0, v5
	v_cndmask_b32_e64 v5, v6, 1, vcc
	v_cndmask_b32_e64 v5, v5, v36, s[46:47]
	v_cndmask_b32_e64 v4, v4, 0, s[46:47]
	v_cmp_eq_u16_sdwa vcc, v5, v2 src0_sel:BYTE_0 src1_sel:DWORD
	v_add_u16_e32 v4, v4, v1
	s_waitcnt lgkmcnt(0)
	v_cndmask_b32_e32 v2, 0, v3, vcc
	v_add_u16_e32 v49, v4, v2
	v_cndmask_b32_e64 v2, 0, v49, s[2:3]
	v_add_u16_e32 v4, v2, v16
	v_cndmask_b32_e64 v2, 0, v4, s[4:5]
	;; [unrolled: 2-line block ×21, first 2 shown]
	v_add_u16_e32 v48, v2, v13
	s_branch .LBB242_211
.LBB242_189:
                                        ; implicit-def: $vgpr49
                                        ; implicit-def: $vgpr4
                                        ; implicit-def: $vgpr5
                                        ; implicit-def: $vgpr6
                                        ; implicit-def: $vgpr7
                                        ; implicit-def: $vgpr8
                                        ; implicit-def: $vgpr9
                                        ; implicit-def: $vgpr10
                                        ; implicit-def: $vgpr11
                                        ; implicit-def: $vgpr36
                                        ; implicit-def: $vgpr37
                                        ; implicit-def: $vgpr38
                                        ; implicit-def: $vgpr39
                                        ; implicit-def: $vgpr40
                                        ; implicit-def: $vgpr41
                                        ; implicit-def: $vgpr42
                                        ; implicit-def: $vgpr43
                                        ; implicit-def: $vgpr44
                                        ; implicit-def: $vgpr45
                                        ; implicit-def: $vgpr46
                                        ; implicit-def: $vgpr47
                                        ; implicit-def: $vgpr48
	s_cbranch_execz .LBB242_211
; %bb.190:
	s_cmp_lg_u64 s[70:71], 0
	s_cselect_b32 s5, s59, 0
	s_cselect_b32 s4, s58, 0
	s_cmp_lg_u64 s[4:5], 0
	s_cselect_b64 s[6:7], -1, 0
	v_cmp_eq_u32_e32 vcc, 0, v0
	v_cmp_ne_u32_e64 s[2:3], 0, v0
	s_and_b64 s[8:9], vcc, s[6:7]
	s_and_saveexec_b64 s[6:7], s[8:9]
	s_cbranch_execz .LBB242_192
; %bb.191:
	v_mov_b32_e32 v2, 0
	global_load_ushort v3, v2, s[4:5]
	global_load_ubyte v4, v2, s[4:5] offset:2
	s_mov_b32 s4, 0x10000
	v_and_b32_e32 v2, 0x10000, v1
	v_mov_b32_e32 v5, 1
	v_cmp_gt_u32_e64 s[4:5], s4, v1
	v_mov_b32_e32 v6, 0x10000
	s_waitcnt vmcnt(1)
	v_cndmask_b32_e64 v3, 0, v3, s[4:5]
	s_waitcnt vmcnt(0)
	v_and_b32_sdwa v4, v4, v5 dst_sel:WORD_1 dst_unused:UNUSED_PAD src0_sel:DWORD src1_sel:DWORD
	v_cmp_eq_u32_e64 s[4:5], 0, v2
	v_add_u16_e32 v1, v3, v1
	v_cndmask_b32_e64 v2, v6, v4, s[4:5]
	v_or_b32_e32 v1, v2, v1
.LBB242_192:
	s_or_b64 exec, exec, s[6:7]
	s_mov_b32 s46, 0x10000
	v_cmp_gt_u32_e64 s[4:5], s46, v16
	v_cndmask_b32_e64 v3, 0, v1, s[4:5]
	v_add_u16_e32 v4, v3, v16
	v_cmp_gt_u32_e64 s[6:7], s46, v17
	v_cndmask_b32_e64 v3, 0, v4, s[6:7]
	v_add_u16_e32 v5, v3, v17
	;; [unrolled: 3-line block ×21, first 2 shown]
	v_or3_b32 v3, v15, v31, v30
	v_or3_b32 v3, v3, v29, v28
	;; [unrolled: 1-line block ×8, first 2 shown]
	v_and_b32_e32 v3, 0x10000, v3
	v_lshrrev_b32_e32 v2, 16, v1
	v_cmp_ne_u32_e64 s[48:49], 0, v3
	v_mov_b32_e32 v49, 0x10000
	v_cndmask_b32_e64 v3, v2, 1, s[48:49]
	v_add_lshl_u32 v2, v14, v0, 2
	v_cmp_gt_u32_e64 s[48:49], 64, v0
	ds_write_b16 v2, v48
	ds_write_b8 v2, v3 offset:2
	s_waitcnt lgkmcnt(0)
	s_barrier
	s_and_saveexec_b64 s[50:51], s[48:49]
	s_cbranch_execz .LBB242_206
; %bb.193:
	v_lshlrev_b32_e32 v2, 2, v0
	v_lshrrev_b32_e32 v14, 3, v0
	v_add_lshl_u32 v2, v14, v2, 2
	ds_read_b32 v14, v2
	ds_read_u16 v15, v2 offset:4
	ds_read_u8 v50, v2 offset:6
	ds_read_u16 v51, v2 offset:8
	ds_read_u8 v52, v2 offset:10
	;; [unrolled: 2-line block ×3, first 2 shown]
	v_mov_b32_e32 v55, 0
	s_waitcnt lgkmcnt(4)
	v_cmp_eq_u16_sdwa s[48:49], v50, v55 src0_sel:BYTE_0 src1_sel:DWORD
	v_cndmask_b32_e64 v56, 0, v14, s[48:49]
	v_add_u16_e32 v56, v56, v15
	s_waitcnt lgkmcnt(2)
	v_cmp_eq_u16_sdwa s[48:49], v52, v55 src0_sel:BYTE_0 src1_sel:DWORD
	s_waitcnt lgkmcnt(0)
	v_or_b32_e32 v52, v54, v52
	v_cndmask_b32_e64 v55, 0, v56, s[48:49]
	v_or_b32_e32 v50, v52, v50
	v_add_u16_e32 v51, v55, v51
	v_cmp_eq_u16_e64 s[48:49], 0, v54
	v_and_b32_e32 v50, 1, v50
	v_and_b32_e32 v15, 0x10000, v14
	v_cndmask_b32_e64 v55, 0, v51, s[48:49]
	v_cmp_eq_u32_e64 s[48:49], 1, v50
	v_mbcnt_lo_u32_b32 v50, -1, 0
	v_add_u16_e32 v51, v55, v53
	v_cndmask_b32_e64 v56, v15, v49, s[48:49]
	v_add_u16_e32 v53, v55, v53
	v_and_b32_e32 v49, 0xff000000, v14
	v_mbcnt_hi_u32_b32 v50, -1, v50
	v_or_b32_e32 v54, v56, v49
	v_and_b32_e32 v55, 15, v50
	v_or3_b32 v53, v49, v53, v56
	s_movk_i32 s58, 0xff
	v_lshrrev_b32_e32 v52, 16, v54
	v_mov_b32_dpp v56, v53 row_shr:1 row_mask:0xf bank_mask:0xf
	v_cmp_ne_u32_e64 s[48:49], 0, v55
	s_and_saveexec_b64 s[56:57], s[48:49]
	s_cbranch_execz .LBB242_195
; %bb.194:
	v_and_b32_sdwa v52, v54, s58 dst_sel:DWORD dst_unused:UNUSED_PAD src0_sel:WORD_1 src1_sel:DWORD
	v_cmp_eq_u16_e64 s[48:49], 0, v52
	v_and_b32_e32 v52, 0x10000, v54
	v_mov_b32_e32 v54, 1
	v_cndmask_b32_e64 v53, 0, v56, s[48:49]
	v_and_b32_sdwa v54, v56, v54 dst_sel:DWORD dst_unused:UNUSED_PAD src0_sel:WORD_1 src1_sel:DWORD
	v_cmp_ne_u32_e64 s[48:49], 0, v52
	v_cndmask_b32_e64 v52, v54, 1, s[48:49]
	v_add_u16_e32 v57, v53, v51
	v_lshlrev_b32_e32 v54, 16, v52
	v_add_u16_e32 v51, v53, v51
	v_or3_b32 v53, v54, v51, v49
	v_mov_b32_e32 v51, v57
.LBB242_195:
	s_or_b64 exec, exec, s[56:57]
	v_lshrrev_b32_e32 v54, 16, v53
	v_mov_b32_dpp v56, v53 row_shr:2 row_mask:0xf bank_mask:0xf
	v_cmp_lt_u32_e64 s[48:49], 1, v55
	s_and_saveexec_b64 s[56:57], s[48:49]
	s_cbranch_execz .LBB242_197
; %bb.196:
	v_mov_b32_e32 v52, 0
	v_cmp_eq_u16_sdwa s[48:49], v54, v52 src0_sel:BYTE_0 src1_sel:DWORD
	v_and_b32_e32 v52, 0x10000, v53
	v_mov_b32_e32 v53, 1
	v_cndmask_b32_e64 v54, 0, v56, s[48:49]
	v_and_b32_sdwa v53, v56, v53 dst_sel:DWORD dst_unused:UNUSED_PAD src0_sel:WORD_1 src1_sel:DWORD
	v_cmp_ne_u32_e64 s[48:49], 0, v52
	v_cndmask_b32_e64 v52, v53, 1, s[48:49]
	v_add_u16_e32 v57, v54, v51
	v_lshlrev_b32_e32 v53, 16, v52
	v_add_u16_e32 v51, v54, v51
	v_or3_b32 v53, v53, v51, v49
	v_mov_b32_e32 v54, v52
	v_mov_b32_e32 v51, v57
.LBB242_197:
	s_or_b64 exec, exec, s[56:57]
	v_mov_b32_dpp v56, v53 row_shr:4 row_mask:0xf bank_mask:0xf
	v_cmp_lt_u32_e64 s[48:49], 3, v55
	s_and_saveexec_b64 s[56:57], s[48:49]
	s_cbranch_execz .LBB242_199
; %bb.198:
	v_mov_b32_e32 v52, 0
	v_cmp_eq_u16_sdwa s[48:49], v54, v52 src0_sel:BYTE_0 src1_sel:DWORD
	v_and_b32_e32 v52, 1, v54
	v_mov_b32_e32 v54, 1
	v_cndmask_b32_e64 v53, 0, v56, s[48:49]
	v_and_b32_sdwa v54, v56, v54 dst_sel:DWORD dst_unused:UNUSED_PAD src0_sel:WORD_1 src1_sel:DWORD
	v_cmp_eq_u32_e64 s[48:49], 1, v52
	v_cndmask_b32_e64 v52, v54, 1, s[48:49]
	v_add_u16_e32 v57, v53, v51
	v_lshlrev_b32_e32 v54, 16, v52
	v_add_u16_e32 v51, v53, v51
	v_or3_b32 v53, v54, v51, v49
	v_mov_b32_e32 v54, v52
	v_mov_b32_e32 v51, v57
.LBB242_199:
	s_or_b64 exec, exec, s[56:57]
	v_mov_b32_dpp v56, v53 row_shr:8 row_mask:0xf bank_mask:0xf
	v_cmp_lt_u32_e64 s[48:49], 7, v55
	s_and_saveexec_b64 s[56:57], s[48:49]
	s_cbranch_execz .LBB242_201
; %bb.200:
	v_mov_b32_e32 v52, 0
	v_cmp_eq_u16_sdwa s[48:49], v54, v52 src0_sel:BYTE_0 src1_sel:DWORD
	v_and_b32_e32 v52, 1, v54
	v_mov_b32_e32 v54, 1
	v_cndmask_b32_e64 v53, 0, v56, s[48:49]
	v_and_b32_sdwa v54, v56, v54 dst_sel:DWORD dst_unused:UNUSED_PAD src0_sel:WORD_1 src1_sel:DWORD
	v_cmp_eq_u32_e64 s[48:49], 1, v52
	v_cndmask_b32_e64 v52, v54, 1, s[48:49]
	v_add_u16_e32 v55, v53, v51
	v_lshlrev_b32_e32 v54, 16, v52
	v_add_u16_e32 v51, v53, v51
	v_or3_b32 v53, v54, v51, v49
	v_mov_b32_e32 v54, v52
	v_mov_b32_e32 v51, v55
.LBB242_201:
	s_or_b64 exec, exec, s[56:57]
	v_and_b32_e32 v56, 16, v50
	v_mov_b32_dpp v55, v53 row_bcast:15 row_mask:0xf bank_mask:0xf
	v_cmp_ne_u32_e64 s[48:49], 0, v56
	s_and_saveexec_b64 s[56:57], s[48:49]
	s_cbranch_execz .LBB242_203
; %bb.202:
	v_mov_b32_e32 v52, 0
	v_cmp_eq_u16_sdwa s[48:49], v54, v52 src0_sel:BYTE_0 src1_sel:DWORD
	v_and_b32_e32 v52, 1, v54
	v_mov_b32_e32 v54, 1
	v_cndmask_b32_e64 v53, 0, v55, s[48:49]
	v_and_b32_sdwa v54, v55, v54 dst_sel:DWORD dst_unused:UNUSED_PAD src0_sel:WORD_1 src1_sel:DWORD
	v_cmp_eq_u32_e64 s[48:49], 1, v52
	v_cndmask_b32_e64 v52, v54, 1, s[48:49]
	v_add_u16_e32 v56, v53, v51
	v_lshlrev_b32_e32 v54, 16, v52
	v_add_u16_e32 v51, v53, v51
	v_or3_b32 v53, v54, v51, v49
	v_mov_b32_e32 v54, v52
	v_mov_b32_e32 v51, v56
.LBB242_203:
	s_or_b64 exec, exec, s[56:57]
	v_mov_b32_dpp v53, v53 row_bcast:31 row_mask:0xf bank_mask:0xf
	v_cmp_lt_u32_e64 s[48:49], 31, v50
	s_and_saveexec_b64 s[56:57], s[48:49]
; %bb.204:
	v_mov_b32_e32 v52, 0
	v_cmp_eq_u16_sdwa s[48:49], v54, v52 src0_sel:BYTE_0 src1_sel:DWORD
	v_cndmask_b32_e64 v52, 0, v53, s[48:49]
	v_add_u16_e32 v51, v52, v51
	v_and_b32_e32 v52, 1, v54
	v_mov_b32_e32 v54, 1
	v_and_b32_sdwa v53, v53, v54 dst_sel:DWORD dst_unused:UNUSED_PAD src0_sel:WORD_1 src1_sel:DWORD
	v_cmp_eq_u32_e64 s[48:49], 1, v52
	v_cndmask_b32_e64 v52, v53, 1, s[48:49]
; %bb.205:
	s_or_b64 exec, exec, s[56:57]
	v_and_b32_e32 v52, 0xff, v52
	v_lshlrev_b32_e32 v52, 16, v52
	v_and_b32_e32 v51, 0xffff, v51
	v_or3_b32 v49, v52, v51, v49
	v_add_u32_e32 v51, -1, v50
	v_and_b32_e32 v52, 64, v50
	v_cmp_lt_i32_e64 s[48:49], v51, v52
	v_cndmask_b32_e64 v50, v51, v50, s[48:49]
	v_lshlrev_b32_e32 v50, 2, v50
	ds_bpermute_b32 v49, v50, v49
	v_and_b32_e32 v50, 0xff0000, v14
	v_cmp_eq_u32_e64 s[48:49], 0, v50
	; wave barrier
	s_waitcnt lgkmcnt(0)
	v_cndmask_b32_e64 v50, 0, v49, s[48:49]
	v_add_u16_e32 v14, v50, v14
	v_mov_b32_e32 v50, 1
	v_and_b32_sdwa v49, v49, v50 dst_sel:DWORD dst_unused:UNUSED_PAD src0_sel:WORD_1 src1_sel:DWORD
	v_cmp_eq_u32_e64 s[48:49], 0, v15
	v_cndmask_b32_e64 v15, 1, v49, s[48:49]
	v_cndmask_b32_e32 v14, v14, v48, vcc
	v_cndmask_b32_e32 v3, v15, v3, vcc
	ds_write_b16 v2, v14
	ds_write_b8 v2, v3 offset:2
	; wave barrier
	ds_read_u16 v15, v2 offset:4
	ds_read_u8 v49, v2 offset:6
	ds_read_u16 v50, v2 offset:8
	ds_read_u8 v51, v2 offset:10
	;; [unrolled: 2-line block ×3, first 2 shown]
	s_waitcnt lgkmcnt(4)
	v_cmp_eq_u16_e64 s[48:49], 0, v49
	v_cndmask_b32_e64 v14, 0, v14, s[48:49]
	v_add_u16_e32 v14, v14, v15
	v_and_b32_e32 v15, 1, v49
	v_cmp_eq_u32_e64 s[48:49], 1, v15
	v_cndmask_b32_e64 v3, v3, 1, s[48:49]
	s_waitcnt lgkmcnt(2)
	v_cmp_eq_u16_e64 s[48:49], 0, v51
	v_and_b32_e32 v15, 1, v51
	ds_write_b16 v2, v14 offset:4
	ds_write_b8 v2, v3 offset:6
	v_cndmask_b32_e64 v14, 0, v14, s[48:49]
	v_cmp_eq_u32_e64 s[48:49], 1, v15
	v_add_u16_e32 v14, v14, v50
	v_cndmask_b32_e64 v3, v3, 1, s[48:49]
	s_waitcnt lgkmcnt(2)
	v_cmp_eq_u16_e64 s[48:49], 0, v53
	ds_write_b16 v2, v14 offset:8
	ds_write_b8 v2, v3 offset:10
	v_cndmask_b32_e64 v14, 0, v14, s[48:49]
	v_and_b32_e32 v15, 1, v53
	v_add_u16_e32 v14, v14, v52
	v_cmp_eq_u32_e64 s[48:49], 1, v15
	v_cndmask_b32_e64 v3, v3, 1, s[48:49]
	ds_write_b16 v2, v14 offset:12
	ds_write_b8 v2, v3 offset:14
.LBB242_206:
	s_or_b64 exec, exec, s[50:51]
	v_mov_b32_e32 v2, v48
	s_waitcnt lgkmcnt(0)
	s_barrier
	s_and_saveexec_b64 s[48:49], s[2:3]
	s_cbranch_execnz .LBB242_281
; %bb.207:
	s_or_b64 exec, exec, s[48:49]
	s_and_saveexec_b64 s[48:49], s[2:3]
	s_cbranch_execnz .LBB242_282
.LBB242_208:
	s_or_b64 exec, exec, s[48:49]
	s_and_saveexec_b64 s[2:3], vcc
	s_cbranch_execz .LBB242_210
.LBB242_209:
	v_mov_b32_e32 v13, 0
	s_waitcnt lgkmcnt(0)
	ds_read_u8 v2, v13 offset:1050
	ds_read_u16 v3, v13 offset:1048
	s_waitcnt lgkmcnt(1)
	v_lshlrev_b32_e32 v2, 16, v2
	s_waitcnt lgkmcnt(0)
	v_or_b32_e32 v2, v2, v3
	v_mov_b32_e32 v3, 2
	global_store_dwordx2 v13, v[2:3], s[64:65] offset:512
.LBB242_210:
	s_or_b64 exec, exec, s[2:3]
	v_mov_b32_e32 v49, v1
.LBB242_211:
	s_add_u32 s2, s54, s68
	s_addc_u32 s3, s55, s69
	s_add_u32 s4, s2, s52
	s_addc_u32 s5, s3, s53
	s_and_b64 vcc, exec, s[0:1]
	v_mul_u32_u24_e32 v14, 22, v0
	s_cbranch_vccz .LBB242_255
; %bb.212:
	s_mov_b32 s0, 0x5040100
	v_lshlrev_b32_e32 v33, 1, v14
	v_perm_b32 v1, v6, v5, s0
	s_waitcnt lgkmcnt(0)
	v_perm_b32 v2, v4, v49, s0
	s_barrier
	ds_write2_b32 v33, v2, v1 offset1:1
	v_perm_b32 v1, v10, v9, s0
	v_perm_b32 v2, v8, v7, s0
	ds_write2_b32 v33, v2, v1 offset0:2 offset1:3
	v_perm_b32 v1, v38, v37, s0
	v_perm_b32 v2, v36, v11, s0
	ds_write2_b32 v33, v2, v1 offset0:4 offset1:5
	;; [unrolled: 3-line block ×4, first 2 shown]
	v_perm_b32 v1, v48, v47, s0
	s_movk_i32 s0, 0xffd6
	v_mad_i32_i24 v2, v0, s0, v33
	ds_write_b32 v33, v1 offset:40
	s_waitcnt lgkmcnt(0)
	s_barrier
	ds_read_u16 v35, v2 offset:512
	ds_read_u16 v34, v2 offset:1024
	;; [unrolled: 1-line block ×21, first 2 shown]
	v_mov_b32_e32 v3, s5
	v_add_co_u32_e32 v2, vcc, s4, v12
	s_add_i32 s33, s33, s66
	v_addc_co_u32_e32 v3, vcc, 0, v3, vcc
	v_mov_b32_e32 v1, 0
	v_cmp_gt_u32_e32 vcc, s33, v0
	s_and_saveexec_b64 s[0:1], vcc
	s_cbranch_execz .LBB242_214
; %bb.213:
	v_mul_i32_i24_e32 v50, 0xffffffd6, v0
	v_add_u32_e32 v33, v33, v50
	ds_read_u16 v33, v33
	s_waitcnt lgkmcnt(0)
	flat_store_short v[2:3], v33
.LBB242_214:
	s_or_b64 exec, exec, s[0:1]
	v_or_b32_e32 v33, 0x100, v0
	v_cmp_gt_u32_e32 vcc, s33, v33
	s_and_saveexec_b64 s[0:1], vcc
	s_cbranch_execz .LBB242_216
; %bb.215:
	s_waitcnt lgkmcnt(0)
	flat_store_short v[2:3], v35 offset:512
.LBB242_216:
	s_or_b64 exec, exec, s[0:1]
	v_or_b32_e32 v33, 0x200, v0
	v_cmp_gt_u32_e32 vcc, s33, v33
	s_and_saveexec_b64 s[0:1], vcc
	s_cbranch_execz .LBB242_218
; %bb.217:
	s_waitcnt lgkmcnt(0)
	flat_store_short v[2:3], v34 offset:1024
.LBB242_218:
	;; [unrolled: 9-line block ×3, first 2 shown]
	s_or_b64 exec, exec, s[0:1]
	s_waitcnt lgkmcnt(0)
	v_or_b32_e32 v32, 0x400, v0
	v_cmp_gt_u32_e32 vcc, s33, v32
	s_and_saveexec_b64 s[0:1], vcc
	s_cbranch_execz .LBB242_222
; %bb.221:
	flat_store_short v[2:3], v31 offset:2048
.LBB242_222:
	s_or_b64 exec, exec, s[0:1]
	v_or_b32_e32 v31, 0x500, v0
	v_cmp_gt_u32_e32 vcc, s33, v31
	s_and_saveexec_b64 s[0:1], vcc
	s_cbranch_execz .LBB242_224
; %bb.223:
	flat_store_short v[2:3], v30 offset:2560
.LBB242_224:
	s_or_b64 exec, exec, s[0:1]
	;; [unrolled: 8-line block ×4, first 2 shown]
	v_or_b32_e32 v28, 0x800, v0
	v_cmp_gt_u32_e32 vcc, s33, v28
	s_and_saveexec_b64 s[0:1], vcc
	s_cbranch_execz .LBB242_230
; %bb.229:
	v_add_co_u32_e32 v28, vcc, 0x1000, v2
	v_addc_co_u32_e32 v29, vcc, 0, v3, vcc
	flat_store_short v[28:29], v27
.LBB242_230:
	s_or_b64 exec, exec, s[0:1]
	v_or_b32_e32 v27, 0x900, v0
	v_cmp_gt_u32_e32 vcc, s33, v27
	s_and_saveexec_b64 s[0:1], vcc
	s_cbranch_execz .LBB242_232
; %bb.231:
	v_add_co_u32_e32 v28, vcc, 0x1000, v2
	v_addc_co_u32_e32 v29, vcc, 0, v3, vcc
	flat_store_short v[28:29], v26 offset:512
.LBB242_232:
	s_or_b64 exec, exec, s[0:1]
	v_or_b32_e32 v26, 0xa00, v0
	v_cmp_gt_u32_e32 vcc, s33, v26
	s_and_saveexec_b64 s[0:1], vcc
	s_cbranch_execz .LBB242_234
; %bb.233:
	v_add_co_u32_e32 v26, vcc, 0x1000, v2
	v_addc_co_u32_e32 v27, vcc, 0, v3, vcc
	flat_store_short v[26:27], v25 offset:1024
.LBB242_234:
	;; [unrolled: 10-line block ×7, first 2 shown]
	s_or_b64 exec, exec, s[0:1]
	v_or_b32_e32 v20, 0x1000, v0
	v_cmp_gt_u32_e32 vcc, s33, v20
	s_and_saveexec_b64 s[0:1], vcc
	s_cbranch_execz .LBB242_246
; %bb.245:
	v_add_co_u32_e32 v20, vcc, 0x2000, v2
	v_addc_co_u32_e32 v21, vcc, 0, v3, vcc
	flat_store_short v[20:21], v19
.LBB242_246:
	s_or_b64 exec, exec, s[0:1]
	v_or_b32_e32 v19, 0x1100, v0
	v_cmp_gt_u32_e32 vcc, s33, v19
	s_and_saveexec_b64 s[0:1], vcc
	s_cbranch_execz .LBB242_248
; %bb.247:
	v_add_co_u32_e32 v20, vcc, 0x2000, v2
	v_addc_co_u32_e32 v21, vcc, 0, v3, vcc
	flat_store_short v[20:21], v18 offset:512
.LBB242_248:
	s_or_b64 exec, exec, s[0:1]
	v_or_b32_e32 v18, 0x1200, v0
	v_cmp_gt_u32_e32 vcc, s33, v18
	s_and_saveexec_b64 s[0:1], vcc
	s_cbranch_execz .LBB242_250
; %bb.249:
	v_add_co_u32_e32 v18, vcc, 0x2000, v2
	v_addc_co_u32_e32 v19, vcc, 0, v3, vcc
	flat_store_short v[18:19], v17 offset:1024
.LBB242_250:
	;; [unrolled: 10-line block ×4, first 2 shown]
	s_or_b64 exec, exec, s[0:1]
	v_or_b32_e32 v2, 0x1500, v0
	v_cmp_gt_u32_e64 s[0:1], s33, v2
	s_branch .LBB242_257
.LBB242_255:
	s_mov_b64 s[0:1], 0
                                        ; implicit-def: $vgpr13
	s_cbranch_execz .LBB242_257
; %bb.256:
	s_mov_b32 s2, 0x5040100
	s_waitcnt lgkmcnt(0)
	v_lshlrev_b32_e32 v2, 1, v14
	v_perm_b32 v1, v6, v5, s2
	v_perm_b32 v3, v4, v49, s2
	s_barrier
	ds_write2_b32 v2, v3, v1 offset1:1
	v_perm_b32 v1, v10, v9, s2
	v_perm_b32 v3, v8, v7, s2
	ds_write2_b32 v2, v3, v1 offset0:2 offset1:3
	v_perm_b32 v1, v38, v37, s2
	v_perm_b32 v3, v36, v11, s2
	ds_write2_b32 v2, v3, v1 offset0:4 offset1:5
	;; [unrolled: 3-line block ×4, first 2 shown]
	v_perm_b32 v1, v48, v47, s2
	s_movk_i32 s2, 0xffd6
	ds_write_b32 v2, v1 offset:40
	v_mad_i32_i24 v2, v0, s2, v2
	s_waitcnt lgkmcnt(0)
	s_barrier
	ds_read_u16 v4, v2
	ds_read_u16 v5, v2 offset:512
	ds_read_u16 v6, v2 offset:1024
	;; [unrolled: 1-line block ×21, first 2 shown]
	v_mov_b32_e32 v3, s5
	v_add_co_u32_e32 v2, vcc, s4, v12
	v_addc_co_u32_e32 v3, vcc, 0, v3, vcc
	s_movk_i32 s2, 0x1000
	s_waitcnt lgkmcnt(0)
	flat_store_short v[2:3], v4
	flat_store_short v[2:3], v5 offset:512
	flat_store_short v[2:3], v6 offset:1024
	;; [unrolled: 1-line block ×7, first 2 shown]
	v_add_co_u32_e32 v4, vcc, s2, v2
	v_addc_co_u32_e32 v5, vcc, 0, v3, vcc
	v_add_co_u32_e32 v2, vcc, 0x2000, v2
	v_mov_b32_e32 v1, 0
	v_addc_co_u32_e32 v3, vcc, 0, v3, vcc
	s_or_b64 s[0:1], s[0:1], exec
	flat_store_short v[4:5], v14
	flat_store_short v[4:5], v15 offset:512
	flat_store_short v[4:5], v16 offset:1024
	;; [unrolled: 1-line block ×7, first 2 shown]
	flat_store_short v[2:3], v22
	flat_store_short v[2:3], v23 offset:512
	flat_store_short v[2:3], v24 offset:1024
	;; [unrolled: 1-line block ×4, first 2 shown]
.LBB242_257:
	s_and_saveexec_b64 s[2:3], s[0:1]
	s_cbranch_execnz .LBB242_259
; %bb.258:
	s_endpgm
.LBB242_259:
	v_lshlrev_b64 v[0:1], 1, v[0:1]
	s_waitcnt lgkmcnt(0)
	v_mov_b32_e32 v2, s5
	v_add_co_u32_e32 v0, vcc, s4, v0
	v_addc_co_u32_e32 v1, vcc, v2, v1, vcc
	v_add_co_u32_e32 v0, vcc, 0x2000, v0
	v_addc_co_u32_e32 v1, vcc, 0, v1, vcc
	flat_store_short v[0:1], v13 offset:2560
	s_endpgm
.LBB242_260:
	v_mov_b32_e32 v27, s67
	v_add_co_u32_e32 v26, vcc, s7, v20
	v_addc_co_u32_e32 v27, vcc, 0, v27, vcc
	flat_load_ushort v26, v[26:27]
	s_or_b64 exec, exec, s[56:57]
                                        ; implicit-def: $vgpr27
	s_and_saveexec_b64 s[2:3], s[4:5]
	s_cbranch_execz .LBB242_53
.LBB242_261:
	v_mov_b32_e32 v27, s67
	v_add_co_u32_e32 v28, vcc, s7, v20
	v_addc_co_u32_e32 v29, vcc, 0, v27, vcc
	flat_load_ushort v27, v[28:29] offset:512
	s_or_b64 exec, exec, s[2:3]
                                        ; implicit-def: $vgpr28
	s_and_saveexec_b64 s[2:3], s[48:49]
	s_cbranch_execz .LBB242_54
.LBB242_262:
	v_mov_b32_e32 v29, s67
	v_add_co_u32_e32 v28, vcc, s7, v20
	v_addc_co_u32_e32 v29, vcc, 0, v29, vcc
	flat_load_ushort v28, v[28:29] offset:1024
	s_or_b64 exec, exec, s[2:3]
                                        ; implicit-def: $vgpr29
	s_and_saveexec_b64 s[2:3], s[8:9]
	s_cbranch_execz .LBB242_55
.LBB242_263:
	v_mov_b32_e32 v29, s67
	v_add_co_u32_e32 v30, vcc, s7, v20
	v_addc_co_u32_e32 v31, vcc, 0, v29, vcc
	flat_load_ushort v29, v[30:31] offset:1536
	s_or_b64 exec, exec, s[2:3]
                                        ; implicit-def: $vgpr30
	s_and_saveexec_b64 s[2:3], s[10:11]
	s_cbranch_execz .LBB242_56
.LBB242_264:
	v_mov_b32_e32 v31, s67
	v_add_co_u32_e32 v30, vcc, s7, v20
	v_addc_co_u32_e32 v31, vcc, 0, v31, vcc
	flat_load_ushort v30, v[30:31] offset:2048
	s_or_b64 exec, exec, s[2:3]
                                        ; implicit-def: $vgpr31
	s_and_saveexec_b64 s[2:3], s[12:13]
	s_cbranch_execz .LBB242_57
.LBB242_265:
	v_mov_b32_e32 v31, s67
	v_add_co_u32_e32 v32, vcc, s7, v20
	v_addc_co_u32_e32 v33, vcc, 0, v31, vcc
	flat_load_ushort v31, v[32:33] offset:2560
	s_or_b64 exec, exec, s[2:3]
                                        ; implicit-def: $vgpr32
	s_and_saveexec_b64 s[2:3], s[14:15]
	s_cbranch_execz .LBB242_58
.LBB242_266:
	v_mov_b32_e32 v33, s67
	v_add_co_u32_e32 v32, vcc, s7, v20
	v_addc_co_u32_e32 v33, vcc, 0, v33, vcc
	flat_load_ushort v32, v[32:33] offset:3072
	s_or_b64 exec, exec, s[2:3]
                                        ; implicit-def: $vgpr33
	s_and_saveexec_b64 s[2:3], s[16:17]
	s_cbranch_execz .LBB242_59
.LBB242_267:
	v_mov_b32_e32 v33, s67
	v_add_co_u32_e32 v34, vcc, s7, v20
	v_addc_co_u32_e32 v35, vcc, 0, v33, vcc
	flat_load_ushort v33, v[34:35] offset:3584
	s_or_b64 exec, exec, s[2:3]
                                        ; implicit-def: $vgpr34
	s_and_saveexec_b64 s[2:3], s[18:19]
	s_cbranch_execz .LBB242_60
.LBB242_268:
	v_mov_b32_e32 v35, s67
	v_add_co_u32_e32 v34, vcc, s7, v1
	v_addc_co_u32_e32 v35, vcc, 0, v35, vcc
	flat_load_ushort v34, v[34:35]
	s_or_b64 exec, exec, s[2:3]
                                        ; implicit-def: $vgpr1
	s_and_saveexec_b64 s[2:3], s[20:21]
	s_cbranch_execz .LBB242_61
.LBB242_269:
	v_mov_b32_e32 v1, s67
	v_add_co_u32_e32 v42, vcc, s7, v2
	v_addc_co_u32_e32 v43, vcc, 0, v1, vcc
	flat_load_ushort v1, v[42:43]
	s_or_b64 exec, exec, s[2:3]
                                        ; implicit-def: $vgpr2
	s_and_saveexec_b64 s[2:3], s[22:23]
	s_cbranch_execz .LBB242_62
.LBB242_270:
	v_mov_b32_e32 v35, s67
	v_add_co_u32_e32 v2, vcc, s7, v3
	v_addc_co_u32_e32 v3, vcc, 0, v35, vcc
	flat_load_ushort v2, v[2:3]
	s_or_b64 exec, exec, s[2:3]
                                        ; implicit-def: $vgpr3
	s_and_saveexec_b64 s[2:3], s[24:25]
	s_cbranch_execz .LBB242_63
.LBB242_271:
	v_mov_b32_e32 v3, s67
	v_add_co_u32_e32 v42, vcc, s7, v4
	v_addc_co_u32_e32 v43, vcc, 0, v3, vcc
	flat_load_ushort v3, v[42:43]
	s_or_b64 exec, exec, s[2:3]
                                        ; implicit-def: $vgpr4
	s_and_saveexec_b64 s[2:3], s[26:27]
	s_cbranch_execz .LBB242_64
.LBB242_272:
	v_mov_b32_e32 v35, s67
	v_add_co_u32_e32 v4, vcc, s7, v5
	v_addc_co_u32_e32 v5, vcc, 0, v35, vcc
	flat_load_ushort v4, v[4:5]
	s_or_b64 exec, exec, s[2:3]
                                        ; implicit-def: $vgpr5
	s_and_saveexec_b64 s[2:3], s[28:29]
	s_cbranch_execz .LBB242_65
.LBB242_273:
	v_mov_b32_e32 v5, s67
	v_add_co_u32_e32 v42, vcc, s7, v16
	v_addc_co_u32_e32 v43, vcc, 0, v5, vcc
	flat_load_ushort v5, v[42:43]
	s_or_b64 exec, exec, s[2:3]
                                        ; implicit-def: $vgpr16
	s_and_saveexec_b64 s[2:3], s[30:31]
	s_cbranch_execz .LBB242_66
.LBB242_274:
	v_mov_b32_e32 v35, s67
	v_add_co_u32_e32 v16, vcc, s7, v17
	v_addc_co_u32_e32 v17, vcc, 0, v35, vcc
	flat_load_ushort v16, v[16:17]
	s_or_b64 exec, exec, s[2:3]
                                        ; implicit-def: $vgpr17
	s_and_saveexec_b64 s[2:3], s[34:35]
	s_cbranch_execz .LBB242_67
.LBB242_275:
	v_mov_b32_e32 v17, s67
	v_add_co_u32_e32 v42, vcc, s7, v18
	v_addc_co_u32_e32 v43, vcc, 0, v17, vcc
	flat_load_ushort v17, v[42:43]
	s_or_b64 exec, exec, s[2:3]
                                        ; implicit-def: $vgpr18
	s_and_saveexec_b64 s[2:3], s[36:37]
	s_cbranch_execz .LBB242_68
.LBB242_276:
	v_mov_b32_e32 v35, s67
	v_add_co_u32_e32 v18, vcc, s7, v19
	v_addc_co_u32_e32 v19, vcc, 0, v35, vcc
	flat_load_ushort v18, v[18:19]
	s_or_b64 exec, exec, s[2:3]
                                        ; implicit-def: $vgpr19
	s_and_saveexec_b64 s[2:3], s[38:39]
	s_cbranch_execz .LBB242_69
.LBB242_277:
	v_mov_b32_e32 v19, s67
	v_add_co_u32_e32 v42, vcc, s7, v21
	v_addc_co_u32_e32 v43, vcc, 0, v19, vcc
	flat_load_ushort v19, v[42:43]
	s_or_b64 exec, exec, s[2:3]
                                        ; implicit-def: $vgpr21
	s_and_saveexec_b64 s[2:3], s[40:41]
	s_cbranch_execz .LBB242_70
.LBB242_278:
	v_mov_b32_e32 v21, s67
	v_add_co_u32_e32 v42, vcc, s7, v22
	v_addc_co_u32_e32 v43, vcc, 0, v21, vcc
	flat_load_ushort v21, v[42:43]
	s_or_b64 exec, exec, s[2:3]
                                        ; implicit-def: $vgpr22
	s_and_saveexec_b64 s[2:3], s[42:43]
	s_cbranch_execz .LBB242_71
.LBB242_279:
	v_mov_b32_e32 v35, s67
	v_add_co_u32_e32 v22, vcc, s7, v23
	v_addc_co_u32_e32 v23, vcc, 0, v35, vcc
	flat_load_ushort v22, v[22:23]
	s_or_b64 exec, exec, s[2:3]
                                        ; implicit-def: $vgpr23
	s_and_saveexec_b64 s[2:3], s[44:45]
	s_cbranch_execz .LBB242_72
.LBB242_280:
	v_mov_b32_e32 v23, s67
	v_add_co_u32_e32 v42, vcc, s7, v24
	v_addc_co_u32_e32 v43, vcc, 0, v23, vcc
	flat_load_ushort v23, v[42:43]
	s_or_b64 exec, exec, s[2:3]
                                        ; implicit-def: $vgpr24
	s_and_saveexec_b64 s[2:3], s[46:47]
	s_cbranch_execnz .LBB242_73
	s_branch .LBB242_74
.LBB242_281:
	v_add_u32_e32 v2, -1, v0
	v_lshrrev_b32_e32 v3, 5, v2
	v_add_lshl_u32 v2, v3, v2, 2
	ds_read_u16 v2, v2
	s_or_b64 exec, exec, s[48:49]
	s_and_saveexec_b64 s[48:49], s[2:3]
	s_cbranch_execz .LBB242_208
.LBB242_282:
	s_mov_b32 s2, 0x10000
	s_waitcnt lgkmcnt(0)
	v_and_b32_e32 v2, 0xffff, v2
	v_cmp_gt_u32_e64 s[2:3], s2, v1
	v_cndmask_b32_e64 v2, 0, v2, s[2:3]
	v_add_u32_e32 v1, v2, v1
	v_cndmask_b32_e64 v2, 0, v1, s[4:5]
	v_add_u16_e32 v4, v2, v16
	v_cndmask_b32_e64 v2, 0, v4, s[6:7]
	v_add_u16_e32 v5, v2, v17
	;; [unrolled: 2-line block ×21, first 2 shown]
	;;#ASMSTART
	;;#ASMEND
	s_or_b64 exec, exec, s[48:49]
	s_and_saveexec_b64 s[2:3], vcc
	s_cbranch_execnz .LBB242_209
	s_branch .LBB242_210
.LBB242_283:
                                        ; implicit-def: $sgpr56_sgpr57
	s_branch .LBB242_48
.LBB242_284:
                                        ; implicit-def: $sgpr2_sgpr3
	s_branch .LBB242_121
	.section	.rodata,"a",@progbits
	.p2align	6, 0x0
	.amdhsa_kernel _ZN7rocprim17ROCPRIM_400000_NS6detail17trampoline_kernelINS0_14default_configENS1_27scan_by_key_config_selectorIssEEZZNS1_16scan_by_key_implILNS1_25lookback_scan_determinismE0ELb0ES3_N6thrust23THRUST_200600_302600_NS6detail15normal_iteratorINS9_10device_ptrIsEEEESE_SE_sNS9_4plusIvEENS9_8equal_toIvEEsEE10hipError_tPvRmT2_T3_T4_T5_mT6_T7_P12ihipStream_tbENKUlT_T0_E_clISt17integral_constantIbLb0EESZ_EEDaSU_SV_EUlSU_E_NS1_11comp_targetILNS1_3genE4ELNS1_11target_archE910ELNS1_3gpuE8ELNS1_3repE0EEENS1_30default_config_static_selectorELNS0_4arch9wavefront6targetE1EEEvT1_
		.amdhsa_group_segment_fixed_size 12288
		.amdhsa_private_segment_fixed_size 0
		.amdhsa_kernarg_size 112
		.amdhsa_user_sgpr_count 6
		.amdhsa_user_sgpr_private_segment_buffer 1
		.amdhsa_user_sgpr_dispatch_ptr 0
		.amdhsa_user_sgpr_queue_ptr 0
		.amdhsa_user_sgpr_kernarg_segment_ptr 1
		.amdhsa_user_sgpr_dispatch_id 0
		.amdhsa_user_sgpr_flat_scratch_init 0
		.amdhsa_user_sgpr_kernarg_preload_length 0
		.amdhsa_user_sgpr_kernarg_preload_offset 0
		.amdhsa_user_sgpr_private_segment_size 0
		.amdhsa_uses_dynamic_stack 0
		.amdhsa_system_sgpr_private_segment_wavefront_offset 0
		.amdhsa_system_sgpr_workgroup_id_x 1
		.amdhsa_system_sgpr_workgroup_id_y 0
		.amdhsa_system_sgpr_workgroup_id_z 0
		.amdhsa_system_sgpr_workgroup_info 0
		.amdhsa_system_vgpr_workitem_id 0
		.amdhsa_next_free_vgpr 58
		.amdhsa_next_free_sgpr 78
		.amdhsa_accum_offset 60
		.amdhsa_reserve_vcc 1
		.amdhsa_reserve_flat_scratch 0
		.amdhsa_float_round_mode_32 0
		.amdhsa_float_round_mode_16_64 0
		.amdhsa_float_denorm_mode_32 3
		.amdhsa_float_denorm_mode_16_64 3
		.amdhsa_dx10_clamp 1
		.amdhsa_ieee_mode 1
		.amdhsa_fp16_overflow 0
		.amdhsa_tg_split 0
		.amdhsa_exception_fp_ieee_invalid_op 0
		.amdhsa_exception_fp_denorm_src 0
		.amdhsa_exception_fp_ieee_div_zero 0
		.amdhsa_exception_fp_ieee_overflow 0
		.amdhsa_exception_fp_ieee_underflow 0
		.amdhsa_exception_fp_ieee_inexact 0
		.amdhsa_exception_int_div_zero 0
	.end_amdhsa_kernel
	.section	.text._ZN7rocprim17ROCPRIM_400000_NS6detail17trampoline_kernelINS0_14default_configENS1_27scan_by_key_config_selectorIssEEZZNS1_16scan_by_key_implILNS1_25lookback_scan_determinismE0ELb0ES3_N6thrust23THRUST_200600_302600_NS6detail15normal_iteratorINS9_10device_ptrIsEEEESE_SE_sNS9_4plusIvEENS9_8equal_toIvEEsEE10hipError_tPvRmT2_T3_T4_T5_mT6_T7_P12ihipStream_tbENKUlT_T0_E_clISt17integral_constantIbLb0EESZ_EEDaSU_SV_EUlSU_E_NS1_11comp_targetILNS1_3genE4ELNS1_11target_archE910ELNS1_3gpuE8ELNS1_3repE0EEENS1_30default_config_static_selectorELNS0_4arch9wavefront6targetE1EEEvT1_,"axG",@progbits,_ZN7rocprim17ROCPRIM_400000_NS6detail17trampoline_kernelINS0_14default_configENS1_27scan_by_key_config_selectorIssEEZZNS1_16scan_by_key_implILNS1_25lookback_scan_determinismE0ELb0ES3_N6thrust23THRUST_200600_302600_NS6detail15normal_iteratorINS9_10device_ptrIsEEEESE_SE_sNS9_4plusIvEENS9_8equal_toIvEEsEE10hipError_tPvRmT2_T3_T4_T5_mT6_T7_P12ihipStream_tbENKUlT_T0_E_clISt17integral_constantIbLb0EESZ_EEDaSU_SV_EUlSU_E_NS1_11comp_targetILNS1_3genE4ELNS1_11target_archE910ELNS1_3gpuE8ELNS1_3repE0EEENS1_30default_config_static_selectorELNS0_4arch9wavefront6targetE1EEEvT1_,comdat
.Lfunc_end242:
	.size	_ZN7rocprim17ROCPRIM_400000_NS6detail17trampoline_kernelINS0_14default_configENS1_27scan_by_key_config_selectorIssEEZZNS1_16scan_by_key_implILNS1_25lookback_scan_determinismE0ELb0ES3_N6thrust23THRUST_200600_302600_NS6detail15normal_iteratorINS9_10device_ptrIsEEEESE_SE_sNS9_4plusIvEENS9_8equal_toIvEEsEE10hipError_tPvRmT2_T3_T4_T5_mT6_T7_P12ihipStream_tbENKUlT_T0_E_clISt17integral_constantIbLb0EESZ_EEDaSU_SV_EUlSU_E_NS1_11comp_targetILNS1_3genE4ELNS1_11target_archE910ELNS1_3gpuE8ELNS1_3repE0EEENS1_30default_config_static_selectorELNS0_4arch9wavefront6targetE1EEEvT1_, .Lfunc_end242-_ZN7rocprim17ROCPRIM_400000_NS6detail17trampoline_kernelINS0_14default_configENS1_27scan_by_key_config_selectorIssEEZZNS1_16scan_by_key_implILNS1_25lookback_scan_determinismE0ELb0ES3_N6thrust23THRUST_200600_302600_NS6detail15normal_iteratorINS9_10device_ptrIsEEEESE_SE_sNS9_4plusIvEENS9_8equal_toIvEEsEE10hipError_tPvRmT2_T3_T4_T5_mT6_T7_P12ihipStream_tbENKUlT_T0_E_clISt17integral_constantIbLb0EESZ_EEDaSU_SV_EUlSU_E_NS1_11comp_targetILNS1_3genE4ELNS1_11target_archE910ELNS1_3gpuE8ELNS1_3repE0EEENS1_30default_config_static_selectorELNS0_4arch9wavefront6targetE1EEEvT1_
                                        ; -- End function
	.section	.AMDGPU.csdata,"",@progbits
; Kernel info:
; codeLenInByte = 15528
; NumSgprs: 82
; NumVgprs: 58
; NumAgprs: 0
; TotalNumVgprs: 58
; ScratchSize: 0
; MemoryBound: 0
; FloatMode: 240
; IeeeMode: 1
; LDSByteSize: 12288 bytes/workgroup (compile time only)
; SGPRBlocks: 10
; VGPRBlocks: 7
; NumSGPRsForWavesPerEU: 82
; NumVGPRsForWavesPerEU: 58
; AccumOffset: 60
; Occupancy: 5
; WaveLimiterHint : 1
; COMPUTE_PGM_RSRC2:SCRATCH_EN: 0
; COMPUTE_PGM_RSRC2:USER_SGPR: 6
; COMPUTE_PGM_RSRC2:TRAP_HANDLER: 0
; COMPUTE_PGM_RSRC2:TGID_X_EN: 1
; COMPUTE_PGM_RSRC2:TGID_Y_EN: 0
; COMPUTE_PGM_RSRC2:TGID_Z_EN: 0
; COMPUTE_PGM_RSRC2:TIDIG_COMP_CNT: 0
; COMPUTE_PGM_RSRC3_GFX90A:ACCUM_OFFSET: 14
; COMPUTE_PGM_RSRC3_GFX90A:TG_SPLIT: 0
	.section	.text._ZN7rocprim17ROCPRIM_400000_NS6detail17trampoline_kernelINS0_14default_configENS1_27scan_by_key_config_selectorIssEEZZNS1_16scan_by_key_implILNS1_25lookback_scan_determinismE0ELb0ES3_N6thrust23THRUST_200600_302600_NS6detail15normal_iteratorINS9_10device_ptrIsEEEESE_SE_sNS9_4plusIvEENS9_8equal_toIvEEsEE10hipError_tPvRmT2_T3_T4_T5_mT6_T7_P12ihipStream_tbENKUlT_T0_E_clISt17integral_constantIbLb0EESZ_EEDaSU_SV_EUlSU_E_NS1_11comp_targetILNS1_3genE3ELNS1_11target_archE908ELNS1_3gpuE7ELNS1_3repE0EEENS1_30default_config_static_selectorELNS0_4arch9wavefront6targetE1EEEvT1_,"axG",@progbits,_ZN7rocprim17ROCPRIM_400000_NS6detail17trampoline_kernelINS0_14default_configENS1_27scan_by_key_config_selectorIssEEZZNS1_16scan_by_key_implILNS1_25lookback_scan_determinismE0ELb0ES3_N6thrust23THRUST_200600_302600_NS6detail15normal_iteratorINS9_10device_ptrIsEEEESE_SE_sNS9_4plusIvEENS9_8equal_toIvEEsEE10hipError_tPvRmT2_T3_T4_T5_mT6_T7_P12ihipStream_tbENKUlT_T0_E_clISt17integral_constantIbLb0EESZ_EEDaSU_SV_EUlSU_E_NS1_11comp_targetILNS1_3genE3ELNS1_11target_archE908ELNS1_3gpuE7ELNS1_3repE0EEENS1_30default_config_static_selectorELNS0_4arch9wavefront6targetE1EEEvT1_,comdat
	.protected	_ZN7rocprim17ROCPRIM_400000_NS6detail17trampoline_kernelINS0_14default_configENS1_27scan_by_key_config_selectorIssEEZZNS1_16scan_by_key_implILNS1_25lookback_scan_determinismE0ELb0ES3_N6thrust23THRUST_200600_302600_NS6detail15normal_iteratorINS9_10device_ptrIsEEEESE_SE_sNS9_4plusIvEENS9_8equal_toIvEEsEE10hipError_tPvRmT2_T3_T4_T5_mT6_T7_P12ihipStream_tbENKUlT_T0_E_clISt17integral_constantIbLb0EESZ_EEDaSU_SV_EUlSU_E_NS1_11comp_targetILNS1_3genE3ELNS1_11target_archE908ELNS1_3gpuE7ELNS1_3repE0EEENS1_30default_config_static_selectorELNS0_4arch9wavefront6targetE1EEEvT1_ ; -- Begin function _ZN7rocprim17ROCPRIM_400000_NS6detail17trampoline_kernelINS0_14default_configENS1_27scan_by_key_config_selectorIssEEZZNS1_16scan_by_key_implILNS1_25lookback_scan_determinismE0ELb0ES3_N6thrust23THRUST_200600_302600_NS6detail15normal_iteratorINS9_10device_ptrIsEEEESE_SE_sNS9_4plusIvEENS9_8equal_toIvEEsEE10hipError_tPvRmT2_T3_T4_T5_mT6_T7_P12ihipStream_tbENKUlT_T0_E_clISt17integral_constantIbLb0EESZ_EEDaSU_SV_EUlSU_E_NS1_11comp_targetILNS1_3genE3ELNS1_11target_archE908ELNS1_3gpuE7ELNS1_3repE0EEENS1_30default_config_static_selectorELNS0_4arch9wavefront6targetE1EEEvT1_
	.globl	_ZN7rocprim17ROCPRIM_400000_NS6detail17trampoline_kernelINS0_14default_configENS1_27scan_by_key_config_selectorIssEEZZNS1_16scan_by_key_implILNS1_25lookback_scan_determinismE0ELb0ES3_N6thrust23THRUST_200600_302600_NS6detail15normal_iteratorINS9_10device_ptrIsEEEESE_SE_sNS9_4plusIvEENS9_8equal_toIvEEsEE10hipError_tPvRmT2_T3_T4_T5_mT6_T7_P12ihipStream_tbENKUlT_T0_E_clISt17integral_constantIbLb0EESZ_EEDaSU_SV_EUlSU_E_NS1_11comp_targetILNS1_3genE3ELNS1_11target_archE908ELNS1_3gpuE7ELNS1_3repE0EEENS1_30default_config_static_selectorELNS0_4arch9wavefront6targetE1EEEvT1_
	.p2align	8
	.type	_ZN7rocprim17ROCPRIM_400000_NS6detail17trampoline_kernelINS0_14default_configENS1_27scan_by_key_config_selectorIssEEZZNS1_16scan_by_key_implILNS1_25lookback_scan_determinismE0ELb0ES3_N6thrust23THRUST_200600_302600_NS6detail15normal_iteratorINS9_10device_ptrIsEEEESE_SE_sNS9_4plusIvEENS9_8equal_toIvEEsEE10hipError_tPvRmT2_T3_T4_T5_mT6_T7_P12ihipStream_tbENKUlT_T0_E_clISt17integral_constantIbLb0EESZ_EEDaSU_SV_EUlSU_E_NS1_11comp_targetILNS1_3genE3ELNS1_11target_archE908ELNS1_3gpuE7ELNS1_3repE0EEENS1_30default_config_static_selectorELNS0_4arch9wavefront6targetE1EEEvT1_,@function
_ZN7rocprim17ROCPRIM_400000_NS6detail17trampoline_kernelINS0_14default_configENS1_27scan_by_key_config_selectorIssEEZZNS1_16scan_by_key_implILNS1_25lookback_scan_determinismE0ELb0ES3_N6thrust23THRUST_200600_302600_NS6detail15normal_iteratorINS9_10device_ptrIsEEEESE_SE_sNS9_4plusIvEENS9_8equal_toIvEEsEE10hipError_tPvRmT2_T3_T4_T5_mT6_T7_P12ihipStream_tbENKUlT_T0_E_clISt17integral_constantIbLb0EESZ_EEDaSU_SV_EUlSU_E_NS1_11comp_targetILNS1_3genE3ELNS1_11target_archE908ELNS1_3gpuE7ELNS1_3repE0EEENS1_30default_config_static_selectorELNS0_4arch9wavefront6targetE1EEEvT1_: ; @_ZN7rocprim17ROCPRIM_400000_NS6detail17trampoline_kernelINS0_14default_configENS1_27scan_by_key_config_selectorIssEEZZNS1_16scan_by_key_implILNS1_25lookback_scan_determinismE0ELb0ES3_N6thrust23THRUST_200600_302600_NS6detail15normal_iteratorINS9_10device_ptrIsEEEESE_SE_sNS9_4plusIvEENS9_8equal_toIvEEsEE10hipError_tPvRmT2_T3_T4_T5_mT6_T7_P12ihipStream_tbENKUlT_T0_E_clISt17integral_constantIbLb0EESZ_EEDaSU_SV_EUlSU_E_NS1_11comp_targetILNS1_3genE3ELNS1_11target_archE908ELNS1_3gpuE7ELNS1_3repE0EEENS1_30default_config_static_selectorELNS0_4arch9wavefront6targetE1EEEvT1_
; %bb.0:
	.section	.rodata,"a",@progbits
	.p2align	6, 0x0
	.amdhsa_kernel _ZN7rocprim17ROCPRIM_400000_NS6detail17trampoline_kernelINS0_14default_configENS1_27scan_by_key_config_selectorIssEEZZNS1_16scan_by_key_implILNS1_25lookback_scan_determinismE0ELb0ES3_N6thrust23THRUST_200600_302600_NS6detail15normal_iteratorINS9_10device_ptrIsEEEESE_SE_sNS9_4plusIvEENS9_8equal_toIvEEsEE10hipError_tPvRmT2_T3_T4_T5_mT6_T7_P12ihipStream_tbENKUlT_T0_E_clISt17integral_constantIbLb0EESZ_EEDaSU_SV_EUlSU_E_NS1_11comp_targetILNS1_3genE3ELNS1_11target_archE908ELNS1_3gpuE7ELNS1_3repE0EEENS1_30default_config_static_selectorELNS0_4arch9wavefront6targetE1EEEvT1_
		.amdhsa_group_segment_fixed_size 0
		.amdhsa_private_segment_fixed_size 0
		.amdhsa_kernarg_size 112
		.amdhsa_user_sgpr_count 6
		.amdhsa_user_sgpr_private_segment_buffer 1
		.amdhsa_user_sgpr_dispatch_ptr 0
		.amdhsa_user_sgpr_queue_ptr 0
		.amdhsa_user_sgpr_kernarg_segment_ptr 1
		.amdhsa_user_sgpr_dispatch_id 0
		.amdhsa_user_sgpr_flat_scratch_init 0
		.amdhsa_user_sgpr_kernarg_preload_length 0
		.amdhsa_user_sgpr_kernarg_preload_offset 0
		.amdhsa_user_sgpr_private_segment_size 0
		.amdhsa_uses_dynamic_stack 0
		.amdhsa_system_sgpr_private_segment_wavefront_offset 0
		.amdhsa_system_sgpr_workgroup_id_x 1
		.amdhsa_system_sgpr_workgroup_id_y 0
		.amdhsa_system_sgpr_workgroup_id_z 0
		.amdhsa_system_sgpr_workgroup_info 0
		.amdhsa_system_vgpr_workitem_id 0
		.amdhsa_next_free_vgpr 1
		.amdhsa_next_free_sgpr 0
		.amdhsa_accum_offset 4
		.amdhsa_reserve_vcc 0
		.amdhsa_reserve_flat_scratch 0
		.amdhsa_float_round_mode_32 0
		.amdhsa_float_round_mode_16_64 0
		.amdhsa_float_denorm_mode_32 3
		.amdhsa_float_denorm_mode_16_64 3
		.amdhsa_dx10_clamp 1
		.amdhsa_ieee_mode 1
		.amdhsa_fp16_overflow 0
		.amdhsa_tg_split 0
		.amdhsa_exception_fp_ieee_invalid_op 0
		.amdhsa_exception_fp_denorm_src 0
		.amdhsa_exception_fp_ieee_div_zero 0
		.amdhsa_exception_fp_ieee_overflow 0
		.amdhsa_exception_fp_ieee_underflow 0
		.amdhsa_exception_fp_ieee_inexact 0
		.amdhsa_exception_int_div_zero 0
	.end_amdhsa_kernel
	.section	.text._ZN7rocprim17ROCPRIM_400000_NS6detail17trampoline_kernelINS0_14default_configENS1_27scan_by_key_config_selectorIssEEZZNS1_16scan_by_key_implILNS1_25lookback_scan_determinismE0ELb0ES3_N6thrust23THRUST_200600_302600_NS6detail15normal_iteratorINS9_10device_ptrIsEEEESE_SE_sNS9_4plusIvEENS9_8equal_toIvEEsEE10hipError_tPvRmT2_T3_T4_T5_mT6_T7_P12ihipStream_tbENKUlT_T0_E_clISt17integral_constantIbLb0EESZ_EEDaSU_SV_EUlSU_E_NS1_11comp_targetILNS1_3genE3ELNS1_11target_archE908ELNS1_3gpuE7ELNS1_3repE0EEENS1_30default_config_static_selectorELNS0_4arch9wavefront6targetE1EEEvT1_,"axG",@progbits,_ZN7rocprim17ROCPRIM_400000_NS6detail17trampoline_kernelINS0_14default_configENS1_27scan_by_key_config_selectorIssEEZZNS1_16scan_by_key_implILNS1_25lookback_scan_determinismE0ELb0ES3_N6thrust23THRUST_200600_302600_NS6detail15normal_iteratorINS9_10device_ptrIsEEEESE_SE_sNS9_4plusIvEENS9_8equal_toIvEEsEE10hipError_tPvRmT2_T3_T4_T5_mT6_T7_P12ihipStream_tbENKUlT_T0_E_clISt17integral_constantIbLb0EESZ_EEDaSU_SV_EUlSU_E_NS1_11comp_targetILNS1_3genE3ELNS1_11target_archE908ELNS1_3gpuE7ELNS1_3repE0EEENS1_30default_config_static_selectorELNS0_4arch9wavefront6targetE1EEEvT1_,comdat
.Lfunc_end243:
	.size	_ZN7rocprim17ROCPRIM_400000_NS6detail17trampoline_kernelINS0_14default_configENS1_27scan_by_key_config_selectorIssEEZZNS1_16scan_by_key_implILNS1_25lookback_scan_determinismE0ELb0ES3_N6thrust23THRUST_200600_302600_NS6detail15normal_iteratorINS9_10device_ptrIsEEEESE_SE_sNS9_4plusIvEENS9_8equal_toIvEEsEE10hipError_tPvRmT2_T3_T4_T5_mT6_T7_P12ihipStream_tbENKUlT_T0_E_clISt17integral_constantIbLb0EESZ_EEDaSU_SV_EUlSU_E_NS1_11comp_targetILNS1_3genE3ELNS1_11target_archE908ELNS1_3gpuE7ELNS1_3repE0EEENS1_30default_config_static_selectorELNS0_4arch9wavefront6targetE1EEEvT1_, .Lfunc_end243-_ZN7rocprim17ROCPRIM_400000_NS6detail17trampoline_kernelINS0_14default_configENS1_27scan_by_key_config_selectorIssEEZZNS1_16scan_by_key_implILNS1_25lookback_scan_determinismE0ELb0ES3_N6thrust23THRUST_200600_302600_NS6detail15normal_iteratorINS9_10device_ptrIsEEEESE_SE_sNS9_4plusIvEENS9_8equal_toIvEEsEE10hipError_tPvRmT2_T3_T4_T5_mT6_T7_P12ihipStream_tbENKUlT_T0_E_clISt17integral_constantIbLb0EESZ_EEDaSU_SV_EUlSU_E_NS1_11comp_targetILNS1_3genE3ELNS1_11target_archE908ELNS1_3gpuE7ELNS1_3repE0EEENS1_30default_config_static_selectorELNS0_4arch9wavefront6targetE1EEEvT1_
                                        ; -- End function
	.section	.AMDGPU.csdata,"",@progbits
; Kernel info:
; codeLenInByte = 0
; NumSgprs: 4
; NumVgprs: 0
; NumAgprs: 0
; TotalNumVgprs: 0
; ScratchSize: 0
; MemoryBound: 0
; FloatMode: 240
; IeeeMode: 1
; LDSByteSize: 0 bytes/workgroup (compile time only)
; SGPRBlocks: 0
; VGPRBlocks: 0
; NumSGPRsForWavesPerEU: 4
; NumVGPRsForWavesPerEU: 1
; AccumOffset: 4
; Occupancy: 8
; WaveLimiterHint : 0
; COMPUTE_PGM_RSRC2:SCRATCH_EN: 0
; COMPUTE_PGM_RSRC2:USER_SGPR: 6
; COMPUTE_PGM_RSRC2:TRAP_HANDLER: 0
; COMPUTE_PGM_RSRC2:TGID_X_EN: 1
; COMPUTE_PGM_RSRC2:TGID_Y_EN: 0
; COMPUTE_PGM_RSRC2:TGID_Z_EN: 0
; COMPUTE_PGM_RSRC2:TIDIG_COMP_CNT: 0
; COMPUTE_PGM_RSRC3_GFX90A:ACCUM_OFFSET: 0
; COMPUTE_PGM_RSRC3_GFX90A:TG_SPLIT: 0
	.section	.text._ZN7rocprim17ROCPRIM_400000_NS6detail17trampoline_kernelINS0_14default_configENS1_27scan_by_key_config_selectorIssEEZZNS1_16scan_by_key_implILNS1_25lookback_scan_determinismE0ELb0ES3_N6thrust23THRUST_200600_302600_NS6detail15normal_iteratorINS9_10device_ptrIsEEEESE_SE_sNS9_4plusIvEENS9_8equal_toIvEEsEE10hipError_tPvRmT2_T3_T4_T5_mT6_T7_P12ihipStream_tbENKUlT_T0_E_clISt17integral_constantIbLb0EESZ_EEDaSU_SV_EUlSU_E_NS1_11comp_targetILNS1_3genE2ELNS1_11target_archE906ELNS1_3gpuE6ELNS1_3repE0EEENS1_30default_config_static_selectorELNS0_4arch9wavefront6targetE1EEEvT1_,"axG",@progbits,_ZN7rocprim17ROCPRIM_400000_NS6detail17trampoline_kernelINS0_14default_configENS1_27scan_by_key_config_selectorIssEEZZNS1_16scan_by_key_implILNS1_25lookback_scan_determinismE0ELb0ES3_N6thrust23THRUST_200600_302600_NS6detail15normal_iteratorINS9_10device_ptrIsEEEESE_SE_sNS9_4plusIvEENS9_8equal_toIvEEsEE10hipError_tPvRmT2_T3_T4_T5_mT6_T7_P12ihipStream_tbENKUlT_T0_E_clISt17integral_constantIbLb0EESZ_EEDaSU_SV_EUlSU_E_NS1_11comp_targetILNS1_3genE2ELNS1_11target_archE906ELNS1_3gpuE6ELNS1_3repE0EEENS1_30default_config_static_selectorELNS0_4arch9wavefront6targetE1EEEvT1_,comdat
	.protected	_ZN7rocprim17ROCPRIM_400000_NS6detail17trampoline_kernelINS0_14default_configENS1_27scan_by_key_config_selectorIssEEZZNS1_16scan_by_key_implILNS1_25lookback_scan_determinismE0ELb0ES3_N6thrust23THRUST_200600_302600_NS6detail15normal_iteratorINS9_10device_ptrIsEEEESE_SE_sNS9_4plusIvEENS9_8equal_toIvEEsEE10hipError_tPvRmT2_T3_T4_T5_mT6_T7_P12ihipStream_tbENKUlT_T0_E_clISt17integral_constantIbLb0EESZ_EEDaSU_SV_EUlSU_E_NS1_11comp_targetILNS1_3genE2ELNS1_11target_archE906ELNS1_3gpuE6ELNS1_3repE0EEENS1_30default_config_static_selectorELNS0_4arch9wavefront6targetE1EEEvT1_ ; -- Begin function _ZN7rocprim17ROCPRIM_400000_NS6detail17trampoline_kernelINS0_14default_configENS1_27scan_by_key_config_selectorIssEEZZNS1_16scan_by_key_implILNS1_25lookback_scan_determinismE0ELb0ES3_N6thrust23THRUST_200600_302600_NS6detail15normal_iteratorINS9_10device_ptrIsEEEESE_SE_sNS9_4plusIvEENS9_8equal_toIvEEsEE10hipError_tPvRmT2_T3_T4_T5_mT6_T7_P12ihipStream_tbENKUlT_T0_E_clISt17integral_constantIbLb0EESZ_EEDaSU_SV_EUlSU_E_NS1_11comp_targetILNS1_3genE2ELNS1_11target_archE906ELNS1_3gpuE6ELNS1_3repE0EEENS1_30default_config_static_selectorELNS0_4arch9wavefront6targetE1EEEvT1_
	.globl	_ZN7rocprim17ROCPRIM_400000_NS6detail17trampoline_kernelINS0_14default_configENS1_27scan_by_key_config_selectorIssEEZZNS1_16scan_by_key_implILNS1_25lookback_scan_determinismE0ELb0ES3_N6thrust23THRUST_200600_302600_NS6detail15normal_iteratorINS9_10device_ptrIsEEEESE_SE_sNS9_4plusIvEENS9_8equal_toIvEEsEE10hipError_tPvRmT2_T3_T4_T5_mT6_T7_P12ihipStream_tbENKUlT_T0_E_clISt17integral_constantIbLb0EESZ_EEDaSU_SV_EUlSU_E_NS1_11comp_targetILNS1_3genE2ELNS1_11target_archE906ELNS1_3gpuE6ELNS1_3repE0EEENS1_30default_config_static_selectorELNS0_4arch9wavefront6targetE1EEEvT1_
	.p2align	8
	.type	_ZN7rocprim17ROCPRIM_400000_NS6detail17trampoline_kernelINS0_14default_configENS1_27scan_by_key_config_selectorIssEEZZNS1_16scan_by_key_implILNS1_25lookback_scan_determinismE0ELb0ES3_N6thrust23THRUST_200600_302600_NS6detail15normal_iteratorINS9_10device_ptrIsEEEESE_SE_sNS9_4plusIvEENS9_8equal_toIvEEsEE10hipError_tPvRmT2_T3_T4_T5_mT6_T7_P12ihipStream_tbENKUlT_T0_E_clISt17integral_constantIbLb0EESZ_EEDaSU_SV_EUlSU_E_NS1_11comp_targetILNS1_3genE2ELNS1_11target_archE906ELNS1_3gpuE6ELNS1_3repE0EEENS1_30default_config_static_selectorELNS0_4arch9wavefront6targetE1EEEvT1_,@function
_ZN7rocprim17ROCPRIM_400000_NS6detail17trampoline_kernelINS0_14default_configENS1_27scan_by_key_config_selectorIssEEZZNS1_16scan_by_key_implILNS1_25lookback_scan_determinismE0ELb0ES3_N6thrust23THRUST_200600_302600_NS6detail15normal_iteratorINS9_10device_ptrIsEEEESE_SE_sNS9_4plusIvEENS9_8equal_toIvEEsEE10hipError_tPvRmT2_T3_T4_T5_mT6_T7_P12ihipStream_tbENKUlT_T0_E_clISt17integral_constantIbLb0EESZ_EEDaSU_SV_EUlSU_E_NS1_11comp_targetILNS1_3genE2ELNS1_11target_archE906ELNS1_3gpuE6ELNS1_3repE0EEENS1_30default_config_static_selectorELNS0_4arch9wavefront6targetE1EEEvT1_: ; @_ZN7rocprim17ROCPRIM_400000_NS6detail17trampoline_kernelINS0_14default_configENS1_27scan_by_key_config_selectorIssEEZZNS1_16scan_by_key_implILNS1_25lookback_scan_determinismE0ELb0ES3_N6thrust23THRUST_200600_302600_NS6detail15normal_iteratorINS9_10device_ptrIsEEEESE_SE_sNS9_4plusIvEENS9_8equal_toIvEEsEE10hipError_tPvRmT2_T3_T4_T5_mT6_T7_P12ihipStream_tbENKUlT_T0_E_clISt17integral_constantIbLb0EESZ_EEDaSU_SV_EUlSU_E_NS1_11comp_targetILNS1_3genE2ELNS1_11target_archE906ELNS1_3gpuE6ELNS1_3repE0EEENS1_30default_config_static_selectorELNS0_4arch9wavefront6targetE1EEEvT1_
; %bb.0:
	.section	.rodata,"a",@progbits
	.p2align	6, 0x0
	.amdhsa_kernel _ZN7rocprim17ROCPRIM_400000_NS6detail17trampoline_kernelINS0_14default_configENS1_27scan_by_key_config_selectorIssEEZZNS1_16scan_by_key_implILNS1_25lookback_scan_determinismE0ELb0ES3_N6thrust23THRUST_200600_302600_NS6detail15normal_iteratorINS9_10device_ptrIsEEEESE_SE_sNS9_4plusIvEENS9_8equal_toIvEEsEE10hipError_tPvRmT2_T3_T4_T5_mT6_T7_P12ihipStream_tbENKUlT_T0_E_clISt17integral_constantIbLb0EESZ_EEDaSU_SV_EUlSU_E_NS1_11comp_targetILNS1_3genE2ELNS1_11target_archE906ELNS1_3gpuE6ELNS1_3repE0EEENS1_30default_config_static_selectorELNS0_4arch9wavefront6targetE1EEEvT1_
		.amdhsa_group_segment_fixed_size 0
		.amdhsa_private_segment_fixed_size 0
		.amdhsa_kernarg_size 112
		.amdhsa_user_sgpr_count 6
		.amdhsa_user_sgpr_private_segment_buffer 1
		.amdhsa_user_sgpr_dispatch_ptr 0
		.amdhsa_user_sgpr_queue_ptr 0
		.amdhsa_user_sgpr_kernarg_segment_ptr 1
		.amdhsa_user_sgpr_dispatch_id 0
		.amdhsa_user_sgpr_flat_scratch_init 0
		.amdhsa_user_sgpr_kernarg_preload_length 0
		.amdhsa_user_sgpr_kernarg_preload_offset 0
		.amdhsa_user_sgpr_private_segment_size 0
		.amdhsa_uses_dynamic_stack 0
		.amdhsa_system_sgpr_private_segment_wavefront_offset 0
		.amdhsa_system_sgpr_workgroup_id_x 1
		.amdhsa_system_sgpr_workgroup_id_y 0
		.amdhsa_system_sgpr_workgroup_id_z 0
		.amdhsa_system_sgpr_workgroup_info 0
		.amdhsa_system_vgpr_workitem_id 0
		.amdhsa_next_free_vgpr 1
		.amdhsa_next_free_sgpr 0
		.amdhsa_accum_offset 4
		.amdhsa_reserve_vcc 0
		.amdhsa_reserve_flat_scratch 0
		.amdhsa_float_round_mode_32 0
		.amdhsa_float_round_mode_16_64 0
		.amdhsa_float_denorm_mode_32 3
		.amdhsa_float_denorm_mode_16_64 3
		.amdhsa_dx10_clamp 1
		.amdhsa_ieee_mode 1
		.amdhsa_fp16_overflow 0
		.amdhsa_tg_split 0
		.amdhsa_exception_fp_ieee_invalid_op 0
		.amdhsa_exception_fp_denorm_src 0
		.amdhsa_exception_fp_ieee_div_zero 0
		.amdhsa_exception_fp_ieee_overflow 0
		.amdhsa_exception_fp_ieee_underflow 0
		.amdhsa_exception_fp_ieee_inexact 0
		.amdhsa_exception_int_div_zero 0
	.end_amdhsa_kernel
	.section	.text._ZN7rocprim17ROCPRIM_400000_NS6detail17trampoline_kernelINS0_14default_configENS1_27scan_by_key_config_selectorIssEEZZNS1_16scan_by_key_implILNS1_25lookback_scan_determinismE0ELb0ES3_N6thrust23THRUST_200600_302600_NS6detail15normal_iteratorINS9_10device_ptrIsEEEESE_SE_sNS9_4plusIvEENS9_8equal_toIvEEsEE10hipError_tPvRmT2_T3_T4_T5_mT6_T7_P12ihipStream_tbENKUlT_T0_E_clISt17integral_constantIbLb0EESZ_EEDaSU_SV_EUlSU_E_NS1_11comp_targetILNS1_3genE2ELNS1_11target_archE906ELNS1_3gpuE6ELNS1_3repE0EEENS1_30default_config_static_selectorELNS0_4arch9wavefront6targetE1EEEvT1_,"axG",@progbits,_ZN7rocprim17ROCPRIM_400000_NS6detail17trampoline_kernelINS0_14default_configENS1_27scan_by_key_config_selectorIssEEZZNS1_16scan_by_key_implILNS1_25lookback_scan_determinismE0ELb0ES3_N6thrust23THRUST_200600_302600_NS6detail15normal_iteratorINS9_10device_ptrIsEEEESE_SE_sNS9_4plusIvEENS9_8equal_toIvEEsEE10hipError_tPvRmT2_T3_T4_T5_mT6_T7_P12ihipStream_tbENKUlT_T0_E_clISt17integral_constantIbLb0EESZ_EEDaSU_SV_EUlSU_E_NS1_11comp_targetILNS1_3genE2ELNS1_11target_archE906ELNS1_3gpuE6ELNS1_3repE0EEENS1_30default_config_static_selectorELNS0_4arch9wavefront6targetE1EEEvT1_,comdat
.Lfunc_end244:
	.size	_ZN7rocprim17ROCPRIM_400000_NS6detail17trampoline_kernelINS0_14default_configENS1_27scan_by_key_config_selectorIssEEZZNS1_16scan_by_key_implILNS1_25lookback_scan_determinismE0ELb0ES3_N6thrust23THRUST_200600_302600_NS6detail15normal_iteratorINS9_10device_ptrIsEEEESE_SE_sNS9_4plusIvEENS9_8equal_toIvEEsEE10hipError_tPvRmT2_T3_T4_T5_mT6_T7_P12ihipStream_tbENKUlT_T0_E_clISt17integral_constantIbLb0EESZ_EEDaSU_SV_EUlSU_E_NS1_11comp_targetILNS1_3genE2ELNS1_11target_archE906ELNS1_3gpuE6ELNS1_3repE0EEENS1_30default_config_static_selectorELNS0_4arch9wavefront6targetE1EEEvT1_, .Lfunc_end244-_ZN7rocprim17ROCPRIM_400000_NS6detail17trampoline_kernelINS0_14default_configENS1_27scan_by_key_config_selectorIssEEZZNS1_16scan_by_key_implILNS1_25lookback_scan_determinismE0ELb0ES3_N6thrust23THRUST_200600_302600_NS6detail15normal_iteratorINS9_10device_ptrIsEEEESE_SE_sNS9_4plusIvEENS9_8equal_toIvEEsEE10hipError_tPvRmT2_T3_T4_T5_mT6_T7_P12ihipStream_tbENKUlT_T0_E_clISt17integral_constantIbLb0EESZ_EEDaSU_SV_EUlSU_E_NS1_11comp_targetILNS1_3genE2ELNS1_11target_archE906ELNS1_3gpuE6ELNS1_3repE0EEENS1_30default_config_static_selectorELNS0_4arch9wavefront6targetE1EEEvT1_
                                        ; -- End function
	.section	.AMDGPU.csdata,"",@progbits
; Kernel info:
; codeLenInByte = 0
; NumSgprs: 4
; NumVgprs: 0
; NumAgprs: 0
; TotalNumVgprs: 0
; ScratchSize: 0
; MemoryBound: 0
; FloatMode: 240
; IeeeMode: 1
; LDSByteSize: 0 bytes/workgroup (compile time only)
; SGPRBlocks: 0
; VGPRBlocks: 0
; NumSGPRsForWavesPerEU: 4
; NumVGPRsForWavesPerEU: 1
; AccumOffset: 4
; Occupancy: 8
; WaveLimiterHint : 0
; COMPUTE_PGM_RSRC2:SCRATCH_EN: 0
; COMPUTE_PGM_RSRC2:USER_SGPR: 6
; COMPUTE_PGM_RSRC2:TRAP_HANDLER: 0
; COMPUTE_PGM_RSRC2:TGID_X_EN: 1
; COMPUTE_PGM_RSRC2:TGID_Y_EN: 0
; COMPUTE_PGM_RSRC2:TGID_Z_EN: 0
; COMPUTE_PGM_RSRC2:TIDIG_COMP_CNT: 0
; COMPUTE_PGM_RSRC3_GFX90A:ACCUM_OFFSET: 0
; COMPUTE_PGM_RSRC3_GFX90A:TG_SPLIT: 0
	.section	.text._ZN7rocprim17ROCPRIM_400000_NS6detail17trampoline_kernelINS0_14default_configENS1_27scan_by_key_config_selectorIssEEZZNS1_16scan_by_key_implILNS1_25lookback_scan_determinismE0ELb0ES3_N6thrust23THRUST_200600_302600_NS6detail15normal_iteratorINS9_10device_ptrIsEEEESE_SE_sNS9_4plusIvEENS9_8equal_toIvEEsEE10hipError_tPvRmT2_T3_T4_T5_mT6_T7_P12ihipStream_tbENKUlT_T0_E_clISt17integral_constantIbLb0EESZ_EEDaSU_SV_EUlSU_E_NS1_11comp_targetILNS1_3genE10ELNS1_11target_archE1200ELNS1_3gpuE4ELNS1_3repE0EEENS1_30default_config_static_selectorELNS0_4arch9wavefront6targetE1EEEvT1_,"axG",@progbits,_ZN7rocprim17ROCPRIM_400000_NS6detail17trampoline_kernelINS0_14default_configENS1_27scan_by_key_config_selectorIssEEZZNS1_16scan_by_key_implILNS1_25lookback_scan_determinismE0ELb0ES3_N6thrust23THRUST_200600_302600_NS6detail15normal_iteratorINS9_10device_ptrIsEEEESE_SE_sNS9_4plusIvEENS9_8equal_toIvEEsEE10hipError_tPvRmT2_T3_T4_T5_mT6_T7_P12ihipStream_tbENKUlT_T0_E_clISt17integral_constantIbLb0EESZ_EEDaSU_SV_EUlSU_E_NS1_11comp_targetILNS1_3genE10ELNS1_11target_archE1200ELNS1_3gpuE4ELNS1_3repE0EEENS1_30default_config_static_selectorELNS0_4arch9wavefront6targetE1EEEvT1_,comdat
	.protected	_ZN7rocprim17ROCPRIM_400000_NS6detail17trampoline_kernelINS0_14default_configENS1_27scan_by_key_config_selectorIssEEZZNS1_16scan_by_key_implILNS1_25lookback_scan_determinismE0ELb0ES3_N6thrust23THRUST_200600_302600_NS6detail15normal_iteratorINS9_10device_ptrIsEEEESE_SE_sNS9_4plusIvEENS9_8equal_toIvEEsEE10hipError_tPvRmT2_T3_T4_T5_mT6_T7_P12ihipStream_tbENKUlT_T0_E_clISt17integral_constantIbLb0EESZ_EEDaSU_SV_EUlSU_E_NS1_11comp_targetILNS1_3genE10ELNS1_11target_archE1200ELNS1_3gpuE4ELNS1_3repE0EEENS1_30default_config_static_selectorELNS0_4arch9wavefront6targetE1EEEvT1_ ; -- Begin function _ZN7rocprim17ROCPRIM_400000_NS6detail17trampoline_kernelINS0_14default_configENS1_27scan_by_key_config_selectorIssEEZZNS1_16scan_by_key_implILNS1_25lookback_scan_determinismE0ELb0ES3_N6thrust23THRUST_200600_302600_NS6detail15normal_iteratorINS9_10device_ptrIsEEEESE_SE_sNS9_4plusIvEENS9_8equal_toIvEEsEE10hipError_tPvRmT2_T3_T4_T5_mT6_T7_P12ihipStream_tbENKUlT_T0_E_clISt17integral_constantIbLb0EESZ_EEDaSU_SV_EUlSU_E_NS1_11comp_targetILNS1_3genE10ELNS1_11target_archE1200ELNS1_3gpuE4ELNS1_3repE0EEENS1_30default_config_static_selectorELNS0_4arch9wavefront6targetE1EEEvT1_
	.globl	_ZN7rocprim17ROCPRIM_400000_NS6detail17trampoline_kernelINS0_14default_configENS1_27scan_by_key_config_selectorIssEEZZNS1_16scan_by_key_implILNS1_25lookback_scan_determinismE0ELb0ES3_N6thrust23THRUST_200600_302600_NS6detail15normal_iteratorINS9_10device_ptrIsEEEESE_SE_sNS9_4plusIvEENS9_8equal_toIvEEsEE10hipError_tPvRmT2_T3_T4_T5_mT6_T7_P12ihipStream_tbENKUlT_T0_E_clISt17integral_constantIbLb0EESZ_EEDaSU_SV_EUlSU_E_NS1_11comp_targetILNS1_3genE10ELNS1_11target_archE1200ELNS1_3gpuE4ELNS1_3repE0EEENS1_30default_config_static_selectorELNS0_4arch9wavefront6targetE1EEEvT1_
	.p2align	8
	.type	_ZN7rocprim17ROCPRIM_400000_NS6detail17trampoline_kernelINS0_14default_configENS1_27scan_by_key_config_selectorIssEEZZNS1_16scan_by_key_implILNS1_25lookback_scan_determinismE0ELb0ES3_N6thrust23THRUST_200600_302600_NS6detail15normal_iteratorINS9_10device_ptrIsEEEESE_SE_sNS9_4plusIvEENS9_8equal_toIvEEsEE10hipError_tPvRmT2_T3_T4_T5_mT6_T7_P12ihipStream_tbENKUlT_T0_E_clISt17integral_constantIbLb0EESZ_EEDaSU_SV_EUlSU_E_NS1_11comp_targetILNS1_3genE10ELNS1_11target_archE1200ELNS1_3gpuE4ELNS1_3repE0EEENS1_30default_config_static_selectorELNS0_4arch9wavefront6targetE1EEEvT1_,@function
_ZN7rocprim17ROCPRIM_400000_NS6detail17trampoline_kernelINS0_14default_configENS1_27scan_by_key_config_selectorIssEEZZNS1_16scan_by_key_implILNS1_25lookback_scan_determinismE0ELb0ES3_N6thrust23THRUST_200600_302600_NS6detail15normal_iteratorINS9_10device_ptrIsEEEESE_SE_sNS9_4plusIvEENS9_8equal_toIvEEsEE10hipError_tPvRmT2_T3_T4_T5_mT6_T7_P12ihipStream_tbENKUlT_T0_E_clISt17integral_constantIbLb0EESZ_EEDaSU_SV_EUlSU_E_NS1_11comp_targetILNS1_3genE10ELNS1_11target_archE1200ELNS1_3gpuE4ELNS1_3repE0EEENS1_30default_config_static_selectorELNS0_4arch9wavefront6targetE1EEEvT1_: ; @_ZN7rocprim17ROCPRIM_400000_NS6detail17trampoline_kernelINS0_14default_configENS1_27scan_by_key_config_selectorIssEEZZNS1_16scan_by_key_implILNS1_25lookback_scan_determinismE0ELb0ES3_N6thrust23THRUST_200600_302600_NS6detail15normal_iteratorINS9_10device_ptrIsEEEESE_SE_sNS9_4plusIvEENS9_8equal_toIvEEsEE10hipError_tPvRmT2_T3_T4_T5_mT6_T7_P12ihipStream_tbENKUlT_T0_E_clISt17integral_constantIbLb0EESZ_EEDaSU_SV_EUlSU_E_NS1_11comp_targetILNS1_3genE10ELNS1_11target_archE1200ELNS1_3gpuE4ELNS1_3repE0EEENS1_30default_config_static_selectorELNS0_4arch9wavefront6targetE1EEEvT1_
; %bb.0:
	.section	.rodata,"a",@progbits
	.p2align	6, 0x0
	.amdhsa_kernel _ZN7rocprim17ROCPRIM_400000_NS6detail17trampoline_kernelINS0_14default_configENS1_27scan_by_key_config_selectorIssEEZZNS1_16scan_by_key_implILNS1_25lookback_scan_determinismE0ELb0ES3_N6thrust23THRUST_200600_302600_NS6detail15normal_iteratorINS9_10device_ptrIsEEEESE_SE_sNS9_4plusIvEENS9_8equal_toIvEEsEE10hipError_tPvRmT2_T3_T4_T5_mT6_T7_P12ihipStream_tbENKUlT_T0_E_clISt17integral_constantIbLb0EESZ_EEDaSU_SV_EUlSU_E_NS1_11comp_targetILNS1_3genE10ELNS1_11target_archE1200ELNS1_3gpuE4ELNS1_3repE0EEENS1_30default_config_static_selectorELNS0_4arch9wavefront6targetE1EEEvT1_
		.amdhsa_group_segment_fixed_size 0
		.amdhsa_private_segment_fixed_size 0
		.amdhsa_kernarg_size 112
		.amdhsa_user_sgpr_count 6
		.amdhsa_user_sgpr_private_segment_buffer 1
		.amdhsa_user_sgpr_dispatch_ptr 0
		.amdhsa_user_sgpr_queue_ptr 0
		.amdhsa_user_sgpr_kernarg_segment_ptr 1
		.amdhsa_user_sgpr_dispatch_id 0
		.amdhsa_user_sgpr_flat_scratch_init 0
		.amdhsa_user_sgpr_kernarg_preload_length 0
		.amdhsa_user_sgpr_kernarg_preload_offset 0
		.amdhsa_user_sgpr_private_segment_size 0
		.amdhsa_uses_dynamic_stack 0
		.amdhsa_system_sgpr_private_segment_wavefront_offset 0
		.amdhsa_system_sgpr_workgroup_id_x 1
		.amdhsa_system_sgpr_workgroup_id_y 0
		.amdhsa_system_sgpr_workgroup_id_z 0
		.amdhsa_system_sgpr_workgroup_info 0
		.amdhsa_system_vgpr_workitem_id 0
		.amdhsa_next_free_vgpr 1
		.amdhsa_next_free_sgpr 0
		.amdhsa_accum_offset 4
		.amdhsa_reserve_vcc 0
		.amdhsa_reserve_flat_scratch 0
		.amdhsa_float_round_mode_32 0
		.amdhsa_float_round_mode_16_64 0
		.amdhsa_float_denorm_mode_32 3
		.amdhsa_float_denorm_mode_16_64 3
		.amdhsa_dx10_clamp 1
		.amdhsa_ieee_mode 1
		.amdhsa_fp16_overflow 0
		.amdhsa_tg_split 0
		.amdhsa_exception_fp_ieee_invalid_op 0
		.amdhsa_exception_fp_denorm_src 0
		.amdhsa_exception_fp_ieee_div_zero 0
		.amdhsa_exception_fp_ieee_overflow 0
		.amdhsa_exception_fp_ieee_underflow 0
		.amdhsa_exception_fp_ieee_inexact 0
		.amdhsa_exception_int_div_zero 0
	.end_amdhsa_kernel
	.section	.text._ZN7rocprim17ROCPRIM_400000_NS6detail17trampoline_kernelINS0_14default_configENS1_27scan_by_key_config_selectorIssEEZZNS1_16scan_by_key_implILNS1_25lookback_scan_determinismE0ELb0ES3_N6thrust23THRUST_200600_302600_NS6detail15normal_iteratorINS9_10device_ptrIsEEEESE_SE_sNS9_4plusIvEENS9_8equal_toIvEEsEE10hipError_tPvRmT2_T3_T4_T5_mT6_T7_P12ihipStream_tbENKUlT_T0_E_clISt17integral_constantIbLb0EESZ_EEDaSU_SV_EUlSU_E_NS1_11comp_targetILNS1_3genE10ELNS1_11target_archE1200ELNS1_3gpuE4ELNS1_3repE0EEENS1_30default_config_static_selectorELNS0_4arch9wavefront6targetE1EEEvT1_,"axG",@progbits,_ZN7rocprim17ROCPRIM_400000_NS6detail17trampoline_kernelINS0_14default_configENS1_27scan_by_key_config_selectorIssEEZZNS1_16scan_by_key_implILNS1_25lookback_scan_determinismE0ELb0ES3_N6thrust23THRUST_200600_302600_NS6detail15normal_iteratorINS9_10device_ptrIsEEEESE_SE_sNS9_4plusIvEENS9_8equal_toIvEEsEE10hipError_tPvRmT2_T3_T4_T5_mT6_T7_P12ihipStream_tbENKUlT_T0_E_clISt17integral_constantIbLb0EESZ_EEDaSU_SV_EUlSU_E_NS1_11comp_targetILNS1_3genE10ELNS1_11target_archE1200ELNS1_3gpuE4ELNS1_3repE0EEENS1_30default_config_static_selectorELNS0_4arch9wavefront6targetE1EEEvT1_,comdat
.Lfunc_end245:
	.size	_ZN7rocprim17ROCPRIM_400000_NS6detail17trampoline_kernelINS0_14default_configENS1_27scan_by_key_config_selectorIssEEZZNS1_16scan_by_key_implILNS1_25lookback_scan_determinismE0ELb0ES3_N6thrust23THRUST_200600_302600_NS6detail15normal_iteratorINS9_10device_ptrIsEEEESE_SE_sNS9_4plusIvEENS9_8equal_toIvEEsEE10hipError_tPvRmT2_T3_T4_T5_mT6_T7_P12ihipStream_tbENKUlT_T0_E_clISt17integral_constantIbLb0EESZ_EEDaSU_SV_EUlSU_E_NS1_11comp_targetILNS1_3genE10ELNS1_11target_archE1200ELNS1_3gpuE4ELNS1_3repE0EEENS1_30default_config_static_selectorELNS0_4arch9wavefront6targetE1EEEvT1_, .Lfunc_end245-_ZN7rocprim17ROCPRIM_400000_NS6detail17trampoline_kernelINS0_14default_configENS1_27scan_by_key_config_selectorIssEEZZNS1_16scan_by_key_implILNS1_25lookback_scan_determinismE0ELb0ES3_N6thrust23THRUST_200600_302600_NS6detail15normal_iteratorINS9_10device_ptrIsEEEESE_SE_sNS9_4plusIvEENS9_8equal_toIvEEsEE10hipError_tPvRmT2_T3_T4_T5_mT6_T7_P12ihipStream_tbENKUlT_T0_E_clISt17integral_constantIbLb0EESZ_EEDaSU_SV_EUlSU_E_NS1_11comp_targetILNS1_3genE10ELNS1_11target_archE1200ELNS1_3gpuE4ELNS1_3repE0EEENS1_30default_config_static_selectorELNS0_4arch9wavefront6targetE1EEEvT1_
                                        ; -- End function
	.section	.AMDGPU.csdata,"",@progbits
; Kernel info:
; codeLenInByte = 0
; NumSgprs: 4
; NumVgprs: 0
; NumAgprs: 0
; TotalNumVgprs: 0
; ScratchSize: 0
; MemoryBound: 0
; FloatMode: 240
; IeeeMode: 1
; LDSByteSize: 0 bytes/workgroup (compile time only)
; SGPRBlocks: 0
; VGPRBlocks: 0
; NumSGPRsForWavesPerEU: 4
; NumVGPRsForWavesPerEU: 1
; AccumOffset: 4
; Occupancy: 8
; WaveLimiterHint : 0
; COMPUTE_PGM_RSRC2:SCRATCH_EN: 0
; COMPUTE_PGM_RSRC2:USER_SGPR: 6
; COMPUTE_PGM_RSRC2:TRAP_HANDLER: 0
; COMPUTE_PGM_RSRC2:TGID_X_EN: 1
; COMPUTE_PGM_RSRC2:TGID_Y_EN: 0
; COMPUTE_PGM_RSRC2:TGID_Z_EN: 0
; COMPUTE_PGM_RSRC2:TIDIG_COMP_CNT: 0
; COMPUTE_PGM_RSRC3_GFX90A:ACCUM_OFFSET: 0
; COMPUTE_PGM_RSRC3_GFX90A:TG_SPLIT: 0
	.section	.text._ZN7rocprim17ROCPRIM_400000_NS6detail17trampoline_kernelINS0_14default_configENS1_27scan_by_key_config_selectorIssEEZZNS1_16scan_by_key_implILNS1_25lookback_scan_determinismE0ELb0ES3_N6thrust23THRUST_200600_302600_NS6detail15normal_iteratorINS9_10device_ptrIsEEEESE_SE_sNS9_4plusIvEENS9_8equal_toIvEEsEE10hipError_tPvRmT2_T3_T4_T5_mT6_T7_P12ihipStream_tbENKUlT_T0_E_clISt17integral_constantIbLb0EESZ_EEDaSU_SV_EUlSU_E_NS1_11comp_targetILNS1_3genE9ELNS1_11target_archE1100ELNS1_3gpuE3ELNS1_3repE0EEENS1_30default_config_static_selectorELNS0_4arch9wavefront6targetE1EEEvT1_,"axG",@progbits,_ZN7rocprim17ROCPRIM_400000_NS6detail17trampoline_kernelINS0_14default_configENS1_27scan_by_key_config_selectorIssEEZZNS1_16scan_by_key_implILNS1_25lookback_scan_determinismE0ELb0ES3_N6thrust23THRUST_200600_302600_NS6detail15normal_iteratorINS9_10device_ptrIsEEEESE_SE_sNS9_4plusIvEENS9_8equal_toIvEEsEE10hipError_tPvRmT2_T3_T4_T5_mT6_T7_P12ihipStream_tbENKUlT_T0_E_clISt17integral_constantIbLb0EESZ_EEDaSU_SV_EUlSU_E_NS1_11comp_targetILNS1_3genE9ELNS1_11target_archE1100ELNS1_3gpuE3ELNS1_3repE0EEENS1_30default_config_static_selectorELNS0_4arch9wavefront6targetE1EEEvT1_,comdat
	.protected	_ZN7rocprim17ROCPRIM_400000_NS6detail17trampoline_kernelINS0_14default_configENS1_27scan_by_key_config_selectorIssEEZZNS1_16scan_by_key_implILNS1_25lookback_scan_determinismE0ELb0ES3_N6thrust23THRUST_200600_302600_NS6detail15normal_iteratorINS9_10device_ptrIsEEEESE_SE_sNS9_4plusIvEENS9_8equal_toIvEEsEE10hipError_tPvRmT2_T3_T4_T5_mT6_T7_P12ihipStream_tbENKUlT_T0_E_clISt17integral_constantIbLb0EESZ_EEDaSU_SV_EUlSU_E_NS1_11comp_targetILNS1_3genE9ELNS1_11target_archE1100ELNS1_3gpuE3ELNS1_3repE0EEENS1_30default_config_static_selectorELNS0_4arch9wavefront6targetE1EEEvT1_ ; -- Begin function _ZN7rocprim17ROCPRIM_400000_NS6detail17trampoline_kernelINS0_14default_configENS1_27scan_by_key_config_selectorIssEEZZNS1_16scan_by_key_implILNS1_25lookback_scan_determinismE0ELb0ES3_N6thrust23THRUST_200600_302600_NS6detail15normal_iteratorINS9_10device_ptrIsEEEESE_SE_sNS9_4plusIvEENS9_8equal_toIvEEsEE10hipError_tPvRmT2_T3_T4_T5_mT6_T7_P12ihipStream_tbENKUlT_T0_E_clISt17integral_constantIbLb0EESZ_EEDaSU_SV_EUlSU_E_NS1_11comp_targetILNS1_3genE9ELNS1_11target_archE1100ELNS1_3gpuE3ELNS1_3repE0EEENS1_30default_config_static_selectorELNS0_4arch9wavefront6targetE1EEEvT1_
	.globl	_ZN7rocprim17ROCPRIM_400000_NS6detail17trampoline_kernelINS0_14default_configENS1_27scan_by_key_config_selectorIssEEZZNS1_16scan_by_key_implILNS1_25lookback_scan_determinismE0ELb0ES3_N6thrust23THRUST_200600_302600_NS6detail15normal_iteratorINS9_10device_ptrIsEEEESE_SE_sNS9_4plusIvEENS9_8equal_toIvEEsEE10hipError_tPvRmT2_T3_T4_T5_mT6_T7_P12ihipStream_tbENKUlT_T0_E_clISt17integral_constantIbLb0EESZ_EEDaSU_SV_EUlSU_E_NS1_11comp_targetILNS1_3genE9ELNS1_11target_archE1100ELNS1_3gpuE3ELNS1_3repE0EEENS1_30default_config_static_selectorELNS0_4arch9wavefront6targetE1EEEvT1_
	.p2align	8
	.type	_ZN7rocprim17ROCPRIM_400000_NS6detail17trampoline_kernelINS0_14default_configENS1_27scan_by_key_config_selectorIssEEZZNS1_16scan_by_key_implILNS1_25lookback_scan_determinismE0ELb0ES3_N6thrust23THRUST_200600_302600_NS6detail15normal_iteratorINS9_10device_ptrIsEEEESE_SE_sNS9_4plusIvEENS9_8equal_toIvEEsEE10hipError_tPvRmT2_T3_T4_T5_mT6_T7_P12ihipStream_tbENKUlT_T0_E_clISt17integral_constantIbLb0EESZ_EEDaSU_SV_EUlSU_E_NS1_11comp_targetILNS1_3genE9ELNS1_11target_archE1100ELNS1_3gpuE3ELNS1_3repE0EEENS1_30default_config_static_selectorELNS0_4arch9wavefront6targetE1EEEvT1_,@function
_ZN7rocprim17ROCPRIM_400000_NS6detail17trampoline_kernelINS0_14default_configENS1_27scan_by_key_config_selectorIssEEZZNS1_16scan_by_key_implILNS1_25lookback_scan_determinismE0ELb0ES3_N6thrust23THRUST_200600_302600_NS6detail15normal_iteratorINS9_10device_ptrIsEEEESE_SE_sNS9_4plusIvEENS9_8equal_toIvEEsEE10hipError_tPvRmT2_T3_T4_T5_mT6_T7_P12ihipStream_tbENKUlT_T0_E_clISt17integral_constantIbLb0EESZ_EEDaSU_SV_EUlSU_E_NS1_11comp_targetILNS1_3genE9ELNS1_11target_archE1100ELNS1_3gpuE3ELNS1_3repE0EEENS1_30default_config_static_selectorELNS0_4arch9wavefront6targetE1EEEvT1_: ; @_ZN7rocprim17ROCPRIM_400000_NS6detail17trampoline_kernelINS0_14default_configENS1_27scan_by_key_config_selectorIssEEZZNS1_16scan_by_key_implILNS1_25lookback_scan_determinismE0ELb0ES3_N6thrust23THRUST_200600_302600_NS6detail15normal_iteratorINS9_10device_ptrIsEEEESE_SE_sNS9_4plusIvEENS9_8equal_toIvEEsEE10hipError_tPvRmT2_T3_T4_T5_mT6_T7_P12ihipStream_tbENKUlT_T0_E_clISt17integral_constantIbLb0EESZ_EEDaSU_SV_EUlSU_E_NS1_11comp_targetILNS1_3genE9ELNS1_11target_archE1100ELNS1_3gpuE3ELNS1_3repE0EEENS1_30default_config_static_selectorELNS0_4arch9wavefront6targetE1EEEvT1_
; %bb.0:
	.section	.rodata,"a",@progbits
	.p2align	6, 0x0
	.amdhsa_kernel _ZN7rocprim17ROCPRIM_400000_NS6detail17trampoline_kernelINS0_14default_configENS1_27scan_by_key_config_selectorIssEEZZNS1_16scan_by_key_implILNS1_25lookback_scan_determinismE0ELb0ES3_N6thrust23THRUST_200600_302600_NS6detail15normal_iteratorINS9_10device_ptrIsEEEESE_SE_sNS9_4plusIvEENS9_8equal_toIvEEsEE10hipError_tPvRmT2_T3_T4_T5_mT6_T7_P12ihipStream_tbENKUlT_T0_E_clISt17integral_constantIbLb0EESZ_EEDaSU_SV_EUlSU_E_NS1_11comp_targetILNS1_3genE9ELNS1_11target_archE1100ELNS1_3gpuE3ELNS1_3repE0EEENS1_30default_config_static_selectorELNS0_4arch9wavefront6targetE1EEEvT1_
		.amdhsa_group_segment_fixed_size 0
		.amdhsa_private_segment_fixed_size 0
		.amdhsa_kernarg_size 112
		.amdhsa_user_sgpr_count 6
		.amdhsa_user_sgpr_private_segment_buffer 1
		.amdhsa_user_sgpr_dispatch_ptr 0
		.amdhsa_user_sgpr_queue_ptr 0
		.amdhsa_user_sgpr_kernarg_segment_ptr 1
		.amdhsa_user_sgpr_dispatch_id 0
		.amdhsa_user_sgpr_flat_scratch_init 0
		.amdhsa_user_sgpr_kernarg_preload_length 0
		.amdhsa_user_sgpr_kernarg_preload_offset 0
		.amdhsa_user_sgpr_private_segment_size 0
		.amdhsa_uses_dynamic_stack 0
		.amdhsa_system_sgpr_private_segment_wavefront_offset 0
		.amdhsa_system_sgpr_workgroup_id_x 1
		.amdhsa_system_sgpr_workgroup_id_y 0
		.amdhsa_system_sgpr_workgroup_id_z 0
		.amdhsa_system_sgpr_workgroup_info 0
		.amdhsa_system_vgpr_workitem_id 0
		.amdhsa_next_free_vgpr 1
		.amdhsa_next_free_sgpr 0
		.amdhsa_accum_offset 4
		.amdhsa_reserve_vcc 0
		.amdhsa_reserve_flat_scratch 0
		.amdhsa_float_round_mode_32 0
		.amdhsa_float_round_mode_16_64 0
		.amdhsa_float_denorm_mode_32 3
		.amdhsa_float_denorm_mode_16_64 3
		.amdhsa_dx10_clamp 1
		.amdhsa_ieee_mode 1
		.amdhsa_fp16_overflow 0
		.amdhsa_tg_split 0
		.amdhsa_exception_fp_ieee_invalid_op 0
		.amdhsa_exception_fp_denorm_src 0
		.amdhsa_exception_fp_ieee_div_zero 0
		.amdhsa_exception_fp_ieee_overflow 0
		.amdhsa_exception_fp_ieee_underflow 0
		.amdhsa_exception_fp_ieee_inexact 0
		.amdhsa_exception_int_div_zero 0
	.end_amdhsa_kernel
	.section	.text._ZN7rocprim17ROCPRIM_400000_NS6detail17trampoline_kernelINS0_14default_configENS1_27scan_by_key_config_selectorIssEEZZNS1_16scan_by_key_implILNS1_25lookback_scan_determinismE0ELb0ES3_N6thrust23THRUST_200600_302600_NS6detail15normal_iteratorINS9_10device_ptrIsEEEESE_SE_sNS9_4plusIvEENS9_8equal_toIvEEsEE10hipError_tPvRmT2_T3_T4_T5_mT6_T7_P12ihipStream_tbENKUlT_T0_E_clISt17integral_constantIbLb0EESZ_EEDaSU_SV_EUlSU_E_NS1_11comp_targetILNS1_3genE9ELNS1_11target_archE1100ELNS1_3gpuE3ELNS1_3repE0EEENS1_30default_config_static_selectorELNS0_4arch9wavefront6targetE1EEEvT1_,"axG",@progbits,_ZN7rocprim17ROCPRIM_400000_NS6detail17trampoline_kernelINS0_14default_configENS1_27scan_by_key_config_selectorIssEEZZNS1_16scan_by_key_implILNS1_25lookback_scan_determinismE0ELb0ES3_N6thrust23THRUST_200600_302600_NS6detail15normal_iteratorINS9_10device_ptrIsEEEESE_SE_sNS9_4plusIvEENS9_8equal_toIvEEsEE10hipError_tPvRmT2_T3_T4_T5_mT6_T7_P12ihipStream_tbENKUlT_T0_E_clISt17integral_constantIbLb0EESZ_EEDaSU_SV_EUlSU_E_NS1_11comp_targetILNS1_3genE9ELNS1_11target_archE1100ELNS1_3gpuE3ELNS1_3repE0EEENS1_30default_config_static_selectorELNS0_4arch9wavefront6targetE1EEEvT1_,comdat
.Lfunc_end246:
	.size	_ZN7rocprim17ROCPRIM_400000_NS6detail17trampoline_kernelINS0_14default_configENS1_27scan_by_key_config_selectorIssEEZZNS1_16scan_by_key_implILNS1_25lookback_scan_determinismE0ELb0ES3_N6thrust23THRUST_200600_302600_NS6detail15normal_iteratorINS9_10device_ptrIsEEEESE_SE_sNS9_4plusIvEENS9_8equal_toIvEEsEE10hipError_tPvRmT2_T3_T4_T5_mT6_T7_P12ihipStream_tbENKUlT_T0_E_clISt17integral_constantIbLb0EESZ_EEDaSU_SV_EUlSU_E_NS1_11comp_targetILNS1_3genE9ELNS1_11target_archE1100ELNS1_3gpuE3ELNS1_3repE0EEENS1_30default_config_static_selectorELNS0_4arch9wavefront6targetE1EEEvT1_, .Lfunc_end246-_ZN7rocprim17ROCPRIM_400000_NS6detail17trampoline_kernelINS0_14default_configENS1_27scan_by_key_config_selectorIssEEZZNS1_16scan_by_key_implILNS1_25lookback_scan_determinismE0ELb0ES3_N6thrust23THRUST_200600_302600_NS6detail15normal_iteratorINS9_10device_ptrIsEEEESE_SE_sNS9_4plusIvEENS9_8equal_toIvEEsEE10hipError_tPvRmT2_T3_T4_T5_mT6_T7_P12ihipStream_tbENKUlT_T0_E_clISt17integral_constantIbLb0EESZ_EEDaSU_SV_EUlSU_E_NS1_11comp_targetILNS1_3genE9ELNS1_11target_archE1100ELNS1_3gpuE3ELNS1_3repE0EEENS1_30default_config_static_selectorELNS0_4arch9wavefront6targetE1EEEvT1_
                                        ; -- End function
	.section	.AMDGPU.csdata,"",@progbits
; Kernel info:
; codeLenInByte = 0
; NumSgprs: 4
; NumVgprs: 0
; NumAgprs: 0
; TotalNumVgprs: 0
; ScratchSize: 0
; MemoryBound: 0
; FloatMode: 240
; IeeeMode: 1
; LDSByteSize: 0 bytes/workgroup (compile time only)
; SGPRBlocks: 0
; VGPRBlocks: 0
; NumSGPRsForWavesPerEU: 4
; NumVGPRsForWavesPerEU: 1
; AccumOffset: 4
; Occupancy: 8
; WaveLimiterHint : 0
; COMPUTE_PGM_RSRC2:SCRATCH_EN: 0
; COMPUTE_PGM_RSRC2:USER_SGPR: 6
; COMPUTE_PGM_RSRC2:TRAP_HANDLER: 0
; COMPUTE_PGM_RSRC2:TGID_X_EN: 1
; COMPUTE_PGM_RSRC2:TGID_Y_EN: 0
; COMPUTE_PGM_RSRC2:TGID_Z_EN: 0
; COMPUTE_PGM_RSRC2:TIDIG_COMP_CNT: 0
; COMPUTE_PGM_RSRC3_GFX90A:ACCUM_OFFSET: 0
; COMPUTE_PGM_RSRC3_GFX90A:TG_SPLIT: 0
	.section	.text._ZN7rocprim17ROCPRIM_400000_NS6detail17trampoline_kernelINS0_14default_configENS1_27scan_by_key_config_selectorIssEEZZNS1_16scan_by_key_implILNS1_25lookback_scan_determinismE0ELb0ES3_N6thrust23THRUST_200600_302600_NS6detail15normal_iteratorINS9_10device_ptrIsEEEESE_SE_sNS9_4plusIvEENS9_8equal_toIvEEsEE10hipError_tPvRmT2_T3_T4_T5_mT6_T7_P12ihipStream_tbENKUlT_T0_E_clISt17integral_constantIbLb0EESZ_EEDaSU_SV_EUlSU_E_NS1_11comp_targetILNS1_3genE8ELNS1_11target_archE1030ELNS1_3gpuE2ELNS1_3repE0EEENS1_30default_config_static_selectorELNS0_4arch9wavefront6targetE1EEEvT1_,"axG",@progbits,_ZN7rocprim17ROCPRIM_400000_NS6detail17trampoline_kernelINS0_14default_configENS1_27scan_by_key_config_selectorIssEEZZNS1_16scan_by_key_implILNS1_25lookback_scan_determinismE0ELb0ES3_N6thrust23THRUST_200600_302600_NS6detail15normal_iteratorINS9_10device_ptrIsEEEESE_SE_sNS9_4plusIvEENS9_8equal_toIvEEsEE10hipError_tPvRmT2_T3_T4_T5_mT6_T7_P12ihipStream_tbENKUlT_T0_E_clISt17integral_constantIbLb0EESZ_EEDaSU_SV_EUlSU_E_NS1_11comp_targetILNS1_3genE8ELNS1_11target_archE1030ELNS1_3gpuE2ELNS1_3repE0EEENS1_30default_config_static_selectorELNS0_4arch9wavefront6targetE1EEEvT1_,comdat
	.protected	_ZN7rocprim17ROCPRIM_400000_NS6detail17trampoline_kernelINS0_14default_configENS1_27scan_by_key_config_selectorIssEEZZNS1_16scan_by_key_implILNS1_25lookback_scan_determinismE0ELb0ES3_N6thrust23THRUST_200600_302600_NS6detail15normal_iteratorINS9_10device_ptrIsEEEESE_SE_sNS9_4plusIvEENS9_8equal_toIvEEsEE10hipError_tPvRmT2_T3_T4_T5_mT6_T7_P12ihipStream_tbENKUlT_T0_E_clISt17integral_constantIbLb0EESZ_EEDaSU_SV_EUlSU_E_NS1_11comp_targetILNS1_3genE8ELNS1_11target_archE1030ELNS1_3gpuE2ELNS1_3repE0EEENS1_30default_config_static_selectorELNS0_4arch9wavefront6targetE1EEEvT1_ ; -- Begin function _ZN7rocprim17ROCPRIM_400000_NS6detail17trampoline_kernelINS0_14default_configENS1_27scan_by_key_config_selectorIssEEZZNS1_16scan_by_key_implILNS1_25lookback_scan_determinismE0ELb0ES3_N6thrust23THRUST_200600_302600_NS6detail15normal_iteratorINS9_10device_ptrIsEEEESE_SE_sNS9_4plusIvEENS9_8equal_toIvEEsEE10hipError_tPvRmT2_T3_T4_T5_mT6_T7_P12ihipStream_tbENKUlT_T0_E_clISt17integral_constantIbLb0EESZ_EEDaSU_SV_EUlSU_E_NS1_11comp_targetILNS1_3genE8ELNS1_11target_archE1030ELNS1_3gpuE2ELNS1_3repE0EEENS1_30default_config_static_selectorELNS0_4arch9wavefront6targetE1EEEvT1_
	.globl	_ZN7rocprim17ROCPRIM_400000_NS6detail17trampoline_kernelINS0_14default_configENS1_27scan_by_key_config_selectorIssEEZZNS1_16scan_by_key_implILNS1_25lookback_scan_determinismE0ELb0ES3_N6thrust23THRUST_200600_302600_NS6detail15normal_iteratorINS9_10device_ptrIsEEEESE_SE_sNS9_4plusIvEENS9_8equal_toIvEEsEE10hipError_tPvRmT2_T3_T4_T5_mT6_T7_P12ihipStream_tbENKUlT_T0_E_clISt17integral_constantIbLb0EESZ_EEDaSU_SV_EUlSU_E_NS1_11comp_targetILNS1_3genE8ELNS1_11target_archE1030ELNS1_3gpuE2ELNS1_3repE0EEENS1_30default_config_static_selectorELNS0_4arch9wavefront6targetE1EEEvT1_
	.p2align	8
	.type	_ZN7rocprim17ROCPRIM_400000_NS6detail17trampoline_kernelINS0_14default_configENS1_27scan_by_key_config_selectorIssEEZZNS1_16scan_by_key_implILNS1_25lookback_scan_determinismE0ELb0ES3_N6thrust23THRUST_200600_302600_NS6detail15normal_iteratorINS9_10device_ptrIsEEEESE_SE_sNS9_4plusIvEENS9_8equal_toIvEEsEE10hipError_tPvRmT2_T3_T4_T5_mT6_T7_P12ihipStream_tbENKUlT_T0_E_clISt17integral_constantIbLb0EESZ_EEDaSU_SV_EUlSU_E_NS1_11comp_targetILNS1_3genE8ELNS1_11target_archE1030ELNS1_3gpuE2ELNS1_3repE0EEENS1_30default_config_static_selectorELNS0_4arch9wavefront6targetE1EEEvT1_,@function
_ZN7rocprim17ROCPRIM_400000_NS6detail17trampoline_kernelINS0_14default_configENS1_27scan_by_key_config_selectorIssEEZZNS1_16scan_by_key_implILNS1_25lookback_scan_determinismE0ELb0ES3_N6thrust23THRUST_200600_302600_NS6detail15normal_iteratorINS9_10device_ptrIsEEEESE_SE_sNS9_4plusIvEENS9_8equal_toIvEEsEE10hipError_tPvRmT2_T3_T4_T5_mT6_T7_P12ihipStream_tbENKUlT_T0_E_clISt17integral_constantIbLb0EESZ_EEDaSU_SV_EUlSU_E_NS1_11comp_targetILNS1_3genE8ELNS1_11target_archE1030ELNS1_3gpuE2ELNS1_3repE0EEENS1_30default_config_static_selectorELNS0_4arch9wavefront6targetE1EEEvT1_: ; @_ZN7rocprim17ROCPRIM_400000_NS6detail17trampoline_kernelINS0_14default_configENS1_27scan_by_key_config_selectorIssEEZZNS1_16scan_by_key_implILNS1_25lookback_scan_determinismE0ELb0ES3_N6thrust23THRUST_200600_302600_NS6detail15normal_iteratorINS9_10device_ptrIsEEEESE_SE_sNS9_4plusIvEENS9_8equal_toIvEEsEE10hipError_tPvRmT2_T3_T4_T5_mT6_T7_P12ihipStream_tbENKUlT_T0_E_clISt17integral_constantIbLb0EESZ_EEDaSU_SV_EUlSU_E_NS1_11comp_targetILNS1_3genE8ELNS1_11target_archE1030ELNS1_3gpuE2ELNS1_3repE0EEENS1_30default_config_static_selectorELNS0_4arch9wavefront6targetE1EEEvT1_
; %bb.0:
	.section	.rodata,"a",@progbits
	.p2align	6, 0x0
	.amdhsa_kernel _ZN7rocprim17ROCPRIM_400000_NS6detail17trampoline_kernelINS0_14default_configENS1_27scan_by_key_config_selectorIssEEZZNS1_16scan_by_key_implILNS1_25lookback_scan_determinismE0ELb0ES3_N6thrust23THRUST_200600_302600_NS6detail15normal_iteratorINS9_10device_ptrIsEEEESE_SE_sNS9_4plusIvEENS9_8equal_toIvEEsEE10hipError_tPvRmT2_T3_T4_T5_mT6_T7_P12ihipStream_tbENKUlT_T0_E_clISt17integral_constantIbLb0EESZ_EEDaSU_SV_EUlSU_E_NS1_11comp_targetILNS1_3genE8ELNS1_11target_archE1030ELNS1_3gpuE2ELNS1_3repE0EEENS1_30default_config_static_selectorELNS0_4arch9wavefront6targetE1EEEvT1_
		.amdhsa_group_segment_fixed_size 0
		.amdhsa_private_segment_fixed_size 0
		.amdhsa_kernarg_size 112
		.amdhsa_user_sgpr_count 6
		.amdhsa_user_sgpr_private_segment_buffer 1
		.amdhsa_user_sgpr_dispatch_ptr 0
		.amdhsa_user_sgpr_queue_ptr 0
		.amdhsa_user_sgpr_kernarg_segment_ptr 1
		.amdhsa_user_sgpr_dispatch_id 0
		.amdhsa_user_sgpr_flat_scratch_init 0
		.amdhsa_user_sgpr_kernarg_preload_length 0
		.amdhsa_user_sgpr_kernarg_preload_offset 0
		.amdhsa_user_sgpr_private_segment_size 0
		.amdhsa_uses_dynamic_stack 0
		.amdhsa_system_sgpr_private_segment_wavefront_offset 0
		.amdhsa_system_sgpr_workgroup_id_x 1
		.amdhsa_system_sgpr_workgroup_id_y 0
		.amdhsa_system_sgpr_workgroup_id_z 0
		.amdhsa_system_sgpr_workgroup_info 0
		.amdhsa_system_vgpr_workitem_id 0
		.amdhsa_next_free_vgpr 1
		.amdhsa_next_free_sgpr 0
		.amdhsa_accum_offset 4
		.amdhsa_reserve_vcc 0
		.amdhsa_reserve_flat_scratch 0
		.amdhsa_float_round_mode_32 0
		.amdhsa_float_round_mode_16_64 0
		.amdhsa_float_denorm_mode_32 3
		.amdhsa_float_denorm_mode_16_64 3
		.amdhsa_dx10_clamp 1
		.amdhsa_ieee_mode 1
		.amdhsa_fp16_overflow 0
		.amdhsa_tg_split 0
		.amdhsa_exception_fp_ieee_invalid_op 0
		.amdhsa_exception_fp_denorm_src 0
		.amdhsa_exception_fp_ieee_div_zero 0
		.amdhsa_exception_fp_ieee_overflow 0
		.amdhsa_exception_fp_ieee_underflow 0
		.amdhsa_exception_fp_ieee_inexact 0
		.amdhsa_exception_int_div_zero 0
	.end_amdhsa_kernel
	.section	.text._ZN7rocprim17ROCPRIM_400000_NS6detail17trampoline_kernelINS0_14default_configENS1_27scan_by_key_config_selectorIssEEZZNS1_16scan_by_key_implILNS1_25lookback_scan_determinismE0ELb0ES3_N6thrust23THRUST_200600_302600_NS6detail15normal_iteratorINS9_10device_ptrIsEEEESE_SE_sNS9_4plusIvEENS9_8equal_toIvEEsEE10hipError_tPvRmT2_T3_T4_T5_mT6_T7_P12ihipStream_tbENKUlT_T0_E_clISt17integral_constantIbLb0EESZ_EEDaSU_SV_EUlSU_E_NS1_11comp_targetILNS1_3genE8ELNS1_11target_archE1030ELNS1_3gpuE2ELNS1_3repE0EEENS1_30default_config_static_selectorELNS0_4arch9wavefront6targetE1EEEvT1_,"axG",@progbits,_ZN7rocprim17ROCPRIM_400000_NS6detail17trampoline_kernelINS0_14default_configENS1_27scan_by_key_config_selectorIssEEZZNS1_16scan_by_key_implILNS1_25lookback_scan_determinismE0ELb0ES3_N6thrust23THRUST_200600_302600_NS6detail15normal_iteratorINS9_10device_ptrIsEEEESE_SE_sNS9_4plusIvEENS9_8equal_toIvEEsEE10hipError_tPvRmT2_T3_T4_T5_mT6_T7_P12ihipStream_tbENKUlT_T0_E_clISt17integral_constantIbLb0EESZ_EEDaSU_SV_EUlSU_E_NS1_11comp_targetILNS1_3genE8ELNS1_11target_archE1030ELNS1_3gpuE2ELNS1_3repE0EEENS1_30default_config_static_selectorELNS0_4arch9wavefront6targetE1EEEvT1_,comdat
.Lfunc_end247:
	.size	_ZN7rocprim17ROCPRIM_400000_NS6detail17trampoline_kernelINS0_14default_configENS1_27scan_by_key_config_selectorIssEEZZNS1_16scan_by_key_implILNS1_25lookback_scan_determinismE0ELb0ES3_N6thrust23THRUST_200600_302600_NS6detail15normal_iteratorINS9_10device_ptrIsEEEESE_SE_sNS9_4plusIvEENS9_8equal_toIvEEsEE10hipError_tPvRmT2_T3_T4_T5_mT6_T7_P12ihipStream_tbENKUlT_T0_E_clISt17integral_constantIbLb0EESZ_EEDaSU_SV_EUlSU_E_NS1_11comp_targetILNS1_3genE8ELNS1_11target_archE1030ELNS1_3gpuE2ELNS1_3repE0EEENS1_30default_config_static_selectorELNS0_4arch9wavefront6targetE1EEEvT1_, .Lfunc_end247-_ZN7rocprim17ROCPRIM_400000_NS6detail17trampoline_kernelINS0_14default_configENS1_27scan_by_key_config_selectorIssEEZZNS1_16scan_by_key_implILNS1_25lookback_scan_determinismE0ELb0ES3_N6thrust23THRUST_200600_302600_NS6detail15normal_iteratorINS9_10device_ptrIsEEEESE_SE_sNS9_4plusIvEENS9_8equal_toIvEEsEE10hipError_tPvRmT2_T3_T4_T5_mT6_T7_P12ihipStream_tbENKUlT_T0_E_clISt17integral_constantIbLb0EESZ_EEDaSU_SV_EUlSU_E_NS1_11comp_targetILNS1_3genE8ELNS1_11target_archE1030ELNS1_3gpuE2ELNS1_3repE0EEENS1_30default_config_static_selectorELNS0_4arch9wavefront6targetE1EEEvT1_
                                        ; -- End function
	.section	.AMDGPU.csdata,"",@progbits
; Kernel info:
; codeLenInByte = 0
; NumSgprs: 4
; NumVgprs: 0
; NumAgprs: 0
; TotalNumVgprs: 0
; ScratchSize: 0
; MemoryBound: 0
; FloatMode: 240
; IeeeMode: 1
; LDSByteSize: 0 bytes/workgroup (compile time only)
; SGPRBlocks: 0
; VGPRBlocks: 0
; NumSGPRsForWavesPerEU: 4
; NumVGPRsForWavesPerEU: 1
; AccumOffset: 4
; Occupancy: 8
; WaveLimiterHint : 0
; COMPUTE_PGM_RSRC2:SCRATCH_EN: 0
; COMPUTE_PGM_RSRC2:USER_SGPR: 6
; COMPUTE_PGM_RSRC2:TRAP_HANDLER: 0
; COMPUTE_PGM_RSRC2:TGID_X_EN: 1
; COMPUTE_PGM_RSRC2:TGID_Y_EN: 0
; COMPUTE_PGM_RSRC2:TGID_Z_EN: 0
; COMPUTE_PGM_RSRC2:TIDIG_COMP_CNT: 0
; COMPUTE_PGM_RSRC3_GFX90A:ACCUM_OFFSET: 0
; COMPUTE_PGM_RSRC3_GFX90A:TG_SPLIT: 0
	.section	.text._ZN7rocprim17ROCPRIM_400000_NS6detail30init_device_scan_by_key_kernelINS1_19lookback_scan_stateINS0_5tupleIJsbEEELb1ELb1EEEN6thrust23THRUST_200600_302600_NS6detail15normal_iteratorINS8_10device_ptrIsEEEEjNS1_16block_id_wrapperIjLb1EEEEEvT_jjPNSG_10value_typeET0_PNSt15iterator_traitsISJ_E10value_typeEmT1_T2_,"axG",@progbits,_ZN7rocprim17ROCPRIM_400000_NS6detail30init_device_scan_by_key_kernelINS1_19lookback_scan_stateINS0_5tupleIJsbEEELb1ELb1EEEN6thrust23THRUST_200600_302600_NS6detail15normal_iteratorINS8_10device_ptrIsEEEEjNS1_16block_id_wrapperIjLb1EEEEEvT_jjPNSG_10value_typeET0_PNSt15iterator_traitsISJ_E10value_typeEmT1_T2_,comdat
	.protected	_ZN7rocprim17ROCPRIM_400000_NS6detail30init_device_scan_by_key_kernelINS1_19lookback_scan_stateINS0_5tupleIJsbEEELb1ELb1EEEN6thrust23THRUST_200600_302600_NS6detail15normal_iteratorINS8_10device_ptrIsEEEEjNS1_16block_id_wrapperIjLb1EEEEEvT_jjPNSG_10value_typeET0_PNSt15iterator_traitsISJ_E10value_typeEmT1_T2_ ; -- Begin function _ZN7rocprim17ROCPRIM_400000_NS6detail30init_device_scan_by_key_kernelINS1_19lookback_scan_stateINS0_5tupleIJsbEEELb1ELb1EEEN6thrust23THRUST_200600_302600_NS6detail15normal_iteratorINS8_10device_ptrIsEEEEjNS1_16block_id_wrapperIjLb1EEEEEvT_jjPNSG_10value_typeET0_PNSt15iterator_traitsISJ_E10value_typeEmT1_T2_
	.globl	_ZN7rocprim17ROCPRIM_400000_NS6detail30init_device_scan_by_key_kernelINS1_19lookback_scan_stateINS0_5tupleIJsbEEELb1ELb1EEEN6thrust23THRUST_200600_302600_NS6detail15normal_iteratorINS8_10device_ptrIsEEEEjNS1_16block_id_wrapperIjLb1EEEEEvT_jjPNSG_10value_typeET0_PNSt15iterator_traitsISJ_E10value_typeEmT1_T2_
	.p2align	8
	.type	_ZN7rocprim17ROCPRIM_400000_NS6detail30init_device_scan_by_key_kernelINS1_19lookback_scan_stateINS0_5tupleIJsbEEELb1ELb1EEEN6thrust23THRUST_200600_302600_NS6detail15normal_iteratorINS8_10device_ptrIsEEEEjNS1_16block_id_wrapperIjLb1EEEEEvT_jjPNSG_10value_typeET0_PNSt15iterator_traitsISJ_E10value_typeEmT1_T2_,@function
_ZN7rocprim17ROCPRIM_400000_NS6detail30init_device_scan_by_key_kernelINS1_19lookback_scan_stateINS0_5tupleIJsbEEELb1ELb1EEEN6thrust23THRUST_200600_302600_NS6detail15normal_iteratorINS8_10device_ptrIsEEEEjNS1_16block_id_wrapperIjLb1EEEEEvT_jjPNSG_10value_typeET0_PNSt15iterator_traitsISJ_E10value_typeEmT1_T2_: ; @_ZN7rocprim17ROCPRIM_400000_NS6detail30init_device_scan_by_key_kernelINS1_19lookback_scan_stateINS0_5tupleIJsbEEELb1ELb1EEEN6thrust23THRUST_200600_302600_NS6detail15normal_iteratorINS8_10device_ptrIsEEEEjNS1_16block_id_wrapperIjLb1EEEEEvT_jjPNSG_10value_typeET0_PNSt15iterator_traitsISJ_E10value_typeEmT1_T2_
; %bb.0:
	s_load_dword s0, s[4:5], 0x4c
	s_load_dwordx8 s[8:15], s[4:5], 0x0
	s_load_dword s7, s[4:5], 0x40
	s_waitcnt lgkmcnt(0)
	s_and_b32 s16, s0, 0xffff
	s_mul_i32 s6, s6, s16
	s_cmp_eq_u64 s[12:13], 0
	v_add_u32_e32 v0, s6, v0
	s_cbranch_scc1 .LBB248_9
; %bb.1:
	s_cmp_lt_u32 s11, s10
	s_cselect_b32 s0, s11, 0
	s_mov_b32 s3, 0
	v_cmp_eq_u32_e32 vcc, s0, v0
	s_and_saveexec_b64 s[0:1], vcc
	s_cbranch_execz .LBB248_8
; %bb.2:
	s_add_i32 s2, s11, 64
	s_lshl_b64 s[2:3], s[2:3], 3
	s_add_u32 s2, s8, s2
	s_addc_u32 s3, s9, s3
	v_mov_b32_e32 v2, 0
	global_load_dwordx2 v[4:5], v2, s[2:3] glc
	s_waitcnt vmcnt(0)
	v_and_b32_e32 v3, 0xff, v5
	v_cmp_ne_u64_e32 vcc, 0, v[2:3]
	s_cbranch_vccnz .LBB248_7
; %bb.3:
	s_mov_b32 s6, 1
.LBB248_4:                              ; =>This Loop Header: Depth=1
                                        ;     Child Loop BB248_5 Depth 2
	s_max_u32 s11, s6, 1
.LBB248_5:                              ;   Parent Loop BB248_4 Depth=1
                                        ; =>  This Inner Loop Header: Depth=2
	s_add_i32 s11, s11, -1
	s_cmp_eq_u32 s11, 0
	s_sleep 1
	s_cbranch_scc0 .LBB248_5
; %bb.6:                                ;   in Loop: Header=BB248_4 Depth=1
	global_load_dwordx2 v[4:5], v2, s[2:3] glc
	s_cmp_lt_u32 s6, 32
	s_cselect_b64 s[18:19], -1, 0
	s_cmp_lg_u64 s[18:19], 0
	s_addc_u32 s6, s6, 0
	s_waitcnt vmcnt(0)
	v_and_b32_e32 v3, 0xff, v5
	v_cmp_ne_u64_e32 vcc, 0, v[2:3]
	s_cbranch_vccz .LBB248_4
.LBB248_7:
	v_mov_b32_e32 v1, 0
	global_store_short v1, v4, s[12:13]
	global_store_byte_d16_hi v1, v4, s[12:13] offset:2
.LBB248_8:
	s_or_b64 exec, exec, s[0:1]
.LBB248_9:
	v_cmp_eq_u32_e32 vcc, 0, v0
	s_and_saveexec_b64 s[0:1], vcc
	s_cbranch_execz .LBB248_11
; %bb.10:
	s_load_dwordx2 s[2:3], s[4:5], 0x38
	v_mov_b32_e32 v1, 0
	s_waitcnt lgkmcnt(0)
	global_store_dword v1, v1, s[2:3]
.LBB248_11:
	s_or_b64 exec, exec, s[0:1]
	v_cmp_gt_u32_e32 vcc, s10, v0
	s_and_saveexec_b64 s[0:1], vcc
	s_cbranch_execz .LBB248_13
; %bb.12:
	v_add_u32_e32 v2, 64, v0
	v_mov_b32_e32 v3, 0
	v_lshlrev_b64 v[4:5], 3, v[2:3]
	v_mov_b32_e32 v1, s9
	v_add_co_u32_e32 v4, vcc, s8, v4
	v_addc_co_u32_e32 v5, vcc, v1, v5, vcc
	v_mov_b32_e32 v2, v3
	global_store_dwordx2 v[4:5], v[2:3], off
.LBB248_13:
	s_or_b64 exec, exec, s[0:1]
	v_cmp_gt_u32_e32 vcc, 64, v0
	v_mov_b32_e32 v1, 0
	s_and_saveexec_b64 s[0:1], vcc
	s_cbranch_execz .LBB248_15
; %bb.14:
	v_lshlrev_b64 v[2:3], 3, v[0:1]
	v_mov_b32_e32 v4, s9
	v_add_co_u32_e32 v2, vcc, s8, v2
	v_addc_co_u32_e32 v3, vcc, v4, v3, vcc
	v_mov_b32_e32 v5, 0xff
	v_mov_b32_e32 v4, v1
	global_store_dwordx2 v[2:3], v[4:5], off
.LBB248_15:
	s_or_b64 exec, exec, s[0:1]
	s_load_dwordx2 s[0:1], s[4:5], 0x28
	s_waitcnt lgkmcnt(0)
	v_cmp_gt_u64_e32 vcc, s[0:1], v[0:1]
	s_and_saveexec_b64 s[2:3], vcc
	s_cbranch_execz .LBB248_18
; %bb.16:
	s_load_dword s10, s[4:5], 0x30
	s_load_dwordx2 s[8:9], s[4:5], 0x20
	s_mov_b32 s5, 0
	s_mov_b32 s3, s5
	s_mul_i32 s2, s7, s16
	s_waitcnt lgkmcnt(0)
	s_add_i32 s4, s10, -1
	s_lshl_b64 s[4:5], s[4:5], 1
	v_mad_u64_u32 v[2:3], s[6:7], s10, v0, 0
	s_add_u32 s4, s14, s4
	v_lshlrev_b64 v[2:3], 1, v[2:3]
	s_addc_u32 s5, s15, s5
	v_mov_b32_e32 v4, s5
	v_add_co_u32_e32 v2, vcc, s4, v2
	v_addc_co_u32_e32 v3, vcc, v4, v3, vcc
	s_mul_hi_u32 s5, s10, s2
	s_mul_i32 s4, s10, s2
	v_lshlrev_b64 v[4:5], 1, v[0:1]
	s_lshl_b64 s[4:5], s[4:5], 1
	v_mov_b32_e32 v6, s9
	v_add_co_u32_e32 v4, vcc, s8, v4
	s_lshl_b64 s[6:7], s[2:3], 1
	v_addc_co_u32_e32 v5, vcc, v6, v5, vcc
	s_mov_b64 s[8:9], 0
	v_mov_b32_e32 v6, s3
	v_mov_b32_e32 v7, s5
	;; [unrolled: 1-line block ×3, first 2 shown]
.LBB248_17:                             ; =>This Inner Loop Header: Depth=1
	global_load_ushort v9, v[2:3], off
	v_add_co_u32_e32 v0, vcc, s2, v0
	v_addc_co_u32_e32 v1, vcc, v1, v6, vcc
	v_add_co_u32_e32 v2, vcc, s4, v2
	v_addc_co_u32_e32 v3, vcc, v3, v7, vcc
	v_cmp_le_u64_e32 vcc, s[0:1], v[0:1]
	s_or_b64 s[8:9], vcc, s[8:9]
	s_waitcnt vmcnt(0)
	global_store_short v[4:5], v9, off
	v_add_co_u32_e32 v4, vcc, s6, v4
	v_addc_co_u32_e32 v5, vcc, v5, v8, vcc
	s_andn2_b64 exec, exec, s[8:9]
	s_cbranch_execnz .LBB248_17
.LBB248_18:
	s_endpgm
	.section	.rodata,"a",@progbits
	.p2align	6, 0x0
	.amdhsa_kernel _ZN7rocprim17ROCPRIM_400000_NS6detail30init_device_scan_by_key_kernelINS1_19lookback_scan_stateINS0_5tupleIJsbEEELb1ELb1EEEN6thrust23THRUST_200600_302600_NS6detail15normal_iteratorINS8_10device_ptrIsEEEEjNS1_16block_id_wrapperIjLb1EEEEEvT_jjPNSG_10value_typeET0_PNSt15iterator_traitsISJ_E10value_typeEmT1_T2_
		.amdhsa_group_segment_fixed_size 0
		.amdhsa_private_segment_fixed_size 0
		.amdhsa_kernarg_size 320
		.amdhsa_user_sgpr_count 6
		.amdhsa_user_sgpr_private_segment_buffer 1
		.amdhsa_user_sgpr_dispatch_ptr 0
		.amdhsa_user_sgpr_queue_ptr 0
		.amdhsa_user_sgpr_kernarg_segment_ptr 1
		.amdhsa_user_sgpr_dispatch_id 0
		.amdhsa_user_sgpr_flat_scratch_init 0
		.amdhsa_user_sgpr_kernarg_preload_length 0
		.amdhsa_user_sgpr_kernarg_preload_offset 0
		.amdhsa_user_sgpr_private_segment_size 0
		.amdhsa_uses_dynamic_stack 0
		.amdhsa_system_sgpr_private_segment_wavefront_offset 0
		.amdhsa_system_sgpr_workgroup_id_x 1
		.amdhsa_system_sgpr_workgroup_id_y 0
		.amdhsa_system_sgpr_workgroup_id_z 0
		.amdhsa_system_sgpr_workgroup_info 0
		.amdhsa_system_vgpr_workitem_id 0
		.amdhsa_next_free_vgpr 10
		.amdhsa_next_free_sgpr 20
		.amdhsa_accum_offset 12
		.amdhsa_reserve_vcc 1
		.amdhsa_reserve_flat_scratch 0
		.amdhsa_float_round_mode_32 0
		.amdhsa_float_round_mode_16_64 0
		.amdhsa_float_denorm_mode_32 3
		.amdhsa_float_denorm_mode_16_64 3
		.amdhsa_dx10_clamp 1
		.amdhsa_ieee_mode 1
		.amdhsa_fp16_overflow 0
		.amdhsa_tg_split 0
		.amdhsa_exception_fp_ieee_invalid_op 0
		.amdhsa_exception_fp_denorm_src 0
		.amdhsa_exception_fp_ieee_div_zero 0
		.amdhsa_exception_fp_ieee_overflow 0
		.amdhsa_exception_fp_ieee_underflow 0
		.amdhsa_exception_fp_ieee_inexact 0
		.amdhsa_exception_int_div_zero 0
	.end_amdhsa_kernel
	.section	.text._ZN7rocprim17ROCPRIM_400000_NS6detail30init_device_scan_by_key_kernelINS1_19lookback_scan_stateINS0_5tupleIJsbEEELb1ELb1EEEN6thrust23THRUST_200600_302600_NS6detail15normal_iteratorINS8_10device_ptrIsEEEEjNS1_16block_id_wrapperIjLb1EEEEEvT_jjPNSG_10value_typeET0_PNSt15iterator_traitsISJ_E10value_typeEmT1_T2_,"axG",@progbits,_ZN7rocprim17ROCPRIM_400000_NS6detail30init_device_scan_by_key_kernelINS1_19lookback_scan_stateINS0_5tupleIJsbEEELb1ELb1EEEN6thrust23THRUST_200600_302600_NS6detail15normal_iteratorINS8_10device_ptrIsEEEEjNS1_16block_id_wrapperIjLb1EEEEEvT_jjPNSG_10value_typeET0_PNSt15iterator_traitsISJ_E10value_typeEmT1_T2_,comdat
.Lfunc_end248:
	.size	_ZN7rocprim17ROCPRIM_400000_NS6detail30init_device_scan_by_key_kernelINS1_19lookback_scan_stateINS0_5tupleIJsbEEELb1ELb1EEEN6thrust23THRUST_200600_302600_NS6detail15normal_iteratorINS8_10device_ptrIsEEEEjNS1_16block_id_wrapperIjLb1EEEEEvT_jjPNSG_10value_typeET0_PNSt15iterator_traitsISJ_E10value_typeEmT1_T2_, .Lfunc_end248-_ZN7rocprim17ROCPRIM_400000_NS6detail30init_device_scan_by_key_kernelINS1_19lookback_scan_stateINS0_5tupleIJsbEEELb1ELb1EEEN6thrust23THRUST_200600_302600_NS6detail15normal_iteratorINS8_10device_ptrIsEEEEjNS1_16block_id_wrapperIjLb1EEEEEvT_jjPNSG_10value_typeET0_PNSt15iterator_traitsISJ_E10value_typeEmT1_T2_
                                        ; -- End function
	.section	.AMDGPU.csdata,"",@progbits
; Kernel info:
; codeLenInByte = 588
; NumSgprs: 24
; NumVgprs: 10
; NumAgprs: 0
; TotalNumVgprs: 10
; ScratchSize: 0
; MemoryBound: 0
; FloatMode: 240
; IeeeMode: 1
; LDSByteSize: 0 bytes/workgroup (compile time only)
; SGPRBlocks: 2
; VGPRBlocks: 1
; NumSGPRsForWavesPerEU: 24
; NumVGPRsForWavesPerEU: 10
; AccumOffset: 12
; Occupancy: 8
; WaveLimiterHint : 0
; COMPUTE_PGM_RSRC2:SCRATCH_EN: 0
; COMPUTE_PGM_RSRC2:USER_SGPR: 6
; COMPUTE_PGM_RSRC2:TRAP_HANDLER: 0
; COMPUTE_PGM_RSRC2:TGID_X_EN: 1
; COMPUTE_PGM_RSRC2:TGID_Y_EN: 0
; COMPUTE_PGM_RSRC2:TGID_Z_EN: 0
; COMPUTE_PGM_RSRC2:TIDIG_COMP_CNT: 0
; COMPUTE_PGM_RSRC3_GFX90A:ACCUM_OFFSET: 2
; COMPUTE_PGM_RSRC3_GFX90A:TG_SPLIT: 0
	.section	.text._ZN7rocprim17ROCPRIM_400000_NS6detail30init_device_scan_by_key_kernelINS1_19lookback_scan_stateINS0_5tupleIJsbEEELb1ELb1EEENS1_16block_id_wrapperIjLb1EEEEEvT_jjPNS9_10value_typeET0_,"axG",@progbits,_ZN7rocprim17ROCPRIM_400000_NS6detail30init_device_scan_by_key_kernelINS1_19lookback_scan_stateINS0_5tupleIJsbEEELb1ELb1EEENS1_16block_id_wrapperIjLb1EEEEEvT_jjPNS9_10value_typeET0_,comdat
	.protected	_ZN7rocprim17ROCPRIM_400000_NS6detail30init_device_scan_by_key_kernelINS1_19lookback_scan_stateINS0_5tupleIJsbEEELb1ELb1EEENS1_16block_id_wrapperIjLb1EEEEEvT_jjPNS9_10value_typeET0_ ; -- Begin function _ZN7rocprim17ROCPRIM_400000_NS6detail30init_device_scan_by_key_kernelINS1_19lookback_scan_stateINS0_5tupleIJsbEEELb1ELb1EEENS1_16block_id_wrapperIjLb1EEEEEvT_jjPNS9_10value_typeET0_
	.globl	_ZN7rocprim17ROCPRIM_400000_NS6detail30init_device_scan_by_key_kernelINS1_19lookback_scan_stateINS0_5tupleIJsbEEELb1ELb1EEENS1_16block_id_wrapperIjLb1EEEEEvT_jjPNS9_10value_typeET0_
	.p2align	8
	.type	_ZN7rocprim17ROCPRIM_400000_NS6detail30init_device_scan_by_key_kernelINS1_19lookback_scan_stateINS0_5tupleIJsbEEELb1ELb1EEENS1_16block_id_wrapperIjLb1EEEEEvT_jjPNS9_10value_typeET0_,@function
_ZN7rocprim17ROCPRIM_400000_NS6detail30init_device_scan_by_key_kernelINS1_19lookback_scan_stateINS0_5tupleIJsbEEELb1ELb1EEENS1_16block_id_wrapperIjLb1EEEEEvT_jjPNS9_10value_typeET0_: ; @_ZN7rocprim17ROCPRIM_400000_NS6detail30init_device_scan_by_key_kernelINS1_19lookback_scan_stateINS0_5tupleIJsbEEELb1ELb1EEENS1_16block_id_wrapperIjLb1EEEEEvT_jjPNS9_10value_typeET0_
; %bb.0:
	s_load_dword s0, s[4:5], 0x2c
	s_load_dwordx8 s[8:15], s[4:5], 0x0
	s_waitcnt lgkmcnt(0)
	s_and_b32 s0, s0, 0xffff
	s_mul_i32 s6, s6, s0
	s_cmp_eq_u64 s[12:13], 0
	v_add_u32_e32 v0, s6, v0
	s_cbranch_scc1 .LBB249_9
; %bb.1:
	s_cmp_lt_u32 s11, s10
	s_cselect_b32 s0, s11, 0
	s_mov_b32 s3, 0
	v_cmp_eq_u32_e32 vcc, s0, v0
	s_and_saveexec_b64 s[0:1], vcc
	s_cbranch_execz .LBB249_8
; %bb.2:
	s_add_i32 s2, s11, 64
	s_lshl_b64 s[2:3], s[2:3], 3
	s_add_u32 s2, s8, s2
	s_addc_u32 s3, s9, s3
	v_mov_b32_e32 v2, 0
	global_load_dwordx2 v[4:5], v2, s[2:3] glc
	s_waitcnt vmcnt(0)
	v_and_b32_e32 v3, 0xff, v5
	v_cmp_ne_u64_e32 vcc, 0, v[2:3]
	s_cbranch_vccnz .LBB249_7
; %bb.3:
	s_mov_b32 s4, 1
.LBB249_4:                              ; =>This Loop Header: Depth=1
                                        ;     Child Loop BB249_5 Depth 2
	s_max_u32 s5, s4, 1
.LBB249_5:                              ;   Parent Loop BB249_4 Depth=1
                                        ; =>  This Inner Loop Header: Depth=2
	s_add_i32 s5, s5, -1
	s_cmp_eq_u32 s5, 0
	s_sleep 1
	s_cbranch_scc0 .LBB249_5
; %bb.6:                                ;   in Loop: Header=BB249_4 Depth=1
	global_load_dwordx2 v[4:5], v2, s[2:3] glc
	s_cmp_lt_u32 s4, 32
	s_cselect_b64 s[6:7], -1, 0
	s_cmp_lg_u64 s[6:7], 0
	s_addc_u32 s4, s4, 0
	s_waitcnt vmcnt(0)
	v_and_b32_e32 v3, 0xff, v5
	v_cmp_ne_u64_e32 vcc, 0, v[2:3]
	s_cbranch_vccz .LBB249_4
.LBB249_7:
	v_mov_b32_e32 v1, 0
	global_store_short v1, v4, s[12:13]
	global_store_byte_d16_hi v1, v4, s[12:13] offset:2
.LBB249_8:
	s_or_b64 exec, exec, s[0:1]
.LBB249_9:
	v_cmp_eq_u32_e32 vcc, 0, v0
	s_and_saveexec_b64 s[0:1], vcc
	s_cbranch_execnz .LBB249_13
; %bb.10:
	s_or_b64 exec, exec, s[0:1]
	v_cmp_gt_u32_e32 vcc, s10, v0
	s_and_saveexec_b64 s[0:1], vcc
	s_cbranch_execnz .LBB249_14
.LBB249_11:
	s_or_b64 exec, exec, s[0:1]
	v_cmp_gt_u32_e32 vcc, 64, v0
	s_and_saveexec_b64 s[0:1], vcc
	s_cbranch_execnz .LBB249_15
.LBB249_12:
	s_endpgm
.LBB249_13:
	v_mov_b32_e32 v1, 0
	global_store_dword v1, v1, s[14:15]
	s_or_b64 exec, exec, s[0:1]
	v_cmp_gt_u32_e32 vcc, s10, v0
	s_and_saveexec_b64 s[0:1], vcc
	s_cbranch_execz .LBB249_11
.LBB249_14:
	v_add_u32_e32 v2, 64, v0
	v_mov_b32_e32 v3, 0
	v_lshlrev_b64 v[4:5], 3, v[2:3]
	v_mov_b32_e32 v1, s9
	v_add_co_u32_e32 v4, vcc, s8, v4
	v_addc_co_u32_e32 v5, vcc, v1, v5, vcc
	v_mov_b32_e32 v2, v3
	global_store_dwordx2 v[4:5], v[2:3], off
	s_or_b64 exec, exec, s[0:1]
	v_cmp_gt_u32_e32 vcc, 64, v0
	s_and_saveexec_b64 s[0:1], vcc
	s_cbranch_execz .LBB249_12
.LBB249_15:
	v_mov_b32_e32 v1, 0
	v_lshlrev_b64 v[2:3], 3, v[0:1]
	v_mov_b32_e32 v0, s9
	v_add_co_u32_e32 v2, vcc, s8, v2
	v_addc_co_u32_e32 v3, vcc, v0, v3, vcc
	v_mov_b32_e32 v5, 0xff
	v_mov_b32_e32 v4, v1
	global_store_dwordx2 v[2:3], v[4:5], off
	s_endpgm
	.section	.rodata,"a",@progbits
	.p2align	6, 0x0
	.amdhsa_kernel _ZN7rocprim17ROCPRIM_400000_NS6detail30init_device_scan_by_key_kernelINS1_19lookback_scan_stateINS0_5tupleIJsbEEELb1ELb1EEENS1_16block_id_wrapperIjLb1EEEEEvT_jjPNS9_10value_typeET0_
		.amdhsa_group_segment_fixed_size 0
		.amdhsa_private_segment_fixed_size 0
		.amdhsa_kernarg_size 288
		.amdhsa_user_sgpr_count 6
		.amdhsa_user_sgpr_private_segment_buffer 1
		.amdhsa_user_sgpr_dispatch_ptr 0
		.amdhsa_user_sgpr_queue_ptr 0
		.amdhsa_user_sgpr_kernarg_segment_ptr 1
		.amdhsa_user_sgpr_dispatch_id 0
		.amdhsa_user_sgpr_flat_scratch_init 0
		.amdhsa_user_sgpr_kernarg_preload_length 0
		.amdhsa_user_sgpr_kernarg_preload_offset 0
		.amdhsa_user_sgpr_private_segment_size 0
		.amdhsa_uses_dynamic_stack 0
		.amdhsa_system_sgpr_private_segment_wavefront_offset 0
		.amdhsa_system_sgpr_workgroup_id_x 1
		.amdhsa_system_sgpr_workgroup_id_y 0
		.amdhsa_system_sgpr_workgroup_id_z 0
		.amdhsa_system_sgpr_workgroup_info 0
		.amdhsa_system_vgpr_workitem_id 0
		.amdhsa_next_free_vgpr 6
		.amdhsa_next_free_sgpr 16
		.amdhsa_accum_offset 8
		.amdhsa_reserve_vcc 1
		.amdhsa_reserve_flat_scratch 0
		.amdhsa_float_round_mode_32 0
		.amdhsa_float_round_mode_16_64 0
		.amdhsa_float_denorm_mode_32 3
		.amdhsa_float_denorm_mode_16_64 3
		.amdhsa_dx10_clamp 1
		.amdhsa_ieee_mode 1
		.amdhsa_fp16_overflow 0
		.amdhsa_tg_split 0
		.amdhsa_exception_fp_ieee_invalid_op 0
		.amdhsa_exception_fp_denorm_src 0
		.amdhsa_exception_fp_ieee_div_zero 0
		.amdhsa_exception_fp_ieee_overflow 0
		.amdhsa_exception_fp_ieee_underflow 0
		.amdhsa_exception_fp_ieee_inexact 0
		.amdhsa_exception_int_div_zero 0
	.end_amdhsa_kernel
	.section	.text._ZN7rocprim17ROCPRIM_400000_NS6detail30init_device_scan_by_key_kernelINS1_19lookback_scan_stateINS0_5tupleIJsbEEELb1ELb1EEENS1_16block_id_wrapperIjLb1EEEEEvT_jjPNS9_10value_typeET0_,"axG",@progbits,_ZN7rocprim17ROCPRIM_400000_NS6detail30init_device_scan_by_key_kernelINS1_19lookback_scan_stateINS0_5tupleIJsbEEELb1ELb1EEENS1_16block_id_wrapperIjLb1EEEEEvT_jjPNS9_10value_typeET0_,comdat
.Lfunc_end249:
	.size	_ZN7rocprim17ROCPRIM_400000_NS6detail30init_device_scan_by_key_kernelINS1_19lookback_scan_stateINS0_5tupleIJsbEEELb1ELb1EEENS1_16block_id_wrapperIjLb1EEEEEvT_jjPNS9_10value_typeET0_, .Lfunc_end249-_ZN7rocprim17ROCPRIM_400000_NS6detail30init_device_scan_by_key_kernelINS1_19lookback_scan_stateINS0_5tupleIJsbEEELb1ELb1EEENS1_16block_id_wrapperIjLb1EEEEEvT_jjPNS9_10value_typeET0_
                                        ; -- End function
	.section	.AMDGPU.csdata,"",@progbits
; Kernel info:
; codeLenInByte = 388
; NumSgprs: 20
; NumVgprs: 6
; NumAgprs: 0
; TotalNumVgprs: 6
; ScratchSize: 0
; MemoryBound: 0
; FloatMode: 240
; IeeeMode: 1
; LDSByteSize: 0 bytes/workgroup (compile time only)
; SGPRBlocks: 2
; VGPRBlocks: 0
; NumSGPRsForWavesPerEU: 20
; NumVGPRsForWavesPerEU: 6
; AccumOffset: 8
; Occupancy: 8
; WaveLimiterHint : 0
; COMPUTE_PGM_RSRC2:SCRATCH_EN: 0
; COMPUTE_PGM_RSRC2:USER_SGPR: 6
; COMPUTE_PGM_RSRC2:TRAP_HANDLER: 0
; COMPUTE_PGM_RSRC2:TGID_X_EN: 1
; COMPUTE_PGM_RSRC2:TGID_Y_EN: 0
; COMPUTE_PGM_RSRC2:TGID_Z_EN: 0
; COMPUTE_PGM_RSRC2:TIDIG_COMP_CNT: 0
; COMPUTE_PGM_RSRC3_GFX90A:ACCUM_OFFSET: 1
; COMPUTE_PGM_RSRC3_GFX90A:TG_SPLIT: 0
	.section	.text._ZN7rocprim17ROCPRIM_400000_NS6detail17trampoline_kernelINS0_14default_configENS1_27scan_by_key_config_selectorIssEEZZNS1_16scan_by_key_implILNS1_25lookback_scan_determinismE0ELb0ES3_N6thrust23THRUST_200600_302600_NS6detail15normal_iteratorINS9_10device_ptrIsEEEESE_SE_sNS9_4plusIvEENS9_8equal_toIvEEsEE10hipError_tPvRmT2_T3_T4_T5_mT6_T7_P12ihipStream_tbENKUlT_T0_E_clISt17integral_constantIbLb1EESZ_EEDaSU_SV_EUlSU_E_NS1_11comp_targetILNS1_3genE0ELNS1_11target_archE4294967295ELNS1_3gpuE0ELNS1_3repE0EEENS1_30default_config_static_selectorELNS0_4arch9wavefront6targetE1EEEvT1_,"axG",@progbits,_ZN7rocprim17ROCPRIM_400000_NS6detail17trampoline_kernelINS0_14default_configENS1_27scan_by_key_config_selectorIssEEZZNS1_16scan_by_key_implILNS1_25lookback_scan_determinismE0ELb0ES3_N6thrust23THRUST_200600_302600_NS6detail15normal_iteratorINS9_10device_ptrIsEEEESE_SE_sNS9_4plusIvEENS9_8equal_toIvEEsEE10hipError_tPvRmT2_T3_T4_T5_mT6_T7_P12ihipStream_tbENKUlT_T0_E_clISt17integral_constantIbLb1EESZ_EEDaSU_SV_EUlSU_E_NS1_11comp_targetILNS1_3genE0ELNS1_11target_archE4294967295ELNS1_3gpuE0ELNS1_3repE0EEENS1_30default_config_static_selectorELNS0_4arch9wavefront6targetE1EEEvT1_,comdat
	.protected	_ZN7rocprim17ROCPRIM_400000_NS6detail17trampoline_kernelINS0_14default_configENS1_27scan_by_key_config_selectorIssEEZZNS1_16scan_by_key_implILNS1_25lookback_scan_determinismE0ELb0ES3_N6thrust23THRUST_200600_302600_NS6detail15normal_iteratorINS9_10device_ptrIsEEEESE_SE_sNS9_4plusIvEENS9_8equal_toIvEEsEE10hipError_tPvRmT2_T3_T4_T5_mT6_T7_P12ihipStream_tbENKUlT_T0_E_clISt17integral_constantIbLb1EESZ_EEDaSU_SV_EUlSU_E_NS1_11comp_targetILNS1_3genE0ELNS1_11target_archE4294967295ELNS1_3gpuE0ELNS1_3repE0EEENS1_30default_config_static_selectorELNS0_4arch9wavefront6targetE1EEEvT1_ ; -- Begin function _ZN7rocprim17ROCPRIM_400000_NS6detail17trampoline_kernelINS0_14default_configENS1_27scan_by_key_config_selectorIssEEZZNS1_16scan_by_key_implILNS1_25lookback_scan_determinismE0ELb0ES3_N6thrust23THRUST_200600_302600_NS6detail15normal_iteratorINS9_10device_ptrIsEEEESE_SE_sNS9_4plusIvEENS9_8equal_toIvEEsEE10hipError_tPvRmT2_T3_T4_T5_mT6_T7_P12ihipStream_tbENKUlT_T0_E_clISt17integral_constantIbLb1EESZ_EEDaSU_SV_EUlSU_E_NS1_11comp_targetILNS1_3genE0ELNS1_11target_archE4294967295ELNS1_3gpuE0ELNS1_3repE0EEENS1_30default_config_static_selectorELNS0_4arch9wavefront6targetE1EEEvT1_
	.globl	_ZN7rocprim17ROCPRIM_400000_NS6detail17trampoline_kernelINS0_14default_configENS1_27scan_by_key_config_selectorIssEEZZNS1_16scan_by_key_implILNS1_25lookback_scan_determinismE0ELb0ES3_N6thrust23THRUST_200600_302600_NS6detail15normal_iteratorINS9_10device_ptrIsEEEESE_SE_sNS9_4plusIvEENS9_8equal_toIvEEsEE10hipError_tPvRmT2_T3_T4_T5_mT6_T7_P12ihipStream_tbENKUlT_T0_E_clISt17integral_constantIbLb1EESZ_EEDaSU_SV_EUlSU_E_NS1_11comp_targetILNS1_3genE0ELNS1_11target_archE4294967295ELNS1_3gpuE0ELNS1_3repE0EEENS1_30default_config_static_selectorELNS0_4arch9wavefront6targetE1EEEvT1_
	.p2align	8
	.type	_ZN7rocprim17ROCPRIM_400000_NS6detail17trampoline_kernelINS0_14default_configENS1_27scan_by_key_config_selectorIssEEZZNS1_16scan_by_key_implILNS1_25lookback_scan_determinismE0ELb0ES3_N6thrust23THRUST_200600_302600_NS6detail15normal_iteratorINS9_10device_ptrIsEEEESE_SE_sNS9_4plusIvEENS9_8equal_toIvEEsEE10hipError_tPvRmT2_T3_T4_T5_mT6_T7_P12ihipStream_tbENKUlT_T0_E_clISt17integral_constantIbLb1EESZ_EEDaSU_SV_EUlSU_E_NS1_11comp_targetILNS1_3genE0ELNS1_11target_archE4294967295ELNS1_3gpuE0ELNS1_3repE0EEENS1_30default_config_static_selectorELNS0_4arch9wavefront6targetE1EEEvT1_,@function
_ZN7rocprim17ROCPRIM_400000_NS6detail17trampoline_kernelINS0_14default_configENS1_27scan_by_key_config_selectorIssEEZZNS1_16scan_by_key_implILNS1_25lookback_scan_determinismE0ELb0ES3_N6thrust23THRUST_200600_302600_NS6detail15normal_iteratorINS9_10device_ptrIsEEEESE_SE_sNS9_4plusIvEENS9_8equal_toIvEEsEE10hipError_tPvRmT2_T3_T4_T5_mT6_T7_P12ihipStream_tbENKUlT_T0_E_clISt17integral_constantIbLb1EESZ_EEDaSU_SV_EUlSU_E_NS1_11comp_targetILNS1_3genE0ELNS1_11target_archE4294967295ELNS1_3gpuE0ELNS1_3repE0EEENS1_30default_config_static_selectorELNS0_4arch9wavefront6targetE1EEEvT1_: ; @_ZN7rocprim17ROCPRIM_400000_NS6detail17trampoline_kernelINS0_14default_configENS1_27scan_by_key_config_selectorIssEEZZNS1_16scan_by_key_implILNS1_25lookback_scan_determinismE0ELb0ES3_N6thrust23THRUST_200600_302600_NS6detail15normal_iteratorINS9_10device_ptrIsEEEESE_SE_sNS9_4plusIvEENS9_8equal_toIvEEsEE10hipError_tPvRmT2_T3_T4_T5_mT6_T7_P12ihipStream_tbENKUlT_T0_E_clISt17integral_constantIbLb1EESZ_EEDaSU_SV_EUlSU_E_NS1_11comp_targetILNS1_3genE0ELNS1_11target_archE4294967295ELNS1_3gpuE0ELNS1_3repE0EEENS1_30default_config_static_selectorELNS0_4arch9wavefront6targetE1EEEvT1_
; %bb.0:
	.section	.rodata,"a",@progbits
	.p2align	6, 0x0
	.amdhsa_kernel _ZN7rocprim17ROCPRIM_400000_NS6detail17trampoline_kernelINS0_14default_configENS1_27scan_by_key_config_selectorIssEEZZNS1_16scan_by_key_implILNS1_25lookback_scan_determinismE0ELb0ES3_N6thrust23THRUST_200600_302600_NS6detail15normal_iteratorINS9_10device_ptrIsEEEESE_SE_sNS9_4plusIvEENS9_8equal_toIvEEsEE10hipError_tPvRmT2_T3_T4_T5_mT6_T7_P12ihipStream_tbENKUlT_T0_E_clISt17integral_constantIbLb1EESZ_EEDaSU_SV_EUlSU_E_NS1_11comp_targetILNS1_3genE0ELNS1_11target_archE4294967295ELNS1_3gpuE0ELNS1_3repE0EEENS1_30default_config_static_selectorELNS0_4arch9wavefront6targetE1EEEvT1_
		.amdhsa_group_segment_fixed_size 0
		.amdhsa_private_segment_fixed_size 0
		.amdhsa_kernarg_size 112
		.amdhsa_user_sgpr_count 6
		.amdhsa_user_sgpr_private_segment_buffer 1
		.amdhsa_user_sgpr_dispatch_ptr 0
		.amdhsa_user_sgpr_queue_ptr 0
		.amdhsa_user_sgpr_kernarg_segment_ptr 1
		.amdhsa_user_sgpr_dispatch_id 0
		.amdhsa_user_sgpr_flat_scratch_init 0
		.amdhsa_user_sgpr_kernarg_preload_length 0
		.amdhsa_user_sgpr_kernarg_preload_offset 0
		.amdhsa_user_sgpr_private_segment_size 0
		.amdhsa_uses_dynamic_stack 0
		.amdhsa_system_sgpr_private_segment_wavefront_offset 0
		.amdhsa_system_sgpr_workgroup_id_x 1
		.amdhsa_system_sgpr_workgroup_id_y 0
		.amdhsa_system_sgpr_workgroup_id_z 0
		.amdhsa_system_sgpr_workgroup_info 0
		.amdhsa_system_vgpr_workitem_id 0
		.amdhsa_next_free_vgpr 1
		.amdhsa_next_free_sgpr 0
		.amdhsa_accum_offset 4
		.amdhsa_reserve_vcc 0
		.amdhsa_reserve_flat_scratch 0
		.amdhsa_float_round_mode_32 0
		.amdhsa_float_round_mode_16_64 0
		.amdhsa_float_denorm_mode_32 3
		.amdhsa_float_denorm_mode_16_64 3
		.amdhsa_dx10_clamp 1
		.amdhsa_ieee_mode 1
		.amdhsa_fp16_overflow 0
		.amdhsa_tg_split 0
		.amdhsa_exception_fp_ieee_invalid_op 0
		.amdhsa_exception_fp_denorm_src 0
		.amdhsa_exception_fp_ieee_div_zero 0
		.amdhsa_exception_fp_ieee_overflow 0
		.amdhsa_exception_fp_ieee_underflow 0
		.amdhsa_exception_fp_ieee_inexact 0
		.amdhsa_exception_int_div_zero 0
	.end_amdhsa_kernel
	.section	.text._ZN7rocprim17ROCPRIM_400000_NS6detail17trampoline_kernelINS0_14default_configENS1_27scan_by_key_config_selectorIssEEZZNS1_16scan_by_key_implILNS1_25lookback_scan_determinismE0ELb0ES3_N6thrust23THRUST_200600_302600_NS6detail15normal_iteratorINS9_10device_ptrIsEEEESE_SE_sNS9_4plusIvEENS9_8equal_toIvEEsEE10hipError_tPvRmT2_T3_T4_T5_mT6_T7_P12ihipStream_tbENKUlT_T0_E_clISt17integral_constantIbLb1EESZ_EEDaSU_SV_EUlSU_E_NS1_11comp_targetILNS1_3genE0ELNS1_11target_archE4294967295ELNS1_3gpuE0ELNS1_3repE0EEENS1_30default_config_static_selectorELNS0_4arch9wavefront6targetE1EEEvT1_,"axG",@progbits,_ZN7rocprim17ROCPRIM_400000_NS6detail17trampoline_kernelINS0_14default_configENS1_27scan_by_key_config_selectorIssEEZZNS1_16scan_by_key_implILNS1_25lookback_scan_determinismE0ELb0ES3_N6thrust23THRUST_200600_302600_NS6detail15normal_iteratorINS9_10device_ptrIsEEEESE_SE_sNS9_4plusIvEENS9_8equal_toIvEEsEE10hipError_tPvRmT2_T3_T4_T5_mT6_T7_P12ihipStream_tbENKUlT_T0_E_clISt17integral_constantIbLb1EESZ_EEDaSU_SV_EUlSU_E_NS1_11comp_targetILNS1_3genE0ELNS1_11target_archE4294967295ELNS1_3gpuE0ELNS1_3repE0EEENS1_30default_config_static_selectorELNS0_4arch9wavefront6targetE1EEEvT1_,comdat
.Lfunc_end250:
	.size	_ZN7rocprim17ROCPRIM_400000_NS6detail17trampoline_kernelINS0_14default_configENS1_27scan_by_key_config_selectorIssEEZZNS1_16scan_by_key_implILNS1_25lookback_scan_determinismE0ELb0ES3_N6thrust23THRUST_200600_302600_NS6detail15normal_iteratorINS9_10device_ptrIsEEEESE_SE_sNS9_4plusIvEENS9_8equal_toIvEEsEE10hipError_tPvRmT2_T3_T4_T5_mT6_T7_P12ihipStream_tbENKUlT_T0_E_clISt17integral_constantIbLb1EESZ_EEDaSU_SV_EUlSU_E_NS1_11comp_targetILNS1_3genE0ELNS1_11target_archE4294967295ELNS1_3gpuE0ELNS1_3repE0EEENS1_30default_config_static_selectorELNS0_4arch9wavefront6targetE1EEEvT1_, .Lfunc_end250-_ZN7rocprim17ROCPRIM_400000_NS6detail17trampoline_kernelINS0_14default_configENS1_27scan_by_key_config_selectorIssEEZZNS1_16scan_by_key_implILNS1_25lookback_scan_determinismE0ELb0ES3_N6thrust23THRUST_200600_302600_NS6detail15normal_iteratorINS9_10device_ptrIsEEEESE_SE_sNS9_4plusIvEENS9_8equal_toIvEEsEE10hipError_tPvRmT2_T3_T4_T5_mT6_T7_P12ihipStream_tbENKUlT_T0_E_clISt17integral_constantIbLb1EESZ_EEDaSU_SV_EUlSU_E_NS1_11comp_targetILNS1_3genE0ELNS1_11target_archE4294967295ELNS1_3gpuE0ELNS1_3repE0EEENS1_30default_config_static_selectorELNS0_4arch9wavefront6targetE1EEEvT1_
                                        ; -- End function
	.section	.AMDGPU.csdata,"",@progbits
; Kernel info:
; codeLenInByte = 0
; NumSgprs: 4
; NumVgprs: 0
; NumAgprs: 0
; TotalNumVgprs: 0
; ScratchSize: 0
; MemoryBound: 0
; FloatMode: 240
; IeeeMode: 1
; LDSByteSize: 0 bytes/workgroup (compile time only)
; SGPRBlocks: 0
; VGPRBlocks: 0
; NumSGPRsForWavesPerEU: 4
; NumVGPRsForWavesPerEU: 1
; AccumOffset: 4
; Occupancy: 8
; WaveLimiterHint : 0
; COMPUTE_PGM_RSRC2:SCRATCH_EN: 0
; COMPUTE_PGM_RSRC2:USER_SGPR: 6
; COMPUTE_PGM_RSRC2:TRAP_HANDLER: 0
; COMPUTE_PGM_RSRC2:TGID_X_EN: 1
; COMPUTE_PGM_RSRC2:TGID_Y_EN: 0
; COMPUTE_PGM_RSRC2:TGID_Z_EN: 0
; COMPUTE_PGM_RSRC2:TIDIG_COMP_CNT: 0
; COMPUTE_PGM_RSRC3_GFX90A:ACCUM_OFFSET: 0
; COMPUTE_PGM_RSRC3_GFX90A:TG_SPLIT: 0
	.section	.text._ZN7rocprim17ROCPRIM_400000_NS6detail17trampoline_kernelINS0_14default_configENS1_27scan_by_key_config_selectorIssEEZZNS1_16scan_by_key_implILNS1_25lookback_scan_determinismE0ELb0ES3_N6thrust23THRUST_200600_302600_NS6detail15normal_iteratorINS9_10device_ptrIsEEEESE_SE_sNS9_4plusIvEENS9_8equal_toIvEEsEE10hipError_tPvRmT2_T3_T4_T5_mT6_T7_P12ihipStream_tbENKUlT_T0_E_clISt17integral_constantIbLb1EESZ_EEDaSU_SV_EUlSU_E_NS1_11comp_targetILNS1_3genE10ELNS1_11target_archE1201ELNS1_3gpuE5ELNS1_3repE0EEENS1_30default_config_static_selectorELNS0_4arch9wavefront6targetE1EEEvT1_,"axG",@progbits,_ZN7rocprim17ROCPRIM_400000_NS6detail17trampoline_kernelINS0_14default_configENS1_27scan_by_key_config_selectorIssEEZZNS1_16scan_by_key_implILNS1_25lookback_scan_determinismE0ELb0ES3_N6thrust23THRUST_200600_302600_NS6detail15normal_iteratorINS9_10device_ptrIsEEEESE_SE_sNS9_4plusIvEENS9_8equal_toIvEEsEE10hipError_tPvRmT2_T3_T4_T5_mT6_T7_P12ihipStream_tbENKUlT_T0_E_clISt17integral_constantIbLb1EESZ_EEDaSU_SV_EUlSU_E_NS1_11comp_targetILNS1_3genE10ELNS1_11target_archE1201ELNS1_3gpuE5ELNS1_3repE0EEENS1_30default_config_static_selectorELNS0_4arch9wavefront6targetE1EEEvT1_,comdat
	.protected	_ZN7rocprim17ROCPRIM_400000_NS6detail17trampoline_kernelINS0_14default_configENS1_27scan_by_key_config_selectorIssEEZZNS1_16scan_by_key_implILNS1_25lookback_scan_determinismE0ELb0ES3_N6thrust23THRUST_200600_302600_NS6detail15normal_iteratorINS9_10device_ptrIsEEEESE_SE_sNS9_4plusIvEENS9_8equal_toIvEEsEE10hipError_tPvRmT2_T3_T4_T5_mT6_T7_P12ihipStream_tbENKUlT_T0_E_clISt17integral_constantIbLb1EESZ_EEDaSU_SV_EUlSU_E_NS1_11comp_targetILNS1_3genE10ELNS1_11target_archE1201ELNS1_3gpuE5ELNS1_3repE0EEENS1_30default_config_static_selectorELNS0_4arch9wavefront6targetE1EEEvT1_ ; -- Begin function _ZN7rocprim17ROCPRIM_400000_NS6detail17trampoline_kernelINS0_14default_configENS1_27scan_by_key_config_selectorIssEEZZNS1_16scan_by_key_implILNS1_25lookback_scan_determinismE0ELb0ES3_N6thrust23THRUST_200600_302600_NS6detail15normal_iteratorINS9_10device_ptrIsEEEESE_SE_sNS9_4plusIvEENS9_8equal_toIvEEsEE10hipError_tPvRmT2_T3_T4_T5_mT6_T7_P12ihipStream_tbENKUlT_T0_E_clISt17integral_constantIbLb1EESZ_EEDaSU_SV_EUlSU_E_NS1_11comp_targetILNS1_3genE10ELNS1_11target_archE1201ELNS1_3gpuE5ELNS1_3repE0EEENS1_30default_config_static_selectorELNS0_4arch9wavefront6targetE1EEEvT1_
	.globl	_ZN7rocprim17ROCPRIM_400000_NS6detail17trampoline_kernelINS0_14default_configENS1_27scan_by_key_config_selectorIssEEZZNS1_16scan_by_key_implILNS1_25lookback_scan_determinismE0ELb0ES3_N6thrust23THRUST_200600_302600_NS6detail15normal_iteratorINS9_10device_ptrIsEEEESE_SE_sNS9_4plusIvEENS9_8equal_toIvEEsEE10hipError_tPvRmT2_T3_T4_T5_mT6_T7_P12ihipStream_tbENKUlT_T0_E_clISt17integral_constantIbLb1EESZ_EEDaSU_SV_EUlSU_E_NS1_11comp_targetILNS1_3genE10ELNS1_11target_archE1201ELNS1_3gpuE5ELNS1_3repE0EEENS1_30default_config_static_selectorELNS0_4arch9wavefront6targetE1EEEvT1_
	.p2align	8
	.type	_ZN7rocprim17ROCPRIM_400000_NS6detail17trampoline_kernelINS0_14default_configENS1_27scan_by_key_config_selectorIssEEZZNS1_16scan_by_key_implILNS1_25lookback_scan_determinismE0ELb0ES3_N6thrust23THRUST_200600_302600_NS6detail15normal_iteratorINS9_10device_ptrIsEEEESE_SE_sNS9_4plusIvEENS9_8equal_toIvEEsEE10hipError_tPvRmT2_T3_T4_T5_mT6_T7_P12ihipStream_tbENKUlT_T0_E_clISt17integral_constantIbLb1EESZ_EEDaSU_SV_EUlSU_E_NS1_11comp_targetILNS1_3genE10ELNS1_11target_archE1201ELNS1_3gpuE5ELNS1_3repE0EEENS1_30default_config_static_selectorELNS0_4arch9wavefront6targetE1EEEvT1_,@function
_ZN7rocprim17ROCPRIM_400000_NS6detail17trampoline_kernelINS0_14default_configENS1_27scan_by_key_config_selectorIssEEZZNS1_16scan_by_key_implILNS1_25lookback_scan_determinismE0ELb0ES3_N6thrust23THRUST_200600_302600_NS6detail15normal_iteratorINS9_10device_ptrIsEEEESE_SE_sNS9_4plusIvEENS9_8equal_toIvEEsEE10hipError_tPvRmT2_T3_T4_T5_mT6_T7_P12ihipStream_tbENKUlT_T0_E_clISt17integral_constantIbLb1EESZ_EEDaSU_SV_EUlSU_E_NS1_11comp_targetILNS1_3genE10ELNS1_11target_archE1201ELNS1_3gpuE5ELNS1_3repE0EEENS1_30default_config_static_selectorELNS0_4arch9wavefront6targetE1EEEvT1_: ; @_ZN7rocprim17ROCPRIM_400000_NS6detail17trampoline_kernelINS0_14default_configENS1_27scan_by_key_config_selectorIssEEZZNS1_16scan_by_key_implILNS1_25lookback_scan_determinismE0ELb0ES3_N6thrust23THRUST_200600_302600_NS6detail15normal_iteratorINS9_10device_ptrIsEEEESE_SE_sNS9_4plusIvEENS9_8equal_toIvEEsEE10hipError_tPvRmT2_T3_T4_T5_mT6_T7_P12ihipStream_tbENKUlT_T0_E_clISt17integral_constantIbLb1EESZ_EEDaSU_SV_EUlSU_E_NS1_11comp_targetILNS1_3genE10ELNS1_11target_archE1201ELNS1_3gpuE5ELNS1_3repE0EEENS1_30default_config_static_selectorELNS0_4arch9wavefront6targetE1EEEvT1_
; %bb.0:
	.section	.rodata,"a",@progbits
	.p2align	6, 0x0
	.amdhsa_kernel _ZN7rocprim17ROCPRIM_400000_NS6detail17trampoline_kernelINS0_14default_configENS1_27scan_by_key_config_selectorIssEEZZNS1_16scan_by_key_implILNS1_25lookback_scan_determinismE0ELb0ES3_N6thrust23THRUST_200600_302600_NS6detail15normal_iteratorINS9_10device_ptrIsEEEESE_SE_sNS9_4plusIvEENS9_8equal_toIvEEsEE10hipError_tPvRmT2_T3_T4_T5_mT6_T7_P12ihipStream_tbENKUlT_T0_E_clISt17integral_constantIbLb1EESZ_EEDaSU_SV_EUlSU_E_NS1_11comp_targetILNS1_3genE10ELNS1_11target_archE1201ELNS1_3gpuE5ELNS1_3repE0EEENS1_30default_config_static_selectorELNS0_4arch9wavefront6targetE1EEEvT1_
		.amdhsa_group_segment_fixed_size 0
		.amdhsa_private_segment_fixed_size 0
		.amdhsa_kernarg_size 112
		.amdhsa_user_sgpr_count 6
		.amdhsa_user_sgpr_private_segment_buffer 1
		.amdhsa_user_sgpr_dispatch_ptr 0
		.amdhsa_user_sgpr_queue_ptr 0
		.amdhsa_user_sgpr_kernarg_segment_ptr 1
		.amdhsa_user_sgpr_dispatch_id 0
		.amdhsa_user_sgpr_flat_scratch_init 0
		.amdhsa_user_sgpr_kernarg_preload_length 0
		.amdhsa_user_sgpr_kernarg_preload_offset 0
		.amdhsa_user_sgpr_private_segment_size 0
		.amdhsa_uses_dynamic_stack 0
		.amdhsa_system_sgpr_private_segment_wavefront_offset 0
		.amdhsa_system_sgpr_workgroup_id_x 1
		.amdhsa_system_sgpr_workgroup_id_y 0
		.amdhsa_system_sgpr_workgroup_id_z 0
		.amdhsa_system_sgpr_workgroup_info 0
		.amdhsa_system_vgpr_workitem_id 0
		.amdhsa_next_free_vgpr 1
		.amdhsa_next_free_sgpr 0
		.amdhsa_accum_offset 4
		.amdhsa_reserve_vcc 0
		.amdhsa_reserve_flat_scratch 0
		.amdhsa_float_round_mode_32 0
		.amdhsa_float_round_mode_16_64 0
		.amdhsa_float_denorm_mode_32 3
		.amdhsa_float_denorm_mode_16_64 3
		.amdhsa_dx10_clamp 1
		.amdhsa_ieee_mode 1
		.amdhsa_fp16_overflow 0
		.amdhsa_tg_split 0
		.amdhsa_exception_fp_ieee_invalid_op 0
		.amdhsa_exception_fp_denorm_src 0
		.amdhsa_exception_fp_ieee_div_zero 0
		.amdhsa_exception_fp_ieee_overflow 0
		.amdhsa_exception_fp_ieee_underflow 0
		.amdhsa_exception_fp_ieee_inexact 0
		.amdhsa_exception_int_div_zero 0
	.end_amdhsa_kernel
	.section	.text._ZN7rocprim17ROCPRIM_400000_NS6detail17trampoline_kernelINS0_14default_configENS1_27scan_by_key_config_selectorIssEEZZNS1_16scan_by_key_implILNS1_25lookback_scan_determinismE0ELb0ES3_N6thrust23THRUST_200600_302600_NS6detail15normal_iteratorINS9_10device_ptrIsEEEESE_SE_sNS9_4plusIvEENS9_8equal_toIvEEsEE10hipError_tPvRmT2_T3_T4_T5_mT6_T7_P12ihipStream_tbENKUlT_T0_E_clISt17integral_constantIbLb1EESZ_EEDaSU_SV_EUlSU_E_NS1_11comp_targetILNS1_3genE10ELNS1_11target_archE1201ELNS1_3gpuE5ELNS1_3repE0EEENS1_30default_config_static_selectorELNS0_4arch9wavefront6targetE1EEEvT1_,"axG",@progbits,_ZN7rocprim17ROCPRIM_400000_NS6detail17trampoline_kernelINS0_14default_configENS1_27scan_by_key_config_selectorIssEEZZNS1_16scan_by_key_implILNS1_25lookback_scan_determinismE0ELb0ES3_N6thrust23THRUST_200600_302600_NS6detail15normal_iteratorINS9_10device_ptrIsEEEESE_SE_sNS9_4plusIvEENS9_8equal_toIvEEsEE10hipError_tPvRmT2_T3_T4_T5_mT6_T7_P12ihipStream_tbENKUlT_T0_E_clISt17integral_constantIbLb1EESZ_EEDaSU_SV_EUlSU_E_NS1_11comp_targetILNS1_3genE10ELNS1_11target_archE1201ELNS1_3gpuE5ELNS1_3repE0EEENS1_30default_config_static_selectorELNS0_4arch9wavefront6targetE1EEEvT1_,comdat
.Lfunc_end251:
	.size	_ZN7rocprim17ROCPRIM_400000_NS6detail17trampoline_kernelINS0_14default_configENS1_27scan_by_key_config_selectorIssEEZZNS1_16scan_by_key_implILNS1_25lookback_scan_determinismE0ELb0ES3_N6thrust23THRUST_200600_302600_NS6detail15normal_iteratorINS9_10device_ptrIsEEEESE_SE_sNS9_4plusIvEENS9_8equal_toIvEEsEE10hipError_tPvRmT2_T3_T4_T5_mT6_T7_P12ihipStream_tbENKUlT_T0_E_clISt17integral_constantIbLb1EESZ_EEDaSU_SV_EUlSU_E_NS1_11comp_targetILNS1_3genE10ELNS1_11target_archE1201ELNS1_3gpuE5ELNS1_3repE0EEENS1_30default_config_static_selectorELNS0_4arch9wavefront6targetE1EEEvT1_, .Lfunc_end251-_ZN7rocprim17ROCPRIM_400000_NS6detail17trampoline_kernelINS0_14default_configENS1_27scan_by_key_config_selectorIssEEZZNS1_16scan_by_key_implILNS1_25lookback_scan_determinismE0ELb0ES3_N6thrust23THRUST_200600_302600_NS6detail15normal_iteratorINS9_10device_ptrIsEEEESE_SE_sNS9_4plusIvEENS9_8equal_toIvEEsEE10hipError_tPvRmT2_T3_T4_T5_mT6_T7_P12ihipStream_tbENKUlT_T0_E_clISt17integral_constantIbLb1EESZ_EEDaSU_SV_EUlSU_E_NS1_11comp_targetILNS1_3genE10ELNS1_11target_archE1201ELNS1_3gpuE5ELNS1_3repE0EEENS1_30default_config_static_selectorELNS0_4arch9wavefront6targetE1EEEvT1_
                                        ; -- End function
	.section	.AMDGPU.csdata,"",@progbits
; Kernel info:
; codeLenInByte = 0
; NumSgprs: 4
; NumVgprs: 0
; NumAgprs: 0
; TotalNumVgprs: 0
; ScratchSize: 0
; MemoryBound: 0
; FloatMode: 240
; IeeeMode: 1
; LDSByteSize: 0 bytes/workgroup (compile time only)
; SGPRBlocks: 0
; VGPRBlocks: 0
; NumSGPRsForWavesPerEU: 4
; NumVGPRsForWavesPerEU: 1
; AccumOffset: 4
; Occupancy: 8
; WaveLimiterHint : 0
; COMPUTE_PGM_RSRC2:SCRATCH_EN: 0
; COMPUTE_PGM_RSRC2:USER_SGPR: 6
; COMPUTE_PGM_RSRC2:TRAP_HANDLER: 0
; COMPUTE_PGM_RSRC2:TGID_X_EN: 1
; COMPUTE_PGM_RSRC2:TGID_Y_EN: 0
; COMPUTE_PGM_RSRC2:TGID_Z_EN: 0
; COMPUTE_PGM_RSRC2:TIDIG_COMP_CNT: 0
; COMPUTE_PGM_RSRC3_GFX90A:ACCUM_OFFSET: 0
; COMPUTE_PGM_RSRC3_GFX90A:TG_SPLIT: 0
	.section	.text._ZN7rocprim17ROCPRIM_400000_NS6detail17trampoline_kernelINS0_14default_configENS1_27scan_by_key_config_selectorIssEEZZNS1_16scan_by_key_implILNS1_25lookback_scan_determinismE0ELb0ES3_N6thrust23THRUST_200600_302600_NS6detail15normal_iteratorINS9_10device_ptrIsEEEESE_SE_sNS9_4plusIvEENS9_8equal_toIvEEsEE10hipError_tPvRmT2_T3_T4_T5_mT6_T7_P12ihipStream_tbENKUlT_T0_E_clISt17integral_constantIbLb1EESZ_EEDaSU_SV_EUlSU_E_NS1_11comp_targetILNS1_3genE5ELNS1_11target_archE942ELNS1_3gpuE9ELNS1_3repE0EEENS1_30default_config_static_selectorELNS0_4arch9wavefront6targetE1EEEvT1_,"axG",@progbits,_ZN7rocprim17ROCPRIM_400000_NS6detail17trampoline_kernelINS0_14default_configENS1_27scan_by_key_config_selectorIssEEZZNS1_16scan_by_key_implILNS1_25lookback_scan_determinismE0ELb0ES3_N6thrust23THRUST_200600_302600_NS6detail15normal_iteratorINS9_10device_ptrIsEEEESE_SE_sNS9_4plusIvEENS9_8equal_toIvEEsEE10hipError_tPvRmT2_T3_T4_T5_mT6_T7_P12ihipStream_tbENKUlT_T0_E_clISt17integral_constantIbLb1EESZ_EEDaSU_SV_EUlSU_E_NS1_11comp_targetILNS1_3genE5ELNS1_11target_archE942ELNS1_3gpuE9ELNS1_3repE0EEENS1_30default_config_static_selectorELNS0_4arch9wavefront6targetE1EEEvT1_,comdat
	.protected	_ZN7rocprim17ROCPRIM_400000_NS6detail17trampoline_kernelINS0_14default_configENS1_27scan_by_key_config_selectorIssEEZZNS1_16scan_by_key_implILNS1_25lookback_scan_determinismE0ELb0ES3_N6thrust23THRUST_200600_302600_NS6detail15normal_iteratorINS9_10device_ptrIsEEEESE_SE_sNS9_4plusIvEENS9_8equal_toIvEEsEE10hipError_tPvRmT2_T3_T4_T5_mT6_T7_P12ihipStream_tbENKUlT_T0_E_clISt17integral_constantIbLb1EESZ_EEDaSU_SV_EUlSU_E_NS1_11comp_targetILNS1_3genE5ELNS1_11target_archE942ELNS1_3gpuE9ELNS1_3repE0EEENS1_30default_config_static_selectorELNS0_4arch9wavefront6targetE1EEEvT1_ ; -- Begin function _ZN7rocprim17ROCPRIM_400000_NS6detail17trampoline_kernelINS0_14default_configENS1_27scan_by_key_config_selectorIssEEZZNS1_16scan_by_key_implILNS1_25lookback_scan_determinismE0ELb0ES3_N6thrust23THRUST_200600_302600_NS6detail15normal_iteratorINS9_10device_ptrIsEEEESE_SE_sNS9_4plusIvEENS9_8equal_toIvEEsEE10hipError_tPvRmT2_T3_T4_T5_mT6_T7_P12ihipStream_tbENKUlT_T0_E_clISt17integral_constantIbLb1EESZ_EEDaSU_SV_EUlSU_E_NS1_11comp_targetILNS1_3genE5ELNS1_11target_archE942ELNS1_3gpuE9ELNS1_3repE0EEENS1_30default_config_static_selectorELNS0_4arch9wavefront6targetE1EEEvT1_
	.globl	_ZN7rocprim17ROCPRIM_400000_NS6detail17trampoline_kernelINS0_14default_configENS1_27scan_by_key_config_selectorIssEEZZNS1_16scan_by_key_implILNS1_25lookback_scan_determinismE0ELb0ES3_N6thrust23THRUST_200600_302600_NS6detail15normal_iteratorINS9_10device_ptrIsEEEESE_SE_sNS9_4plusIvEENS9_8equal_toIvEEsEE10hipError_tPvRmT2_T3_T4_T5_mT6_T7_P12ihipStream_tbENKUlT_T0_E_clISt17integral_constantIbLb1EESZ_EEDaSU_SV_EUlSU_E_NS1_11comp_targetILNS1_3genE5ELNS1_11target_archE942ELNS1_3gpuE9ELNS1_3repE0EEENS1_30default_config_static_selectorELNS0_4arch9wavefront6targetE1EEEvT1_
	.p2align	8
	.type	_ZN7rocprim17ROCPRIM_400000_NS6detail17trampoline_kernelINS0_14default_configENS1_27scan_by_key_config_selectorIssEEZZNS1_16scan_by_key_implILNS1_25lookback_scan_determinismE0ELb0ES3_N6thrust23THRUST_200600_302600_NS6detail15normal_iteratorINS9_10device_ptrIsEEEESE_SE_sNS9_4plusIvEENS9_8equal_toIvEEsEE10hipError_tPvRmT2_T3_T4_T5_mT6_T7_P12ihipStream_tbENKUlT_T0_E_clISt17integral_constantIbLb1EESZ_EEDaSU_SV_EUlSU_E_NS1_11comp_targetILNS1_3genE5ELNS1_11target_archE942ELNS1_3gpuE9ELNS1_3repE0EEENS1_30default_config_static_selectorELNS0_4arch9wavefront6targetE1EEEvT1_,@function
_ZN7rocprim17ROCPRIM_400000_NS6detail17trampoline_kernelINS0_14default_configENS1_27scan_by_key_config_selectorIssEEZZNS1_16scan_by_key_implILNS1_25lookback_scan_determinismE0ELb0ES3_N6thrust23THRUST_200600_302600_NS6detail15normal_iteratorINS9_10device_ptrIsEEEESE_SE_sNS9_4plusIvEENS9_8equal_toIvEEsEE10hipError_tPvRmT2_T3_T4_T5_mT6_T7_P12ihipStream_tbENKUlT_T0_E_clISt17integral_constantIbLb1EESZ_EEDaSU_SV_EUlSU_E_NS1_11comp_targetILNS1_3genE5ELNS1_11target_archE942ELNS1_3gpuE9ELNS1_3repE0EEENS1_30default_config_static_selectorELNS0_4arch9wavefront6targetE1EEEvT1_: ; @_ZN7rocprim17ROCPRIM_400000_NS6detail17trampoline_kernelINS0_14default_configENS1_27scan_by_key_config_selectorIssEEZZNS1_16scan_by_key_implILNS1_25lookback_scan_determinismE0ELb0ES3_N6thrust23THRUST_200600_302600_NS6detail15normal_iteratorINS9_10device_ptrIsEEEESE_SE_sNS9_4plusIvEENS9_8equal_toIvEEsEE10hipError_tPvRmT2_T3_T4_T5_mT6_T7_P12ihipStream_tbENKUlT_T0_E_clISt17integral_constantIbLb1EESZ_EEDaSU_SV_EUlSU_E_NS1_11comp_targetILNS1_3genE5ELNS1_11target_archE942ELNS1_3gpuE9ELNS1_3repE0EEENS1_30default_config_static_selectorELNS0_4arch9wavefront6targetE1EEEvT1_
; %bb.0:
	.section	.rodata,"a",@progbits
	.p2align	6, 0x0
	.amdhsa_kernel _ZN7rocprim17ROCPRIM_400000_NS6detail17trampoline_kernelINS0_14default_configENS1_27scan_by_key_config_selectorIssEEZZNS1_16scan_by_key_implILNS1_25lookback_scan_determinismE0ELb0ES3_N6thrust23THRUST_200600_302600_NS6detail15normal_iteratorINS9_10device_ptrIsEEEESE_SE_sNS9_4plusIvEENS9_8equal_toIvEEsEE10hipError_tPvRmT2_T3_T4_T5_mT6_T7_P12ihipStream_tbENKUlT_T0_E_clISt17integral_constantIbLb1EESZ_EEDaSU_SV_EUlSU_E_NS1_11comp_targetILNS1_3genE5ELNS1_11target_archE942ELNS1_3gpuE9ELNS1_3repE0EEENS1_30default_config_static_selectorELNS0_4arch9wavefront6targetE1EEEvT1_
		.amdhsa_group_segment_fixed_size 0
		.amdhsa_private_segment_fixed_size 0
		.amdhsa_kernarg_size 112
		.amdhsa_user_sgpr_count 6
		.amdhsa_user_sgpr_private_segment_buffer 1
		.amdhsa_user_sgpr_dispatch_ptr 0
		.amdhsa_user_sgpr_queue_ptr 0
		.amdhsa_user_sgpr_kernarg_segment_ptr 1
		.amdhsa_user_sgpr_dispatch_id 0
		.amdhsa_user_sgpr_flat_scratch_init 0
		.amdhsa_user_sgpr_kernarg_preload_length 0
		.amdhsa_user_sgpr_kernarg_preload_offset 0
		.amdhsa_user_sgpr_private_segment_size 0
		.amdhsa_uses_dynamic_stack 0
		.amdhsa_system_sgpr_private_segment_wavefront_offset 0
		.amdhsa_system_sgpr_workgroup_id_x 1
		.amdhsa_system_sgpr_workgroup_id_y 0
		.amdhsa_system_sgpr_workgroup_id_z 0
		.amdhsa_system_sgpr_workgroup_info 0
		.amdhsa_system_vgpr_workitem_id 0
		.amdhsa_next_free_vgpr 1
		.amdhsa_next_free_sgpr 0
		.amdhsa_accum_offset 4
		.amdhsa_reserve_vcc 0
		.amdhsa_reserve_flat_scratch 0
		.amdhsa_float_round_mode_32 0
		.amdhsa_float_round_mode_16_64 0
		.amdhsa_float_denorm_mode_32 3
		.amdhsa_float_denorm_mode_16_64 3
		.amdhsa_dx10_clamp 1
		.amdhsa_ieee_mode 1
		.amdhsa_fp16_overflow 0
		.amdhsa_tg_split 0
		.amdhsa_exception_fp_ieee_invalid_op 0
		.amdhsa_exception_fp_denorm_src 0
		.amdhsa_exception_fp_ieee_div_zero 0
		.amdhsa_exception_fp_ieee_overflow 0
		.amdhsa_exception_fp_ieee_underflow 0
		.amdhsa_exception_fp_ieee_inexact 0
		.amdhsa_exception_int_div_zero 0
	.end_amdhsa_kernel
	.section	.text._ZN7rocprim17ROCPRIM_400000_NS6detail17trampoline_kernelINS0_14default_configENS1_27scan_by_key_config_selectorIssEEZZNS1_16scan_by_key_implILNS1_25lookback_scan_determinismE0ELb0ES3_N6thrust23THRUST_200600_302600_NS6detail15normal_iteratorINS9_10device_ptrIsEEEESE_SE_sNS9_4plusIvEENS9_8equal_toIvEEsEE10hipError_tPvRmT2_T3_T4_T5_mT6_T7_P12ihipStream_tbENKUlT_T0_E_clISt17integral_constantIbLb1EESZ_EEDaSU_SV_EUlSU_E_NS1_11comp_targetILNS1_3genE5ELNS1_11target_archE942ELNS1_3gpuE9ELNS1_3repE0EEENS1_30default_config_static_selectorELNS0_4arch9wavefront6targetE1EEEvT1_,"axG",@progbits,_ZN7rocprim17ROCPRIM_400000_NS6detail17trampoline_kernelINS0_14default_configENS1_27scan_by_key_config_selectorIssEEZZNS1_16scan_by_key_implILNS1_25lookback_scan_determinismE0ELb0ES3_N6thrust23THRUST_200600_302600_NS6detail15normal_iteratorINS9_10device_ptrIsEEEESE_SE_sNS9_4plusIvEENS9_8equal_toIvEEsEE10hipError_tPvRmT2_T3_T4_T5_mT6_T7_P12ihipStream_tbENKUlT_T0_E_clISt17integral_constantIbLb1EESZ_EEDaSU_SV_EUlSU_E_NS1_11comp_targetILNS1_3genE5ELNS1_11target_archE942ELNS1_3gpuE9ELNS1_3repE0EEENS1_30default_config_static_selectorELNS0_4arch9wavefront6targetE1EEEvT1_,comdat
.Lfunc_end252:
	.size	_ZN7rocprim17ROCPRIM_400000_NS6detail17trampoline_kernelINS0_14default_configENS1_27scan_by_key_config_selectorIssEEZZNS1_16scan_by_key_implILNS1_25lookback_scan_determinismE0ELb0ES3_N6thrust23THRUST_200600_302600_NS6detail15normal_iteratorINS9_10device_ptrIsEEEESE_SE_sNS9_4plusIvEENS9_8equal_toIvEEsEE10hipError_tPvRmT2_T3_T4_T5_mT6_T7_P12ihipStream_tbENKUlT_T0_E_clISt17integral_constantIbLb1EESZ_EEDaSU_SV_EUlSU_E_NS1_11comp_targetILNS1_3genE5ELNS1_11target_archE942ELNS1_3gpuE9ELNS1_3repE0EEENS1_30default_config_static_selectorELNS0_4arch9wavefront6targetE1EEEvT1_, .Lfunc_end252-_ZN7rocprim17ROCPRIM_400000_NS6detail17trampoline_kernelINS0_14default_configENS1_27scan_by_key_config_selectorIssEEZZNS1_16scan_by_key_implILNS1_25lookback_scan_determinismE0ELb0ES3_N6thrust23THRUST_200600_302600_NS6detail15normal_iteratorINS9_10device_ptrIsEEEESE_SE_sNS9_4plusIvEENS9_8equal_toIvEEsEE10hipError_tPvRmT2_T3_T4_T5_mT6_T7_P12ihipStream_tbENKUlT_T0_E_clISt17integral_constantIbLb1EESZ_EEDaSU_SV_EUlSU_E_NS1_11comp_targetILNS1_3genE5ELNS1_11target_archE942ELNS1_3gpuE9ELNS1_3repE0EEENS1_30default_config_static_selectorELNS0_4arch9wavefront6targetE1EEEvT1_
                                        ; -- End function
	.section	.AMDGPU.csdata,"",@progbits
; Kernel info:
; codeLenInByte = 0
; NumSgprs: 4
; NumVgprs: 0
; NumAgprs: 0
; TotalNumVgprs: 0
; ScratchSize: 0
; MemoryBound: 0
; FloatMode: 240
; IeeeMode: 1
; LDSByteSize: 0 bytes/workgroup (compile time only)
; SGPRBlocks: 0
; VGPRBlocks: 0
; NumSGPRsForWavesPerEU: 4
; NumVGPRsForWavesPerEU: 1
; AccumOffset: 4
; Occupancy: 8
; WaveLimiterHint : 0
; COMPUTE_PGM_RSRC2:SCRATCH_EN: 0
; COMPUTE_PGM_RSRC2:USER_SGPR: 6
; COMPUTE_PGM_RSRC2:TRAP_HANDLER: 0
; COMPUTE_PGM_RSRC2:TGID_X_EN: 1
; COMPUTE_PGM_RSRC2:TGID_Y_EN: 0
; COMPUTE_PGM_RSRC2:TGID_Z_EN: 0
; COMPUTE_PGM_RSRC2:TIDIG_COMP_CNT: 0
; COMPUTE_PGM_RSRC3_GFX90A:ACCUM_OFFSET: 0
; COMPUTE_PGM_RSRC3_GFX90A:TG_SPLIT: 0
	.section	.text._ZN7rocprim17ROCPRIM_400000_NS6detail17trampoline_kernelINS0_14default_configENS1_27scan_by_key_config_selectorIssEEZZNS1_16scan_by_key_implILNS1_25lookback_scan_determinismE0ELb0ES3_N6thrust23THRUST_200600_302600_NS6detail15normal_iteratorINS9_10device_ptrIsEEEESE_SE_sNS9_4plusIvEENS9_8equal_toIvEEsEE10hipError_tPvRmT2_T3_T4_T5_mT6_T7_P12ihipStream_tbENKUlT_T0_E_clISt17integral_constantIbLb1EESZ_EEDaSU_SV_EUlSU_E_NS1_11comp_targetILNS1_3genE4ELNS1_11target_archE910ELNS1_3gpuE8ELNS1_3repE0EEENS1_30default_config_static_selectorELNS0_4arch9wavefront6targetE1EEEvT1_,"axG",@progbits,_ZN7rocprim17ROCPRIM_400000_NS6detail17trampoline_kernelINS0_14default_configENS1_27scan_by_key_config_selectorIssEEZZNS1_16scan_by_key_implILNS1_25lookback_scan_determinismE0ELb0ES3_N6thrust23THRUST_200600_302600_NS6detail15normal_iteratorINS9_10device_ptrIsEEEESE_SE_sNS9_4plusIvEENS9_8equal_toIvEEsEE10hipError_tPvRmT2_T3_T4_T5_mT6_T7_P12ihipStream_tbENKUlT_T0_E_clISt17integral_constantIbLb1EESZ_EEDaSU_SV_EUlSU_E_NS1_11comp_targetILNS1_3genE4ELNS1_11target_archE910ELNS1_3gpuE8ELNS1_3repE0EEENS1_30default_config_static_selectorELNS0_4arch9wavefront6targetE1EEEvT1_,comdat
	.protected	_ZN7rocprim17ROCPRIM_400000_NS6detail17trampoline_kernelINS0_14default_configENS1_27scan_by_key_config_selectorIssEEZZNS1_16scan_by_key_implILNS1_25lookback_scan_determinismE0ELb0ES3_N6thrust23THRUST_200600_302600_NS6detail15normal_iteratorINS9_10device_ptrIsEEEESE_SE_sNS9_4plusIvEENS9_8equal_toIvEEsEE10hipError_tPvRmT2_T3_T4_T5_mT6_T7_P12ihipStream_tbENKUlT_T0_E_clISt17integral_constantIbLb1EESZ_EEDaSU_SV_EUlSU_E_NS1_11comp_targetILNS1_3genE4ELNS1_11target_archE910ELNS1_3gpuE8ELNS1_3repE0EEENS1_30default_config_static_selectorELNS0_4arch9wavefront6targetE1EEEvT1_ ; -- Begin function _ZN7rocprim17ROCPRIM_400000_NS6detail17trampoline_kernelINS0_14default_configENS1_27scan_by_key_config_selectorIssEEZZNS1_16scan_by_key_implILNS1_25lookback_scan_determinismE0ELb0ES3_N6thrust23THRUST_200600_302600_NS6detail15normal_iteratorINS9_10device_ptrIsEEEESE_SE_sNS9_4plusIvEENS9_8equal_toIvEEsEE10hipError_tPvRmT2_T3_T4_T5_mT6_T7_P12ihipStream_tbENKUlT_T0_E_clISt17integral_constantIbLb1EESZ_EEDaSU_SV_EUlSU_E_NS1_11comp_targetILNS1_3genE4ELNS1_11target_archE910ELNS1_3gpuE8ELNS1_3repE0EEENS1_30default_config_static_selectorELNS0_4arch9wavefront6targetE1EEEvT1_
	.globl	_ZN7rocprim17ROCPRIM_400000_NS6detail17trampoline_kernelINS0_14default_configENS1_27scan_by_key_config_selectorIssEEZZNS1_16scan_by_key_implILNS1_25lookback_scan_determinismE0ELb0ES3_N6thrust23THRUST_200600_302600_NS6detail15normal_iteratorINS9_10device_ptrIsEEEESE_SE_sNS9_4plusIvEENS9_8equal_toIvEEsEE10hipError_tPvRmT2_T3_T4_T5_mT6_T7_P12ihipStream_tbENKUlT_T0_E_clISt17integral_constantIbLb1EESZ_EEDaSU_SV_EUlSU_E_NS1_11comp_targetILNS1_3genE4ELNS1_11target_archE910ELNS1_3gpuE8ELNS1_3repE0EEENS1_30default_config_static_selectorELNS0_4arch9wavefront6targetE1EEEvT1_
	.p2align	8
	.type	_ZN7rocprim17ROCPRIM_400000_NS6detail17trampoline_kernelINS0_14default_configENS1_27scan_by_key_config_selectorIssEEZZNS1_16scan_by_key_implILNS1_25lookback_scan_determinismE0ELb0ES3_N6thrust23THRUST_200600_302600_NS6detail15normal_iteratorINS9_10device_ptrIsEEEESE_SE_sNS9_4plusIvEENS9_8equal_toIvEEsEE10hipError_tPvRmT2_T3_T4_T5_mT6_T7_P12ihipStream_tbENKUlT_T0_E_clISt17integral_constantIbLb1EESZ_EEDaSU_SV_EUlSU_E_NS1_11comp_targetILNS1_3genE4ELNS1_11target_archE910ELNS1_3gpuE8ELNS1_3repE0EEENS1_30default_config_static_selectorELNS0_4arch9wavefront6targetE1EEEvT1_,@function
_ZN7rocprim17ROCPRIM_400000_NS6detail17trampoline_kernelINS0_14default_configENS1_27scan_by_key_config_selectorIssEEZZNS1_16scan_by_key_implILNS1_25lookback_scan_determinismE0ELb0ES3_N6thrust23THRUST_200600_302600_NS6detail15normal_iteratorINS9_10device_ptrIsEEEESE_SE_sNS9_4plusIvEENS9_8equal_toIvEEsEE10hipError_tPvRmT2_T3_T4_T5_mT6_T7_P12ihipStream_tbENKUlT_T0_E_clISt17integral_constantIbLb1EESZ_EEDaSU_SV_EUlSU_E_NS1_11comp_targetILNS1_3genE4ELNS1_11target_archE910ELNS1_3gpuE8ELNS1_3repE0EEENS1_30default_config_static_selectorELNS0_4arch9wavefront6targetE1EEEvT1_: ; @_ZN7rocprim17ROCPRIM_400000_NS6detail17trampoline_kernelINS0_14default_configENS1_27scan_by_key_config_selectorIssEEZZNS1_16scan_by_key_implILNS1_25lookback_scan_determinismE0ELb0ES3_N6thrust23THRUST_200600_302600_NS6detail15normal_iteratorINS9_10device_ptrIsEEEESE_SE_sNS9_4plusIvEENS9_8equal_toIvEEsEE10hipError_tPvRmT2_T3_T4_T5_mT6_T7_P12ihipStream_tbENKUlT_T0_E_clISt17integral_constantIbLb1EESZ_EEDaSU_SV_EUlSU_E_NS1_11comp_targetILNS1_3genE4ELNS1_11target_archE910ELNS1_3gpuE8ELNS1_3repE0EEENS1_30default_config_static_selectorELNS0_4arch9wavefront6targetE1EEEvT1_
; %bb.0:
	s_load_dwordx4 s[72:75], s[4:5], 0x28
	s_load_dwordx2 s[76:77], s[4:5], 0x38
	v_cmp_ne_u32_e64 s[52:53], 0, v0
	v_cmp_eq_u32_e64 s[0:1], 0, v0
	s_and_saveexec_b64 s[2:3], s[0:1]
	s_cbranch_execz .LBB253_4
; %bb.1:
	s_mov_b64 s[8:9], exec
	v_mbcnt_lo_u32_b32 v1, s8, 0
	v_mbcnt_hi_u32_b32 v1, s9, v1
	v_cmp_eq_u32_e32 vcc, 0, v1
                                        ; implicit-def: $vgpr2
	s_and_saveexec_b64 s[6:7], vcc
	s_cbranch_execz .LBB253_3
; %bb.2:
	s_load_dwordx2 s[10:11], s[4:5], 0x68
	s_bcnt1_i32_b64 s8, s[8:9]
	v_mov_b32_e32 v2, 0
	v_mov_b32_e32 v3, s8
	s_waitcnt lgkmcnt(0)
	global_atomic_add v2, v2, v3, s[10:11] glc
.LBB253_3:
	s_or_b64 exec, exec, s[6:7]
	s_waitcnt vmcnt(0)
	v_readfirstlane_b32 s6, v2
	v_add_u32_e32 v1, s6, v1
	v_mov_b32_e32 v2, 0
	ds_write_b32 v2, v1
.LBB253_4:
	s_or_b64 exec, exec, s[2:3]
	s_load_dwordx8 s[56:63], s[4:5], 0x0
	s_load_dword s2, s[4:5], 0x40
	s_load_dwordx8 s[64:71], s[4:5], 0x48
	v_mov_b32_e32 v1, 0
	s_waitcnt lgkmcnt(0)
	s_barrier
	ds_read_b32 v1, v1
	s_lshl_b64 s[54:55], s[58:59], 1
	s_add_u32 s4, s56, s54
	s_addc_u32 s5, s57, s55
	s_add_u32 s6, s60, s54
	s_mul_i32 s3, s77, s2
	s_mul_hi_u32 s8, s76, s2
	s_addc_u32 s7, s61, s55
	s_add_i32 s8, s8, s3
	s_waitcnt lgkmcnt(0)
	v_readfirstlane_b32 s75, v1
	s_mul_i32 s9, s76, s2
	s_cmp_lg_u64 s[68:69], 0
	s_mov_b32 s3, 0
	s_mul_i32 s2, s75, 0x1600
	s_cselect_b64 s[60:61], -1, 0
	s_lshl_b64 s[56:57], s[2:3], 1
	s_add_u32 s58, s4, s56
	s_addc_u32 s59, s5, s57
	s_add_u32 s78, s6, s56
	s_addc_u32 s79, s7, s57
	;; [unrolled: 2-line block ×3, first 2 shown]
	s_add_u32 s4, s64, -1
	s_addc_u32 s5, s65, -1
	v_pk_mov_b32 v[2:3], s[4:5], s[4:5] op_sel:[0,1]
	v_cmp_ge_u64_e64 s[2:3], s[68:69], v[2:3]
	s_mov_b64 s[10:11], 0
	s_mov_b64 s[6:7], -1
	s_and_b64 vcc, exec, s[2:3]
	s_mul_i32 s33, s4, 0xffffea00
	s_barrier
	s_barrier
	s_cbranch_vccz .LBB253_121
; %bb.5:
	v_pk_mov_b32 v[2:3], s[58:59], s[58:59] op_sel:[0,1]
	flat_load_ushort v6, v[2:3]
	s_add_i32 s81, s33, s74
	v_cmp_gt_u32_e64 s[6:7], s81, v0
	s_waitcnt vmcnt(0) lgkmcnt(0)
	v_mov_b32_e32 v7, v6
	s_and_saveexec_b64 s[4:5], s[6:7]
	s_cbranch_execz .LBB253_7
; %bb.6:
	v_lshlrev_b32_e32 v1, 1, v0
	v_mov_b32_e32 v3, s59
	v_add_co_u32_e32 v2, vcc, s58, v1
	v_addc_co_u32_e32 v3, vcc, 0, v3, vcc
	flat_load_ushort v7, v[2:3]
.LBB253_7:
	s_or_b64 exec, exec, s[4:5]
	v_or_b32_e32 v1, 0x100, v0
	v_cmp_gt_u32_e64 s[8:9], s81, v1
	v_mov_b32_e32 v8, v6
	s_and_saveexec_b64 s[4:5], s[8:9]
	s_cbranch_execz .LBB253_9
; %bb.8:
	v_lshlrev_b32_e32 v1, 1, v0
	v_mov_b32_e32 v3, s59
	v_add_co_u32_e32 v2, vcc, s58, v1
	v_addc_co_u32_e32 v3, vcc, 0, v3, vcc
	flat_load_ushort v8, v[2:3] offset:512
.LBB253_9:
	s_or_b64 exec, exec, s[4:5]
	v_or_b32_e32 v1, 0x200, v0
	v_cmp_gt_u32_e64 s[10:11], s81, v1
	v_mov_b32_e32 v9, v6
	s_and_saveexec_b64 s[4:5], s[10:11]
	s_cbranch_execz .LBB253_11
; %bb.10:
	v_lshlrev_b32_e32 v1, 1, v0
	v_mov_b32_e32 v3, s59
	v_add_co_u32_e32 v2, vcc, s58, v1
	v_addc_co_u32_e32 v3, vcc, 0, v3, vcc
	flat_load_ushort v9, v[2:3] offset:1024
.LBB253_11:
	;; [unrolled: 13-line block ×7, first 2 shown]
	s_or_b64 exec, exec, s[4:5]
	v_or_b32_e32 v1, 0x800, v0
	v_cmp_gt_u32_e64 s[22:23], s81, v1
	v_mov_b32_e32 v15, v6
	s_and_saveexec_b64 s[4:5], s[22:23]
	s_cbranch_execz .LBB253_23
; %bb.22:
	v_lshlrev_b32_e32 v2, 1, v1
	v_mov_b32_e32 v3, s59
	v_add_co_u32_e32 v2, vcc, s58, v2
	v_addc_co_u32_e32 v3, vcc, 0, v3, vcc
	flat_load_ushort v15, v[2:3]
.LBB253_23:
	s_or_b64 exec, exec, s[4:5]
	v_or_b32_e32 v2, 0x900, v0
	v_cmp_gt_u32_e64 s[24:25], s81, v2
	v_mov_b32_e32 v26, v6
	s_and_saveexec_b64 s[4:5], s[24:25]
	s_cbranch_execz .LBB253_25
; %bb.24:
	v_lshlrev_b32_e32 v3, 1, v2
	v_mov_b32_e32 v5, s59
	v_add_co_u32_e32 v4, vcc, s58, v3
	v_addc_co_u32_e32 v5, vcc, 0, v5, vcc
	flat_load_ushort v26, v[4:5]
.LBB253_25:
	;; [unrolled: 13-line block ×13, first 2 shown]
	s_or_b64 exec, exec, s[4:5]
	v_or_b32_e32 v25, 0x1500, v0
	v_cmp_gt_u32_e64 s[50:51], s81, v25
	s_and_saveexec_b64 s[4:5], s[50:51]
	s_cbranch_execz .LBB253_49
; %bb.48:
	v_lshlrev_b32_e32 v6, 1, v25
	v_mov_b32_e32 v18, s59
	v_add_co_u32_e32 v38, vcc, s58, v6
	v_addc_co_u32_e32 v39, vcc, 0, v18, vcc
	flat_load_ushort v6, v[38:39]
.LBB253_49:
	s_or_b64 exec, exec, s[4:5]
	v_lshlrev_b32_e32 v18, 1, v0
	s_waitcnt vmcnt(0) lgkmcnt(0)
	ds_write_b16 v18, v7
	ds_write_b16 v18, v8 offset:512
	ds_write_b16 v18, v9 offset:1024
	;; [unrolled: 1-line block ×21, first 2 shown]
	v_mad_u32_u24 v37, v0, 42, v18
	s_waitcnt lgkmcnt(0)
	s_barrier
	ds_read2_b32 v[14:15], v37 offset1:1
	ds_read2_b32 v[12:13], v37 offset0:2 offset1:3
	ds_read2_b32 v[10:11], v37 offset0:4 offset1:5
	;; [unrolled: 1-line block ×4, first 2 shown]
	ds_read_b32 v38, v37 offset:40
	s_cmp_eq_u64 s[68:69], 0
	s_mov_b64 s[4:5], s[58:59]
	s_cbranch_scc1 .LBB253_53
; %bb.50:
	s_andn2_b64 vcc, exec, s[60:61]
	s_cbranch_vccnz .LBB253_291
; %bb.51:
	s_lshl_b64 s[4:5], s[68:69], 1
	s_add_u32 s4, s70, s4
	s_addc_u32 s5, s71, s5
	s_add_u32 s4, s4, -2
	s_addc_u32 s5, s5, -1
	s_cbranch_execnz .LBB253_53
.LBB253_52:
	s_add_u32 s4, s58, -2
	s_addc_u32 s5, s59, -1
.LBB253_53:
	v_pk_mov_b32 v[26:27], s[4:5], s[4:5] op_sel:[0,1]
	flat_load_ushort v41, v[26:27]
	s_movk_i32 s4, 0xffd6
	s_waitcnt lgkmcnt(0)
	v_lshrrev_b32_e32 v39, 16, v38
	v_mad_i32_i24 v26, v0, s4, v37
	ds_write_b16 v26, v39 offset:11264
	s_waitcnt lgkmcnt(0)
	s_barrier
	s_and_saveexec_b64 s[4:5], s[52:53]
	s_cbranch_execz .LBB253_55
; %bb.54:
	v_mul_i32_i24_e32 v26, 0xffffffd6, v0
	v_add_u32_e32 v26, v37, v26
	s_waitcnt vmcnt(0)
	ds_read_u16 v41, v26 offset:11262
.LBB253_55:
	s_or_b64 exec, exec, s[4:5]
	s_waitcnt lgkmcnt(0)
	s_barrier
	s_waitcnt lgkmcnt(0)
                                        ; implicit-def: $vgpr26
	s_and_saveexec_b64 s[4:5], s[6:7]
	s_cbranch_execnz .LBB253_268
; %bb.56:
	s_or_b64 exec, exec, s[4:5]
                                        ; implicit-def: $vgpr27
	s_and_saveexec_b64 s[4:5], s[8:9]
	s_cbranch_execnz .LBB253_269
.LBB253_57:
	s_or_b64 exec, exec, s[4:5]
                                        ; implicit-def: $vgpr28
	s_and_saveexec_b64 s[4:5], s[10:11]
	s_cbranch_execnz .LBB253_270
.LBB253_58:
	s_or_b64 exec, exec, s[4:5]
                                        ; implicit-def: $vgpr29
	s_and_saveexec_b64 s[4:5], s[12:13]
	s_cbranch_execnz .LBB253_271
.LBB253_59:
	s_or_b64 exec, exec, s[4:5]
                                        ; implicit-def: $vgpr30
	s_and_saveexec_b64 s[4:5], s[14:15]
	s_cbranch_execnz .LBB253_272
.LBB253_60:
	s_or_b64 exec, exec, s[4:5]
                                        ; implicit-def: $vgpr31
	s_and_saveexec_b64 s[4:5], s[16:17]
	s_cbranch_execnz .LBB253_273
.LBB253_61:
	s_or_b64 exec, exec, s[4:5]
                                        ; implicit-def: $vgpr32
	s_and_saveexec_b64 s[4:5], s[18:19]
	s_cbranch_execnz .LBB253_274
.LBB253_62:
	s_or_b64 exec, exec, s[4:5]
                                        ; implicit-def: $vgpr33
	s_and_saveexec_b64 s[4:5], s[20:21]
	s_cbranch_execnz .LBB253_275
.LBB253_63:
	s_or_b64 exec, exec, s[4:5]
                                        ; implicit-def: $vgpr34
	s_and_saveexec_b64 s[4:5], s[22:23]
	s_cbranch_execnz .LBB253_276
.LBB253_64:
	s_or_b64 exec, exec, s[4:5]
                                        ; implicit-def: $vgpr1
	s_and_saveexec_b64 s[4:5], s[24:25]
	s_cbranch_execnz .LBB253_277
.LBB253_65:
	s_or_b64 exec, exec, s[4:5]
                                        ; implicit-def: $vgpr2
	s_and_saveexec_b64 s[4:5], s[26:27]
	s_cbranch_execnz .LBB253_278
.LBB253_66:
	s_or_b64 exec, exec, s[4:5]
                                        ; implicit-def: $vgpr3
	s_and_saveexec_b64 s[4:5], s[28:29]
	s_cbranch_execnz .LBB253_279
.LBB253_67:
	s_or_b64 exec, exec, s[4:5]
                                        ; implicit-def: $vgpr4
	s_and_saveexec_b64 s[4:5], s[30:31]
	s_cbranch_execnz .LBB253_280
.LBB253_68:
	s_or_b64 exec, exec, s[4:5]
                                        ; implicit-def: $vgpr5
	s_and_saveexec_b64 s[4:5], s[34:35]
	s_cbranch_execnz .LBB253_281
.LBB253_69:
	s_or_b64 exec, exec, s[4:5]
                                        ; implicit-def: $vgpr16
	s_and_saveexec_b64 s[4:5], s[36:37]
	s_cbranch_execnz .LBB253_282
.LBB253_70:
	s_or_b64 exec, exec, s[4:5]
                                        ; implicit-def: $vgpr17
	s_and_saveexec_b64 s[4:5], s[38:39]
	s_cbranch_execnz .LBB253_283
.LBB253_71:
	s_or_b64 exec, exec, s[4:5]
                                        ; implicit-def: $vgpr19
	s_and_saveexec_b64 s[4:5], s[40:41]
	s_cbranch_execnz .LBB253_284
.LBB253_72:
	s_or_b64 exec, exec, s[4:5]
                                        ; implicit-def: $vgpr20
	s_and_saveexec_b64 s[4:5], s[42:43]
	s_cbranch_execnz .LBB253_285
.LBB253_73:
	s_or_b64 exec, exec, s[4:5]
                                        ; implicit-def: $vgpr21
	s_and_saveexec_b64 s[4:5], s[44:45]
	s_cbranch_execnz .LBB253_286
.LBB253_74:
	s_or_b64 exec, exec, s[4:5]
                                        ; implicit-def: $vgpr22
	s_and_saveexec_b64 s[4:5], s[46:47]
	s_cbranch_execnz .LBB253_287
.LBB253_75:
	s_or_b64 exec, exec, s[4:5]
                                        ; implicit-def: $vgpr23
	s_and_saveexec_b64 s[4:5], s[48:49]
	s_cbranch_execnz .LBB253_288
.LBB253_76:
	s_or_b64 exec, exec, s[4:5]
                                        ; implicit-def: $vgpr24
	s_and_saveexec_b64 s[4:5], s[50:51]
	s_cbranch_execz .LBB253_78
.LBB253_77:
	v_lshlrev_b32_e32 v24, 1, v25
	v_mov_b32_e32 v25, s79
	v_add_co_u32_e32 v24, vcc, s78, v24
	v_addc_co_u32_e32 v25, vcc, 0, v25, vcc
	flat_load_ushort v24, v[24:25]
.LBB253_78:
	s_or_b64 exec, exec, s[4:5]
	v_mul_u32_u24_e32 v40, 22, v0
	s_waitcnt vmcnt(0) lgkmcnt(0)
	ds_write_b16 v18, v26
	ds_write_b16 v18, v27 offset:512
	ds_write_b16 v18, v28 offset:1024
	;; [unrolled: 1-line block ×21, first 2 shown]
	v_cmp_gt_u32_e32 vcc, s81, v40
	s_mov_b64 s[6:7], 0
	s_mov_b32 s80, 0
	v_mov_b32_e32 v1, 0
	s_mov_b64 s[10:11], 0
	v_mov_b32_e32 v16, 0
	v_mov_b32_e32 v17, 0
	;; [unrolled: 1-line block ×20, first 2 shown]
	s_waitcnt lgkmcnt(0)
	s_barrier
	s_waitcnt lgkmcnt(0)
                                        ; implicit-def: $sgpr4_sgpr5
                                        ; implicit-def: $vgpr36
	s_and_saveexec_b64 s[8:9], vcc
	s_cbranch_execz .LBB253_120
; %bb.79:
	ds_read_u16 v1, v37
	v_cmp_ne_u16_e32 vcc, v41, v14
	v_or_b32_e32 v2, 1, v40
	v_cndmask_b32_e64 v3, 0, 1, vcc
	v_cmp_gt_u32_e32 vcc, s81, v2
	s_waitcnt lgkmcnt(0)
	v_lshl_or_b32 v1, v3, 16, v1
	s_mov_b64 s[12:13], 0
	v_mov_b32_e32 v16, 0
	v_mov_b32_e32 v17, 0
	;; [unrolled: 1-line block ×20, first 2 shown]
                                        ; implicit-def: $sgpr4_sgpr5
                                        ; implicit-def: $vgpr36
	s_and_saveexec_b64 s[10:11], vcc
	s_cbranch_execz .LBB253_119
; %bb.80:
	ds_read_b128 v[2:5], v37 offset:2
	v_add_u32_e32 v16, 2, v40
	v_cmp_ne_u16_sdwa s[4:5], v14, v14 src0_sel:DWORD src1_sel:WORD_1
	v_cndmask_b32_e64 v17, 0, 1, s[4:5]
	v_cmp_gt_u32_e32 vcc, s81, v16
	s_waitcnt lgkmcnt(0)
	v_and_b32_e32 v16, 0xffff, v2
	v_lshl_or_b32 v16, v17, 16, v16
	s_mov_b64 s[14:15], 0
	v_mov_b32_e32 v17, 0
	v_mov_b32_e32 v18, 0
	;; [unrolled: 1-line block ×19, first 2 shown]
                                        ; implicit-def: $sgpr4_sgpr5
                                        ; implicit-def: $vgpr36
	s_and_saveexec_b64 s[12:13], vcc
	s_cbranch_execz .LBB253_118
; %bb.81:
	v_cmp_ne_u16_sdwa s[4:5], v14, v15 src0_sel:WORD_1 src1_sel:DWORD
	v_add_u32_e32 v18, 3, v40
	v_cndmask_b32_e64 v14, 0, 1, s[4:5]
	v_alignbit_b32 v17, v14, v2, 16
	v_cmp_gt_u32_e32 vcc, s81, v18
	s_mov_b64 s[16:17], 0
	v_mov_b32_e32 v18, 0
	v_mov_b32_e32 v19, 0
	v_mov_b32_e32 v20, 0
	v_mov_b32_e32 v21, 0
	v_mov_b32_e32 v22, 0
	v_mov_b32_e32 v23, 0
	v_mov_b32_e32 v24, 0
	v_mov_b32_e32 v25, 0
	v_mov_b32_e32 v26, 0
	v_mov_b32_e32 v27, 0
	v_mov_b32_e32 v28, 0
	v_mov_b32_e32 v29, 0
	v_mov_b32_e32 v30, 0
	v_mov_b32_e32 v31, 0
	v_mov_b32_e32 v32, 0
	v_mov_b32_e32 v33, 0
	v_mov_b32_e32 v34, 0
	v_mov_b32_e32 v35, 0
                                        ; implicit-def: $sgpr4_sgpr5
                                        ; implicit-def: $vgpr36
	s_and_saveexec_b64 s[14:15], vcc
	s_cbranch_execz .LBB253_117
; %bb.82:
	v_cmp_ne_u16_sdwa s[4:5], v15, v15 src0_sel:DWORD src1_sel:WORD_1
	v_and_b32_e32 v2, 0xffff, v3
	v_add_u32_e32 v14, 4, v40
	v_cndmask_b32_e64 v18, 0, 1, s[4:5]
	v_lshl_or_b32 v18, v18, 16, v2
	v_cmp_gt_u32_e32 vcc, s81, v14
	s_mov_b64 s[18:19], 0
	v_mov_b32_e32 v19, 0
	v_mov_b32_e32 v20, 0
	;; [unrolled: 1-line block ×17, first 2 shown]
                                        ; implicit-def: $sgpr4_sgpr5
                                        ; implicit-def: $vgpr36
	s_and_saveexec_b64 s[16:17], vcc
	s_cbranch_execz .LBB253_116
; %bb.83:
	v_cmp_ne_u16_sdwa s[4:5], v15, v12 src0_sel:WORD_1 src1_sel:DWORD
	v_add_u32_e32 v2, 5, v40
	v_cndmask_b32_e64 v14, 0, 1, s[4:5]
	v_alignbit_b32 v19, v14, v3, 16
	v_cmp_gt_u32_e32 vcc, s81, v2
	s_mov_b64 s[20:21], 0
	v_mov_b32_e32 v20, 0
	v_mov_b32_e32 v21, 0
	;; [unrolled: 1-line block ×16, first 2 shown]
                                        ; implicit-def: $sgpr4_sgpr5
                                        ; implicit-def: $vgpr36
	s_and_saveexec_b64 s[18:19], vcc
	s_cbranch_execz .LBB253_115
; %bb.84:
	v_cmp_ne_u16_sdwa s[4:5], v12, v12 src0_sel:DWORD src1_sel:WORD_1
	v_and_b32_e32 v2, 0xffff, v4
	v_add_u32_e32 v3, 6, v40
	v_cndmask_b32_e64 v14, 0, 1, s[4:5]
	v_lshl_or_b32 v20, v14, 16, v2
	v_cmp_gt_u32_e32 vcc, s81, v3
	s_mov_b64 s[22:23], 0
	v_mov_b32_e32 v21, 0
	v_mov_b32_e32 v22, 0
	;; [unrolled: 1-line block ×15, first 2 shown]
                                        ; implicit-def: $sgpr4_sgpr5
                                        ; implicit-def: $vgpr36
	s_and_saveexec_b64 s[20:21], vcc
	s_cbranch_execz .LBB253_114
; %bb.85:
	v_cmp_ne_u16_sdwa s[4:5], v12, v13 src0_sel:WORD_1 src1_sel:DWORD
	v_add_u32_e32 v2, 7, v40
	v_cndmask_b32_e64 v3, 0, 1, s[4:5]
	v_alignbit_b32 v21, v3, v4, 16
	v_cmp_gt_u32_e32 vcc, s81, v2
	s_mov_b64 s[24:25], 0
	v_mov_b32_e32 v22, 0
	v_mov_b32_e32 v23, 0
	;; [unrolled: 1-line block ×14, first 2 shown]
                                        ; implicit-def: $sgpr4_sgpr5
                                        ; implicit-def: $vgpr36
	s_and_saveexec_b64 s[22:23], vcc
	s_cbranch_execz .LBB253_113
; %bb.86:
	v_cmp_ne_u16_sdwa s[4:5], v13, v13 src0_sel:DWORD src1_sel:WORD_1
	v_and_b32_e32 v2, 0xffff, v5
	v_add_u32_e32 v3, 8, v40
	v_cndmask_b32_e64 v4, 0, 1, s[4:5]
	v_lshl_or_b32 v22, v4, 16, v2
	v_cmp_gt_u32_e32 vcc, s81, v3
	s_mov_b64 s[26:27], 0
	v_mov_b32_e32 v23, 0
	v_mov_b32_e32 v24, 0
	;; [unrolled: 1-line block ×13, first 2 shown]
                                        ; implicit-def: $sgpr4_sgpr5
                                        ; implicit-def: $vgpr36
	s_and_saveexec_b64 s[24:25], vcc
	s_cbranch_execz .LBB253_112
; %bb.87:
	v_cmp_ne_u16_sdwa s[4:5], v13, v10 src0_sel:WORD_1 src1_sel:DWORD
	v_add_u32_e32 v2, 9, v40
	v_cndmask_b32_e64 v3, 0, 1, s[4:5]
	v_alignbit_b32 v23, v3, v5, 16
	v_cmp_gt_u32_e32 vcc, s81, v2
	s_mov_b64 s[28:29], 0
	v_mov_b32_e32 v24, 0
	v_mov_b32_e32 v25, 0
	;; [unrolled: 1-line block ×12, first 2 shown]
                                        ; implicit-def: $sgpr4_sgpr5
                                        ; implicit-def: $vgpr36
	s_and_saveexec_b64 s[26:27], vcc
	s_cbranch_execz .LBB253_111
; %bb.88:
	ds_read_b128 v[2:5], v37 offset:18
	v_add_u32_e32 v12, 10, v40
	v_cmp_ne_u16_sdwa s[4:5], v10, v10 src0_sel:DWORD src1_sel:WORD_1
	v_cndmask_b32_e64 v13, 0, 1, s[4:5]
	v_cmp_gt_u32_e32 vcc, s81, v12
	s_waitcnt lgkmcnt(0)
	v_and_b32_e32 v12, 0xffff, v2
	v_lshl_or_b32 v24, v13, 16, v12
	s_mov_b64 s[30:31], 0
	v_mov_b32_e32 v25, 0
	v_mov_b32_e32 v26, 0
	v_mov_b32_e32 v27, 0
	v_mov_b32_e32 v28, 0
	v_mov_b32_e32 v29, 0
	v_mov_b32_e32 v30, 0
	v_mov_b32_e32 v31, 0
	v_mov_b32_e32 v32, 0
	v_mov_b32_e32 v33, 0
	v_mov_b32_e32 v34, 0
	v_mov_b32_e32 v35, 0
                                        ; implicit-def: $sgpr4_sgpr5
                                        ; implicit-def: $vgpr36
	s_and_saveexec_b64 s[28:29], vcc
	s_cbranch_execz .LBB253_110
; %bb.89:
	v_cmp_ne_u16_sdwa s[4:5], v10, v11 src0_sel:WORD_1 src1_sel:DWORD
	v_add_u32_e32 v12, 11, v40
	v_cndmask_b32_e64 v10, 0, 1, s[4:5]
	v_alignbit_b32 v25, v10, v2, 16
	v_cmp_gt_u32_e32 vcc, s81, v12
	s_mov_b64 s[34:35], 0
	v_mov_b32_e32 v26, 0
	v_mov_b32_e32 v27, 0
	;; [unrolled: 1-line block ×10, first 2 shown]
                                        ; implicit-def: $sgpr4_sgpr5
                                        ; implicit-def: $vgpr36
	s_and_saveexec_b64 s[30:31], vcc
	s_cbranch_execz .LBB253_109
; %bb.90:
	v_cmp_ne_u16_sdwa s[4:5], v11, v11 src0_sel:DWORD src1_sel:WORD_1
	v_and_b32_e32 v2, 0xffff, v3
	v_add_u32_e32 v10, 12, v40
	v_cndmask_b32_e64 v12, 0, 1, s[4:5]
	v_lshl_or_b32 v26, v12, 16, v2
	v_cmp_gt_u32_e32 vcc, s81, v10
	s_mov_b64 s[36:37], 0
	v_mov_b32_e32 v27, 0
	v_mov_b32_e32 v28, 0
	;; [unrolled: 1-line block ×9, first 2 shown]
                                        ; implicit-def: $sgpr4_sgpr5
                                        ; implicit-def: $vgpr36
	s_and_saveexec_b64 s[34:35], vcc
	s_cbranch_execz .LBB253_108
; %bb.91:
	v_cmp_ne_u16_sdwa s[4:5], v11, v8 src0_sel:WORD_1 src1_sel:DWORD
	v_add_u32_e32 v2, 13, v40
	v_cndmask_b32_e64 v10, 0, 1, s[4:5]
	v_alignbit_b32 v27, v10, v3, 16
	v_cmp_gt_u32_e32 vcc, s81, v2
	s_mov_b64 s[38:39], 0
	v_mov_b32_e32 v28, 0
	v_mov_b32_e32 v29, 0
	;; [unrolled: 1-line block ×8, first 2 shown]
                                        ; implicit-def: $sgpr4_sgpr5
                                        ; implicit-def: $vgpr36
	s_and_saveexec_b64 s[36:37], vcc
	s_cbranch_execz .LBB253_107
; %bb.92:
	v_cmp_ne_u16_sdwa s[4:5], v8, v8 src0_sel:DWORD src1_sel:WORD_1
	v_and_b32_e32 v2, 0xffff, v4
	v_add_u32_e32 v3, 14, v40
	v_cndmask_b32_e64 v10, 0, 1, s[4:5]
	v_lshl_or_b32 v28, v10, 16, v2
	v_cmp_gt_u32_e32 vcc, s81, v3
	s_mov_b64 s[40:41], 0
	v_mov_b32_e32 v29, 0
	v_mov_b32_e32 v30, 0
	;; [unrolled: 1-line block ×7, first 2 shown]
                                        ; implicit-def: $sgpr4_sgpr5
                                        ; implicit-def: $vgpr36
	s_and_saveexec_b64 s[38:39], vcc
	s_cbranch_execz .LBB253_106
; %bb.93:
	v_cmp_ne_u16_sdwa s[4:5], v8, v9 src0_sel:WORD_1 src1_sel:DWORD
	v_add_u32_e32 v2, 15, v40
	v_cndmask_b32_e64 v3, 0, 1, s[4:5]
	v_alignbit_b32 v29, v3, v4, 16
	v_cmp_gt_u32_e32 vcc, s81, v2
	s_mov_b64 s[42:43], 0
	v_mov_b32_e32 v30, 0
	v_mov_b32_e32 v31, 0
	;; [unrolled: 1-line block ×6, first 2 shown]
                                        ; implicit-def: $sgpr4_sgpr5
                                        ; implicit-def: $vgpr36
	s_and_saveexec_b64 s[40:41], vcc
	s_cbranch_execz .LBB253_105
; %bb.94:
	v_cmp_ne_u16_sdwa s[4:5], v9, v9 src0_sel:DWORD src1_sel:WORD_1
	v_and_b32_e32 v2, 0xffff, v5
	v_add_u32_e32 v3, 16, v40
	v_cndmask_b32_e64 v4, 0, 1, s[4:5]
	v_lshl_or_b32 v30, v4, 16, v2
	v_cmp_gt_u32_e32 vcc, s81, v3
	s_mov_b64 s[44:45], 0
	v_mov_b32_e32 v31, 0
	v_mov_b32_e32 v32, 0
	;; [unrolled: 1-line block ×5, first 2 shown]
                                        ; implicit-def: $sgpr4_sgpr5
                                        ; implicit-def: $vgpr36
	s_and_saveexec_b64 s[42:43], vcc
	s_cbranch_execz .LBB253_104
; %bb.95:
	v_cmp_ne_u16_sdwa s[4:5], v9, v6 src0_sel:WORD_1 src1_sel:DWORD
	v_add_u32_e32 v2, 17, v40
	v_cndmask_b32_e64 v3, 0, 1, s[4:5]
	v_alignbit_b32 v31, v3, v5, 16
	v_cmp_gt_u32_e32 vcc, s81, v2
	s_mov_b64 s[46:47], 0
	v_mov_b32_e32 v32, 0
	v_mov_b32_e32 v33, 0
	;; [unrolled: 1-line block ×4, first 2 shown]
                                        ; implicit-def: $sgpr4_sgpr5
                                        ; implicit-def: $vgpr36
	s_and_saveexec_b64 s[44:45], vcc
	s_cbranch_execz .LBB253_103
; %bb.96:
	ds_read_b64 v[2:3], v37 offset:34
	v_add_u32_e32 v4, 18, v40
	v_cmp_ne_u16_sdwa s[4:5], v6, v6 src0_sel:DWORD src1_sel:WORD_1
	v_cndmask_b32_e64 v5, 0, 1, s[4:5]
	v_cmp_gt_u32_e32 vcc, s81, v4
	s_waitcnt lgkmcnt(0)
	v_and_b32_e32 v4, 0xffff, v2
	v_lshl_or_b32 v32, v5, 16, v4
	s_mov_b64 s[48:49], 0
	v_mov_b32_e32 v33, 0
	v_mov_b32_e32 v34, 0
	v_mov_b32_e32 v35, 0
                                        ; implicit-def: $sgpr4_sgpr5
                                        ; implicit-def: $vgpr36
	s_and_saveexec_b64 s[46:47], vcc
	s_cbranch_execz .LBB253_102
; %bb.97:
	v_cmp_ne_u16_sdwa s[4:5], v6, v7 src0_sel:WORD_1 src1_sel:DWORD
	v_add_u32_e32 v4, 19, v40
	v_cndmask_b32_e64 v5, 0, 1, s[4:5]
	v_alignbit_b32 v33, v5, v2, 16
	v_cmp_gt_u32_e32 vcc, s81, v4
	s_mov_b64 s[50:51], 0
	v_mov_b32_e32 v34, 0
	v_mov_b32_e32 v35, 0
                                        ; implicit-def: $sgpr64_sgpr65
                                        ; implicit-def: $vgpr36
	s_and_saveexec_b64 s[48:49], vcc
	s_cbranch_execz .LBB253_101
; %bb.98:
	v_cmp_ne_u16_sdwa s[4:5], v7, v7 src0_sel:DWORD src1_sel:WORD_1
	v_and_b32_e32 v2, 0xffff, v3
	v_add_u32_e32 v4, 20, v40
	v_cndmask_b32_e64 v5, 0, 1, s[4:5]
	v_lshl_or_b32 v34, v5, 16, v2
	v_cmp_gt_u32_e32 vcc, s81, v4
	s_mov_b64 s[4:5], 0
	v_mov_b32_e32 v35, 0
                                        ; implicit-def: $sgpr50_sgpr51
                                        ; implicit-def: $vgpr36
	s_and_saveexec_b64 s[64:65], vcc
	s_xor_b64 s[64:65], exec, s[64:65]
	s_cbranch_execz .LBB253_100
; %bb.99:
	ds_read_u16 v36, v37 offset:42
	v_add_u32_e32 v2, 21, v40
	v_cmp_ne_u16_sdwa s[4:5], v7, v38 src0_sel:WORD_1 src1_sel:DWORD
	v_cmp_ne_u16_e32 vcc, v38, v39
	v_cndmask_b32_e64 v4, 0, 1, s[4:5]
	v_cmp_gt_u32_e64 s[4:5], s81, v2
	v_alignbit_b32 v35, v4, v3, 16
	s_and_b64 s[50:51], vcc, exec
	s_and_b64 s[4:5], s[4:5], exec
.LBB253_100:
	s_or_b64 exec, exec, s[64:65]
	s_and_b64 s[64:65], s[50:51], exec
	s_and_b64 s[50:51], s[4:5], exec
.LBB253_101:
	s_or_b64 exec, exec, s[48:49]
	s_and_b64 s[4:5], s[64:65], exec
	s_and_b64 s[48:49], s[50:51], exec
.LBB253_102:
	s_or_b64 exec, exec, s[46:47]
	s_and_b64 s[4:5], s[4:5], exec
	s_and_b64 s[46:47], s[48:49], exec
.LBB253_103:
	s_or_b64 exec, exec, s[44:45]
	s_and_b64 s[4:5], s[4:5], exec
	s_and_b64 s[44:45], s[46:47], exec
.LBB253_104:
	s_or_b64 exec, exec, s[42:43]
	s_and_b64 s[4:5], s[4:5], exec
	s_and_b64 s[42:43], s[44:45], exec
.LBB253_105:
	s_or_b64 exec, exec, s[40:41]
	s_and_b64 s[4:5], s[4:5], exec
	s_and_b64 s[40:41], s[42:43], exec
.LBB253_106:
	s_or_b64 exec, exec, s[38:39]
	s_and_b64 s[4:5], s[4:5], exec
	s_and_b64 s[38:39], s[40:41], exec
.LBB253_107:
	s_or_b64 exec, exec, s[36:37]
	s_and_b64 s[4:5], s[4:5], exec
	s_and_b64 s[36:37], s[38:39], exec
.LBB253_108:
	s_or_b64 exec, exec, s[34:35]
	s_and_b64 s[4:5], s[4:5], exec
	s_and_b64 s[34:35], s[36:37], exec
.LBB253_109:
	s_or_b64 exec, exec, s[30:31]
	s_and_b64 s[4:5], s[4:5], exec
	s_and_b64 s[30:31], s[34:35], exec
.LBB253_110:
	s_or_b64 exec, exec, s[28:29]
	s_and_b64 s[4:5], s[4:5], exec
	s_and_b64 s[28:29], s[30:31], exec
.LBB253_111:
	s_or_b64 exec, exec, s[26:27]
	s_and_b64 s[4:5], s[4:5], exec
	s_and_b64 s[26:27], s[28:29], exec
.LBB253_112:
	s_or_b64 exec, exec, s[24:25]
	s_and_b64 s[4:5], s[4:5], exec
	s_and_b64 s[24:25], s[26:27], exec
.LBB253_113:
	s_or_b64 exec, exec, s[22:23]
	s_and_b64 s[4:5], s[4:5], exec
	s_and_b64 s[22:23], s[24:25], exec
.LBB253_114:
	s_or_b64 exec, exec, s[20:21]
	s_and_b64 s[4:5], s[4:5], exec
	s_and_b64 s[20:21], s[22:23], exec
.LBB253_115:
	s_or_b64 exec, exec, s[18:19]
	s_and_b64 s[4:5], s[4:5], exec
	s_and_b64 s[18:19], s[20:21], exec
.LBB253_116:
	s_or_b64 exec, exec, s[16:17]
	s_and_b64 s[4:5], s[4:5], exec
	s_and_b64 s[16:17], s[18:19], exec
.LBB253_117:
	s_or_b64 exec, exec, s[14:15]
	s_and_b64 s[4:5], s[4:5], exec
	s_and_b64 s[14:15], s[16:17], exec
.LBB253_118:
	s_or_b64 exec, exec, s[12:13]
	s_and_b64 s[4:5], s[4:5], exec
	s_and_b64 s[12:13], s[14:15], exec
.LBB253_119:
	s_or_b64 exec, exec, s[10:11]
	s_and_b64 s[4:5], s[4:5], exec
	s_and_b64 s[10:11], s[12:13], exec
.LBB253_120:
	s_or_b64 exec, exec, s[8:9]
	s_and_b64 vcc, exec, s[6:7]
	v_lshlrev_b32_e32 v12, 1, v0
	s_cbranch_vccnz .LBB253_122
	s_branch .LBB253_130
.LBB253_121:
                                        ; implicit-def: $sgpr4_sgpr5
                                        ; implicit-def: $vgpr36
                                        ; implicit-def: $vgpr1
                                        ; implicit-def: $vgpr16
                                        ; implicit-def: $vgpr17
                                        ; implicit-def: $vgpr18
                                        ; implicit-def: $vgpr19
                                        ; implicit-def: $vgpr20
                                        ; implicit-def: $vgpr21
                                        ; implicit-def: $vgpr22
                                        ; implicit-def: $vgpr23
                                        ; implicit-def: $vgpr24
                                        ; implicit-def: $vgpr25
                                        ; implicit-def: $vgpr26
                                        ; implicit-def: $vgpr27
                                        ; implicit-def: $vgpr28
                                        ; implicit-def: $vgpr29
                                        ; implicit-def: $vgpr30
                                        ; implicit-def: $vgpr31
                                        ; implicit-def: $vgpr32
                                        ; implicit-def: $vgpr33
                                        ; implicit-def: $vgpr34
                                        ; implicit-def: $vgpr35
                                        ; implicit-def: $sgpr80
	s_and_b64 vcc, exec, s[6:7]
	v_lshlrev_b32_e32 v12, 1, v0
	s_cbranch_vccz .LBB253_130
.LBB253_122:
	v_mov_b32_e32 v1, s59
	v_add_co_u32_e32 v2, vcc, s58, v12
	v_addc_co_u32_e32 v3, vcc, 0, v1, vcc
	v_add_co_u32_e32 v4, vcc, 0x1000, v2
	v_addc_co_u32_e32 v5, vcc, 0, v3, vcc
	flat_load_ushort v6, v[2:3]
	flat_load_ushort v7, v[2:3] offset:512
	flat_load_ushort v8, v[2:3] offset:1024
	;; [unrolled: 1-line block ×7, first 2 shown]
	v_add_co_u32_e32 v2, vcc, 0x2000, v2
	v_addc_co_u32_e32 v3, vcc, 0, v3, vcc
	flat_load_ushort v15, v[4:5]
	flat_load_ushort v16, v[4:5] offset:512
	flat_load_ushort v17, v[4:5] offset:1024
	;; [unrolled: 1-line block ×7, first 2 shown]
	s_nop 0
	flat_load_ushort v4, v[2:3]
	flat_load_ushort v5, v[2:3] offset:512
	flat_load_ushort v23, v[2:3] offset:1024
	;; [unrolled: 1-line block ×5, first 2 shown]
	v_mad_u32_u24 v1, v0, 42, v12
	s_cmp_eq_u64 s[68:69], 0
	s_waitcnt vmcnt(0) lgkmcnt(0)
	ds_write_b16 v12, v6
	ds_write_b16 v12, v7 offset:512
	ds_write_b16 v12, v8 offset:1024
	;; [unrolled: 1-line block ×21, first 2 shown]
	s_waitcnt lgkmcnt(0)
	s_barrier
	ds_read2_b32 v[10:11], v1 offset1:1
	ds_read2_b32 v[8:9], v1 offset0:2 offset1:3
	ds_read2_b32 v[6:7], v1 offset0:4 offset1:5
	ds_read2_b32 v[4:5], v1 offset0:6 offset1:7
	ds_read2_b32 v[2:3], v1 offset0:8 offset1:9
	ds_read_b32 v13, v1 offset:40
	s_cbranch_scc1 .LBB253_127
; %bb.123:
	s_andn2_b64 vcc, exec, s[60:61]
	s_cbranch_vccnz .LBB253_292
; %bb.124:
	s_lshl_b64 s[4:5], s[68:69], 1
	s_add_u32 s4, s70, s4
	s_addc_u32 s5, s71, s5
	s_add_u32 s4, s4, -2
	s_addc_u32 s5, s5, -1
	s_cbranch_execnz .LBB253_126
.LBB253_125:
	s_add_u32 s4, s58, -2
	s_addc_u32 s5, s59, -1
.LBB253_126:
	s_mov_b64 s[58:59], s[4:5]
.LBB253_127:
	v_pk_mov_b32 v[14:15], s[58:59], s[58:59] op_sel:[0,1]
	flat_load_ushort v15, v[14:15]
	s_movk_i32 s4, 0xffd6
	s_waitcnt lgkmcnt(0)
	v_lshrrev_b32_e32 v14, 16, v13
	v_mad_i32_i24 v16, v0, s4, v1
	ds_write_b16 v16, v14 offset:11264
	s_waitcnt lgkmcnt(0)
	s_barrier
	s_and_saveexec_b64 s[4:5], s[52:53]
	s_cbranch_execz .LBB253_129
; %bb.128:
	s_waitcnt vmcnt(0)
	v_mul_i32_i24_e32 v15, 0xffffffd6, v0
	v_add_u32_e32 v15, v1, v15
	ds_read_u16 v15, v15 offset:11262
.LBB253_129:
	s_or_b64 exec, exec, s[4:5]
	v_mov_b32_e32 v17, s79
	v_add_co_u32_e32 v16, vcc, s78, v12
	v_addc_co_u32_e32 v17, vcc, 0, v17, vcc
	s_movk_i32 s4, 0x1000
	v_add_co_u32_e32 v18, vcc, s4, v16
	v_addc_co_u32_e32 v19, vcc, 0, v17, vcc
	s_movk_i32 s4, 0x2000
	s_waitcnt lgkmcnt(0)
	s_barrier
	flat_load_ushort v20, v[16:17]
	flat_load_ushort v21, v[16:17] offset:512
	flat_load_ushort v22, v[16:17] offset:1024
	;; [unrolled: 1-line block ×7, first 2 shown]
	v_add_co_u32_e32 v16, vcc, s4, v16
	v_addc_co_u32_e32 v17, vcc, 0, v17, vcc
	flat_load_ushort v28, v[18:19]
	flat_load_ushort v29, v[18:19] offset:512
	flat_load_ushort v30, v[18:19] offset:1024
	;; [unrolled: 1-line block ×7, first 2 shown]
	s_nop 0
	flat_load_ushort v18, v[16:17]
	flat_load_ushort v19, v[16:17] offset:512
	flat_load_ushort v36, v[16:17] offset:1024
	;; [unrolled: 1-line block ×5, first 2 shown]
	v_cmp_ne_u16_sdwa s[6:7], v10, v10 src0_sel:DWORD src1_sel:WORD_1
	v_cndmask_b32_e64 v16, 0, 1, s[6:7]
	v_cmp_ne_u16_sdwa s[6:7], v10, v11 src0_sel:WORD_1 src1_sel:DWORD
	v_cndmask_b32_e64 v40, 0, 1, s[6:7]
	v_cmp_ne_u16_sdwa s[6:7], v11, v11 src0_sel:DWORD src1_sel:WORD_1
	v_cmp_ne_u16_e64 s[4:5], v13, v14
	s_waitcnt vmcnt(0)
	v_cmp_ne_u16_e32 vcc, v15, v10
	v_cndmask_b32_e64 v41, 0, 1, s[6:7]
	v_cmp_ne_u16_sdwa s[6:7], v11, v8 src0_sel:WORD_1 src1_sel:DWORD
	v_cndmask_b32_e64 v17, 0, 1, vcc
	v_cndmask_b32_e64 v42, 0, 1, s[6:7]
	v_cmp_ne_u16_sdwa s[6:7], v8, v8 src0_sel:DWORD src1_sel:WORD_1
	s_mov_b64 s[10:11], -1
                                        ; implicit-def: $sgpr80
	s_waitcnt lgkmcnt(0)
	ds_write_b16 v12, v20
	ds_write_b16 v12, v21 offset:512
	ds_write_b16 v12, v22 offset:1024
	;; [unrolled: 1-line block ×21, first 2 shown]
	s_waitcnt lgkmcnt(0)
	s_barrier
	ds_read2_b32 v[10:11], v1 offset0:8 offset1:9
	ds_read_b32 v35, v1 offset:40
	ds_read2_b32 v[14:15], v1 offset1:1
	ds_read2_b32 v[22:23], v1 offset0:2 offset1:3
	ds_read2_b32 v[26:27], v1 offset0:4 offset1:5
	;; [unrolled: 1-line block ×3, first 2 shown]
	s_waitcnt lgkmcnt(4)
	v_lshrrev_b32_e32 v36, 16, v35
	s_waitcnt lgkmcnt(3)
	v_and_b32_e32 v1, 0xffff, v14
	v_alignbit_b32 v16, v16, v14, 16
	v_and_b32_e32 v14, 0xffff, v15
	v_lshl_or_b32 v1, v17, 16, v1
	v_lshl_or_b32 v17, v40, 16, v14
	v_cndmask_b32_e64 v14, 0, 1, s[6:7]
	v_cmp_ne_u16_sdwa s[6:7], v8, v9 src0_sel:WORD_1 src1_sel:DWORD
	s_waitcnt lgkmcnt(2)
	v_alignbit_b32 v20, v14, v22, 16
	v_and_b32_e32 v14, 0xffff, v23
	v_cndmask_b32_e64 v8, 0, 1, s[6:7]
	v_cmp_ne_u16_sdwa s[6:7], v9, v9 src0_sel:DWORD src1_sel:WORD_1
	v_lshl_or_b32 v21, v8, 16, v14
	v_cndmask_b32_e64 v8, 0, 1, s[6:7]
	v_cmp_ne_u16_sdwa s[6:7], v9, v6 src0_sel:WORD_1 src1_sel:DWORD
	v_alignbit_b32 v18, v41, v15, 16
	v_and_b32_e32 v15, 0xffff, v22
	v_alignbit_b32 v22, v8, v23, 16
	s_waitcnt lgkmcnt(1)
	v_and_b32_e32 v8, 0xffff, v26
	v_cndmask_b32_e64 v9, 0, 1, s[6:7]
	v_cmp_ne_u16_sdwa s[6:7], v6, v6 src0_sel:DWORD src1_sel:WORD_1
	v_lshl_or_b32 v23, v9, 16, v8
	v_cndmask_b32_e64 v8, 0, 1, s[6:7]
	v_cmp_ne_u16_sdwa s[6:7], v6, v7 src0_sel:WORD_1 src1_sel:DWORD
	v_alignbit_b32 v24, v8, v26, 16
	v_and_b32_e32 v8, 0xffff, v27
	v_cndmask_b32_e64 v6, 0, 1, s[6:7]
	v_cmp_ne_u16_sdwa s[6:7], v7, v7 src0_sel:DWORD src1_sel:WORD_1
	v_lshl_or_b32 v25, v6, 16, v8
	v_cndmask_b32_e64 v6, 0, 1, s[6:7]
	v_cmp_ne_u16_sdwa s[6:7], v7, v4 src0_sel:WORD_1 src1_sel:DWORD
	v_alignbit_b32 v26, v6, v27, 16
	s_waitcnt lgkmcnt(0)
	v_and_b32_e32 v6, 0xffff, v30
	v_cndmask_b32_e64 v7, 0, 1, s[6:7]
	v_cmp_ne_u16_sdwa s[6:7], v4, v4 src0_sel:DWORD src1_sel:WORD_1
	v_lshl_or_b32 v27, v7, 16, v6
	v_cndmask_b32_e64 v6, 0, 1, s[6:7]
	v_cmp_ne_u16_sdwa s[6:7], v4, v5 src0_sel:WORD_1 src1_sel:DWORD
	v_alignbit_b32 v28, v6, v30, 16
	v_and_b32_e32 v6, 0xffff, v31
	v_cndmask_b32_e64 v4, 0, 1, s[6:7]
	v_cmp_ne_u16_sdwa s[6:7], v5, v5 src0_sel:DWORD src1_sel:WORD_1
	v_lshl_or_b32 v29, v4, 16, v6
	v_cndmask_b32_e64 v4, 0, 1, s[6:7]
	v_cmp_ne_u16_sdwa s[6:7], v5, v2 src0_sel:WORD_1 src1_sel:DWORD
	v_alignbit_b32 v30, v4, v31, 16
	;; [unrolled: 7-line block ×4, first 2 shown]
	v_and_b32_e32 v2, 0xffff, v35
	v_cndmask_b32_e64 v3, 0, 1, s[6:7]
	v_lshl_or_b32 v19, v42, 16, v15
	v_lshl_or_b32 v35, v3, 16, v2
.LBB253_130:
	v_mov_b32_e32 v13, s80
	s_and_saveexec_b64 s[6:7], s[10:11]
	s_cbranch_execz .LBB253_132
; %bb.131:
	v_mov_b32_e32 v2, 0x10000
	v_cndmask_b32_e64 v2, 0, v2, s[4:5]
	s_waitcnt lgkmcnt(0)
	v_or_b32_sdwa v13, v2, v36 dst_sel:DWORD dst_unused:UNUSED_PAD src0_sel:DWORD src1_sel:WORD_0
.LBB253_132:
	s_or_b64 exec, exec, s[6:7]
	v_or3_b32 v2, v13, v35, v34
	s_cmp_lg_u32 s75, 0
	v_or3_b32 v15, v2, v33, v32
	v_lshrrev_b32_e32 v14, 5, v0
	v_cmp_gt_u32_e32 vcc, 64, v0
	s_waitcnt lgkmcnt(0)
	s_barrier
	s_cbranch_scc0 .LBB253_197
; %bb.133:
	s_mov_b32 s4, 0x10000
	v_cmp_gt_u32_e64 s[6:7], s4, v16
	v_cndmask_b32_e64 v2, 0, v1, s[6:7]
	v_add_u16_e32 v2, v2, v16
	v_cmp_gt_u32_e64 s[8:9], s4, v17
	v_cndmask_b32_e64 v2, 0, v2, s[8:9]
	v_add_u16_e32 v2, v2, v17
	;; [unrolled: 3-line block ×21, first 2 shown]
	v_or3_b32 v2, v15, v31, v30
	v_or3_b32 v2, v2, v29, v28
	;; [unrolled: 1-line block ×8, first 2 shown]
	v_and_b32_e32 v2, 0x10000, v2
	v_lshrrev_b32_e32 v36, 16, v1
	v_cmp_ne_u32_e64 s[4:5], 0, v2
	v_mov_b32_e32 v5, 0x10000
	v_cndmask_b32_e64 v38, v36, 1, s[4:5]
	v_add_lshl_u32 v2, v14, v0, 2
	ds_write_b16 v2, v37
	ds_write_b8 v2, v38 offset:2
	s_waitcnt lgkmcnt(0)
	s_barrier
	s_and_saveexec_b64 s[50:51], vcc
	s_cbranch_execz .LBB253_147
; %bb.134:
	v_lshlrev_b32_e32 v2, 2, v0
	v_lshrrev_b32_e32 v3, 3, v0
	v_add_lshl_u32 v2, v3, v2, 2
	ds_read_b32 v3, v2
	ds_read_u16 v4, v2 offset:4
	ds_read_u8 v6, v2 offset:6
	ds_read_u16 v7, v2 offset:8
	ds_read_u8 v8, v2 offset:10
	;; [unrolled: 2-line block ×3, first 2 shown]
	v_mov_b32_e32 v11, 0
	s_waitcnt lgkmcnt(4)
	v_cmp_eq_u16_sdwa s[4:5], v6, v11 src0_sel:BYTE_0 src1_sel:DWORD
	v_cndmask_b32_e64 v39, 0, v3, s[4:5]
	v_add_u16_e32 v39, v39, v4
	s_waitcnt lgkmcnt(2)
	v_cmp_eq_u16_sdwa s[4:5], v8, v11 src0_sel:BYTE_0 src1_sel:DWORD
	s_waitcnt lgkmcnt(0)
	v_or_b32_e32 v8, v10, v8
	v_cndmask_b32_e64 v11, 0, v39, s[4:5]
	v_or_b32_e32 v6, v8, v6
	v_add_u16_e32 v7, v11, v7
	v_cmp_eq_u16_e64 s[4:5], 0, v10
	v_and_b32_e32 v6, 1, v6
	v_and_b32_e32 v4, 0x10000, v3
	v_cndmask_b32_e64 v11, 0, v7, s[4:5]
	v_cmp_eq_u32_e64 s[4:5], 1, v6
	v_mbcnt_lo_u32_b32 v6, -1, 0
	v_add_u16_e32 v7, v11, v9
	v_cndmask_b32_e64 v39, v4, v5, s[4:5]
	v_add_u16_e32 v9, v11, v9
	v_and_b32_e32 v5, 0xff000000, v3
	v_mbcnt_hi_u32_b32 v6, -1, v6
	v_or_b32_e32 v10, v39, v5
	v_and_b32_e32 v11, 15, v6
	v_or3_b32 v9, v5, v9, v39
	s_movk_i32 s60, 0xff
	v_lshrrev_b32_e32 v8, 16, v10
	v_mov_b32_dpp v39, v9 row_shr:1 row_mask:0xf bank_mask:0xf
	v_cmp_ne_u32_e64 s[4:5], 0, v11
	s_and_saveexec_b64 s[58:59], s[4:5]
	s_cbranch_execz .LBB253_136
; %bb.135:
	v_and_b32_sdwa v8, v10, s60 dst_sel:DWORD dst_unused:UNUSED_PAD src0_sel:WORD_1 src1_sel:DWORD
	v_cmp_eq_u16_e64 s[4:5], 0, v8
	v_and_b32_e32 v8, 0x10000, v10
	v_mov_b32_e32 v10, 1
	v_cndmask_b32_e64 v9, 0, v39, s[4:5]
	v_and_b32_sdwa v10, v39, v10 dst_sel:DWORD dst_unused:UNUSED_PAD src0_sel:WORD_1 src1_sel:DWORD
	v_cmp_ne_u32_e64 s[4:5], 0, v8
	v_cndmask_b32_e64 v8, v10, 1, s[4:5]
	v_add_u16_e32 v40, v9, v7
	v_lshlrev_b32_e32 v10, 16, v8
	v_add_u16_e32 v7, v9, v7
	v_or3_b32 v9, v10, v7, v5
	v_mov_b32_e32 v7, v40
.LBB253_136:
	s_or_b64 exec, exec, s[58:59]
	v_lshrrev_b32_e32 v10, 16, v9
	v_mov_b32_dpp v39, v9 row_shr:2 row_mask:0xf bank_mask:0xf
	v_cmp_lt_u32_e64 s[4:5], 1, v11
	s_and_saveexec_b64 s[58:59], s[4:5]
	s_cbranch_execz .LBB253_138
; %bb.137:
	v_mov_b32_e32 v8, 0
	v_cmp_eq_u16_sdwa s[4:5], v10, v8 src0_sel:BYTE_0 src1_sel:DWORD
	v_and_b32_e32 v8, 0x10000, v9
	v_mov_b32_e32 v9, 1
	v_cndmask_b32_e64 v10, 0, v39, s[4:5]
	v_and_b32_sdwa v9, v39, v9 dst_sel:DWORD dst_unused:UNUSED_PAD src0_sel:WORD_1 src1_sel:DWORD
	v_cmp_ne_u32_e64 s[4:5], 0, v8
	v_cndmask_b32_e64 v8, v9, 1, s[4:5]
	v_add_u16_e32 v40, v10, v7
	v_lshlrev_b32_e32 v9, 16, v8
	v_add_u16_e32 v7, v10, v7
	v_or3_b32 v9, v9, v7, v5
	v_mov_b32_e32 v10, v8
	v_mov_b32_e32 v7, v40
.LBB253_138:
	s_or_b64 exec, exec, s[58:59]
	v_mov_b32_dpp v39, v9 row_shr:4 row_mask:0xf bank_mask:0xf
	v_cmp_lt_u32_e64 s[4:5], 3, v11
	s_and_saveexec_b64 s[58:59], s[4:5]
	s_cbranch_execz .LBB253_140
; %bb.139:
	v_mov_b32_e32 v8, 0
	v_cmp_eq_u16_sdwa s[4:5], v10, v8 src0_sel:BYTE_0 src1_sel:DWORD
	v_and_b32_e32 v8, 1, v10
	v_mov_b32_e32 v10, 1
	v_cndmask_b32_e64 v9, 0, v39, s[4:5]
	v_and_b32_sdwa v10, v39, v10 dst_sel:DWORD dst_unused:UNUSED_PAD src0_sel:WORD_1 src1_sel:DWORD
	v_cmp_eq_u32_e64 s[4:5], 1, v8
	v_cndmask_b32_e64 v8, v10, 1, s[4:5]
	v_add_u16_e32 v40, v9, v7
	v_lshlrev_b32_e32 v10, 16, v8
	v_add_u16_e32 v7, v9, v7
	v_or3_b32 v9, v10, v7, v5
	v_mov_b32_e32 v10, v8
	v_mov_b32_e32 v7, v40
.LBB253_140:
	s_or_b64 exec, exec, s[58:59]
	v_mov_b32_dpp v39, v9 row_shr:8 row_mask:0xf bank_mask:0xf
	v_cmp_lt_u32_e64 s[4:5], 7, v11
	s_and_saveexec_b64 s[58:59], s[4:5]
	s_cbranch_execz .LBB253_142
; %bb.141:
	v_mov_b32_e32 v8, 0
	v_cmp_eq_u16_sdwa s[4:5], v10, v8 src0_sel:BYTE_0 src1_sel:DWORD
	v_and_b32_e32 v8, 1, v10
	v_mov_b32_e32 v10, 1
	v_cndmask_b32_e64 v9, 0, v39, s[4:5]
	v_and_b32_sdwa v10, v39, v10 dst_sel:DWORD dst_unused:UNUSED_PAD src0_sel:WORD_1 src1_sel:DWORD
	v_cmp_eq_u32_e64 s[4:5], 1, v8
	v_cndmask_b32_e64 v8, v10, 1, s[4:5]
	v_add_u16_e32 v11, v9, v7
	v_lshlrev_b32_e32 v10, 16, v8
	v_add_u16_e32 v7, v9, v7
	v_or3_b32 v9, v10, v7, v5
	v_mov_b32_e32 v10, v8
	v_mov_b32_e32 v7, v11
.LBB253_142:
	s_or_b64 exec, exec, s[58:59]
	v_and_b32_e32 v39, 16, v6
	v_mov_b32_dpp v11, v9 row_bcast:15 row_mask:0xf bank_mask:0xf
	v_cmp_ne_u32_e64 s[4:5], 0, v39
	s_and_saveexec_b64 s[58:59], s[4:5]
	s_cbranch_execz .LBB253_144
; %bb.143:
	v_mov_b32_e32 v8, 0
	v_cmp_eq_u16_sdwa s[4:5], v10, v8 src0_sel:BYTE_0 src1_sel:DWORD
	v_and_b32_e32 v8, 1, v10
	v_mov_b32_e32 v10, 1
	v_cndmask_b32_e64 v9, 0, v11, s[4:5]
	v_and_b32_sdwa v10, v11, v10 dst_sel:DWORD dst_unused:UNUSED_PAD src0_sel:WORD_1 src1_sel:DWORD
	v_cmp_eq_u32_e64 s[4:5], 1, v8
	v_cndmask_b32_e64 v8, v10, 1, s[4:5]
	v_add_u16_e32 v39, v9, v7
	v_lshlrev_b32_e32 v10, 16, v8
	v_add_u16_e32 v7, v9, v7
	v_or3_b32 v9, v10, v7, v5
	v_mov_b32_e32 v10, v8
	v_mov_b32_e32 v7, v39
.LBB253_144:
	s_or_b64 exec, exec, s[58:59]
	v_mov_b32_dpp v9, v9 row_bcast:31 row_mask:0xf bank_mask:0xf
	v_cmp_lt_u32_e64 s[4:5], 31, v6
	s_and_saveexec_b64 s[58:59], s[4:5]
; %bb.145:
	v_mov_b32_e32 v8, 0
	v_cmp_eq_u16_sdwa s[4:5], v10, v8 src0_sel:BYTE_0 src1_sel:DWORD
	v_cndmask_b32_e64 v8, 0, v9, s[4:5]
	v_add_u16_e32 v7, v8, v7
	v_and_b32_e32 v8, 1, v10
	v_mov_b32_e32 v10, 1
	v_and_b32_sdwa v9, v9, v10 dst_sel:DWORD dst_unused:UNUSED_PAD src0_sel:WORD_1 src1_sel:DWORD
	v_cmp_eq_u32_e64 s[4:5], 1, v8
	v_cndmask_b32_e64 v8, v9, 1, s[4:5]
; %bb.146:
	s_or_b64 exec, exec, s[58:59]
	v_and_b32_e32 v8, 0xff, v8
	v_lshlrev_b32_e32 v8, 16, v8
	v_and_b32_e32 v7, 0xffff, v7
	v_or3_b32 v5, v8, v7, v5
	v_add_u32_e32 v7, -1, v6
	v_and_b32_e32 v8, 64, v6
	v_cmp_lt_i32_e64 s[4:5], v7, v8
	v_cndmask_b32_e64 v6, v7, v6, s[4:5]
	v_lshlrev_b32_e32 v6, 2, v6
	ds_bpermute_b32 v5, v6, v5
	v_and_b32_e32 v6, 0xff0000, v3
	v_cmp_eq_u32_e64 s[4:5], 0, v6
	; wave barrier
	s_waitcnt lgkmcnt(0)
	v_cndmask_b32_e64 v6, 0, v5, s[4:5]
	v_add_u16_e32 v3, v6, v3
	v_mov_b32_e32 v6, 1
	v_and_b32_sdwa v5, v5, v6 dst_sel:DWORD dst_unused:UNUSED_PAD src0_sel:WORD_1 src1_sel:DWORD
	v_cmp_eq_u32_e64 s[4:5], 0, v4
	v_cndmask_b32_e64 v4, 1, v5, s[4:5]
	v_cndmask_b32_e64 v3, v3, v37, s[0:1]
	;; [unrolled: 1-line block ×3, first 2 shown]
	ds_write_b16 v2, v3
	ds_write_b8 v2, v4 offset:2
	; wave barrier
	ds_read_u16 v5, v2 offset:4
	ds_read_u8 v6, v2 offset:6
	ds_read_u16 v7, v2 offset:8
	ds_read_u8 v8, v2 offset:10
	;; [unrolled: 2-line block ×3, first 2 shown]
	s_waitcnt lgkmcnt(4)
	v_cmp_eq_u16_e64 s[4:5], 0, v6
	v_cndmask_b32_e64 v3, 0, v3, s[4:5]
	v_add_u16_e32 v3, v3, v5
	v_and_b32_e32 v5, 1, v6
	v_cmp_eq_u32_e64 s[4:5], 1, v5
	v_cndmask_b32_e64 v4, v4, 1, s[4:5]
	s_waitcnt lgkmcnt(2)
	v_cmp_eq_u16_e64 s[4:5], 0, v8
	v_and_b32_e32 v5, 1, v8
	ds_write_b16 v2, v3 offset:4
	ds_write_b8 v2, v4 offset:6
	v_cndmask_b32_e64 v3, 0, v3, s[4:5]
	v_cmp_eq_u32_e64 s[4:5], 1, v5
	v_add_u16_e32 v3, v3, v7
	v_cndmask_b32_e64 v4, v4, 1, s[4:5]
	s_waitcnt lgkmcnt(2)
	v_cmp_eq_u16_e64 s[4:5], 0, v10
	ds_write_b16 v2, v3 offset:8
	ds_write_b8 v2, v4 offset:10
	v_cndmask_b32_e64 v3, 0, v3, s[4:5]
	v_and_b32_e32 v5, 1, v10
	v_add_u16_e32 v3, v3, v9
	v_cmp_eq_u32_e64 s[4:5], 1, v5
	v_cndmask_b32_e64 v4, v4, 1, s[4:5]
	ds_write_b16 v2, v3 offset:12
	ds_write_b8 v2, v4 offset:14
.LBB253_147:
	s_or_b64 exec, exec, s[50:51]
	s_waitcnt lgkmcnt(0)
	s_barrier
	s_and_saveexec_b64 s[4:5], s[52:53]
	s_cbranch_execz .LBB253_149
; %bb.148:
	v_add_u32_e32 v2, -1, v0
	v_lshrrev_b32_e32 v3, 5, v2
	v_add_lshl_u32 v2, v3, v2, 2
	ds_read_u16 v37, v2
	ds_read_u8 v38, v2 offset:2
.LBB253_149:
	s_or_b64 exec, exec, s[4:5]
	s_and_saveexec_b64 s[4:5], vcc
	s_cbranch_execz .LBB253_196
; %bb.150:
	v_mov_b32_e32 v11, 0
	ds_read_b32 v2, v11 offset:1048
	v_mbcnt_lo_u32_b32 v3, -1, 0
	v_mbcnt_hi_u32_b32 v5, -1, v3
	s_mov_b32 s61, 0
	v_cmp_eq_u32_e64 s[50:51], 0, v5
	s_and_saveexec_b64 s[58:59], s[50:51]
	s_cbranch_execz .LBB253_152
; %bb.151:
	s_add_i32 s60, s75, 64
	s_lshl_b64 s[60:61], s[60:61], 3
	s_add_u32 s60, s72, s60
	v_mov_b32_e32 v3, 1
	s_addc_u32 s61, s73, s61
	s_waitcnt lgkmcnt(0)
	global_store_dwordx2 v11, v[2:3], s[60:61]
.LBB253_152:
	s_or_b64 exec, exec, s[58:59]
	v_xad_u32 v4, v5, -1, s75
	v_add_u32_e32 v10, 64, v4
	v_lshlrev_b64 v[6:7], 3, v[10:11]
	v_mov_b32_e32 v3, s73
	v_add_co_u32_e32 v6, vcc, s72, v6
	v_addc_co_u32_e32 v7, vcc, v3, v7, vcc
	global_load_dwordx2 v[8:9], v[6:7], off glc
	s_waitcnt vmcnt(0)
	v_cmp_eq_u16_sdwa s[60:61], v9, v11 src0_sel:BYTE_0 src1_sel:DWORD
	s_and_saveexec_b64 s[58:59], s[60:61]
	s_cbranch_execz .LBB253_158
; %bb.153:
	s_mov_b32 s64, 1
	s_mov_b64 s[60:61], 0
	v_mov_b32_e32 v3, 0
.LBB253_154:                            ; =>This Loop Header: Depth=1
                                        ;     Child Loop BB253_155 Depth 2
	s_max_u32 s65, s64, 1
.LBB253_155:                            ;   Parent Loop BB253_154 Depth=1
                                        ; =>  This Inner Loop Header: Depth=2
	s_add_i32 s65, s65, -1
	s_cmp_eq_u32 s65, 0
	s_sleep 1
	s_cbranch_scc0 .LBB253_155
; %bb.156:                              ;   in Loop: Header=BB253_154 Depth=1
	global_load_dwordx2 v[8:9], v[6:7], off glc
	s_cmp_lt_u32 s64, 32
	s_cselect_b64 s[68:69], -1, 0
	s_cmp_lg_u64 s[68:69], 0
	s_addc_u32 s64, s64, 0
	s_waitcnt vmcnt(0)
	v_cmp_ne_u16_sdwa s[68:69], v9, v3 src0_sel:BYTE_0 src1_sel:DWORD
	s_or_b64 s[60:61], s[68:69], s[60:61]
	s_andn2_b64 exec, exec, s[60:61]
	s_cbranch_execnz .LBB253_154
; %bb.157:
	s_or_b64 exec, exec, s[60:61]
.LBB253_158:
	s_or_b64 exec, exec, s[58:59]
	v_mov_b32_e32 v3, 2
	v_cmp_eq_u16_sdwa s[58:59], v9, v3 src0_sel:BYTE_0 src1_sel:DWORD
	v_lshlrev_b64 v[6:7], v5, -1
	v_and_b32_e32 v3, s59, v7
	v_or_b32_e32 v3, 0x80000000, v3
	v_ffbl_b32_e32 v3, v3
	v_add_u32_e32 v11, 32, v3
	v_and_b32_e32 v3, 63, v5
	v_cmp_ne_u32_e32 vcc, 63, v3
	v_addc_co_u32_e32 v39, vcc, 0, v5, vcc
	v_and_b32_e32 v50, 0xffffff, v8
	v_lshlrev_b32_e32 v39, 2, v39
	ds_bpermute_b32 v40, v39, v50
	v_and_b32_e32 v10, s58, v6
	v_ffbl_b32_e32 v10, v10
	v_min_u32_e32 v11, v10, v11
	v_lshrrev_b32_e32 v10, 16, v8
	v_cmp_lt_u32_e32 vcc, v3, v11
	v_bfe_u32 v48, v8, 16, 8
	s_and_saveexec_b64 s[58:59], vcc
	s_cbranch_execz .LBB253_160
; %bb.159:
	v_and_b32_e32 v10, 0xff0000, v8
	v_cmp_eq_u32_e32 vcc, 0, v10
	v_and_b32_e32 v10, 0x10000, v10
	v_mov_b32_e32 v43, 1
	s_waitcnt lgkmcnt(0)
	v_cndmask_b32_e32 v41, 0, v40, vcc
	v_and_b32_sdwa v40, v40, v43 dst_sel:DWORD dst_unused:UNUSED_PAD src0_sel:WORD_1 src1_sel:DWORD
	v_cmp_ne_u32_e32 vcc, 0, v10
	v_cndmask_b32_e64 v10, v40, 1, vcc
	v_add_u16_e32 v42, v41, v8
	v_lshlrev_b32_e32 v40, 16, v10
	v_add_u16_e32 v8, v41, v8
	v_or_b32_e32 v50, v40, v8
	v_mov_b32_e32 v8, v42
	v_mov_b32_e32 v48, v10
.LBB253_160:
	s_or_b64 exec, exec, s[58:59]
	v_cmp_gt_u32_e32 vcc, 62, v3
	s_waitcnt lgkmcnt(0)
	v_cndmask_b32_e64 v40, 0, 1, vcc
	v_lshlrev_b32_e32 v40, 1, v40
	v_add_lshl_u32 v40, v40, v5, 2
	ds_bpermute_b32 v42, v40, v50
	v_add_u32_e32 v41, 2, v3
	v_cmp_le_u32_e32 vcc, v41, v11
	s_and_saveexec_b64 s[58:59], vcc
	s_cbranch_execz .LBB253_162
; %bb.161:
	v_cmp_eq_u16_e32 vcc, 0, v48
	v_and_b32_e32 v10, 1, v48
	v_mov_b32_e32 v45, 1
	s_waitcnt lgkmcnt(0)
	v_cndmask_b32_e32 v43, 0, v42, vcc
	v_and_b32_sdwa v42, v42, v45 dst_sel:DWORD dst_unused:UNUSED_PAD src0_sel:WORD_1 src1_sel:DWORD
	v_cmp_eq_u32_e32 vcc, 1, v10
	v_cndmask_b32_e64 v10, v42, 1, vcc
	v_add_u16_e32 v44, v43, v8
	v_lshlrev_b32_e32 v42, 16, v10
	v_add_u16_e32 v8, v43, v8
	v_or_b32_e32 v50, v42, v8
	v_mov_b32_e32 v8, v44
	v_mov_b32_e32 v48, v10
.LBB253_162:
	s_or_b64 exec, exec, s[58:59]
	v_cmp_gt_u32_e32 vcc, 60, v3
	s_waitcnt lgkmcnt(0)
	v_cndmask_b32_e64 v42, 0, 1, vcc
	v_lshlrev_b32_e32 v42, 2, v42
	v_add_lshl_u32 v42, v42, v5, 2
	ds_bpermute_b32 v44, v42, v50
	v_add_u32_e32 v43, 4, v3
	v_cmp_le_u32_e32 vcc, v43, v11
	s_and_saveexec_b64 s[58:59], vcc
	s_cbranch_execz .LBB253_164
; %bb.163:
	v_cmp_eq_u16_e32 vcc, 0, v48
	v_and_b32_e32 v10, 1, v48
	v_mov_b32_e32 v47, 1
	s_waitcnt lgkmcnt(0)
	v_cndmask_b32_e32 v45, 0, v44, vcc
	v_and_b32_sdwa v44, v44, v47 dst_sel:DWORD dst_unused:UNUSED_PAD src0_sel:WORD_1 src1_sel:DWORD
	v_cmp_eq_u32_e32 vcc, 1, v10
	v_cndmask_b32_e64 v10, v44, 1, vcc
	v_add_u16_e32 v46, v45, v8
	v_lshlrev_b32_e32 v44, 16, v10
	v_add_u16_e32 v8, v45, v8
	v_or_b32_e32 v50, v44, v8
	v_mov_b32_e32 v8, v46
	v_mov_b32_e32 v48, v10
.LBB253_164:
	;; [unrolled: 27-line block ×4, first 2 shown]
	s_or_b64 exec, exec, s[58:59]
	v_cmp_gt_u32_e32 vcc, 32, v3
	s_waitcnt lgkmcnt(0)
	v_cndmask_b32_e64 v49, 0, 1, vcc
	v_lshlrev_b32_e32 v49, 5, v49
	v_add_lshl_u32 v49, v49, v5, 2
	ds_bpermute_b32 v5, v49, v50
	v_add_u32_e32 v50, 32, v3
	v_cmp_le_u32_e32 vcc, v50, v11
	s_and_saveexec_b64 s[58:59], vcc
	s_cbranch_execz .LBB253_170
; %bb.169:
	v_cmp_eq_u16_e32 vcc, 0, v48
	s_waitcnt lgkmcnt(0)
	v_cndmask_b32_e32 v10, 0, v5, vcc
	v_add_u16_e32 v8, v10, v8
	v_and_b32_e32 v10, 1, v48
	v_mov_b32_e32 v11, 1
	v_and_b32_sdwa v5, v5, v11 dst_sel:DWORD dst_unused:UNUSED_PAD src0_sel:WORD_1 src1_sel:DWORD
	v_cmp_eq_u32_e32 vcc, 1, v10
	v_cndmask_b32_e64 v10, v5, 1, vcc
.LBB253_170:
	s_or_b64 exec, exec, s[58:59]
	s_waitcnt lgkmcnt(0)
	v_mov_b32_e32 v5, 0
	v_mov_b32_e32 v52, 2
	;; [unrolled: 1-line block ×3, first 2 shown]
	s_branch .LBB253_172
.LBB253_171:                            ;   in Loop: Header=BB253_172 Depth=1
	s_or_b64 exec, exec, s[58:59]
	v_cmp_eq_u16_sdwa vcc, v48, v5 src0_sel:BYTE_0 src1_sel:DWORD
	v_and_b32_e32 v10, 1, v48
	v_cndmask_b32_e32 v8, 0, v8, vcc
	v_and_b32_e32 v11, 1, v11
	v_cmp_eq_u32_e32 vcc, 1, v10
	v_subrev_u32_e32 v4, 64, v4
	v_add_u16_e32 v8, v8, v51
	v_cndmask_b32_e64 v10, v11, 1, vcc
.LBB253_172:                            ; =>This Loop Header: Depth=1
                                        ;     Child Loop BB253_175 Depth 2
                                        ;       Child Loop BB253_176 Depth 3
	v_cmp_ne_u16_sdwa s[58:59], v9, v52 src0_sel:BYTE_0 src1_sel:DWORD
	v_cndmask_b32_e64 v9, 0, 1, s[58:59]
	;;#ASMSTART
	;;#ASMEND
	v_cmp_ne_u32_e32 vcc, 0, v9
	v_mov_b32_e32 v48, v10
	s_cmp_lg_u64 vcc, exec
	v_mov_b32_e32 v51, v8
	s_cbranch_scc1 .LBB253_191
; %bb.173:                              ;   in Loop: Header=BB253_172 Depth=1
	v_lshlrev_b64 v[8:9], 3, v[4:5]
	v_mov_b32_e32 v11, s73
	v_add_co_u32_e32 v10, vcc, s72, v8
	v_addc_co_u32_e32 v11, vcc, v11, v9, vcc
	global_load_dwordx2 v[8:9], v[10:11], off glc
	s_waitcnt vmcnt(0)
	v_cmp_eq_u16_sdwa s[60:61], v9, v5 src0_sel:BYTE_0 src1_sel:DWORD
	s_and_saveexec_b64 s[58:59], s[60:61]
	s_cbranch_execz .LBB253_179
; %bb.174:                              ;   in Loop: Header=BB253_172 Depth=1
	s_mov_b32 s64, 1
	s_mov_b64 s[60:61], 0
.LBB253_175:                            ;   Parent Loop BB253_172 Depth=1
                                        ; =>  This Loop Header: Depth=2
                                        ;       Child Loop BB253_176 Depth 3
	s_max_u32 s65, s64, 1
.LBB253_176:                            ;   Parent Loop BB253_172 Depth=1
                                        ;     Parent Loop BB253_175 Depth=2
                                        ; =>    This Inner Loop Header: Depth=3
	s_add_i32 s65, s65, -1
	s_cmp_eq_u32 s65, 0
	s_sleep 1
	s_cbranch_scc0 .LBB253_176
; %bb.177:                              ;   in Loop: Header=BB253_175 Depth=2
	global_load_dwordx2 v[8:9], v[10:11], off glc
	s_cmp_lt_u32 s64, 32
	s_cselect_b64 s[68:69], -1, 0
	s_cmp_lg_u64 s[68:69], 0
	s_addc_u32 s64, s64, 0
	s_waitcnt vmcnt(0)
	v_cmp_ne_u16_sdwa s[68:69], v9, v5 src0_sel:BYTE_0 src1_sel:DWORD
	s_or_b64 s[60:61], s[68:69], s[60:61]
	s_andn2_b64 exec, exec, s[60:61]
	s_cbranch_execnz .LBB253_175
; %bb.178:                              ;   in Loop: Header=BB253_172 Depth=1
	s_or_b64 exec, exec, s[60:61]
.LBB253_179:                            ;   in Loop: Header=BB253_172 Depth=1
	s_or_b64 exec, exec, s[58:59]
	v_cmp_eq_u16_sdwa s[58:59], v9, v52 src0_sel:BYTE_0 src1_sel:DWORD
	v_and_b32_e32 v10, s59, v7
	s_waitcnt lgkmcnt(0)
	v_and_b32_e32 v55, 0xffffff, v8
	v_or_b32_e32 v10, 0x80000000, v10
	ds_bpermute_b32 v56, v39, v55
	v_and_b32_e32 v11, s58, v6
	v_ffbl_b32_e32 v10, v10
	v_add_u32_e32 v10, 32, v10
	v_ffbl_b32_e32 v11, v11
	v_min_u32_e32 v10, v11, v10
	v_lshrrev_b32_e32 v11, 16, v8
	v_cmp_lt_u32_e32 vcc, v3, v10
	v_bfe_u32 v54, v8, 16, 8
	s_and_saveexec_b64 s[58:59], vcc
	s_cbranch_execz .LBB253_181
; %bb.180:                              ;   in Loop: Header=BB253_172 Depth=1
	v_and_b32_e32 v11, 0xff0000, v8
	v_cmp_eq_u32_e32 vcc, 0, v11
	v_and_b32_e32 v11, 0x10000, v11
	s_waitcnt lgkmcnt(0)
	v_cndmask_b32_e32 v54, 0, v56, vcc
	v_and_b32_sdwa v55, v56, v53 dst_sel:DWORD dst_unused:UNUSED_PAD src0_sel:WORD_1 src1_sel:DWORD
	v_cmp_ne_u32_e32 vcc, 0, v11
	v_cndmask_b32_e64 v11, v55, 1, vcc
	v_add_u16_e32 v57, v54, v8
	v_lshlrev_b32_e32 v55, 16, v11
	v_add_u16_e32 v8, v54, v8
	v_or_b32_e32 v55, v55, v8
	v_mov_b32_e32 v8, v57
	v_mov_b32_e32 v54, v11
.LBB253_181:                            ;   in Loop: Header=BB253_172 Depth=1
	s_or_b64 exec, exec, s[58:59]
	s_waitcnt lgkmcnt(0)
	ds_bpermute_b32 v56, v40, v55
	v_cmp_le_u32_e32 vcc, v41, v10
	s_and_saveexec_b64 s[58:59], vcc
	s_cbranch_execz .LBB253_183
; %bb.182:                              ;   in Loop: Header=BB253_172 Depth=1
	v_cmp_eq_u16_e32 vcc, 0, v54
	v_and_b32_e32 v11, 1, v54
	s_waitcnt lgkmcnt(0)
	v_cndmask_b32_e32 v55, 0, v56, vcc
	v_and_b32_sdwa v54, v56, v53 dst_sel:DWORD dst_unused:UNUSED_PAD src0_sel:WORD_1 src1_sel:DWORD
	v_cmp_eq_u32_e32 vcc, 1, v11
	v_cndmask_b32_e64 v11, v54, 1, vcc
	v_add_u16_e32 v57, v55, v8
	v_lshlrev_b32_e32 v54, 16, v11
	v_add_u16_e32 v8, v55, v8
	v_or_b32_e32 v55, v54, v8
	v_mov_b32_e32 v8, v57
	v_mov_b32_e32 v54, v11
.LBB253_183:                            ;   in Loop: Header=BB253_172 Depth=1
	s_or_b64 exec, exec, s[58:59]
	s_waitcnt lgkmcnt(0)
	ds_bpermute_b32 v56, v42, v55
	v_cmp_le_u32_e32 vcc, v43, v10
	s_and_saveexec_b64 s[58:59], vcc
	s_cbranch_execz .LBB253_185
; %bb.184:                              ;   in Loop: Header=BB253_172 Depth=1
	v_cmp_eq_u16_e32 vcc, 0, v54
	v_and_b32_e32 v11, 1, v54
	s_waitcnt lgkmcnt(0)
	v_cndmask_b32_e32 v55, 0, v56, vcc
	v_and_b32_sdwa v54, v56, v53 dst_sel:DWORD dst_unused:UNUSED_PAD src0_sel:WORD_1 src1_sel:DWORD
	v_cmp_eq_u32_e32 vcc, 1, v11
	v_cndmask_b32_e64 v11, v54, 1, vcc
	v_add_u16_e32 v57, v55, v8
	v_lshlrev_b32_e32 v54, 16, v11
	v_add_u16_e32 v8, v55, v8
	v_or_b32_e32 v55, v54, v8
	v_mov_b32_e32 v8, v57
	v_mov_b32_e32 v54, v11
.LBB253_185:                            ;   in Loop: Header=BB253_172 Depth=1
	;; [unrolled: 21-line block ×4, first 2 shown]
	s_or_b64 exec, exec, s[58:59]
	ds_bpermute_b32 v55, v49, v55
	v_cmp_le_u32_e32 vcc, v50, v10
	s_and_saveexec_b64 s[58:59], vcc
	s_cbranch_execz .LBB253_171
; %bb.190:                              ;   in Loop: Header=BB253_172 Depth=1
	v_cmp_eq_u16_e32 vcc, 0, v54
	s_waitcnt lgkmcnt(0)
	v_cndmask_b32_e32 v10, 0, v55, vcc
	v_add_u16_e32 v8, v10, v8
	v_and_b32_e32 v10, 1, v54
	v_lshrrev_b32_e32 v11, 16, v55
	v_cmp_eq_u32_e32 vcc, 1, v10
	v_cndmask_b32_e64 v11, v11, 1, vcc
	s_branch .LBB253_171
.LBB253_191:                            ;   in Loop: Header=BB253_172 Depth=1
                                        ; implicit-def: $vgpr10
                                        ; implicit-def: $vgpr8
	s_cbranch_execz .LBB253_172
; %bb.192:
	s_and_saveexec_b64 s[58:59], s[50:51]
	s_cbranch_execz .LBB253_194
; %bb.193:
	v_and_b32_e32 v3, 0xff0000, v2
	s_mov_b32 s51, 0
	v_cmp_eq_u32_e32 vcc, 0, v3
	v_and_b32_e32 v4, 0x10000, v2
	v_mov_b32_e32 v5, 1
	s_add_i32 s50, s75, 64
	v_cndmask_b32_e32 v3, 0, v51, vcc
	v_and_b32_sdwa v5, v48, v5 dst_sel:WORD_1 dst_unused:UNUSED_PAD src0_sel:DWORD src1_sel:DWORD
	v_mov_b32_e32 v6, 0x10000
	v_cmp_eq_u32_e32 vcc, 0, v4
	s_lshl_b64 s[50:51], s[50:51], 3
	v_cndmask_b32_e32 v4, v6, v5, vcc
	s_add_u32 s50, s72, s50
	v_add_u16_e32 v2, v3, v2
	s_addc_u32 s51, s73, s51
	v_mov_b32_e32 v5, 0
	v_or_b32_e32 v2, v4, v2
	v_mov_b32_e32 v3, 2
	global_store_dwordx2 v5, v[2:3], s[50:51]
.LBB253_194:
	s_or_b64 exec, exec, s[58:59]
	s_and_b64 exec, exec, s[0:1]
	s_cbranch_execz .LBB253_196
; %bb.195:
	v_mov_b32_e32 v2, 0
	ds_write_b16 v2, v51
	ds_write_b8 v2, v48 offset:2
.LBB253_196:
	s_or_b64 exec, exec, s[4:5]
	v_mov_b32_e32 v2, 0
	s_mov_b32 s4, 0x10000
	s_waitcnt lgkmcnt(0)
	s_barrier
	ds_read_b32 v3, v2
	v_cmp_gt_u32_e32 vcc, s4, v1
	v_and_b32_e32 v5, 0x10000, v1
	v_cndmask_b32_e32 v4, 0, v37, vcc
	v_and_b32_e32 v6, 1, v38
	v_cmp_ne_u32_e32 vcc, 0, v5
	v_cndmask_b32_e64 v5, v6, 1, vcc
	v_cndmask_b32_e64 v5, v5, v36, s[0:1]
	v_cndmask_b32_e64 v4, v4, 0, s[0:1]
	v_cmp_eq_u16_sdwa vcc, v5, v2 src0_sel:BYTE_0 src1_sel:DWORD
	v_add_u16_e32 v4, v4, v1
	s_waitcnt lgkmcnt(0)
	v_cndmask_b32_e32 v2, 0, v3, vcc
	v_add_u16_e32 v49, v4, v2
	v_cndmask_b32_e64 v2, 0, v49, s[6:7]
	v_add_u16_e32 v4, v2, v16
	v_cndmask_b32_e64 v2, 0, v4, s[8:9]
	;; [unrolled: 2-line block ×21, first 2 shown]
	v_add_u16_e32 v48, v2, v13
	s_branch .LBB253_219
.LBB253_197:
                                        ; implicit-def: $vgpr49
                                        ; implicit-def: $vgpr4
                                        ; implicit-def: $vgpr5
                                        ; implicit-def: $vgpr6
                                        ; implicit-def: $vgpr7
                                        ; implicit-def: $vgpr8
                                        ; implicit-def: $vgpr9
                                        ; implicit-def: $vgpr10
                                        ; implicit-def: $vgpr11
                                        ; implicit-def: $vgpr36
                                        ; implicit-def: $vgpr37
                                        ; implicit-def: $vgpr38
                                        ; implicit-def: $vgpr39
                                        ; implicit-def: $vgpr40
                                        ; implicit-def: $vgpr41
                                        ; implicit-def: $vgpr42
                                        ; implicit-def: $vgpr43
                                        ; implicit-def: $vgpr44
                                        ; implicit-def: $vgpr45
                                        ; implicit-def: $vgpr46
                                        ; implicit-def: $vgpr47
                                        ; implicit-def: $vgpr48
	s_cbranch_execz .LBB253_219
; %bb.198:
	s_cmp_lg_u64 s[76:77], 0
	s_cselect_b32 s7, s67, 0
	s_cselect_b32 s6, s66, 0
	s_cmp_lg_u64 s[6:7], 0
	s_cselect_b64 s[4:5], -1, 0
	s_and_b64 s[8:9], s[0:1], s[4:5]
	s_and_saveexec_b64 s[4:5], s[8:9]
	s_cbranch_execz .LBB253_200
; %bb.199:
	v_mov_b32_e32 v2, 0
	global_load_ushort v3, v2, s[6:7]
	global_load_ubyte v4, v2, s[6:7] offset:2
	s_mov_b32 s6, 0x10000
	v_and_b32_e32 v2, 0x10000, v1
	v_mov_b32_e32 v5, 1
	v_cmp_gt_u32_e32 vcc, s6, v1
	v_mov_b32_e32 v6, 0x10000
	s_waitcnt vmcnt(1)
	v_cndmask_b32_e32 v3, 0, v3, vcc
	s_waitcnt vmcnt(0)
	v_and_b32_sdwa v4, v4, v5 dst_sel:WORD_1 dst_unused:UNUSED_PAD src0_sel:DWORD src1_sel:DWORD
	v_cmp_eq_u32_e32 vcc, 0, v2
	v_add_u16_e32 v1, v3, v1
	v_cndmask_b32_e32 v2, v6, v4, vcc
	v_or_b32_e32 v1, v2, v1
.LBB253_200:
	s_or_b64 exec, exec, s[4:5]
	s_mov_b32 s4, 0x10000
	v_cmp_gt_u32_e32 vcc, s4, v16
	v_cndmask_b32_e32 v3, 0, v1, vcc
	v_add_u16_e32 v4, v3, v16
	v_cmp_gt_u32_e64 s[6:7], s4, v17
	v_cndmask_b32_e64 v3, 0, v4, s[6:7]
	v_add_u16_e32 v5, v3, v17
	v_cmp_gt_u32_e64 s[8:9], s4, v18
	v_cndmask_b32_e64 v3, 0, v5, s[8:9]
	;; [unrolled: 3-line block ×20, first 2 shown]
	v_add_u16_e32 v48, v3, v13
	v_or3_b32 v3, v15, v31, v30
	v_or3_b32 v3, v3, v29, v28
	;; [unrolled: 1-line block ×8, first 2 shown]
	v_and_b32_e32 v3, 0x10000, v3
	v_lshrrev_b32_e32 v2, 16, v1
	v_cmp_ne_u32_e64 s[4:5], 0, v3
	v_mov_b32_e32 v49, 0x10000
	v_cndmask_b32_e64 v3, v2, 1, s[4:5]
	v_add_lshl_u32 v2, v14, v0, 2
	v_cmp_gt_u32_e64 s[4:5], 64, v0
	ds_write_b16 v2, v48
	ds_write_b8 v2, v3 offset:2
	s_waitcnt lgkmcnt(0)
	s_barrier
	s_and_saveexec_b64 s[48:49], s[4:5]
	s_cbranch_execz .LBB253_214
; %bb.201:
	v_lshlrev_b32_e32 v2, 2, v0
	v_lshrrev_b32_e32 v14, 3, v0
	v_add_lshl_u32 v2, v14, v2, 2
	ds_read_b32 v14, v2
	ds_read_u16 v15, v2 offset:4
	ds_read_u8 v50, v2 offset:6
	ds_read_u16 v51, v2 offset:8
	ds_read_u8 v52, v2 offset:10
	;; [unrolled: 2-line block ×3, first 2 shown]
	v_mov_b32_e32 v55, 0
	s_waitcnt lgkmcnt(4)
	v_cmp_eq_u16_sdwa s[4:5], v50, v55 src0_sel:BYTE_0 src1_sel:DWORD
	v_cndmask_b32_e64 v56, 0, v14, s[4:5]
	v_add_u16_e32 v56, v56, v15
	s_waitcnt lgkmcnt(2)
	v_cmp_eq_u16_sdwa s[4:5], v52, v55 src0_sel:BYTE_0 src1_sel:DWORD
	s_waitcnt lgkmcnt(0)
	v_or_b32_e32 v52, v54, v52
	v_cndmask_b32_e64 v55, 0, v56, s[4:5]
	v_or_b32_e32 v50, v52, v50
	v_add_u16_e32 v51, v55, v51
	v_cmp_eq_u16_e64 s[4:5], 0, v54
	v_and_b32_e32 v50, 1, v50
	v_and_b32_e32 v15, 0x10000, v14
	v_cndmask_b32_e64 v55, 0, v51, s[4:5]
	v_cmp_eq_u32_e64 s[4:5], 1, v50
	v_mbcnt_lo_u32_b32 v50, -1, 0
	v_add_u16_e32 v51, v55, v53
	v_cndmask_b32_e64 v56, v15, v49, s[4:5]
	v_add_u16_e32 v53, v55, v53
	v_and_b32_e32 v49, 0xff000000, v14
	v_mbcnt_hi_u32_b32 v50, -1, v50
	v_or_b32_e32 v54, v56, v49
	v_and_b32_e32 v55, 15, v50
	v_or3_b32 v53, v49, v53, v56
	s_movk_i32 s58, 0xff
	v_lshrrev_b32_e32 v52, 16, v54
	v_mov_b32_dpp v56, v53 row_shr:1 row_mask:0xf bank_mask:0xf
	v_cmp_ne_u32_e64 s[4:5], 0, v55
	s_and_saveexec_b64 s[50:51], s[4:5]
	s_cbranch_execz .LBB253_203
; %bb.202:
	v_and_b32_sdwa v52, v54, s58 dst_sel:DWORD dst_unused:UNUSED_PAD src0_sel:WORD_1 src1_sel:DWORD
	v_cmp_eq_u16_e64 s[4:5], 0, v52
	v_and_b32_e32 v52, 0x10000, v54
	v_mov_b32_e32 v54, 1
	v_cndmask_b32_e64 v53, 0, v56, s[4:5]
	v_and_b32_sdwa v54, v56, v54 dst_sel:DWORD dst_unused:UNUSED_PAD src0_sel:WORD_1 src1_sel:DWORD
	v_cmp_ne_u32_e64 s[4:5], 0, v52
	v_cndmask_b32_e64 v52, v54, 1, s[4:5]
	v_add_u16_e32 v57, v53, v51
	v_lshlrev_b32_e32 v54, 16, v52
	v_add_u16_e32 v51, v53, v51
	v_or3_b32 v53, v54, v51, v49
	v_mov_b32_e32 v51, v57
.LBB253_203:
	s_or_b64 exec, exec, s[50:51]
	v_lshrrev_b32_e32 v54, 16, v53
	v_mov_b32_dpp v56, v53 row_shr:2 row_mask:0xf bank_mask:0xf
	v_cmp_lt_u32_e64 s[4:5], 1, v55
	s_and_saveexec_b64 s[50:51], s[4:5]
	s_cbranch_execz .LBB253_205
; %bb.204:
	v_mov_b32_e32 v52, 0
	v_cmp_eq_u16_sdwa s[4:5], v54, v52 src0_sel:BYTE_0 src1_sel:DWORD
	v_and_b32_e32 v52, 0x10000, v53
	v_mov_b32_e32 v53, 1
	v_cndmask_b32_e64 v54, 0, v56, s[4:5]
	v_and_b32_sdwa v53, v56, v53 dst_sel:DWORD dst_unused:UNUSED_PAD src0_sel:WORD_1 src1_sel:DWORD
	v_cmp_ne_u32_e64 s[4:5], 0, v52
	v_cndmask_b32_e64 v52, v53, 1, s[4:5]
	v_add_u16_e32 v57, v54, v51
	v_lshlrev_b32_e32 v53, 16, v52
	v_add_u16_e32 v51, v54, v51
	v_or3_b32 v53, v53, v51, v49
	v_mov_b32_e32 v54, v52
	v_mov_b32_e32 v51, v57
.LBB253_205:
	s_or_b64 exec, exec, s[50:51]
	v_mov_b32_dpp v56, v53 row_shr:4 row_mask:0xf bank_mask:0xf
	v_cmp_lt_u32_e64 s[4:5], 3, v55
	s_and_saveexec_b64 s[50:51], s[4:5]
	s_cbranch_execz .LBB253_207
; %bb.206:
	v_mov_b32_e32 v52, 0
	v_cmp_eq_u16_sdwa s[4:5], v54, v52 src0_sel:BYTE_0 src1_sel:DWORD
	v_and_b32_e32 v52, 1, v54
	v_mov_b32_e32 v54, 1
	v_cndmask_b32_e64 v53, 0, v56, s[4:5]
	v_and_b32_sdwa v54, v56, v54 dst_sel:DWORD dst_unused:UNUSED_PAD src0_sel:WORD_1 src1_sel:DWORD
	v_cmp_eq_u32_e64 s[4:5], 1, v52
	v_cndmask_b32_e64 v52, v54, 1, s[4:5]
	v_add_u16_e32 v57, v53, v51
	v_lshlrev_b32_e32 v54, 16, v52
	v_add_u16_e32 v51, v53, v51
	v_or3_b32 v53, v54, v51, v49
	v_mov_b32_e32 v54, v52
	v_mov_b32_e32 v51, v57
.LBB253_207:
	s_or_b64 exec, exec, s[50:51]
	v_mov_b32_dpp v56, v53 row_shr:8 row_mask:0xf bank_mask:0xf
	v_cmp_lt_u32_e64 s[4:5], 7, v55
	s_and_saveexec_b64 s[50:51], s[4:5]
	s_cbranch_execz .LBB253_209
; %bb.208:
	v_mov_b32_e32 v52, 0
	v_cmp_eq_u16_sdwa s[4:5], v54, v52 src0_sel:BYTE_0 src1_sel:DWORD
	v_and_b32_e32 v52, 1, v54
	v_mov_b32_e32 v54, 1
	v_cndmask_b32_e64 v53, 0, v56, s[4:5]
	v_and_b32_sdwa v54, v56, v54 dst_sel:DWORD dst_unused:UNUSED_PAD src0_sel:WORD_1 src1_sel:DWORD
	v_cmp_eq_u32_e64 s[4:5], 1, v52
	v_cndmask_b32_e64 v52, v54, 1, s[4:5]
	v_add_u16_e32 v55, v53, v51
	v_lshlrev_b32_e32 v54, 16, v52
	v_add_u16_e32 v51, v53, v51
	v_or3_b32 v53, v54, v51, v49
	v_mov_b32_e32 v54, v52
	v_mov_b32_e32 v51, v55
.LBB253_209:
	s_or_b64 exec, exec, s[50:51]
	v_and_b32_e32 v56, 16, v50
	v_mov_b32_dpp v55, v53 row_bcast:15 row_mask:0xf bank_mask:0xf
	v_cmp_ne_u32_e64 s[4:5], 0, v56
	s_and_saveexec_b64 s[50:51], s[4:5]
	s_cbranch_execz .LBB253_211
; %bb.210:
	v_mov_b32_e32 v52, 0
	v_cmp_eq_u16_sdwa s[4:5], v54, v52 src0_sel:BYTE_0 src1_sel:DWORD
	v_and_b32_e32 v52, 1, v54
	v_mov_b32_e32 v54, 1
	v_cndmask_b32_e64 v53, 0, v55, s[4:5]
	v_and_b32_sdwa v54, v55, v54 dst_sel:DWORD dst_unused:UNUSED_PAD src0_sel:WORD_1 src1_sel:DWORD
	v_cmp_eq_u32_e64 s[4:5], 1, v52
	v_cndmask_b32_e64 v52, v54, 1, s[4:5]
	v_add_u16_e32 v56, v53, v51
	v_lshlrev_b32_e32 v54, 16, v52
	v_add_u16_e32 v51, v53, v51
	v_or3_b32 v53, v54, v51, v49
	v_mov_b32_e32 v54, v52
	v_mov_b32_e32 v51, v56
.LBB253_211:
	s_or_b64 exec, exec, s[50:51]
	v_mov_b32_dpp v53, v53 row_bcast:31 row_mask:0xf bank_mask:0xf
	v_cmp_lt_u32_e64 s[4:5], 31, v50
	s_and_saveexec_b64 s[50:51], s[4:5]
; %bb.212:
	v_mov_b32_e32 v52, 0
	v_cmp_eq_u16_sdwa s[4:5], v54, v52 src0_sel:BYTE_0 src1_sel:DWORD
	v_cndmask_b32_e64 v52, 0, v53, s[4:5]
	v_add_u16_e32 v51, v52, v51
	v_and_b32_e32 v52, 1, v54
	v_mov_b32_e32 v54, 1
	v_and_b32_sdwa v53, v53, v54 dst_sel:DWORD dst_unused:UNUSED_PAD src0_sel:WORD_1 src1_sel:DWORD
	v_cmp_eq_u32_e64 s[4:5], 1, v52
	v_cndmask_b32_e64 v52, v53, 1, s[4:5]
; %bb.213:
	s_or_b64 exec, exec, s[50:51]
	v_and_b32_e32 v52, 0xff, v52
	v_lshlrev_b32_e32 v52, 16, v52
	v_and_b32_e32 v51, 0xffff, v51
	v_or3_b32 v49, v52, v51, v49
	v_add_u32_e32 v51, -1, v50
	v_and_b32_e32 v52, 64, v50
	v_cmp_lt_i32_e64 s[4:5], v51, v52
	v_cndmask_b32_e64 v50, v51, v50, s[4:5]
	v_lshlrev_b32_e32 v50, 2, v50
	ds_bpermute_b32 v49, v50, v49
	v_and_b32_e32 v50, 0xff0000, v14
	v_cmp_eq_u32_e64 s[4:5], 0, v50
	; wave barrier
	s_waitcnt lgkmcnt(0)
	v_cndmask_b32_e64 v50, 0, v49, s[4:5]
	v_add_u16_e32 v14, v50, v14
	v_mov_b32_e32 v50, 1
	v_and_b32_sdwa v49, v49, v50 dst_sel:DWORD dst_unused:UNUSED_PAD src0_sel:WORD_1 src1_sel:DWORD
	v_cmp_eq_u32_e64 s[4:5], 0, v15
	v_cndmask_b32_e64 v15, 1, v49, s[4:5]
	v_cndmask_b32_e64 v14, v14, v48, s[0:1]
	;; [unrolled: 1-line block ×3, first 2 shown]
	ds_write_b16 v2, v14
	ds_write_b8 v2, v3 offset:2
	; wave barrier
	ds_read_u16 v15, v2 offset:4
	ds_read_u8 v49, v2 offset:6
	ds_read_u16 v50, v2 offset:8
	ds_read_u8 v51, v2 offset:10
	;; [unrolled: 2-line block ×3, first 2 shown]
	s_waitcnt lgkmcnt(4)
	v_cmp_eq_u16_e64 s[4:5], 0, v49
	v_cndmask_b32_e64 v14, 0, v14, s[4:5]
	v_add_u16_e32 v14, v14, v15
	v_and_b32_e32 v15, 1, v49
	v_cmp_eq_u32_e64 s[4:5], 1, v15
	v_cndmask_b32_e64 v3, v3, 1, s[4:5]
	s_waitcnt lgkmcnt(2)
	v_cmp_eq_u16_e64 s[4:5], 0, v51
	v_and_b32_e32 v15, 1, v51
	ds_write_b16 v2, v14 offset:4
	ds_write_b8 v2, v3 offset:6
	v_cndmask_b32_e64 v14, 0, v14, s[4:5]
	v_cmp_eq_u32_e64 s[4:5], 1, v15
	v_add_u16_e32 v14, v14, v50
	v_cndmask_b32_e64 v3, v3, 1, s[4:5]
	s_waitcnt lgkmcnt(2)
	v_cmp_eq_u16_e64 s[4:5], 0, v53
	ds_write_b16 v2, v14 offset:8
	ds_write_b8 v2, v3 offset:10
	v_cndmask_b32_e64 v14, 0, v14, s[4:5]
	v_and_b32_e32 v15, 1, v53
	v_add_u16_e32 v14, v14, v52
	v_cmp_eq_u32_e64 s[4:5], 1, v15
	v_cndmask_b32_e64 v3, v3, 1, s[4:5]
	ds_write_b16 v2, v14 offset:12
	ds_write_b8 v2, v3 offset:14
.LBB253_214:
	s_or_b64 exec, exec, s[48:49]
	v_mov_b32_e32 v2, v48
	s_waitcnt lgkmcnt(0)
	s_barrier
	s_and_saveexec_b64 s[4:5], s[52:53]
	s_cbranch_execnz .LBB253_289
; %bb.215:
	s_or_b64 exec, exec, s[4:5]
	s_and_saveexec_b64 s[48:49], s[52:53]
	s_cbranch_execnz .LBB253_290
.LBB253_216:
	s_or_b64 exec, exec, s[48:49]
	s_and_saveexec_b64 s[4:5], s[0:1]
	s_cbranch_execz .LBB253_218
.LBB253_217:
	v_mov_b32_e32 v13, 0
	s_waitcnt lgkmcnt(0)
	ds_read_u8 v2, v13 offset:1050
	ds_read_u16 v3, v13 offset:1048
	s_waitcnt lgkmcnt(1)
	v_lshlrev_b32_e32 v2, 16, v2
	s_waitcnt lgkmcnt(0)
	v_or_b32_e32 v2, v2, v3
	v_mov_b32_e32 v3, 2
	global_store_dwordx2 v13, v[2:3], s[72:73] offset:512
.LBB253_218:
	s_or_b64 exec, exec, s[4:5]
	v_mov_b32_e32 v49, v1
.LBB253_219:
	s_add_u32 s0, s62, s54
	s_addc_u32 s1, s63, s55
	s_add_u32 s4, s0, s56
	s_addc_u32 s5, s1, s57
	s_and_b64 vcc, exec, s[2:3]
	v_mul_u32_u24_e32 v14, 22, v0
	s_cbranch_vccz .LBB253_263
; %bb.220:
	s_mov_b32 s0, 0x5040100
	v_lshlrev_b32_e32 v33, 1, v14
	v_perm_b32 v1, v6, v5, s0
	s_waitcnt lgkmcnt(0)
	v_perm_b32 v2, v4, v49, s0
	s_barrier
	ds_write2_b32 v33, v2, v1 offset1:1
	v_perm_b32 v1, v10, v9, s0
	v_perm_b32 v2, v8, v7, s0
	ds_write2_b32 v33, v2, v1 offset0:2 offset1:3
	v_perm_b32 v1, v38, v37, s0
	v_perm_b32 v2, v36, v11, s0
	ds_write2_b32 v33, v2, v1 offset0:4 offset1:5
	;; [unrolled: 3-line block ×4, first 2 shown]
	v_perm_b32 v1, v48, v47, s0
	s_movk_i32 s0, 0xffd6
	v_mad_i32_i24 v2, v0, s0, v33
	ds_write_b32 v33, v1 offset:40
	s_waitcnt lgkmcnt(0)
	s_barrier
	ds_read_u16 v35, v2 offset:512
	ds_read_u16 v34, v2 offset:1024
	ds_read_u16 v32, v2 offset:1536
	ds_read_u16 v31, v2 offset:2048
	ds_read_u16 v30, v2 offset:2560
	ds_read_u16 v29, v2 offset:3072
	ds_read_u16 v28, v2 offset:3584
	ds_read_u16 v27, v2 offset:4096
	ds_read_u16 v26, v2 offset:4608
	ds_read_u16 v25, v2 offset:5120
	ds_read_u16 v24, v2 offset:5632
	ds_read_u16 v23, v2 offset:6144
	ds_read_u16 v22, v2 offset:6656
	ds_read_u16 v21, v2 offset:7168
	ds_read_u16 v20, v2 offset:7680
	ds_read_u16 v19, v2 offset:8192
	ds_read_u16 v18, v2 offset:8704
	ds_read_u16 v17, v2 offset:9216
	ds_read_u16 v16, v2 offset:9728
	ds_read_u16 v15, v2 offset:10240
	ds_read_u16 v13, v2 offset:10752
	v_mov_b32_e32 v3, s5
	v_add_co_u32_e32 v2, vcc, s4, v12
	s_add_i32 s33, s33, s74
	v_addc_co_u32_e32 v3, vcc, 0, v3, vcc
	v_mov_b32_e32 v1, 0
	v_cmp_gt_u32_e32 vcc, s33, v0
	s_and_saveexec_b64 s[0:1], vcc
	s_cbranch_execz .LBB253_222
; %bb.221:
	v_mul_i32_i24_e32 v50, 0xffffffd6, v0
	v_add_u32_e32 v33, v33, v50
	ds_read_u16 v33, v33
	s_waitcnt lgkmcnt(0)
	flat_store_short v[2:3], v33
.LBB253_222:
	s_or_b64 exec, exec, s[0:1]
	v_or_b32_e32 v33, 0x100, v0
	v_cmp_gt_u32_e32 vcc, s33, v33
	s_and_saveexec_b64 s[0:1], vcc
	s_cbranch_execz .LBB253_224
; %bb.223:
	s_waitcnt lgkmcnt(0)
	flat_store_short v[2:3], v35 offset:512
.LBB253_224:
	s_or_b64 exec, exec, s[0:1]
	v_or_b32_e32 v33, 0x200, v0
	v_cmp_gt_u32_e32 vcc, s33, v33
	s_and_saveexec_b64 s[0:1], vcc
	s_cbranch_execz .LBB253_226
; %bb.225:
	s_waitcnt lgkmcnt(0)
	flat_store_short v[2:3], v34 offset:1024
.LBB253_226:
	;; [unrolled: 9-line block ×3, first 2 shown]
	s_or_b64 exec, exec, s[0:1]
	s_waitcnt lgkmcnt(0)
	v_or_b32_e32 v32, 0x400, v0
	v_cmp_gt_u32_e32 vcc, s33, v32
	s_and_saveexec_b64 s[0:1], vcc
	s_cbranch_execz .LBB253_230
; %bb.229:
	flat_store_short v[2:3], v31 offset:2048
.LBB253_230:
	s_or_b64 exec, exec, s[0:1]
	v_or_b32_e32 v31, 0x500, v0
	v_cmp_gt_u32_e32 vcc, s33, v31
	s_and_saveexec_b64 s[0:1], vcc
	s_cbranch_execz .LBB253_232
; %bb.231:
	flat_store_short v[2:3], v30 offset:2560
.LBB253_232:
	s_or_b64 exec, exec, s[0:1]
	;; [unrolled: 8-line block ×4, first 2 shown]
	v_or_b32_e32 v28, 0x800, v0
	v_cmp_gt_u32_e32 vcc, s33, v28
	s_and_saveexec_b64 s[0:1], vcc
	s_cbranch_execz .LBB253_238
; %bb.237:
	v_add_co_u32_e32 v28, vcc, 0x1000, v2
	v_addc_co_u32_e32 v29, vcc, 0, v3, vcc
	flat_store_short v[28:29], v27
.LBB253_238:
	s_or_b64 exec, exec, s[0:1]
	v_or_b32_e32 v27, 0x900, v0
	v_cmp_gt_u32_e32 vcc, s33, v27
	s_and_saveexec_b64 s[0:1], vcc
	s_cbranch_execz .LBB253_240
; %bb.239:
	v_add_co_u32_e32 v28, vcc, 0x1000, v2
	v_addc_co_u32_e32 v29, vcc, 0, v3, vcc
	flat_store_short v[28:29], v26 offset:512
.LBB253_240:
	s_or_b64 exec, exec, s[0:1]
	v_or_b32_e32 v26, 0xa00, v0
	v_cmp_gt_u32_e32 vcc, s33, v26
	s_and_saveexec_b64 s[0:1], vcc
	s_cbranch_execz .LBB253_242
; %bb.241:
	v_add_co_u32_e32 v26, vcc, 0x1000, v2
	v_addc_co_u32_e32 v27, vcc, 0, v3, vcc
	flat_store_short v[26:27], v25 offset:1024
.LBB253_242:
	;; [unrolled: 10-line block ×7, first 2 shown]
	s_or_b64 exec, exec, s[0:1]
	v_or_b32_e32 v20, 0x1000, v0
	v_cmp_gt_u32_e32 vcc, s33, v20
	s_and_saveexec_b64 s[0:1], vcc
	s_cbranch_execz .LBB253_254
; %bb.253:
	v_add_co_u32_e32 v20, vcc, 0x2000, v2
	v_addc_co_u32_e32 v21, vcc, 0, v3, vcc
	flat_store_short v[20:21], v19
.LBB253_254:
	s_or_b64 exec, exec, s[0:1]
	v_or_b32_e32 v19, 0x1100, v0
	v_cmp_gt_u32_e32 vcc, s33, v19
	s_and_saveexec_b64 s[0:1], vcc
	s_cbranch_execz .LBB253_256
; %bb.255:
	v_add_co_u32_e32 v20, vcc, 0x2000, v2
	v_addc_co_u32_e32 v21, vcc, 0, v3, vcc
	flat_store_short v[20:21], v18 offset:512
.LBB253_256:
	s_or_b64 exec, exec, s[0:1]
	v_or_b32_e32 v18, 0x1200, v0
	v_cmp_gt_u32_e32 vcc, s33, v18
	s_and_saveexec_b64 s[0:1], vcc
	s_cbranch_execz .LBB253_258
; %bb.257:
	v_add_co_u32_e32 v18, vcc, 0x2000, v2
	v_addc_co_u32_e32 v19, vcc, 0, v3, vcc
	flat_store_short v[18:19], v17 offset:1024
.LBB253_258:
	;; [unrolled: 10-line block ×4, first 2 shown]
	s_or_b64 exec, exec, s[0:1]
	v_or_b32_e32 v2, 0x1500, v0
	v_cmp_gt_u32_e64 s[0:1], s33, v2
	s_branch .LBB253_265
.LBB253_263:
	s_mov_b64 s[0:1], 0
                                        ; implicit-def: $vgpr13
	s_cbranch_execz .LBB253_265
; %bb.264:
	s_mov_b32 s2, 0x5040100
	s_waitcnt lgkmcnt(0)
	v_lshlrev_b32_e32 v2, 1, v14
	v_perm_b32 v1, v6, v5, s2
	v_perm_b32 v3, v4, v49, s2
	s_barrier
	ds_write2_b32 v2, v3, v1 offset1:1
	v_perm_b32 v1, v10, v9, s2
	v_perm_b32 v3, v8, v7, s2
	ds_write2_b32 v2, v3, v1 offset0:2 offset1:3
	v_perm_b32 v1, v38, v37, s2
	v_perm_b32 v3, v36, v11, s2
	ds_write2_b32 v2, v3, v1 offset0:4 offset1:5
	;; [unrolled: 3-line block ×4, first 2 shown]
	v_perm_b32 v1, v48, v47, s2
	s_movk_i32 s2, 0xffd6
	ds_write_b32 v2, v1 offset:40
	v_mad_i32_i24 v2, v0, s2, v2
	s_waitcnt lgkmcnt(0)
	s_barrier
	ds_read_u16 v4, v2
	ds_read_u16 v5, v2 offset:512
	ds_read_u16 v6, v2 offset:1024
	;; [unrolled: 1-line block ×21, first 2 shown]
	v_mov_b32_e32 v3, s5
	v_add_co_u32_e32 v2, vcc, s4, v12
	v_addc_co_u32_e32 v3, vcc, 0, v3, vcc
	s_movk_i32 s2, 0x1000
	s_waitcnt lgkmcnt(0)
	flat_store_short v[2:3], v4
	flat_store_short v[2:3], v5 offset:512
	flat_store_short v[2:3], v6 offset:1024
	flat_store_short v[2:3], v7 offset:1536
	flat_store_short v[2:3], v8 offset:2048
	flat_store_short v[2:3], v9 offset:2560
	flat_store_short v[2:3], v10 offset:3072
	flat_store_short v[2:3], v11 offset:3584
	v_add_co_u32_e32 v4, vcc, s2, v2
	v_addc_co_u32_e32 v5, vcc, 0, v3, vcc
	v_add_co_u32_e32 v2, vcc, 0x2000, v2
	v_mov_b32_e32 v1, 0
	v_addc_co_u32_e32 v3, vcc, 0, v3, vcc
	s_or_b64 s[0:1], s[0:1], exec
	flat_store_short v[4:5], v14
	flat_store_short v[4:5], v15 offset:512
	flat_store_short v[4:5], v16 offset:1024
	;; [unrolled: 1-line block ×7, first 2 shown]
	flat_store_short v[2:3], v22
	flat_store_short v[2:3], v23 offset:512
	flat_store_short v[2:3], v24 offset:1024
	;; [unrolled: 1-line block ×4, first 2 shown]
.LBB253_265:
	s_and_saveexec_b64 s[2:3], s[0:1]
	s_cbranch_execnz .LBB253_267
; %bb.266:
	s_endpgm
.LBB253_267:
	v_lshlrev_b64 v[0:1], 1, v[0:1]
	s_waitcnt lgkmcnt(0)
	v_mov_b32_e32 v2, s5
	v_add_co_u32_e32 v0, vcc, s4, v0
	v_addc_co_u32_e32 v1, vcc, v2, v1, vcc
	v_add_co_u32_e32 v0, vcc, 0x2000, v0
	v_addc_co_u32_e32 v1, vcc, 0, v1, vcc
	flat_store_short v[0:1], v13 offset:2560
	s_endpgm
.LBB253_268:
	v_mov_b32_e32 v27, s79
	v_add_co_u32_e32 v26, vcc, s78, v18
	v_addc_co_u32_e32 v27, vcc, 0, v27, vcc
	flat_load_ushort v26, v[26:27]
	s_or_b64 exec, exec, s[4:5]
                                        ; implicit-def: $vgpr27
	s_and_saveexec_b64 s[4:5], s[8:9]
	s_cbranch_execz .LBB253_57
.LBB253_269:
	v_mov_b32_e32 v27, s79
	v_add_co_u32_e32 v28, vcc, s78, v18
	v_addc_co_u32_e32 v29, vcc, 0, v27, vcc
	flat_load_ushort v27, v[28:29] offset:512
	s_or_b64 exec, exec, s[4:5]
                                        ; implicit-def: $vgpr28
	s_and_saveexec_b64 s[4:5], s[10:11]
	s_cbranch_execz .LBB253_58
.LBB253_270:
	v_mov_b32_e32 v29, s79
	v_add_co_u32_e32 v28, vcc, s78, v18
	v_addc_co_u32_e32 v29, vcc, 0, v29, vcc
	flat_load_ushort v28, v[28:29] offset:1024
	s_or_b64 exec, exec, s[4:5]
                                        ; implicit-def: $vgpr29
	s_and_saveexec_b64 s[4:5], s[12:13]
	s_cbranch_execz .LBB253_59
.LBB253_271:
	v_mov_b32_e32 v29, s79
	v_add_co_u32_e32 v30, vcc, s78, v18
	v_addc_co_u32_e32 v31, vcc, 0, v29, vcc
	flat_load_ushort v29, v[30:31] offset:1536
	s_or_b64 exec, exec, s[4:5]
                                        ; implicit-def: $vgpr30
	s_and_saveexec_b64 s[4:5], s[14:15]
	s_cbranch_execz .LBB253_60
.LBB253_272:
	v_mov_b32_e32 v31, s79
	v_add_co_u32_e32 v30, vcc, s78, v18
	v_addc_co_u32_e32 v31, vcc, 0, v31, vcc
	flat_load_ushort v30, v[30:31] offset:2048
	s_or_b64 exec, exec, s[4:5]
                                        ; implicit-def: $vgpr31
	s_and_saveexec_b64 s[4:5], s[16:17]
	s_cbranch_execz .LBB253_61
.LBB253_273:
	v_mov_b32_e32 v31, s79
	v_add_co_u32_e32 v32, vcc, s78, v18
	v_addc_co_u32_e32 v33, vcc, 0, v31, vcc
	flat_load_ushort v31, v[32:33] offset:2560
	s_or_b64 exec, exec, s[4:5]
                                        ; implicit-def: $vgpr32
	s_and_saveexec_b64 s[4:5], s[18:19]
	s_cbranch_execz .LBB253_62
.LBB253_274:
	v_mov_b32_e32 v33, s79
	v_add_co_u32_e32 v32, vcc, s78, v18
	v_addc_co_u32_e32 v33, vcc, 0, v33, vcc
	flat_load_ushort v32, v[32:33] offset:3072
	s_or_b64 exec, exec, s[4:5]
                                        ; implicit-def: $vgpr33
	s_and_saveexec_b64 s[4:5], s[20:21]
	s_cbranch_execz .LBB253_63
.LBB253_275:
	v_mov_b32_e32 v33, s79
	v_add_co_u32_e32 v34, vcc, s78, v18
	v_addc_co_u32_e32 v35, vcc, 0, v33, vcc
	flat_load_ushort v33, v[34:35] offset:3584
	s_or_b64 exec, exec, s[4:5]
                                        ; implicit-def: $vgpr34
	s_and_saveexec_b64 s[4:5], s[22:23]
	s_cbranch_execz .LBB253_64
.LBB253_276:
	v_lshlrev_b32_e32 v1, 1, v1
	v_mov_b32_e32 v35, s79
	v_add_co_u32_e32 v34, vcc, s78, v1
	v_addc_co_u32_e32 v35, vcc, 0, v35, vcc
	flat_load_ushort v34, v[34:35]
	s_or_b64 exec, exec, s[4:5]
                                        ; implicit-def: $vgpr1
	s_and_saveexec_b64 s[4:5], s[24:25]
	s_cbranch_execz .LBB253_65
.LBB253_277:
	v_lshlrev_b32_e32 v1, 1, v2
	v_mov_b32_e32 v2, s79
	v_add_co_u32_e32 v42, vcc, s78, v1
	v_addc_co_u32_e32 v43, vcc, 0, v2, vcc
	flat_load_ushort v1, v[42:43]
	s_or_b64 exec, exec, s[4:5]
                                        ; implicit-def: $vgpr2
	s_and_saveexec_b64 s[4:5], s[26:27]
	s_cbranch_execz .LBB253_66
.LBB253_278:
	v_lshlrev_b32_e32 v2, 1, v3
	v_mov_b32_e32 v3, s79
	v_add_co_u32_e32 v2, vcc, s78, v2
	v_addc_co_u32_e32 v3, vcc, 0, v3, vcc
	flat_load_ushort v2, v[2:3]
	s_or_b64 exec, exec, s[4:5]
                                        ; implicit-def: $vgpr3
	s_and_saveexec_b64 s[4:5], s[28:29]
	s_cbranch_execz .LBB253_67
.LBB253_279:
	v_lshlrev_b32_e32 v3, 1, v4
	v_mov_b32_e32 v4, s79
	v_add_co_u32_e32 v42, vcc, s78, v3
	v_addc_co_u32_e32 v43, vcc, 0, v4, vcc
	flat_load_ushort v3, v[42:43]
	s_or_b64 exec, exec, s[4:5]
                                        ; implicit-def: $vgpr4
	s_and_saveexec_b64 s[4:5], s[30:31]
	s_cbranch_execz .LBB253_68
.LBB253_280:
	v_lshlrev_b32_e32 v4, 1, v5
	v_mov_b32_e32 v5, s79
	v_add_co_u32_e32 v4, vcc, s78, v4
	v_addc_co_u32_e32 v5, vcc, 0, v5, vcc
	flat_load_ushort v4, v[4:5]
	s_or_b64 exec, exec, s[4:5]
                                        ; implicit-def: $vgpr5
	s_and_saveexec_b64 s[4:5], s[34:35]
	s_cbranch_execz .LBB253_69
.LBB253_281:
	v_lshlrev_b32_e32 v5, 1, v16
	v_mov_b32_e32 v16, s79
	v_add_co_u32_e32 v42, vcc, s78, v5
	v_addc_co_u32_e32 v43, vcc, 0, v16, vcc
	flat_load_ushort v5, v[42:43]
	s_or_b64 exec, exec, s[4:5]
                                        ; implicit-def: $vgpr16
	s_and_saveexec_b64 s[4:5], s[36:37]
	s_cbranch_execz .LBB253_70
.LBB253_282:
	v_lshlrev_b32_e32 v16, 1, v17
	v_mov_b32_e32 v17, s79
	v_add_co_u32_e32 v16, vcc, s78, v16
	v_addc_co_u32_e32 v17, vcc, 0, v17, vcc
	flat_load_ushort v16, v[16:17]
	s_or_b64 exec, exec, s[4:5]
                                        ; implicit-def: $vgpr17
	s_and_saveexec_b64 s[4:5], s[38:39]
	s_cbranch_execz .LBB253_71
.LBB253_283:
	v_lshlrev_b32_e32 v17, 1, v19
	v_mov_b32_e32 v19, s79
	v_add_co_u32_e32 v42, vcc, s78, v17
	v_addc_co_u32_e32 v43, vcc, 0, v19, vcc
	flat_load_ushort v17, v[42:43]
	s_or_b64 exec, exec, s[4:5]
                                        ; implicit-def: $vgpr19
	s_and_saveexec_b64 s[4:5], s[40:41]
	s_cbranch_execz .LBB253_72
.LBB253_284:
	v_lshlrev_b32_e32 v19, 1, v20
	v_mov_b32_e32 v20, s79
	v_add_co_u32_e32 v42, vcc, s78, v19
	v_addc_co_u32_e32 v43, vcc, 0, v20, vcc
	flat_load_ushort v19, v[42:43]
	s_or_b64 exec, exec, s[4:5]
                                        ; implicit-def: $vgpr20
	s_and_saveexec_b64 s[4:5], s[42:43]
	s_cbranch_execz .LBB253_73
.LBB253_285:
	v_lshlrev_b32_e32 v20, 1, v21
	v_mov_b32_e32 v21, s79
	v_add_co_u32_e32 v20, vcc, s78, v20
	v_addc_co_u32_e32 v21, vcc, 0, v21, vcc
	flat_load_ushort v20, v[20:21]
	s_or_b64 exec, exec, s[4:5]
                                        ; implicit-def: $vgpr21
	s_and_saveexec_b64 s[4:5], s[44:45]
	s_cbranch_execz .LBB253_74
.LBB253_286:
	v_lshlrev_b32_e32 v21, 1, v22
	v_mov_b32_e32 v22, s79
	v_add_co_u32_e32 v42, vcc, s78, v21
	v_addc_co_u32_e32 v43, vcc, 0, v22, vcc
	flat_load_ushort v21, v[42:43]
	s_or_b64 exec, exec, s[4:5]
                                        ; implicit-def: $vgpr22
	s_and_saveexec_b64 s[4:5], s[46:47]
	s_cbranch_execz .LBB253_75
.LBB253_287:
	v_lshlrev_b32_e32 v22, 1, v23
	v_mov_b32_e32 v23, s79
	v_add_co_u32_e32 v22, vcc, s78, v22
	v_addc_co_u32_e32 v23, vcc, 0, v23, vcc
	flat_load_ushort v22, v[22:23]
	s_or_b64 exec, exec, s[4:5]
                                        ; implicit-def: $vgpr23
	s_and_saveexec_b64 s[4:5], s[48:49]
	s_cbranch_execz .LBB253_76
.LBB253_288:
	v_lshlrev_b32_e32 v23, 1, v24
	v_mov_b32_e32 v24, s79
	v_add_co_u32_e32 v42, vcc, s78, v23
	v_addc_co_u32_e32 v43, vcc, 0, v24, vcc
	flat_load_ushort v23, v[42:43]
	s_or_b64 exec, exec, s[4:5]
                                        ; implicit-def: $vgpr24
	s_and_saveexec_b64 s[4:5], s[50:51]
	s_cbranch_execnz .LBB253_77
	s_branch .LBB253_78
.LBB253_289:
	v_add_u32_e32 v2, -1, v0
	v_lshrrev_b32_e32 v3, 5, v2
	v_add_lshl_u32 v2, v3, v2, 2
	ds_read_u16 v2, v2
	s_or_b64 exec, exec, s[4:5]
	s_and_saveexec_b64 s[48:49], s[52:53]
	s_cbranch_execz .LBB253_216
.LBB253_290:
	s_mov_b32 s4, 0x10000
	s_waitcnt lgkmcnt(0)
	v_and_b32_e32 v2, 0xffff, v2
	v_cmp_gt_u32_e64 s[4:5], s4, v1
	v_cndmask_b32_e64 v2, 0, v2, s[4:5]
	v_add_u32_e32 v1, v2, v1
	v_cndmask_b32_e32 v2, 0, v1, vcc
	v_add_u16_e32 v4, v2, v16
	v_cndmask_b32_e64 v2, 0, v4, s[6:7]
	v_add_u16_e32 v5, v2, v17
	v_cndmask_b32_e64 v2, 0, v5, s[8:9]
	;; [unrolled: 2-line block ×20, first 2 shown]
	v_add_u16_e32 v48, v2, v13
	;;#ASMSTART
	;;#ASMEND
	s_or_b64 exec, exec, s[48:49]
	s_and_saveexec_b64 s[4:5], s[0:1]
	s_cbranch_execnz .LBB253_217
	s_branch .LBB253_218
.LBB253_291:
                                        ; implicit-def: $sgpr4_sgpr5
	s_branch .LBB253_52
.LBB253_292:
                                        ; implicit-def: $sgpr4_sgpr5
	s_branch .LBB253_125
	.section	.rodata,"a",@progbits
	.p2align	6, 0x0
	.amdhsa_kernel _ZN7rocprim17ROCPRIM_400000_NS6detail17trampoline_kernelINS0_14default_configENS1_27scan_by_key_config_selectorIssEEZZNS1_16scan_by_key_implILNS1_25lookback_scan_determinismE0ELb0ES3_N6thrust23THRUST_200600_302600_NS6detail15normal_iteratorINS9_10device_ptrIsEEEESE_SE_sNS9_4plusIvEENS9_8equal_toIvEEsEE10hipError_tPvRmT2_T3_T4_T5_mT6_T7_P12ihipStream_tbENKUlT_T0_E_clISt17integral_constantIbLb1EESZ_EEDaSU_SV_EUlSU_E_NS1_11comp_targetILNS1_3genE4ELNS1_11target_archE910ELNS1_3gpuE8ELNS1_3repE0EEENS1_30default_config_static_selectorELNS0_4arch9wavefront6targetE1EEEvT1_
		.amdhsa_group_segment_fixed_size 12288
		.amdhsa_private_segment_fixed_size 0
		.amdhsa_kernarg_size 112
		.amdhsa_user_sgpr_count 6
		.amdhsa_user_sgpr_private_segment_buffer 1
		.amdhsa_user_sgpr_dispatch_ptr 0
		.amdhsa_user_sgpr_queue_ptr 0
		.amdhsa_user_sgpr_kernarg_segment_ptr 1
		.amdhsa_user_sgpr_dispatch_id 0
		.amdhsa_user_sgpr_flat_scratch_init 0
		.amdhsa_user_sgpr_kernarg_preload_length 0
		.amdhsa_user_sgpr_kernarg_preload_offset 0
		.amdhsa_user_sgpr_private_segment_size 0
		.amdhsa_uses_dynamic_stack 0
		.amdhsa_system_sgpr_private_segment_wavefront_offset 0
		.amdhsa_system_sgpr_workgroup_id_x 1
		.amdhsa_system_sgpr_workgroup_id_y 0
		.amdhsa_system_sgpr_workgroup_id_z 0
		.amdhsa_system_sgpr_workgroup_info 0
		.amdhsa_system_vgpr_workitem_id 0
		.amdhsa_next_free_vgpr 58
		.amdhsa_next_free_sgpr 82
		.amdhsa_accum_offset 60
		.amdhsa_reserve_vcc 1
		.amdhsa_reserve_flat_scratch 0
		.amdhsa_float_round_mode_32 0
		.amdhsa_float_round_mode_16_64 0
		.amdhsa_float_denorm_mode_32 3
		.amdhsa_float_denorm_mode_16_64 3
		.amdhsa_dx10_clamp 1
		.amdhsa_ieee_mode 1
		.amdhsa_fp16_overflow 0
		.amdhsa_tg_split 0
		.amdhsa_exception_fp_ieee_invalid_op 0
		.amdhsa_exception_fp_denorm_src 0
		.amdhsa_exception_fp_ieee_div_zero 0
		.amdhsa_exception_fp_ieee_overflow 0
		.amdhsa_exception_fp_ieee_underflow 0
		.amdhsa_exception_fp_ieee_inexact 0
		.amdhsa_exception_int_div_zero 0
	.end_amdhsa_kernel
	.section	.text._ZN7rocprim17ROCPRIM_400000_NS6detail17trampoline_kernelINS0_14default_configENS1_27scan_by_key_config_selectorIssEEZZNS1_16scan_by_key_implILNS1_25lookback_scan_determinismE0ELb0ES3_N6thrust23THRUST_200600_302600_NS6detail15normal_iteratorINS9_10device_ptrIsEEEESE_SE_sNS9_4plusIvEENS9_8equal_toIvEEsEE10hipError_tPvRmT2_T3_T4_T5_mT6_T7_P12ihipStream_tbENKUlT_T0_E_clISt17integral_constantIbLb1EESZ_EEDaSU_SV_EUlSU_E_NS1_11comp_targetILNS1_3genE4ELNS1_11target_archE910ELNS1_3gpuE8ELNS1_3repE0EEENS1_30default_config_static_selectorELNS0_4arch9wavefront6targetE1EEEvT1_,"axG",@progbits,_ZN7rocprim17ROCPRIM_400000_NS6detail17trampoline_kernelINS0_14default_configENS1_27scan_by_key_config_selectorIssEEZZNS1_16scan_by_key_implILNS1_25lookback_scan_determinismE0ELb0ES3_N6thrust23THRUST_200600_302600_NS6detail15normal_iteratorINS9_10device_ptrIsEEEESE_SE_sNS9_4plusIvEENS9_8equal_toIvEEsEE10hipError_tPvRmT2_T3_T4_T5_mT6_T7_P12ihipStream_tbENKUlT_T0_E_clISt17integral_constantIbLb1EESZ_EEDaSU_SV_EUlSU_E_NS1_11comp_targetILNS1_3genE4ELNS1_11target_archE910ELNS1_3gpuE8ELNS1_3repE0EEENS1_30default_config_static_selectorELNS0_4arch9wavefront6targetE1EEEvT1_,comdat
.Lfunc_end253:
	.size	_ZN7rocprim17ROCPRIM_400000_NS6detail17trampoline_kernelINS0_14default_configENS1_27scan_by_key_config_selectorIssEEZZNS1_16scan_by_key_implILNS1_25lookback_scan_determinismE0ELb0ES3_N6thrust23THRUST_200600_302600_NS6detail15normal_iteratorINS9_10device_ptrIsEEEESE_SE_sNS9_4plusIvEENS9_8equal_toIvEEsEE10hipError_tPvRmT2_T3_T4_T5_mT6_T7_P12ihipStream_tbENKUlT_T0_E_clISt17integral_constantIbLb1EESZ_EEDaSU_SV_EUlSU_E_NS1_11comp_targetILNS1_3genE4ELNS1_11target_archE910ELNS1_3gpuE8ELNS1_3repE0EEENS1_30default_config_static_selectorELNS0_4arch9wavefront6targetE1EEEvT1_, .Lfunc_end253-_ZN7rocprim17ROCPRIM_400000_NS6detail17trampoline_kernelINS0_14default_configENS1_27scan_by_key_config_selectorIssEEZZNS1_16scan_by_key_implILNS1_25lookback_scan_determinismE0ELb0ES3_N6thrust23THRUST_200600_302600_NS6detail15normal_iteratorINS9_10device_ptrIsEEEESE_SE_sNS9_4plusIvEENS9_8equal_toIvEEsEE10hipError_tPvRmT2_T3_T4_T5_mT6_T7_P12ihipStream_tbENKUlT_T0_E_clISt17integral_constantIbLb1EESZ_EEDaSU_SV_EUlSU_E_NS1_11comp_targetILNS1_3genE4ELNS1_11target_archE910ELNS1_3gpuE8ELNS1_3repE0EEENS1_30default_config_static_selectorELNS0_4arch9wavefront6targetE1EEEvT1_
                                        ; -- End function
	.section	.AMDGPU.csdata,"",@progbits
; Kernel info:
; codeLenInByte = 15748
; NumSgprs: 86
; NumVgprs: 58
; NumAgprs: 0
; TotalNumVgprs: 58
; ScratchSize: 0
; MemoryBound: 0
; FloatMode: 240
; IeeeMode: 1
; LDSByteSize: 12288 bytes/workgroup (compile time only)
; SGPRBlocks: 10
; VGPRBlocks: 7
; NumSGPRsForWavesPerEU: 86
; NumVGPRsForWavesPerEU: 58
; AccumOffset: 60
; Occupancy: 5
; WaveLimiterHint : 1
; COMPUTE_PGM_RSRC2:SCRATCH_EN: 0
; COMPUTE_PGM_RSRC2:USER_SGPR: 6
; COMPUTE_PGM_RSRC2:TRAP_HANDLER: 0
; COMPUTE_PGM_RSRC2:TGID_X_EN: 1
; COMPUTE_PGM_RSRC2:TGID_Y_EN: 0
; COMPUTE_PGM_RSRC2:TGID_Z_EN: 0
; COMPUTE_PGM_RSRC2:TIDIG_COMP_CNT: 0
; COMPUTE_PGM_RSRC3_GFX90A:ACCUM_OFFSET: 14
; COMPUTE_PGM_RSRC3_GFX90A:TG_SPLIT: 0
	.section	.text._ZN7rocprim17ROCPRIM_400000_NS6detail17trampoline_kernelINS0_14default_configENS1_27scan_by_key_config_selectorIssEEZZNS1_16scan_by_key_implILNS1_25lookback_scan_determinismE0ELb0ES3_N6thrust23THRUST_200600_302600_NS6detail15normal_iteratorINS9_10device_ptrIsEEEESE_SE_sNS9_4plusIvEENS9_8equal_toIvEEsEE10hipError_tPvRmT2_T3_T4_T5_mT6_T7_P12ihipStream_tbENKUlT_T0_E_clISt17integral_constantIbLb1EESZ_EEDaSU_SV_EUlSU_E_NS1_11comp_targetILNS1_3genE3ELNS1_11target_archE908ELNS1_3gpuE7ELNS1_3repE0EEENS1_30default_config_static_selectorELNS0_4arch9wavefront6targetE1EEEvT1_,"axG",@progbits,_ZN7rocprim17ROCPRIM_400000_NS6detail17trampoline_kernelINS0_14default_configENS1_27scan_by_key_config_selectorIssEEZZNS1_16scan_by_key_implILNS1_25lookback_scan_determinismE0ELb0ES3_N6thrust23THRUST_200600_302600_NS6detail15normal_iteratorINS9_10device_ptrIsEEEESE_SE_sNS9_4plusIvEENS9_8equal_toIvEEsEE10hipError_tPvRmT2_T3_T4_T5_mT6_T7_P12ihipStream_tbENKUlT_T0_E_clISt17integral_constantIbLb1EESZ_EEDaSU_SV_EUlSU_E_NS1_11comp_targetILNS1_3genE3ELNS1_11target_archE908ELNS1_3gpuE7ELNS1_3repE0EEENS1_30default_config_static_selectorELNS0_4arch9wavefront6targetE1EEEvT1_,comdat
	.protected	_ZN7rocprim17ROCPRIM_400000_NS6detail17trampoline_kernelINS0_14default_configENS1_27scan_by_key_config_selectorIssEEZZNS1_16scan_by_key_implILNS1_25lookback_scan_determinismE0ELb0ES3_N6thrust23THRUST_200600_302600_NS6detail15normal_iteratorINS9_10device_ptrIsEEEESE_SE_sNS9_4plusIvEENS9_8equal_toIvEEsEE10hipError_tPvRmT2_T3_T4_T5_mT6_T7_P12ihipStream_tbENKUlT_T0_E_clISt17integral_constantIbLb1EESZ_EEDaSU_SV_EUlSU_E_NS1_11comp_targetILNS1_3genE3ELNS1_11target_archE908ELNS1_3gpuE7ELNS1_3repE0EEENS1_30default_config_static_selectorELNS0_4arch9wavefront6targetE1EEEvT1_ ; -- Begin function _ZN7rocprim17ROCPRIM_400000_NS6detail17trampoline_kernelINS0_14default_configENS1_27scan_by_key_config_selectorIssEEZZNS1_16scan_by_key_implILNS1_25lookback_scan_determinismE0ELb0ES3_N6thrust23THRUST_200600_302600_NS6detail15normal_iteratorINS9_10device_ptrIsEEEESE_SE_sNS9_4plusIvEENS9_8equal_toIvEEsEE10hipError_tPvRmT2_T3_T4_T5_mT6_T7_P12ihipStream_tbENKUlT_T0_E_clISt17integral_constantIbLb1EESZ_EEDaSU_SV_EUlSU_E_NS1_11comp_targetILNS1_3genE3ELNS1_11target_archE908ELNS1_3gpuE7ELNS1_3repE0EEENS1_30default_config_static_selectorELNS0_4arch9wavefront6targetE1EEEvT1_
	.globl	_ZN7rocprim17ROCPRIM_400000_NS6detail17trampoline_kernelINS0_14default_configENS1_27scan_by_key_config_selectorIssEEZZNS1_16scan_by_key_implILNS1_25lookback_scan_determinismE0ELb0ES3_N6thrust23THRUST_200600_302600_NS6detail15normal_iteratorINS9_10device_ptrIsEEEESE_SE_sNS9_4plusIvEENS9_8equal_toIvEEsEE10hipError_tPvRmT2_T3_T4_T5_mT6_T7_P12ihipStream_tbENKUlT_T0_E_clISt17integral_constantIbLb1EESZ_EEDaSU_SV_EUlSU_E_NS1_11comp_targetILNS1_3genE3ELNS1_11target_archE908ELNS1_3gpuE7ELNS1_3repE0EEENS1_30default_config_static_selectorELNS0_4arch9wavefront6targetE1EEEvT1_
	.p2align	8
	.type	_ZN7rocprim17ROCPRIM_400000_NS6detail17trampoline_kernelINS0_14default_configENS1_27scan_by_key_config_selectorIssEEZZNS1_16scan_by_key_implILNS1_25lookback_scan_determinismE0ELb0ES3_N6thrust23THRUST_200600_302600_NS6detail15normal_iteratorINS9_10device_ptrIsEEEESE_SE_sNS9_4plusIvEENS9_8equal_toIvEEsEE10hipError_tPvRmT2_T3_T4_T5_mT6_T7_P12ihipStream_tbENKUlT_T0_E_clISt17integral_constantIbLb1EESZ_EEDaSU_SV_EUlSU_E_NS1_11comp_targetILNS1_3genE3ELNS1_11target_archE908ELNS1_3gpuE7ELNS1_3repE0EEENS1_30default_config_static_selectorELNS0_4arch9wavefront6targetE1EEEvT1_,@function
_ZN7rocprim17ROCPRIM_400000_NS6detail17trampoline_kernelINS0_14default_configENS1_27scan_by_key_config_selectorIssEEZZNS1_16scan_by_key_implILNS1_25lookback_scan_determinismE0ELb0ES3_N6thrust23THRUST_200600_302600_NS6detail15normal_iteratorINS9_10device_ptrIsEEEESE_SE_sNS9_4plusIvEENS9_8equal_toIvEEsEE10hipError_tPvRmT2_T3_T4_T5_mT6_T7_P12ihipStream_tbENKUlT_T0_E_clISt17integral_constantIbLb1EESZ_EEDaSU_SV_EUlSU_E_NS1_11comp_targetILNS1_3genE3ELNS1_11target_archE908ELNS1_3gpuE7ELNS1_3repE0EEENS1_30default_config_static_selectorELNS0_4arch9wavefront6targetE1EEEvT1_: ; @_ZN7rocprim17ROCPRIM_400000_NS6detail17trampoline_kernelINS0_14default_configENS1_27scan_by_key_config_selectorIssEEZZNS1_16scan_by_key_implILNS1_25lookback_scan_determinismE0ELb0ES3_N6thrust23THRUST_200600_302600_NS6detail15normal_iteratorINS9_10device_ptrIsEEEESE_SE_sNS9_4plusIvEENS9_8equal_toIvEEsEE10hipError_tPvRmT2_T3_T4_T5_mT6_T7_P12ihipStream_tbENKUlT_T0_E_clISt17integral_constantIbLb1EESZ_EEDaSU_SV_EUlSU_E_NS1_11comp_targetILNS1_3genE3ELNS1_11target_archE908ELNS1_3gpuE7ELNS1_3repE0EEENS1_30default_config_static_selectorELNS0_4arch9wavefront6targetE1EEEvT1_
; %bb.0:
	.section	.rodata,"a",@progbits
	.p2align	6, 0x0
	.amdhsa_kernel _ZN7rocprim17ROCPRIM_400000_NS6detail17trampoline_kernelINS0_14default_configENS1_27scan_by_key_config_selectorIssEEZZNS1_16scan_by_key_implILNS1_25lookback_scan_determinismE0ELb0ES3_N6thrust23THRUST_200600_302600_NS6detail15normal_iteratorINS9_10device_ptrIsEEEESE_SE_sNS9_4plusIvEENS9_8equal_toIvEEsEE10hipError_tPvRmT2_T3_T4_T5_mT6_T7_P12ihipStream_tbENKUlT_T0_E_clISt17integral_constantIbLb1EESZ_EEDaSU_SV_EUlSU_E_NS1_11comp_targetILNS1_3genE3ELNS1_11target_archE908ELNS1_3gpuE7ELNS1_3repE0EEENS1_30default_config_static_selectorELNS0_4arch9wavefront6targetE1EEEvT1_
		.amdhsa_group_segment_fixed_size 0
		.amdhsa_private_segment_fixed_size 0
		.amdhsa_kernarg_size 112
		.amdhsa_user_sgpr_count 6
		.amdhsa_user_sgpr_private_segment_buffer 1
		.amdhsa_user_sgpr_dispatch_ptr 0
		.amdhsa_user_sgpr_queue_ptr 0
		.amdhsa_user_sgpr_kernarg_segment_ptr 1
		.amdhsa_user_sgpr_dispatch_id 0
		.amdhsa_user_sgpr_flat_scratch_init 0
		.amdhsa_user_sgpr_kernarg_preload_length 0
		.amdhsa_user_sgpr_kernarg_preload_offset 0
		.amdhsa_user_sgpr_private_segment_size 0
		.amdhsa_uses_dynamic_stack 0
		.amdhsa_system_sgpr_private_segment_wavefront_offset 0
		.amdhsa_system_sgpr_workgroup_id_x 1
		.amdhsa_system_sgpr_workgroup_id_y 0
		.amdhsa_system_sgpr_workgroup_id_z 0
		.amdhsa_system_sgpr_workgroup_info 0
		.amdhsa_system_vgpr_workitem_id 0
		.amdhsa_next_free_vgpr 1
		.amdhsa_next_free_sgpr 0
		.amdhsa_accum_offset 4
		.amdhsa_reserve_vcc 0
		.amdhsa_reserve_flat_scratch 0
		.amdhsa_float_round_mode_32 0
		.amdhsa_float_round_mode_16_64 0
		.amdhsa_float_denorm_mode_32 3
		.amdhsa_float_denorm_mode_16_64 3
		.amdhsa_dx10_clamp 1
		.amdhsa_ieee_mode 1
		.amdhsa_fp16_overflow 0
		.amdhsa_tg_split 0
		.amdhsa_exception_fp_ieee_invalid_op 0
		.amdhsa_exception_fp_denorm_src 0
		.amdhsa_exception_fp_ieee_div_zero 0
		.amdhsa_exception_fp_ieee_overflow 0
		.amdhsa_exception_fp_ieee_underflow 0
		.amdhsa_exception_fp_ieee_inexact 0
		.amdhsa_exception_int_div_zero 0
	.end_amdhsa_kernel
	.section	.text._ZN7rocprim17ROCPRIM_400000_NS6detail17trampoline_kernelINS0_14default_configENS1_27scan_by_key_config_selectorIssEEZZNS1_16scan_by_key_implILNS1_25lookback_scan_determinismE0ELb0ES3_N6thrust23THRUST_200600_302600_NS6detail15normal_iteratorINS9_10device_ptrIsEEEESE_SE_sNS9_4plusIvEENS9_8equal_toIvEEsEE10hipError_tPvRmT2_T3_T4_T5_mT6_T7_P12ihipStream_tbENKUlT_T0_E_clISt17integral_constantIbLb1EESZ_EEDaSU_SV_EUlSU_E_NS1_11comp_targetILNS1_3genE3ELNS1_11target_archE908ELNS1_3gpuE7ELNS1_3repE0EEENS1_30default_config_static_selectorELNS0_4arch9wavefront6targetE1EEEvT1_,"axG",@progbits,_ZN7rocprim17ROCPRIM_400000_NS6detail17trampoline_kernelINS0_14default_configENS1_27scan_by_key_config_selectorIssEEZZNS1_16scan_by_key_implILNS1_25lookback_scan_determinismE0ELb0ES3_N6thrust23THRUST_200600_302600_NS6detail15normal_iteratorINS9_10device_ptrIsEEEESE_SE_sNS9_4plusIvEENS9_8equal_toIvEEsEE10hipError_tPvRmT2_T3_T4_T5_mT6_T7_P12ihipStream_tbENKUlT_T0_E_clISt17integral_constantIbLb1EESZ_EEDaSU_SV_EUlSU_E_NS1_11comp_targetILNS1_3genE3ELNS1_11target_archE908ELNS1_3gpuE7ELNS1_3repE0EEENS1_30default_config_static_selectorELNS0_4arch9wavefront6targetE1EEEvT1_,comdat
.Lfunc_end254:
	.size	_ZN7rocprim17ROCPRIM_400000_NS6detail17trampoline_kernelINS0_14default_configENS1_27scan_by_key_config_selectorIssEEZZNS1_16scan_by_key_implILNS1_25lookback_scan_determinismE0ELb0ES3_N6thrust23THRUST_200600_302600_NS6detail15normal_iteratorINS9_10device_ptrIsEEEESE_SE_sNS9_4plusIvEENS9_8equal_toIvEEsEE10hipError_tPvRmT2_T3_T4_T5_mT6_T7_P12ihipStream_tbENKUlT_T0_E_clISt17integral_constantIbLb1EESZ_EEDaSU_SV_EUlSU_E_NS1_11comp_targetILNS1_3genE3ELNS1_11target_archE908ELNS1_3gpuE7ELNS1_3repE0EEENS1_30default_config_static_selectorELNS0_4arch9wavefront6targetE1EEEvT1_, .Lfunc_end254-_ZN7rocprim17ROCPRIM_400000_NS6detail17trampoline_kernelINS0_14default_configENS1_27scan_by_key_config_selectorIssEEZZNS1_16scan_by_key_implILNS1_25lookback_scan_determinismE0ELb0ES3_N6thrust23THRUST_200600_302600_NS6detail15normal_iteratorINS9_10device_ptrIsEEEESE_SE_sNS9_4plusIvEENS9_8equal_toIvEEsEE10hipError_tPvRmT2_T3_T4_T5_mT6_T7_P12ihipStream_tbENKUlT_T0_E_clISt17integral_constantIbLb1EESZ_EEDaSU_SV_EUlSU_E_NS1_11comp_targetILNS1_3genE3ELNS1_11target_archE908ELNS1_3gpuE7ELNS1_3repE0EEENS1_30default_config_static_selectorELNS0_4arch9wavefront6targetE1EEEvT1_
                                        ; -- End function
	.section	.AMDGPU.csdata,"",@progbits
; Kernel info:
; codeLenInByte = 0
; NumSgprs: 4
; NumVgprs: 0
; NumAgprs: 0
; TotalNumVgprs: 0
; ScratchSize: 0
; MemoryBound: 0
; FloatMode: 240
; IeeeMode: 1
; LDSByteSize: 0 bytes/workgroup (compile time only)
; SGPRBlocks: 0
; VGPRBlocks: 0
; NumSGPRsForWavesPerEU: 4
; NumVGPRsForWavesPerEU: 1
; AccumOffset: 4
; Occupancy: 8
; WaveLimiterHint : 0
; COMPUTE_PGM_RSRC2:SCRATCH_EN: 0
; COMPUTE_PGM_RSRC2:USER_SGPR: 6
; COMPUTE_PGM_RSRC2:TRAP_HANDLER: 0
; COMPUTE_PGM_RSRC2:TGID_X_EN: 1
; COMPUTE_PGM_RSRC2:TGID_Y_EN: 0
; COMPUTE_PGM_RSRC2:TGID_Z_EN: 0
; COMPUTE_PGM_RSRC2:TIDIG_COMP_CNT: 0
; COMPUTE_PGM_RSRC3_GFX90A:ACCUM_OFFSET: 0
; COMPUTE_PGM_RSRC3_GFX90A:TG_SPLIT: 0
	.section	.text._ZN7rocprim17ROCPRIM_400000_NS6detail17trampoline_kernelINS0_14default_configENS1_27scan_by_key_config_selectorIssEEZZNS1_16scan_by_key_implILNS1_25lookback_scan_determinismE0ELb0ES3_N6thrust23THRUST_200600_302600_NS6detail15normal_iteratorINS9_10device_ptrIsEEEESE_SE_sNS9_4plusIvEENS9_8equal_toIvEEsEE10hipError_tPvRmT2_T3_T4_T5_mT6_T7_P12ihipStream_tbENKUlT_T0_E_clISt17integral_constantIbLb1EESZ_EEDaSU_SV_EUlSU_E_NS1_11comp_targetILNS1_3genE2ELNS1_11target_archE906ELNS1_3gpuE6ELNS1_3repE0EEENS1_30default_config_static_selectorELNS0_4arch9wavefront6targetE1EEEvT1_,"axG",@progbits,_ZN7rocprim17ROCPRIM_400000_NS6detail17trampoline_kernelINS0_14default_configENS1_27scan_by_key_config_selectorIssEEZZNS1_16scan_by_key_implILNS1_25lookback_scan_determinismE0ELb0ES3_N6thrust23THRUST_200600_302600_NS6detail15normal_iteratorINS9_10device_ptrIsEEEESE_SE_sNS9_4plusIvEENS9_8equal_toIvEEsEE10hipError_tPvRmT2_T3_T4_T5_mT6_T7_P12ihipStream_tbENKUlT_T0_E_clISt17integral_constantIbLb1EESZ_EEDaSU_SV_EUlSU_E_NS1_11comp_targetILNS1_3genE2ELNS1_11target_archE906ELNS1_3gpuE6ELNS1_3repE0EEENS1_30default_config_static_selectorELNS0_4arch9wavefront6targetE1EEEvT1_,comdat
	.protected	_ZN7rocprim17ROCPRIM_400000_NS6detail17trampoline_kernelINS0_14default_configENS1_27scan_by_key_config_selectorIssEEZZNS1_16scan_by_key_implILNS1_25lookback_scan_determinismE0ELb0ES3_N6thrust23THRUST_200600_302600_NS6detail15normal_iteratorINS9_10device_ptrIsEEEESE_SE_sNS9_4plusIvEENS9_8equal_toIvEEsEE10hipError_tPvRmT2_T3_T4_T5_mT6_T7_P12ihipStream_tbENKUlT_T0_E_clISt17integral_constantIbLb1EESZ_EEDaSU_SV_EUlSU_E_NS1_11comp_targetILNS1_3genE2ELNS1_11target_archE906ELNS1_3gpuE6ELNS1_3repE0EEENS1_30default_config_static_selectorELNS0_4arch9wavefront6targetE1EEEvT1_ ; -- Begin function _ZN7rocprim17ROCPRIM_400000_NS6detail17trampoline_kernelINS0_14default_configENS1_27scan_by_key_config_selectorIssEEZZNS1_16scan_by_key_implILNS1_25lookback_scan_determinismE0ELb0ES3_N6thrust23THRUST_200600_302600_NS6detail15normal_iteratorINS9_10device_ptrIsEEEESE_SE_sNS9_4plusIvEENS9_8equal_toIvEEsEE10hipError_tPvRmT2_T3_T4_T5_mT6_T7_P12ihipStream_tbENKUlT_T0_E_clISt17integral_constantIbLb1EESZ_EEDaSU_SV_EUlSU_E_NS1_11comp_targetILNS1_3genE2ELNS1_11target_archE906ELNS1_3gpuE6ELNS1_3repE0EEENS1_30default_config_static_selectorELNS0_4arch9wavefront6targetE1EEEvT1_
	.globl	_ZN7rocprim17ROCPRIM_400000_NS6detail17trampoline_kernelINS0_14default_configENS1_27scan_by_key_config_selectorIssEEZZNS1_16scan_by_key_implILNS1_25lookback_scan_determinismE0ELb0ES3_N6thrust23THRUST_200600_302600_NS6detail15normal_iteratorINS9_10device_ptrIsEEEESE_SE_sNS9_4plusIvEENS9_8equal_toIvEEsEE10hipError_tPvRmT2_T3_T4_T5_mT6_T7_P12ihipStream_tbENKUlT_T0_E_clISt17integral_constantIbLb1EESZ_EEDaSU_SV_EUlSU_E_NS1_11comp_targetILNS1_3genE2ELNS1_11target_archE906ELNS1_3gpuE6ELNS1_3repE0EEENS1_30default_config_static_selectorELNS0_4arch9wavefront6targetE1EEEvT1_
	.p2align	8
	.type	_ZN7rocprim17ROCPRIM_400000_NS6detail17trampoline_kernelINS0_14default_configENS1_27scan_by_key_config_selectorIssEEZZNS1_16scan_by_key_implILNS1_25lookback_scan_determinismE0ELb0ES3_N6thrust23THRUST_200600_302600_NS6detail15normal_iteratorINS9_10device_ptrIsEEEESE_SE_sNS9_4plusIvEENS9_8equal_toIvEEsEE10hipError_tPvRmT2_T3_T4_T5_mT6_T7_P12ihipStream_tbENKUlT_T0_E_clISt17integral_constantIbLb1EESZ_EEDaSU_SV_EUlSU_E_NS1_11comp_targetILNS1_3genE2ELNS1_11target_archE906ELNS1_3gpuE6ELNS1_3repE0EEENS1_30default_config_static_selectorELNS0_4arch9wavefront6targetE1EEEvT1_,@function
_ZN7rocprim17ROCPRIM_400000_NS6detail17trampoline_kernelINS0_14default_configENS1_27scan_by_key_config_selectorIssEEZZNS1_16scan_by_key_implILNS1_25lookback_scan_determinismE0ELb0ES3_N6thrust23THRUST_200600_302600_NS6detail15normal_iteratorINS9_10device_ptrIsEEEESE_SE_sNS9_4plusIvEENS9_8equal_toIvEEsEE10hipError_tPvRmT2_T3_T4_T5_mT6_T7_P12ihipStream_tbENKUlT_T0_E_clISt17integral_constantIbLb1EESZ_EEDaSU_SV_EUlSU_E_NS1_11comp_targetILNS1_3genE2ELNS1_11target_archE906ELNS1_3gpuE6ELNS1_3repE0EEENS1_30default_config_static_selectorELNS0_4arch9wavefront6targetE1EEEvT1_: ; @_ZN7rocprim17ROCPRIM_400000_NS6detail17trampoline_kernelINS0_14default_configENS1_27scan_by_key_config_selectorIssEEZZNS1_16scan_by_key_implILNS1_25lookback_scan_determinismE0ELb0ES3_N6thrust23THRUST_200600_302600_NS6detail15normal_iteratorINS9_10device_ptrIsEEEESE_SE_sNS9_4plusIvEENS9_8equal_toIvEEsEE10hipError_tPvRmT2_T3_T4_T5_mT6_T7_P12ihipStream_tbENKUlT_T0_E_clISt17integral_constantIbLb1EESZ_EEDaSU_SV_EUlSU_E_NS1_11comp_targetILNS1_3genE2ELNS1_11target_archE906ELNS1_3gpuE6ELNS1_3repE0EEENS1_30default_config_static_selectorELNS0_4arch9wavefront6targetE1EEEvT1_
; %bb.0:
	.section	.rodata,"a",@progbits
	.p2align	6, 0x0
	.amdhsa_kernel _ZN7rocprim17ROCPRIM_400000_NS6detail17trampoline_kernelINS0_14default_configENS1_27scan_by_key_config_selectorIssEEZZNS1_16scan_by_key_implILNS1_25lookback_scan_determinismE0ELb0ES3_N6thrust23THRUST_200600_302600_NS6detail15normal_iteratorINS9_10device_ptrIsEEEESE_SE_sNS9_4plusIvEENS9_8equal_toIvEEsEE10hipError_tPvRmT2_T3_T4_T5_mT6_T7_P12ihipStream_tbENKUlT_T0_E_clISt17integral_constantIbLb1EESZ_EEDaSU_SV_EUlSU_E_NS1_11comp_targetILNS1_3genE2ELNS1_11target_archE906ELNS1_3gpuE6ELNS1_3repE0EEENS1_30default_config_static_selectorELNS0_4arch9wavefront6targetE1EEEvT1_
		.amdhsa_group_segment_fixed_size 0
		.amdhsa_private_segment_fixed_size 0
		.amdhsa_kernarg_size 112
		.amdhsa_user_sgpr_count 6
		.amdhsa_user_sgpr_private_segment_buffer 1
		.amdhsa_user_sgpr_dispatch_ptr 0
		.amdhsa_user_sgpr_queue_ptr 0
		.amdhsa_user_sgpr_kernarg_segment_ptr 1
		.amdhsa_user_sgpr_dispatch_id 0
		.amdhsa_user_sgpr_flat_scratch_init 0
		.amdhsa_user_sgpr_kernarg_preload_length 0
		.amdhsa_user_sgpr_kernarg_preload_offset 0
		.amdhsa_user_sgpr_private_segment_size 0
		.amdhsa_uses_dynamic_stack 0
		.amdhsa_system_sgpr_private_segment_wavefront_offset 0
		.amdhsa_system_sgpr_workgroup_id_x 1
		.amdhsa_system_sgpr_workgroup_id_y 0
		.amdhsa_system_sgpr_workgroup_id_z 0
		.amdhsa_system_sgpr_workgroup_info 0
		.amdhsa_system_vgpr_workitem_id 0
		.amdhsa_next_free_vgpr 1
		.amdhsa_next_free_sgpr 0
		.amdhsa_accum_offset 4
		.amdhsa_reserve_vcc 0
		.amdhsa_reserve_flat_scratch 0
		.amdhsa_float_round_mode_32 0
		.amdhsa_float_round_mode_16_64 0
		.amdhsa_float_denorm_mode_32 3
		.amdhsa_float_denorm_mode_16_64 3
		.amdhsa_dx10_clamp 1
		.amdhsa_ieee_mode 1
		.amdhsa_fp16_overflow 0
		.amdhsa_tg_split 0
		.amdhsa_exception_fp_ieee_invalid_op 0
		.amdhsa_exception_fp_denorm_src 0
		.amdhsa_exception_fp_ieee_div_zero 0
		.amdhsa_exception_fp_ieee_overflow 0
		.amdhsa_exception_fp_ieee_underflow 0
		.amdhsa_exception_fp_ieee_inexact 0
		.amdhsa_exception_int_div_zero 0
	.end_amdhsa_kernel
	.section	.text._ZN7rocprim17ROCPRIM_400000_NS6detail17trampoline_kernelINS0_14default_configENS1_27scan_by_key_config_selectorIssEEZZNS1_16scan_by_key_implILNS1_25lookback_scan_determinismE0ELb0ES3_N6thrust23THRUST_200600_302600_NS6detail15normal_iteratorINS9_10device_ptrIsEEEESE_SE_sNS9_4plusIvEENS9_8equal_toIvEEsEE10hipError_tPvRmT2_T3_T4_T5_mT6_T7_P12ihipStream_tbENKUlT_T0_E_clISt17integral_constantIbLb1EESZ_EEDaSU_SV_EUlSU_E_NS1_11comp_targetILNS1_3genE2ELNS1_11target_archE906ELNS1_3gpuE6ELNS1_3repE0EEENS1_30default_config_static_selectorELNS0_4arch9wavefront6targetE1EEEvT1_,"axG",@progbits,_ZN7rocprim17ROCPRIM_400000_NS6detail17trampoline_kernelINS0_14default_configENS1_27scan_by_key_config_selectorIssEEZZNS1_16scan_by_key_implILNS1_25lookback_scan_determinismE0ELb0ES3_N6thrust23THRUST_200600_302600_NS6detail15normal_iteratorINS9_10device_ptrIsEEEESE_SE_sNS9_4plusIvEENS9_8equal_toIvEEsEE10hipError_tPvRmT2_T3_T4_T5_mT6_T7_P12ihipStream_tbENKUlT_T0_E_clISt17integral_constantIbLb1EESZ_EEDaSU_SV_EUlSU_E_NS1_11comp_targetILNS1_3genE2ELNS1_11target_archE906ELNS1_3gpuE6ELNS1_3repE0EEENS1_30default_config_static_selectorELNS0_4arch9wavefront6targetE1EEEvT1_,comdat
.Lfunc_end255:
	.size	_ZN7rocprim17ROCPRIM_400000_NS6detail17trampoline_kernelINS0_14default_configENS1_27scan_by_key_config_selectorIssEEZZNS1_16scan_by_key_implILNS1_25lookback_scan_determinismE0ELb0ES3_N6thrust23THRUST_200600_302600_NS6detail15normal_iteratorINS9_10device_ptrIsEEEESE_SE_sNS9_4plusIvEENS9_8equal_toIvEEsEE10hipError_tPvRmT2_T3_T4_T5_mT6_T7_P12ihipStream_tbENKUlT_T0_E_clISt17integral_constantIbLb1EESZ_EEDaSU_SV_EUlSU_E_NS1_11comp_targetILNS1_3genE2ELNS1_11target_archE906ELNS1_3gpuE6ELNS1_3repE0EEENS1_30default_config_static_selectorELNS0_4arch9wavefront6targetE1EEEvT1_, .Lfunc_end255-_ZN7rocprim17ROCPRIM_400000_NS6detail17trampoline_kernelINS0_14default_configENS1_27scan_by_key_config_selectorIssEEZZNS1_16scan_by_key_implILNS1_25lookback_scan_determinismE0ELb0ES3_N6thrust23THRUST_200600_302600_NS6detail15normal_iteratorINS9_10device_ptrIsEEEESE_SE_sNS9_4plusIvEENS9_8equal_toIvEEsEE10hipError_tPvRmT2_T3_T4_T5_mT6_T7_P12ihipStream_tbENKUlT_T0_E_clISt17integral_constantIbLb1EESZ_EEDaSU_SV_EUlSU_E_NS1_11comp_targetILNS1_3genE2ELNS1_11target_archE906ELNS1_3gpuE6ELNS1_3repE0EEENS1_30default_config_static_selectorELNS0_4arch9wavefront6targetE1EEEvT1_
                                        ; -- End function
	.section	.AMDGPU.csdata,"",@progbits
; Kernel info:
; codeLenInByte = 0
; NumSgprs: 4
; NumVgprs: 0
; NumAgprs: 0
; TotalNumVgprs: 0
; ScratchSize: 0
; MemoryBound: 0
; FloatMode: 240
; IeeeMode: 1
; LDSByteSize: 0 bytes/workgroup (compile time only)
; SGPRBlocks: 0
; VGPRBlocks: 0
; NumSGPRsForWavesPerEU: 4
; NumVGPRsForWavesPerEU: 1
; AccumOffset: 4
; Occupancy: 8
; WaveLimiterHint : 0
; COMPUTE_PGM_RSRC2:SCRATCH_EN: 0
; COMPUTE_PGM_RSRC2:USER_SGPR: 6
; COMPUTE_PGM_RSRC2:TRAP_HANDLER: 0
; COMPUTE_PGM_RSRC2:TGID_X_EN: 1
; COMPUTE_PGM_RSRC2:TGID_Y_EN: 0
; COMPUTE_PGM_RSRC2:TGID_Z_EN: 0
; COMPUTE_PGM_RSRC2:TIDIG_COMP_CNT: 0
; COMPUTE_PGM_RSRC3_GFX90A:ACCUM_OFFSET: 0
; COMPUTE_PGM_RSRC3_GFX90A:TG_SPLIT: 0
	.section	.text._ZN7rocprim17ROCPRIM_400000_NS6detail17trampoline_kernelINS0_14default_configENS1_27scan_by_key_config_selectorIssEEZZNS1_16scan_by_key_implILNS1_25lookback_scan_determinismE0ELb0ES3_N6thrust23THRUST_200600_302600_NS6detail15normal_iteratorINS9_10device_ptrIsEEEESE_SE_sNS9_4plusIvEENS9_8equal_toIvEEsEE10hipError_tPvRmT2_T3_T4_T5_mT6_T7_P12ihipStream_tbENKUlT_T0_E_clISt17integral_constantIbLb1EESZ_EEDaSU_SV_EUlSU_E_NS1_11comp_targetILNS1_3genE10ELNS1_11target_archE1200ELNS1_3gpuE4ELNS1_3repE0EEENS1_30default_config_static_selectorELNS0_4arch9wavefront6targetE1EEEvT1_,"axG",@progbits,_ZN7rocprim17ROCPRIM_400000_NS6detail17trampoline_kernelINS0_14default_configENS1_27scan_by_key_config_selectorIssEEZZNS1_16scan_by_key_implILNS1_25lookback_scan_determinismE0ELb0ES3_N6thrust23THRUST_200600_302600_NS6detail15normal_iteratorINS9_10device_ptrIsEEEESE_SE_sNS9_4plusIvEENS9_8equal_toIvEEsEE10hipError_tPvRmT2_T3_T4_T5_mT6_T7_P12ihipStream_tbENKUlT_T0_E_clISt17integral_constantIbLb1EESZ_EEDaSU_SV_EUlSU_E_NS1_11comp_targetILNS1_3genE10ELNS1_11target_archE1200ELNS1_3gpuE4ELNS1_3repE0EEENS1_30default_config_static_selectorELNS0_4arch9wavefront6targetE1EEEvT1_,comdat
	.protected	_ZN7rocprim17ROCPRIM_400000_NS6detail17trampoline_kernelINS0_14default_configENS1_27scan_by_key_config_selectorIssEEZZNS1_16scan_by_key_implILNS1_25lookback_scan_determinismE0ELb0ES3_N6thrust23THRUST_200600_302600_NS6detail15normal_iteratorINS9_10device_ptrIsEEEESE_SE_sNS9_4plusIvEENS9_8equal_toIvEEsEE10hipError_tPvRmT2_T3_T4_T5_mT6_T7_P12ihipStream_tbENKUlT_T0_E_clISt17integral_constantIbLb1EESZ_EEDaSU_SV_EUlSU_E_NS1_11comp_targetILNS1_3genE10ELNS1_11target_archE1200ELNS1_3gpuE4ELNS1_3repE0EEENS1_30default_config_static_selectorELNS0_4arch9wavefront6targetE1EEEvT1_ ; -- Begin function _ZN7rocprim17ROCPRIM_400000_NS6detail17trampoline_kernelINS0_14default_configENS1_27scan_by_key_config_selectorIssEEZZNS1_16scan_by_key_implILNS1_25lookback_scan_determinismE0ELb0ES3_N6thrust23THRUST_200600_302600_NS6detail15normal_iteratorINS9_10device_ptrIsEEEESE_SE_sNS9_4plusIvEENS9_8equal_toIvEEsEE10hipError_tPvRmT2_T3_T4_T5_mT6_T7_P12ihipStream_tbENKUlT_T0_E_clISt17integral_constantIbLb1EESZ_EEDaSU_SV_EUlSU_E_NS1_11comp_targetILNS1_3genE10ELNS1_11target_archE1200ELNS1_3gpuE4ELNS1_3repE0EEENS1_30default_config_static_selectorELNS0_4arch9wavefront6targetE1EEEvT1_
	.globl	_ZN7rocprim17ROCPRIM_400000_NS6detail17trampoline_kernelINS0_14default_configENS1_27scan_by_key_config_selectorIssEEZZNS1_16scan_by_key_implILNS1_25lookback_scan_determinismE0ELb0ES3_N6thrust23THRUST_200600_302600_NS6detail15normal_iteratorINS9_10device_ptrIsEEEESE_SE_sNS9_4plusIvEENS9_8equal_toIvEEsEE10hipError_tPvRmT2_T3_T4_T5_mT6_T7_P12ihipStream_tbENKUlT_T0_E_clISt17integral_constantIbLb1EESZ_EEDaSU_SV_EUlSU_E_NS1_11comp_targetILNS1_3genE10ELNS1_11target_archE1200ELNS1_3gpuE4ELNS1_3repE0EEENS1_30default_config_static_selectorELNS0_4arch9wavefront6targetE1EEEvT1_
	.p2align	8
	.type	_ZN7rocprim17ROCPRIM_400000_NS6detail17trampoline_kernelINS0_14default_configENS1_27scan_by_key_config_selectorIssEEZZNS1_16scan_by_key_implILNS1_25lookback_scan_determinismE0ELb0ES3_N6thrust23THRUST_200600_302600_NS6detail15normal_iteratorINS9_10device_ptrIsEEEESE_SE_sNS9_4plusIvEENS9_8equal_toIvEEsEE10hipError_tPvRmT2_T3_T4_T5_mT6_T7_P12ihipStream_tbENKUlT_T0_E_clISt17integral_constantIbLb1EESZ_EEDaSU_SV_EUlSU_E_NS1_11comp_targetILNS1_3genE10ELNS1_11target_archE1200ELNS1_3gpuE4ELNS1_3repE0EEENS1_30default_config_static_selectorELNS0_4arch9wavefront6targetE1EEEvT1_,@function
_ZN7rocprim17ROCPRIM_400000_NS6detail17trampoline_kernelINS0_14default_configENS1_27scan_by_key_config_selectorIssEEZZNS1_16scan_by_key_implILNS1_25lookback_scan_determinismE0ELb0ES3_N6thrust23THRUST_200600_302600_NS6detail15normal_iteratorINS9_10device_ptrIsEEEESE_SE_sNS9_4plusIvEENS9_8equal_toIvEEsEE10hipError_tPvRmT2_T3_T4_T5_mT6_T7_P12ihipStream_tbENKUlT_T0_E_clISt17integral_constantIbLb1EESZ_EEDaSU_SV_EUlSU_E_NS1_11comp_targetILNS1_3genE10ELNS1_11target_archE1200ELNS1_3gpuE4ELNS1_3repE0EEENS1_30default_config_static_selectorELNS0_4arch9wavefront6targetE1EEEvT1_: ; @_ZN7rocprim17ROCPRIM_400000_NS6detail17trampoline_kernelINS0_14default_configENS1_27scan_by_key_config_selectorIssEEZZNS1_16scan_by_key_implILNS1_25lookback_scan_determinismE0ELb0ES3_N6thrust23THRUST_200600_302600_NS6detail15normal_iteratorINS9_10device_ptrIsEEEESE_SE_sNS9_4plusIvEENS9_8equal_toIvEEsEE10hipError_tPvRmT2_T3_T4_T5_mT6_T7_P12ihipStream_tbENKUlT_T0_E_clISt17integral_constantIbLb1EESZ_EEDaSU_SV_EUlSU_E_NS1_11comp_targetILNS1_3genE10ELNS1_11target_archE1200ELNS1_3gpuE4ELNS1_3repE0EEENS1_30default_config_static_selectorELNS0_4arch9wavefront6targetE1EEEvT1_
; %bb.0:
	.section	.rodata,"a",@progbits
	.p2align	6, 0x0
	.amdhsa_kernel _ZN7rocprim17ROCPRIM_400000_NS6detail17trampoline_kernelINS0_14default_configENS1_27scan_by_key_config_selectorIssEEZZNS1_16scan_by_key_implILNS1_25lookback_scan_determinismE0ELb0ES3_N6thrust23THRUST_200600_302600_NS6detail15normal_iteratorINS9_10device_ptrIsEEEESE_SE_sNS9_4plusIvEENS9_8equal_toIvEEsEE10hipError_tPvRmT2_T3_T4_T5_mT6_T7_P12ihipStream_tbENKUlT_T0_E_clISt17integral_constantIbLb1EESZ_EEDaSU_SV_EUlSU_E_NS1_11comp_targetILNS1_3genE10ELNS1_11target_archE1200ELNS1_3gpuE4ELNS1_3repE0EEENS1_30default_config_static_selectorELNS0_4arch9wavefront6targetE1EEEvT1_
		.amdhsa_group_segment_fixed_size 0
		.amdhsa_private_segment_fixed_size 0
		.amdhsa_kernarg_size 112
		.amdhsa_user_sgpr_count 6
		.amdhsa_user_sgpr_private_segment_buffer 1
		.amdhsa_user_sgpr_dispatch_ptr 0
		.amdhsa_user_sgpr_queue_ptr 0
		.amdhsa_user_sgpr_kernarg_segment_ptr 1
		.amdhsa_user_sgpr_dispatch_id 0
		.amdhsa_user_sgpr_flat_scratch_init 0
		.amdhsa_user_sgpr_kernarg_preload_length 0
		.amdhsa_user_sgpr_kernarg_preload_offset 0
		.amdhsa_user_sgpr_private_segment_size 0
		.amdhsa_uses_dynamic_stack 0
		.amdhsa_system_sgpr_private_segment_wavefront_offset 0
		.amdhsa_system_sgpr_workgroup_id_x 1
		.amdhsa_system_sgpr_workgroup_id_y 0
		.amdhsa_system_sgpr_workgroup_id_z 0
		.amdhsa_system_sgpr_workgroup_info 0
		.amdhsa_system_vgpr_workitem_id 0
		.amdhsa_next_free_vgpr 1
		.amdhsa_next_free_sgpr 0
		.amdhsa_accum_offset 4
		.amdhsa_reserve_vcc 0
		.amdhsa_reserve_flat_scratch 0
		.amdhsa_float_round_mode_32 0
		.amdhsa_float_round_mode_16_64 0
		.amdhsa_float_denorm_mode_32 3
		.amdhsa_float_denorm_mode_16_64 3
		.amdhsa_dx10_clamp 1
		.amdhsa_ieee_mode 1
		.amdhsa_fp16_overflow 0
		.amdhsa_tg_split 0
		.amdhsa_exception_fp_ieee_invalid_op 0
		.amdhsa_exception_fp_denorm_src 0
		.amdhsa_exception_fp_ieee_div_zero 0
		.amdhsa_exception_fp_ieee_overflow 0
		.amdhsa_exception_fp_ieee_underflow 0
		.amdhsa_exception_fp_ieee_inexact 0
		.amdhsa_exception_int_div_zero 0
	.end_amdhsa_kernel
	.section	.text._ZN7rocprim17ROCPRIM_400000_NS6detail17trampoline_kernelINS0_14default_configENS1_27scan_by_key_config_selectorIssEEZZNS1_16scan_by_key_implILNS1_25lookback_scan_determinismE0ELb0ES3_N6thrust23THRUST_200600_302600_NS6detail15normal_iteratorINS9_10device_ptrIsEEEESE_SE_sNS9_4plusIvEENS9_8equal_toIvEEsEE10hipError_tPvRmT2_T3_T4_T5_mT6_T7_P12ihipStream_tbENKUlT_T0_E_clISt17integral_constantIbLb1EESZ_EEDaSU_SV_EUlSU_E_NS1_11comp_targetILNS1_3genE10ELNS1_11target_archE1200ELNS1_3gpuE4ELNS1_3repE0EEENS1_30default_config_static_selectorELNS0_4arch9wavefront6targetE1EEEvT1_,"axG",@progbits,_ZN7rocprim17ROCPRIM_400000_NS6detail17trampoline_kernelINS0_14default_configENS1_27scan_by_key_config_selectorIssEEZZNS1_16scan_by_key_implILNS1_25lookback_scan_determinismE0ELb0ES3_N6thrust23THRUST_200600_302600_NS6detail15normal_iteratorINS9_10device_ptrIsEEEESE_SE_sNS9_4plusIvEENS9_8equal_toIvEEsEE10hipError_tPvRmT2_T3_T4_T5_mT6_T7_P12ihipStream_tbENKUlT_T0_E_clISt17integral_constantIbLb1EESZ_EEDaSU_SV_EUlSU_E_NS1_11comp_targetILNS1_3genE10ELNS1_11target_archE1200ELNS1_3gpuE4ELNS1_3repE0EEENS1_30default_config_static_selectorELNS0_4arch9wavefront6targetE1EEEvT1_,comdat
.Lfunc_end256:
	.size	_ZN7rocprim17ROCPRIM_400000_NS6detail17trampoline_kernelINS0_14default_configENS1_27scan_by_key_config_selectorIssEEZZNS1_16scan_by_key_implILNS1_25lookback_scan_determinismE0ELb0ES3_N6thrust23THRUST_200600_302600_NS6detail15normal_iteratorINS9_10device_ptrIsEEEESE_SE_sNS9_4plusIvEENS9_8equal_toIvEEsEE10hipError_tPvRmT2_T3_T4_T5_mT6_T7_P12ihipStream_tbENKUlT_T0_E_clISt17integral_constantIbLb1EESZ_EEDaSU_SV_EUlSU_E_NS1_11comp_targetILNS1_3genE10ELNS1_11target_archE1200ELNS1_3gpuE4ELNS1_3repE0EEENS1_30default_config_static_selectorELNS0_4arch9wavefront6targetE1EEEvT1_, .Lfunc_end256-_ZN7rocprim17ROCPRIM_400000_NS6detail17trampoline_kernelINS0_14default_configENS1_27scan_by_key_config_selectorIssEEZZNS1_16scan_by_key_implILNS1_25lookback_scan_determinismE0ELb0ES3_N6thrust23THRUST_200600_302600_NS6detail15normal_iteratorINS9_10device_ptrIsEEEESE_SE_sNS9_4plusIvEENS9_8equal_toIvEEsEE10hipError_tPvRmT2_T3_T4_T5_mT6_T7_P12ihipStream_tbENKUlT_T0_E_clISt17integral_constantIbLb1EESZ_EEDaSU_SV_EUlSU_E_NS1_11comp_targetILNS1_3genE10ELNS1_11target_archE1200ELNS1_3gpuE4ELNS1_3repE0EEENS1_30default_config_static_selectorELNS0_4arch9wavefront6targetE1EEEvT1_
                                        ; -- End function
	.section	.AMDGPU.csdata,"",@progbits
; Kernel info:
; codeLenInByte = 0
; NumSgprs: 4
; NumVgprs: 0
; NumAgprs: 0
; TotalNumVgprs: 0
; ScratchSize: 0
; MemoryBound: 0
; FloatMode: 240
; IeeeMode: 1
; LDSByteSize: 0 bytes/workgroup (compile time only)
; SGPRBlocks: 0
; VGPRBlocks: 0
; NumSGPRsForWavesPerEU: 4
; NumVGPRsForWavesPerEU: 1
; AccumOffset: 4
; Occupancy: 8
; WaveLimiterHint : 0
; COMPUTE_PGM_RSRC2:SCRATCH_EN: 0
; COMPUTE_PGM_RSRC2:USER_SGPR: 6
; COMPUTE_PGM_RSRC2:TRAP_HANDLER: 0
; COMPUTE_PGM_RSRC2:TGID_X_EN: 1
; COMPUTE_PGM_RSRC2:TGID_Y_EN: 0
; COMPUTE_PGM_RSRC2:TGID_Z_EN: 0
; COMPUTE_PGM_RSRC2:TIDIG_COMP_CNT: 0
; COMPUTE_PGM_RSRC3_GFX90A:ACCUM_OFFSET: 0
; COMPUTE_PGM_RSRC3_GFX90A:TG_SPLIT: 0
	.section	.text._ZN7rocprim17ROCPRIM_400000_NS6detail17trampoline_kernelINS0_14default_configENS1_27scan_by_key_config_selectorIssEEZZNS1_16scan_by_key_implILNS1_25lookback_scan_determinismE0ELb0ES3_N6thrust23THRUST_200600_302600_NS6detail15normal_iteratorINS9_10device_ptrIsEEEESE_SE_sNS9_4plusIvEENS9_8equal_toIvEEsEE10hipError_tPvRmT2_T3_T4_T5_mT6_T7_P12ihipStream_tbENKUlT_T0_E_clISt17integral_constantIbLb1EESZ_EEDaSU_SV_EUlSU_E_NS1_11comp_targetILNS1_3genE9ELNS1_11target_archE1100ELNS1_3gpuE3ELNS1_3repE0EEENS1_30default_config_static_selectorELNS0_4arch9wavefront6targetE1EEEvT1_,"axG",@progbits,_ZN7rocprim17ROCPRIM_400000_NS6detail17trampoline_kernelINS0_14default_configENS1_27scan_by_key_config_selectorIssEEZZNS1_16scan_by_key_implILNS1_25lookback_scan_determinismE0ELb0ES3_N6thrust23THRUST_200600_302600_NS6detail15normal_iteratorINS9_10device_ptrIsEEEESE_SE_sNS9_4plusIvEENS9_8equal_toIvEEsEE10hipError_tPvRmT2_T3_T4_T5_mT6_T7_P12ihipStream_tbENKUlT_T0_E_clISt17integral_constantIbLb1EESZ_EEDaSU_SV_EUlSU_E_NS1_11comp_targetILNS1_3genE9ELNS1_11target_archE1100ELNS1_3gpuE3ELNS1_3repE0EEENS1_30default_config_static_selectorELNS0_4arch9wavefront6targetE1EEEvT1_,comdat
	.protected	_ZN7rocprim17ROCPRIM_400000_NS6detail17trampoline_kernelINS0_14default_configENS1_27scan_by_key_config_selectorIssEEZZNS1_16scan_by_key_implILNS1_25lookback_scan_determinismE0ELb0ES3_N6thrust23THRUST_200600_302600_NS6detail15normal_iteratorINS9_10device_ptrIsEEEESE_SE_sNS9_4plusIvEENS9_8equal_toIvEEsEE10hipError_tPvRmT2_T3_T4_T5_mT6_T7_P12ihipStream_tbENKUlT_T0_E_clISt17integral_constantIbLb1EESZ_EEDaSU_SV_EUlSU_E_NS1_11comp_targetILNS1_3genE9ELNS1_11target_archE1100ELNS1_3gpuE3ELNS1_3repE0EEENS1_30default_config_static_selectorELNS0_4arch9wavefront6targetE1EEEvT1_ ; -- Begin function _ZN7rocprim17ROCPRIM_400000_NS6detail17trampoline_kernelINS0_14default_configENS1_27scan_by_key_config_selectorIssEEZZNS1_16scan_by_key_implILNS1_25lookback_scan_determinismE0ELb0ES3_N6thrust23THRUST_200600_302600_NS6detail15normal_iteratorINS9_10device_ptrIsEEEESE_SE_sNS9_4plusIvEENS9_8equal_toIvEEsEE10hipError_tPvRmT2_T3_T4_T5_mT6_T7_P12ihipStream_tbENKUlT_T0_E_clISt17integral_constantIbLb1EESZ_EEDaSU_SV_EUlSU_E_NS1_11comp_targetILNS1_3genE9ELNS1_11target_archE1100ELNS1_3gpuE3ELNS1_3repE0EEENS1_30default_config_static_selectorELNS0_4arch9wavefront6targetE1EEEvT1_
	.globl	_ZN7rocprim17ROCPRIM_400000_NS6detail17trampoline_kernelINS0_14default_configENS1_27scan_by_key_config_selectorIssEEZZNS1_16scan_by_key_implILNS1_25lookback_scan_determinismE0ELb0ES3_N6thrust23THRUST_200600_302600_NS6detail15normal_iteratorINS9_10device_ptrIsEEEESE_SE_sNS9_4plusIvEENS9_8equal_toIvEEsEE10hipError_tPvRmT2_T3_T4_T5_mT6_T7_P12ihipStream_tbENKUlT_T0_E_clISt17integral_constantIbLb1EESZ_EEDaSU_SV_EUlSU_E_NS1_11comp_targetILNS1_3genE9ELNS1_11target_archE1100ELNS1_3gpuE3ELNS1_3repE0EEENS1_30default_config_static_selectorELNS0_4arch9wavefront6targetE1EEEvT1_
	.p2align	8
	.type	_ZN7rocprim17ROCPRIM_400000_NS6detail17trampoline_kernelINS0_14default_configENS1_27scan_by_key_config_selectorIssEEZZNS1_16scan_by_key_implILNS1_25lookback_scan_determinismE0ELb0ES3_N6thrust23THRUST_200600_302600_NS6detail15normal_iteratorINS9_10device_ptrIsEEEESE_SE_sNS9_4plusIvEENS9_8equal_toIvEEsEE10hipError_tPvRmT2_T3_T4_T5_mT6_T7_P12ihipStream_tbENKUlT_T0_E_clISt17integral_constantIbLb1EESZ_EEDaSU_SV_EUlSU_E_NS1_11comp_targetILNS1_3genE9ELNS1_11target_archE1100ELNS1_3gpuE3ELNS1_3repE0EEENS1_30default_config_static_selectorELNS0_4arch9wavefront6targetE1EEEvT1_,@function
_ZN7rocprim17ROCPRIM_400000_NS6detail17trampoline_kernelINS0_14default_configENS1_27scan_by_key_config_selectorIssEEZZNS1_16scan_by_key_implILNS1_25lookback_scan_determinismE0ELb0ES3_N6thrust23THRUST_200600_302600_NS6detail15normal_iteratorINS9_10device_ptrIsEEEESE_SE_sNS9_4plusIvEENS9_8equal_toIvEEsEE10hipError_tPvRmT2_T3_T4_T5_mT6_T7_P12ihipStream_tbENKUlT_T0_E_clISt17integral_constantIbLb1EESZ_EEDaSU_SV_EUlSU_E_NS1_11comp_targetILNS1_3genE9ELNS1_11target_archE1100ELNS1_3gpuE3ELNS1_3repE0EEENS1_30default_config_static_selectorELNS0_4arch9wavefront6targetE1EEEvT1_: ; @_ZN7rocprim17ROCPRIM_400000_NS6detail17trampoline_kernelINS0_14default_configENS1_27scan_by_key_config_selectorIssEEZZNS1_16scan_by_key_implILNS1_25lookback_scan_determinismE0ELb0ES3_N6thrust23THRUST_200600_302600_NS6detail15normal_iteratorINS9_10device_ptrIsEEEESE_SE_sNS9_4plusIvEENS9_8equal_toIvEEsEE10hipError_tPvRmT2_T3_T4_T5_mT6_T7_P12ihipStream_tbENKUlT_T0_E_clISt17integral_constantIbLb1EESZ_EEDaSU_SV_EUlSU_E_NS1_11comp_targetILNS1_3genE9ELNS1_11target_archE1100ELNS1_3gpuE3ELNS1_3repE0EEENS1_30default_config_static_selectorELNS0_4arch9wavefront6targetE1EEEvT1_
; %bb.0:
	.section	.rodata,"a",@progbits
	.p2align	6, 0x0
	.amdhsa_kernel _ZN7rocprim17ROCPRIM_400000_NS6detail17trampoline_kernelINS0_14default_configENS1_27scan_by_key_config_selectorIssEEZZNS1_16scan_by_key_implILNS1_25lookback_scan_determinismE0ELb0ES3_N6thrust23THRUST_200600_302600_NS6detail15normal_iteratorINS9_10device_ptrIsEEEESE_SE_sNS9_4plusIvEENS9_8equal_toIvEEsEE10hipError_tPvRmT2_T3_T4_T5_mT6_T7_P12ihipStream_tbENKUlT_T0_E_clISt17integral_constantIbLb1EESZ_EEDaSU_SV_EUlSU_E_NS1_11comp_targetILNS1_3genE9ELNS1_11target_archE1100ELNS1_3gpuE3ELNS1_3repE0EEENS1_30default_config_static_selectorELNS0_4arch9wavefront6targetE1EEEvT1_
		.amdhsa_group_segment_fixed_size 0
		.amdhsa_private_segment_fixed_size 0
		.amdhsa_kernarg_size 112
		.amdhsa_user_sgpr_count 6
		.amdhsa_user_sgpr_private_segment_buffer 1
		.amdhsa_user_sgpr_dispatch_ptr 0
		.amdhsa_user_sgpr_queue_ptr 0
		.amdhsa_user_sgpr_kernarg_segment_ptr 1
		.amdhsa_user_sgpr_dispatch_id 0
		.amdhsa_user_sgpr_flat_scratch_init 0
		.amdhsa_user_sgpr_kernarg_preload_length 0
		.amdhsa_user_sgpr_kernarg_preload_offset 0
		.amdhsa_user_sgpr_private_segment_size 0
		.amdhsa_uses_dynamic_stack 0
		.amdhsa_system_sgpr_private_segment_wavefront_offset 0
		.amdhsa_system_sgpr_workgroup_id_x 1
		.amdhsa_system_sgpr_workgroup_id_y 0
		.amdhsa_system_sgpr_workgroup_id_z 0
		.amdhsa_system_sgpr_workgroup_info 0
		.amdhsa_system_vgpr_workitem_id 0
		.amdhsa_next_free_vgpr 1
		.amdhsa_next_free_sgpr 0
		.amdhsa_accum_offset 4
		.amdhsa_reserve_vcc 0
		.amdhsa_reserve_flat_scratch 0
		.amdhsa_float_round_mode_32 0
		.amdhsa_float_round_mode_16_64 0
		.amdhsa_float_denorm_mode_32 3
		.amdhsa_float_denorm_mode_16_64 3
		.amdhsa_dx10_clamp 1
		.amdhsa_ieee_mode 1
		.amdhsa_fp16_overflow 0
		.amdhsa_tg_split 0
		.amdhsa_exception_fp_ieee_invalid_op 0
		.amdhsa_exception_fp_denorm_src 0
		.amdhsa_exception_fp_ieee_div_zero 0
		.amdhsa_exception_fp_ieee_overflow 0
		.amdhsa_exception_fp_ieee_underflow 0
		.amdhsa_exception_fp_ieee_inexact 0
		.amdhsa_exception_int_div_zero 0
	.end_amdhsa_kernel
	.section	.text._ZN7rocprim17ROCPRIM_400000_NS6detail17trampoline_kernelINS0_14default_configENS1_27scan_by_key_config_selectorIssEEZZNS1_16scan_by_key_implILNS1_25lookback_scan_determinismE0ELb0ES3_N6thrust23THRUST_200600_302600_NS6detail15normal_iteratorINS9_10device_ptrIsEEEESE_SE_sNS9_4plusIvEENS9_8equal_toIvEEsEE10hipError_tPvRmT2_T3_T4_T5_mT6_T7_P12ihipStream_tbENKUlT_T0_E_clISt17integral_constantIbLb1EESZ_EEDaSU_SV_EUlSU_E_NS1_11comp_targetILNS1_3genE9ELNS1_11target_archE1100ELNS1_3gpuE3ELNS1_3repE0EEENS1_30default_config_static_selectorELNS0_4arch9wavefront6targetE1EEEvT1_,"axG",@progbits,_ZN7rocprim17ROCPRIM_400000_NS6detail17trampoline_kernelINS0_14default_configENS1_27scan_by_key_config_selectorIssEEZZNS1_16scan_by_key_implILNS1_25lookback_scan_determinismE0ELb0ES3_N6thrust23THRUST_200600_302600_NS6detail15normal_iteratorINS9_10device_ptrIsEEEESE_SE_sNS9_4plusIvEENS9_8equal_toIvEEsEE10hipError_tPvRmT2_T3_T4_T5_mT6_T7_P12ihipStream_tbENKUlT_T0_E_clISt17integral_constantIbLb1EESZ_EEDaSU_SV_EUlSU_E_NS1_11comp_targetILNS1_3genE9ELNS1_11target_archE1100ELNS1_3gpuE3ELNS1_3repE0EEENS1_30default_config_static_selectorELNS0_4arch9wavefront6targetE1EEEvT1_,comdat
.Lfunc_end257:
	.size	_ZN7rocprim17ROCPRIM_400000_NS6detail17trampoline_kernelINS0_14default_configENS1_27scan_by_key_config_selectorIssEEZZNS1_16scan_by_key_implILNS1_25lookback_scan_determinismE0ELb0ES3_N6thrust23THRUST_200600_302600_NS6detail15normal_iteratorINS9_10device_ptrIsEEEESE_SE_sNS9_4plusIvEENS9_8equal_toIvEEsEE10hipError_tPvRmT2_T3_T4_T5_mT6_T7_P12ihipStream_tbENKUlT_T0_E_clISt17integral_constantIbLb1EESZ_EEDaSU_SV_EUlSU_E_NS1_11comp_targetILNS1_3genE9ELNS1_11target_archE1100ELNS1_3gpuE3ELNS1_3repE0EEENS1_30default_config_static_selectorELNS0_4arch9wavefront6targetE1EEEvT1_, .Lfunc_end257-_ZN7rocprim17ROCPRIM_400000_NS6detail17trampoline_kernelINS0_14default_configENS1_27scan_by_key_config_selectorIssEEZZNS1_16scan_by_key_implILNS1_25lookback_scan_determinismE0ELb0ES3_N6thrust23THRUST_200600_302600_NS6detail15normal_iteratorINS9_10device_ptrIsEEEESE_SE_sNS9_4plusIvEENS9_8equal_toIvEEsEE10hipError_tPvRmT2_T3_T4_T5_mT6_T7_P12ihipStream_tbENKUlT_T0_E_clISt17integral_constantIbLb1EESZ_EEDaSU_SV_EUlSU_E_NS1_11comp_targetILNS1_3genE9ELNS1_11target_archE1100ELNS1_3gpuE3ELNS1_3repE0EEENS1_30default_config_static_selectorELNS0_4arch9wavefront6targetE1EEEvT1_
                                        ; -- End function
	.section	.AMDGPU.csdata,"",@progbits
; Kernel info:
; codeLenInByte = 0
; NumSgprs: 4
; NumVgprs: 0
; NumAgprs: 0
; TotalNumVgprs: 0
; ScratchSize: 0
; MemoryBound: 0
; FloatMode: 240
; IeeeMode: 1
; LDSByteSize: 0 bytes/workgroup (compile time only)
; SGPRBlocks: 0
; VGPRBlocks: 0
; NumSGPRsForWavesPerEU: 4
; NumVGPRsForWavesPerEU: 1
; AccumOffset: 4
; Occupancy: 8
; WaveLimiterHint : 0
; COMPUTE_PGM_RSRC2:SCRATCH_EN: 0
; COMPUTE_PGM_RSRC2:USER_SGPR: 6
; COMPUTE_PGM_RSRC2:TRAP_HANDLER: 0
; COMPUTE_PGM_RSRC2:TGID_X_EN: 1
; COMPUTE_PGM_RSRC2:TGID_Y_EN: 0
; COMPUTE_PGM_RSRC2:TGID_Z_EN: 0
; COMPUTE_PGM_RSRC2:TIDIG_COMP_CNT: 0
; COMPUTE_PGM_RSRC3_GFX90A:ACCUM_OFFSET: 0
; COMPUTE_PGM_RSRC3_GFX90A:TG_SPLIT: 0
	.section	.text._ZN7rocprim17ROCPRIM_400000_NS6detail17trampoline_kernelINS0_14default_configENS1_27scan_by_key_config_selectorIssEEZZNS1_16scan_by_key_implILNS1_25lookback_scan_determinismE0ELb0ES3_N6thrust23THRUST_200600_302600_NS6detail15normal_iteratorINS9_10device_ptrIsEEEESE_SE_sNS9_4plusIvEENS9_8equal_toIvEEsEE10hipError_tPvRmT2_T3_T4_T5_mT6_T7_P12ihipStream_tbENKUlT_T0_E_clISt17integral_constantIbLb1EESZ_EEDaSU_SV_EUlSU_E_NS1_11comp_targetILNS1_3genE8ELNS1_11target_archE1030ELNS1_3gpuE2ELNS1_3repE0EEENS1_30default_config_static_selectorELNS0_4arch9wavefront6targetE1EEEvT1_,"axG",@progbits,_ZN7rocprim17ROCPRIM_400000_NS6detail17trampoline_kernelINS0_14default_configENS1_27scan_by_key_config_selectorIssEEZZNS1_16scan_by_key_implILNS1_25lookback_scan_determinismE0ELb0ES3_N6thrust23THRUST_200600_302600_NS6detail15normal_iteratorINS9_10device_ptrIsEEEESE_SE_sNS9_4plusIvEENS9_8equal_toIvEEsEE10hipError_tPvRmT2_T3_T4_T5_mT6_T7_P12ihipStream_tbENKUlT_T0_E_clISt17integral_constantIbLb1EESZ_EEDaSU_SV_EUlSU_E_NS1_11comp_targetILNS1_3genE8ELNS1_11target_archE1030ELNS1_3gpuE2ELNS1_3repE0EEENS1_30default_config_static_selectorELNS0_4arch9wavefront6targetE1EEEvT1_,comdat
	.protected	_ZN7rocprim17ROCPRIM_400000_NS6detail17trampoline_kernelINS0_14default_configENS1_27scan_by_key_config_selectorIssEEZZNS1_16scan_by_key_implILNS1_25lookback_scan_determinismE0ELb0ES3_N6thrust23THRUST_200600_302600_NS6detail15normal_iteratorINS9_10device_ptrIsEEEESE_SE_sNS9_4plusIvEENS9_8equal_toIvEEsEE10hipError_tPvRmT2_T3_T4_T5_mT6_T7_P12ihipStream_tbENKUlT_T0_E_clISt17integral_constantIbLb1EESZ_EEDaSU_SV_EUlSU_E_NS1_11comp_targetILNS1_3genE8ELNS1_11target_archE1030ELNS1_3gpuE2ELNS1_3repE0EEENS1_30default_config_static_selectorELNS0_4arch9wavefront6targetE1EEEvT1_ ; -- Begin function _ZN7rocprim17ROCPRIM_400000_NS6detail17trampoline_kernelINS0_14default_configENS1_27scan_by_key_config_selectorIssEEZZNS1_16scan_by_key_implILNS1_25lookback_scan_determinismE0ELb0ES3_N6thrust23THRUST_200600_302600_NS6detail15normal_iteratorINS9_10device_ptrIsEEEESE_SE_sNS9_4plusIvEENS9_8equal_toIvEEsEE10hipError_tPvRmT2_T3_T4_T5_mT6_T7_P12ihipStream_tbENKUlT_T0_E_clISt17integral_constantIbLb1EESZ_EEDaSU_SV_EUlSU_E_NS1_11comp_targetILNS1_3genE8ELNS1_11target_archE1030ELNS1_3gpuE2ELNS1_3repE0EEENS1_30default_config_static_selectorELNS0_4arch9wavefront6targetE1EEEvT1_
	.globl	_ZN7rocprim17ROCPRIM_400000_NS6detail17trampoline_kernelINS0_14default_configENS1_27scan_by_key_config_selectorIssEEZZNS1_16scan_by_key_implILNS1_25lookback_scan_determinismE0ELb0ES3_N6thrust23THRUST_200600_302600_NS6detail15normal_iteratorINS9_10device_ptrIsEEEESE_SE_sNS9_4plusIvEENS9_8equal_toIvEEsEE10hipError_tPvRmT2_T3_T4_T5_mT6_T7_P12ihipStream_tbENKUlT_T0_E_clISt17integral_constantIbLb1EESZ_EEDaSU_SV_EUlSU_E_NS1_11comp_targetILNS1_3genE8ELNS1_11target_archE1030ELNS1_3gpuE2ELNS1_3repE0EEENS1_30default_config_static_selectorELNS0_4arch9wavefront6targetE1EEEvT1_
	.p2align	8
	.type	_ZN7rocprim17ROCPRIM_400000_NS6detail17trampoline_kernelINS0_14default_configENS1_27scan_by_key_config_selectorIssEEZZNS1_16scan_by_key_implILNS1_25lookback_scan_determinismE0ELb0ES3_N6thrust23THRUST_200600_302600_NS6detail15normal_iteratorINS9_10device_ptrIsEEEESE_SE_sNS9_4plusIvEENS9_8equal_toIvEEsEE10hipError_tPvRmT2_T3_T4_T5_mT6_T7_P12ihipStream_tbENKUlT_T0_E_clISt17integral_constantIbLb1EESZ_EEDaSU_SV_EUlSU_E_NS1_11comp_targetILNS1_3genE8ELNS1_11target_archE1030ELNS1_3gpuE2ELNS1_3repE0EEENS1_30default_config_static_selectorELNS0_4arch9wavefront6targetE1EEEvT1_,@function
_ZN7rocprim17ROCPRIM_400000_NS6detail17trampoline_kernelINS0_14default_configENS1_27scan_by_key_config_selectorIssEEZZNS1_16scan_by_key_implILNS1_25lookback_scan_determinismE0ELb0ES3_N6thrust23THRUST_200600_302600_NS6detail15normal_iteratorINS9_10device_ptrIsEEEESE_SE_sNS9_4plusIvEENS9_8equal_toIvEEsEE10hipError_tPvRmT2_T3_T4_T5_mT6_T7_P12ihipStream_tbENKUlT_T0_E_clISt17integral_constantIbLb1EESZ_EEDaSU_SV_EUlSU_E_NS1_11comp_targetILNS1_3genE8ELNS1_11target_archE1030ELNS1_3gpuE2ELNS1_3repE0EEENS1_30default_config_static_selectorELNS0_4arch9wavefront6targetE1EEEvT1_: ; @_ZN7rocprim17ROCPRIM_400000_NS6detail17trampoline_kernelINS0_14default_configENS1_27scan_by_key_config_selectorIssEEZZNS1_16scan_by_key_implILNS1_25lookback_scan_determinismE0ELb0ES3_N6thrust23THRUST_200600_302600_NS6detail15normal_iteratorINS9_10device_ptrIsEEEESE_SE_sNS9_4plusIvEENS9_8equal_toIvEEsEE10hipError_tPvRmT2_T3_T4_T5_mT6_T7_P12ihipStream_tbENKUlT_T0_E_clISt17integral_constantIbLb1EESZ_EEDaSU_SV_EUlSU_E_NS1_11comp_targetILNS1_3genE8ELNS1_11target_archE1030ELNS1_3gpuE2ELNS1_3repE0EEENS1_30default_config_static_selectorELNS0_4arch9wavefront6targetE1EEEvT1_
; %bb.0:
	.section	.rodata,"a",@progbits
	.p2align	6, 0x0
	.amdhsa_kernel _ZN7rocprim17ROCPRIM_400000_NS6detail17trampoline_kernelINS0_14default_configENS1_27scan_by_key_config_selectorIssEEZZNS1_16scan_by_key_implILNS1_25lookback_scan_determinismE0ELb0ES3_N6thrust23THRUST_200600_302600_NS6detail15normal_iteratorINS9_10device_ptrIsEEEESE_SE_sNS9_4plusIvEENS9_8equal_toIvEEsEE10hipError_tPvRmT2_T3_T4_T5_mT6_T7_P12ihipStream_tbENKUlT_T0_E_clISt17integral_constantIbLb1EESZ_EEDaSU_SV_EUlSU_E_NS1_11comp_targetILNS1_3genE8ELNS1_11target_archE1030ELNS1_3gpuE2ELNS1_3repE0EEENS1_30default_config_static_selectorELNS0_4arch9wavefront6targetE1EEEvT1_
		.amdhsa_group_segment_fixed_size 0
		.amdhsa_private_segment_fixed_size 0
		.amdhsa_kernarg_size 112
		.amdhsa_user_sgpr_count 6
		.amdhsa_user_sgpr_private_segment_buffer 1
		.amdhsa_user_sgpr_dispatch_ptr 0
		.amdhsa_user_sgpr_queue_ptr 0
		.amdhsa_user_sgpr_kernarg_segment_ptr 1
		.amdhsa_user_sgpr_dispatch_id 0
		.amdhsa_user_sgpr_flat_scratch_init 0
		.amdhsa_user_sgpr_kernarg_preload_length 0
		.amdhsa_user_sgpr_kernarg_preload_offset 0
		.amdhsa_user_sgpr_private_segment_size 0
		.amdhsa_uses_dynamic_stack 0
		.amdhsa_system_sgpr_private_segment_wavefront_offset 0
		.amdhsa_system_sgpr_workgroup_id_x 1
		.amdhsa_system_sgpr_workgroup_id_y 0
		.amdhsa_system_sgpr_workgroup_id_z 0
		.amdhsa_system_sgpr_workgroup_info 0
		.amdhsa_system_vgpr_workitem_id 0
		.amdhsa_next_free_vgpr 1
		.amdhsa_next_free_sgpr 0
		.amdhsa_accum_offset 4
		.amdhsa_reserve_vcc 0
		.amdhsa_reserve_flat_scratch 0
		.amdhsa_float_round_mode_32 0
		.amdhsa_float_round_mode_16_64 0
		.amdhsa_float_denorm_mode_32 3
		.amdhsa_float_denorm_mode_16_64 3
		.amdhsa_dx10_clamp 1
		.amdhsa_ieee_mode 1
		.amdhsa_fp16_overflow 0
		.amdhsa_tg_split 0
		.amdhsa_exception_fp_ieee_invalid_op 0
		.amdhsa_exception_fp_denorm_src 0
		.amdhsa_exception_fp_ieee_div_zero 0
		.amdhsa_exception_fp_ieee_overflow 0
		.amdhsa_exception_fp_ieee_underflow 0
		.amdhsa_exception_fp_ieee_inexact 0
		.amdhsa_exception_int_div_zero 0
	.end_amdhsa_kernel
	.section	.text._ZN7rocprim17ROCPRIM_400000_NS6detail17trampoline_kernelINS0_14default_configENS1_27scan_by_key_config_selectorIssEEZZNS1_16scan_by_key_implILNS1_25lookback_scan_determinismE0ELb0ES3_N6thrust23THRUST_200600_302600_NS6detail15normal_iteratorINS9_10device_ptrIsEEEESE_SE_sNS9_4plusIvEENS9_8equal_toIvEEsEE10hipError_tPvRmT2_T3_T4_T5_mT6_T7_P12ihipStream_tbENKUlT_T0_E_clISt17integral_constantIbLb1EESZ_EEDaSU_SV_EUlSU_E_NS1_11comp_targetILNS1_3genE8ELNS1_11target_archE1030ELNS1_3gpuE2ELNS1_3repE0EEENS1_30default_config_static_selectorELNS0_4arch9wavefront6targetE1EEEvT1_,"axG",@progbits,_ZN7rocprim17ROCPRIM_400000_NS6detail17trampoline_kernelINS0_14default_configENS1_27scan_by_key_config_selectorIssEEZZNS1_16scan_by_key_implILNS1_25lookback_scan_determinismE0ELb0ES3_N6thrust23THRUST_200600_302600_NS6detail15normal_iteratorINS9_10device_ptrIsEEEESE_SE_sNS9_4plusIvEENS9_8equal_toIvEEsEE10hipError_tPvRmT2_T3_T4_T5_mT6_T7_P12ihipStream_tbENKUlT_T0_E_clISt17integral_constantIbLb1EESZ_EEDaSU_SV_EUlSU_E_NS1_11comp_targetILNS1_3genE8ELNS1_11target_archE1030ELNS1_3gpuE2ELNS1_3repE0EEENS1_30default_config_static_selectorELNS0_4arch9wavefront6targetE1EEEvT1_,comdat
.Lfunc_end258:
	.size	_ZN7rocprim17ROCPRIM_400000_NS6detail17trampoline_kernelINS0_14default_configENS1_27scan_by_key_config_selectorIssEEZZNS1_16scan_by_key_implILNS1_25lookback_scan_determinismE0ELb0ES3_N6thrust23THRUST_200600_302600_NS6detail15normal_iteratorINS9_10device_ptrIsEEEESE_SE_sNS9_4plusIvEENS9_8equal_toIvEEsEE10hipError_tPvRmT2_T3_T4_T5_mT6_T7_P12ihipStream_tbENKUlT_T0_E_clISt17integral_constantIbLb1EESZ_EEDaSU_SV_EUlSU_E_NS1_11comp_targetILNS1_3genE8ELNS1_11target_archE1030ELNS1_3gpuE2ELNS1_3repE0EEENS1_30default_config_static_selectorELNS0_4arch9wavefront6targetE1EEEvT1_, .Lfunc_end258-_ZN7rocprim17ROCPRIM_400000_NS6detail17trampoline_kernelINS0_14default_configENS1_27scan_by_key_config_selectorIssEEZZNS1_16scan_by_key_implILNS1_25lookback_scan_determinismE0ELb0ES3_N6thrust23THRUST_200600_302600_NS6detail15normal_iteratorINS9_10device_ptrIsEEEESE_SE_sNS9_4plusIvEENS9_8equal_toIvEEsEE10hipError_tPvRmT2_T3_T4_T5_mT6_T7_P12ihipStream_tbENKUlT_T0_E_clISt17integral_constantIbLb1EESZ_EEDaSU_SV_EUlSU_E_NS1_11comp_targetILNS1_3genE8ELNS1_11target_archE1030ELNS1_3gpuE2ELNS1_3repE0EEENS1_30default_config_static_selectorELNS0_4arch9wavefront6targetE1EEEvT1_
                                        ; -- End function
	.section	.AMDGPU.csdata,"",@progbits
; Kernel info:
; codeLenInByte = 0
; NumSgprs: 4
; NumVgprs: 0
; NumAgprs: 0
; TotalNumVgprs: 0
; ScratchSize: 0
; MemoryBound: 0
; FloatMode: 240
; IeeeMode: 1
; LDSByteSize: 0 bytes/workgroup (compile time only)
; SGPRBlocks: 0
; VGPRBlocks: 0
; NumSGPRsForWavesPerEU: 4
; NumVGPRsForWavesPerEU: 1
; AccumOffset: 4
; Occupancy: 8
; WaveLimiterHint : 0
; COMPUTE_PGM_RSRC2:SCRATCH_EN: 0
; COMPUTE_PGM_RSRC2:USER_SGPR: 6
; COMPUTE_PGM_RSRC2:TRAP_HANDLER: 0
; COMPUTE_PGM_RSRC2:TGID_X_EN: 1
; COMPUTE_PGM_RSRC2:TGID_Y_EN: 0
; COMPUTE_PGM_RSRC2:TGID_Z_EN: 0
; COMPUTE_PGM_RSRC2:TIDIG_COMP_CNT: 0
; COMPUTE_PGM_RSRC3_GFX90A:ACCUM_OFFSET: 0
; COMPUTE_PGM_RSRC3_GFX90A:TG_SPLIT: 0
	.section	.text._ZN7rocprim17ROCPRIM_400000_NS6detail30init_device_scan_by_key_kernelINS1_19lookback_scan_stateINS0_5tupleIJsbEEELb1ELb1EEEN6thrust23THRUST_200600_302600_NS6detail15normal_iteratorINS8_10device_ptrIsEEEEjNS1_16block_id_wrapperIjLb0EEEEEvT_jjPNSG_10value_typeET0_PNSt15iterator_traitsISJ_E10value_typeEmT1_T2_,"axG",@progbits,_ZN7rocprim17ROCPRIM_400000_NS6detail30init_device_scan_by_key_kernelINS1_19lookback_scan_stateINS0_5tupleIJsbEEELb1ELb1EEEN6thrust23THRUST_200600_302600_NS6detail15normal_iteratorINS8_10device_ptrIsEEEEjNS1_16block_id_wrapperIjLb0EEEEEvT_jjPNSG_10value_typeET0_PNSt15iterator_traitsISJ_E10value_typeEmT1_T2_,comdat
	.protected	_ZN7rocprim17ROCPRIM_400000_NS6detail30init_device_scan_by_key_kernelINS1_19lookback_scan_stateINS0_5tupleIJsbEEELb1ELb1EEEN6thrust23THRUST_200600_302600_NS6detail15normal_iteratorINS8_10device_ptrIsEEEEjNS1_16block_id_wrapperIjLb0EEEEEvT_jjPNSG_10value_typeET0_PNSt15iterator_traitsISJ_E10value_typeEmT1_T2_ ; -- Begin function _ZN7rocprim17ROCPRIM_400000_NS6detail30init_device_scan_by_key_kernelINS1_19lookback_scan_stateINS0_5tupleIJsbEEELb1ELb1EEEN6thrust23THRUST_200600_302600_NS6detail15normal_iteratorINS8_10device_ptrIsEEEEjNS1_16block_id_wrapperIjLb0EEEEEvT_jjPNSG_10value_typeET0_PNSt15iterator_traitsISJ_E10value_typeEmT1_T2_
	.globl	_ZN7rocprim17ROCPRIM_400000_NS6detail30init_device_scan_by_key_kernelINS1_19lookback_scan_stateINS0_5tupleIJsbEEELb1ELb1EEEN6thrust23THRUST_200600_302600_NS6detail15normal_iteratorINS8_10device_ptrIsEEEEjNS1_16block_id_wrapperIjLb0EEEEEvT_jjPNSG_10value_typeET0_PNSt15iterator_traitsISJ_E10value_typeEmT1_T2_
	.p2align	8
	.type	_ZN7rocprim17ROCPRIM_400000_NS6detail30init_device_scan_by_key_kernelINS1_19lookback_scan_stateINS0_5tupleIJsbEEELb1ELb1EEEN6thrust23THRUST_200600_302600_NS6detail15normal_iteratorINS8_10device_ptrIsEEEEjNS1_16block_id_wrapperIjLb0EEEEEvT_jjPNSG_10value_typeET0_PNSt15iterator_traitsISJ_E10value_typeEmT1_T2_,@function
_ZN7rocprim17ROCPRIM_400000_NS6detail30init_device_scan_by_key_kernelINS1_19lookback_scan_stateINS0_5tupleIJsbEEELb1ELb1EEEN6thrust23THRUST_200600_302600_NS6detail15normal_iteratorINS8_10device_ptrIsEEEEjNS1_16block_id_wrapperIjLb0EEEEEvT_jjPNSG_10value_typeET0_PNSt15iterator_traitsISJ_E10value_typeEmT1_T2_: ; @_ZN7rocprim17ROCPRIM_400000_NS6detail30init_device_scan_by_key_kernelINS1_19lookback_scan_stateINS0_5tupleIJsbEEELb1ELb1EEEN6thrust23THRUST_200600_302600_NS6detail15normal_iteratorINS8_10device_ptrIsEEEEjNS1_16block_id_wrapperIjLb0EEEEEvT_jjPNSG_10value_typeET0_PNSt15iterator_traitsISJ_E10value_typeEmT1_T2_
; %bb.0:
	s_load_dword s0, s[4:5], 0x44
	s_load_dwordx8 s[8:15], s[4:5], 0x0
	s_load_dword s7, s[4:5], 0x38
	s_waitcnt lgkmcnt(0)
	s_and_b32 s16, s0, 0xffff
	s_mul_i32 s6, s6, s16
	s_cmp_eq_u64 s[12:13], 0
	v_add_u32_e32 v0, s6, v0
	s_cbranch_scc1 .LBB259_9
; %bb.1:
	s_cmp_lt_u32 s11, s10
	s_cselect_b32 s0, s11, 0
	s_mov_b32 s3, 0
	v_cmp_eq_u32_e32 vcc, s0, v0
	s_and_saveexec_b64 s[0:1], vcc
	s_cbranch_execz .LBB259_8
; %bb.2:
	s_add_i32 s2, s11, 64
	s_lshl_b64 s[2:3], s[2:3], 3
	s_add_u32 s2, s8, s2
	s_addc_u32 s3, s9, s3
	v_mov_b32_e32 v2, 0
	global_load_dwordx2 v[4:5], v2, s[2:3] glc
	s_waitcnt vmcnt(0)
	v_and_b32_e32 v3, 0xff, v5
	v_cmp_ne_u64_e32 vcc, 0, v[2:3]
	s_cbranch_vccnz .LBB259_7
; %bb.3:
	s_mov_b32 s6, 1
.LBB259_4:                              ; =>This Loop Header: Depth=1
                                        ;     Child Loop BB259_5 Depth 2
	s_max_u32 s11, s6, 1
.LBB259_5:                              ;   Parent Loop BB259_4 Depth=1
                                        ; =>  This Inner Loop Header: Depth=2
	s_add_i32 s11, s11, -1
	s_cmp_eq_u32 s11, 0
	s_sleep 1
	s_cbranch_scc0 .LBB259_5
; %bb.6:                                ;   in Loop: Header=BB259_4 Depth=1
	global_load_dwordx2 v[4:5], v2, s[2:3] glc
	s_cmp_lt_u32 s6, 32
	s_cselect_b64 s[18:19], -1, 0
	s_cmp_lg_u64 s[18:19], 0
	s_addc_u32 s6, s6, 0
	s_waitcnt vmcnt(0)
	v_and_b32_e32 v3, 0xff, v5
	v_cmp_ne_u64_e32 vcc, 0, v[2:3]
	s_cbranch_vccz .LBB259_4
.LBB259_7:
	v_mov_b32_e32 v1, 0
	global_store_short v1, v4, s[12:13]
	global_store_byte_d16_hi v1, v4, s[12:13] offset:2
.LBB259_8:
	s_or_b64 exec, exec, s[0:1]
.LBB259_9:
	v_cmp_gt_u32_e32 vcc, s10, v0
	s_and_saveexec_b64 s[0:1], vcc
	s_cbranch_execz .LBB259_11
; %bb.10:
	v_add_u32_e32 v2, 64, v0
	v_mov_b32_e32 v3, 0
	v_lshlrev_b64 v[4:5], 3, v[2:3]
	v_mov_b32_e32 v1, s9
	v_add_co_u32_e32 v4, vcc, s8, v4
	v_addc_co_u32_e32 v5, vcc, v1, v5, vcc
	v_mov_b32_e32 v2, v3
	global_store_dwordx2 v[4:5], v[2:3], off
.LBB259_11:
	s_or_b64 exec, exec, s[0:1]
	v_cmp_gt_u32_e32 vcc, 64, v0
	v_mov_b32_e32 v1, 0
	s_and_saveexec_b64 s[0:1], vcc
	s_cbranch_execz .LBB259_13
; %bb.12:
	v_lshlrev_b64 v[2:3], 3, v[0:1]
	v_mov_b32_e32 v4, s9
	v_add_co_u32_e32 v2, vcc, s8, v2
	v_addc_co_u32_e32 v3, vcc, v4, v3, vcc
	v_mov_b32_e32 v5, 0xff
	v_mov_b32_e32 v4, v1
	global_store_dwordx2 v[2:3], v[4:5], off
.LBB259_13:
	s_or_b64 exec, exec, s[0:1]
	s_load_dwordx2 s[0:1], s[4:5], 0x28
	s_waitcnt lgkmcnt(0)
	v_cmp_gt_u64_e32 vcc, s[0:1], v[0:1]
	s_and_saveexec_b64 s[2:3], vcc
	s_cbranch_execz .LBB259_16
; %bb.14:
	s_load_dword s10, s[4:5], 0x30
	s_load_dwordx2 s[8:9], s[4:5], 0x20
	s_mov_b32 s5, 0
	s_mov_b32 s3, s5
	s_mul_i32 s2, s7, s16
	s_waitcnt lgkmcnt(0)
	s_add_i32 s4, s10, -1
	s_lshl_b64 s[4:5], s[4:5], 1
	v_mad_u64_u32 v[2:3], s[6:7], s10, v0, 0
	s_add_u32 s4, s14, s4
	v_lshlrev_b64 v[2:3], 1, v[2:3]
	s_addc_u32 s5, s15, s5
	v_mov_b32_e32 v4, s5
	v_add_co_u32_e32 v2, vcc, s4, v2
	v_addc_co_u32_e32 v3, vcc, v4, v3, vcc
	s_mul_hi_u32 s5, s10, s2
	s_mul_i32 s4, s10, s2
	v_lshlrev_b64 v[4:5], 1, v[0:1]
	s_lshl_b64 s[4:5], s[4:5], 1
	v_mov_b32_e32 v6, s9
	v_add_co_u32_e32 v4, vcc, s8, v4
	s_lshl_b64 s[6:7], s[2:3], 1
	v_addc_co_u32_e32 v5, vcc, v6, v5, vcc
	s_mov_b64 s[8:9], 0
	v_mov_b32_e32 v6, s3
	v_mov_b32_e32 v7, s5
	;; [unrolled: 1-line block ×3, first 2 shown]
.LBB259_15:                             ; =>This Inner Loop Header: Depth=1
	global_load_ushort v9, v[2:3], off
	v_add_co_u32_e32 v0, vcc, s2, v0
	v_addc_co_u32_e32 v1, vcc, v1, v6, vcc
	v_add_co_u32_e32 v2, vcc, s4, v2
	v_addc_co_u32_e32 v3, vcc, v3, v7, vcc
	v_cmp_le_u64_e32 vcc, s[0:1], v[0:1]
	s_or_b64 s[8:9], vcc, s[8:9]
	s_waitcnt vmcnt(0)
	global_store_short v[4:5], v9, off
	v_add_co_u32_e32 v4, vcc, s6, v4
	v_addc_co_u32_e32 v5, vcc, v5, v8, vcc
	s_andn2_b64 exec, exec, s[8:9]
	s_cbranch_execnz .LBB259_15
.LBB259_16:
	s_endpgm
	.section	.rodata,"a",@progbits
	.p2align	6, 0x0
	.amdhsa_kernel _ZN7rocprim17ROCPRIM_400000_NS6detail30init_device_scan_by_key_kernelINS1_19lookback_scan_stateINS0_5tupleIJsbEEELb1ELb1EEEN6thrust23THRUST_200600_302600_NS6detail15normal_iteratorINS8_10device_ptrIsEEEEjNS1_16block_id_wrapperIjLb0EEEEEvT_jjPNSG_10value_typeET0_PNSt15iterator_traitsISJ_E10value_typeEmT1_T2_
		.amdhsa_group_segment_fixed_size 0
		.amdhsa_private_segment_fixed_size 0
		.amdhsa_kernarg_size 312
		.amdhsa_user_sgpr_count 6
		.amdhsa_user_sgpr_private_segment_buffer 1
		.amdhsa_user_sgpr_dispatch_ptr 0
		.amdhsa_user_sgpr_queue_ptr 0
		.amdhsa_user_sgpr_kernarg_segment_ptr 1
		.amdhsa_user_sgpr_dispatch_id 0
		.amdhsa_user_sgpr_flat_scratch_init 0
		.amdhsa_user_sgpr_kernarg_preload_length 0
		.amdhsa_user_sgpr_kernarg_preload_offset 0
		.amdhsa_user_sgpr_private_segment_size 0
		.amdhsa_uses_dynamic_stack 0
		.amdhsa_system_sgpr_private_segment_wavefront_offset 0
		.amdhsa_system_sgpr_workgroup_id_x 1
		.amdhsa_system_sgpr_workgroup_id_y 0
		.amdhsa_system_sgpr_workgroup_id_z 0
		.amdhsa_system_sgpr_workgroup_info 0
		.amdhsa_system_vgpr_workitem_id 0
		.amdhsa_next_free_vgpr 10
		.amdhsa_next_free_sgpr 20
		.amdhsa_accum_offset 12
		.amdhsa_reserve_vcc 1
		.amdhsa_reserve_flat_scratch 0
		.amdhsa_float_round_mode_32 0
		.amdhsa_float_round_mode_16_64 0
		.amdhsa_float_denorm_mode_32 3
		.amdhsa_float_denorm_mode_16_64 3
		.amdhsa_dx10_clamp 1
		.amdhsa_ieee_mode 1
		.amdhsa_fp16_overflow 0
		.amdhsa_tg_split 0
		.amdhsa_exception_fp_ieee_invalid_op 0
		.amdhsa_exception_fp_denorm_src 0
		.amdhsa_exception_fp_ieee_div_zero 0
		.amdhsa_exception_fp_ieee_overflow 0
		.amdhsa_exception_fp_ieee_underflow 0
		.amdhsa_exception_fp_ieee_inexact 0
		.amdhsa_exception_int_div_zero 0
	.end_amdhsa_kernel
	.section	.text._ZN7rocprim17ROCPRIM_400000_NS6detail30init_device_scan_by_key_kernelINS1_19lookback_scan_stateINS0_5tupleIJsbEEELb1ELb1EEEN6thrust23THRUST_200600_302600_NS6detail15normal_iteratorINS8_10device_ptrIsEEEEjNS1_16block_id_wrapperIjLb0EEEEEvT_jjPNSG_10value_typeET0_PNSt15iterator_traitsISJ_E10value_typeEmT1_T2_,"axG",@progbits,_ZN7rocprim17ROCPRIM_400000_NS6detail30init_device_scan_by_key_kernelINS1_19lookback_scan_stateINS0_5tupleIJsbEEELb1ELb1EEEN6thrust23THRUST_200600_302600_NS6detail15normal_iteratorINS8_10device_ptrIsEEEEjNS1_16block_id_wrapperIjLb0EEEEEvT_jjPNSG_10value_typeET0_PNSt15iterator_traitsISJ_E10value_typeEmT1_T2_,comdat
.Lfunc_end259:
	.size	_ZN7rocprim17ROCPRIM_400000_NS6detail30init_device_scan_by_key_kernelINS1_19lookback_scan_stateINS0_5tupleIJsbEEELb1ELb1EEEN6thrust23THRUST_200600_302600_NS6detail15normal_iteratorINS8_10device_ptrIsEEEEjNS1_16block_id_wrapperIjLb0EEEEEvT_jjPNSG_10value_typeET0_PNSt15iterator_traitsISJ_E10value_typeEmT1_T2_, .Lfunc_end259-_ZN7rocprim17ROCPRIM_400000_NS6detail30init_device_scan_by_key_kernelINS1_19lookback_scan_stateINS0_5tupleIJsbEEELb1ELb1EEEN6thrust23THRUST_200600_302600_NS6detail15normal_iteratorINS8_10device_ptrIsEEEEjNS1_16block_id_wrapperIjLb0EEEEEvT_jjPNSG_10value_typeET0_PNSt15iterator_traitsISJ_E10value_typeEmT1_T2_
                                        ; -- End function
	.section	.AMDGPU.csdata,"",@progbits
; Kernel info:
; codeLenInByte = 548
; NumSgprs: 24
; NumVgprs: 10
; NumAgprs: 0
; TotalNumVgprs: 10
; ScratchSize: 0
; MemoryBound: 0
; FloatMode: 240
; IeeeMode: 1
; LDSByteSize: 0 bytes/workgroup (compile time only)
; SGPRBlocks: 2
; VGPRBlocks: 1
; NumSGPRsForWavesPerEU: 24
; NumVGPRsForWavesPerEU: 10
; AccumOffset: 12
; Occupancy: 8
; WaveLimiterHint : 0
; COMPUTE_PGM_RSRC2:SCRATCH_EN: 0
; COMPUTE_PGM_RSRC2:USER_SGPR: 6
; COMPUTE_PGM_RSRC2:TRAP_HANDLER: 0
; COMPUTE_PGM_RSRC2:TGID_X_EN: 1
; COMPUTE_PGM_RSRC2:TGID_Y_EN: 0
; COMPUTE_PGM_RSRC2:TGID_Z_EN: 0
; COMPUTE_PGM_RSRC2:TIDIG_COMP_CNT: 0
; COMPUTE_PGM_RSRC3_GFX90A:ACCUM_OFFSET: 2
; COMPUTE_PGM_RSRC3_GFX90A:TG_SPLIT: 0
	.section	.text._ZN7rocprim17ROCPRIM_400000_NS6detail30init_device_scan_by_key_kernelINS1_19lookback_scan_stateINS0_5tupleIJsbEEELb1ELb1EEENS1_16block_id_wrapperIjLb0EEEEEvT_jjPNS9_10value_typeET0_,"axG",@progbits,_ZN7rocprim17ROCPRIM_400000_NS6detail30init_device_scan_by_key_kernelINS1_19lookback_scan_stateINS0_5tupleIJsbEEELb1ELb1EEENS1_16block_id_wrapperIjLb0EEEEEvT_jjPNS9_10value_typeET0_,comdat
	.protected	_ZN7rocprim17ROCPRIM_400000_NS6detail30init_device_scan_by_key_kernelINS1_19lookback_scan_stateINS0_5tupleIJsbEEELb1ELb1EEENS1_16block_id_wrapperIjLb0EEEEEvT_jjPNS9_10value_typeET0_ ; -- Begin function _ZN7rocprim17ROCPRIM_400000_NS6detail30init_device_scan_by_key_kernelINS1_19lookback_scan_stateINS0_5tupleIJsbEEELb1ELb1EEENS1_16block_id_wrapperIjLb0EEEEEvT_jjPNS9_10value_typeET0_
	.globl	_ZN7rocprim17ROCPRIM_400000_NS6detail30init_device_scan_by_key_kernelINS1_19lookback_scan_stateINS0_5tupleIJsbEEELb1ELb1EEENS1_16block_id_wrapperIjLb0EEEEEvT_jjPNS9_10value_typeET0_
	.p2align	8
	.type	_ZN7rocprim17ROCPRIM_400000_NS6detail30init_device_scan_by_key_kernelINS1_19lookback_scan_stateINS0_5tupleIJsbEEELb1ELb1EEENS1_16block_id_wrapperIjLb0EEEEEvT_jjPNS9_10value_typeET0_,@function
_ZN7rocprim17ROCPRIM_400000_NS6detail30init_device_scan_by_key_kernelINS1_19lookback_scan_stateINS0_5tupleIJsbEEELb1ELb1EEENS1_16block_id_wrapperIjLb0EEEEEvT_jjPNS9_10value_typeET0_: ; @_ZN7rocprim17ROCPRIM_400000_NS6detail30init_device_scan_by_key_kernelINS1_19lookback_scan_stateINS0_5tupleIJsbEEELb1ELb1EEENS1_16block_id_wrapperIjLb0EEEEEvT_jjPNS9_10value_typeET0_
; %bb.0:
	s_load_dword s7, s[4:5], 0x2c
	s_load_dwordx2 s[8:9], s[4:5], 0x10
	s_load_dwordx4 s[0:3], s[4:5], 0x0
	s_waitcnt lgkmcnt(0)
	s_and_b32 s4, s7, 0xffff
	s_mul_i32 s6, s6, s4
	s_cmp_eq_u64 s[8:9], 0
	v_add_u32_e32 v0, s6, v0
	s_cbranch_scc1 .LBB260_9
; %bb.1:
	s_cmp_lt_u32 s3, s2
	s_cselect_b32 s4, s3, 0
	s_mov_b32 s7, 0
	v_cmp_eq_u32_e32 vcc, s4, v0
	s_and_saveexec_b64 s[4:5], vcc
	s_cbranch_execz .LBB260_8
; %bb.2:
	s_add_i32 s6, s3, 64
	s_lshl_b64 s[6:7], s[6:7], 3
	s_add_u32 s6, s0, s6
	s_addc_u32 s7, s1, s7
	v_mov_b32_e32 v2, 0
	global_load_dwordx2 v[4:5], v2, s[6:7] glc
	s_waitcnt vmcnt(0)
	v_and_b32_e32 v3, 0xff, v5
	v_cmp_ne_u64_e32 vcc, 0, v[2:3]
	s_cbranch_vccnz .LBB260_7
; %bb.3:
	s_mov_b32 s3, 1
.LBB260_4:                              ; =>This Loop Header: Depth=1
                                        ;     Child Loop BB260_5 Depth 2
	s_max_u32 s10, s3, 1
.LBB260_5:                              ;   Parent Loop BB260_4 Depth=1
                                        ; =>  This Inner Loop Header: Depth=2
	s_add_i32 s10, s10, -1
	s_cmp_eq_u32 s10, 0
	s_sleep 1
	s_cbranch_scc0 .LBB260_5
; %bb.6:                                ;   in Loop: Header=BB260_4 Depth=1
	global_load_dwordx2 v[4:5], v2, s[6:7] glc
	s_cmp_lt_u32 s3, 32
	s_cselect_b64 s[10:11], -1, 0
	s_cmp_lg_u64 s[10:11], 0
	s_addc_u32 s3, s3, 0
	s_waitcnt vmcnt(0)
	v_and_b32_e32 v3, 0xff, v5
	v_cmp_ne_u64_e32 vcc, 0, v[2:3]
	s_cbranch_vccz .LBB260_4
.LBB260_7:
	v_mov_b32_e32 v1, 0
	global_store_short v1, v4, s[8:9]
	global_store_byte_d16_hi v1, v4, s[8:9] offset:2
.LBB260_8:
	s_or_b64 exec, exec, s[4:5]
.LBB260_9:
	v_cmp_gt_u32_e32 vcc, s2, v0
	s_and_saveexec_b64 s[2:3], vcc
	s_cbranch_execnz .LBB260_12
; %bb.10:
	s_or_b64 exec, exec, s[2:3]
	v_cmp_gt_u32_e32 vcc, 64, v0
	s_and_saveexec_b64 s[2:3], vcc
	s_cbranch_execnz .LBB260_13
.LBB260_11:
	s_endpgm
.LBB260_12:
	v_add_u32_e32 v2, 64, v0
	v_mov_b32_e32 v3, 0
	v_lshlrev_b64 v[4:5], 3, v[2:3]
	v_mov_b32_e32 v1, s1
	v_add_co_u32_e32 v4, vcc, s0, v4
	v_addc_co_u32_e32 v5, vcc, v1, v5, vcc
	v_mov_b32_e32 v2, v3
	global_store_dwordx2 v[4:5], v[2:3], off
	s_or_b64 exec, exec, s[2:3]
	v_cmp_gt_u32_e32 vcc, 64, v0
	s_and_saveexec_b64 s[2:3], vcc
	s_cbranch_execz .LBB260_11
.LBB260_13:
	v_mov_b32_e32 v1, 0
	v_lshlrev_b64 v[2:3], 3, v[0:1]
	v_mov_b32_e32 v0, s1
	v_add_co_u32_e32 v2, vcc, s0, v2
	v_addc_co_u32_e32 v3, vcc, v0, v3, vcc
	v_mov_b32_e32 v5, 0xff
	v_mov_b32_e32 v4, v1
	global_store_dwordx2 v[2:3], v[4:5], off
	s_endpgm
	.section	.rodata,"a",@progbits
	.p2align	6, 0x0
	.amdhsa_kernel _ZN7rocprim17ROCPRIM_400000_NS6detail30init_device_scan_by_key_kernelINS1_19lookback_scan_stateINS0_5tupleIJsbEEELb1ELb1EEENS1_16block_id_wrapperIjLb0EEEEEvT_jjPNS9_10value_typeET0_
		.amdhsa_group_segment_fixed_size 0
		.amdhsa_private_segment_fixed_size 0
		.amdhsa_kernarg_size 288
		.amdhsa_user_sgpr_count 6
		.amdhsa_user_sgpr_private_segment_buffer 1
		.amdhsa_user_sgpr_dispatch_ptr 0
		.amdhsa_user_sgpr_queue_ptr 0
		.amdhsa_user_sgpr_kernarg_segment_ptr 1
		.amdhsa_user_sgpr_dispatch_id 0
		.amdhsa_user_sgpr_flat_scratch_init 0
		.amdhsa_user_sgpr_kernarg_preload_length 0
		.amdhsa_user_sgpr_kernarg_preload_offset 0
		.amdhsa_user_sgpr_private_segment_size 0
		.amdhsa_uses_dynamic_stack 0
		.amdhsa_system_sgpr_private_segment_wavefront_offset 0
		.amdhsa_system_sgpr_workgroup_id_x 1
		.amdhsa_system_sgpr_workgroup_id_y 0
		.amdhsa_system_sgpr_workgroup_id_z 0
		.amdhsa_system_sgpr_workgroup_info 0
		.amdhsa_system_vgpr_workitem_id 0
		.amdhsa_next_free_vgpr 6
		.amdhsa_next_free_sgpr 12
		.amdhsa_accum_offset 8
		.amdhsa_reserve_vcc 1
		.amdhsa_reserve_flat_scratch 0
		.amdhsa_float_round_mode_32 0
		.amdhsa_float_round_mode_16_64 0
		.amdhsa_float_denorm_mode_32 3
		.amdhsa_float_denorm_mode_16_64 3
		.amdhsa_dx10_clamp 1
		.amdhsa_ieee_mode 1
		.amdhsa_fp16_overflow 0
		.amdhsa_tg_split 0
		.amdhsa_exception_fp_ieee_invalid_op 0
		.amdhsa_exception_fp_denorm_src 0
		.amdhsa_exception_fp_ieee_div_zero 0
		.amdhsa_exception_fp_ieee_overflow 0
		.amdhsa_exception_fp_ieee_underflow 0
		.amdhsa_exception_fp_ieee_inexact 0
		.amdhsa_exception_int_div_zero 0
	.end_amdhsa_kernel
	.section	.text._ZN7rocprim17ROCPRIM_400000_NS6detail30init_device_scan_by_key_kernelINS1_19lookback_scan_stateINS0_5tupleIJsbEEELb1ELb1EEENS1_16block_id_wrapperIjLb0EEEEEvT_jjPNS9_10value_typeET0_,"axG",@progbits,_ZN7rocprim17ROCPRIM_400000_NS6detail30init_device_scan_by_key_kernelINS1_19lookback_scan_stateINS0_5tupleIJsbEEELb1ELb1EEENS1_16block_id_wrapperIjLb0EEEEEvT_jjPNS9_10value_typeET0_,comdat
.Lfunc_end260:
	.size	_ZN7rocprim17ROCPRIM_400000_NS6detail30init_device_scan_by_key_kernelINS1_19lookback_scan_stateINS0_5tupleIJsbEEELb1ELb1EEENS1_16block_id_wrapperIjLb0EEEEEvT_jjPNS9_10value_typeET0_, .Lfunc_end260-_ZN7rocprim17ROCPRIM_400000_NS6detail30init_device_scan_by_key_kernelINS1_19lookback_scan_stateINS0_5tupleIJsbEEELb1ELb1EEENS1_16block_id_wrapperIjLb0EEEEEvT_jjPNS9_10value_typeET0_
                                        ; -- End function
	.section	.AMDGPU.csdata,"",@progbits
; Kernel info:
; codeLenInByte = 352
; NumSgprs: 16
; NumVgprs: 6
; NumAgprs: 0
; TotalNumVgprs: 6
; ScratchSize: 0
; MemoryBound: 0
; FloatMode: 240
; IeeeMode: 1
; LDSByteSize: 0 bytes/workgroup (compile time only)
; SGPRBlocks: 1
; VGPRBlocks: 0
; NumSGPRsForWavesPerEU: 16
; NumVGPRsForWavesPerEU: 6
; AccumOffset: 8
; Occupancy: 8
; WaveLimiterHint : 0
; COMPUTE_PGM_RSRC2:SCRATCH_EN: 0
; COMPUTE_PGM_RSRC2:USER_SGPR: 6
; COMPUTE_PGM_RSRC2:TRAP_HANDLER: 0
; COMPUTE_PGM_RSRC2:TGID_X_EN: 1
; COMPUTE_PGM_RSRC2:TGID_Y_EN: 0
; COMPUTE_PGM_RSRC2:TGID_Z_EN: 0
; COMPUTE_PGM_RSRC2:TIDIG_COMP_CNT: 0
; COMPUTE_PGM_RSRC3_GFX90A:ACCUM_OFFSET: 1
; COMPUTE_PGM_RSRC3_GFX90A:TG_SPLIT: 0
	.section	.text._ZN7rocprim17ROCPRIM_400000_NS6detail17trampoline_kernelINS0_14default_configENS1_27scan_by_key_config_selectorIssEEZZNS1_16scan_by_key_implILNS1_25lookback_scan_determinismE0ELb0ES3_N6thrust23THRUST_200600_302600_NS6detail15normal_iteratorINS9_10device_ptrIsEEEESE_SE_sNS9_4plusIvEENS9_8equal_toIvEEsEE10hipError_tPvRmT2_T3_T4_T5_mT6_T7_P12ihipStream_tbENKUlT_T0_E_clISt17integral_constantIbLb1EESY_IbLb0EEEEDaSU_SV_EUlSU_E_NS1_11comp_targetILNS1_3genE0ELNS1_11target_archE4294967295ELNS1_3gpuE0ELNS1_3repE0EEENS1_30default_config_static_selectorELNS0_4arch9wavefront6targetE1EEEvT1_,"axG",@progbits,_ZN7rocprim17ROCPRIM_400000_NS6detail17trampoline_kernelINS0_14default_configENS1_27scan_by_key_config_selectorIssEEZZNS1_16scan_by_key_implILNS1_25lookback_scan_determinismE0ELb0ES3_N6thrust23THRUST_200600_302600_NS6detail15normal_iteratorINS9_10device_ptrIsEEEESE_SE_sNS9_4plusIvEENS9_8equal_toIvEEsEE10hipError_tPvRmT2_T3_T4_T5_mT6_T7_P12ihipStream_tbENKUlT_T0_E_clISt17integral_constantIbLb1EESY_IbLb0EEEEDaSU_SV_EUlSU_E_NS1_11comp_targetILNS1_3genE0ELNS1_11target_archE4294967295ELNS1_3gpuE0ELNS1_3repE0EEENS1_30default_config_static_selectorELNS0_4arch9wavefront6targetE1EEEvT1_,comdat
	.protected	_ZN7rocprim17ROCPRIM_400000_NS6detail17trampoline_kernelINS0_14default_configENS1_27scan_by_key_config_selectorIssEEZZNS1_16scan_by_key_implILNS1_25lookback_scan_determinismE0ELb0ES3_N6thrust23THRUST_200600_302600_NS6detail15normal_iteratorINS9_10device_ptrIsEEEESE_SE_sNS9_4plusIvEENS9_8equal_toIvEEsEE10hipError_tPvRmT2_T3_T4_T5_mT6_T7_P12ihipStream_tbENKUlT_T0_E_clISt17integral_constantIbLb1EESY_IbLb0EEEEDaSU_SV_EUlSU_E_NS1_11comp_targetILNS1_3genE0ELNS1_11target_archE4294967295ELNS1_3gpuE0ELNS1_3repE0EEENS1_30default_config_static_selectorELNS0_4arch9wavefront6targetE1EEEvT1_ ; -- Begin function _ZN7rocprim17ROCPRIM_400000_NS6detail17trampoline_kernelINS0_14default_configENS1_27scan_by_key_config_selectorIssEEZZNS1_16scan_by_key_implILNS1_25lookback_scan_determinismE0ELb0ES3_N6thrust23THRUST_200600_302600_NS6detail15normal_iteratorINS9_10device_ptrIsEEEESE_SE_sNS9_4plusIvEENS9_8equal_toIvEEsEE10hipError_tPvRmT2_T3_T4_T5_mT6_T7_P12ihipStream_tbENKUlT_T0_E_clISt17integral_constantIbLb1EESY_IbLb0EEEEDaSU_SV_EUlSU_E_NS1_11comp_targetILNS1_3genE0ELNS1_11target_archE4294967295ELNS1_3gpuE0ELNS1_3repE0EEENS1_30default_config_static_selectorELNS0_4arch9wavefront6targetE1EEEvT1_
	.globl	_ZN7rocprim17ROCPRIM_400000_NS6detail17trampoline_kernelINS0_14default_configENS1_27scan_by_key_config_selectorIssEEZZNS1_16scan_by_key_implILNS1_25lookback_scan_determinismE0ELb0ES3_N6thrust23THRUST_200600_302600_NS6detail15normal_iteratorINS9_10device_ptrIsEEEESE_SE_sNS9_4plusIvEENS9_8equal_toIvEEsEE10hipError_tPvRmT2_T3_T4_T5_mT6_T7_P12ihipStream_tbENKUlT_T0_E_clISt17integral_constantIbLb1EESY_IbLb0EEEEDaSU_SV_EUlSU_E_NS1_11comp_targetILNS1_3genE0ELNS1_11target_archE4294967295ELNS1_3gpuE0ELNS1_3repE0EEENS1_30default_config_static_selectorELNS0_4arch9wavefront6targetE1EEEvT1_
	.p2align	8
	.type	_ZN7rocprim17ROCPRIM_400000_NS6detail17trampoline_kernelINS0_14default_configENS1_27scan_by_key_config_selectorIssEEZZNS1_16scan_by_key_implILNS1_25lookback_scan_determinismE0ELb0ES3_N6thrust23THRUST_200600_302600_NS6detail15normal_iteratorINS9_10device_ptrIsEEEESE_SE_sNS9_4plusIvEENS9_8equal_toIvEEsEE10hipError_tPvRmT2_T3_T4_T5_mT6_T7_P12ihipStream_tbENKUlT_T0_E_clISt17integral_constantIbLb1EESY_IbLb0EEEEDaSU_SV_EUlSU_E_NS1_11comp_targetILNS1_3genE0ELNS1_11target_archE4294967295ELNS1_3gpuE0ELNS1_3repE0EEENS1_30default_config_static_selectorELNS0_4arch9wavefront6targetE1EEEvT1_,@function
_ZN7rocprim17ROCPRIM_400000_NS6detail17trampoline_kernelINS0_14default_configENS1_27scan_by_key_config_selectorIssEEZZNS1_16scan_by_key_implILNS1_25lookback_scan_determinismE0ELb0ES3_N6thrust23THRUST_200600_302600_NS6detail15normal_iteratorINS9_10device_ptrIsEEEESE_SE_sNS9_4plusIvEENS9_8equal_toIvEEsEE10hipError_tPvRmT2_T3_T4_T5_mT6_T7_P12ihipStream_tbENKUlT_T0_E_clISt17integral_constantIbLb1EESY_IbLb0EEEEDaSU_SV_EUlSU_E_NS1_11comp_targetILNS1_3genE0ELNS1_11target_archE4294967295ELNS1_3gpuE0ELNS1_3repE0EEENS1_30default_config_static_selectorELNS0_4arch9wavefront6targetE1EEEvT1_: ; @_ZN7rocprim17ROCPRIM_400000_NS6detail17trampoline_kernelINS0_14default_configENS1_27scan_by_key_config_selectorIssEEZZNS1_16scan_by_key_implILNS1_25lookback_scan_determinismE0ELb0ES3_N6thrust23THRUST_200600_302600_NS6detail15normal_iteratorINS9_10device_ptrIsEEEESE_SE_sNS9_4plusIvEENS9_8equal_toIvEEsEE10hipError_tPvRmT2_T3_T4_T5_mT6_T7_P12ihipStream_tbENKUlT_T0_E_clISt17integral_constantIbLb1EESY_IbLb0EEEEDaSU_SV_EUlSU_E_NS1_11comp_targetILNS1_3genE0ELNS1_11target_archE4294967295ELNS1_3gpuE0ELNS1_3repE0EEENS1_30default_config_static_selectorELNS0_4arch9wavefront6targetE1EEEvT1_
; %bb.0:
	.section	.rodata,"a",@progbits
	.p2align	6, 0x0
	.amdhsa_kernel _ZN7rocprim17ROCPRIM_400000_NS6detail17trampoline_kernelINS0_14default_configENS1_27scan_by_key_config_selectorIssEEZZNS1_16scan_by_key_implILNS1_25lookback_scan_determinismE0ELb0ES3_N6thrust23THRUST_200600_302600_NS6detail15normal_iteratorINS9_10device_ptrIsEEEESE_SE_sNS9_4plusIvEENS9_8equal_toIvEEsEE10hipError_tPvRmT2_T3_T4_T5_mT6_T7_P12ihipStream_tbENKUlT_T0_E_clISt17integral_constantIbLb1EESY_IbLb0EEEEDaSU_SV_EUlSU_E_NS1_11comp_targetILNS1_3genE0ELNS1_11target_archE4294967295ELNS1_3gpuE0ELNS1_3repE0EEENS1_30default_config_static_selectorELNS0_4arch9wavefront6targetE1EEEvT1_
		.amdhsa_group_segment_fixed_size 0
		.amdhsa_private_segment_fixed_size 0
		.amdhsa_kernarg_size 112
		.amdhsa_user_sgpr_count 6
		.amdhsa_user_sgpr_private_segment_buffer 1
		.amdhsa_user_sgpr_dispatch_ptr 0
		.amdhsa_user_sgpr_queue_ptr 0
		.amdhsa_user_sgpr_kernarg_segment_ptr 1
		.amdhsa_user_sgpr_dispatch_id 0
		.amdhsa_user_sgpr_flat_scratch_init 0
		.amdhsa_user_sgpr_kernarg_preload_length 0
		.amdhsa_user_sgpr_kernarg_preload_offset 0
		.amdhsa_user_sgpr_private_segment_size 0
		.amdhsa_uses_dynamic_stack 0
		.amdhsa_system_sgpr_private_segment_wavefront_offset 0
		.amdhsa_system_sgpr_workgroup_id_x 1
		.amdhsa_system_sgpr_workgroup_id_y 0
		.amdhsa_system_sgpr_workgroup_id_z 0
		.amdhsa_system_sgpr_workgroup_info 0
		.amdhsa_system_vgpr_workitem_id 0
		.amdhsa_next_free_vgpr 1
		.amdhsa_next_free_sgpr 0
		.amdhsa_accum_offset 4
		.amdhsa_reserve_vcc 0
		.amdhsa_reserve_flat_scratch 0
		.amdhsa_float_round_mode_32 0
		.amdhsa_float_round_mode_16_64 0
		.amdhsa_float_denorm_mode_32 3
		.amdhsa_float_denorm_mode_16_64 3
		.amdhsa_dx10_clamp 1
		.amdhsa_ieee_mode 1
		.amdhsa_fp16_overflow 0
		.amdhsa_tg_split 0
		.amdhsa_exception_fp_ieee_invalid_op 0
		.amdhsa_exception_fp_denorm_src 0
		.amdhsa_exception_fp_ieee_div_zero 0
		.amdhsa_exception_fp_ieee_overflow 0
		.amdhsa_exception_fp_ieee_underflow 0
		.amdhsa_exception_fp_ieee_inexact 0
		.amdhsa_exception_int_div_zero 0
	.end_amdhsa_kernel
	.section	.text._ZN7rocprim17ROCPRIM_400000_NS6detail17trampoline_kernelINS0_14default_configENS1_27scan_by_key_config_selectorIssEEZZNS1_16scan_by_key_implILNS1_25lookback_scan_determinismE0ELb0ES3_N6thrust23THRUST_200600_302600_NS6detail15normal_iteratorINS9_10device_ptrIsEEEESE_SE_sNS9_4plusIvEENS9_8equal_toIvEEsEE10hipError_tPvRmT2_T3_T4_T5_mT6_T7_P12ihipStream_tbENKUlT_T0_E_clISt17integral_constantIbLb1EESY_IbLb0EEEEDaSU_SV_EUlSU_E_NS1_11comp_targetILNS1_3genE0ELNS1_11target_archE4294967295ELNS1_3gpuE0ELNS1_3repE0EEENS1_30default_config_static_selectorELNS0_4arch9wavefront6targetE1EEEvT1_,"axG",@progbits,_ZN7rocprim17ROCPRIM_400000_NS6detail17trampoline_kernelINS0_14default_configENS1_27scan_by_key_config_selectorIssEEZZNS1_16scan_by_key_implILNS1_25lookback_scan_determinismE0ELb0ES3_N6thrust23THRUST_200600_302600_NS6detail15normal_iteratorINS9_10device_ptrIsEEEESE_SE_sNS9_4plusIvEENS9_8equal_toIvEEsEE10hipError_tPvRmT2_T3_T4_T5_mT6_T7_P12ihipStream_tbENKUlT_T0_E_clISt17integral_constantIbLb1EESY_IbLb0EEEEDaSU_SV_EUlSU_E_NS1_11comp_targetILNS1_3genE0ELNS1_11target_archE4294967295ELNS1_3gpuE0ELNS1_3repE0EEENS1_30default_config_static_selectorELNS0_4arch9wavefront6targetE1EEEvT1_,comdat
.Lfunc_end261:
	.size	_ZN7rocprim17ROCPRIM_400000_NS6detail17trampoline_kernelINS0_14default_configENS1_27scan_by_key_config_selectorIssEEZZNS1_16scan_by_key_implILNS1_25lookback_scan_determinismE0ELb0ES3_N6thrust23THRUST_200600_302600_NS6detail15normal_iteratorINS9_10device_ptrIsEEEESE_SE_sNS9_4plusIvEENS9_8equal_toIvEEsEE10hipError_tPvRmT2_T3_T4_T5_mT6_T7_P12ihipStream_tbENKUlT_T0_E_clISt17integral_constantIbLb1EESY_IbLb0EEEEDaSU_SV_EUlSU_E_NS1_11comp_targetILNS1_3genE0ELNS1_11target_archE4294967295ELNS1_3gpuE0ELNS1_3repE0EEENS1_30default_config_static_selectorELNS0_4arch9wavefront6targetE1EEEvT1_, .Lfunc_end261-_ZN7rocprim17ROCPRIM_400000_NS6detail17trampoline_kernelINS0_14default_configENS1_27scan_by_key_config_selectorIssEEZZNS1_16scan_by_key_implILNS1_25lookback_scan_determinismE0ELb0ES3_N6thrust23THRUST_200600_302600_NS6detail15normal_iteratorINS9_10device_ptrIsEEEESE_SE_sNS9_4plusIvEENS9_8equal_toIvEEsEE10hipError_tPvRmT2_T3_T4_T5_mT6_T7_P12ihipStream_tbENKUlT_T0_E_clISt17integral_constantIbLb1EESY_IbLb0EEEEDaSU_SV_EUlSU_E_NS1_11comp_targetILNS1_3genE0ELNS1_11target_archE4294967295ELNS1_3gpuE0ELNS1_3repE0EEENS1_30default_config_static_selectorELNS0_4arch9wavefront6targetE1EEEvT1_
                                        ; -- End function
	.section	.AMDGPU.csdata,"",@progbits
; Kernel info:
; codeLenInByte = 0
; NumSgprs: 4
; NumVgprs: 0
; NumAgprs: 0
; TotalNumVgprs: 0
; ScratchSize: 0
; MemoryBound: 0
; FloatMode: 240
; IeeeMode: 1
; LDSByteSize: 0 bytes/workgroup (compile time only)
; SGPRBlocks: 0
; VGPRBlocks: 0
; NumSGPRsForWavesPerEU: 4
; NumVGPRsForWavesPerEU: 1
; AccumOffset: 4
; Occupancy: 8
; WaveLimiterHint : 0
; COMPUTE_PGM_RSRC2:SCRATCH_EN: 0
; COMPUTE_PGM_RSRC2:USER_SGPR: 6
; COMPUTE_PGM_RSRC2:TRAP_HANDLER: 0
; COMPUTE_PGM_RSRC2:TGID_X_EN: 1
; COMPUTE_PGM_RSRC2:TGID_Y_EN: 0
; COMPUTE_PGM_RSRC2:TGID_Z_EN: 0
; COMPUTE_PGM_RSRC2:TIDIG_COMP_CNT: 0
; COMPUTE_PGM_RSRC3_GFX90A:ACCUM_OFFSET: 0
; COMPUTE_PGM_RSRC3_GFX90A:TG_SPLIT: 0
	.section	.text._ZN7rocprim17ROCPRIM_400000_NS6detail17trampoline_kernelINS0_14default_configENS1_27scan_by_key_config_selectorIssEEZZNS1_16scan_by_key_implILNS1_25lookback_scan_determinismE0ELb0ES3_N6thrust23THRUST_200600_302600_NS6detail15normal_iteratorINS9_10device_ptrIsEEEESE_SE_sNS9_4plusIvEENS9_8equal_toIvEEsEE10hipError_tPvRmT2_T3_T4_T5_mT6_T7_P12ihipStream_tbENKUlT_T0_E_clISt17integral_constantIbLb1EESY_IbLb0EEEEDaSU_SV_EUlSU_E_NS1_11comp_targetILNS1_3genE10ELNS1_11target_archE1201ELNS1_3gpuE5ELNS1_3repE0EEENS1_30default_config_static_selectorELNS0_4arch9wavefront6targetE1EEEvT1_,"axG",@progbits,_ZN7rocprim17ROCPRIM_400000_NS6detail17trampoline_kernelINS0_14default_configENS1_27scan_by_key_config_selectorIssEEZZNS1_16scan_by_key_implILNS1_25lookback_scan_determinismE0ELb0ES3_N6thrust23THRUST_200600_302600_NS6detail15normal_iteratorINS9_10device_ptrIsEEEESE_SE_sNS9_4plusIvEENS9_8equal_toIvEEsEE10hipError_tPvRmT2_T3_T4_T5_mT6_T7_P12ihipStream_tbENKUlT_T0_E_clISt17integral_constantIbLb1EESY_IbLb0EEEEDaSU_SV_EUlSU_E_NS1_11comp_targetILNS1_3genE10ELNS1_11target_archE1201ELNS1_3gpuE5ELNS1_3repE0EEENS1_30default_config_static_selectorELNS0_4arch9wavefront6targetE1EEEvT1_,comdat
	.protected	_ZN7rocprim17ROCPRIM_400000_NS6detail17trampoline_kernelINS0_14default_configENS1_27scan_by_key_config_selectorIssEEZZNS1_16scan_by_key_implILNS1_25lookback_scan_determinismE0ELb0ES3_N6thrust23THRUST_200600_302600_NS6detail15normal_iteratorINS9_10device_ptrIsEEEESE_SE_sNS9_4plusIvEENS9_8equal_toIvEEsEE10hipError_tPvRmT2_T3_T4_T5_mT6_T7_P12ihipStream_tbENKUlT_T0_E_clISt17integral_constantIbLb1EESY_IbLb0EEEEDaSU_SV_EUlSU_E_NS1_11comp_targetILNS1_3genE10ELNS1_11target_archE1201ELNS1_3gpuE5ELNS1_3repE0EEENS1_30default_config_static_selectorELNS0_4arch9wavefront6targetE1EEEvT1_ ; -- Begin function _ZN7rocprim17ROCPRIM_400000_NS6detail17trampoline_kernelINS0_14default_configENS1_27scan_by_key_config_selectorIssEEZZNS1_16scan_by_key_implILNS1_25lookback_scan_determinismE0ELb0ES3_N6thrust23THRUST_200600_302600_NS6detail15normal_iteratorINS9_10device_ptrIsEEEESE_SE_sNS9_4plusIvEENS9_8equal_toIvEEsEE10hipError_tPvRmT2_T3_T4_T5_mT6_T7_P12ihipStream_tbENKUlT_T0_E_clISt17integral_constantIbLb1EESY_IbLb0EEEEDaSU_SV_EUlSU_E_NS1_11comp_targetILNS1_3genE10ELNS1_11target_archE1201ELNS1_3gpuE5ELNS1_3repE0EEENS1_30default_config_static_selectorELNS0_4arch9wavefront6targetE1EEEvT1_
	.globl	_ZN7rocprim17ROCPRIM_400000_NS6detail17trampoline_kernelINS0_14default_configENS1_27scan_by_key_config_selectorIssEEZZNS1_16scan_by_key_implILNS1_25lookback_scan_determinismE0ELb0ES3_N6thrust23THRUST_200600_302600_NS6detail15normal_iteratorINS9_10device_ptrIsEEEESE_SE_sNS9_4plusIvEENS9_8equal_toIvEEsEE10hipError_tPvRmT2_T3_T4_T5_mT6_T7_P12ihipStream_tbENKUlT_T0_E_clISt17integral_constantIbLb1EESY_IbLb0EEEEDaSU_SV_EUlSU_E_NS1_11comp_targetILNS1_3genE10ELNS1_11target_archE1201ELNS1_3gpuE5ELNS1_3repE0EEENS1_30default_config_static_selectorELNS0_4arch9wavefront6targetE1EEEvT1_
	.p2align	8
	.type	_ZN7rocprim17ROCPRIM_400000_NS6detail17trampoline_kernelINS0_14default_configENS1_27scan_by_key_config_selectorIssEEZZNS1_16scan_by_key_implILNS1_25lookback_scan_determinismE0ELb0ES3_N6thrust23THRUST_200600_302600_NS6detail15normal_iteratorINS9_10device_ptrIsEEEESE_SE_sNS9_4plusIvEENS9_8equal_toIvEEsEE10hipError_tPvRmT2_T3_T4_T5_mT6_T7_P12ihipStream_tbENKUlT_T0_E_clISt17integral_constantIbLb1EESY_IbLb0EEEEDaSU_SV_EUlSU_E_NS1_11comp_targetILNS1_3genE10ELNS1_11target_archE1201ELNS1_3gpuE5ELNS1_3repE0EEENS1_30default_config_static_selectorELNS0_4arch9wavefront6targetE1EEEvT1_,@function
_ZN7rocprim17ROCPRIM_400000_NS6detail17trampoline_kernelINS0_14default_configENS1_27scan_by_key_config_selectorIssEEZZNS1_16scan_by_key_implILNS1_25lookback_scan_determinismE0ELb0ES3_N6thrust23THRUST_200600_302600_NS6detail15normal_iteratorINS9_10device_ptrIsEEEESE_SE_sNS9_4plusIvEENS9_8equal_toIvEEsEE10hipError_tPvRmT2_T3_T4_T5_mT6_T7_P12ihipStream_tbENKUlT_T0_E_clISt17integral_constantIbLb1EESY_IbLb0EEEEDaSU_SV_EUlSU_E_NS1_11comp_targetILNS1_3genE10ELNS1_11target_archE1201ELNS1_3gpuE5ELNS1_3repE0EEENS1_30default_config_static_selectorELNS0_4arch9wavefront6targetE1EEEvT1_: ; @_ZN7rocprim17ROCPRIM_400000_NS6detail17trampoline_kernelINS0_14default_configENS1_27scan_by_key_config_selectorIssEEZZNS1_16scan_by_key_implILNS1_25lookback_scan_determinismE0ELb0ES3_N6thrust23THRUST_200600_302600_NS6detail15normal_iteratorINS9_10device_ptrIsEEEESE_SE_sNS9_4plusIvEENS9_8equal_toIvEEsEE10hipError_tPvRmT2_T3_T4_T5_mT6_T7_P12ihipStream_tbENKUlT_T0_E_clISt17integral_constantIbLb1EESY_IbLb0EEEEDaSU_SV_EUlSU_E_NS1_11comp_targetILNS1_3genE10ELNS1_11target_archE1201ELNS1_3gpuE5ELNS1_3repE0EEENS1_30default_config_static_selectorELNS0_4arch9wavefront6targetE1EEEvT1_
; %bb.0:
	.section	.rodata,"a",@progbits
	.p2align	6, 0x0
	.amdhsa_kernel _ZN7rocprim17ROCPRIM_400000_NS6detail17trampoline_kernelINS0_14default_configENS1_27scan_by_key_config_selectorIssEEZZNS1_16scan_by_key_implILNS1_25lookback_scan_determinismE0ELb0ES3_N6thrust23THRUST_200600_302600_NS6detail15normal_iteratorINS9_10device_ptrIsEEEESE_SE_sNS9_4plusIvEENS9_8equal_toIvEEsEE10hipError_tPvRmT2_T3_T4_T5_mT6_T7_P12ihipStream_tbENKUlT_T0_E_clISt17integral_constantIbLb1EESY_IbLb0EEEEDaSU_SV_EUlSU_E_NS1_11comp_targetILNS1_3genE10ELNS1_11target_archE1201ELNS1_3gpuE5ELNS1_3repE0EEENS1_30default_config_static_selectorELNS0_4arch9wavefront6targetE1EEEvT1_
		.amdhsa_group_segment_fixed_size 0
		.amdhsa_private_segment_fixed_size 0
		.amdhsa_kernarg_size 112
		.amdhsa_user_sgpr_count 6
		.amdhsa_user_sgpr_private_segment_buffer 1
		.amdhsa_user_sgpr_dispatch_ptr 0
		.amdhsa_user_sgpr_queue_ptr 0
		.amdhsa_user_sgpr_kernarg_segment_ptr 1
		.amdhsa_user_sgpr_dispatch_id 0
		.amdhsa_user_sgpr_flat_scratch_init 0
		.amdhsa_user_sgpr_kernarg_preload_length 0
		.amdhsa_user_sgpr_kernarg_preload_offset 0
		.amdhsa_user_sgpr_private_segment_size 0
		.amdhsa_uses_dynamic_stack 0
		.amdhsa_system_sgpr_private_segment_wavefront_offset 0
		.amdhsa_system_sgpr_workgroup_id_x 1
		.amdhsa_system_sgpr_workgroup_id_y 0
		.amdhsa_system_sgpr_workgroup_id_z 0
		.amdhsa_system_sgpr_workgroup_info 0
		.amdhsa_system_vgpr_workitem_id 0
		.amdhsa_next_free_vgpr 1
		.amdhsa_next_free_sgpr 0
		.amdhsa_accum_offset 4
		.amdhsa_reserve_vcc 0
		.amdhsa_reserve_flat_scratch 0
		.amdhsa_float_round_mode_32 0
		.amdhsa_float_round_mode_16_64 0
		.amdhsa_float_denorm_mode_32 3
		.amdhsa_float_denorm_mode_16_64 3
		.amdhsa_dx10_clamp 1
		.amdhsa_ieee_mode 1
		.amdhsa_fp16_overflow 0
		.amdhsa_tg_split 0
		.amdhsa_exception_fp_ieee_invalid_op 0
		.amdhsa_exception_fp_denorm_src 0
		.amdhsa_exception_fp_ieee_div_zero 0
		.amdhsa_exception_fp_ieee_overflow 0
		.amdhsa_exception_fp_ieee_underflow 0
		.amdhsa_exception_fp_ieee_inexact 0
		.amdhsa_exception_int_div_zero 0
	.end_amdhsa_kernel
	.section	.text._ZN7rocprim17ROCPRIM_400000_NS6detail17trampoline_kernelINS0_14default_configENS1_27scan_by_key_config_selectorIssEEZZNS1_16scan_by_key_implILNS1_25lookback_scan_determinismE0ELb0ES3_N6thrust23THRUST_200600_302600_NS6detail15normal_iteratorINS9_10device_ptrIsEEEESE_SE_sNS9_4plusIvEENS9_8equal_toIvEEsEE10hipError_tPvRmT2_T3_T4_T5_mT6_T7_P12ihipStream_tbENKUlT_T0_E_clISt17integral_constantIbLb1EESY_IbLb0EEEEDaSU_SV_EUlSU_E_NS1_11comp_targetILNS1_3genE10ELNS1_11target_archE1201ELNS1_3gpuE5ELNS1_3repE0EEENS1_30default_config_static_selectorELNS0_4arch9wavefront6targetE1EEEvT1_,"axG",@progbits,_ZN7rocprim17ROCPRIM_400000_NS6detail17trampoline_kernelINS0_14default_configENS1_27scan_by_key_config_selectorIssEEZZNS1_16scan_by_key_implILNS1_25lookback_scan_determinismE0ELb0ES3_N6thrust23THRUST_200600_302600_NS6detail15normal_iteratorINS9_10device_ptrIsEEEESE_SE_sNS9_4plusIvEENS9_8equal_toIvEEsEE10hipError_tPvRmT2_T3_T4_T5_mT6_T7_P12ihipStream_tbENKUlT_T0_E_clISt17integral_constantIbLb1EESY_IbLb0EEEEDaSU_SV_EUlSU_E_NS1_11comp_targetILNS1_3genE10ELNS1_11target_archE1201ELNS1_3gpuE5ELNS1_3repE0EEENS1_30default_config_static_selectorELNS0_4arch9wavefront6targetE1EEEvT1_,comdat
.Lfunc_end262:
	.size	_ZN7rocprim17ROCPRIM_400000_NS6detail17trampoline_kernelINS0_14default_configENS1_27scan_by_key_config_selectorIssEEZZNS1_16scan_by_key_implILNS1_25lookback_scan_determinismE0ELb0ES3_N6thrust23THRUST_200600_302600_NS6detail15normal_iteratorINS9_10device_ptrIsEEEESE_SE_sNS9_4plusIvEENS9_8equal_toIvEEsEE10hipError_tPvRmT2_T3_T4_T5_mT6_T7_P12ihipStream_tbENKUlT_T0_E_clISt17integral_constantIbLb1EESY_IbLb0EEEEDaSU_SV_EUlSU_E_NS1_11comp_targetILNS1_3genE10ELNS1_11target_archE1201ELNS1_3gpuE5ELNS1_3repE0EEENS1_30default_config_static_selectorELNS0_4arch9wavefront6targetE1EEEvT1_, .Lfunc_end262-_ZN7rocprim17ROCPRIM_400000_NS6detail17trampoline_kernelINS0_14default_configENS1_27scan_by_key_config_selectorIssEEZZNS1_16scan_by_key_implILNS1_25lookback_scan_determinismE0ELb0ES3_N6thrust23THRUST_200600_302600_NS6detail15normal_iteratorINS9_10device_ptrIsEEEESE_SE_sNS9_4plusIvEENS9_8equal_toIvEEsEE10hipError_tPvRmT2_T3_T4_T5_mT6_T7_P12ihipStream_tbENKUlT_T0_E_clISt17integral_constantIbLb1EESY_IbLb0EEEEDaSU_SV_EUlSU_E_NS1_11comp_targetILNS1_3genE10ELNS1_11target_archE1201ELNS1_3gpuE5ELNS1_3repE0EEENS1_30default_config_static_selectorELNS0_4arch9wavefront6targetE1EEEvT1_
                                        ; -- End function
	.section	.AMDGPU.csdata,"",@progbits
; Kernel info:
; codeLenInByte = 0
; NumSgprs: 4
; NumVgprs: 0
; NumAgprs: 0
; TotalNumVgprs: 0
; ScratchSize: 0
; MemoryBound: 0
; FloatMode: 240
; IeeeMode: 1
; LDSByteSize: 0 bytes/workgroup (compile time only)
; SGPRBlocks: 0
; VGPRBlocks: 0
; NumSGPRsForWavesPerEU: 4
; NumVGPRsForWavesPerEU: 1
; AccumOffset: 4
; Occupancy: 8
; WaveLimiterHint : 0
; COMPUTE_PGM_RSRC2:SCRATCH_EN: 0
; COMPUTE_PGM_RSRC2:USER_SGPR: 6
; COMPUTE_PGM_RSRC2:TRAP_HANDLER: 0
; COMPUTE_PGM_RSRC2:TGID_X_EN: 1
; COMPUTE_PGM_RSRC2:TGID_Y_EN: 0
; COMPUTE_PGM_RSRC2:TGID_Z_EN: 0
; COMPUTE_PGM_RSRC2:TIDIG_COMP_CNT: 0
; COMPUTE_PGM_RSRC3_GFX90A:ACCUM_OFFSET: 0
; COMPUTE_PGM_RSRC3_GFX90A:TG_SPLIT: 0
	.section	.text._ZN7rocprim17ROCPRIM_400000_NS6detail17trampoline_kernelINS0_14default_configENS1_27scan_by_key_config_selectorIssEEZZNS1_16scan_by_key_implILNS1_25lookback_scan_determinismE0ELb0ES3_N6thrust23THRUST_200600_302600_NS6detail15normal_iteratorINS9_10device_ptrIsEEEESE_SE_sNS9_4plusIvEENS9_8equal_toIvEEsEE10hipError_tPvRmT2_T3_T4_T5_mT6_T7_P12ihipStream_tbENKUlT_T0_E_clISt17integral_constantIbLb1EESY_IbLb0EEEEDaSU_SV_EUlSU_E_NS1_11comp_targetILNS1_3genE5ELNS1_11target_archE942ELNS1_3gpuE9ELNS1_3repE0EEENS1_30default_config_static_selectorELNS0_4arch9wavefront6targetE1EEEvT1_,"axG",@progbits,_ZN7rocprim17ROCPRIM_400000_NS6detail17trampoline_kernelINS0_14default_configENS1_27scan_by_key_config_selectorIssEEZZNS1_16scan_by_key_implILNS1_25lookback_scan_determinismE0ELb0ES3_N6thrust23THRUST_200600_302600_NS6detail15normal_iteratorINS9_10device_ptrIsEEEESE_SE_sNS9_4plusIvEENS9_8equal_toIvEEsEE10hipError_tPvRmT2_T3_T4_T5_mT6_T7_P12ihipStream_tbENKUlT_T0_E_clISt17integral_constantIbLb1EESY_IbLb0EEEEDaSU_SV_EUlSU_E_NS1_11comp_targetILNS1_3genE5ELNS1_11target_archE942ELNS1_3gpuE9ELNS1_3repE0EEENS1_30default_config_static_selectorELNS0_4arch9wavefront6targetE1EEEvT1_,comdat
	.protected	_ZN7rocprim17ROCPRIM_400000_NS6detail17trampoline_kernelINS0_14default_configENS1_27scan_by_key_config_selectorIssEEZZNS1_16scan_by_key_implILNS1_25lookback_scan_determinismE0ELb0ES3_N6thrust23THRUST_200600_302600_NS6detail15normal_iteratorINS9_10device_ptrIsEEEESE_SE_sNS9_4plusIvEENS9_8equal_toIvEEsEE10hipError_tPvRmT2_T3_T4_T5_mT6_T7_P12ihipStream_tbENKUlT_T0_E_clISt17integral_constantIbLb1EESY_IbLb0EEEEDaSU_SV_EUlSU_E_NS1_11comp_targetILNS1_3genE5ELNS1_11target_archE942ELNS1_3gpuE9ELNS1_3repE0EEENS1_30default_config_static_selectorELNS0_4arch9wavefront6targetE1EEEvT1_ ; -- Begin function _ZN7rocprim17ROCPRIM_400000_NS6detail17trampoline_kernelINS0_14default_configENS1_27scan_by_key_config_selectorIssEEZZNS1_16scan_by_key_implILNS1_25lookback_scan_determinismE0ELb0ES3_N6thrust23THRUST_200600_302600_NS6detail15normal_iteratorINS9_10device_ptrIsEEEESE_SE_sNS9_4plusIvEENS9_8equal_toIvEEsEE10hipError_tPvRmT2_T3_T4_T5_mT6_T7_P12ihipStream_tbENKUlT_T0_E_clISt17integral_constantIbLb1EESY_IbLb0EEEEDaSU_SV_EUlSU_E_NS1_11comp_targetILNS1_3genE5ELNS1_11target_archE942ELNS1_3gpuE9ELNS1_3repE0EEENS1_30default_config_static_selectorELNS0_4arch9wavefront6targetE1EEEvT1_
	.globl	_ZN7rocprim17ROCPRIM_400000_NS6detail17trampoline_kernelINS0_14default_configENS1_27scan_by_key_config_selectorIssEEZZNS1_16scan_by_key_implILNS1_25lookback_scan_determinismE0ELb0ES3_N6thrust23THRUST_200600_302600_NS6detail15normal_iteratorINS9_10device_ptrIsEEEESE_SE_sNS9_4plusIvEENS9_8equal_toIvEEsEE10hipError_tPvRmT2_T3_T4_T5_mT6_T7_P12ihipStream_tbENKUlT_T0_E_clISt17integral_constantIbLb1EESY_IbLb0EEEEDaSU_SV_EUlSU_E_NS1_11comp_targetILNS1_3genE5ELNS1_11target_archE942ELNS1_3gpuE9ELNS1_3repE0EEENS1_30default_config_static_selectorELNS0_4arch9wavefront6targetE1EEEvT1_
	.p2align	8
	.type	_ZN7rocprim17ROCPRIM_400000_NS6detail17trampoline_kernelINS0_14default_configENS1_27scan_by_key_config_selectorIssEEZZNS1_16scan_by_key_implILNS1_25lookback_scan_determinismE0ELb0ES3_N6thrust23THRUST_200600_302600_NS6detail15normal_iteratorINS9_10device_ptrIsEEEESE_SE_sNS9_4plusIvEENS9_8equal_toIvEEsEE10hipError_tPvRmT2_T3_T4_T5_mT6_T7_P12ihipStream_tbENKUlT_T0_E_clISt17integral_constantIbLb1EESY_IbLb0EEEEDaSU_SV_EUlSU_E_NS1_11comp_targetILNS1_3genE5ELNS1_11target_archE942ELNS1_3gpuE9ELNS1_3repE0EEENS1_30default_config_static_selectorELNS0_4arch9wavefront6targetE1EEEvT1_,@function
_ZN7rocprim17ROCPRIM_400000_NS6detail17trampoline_kernelINS0_14default_configENS1_27scan_by_key_config_selectorIssEEZZNS1_16scan_by_key_implILNS1_25lookback_scan_determinismE0ELb0ES3_N6thrust23THRUST_200600_302600_NS6detail15normal_iteratorINS9_10device_ptrIsEEEESE_SE_sNS9_4plusIvEENS9_8equal_toIvEEsEE10hipError_tPvRmT2_T3_T4_T5_mT6_T7_P12ihipStream_tbENKUlT_T0_E_clISt17integral_constantIbLb1EESY_IbLb0EEEEDaSU_SV_EUlSU_E_NS1_11comp_targetILNS1_3genE5ELNS1_11target_archE942ELNS1_3gpuE9ELNS1_3repE0EEENS1_30default_config_static_selectorELNS0_4arch9wavefront6targetE1EEEvT1_: ; @_ZN7rocprim17ROCPRIM_400000_NS6detail17trampoline_kernelINS0_14default_configENS1_27scan_by_key_config_selectorIssEEZZNS1_16scan_by_key_implILNS1_25lookback_scan_determinismE0ELb0ES3_N6thrust23THRUST_200600_302600_NS6detail15normal_iteratorINS9_10device_ptrIsEEEESE_SE_sNS9_4plusIvEENS9_8equal_toIvEEsEE10hipError_tPvRmT2_T3_T4_T5_mT6_T7_P12ihipStream_tbENKUlT_T0_E_clISt17integral_constantIbLb1EESY_IbLb0EEEEDaSU_SV_EUlSU_E_NS1_11comp_targetILNS1_3genE5ELNS1_11target_archE942ELNS1_3gpuE9ELNS1_3repE0EEENS1_30default_config_static_selectorELNS0_4arch9wavefront6targetE1EEEvT1_
; %bb.0:
	.section	.rodata,"a",@progbits
	.p2align	6, 0x0
	.amdhsa_kernel _ZN7rocprim17ROCPRIM_400000_NS6detail17trampoline_kernelINS0_14default_configENS1_27scan_by_key_config_selectorIssEEZZNS1_16scan_by_key_implILNS1_25lookback_scan_determinismE0ELb0ES3_N6thrust23THRUST_200600_302600_NS6detail15normal_iteratorINS9_10device_ptrIsEEEESE_SE_sNS9_4plusIvEENS9_8equal_toIvEEsEE10hipError_tPvRmT2_T3_T4_T5_mT6_T7_P12ihipStream_tbENKUlT_T0_E_clISt17integral_constantIbLb1EESY_IbLb0EEEEDaSU_SV_EUlSU_E_NS1_11comp_targetILNS1_3genE5ELNS1_11target_archE942ELNS1_3gpuE9ELNS1_3repE0EEENS1_30default_config_static_selectorELNS0_4arch9wavefront6targetE1EEEvT1_
		.amdhsa_group_segment_fixed_size 0
		.amdhsa_private_segment_fixed_size 0
		.amdhsa_kernarg_size 112
		.amdhsa_user_sgpr_count 6
		.amdhsa_user_sgpr_private_segment_buffer 1
		.amdhsa_user_sgpr_dispatch_ptr 0
		.amdhsa_user_sgpr_queue_ptr 0
		.amdhsa_user_sgpr_kernarg_segment_ptr 1
		.amdhsa_user_sgpr_dispatch_id 0
		.amdhsa_user_sgpr_flat_scratch_init 0
		.amdhsa_user_sgpr_kernarg_preload_length 0
		.amdhsa_user_sgpr_kernarg_preload_offset 0
		.amdhsa_user_sgpr_private_segment_size 0
		.amdhsa_uses_dynamic_stack 0
		.amdhsa_system_sgpr_private_segment_wavefront_offset 0
		.amdhsa_system_sgpr_workgroup_id_x 1
		.amdhsa_system_sgpr_workgroup_id_y 0
		.amdhsa_system_sgpr_workgroup_id_z 0
		.amdhsa_system_sgpr_workgroup_info 0
		.amdhsa_system_vgpr_workitem_id 0
		.amdhsa_next_free_vgpr 1
		.amdhsa_next_free_sgpr 0
		.amdhsa_accum_offset 4
		.amdhsa_reserve_vcc 0
		.amdhsa_reserve_flat_scratch 0
		.amdhsa_float_round_mode_32 0
		.amdhsa_float_round_mode_16_64 0
		.amdhsa_float_denorm_mode_32 3
		.amdhsa_float_denorm_mode_16_64 3
		.amdhsa_dx10_clamp 1
		.amdhsa_ieee_mode 1
		.amdhsa_fp16_overflow 0
		.amdhsa_tg_split 0
		.amdhsa_exception_fp_ieee_invalid_op 0
		.amdhsa_exception_fp_denorm_src 0
		.amdhsa_exception_fp_ieee_div_zero 0
		.amdhsa_exception_fp_ieee_overflow 0
		.amdhsa_exception_fp_ieee_underflow 0
		.amdhsa_exception_fp_ieee_inexact 0
		.amdhsa_exception_int_div_zero 0
	.end_amdhsa_kernel
	.section	.text._ZN7rocprim17ROCPRIM_400000_NS6detail17trampoline_kernelINS0_14default_configENS1_27scan_by_key_config_selectorIssEEZZNS1_16scan_by_key_implILNS1_25lookback_scan_determinismE0ELb0ES3_N6thrust23THRUST_200600_302600_NS6detail15normal_iteratorINS9_10device_ptrIsEEEESE_SE_sNS9_4plusIvEENS9_8equal_toIvEEsEE10hipError_tPvRmT2_T3_T4_T5_mT6_T7_P12ihipStream_tbENKUlT_T0_E_clISt17integral_constantIbLb1EESY_IbLb0EEEEDaSU_SV_EUlSU_E_NS1_11comp_targetILNS1_3genE5ELNS1_11target_archE942ELNS1_3gpuE9ELNS1_3repE0EEENS1_30default_config_static_selectorELNS0_4arch9wavefront6targetE1EEEvT1_,"axG",@progbits,_ZN7rocprim17ROCPRIM_400000_NS6detail17trampoline_kernelINS0_14default_configENS1_27scan_by_key_config_selectorIssEEZZNS1_16scan_by_key_implILNS1_25lookback_scan_determinismE0ELb0ES3_N6thrust23THRUST_200600_302600_NS6detail15normal_iteratorINS9_10device_ptrIsEEEESE_SE_sNS9_4plusIvEENS9_8equal_toIvEEsEE10hipError_tPvRmT2_T3_T4_T5_mT6_T7_P12ihipStream_tbENKUlT_T0_E_clISt17integral_constantIbLb1EESY_IbLb0EEEEDaSU_SV_EUlSU_E_NS1_11comp_targetILNS1_3genE5ELNS1_11target_archE942ELNS1_3gpuE9ELNS1_3repE0EEENS1_30default_config_static_selectorELNS0_4arch9wavefront6targetE1EEEvT1_,comdat
.Lfunc_end263:
	.size	_ZN7rocprim17ROCPRIM_400000_NS6detail17trampoline_kernelINS0_14default_configENS1_27scan_by_key_config_selectorIssEEZZNS1_16scan_by_key_implILNS1_25lookback_scan_determinismE0ELb0ES3_N6thrust23THRUST_200600_302600_NS6detail15normal_iteratorINS9_10device_ptrIsEEEESE_SE_sNS9_4plusIvEENS9_8equal_toIvEEsEE10hipError_tPvRmT2_T3_T4_T5_mT6_T7_P12ihipStream_tbENKUlT_T0_E_clISt17integral_constantIbLb1EESY_IbLb0EEEEDaSU_SV_EUlSU_E_NS1_11comp_targetILNS1_3genE5ELNS1_11target_archE942ELNS1_3gpuE9ELNS1_3repE0EEENS1_30default_config_static_selectorELNS0_4arch9wavefront6targetE1EEEvT1_, .Lfunc_end263-_ZN7rocprim17ROCPRIM_400000_NS6detail17trampoline_kernelINS0_14default_configENS1_27scan_by_key_config_selectorIssEEZZNS1_16scan_by_key_implILNS1_25lookback_scan_determinismE0ELb0ES3_N6thrust23THRUST_200600_302600_NS6detail15normal_iteratorINS9_10device_ptrIsEEEESE_SE_sNS9_4plusIvEENS9_8equal_toIvEEsEE10hipError_tPvRmT2_T3_T4_T5_mT6_T7_P12ihipStream_tbENKUlT_T0_E_clISt17integral_constantIbLb1EESY_IbLb0EEEEDaSU_SV_EUlSU_E_NS1_11comp_targetILNS1_3genE5ELNS1_11target_archE942ELNS1_3gpuE9ELNS1_3repE0EEENS1_30default_config_static_selectorELNS0_4arch9wavefront6targetE1EEEvT1_
                                        ; -- End function
	.section	.AMDGPU.csdata,"",@progbits
; Kernel info:
; codeLenInByte = 0
; NumSgprs: 4
; NumVgprs: 0
; NumAgprs: 0
; TotalNumVgprs: 0
; ScratchSize: 0
; MemoryBound: 0
; FloatMode: 240
; IeeeMode: 1
; LDSByteSize: 0 bytes/workgroup (compile time only)
; SGPRBlocks: 0
; VGPRBlocks: 0
; NumSGPRsForWavesPerEU: 4
; NumVGPRsForWavesPerEU: 1
; AccumOffset: 4
; Occupancy: 8
; WaveLimiterHint : 0
; COMPUTE_PGM_RSRC2:SCRATCH_EN: 0
; COMPUTE_PGM_RSRC2:USER_SGPR: 6
; COMPUTE_PGM_RSRC2:TRAP_HANDLER: 0
; COMPUTE_PGM_RSRC2:TGID_X_EN: 1
; COMPUTE_PGM_RSRC2:TGID_Y_EN: 0
; COMPUTE_PGM_RSRC2:TGID_Z_EN: 0
; COMPUTE_PGM_RSRC2:TIDIG_COMP_CNT: 0
; COMPUTE_PGM_RSRC3_GFX90A:ACCUM_OFFSET: 0
; COMPUTE_PGM_RSRC3_GFX90A:TG_SPLIT: 0
	.section	.text._ZN7rocprim17ROCPRIM_400000_NS6detail17trampoline_kernelINS0_14default_configENS1_27scan_by_key_config_selectorIssEEZZNS1_16scan_by_key_implILNS1_25lookback_scan_determinismE0ELb0ES3_N6thrust23THRUST_200600_302600_NS6detail15normal_iteratorINS9_10device_ptrIsEEEESE_SE_sNS9_4plusIvEENS9_8equal_toIvEEsEE10hipError_tPvRmT2_T3_T4_T5_mT6_T7_P12ihipStream_tbENKUlT_T0_E_clISt17integral_constantIbLb1EESY_IbLb0EEEEDaSU_SV_EUlSU_E_NS1_11comp_targetILNS1_3genE4ELNS1_11target_archE910ELNS1_3gpuE8ELNS1_3repE0EEENS1_30default_config_static_selectorELNS0_4arch9wavefront6targetE1EEEvT1_,"axG",@progbits,_ZN7rocprim17ROCPRIM_400000_NS6detail17trampoline_kernelINS0_14default_configENS1_27scan_by_key_config_selectorIssEEZZNS1_16scan_by_key_implILNS1_25lookback_scan_determinismE0ELb0ES3_N6thrust23THRUST_200600_302600_NS6detail15normal_iteratorINS9_10device_ptrIsEEEESE_SE_sNS9_4plusIvEENS9_8equal_toIvEEsEE10hipError_tPvRmT2_T3_T4_T5_mT6_T7_P12ihipStream_tbENKUlT_T0_E_clISt17integral_constantIbLb1EESY_IbLb0EEEEDaSU_SV_EUlSU_E_NS1_11comp_targetILNS1_3genE4ELNS1_11target_archE910ELNS1_3gpuE8ELNS1_3repE0EEENS1_30default_config_static_selectorELNS0_4arch9wavefront6targetE1EEEvT1_,comdat
	.protected	_ZN7rocprim17ROCPRIM_400000_NS6detail17trampoline_kernelINS0_14default_configENS1_27scan_by_key_config_selectorIssEEZZNS1_16scan_by_key_implILNS1_25lookback_scan_determinismE0ELb0ES3_N6thrust23THRUST_200600_302600_NS6detail15normal_iteratorINS9_10device_ptrIsEEEESE_SE_sNS9_4plusIvEENS9_8equal_toIvEEsEE10hipError_tPvRmT2_T3_T4_T5_mT6_T7_P12ihipStream_tbENKUlT_T0_E_clISt17integral_constantIbLb1EESY_IbLb0EEEEDaSU_SV_EUlSU_E_NS1_11comp_targetILNS1_3genE4ELNS1_11target_archE910ELNS1_3gpuE8ELNS1_3repE0EEENS1_30default_config_static_selectorELNS0_4arch9wavefront6targetE1EEEvT1_ ; -- Begin function _ZN7rocprim17ROCPRIM_400000_NS6detail17trampoline_kernelINS0_14default_configENS1_27scan_by_key_config_selectorIssEEZZNS1_16scan_by_key_implILNS1_25lookback_scan_determinismE0ELb0ES3_N6thrust23THRUST_200600_302600_NS6detail15normal_iteratorINS9_10device_ptrIsEEEESE_SE_sNS9_4plusIvEENS9_8equal_toIvEEsEE10hipError_tPvRmT2_T3_T4_T5_mT6_T7_P12ihipStream_tbENKUlT_T0_E_clISt17integral_constantIbLb1EESY_IbLb0EEEEDaSU_SV_EUlSU_E_NS1_11comp_targetILNS1_3genE4ELNS1_11target_archE910ELNS1_3gpuE8ELNS1_3repE0EEENS1_30default_config_static_selectorELNS0_4arch9wavefront6targetE1EEEvT1_
	.globl	_ZN7rocprim17ROCPRIM_400000_NS6detail17trampoline_kernelINS0_14default_configENS1_27scan_by_key_config_selectorIssEEZZNS1_16scan_by_key_implILNS1_25lookback_scan_determinismE0ELb0ES3_N6thrust23THRUST_200600_302600_NS6detail15normal_iteratorINS9_10device_ptrIsEEEESE_SE_sNS9_4plusIvEENS9_8equal_toIvEEsEE10hipError_tPvRmT2_T3_T4_T5_mT6_T7_P12ihipStream_tbENKUlT_T0_E_clISt17integral_constantIbLb1EESY_IbLb0EEEEDaSU_SV_EUlSU_E_NS1_11comp_targetILNS1_3genE4ELNS1_11target_archE910ELNS1_3gpuE8ELNS1_3repE0EEENS1_30default_config_static_selectorELNS0_4arch9wavefront6targetE1EEEvT1_
	.p2align	8
	.type	_ZN7rocprim17ROCPRIM_400000_NS6detail17trampoline_kernelINS0_14default_configENS1_27scan_by_key_config_selectorIssEEZZNS1_16scan_by_key_implILNS1_25lookback_scan_determinismE0ELb0ES3_N6thrust23THRUST_200600_302600_NS6detail15normal_iteratorINS9_10device_ptrIsEEEESE_SE_sNS9_4plusIvEENS9_8equal_toIvEEsEE10hipError_tPvRmT2_T3_T4_T5_mT6_T7_P12ihipStream_tbENKUlT_T0_E_clISt17integral_constantIbLb1EESY_IbLb0EEEEDaSU_SV_EUlSU_E_NS1_11comp_targetILNS1_3genE4ELNS1_11target_archE910ELNS1_3gpuE8ELNS1_3repE0EEENS1_30default_config_static_selectorELNS0_4arch9wavefront6targetE1EEEvT1_,@function
_ZN7rocprim17ROCPRIM_400000_NS6detail17trampoline_kernelINS0_14default_configENS1_27scan_by_key_config_selectorIssEEZZNS1_16scan_by_key_implILNS1_25lookback_scan_determinismE0ELb0ES3_N6thrust23THRUST_200600_302600_NS6detail15normal_iteratorINS9_10device_ptrIsEEEESE_SE_sNS9_4plusIvEENS9_8equal_toIvEEsEE10hipError_tPvRmT2_T3_T4_T5_mT6_T7_P12ihipStream_tbENKUlT_T0_E_clISt17integral_constantIbLb1EESY_IbLb0EEEEDaSU_SV_EUlSU_E_NS1_11comp_targetILNS1_3genE4ELNS1_11target_archE910ELNS1_3gpuE8ELNS1_3repE0EEENS1_30default_config_static_selectorELNS0_4arch9wavefront6targetE1EEEvT1_: ; @_ZN7rocprim17ROCPRIM_400000_NS6detail17trampoline_kernelINS0_14default_configENS1_27scan_by_key_config_selectorIssEEZZNS1_16scan_by_key_implILNS1_25lookback_scan_determinismE0ELb0ES3_N6thrust23THRUST_200600_302600_NS6detail15normal_iteratorINS9_10device_ptrIsEEEESE_SE_sNS9_4plusIvEENS9_8equal_toIvEEsEE10hipError_tPvRmT2_T3_T4_T5_mT6_T7_P12ihipStream_tbENKUlT_T0_E_clISt17integral_constantIbLb1EESY_IbLb0EEEEDaSU_SV_EUlSU_E_NS1_11comp_targetILNS1_3genE4ELNS1_11target_archE910ELNS1_3gpuE8ELNS1_3repE0EEENS1_30default_config_static_selectorELNS0_4arch9wavefront6targetE1EEEvT1_
; %bb.0:
	s_load_dwordx8 s[48:55], s[4:5], 0x0
	s_load_dwordx4 s[64:67], s[4:5], 0x28
	s_load_dwordx2 s[70:71], s[4:5], 0x38
	s_load_dword s0, s[4:5], 0x40
	s_load_dwordx8 s[56:63], s[4:5], 0x48
	s_waitcnt lgkmcnt(0)
	s_lshl_b64 s[68:69], s[50:51], 1
	s_add_u32 s2, s48, s68
	s_addc_u32 s3, s49, s69
	s_add_u32 s4, s52, s68
	s_mul_i32 s1, s71, s0
	s_mul_hi_u32 s7, s70, s0
	s_addc_u32 s5, s53, s69
	s_add_i32 s8, s7, s1
	s_mul_i32 s9, s70, s0
	s_cmp_lg_u64 s[60:61], 0
	s_mul_i32 s0, s6, 0x1600
	s_mov_b32 s1, 0
	s_cselect_b64 s[60:61], -1, 0
	s_lshl_b64 s[52:53], s[0:1], 1
	s_add_u32 s50, s2, s52
	s_addc_u32 s51, s3, s53
	s_add_u32 s7, s4, s52
	s_addc_u32 s67, s5, s53
	;; [unrolled: 2-line block ×3, first 2 shown]
	s_add_u32 s2, s56, -1
	s_addc_u32 s3, s57, -1
	v_pk_mov_b32 v[2:3], s[2:3], s[2:3] op_sel:[0,1]
	v_cmp_ge_u64_e64 s[0:1], s[72:73], v[2:3]
	s_mov_b64 s[10:11], 0
	s_mov_b64 s[4:5], -1
	s_and_b64 vcc, exec, s[0:1]
	s_mul_i32 s33, s2, 0xffffea00
	s_barrier
	s_cbranch_vccz .LBB264_117
; %bb.1:
	v_pk_mov_b32 v[2:3], s[50:51], s[50:51] op_sel:[0,1]
	flat_load_ushort v6, v[2:3]
	s_add_i32 s77, s33, s66
	v_cmp_gt_u32_e64 s[2:3], s77, v0
	s_waitcnt vmcnt(0) lgkmcnt(0)
	v_mov_b32_e32 v7, v6
	s_and_saveexec_b64 s[4:5], s[2:3]
	s_cbranch_execz .LBB264_3
; %bb.2:
	v_lshlrev_b32_e32 v1, 1, v0
	v_mov_b32_e32 v3, s51
	v_add_co_u32_e32 v2, vcc, s50, v1
	v_addc_co_u32_e32 v3, vcc, 0, v3, vcc
	flat_load_ushort v7, v[2:3]
.LBB264_3:
	s_or_b64 exec, exec, s[4:5]
	v_or_b32_e32 v1, 0x100, v0
	v_cmp_gt_u32_e64 s[4:5], s77, v1
	v_mov_b32_e32 v8, v6
	s_and_saveexec_b64 s[8:9], s[4:5]
	s_cbranch_execz .LBB264_5
; %bb.4:
	v_lshlrev_b32_e32 v1, 1, v0
	v_mov_b32_e32 v3, s51
	v_add_co_u32_e32 v2, vcc, s50, v1
	v_addc_co_u32_e32 v3, vcc, 0, v3, vcc
	flat_load_ushort v8, v[2:3] offset:512
.LBB264_5:
	s_or_b64 exec, exec, s[8:9]
	v_or_b32_e32 v1, 0x200, v0
	v_cmp_gt_u32_e64 s[48:49], s77, v1
	v_mov_b32_e32 v9, v6
	s_and_saveexec_b64 s[8:9], s[48:49]
	s_cbranch_execz .LBB264_7
; %bb.6:
	v_lshlrev_b32_e32 v1, 1, v0
	v_mov_b32_e32 v3, s51
	v_add_co_u32_e32 v2, vcc, s50, v1
	v_addc_co_u32_e32 v3, vcc, 0, v3, vcc
	flat_load_ushort v9, v[2:3] offset:1024
.LBB264_7:
	;; [unrolled: 13-line block ×7, first 2 shown]
	s_or_b64 exec, exec, s[18:19]
	v_or_b32_e32 v1, 0x800, v0
	v_cmp_gt_u32_e64 s[18:19], s77, v1
	v_mov_b32_e32 v15, v6
	s_and_saveexec_b64 s[20:21], s[18:19]
	s_cbranch_execz .LBB264_19
; %bb.18:
	v_lshlrev_b32_e32 v2, 1, v1
	v_mov_b32_e32 v3, s51
	v_add_co_u32_e32 v2, vcc, s50, v2
	v_addc_co_u32_e32 v3, vcc, 0, v3, vcc
	flat_load_ushort v15, v[2:3]
.LBB264_19:
	s_or_b64 exec, exec, s[20:21]
	v_or_b32_e32 v2, 0x900, v0
	v_cmp_gt_u32_e64 s[20:21], s77, v2
	v_mov_b32_e32 v26, v6
	s_and_saveexec_b64 s[22:23], s[20:21]
	s_cbranch_execz .LBB264_21
; %bb.20:
	v_lshlrev_b32_e32 v3, 1, v2
	v_mov_b32_e32 v5, s51
	v_add_co_u32_e32 v4, vcc, s50, v3
	v_addc_co_u32_e32 v5, vcc, 0, v5, vcc
	flat_load_ushort v26, v[4:5]
.LBB264_21:
	;; [unrolled: 13-line block ×13, first 2 shown]
	s_or_b64 exec, exec, s[46:47]
	v_or_b32_e32 v25, 0x1500, v0
	v_cmp_gt_u32_e64 s[46:47], s77, v25
	s_and_saveexec_b64 s[56:57], s[46:47]
	s_cbranch_execz .LBB264_45
; %bb.44:
	v_lshlrev_b32_e32 v6, 1, v25
	v_mov_b32_e32 v18, s51
	v_add_co_u32_e32 v38, vcc, s50, v6
	v_addc_co_u32_e32 v39, vcc, 0, v18, vcc
	flat_load_ushort v6, v[38:39]
.LBB264_45:
	s_or_b64 exec, exec, s[56:57]
	v_lshlrev_b32_e32 v18, 1, v0
	s_waitcnt vmcnt(0) lgkmcnt(0)
	ds_write_b16 v18, v7
	ds_write_b16 v18, v8 offset:512
	ds_write_b16 v18, v9 offset:1024
	;; [unrolled: 1-line block ×21, first 2 shown]
	v_mad_u32_u24 v37, v0, 42, v18
	s_waitcnt lgkmcnt(0)
	s_barrier
	ds_read2_b32 v[14:15], v37 offset1:1
	ds_read2_b32 v[12:13], v37 offset0:2 offset1:3
	ds_read2_b32 v[10:11], v37 offset0:4 offset1:5
	;; [unrolled: 1-line block ×4, first 2 shown]
	ds_read_b32 v38, v37 offset:40
	s_cmp_eq_u64 s[72:73], 0
	s_mov_b64 s[56:57], s[50:51]
	s_cbranch_scc1 .LBB264_49
; %bb.46:
	s_andn2_b64 vcc, exec, s[60:61]
	s_cbranch_vccnz .LBB264_287
; %bb.47:
	s_lshl_b64 s[56:57], s[72:73], 1
	s_add_u32 s56, s62, s56
	s_addc_u32 s57, s63, s57
	s_add_u32 s56, s56, -2
	s_addc_u32 s57, s57, -1
	s_cbranch_execnz .LBB264_49
.LBB264_48:
	s_add_u32 s56, s50, -2
	s_addc_u32 s57, s51, -1
.LBB264_49:
	v_pk_mov_b32 v[26:27], s[56:57], s[56:57] op_sel:[0,1]
	flat_load_ushort v41, v[26:27]
	s_movk_i32 s56, 0xffd6
	s_waitcnt lgkmcnt(0)
	v_lshrrev_b32_e32 v39, 16, v38
	v_mad_i32_i24 v26, v0, s56, v37
	v_cmp_ne_u32_e32 vcc, 0, v0
	ds_write_b16 v26, v39 offset:11264
	s_waitcnt lgkmcnt(0)
	s_barrier
	s_and_saveexec_b64 s[56:57], vcc
	s_cbranch_execz .LBB264_51
; %bb.50:
	v_mul_i32_i24_e32 v26, 0xffffffd6, v0
	v_add_u32_e32 v26, v37, v26
	s_waitcnt vmcnt(0)
	ds_read_u16 v41, v26 offset:11262
.LBB264_51:
	s_or_b64 exec, exec, s[56:57]
	s_waitcnt lgkmcnt(0)
	s_barrier
	s_waitcnt lgkmcnt(0)
                                        ; implicit-def: $vgpr26
	s_and_saveexec_b64 s[56:57], s[2:3]
	s_cbranch_execnz .LBB264_264
; %bb.52:
	s_or_b64 exec, exec, s[56:57]
                                        ; implicit-def: $vgpr27
	s_and_saveexec_b64 s[2:3], s[4:5]
	s_cbranch_execnz .LBB264_265
.LBB264_53:
	s_or_b64 exec, exec, s[2:3]
                                        ; implicit-def: $vgpr28
	s_and_saveexec_b64 s[2:3], s[48:49]
	s_cbranch_execnz .LBB264_266
.LBB264_54:
	s_or_b64 exec, exec, s[2:3]
                                        ; implicit-def: $vgpr29
	s_and_saveexec_b64 s[2:3], s[8:9]
	s_cbranch_execnz .LBB264_267
.LBB264_55:
	s_or_b64 exec, exec, s[2:3]
                                        ; implicit-def: $vgpr30
	s_and_saveexec_b64 s[2:3], s[10:11]
	s_cbranch_execnz .LBB264_268
.LBB264_56:
	s_or_b64 exec, exec, s[2:3]
                                        ; implicit-def: $vgpr31
	s_and_saveexec_b64 s[2:3], s[12:13]
	s_cbranch_execnz .LBB264_269
.LBB264_57:
	s_or_b64 exec, exec, s[2:3]
                                        ; implicit-def: $vgpr32
	s_and_saveexec_b64 s[2:3], s[14:15]
	s_cbranch_execnz .LBB264_270
.LBB264_58:
	s_or_b64 exec, exec, s[2:3]
                                        ; implicit-def: $vgpr33
	s_and_saveexec_b64 s[2:3], s[16:17]
	s_cbranch_execnz .LBB264_271
.LBB264_59:
	s_or_b64 exec, exec, s[2:3]
                                        ; implicit-def: $vgpr34
	s_and_saveexec_b64 s[2:3], s[18:19]
	s_cbranch_execnz .LBB264_272
.LBB264_60:
	s_or_b64 exec, exec, s[2:3]
                                        ; implicit-def: $vgpr1
	s_and_saveexec_b64 s[2:3], s[20:21]
	s_cbranch_execnz .LBB264_273
.LBB264_61:
	s_or_b64 exec, exec, s[2:3]
                                        ; implicit-def: $vgpr2
	s_and_saveexec_b64 s[2:3], s[22:23]
	s_cbranch_execnz .LBB264_274
.LBB264_62:
	s_or_b64 exec, exec, s[2:3]
                                        ; implicit-def: $vgpr3
	s_and_saveexec_b64 s[2:3], s[24:25]
	s_cbranch_execnz .LBB264_275
.LBB264_63:
	s_or_b64 exec, exec, s[2:3]
                                        ; implicit-def: $vgpr4
	s_and_saveexec_b64 s[2:3], s[26:27]
	s_cbranch_execnz .LBB264_276
.LBB264_64:
	s_or_b64 exec, exec, s[2:3]
                                        ; implicit-def: $vgpr5
	s_and_saveexec_b64 s[2:3], s[28:29]
	s_cbranch_execnz .LBB264_277
.LBB264_65:
	s_or_b64 exec, exec, s[2:3]
                                        ; implicit-def: $vgpr16
	s_and_saveexec_b64 s[2:3], s[30:31]
	s_cbranch_execnz .LBB264_278
.LBB264_66:
	s_or_b64 exec, exec, s[2:3]
                                        ; implicit-def: $vgpr17
	s_and_saveexec_b64 s[2:3], s[34:35]
	s_cbranch_execnz .LBB264_279
.LBB264_67:
	s_or_b64 exec, exec, s[2:3]
                                        ; implicit-def: $vgpr19
	s_and_saveexec_b64 s[2:3], s[36:37]
	s_cbranch_execnz .LBB264_280
.LBB264_68:
	s_or_b64 exec, exec, s[2:3]
                                        ; implicit-def: $vgpr20
	s_and_saveexec_b64 s[2:3], s[38:39]
	s_cbranch_execnz .LBB264_281
.LBB264_69:
	s_or_b64 exec, exec, s[2:3]
                                        ; implicit-def: $vgpr21
	s_and_saveexec_b64 s[2:3], s[40:41]
	s_cbranch_execnz .LBB264_282
.LBB264_70:
	s_or_b64 exec, exec, s[2:3]
                                        ; implicit-def: $vgpr22
	s_and_saveexec_b64 s[2:3], s[42:43]
	s_cbranch_execnz .LBB264_283
.LBB264_71:
	s_or_b64 exec, exec, s[2:3]
                                        ; implicit-def: $vgpr23
	s_and_saveexec_b64 s[2:3], s[44:45]
	s_cbranch_execnz .LBB264_284
.LBB264_72:
	s_or_b64 exec, exec, s[2:3]
                                        ; implicit-def: $vgpr24
	s_and_saveexec_b64 s[2:3], s[46:47]
	s_cbranch_execz .LBB264_74
.LBB264_73:
	v_lshlrev_b32_e32 v24, 1, v25
	v_mov_b32_e32 v25, s67
	v_add_co_u32_e32 v24, vcc, s7, v24
	v_addc_co_u32_e32 v25, vcc, 0, v25, vcc
	flat_load_ushort v24, v[24:25]
.LBB264_74:
	s_or_b64 exec, exec, s[2:3]
	v_mul_u32_u24_e32 v40, 22, v0
	s_waitcnt vmcnt(0) lgkmcnt(0)
	ds_write_b16 v18, v26
	ds_write_b16 v18, v27 offset:512
	ds_write_b16 v18, v28 offset:1024
	;; [unrolled: 1-line block ×21, first 2 shown]
	v_cmp_gt_u32_e32 vcc, s77, v40
	s_mov_b64 s[4:5], 0
	s_mov_b32 s76, 0
	v_mov_b32_e32 v1, 0
	s_mov_b64 s[10:11], 0
	v_mov_b32_e32 v16, 0
	v_mov_b32_e32 v17, 0
	;; [unrolled: 1-line block ×20, first 2 shown]
	s_waitcnt lgkmcnt(0)
	s_barrier
	s_waitcnt lgkmcnt(0)
                                        ; implicit-def: $sgpr2_sgpr3
                                        ; implicit-def: $vgpr36
	s_and_saveexec_b64 s[8:9], vcc
	s_cbranch_execz .LBB264_116
; %bb.75:
	ds_read_u16 v1, v37
	v_cmp_ne_u16_e32 vcc, v41, v14
	v_or_b32_e32 v2, 1, v40
	v_cndmask_b32_e64 v3, 0, 1, vcc
	v_cmp_gt_u32_e32 vcc, s77, v2
	s_waitcnt lgkmcnt(0)
	v_lshl_or_b32 v1, v3, 16, v1
	s_mov_b64 s[12:13], 0
	v_mov_b32_e32 v16, 0
	v_mov_b32_e32 v17, 0
	;; [unrolled: 1-line block ×20, first 2 shown]
                                        ; implicit-def: $sgpr2_sgpr3
                                        ; implicit-def: $vgpr36
	s_and_saveexec_b64 s[10:11], vcc
	s_cbranch_execz .LBB264_115
; %bb.76:
	ds_read_b128 v[2:5], v37 offset:2
	v_add_u32_e32 v16, 2, v40
	v_cmp_ne_u16_sdwa s[2:3], v14, v14 src0_sel:DWORD src1_sel:WORD_1
	v_cndmask_b32_e64 v17, 0, 1, s[2:3]
	v_cmp_gt_u32_e32 vcc, s77, v16
	s_waitcnt lgkmcnt(0)
	v_and_b32_e32 v16, 0xffff, v2
	v_lshl_or_b32 v16, v17, 16, v16
	s_mov_b64 s[14:15], 0
	v_mov_b32_e32 v17, 0
	v_mov_b32_e32 v18, 0
	;; [unrolled: 1-line block ×19, first 2 shown]
                                        ; implicit-def: $sgpr2_sgpr3
                                        ; implicit-def: $vgpr36
	s_and_saveexec_b64 s[12:13], vcc
	s_cbranch_execz .LBB264_114
; %bb.77:
	v_cmp_ne_u16_sdwa s[2:3], v14, v15 src0_sel:WORD_1 src1_sel:DWORD
	v_add_u32_e32 v18, 3, v40
	v_cndmask_b32_e64 v14, 0, 1, s[2:3]
	v_alignbit_b32 v17, v14, v2, 16
	v_cmp_gt_u32_e32 vcc, s77, v18
	s_mov_b64 s[16:17], 0
	v_mov_b32_e32 v18, 0
	v_mov_b32_e32 v19, 0
	;; [unrolled: 1-line block ×18, first 2 shown]
                                        ; implicit-def: $sgpr2_sgpr3
                                        ; implicit-def: $vgpr36
	s_and_saveexec_b64 s[14:15], vcc
	s_cbranch_execz .LBB264_113
; %bb.78:
	v_cmp_ne_u16_sdwa s[2:3], v15, v15 src0_sel:DWORD src1_sel:WORD_1
	v_and_b32_e32 v2, 0xffff, v3
	v_add_u32_e32 v14, 4, v40
	v_cndmask_b32_e64 v18, 0, 1, s[2:3]
	v_lshl_or_b32 v18, v18, 16, v2
	v_cmp_gt_u32_e32 vcc, s77, v14
	s_mov_b64 s[18:19], 0
	v_mov_b32_e32 v19, 0
	v_mov_b32_e32 v20, 0
	v_mov_b32_e32 v21, 0
	v_mov_b32_e32 v22, 0
	v_mov_b32_e32 v23, 0
	v_mov_b32_e32 v24, 0
	v_mov_b32_e32 v25, 0
	v_mov_b32_e32 v26, 0
	v_mov_b32_e32 v27, 0
	v_mov_b32_e32 v28, 0
	v_mov_b32_e32 v29, 0
	v_mov_b32_e32 v30, 0
	v_mov_b32_e32 v31, 0
	v_mov_b32_e32 v32, 0
	v_mov_b32_e32 v33, 0
	v_mov_b32_e32 v34, 0
	v_mov_b32_e32 v35, 0
                                        ; implicit-def: $sgpr2_sgpr3
                                        ; implicit-def: $vgpr36
	s_and_saveexec_b64 s[16:17], vcc
	s_cbranch_execz .LBB264_112
; %bb.79:
	v_cmp_ne_u16_sdwa s[2:3], v15, v12 src0_sel:WORD_1 src1_sel:DWORD
	v_add_u32_e32 v2, 5, v40
	v_cndmask_b32_e64 v14, 0, 1, s[2:3]
	v_alignbit_b32 v19, v14, v3, 16
	v_cmp_gt_u32_e32 vcc, s77, v2
	s_mov_b64 s[20:21], 0
	v_mov_b32_e32 v20, 0
	v_mov_b32_e32 v21, 0
	;; [unrolled: 1-line block ×16, first 2 shown]
                                        ; implicit-def: $sgpr2_sgpr3
                                        ; implicit-def: $vgpr36
	s_and_saveexec_b64 s[18:19], vcc
	s_cbranch_execz .LBB264_111
; %bb.80:
	v_cmp_ne_u16_sdwa s[2:3], v12, v12 src0_sel:DWORD src1_sel:WORD_1
	v_and_b32_e32 v2, 0xffff, v4
	v_add_u32_e32 v3, 6, v40
	v_cndmask_b32_e64 v14, 0, 1, s[2:3]
	v_lshl_or_b32 v20, v14, 16, v2
	v_cmp_gt_u32_e32 vcc, s77, v3
	s_mov_b64 s[22:23], 0
	v_mov_b32_e32 v21, 0
	v_mov_b32_e32 v22, 0
	;; [unrolled: 1-line block ×15, first 2 shown]
                                        ; implicit-def: $sgpr2_sgpr3
                                        ; implicit-def: $vgpr36
	s_and_saveexec_b64 s[20:21], vcc
	s_cbranch_execz .LBB264_110
; %bb.81:
	v_cmp_ne_u16_sdwa s[2:3], v12, v13 src0_sel:WORD_1 src1_sel:DWORD
	v_add_u32_e32 v2, 7, v40
	v_cndmask_b32_e64 v3, 0, 1, s[2:3]
	v_alignbit_b32 v21, v3, v4, 16
	v_cmp_gt_u32_e32 vcc, s77, v2
	s_mov_b64 s[24:25], 0
	v_mov_b32_e32 v22, 0
	v_mov_b32_e32 v23, 0
	v_mov_b32_e32 v24, 0
	v_mov_b32_e32 v25, 0
	v_mov_b32_e32 v26, 0
	v_mov_b32_e32 v27, 0
	v_mov_b32_e32 v28, 0
	v_mov_b32_e32 v29, 0
	v_mov_b32_e32 v30, 0
	v_mov_b32_e32 v31, 0
	v_mov_b32_e32 v32, 0
	v_mov_b32_e32 v33, 0
	v_mov_b32_e32 v34, 0
	v_mov_b32_e32 v35, 0
                                        ; implicit-def: $sgpr2_sgpr3
                                        ; implicit-def: $vgpr36
	s_and_saveexec_b64 s[22:23], vcc
	s_cbranch_execz .LBB264_109
; %bb.82:
	v_cmp_ne_u16_sdwa s[2:3], v13, v13 src0_sel:DWORD src1_sel:WORD_1
	v_and_b32_e32 v2, 0xffff, v5
	v_add_u32_e32 v3, 8, v40
	v_cndmask_b32_e64 v4, 0, 1, s[2:3]
	v_lshl_or_b32 v22, v4, 16, v2
	v_cmp_gt_u32_e32 vcc, s77, v3
	s_mov_b64 s[26:27], 0
	v_mov_b32_e32 v23, 0
	v_mov_b32_e32 v24, 0
	v_mov_b32_e32 v25, 0
	v_mov_b32_e32 v26, 0
	v_mov_b32_e32 v27, 0
	v_mov_b32_e32 v28, 0
	v_mov_b32_e32 v29, 0
	v_mov_b32_e32 v30, 0
	v_mov_b32_e32 v31, 0
	v_mov_b32_e32 v32, 0
	v_mov_b32_e32 v33, 0
	v_mov_b32_e32 v34, 0
	v_mov_b32_e32 v35, 0
                                        ; implicit-def: $sgpr2_sgpr3
                                        ; implicit-def: $vgpr36
	s_and_saveexec_b64 s[24:25], vcc
	s_cbranch_execz .LBB264_108
; %bb.83:
	v_cmp_ne_u16_sdwa s[2:3], v13, v10 src0_sel:WORD_1 src1_sel:DWORD
	v_add_u32_e32 v2, 9, v40
	v_cndmask_b32_e64 v3, 0, 1, s[2:3]
	v_alignbit_b32 v23, v3, v5, 16
	v_cmp_gt_u32_e32 vcc, s77, v2
	s_mov_b64 s[28:29], 0
	v_mov_b32_e32 v24, 0
	v_mov_b32_e32 v25, 0
	v_mov_b32_e32 v26, 0
	v_mov_b32_e32 v27, 0
	v_mov_b32_e32 v28, 0
	v_mov_b32_e32 v29, 0
	v_mov_b32_e32 v30, 0
	v_mov_b32_e32 v31, 0
	v_mov_b32_e32 v32, 0
	v_mov_b32_e32 v33, 0
	v_mov_b32_e32 v34, 0
	v_mov_b32_e32 v35, 0
                                        ; implicit-def: $sgpr2_sgpr3
                                        ; implicit-def: $vgpr36
	s_and_saveexec_b64 s[26:27], vcc
	s_cbranch_execz .LBB264_107
; %bb.84:
	ds_read_b128 v[2:5], v37 offset:18
	v_add_u32_e32 v12, 10, v40
	v_cmp_ne_u16_sdwa s[2:3], v10, v10 src0_sel:DWORD src1_sel:WORD_1
	v_cndmask_b32_e64 v13, 0, 1, s[2:3]
	v_cmp_gt_u32_e32 vcc, s77, v12
	s_waitcnt lgkmcnt(0)
	v_and_b32_e32 v12, 0xffff, v2
	v_lshl_or_b32 v24, v13, 16, v12
	s_mov_b64 s[30:31], 0
	v_mov_b32_e32 v25, 0
	v_mov_b32_e32 v26, 0
	;; [unrolled: 1-line block ×11, first 2 shown]
                                        ; implicit-def: $sgpr2_sgpr3
                                        ; implicit-def: $vgpr36
	s_and_saveexec_b64 s[28:29], vcc
	s_cbranch_execz .LBB264_106
; %bb.85:
	v_cmp_ne_u16_sdwa s[2:3], v10, v11 src0_sel:WORD_1 src1_sel:DWORD
	v_add_u32_e32 v12, 11, v40
	v_cndmask_b32_e64 v10, 0, 1, s[2:3]
	v_alignbit_b32 v25, v10, v2, 16
	v_cmp_gt_u32_e32 vcc, s77, v12
	s_mov_b64 s[34:35], 0
	v_mov_b32_e32 v26, 0
	v_mov_b32_e32 v27, 0
	;; [unrolled: 1-line block ×10, first 2 shown]
                                        ; implicit-def: $sgpr2_sgpr3
                                        ; implicit-def: $vgpr36
	s_and_saveexec_b64 s[30:31], vcc
	s_cbranch_execz .LBB264_105
; %bb.86:
	v_cmp_ne_u16_sdwa s[2:3], v11, v11 src0_sel:DWORD src1_sel:WORD_1
	v_and_b32_e32 v2, 0xffff, v3
	v_add_u32_e32 v10, 12, v40
	v_cndmask_b32_e64 v12, 0, 1, s[2:3]
	v_lshl_or_b32 v26, v12, 16, v2
	v_cmp_gt_u32_e32 vcc, s77, v10
	s_mov_b64 s[36:37], 0
	v_mov_b32_e32 v27, 0
	v_mov_b32_e32 v28, 0
	;; [unrolled: 1-line block ×9, first 2 shown]
                                        ; implicit-def: $sgpr2_sgpr3
                                        ; implicit-def: $vgpr36
	s_and_saveexec_b64 s[34:35], vcc
	s_cbranch_execz .LBB264_104
; %bb.87:
	v_cmp_ne_u16_sdwa s[2:3], v11, v8 src0_sel:WORD_1 src1_sel:DWORD
	v_add_u32_e32 v2, 13, v40
	v_cndmask_b32_e64 v10, 0, 1, s[2:3]
	v_alignbit_b32 v27, v10, v3, 16
	v_cmp_gt_u32_e32 vcc, s77, v2
	s_mov_b64 s[38:39], 0
	v_mov_b32_e32 v28, 0
	v_mov_b32_e32 v29, 0
	;; [unrolled: 1-line block ×8, first 2 shown]
                                        ; implicit-def: $sgpr2_sgpr3
                                        ; implicit-def: $vgpr36
	s_and_saveexec_b64 s[36:37], vcc
	s_cbranch_execz .LBB264_103
; %bb.88:
	v_cmp_ne_u16_sdwa s[2:3], v8, v8 src0_sel:DWORD src1_sel:WORD_1
	v_and_b32_e32 v2, 0xffff, v4
	v_add_u32_e32 v3, 14, v40
	v_cndmask_b32_e64 v10, 0, 1, s[2:3]
	v_lshl_or_b32 v28, v10, 16, v2
	v_cmp_gt_u32_e32 vcc, s77, v3
	s_mov_b64 s[40:41], 0
	v_mov_b32_e32 v29, 0
	v_mov_b32_e32 v30, 0
	;; [unrolled: 1-line block ×7, first 2 shown]
                                        ; implicit-def: $sgpr2_sgpr3
                                        ; implicit-def: $vgpr36
	s_and_saveexec_b64 s[38:39], vcc
	s_cbranch_execz .LBB264_102
; %bb.89:
	v_cmp_ne_u16_sdwa s[2:3], v8, v9 src0_sel:WORD_1 src1_sel:DWORD
	v_add_u32_e32 v2, 15, v40
	v_cndmask_b32_e64 v3, 0, 1, s[2:3]
	v_alignbit_b32 v29, v3, v4, 16
	v_cmp_gt_u32_e32 vcc, s77, v2
	s_mov_b64 s[42:43], 0
	v_mov_b32_e32 v30, 0
	v_mov_b32_e32 v31, 0
	;; [unrolled: 1-line block ×6, first 2 shown]
                                        ; implicit-def: $sgpr2_sgpr3
                                        ; implicit-def: $vgpr36
	s_and_saveexec_b64 s[40:41], vcc
	s_cbranch_execz .LBB264_101
; %bb.90:
	v_cmp_ne_u16_sdwa s[2:3], v9, v9 src0_sel:DWORD src1_sel:WORD_1
	v_and_b32_e32 v2, 0xffff, v5
	v_add_u32_e32 v3, 16, v40
	v_cndmask_b32_e64 v4, 0, 1, s[2:3]
	v_lshl_or_b32 v30, v4, 16, v2
	v_cmp_gt_u32_e32 vcc, s77, v3
	s_mov_b64 s[44:45], 0
	v_mov_b32_e32 v31, 0
	v_mov_b32_e32 v32, 0
	;; [unrolled: 1-line block ×5, first 2 shown]
                                        ; implicit-def: $sgpr2_sgpr3
                                        ; implicit-def: $vgpr36
	s_and_saveexec_b64 s[42:43], vcc
	s_cbranch_execz .LBB264_100
; %bb.91:
	v_cmp_ne_u16_sdwa s[2:3], v9, v6 src0_sel:WORD_1 src1_sel:DWORD
	v_add_u32_e32 v2, 17, v40
	v_cndmask_b32_e64 v3, 0, 1, s[2:3]
	v_alignbit_b32 v31, v3, v5, 16
	v_cmp_gt_u32_e32 vcc, s77, v2
	s_mov_b64 s[46:47], 0
	v_mov_b32_e32 v32, 0
	v_mov_b32_e32 v33, 0
	;; [unrolled: 1-line block ×4, first 2 shown]
                                        ; implicit-def: $sgpr2_sgpr3
                                        ; implicit-def: $vgpr36
	s_and_saveexec_b64 s[44:45], vcc
	s_cbranch_execz .LBB264_99
; %bb.92:
	ds_read_b64 v[2:3], v37 offset:34
	v_add_u32_e32 v4, 18, v40
	v_cmp_ne_u16_sdwa s[2:3], v6, v6 src0_sel:DWORD src1_sel:WORD_1
	v_cndmask_b32_e64 v5, 0, 1, s[2:3]
	v_cmp_gt_u32_e32 vcc, s77, v4
	s_waitcnt lgkmcnt(0)
	v_and_b32_e32 v4, 0xffff, v2
	v_lshl_or_b32 v32, v5, 16, v4
	s_mov_b64 s[48:49], 0
	v_mov_b32_e32 v33, 0
	v_mov_b32_e32 v34, 0
	v_mov_b32_e32 v35, 0
                                        ; implicit-def: $sgpr2_sgpr3
                                        ; implicit-def: $vgpr36
	s_and_saveexec_b64 s[46:47], vcc
	s_cbranch_execz .LBB264_98
; %bb.93:
	v_cmp_ne_u16_sdwa s[2:3], v6, v7 src0_sel:WORD_1 src1_sel:DWORD
	v_add_u32_e32 v4, 19, v40
	v_cndmask_b32_e64 v5, 0, 1, s[2:3]
	v_alignbit_b32 v33, v5, v2, 16
	v_cmp_gt_u32_e32 vcc, s77, v4
	s_mov_b64 s[56:57], 0
	v_mov_b32_e32 v34, 0
	v_mov_b32_e32 v35, 0
                                        ; implicit-def: $sgpr74_sgpr75
                                        ; implicit-def: $vgpr36
	s_and_saveexec_b64 s[48:49], vcc
	s_cbranch_execz .LBB264_97
; %bb.94:
	v_cmp_ne_u16_sdwa s[2:3], v7, v7 src0_sel:DWORD src1_sel:WORD_1
	v_and_b32_e32 v2, 0xffff, v3
	v_add_u32_e32 v4, 20, v40
	v_cndmask_b32_e64 v5, 0, 1, s[2:3]
	v_lshl_or_b32 v34, v5, 16, v2
	v_cmp_gt_u32_e32 vcc, s77, v4
	s_mov_b64 s[2:3], 0
	v_mov_b32_e32 v35, 0
                                        ; implicit-def: $sgpr56_sgpr57
                                        ; implicit-def: $vgpr36
	s_and_saveexec_b64 s[74:75], vcc
	s_xor_b64 s[74:75], exec, s[74:75]
	s_cbranch_execz .LBB264_96
; %bb.95:
	ds_read_u16 v36, v37 offset:42
	v_add_u32_e32 v2, 21, v40
	v_cmp_ne_u16_sdwa s[2:3], v7, v38 src0_sel:WORD_1 src1_sel:DWORD
	v_cmp_ne_u16_e32 vcc, v38, v39
	v_cndmask_b32_e64 v4, 0, 1, s[2:3]
	v_cmp_gt_u32_e64 s[2:3], s77, v2
	v_alignbit_b32 v35, v4, v3, 16
	s_and_b64 s[56:57], vcc, exec
	s_and_b64 s[2:3], s[2:3], exec
.LBB264_96:
	s_or_b64 exec, exec, s[74:75]
	s_and_b64 s[74:75], s[56:57], exec
	s_and_b64 s[56:57], s[2:3], exec
.LBB264_97:
	s_or_b64 exec, exec, s[48:49]
	s_and_b64 s[2:3], s[74:75], exec
	s_and_b64 s[48:49], s[56:57], exec
.LBB264_98:
	s_or_b64 exec, exec, s[46:47]
	s_and_b64 s[2:3], s[2:3], exec
	s_and_b64 s[46:47], s[48:49], exec
.LBB264_99:
	s_or_b64 exec, exec, s[44:45]
	s_and_b64 s[2:3], s[2:3], exec
	s_and_b64 s[44:45], s[46:47], exec
.LBB264_100:
	s_or_b64 exec, exec, s[42:43]
	s_and_b64 s[2:3], s[2:3], exec
	s_and_b64 s[42:43], s[44:45], exec
.LBB264_101:
	s_or_b64 exec, exec, s[40:41]
	s_and_b64 s[2:3], s[2:3], exec
	s_and_b64 s[40:41], s[42:43], exec
.LBB264_102:
	s_or_b64 exec, exec, s[38:39]
	s_and_b64 s[2:3], s[2:3], exec
	s_and_b64 s[38:39], s[40:41], exec
.LBB264_103:
	s_or_b64 exec, exec, s[36:37]
	s_and_b64 s[2:3], s[2:3], exec
	s_and_b64 s[36:37], s[38:39], exec
.LBB264_104:
	s_or_b64 exec, exec, s[34:35]
	s_and_b64 s[2:3], s[2:3], exec
	s_and_b64 s[34:35], s[36:37], exec
.LBB264_105:
	s_or_b64 exec, exec, s[30:31]
	s_and_b64 s[2:3], s[2:3], exec
	s_and_b64 s[30:31], s[34:35], exec
.LBB264_106:
	s_or_b64 exec, exec, s[28:29]
	s_and_b64 s[2:3], s[2:3], exec
	s_and_b64 s[28:29], s[30:31], exec
.LBB264_107:
	s_or_b64 exec, exec, s[26:27]
	s_and_b64 s[2:3], s[2:3], exec
	s_and_b64 s[26:27], s[28:29], exec
.LBB264_108:
	s_or_b64 exec, exec, s[24:25]
	s_and_b64 s[2:3], s[2:3], exec
	s_and_b64 s[24:25], s[26:27], exec
.LBB264_109:
	s_or_b64 exec, exec, s[22:23]
	s_and_b64 s[2:3], s[2:3], exec
	s_and_b64 s[22:23], s[24:25], exec
.LBB264_110:
	s_or_b64 exec, exec, s[20:21]
	s_and_b64 s[2:3], s[2:3], exec
	s_and_b64 s[20:21], s[22:23], exec
.LBB264_111:
	s_or_b64 exec, exec, s[18:19]
	s_and_b64 s[2:3], s[2:3], exec
	s_and_b64 s[18:19], s[20:21], exec
.LBB264_112:
	s_or_b64 exec, exec, s[16:17]
	s_and_b64 s[2:3], s[2:3], exec
	s_and_b64 s[16:17], s[18:19], exec
.LBB264_113:
	s_or_b64 exec, exec, s[14:15]
	s_and_b64 s[2:3], s[2:3], exec
	s_and_b64 s[14:15], s[16:17], exec
.LBB264_114:
	s_or_b64 exec, exec, s[12:13]
	s_and_b64 s[2:3], s[2:3], exec
	s_and_b64 s[12:13], s[14:15], exec
.LBB264_115:
	s_or_b64 exec, exec, s[10:11]
	s_and_b64 s[2:3], s[2:3], exec
	s_and_b64 s[10:11], s[12:13], exec
.LBB264_116:
	s_or_b64 exec, exec, s[8:9]
	s_and_b64 vcc, exec, s[4:5]
	v_lshlrev_b32_e32 v12, 1, v0
	s_cbranch_vccnz .LBB264_118
	s_branch .LBB264_126
.LBB264_117:
                                        ; implicit-def: $sgpr2_sgpr3
                                        ; implicit-def: $vgpr36
                                        ; implicit-def: $vgpr1
                                        ; implicit-def: $vgpr16
                                        ; implicit-def: $vgpr17
                                        ; implicit-def: $vgpr18
                                        ; implicit-def: $vgpr19
                                        ; implicit-def: $vgpr20
                                        ; implicit-def: $vgpr21
                                        ; implicit-def: $vgpr22
                                        ; implicit-def: $vgpr23
                                        ; implicit-def: $vgpr24
                                        ; implicit-def: $vgpr25
                                        ; implicit-def: $vgpr26
                                        ; implicit-def: $vgpr27
                                        ; implicit-def: $vgpr28
                                        ; implicit-def: $vgpr29
                                        ; implicit-def: $vgpr30
                                        ; implicit-def: $vgpr31
                                        ; implicit-def: $vgpr32
                                        ; implicit-def: $vgpr33
                                        ; implicit-def: $vgpr34
                                        ; implicit-def: $vgpr35
                                        ; implicit-def: $sgpr76
	s_and_b64 vcc, exec, s[4:5]
	v_lshlrev_b32_e32 v12, 1, v0
	s_cbranch_vccz .LBB264_126
.LBB264_118:
	v_mov_b32_e32 v1, s51
	v_add_co_u32_e32 v2, vcc, s50, v12
	v_addc_co_u32_e32 v3, vcc, 0, v1, vcc
	v_add_co_u32_e32 v4, vcc, 0x1000, v2
	v_addc_co_u32_e32 v5, vcc, 0, v3, vcc
	flat_load_ushort v6, v[2:3]
	flat_load_ushort v7, v[2:3] offset:512
	flat_load_ushort v8, v[2:3] offset:1024
	;; [unrolled: 1-line block ×7, first 2 shown]
	v_add_co_u32_e32 v2, vcc, 0x2000, v2
	v_addc_co_u32_e32 v3, vcc, 0, v3, vcc
	flat_load_ushort v15, v[4:5]
	flat_load_ushort v16, v[4:5] offset:512
	flat_load_ushort v17, v[4:5] offset:1024
	;; [unrolled: 1-line block ×7, first 2 shown]
	s_nop 0
	flat_load_ushort v4, v[2:3]
	flat_load_ushort v5, v[2:3] offset:512
	flat_load_ushort v23, v[2:3] offset:1024
	;; [unrolled: 1-line block ×5, first 2 shown]
	v_mad_u32_u24 v1, v0, 42, v12
	s_cmp_eq_u64 s[72:73], 0
	s_waitcnt vmcnt(0) lgkmcnt(0)
	ds_write_b16 v12, v6
	ds_write_b16 v12, v7 offset:512
	ds_write_b16 v12, v8 offset:1024
	;; [unrolled: 1-line block ×21, first 2 shown]
	s_waitcnt lgkmcnt(0)
	s_barrier
	ds_read2_b32 v[10:11], v1 offset1:1
	ds_read2_b32 v[8:9], v1 offset0:2 offset1:3
	ds_read2_b32 v[6:7], v1 offset0:4 offset1:5
	;; [unrolled: 1-line block ×4, first 2 shown]
	ds_read_b32 v13, v1 offset:40
	s_cbranch_scc1 .LBB264_123
; %bb.119:
	s_andn2_b64 vcc, exec, s[60:61]
	s_cbranch_vccnz .LBB264_288
; %bb.120:
	s_lshl_b64 s[2:3], s[72:73], 1
	s_add_u32 s2, s62, s2
	s_addc_u32 s3, s63, s3
	s_add_u32 s2, s2, -2
	s_addc_u32 s3, s3, -1
	s_cbranch_execnz .LBB264_122
.LBB264_121:
	s_add_u32 s2, s50, -2
	s_addc_u32 s3, s51, -1
.LBB264_122:
	s_mov_b64 s[50:51], s[2:3]
.LBB264_123:
	v_pk_mov_b32 v[14:15], s[50:51], s[50:51] op_sel:[0,1]
	flat_load_ushort v15, v[14:15]
	s_movk_i32 s2, 0xffd6
	s_waitcnt lgkmcnt(0)
	v_lshrrev_b32_e32 v14, 16, v13
	v_mad_i32_i24 v16, v0, s2, v1
	v_cmp_ne_u32_e32 vcc, 0, v0
	ds_write_b16 v16, v14 offset:11264
	s_waitcnt lgkmcnt(0)
	s_barrier
	s_and_saveexec_b64 s[2:3], vcc
	s_cbranch_execz .LBB264_125
; %bb.124:
	s_waitcnt vmcnt(0)
	v_mul_i32_i24_e32 v15, 0xffffffd6, v0
	v_add_u32_e32 v15, v1, v15
	ds_read_u16 v15, v15 offset:11262
.LBB264_125:
	s_or_b64 exec, exec, s[2:3]
	v_mov_b32_e32 v17, s67
	v_add_co_u32_e32 v16, vcc, s7, v12
	v_addc_co_u32_e32 v17, vcc, 0, v17, vcc
	s_movk_i32 s2, 0x1000
	v_add_co_u32_e32 v18, vcc, s2, v16
	v_addc_co_u32_e32 v19, vcc, 0, v17, vcc
	s_movk_i32 s2, 0x2000
	s_waitcnt lgkmcnt(0)
	s_barrier
	flat_load_ushort v20, v[16:17]
	flat_load_ushort v21, v[16:17] offset:512
	flat_load_ushort v22, v[16:17] offset:1024
	;; [unrolled: 1-line block ×7, first 2 shown]
	v_add_co_u32_e32 v16, vcc, s2, v16
	v_addc_co_u32_e32 v17, vcc, 0, v17, vcc
	flat_load_ushort v28, v[18:19]
	flat_load_ushort v29, v[18:19] offset:512
	flat_load_ushort v30, v[18:19] offset:1024
	;; [unrolled: 1-line block ×7, first 2 shown]
	s_nop 0
	flat_load_ushort v18, v[16:17]
	flat_load_ushort v19, v[16:17] offset:512
	flat_load_ushort v36, v[16:17] offset:1024
	;; [unrolled: 1-line block ×5, first 2 shown]
	v_cmp_ne_u16_sdwa s[4:5], v10, v10 src0_sel:DWORD src1_sel:WORD_1
	v_cndmask_b32_e64 v16, 0, 1, s[4:5]
	v_cmp_ne_u16_sdwa s[4:5], v10, v11 src0_sel:WORD_1 src1_sel:DWORD
	v_cndmask_b32_e64 v40, 0, 1, s[4:5]
	v_cmp_ne_u16_sdwa s[4:5], v11, v11 src0_sel:DWORD src1_sel:WORD_1
	v_cmp_ne_u16_e64 s[2:3], v13, v14
	s_waitcnt vmcnt(0)
	v_cmp_ne_u16_e32 vcc, v15, v10
	v_cndmask_b32_e64 v41, 0, 1, s[4:5]
	v_cmp_ne_u16_sdwa s[4:5], v11, v8 src0_sel:WORD_1 src1_sel:DWORD
	v_cndmask_b32_e64 v17, 0, 1, vcc
	v_cndmask_b32_e64 v42, 0, 1, s[4:5]
	v_cmp_ne_u16_sdwa s[4:5], v8, v8 src0_sel:DWORD src1_sel:WORD_1
	s_mov_b64 s[10:11], -1
                                        ; implicit-def: $sgpr76
	s_waitcnt lgkmcnt(0)
	ds_write_b16 v12, v20
	ds_write_b16 v12, v21 offset:512
	ds_write_b16 v12, v22 offset:1024
	;; [unrolled: 1-line block ×21, first 2 shown]
	s_waitcnt lgkmcnt(0)
	s_barrier
	ds_read2_b32 v[10:11], v1 offset0:8 offset1:9
	ds_read_b32 v35, v1 offset:40
	ds_read2_b32 v[14:15], v1 offset1:1
	ds_read2_b32 v[22:23], v1 offset0:2 offset1:3
	ds_read2_b32 v[26:27], v1 offset0:4 offset1:5
	;; [unrolled: 1-line block ×3, first 2 shown]
	s_waitcnt lgkmcnt(4)
	v_lshrrev_b32_e32 v36, 16, v35
	s_waitcnt lgkmcnt(3)
	v_and_b32_e32 v1, 0xffff, v14
	v_alignbit_b32 v16, v16, v14, 16
	v_and_b32_e32 v14, 0xffff, v15
	v_lshl_or_b32 v1, v17, 16, v1
	v_lshl_or_b32 v17, v40, 16, v14
	v_cndmask_b32_e64 v14, 0, 1, s[4:5]
	v_cmp_ne_u16_sdwa s[4:5], v8, v9 src0_sel:WORD_1 src1_sel:DWORD
	s_waitcnt lgkmcnt(2)
	v_alignbit_b32 v20, v14, v22, 16
	v_and_b32_e32 v14, 0xffff, v23
	v_cndmask_b32_e64 v8, 0, 1, s[4:5]
	v_cmp_ne_u16_sdwa s[4:5], v9, v9 src0_sel:DWORD src1_sel:WORD_1
	v_lshl_or_b32 v21, v8, 16, v14
	v_cndmask_b32_e64 v8, 0, 1, s[4:5]
	v_cmp_ne_u16_sdwa s[4:5], v9, v6 src0_sel:WORD_1 src1_sel:DWORD
	v_alignbit_b32 v18, v41, v15, 16
	v_and_b32_e32 v15, 0xffff, v22
	v_alignbit_b32 v22, v8, v23, 16
	s_waitcnt lgkmcnt(1)
	v_and_b32_e32 v8, 0xffff, v26
	v_cndmask_b32_e64 v9, 0, 1, s[4:5]
	v_cmp_ne_u16_sdwa s[4:5], v6, v6 src0_sel:DWORD src1_sel:WORD_1
	v_lshl_or_b32 v23, v9, 16, v8
	v_cndmask_b32_e64 v8, 0, 1, s[4:5]
	v_cmp_ne_u16_sdwa s[4:5], v6, v7 src0_sel:WORD_1 src1_sel:DWORD
	v_alignbit_b32 v24, v8, v26, 16
	v_and_b32_e32 v8, 0xffff, v27
	v_cndmask_b32_e64 v6, 0, 1, s[4:5]
	v_cmp_ne_u16_sdwa s[4:5], v7, v7 src0_sel:DWORD src1_sel:WORD_1
	v_lshl_or_b32 v25, v6, 16, v8
	v_cndmask_b32_e64 v6, 0, 1, s[4:5]
	v_cmp_ne_u16_sdwa s[4:5], v7, v4 src0_sel:WORD_1 src1_sel:DWORD
	v_alignbit_b32 v26, v6, v27, 16
	s_waitcnt lgkmcnt(0)
	v_and_b32_e32 v6, 0xffff, v30
	v_cndmask_b32_e64 v7, 0, 1, s[4:5]
	v_cmp_ne_u16_sdwa s[4:5], v4, v4 src0_sel:DWORD src1_sel:WORD_1
	v_lshl_or_b32 v27, v7, 16, v6
	v_cndmask_b32_e64 v6, 0, 1, s[4:5]
	v_cmp_ne_u16_sdwa s[4:5], v4, v5 src0_sel:WORD_1 src1_sel:DWORD
	v_alignbit_b32 v28, v6, v30, 16
	v_and_b32_e32 v6, 0xffff, v31
	v_cndmask_b32_e64 v4, 0, 1, s[4:5]
	v_cmp_ne_u16_sdwa s[4:5], v5, v5 src0_sel:DWORD src1_sel:WORD_1
	v_lshl_or_b32 v29, v4, 16, v6
	v_cndmask_b32_e64 v4, 0, 1, s[4:5]
	v_cmp_ne_u16_sdwa s[4:5], v5, v2 src0_sel:WORD_1 src1_sel:DWORD
	v_alignbit_b32 v30, v4, v31, 16
	v_and_b32_e32 v4, 0xffff, v10
	v_cndmask_b32_e64 v5, 0, 1, s[4:5]
	v_cmp_ne_u16_sdwa s[4:5], v2, v2 src0_sel:DWORD src1_sel:WORD_1
	v_lshl_or_b32 v31, v5, 16, v4
	v_cndmask_b32_e64 v4, 0, 1, s[4:5]
	v_cmp_ne_u16_sdwa s[4:5], v2, v3 src0_sel:WORD_1 src1_sel:DWORD
	v_alignbit_b32 v32, v4, v10, 16
	v_and_b32_e32 v4, 0xffff, v11
	v_cndmask_b32_e64 v2, 0, 1, s[4:5]
	v_cmp_ne_u16_sdwa s[4:5], v3, v3 src0_sel:DWORD src1_sel:WORD_1
	v_lshl_or_b32 v33, v2, 16, v4
	v_cndmask_b32_e64 v2, 0, 1, s[4:5]
	v_cmp_ne_u16_sdwa s[4:5], v3, v13 src0_sel:WORD_1 src1_sel:DWORD
	v_alignbit_b32 v34, v2, v11, 16
	v_and_b32_e32 v2, 0xffff, v35
	v_cndmask_b32_e64 v3, 0, 1, s[4:5]
	v_lshl_or_b32 v19, v42, 16, v15
	v_lshl_or_b32 v35, v3, 16, v2
.LBB264_126:
	v_mov_b32_e32 v13, s76
	s_and_saveexec_b64 s[4:5], s[10:11]
	s_cbranch_execz .LBB264_128
; %bb.127:
	v_mov_b32_e32 v2, 0x10000
	v_cndmask_b32_e64 v2, 0, v2, s[2:3]
	s_waitcnt lgkmcnt(0)
	v_or_b32_sdwa v13, v2, v36 dst_sel:DWORD dst_unused:UNUSED_PAD src0_sel:DWORD src1_sel:WORD_0
.LBB264_128:
	s_or_b64 exec, exec, s[4:5]
	v_or3_b32 v2, v13, v35, v34
	s_cmp_lg_u32 s6, 0
	v_or3_b32 v15, v2, v33, v32
	v_lshrrev_b32_e32 v14, 5, v0
	v_cmp_gt_u32_e32 vcc, 64, v0
	s_waitcnt lgkmcnt(0)
	s_barrier
	s_cbranch_scc0 .LBB264_193
; %bb.129:
	s_mov_b32 s7, 0x10000
	v_cmp_gt_u32_e64 s[2:3], s7, v16
	v_cndmask_b32_e64 v2, 0, v1, s[2:3]
	v_add_u16_e32 v2, v2, v16
	v_cmp_gt_u32_e64 s[4:5], s7, v17
	v_cndmask_b32_e64 v2, 0, v2, s[4:5]
	v_add_u16_e32 v2, v2, v17
	;; [unrolled: 3-line block ×21, first 2 shown]
	v_or3_b32 v2, v15, v31, v30
	v_or3_b32 v2, v2, v29, v28
	;; [unrolled: 1-line block ×8, first 2 shown]
	v_and_b32_e32 v2, 0x10000, v2
	v_lshrrev_b32_e32 v36, 16, v1
	v_cmp_ne_u32_e64 s[46:47], 0, v2
	v_mov_b32_e32 v5, 0x10000
	v_cndmask_b32_e64 v38, v36, 1, s[46:47]
	v_add_lshl_u32 v2, v14, v0, 2
	ds_write_b16 v2, v37
	ds_write_b8 v2, v38 offset:2
	s_waitcnt lgkmcnt(0)
	s_barrier
	s_and_saveexec_b64 s[48:49], vcc
	s_cbranch_execz .LBB264_143
; %bb.130:
	v_lshlrev_b32_e32 v2, 2, v0
	v_lshrrev_b32_e32 v3, 3, v0
	v_add_lshl_u32 v2, v3, v2, 2
	ds_read_b32 v3, v2
	ds_read_u16 v4, v2 offset:4
	ds_read_u8 v6, v2 offset:6
	ds_read_u16 v7, v2 offset:8
	ds_read_u8 v8, v2 offset:10
	;; [unrolled: 2-line block ×3, first 2 shown]
	v_mov_b32_e32 v11, 0
	s_waitcnt lgkmcnt(4)
	v_cmp_eq_u16_sdwa s[46:47], v6, v11 src0_sel:BYTE_0 src1_sel:DWORD
	v_cndmask_b32_e64 v39, 0, v3, s[46:47]
	v_add_u16_e32 v39, v39, v4
	s_waitcnt lgkmcnt(2)
	v_cmp_eq_u16_sdwa s[46:47], v8, v11 src0_sel:BYTE_0 src1_sel:DWORD
	s_waitcnt lgkmcnt(0)
	v_or_b32_e32 v8, v10, v8
	v_cndmask_b32_e64 v11, 0, v39, s[46:47]
	v_or_b32_e32 v6, v8, v6
	v_add_u16_e32 v7, v11, v7
	v_cmp_eq_u16_e64 s[46:47], 0, v10
	v_and_b32_e32 v6, 1, v6
	v_and_b32_e32 v4, 0x10000, v3
	v_cndmask_b32_e64 v11, 0, v7, s[46:47]
	v_cmp_eq_u32_e64 s[46:47], 1, v6
	v_mbcnt_lo_u32_b32 v6, -1, 0
	v_add_u16_e32 v7, v11, v9
	v_cndmask_b32_e64 v39, v4, v5, s[46:47]
	v_add_u16_e32 v9, v11, v9
	v_and_b32_e32 v5, 0xff000000, v3
	v_mbcnt_hi_u32_b32 v6, -1, v6
	v_or_b32_e32 v10, v39, v5
	v_and_b32_e32 v11, 15, v6
	v_or3_b32 v9, v5, v9, v39
	s_movk_i32 s7, 0xff
	v_lshrrev_b32_e32 v8, 16, v10
	v_mov_b32_dpp v39, v9 row_shr:1 row_mask:0xf bank_mask:0xf
	v_cmp_ne_u32_e64 s[46:47], 0, v11
	s_and_saveexec_b64 s[56:57], s[46:47]
	s_cbranch_execz .LBB264_132
; %bb.131:
	v_and_b32_sdwa v8, v10, s7 dst_sel:DWORD dst_unused:UNUSED_PAD src0_sel:WORD_1 src1_sel:DWORD
	v_cmp_eq_u16_e64 s[46:47], 0, v8
	v_and_b32_e32 v8, 0x10000, v10
	v_mov_b32_e32 v10, 1
	v_cndmask_b32_e64 v9, 0, v39, s[46:47]
	v_and_b32_sdwa v10, v39, v10 dst_sel:DWORD dst_unused:UNUSED_PAD src0_sel:WORD_1 src1_sel:DWORD
	v_cmp_ne_u32_e64 s[46:47], 0, v8
	v_cndmask_b32_e64 v8, v10, 1, s[46:47]
	v_add_u16_e32 v40, v9, v7
	v_lshlrev_b32_e32 v10, 16, v8
	v_add_u16_e32 v7, v9, v7
	v_or3_b32 v9, v10, v7, v5
	v_mov_b32_e32 v7, v40
.LBB264_132:
	s_or_b64 exec, exec, s[56:57]
	v_lshrrev_b32_e32 v10, 16, v9
	v_mov_b32_dpp v39, v9 row_shr:2 row_mask:0xf bank_mask:0xf
	v_cmp_lt_u32_e64 s[46:47], 1, v11
	s_and_saveexec_b64 s[56:57], s[46:47]
	s_cbranch_execz .LBB264_134
; %bb.133:
	v_mov_b32_e32 v8, 0
	v_cmp_eq_u16_sdwa s[46:47], v10, v8 src0_sel:BYTE_0 src1_sel:DWORD
	v_and_b32_e32 v8, 0x10000, v9
	v_mov_b32_e32 v9, 1
	v_cndmask_b32_e64 v10, 0, v39, s[46:47]
	v_and_b32_sdwa v9, v39, v9 dst_sel:DWORD dst_unused:UNUSED_PAD src0_sel:WORD_1 src1_sel:DWORD
	v_cmp_ne_u32_e64 s[46:47], 0, v8
	v_cndmask_b32_e64 v8, v9, 1, s[46:47]
	v_add_u16_e32 v40, v10, v7
	v_lshlrev_b32_e32 v9, 16, v8
	v_add_u16_e32 v7, v10, v7
	v_or3_b32 v9, v9, v7, v5
	v_mov_b32_e32 v10, v8
	v_mov_b32_e32 v7, v40
.LBB264_134:
	s_or_b64 exec, exec, s[56:57]
	v_mov_b32_dpp v39, v9 row_shr:4 row_mask:0xf bank_mask:0xf
	v_cmp_lt_u32_e64 s[46:47], 3, v11
	s_and_saveexec_b64 s[56:57], s[46:47]
	s_cbranch_execz .LBB264_136
; %bb.135:
	v_mov_b32_e32 v8, 0
	v_cmp_eq_u16_sdwa s[46:47], v10, v8 src0_sel:BYTE_0 src1_sel:DWORD
	v_and_b32_e32 v8, 1, v10
	v_mov_b32_e32 v10, 1
	v_cndmask_b32_e64 v9, 0, v39, s[46:47]
	v_and_b32_sdwa v10, v39, v10 dst_sel:DWORD dst_unused:UNUSED_PAD src0_sel:WORD_1 src1_sel:DWORD
	v_cmp_eq_u32_e64 s[46:47], 1, v8
	v_cndmask_b32_e64 v8, v10, 1, s[46:47]
	v_add_u16_e32 v40, v9, v7
	v_lshlrev_b32_e32 v10, 16, v8
	v_add_u16_e32 v7, v9, v7
	v_or3_b32 v9, v10, v7, v5
	v_mov_b32_e32 v10, v8
	v_mov_b32_e32 v7, v40
.LBB264_136:
	s_or_b64 exec, exec, s[56:57]
	v_mov_b32_dpp v39, v9 row_shr:8 row_mask:0xf bank_mask:0xf
	v_cmp_lt_u32_e64 s[46:47], 7, v11
	s_and_saveexec_b64 s[56:57], s[46:47]
	s_cbranch_execz .LBB264_138
; %bb.137:
	v_mov_b32_e32 v8, 0
	v_cmp_eq_u16_sdwa s[46:47], v10, v8 src0_sel:BYTE_0 src1_sel:DWORD
	v_and_b32_e32 v8, 1, v10
	v_mov_b32_e32 v10, 1
	v_cndmask_b32_e64 v9, 0, v39, s[46:47]
	v_and_b32_sdwa v10, v39, v10 dst_sel:DWORD dst_unused:UNUSED_PAD src0_sel:WORD_1 src1_sel:DWORD
	v_cmp_eq_u32_e64 s[46:47], 1, v8
	v_cndmask_b32_e64 v8, v10, 1, s[46:47]
	v_add_u16_e32 v11, v9, v7
	v_lshlrev_b32_e32 v10, 16, v8
	v_add_u16_e32 v7, v9, v7
	v_or3_b32 v9, v10, v7, v5
	v_mov_b32_e32 v10, v8
	v_mov_b32_e32 v7, v11
.LBB264_138:
	s_or_b64 exec, exec, s[56:57]
	v_and_b32_e32 v39, 16, v6
	v_mov_b32_dpp v11, v9 row_bcast:15 row_mask:0xf bank_mask:0xf
	v_cmp_ne_u32_e64 s[46:47], 0, v39
	s_and_saveexec_b64 s[56:57], s[46:47]
	s_cbranch_execz .LBB264_140
; %bb.139:
	v_mov_b32_e32 v8, 0
	v_cmp_eq_u16_sdwa s[46:47], v10, v8 src0_sel:BYTE_0 src1_sel:DWORD
	v_and_b32_e32 v8, 1, v10
	v_mov_b32_e32 v10, 1
	v_cndmask_b32_e64 v9, 0, v11, s[46:47]
	v_and_b32_sdwa v10, v11, v10 dst_sel:DWORD dst_unused:UNUSED_PAD src0_sel:WORD_1 src1_sel:DWORD
	v_cmp_eq_u32_e64 s[46:47], 1, v8
	v_cndmask_b32_e64 v8, v10, 1, s[46:47]
	v_add_u16_e32 v39, v9, v7
	v_lshlrev_b32_e32 v10, 16, v8
	v_add_u16_e32 v7, v9, v7
	v_or3_b32 v9, v10, v7, v5
	v_mov_b32_e32 v10, v8
	v_mov_b32_e32 v7, v39
.LBB264_140:
	s_or_b64 exec, exec, s[56:57]
	v_mov_b32_dpp v9, v9 row_bcast:31 row_mask:0xf bank_mask:0xf
	v_cmp_lt_u32_e64 s[46:47], 31, v6
	s_and_saveexec_b64 s[56:57], s[46:47]
; %bb.141:
	v_mov_b32_e32 v8, 0
	v_cmp_eq_u16_sdwa s[46:47], v10, v8 src0_sel:BYTE_0 src1_sel:DWORD
	v_cndmask_b32_e64 v8, 0, v9, s[46:47]
	v_add_u16_e32 v7, v8, v7
	v_and_b32_e32 v8, 1, v10
	v_mov_b32_e32 v10, 1
	v_and_b32_sdwa v9, v9, v10 dst_sel:DWORD dst_unused:UNUSED_PAD src0_sel:WORD_1 src1_sel:DWORD
	v_cmp_eq_u32_e64 s[46:47], 1, v8
	v_cndmask_b32_e64 v8, v9, 1, s[46:47]
; %bb.142:
	s_or_b64 exec, exec, s[56:57]
	v_and_b32_e32 v8, 0xff, v8
	v_lshlrev_b32_e32 v8, 16, v8
	v_and_b32_e32 v7, 0xffff, v7
	v_or3_b32 v5, v8, v7, v5
	v_add_u32_e32 v7, -1, v6
	v_and_b32_e32 v8, 64, v6
	v_cmp_lt_i32_e64 s[46:47], v7, v8
	v_cndmask_b32_e64 v6, v7, v6, s[46:47]
	v_lshlrev_b32_e32 v6, 2, v6
	ds_bpermute_b32 v5, v6, v5
	v_and_b32_e32 v6, 0xff0000, v3
	v_cmp_eq_u32_e64 s[46:47], 0, v6
	; wave barrier
	s_waitcnt lgkmcnt(0)
	v_cndmask_b32_e64 v6, 0, v5, s[46:47]
	v_add_u16_e32 v3, v6, v3
	v_mov_b32_e32 v6, 1
	v_and_b32_sdwa v5, v5, v6 dst_sel:DWORD dst_unused:UNUSED_PAD src0_sel:WORD_1 src1_sel:DWORD
	v_cmp_eq_u32_e64 s[46:47], 0, v4
	v_cndmask_b32_e64 v4, 1, v5, s[46:47]
	v_cmp_eq_u32_e64 s[46:47], 0, v0
	v_cndmask_b32_e64 v3, v3, v37, s[46:47]
	v_cndmask_b32_e64 v4, v4, v38, s[46:47]
	ds_write_b16 v2, v3
	ds_write_b8 v2, v4 offset:2
	; wave barrier
	ds_read_u16 v5, v2 offset:4
	ds_read_u8 v6, v2 offset:6
	ds_read_u16 v7, v2 offset:8
	ds_read_u8 v8, v2 offset:10
	;; [unrolled: 2-line block ×3, first 2 shown]
	s_waitcnt lgkmcnt(4)
	v_cmp_eq_u16_e64 s[46:47], 0, v6
	v_cndmask_b32_e64 v3, 0, v3, s[46:47]
	v_add_u16_e32 v3, v3, v5
	v_and_b32_e32 v5, 1, v6
	v_cmp_eq_u32_e64 s[46:47], 1, v5
	v_cndmask_b32_e64 v4, v4, 1, s[46:47]
	s_waitcnt lgkmcnt(2)
	v_cmp_eq_u16_e64 s[46:47], 0, v8
	v_and_b32_e32 v5, 1, v8
	ds_write_b16 v2, v3 offset:4
	ds_write_b8 v2, v4 offset:6
	v_cndmask_b32_e64 v3, 0, v3, s[46:47]
	v_cmp_eq_u32_e64 s[46:47], 1, v5
	v_add_u16_e32 v3, v3, v7
	v_cndmask_b32_e64 v4, v4, 1, s[46:47]
	s_waitcnt lgkmcnt(2)
	v_cmp_eq_u16_e64 s[46:47], 0, v10
	ds_write_b16 v2, v3 offset:8
	ds_write_b8 v2, v4 offset:10
	v_cndmask_b32_e64 v3, 0, v3, s[46:47]
	v_and_b32_e32 v5, 1, v10
	v_add_u16_e32 v3, v3, v9
	v_cmp_eq_u32_e64 s[46:47], 1, v5
	v_cndmask_b32_e64 v4, v4, 1, s[46:47]
	ds_write_b16 v2, v3 offset:12
	ds_write_b8 v2, v4 offset:14
.LBB264_143:
	s_or_b64 exec, exec, s[48:49]
	v_cmp_eq_u32_e64 s[46:47], 0, v0
	v_cmp_ne_u32_e64 s[48:49], 0, v0
	s_waitcnt lgkmcnt(0)
	s_barrier
	s_and_saveexec_b64 s[56:57], s[48:49]
	s_cbranch_execz .LBB264_145
; %bb.144:
	v_add_u32_e32 v2, -1, v0
	v_lshrrev_b32_e32 v3, 5, v2
	v_add_lshl_u32 v2, v3, v2, 2
	ds_read_u16 v37, v2
	ds_read_u8 v38, v2 offset:2
.LBB264_145:
	s_or_b64 exec, exec, s[56:57]
	s_and_saveexec_b64 s[56:57], vcc
	s_cbranch_execz .LBB264_192
; %bb.146:
	v_mov_b32_e32 v11, 0
	ds_read_b32 v2, v11 offset:1048
	v_mbcnt_lo_u32_b32 v3, -1, 0
	v_mbcnt_hi_u32_b32 v5, -1, v3
	s_mov_b32 s63, 0
	v_cmp_eq_u32_e64 s[48:49], 0, v5
	s_and_saveexec_b64 s[60:61], s[48:49]
	s_cbranch_execz .LBB264_148
; %bb.147:
	s_add_i32 s62, s6, 64
	s_lshl_b64 s[62:63], s[62:63], 3
	s_add_u32 s62, s64, s62
	v_mov_b32_e32 v3, 1
	s_addc_u32 s63, s65, s63
	s_waitcnt lgkmcnt(0)
	global_store_dwordx2 v11, v[2:3], s[62:63]
.LBB264_148:
	s_or_b64 exec, exec, s[60:61]
	v_xad_u32 v4, v5, -1, s6
	v_add_u32_e32 v10, 64, v4
	v_lshlrev_b64 v[6:7], 3, v[10:11]
	v_mov_b32_e32 v3, s65
	v_add_co_u32_e32 v6, vcc, s64, v6
	v_addc_co_u32_e32 v7, vcc, v3, v7, vcc
	global_load_dwordx2 v[8:9], v[6:7], off glc
	s_waitcnt vmcnt(0)
	v_cmp_eq_u16_sdwa s[62:63], v9, v11 src0_sel:BYTE_0 src1_sel:DWORD
	s_and_saveexec_b64 s[60:61], s[62:63]
	s_cbranch_execz .LBB264_154
; %bb.149:
	s_mov_b32 s7, 1
	s_mov_b64 s[62:63], 0
	v_mov_b32_e32 v3, 0
.LBB264_150:                            ; =>This Loop Header: Depth=1
                                        ;     Child Loop BB264_151 Depth 2
	s_max_u32 s67, s7, 1
.LBB264_151:                            ;   Parent Loop BB264_150 Depth=1
                                        ; =>  This Inner Loop Header: Depth=2
	s_add_i32 s67, s67, -1
	s_cmp_eq_u32 s67, 0
	s_sleep 1
	s_cbranch_scc0 .LBB264_151
; %bb.152:                              ;   in Loop: Header=BB264_150 Depth=1
	global_load_dwordx2 v[8:9], v[6:7], off glc
	s_cmp_lt_u32 s7, 32
	s_cselect_b64 s[72:73], -1, 0
	s_cmp_lg_u64 s[72:73], 0
	s_addc_u32 s7, s7, 0
	s_waitcnt vmcnt(0)
	v_cmp_ne_u16_sdwa s[72:73], v9, v3 src0_sel:BYTE_0 src1_sel:DWORD
	s_or_b64 s[62:63], s[72:73], s[62:63]
	s_andn2_b64 exec, exec, s[62:63]
	s_cbranch_execnz .LBB264_150
; %bb.153:
	s_or_b64 exec, exec, s[62:63]
.LBB264_154:
	s_or_b64 exec, exec, s[60:61]
	v_mov_b32_e32 v3, 2
	v_cmp_eq_u16_sdwa s[60:61], v9, v3 src0_sel:BYTE_0 src1_sel:DWORD
	v_lshlrev_b64 v[6:7], v5, -1
	v_and_b32_e32 v3, s61, v7
	v_or_b32_e32 v3, 0x80000000, v3
	v_ffbl_b32_e32 v3, v3
	v_add_u32_e32 v11, 32, v3
	v_and_b32_e32 v3, 63, v5
	v_cmp_ne_u32_e32 vcc, 63, v3
	v_addc_co_u32_e32 v39, vcc, 0, v5, vcc
	v_and_b32_e32 v50, 0xffffff, v8
	v_lshlrev_b32_e32 v39, 2, v39
	ds_bpermute_b32 v40, v39, v50
	v_and_b32_e32 v10, s60, v6
	v_ffbl_b32_e32 v10, v10
	v_min_u32_e32 v11, v10, v11
	v_lshrrev_b32_e32 v10, 16, v8
	v_cmp_lt_u32_e32 vcc, v3, v11
	v_bfe_u32 v48, v8, 16, 8
	s_and_saveexec_b64 s[60:61], vcc
	s_cbranch_execz .LBB264_156
; %bb.155:
	v_and_b32_e32 v10, 0xff0000, v8
	v_cmp_eq_u32_e32 vcc, 0, v10
	v_and_b32_e32 v10, 0x10000, v10
	v_mov_b32_e32 v43, 1
	s_waitcnt lgkmcnt(0)
	v_cndmask_b32_e32 v41, 0, v40, vcc
	v_and_b32_sdwa v40, v40, v43 dst_sel:DWORD dst_unused:UNUSED_PAD src0_sel:WORD_1 src1_sel:DWORD
	v_cmp_ne_u32_e32 vcc, 0, v10
	v_cndmask_b32_e64 v10, v40, 1, vcc
	v_add_u16_e32 v42, v41, v8
	v_lshlrev_b32_e32 v40, 16, v10
	v_add_u16_e32 v8, v41, v8
	v_or_b32_e32 v50, v40, v8
	v_mov_b32_e32 v8, v42
	v_mov_b32_e32 v48, v10
.LBB264_156:
	s_or_b64 exec, exec, s[60:61]
	v_cmp_gt_u32_e32 vcc, 62, v3
	s_waitcnt lgkmcnt(0)
	v_cndmask_b32_e64 v40, 0, 1, vcc
	v_lshlrev_b32_e32 v40, 1, v40
	v_add_lshl_u32 v40, v40, v5, 2
	ds_bpermute_b32 v42, v40, v50
	v_add_u32_e32 v41, 2, v3
	v_cmp_le_u32_e32 vcc, v41, v11
	s_and_saveexec_b64 s[60:61], vcc
	s_cbranch_execz .LBB264_158
; %bb.157:
	v_cmp_eq_u16_e32 vcc, 0, v48
	v_and_b32_e32 v10, 1, v48
	v_mov_b32_e32 v45, 1
	s_waitcnt lgkmcnt(0)
	v_cndmask_b32_e32 v43, 0, v42, vcc
	v_and_b32_sdwa v42, v42, v45 dst_sel:DWORD dst_unused:UNUSED_PAD src0_sel:WORD_1 src1_sel:DWORD
	v_cmp_eq_u32_e32 vcc, 1, v10
	v_cndmask_b32_e64 v10, v42, 1, vcc
	v_add_u16_e32 v44, v43, v8
	v_lshlrev_b32_e32 v42, 16, v10
	v_add_u16_e32 v8, v43, v8
	v_or_b32_e32 v50, v42, v8
	v_mov_b32_e32 v8, v44
	v_mov_b32_e32 v48, v10
.LBB264_158:
	s_or_b64 exec, exec, s[60:61]
	v_cmp_gt_u32_e32 vcc, 60, v3
	s_waitcnt lgkmcnt(0)
	v_cndmask_b32_e64 v42, 0, 1, vcc
	v_lshlrev_b32_e32 v42, 2, v42
	v_add_lshl_u32 v42, v42, v5, 2
	ds_bpermute_b32 v44, v42, v50
	v_add_u32_e32 v43, 4, v3
	v_cmp_le_u32_e32 vcc, v43, v11
	s_and_saveexec_b64 s[60:61], vcc
	s_cbranch_execz .LBB264_160
; %bb.159:
	v_cmp_eq_u16_e32 vcc, 0, v48
	v_and_b32_e32 v10, 1, v48
	v_mov_b32_e32 v47, 1
	s_waitcnt lgkmcnt(0)
	v_cndmask_b32_e32 v45, 0, v44, vcc
	v_and_b32_sdwa v44, v44, v47 dst_sel:DWORD dst_unused:UNUSED_PAD src0_sel:WORD_1 src1_sel:DWORD
	v_cmp_eq_u32_e32 vcc, 1, v10
	v_cndmask_b32_e64 v10, v44, 1, vcc
	v_add_u16_e32 v46, v45, v8
	v_lshlrev_b32_e32 v44, 16, v10
	v_add_u16_e32 v8, v45, v8
	v_or_b32_e32 v50, v44, v8
	v_mov_b32_e32 v8, v46
	v_mov_b32_e32 v48, v10
.LBB264_160:
	;; [unrolled: 27-line block ×4, first 2 shown]
	s_or_b64 exec, exec, s[60:61]
	v_cmp_gt_u32_e32 vcc, 32, v3
	s_waitcnt lgkmcnt(0)
	v_cndmask_b32_e64 v49, 0, 1, vcc
	v_lshlrev_b32_e32 v49, 5, v49
	v_add_lshl_u32 v49, v49, v5, 2
	ds_bpermute_b32 v5, v49, v50
	v_add_u32_e32 v50, 32, v3
	v_cmp_le_u32_e32 vcc, v50, v11
	s_and_saveexec_b64 s[60:61], vcc
	s_cbranch_execz .LBB264_166
; %bb.165:
	v_cmp_eq_u16_e32 vcc, 0, v48
	s_waitcnt lgkmcnt(0)
	v_cndmask_b32_e32 v10, 0, v5, vcc
	v_add_u16_e32 v8, v10, v8
	v_and_b32_e32 v10, 1, v48
	v_mov_b32_e32 v11, 1
	v_and_b32_sdwa v5, v5, v11 dst_sel:DWORD dst_unused:UNUSED_PAD src0_sel:WORD_1 src1_sel:DWORD
	v_cmp_eq_u32_e32 vcc, 1, v10
	v_cndmask_b32_e64 v10, v5, 1, vcc
.LBB264_166:
	s_or_b64 exec, exec, s[60:61]
	s_waitcnt lgkmcnt(0)
	v_mov_b32_e32 v5, 0
	v_mov_b32_e32 v52, 2
	;; [unrolled: 1-line block ×3, first 2 shown]
	s_branch .LBB264_168
.LBB264_167:                            ;   in Loop: Header=BB264_168 Depth=1
	s_or_b64 exec, exec, s[60:61]
	v_cmp_eq_u16_sdwa vcc, v48, v5 src0_sel:BYTE_0 src1_sel:DWORD
	v_and_b32_e32 v10, 1, v48
	v_cndmask_b32_e32 v8, 0, v8, vcc
	v_and_b32_e32 v11, 1, v11
	v_cmp_eq_u32_e32 vcc, 1, v10
	v_subrev_u32_e32 v4, 64, v4
	v_add_u16_e32 v8, v8, v51
	v_cndmask_b32_e64 v10, v11, 1, vcc
.LBB264_168:                            ; =>This Loop Header: Depth=1
                                        ;     Child Loop BB264_171 Depth 2
                                        ;       Child Loop BB264_172 Depth 3
	v_cmp_ne_u16_sdwa s[60:61], v9, v52 src0_sel:BYTE_0 src1_sel:DWORD
	v_cndmask_b32_e64 v9, 0, 1, s[60:61]
	;;#ASMSTART
	;;#ASMEND
	v_cmp_ne_u32_e32 vcc, 0, v9
	v_mov_b32_e32 v48, v10
	s_cmp_lg_u64 vcc, exec
	v_mov_b32_e32 v51, v8
	s_cbranch_scc1 .LBB264_187
; %bb.169:                              ;   in Loop: Header=BB264_168 Depth=1
	v_lshlrev_b64 v[8:9], 3, v[4:5]
	v_mov_b32_e32 v11, s65
	v_add_co_u32_e32 v10, vcc, s64, v8
	v_addc_co_u32_e32 v11, vcc, v11, v9, vcc
	global_load_dwordx2 v[8:9], v[10:11], off glc
	s_waitcnt vmcnt(0)
	v_cmp_eq_u16_sdwa s[62:63], v9, v5 src0_sel:BYTE_0 src1_sel:DWORD
	s_and_saveexec_b64 s[60:61], s[62:63]
	s_cbranch_execz .LBB264_175
; %bb.170:                              ;   in Loop: Header=BB264_168 Depth=1
	s_mov_b32 s7, 1
	s_mov_b64 s[62:63], 0
.LBB264_171:                            ;   Parent Loop BB264_168 Depth=1
                                        ; =>  This Loop Header: Depth=2
                                        ;       Child Loop BB264_172 Depth 3
	s_max_u32 s67, s7, 1
.LBB264_172:                            ;   Parent Loop BB264_168 Depth=1
                                        ;     Parent Loop BB264_171 Depth=2
                                        ; =>    This Inner Loop Header: Depth=3
	s_add_i32 s67, s67, -1
	s_cmp_eq_u32 s67, 0
	s_sleep 1
	s_cbranch_scc0 .LBB264_172
; %bb.173:                              ;   in Loop: Header=BB264_171 Depth=2
	global_load_dwordx2 v[8:9], v[10:11], off glc
	s_cmp_lt_u32 s7, 32
	s_cselect_b64 s[72:73], -1, 0
	s_cmp_lg_u64 s[72:73], 0
	s_addc_u32 s7, s7, 0
	s_waitcnt vmcnt(0)
	v_cmp_ne_u16_sdwa s[72:73], v9, v5 src0_sel:BYTE_0 src1_sel:DWORD
	s_or_b64 s[62:63], s[72:73], s[62:63]
	s_andn2_b64 exec, exec, s[62:63]
	s_cbranch_execnz .LBB264_171
; %bb.174:                              ;   in Loop: Header=BB264_168 Depth=1
	s_or_b64 exec, exec, s[62:63]
.LBB264_175:                            ;   in Loop: Header=BB264_168 Depth=1
	s_or_b64 exec, exec, s[60:61]
	v_cmp_eq_u16_sdwa s[60:61], v9, v52 src0_sel:BYTE_0 src1_sel:DWORD
	v_and_b32_e32 v10, s61, v7
	s_waitcnt lgkmcnt(0)
	v_and_b32_e32 v55, 0xffffff, v8
	v_or_b32_e32 v10, 0x80000000, v10
	ds_bpermute_b32 v56, v39, v55
	v_and_b32_e32 v11, s60, v6
	v_ffbl_b32_e32 v10, v10
	v_add_u32_e32 v10, 32, v10
	v_ffbl_b32_e32 v11, v11
	v_min_u32_e32 v10, v11, v10
	v_lshrrev_b32_e32 v11, 16, v8
	v_cmp_lt_u32_e32 vcc, v3, v10
	v_bfe_u32 v54, v8, 16, 8
	s_and_saveexec_b64 s[60:61], vcc
	s_cbranch_execz .LBB264_177
; %bb.176:                              ;   in Loop: Header=BB264_168 Depth=1
	v_and_b32_e32 v11, 0xff0000, v8
	v_cmp_eq_u32_e32 vcc, 0, v11
	v_and_b32_e32 v11, 0x10000, v11
	s_waitcnt lgkmcnt(0)
	v_cndmask_b32_e32 v54, 0, v56, vcc
	v_and_b32_sdwa v55, v56, v53 dst_sel:DWORD dst_unused:UNUSED_PAD src0_sel:WORD_1 src1_sel:DWORD
	v_cmp_ne_u32_e32 vcc, 0, v11
	v_cndmask_b32_e64 v11, v55, 1, vcc
	v_add_u16_e32 v57, v54, v8
	v_lshlrev_b32_e32 v55, 16, v11
	v_add_u16_e32 v8, v54, v8
	v_or_b32_e32 v55, v55, v8
	v_mov_b32_e32 v8, v57
	v_mov_b32_e32 v54, v11
.LBB264_177:                            ;   in Loop: Header=BB264_168 Depth=1
	s_or_b64 exec, exec, s[60:61]
	s_waitcnt lgkmcnt(0)
	ds_bpermute_b32 v56, v40, v55
	v_cmp_le_u32_e32 vcc, v41, v10
	s_and_saveexec_b64 s[60:61], vcc
	s_cbranch_execz .LBB264_179
; %bb.178:                              ;   in Loop: Header=BB264_168 Depth=1
	v_cmp_eq_u16_e32 vcc, 0, v54
	v_and_b32_e32 v11, 1, v54
	s_waitcnt lgkmcnt(0)
	v_cndmask_b32_e32 v55, 0, v56, vcc
	v_and_b32_sdwa v54, v56, v53 dst_sel:DWORD dst_unused:UNUSED_PAD src0_sel:WORD_1 src1_sel:DWORD
	v_cmp_eq_u32_e32 vcc, 1, v11
	v_cndmask_b32_e64 v11, v54, 1, vcc
	v_add_u16_e32 v57, v55, v8
	v_lshlrev_b32_e32 v54, 16, v11
	v_add_u16_e32 v8, v55, v8
	v_or_b32_e32 v55, v54, v8
	v_mov_b32_e32 v8, v57
	v_mov_b32_e32 v54, v11
.LBB264_179:                            ;   in Loop: Header=BB264_168 Depth=1
	s_or_b64 exec, exec, s[60:61]
	s_waitcnt lgkmcnt(0)
	ds_bpermute_b32 v56, v42, v55
	v_cmp_le_u32_e32 vcc, v43, v10
	s_and_saveexec_b64 s[60:61], vcc
	s_cbranch_execz .LBB264_181
; %bb.180:                              ;   in Loop: Header=BB264_168 Depth=1
	v_cmp_eq_u16_e32 vcc, 0, v54
	v_and_b32_e32 v11, 1, v54
	s_waitcnt lgkmcnt(0)
	v_cndmask_b32_e32 v55, 0, v56, vcc
	v_and_b32_sdwa v54, v56, v53 dst_sel:DWORD dst_unused:UNUSED_PAD src0_sel:WORD_1 src1_sel:DWORD
	v_cmp_eq_u32_e32 vcc, 1, v11
	v_cndmask_b32_e64 v11, v54, 1, vcc
	v_add_u16_e32 v57, v55, v8
	v_lshlrev_b32_e32 v54, 16, v11
	v_add_u16_e32 v8, v55, v8
	v_or_b32_e32 v55, v54, v8
	v_mov_b32_e32 v8, v57
	v_mov_b32_e32 v54, v11
.LBB264_181:                            ;   in Loop: Header=BB264_168 Depth=1
	s_or_b64 exec, exec, s[60:61]
	s_waitcnt lgkmcnt(0)
	ds_bpermute_b32 v56, v44, v55
	v_cmp_le_u32_e32 vcc, v45, v10
	s_and_saveexec_b64 s[60:61], vcc
	s_cbranch_execz .LBB264_183
; %bb.182:                              ;   in Loop: Header=BB264_168 Depth=1
	v_cmp_eq_u16_e32 vcc, 0, v54
	v_and_b32_e32 v11, 1, v54
	s_waitcnt lgkmcnt(0)
	v_cndmask_b32_e32 v55, 0, v56, vcc
	v_and_b32_sdwa v54, v56, v53 dst_sel:DWORD dst_unused:UNUSED_PAD src0_sel:WORD_1 src1_sel:DWORD
	v_cmp_eq_u32_e32 vcc, 1, v11
	v_cndmask_b32_e64 v11, v54, 1, vcc
	v_add_u16_e32 v57, v55, v8
	v_lshlrev_b32_e32 v54, 16, v11
	v_add_u16_e32 v8, v55, v8
	v_or_b32_e32 v55, v54, v8
	v_mov_b32_e32 v8, v57
	v_mov_b32_e32 v54, v11
.LBB264_183:                            ;   in Loop: Header=BB264_168 Depth=1
	s_or_b64 exec, exec, s[60:61]
	s_waitcnt lgkmcnt(0)
	ds_bpermute_b32 v56, v46, v55
	v_cmp_le_u32_e32 vcc, v47, v10
	s_and_saveexec_b64 s[60:61], vcc
	s_cbranch_execz .LBB264_185
; %bb.184:                              ;   in Loop: Header=BB264_168 Depth=1
	v_cmp_eq_u16_e32 vcc, 0, v54
	v_and_b32_e32 v11, 1, v54
	s_waitcnt lgkmcnt(0)
	v_cndmask_b32_e32 v55, 0, v56, vcc
	v_and_b32_sdwa v54, v56, v53 dst_sel:DWORD dst_unused:UNUSED_PAD src0_sel:WORD_1 src1_sel:DWORD
	v_cmp_eq_u32_e32 vcc, 1, v11
	v_cndmask_b32_e64 v11, v54, 1, vcc
	v_add_u16_e32 v57, v55, v8
	v_lshlrev_b32_e32 v54, 16, v11
	v_add_u16_e32 v8, v55, v8
	v_or_b32_e32 v55, v54, v8
	v_mov_b32_e32 v8, v57
	v_mov_b32_e32 v54, v11
.LBB264_185:                            ;   in Loop: Header=BB264_168 Depth=1
	s_or_b64 exec, exec, s[60:61]
	ds_bpermute_b32 v55, v49, v55
	v_cmp_le_u32_e32 vcc, v50, v10
	s_and_saveexec_b64 s[60:61], vcc
	s_cbranch_execz .LBB264_167
; %bb.186:                              ;   in Loop: Header=BB264_168 Depth=1
	v_cmp_eq_u16_e32 vcc, 0, v54
	s_waitcnt lgkmcnt(0)
	v_cndmask_b32_e32 v10, 0, v55, vcc
	v_add_u16_e32 v8, v10, v8
	v_and_b32_e32 v10, 1, v54
	v_lshrrev_b32_e32 v11, 16, v55
	v_cmp_eq_u32_e32 vcc, 1, v10
	v_cndmask_b32_e64 v11, v11, 1, vcc
	s_branch .LBB264_167
.LBB264_187:                            ;   in Loop: Header=BB264_168 Depth=1
                                        ; implicit-def: $vgpr10
                                        ; implicit-def: $vgpr8
	s_cbranch_execz .LBB264_168
; %bb.188:
	s_and_saveexec_b64 s[60:61], s[48:49]
	s_cbranch_execz .LBB264_190
; %bb.189:
	v_and_b32_e32 v3, 0xff0000, v2
	s_mov_b32 s7, 0
	v_cmp_eq_u32_e32 vcc, 0, v3
	v_and_b32_e32 v4, 0x10000, v2
	v_mov_b32_e32 v5, 1
	s_add_i32 s6, s6, 64
	v_cndmask_b32_e32 v3, 0, v51, vcc
	v_and_b32_sdwa v5, v48, v5 dst_sel:WORD_1 dst_unused:UNUSED_PAD src0_sel:DWORD src1_sel:DWORD
	v_mov_b32_e32 v6, 0x10000
	v_cmp_eq_u32_e32 vcc, 0, v4
	s_lshl_b64 s[6:7], s[6:7], 3
	v_cndmask_b32_e32 v4, v6, v5, vcc
	s_add_u32 s6, s64, s6
	v_add_u16_e32 v2, v3, v2
	s_addc_u32 s7, s65, s7
	v_mov_b32_e32 v5, 0
	v_or_b32_e32 v2, v4, v2
	v_mov_b32_e32 v3, 2
	global_store_dwordx2 v5, v[2:3], s[6:7]
.LBB264_190:
	s_or_b64 exec, exec, s[60:61]
	s_and_b64 exec, exec, s[46:47]
	s_cbranch_execz .LBB264_192
; %bb.191:
	v_mov_b32_e32 v2, 0
	ds_write_b16 v2, v51
	ds_write_b8 v2, v48 offset:2
.LBB264_192:
	s_or_b64 exec, exec, s[56:57]
	v_mov_b32_e32 v2, 0
	s_mov_b32 s6, 0x10000
	s_waitcnt lgkmcnt(0)
	s_barrier
	ds_read_b32 v3, v2
	v_cmp_gt_u32_e32 vcc, s6, v1
	v_and_b32_e32 v5, 0x10000, v1
	v_cndmask_b32_e32 v4, 0, v37, vcc
	v_and_b32_e32 v6, 1, v38
	v_cmp_ne_u32_e32 vcc, 0, v5
	v_cndmask_b32_e64 v5, v6, 1, vcc
	v_cndmask_b32_e64 v5, v5, v36, s[46:47]
	v_cndmask_b32_e64 v4, v4, 0, s[46:47]
	v_cmp_eq_u16_sdwa vcc, v5, v2 src0_sel:BYTE_0 src1_sel:DWORD
	v_add_u16_e32 v4, v4, v1
	s_waitcnt lgkmcnt(0)
	v_cndmask_b32_e32 v2, 0, v3, vcc
	v_add_u16_e32 v49, v4, v2
	v_cndmask_b32_e64 v2, 0, v49, s[2:3]
	v_add_u16_e32 v4, v2, v16
	v_cndmask_b32_e64 v2, 0, v4, s[4:5]
	v_add_u16_e32 v5, v2, v17
	v_cndmask_b32_e64 v2, 0, v5, s[50:51]
	v_add_u16_e32 v6, v2, v18
	v_cndmask_b32_e64 v2, 0, v6, s[8:9]
	v_add_u16_e32 v7, v2, v19
	v_cndmask_b32_e64 v2, 0, v7, s[10:11]
	v_add_u16_e32 v8, v2, v20
	v_cndmask_b32_e64 v2, 0, v8, s[12:13]
	v_add_u16_e32 v9, v2, v21
	v_cndmask_b32_e64 v2, 0, v9, s[14:15]
	v_add_u16_e32 v10, v2, v22
	v_cndmask_b32_e64 v2, 0, v10, s[16:17]
	v_add_u16_e32 v11, v2, v23
	v_cndmask_b32_e64 v2, 0, v11, s[18:19]
	v_add_u16_e32 v36, v2, v24
	v_cndmask_b32_e64 v2, 0, v36, s[20:21]
	v_add_u16_e32 v37, v2, v25
	v_cndmask_b32_e64 v2, 0, v37, s[22:23]
	v_add_u16_e32 v38, v2, v26
	v_cndmask_b32_e64 v2, 0, v38, s[24:25]
	v_add_u16_e32 v39, v2, v27
	v_cndmask_b32_e64 v2, 0, v39, s[26:27]
	v_add_u16_e32 v40, v2, v28
	v_cndmask_b32_e64 v2, 0, v40, s[28:29]
	v_add_u16_e32 v41, v2, v29
	v_cndmask_b32_e64 v2, 0, v41, s[30:31]
	v_add_u16_e32 v42, v2, v30
	v_cndmask_b32_e64 v2, 0, v42, s[34:35]
	v_add_u16_e32 v43, v2, v31
	v_cndmask_b32_e64 v2, 0, v43, s[36:37]
	v_add_u16_e32 v44, v2, v32
	v_cndmask_b32_e64 v2, 0, v44, s[38:39]
	v_add_u16_e32 v45, v2, v33
	v_cndmask_b32_e64 v2, 0, v45, s[40:41]
	v_add_u16_e32 v46, v2, v34
	v_cndmask_b32_e64 v2, 0, v46, s[42:43]
	v_add_u16_e32 v47, v2, v35
	v_cndmask_b32_e64 v2, 0, v47, s[44:45]
	v_add_u16_e32 v48, v2, v13
	s_branch .LBB264_215
.LBB264_193:
                                        ; implicit-def: $vgpr49
                                        ; implicit-def: $vgpr4
                                        ; implicit-def: $vgpr5
                                        ; implicit-def: $vgpr6
                                        ; implicit-def: $vgpr7
                                        ; implicit-def: $vgpr8
                                        ; implicit-def: $vgpr9
                                        ; implicit-def: $vgpr10
                                        ; implicit-def: $vgpr11
                                        ; implicit-def: $vgpr36
                                        ; implicit-def: $vgpr37
                                        ; implicit-def: $vgpr38
                                        ; implicit-def: $vgpr39
                                        ; implicit-def: $vgpr40
                                        ; implicit-def: $vgpr41
                                        ; implicit-def: $vgpr42
                                        ; implicit-def: $vgpr43
                                        ; implicit-def: $vgpr44
                                        ; implicit-def: $vgpr45
                                        ; implicit-def: $vgpr46
                                        ; implicit-def: $vgpr47
                                        ; implicit-def: $vgpr48
	s_cbranch_execz .LBB264_215
; %bb.194:
	s_cmp_lg_u64 s[70:71], 0
	s_cselect_b32 s5, s59, 0
	s_cselect_b32 s4, s58, 0
	s_cmp_lg_u64 s[4:5], 0
	s_cselect_b64 s[6:7], -1, 0
	v_cmp_eq_u32_e32 vcc, 0, v0
	v_cmp_ne_u32_e64 s[2:3], 0, v0
	s_and_b64 s[8:9], vcc, s[6:7]
	s_and_saveexec_b64 s[6:7], s[8:9]
	s_cbranch_execz .LBB264_196
; %bb.195:
	v_mov_b32_e32 v2, 0
	global_load_ushort v3, v2, s[4:5]
	global_load_ubyte v4, v2, s[4:5] offset:2
	s_mov_b32 s4, 0x10000
	v_and_b32_e32 v2, 0x10000, v1
	v_mov_b32_e32 v5, 1
	v_cmp_gt_u32_e64 s[4:5], s4, v1
	v_mov_b32_e32 v6, 0x10000
	s_waitcnt vmcnt(1)
	v_cndmask_b32_e64 v3, 0, v3, s[4:5]
	s_waitcnt vmcnt(0)
	v_and_b32_sdwa v4, v4, v5 dst_sel:WORD_1 dst_unused:UNUSED_PAD src0_sel:DWORD src1_sel:DWORD
	v_cmp_eq_u32_e64 s[4:5], 0, v2
	v_add_u16_e32 v1, v3, v1
	v_cndmask_b32_e64 v2, v6, v4, s[4:5]
	v_or_b32_e32 v1, v2, v1
.LBB264_196:
	s_or_b64 exec, exec, s[6:7]
	s_mov_b32 s46, 0x10000
	v_cmp_gt_u32_e64 s[4:5], s46, v16
	v_cndmask_b32_e64 v3, 0, v1, s[4:5]
	v_add_u16_e32 v4, v3, v16
	v_cmp_gt_u32_e64 s[6:7], s46, v17
	v_cndmask_b32_e64 v3, 0, v4, s[6:7]
	v_add_u16_e32 v5, v3, v17
	;; [unrolled: 3-line block ×21, first 2 shown]
	v_or3_b32 v3, v15, v31, v30
	v_or3_b32 v3, v3, v29, v28
	;; [unrolled: 1-line block ×8, first 2 shown]
	v_and_b32_e32 v3, 0x10000, v3
	v_lshrrev_b32_e32 v2, 16, v1
	v_cmp_ne_u32_e64 s[48:49], 0, v3
	v_mov_b32_e32 v49, 0x10000
	v_cndmask_b32_e64 v3, v2, 1, s[48:49]
	v_add_lshl_u32 v2, v14, v0, 2
	v_cmp_gt_u32_e64 s[48:49], 64, v0
	ds_write_b16 v2, v48
	ds_write_b8 v2, v3 offset:2
	s_waitcnt lgkmcnt(0)
	s_barrier
	s_and_saveexec_b64 s[50:51], s[48:49]
	s_cbranch_execz .LBB264_210
; %bb.197:
	v_lshlrev_b32_e32 v2, 2, v0
	v_lshrrev_b32_e32 v14, 3, v0
	v_add_lshl_u32 v2, v14, v2, 2
	ds_read_b32 v14, v2
	ds_read_u16 v15, v2 offset:4
	ds_read_u8 v50, v2 offset:6
	ds_read_u16 v51, v2 offset:8
	ds_read_u8 v52, v2 offset:10
	;; [unrolled: 2-line block ×3, first 2 shown]
	v_mov_b32_e32 v55, 0
	s_waitcnt lgkmcnt(4)
	v_cmp_eq_u16_sdwa s[48:49], v50, v55 src0_sel:BYTE_0 src1_sel:DWORD
	v_cndmask_b32_e64 v56, 0, v14, s[48:49]
	v_add_u16_e32 v56, v56, v15
	s_waitcnt lgkmcnt(2)
	v_cmp_eq_u16_sdwa s[48:49], v52, v55 src0_sel:BYTE_0 src1_sel:DWORD
	s_waitcnt lgkmcnt(0)
	v_or_b32_e32 v52, v54, v52
	v_cndmask_b32_e64 v55, 0, v56, s[48:49]
	v_or_b32_e32 v50, v52, v50
	v_add_u16_e32 v51, v55, v51
	v_cmp_eq_u16_e64 s[48:49], 0, v54
	v_and_b32_e32 v50, 1, v50
	v_and_b32_e32 v15, 0x10000, v14
	v_cndmask_b32_e64 v55, 0, v51, s[48:49]
	v_cmp_eq_u32_e64 s[48:49], 1, v50
	v_mbcnt_lo_u32_b32 v50, -1, 0
	v_add_u16_e32 v51, v55, v53
	v_cndmask_b32_e64 v56, v15, v49, s[48:49]
	v_add_u16_e32 v53, v55, v53
	v_and_b32_e32 v49, 0xff000000, v14
	v_mbcnt_hi_u32_b32 v50, -1, v50
	v_or_b32_e32 v54, v56, v49
	v_and_b32_e32 v55, 15, v50
	v_or3_b32 v53, v49, v53, v56
	s_movk_i32 s58, 0xff
	v_lshrrev_b32_e32 v52, 16, v54
	v_mov_b32_dpp v56, v53 row_shr:1 row_mask:0xf bank_mask:0xf
	v_cmp_ne_u32_e64 s[48:49], 0, v55
	s_and_saveexec_b64 s[56:57], s[48:49]
	s_cbranch_execz .LBB264_199
; %bb.198:
	v_and_b32_sdwa v52, v54, s58 dst_sel:DWORD dst_unused:UNUSED_PAD src0_sel:WORD_1 src1_sel:DWORD
	v_cmp_eq_u16_e64 s[48:49], 0, v52
	v_and_b32_e32 v52, 0x10000, v54
	v_mov_b32_e32 v54, 1
	v_cndmask_b32_e64 v53, 0, v56, s[48:49]
	v_and_b32_sdwa v54, v56, v54 dst_sel:DWORD dst_unused:UNUSED_PAD src0_sel:WORD_1 src1_sel:DWORD
	v_cmp_ne_u32_e64 s[48:49], 0, v52
	v_cndmask_b32_e64 v52, v54, 1, s[48:49]
	v_add_u16_e32 v57, v53, v51
	v_lshlrev_b32_e32 v54, 16, v52
	v_add_u16_e32 v51, v53, v51
	v_or3_b32 v53, v54, v51, v49
	v_mov_b32_e32 v51, v57
.LBB264_199:
	s_or_b64 exec, exec, s[56:57]
	v_lshrrev_b32_e32 v54, 16, v53
	v_mov_b32_dpp v56, v53 row_shr:2 row_mask:0xf bank_mask:0xf
	v_cmp_lt_u32_e64 s[48:49], 1, v55
	s_and_saveexec_b64 s[56:57], s[48:49]
	s_cbranch_execz .LBB264_201
; %bb.200:
	v_mov_b32_e32 v52, 0
	v_cmp_eq_u16_sdwa s[48:49], v54, v52 src0_sel:BYTE_0 src1_sel:DWORD
	v_and_b32_e32 v52, 0x10000, v53
	v_mov_b32_e32 v53, 1
	v_cndmask_b32_e64 v54, 0, v56, s[48:49]
	v_and_b32_sdwa v53, v56, v53 dst_sel:DWORD dst_unused:UNUSED_PAD src0_sel:WORD_1 src1_sel:DWORD
	v_cmp_ne_u32_e64 s[48:49], 0, v52
	v_cndmask_b32_e64 v52, v53, 1, s[48:49]
	v_add_u16_e32 v57, v54, v51
	v_lshlrev_b32_e32 v53, 16, v52
	v_add_u16_e32 v51, v54, v51
	v_or3_b32 v53, v53, v51, v49
	v_mov_b32_e32 v54, v52
	v_mov_b32_e32 v51, v57
.LBB264_201:
	s_or_b64 exec, exec, s[56:57]
	v_mov_b32_dpp v56, v53 row_shr:4 row_mask:0xf bank_mask:0xf
	v_cmp_lt_u32_e64 s[48:49], 3, v55
	s_and_saveexec_b64 s[56:57], s[48:49]
	s_cbranch_execz .LBB264_203
; %bb.202:
	v_mov_b32_e32 v52, 0
	v_cmp_eq_u16_sdwa s[48:49], v54, v52 src0_sel:BYTE_0 src1_sel:DWORD
	v_and_b32_e32 v52, 1, v54
	v_mov_b32_e32 v54, 1
	v_cndmask_b32_e64 v53, 0, v56, s[48:49]
	v_and_b32_sdwa v54, v56, v54 dst_sel:DWORD dst_unused:UNUSED_PAD src0_sel:WORD_1 src1_sel:DWORD
	v_cmp_eq_u32_e64 s[48:49], 1, v52
	v_cndmask_b32_e64 v52, v54, 1, s[48:49]
	v_add_u16_e32 v57, v53, v51
	v_lshlrev_b32_e32 v54, 16, v52
	v_add_u16_e32 v51, v53, v51
	v_or3_b32 v53, v54, v51, v49
	v_mov_b32_e32 v54, v52
	v_mov_b32_e32 v51, v57
.LBB264_203:
	s_or_b64 exec, exec, s[56:57]
	v_mov_b32_dpp v56, v53 row_shr:8 row_mask:0xf bank_mask:0xf
	v_cmp_lt_u32_e64 s[48:49], 7, v55
	s_and_saveexec_b64 s[56:57], s[48:49]
	s_cbranch_execz .LBB264_205
; %bb.204:
	v_mov_b32_e32 v52, 0
	v_cmp_eq_u16_sdwa s[48:49], v54, v52 src0_sel:BYTE_0 src1_sel:DWORD
	v_and_b32_e32 v52, 1, v54
	v_mov_b32_e32 v54, 1
	v_cndmask_b32_e64 v53, 0, v56, s[48:49]
	v_and_b32_sdwa v54, v56, v54 dst_sel:DWORD dst_unused:UNUSED_PAD src0_sel:WORD_1 src1_sel:DWORD
	v_cmp_eq_u32_e64 s[48:49], 1, v52
	v_cndmask_b32_e64 v52, v54, 1, s[48:49]
	v_add_u16_e32 v55, v53, v51
	v_lshlrev_b32_e32 v54, 16, v52
	v_add_u16_e32 v51, v53, v51
	v_or3_b32 v53, v54, v51, v49
	v_mov_b32_e32 v54, v52
	v_mov_b32_e32 v51, v55
.LBB264_205:
	s_or_b64 exec, exec, s[56:57]
	v_and_b32_e32 v56, 16, v50
	v_mov_b32_dpp v55, v53 row_bcast:15 row_mask:0xf bank_mask:0xf
	v_cmp_ne_u32_e64 s[48:49], 0, v56
	s_and_saveexec_b64 s[56:57], s[48:49]
	s_cbranch_execz .LBB264_207
; %bb.206:
	v_mov_b32_e32 v52, 0
	v_cmp_eq_u16_sdwa s[48:49], v54, v52 src0_sel:BYTE_0 src1_sel:DWORD
	v_and_b32_e32 v52, 1, v54
	v_mov_b32_e32 v54, 1
	v_cndmask_b32_e64 v53, 0, v55, s[48:49]
	v_and_b32_sdwa v54, v55, v54 dst_sel:DWORD dst_unused:UNUSED_PAD src0_sel:WORD_1 src1_sel:DWORD
	v_cmp_eq_u32_e64 s[48:49], 1, v52
	v_cndmask_b32_e64 v52, v54, 1, s[48:49]
	v_add_u16_e32 v56, v53, v51
	v_lshlrev_b32_e32 v54, 16, v52
	v_add_u16_e32 v51, v53, v51
	v_or3_b32 v53, v54, v51, v49
	v_mov_b32_e32 v54, v52
	v_mov_b32_e32 v51, v56
.LBB264_207:
	s_or_b64 exec, exec, s[56:57]
	v_mov_b32_dpp v53, v53 row_bcast:31 row_mask:0xf bank_mask:0xf
	v_cmp_lt_u32_e64 s[48:49], 31, v50
	s_and_saveexec_b64 s[56:57], s[48:49]
; %bb.208:
	v_mov_b32_e32 v52, 0
	v_cmp_eq_u16_sdwa s[48:49], v54, v52 src0_sel:BYTE_0 src1_sel:DWORD
	v_cndmask_b32_e64 v52, 0, v53, s[48:49]
	v_add_u16_e32 v51, v52, v51
	v_and_b32_e32 v52, 1, v54
	v_mov_b32_e32 v54, 1
	v_and_b32_sdwa v53, v53, v54 dst_sel:DWORD dst_unused:UNUSED_PAD src0_sel:WORD_1 src1_sel:DWORD
	v_cmp_eq_u32_e64 s[48:49], 1, v52
	v_cndmask_b32_e64 v52, v53, 1, s[48:49]
; %bb.209:
	s_or_b64 exec, exec, s[56:57]
	v_and_b32_e32 v52, 0xff, v52
	v_lshlrev_b32_e32 v52, 16, v52
	v_and_b32_e32 v51, 0xffff, v51
	v_or3_b32 v49, v52, v51, v49
	v_add_u32_e32 v51, -1, v50
	v_and_b32_e32 v52, 64, v50
	v_cmp_lt_i32_e64 s[48:49], v51, v52
	v_cndmask_b32_e64 v50, v51, v50, s[48:49]
	v_lshlrev_b32_e32 v50, 2, v50
	ds_bpermute_b32 v49, v50, v49
	v_and_b32_e32 v50, 0xff0000, v14
	v_cmp_eq_u32_e64 s[48:49], 0, v50
	; wave barrier
	s_waitcnt lgkmcnt(0)
	v_cndmask_b32_e64 v50, 0, v49, s[48:49]
	v_add_u16_e32 v14, v50, v14
	v_mov_b32_e32 v50, 1
	v_and_b32_sdwa v49, v49, v50 dst_sel:DWORD dst_unused:UNUSED_PAD src0_sel:WORD_1 src1_sel:DWORD
	v_cmp_eq_u32_e64 s[48:49], 0, v15
	v_cndmask_b32_e64 v15, 1, v49, s[48:49]
	v_cndmask_b32_e32 v14, v14, v48, vcc
	v_cndmask_b32_e32 v3, v15, v3, vcc
	ds_write_b16 v2, v14
	ds_write_b8 v2, v3 offset:2
	; wave barrier
	ds_read_u16 v15, v2 offset:4
	ds_read_u8 v49, v2 offset:6
	ds_read_u16 v50, v2 offset:8
	ds_read_u8 v51, v2 offset:10
	;; [unrolled: 2-line block ×3, first 2 shown]
	s_waitcnt lgkmcnt(4)
	v_cmp_eq_u16_e64 s[48:49], 0, v49
	v_cndmask_b32_e64 v14, 0, v14, s[48:49]
	v_add_u16_e32 v14, v14, v15
	v_and_b32_e32 v15, 1, v49
	v_cmp_eq_u32_e64 s[48:49], 1, v15
	v_cndmask_b32_e64 v3, v3, 1, s[48:49]
	s_waitcnt lgkmcnt(2)
	v_cmp_eq_u16_e64 s[48:49], 0, v51
	v_and_b32_e32 v15, 1, v51
	ds_write_b16 v2, v14 offset:4
	ds_write_b8 v2, v3 offset:6
	v_cndmask_b32_e64 v14, 0, v14, s[48:49]
	v_cmp_eq_u32_e64 s[48:49], 1, v15
	v_add_u16_e32 v14, v14, v50
	v_cndmask_b32_e64 v3, v3, 1, s[48:49]
	s_waitcnt lgkmcnt(2)
	v_cmp_eq_u16_e64 s[48:49], 0, v53
	ds_write_b16 v2, v14 offset:8
	ds_write_b8 v2, v3 offset:10
	v_cndmask_b32_e64 v14, 0, v14, s[48:49]
	v_and_b32_e32 v15, 1, v53
	v_add_u16_e32 v14, v14, v52
	v_cmp_eq_u32_e64 s[48:49], 1, v15
	v_cndmask_b32_e64 v3, v3, 1, s[48:49]
	ds_write_b16 v2, v14 offset:12
	ds_write_b8 v2, v3 offset:14
.LBB264_210:
	s_or_b64 exec, exec, s[50:51]
	v_mov_b32_e32 v2, v48
	s_waitcnt lgkmcnt(0)
	s_barrier
	s_and_saveexec_b64 s[48:49], s[2:3]
	s_cbranch_execnz .LBB264_285
; %bb.211:
	s_or_b64 exec, exec, s[48:49]
	s_and_saveexec_b64 s[48:49], s[2:3]
	s_cbranch_execnz .LBB264_286
.LBB264_212:
	s_or_b64 exec, exec, s[48:49]
	s_and_saveexec_b64 s[2:3], vcc
	s_cbranch_execz .LBB264_214
.LBB264_213:
	v_mov_b32_e32 v13, 0
	s_waitcnt lgkmcnt(0)
	ds_read_u8 v2, v13 offset:1050
	ds_read_u16 v3, v13 offset:1048
	s_waitcnt lgkmcnt(1)
	v_lshlrev_b32_e32 v2, 16, v2
	s_waitcnt lgkmcnt(0)
	v_or_b32_e32 v2, v2, v3
	v_mov_b32_e32 v3, 2
	global_store_dwordx2 v13, v[2:3], s[64:65] offset:512
.LBB264_214:
	s_or_b64 exec, exec, s[2:3]
	v_mov_b32_e32 v49, v1
.LBB264_215:
	s_add_u32 s2, s54, s68
	s_addc_u32 s3, s55, s69
	s_add_u32 s4, s2, s52
	s_addc_u32 s5, s3, s53
	s_and_b64 vcc, exec, s[0:1]
	v_mul_u32_u24_e32 v14, 22, v0
	s_cbranch_vccz .LBB264_259
; %bb.216:
	s_mov_b32 s0, 0x5040100
	v_lshlrev_b32_e32 v33, 1, v14
	v_perm_b32 v1, v6, v5, s0
	s_waitcnt lgkmcnt(0)
	v_perm_b32 v2, v4, v49, s0
	s_barrier
	ds_write2_b32 v33, v2, v1 offset1:1
	v_perm_b32 v1, v10, v9, s0
	v_perm_b32 v2, v8, v7, s0
	ds_write2_b32 v33, v2, v1 offset0:2 offset1:3
	v_perm_b32 v1, v38, v37, s0
	v_perm_b32 v2, v36, v11, s0
	ds_write2_b32 v33, v2, v1 offset0:4 offset1:5
	v_perm_b32 v1, v42, v41, s0
	v_perm_b32 v2, v40, v39, s0
	ds_write2_b32 v33, v2, v1 offset0:6 offset1:7
	v_perm_b32 v1, v46, v45, s0
	v_perm_b32 v2, v44, v43, s0
	ds_write2_b32 v33, v2, v1 offset0:8 offset1:9
	v_perm_b32 v1, v48, v47, s0
	s_movk_i32 s0, 0xffd6
	v_mad_i32_i24 v2, v0, s0, v33
	ds_write_b32 v33, v1 offset:40
	s_waitcnt lgkmcnt(0)
	s_barrier
	ds_read_u16 v35, v2 offset:512
	ds_read_u16 v34, v2 offset:1024
	;; [unrolled: 1-line block ×21, first 2 shown]
	v_mov_b32_e32 v3, s5
	v_add_co_u32_e32 v2, vcc, s4, v12
	s_add_i32 s33, s33, s66
	v_addc_co_u32_e32 v3, vcc, 0, v3, vcc
	v_mov_b32_e32 v1, 0
	v_cmp_gt_u32_e32 vcc, s33, v0
	s_and_saveexec_b64 s[0:1], vcc
	s_cbranch_execz .LBB264_218
; %bb.217:
	v_mul_i32_i24_e32 v50, 0xffffffd6, v0
	v_add_u32_e32 v33, v33, v50
	ds_read_u16 v33, v33
	s_waitcnt lgkmcnt(0)
	flat_store_short v[2:3], v33
.LBB264_218:
	s_or_b64 exec, exec, s[0:1]
	v_or_b32_e32 v33, 0x100, v0
	v_cmp_gt_u32_e32 vcc, s33, v33
	s_and_saveexec_b64 s[0:1], vcc
	s_cbranch_execz .LBB264_220
; %bb.219:
	s_waitcnt lgkmcnt(0)
	flat_store_short v[2:3], v35 offset:512
.LBB264_220:
	s_or_b64 exec, exec, s[0:1]
	v_or_b32_e32 v33, 0x200, v0
	v_cmp_gt_u32_e32 vcc, s33, v33
	s_and_saveexec_b64 s[0:1], vcc
	s_cbranch_execz .LBB264_222
; %bb.221:
	s_waitcnt lgkmcnt(0)
	flat_store_short v[2:3], v34 offset:1024
.LBB264_222:
	;; [unrolled: 9-line block ×3, first 2 shown]
	s_or_b64 exec, exec, s[0:1]
	s_waitcnt lgkmcnt(0)
	v_or_b32_e32 v32, 0x400, v0
	v_cmp_gt_u32_e32 vcc, s33, v32
	s_and_saveexec_b64 s[0:1], vcc
	s_cbranch_execz .LBB264_226
; %bb.225:
	flat_store_short v[2:3], v31 offset:2048
.LBB264_226:
	s_or_b64 exec, exec, s[0:1]
	v_or_b32_e32 v31, 0x500, v0
	v_cmp_gt_u32_e32 vcc, s33, v31
	s_and_saveexec_b64 s[0:1], vcc
	s_cbranch_execz .LBB264_228
; %bb.227:
	flat_store_short v[2:3], v30 offset:2560
.LBB264_228:
	s_or_b64 exec, exec, s[0:1]
	;; [unrolled: 8-line block ×4, first 2 shown]
	v_or_b32_e32 v28, 0x800, v0
	v_cmp_gt_u32_e32 vcc, s33, v28
	s_and_saveexec_b64 s[0:1], vcc
	s_cbranch_execz .LBB264_234
; %bb.233:
	v_add_co_u32_e32 v28, vcc, 0x1000, v2
	v_addc_co_u32_e32 v29, vcc, 0, v3, vcc
	flat_store_short v[28:29], v27
.LBB264_234:
	s_or_b64 exec, exec, s[0:1]
	v_or_b32_e32 v27, 0x900, v0
	v_cmp_gt_u32_e32 vcc, s33, v27
	s_and_saveexec_b64 s[0:1], vcc
	s_cbranch_execz .LBB264_236
; %bb.235:
	v_add_co_u32_e32 v28, vcc, 0x1000, v2
	v_addc_co_u32_e32 v29, vcc, 0, v3, vcc
	flat_store_short v[28:29], v26 offset:512
.LBB264_236:
	s_or_b64 exec, exec, s[0:1]
	v_or_b32_e32 v26, 0xa00, v0
	v_cmp_gt_u32_e32 vcc, s33, v26
	s_and_saveexec_b64 s[0:1], vcc
	s_cbranch_execz .LBB264_238
; %bb.237:
	v_add_co_u32_e32 v26, vcc, 0x1000, v2
	v_addc_co_u32_e32 v27, vcc, 0, v3, vcc
	flat_store_short v[26:27], v25 offset:1024
.LBB264_238:
	s_or_b64 exec, exec, s[0:1]
	v_or_b32_e32 v25, 0xb00, v0
	v_cmp_gt_u32_e32 vcc, s33, v25
	s_and_saveexec_b64 s[0:1], vcc
	s_cbranch_execz .LBB264_240
; %bb.239:
	v_add_co_u32_e32 v26, vcc, 0x1000, v2
	v_addc_co_u32_e32 v27, vcc, 0, v3, vcc
	flat_store_short v[26:27], v24 offset:1536
.LBB264_240:
	s_or_b64 exec, exec, s[0:1]
	v_or_b32_e32 v24, 0xc00, v0
	v_cmp_gt_u32_e32 vcc, s33, v24
	s_and_saveexec_b64 s[0:1], vcc
	s_cbranch_execz .LBB264_242
; %bb.241:
	v_add_co_u32_e32 v24, vcc, 0x1000, v2
	v_addc_co_u32_e32 v25, vcc, 0, v3, vcc
	flat_store_short v[24:25], v23 offset:2048
.LBB264_242:
	s_or_b64 exec, exec, s[0:1]
	v_or_b32_e32 v23, 0xd00, v0
	v_cmp_gt_u32_e32 vcc, s33, v23
	s_and_saveexec_b64 s[0:1], vcc
	s_cbranch_execz .LBB264_244
; %bb.243:
	v_add_co_u32_e32 v24, vcc, 0x1000, v2
	v_addc_co_u32_e32 v25, vcc, 0, v3, vcc
	flat_store_short v[24:25], v22 offset:2560
.LBB264_244:
	s_or_b64 exec, exec, s[0:1]
	v_or_b32_e32 v22, 0xe00, v0
	v_cmp_gt_u32_e32 vcc, s33, v22
	s_and_saveexec_b64 s[0:1], vcc
	s_cbranch_execz .LBB264_246
; %bb.245:
	v_add_co_u32_e32 v22, vcc, 0x1000, v2
	v_addc_co_u32_e32 v23, vcc, 0, v3, vcc
	flat_store_short v[22:23], v21 offset:3072
.LBB264_246:
	s_or_b64 exec, exec, s[0:1]
	v_or_b32_e32 v21, 0xf00, v0
	v_cmp_gt_u32_e32 vcc, s33, v21
	s_and_saveexec_b64 s[0:1], vcc
	s_cbranch_execz .LBB264_248
; %bb.247:
	v_add_co_u32_e32 v22, vcc, 0x1000, v2
	v_addc_co_u32_e32 v23, vcc, 0, v3, vcc
	flat_store_short v[22:23], v20 offset:3584
.LBB264_248:
	s_or_b64 exec, exec, s[0:1]
	v_or_b32_e32 v20, 0x1000, v0
	v_cmp_gt_u32_e32 vcc, s33, v20
	s_and_saveexec_b64 s[0:1], vcc
	s_cbranch_execz .LBB264_250
; %bb.249:
	v_add_co_u32_e32 v20, vcc, 0x2000, v2
	v_addc_co_u32_e32 v21, vcc, 0, v3, vcc
	flat_store_short v[20:21], v19
.LBB264_250:
	s_or_b64 exec, exec, s[0:1]
	v_or_b32_e32 v19, 0x1100, v0
	v_cmp_gt_u32_e32 vcc, s33, v19
	s_and_saveexec_b64 s[0:1], vcc
	s_cbranch_execz .LBB264_252
; %bb.251:
	v_add_co_u32_e32 v20, vcc, 0x2000, v2
	v_addc_co_u32_e32 v21, vcc, 0, v3, vcc
	flat_store_short v[20:21], v18 offset:512
.LBB264_252:
	s_or_b64 exec, exec, s[0:1]
	v_or_b32_e32 v18, 0x1200, v0
	v_cmp_gt_u32_e32 vcc, s33, v18
	s_and_saveexec_b64 s[0:1], vcc
	s_cbranch_execz .LBB264_254
; %bb.253:
	v_add_co_u32_e32 v18, vcc, 0x2000, v2
	v_addc_co_u32_e32 v19, vcc, 0, v3, vcc
	flat_store_short v[18:19], v17 offset:1024
.LBB264_254:
	;; [unrolled: 10-line block ×4, first 2 shown]
	s_or_b64 exec, exec, s[0:1]
	v_or_b32_e32 v2, 0x1500, v0
	v_cmp_gt_u32_e64 s[0:1], s33, v2
	s_branch .LBB264_261
.LBB264_259:
	s_mov_b64 s[0:1], 0
                                        ; implicit-def: $vgpr13
	s_cbranch_execz .LBB264_261
; %bb.260:
	s_mov_b32 s2, 0x5040100
	s_waitcnt lgkmcnt(0)
	v_lshlrev_b32_e32 v2, 1, v14
	v_perm_b32 v1, v6, v5, s2
	v_perm_b32 v3, v4, v49, s2
	s_barrier
	ds_write2_b32 v2, v3, v1 offset1:1
	v_perm_b32 v1, v10, v9, s2
	v_perm_b32 v3, v8, v7, s2
	ds_write2_b32 v2, v3, v1 offset0:2 offset1:3
	v_perm_b32 v1, v38, v37, s2
	v_perm_b32 v3, v36, v11, s2
	ds_write2_b32 v2, v3, v1 offset0:4 offset1:5
	;; [unrolled: 3-line block ×4, first 2 shown]
	v_perm_b32 v1, v48, v47, s2
	s_movk_i32 s2, 0xffd6
	ds_write_b32 v2, v1 offset:40
	v_mad_i32_i24 v2, v0, s2, v2
	s_waitcnt lgkmcnt(0)
	s_barrier
	ds_read_u16 v4, v2
	ds_read_u16 v5, v2 offset:512
	ds_read_u16 v6, v2 offset:1024
	;; [unrolled: 1-line block ×21, first 2 shown]
	v_mov_b32_e32 v3, s5
	v_add_co_u32_e32 v2, vcc, s4, v12
	v_addc_co_u32_e32 v3, vcc, 0, v3, vcc
	s_movk_i32 s2, 0x1000
	s_waitcnt lgkmcnt(0)
	flat_store_short v[2:3], v4
	flat_store_short v[2:3], v5 offset:512
	flat_store_short v[2:3], v6 offset:1024
	;; [unrolled: 1-line block ×7, first 2 shown]
	v_add_co_u32_e32 v4, vcc, s2, v2
	v_addc_co_u32_e32 v5, vcc, 0, v3, vcc
	v_add_co_u32_e32 v2, vcc, 0x2000, v2
	v_mov_b32_e32 v1, 0
	v_addc_co_u32_e32 v3, vcc, 0, v3, vcc
	s_or_b64 s[0:1], s[0:1], exec
	flat_store_short v[4:5], v14
	flat_store_short v[4:5], v15 offset:512
	flat_store_short v[4:5], v16 offset:1024
	;; [unrolled: 1-line block ×7, first 2 shown]
	flat_store_short v[2:3], v22
	flat_store_short v[2:3], v23 offset:512
	flat_store_short v[2:3], v24 offset:1024
	;; [unrolled: 1-line block ×4, first 2 shown]
.LBB264_261:
	s_and_saveexec_b64 s[2:3], s[0:1]
	s_cbranch_execnz .LBB264_263
; %bb.262:
	s_endpgm
.LBB264_263:
	v_lshlrev_b64 v[0:1], 1, v[0:1]
	s_waitcnt lgkmcnt(0)
	v_mov_b32_e32 v2, s5
	v_add_co_u32_e32 v0, vcc, s4, v0
	v_addc_co_u32_e32 v1, vcc, v2, v1, vcc
	v_add_co_u32_e32 v0, vcc, 0x2000, v0
	v_addc_co_u32_e32 v1, vcc, 0, v1, vcc
	flat_store_short v[0:1], v13 offset:2560
	s_endpgm
.LBB264_264:
	v_mov_b32_e32 v27, s67
	v_add_co_u32_e32 v26, vcc, s7, v18
	v_addc_co_u32_e32 v27, vcc, 0, v27, vcc
	flat_load_ushort v26, v[26:27]
	s_or_b64 exec, exec, s[56:57]
                                        ; implicit-def: $vgpr27
	s_and_saveexec_b64 s[2:3], s[4:5]
	s_cbranch_execz .LBB264_53
.LBB264_265:
	v_mov_b32_e32 v27, s67
	v_add_co_u32_e32 v28, vcc, s7, v18
	v_addc_co_u32_e32 v29, vcc, 0, v27, vcc
	flat_load_ushort v27, v[28:29] offset:512
	s_or_b64 exec, exec, s[2:3]
                                        ; implicit-def: $vgpr28
	s_and_saveexec_b64 s[2:3], s[48:49]
	s_cbranch_execz .LBB264_54
.LBB264_266:
	v_mov_b32_e32 v29, s67
	v_add_co_u32_e32 v28, vcc, s7, v18
	v_addc_co_u32_e32 v29, vcc, 0, v29, vcc
	flat_load_ushort v28, v[28:29] offset:1024
	s_or_b64 exec, exec, s[2:3]
                                        ; implicit-def: $vgpr29
	s_and_saveexec_b64 s[2:3], s[8:9]
	s_cbranch_execz .LBB264_55
.LBB264_267:
	v_mov_b32_e32 v29, s67
	v_add_co_u32_e32 v30, vcc, s7, v18
	v_addc_co_u32_e32 v31, vcc, 0, v29, vcc
	flat_load_ushort v29, v[30:31] offset:1536
	s_or_b64 exec, exec, s[2:3]
                                        ; implicit-def: $vgpr30
	s_and_saveexec_b64 s[2:3], s[10:11]
	s_cbranch_execz .LBB264_56
.LBB264_268:
	v_mov_b32_e32 v31, s67
	v_add_co_u32_e32 v30, vcc, s7, v18
	v_addc_co_u32_e32 v31, vcc, 0, v31, vcc
	flat_load_ushort v30, v[30:31] offset:2048
	s_or_b64 exec, exec, s[2:3]
                                        ; implicit-def: $vgpr31
	s_and_saveexec_b64 s[2:3], s[12:13]
	s_cbranch_execz .LBB264_57
.LBB264_269:
	v_mov_b32_e32 v31, s67
	v_add_co_u32_e32 v32, vcc, s7, v18
	v_addc_co_u32_e32 v33, vcc, 0, v31, vcc
	flat_load_ushort v31, v[32:33] offset:2560
	s_or_b64 exec, exec, s[2:3]
                                        ; implicit-def: $vgpr32
	s_and_saveexec_b64 s[2:3], s[14:15]
	s_cbranch_execz .LBB264_58
.LBB264_270:
	v_mov_b32_e32 v33, s67
	v_add_co_u32_e32 v32, vcc, s7, v18
	v_addc_co_u32_e32 v33, vcc, 0, v33, vcc
	flat_load_ushort v32, v[32:33] offset:3072
	s_or_b64 exec, exec, s[2:3]
                                        ; implicit-def: $vgpr33
	s_and_saveexec_b64 s[2:3], s[16:17]
	s_cbranch_execz .LBB264_59
.LBB264_271:
	v_mov_b32_e32 v33, s67
	v_add_co_u32_e32 v34, vcc, s7, v18
	v_addc_co_u32_e32 v35, vcc, 0, v33, vcc
	flat_load_ushort v33, v[34:35] offset:3584
	s_or_b64 exec, exec, s[2:3]
                                        ; implicit-def: $vgpr34
	s_and_saveexec_b64 s[2:3], s[18:19]
	s_cbranch_execz .LBB264_60
.LBB264_272:
	v_lshlrev_b32_e32 v1, 1, v1
	v_mov_b32_e32 v35, s67
	v_add_co_u32_e32 v34, vcc, s7, v1
	v_addc_co_u32_e32 v35, vcc, 0, v35, vcc
	flat_load_ushort v34, v[34:35]
	s_or_b64 exec, exec, s[2:3]
                                        ; implicit-def: $vgpr1
	s_and_saveexec_b64 s[2:3], s[20:21]
	s_cbranch_execz .LBB264_61
.LBB264_273:
	v_lshlrev_b32_e32 v1, 1, v2
	v_mov_b32_e32 v2, s67
	v_add_co_u32_e32 v42, vcc, s7, v1
	v_addc_co_u32_e32 v43, vcc, 0, v2, vcc
	flat_load_ushort v1, v[42:43]
	s_or_b64 exec, exec, s[2:3]
                                        ; implicit-def: $vgpr2
	s_and_saveexec_b64 s[2:3], s[22:23]
	s_cbranch_execz .LBB264_62
.LBB264_274:
	v_lshlrev_b32_e32 v2, 1, v3
	v_mov_b32_e32 v3, s67
	v_add_co_u32_e32 v2, vcc, s7, v2
	v_addc_co_u32_e32 v3, vcc, 0, v3, vcc
	flat_load_ushort v2, v[2:3]
	s_or_b64 exec, exec, s[2:3]
                                        ; implicit-def: $vgpr3
	s_and_saveexec_b64 s[2:3], s[24:25]
	s_cbranch_execz .LBB264_63
.LBB264_275:
	v_lshlrev_b32_e32 v3, 1, v4
	v_mov_b32_e32 v4, s67
	v_add_co_u32_e32 v42, vcc, s7, v3
	v_addc_co_u32_e32 v43, vcc, 0, v4, vcc
	flat_load_ushort v3, v[42:43]
	s_or_b64 exec, exec, s[2:3]
                                        ; implicit-def: $vgpr4
	s_and_saveexec_b64 s[2:3], s[26:27]
	s_cbranch_execz .LBB264_64
.LBB264_276:
	v_lshlrev_b32_e32 v4, 1, v5
	v_mov_b32_e32 v5, s67
	v_add_co_u32_e32 v4, vcc, s7, v4
	v_addc_co_u32_e32 v5, vcc, 0, v5, vcc
	flat_load_ushort v4, v[4:5]
	s_or_b64 exec, exec, s[2:3]
                                        ; implicit-def: $vgpr5
	s_and_saveexec_b64 s[2:3], s[28:29]
	s_cbranch_execz .LBB264_65
.LBB264_277:
	v_lshlrev_b32_e32 v5, 1, v16
	v_mov_b32_e32 v16, s67
	v_add_co_u32_e32 v42, vcc, s7, v5
	v_addc_co_u32_e32 v43, vcc, 0, v16, vcc
	flat_load_ushort v5, v[42:43]
	s_or_b64 exec, exec, s[2:3]
                                        ; implicit-def: $vgpr16
	s_and_saveexec_b64 s[2:3], s[30:31]
	s_cbranch_execz .LBB264_66
.LBB264_278:
	v_lshlrev_b32_e32 v16, 1, v17
	v_mov_b32_e32 v17, s67
	v_add_co_u32_e32 v16, vcc, s7, v16
	v_addc_co_u32_e32 v17, vcc, 0, v17, vcc
	flat_load_ushort v16, v[16:17]
	s_or_b64 exec, exec, s[2:3]
                                        ; implicit-def: $vgpr17
	s_and_saveexec_b64 s[2:3], s[34:35]
	s_cbranch_execz .LBB264_67
.LBB264_279:
	v_lshlrev_b32_e32 v17, 1, v19
	v_mov_b32_e32 v19, s67
	v_add_co_u32_e32 v42, vcc, s7, v17
	v_addc_co_u32_e32 v43, vcc, 0, v19, vcc
	flat_load_ushort v17, v[42:43]
	s_or_b64 exec, exec, s[2:3]
                                        ; implicit-def: $vgpr19
	s_and_saveexec_b64 s[2:3], s[36:37]
	s_cbranch_execz .LBB264_68
.LBB264_280:
	v_lshlrev_b32_e32 v19, 1, v20
	v_mov_b32_e32 v20, s67
	v_add_co_u32_e32 v42, vcc, s7, v19
	v_addc_co_u32_e32 v43, vcc, 0, v20, vcc
	flat_load_ushort v19, v[42:43]
	s_or_b64 exec, exec, s[2:3]
                                        ; implicit-def: $vgpr20
	s_and_saveexec_b64 s[2:3], s[38:39]
	s_cbranch_execz .LBB264_69
.LBB264_281:
	v_lshlrev_b32_e32 v20, 1, v21
	v_mov_b32_e32 v21, s67
	v_add_co_u32_e32 v20, vcc, s7, v20
	v_addc_co_u32_e32 v21, vcc, 0, v21, vcc
	flat_load_ushort v20, v[20:21]
	s_or_b64 exec, exec, s[2:3]
                                        ; implicit-def: $vgpr21
	s_and_saveexec_b64 s[2:3], s[40:41]
	s_cbranch_execz .LBB264_70
.LBB264_282:
	v_lshlrev_b32_e32 v21, 1, v22
	v_mov_b32_e32 v22, s67
	v_add_co_u32_e32 v42, vcc, s7, v21
	v_addc_co_u32_e32 v43, vcc, 0, v22, vcc
	flat_load_ushort v21, v[42:43]
	s_or_b64 exec, exec, s[2:3]
                                        ; implicit-def: $vgpr22
	s_and_saveexec_b64 s[2:3], s[42:43]
	s_cbranch_execz .LBB264_71
.LBB264_283:
	v_lshlrev_b32_e32 v22, 1, v23
	v_mov_b32_e32 v23, s67
	v_add_co_u32_e32 v22, vcc, s7, v22
	v_addc_co_u32_e32 v23, vcc, 0, v23, vcc
	flat_load_ushort v22, v[22:23]
	s_or_b64 exec, exec, s[2:3]
                                        ; implicit-def: $vgpr23
	s_and_saveexec_b64 s[2:3], s[44:45]
	s_cbranch_execz .LBB264_72
.LBB264_284:
	v_lshlrev_b32_e32 v23, 1, v24
	v_mov_b32_e32 v24, s67
	v_add_co_u32_e32 v42, vcc, s7, v23
	v_addc_co_u32_e32 v43, vcc, 0, v24, vcc
	flat_load_ushort v23, v[42:43]
	s_or_b64 exec, exec, s[2:3]
                                        ; implicit-def: $vgpr24
	s_and_saveexec_b64 s[2:3], s[46:47]
	s_cbranch_execnz .LBB264_73
	s_branch .LBB264_74
.LBB264_285:
	v_add_u32_e32 v2, -1, v0
	v_lshrrev_b32_e32 v3, 5, v2
	v_add_lshl_u32 v2, v3, v2, 2
	ds_read_u16 v2, v2
	s_or_b64 exec, exec, s[48:49]
	s_and_saveexec_b64 s[48:49], s[2:3]
	s_cbranch_execz .LBB264_212
.LBB264_286:
	s_mov_b32 s2, 0x10000
	s_waitcnt lgkmcnt(0)
	v_and_b32_e32 v2, 0xffff, v2
	v_cmp_gt_u32_e64 s[2:3], s2, v1
	v_cndmask_b32_e64 v2, 0, v2, s[2:3]
	v_add_u32_e32 v1, v2, v1
	v_cndmask_b32_e64 v2, 0, v1, s[4:5]
	v_add_u16_e32 v4, v2, v16
	v_cndmask_b32_e64 v2, 0, v4, s[6:7]
	v_add_u16_e32 v5, v2, v17
	;; [unrolled: 2-line block ×21, first 2 shown]
	;;#ASMSTART
	;;#ASMEND
	s_or_b64 exec, exec, s[48:49]
	s_and_saveexec_b64 s[2:3], vcc
	s_cbranch_execnz .LBB264_213
	s_branch .LBB264_214
.LBB264_287:
                                        ; implicit-def: $sgpr56_sgpr57
	s_branch .LBB264_48
.LBB264_288:
                                        ; implicit-def: $sgpr2_sgpr3
	s_branch .LBB264_121
	.section	.rodata,"a",@progbits
	.p2align	6, 0x0
	.amdhsa_kernel _ZN7rocprim17ROCPRIM_400000_NS6detail17trampoline_kernelINS0_14default_configENS1_27scan_by_key_config_selectorIssEEZZNS1_16scan_by_key_implILNS1_25lookback_scan_determinismE0ELb0ES3_N6thrust23THRUST_200600_302600_NS6detail15normal_iteratorINS9_10device_ptrIsEEEESE_SE_sNS9_4plusIvEENS9_8equal_toIvEEsEE10hipError_tPvRmT2_T3_T4_T5_mT6_T7_P12ihipStream_tbENKUlT_T0_E_clISt17integral_constantIbLb1EESY_IbLb0EEEEDaSU_SV_EUlSU_E_NS1_11comp_targetILNS1_3genE4ELNS1_11target_archE910ELNS1_3gpuE8ELNS1_3repE0EEENS1_30default_config_static_selectorELNS0_4arch9wavefront6targetE1EEEvT1_
		.amdhsa_group_segment_fixed_size 12288
		.amdhsa_private_segment_fixed_size 0
		.amdhsa_kernarg_size 112
		.amdhsa_user_sgpr_count 6
		.amdhsa_user_sgpr_private_segment_buffer 1
		.amdhsa_user_sgpr_dispatch_ptr 0
		.amdhsa_user_sgpr_queue_ptr 0
		.amdhsa_user_sgpr_kernarg_segment_ptr 1
		.amdhsa_user_sgpr_dispatch_id 0
		.amdhsa_user_sgpr_flat_scratch_init 0
		.amdhsa_user_sgpr_kernarg_preload_length 0
		.amdhsa_user_sgpr_kernarg_preload_offset 0
		.amdhsa_user_sgpr_private_segment_size 0
		.amdhsa_uses_dynamic_stack 0
		.amdhsa_system_sgpr_private_segment_wavefront_offset 0
		.amdhsa_system_sgpr_workgroup_id_x 1
		.amdhsa_system_sgpr_workgroup_id_y 0
		.amdhsa_system_sgpr_workgroup_id_z 0
		.amdhsa_system_sgpr_workgroup_info 0
		.amdhsa_system_vgpr_workitem_id 0
		.amdhsa_next_free_vgpr 58
		.amdhsa_next_free_sgpr 78
		.amdhsa_accum_offset 60
		.amdhsa_reserve_vcc 1
		.amdhsa_reserve_flat_scratch 0
		.amdhsa_float_round_mode_32 0
		.amdhsa_float_round_mode_16_64 0
		.amdhsa_float_denorm_mode_32 3
		.amdhsa_float_denorm_mode_16_64 3
		.amdhsa_dx10_clamp 1
		.amdhsa_ieee_mode 1
		.amdhsa_fp16_overflow 0
		.amdhsa_tg_split 0
		.amdhsa_exception_fp_ieee_invalid_op 0
		.amdhsa_exception_fp_denorm_src 0
		.amdhsa_exception_fp_ieee_div_zero 0
		.amdhsa_exception_fp_ieee_overflow 0
		.amdhsa_exception_fp_ieee_underflow 0
		.amdhsa_exception_fp_ieee_inexact 0
		.amdhsa_exception_int_div_zero 0
	.end_amdhsa_kernel
	.section	.text._ZN7rocprim17ROCPRIM_400000_NS6detail17trampoline_kernelINS0_14default_configENS1_27scan_by_key_config_selectorIssEEZZNS1_16scan_by_key_implILNS1_25lookback_scan_determinismE0ELb0ES3_N6thrust23THRUST_200600_302600_NS6detail15normal_iteratorINS9_10device_ptrIsEEEESE_SE_sNS9_4plusIvEENS9_8equal_toIvEEsEE10hipError_tPvRmT2_T3_T4_T5_mT6_T7_P12ihipStream_tbENKUlT_T0_E_clISt17integral_constantIbLb1EESY_IbLb0EEEEDaSU_SV_EUlSU_E_NS1_11comp_targetILNS1_3genE4ELNS1_11target_archE910ELNS1_3gpuE8ELNS1_3repE0EEENS1_30default_config_static_selectorELNS0_4arch9wavefront6targetE1EEEvT1_,"axG",@progbits,_ZN7rocprim17ROCPRIM_400000_NS6detail17trampoline_kernelINS0_14default_configENS1_27scan_by_key_config_selectorIssEEZZNS1_16scan_by_key_implILNS1_25lookback_scan_determinismE0ELb0ES3_N6thrust23THRUST_200600_302600_NS6detail15normal_iteratorINS9_10device_ptrIsEEEESE_SE_sNS9_4plusIvEENS9_8equal_toIvEEsEE10hipError_tPvRmT2_T3_T4_T5_mT6_T7_P12ihipStream_tbENKUlT_T0_E_clISt17integral_constantIbLb1EESY_IbLb0EEEEDaSU_SV_EUlSU_E_NS1_11comp_targetILNS1_3genE4ELNS1_11target_archE910ELNS1_3gpuE8ELNS1_3repE0EEENS1_30default_config_static_selectorELNS0_4arch9wavefront6targetE1EEEvT1_,comdat
.Lfunc_end264:
	.size	_ZN7rocprim17ROCPRIM_400000_NS6detail17trampoline_kernelINS0_14default_configENS1_27scan_by_key_config_selectorIssEEZZNS1_16scan_by_key_implILNS1_25lookback_scan_determinismE0ELb0ES3_N6thrust23THRUST_200600_302600_NS6detail15normal_iteratorINS9_10device_ptrIsEEEESE_SE_sNS9_4plusIvEENS9_8equal_toIvEEsEE10hipError_tPvRmT2_T3_T4_T5_mT6_T7_P12ihipStream_tbENKUlT_T0_E_clISt17integral_constantIbLb1EESY_IbLb0EEEEDaSU_SV_EUlSU_E_NS1_11comp_targetILNS1_3genE4ELNS1_11target_archE910ELNS1_3gpuE8ELNS1_3repE0EEENS1_30default_config_static_selectorELNS0_4arch9wavefront6targetE1EEEvT1_, .Lfunc_end264-_ZN7rocprim17ROCPRIM_400000_NS6detail17trampoline_kernelINS0_14default_configENS1_27scan_by_key_config_selectorIssEEZZNS1_16scan_by_key_implILNS1_25lookback_scan_determinismE0ELb0ES3_N6thrust23THRUST_200600_302600_NS6detail15normal_iteratorINS9_10device_ptrIsEEEESE_SE_sNS9_4plusIvEENS9_8equal_toIvEEsEE10hipError_tPvRmT2_T3_T4_T5_mT6_T7_P12ihipStream_tbENKUlT_T0_E_clISt17integral_constantIbLb1EESY_IbLb0EEEEDaSU_SV_EUlSU_E_NS1_11comp_targetILNS1_3genE4ELNS1_11target_archE910ELNS1_3gpuE8ELNS1_3repE0EEENS1_30default_config_static_selectorELNS0_4arch9wavefront6targetE1EEEvT1_
                                        ; -- End function
	.section	.AMDGPU.csdata,"",@progbits
; Kernel info:
; codeLenInByte = 15664
; NumSgprs: 82
; NumVgprs: 58
; NumAgprs: 0
; TotalNumVgprs: 58
; ScratchSize: 0
; MemoryBound: 0
; FloatMode: 240
; IeeeMode: 1
; LDSByteSize: 12288 bytes/workgroup (compile time only)
; SGPRBlocks: 10
; VGPRBlocks: 7
; NumSGPRsForWavesPerEU: 82
; NumVGPRsForWavesPerEU: 58
; AccumOffset: 60
; Occupancy: 5
; WaveLimiterHint : 1
; COMPUTE_PGM_RSRC2:SCRATCH_EN: 0
; COMPUTE_PGM_RSRC2:USER_SGPR: 6
; COMPUTE_PGM_RSRC2:TRAP_HANDLER: 0
; COMPUTE_PGM_RSRC2:TGID_X_EN: 1
; COMPUTE_PGM_RSRC2:TGID_Y_EN: 0
; COMPUTE_PGM_RSRC2:TGID_Z_EN: 0
; COMPUTE_PGM_RSRC2:TIDIG_COMP_CNT: 0
; COMPUTE_PGM_RSRC3_GFX90A:ACCUM_OFFSET: 14
; COMPUTE_PGM_RSRC3_GFX90A:TG_SPLIT: 0
	.section	.text._ZN7rocprim17ROCPRIM_400000_NS6detail17trampoline_kernelINS0_14default_configENS1_27scan_by_key_config_selectorIssEEZZNS1_16scan_by_key_implILNS1_25lookback_scan_determinismE0ELb0ES3_N6thrust23THRUST_200600_302600_NS6detail15normal_iteratorINS9_10device_ptrIsEEEESE_SE_sNS9_4plusIvEENS9_8equal_toIvEEsEE10hipError_tPvRmT2_T3_T4_T5_mT6_T7_P12ihipStream_tbENKUlT_T0_E_clISt17integral_constantIbLb1EESY_IbLb0EEEEDaSU_SV_EUlSU_E_NS1_11comp_targetILNS1_3genE3ELNS1_11target_archE908ELNS1_3gpuE7ELNS1_3repE0EEENS1_30default_config_static_selectorELNS0_4arch9wavefront6targetE1EEEvT1_,"axG",@progbits,_ZN7rocprim17ROCPRIM_400000_NS6detail17trampoline_kernelINS0_14default_configENS1_27scan_by_key_config_selectorIssEEZZNS1_16scan_by_key_implILNS1_25lookback_scan_determinismE0ELb0ES3_N6thrust23THRUST_200600_302600_NS6detail15normal_iteratorINS9_10device_ptrIsEEEESE_SE_sNS9_4plusIvEENS9_8equal_toIvEEsEE10hipError_tPvRmT2_T3_T4_T5_mT6_T7_P12ihipStream_tbENKUlT_T0_E_clISt17integral_constantIbLb1EESY_IbLb0EEEEDaSU_SV_EUlSU_E_NS1_11comp_targetILNS1_3genE3ELNS1_11target_archE908ELNS1_3gpuE7ELNS1_3repE0EEENS1_30default_config_static_selectorELNS0_4arch9wavefront6targetE1EEEvT1_,comdat
	.protected	_ZN7rocprim17ROCPRIM_400000_NS6detail17trampoline_kernelINS0_14default_configENS1_27scan_by_key_config_selectorIssEEZZNS1_16scan_by_key_implILNS1_25lookback_scan_determinismE0ELb0ES3_N6thrust23THRUST_200600_302600_NS6detail15normal_iteratorINS9_10device_ptrIsEEEESE_SE_sNS9_4plusIvEENS9_8equal_toIvEEsEE10hipError_tPvRmT2_T3_T4_T5_mT6_T7_P12ihipStream_tbENKUlT_T0_E_clISt17integral_constantIbLb1EESY_IbLb0EEEEDaSU_SV_EUlSU_E_NS1_11comp_targetILNS1_3genE3ELNS1_11target_archE908ELNS1_3gpuE7ELNS1_3repE0EEENS1_30default_config_static_selectorELNS0_4arch9wavefront6targetE1EEEvT1_ ; -- Begin function _ZN7rocprim17ROCPRIM_400000_NS6detail17trampoline_kernelINS0_14default_configENS1_27scan_by_key_config_selectorIssEEZZNS1_16scan_by_key_implILNS1_25lookback_scan_determinismE0ELb0ES3_N6thrust23THRUST_200600_302600_NS6detail15normal_iteratorINS9_10device_ptrIsEEEESE_SE_sNS9_4plusIvEENS9_8equal_toIvEEsEE10hipError_tPvRmT2_T3_T4_T5_mT6_T7_P12ihipStream_tbENKUlT_T0_E_clISt17integral_constantIbLb1EESY_IbLb0EEEEDaSU_SV_EUlSU_E_NS1_11comp_targetILNS1_3genE3ELNS1_11target_archE908ELNS1_3gpuE7ELNS1_3repE0EEENS1_30default_config_static_selectorELNS0_4arch9wavefront6targetE1EEEvT1_
	.globl	_ZN7rocprim17ROCPRIM_400000_NS6detail17trampoline_kernelINS0_14default_configENS1_27scan_by_key_config_selectorIssEEZZNS1_16scan_by_key_implILNS1_25lookback_scan_determinismE0ELb0ES3_N6thrust23THRUST_200600_302600_NS6detail15normal_iteratorINS9_10device_ptrIsEEEESE_SE_sNS9_4plusIvEENS9_8equal_toIvEEsEE10hipError_tPvRmT2_T3_T4_T5_mT6_T7_P12ihipStream_tbENKUlT_T0_E_clISt17integral_constantIbLb1EESY_IbLb0EEEEDaSU_SV_EUlSU_E_NS1_11comp_targetILNS1_3genE3ELNS1_11target_archE908ELNS1_3gpuE7ELNS1_3repE0EEENS1_30default_config_static_selectorELNS0_4arch9wavefront6targetE1EEEvT1_
	.p2align	8
	.type	_ZN7rocprim17ROCPRIM_400000_NS6detail17trampoline_kernelINS0_14default_configENS1_27scan_by_key_config_selectorIssEEZZNS1_16scan_by_key_implILNS1_25lookback_scan_determinismE0ELb0ES3_N6thrust23THRUST_200600_302600_NS6detail15normal_iteratorINS9_10device_ptrIsEEEESE_SE_sNS9_4plusIvEENS9_8equal_toIvEEsEE10hipError_tPvRmT2_T3_T4_T5_mT6_T7_P12ihipStream_tbENKUlT_T0_E_clISt17integral_constantIbLb1EESY_IbLb0EEEEDaSU_SV_EUlSU_E_NS1_11comp_targetILNS1_3genE3ELNS1_11target_archE908ELNS1_3gpuE7ELNS1_3repE0EEENS1_30default_config_static_selectorELNS0_4arch9wavefront6targetE1EEEvT1_,@function
_ZN7rocprim17ROCPRIM_400000_NS6detail17trampoline_kernelINS0_14default_configENS1_27scan_by_key_config_selectorIssEEZZNS1_16scan_by_key_implILNS1_25lookback_scan_determinismE0ELb0ES3_N6thrust23THRUST_200600_302600_NS6detail15normal_iteratorINS9_10device_ptrIsEEEESE_SE_sNS9_4plusIvEENS9_8equal_toIvEEsEE10hipError_tPvRmT2_T3_T4_T5_mT6_T7_P12ihipStream_tbENKUlT_T0_E_clISt17integral_constantIbLb1EESY_IbLb0EEEEDaSU_SV_EUlSU_E_NS1_11comp_targetILNS1_3genE3ELNS1_11target_archE908ELNS1_3gpuE7ELNS1_3repE0EEENS1_30default_config_static_selectorELNS0_4arch9wavefront6targetE1EEEvT1_: ; @_ZN7rocprim17ROCPRIM_400000_NS6detail17trampoline_kernelINS0_14default_configENS1_27scan_by_key_config_selectorIssEEZZNS1_16scan_by_key_implILNS1_25lookback_scan_determinismE0ELb0ES3_N6thrust23THRUST_200600_302600_NS6detail15normal_iteratorINS9_10device_ptrIsEEEESE_SE_sNS9_4plusIvEENS9_8equal_toIvEEsEE10hipError_tPvRmT2_T3_T4_T5_mT6_T7_P12ihipStream_tbENKUlT_T0_E_clISt17integral_constantIbLb1EESY_IbLb0EEEEDaSU_SV_EUlSU_E_NS1_11comp_targetILNS1_3genE3ELNS1_11target_archE908ELNS1_3gpuE7ELNS1_3repE0EEENS1_30default_config_static_selectorELNS0_4arch9wavefront6targetE1EEEvT1_
; %bb.0:
	.section	.rodata,"a",@progbits
	.p2align	6, 0x0
	.amdhsa_kernel _ZN7rocprim17ROCPRIM_400000_NS6detail17trampoline_kernelINS0_14default_configENS1_27scan_by_key_config_selectorIssEEZZNS1_16scan_by_key_implILNS1_25lookback_scan_determinismE0ELb0ES3_N6thrust23THRUST_200600_302600_NS6detail15normal_iteratorINS9_10device_ptrIsEEEESE_SE_sNS9_4plusIvEENS9_8equal_toIvEEsEE10hipError_tPvRmT2_T3_T4_T5_mT6_T7_P12ihipStream_tbENKUlT_T0_E_clISt17integral_constantIbLb1EESY_IbLb0EEEEDaSU_SV_EUlSU_E_NS1_11comp_targetILNS1_3genE3ELNS1_11target_archE908ELNS1_3gpuE7ELNS1_3repE0EEENS1_30default_config_static_selectorELNS0_4arch9wavefront6targetE1EEEvT1_
		.amdhsa_group_segment_fixed_size 0
		.amdhsa_private_segment_fixed_size 0
		.amdhsa_kernarg_size 112
		.amdhsa_user_sgpr_count 6
		.amdhsa_user_sgpr_private_segment_buffer 1
		.amdhsa_user_sgpr_dispatch_ptr 0
		.amdhsa_user_sgpr_queue_ptr 0
		.amdhsa_user_sgpr_kernarg_segment_ptr 1
		.amdhsa_user_sgpr_dispatch_id 0
		.amdhsa_user_sgpr_flat_scratch_init 0
		.amdhsa_user_sgpr_kernarg_preload_length 0
		.amdhsa_user_sgpr_kernarg_preload_offset 0
		.amdhsa_user_sgpr_private_segment_size 0
		.amdhsa_uses_dynamic_stack 0
		.amdhsa_system_sgpr_private_segment_wavefront_offset 0
		.amdhsa_system_sgpr_workgroup_id_x 1
		.amdhsa_system_sgpr_workgroup_id_y 0
		.amdhsa_system_sgpr_workgroup_id_z 0
		.amdhsa_system_sgpr_workgroup_info 0
		.amdhsa_system_vgpr_workitem_id 0
		.amdhsa_next_free_vgpr 1
		.amdhsa_next_free_sgpr 0
		.amdhsa_accum_offset 4
		.amdhsa_reserve_vcc 0
		.amdhsa_reserve_flat_scratch 0
		.amdhsa_float_round_mode_32 0
		.amdhsa_float_round_mode_16_64 0
		.amdhsa_float_denorm_mode_32 3
		.amdhsa_float_denorm_mode_16_64 3
		.amdhsa_dx10_clamp 1
		.amdhsa_ieee_mode 1
		.amdhsa_fp16_overflow 0
		.amdhsa_tg_split 0
		.amdhsa_exception_fp_ieee_invalid_op 0
		.amdhsa_exception_fp_denorm_src 0
		.amdhsa_exception_fp_ieee_div_zero 0
		.amdhsa_exception_fp_ieee_overflow 0
		.amdhsa_exception_fp_ieee_underflow 0
		.amdhsa_exception_fp_ieee_inexact 0
		.amdhsa_exception_int_div_zero 0
	.end_amdhsa_kernel
	.section	.text._ZN7rocprim17ROCPRIM_400000_NS6detail17trampoline_kernelINS0_14default_configENS1_27scan_by_key_config_selectorIssEEZZNS1_16scan_by_key_implILNS1_25lookback_scan_determinismE0ELb0ES3_N6thrust23THRUST_200600_302600_NS6detail15normal_iteratorINS9_10device_ptrIsEEEESE_SE_sNS9_4plusIvEENS9_8equal_toIvEEsEE10hipError_tPvRmT2_T3_T4_T5_mT6_T7_P12ihipStream_tbENKUlT_T0_E_clISt17integral_constantIbLb1EESY_IbLb0EEEEDaSU_SV_EUlSU_E_NS1_11comp_targetILNS1_3genE3ELNS1_11target_archE908ELNS1_3gpuE7ELNS1_3repE0EEENS1_30default_config_static_selectorELNS0_4arch9wavefront6targetE1EEEvT1_,"axG",@progbits,_ZN7rocprim17ROCPRIM_400000_NS6detail17trampoline_kernelINS0_14default_configENS1_27scan_by_key_config_selectorIssEEZZNS1_16scan_by_key_implILNS1_25lookback_scan_determinismE0ELb0ES3_N6thrust23THRUST_200600_302600_NS6detail15normal_iteratorINS9_10device_ptrIsEEEESE_SE_sNS9_4plusIvEENS9_8equal_toIvEEsEE10hipError_tPvRmT2_T3_T4_T5_mT6_T7_P12ihipStream_tbENKUlT_T0_E_clISt17integral_constantIbLb1EESY_IbLb0EEEEDaSU_SV_EUlSU_E_NS1_11comp_targetILNS1_3genE3ELNS1_11target_archE908ELNS1_3gpuE7ELNS1_3repE0EEENS1_30default_config_static_selectorELNS0_4arch9wavefront6targetE1EEEvT1_,comdat
.Lfunc_end265:
	.size	_ZN7rocprim17ROCPRIM_400000_NS6detail17trampoline_kernelINS0_14default_configENS1_27scan_by_key_config_selectorIssEEZZNS1_16scan_by_key_implILNS1_25lookback_scan_determinismE0ELb0ES3_N6thrust23THRUST_200600_302600_NS6detail15normal_iteratorINS9_10device_ptrIsEEEESE_SE_sNS9_4plusIvEENS9_8equal_toIvEEsEE10hipError_tPvRmT2_T3_T4_T5_mT6_T7_P12ihipStream_tbENKUlT_T0_E_clISt17integral_constantIbLb1EESY_IbLb0EEEEDaSU_SV_EUlSU_E_NS1_11comp_targetILNS1_3genE3ELNS1_11target_archE908ELNS1_3gpuE7ELNS1_3repE0EEENS1_30default_config_static_selectorELNS0_4arch9wavefront6targetE1EEEvT1_, .Lfunc_end265-_ZN7rocprim17ROCPRIM_400000_NS6detail17trampoline_kernelINS0_14default_configENS1_27scan_by_key_config_selectorIssEEZZNS1_16scan_by_key_implILNS1_25lookback_scan_determinismE0ELb0ES3_N6thrust23THRUST_200600_302600_NS6detail15normal_iteratorINS9_10device_ptrIsEEEESE_SE_sNS9_4plusIvEENS9_8equal_toIvEEsEE10hipError_tPvRmT2_T3_T4_T5_mT6_T7_P12ihipStream_tbENKUlT_T0_E_clISt17integral_constantIbLb1EESY_IbLb0EEEEDaSU_SV_EUlSU_E_NS1_11comp_targetILNS1_3genE3ELNS1_11target_archE908ELNS1_3gpuE7ELNS1_3repE0EEENS1_30default_config_static_selectorELNS0_4arch9wavefront6targetE1EEEvT1_
                                        ; -- End function
	.section	.AMDGPU.csdata,"",@progbits
; Kernel info:
; codeLenInByte = 0
; NumSgprs: 4
; NumVgprs: 0
; NumAgprs: 0
; TotalNumVgprs: 0
; ScratchSize: 0
; MemoryBound: 0
; FloatMode: 240
; IeeeMode: 1
; LDSByteSize: 0 bytes/workgroup (compile time only)
; SGPRBlocks: 0
; VGPRBlocks: 0
; NumSGPRsForWavesPerEU: 4
; NumVGPRsForWavesPerEU: 1
; AccumOffset: 4
; Occupancy: 8
; WaveLimiterHint : 0
; COMPUTE_PGM_RSRC2:SCRATCH_EN: 0
; COMPUTE_PGM_RSRC2:USER_SGPR: 6
; COMPUTE_PGM_RSRC2:TRAP_HANDLER: 0
; COMPUTE_PGM_RSRC2:TGID_X_EN: 1
; COMPUTE_PGM_RSRC2:TGID_Y_EN: 0
; COMPUTE_PGM_RSRC2:TGID_Z_EN: 0
; COMPUTE_PGM_RSRC2:TIDIG_COMP_CNT: 0
; COMPUTE_PGM_RSRC3_GFX90A:ACCUM_OFFSET: 0
; COMPUTE_PGM_RSRC3_GFX90A:TG_SPLIT: 0
	.section	.text._ZN7rocprim17ROCPRIM_400000_NS6detail17trampoline_kernelINS0_14default_configENS1_27scan_by_key_config_selectorIssEEZZNS1_16scan_by_key_implILNS1_25lookback_scan_determinismE0ELb0ES3_N6thrust23THRUST_200600_302600_NS6detail15normal_iteratorINS9_10device_ptrIsEEEESE_SE_sNS9_4plusIvEENS9_8equal_toIvEEsEE10hipError_tPvRmT2_T3_T4_T5_mT6_T7_P12ihipStream_tbENKUlT_T0_E_clISt17integral_constantIbLb1EESY_IbLb0EEEEDaSU_SV_EUlSU_E_NS1_11comp_targetILNS1_3genE2ELNS1_11target_archE906ELNS1_3gpuE6ELNS1_3repE0EEENS1_30default_config_static_selectorELNS0_4arch9wavefront6targetE1EEEvT1_,"axG",@progbits,_ZN7rocprim17ROCPRIM_400000_NS6detail17trampoline_kernelINS0_14default_configENS1_27scan_by_key_config_selectorIssEEZZNS1_16scan_by_key_implILNS1_25lookback_scan_determinismE0ELb0ES3_N6thrust23THRUST_200600_302600_NS6detail15normal_iteratorINS9_10device_ptrIsEEEESE_SE_sNS9_4plusIvEENS9_8equal_toIvEEsEE10hipError_tPvRmT2_T3_T4_T5_mT6_T7_P12ihipStream_tbENKUlT_T0_E_clISt17integral_constantIbLb1EESY_IbLb0EEEEDaSU_SV_EUlSU_E_NS1_11comp_targetILNS1_3genE2ELNS1_11target_archE906ELNS1_3gpuE6ELNS1_3repE0EEENS1_30default_config_static_selectorELNS0_4arch9wavefront6targetE1EEEvT1_,comdat
	.protected	_ZN7rocprim17ROCPRIM_400000_NS6detail17trampoline_kernelINS0_14default_configENS1_27scan_by_key_config_selectorIssEEZZNS1_16scan_by_key_implILNS1_25lookback_scan_determinismE0ELb0ES3_N6thrust23THRUST_200600_302600_NS6detail15normal_iteratorINS9_10device_ptrIsEEEESE_SE_sNS9_4plusIvEENS9_8equal_toIvEEsEE10hipError_tPvRmT2_T3_T4_T5_mT6_T7_P12ihipStream_tbENKUlT_T0_E_clISt17integral_constantIbLb1EESY_IbLb0EEEEDaSU_SV_EUlSU_E_NS1_11comp_targetILNS1_3genE2ELNS1_11target_archE906ELNS1_3gpuE6ELNS1_3repE0EEENS1_30default_config_static_selectorELNS0_4arch9wavefront6targetE1EEEvT1_ ; -- Begin function _ZN7rocprim17ROCPRIM_400000_NS6detail17trampoline_kernelINS0_14default_configENS1_27scan_by_key_config_selectorIssEEZZNS1_16scan_by_key_implILNS1_25lookback_scan_determinismE0ELb0ES3_N6thrust23THRUST_200600_302600_NS6detail15normal_iteratorINS9_10device_ptrIsEEEESE_SE_sNS9_4plusIvEENS9_8equal_toIvEEsEE10hipError_tPvRmT2_T3_T4_T5_mT6_T7_P12ihipStream_tbENKUlT_T0_E_clISt17integral_constantIbLb1EESY_IbLb0EEEEDaSU_SV_EUlSU_E_NS1_11comp_targetILNS1_3genE2ELNS1_11target_archE906ELNS1_3gpuE6ELNS1_3repE0EEENS1_30default_config_static_selectorELNS0_4arch9wavefront6targetE1EEEvT1_
	.globl	_ZN7rocprim17ROCPRIM_400000_NS6detail17trampoline_kernelINS0_14default_configENS1_27scan_by_key_config_selectorIssEEZZNS1_16scan_by_key_implILNS1_25lookback_scan_determinismE0ELb0ES3_N6thrust23THRUST_200600_302600_NS6detail15normal_iteratorINS9_10device_ptrIsEEEESE_SE_sNS9_4plusIvEENS9_8equal_toIvEEsEE10hipError_tPvRmT2_T3_T4_T5_mT6_T7_P12ihipStream_tbENKUlT_T0_E_clISt17integral_constantIbLb1EESY_IbLb0EEEEDaSU_SV_EUlSU_E_NS1_11comp_targetILNS1_3genE2ELNS1_11target_archE906ELNS1_3gpuE6ELNS1_3repE0EEENS1_30default_config_static_selectorELNS0_4arch9wavefront6targetE1EEEvT1_
	.p2align	8
	.type	_ZN7rocprim17ROCPRIM_400000_NS6detail17trampoline_kernelINS0_14default_configENS1_27scan_by_key_config_selectorIssEEZZNS1_16scan_by_key_implILNS1_25lookback_scan_determinismE0ELb0ES3_N6thrust23THRUST_200600_302600_NS6detail15normal_iteratorINS9_10device_ptrIsEEEESE_SE_sNS9_4plusIvEENS9_8equal_toIvEEsEE10hipError_tPvRmT2_T3_T4_T5_mT6_T7_P12ihipStream_tbENKUlT_T0_E_clISt17integral_constantIbLb1EESY_IbLb0EEEEDaSU_SV_EUlSU_E_NS1_11comp_targetILNS1_3genE2ELNS1_11target_archE906ELNS1_3gpuE6ELNS1_3repE0EEENS1_30default_config_static_selectorELNS0_4arch9wavefront6targetE1EEEvT1_,@function
_ZN7rocprim17ROCPRIM_400000_NS6detail17trampoline_kernelINS0_14default_configENS1_27scan_by_key_config_selectorIssEEZZNS1_16scan_by_key_implILNS1_25lookback_scan_determinismE0ELb0ES3_N6thrust23THRUST_200600_302600_NS6detail15normal_iteratorINS9_10device_ptrIsEEEESE_SE_sNS9_4plusIvEENS9_8equal_toIvEEsEE10hipError_tPvRmT2_T3_T4_T5_mT6_T7_P12ihipStream_tbENKUlT_T0_E_clISt17integral_constantIbLb1EESY_IbLb0EEEEDaSU_SV_EUlSU_E_NS1_11comp_targetILNS1_3genE2ELNS1_11target_archE906ELNS1_3gpuE6ELNS1_3repE0EEENS1_30default_config_static_selectorELNS0_4arch9wavefront6targetE1EEEvT1_: ; @_ZN7rocprim17ROCPRIM_400000_NS6detail17trampoline_kernelINS0_14default_configENS1_27scan_by_key_config_selectorIssEEZZNS1_16scan_by_key_implILNS1_25lookback_scan_determinismE0ELb0ES3_N6thrust23THRUST_200600_302600_NS6detail15normal_iteratorINS9_10device_ptrIsEEEESE_SE_sNS9_4plusIvEENS9_8equal_toIvEEsEE10hipError_tPvRmT2_T3_T4_T5_mT6_T7_P12ihipStream_tbENKUlT_T0_E_clISt17integral_constantIbLb1EESY_IbLb0EEEEDaSU_SV_EUlSU_E_NS1_11comp_targetILNS1_3genE2ELNS1_11target_archE906ELNS1_3gpuE6ELNS1_3repE0EEENS1_30default_config_static_selectorELNS0_4arch9wavefront6targetE1EEEvT1_
; %bb.0:
	.section	.rodata,"a",@progbits
	.p2align	6, 0x0
	.amdhsa_kernel _ZN7rocprim17ROCPRIM_400000_NS6detail17trampoline_kernelINS0_14default_configENS1_27scan_by_key_config_selectorIssEEZZNS1_16scan_by_key_implILNS1_25lookback_scan_determinismE0ELb0ES3_N6thrust23THRUST_200600_302600_NS6detail15normal_iteratorINS9_10device_ptrIsEEEESE_SE_sNS9_4plusIvEENS9_8equal_toIvEEsEE10hipError_tPvRmT2_T3_T4_T5_mT6_T7_P12ihipStream_tbENKUlT_T0_E_clISt17integral_constantIbLb1EESY_IbLb0EEEEDaSU_SV_EUlSU_E_NS1_11comp_targetILNS1_3genE2ELNS1_11target_archE906ELNS1_3gpuE6ELNS1_3repE0EEENS1_30default_config_static_selectorELNS0_4arch9wavefront6targetE1EEEvT1_
		.amdhsa_group_segment_fixed_size 0
		.amdhsa_private_segment_fixed_size 0
		.amdhsa_kernarg_size 112
		.amdhsa_user_sgpr_count 6
		.amdhsa_user_sgpr_private_segment_buffer 1
		.amdhsa_user_sgpr_dispatch_ptr 0
		.amdhsa_user_sgpr_queue_ptr 0
		.amdhsa_user_sgpr_kernarg_segment_ptr 1
		.amdhsa_user_sgpr_dispatch_id 0
		.amdhsa_user_sgpr_flat_scratch_init 0
		.amdhsa_user_sgpr_kernarg_preload_length 0
		.amdhsa_user_sgpr_kernarg_preload_offset 0
		.amdhsa_user_sgpr_private_segment_size 0
		.amdhsa_uses_dynamic_stack 0
		.amdhsa_system_sgpr_private_segment_wavefront_offset 0
		.amdhsa_system_sgpr_workgroup_id_x 1
		.amdhsa_system_sgpr_workgroup_id_y 0
		.amdhsa_system_sgpr_workgroup_id_z 0
		.amdhsa_system_sgpr_workgroup_info 0
		.amdhsa_system_vgpr_workitem_id 0
		.amdhsa_next_free_vgpr 1
		.amdhsa_next_free_sgpr 0
		.amdhsa_accum_offset 4
		.amdhsa_reserve_vcc 0
		.amdhsa_reserve_flat_scratch 0
		.amdhsa_float_round_mode_32 0
		.amdhsa_float_round_mode_16_64 0
		.amdhsa_float_denorm_mode_32 3
		.amdhsa_float_denorm_mode_16_64 3
		.amdhsa_dx10_clamp 1
		.amdhsa_ieee_mode 1
		.amdhsa_fp16_overflow 0
		.amdhsa_tg_split 0
		.amdhsa_exception_fp_ieee_invalid_op 0
		.amdhsa_exception_fp_denorm_src 0
		.amdhsa_exception_fp_ieee_div_zero 0
		.amdhsa_exception_fp_ieee_overflow 0
		.amdhsa_exception_fp_ieee_underflow 0
		.amdhsa_exception_fp_ieee_inexact 0
		.amdhsa_exception_int_div_zero 0
	.end_amdhsa_kernel
	.section	.text._ZN7rocprim17ROCPRIM_400000_NS6detail17trampoline_kernelINS0_14default_configENS1_27scan_by_key_config_selectorIssEEZZNS1_16scan_by_key_implILNS1_25lookback_scan_determinismE0ELb0ES3_N6thrust23THRUST_200600_302600_NS6detail15normal_iteratorINS9_10device_ptrIsEEEESE_SE_sNS9_4plusIvEENS9_8equal_toIvEEsEE10hipError_tPvRmT2_T3_T4_T5_mT6_T7_P12ihipStream_tbENKUlT_T0_E_clISt17integral_constantIbLb1EESY_IbLb0EEEEDaSU_SV_EUlSU_E_NS1_11comp_targetILNS1_3genE2ELNS1_11target_archE906ELNS1_3gpuE6ELNS1_3repE0EEENS1_30default_config_static_selectorELNS0_4arch9wavefront6targetE1EEEvT1_,"axG",@progbits,_ZN7rocprim17ROCPRIM_400000_NS6detail17trampoline_kernelINS0_14default_configENS1_27scan_by_key_config_selectorIssEEZZNS1_16scan_by_key_implILNS1_25lookback_scan_determinismE0ELb0ES3_N6thrust23THRUST_200600_302600_NS6detail15normal_iteratorINS9_10device_ptrIsEEEESE_SE_sNS9_4plusIvEENS9_8equal_toIvEEsEE10hipError_tPvRmT2_T3_T4_T5_mT6_T7_P12ihipStream_tbENKUlT_T0_E_clISt17integral_constantIbLb1EESY_IbLb0EEEEDaSU_SV_EUlSU_E_NS1_11comp_targetILNS1_3genE2ELNS1_11target_archE906ELNS1_3gpuE6ELNS1_3repE0EEENS1_30default_config_static_selectorELNS0_4arch9wavefront6targetE1EEEvT1_,comdat
.Lfunc_end266:
	.size	_ZN7rocprim17ROCPRIM_400000_NS6detail17trampoline_kernelINS0_14default_configENS1_27scan_by_key_config_selectorIssEEZZNS1_16scan_by_key_implILNS1_25lookback_scan_determinismE0ELb0ES3_N6thrust23THRUST_200600_302600_NS6detail15normal_iteratorINS9_10device_ptrIsEEEESE_SE_sNS9_4plusIvEENS9_8equal_toIvEEsEE10hipError_tPvRmT2_T3_T4_T5_mT6_T7_P12ihipStream_tbENKUlT_T0_E_clISt17integral_constantIbLb1EESY_IbLb0EEEEDaSU_SV_EUlSU_E_NS1_11comp_targetILNS1_3genE2ELNS1_11target_archE906ELNS1_3gpuE6ELNS1_3repE0EEENS1_30default_config_static_selectorELNS0_4arch9wavefront6targetE1EEEvT1_, .Lfunc_end266-_ZN7rocprim17ROCPRIM_400000_NS6detail17trampoline_kernelINS0_14default_configENS1_27scan_by_key_config_selectorIssEEZZNS1_16scan_by_key_implILNS1_25lookback_scan_determinismE0ELb0ES3_N6thrust23THRUST_200600_302600_NS6detail15normal_iteratorINS9_10device_ptrIsEEEESE_SE_sNS9_4plusIvEENS9_8equal_toIvEEsEE10hipError_tPvRmT2_T3_T4_T5_mT6_T7_P12ihipStream_tbENKUlT_T0_E_clISt17integral_constantIbLb1EESY_IbLb0EEEEDaSU_SV_EUlSU_E_NS1_11comp_targetILNS1_3genE2ELNS1_11target_archE906ELNS1_3gpuE6ELNS1_3repE0EEENS1_30default_config_static_selectorELNS0_4arch9wavefront6targetE1EEEvT1_
                                        ; -- End function
	.section	.AMDGPU.csdata,"",@progbits
; Kernel info:
; codeLenInByte = 0
; NumSgprs: 4
; NumVgprs: 0
; NumAgprs: 0
; TotalNumVgprs: 0
; ScratchSize: 0
; MemoryBound: 0
; FloatMode: 240
; IeeeMode: 1
; LDSByteSize: 0 bytes/workgroup (compile time only)
; SGPRBlocks: 0
; VGPRBlocks: 0
; NumSGPRsForWavesPerEU: 4
; NumVGPRsForWavesPerEU: 1
; AccumOffset: 4
; Occupancy: 8
; WaveLimiterHint : 0
; COMPUTE_PGM_RSRC2:SCRATCH_EN: 0
; COMPUTE_PGM_RSRC2:USER_SGPR: 6
; COMPUTE_PGM_RSRC2:TRAP_HANDLER: 0
; COMPUTE_PGM_RSRC2:TGID_X_EN: 1
; COMPUTE_PGM_RSRC2:TGID_Y_EN: 0
; COMPUTE_PGM_RSRC2:TGID_Z_EN: 0
; COMPUTE_PGM_RSRC2:TIDIG_COMP_CNT: 0
; COMPUTE_PGM_RSRC3_GFX90A:ACCUM_OFFSET: 0
; COMPUTE_PGM_RSRC3_GFX90A:TG_SPLIT: 0
	.section	.text._ZN7rocprim17ROCPRIM_400000_NS6detail17trampoline_kernelINS0_14default_configENS1_27scan_by_key_config_selectorIssEEZZNS1_16scan_by_key_implILNS1_25lookback_scan_determinismE0ELb0ES3_N6thrust23THRUST_200600_302600_NS6detail15normal_iteratorINS9_10device_ptrIsEEEESE_SE_sNS9_4plusIvEENS9_8equal_toIvEEsEE10hipError_tPvRmT2_T3_T4_T5_mT6_T7_P12ihipStream_tbENKUlT_T0_E_clISt17integral_constantIbLb1EESY_IbLb0EEEEDaSU_SV_EUlSU_E_NS1_11comp_targetILNS1_3genE10ELNS1_11target_archE1200ELNS1_3gpuE4ELNS1_3repE0EEENS1_30default_config_static_selectorELNS0_4arch9wavefront6targetE1EEEvT1_,"axG",@progbits,_ZN7rocprim17ROCPRIM_400000_NS6detail17trampoline_kernelINS0_14default_configENS1_27scan_by_key_config_selectorIssEEZZNS1_16scan_by_key_implILNS1_25lookback_scan_determinismE0ELb0ES3_N6thrust23THRUST_200600_302600_NS6detail15normal_iteratorINS9_10device_ptrIsEEEESE_SE_sNS9_4plusIvEENS9_8equal_toIvEEsEE10hipError_tPvRmT2_T3_T4_T5_mT6_T7_P12ihipStream_tbENKUlT_T0_E_clISt17integral_constantIbLb1EESY_IbLb0EEEEDaSU_SV_EUlSU_E_NS1_11comp_targetILNS1_3genE10ELNS1_11target_archE1200ELNS1_3gpuE4ELNS1_3repE0EEENS1_30default_config_static_selectorELNS0_4arch9wavefront6targetE1EEEvT1_,comdat
	.protected	_ZN7rocprim17ROCPRIM_400000_NS6detail17trampoline_kernelINS0_14default_configENS1_27scan_by_key_config_selectorIssEEZZNS1_16scan_by_key_implILNS1_25lookback_scan_determinismE0ELb0ES3_N6thrust23THRUST_200600_302600_NS6detail15normal_iteratorINS9_10device_ptrIsEEEESE_SE_sNS9_4plusIvEENS9_8equal_toIvEEsEE10hipError_tPvRmT2_T3_T4_T5_mT6_T7_P12ihipStream_tbENKUlT_T0_E_clISt17integral_constantIbLb1EESY_IbLb0EEEEDaSU_SV_EUlSU_E_NS1_11comp_targetILNS1_3genE10ELNS1_11target_archE1200ELNS1_3gpuE4ELNS1_3repE0EEENS1_30default_config_static_selectorELNS0_4arch9wavefront6targetE1EEEvT1_ ; -- Begin function _ZN7rocprim17ROCPRIM_400000_NS6detail17trampoline_kernelINS0_14default_configENS1_27scan_by_key_config_selectorIssEEZZNS1_16scan_by_key_implILNS1_25lookback_scan_determinismE0ELb0ES3_N6thrust23THRUST_200600_302600_NS6detail15normal_iteratorINS9_10device_ptrIsEEEESE_SE_sNS9_4plusIvEENS9_8equal_toIvEEsEE10hipError_tPvRmT2_T3_T4_T5_mT6_T7_P12ihipStream_tbENKUlT_T0_E_clISt17integral_constantIbLb1EESY_IbLb0EEEEDaSU_SV_EUlSU_E_NS1_11comp_targetILNS1_3genE10ELNS1_11target_archE1200ELNS1_3gpuE4ELNS1_3repE0EEENS1_30default_config_static_selectorELNS0_4arch9wavefront6targetE1EEEvT1_
	.globl	_ZN7rocprim17ROCPRIM_400000_NS6detail17trampoline_kernelINS0_14default_configENS1_27scan_by_key_config_selectorIssEEZZNS1_16scan_by_key_implILNS1_25lookback_scan_determinismE0ELb0ES3_N6thrust23THRUST_200600_302600_NS6detail15normal_iteratorINS9_10device_ptrIsEEEESE_SE_sNS9_4plusIvEENS9_8equal_toIvEEsEE10hipError_tPvRmT2_T3_T4_T5_mT6_T7_P12ihipStream_tbENKUlT_T0_E_clISt17integral_constantIbLb1EESY_IbLb0EEEEDaSU_SV_EUlSU_E_NS1_11comp_targetILNS1_3genE10ELNS1_11target_archE1200ELNS1_3gpuE4ELNS1_3repE0EEENS1_30default_config_static_selectorELNS0_4arch9wavefront6targetE1EEEvT1_
	.p2align	8
	.type	_ZN7rocprim17ROCPRIM_400000_NS6detail17trampoline_kernelINS0_14default_configENS1_27scan_by_key_config_selectorIssEEZZNS1_16scan_by_key_implILNS1_25lookback_scan_determinismE0ELb0ES3_N6thrust23THRUST_200600_302600_NS6detail15normal_iteratorINS9_10device_ptrIsEEEESE_SE_sNS9_4plusIvEENS9_8equal_toIvEEsEE10hipError_tPvRmT2_T3_T4_T5_mT6_T7_P12ihipStream_tbENKUlT_T0_E_clISt17integral_constantIbLb1EESY_IbLb0EEEEDaSU_SV_EUlSU_E_NS1_11comp_targetILNS1_3genE10ELNS1_11target_archE1200ELNS1_3gpuE4ELNS1_3repE0EEENS1_30default_config_static_selectorELNS0_4arch9wavefront6targetE1EEEvT1_,@function
_ZN7rocprim17ROCPRIM_400000_NS6detail17trampoline_kernelINS0_14default_configENS1_27scan_by_key_config_selectorIssEEZZNS1_16scan_by_key_implILNS1_25lookback_scan_determinismE0ELb0ES3_N6thrust23THRUST_200600_302600_NS6detail15normal_iteratorINS9_10device_ptrIsEEEESE_SE_sNS9_4plusIvEENS9_8equal_toIvEEsEE10hipError_tPvRmT2_T3_T4_T5_mT6_T7_P12ihipStream_tbENKUlT_T0_E_clISt17integral_constantIbLb1EESY_IbLb0EEEEDaSU_SV_EUlSU_E_NS1_11comp_targetILNS1_3genE10ELNS1_11target_archE1200ELNS1_3gpuE4ELNS1_3repE0EEENS1_30default_config_static_selectorELNS0_4arch9wavefront6targetE1EEEvT1_: ; @_ZN7rocprim17ROCPRIM_400000_NS6detail17trampoline_kernelINS0_14default_configENS1_27scan_by_key_config_selectorIssEEZZNS1_16scan_by_key_implILNS1_25lookback_scan_determinismE0ELb0ES3_N6thrust23THRUST_200600_302600_NS6detail15normal_iteratorINS9_10device_ptrIsEEEESE_SE_sNS9_4plusIvEENS9_8equal_toIvEEsEE10hipError_tPvRmT2_T3_T4_T5_mT6_T7_P12ihipStream_tbENKUlT_T0_E_clISt17integral_constantIbLb1EESY_IbLb0EEEEDaSU_SV_EUlSU_E_NS1_11comp_targetILNS1_3genE10ELNS1_11target_archE1200ELNS1_3gpuE4ELNS1_3repE0EEENS1_30default_config_static_selectorELNS0_4arch9wavefront6targetE1EEEvT1_
; %bb.0:
	.section	.rodata,"a",@progbits
	.p2align	6, 0x0
	.amdhsa_kernel _ZN7rocprim17ROCPRIM_400000_NS6detail17trampoline_kernelINS0_14default_configENS1_27scan_by_key_config_selectorIssEEZZNS1_16scan_by_key_implILNS1_25lookback_scan_determinismE0ELb0ES3_N6thrust23THRUST_200600_302600_NS6detail15normal_iteratorINS9_10device_ptrIsEEEESE_SE_sNS9_4plusIvEENS9_8equal_toIvEEsEE10hipError_tPvRmT2_T3_T4_T5_mT6_T7_P12ihipStream_tbENKUlT_T0_E_clISt17integral_constantIbLb1EESY_IbLb0EEEEDaSU_SV_EUlSU_E_NS1_11comp_targetILNS1_3genE10ELNS1_11target_archE1200ELNS1_3gpuE4ELNS1_3repE0EEENS1_30default_config_static_selectorELNS0_4arch9wavefront6targetE1EEEvT1_
		.amdhsa_group_segment_fixed_size 0
		.amdhsa_private_segment_fixed_size 0
		.amdhsa_kernarg_size 112
		.amdhsa_user_sgpr_count 6
		.amdhsa_user_sgpr_private_segment_buffer 1
		.amdhsa_user_sgpr_dispatch_ptr 0
		.amdhsa_user_sgpr_queue_ptr 0
		.amdhsa_user_sgpr_kernarg_segment_ptr 1
		.amdhsa_user_sgpr_dispatch_id 0
		.amdhsa_user_sgpr_flat_scratch_init 0
		.amdhsa_user_sgpr_kernarg_preload_length 0
		.amdhsa_user_sgpr_kernarg_preload_offset 0
		.amdhsa_user_sgpr_private_segment_size 0
		.amdhsa_uses_dynamic_stack 0
		.amdhsa_system_sgpr_private_segment_wavefront_offset 0
		.amdhsa_system_sgpr_workgroup_id_x 1
		.amdhsa_system_sgpr_workgroup_id_y 0
		.amdhsa_system_sgpr_workgroup_id_z 0
		.amdhsa_system_sgpr_workgroup_info 0
		.amdhsa_system_vgpr_workitem_id 0
		.amdhsa_next_free_vgpr 1
		.amdhsa_next_free_sgpr 0
		.amdhsa_accum_offset 4
		.amdhsa_reserve_vcc 0
		.amdhsa_reserve_flat_scratch 0
		.amdhsa_float_round_mode_32 0
		.amdhsa_float_round_mode_16_64 0
		.amdhsa_float_denorm_mode_32 3
		.amdhsa_float_denorm_mode_16_64 3
		.amdhsa_dx10_clamp 1
		.amdhsa_ieee_mode 1
		.amdhsa_fp16_overflow 0
		.amdhsa_tg_split 0
		.amdhsa_exception_fp_ieee_invalid_op 0
		.amdhsa_exception_fp_denorm_src 0
		.amdhsa_exception_fp_ieee_div_zero 0
		.amdhsa_exception_fp_ieee_overflow 0
		.amdhsa_exception_fp_ieee_underflow 0
		.amdhsa_exception_fp_ieee_inexact 0
		.amdhsa_exception_int_div_zero 0
	.end_amdhsa_kernel
	.section	.text._ZN7rocprim17ROCPRIM_400000_NS6detail17trampoline_kernelINS0_14default_configENS1_27scan_by_key_config_selectorIssEEZZNS1_16scan_by_key_implILNS1_25lookback_scan_determinismE0ELb0ES3_N6thrust23THRUST_200600_302600_NS6detail15normal_iteratorINS9_10device_ptrIsEEEESE_SE_sNS9_4plusIvEENS9_8equal_toIvEEsEE10hipError_tPvRmT2_T3_T4_T5_mT6_T7_P12ihipStream_tbENKUlT_T0_E_clISt17integral_constantIbLb1EESY_IbLb0EEEEDaSU_SV_EUlSU_E_NS1_11comp_targetILNS1_3genE10ELNS1_11target_archE1200ELNS1_3gpuE4ELNS1_3repE0EEENS1_30default_config_static_selectorELNS0_4arch9wavefront6targetE1EEEvT1_,"axG",@progbits,_ZN7rocprim17ROCPRIM_400000_NS6detail17trampoline_kernelINS0_14default_configENS1_27scan_by_key_config_selectorIssEEZZNS1_16scan_by_key_implILNS1_25lookback_scan_determinismE0ELb0ES3_N6thrust23THRUST_200600_302600_NS6detail15normal_iteratorINS9_10device_ptrIsEEEESE_SE_sNS9_4plusIvEENS9_8equal_toIvEEsEE10hipError_tPvRmT2_T3_T4_T5_mT6_T7_P12ihipStream_tbENKUlT_T0_E_clISt17integral_constantIbLb1EESY_IbLb0EEEEDaSU_SV_EUlSU_E_NS1_11comp_targetILNS1_3genE10ELNS1_11target_archE1200ELNS1_3gpuE4ELNS1_3repE0EEENS1_30default_config_static_selectorELNS0_4arch9wavefront6targetE1EEEvT1_,comdat
.Lfunc_end267:
	.size	_ZN7rocprim17ROCPRIM_400000_NS6detail17trampoline_kernelINS0_14default_configENS1_27scan_by_key_config_selectorIssEEZZNS1_16scan_by_key_implILNS1_25lookback_scan_determinismE0ELb0ES3_N6thrust23THRUST_200600_302600_NS6detail15normal_iteratorINS9_10device_ptrIsEEEESE_SE_sNS9_4plusIvEENS9_8equal_toIvEEsEE10hipError_tPvRmT2_T3_T4_T5_mT6_T7_P12ihipStream_tbENKUlT_T0_E_clISt17integral_constantIbLb1EESY_IbLb0EEEEDaSU_SV_EUlSU_E_NS1_11comp_targetILNS1_3genE10ELNS1_11target_archE1200ELNS1_3gpuE4ELNS1_3repE0EEENS1_30default_config_static_selectorELNS0_4arch9wavefront6targetE1EEEvT1_, .Lfunc_end267-_ZN7rocprim17ROCPRIM_400000_NS6detail17trampoline_kernelINS0_14default_configENS1_27scan_by_key_config_selectorIssEEZZNS1_16scan_by_key_implILNS1_25lookback_scan_determinismE0ELb0ES3_N6thrust23THRUST_200600_302600_NS6detail15normal_iteratorINS9_10device_ptrIsEEEESE_SE_sNS9_4plusIvEENS9_8equal_toIvEEsEE10hipError_tPvRmT2_T3_T4_T5_mT6_T7_P12ihipStream_tbENKUlT_T0_E_clISt17integral_constantIbLb1EESY_IbLb0EEEEDaSU_SV_EUlSU_E_NS1_11comp_targetILNS1_3genE10ELNS1_11target_archE1200ELNS1_3gpuE4ELNS1_3repE0EEENS1_30default_config_static_selectorELNS0_4arch9wavefront6targetE1EEEvT1_
                                        ; -- End function
	.section	.AMDGPU.csdata,"",@progbits
; Kernel info:
; codeLenInByte = 0
; NumSgprs: 4
; NumVgprs: 0
; NumAgprs: 0
; TotalNumVgprs: 0
; ScratchSize: 0
; MemoryBound: 0
; FloatMode: 240
; IeeeMode: 1
; LDSByteSize: 0 bytes/workgroup (compile time only)
; SGPRBlocks: 0
; VGPRBlocks: 0
; NumSGPRsForWavesPerEU: 4
; NumVGPRsForWavesPerEU: 1
; AccumOffset: 4
; Occupancy: 8
; WaveLimiterHint : 0
; COMPUTE_PGM_RSRC2:SCRATCH_EN: 0
; COMPUTE_PGM_RSRC2:USER_SGPR: 6
; COMPUTE_PGM_RSRC2:TRAP_HANDLER: 0
; COMPUTE_PGM_RSRC2:TGID_X_EN: 1
; COMPUTE_PGM_RSRC2:TGID_Y_EN: 0
; COMPUTE_PGM_RSRC2:TGID_Z_EN: 0
; COMPUTE_PGM_RSRC2:TIDIG_COMP_CNT: 0
; COMPUTE_PGM_RSRC3_GFX90A:ACCUM_OFFSET: 0
; COMPUTE_PGM_RSRC3_GFX90A:TG_SPLIT: 0
	.section	.text._ZN7rocprim17ROCPRIM_400000_NS6detail17trampoline_kernelINS0_14default_configENS1_27scan_by_key_config_selectorIssEEZZNS1_16scan_by_key_implILNS1_25lookback_scan_determinismE0ELb0ES3_N6thrust23THRUST_200600_302600_NS6detail15normal_iteratorINS9_10device_ptrIsEEEESE_SE_sNS9_4plusIvEENS9_8equal_toIvEEsEE10hipError_tPvRmT2_T3_T4_T5_mT6_T7_P12ihipStream_tbENKUlT_T0_E_clISt17integral_constantIbLb1EESY_IbLb0EEEEDaSU_SV_EUlSU_E_NS1_11comp_targetILNS1_3genE9ELNS1_11target_archE1100ELNS1_3gpuE3ELNS1_3repE0EEENS1_30default_config_static_selectorELNS0_4arch9wavefront6targetE1EEEvT1_,"axG",@progbits,_ZN7rocprim17ROCPRIM_400000_NS6detail17trampoline_kernelINS0_14default_configENS1_27scan_by_key_config_selectorIssEEZZNS1_16scan_by_key_implILNS1_25lookback_scan_determinismE0ELb0ES3_N6thrust23THRUST_200600_302600_NS6detail15normal_iteratorINS9_10device_ptrIsEEEESE_SE_sNS9_4plusIvEENS9_8equal_toIvEEsEE10hipError_tPvRmT2_T3_T4_T5_mT6_T7_P12ihipStream_tbENKUlT_T0_E_clISt17integral_constantIbLb1EESY_IbLb0EEEEDaSU_SV_EUlSU_E_NS1_11comp_targetILNS1_3genE9ELNS1_11target_archE1100ELNS1_3gpuE3ELNS1_3repE0EEENS1_30default_config_static_selectorELNS0_4arch9wavefront6targetE1EEEvT1_,comdat
	.protected	_ZN7rocprim17ROCPRIM_400000_NS6detail17trampoline_kernelINS0_14default_configENS1_27scan_by_key_config_selectorIssEEZZNS1_16scan_by_key_implILNS1_25lookback_scan_determinismE0ELb0ES3_N6thrust23THRUST_200600_302600_NS6detail15normal_iteratorINS9_10device_ptrIsEEEESE_SE_sNS9_4plusIvEENS9_8equal_toIvEEsEE10hipError_tPvRmT2_T3_T4_T5_mT6_T7_P12ihipStream_tbENKUlT_T0_E_clISt17integral_constantIbLb1EESY_IbLb0EEEEDaSU_SV_EUlSU_E_NS1_11comp_targetILNS1_3genE9ELNS1_11target_archE1100ELNS1_3gpuE3ELNS1_3repE0EEENS1_30default_config_static_selectorELNS0_4arch9wavefront6targetE1EEEvT1_ ; -- Begin function _ZN7rocprim17ROCPRIM_400000_NS6detail17trampoline_kernelINS0_14default_configENS1_27scan_by_key_config_selectorIssEEZZNS1_16scan_by_key_implILNS1_25lookback_scan_determinismE0ELb0ES3_N6thrust23THRUST_200600_302600_NS6detail15normal_iteratorINS9_10device_ptrIsEEEESE_SE_sNS9_4plusIvEENS9_8equal_toIvEEsEE10hipError_tPvRmT2_T3_T4_T5_mT6_T7_P12ihipStream_tbENKUlT_T0_E_clISt17integral_constantIbLb1EESY_IbLb0EEEEDaSU_SV_EUlSU_E_NS1_11comp_targetILNS1_3genE9ELNS1_11target_archE1100ELNS1_3gpuE3ELNS1_3repE0EEENS1_30default_config_static_selectorELNS0_4arch9wavefront6targetE1EEEvT1_
	.globl	_ZN7rocprim17ROCPRIM_400000_NS6detail17trampoline_kernelINS0_14default_configENS1_27scan_by_key_config_selectorIssEEZZNS1_16scan_by_key_implILNS1_25lookback_scan_determinismE0ELb0ES3_N6thrust23THRUST_200600_302600_NS6detail15normal_iteratorINS9_10device_ptrIsEEEESE_SE_sNS9_4plusIvEENS9_8equal_toIvEEsEE10hipError_tPvRmT2_T3_T4_T5_mT6_T7_P12ihipStream_tbENKUlT_T0_E_clISt17integral_constantIbLb1EESY_IbLb0EEEEDaSU_SV_EUlSU_E_NS1_11comp_targetILNS1_3genE9ELNS1_11target_archE1100ELNS1_3gpuE3ELNS1_3repE0EEENS1_30default_config_static_selectorELNS0_4arch9wavefront6targetE1EEEvT1_
	.p2align	8
	.type	_ZN7rocprim17ROCPRIM_400000_NS6detail17trampoline_kernelINS0_14default_configENS1_27scan_by_key_config_selectorIssEEZZNS1_16scan_by_key_implILNS1_25lookback_scan_determinismE0ELb0ES3_N6thrust23THRUST_200600_302600_NS6detail15normal_iteratorINS9_10device_ptrIsEEEESE_SE_sNS9_4plusIvEENS9_8equal_toIvEEsEE10hipError_tPvRmT2_T3_T4_T5_mT6_T7_P12ihipStream_tbENKUlT_T0_E_clISt17integral_constantIbLb1EESY_IbLb0EEEEDaSU_SV_EUlSU_E_NS1_11comp_targetILNS1_3genE9ELNS1_11target_archE1100ELNS1_3gpuE3ELNS1_3repE0EEENS1_30default_config_static_selectorELNS0_4arch9wavefront6targetE1EEEvT1_,@function
_ZN7rocprim17ROCPRIM_400000_NS6detail17trampoline_kernelINS0_14default_configENS1_27scan_by_key_config_selectorIssEEZZNS1_16scan_by_key_implILNS1_25lookback_scan_determinismE0ELb0ES3_N6thrust23THRUST_200600_302600_NS6detail15normal_iteratorINS9_10device_ptrIsEEEESE_SE_sNS9_4plusIvEENS9_8equal_toIvEEsEE10hipError_tPvRmT2_T3_T4_T5_mT6_T7_P12ihipStream_tbENKUlT_T0_E_clISt17integral_constantIbLb1EESY_IbLb0EEEEDaSU_SV_EUlSU_E_NS1_11comp_targetILNS1_3genE9ELNS1_11target_archE1100ELNS1_3gpuE3ELNS1_3repE0EEENS1_30default_config_static_selectorELNS0_4arch9wavefront6targetE1EEEvT1_: ; @_ZN7rocprim17ROCPRIM_400000_NS6detail17trampoline_kernelINS0_14default_configENS1_27scan_by_key_config_selectorIssEEZZNS1_16scan_by_key_implILNS1_25lookback_scan_determinismE0ELb0ES3_N6thrust23THRUST_200600_302600_NS6detail15normal_iteratorINS9_10device_ptrIsEEEESE_SE_sNS9_4plusIvEENS9_8equal_toIvEEsEE10hipError_tPvRmT2_T3_T4_T5_mT6_T7_P12ihipStream_tbENKUlT_T0_E_clISt17integral_constantIbLb1EESY_IbLb0EEEEDaSU_SV_EUlSU_E_NS1_11comp_targetILNS1_3genE9ELNS1_11target_archE1100ELNS1_3gpuE3ELNS1_3repE0EEENS1_30default_config_static_selectorELNS0_4arch9wavefront6targetE1EEEvT1_
; %bb.0:
	.section	.rodata,"a",@progbits
	.p2align	6, 0x0
	.amdhsa_kernel _ZN7rocprim17ROCPRIM_400000_NS6detail17trampoline_kernelINS0_14default_configENS1_27scan_by_key_config_selectorIssEEZZNS1_16scan_by_key_implILNS1_25lookback_scan_determinismE0ELb0ES3_N6thrust23THRUST_200600_302600_NS6detail15normal_iteratorINS9_10device_ptrIsEEEESE_SE_sNS9_4plusIvEENS9_8equal_toIvEEsEE10hipError_tPvRmT2_T3_T4_T5_mT6_T7_P12ihipStream_tbENKUlT_T0_E_clISt17integral_constantIbLb1EESY_IbLb0EEEEDaSU_SV_EUlSU_E_NS1_11comp_targetILNS1_3genE9ELNS1_11target_archE1100ELNS1_3gpuE3ELNS1_3repE0EEENS1_30default_config_static_selectorELNS0_4arch9wavefront6targetE1EEEvT1_
		.amdhsa_group_segment_fixed_size 0
		.amdhsa_private_segment_fixed_size 0
		.amdhsa_kernarg_size 112
		.amdhsa_user_sgpr_count 6
		.amdhsa_user_sgpr_private_segment_buffer 1
		.amdhsa_user_sgpr_dispatch_ptr 0
		.amdhsa_user_sgpr_queue_ptr 0
		.amdhsa_user_sgpr_kernarg_segment_ptr 1
		.amdhsa_user_sgpr_dispatch_id 0
		.amdhsa_user_sgpr_flat_scratch_init 0
		.amdhsa_user_sgpr_kernarg_preload_length 0
		.amdhsa_user_sgpr_kernarg_preload_offset 0
		.amdhsa_user_sgpr_private_segment_size 0
		.amdhsa_uses_dynamic_stack 0
		.amdhsa_system_sgpr_private_segment_wavefront_offset 0
		.amdhsa_system_sgpr_workgroup_id_x 1
		.amdhsa_system_sgpr_workgroup_id_y 0
		.amdhsa_system_sgpr_workgroup_id_z 0
		.amdhsa_system_sgpr_workgroup_info 0
		.amdhsa_system_vgpr_workitem_id 0
		.amdhsa_next_free_vgpr 1
		.amdhsa_next_free_sgpr 0
		.amdhsa_accum_offset 4
		.amdhsa_reserve_vcc 0
		.amdhsa_reserve_flat_scratch 0
		.amdhsa_float_round_mode_32 0
		.amdhsa_float_round_mode_16_64 0
		.amdhsa_float_denorm_mode_32 3
		.amdhsa_float_denorm_mode_16_64 3
		.amdhsa_dx10_clamp 1
		.amdhsa_ieee_mode 1
		.amdhsa_fp16_overflow 0
		.amdhsa_tg_split 0
		.amdhsa_exception_fp_ieee_invalid_op 0
		.amdhsa_exception_fp_denorm_src 0
		.amdhsa_exception_fp_ieee_div_zero 0
		.amdhsa_exception_fp_ieee_overflow 0
		.amdhsa_exception_fp_ieee_underflow 0
		.amdhsa_exception_fp_ieee_inexact 0
		.amdhsa_exception_int_div_zero 0
	.end_amdhsa_kernel
	.section	.text._ZN7rocprim17ROCPRIM_400000_NS6detail17trampoline_kernelINS0_14default_configENS1_27scan_by_key_config_selectorIssEEZZNS1_16scan_by_key_implILNS1_25lookback_scan_determinismE0ELb0ES3_N6thrust23THRUST_200600_302600_NS6detail15normal_iteratorINS9_10device_ptrIsEEEESE_SE_sNS9_4plusIvEENS9_8equal_toIvEEsEE10hipError_tPvRmT2_T3_T4_T5_mT6_T7_P12ihipStream_tbENKUlT_T0_E_clISt17integral_constantIbLb1EESY_IbLb0EEEEDaSU_SV_EUlSU_E_NS1_11comp_targetILNS1_3genE9ELNS1_11target_archE1100ELNS1_3gpuE3ELNS1_3repE0EEENS1_30default_config_static_selectorELNS0_4arch9wavefront6targetE1EEEvT1_,"axG",@progbits,_ZN7rocprim17ROCPRIM_400000_NS6detail17trampoline_kernelINS0_14default_configENS1_27scan_by_key_config_selectorIssEEZZNS1_16scan_by_key_implILNS1_25lookback_scan_determinismE0ELb0ES3_N6thrust23THRUST_200600_302600_NS6detail15normal_iteratorINS9_10device_ptrIsEEEESE_SE_sNS9_4plusIvEENS9_8equal_toIvEEsEE10hipError_tPvRmT2_T3_T4_T5_mT6_T7_P12ihipStream_tbENKUlT_T0_E_clISt17integral_constantIbLb1EESY_IbLb0EEEEDaSU_SV_EUlSU_E_NS1_11comp_targetILNS1_3genE9ELNS1_11target_archE1100ELNS1_3gpuE3ELNS1_3repE0EEENS1_30default_config_static_selectorELNS0_4arch9wavefront6targetE1EEEvT1_,comdat
.Lfunc_end268:
	.size	_ZN7rocprim17ROCPRIM_400000_NS6detail17trampoline_kernelINS0_14default_configENS1_27scan_by_key_config_selectorIssEEZZNS1_16scan_by_key_implILNS1_25lookback_scan_determinismE0ELb0ES3_N6thrust23THRUST_200600_302600_NS6detail15normal_iteratorINS9_10device_ptrIsEEEESE_SE_sNS9_4plusIvEENS9_8equal_toIvEEsEE10hipError_tPvRmT2_T3_T4_T5_mT6_T7_P12ihipStream_tbENKUlT_T0_E_clISt17integral_constantIbLb1EESY_IbLb0EEEEDaSU_SV_EUlSU_E_NS1_11comp_targetILNS1_3genE9ELNS1_11target_archE1100ELNS1_3gpuE3ELNS1_3repE0EEENS1_30default_config_static_selectorELNS0_4arch9wavefront6targetE1EEEvT1_, .Lfunc_end268-_ZN7rocprim17ROCPRIM_400000_NS6detail17trampoline_kernelINS0_14default_configENS1_27scan_by_key_config_selectorIssEEZZNS1_16scan_by_key_implILNS1_25lookback_scan_determinismE0ELb0ES3_N6thrust23THRUST_200600_302600_NS6detail15normal_iteratorINS9_10device_ptrIsEEEESE_SE_sNS9_4plusIvEENS9_8equal_toIvEEsEE10hipError_tPvRmT2_T3_T4_T5_mT6_T7_P12ihipStream_tbENKUlT_T0_E_clISt17integral_constantIbLb1EESY_IbLb0EEEEDaSU_SV_EUlSU_E_NS1_11comp_targetILNS1_3genE9ELNS1_11target_archE1100ELNS1_3gpuE3ELNS1_3repE0EEENS1_30default_config_static_selectorELNS0_4arch9wavefront6targetE1EEEvT1_
                                        ; -- End function
	.section	.AMDGPU.csdata,"",@progbits
; Kernel info:
; codeLenInByte = 0
; NumSgprs: 4
; NumVgprs: 0
; NumAgprs: 0
; TotalNumVgprs: 0
; ScratchSize: 0
; MemoryBound: 0
; FloatMode: 240
; IeeeMode: 1
; LDSByteSize: 0 bytes/workgroup (compile time only)
; SGPRBlocks: 0
; VGPRBlocks: 0
; NumSGPRsForWavesPerEU: 4
; NumVGPRsForWavesPerEU: 1
; AccumOffset: 4
; Occupancy: 8
; WaveLimiterHint : 0
; COMPUTE_PGM_RSRC2:SCRATCH_EN: 0
; COMPUTE_PGM_RSRC2:USER_SGPR: 6
; COMPUTE_PGM_RSRC2:TRAP_HANDLER: 0
; COMPUTE_PGM_RSRC2:TGID_X_EN: 1
; COMPUTE_PGM_RSRC2:TGID_Y_EN: 0
; COMPUTE_PGM_RSRC2:TGID_Z_EN: 0
; COMPUTE_PGM_RSRC2:TIDIG_COMP_CNT: 0
; COMPUTE_PGM_RSRC3_GFX90A:ACCUM_OFFSET: 0
; COMPUTE_PGM_RSRC3_GFX90A:TG_SPLIT: 0
	.section	.text._ZN7rocprim17ROCPRIM_400000_NS6detail17trampoline_kernelINS0_14default_configENS1_27scan_by_key_config_selectorIssEEZZNS1_16scan_by_key_implILNS1_25lookback_scan_determinismE0ELb0ES3_N6thrust23THRUST_200600_302600_NS6detail15normal_iteratorINS9_10device_ptrIsEEEESE_SE_sNS9_4plusIvEENS9_8equal_toIvEEsEE10hipError_tPvRmT2_T3_T4_T5_mT6_T7_P12ihipStream_tbENKUlT_T0_E_clISt17integral_constantIbLb1EESY_IbLb0EEEEDaSU_SV_EUlSU_E_NS1_11comp_targetILNS1_3genE8ELNS1_11target_archE1030ELNS1_3gpuE2ELNS1_3repE0EEENS1_30default_config_static_selectorELNS0_4arch9wavefront6targetE1EEEvT1_,"axG",@progbits,_ZN7rocprim17ROCPRIM_400000_NS6detail17trampoline_kernelINS0_14default_configENS1_27scan_by_key_config_selectorIssEEZZNS1_16scan_by_key_implILNS1_25lookback_scan_determinismE0ELb0ES3_N6thrust23THRUST_200600_302600_NS6detail15normal_iteratorINS9_10device_ptrIsEEEESE_SE_sNS9_4plusIvEENS9_8equal_toIvEEsEE10hipError_tPvRmT2_T3_T4_T5_mT6_T7_P12ihipStream_tbENKUlT_T0_E_clISt17integral_constantIbLb1EESY_IbLb0EEEEDaSU_SV_EUlSU_E_NS1_11comp_targetILNS1_3genE8ELNS1_11target_archE1030ELNS1_3gpuE2ELNS1_3repE0EEENS1_30default_config_static_selectorELNS0_4arch9wavefront6targetE1EEEvT1_,comdat
	.protected	_ZN7rocprim17ROCPRIM_400000_NS6detail17trampoline_kernelINS0_14default_configENS1_27scan_by_key_config_selectorIssEEZZNS1_16scan_by_key_implILNS1_25lookback_scan_determinismE0ELb0ES3_N6thrust23THRUST_200600_302600_NS6detail15normal_iteratorINS9_10device_ptrIsEEEESE_SE_sNS9_4plusIvEENS9_8equal_toIvEEsEE10hipError_tPvRmT2_T3_T4_T5_mT6_T7_P12ihipStream_tbENKUlT_T0_E_clISt17integral_constantIbLb1EESY_IbLb0EEEEDaSU_SV_EUlSU_E_NS1_11comp_targetILNS1_3genE8ELNS1_11target_archE1030ELNS1_3gpuE2ELNS1_3repE0EEENS1_30default_config_static_selectorELNS0_4arch9wavefront6targetE1EEEvT1_ ; -- Begin function _ZN7rocprim17ROCPRIM_400000_NS6detail17trampoline_kernelINS0_14default_configENS1_27scan_by_key_config_selectorIssEEZZNS1_16scan_by_key_implILNS1_25lookback_scan_determinismE0ELb0ES3_N6thrust23THRUST_200600_302600_NS6detail15normal_iteratorINS9_10device_ptrIsEEEESE_SE_sNS9_4plusIvEENS9_8equal_toIvEEsEE10hipError_tPvRmT2_T3_T4_T5_mT6_T7_P12ihipStream_tbENKUlT_T0_E_clISt17integral_constantIbLb1EESY_IbLb0EEEEDaSU_SV_EUlSU_E_NS1_11comp_targetILNS1_3genE8ELNS1_11target_archE1030ELNS1_3gpuE2ELNS1_3repE0EEENS1_30default_config_static_selectorELNS0_4arch9wavefront6targetE1EEEvT1_
	.globl	_ZN7rocprim17ROCPRIM_400000_NS6detail17trampoline_kernelINS0_14default_configENS1_27scan_by_key_config_selectorIssEEZZNS1_16scan_by_key_implILNS1_25lookback_scan_determinismE0ELb0ES3_N6thrust23THRUST_200600_302600_NS6detail15normal_iteratorINS9_10device_ptrIsEEEESE_SE_sNS9_4plusIvEENS9_8equal_toIvEEsEE10hipError_tPvRmT2_T3_T4_T5_mT6_T7_P12ihipStream_tbENKUlT_T0_E_clISt17integral_constantIbLb1EESY_IbLb0EEEEDaSU_SV_EUlSU_E_NS1_11comp_targetILNS1_3genE8ELNS1_11target_archE1030ELNS1_3gpuE2ELNS1_3repE0EEENS1_30default_config_static_selectorELNS0_4arch9wavefront6targetE1EEEvT1_
	.p2align	8
	.type	_ZN7rocprim17ROCPRIM_400000_NS6detail17trampoline_kernelINS0_14default_configENS1_27scan_by_key_config_selectorIssEEZZNS1_16scan_by_key_implILNS1_25lookback_scan_determinismE0ELb0ES3_N6thrust23THRUST_200600_302600_NS6detail15normal_iteratorINS9_10device_ptrIsEEEESE_SE_sNS9_4plusIvEENS9_8equal_toIvEEsEE10hipError_tPvRmT2_T3_T4_T5_mT6_T7_P12ihipStream_tbENKUlT_T0_E_clISt17integral_constantIbLb1EESY_IbLb0EEEEDaSU_SV_EUlSU_E_NS1_11comp_targetILNS1_3genE8ELNS1_11target_archE1030ELNS1_3gpuE2ELNS1_3repE0EEENS1_30default_config_static_selectorELNS0_4arch9wavefront6targetE1EEEvT1_,@function
_ZN7rocprim17ROCPRIM_400000_NS6detail17trampoline_kernelINS0_14default_configENS1_27scan_by_key_config_selectorIssEEZZNS1_16scan_by_key_implILNS1_25lookback_scan_determinismE0ELb0ES3_N6thrust23THRUST_200600_302600_NS6detail15normal_iteratorINS9_10device_ptrIsEEEESE_SE_sNS9_4plusIvEENS9_8equal_toIvEEsEE10hipError_tPvRmT2_T3_T4_T5_mT6_T7_P12ihipStream_tbENKUlT_T0_E_clISt17integral_constantIbLb1EESY_IbLb0EEEEDaSU_SV_EUlSU_E_NS1_11comp_targetILNS1_3genE8ELNS1_11target_archE1030ELNS1_3gpuE2ELNS1_3repE0EEENS1_30default_config_static_selectorELNS0_4arch9wavefront6targetE1EEEvT1_: ; @_ZN7rocprim17ROCPRIM_400000_NS6detail17trampoline_kernelINS0_14default_configENS1_27scan_by_key_config_selectorIssEEZZNS1_16scan_by_key_implILNS1_25lookback_scan_determinismE0ELb0ES3_N6thrust23THRUST_200600_302600_NS6detail15normal_iteratorINS9_10device_ptrIsEEEESE_SE_sNS9_4plusIvEENS9_8equal_toIvEEsEE10hipError_tPvRmT2_T3_T4_T5_mT6_T7_P12ihipStream_tbENKUlT_T0_E_clISt17integral_constantIbLb1EESY_IbLb0EEEEDaSU_SV_EUlSU_E_NS1_11comp_targetILNS1_3genE8ELNS1_11target_archE1030ELNS1_3gpuE2ELNS1_3repE0EEENS1_30default_config_static_selectorELNS0_4arch9wavefront6targetE1EEEvT1_
; %bb.0:
	.section	.rodata,"a",@progbits
	.p2align	6, 0x0
	.amdhsa_kernel _ZN7rocprim17ROCPRIM_400000_NS6detail17trampoline_kernelINS0_14default_configENS1_27scan_by_key_config_selectorIssEEZZNS1_16scan_by_key_implILNS1_25lookback_scan_determinismE0ELb0ES3_N6thrust23THRUST_200600_302600_NS6detail15normal_iteratorINS9_10device_ptrIsEEEESE_SE_sNS9_4plusIvEENS9_8equal_toIvEEsEE10hipError_tPvRmT2_T3_T4_T5_mT6_T7_P12ihipStream_tbENKUlT_T0_E_clISt17integral_constantIbLb1EESY_IbLb0EEEEDaSU_SV_EUlSU_E_NS1_11comp_targetILNS1_3genE8ELNS1_11target_archE1030ELNS1_3gpuE2ELNS1_3repE0EEENS1_30default_config_static_selectorELNS0_4arch9wavefront6targetE1EEEvT1_
		.amdhsa_group_segment_fixed_size 0
		.amdhsa_private_segment_fixed_size 0
		.amdhsa_kernarg_size 112
		.amdhsa_user_sgpr_count 6
		.amdhsa_user_sgpr_private_segment_buffer 1
		.amdhsa_user_sgpr_dispatch_ptr 0
		.amdhsa_user_sgpr_queue_ptr 0
		.amdhsa_user_sgpr_kernarg_segment_ptr 1
		.amdhsa_user_sgpr_dispatch_id 0
		.amdhsa_user_sgpr_flat_scratch_init 0
		.amdhsa_user_sgpr_kernarg_preload_length 0
		.amdhsa_user_sgpr_kernarg_preload_offset 0
		.amdhsa_user_sgpr_private_segment_size 0
		.amdhsa_uses_dynamic_stack 0
		.amdhsa_system_sgpr_private_segment_wavefront_offset 0
		.amdhsa_system_sgpr_workgroup_id_x 1
		.amdhsa_system_sgpr_workgroup_id_y 0
		.amdhsa_system_sgpr_workgroup_id_z 0
		.amdhsa_system_sgpr_workgroup_info 0
		.amdhsa_system_vgpr_workitem_id 0
		.amdhsa_next_free_vgpr 1
		.amdhsa_next_free_sgpr 0
		.amdhsa_accum_offset 4
		.amdhsa_reserve_vcc 0
		.amdhsa_reserve_flat_scratch 0
		.amdhsa_float_round_mode_32 0
		.amdhsa_float_round_mode_16_64 0
		.amdhsa_float_denorm_mode_32 3
		.amdhsa_float_denorm_mode_16_64 3
		.amdhsa_dx10_clamp 1
		.amdhsa_ieee_mode 1
		.amdhsa_fp16_overflow 0
		.amdhsa_tg_split 0
		.amdhsa_exception_fp_ieee_invalid_op 0
		.amdhsa_exception_fp_denorm_src 0
		.amdhsa_exception_fp_ieee_div_zero 0
		.amdhsa_exception_fp_ieee_overflow 0
		.amdhsa_exception_fp_ieee_underflow 0
		.amdhsa_exception_fp_ieee_inexact 0
		.amdhsa_exception_int_div_zero 0
	.end_amdhsa_kernel
	.section	.text._ZN7rocprim17ROCPRIM_400000_NS6detail17trampoline_kernelINS0_14default_configENS1_27scan_by_key_config_selectorIssEEZZNS1_16scan_by_key_implILNS1_25lookback_scan_determinismE0ELb0ES3_N6thrust23THRUST_200600_302600_NS6detail15normal_iteratorINS9_10device_ptrIsEEEESE_SE_sNS9_4plusIvEENS9_8equal_toIvEEsEE10hipError_tPvRmT2_T3_T4_T5_mT6_T7_P12ihipStream_tbENKUlT_T0_E_clISt17integral_constantIbLb1EESY_IbLb0EEEEDaSU_SV_EUlSU_E_NS1_11comp_targetILNS1_3genE8ELNS1_11target_archE1030ELNS1_3gpuE2ELNS1_3repE0EEENS1_30default_config_static_selectorELNS0_4arch9wavefront6targetE1EEEvT1_,"axG",@progbits,_ZN7rocprim17ROCPRIM_400000_NS6detail17trampoline_kernelINS0_14default_configENS1_27scan_by_key_config_selectorIssEEZZNS1_16scan_by_key_implILNS1_25lookback_scan_determinismE0ELb0ES3_N6thrust23THRUST_200600_302600_NS6detail15normal_iteratorINS9_10device_ptrIsEEEESE_SE_sNS9_4plusIvEENS9_8equal_toIvEEsEE10hipError_tPvRmT2_T3_T4_T5_mT6_T7_P12ihipStream_tbENKUlT_T0_E_clISt17integral_constantIbLb1EESY_IbLb0EEEEDaSU_SV_EUlSU_E_NS1_11comp_targetILNS1_3genE8ELNS1_11target_archE1030ELNS1_3gpuE2ELNS1_3repE0EEENS1_30default_config_static_selectorELNS0_4arch9wavefront6targetE1EEEvT1_,comdat
.Lfunc_end269:
	.size	_ZN7rocprim17ROCPRIM_400000_NS6detail17trampoline_kernelINS0_14default_configENS1_27scan_by_key_config_selectorIssEEZZNS1_16scan_by_key_implILNS1_25lookback_scan_determinismE0ELb0ES3_N6thrust23THRUST_200600_302600_NS6detail15normal_iteratorINS9_10device_ptrIsEEEESE_SE_sNS9_4plusIvEENS9_8equal_toIvEEsEE10hipError_tPvRmT2_T3_T4_T5_mT6_T7_P12ihipStream_tbENKUlT_T0_E_clISt17integral_constantIbLb1EESY_IbLb0EEEEDaSU_SV_EUlSU_E_NS1_11comp_targetILNS1_3genE8ELNS1_11target_archE1030ELNS1_3gpuE2ELNS1_3repE0EEENS1_30default_config_static_selectorELNS0_4arch9wavefront6targetE1EEEvT1_, .Lfunc_end269-_ZN7rocprim17ROCPRIM_400000_NS6detail17trampoline_kernelINS0_14default_configENS1_27scan_by_key_config_selectorIssEEZZNS1_16scan_by_key_implILNS1_25lookback_scan_determinismE0ELb0ES3_N6thrust23THRUST_200600_302600_NS6detail15normal_iteratorINS9_10device_ptrIsEEEESE_SE_sNS9_4plusIvEENS9_8equal_toIvEEsEE10hipError_tPvRmT2_T3_T4_T5_mT6_T7_P12ihipStream_tbENKUlT_T0_E_clISt17integral_constantIbLb1EESY_IbLb0EEEEDaSU_SV_EUlSU_E_NS1_11comp_targetILNS1_3genE8ELNS1_11target_archE1030ELNS1_3gpuE2ELNS1_3repE0EEENS1_30default_config_static_selectorELNS0_4arch9wavefront6targetE1EEEvT1_
                                        ; -- End function
	.section	.AMDGPU.csdata,"",@progbits
; Kernel info:
; codeLenInByte = 0
; NumSgprs: 4
; NumVgprs: 0
; NumAgprs: 0
; TotalNumVgprs: 0
; ScratchSize: 0
; MemoryBound: 0
; FloatMode: 240
; IeeeMode: 1
; LDSByteSize: 0 bytes/workgroup (compile time only)
; SGPRBlocks: 0
; VGPRBlocks: 0
; NumSGPRsForWavesPerEU: 4
; NumVGPRsForWavesPerEU: 1
; AccumOffset: 4
; Occupancy: 8
; WaveLimiterHint : 0
; COMPUTE_PGM_RSRC2:SCRATCH_EN: 0
; COMPUTE_PGM_RSRC2:USER_SGPR: 6
; COMPUTE_PGM_RSRC2:TRAP_HANDLER: 0
; COMPUTE_PGM_RSRC2:TGID_X_EN: 1
; COMPUTE_PGM_RSRC2:TGID_Y_EN: 0
; COMPUTE_PGM_RSRC2:TGID_Z_EN: 0
; COMPUTE_PGM_RSRC2:TIDIG_COMP_CNT: 0
; COMPUTE_PGM_RSRC3_GFX90A:ACCUM_OFFSET: 0
; COMPUTE_PGM_RSRC3_GFX90A:TG_SPLIT: 0
	.section	.text._ZN7rocprim17ROCPRIM_400000_NS6detail30init_device_scan_by_key_kernelINS1_19lookback_scan_stateINS0_5tupleIJsbEEELb0ELb1EEEN6thrust23THRUST_200600_302600_NS6detail15normal_iteratorINS8_10device_ptrIsEEEEjNS1_16block_id_wrapperIjLb1EEEEEvT_jjPNSG_10value_typeET0_PNSt15iterator_traitsISJ_E10value_typeEmT1_T2_,"axG",@progbits,_ZN7rocprim17ROCPRIM_400000_NS6detail30init_device_scan_by_key_kernelINS1_19lookback_scan_stateINS0_5tupleIJsbEEELb0ELb1EEEN6thrust23THRUST_200600_302600_NS6detail15normal_iteratorINS8_10device_ptrIsEEEEjNS1_16block_id_wrapperIjLb1EEEEEvT_jjPNSG_10value_typeET0_PNSt15iterator_traitsISJ_E10value_typeEmT1_T2_,comdat
	.protected	_ZN7rocprim17ROCPRIM_400000_NS6detail30init_device_scan_by_key_kernelINS1_19lookback_scan_stateINS0_5tupleIJsbEEELb0ELb1EEEN6thrust23THRUST_200600_302600_NS6detail15normal_iteratorINS8_10device_ptrIsEEEEjNS1_16block_id_wrapperIjLb1EEEEEvT_jjPNSG_10value_typeET0_PNSt15iterator_traitsISJ_E10value_typeEmT1_T2_ ; -- Begin function _ZN7rocprim17ROCPRIM_400000_NS6detail30init_device_scan_by_key_kernelINS1_19lookback_scan_stateINS0_5tupleIJsbEEELb0ELb1EEEN6thrust23THRUST_200600_302600_NS6detail15normal_iteratorINS8_10device_ptrIsEEEEjNS1_16block_id_wrapperIjLb1EEEEEvT_jjPNSG_10value_typeET0_PNSt15iterator_traitsISJ_E10value_typeEmT1_T2_
	.globl	_ZN7rocprim17ROCPRIM_400000_NS6detail30init_device_scan_by_key_kernelINS1_19lookback_scan_stateINS0_5tupleIJsbEEELb0ELb1EEEN6thrust23THRUST_200600_302600_NS6detail15normal_iteratorINS8_10device_ptrIsEEEEjNS1_16block_id_wrapperIjLb1EEEEEvT_jjPNSG_10value_typeET0_PNSt15iterator_traitsISJ_E10value_typeEmT1_T2_
	.p2align	8
	.type	_ZN7rocprim17ROCPRIM_400000_NS6detail30init_device_scan_by_key_kernelINS1_19lookback_scan_stateINS0_5tupleIJsbEEELb0ELb1EEEN6thrust23THRUST_200600_302600_NS6detail15normal_iteratorINS8_10device_ptrIsEEEEjNS1_16block_id_wrapperIjLb1EEEEEvT_jjPNSG_10value_typeET0_PNSt15iterator_traitsISJ_E10value_typeEmT1_T2_,@function
_ZN7rocprim17ROCPRIM_400000_NS6detail30init_device_scan_by_key_kernelINS1_19lookback_scan_stateINS0_5tupleIJsbEEELb0ELb1EEEN6thrust23THRUST_200600_302600_NS6detail15normal_iteratorINS8_10device_ptrIsEEEEjNS1_16block_id_wrapperIjLb1EEEEEvT_jjPNSG_10value_typeET0_PNSt15iterator_traitsISJ_E10value_typeEmT1_T2_: ; @_ZN7rocprim17ROCPRIM_400000_NS6detail30init_device_scan_by_key_kernelINS1_19lookback_scan_stateINS0_5tupleIJsbEEELb0ELb1EEEN6thrust23THRUST_200600_302600_NS6detail15normal_iteratorINS8_10device_ptrIsEEEEjNS1_16block_id_wrapperIjLb1EEEEEvT_jjPNSG_10value_typeET0_PNSt15iterator_traitsISJ_E10value_typeEmT1_T2_
; %bb.0:
	s_load_dword s0, s[4:5], 0x4c
	s_load_dwordx8 s[8:15], s[4:5], 0x0
	s_load_dword s7, s[4:5], 0x40
	s_waitcnt lgkmcnt(0)
	s_and_b32 s16, s0, 0xffff
	s_mul_i32 s6, s6, s16
	s_cmp_eq_u64 s[12:13], 0
	v_add_u32_e32 v0, s6, v0
	s_cbranch_scc1 .LBB270_6
; %bb.1:
	s_cmp_lt_u32 s11, s10
	s_cselect_b32 s0, s11, 0
	s_mov_b32 s3, 0
	v_cmp_eq_u32_e32 vcc, s0, v0
	s_and_saveexec_b64 s[0:1], vcc
	s_cbranch_execz .LBB270_5
; %bb.2:
	s_add_i32 s2, s11, 64
	s_lshl_b64 s[2:3], s[2:3], 3
	s_add_u32 s2, s8, s2
	s_addc_u32 s3, s9, s3
	v_mov_b32_e32 v4, 0
	global_load_dwordx2 v[2:3], v4, s[2:3] glc
	s_waitcnt vmcnt(0)
	v_and_b32_e32 v5, 0xff, v3
	v_cmp_ne_u64_e32 vcc, 0, v[4:5]
	s_cbranch_vccnz .LBB270_4
.LBB270_3:                              ; =>This Inner Loop Header: Depth=1
	global_load_dwordx2 v[2:3], v4, s[2:3] glc
	s_waitcnt vmcnt(0)
	v_and_b32_e32 v5, 0xff, v3
	v_cmp_eq_u64_e32 vcc, 0, v[4:5]
	s_cbranch_vccnz .LBB270_3
.LBB270_4:
	v_mov_b32_e32 v1, 0
	global_store_short v1, v2, s[12:13]
	global_store_byte_d16_hi v1, v2, s[12:13] offset:2
.LBB270_5:
	s_or_b64 exec, exec, s[0:1]
.LBB270_6:
	v_cmp_eq_u32_e32 vcc, 0, v0
	s_and_saveexec_b64 s[0:1], vcc
	s_cbranch_execz .LBB270_8
; %bb.7:
	s_load_dwordx2 s[2:3], s[4:5], 0x38
	v_mov_b32_e32 v1, 0
	s_waitcnt lgkmcnt(0)
	global_store_dword v1, v1, s[2:3]
.LBB270_8:
	s_or_b64 exec, exec, s[0:1]
	v_cmp_gt_u32_e32 vcc, s10, v0
	s_and_saveexec_b64 s[0:1], vcc
	s_cbranch_execz .LBB270_10
; %bb.9:
	v_add_u32_e32 v2, 64, v0
	v_mov_b32_e32 v3, 0
	v_lshlrev_b64 v[4:5], 3, v[2:3]
	v_mov_b32_e32 v1, s9
	v_add_co_u32_e32 v4, vcc, s8, v4
	v_addc_co_u32_e32 v5, vcc, v1, v5, vcc
	v_mov_b32_e32 v2, v3
	global_store_dwordx2 v[4:5], v[2:3], off
.LBB270_10:
	s_or_b64 exec, exec, s[0:1]
	v_cmp_gt_u32_e32 vcc, 64, v0
	v_mov_b32_e32 v1, 0
	s_and_saveexec_b64 s[0:1], vcc
	s_cbranch_execz .LBB270_12
; %bb.11:
	v_lshlrev_b64 v[2:3], 3, v[0:1]
	v_mov_b32_e32 v4, s9
	v_add_co_u32_e32 v2, vcc, s8, v2
	v_addc_co_u32_e32 v3, vcc, v4, v3, vcc
	v_mov_b32_e32 v5, 0xff
	v_mov_b32_e32 v4, v1
	global_store_dwordx2 v[2:3], v[4:5], off
.LBB270_12:
	s_or_b64 exec, exec, s[0:1]
	s_load_dwordx2 s[0:1], s[4:5], 0x28
	s_waitcnt lgkmcnt(0)
	v_cmp_gt_u64_e32 vcc, s[0:1], v[0:1]
	s_and_saveexec_b64 s[2:3], vcc
	s_cbranch_execz .LBB270_15
; %bb.13:
	s_load_dword s10, s[4:5], 0x30
	s_load_dwordx2 s[8:9], s[4:5], 0x20
	s_mov_b32 s5, 0
	s_mov_b32 s3, s5
	s_mul_i32 s2, s7, s16
	s_waitcnt lgkmcnt(0)
	s_add_i32 s4, s10, -1
	s_lshl_b64 s[4:5], s[4:5], 1
	v_mad_u64_u32 v[2:3], s[6:7], s10, v0, 0
	s_add_u32 s4, s14, s4
	v_lshlrev_b64 v[2:3], 1, v[2:3]
	s_addc_u32 s5, s15, s5
	v_mov_b32_e32 v4, s5
	v_add_co_u32_e32 v2, vcc, s4, v2
	v_addc_co_u32_e32 v3, vcc, v4, v3, vcc
	s_mul_hi_u32 s5, s10, s2
	s_mul_i32 s4, s10, s2
	v_lshlrev_b64 v[4:5], 1, v[0:1]
	s_lshl_b64 s[4:5], s[4:5], 1
	v_mov_b32_e32 v6, s9
	v_add_co_u32_e32 v4, vcc, s8, v4
	s_lshl_b64 s[6:7], s[2:3], 1
	v_addc_co_u32_e32 v5, vcc, v6, v5, vcc
	s_mov_b64 s[8:9], 0
	v_mov_b32_e32 v6, s3
	v_mov_b32_e32 v7, s5
	;; [unrolled: 1-line block ×3, first 2 shown]
.LBB270_14:                             ; =>This Inner Loop Header: Depth=1
	global_load_ushort v9, v[2:3], off
	v_add_co_u32_e32 v0, vcc, s2, v0
	v_addc_co_u32_e32 v1, vcc, v1, v6, vcc
	v_add_co_u32_e32 v2, vcc, s4, v2
	v_addc_co_u32_e32 v3, vcc, v3, v7, vcc
	v_cmp_le_u64_e32 vcc, s[0:1], v[0:1]
	s_or_b64 s[8:9], vcc, s[8:9]
	s_waitcnt vmcnt(0)
	global_store_short v[4:5], v9, off
	v_add_co_u32_e32 v4, vcc, s6, v4
	v_addc_co_u32_e32 v5, vcc, v5, v8, vcc
	s_andn2_b64 exec, exec, s[8:9]
	s_cbranch_execnz .LBB270_14
.LBB270_15:
	s_endpgm
	.section	.rodata,"a",@progbits
	.p2align	6, 0x0
	.amdhsa_kernel _ZN7rocprim17ROCPRIM_400000_NS6detail30init_device_scan_by_key_kernelINS1_19lookback_scan_stateINS0_5tupleIJsbEEELb0ELb1EEEN6thrust23THRUST_200600_302600_NS6detail15normal_iteratorINS8_10device_ptrIsEEEEjNS1_16block_id_wrapperIjLb1EEEEEvT_jjPNSG_10value_typeET0_PNSt15iterator_traitsISJ_E10value_typeEmT1_T2_
		.amdhsa_group_segment_fixed_size 0
		.amdhsa_private_segment_fixed_size 0
		.amdhsa_kernarg_size 320
		.amdhsa_user_sgpr_count 6
		.amdhsa_user_sgpr_private_segment_buffer 1
		.amdhsa_user_sgpr_dispatch_ptr 0
		.amdhsa_user_sgpr_queue_ptr 0
		.amdhsa_user_sgpr_kernarg_segment_ptr 1
		.amdhsa_user_sgpr_dispatch_id 0
		.amdhsa_user_sgpr_flat_scratch_init 0
		.amdhsa_user_sgpr_kernarg_preload_length 0
		.amdhsa_user_sgpr_kernarg_preload_offset 0
		.amdhsa_user_sgpr_private_segment_size 0
		.amdhsa_uses_dynamic_stack 0
		.amdhsa_system_sgpr_private_segment_wavefront_offset 0
		.amdhsa_system_sgpr_workgroup_id_x 1
		.amdhsa_system_sgpr_workgroup_id_y 0
		.amdhsa_system_sgpr_workgroup_id_z 0
		.amdhsa_system_sgpr_workgroup_info 0
		.amdhsa_system_vgpr_workitem_id 0
		.amdhsa_next_free_vgpr 10
		.amdhsa_next_free_sgpr 17
		.amdhsa_accum_offset 12
		.amdhsa_reserve_vcc 1
		.amdhsa_reserve_flat_scratch 0
		.amdhsa_float_round_mode_32 0
		.amdhsa_float_round_mode_16_64 0
		.amdhsa_float_denorm_mode_32 3
		.amdhsa_float_denorm_mode_16_64 3
		.amdhsa_dx10_clamp 1
		.amdhsa_ieee_mode 1
		.amdhsa_fp16_overflow 0
		.amdhsa_tg_split 0
		.amdhsa_exception_fp_ieee_invalid_op 0
		.amdhsa_exception_fp_denorm_src 0
		.amdhsa_exception_fp_ieee_div_zero 0
		.amdhsa_exception_fp_ieee_overflow 0
		.amdhsa_exception_fp_ieee_underflow 0
		.amdhsa_exception_fp_ieee_inexact 0
		.amdhsa_exception_int_div_zero 0
	.end_amdhsa_kernel
	.section	.text._ZN7rocprim17ROCPRIM_400000_NS6detail30init_device_scan_by_key_kernelINS1_19lookback_scan_stateINS0_5tupleIJsbEEELb0ELb1EEEN6thrust23THRUST_200600_302600_NS6detail15normal_iteratorINS8_10device_ptrIsEEEEjNS1_16block_id_wrapperIjLb1EEEEEvT_jjPNSG_10value_typeET0_PNSt15iterator_traitsISJ_E10value_typeEmT1_T2_,"axG",@progbits,_ZN7rocprim17ROCPRIM_400000_NS6detail30init_device_scan_by_key_kernelINS1_19lookback_scan_stateINS0_5tupleIJsbEEELb0ELb1EEEN6thrust23THRUST_200600_302600_NS6detail15normal_iteratorINS8_10device_ptrIsEEEEjNS1_16block_id_wrapperIjLb1EEEEEvT_jjPNSG_10value_typeET0_PNSt15iterator_traitsISJ_E10value_typeEmT1_T2_,comdat
.Lfunc_end270:
	.size	_ZN7rocprim17ROCPRIM_400000_NS6detail30init_device_scan_by_key_kernelINS1_19lookback_scan_stateINS0_5tupleIJsbEEELb0ELb1EEEN6thrust23THRUST_200600_302600_NS6detail15normal_iteratorINS8_10device_ptrIsEEEEjNS1_16block_id_wrapperIjLb1EEEEEvT_jjPNSG_10value_typeET0_PNSt15iterator_traitsISJ_E10value_typeEmT1_T2_, .Lfunc_end270-_ZN7rocprim17ROCPRIM_400000_NS6detail30init_device_scan_by_key_kernelINS1_19lookback_scan_stateINS0_5tupleIJsbEEELb0ELb1EEEN6thrust23THRUST_200600_302600_NS6detail15normal_iteratorINS8_10device_ptrIsEEEEjNS1_16block_id_wrapperIjLb1EEEEEvT_jjPNSG_10value_typeET0_PNSt15iterator_traitsISJ_E10value_typeEmT1_T2_
                                        ; -- End function
	.section	.AMDGPU.csdata,"",@progbits
; Kernel info:
; codeLenInByte = 548
; NumSgprs: 21
; NumVgprs: 10
; NumAgprs: 0
; TotalNumVgprs: 10
; ScratchSize: 0
; MemoryBound: 0
; FloatMode: 240
; IeeeMode: 1
; LDSByteSize: 0 bytes/workgroup (compile time only)
; SGPRBlocks: 2
; VGPRBlocks: 1
; NumSGPRsForWavesPerEU: 21
; NumVGPRsForWavesPerEU: 10
; AccumOffset: 12
; Occupancy: 8
; WaveLimiterHint : 0
; COMPUTE_PGM_RSRC2:SCRATCH_EN: 0
; COMPUTE_PGM_RSRC2:USER_SGPR: 6
; COMPUTE_PGM_RSRC2:TRAP_HANDLER: 0
; COMPUTE_PGM_RSRC2:TGID_X_EN: 1
; COMPUTE_PGM_RSRC2:TGID_Y_EN: 0
; COMPUTE_PGM_RSRC2:TGID_Z_EN: 0
; COMPUTE_PGM_RSRC2:TIDIG_COMP_CNT: 0
; COMPUTE_PGM_RSRC3_GFX90A:ACCUM_OFFSET: 2
; COMPUTE_PGM_RSRC3_GFX90A:TG_SPLIT: 0
	.section	.text._ZN7rocprim17ROCPRIM_400000_NS6detail30init_device_scan_by_key_kernelINS1_19lookback_scan_stateINS0_5tupleIJsbEEELb0ELb1EEENS1_16block_id_wrapperIjLb1EEEEEvT_jjPNS9_10value_typeET0_,"axG",@progbits,_ZN7rocprim17ROCPRIM_400000_NS6detail30init_device_scan_by_key_kernelINS1_19lookback_scan_stateINS0_5tupleIJsbEEELb0ELb1EEENS1_16block_id_wrapperIjLb1EEEEEvT_jjPNS9_10value_typeET0_,comdat
	.protected	_ZN7rocprim17ROCPRIM_400000_NS6detail30init_device_scan_by_key_kernelINS1_19lookback_scan_stateINS0_5tupleIJsbEEELb0ELb1EEENS1_16block_id_wrapperIjLb1EEEEEvT_jjPNS9_10value_typeET0_ ; -- Begin function _ZN7rocprim17ROCPRIM_400000_NS6detail30init_device_scan_by_key_kernelINS1_19lookback_scan_stateINS0_5tupleIJsbEEELb0ELb1EEENS1_16block_id_wrapperIjLb1EEEEEvT_jjPNS9_10value_typeET0_
	.globl	_ZN7rocprim17ROCPRIM_400000_NS6detail30init_device_scan_by_key_kernelINS1_19lookback_scan_stateINS0_5tupleIJsbEEELb0ELb1EEENS1_16block_id_wrapperIjLb1EEEEEvT_jjPNS9_10value_typeET0_
	.p2align	8
	.type	_ZN7rocprim17ROCPRIM_400000_NS6detail30init_device_scan_by_key_kernelINS1_19lookback_scan_stateINS0_5tupleIJsbEEELb0ELb1EEENS1_16block_id_wrapperIjLb1EEEEEvT_jjPNS9_10value_typeET0_,@function
_ZN7rocprim17ROCPRIM_400000_NS6detail30init_device_scan_by_key_kernelINS1_19lookback_scan_stateINS0_5tupleIJsbEEELb0ELb1EEENS1_16block_id_wrapperIjLb1EEEEEvT_jjPNS9_10value_typeET0_: ; @_ZN7rocprim17ROCPRIM_400000_NS6detail30init_device_scan_by_key_kernelINS1_19lookback_scan_stateINS0_5tupleIJsbEEELb0ELb1EEENS1_16block_id_wrapperIjLb1EEEEEvT_jjPNS9_10value_typeET0_
; %bb.0:
	s_load_dword s0, s[4:5], 0x2c
	s_load_dwordx8 s[8:15], s[4:5], 0x0
	s_waitcnt lgkmcnt(0)
	s_and_b32 s0, s0, 0xffff
	s_mul_i32 s6, s6, s0
	s_cmp_eq_u64 s[12:13], 0
	v_add_u32_e32 v0, s6, v0
	s_cbranch_scc1 .LBB271_6
; %bb.1:
	s_cmp_lt_u32 s11, s10
	s_cselect_b32 s0, s11, 0
	s_mov_b32 s3, 0
	v_cmp_eq_u32_e32 vcc, s0, v0
	s_and_saveexec_b64 s[0:1], vcc
	s_cbranch_execz .LBB271_5
; %bb.2:
	s_add_i32 s2, s11, 64
	s_lshl_b64 s[2:3], s[2:3], 3
	s_add_u32 s2, s8, s2
	s_addc_u32 s3, s9, s3
	v_mov_b32_e32 v4, 0
	global_load_dwordx2 v[2:3], v4, s[2:3] glc
	s_waitcnt vmcnt(0)
	v_and_b32_e32 v5, 0xff, v3
	v_cmp_ne_u64_e32 vcc, 0, v[4:5]
	s_cbranch_vccnz .LBB271_4
.LBB271_3:                              ; =>This Inner Loop Header: Depth=1
	global_load_dwordx2 v[2:3], v4, s[2:3] glc
	s_waitcnt vmcnt(0)
	v_and_b32_e32 v5, 0xff, v3
	v_cmp_eq_u64_e32 vcc, 0, v[4:5]
	s_cbranch_vccnz .LBB271_3
.LBB271_4:
	v_mov_b32_e32 v1, 0
	global_store_short v1, v2, s[12:13]
	global_store_byte_d16_hi v1, v2, s[12:13] offset:2
.LBB271_5:
	s_or_b64 exec, exec, s[0:1]
.LBB271_6:
	v_cmp_eq_u32_e32 vcc, 0, v0
	s_and_saveexec_b64 s[0:1], vcc
	s_cbranch_execnz .LBB271_10
; %bb.7:
	s_or_b64 exec, exec, s[0:1]
	v_cmp_gt_u32_e32 vcc, s10, v0
	s_and_saveexec_b64 s[0:1], vcc
	s_cbranch_execnz .LBB271_11
.LBB271_8:
	s_or_b64 exec, exec, s[0:1]
	v_cmp_gt_u32_e32 vcc, 64, v0
	s_and_saveexec_b64 s[0:1], vcc
	s_cbranch_execnz .LBB271_12
.LBB271_9:
	s_endpgm
.LBB271_10:
	v_mov_b32_e32 v1, 0
	global_store_dword v1, v1, s[14:15]
	s_or_b64 exec, exec, s[0:1]
	v_cmp_gt_u32_e32 vcc, s10, v0
	s_and_saveexec_b64 s[0:1], vcc
	s_cbranch_execz .LBB271_8
.LBB271_11:
	v_add_u32_e32 v2, 64, v0
	v_mov_b32_e32 v3, 0
	v_lshlrev_b64 v[4:5], 3, v[2:3]
	v_mov_b32_e32 v1, s9
	v_add_co_u32_e32 v4, vcc, s8, v4
	v_addc_co_u32_e32 v5, vcc, v1, v5, vcc
	v_mov_b32_e32 v2, v3
	global_store_dwordx2 v[4:5], v[2:3], off
	s_or_b64 exec, exec, s[0:1]
	v_cmp_gt_u32_e32 vcc, 64, v0
	s_and_saveexec_b64 s[0:1], vcc
	s_cbranch_execz .LBB271_9
.LBB271_12:
	v_mov_b32_e32 v1, 0
	v_lshlrev_b64 v[2:3], 3, v[0:1]
	v_mov_b32_e32 v0, s9
	v_add_co_u32_e32 v2, vcc, s8, v2
	v_addc_co_u32_e32 v3, vcc, v0, v3, vcc
	v_mov_b32_e32 v5, 0xff
	v_mov_b32_e32 v4, v1
	global_store_dwordx2 v[2:3], v[4:5], off
	s_endpgm
	.section	.rodata,"a",@progbits
	.p2align	6, 0x0
	.amdhsa_kernel _ZN7rocprim17ROCPRIM_400000_NS6detail30init_device_scan_by_key_kernelINS1_19lookback_scan_stateINS0_5tupleIJsbEEELb0ELb1EEENS1_16block_id_wrapperIjLb1EEEEEvT_jjPNS9_10value_typeET0_
		.amdhsa_group_segment_fixed_size 0
		.amdhsa_private_segment_fixed_size 0
		.amdhsa_kernarg_size 288
		.amdhsa_user_sgpr_count 6
		.amdhsa_user_sgpr_private_segment_buffer 1
		.amdhsa_user_sgpr_dispatch_ptr 0
		.amdhsa_user_sgpr_queue_ptr 0
		.amdhsa_user_sgpr_kernarg_segment_ptr 1
		.amdhsa_user_sgpr_dispatch_id 0
		.amdhsa_user_sgpr_flat_scratch_init 0
		.amdhsa_user_sgpr_kernarg_preload_length 0
		.amdhsa_user_sgpr_kernarg_preload_offset 0
		.amdhsa_user_sgpr_private_segment_size 0
		.amdhsa_uses_dynamic_stack 0
		.amdhsa_system_sgpr_private_segment_wavefront_offset 0
		.amdhsa_system_sgpr_workgroup_id_x 1
		.amdhsa_system_sgpr_workgroup_id_y 0
		.amdhsa_system_sgpr_workgroup_id_z 0
		.amdhsa_system_sgpr_workgroup_info 0
		.amdhsa_system_vgpr_workitem_id 0
		.amdhsa_next_free_vgpr 6
		.amdhsa_next_free_sgpr 16
		.amdhsa_accum_offset 8
		.amdhsa_reserve_vcc 1
		.amdhsa_reserve_flat_scratch 0
		.amdhsa_float_round_mode_32 0
		.amdhsa_float_round_mode_16_64 0
		.amdhsa_float_denorm_mode_32 3
		.amdhsa_float_denorm_mode_16_64 3
		.amdhsa_dx10_clamp 1
		.amdhsa_ieee_mode 1
		.amdhsa_fp16_overflow 0
		.amdhsa_tg_split 0
		.amdhsa_exception_fp_ieee_invalid_op 0
		.amdhsa_exception_fp_denorm_src 0
		.amdhsa_exception_fp_ieee_div_zero 0
		.amdhsa_exception_fp_ieee_overflow 0
		.amdhsa_exception_fp_ieee_underflow 0
		.amdhsa_exception_fp_ieee_inexact 0
		.amdhsa_exception_int_div_zero 0
	.end_amdhsa_kernel
	.section	.text._ZN7rocprim17ROCPRIM_400000_NS6detail30init_device_scan_by_key_kernelINS1_19lookback_scan_stateINS0_5tupleIJsbEEELb0ELb1EEENS1_16block_id_wrapperIjLb1EEEEEvT_jjPNS9_10value_typeET0_,"axG",@progbits,_ZN7rocprim17ROCPRIM_400000_NS6detail30init_device_scan_by_key_kernelINS1_19lookback_scan_stateINS0_5tupleIJsbEEELb0ELb1EEENS1_16block_id_wrapperIjLb1EEEEEvT_jjPNS9_10value_typeET0_,comdat
.Lfunc_end271:
	.size	_ZN7rocprim17ROCPRIM_400000_NS6detail30init_device_scan_by_key_kernelINS1_19lookback_scan_stateINS0_5tupleIJsbEEELb0ELb1EEENS1_16block_id_wrapperIjLb1EEEEEvT_jjPNS9_10value_typeET0_, .Lfunc_end271-_ZN7rocprim17ROCPRIM_400000_NS6detail30init_device_scan_by_key_kernelINS1_19lookback_scan_stateINS0_5tupleIJsbEEELb0ELb1EEENS1_16block_id_wrapperIjLb1EEEEEvT_jjPNS9_10value_typeET0_
                                        ; -- End function
	.section	.AMDGPU.csdata,"",@progbits
; Kernel info:
; codeLenInByte = 348
; NumSgprs: 20
; NumVgprs: 6
; NumAgprs: 0
; TotalNumVgprs: 6
; ScratchSize: 0
; MemoryBound: 0
; FloatMode: 240
; IeeeMode: 1
; LDSByteSize: 0 bytes/workgroup (compile time only)
; SGPRBlocks: 2
; VGPRBlocks: 0
; NumSGPRsForWavesPerEU: 20
; NumVGPRsForWavesPerEU: 6
; AccumOffset: 8
; Occupancy: 8
; WaveLimiterHint : 0
; COMPUTE_PGM_RSRC2:SCRATCH_EN: 0
; COMPUTE_PGM_RSRC2:USER_SGPR: 6
; COMPUTE_PGM_RSRC2:TRAP_HANDLER: 0
; COMPUTE_PGM_RSRC2:TGID_X_EN: 1
; COMPUTE_PGM_RSRC2:TGID_Y_EN: 0
; COMPUTE_PGM_RSRC2:TGID_Z_EN: 0
; COMPUTE_PGM_RSRC2:TIDIG_COMP_CNT: 0
; COMPUTE_PGM_RSRC3_GFX90A:ACCUM_OFFSET: 1
; COMPUTE_PGM_RSRC3_GFX90A:TG_SPLIT: 0
	.section	.text._ZN7rocprim17ROCPRIM_400000_NS6detail17trampoline_kernelINS0_14default_configENS1_27scan_by_key_config_selectorIssEEZZNS1_16scan_by_key_implILNS1_25lookback_scan_determinismE0ELb0ES3_N6thrust23THRUST_200600_302600_NS6detail15normal_iteratorINS9_10device_ptrIsEEEESE_SE_sNS9_4plusIvEENS9_8equal_toIvEEsEE10hipError_tPvRmT2_T3_T4_T5_mT6_T7_P12ihipStream_tbENKUlT_T0_E_clISt17integral_constantIbLb0EESY_IbLb1EEEEDaSU_SV_EUlSU_E_NS1_11comp_targetILNS1_3genE0ELNS1_11target_archE4294967295ELNS1_3gpuE0ELNS1_3repE0EEENS1_30default_config_static_selectorELNS0_4arch9wavefront6targetE1EEEvT1_,"axG",@progbits,_ZN7rocprim17ROCPRIM_400000_NS6detail17trampoline_kernelINS0_14default_configENS1_27scan_by_key_config_selectorIssEEZZNS1_16scan_by_key_implILNS1_25lookback_scan_determinismE0ELb0ES3_N6thrust23THRUST_200600_302600_NS6detail15normal_iteratorINS9_10device_ptrIsEEEESE_SE_sNS9_4plusIvEENS9_8equal_toIvEEsEE10hipError_tPvRmT2_T3_T4_T5_mT6_T7_P12ihipStream_tbENKUlT_T0_E_clISt17integral_constantIbLb0EESY_IbLb1EEEEDaSU_SV_EUlSU_E_NS1_11comp_targetILNS1_3genE0ELNS1_11target_archE4294967295ELNS1_3gpuE0ELNS1_3repE0EEENS1_30default_config_static_selectorELNS0_4arch9wavefront6targetE1EEEvT1_,comdat
	.protected	_ZN7rocprim17ROCPRIM_400000_NS6detail17trampoline_kernelINS0_14default_configENS1_27scan_by_key_config_selectorIssEEZZNS1_16scan_by_key_implILNS1_25lookback_scan_determinismE0ELb0ES3_N6thrust23THRUST_200600_302600_NS6detail15normal_iteratorINS9_10device_ptrIsEEEESE_SE_sNS9_4plusIvEENS9_8equal_toIvEEsEE10hipError_tPvRmT2_T3_T4_T5_mT6_T7_P12ihipStream_tbENKUlT_T0_E_clISt17integral_constantIbLb0EESY_IbLb1EEEEDaSU_SV_EUlSU_E_NS1_11comp_targetILNS1_3genE0ELNS1_11target_archE4294967295ELNS1_3gpuE0ELNS1_3repE0EEENS1_30default_config_static_selectorELNS0_4arch9wavefront6targetE1EEEvT1_ ; -- Begin function _ZN7rocprim17ROCPRIM_400000_NS6detail17trampoline_kernelINS0_14default_configENS1_27scan_by_key_config_selectorIssEEZZNS1_16scan_by_key_implILNS1_25lookback_scan_determinismE0ELb0ES3_N6thrust23THRUST_200600_302600_NS6detail15normal_iteratorINS9_10device_ptrIsEEEESE_SE_sNS9_4plusIvEENS9_8equal_toIvEEsEE10hipError_tPvRmT2_T3_T4_T5_mT6_T7_P12ihipStream_tbENKUlT_T0_E_clISt17integral_constantIbLb0EESY_IbLb1EEEEDaSU_SV_EUlSU_E_NS1_11comp_targetILNS1_3genE0ELNS1_11target_archE4294967295ELNS1_3gpuE0ELNS1_3repE0EEENS1_30default_config_static_selectorELNS0_4arch9wavefront6targetE1EEEvT1_
	.globl	_ZN7rocprim17ROCPRIM_400000_NS6detail17trampoline_kernelINS0_14default_configENS1_27scan_by_key_config_selectorIssEEZZNS1_16scan_by_key_implILNS1_25lookback_scan_determinismE0ELb0ES3_N6thrust23THRUST_200600_302600_NS6detail15normal_iteratorINS9_10device_ptrIsEEEESE_SE_sNS9_4plusIvEENS9_8equal_toIvEEsEE10hipError_tPvRmT2_T3_T4_T5_mT6_T7_P12ihipStream_tbENKUlT_T0_E_clISt17integral_constantIbLb0EESY_IbLb1EEEEDaSU_SV_EUlSU_E_NS1_11comp_targetILNS1_3genE0ELNS1_11target_archE4294967295ELNS1_3gpuE0ELNS1_3repE0EEENS1_30default_config_static_selectorELNS0_4arch9wavefront6targetE1EEEvT1_
	.p2align	8
	.type	_ZN7rocprim17ROCPRIM_400000_NS6detail17trampoline_kernelINS0_14default_configENS1_27scan_by_key_config_selectorIssEEZZNS1_16scan_by_key_implILNS1_25lookback_scan_determinismE0ELb0ES3_N6thrust23THRUST_200600_302600_NS6detail15normal_iteratorINS9_10device_ptrIsEEEESE_SE_sNS9_4plusIvEENS9_8equal_toIvEEsEE10hipError_tPvRmT2_T3_T4_T5_mT6_T7_P12ihipStream_tbENKUlT_T0_E_clISt17integral_constantIbLb0EESY_IbLb1EEEEDaSU_SV_EUlSU_E_NS1_11comp_targetILNS1_3genE0ELNS1_11target_archE4294967295ELNS1_3gpuE0ELNS1_3repE0EEENS1_30default_config_static_selectorELNS0_4arch9wavefront6targetE1EEEvT1_,@function
_ZN7rocprim17ROCPRIM_400000_NS6detail17trampoline_kernelINS0_14default_configENS1_27scan_by_key_config_selectorIssEEZZNS1_16scan_by_key_implILNS1_25lookback_scan_determinismE0ELb0ES3_N6thrust23THRUST_200600_302600_NS6detail15normal_iteratorINS9_10device_ptrIsEEEESE_SE_sNS9_4plusIvEENS9_8equal_toIvEEsEE10hipError_tPvRmT2_T3_T4_T5_mT6_T7_P12ihipStream_tbENKUlT_T0_E_clISt17integral_constantIbLb0EESY_IbLb1EEEEDaSU_SV_EUlSU_E_NS1_11comp_targetILNS1_3genE0ELNS1_11target_archE4294967295ELNS1_3gpuE0ELNS1_3repE0EEENS1_30default_config_static_selectorELNS0_4arch9wavefront6targetE1EEEvT1_: ; @_ZN7rocprim17ROCPRIM_400000_NS6detail17trampoline_kernelINS0_14default_configENS1_27scan_by_key_config_selectorIssEEZZNS1_16scan_by_key_implILNS1_25lookback_scan_determinismE0ELb0ES3_N6thrust23THRUST_200600_302600_NS6detail15normal_iteratorINS9_10device_ptrIsEEEESE_SE_sNS9_4plusIvEENS9_8equal_toIvEEsEE10hipError_tPvRmT2_T3_T4_T5_mT6_T7_P12ihipStream_tbENKUlT_T0_E_clISt17integral_constantIbLb0EESY_IbLb1EEEEDaSU_SV_EUlSU_E_NS1_11comp_targetILNS1_3genE0ELNS1_11target_archE4294967295ELNS1_3gpuE0ELNS1_3repE0EEENS1_30default_config_static_selectorELNS0_4arch9wavefront6targetE1EEEvT1_
; %bb.0:
	.section	.rodata,"a",@progbits
	.p2align	6, 0x0
	.amdhsa_kernel _ZN7rocprim17ROCPRIM_400000_NS6detail17trampoline_kernelINS0_14default_configENS1_27scan_by_key_config_selectorIssEEZZNS1_16scan_by_key_implILNS1_25lookback_scan_determinismE0ELb0ES3_N6thrust23THRUST_200600_302600_NS6detail15normal_iteratorINS9_10device_ptrIsEEEESE_SE_sNS9_4plusIvEENS9_8equal_toIvEEsEE10hipError_tPvRmT2_T3_T4_T5_mT6_T7_P12ihipStream_tbENKUlT_T0_E_clISt17integral_constantIbLb0EESY_IbLb1EEEEDaSU_SV_EUlSU_E_NS1_11comp_targetILNS1_3genE0ELNS1_11target_archE4294967295ELNS1_3gpuE0ELNS1_3repE0EEENS1_30default_config_static_selectorELNS0_4arch9wavefront6targetE1EEEvT1_
		.amdhsa_group_segment_fixed_size 0
		.amdhsa_private_segment_fixed_size 0
		.amdhsa_kernarg_size 112
		.amdhsa_user_sgpr_count 6
		.amdhsa_user_sgpr_private_segment_buffer 1
		.amdhsa_user_sgpr_dispatch_ptr 0
		.amdhsa_user_sgpr_queue_ptr 0
		.amdhsa_user_sgpr_kernarg_segment_ptr 1
		.amdhsa_user_sgpr_dispatch_id 0
		.amdhsa_user_sgpr_flat_scratch_init 0
		.amdhsa_user_sgpr_kernarg_preload_length 0
		.amdhsa_user_sgpr_kernarg_preload_offset 0
		.amdhsa_user_sgpr_private_segment_size 0
		.amdhsa_uses_dynamic_stack 0
		.amdhsa_system_sgpr_private_segment_wavefront_offset 0
		.amdhsa_system_sgpr_workgroup_id_x 1
		.amdhsa_system_sgpr_workgroup_id_y 0
		.amdhsa_system_sgpr_workgroup_id_z 0
		.amdhsa_system_sgpr_workgroup_info 0
		.amdhsa_system_vgpr_workitem_id 0
		.amdhsa_next_free_vgpr 1
		.amdhsa_next_free_sgpr 0
		.amdhsa_accum_offset 4
		.amdhsa_reserve_vcc 0
		.amdhsa_reserve_flat_scratch 0
		.amdhsa_float_round_mode_32 0
		.amdhsa_float_round_mode_16_64 0
		.amdhsa_float_denorm_mode_32 3
		.amdhsa_float_denorm_mode_16_64 3
		.amdhsa_dx10_clamp 1
		.amdhsa_ieee_mode 1
		.amdhsa_fp16_overflow 0
		.amdhsa_tg_split 0
		.amdhsa_exception_fp_ieee_invalid_op 0
		.amdhsa_exception_fp_denorm_src 0
		.amdhsa_exception_fp_ieee_div_zero 0
		.amdhsa_exception_fp_ieee_overflow 0
		.amdhsa_exception_fp_ieee_underflow 0
		.amdhsa_exception_fp_ieee_inexact 0
		.amdhsa_exception_int_div_zero 0
	.end_amdhsa_kernel
	.section	.text._ZN7rocprim17ROCPRIM_400000_NS6detail17trampoline_kernelINS0_14default_configENS1_27scan_by_key_config_selectorIssEEZZNS1_16scan_by_key_implILNS1_25lookback_scan_determinismE0ELb0ES3_N6thrust23THRUST_200600_302600_NS6detail15normal_iteratorINS9_10device_ptrIsEEEESE_SE_sNS9_4plusIvEENS9_8equal_toIvEEsEE10hipError_tPvRmT2_T3_T4_T5_mT6_T7_P12ihipStream_tbENKUlT_T0_E_clISt17integral_constantIbLb0EESY_IbLb1EEEEDaSU_SV_EUlSU_E_NS1_11comp_targetILNS1_3genE0ELNS1_11target_archE4294967295ELNS1_3gpuE0ELNS1_3repE0EEENS1_30default_config_static_selectorELNS0_4arch9wavefront6targetE1EEEvT1_,"axG",@progbits,_ZN7rocprim17ROCPRIM_400000_NS6detail17trampoline_kernelINS0_14default_configENS1_27scan_by_key_config_selectorIssEEZZNS1_16scan_by_key_implILNS1_25lookback_scan_determinismE0ELb0ES3_N6thrust23THRUST_200600_302600_NS6detail15normal_iteratorINS9_10device_ptrIsEEEESE_SE_sNS9_4plusIvEENS9_8equal_toIvEEsEE10hipError_tPvRmT2_T3_T4_T5_mT6_T7_P12ihipStream_tbENKUlT_T0_E_clISt17integral_constantIbLb0EESY_IbLb1EEEEDaSU_SV_EUlSU_E_NS1_11comp_targetILNS1_3genE0ELNS1_11target_archE4294967295ELNS1_3gpuE0ELNS1_3repE0EEENS1_30default_config_static_selectorELNS0_4arch9wavefront6targetE1EEEvT1_,comdat
.Lfunc_end272:
	.size	_ZN7rocprim17ROCPRIM_400000_NS6detail17trampoline_kernelINS0_14default_configENS1_27scan_by_key_config_selectorIssEEZZNS1_16scan_by_key_implILNS1_25lookback_scan_determinismE0ELb0ES3_N6thrust23THRUST_200600_302600_NS6detail15normal_iteratorINS9_10device_ptrIsEEEESE_SE_sNS9_4plusIvEENS9_8equal_toIvEEsEE10hipError_tPvRmT2_T3_T4_T5_mT6_T7_P12ihipStream_tbENKUlT_T0_E_clISt17integral_constantIbLb0EESY_IbLb1EEEEDaSU_SV_EUlSU_E_NS1_11comp_targetILNS1_3genE0ELNS1_11target_archE4294967295ELNS1_3gpuE0ELNS1_3repE0EEENS1_30default_config_static_selectorELNS0_4arch9wavefront6targetE1EEEvT1_, .Lfunc_end272-_ZN7rocprim17ROCPRIM_400000_NS6detail17trampoline_kernelINS0_14default_configENS1_27scan_by_key_config_selectorIssEEZZNS1_16scan_by_key_implILNS1_25lookback_scan_determinismE0ELb0ES3_N6thrust23THRUST_200600_302600_NS6detail15normal_iteratorINS9_10device_ptrIsEEEESE_SE_sNS9_4plusIvEENS9_8equal_toIvEEsEE10hipError_tPvRmT2_T3_T4_T5_mT6_T7_P12ihipStream_tbENKUlT_T0_E_clISt17integral_constantIbLb0EESY_IbLb1EEEEDaSU_SV_EUlSU_E_NS1_11comp_targetILNS1_3genE0ELNS1_11target_archE4294967295ELNS1_3gpuE0ELNS1_3repE0EEENS1_30default_config_static_selectorELNS0_4arch9wavefront6targetE1EEEvT1_
                                        ; -- End function
	.section	.AMDGPU.csdata,"",@progbits
; Kernel info:
; codeLenInByte = 0
; NumSgprs: 4
; NumVgprs: 0
; NumAgprs: 0
; TotalNumVgprs: 0
; ScratchSize: 0
; MemoryBound: 0
; FloatMode: 240
; IeeeMode: 1
; LDSByteSize: 0 bytes/workgroup (compile time only)
; SGPRBlocks: 0
; VGPRBlocks: 0
; NumSGPRsForWavesPerEU: 4
; NumVGPRsForWavesPerEU: 1
; AccumOffset: 4
; Occupancy: 8
; WaveLimiterHint : 0
; COMPUTE_PGM_RSRC2:SCRATCH_EN: 0
; COMPUTE_PGM_RSRC2:USER_SGPR: 6
; COMPUTE_PGM_RSRC2:TRAP_HANDLER: 0
; COMPUTE_PGM_RSRC2:TGID_X_EN: 1
; COMPUTE_PGM_RSRC2:TGID_Y_EN: 0
; COMPUTE_PGM_RSRC2:TGID_Z_EN: 0
; COMPUTE_PGM_RSRC2:TIDIG_COMP_CNT: 0
; COMPUTE_PGM_RSRC3_GFX90A:ACCUM_OFFSET: 0
; COMPUTE_PGM_RSRC3_GFX90A:TG_SPLIT: 0
	.section	.text._ZN7rocprim17ROCPRIM_400000_NS6detail17trampoline_kernelINS0_14default_configENS1_27scan_by_key_config_selectorIssEEZZNS1_16scan_by_key_implILNS1_25lookback_scan_determinismE0ELb0ES3_N6thrust23THRUST_200600_302600_NS6detail15normal_iteratorINS9_10device_ptrIsEEEESE_SE_sNS9_4plusIvEENS9_8equal_toIvEEsEE10hipError_tPvRmT2_T3_T4_T5_mT6_T7_P12ihipStream_tbENKUlT_T0_E_clISt17integral_constantIbLb0EESY_IbLb1EEEEDaSU_SV_EUlSU_E_NS1_11comp_targetILNS1_3genE10ELNS1_11target_archE1201ELNS1_3gpuE5ELNS1_3repE0EEENS1_30default_config_static_selectorELNS0_4arch9wavefront6targetE1EEEvT1_,"axG",@progbits,_ZN7rocprim17ROCPRIM_400000_NS6detail17trampoline_kernelINS0_14default_configENS1_27scan_by_key_config_selectorIssEEZZNS1_16scan_by_key_implILNS1_25lookback_scan_determinismE0ELb0ES3_N6thrust23THRUST_200600_302600_NS6detail15normal_iteratorINS9_10device_ptrIsEEEESE_SE_sNS9_4plusIvEENS9_8equal_toIvEEsEE10hipError_tPvRmT2_T3_T4_T5_mT6_T7_P12ihipStream_tbENKUlT_T0_E_clISt17integral_constantIbLb0EESY_IbLb1EEEEDaSU_SV_EUlSU_E_NS1_11comp_targetILNS1_3genE10ELNS1_11target_archE1201ELNS1_3gpuE5ELNS1_3repE0EEENS1_30default_config_static_selectorELNS0_4arch9wavefront6targetE1EEEvT1_,comdat
	.protected	_ZN7rocprim17ROCPRIM_400000_NS6detail17trampoline_kernelINS0_14default_configENS1_27scan_by_key_config_selectorIssEEZZNS1_16scan_by_key_implILNS1_25lookback_scan_determinismE0ELb0ES3_N6thrust23THRUST_200600_302600_NS6detail15normal_iteratorINS9_10device_ptrIsEEEESE_SE_sNS9_4plusIvEENS9_8equal_toIvEEsEE10hipError_tPvRmT2_T3_T4_T5_mT6_T7_P12ihipStream_tbENKUlT_T0_E_clISt17integral_constantIbLb0EESY_IbLb1EEEEDaSU_SV_EUlSU_E_NS1_11comp_targetILNS1_3genE10ELNS1_11target_archE1201ELNS1_3gpuE5ELNS1_3repE0EEENS1_30default_config_static_selectorELNS0_4arch9wavefront6targetE1EEEvT1_ ; -- Begin function _ZN7rocprim17ROCPRIM_400000_NS6detail17trampoline_kernelINS0_14default_configENS1_27scan_by_key_config_selectorIssEEZZNS1_16scan_by_key_implILNS1_25lookback_scan_determinismE0ELb0ES3_N6thrust23THRUST_200600_302600_NS6detail15normal_iteratorINS9_10device_ptrIsEEEESE_SE_sNS9_4plusIvEENS9_8equal_toIvEEsEE10hipError_tPvRmT2_T3_T4_T5_mT6_T7_P12ihipStream_tbENKUlT_T0_E_clISt17integral_constantIbLb0EESY_IbLb1EEEEDaSU_SV_EUlSU_E_NS1_11comp_targetILNS1_3genE10ELNS1_11target_archE1201ELNS1_3gpuE5ELNS1_3repE0EEENS1_30default_config_static_selectorELNS0_4arch9wavefront6targetE1EEEvT1_
	.globl	_ZN7rocprim17ROCPRIM_400000_NS6detail17trampoline_kernelINS0_14default_configENS1_27scan_by_key_config_selectorIssEEZZNS1_16scan_by_key_implILNS1_25lookback_scan_determinismE0ELb0ES3_N6thrust23THRUST_200600_302600_NS6detail15normal_iteratorINS9_10device_ptrIsEEEESE_SE_sNS9_4plusIvEENS9_8equal_toIvEEsEE10hipError_tPvRmT2_T3_T4_T5_mT6_T7_P12ihipStream_tbENKUlT_T0_E_clISt17integral_constantIbLb0EESY_IbLb1EEEEDaSU_SV_EUlSU_E_NS1_11comp_targetILNS1_3genE10ELNS1_11target_archE1201ELNS1_3gpuE5ELNS1_3repE0EEENS1_30default_config_static_selectorELNS0_4arch9wavefront6targetE1EEEvT1_
	.p2align	8
	.type	_ZN7rocprim17ROCPRIM_400000_NS6detail17trampoline_kernelINS0_14default_configENS1_27scan_by_key_config_selectorIssEEZZNS1_16scan_by_key_implILNS1_25lookback_scan_determinismE0ELb0ES3_N6thrust23THRUST_200600_302600_NS6detail15normal_iteratorINS9_10device_ptrIsEEEESE_SE_sNS9_4plusIvEENS9_8equal_toIvEEsEE10hipError_tPvRmT2_T3_T4_T5_mT6_T7_P12ihipStream_tbENKUlT_T0_E_clISt17integral_constantIbLb0EESY_IbLb1EEEEDaSU_SV_EUlSU_E_NS1_11comp_targetILNS1_3genE10ELNS1_11target_archE1201ELNS1_3gpuE5ELNS1_3repE0EEENS1_30default_config_static_selectorELNS0_4arch9wavefront6targetE1EEEvT1_,@function
_ZN7rocprim17ROCPRIM_400000_NS6detail17trampoline_kernelINS0_14default_configENS1_27scan_by_key_config_selectorIssEEZZNS1_16scan_by_key_implILNS1_25lookback_scan_determinismE0ELb0ES3_N6thrust23THRUST_200600_302600_NS6detail15normal_iteratorINS9_10device_ptrIsEEEESE_SE_sNS9_4plusIvEENS9_8equal_toIvEEsEE10hipError_tPvRmT2_T3_T4_T5_mT6_T7_P12ihipStream_tbENKUlT_T0_E_clISt17integral_constantIbLb0EESY_IbLb1EEEEDaSU_SV_EUlSU_E_NS1_11comp_targetILNS1_3genE10ELNS1_11target_archE1201ELNS1_3gpuE5ELNS1_3repE0EEENS1_30default_config_static_selectorELNS0_4arch9wavefront6targetE1EEEvT1_: ; @_ZN7rocprim17ROCPRIM_400000_NS6detail17trampoline_kernelINS0_14default_configENS1_27scan_by_key_config_selectorIssEEZZNS1_16scan_by_key_implILNS1_25lookback_scan_determinismE0ELb0ES3_N6thrust23THRUST_200600_302600_NS6detail15normal_iteratorINS9_10device_ptrIsEEEESE_SE_sNS9_4plusIvEENS9_8equal_toIvEEsEE10hipError_tPvRmT2_T3_T4_T5_mT6_T7_P12ihipStream_tbENKUlT_T0_E_clISt17integral_constantIbLb0EESY_IbLb1EEEEDaSU_SV_EUlSU_E_NS1_11comp_targetILNS1_3genE10ELNS1_11target_archE1201ELNS1_3gpuE5ELNS1_3repE0EEENS1_30default_config_static_selectorELNS0_4arch9wavefront6targetE1EEEvT1_
; %bb.0:
	.section	.rodata,"a",@progbits
	.p2align	6, 0x0
	.amdhsa_kernel _ZN7rocprim17ROCPRIM_400000_NS6detail17trampoline_kernelINS0_14default_configENS1_27scan_by_key_config_selectorIssEEZZNS1_16scan_by_key_implILNS1_25lookback_scan_determinismE0ELb0ES3_N6thrust23THRUST_200600_302600_NS6detail15normal_iteratorINS9_10device_ptrIsEEEESE_SE_sNS9_4plusIvEENS9_8equal_toIvEEsEE10hipError_tPvRmT2_T3_T4_T5_mT6_T7_P12ihipStream_tbENKUlT_T0_E_clISt17integral_constantIbLb0EESY_IbLb1EEEEDaSU_SV_EUlSU_E_NS1_11comp_targetILNS1_3genE10ELNS1_11target_archE1201ELNS1_3gpuE5ELNS1_3repE0EEENS1_30default_config_static_selectorELNS0_4arch9wavefront6targetE1EEEvT1_
		.amdhsa_group_segment_fixed_size 0
		.amdhsa_private_segment_fixed_size 0
		.amdhsa_kernarg_size 112
		.amdhsa_user_sgpr_count 6
		.amdhsa_user_sgpr_private_segment_buffer 1
		.amdhsa_user_sgpr_dispatch_ptr 0
		.amdhsa_user_sgpr_queue_ptr 0
		.amdhsa_user_sgpr_kernarg_segment_ptr 1
		.amdhsa_user_sgpr_dispatch_id 0
		.amdhsa_user_sgpr_flat_scratch_init 0
		.amdhsa_user_sgpr_kernarg_preload_length 0
		.amdhsa_user_sgpr_kernarg_preload_offset 0
		.amdhsa_user_sgpr_private_segment_size 0
		.amdhsa_uses_dynamic_stack 0
		.amdhsa_system_sgpr_private_segment_wavefront_offset 0
		.amdhsa_system_sgpr_workgroup_id_x 1
		.amdhsa_system_sgpr_workgroup_id_y 0
		.amdhsa_system_sgpr_workgroup_id_z 0
		.amdhsa_system_sgpr_workgroup_info 0
		.amdhsa_system_vgpr_workitem_id 0
		.amdhsa_next_free_vgpr 1
		.amdhsa_next_free_sgpr 0
		.amdhsa_accum_offset 4
		.amdhsa_reserve_vcc 0
		.amdhsa_reserve_flat_scratch 0
		.amdhsa_float_round_mode_32 0
		.amdhsa_float_round_mode_16_64 0
		.amdhsa_float_denorm_mode_32 3
		.amdhsa_float_denorm_mode_16_64 3
		.amdhsa_dx10_clamp 1
		.amdhsa_ieee_mode 1
		.amdhsa_fp16_overflow 0
		.amdhsa_tg_split 0
		.amdhsa_exception_fp_ieee_invalid_op 0
		.amdhsa_exception_fp_denorm_src 0
		.amdhsa_exception_fp_ieee_div_zero 0
		.amdhsa_exception_fp_ieee_overflow 0
		.amdhsa_exception_fp_ieee_underflow 0
		.amdhsa_exception_fp_ieee_inexact 0
		.amdhsa_exception_int_div_zero 0
	.end_amdhsa_kernel
	.section	.text._ZN7rocprim17ROCPRIM_400000_NS6detail17trampoline_kernelINS0_14default_configENS1_27scan_by_key_config_selectorIssEEZZNS1_16scan_by_key_implILNS1_25lookback_scan_determinismE0ELb0ES3_N6thrust23THRUST_200600_302600_NS6detail15normal_iteratorINS9_10device_ptrIsEEEESE_SE_sNS9_4plusIvEENS9_8equal_toIvEEsEE10hipError_tPvRmT2_T3_T4_T5_mT6_T7_P12ihipStream_tbENKUlT_T0_E_clISt17integral_constantIbLb0EESY_IbLb1EEEEDaSU_SV_EUlSU_E_NS1_11comp_targetILNS1_3genE10ELNS1_11target_archE1201ELNS1_3gpuE5ELNS1_3repE0EEENS1_30default_config_static_selectorELNS0_4arch9wavefront6targetE1EEEvT1_,"axG",@progbits,_ZN7rocprim17ROCPRIM_400000_NS6detail17trampoline_kernelINS0_14default_configENS1_27scan_by_key_config_selectorIssEEZZNS1_16scan_by_key_implILNS1_25lookback_scan_determinismE0ELb0ES3_N6thrust23THRUST_200600_302600_NS6detail15normal_iteratorINS9_10device_ptrIsEEEESE_SE_sNS9_4plusIvEENS9_8equal_toIvEEsEE10hipError_tPvRmT2_T3_T4_T5_mT6_T7_P12ihipStream_tbENKUlT_T0_E_clISt17integral_constantIbLb0EESY_IbLb1EEEEDaSU_SV_EUlSU_E_NS1_11comp_targetILNS1_3genE10ELNS1_11target_archE1201ELNS1_3gpuE5ELNS1_3repE0EEENS1_30default_config_static_selectorELNS0_4arch9wavefront6targetE1EEEvT1_,comdat
.Lfunc_end273:
	.size	_ZN7rocprim17ROCPRIM_400000_NS6detail17trampoline_kernelINS0_14default_configENS1_27scan_by_key_config_selectorIssEEZZNS1_16scan_by_key_implILNS1_25lookback_scan_determinismE0ELb0ES3_N6thrust23THRUST_200600_302600_NS6detail15normal_iteratorINS9_10device_ptrIsEEEESE_SE_sNS9_4plusIvEENS9_8equal_toIvEEsEE10hipError_tPvRmT2_T3_T4_T5_mT6_T7_P12ihipStream_tbENKUlT_T0_E_clISt17integral_constantIbLb0EESY_IbLb1EEEEDaSU_SV_EUlSU_E_NS1_11comp_targetILNS1_3genE10ELNS1_11target_archE1201ELNS1_3gpuE5ELNS1_3repE0EEENS1_30default_config_static_selectorELNS0_4arch9wavefront6targetE1EEEvT1_, .Lfunc_end273-_ZN7rocprim17ROCPRIM_400000_NS6detail17trampoline_kernelINS0_14default_configENS1_27scan_by_key_config_selectorIssEEZZNS1_16scan_by_key_implILNS1_25lookback_scan_determinismE0ELb0ES3_N6thrust23THRUST_200600_302600_NS6detail15normal_iteratorINS9_10device_ptrIsEEEESE_SE_sNS9_4plusIvEENS9_8equal_toIvEEsEE10hipError_tPvRmT2_T3_T4_T5_mT6_T7_P12ihipStream_tbENKUlT_T0_E_clISt17integral_constantIbLb0EESY_IbLb1EEEEDaSU_SV_EUlSU_E_NS1_11comp_targetILNS1_3genE10ELNS1_11target_archE1201ELNS1_3gpuE5ELNS1_3repE0EEENS1_30default_config_static_selectorELNS0_4arch9wavefront6targetE1EEEvT1_
                                        ; -- End function
	.section	.AMDGPU.csdata,"",@progbits
; Kernel info:
; codeLenInByte = 0
; NumSgprs: 4
; NumVgprs: 0
; NumAgprs: 0
; TotalNumVgprs: 0
; ScratchSize: 0
; MemoryBound: 0
; FloatMode: 240
; IeeeMode: 1
; LDSByteSize: 0 bytes/workgroup (compile time only)
; SGPRBlocks: 0
; VGPRBlocks: 0
; NumSGPRsForWavesPerEU: 4
; NumVGPRsForWavesPerEU: 1
; AccumOffset: 4
; Occupancy: 8
; WaveLimiterHint : 0
; COMPUTE_PGM_RSRC2:SCRATCH_EN: 0
; COMPUTE_PGM_RSRC2:USER_SGPR: 6
; COMPUTE_PGM_RSRC2:TRAP_HANDLER: 0
; COMPUTE_PGM_RSRC2:TGID_X_EN: 1
; COMPUTE_PGM_RSRC2:TGID_Y_EN: 0
; COMPUTE_PGM_RSRC2:TGID_Z_EN: 0
; COMPUTE_PGM_RSRC2:TIDIG_COMP_CNT: 0
; COMPUTE_PGM_RSRC3_GFX90A:ACCUM_OFFSET: 0
; COMPUTE_PGM_RSRC3_GFX90A:TG_SPLIT: 0
	.section	.text._ZN7rocprim17ROCPRIM_400000_NS6detail17trampoline_kernelINS0_14default_configENS1_27scan_by_key_config_selectorIssEEZZNS1_16scan_by_key_implILNS1_25lookback_scan_determinismE0ELb0ES3_N6thrust23THRUST_200600_302600_NS6detail15normal_iteratorINS9_10device_ptrIsEEEESE_SE_sNS9_4plusIvEENS9_8equal_toIvEEsEE10hipError_tPvRmT2_T3_T4_T5_mT6_T7_P12ihipStream_tbENKUlT_T0_E_clISt17integral_constantIbLb0EESY_IbLb1EEEEDaSU_SV_EUlSU_E_NS1_11comp_targetILNS1_3genE5ELNS1_11target_archE942ELNS1_3gpuE9ELNS1_3repE0EEENS1_30default_config_static_selectorELNS0_4arch9wavefront6targetE1EEEvT1_,"axG",@progbits,_ZN7rocprim17ROCPRIM_400000_NS6detail17trampoline_kernelINS0_14default_configENS1_27scan_by_key_config_selectorIssEEZZNS1_16scan_by_key_implILNS1_25lookback_scan_determinismE0ELb0ES3_N6thrust23THRUST_200600_302600_NS6detail15normal_iteratorINS9_10device_ptrIsEEEESE_SE_sNS9_4plusIvEENS9_8equal_toIvEEsEE10hipError_tPvRmT2_T3_T4_T5_mT6_T7_P12ihipStream_tbENKUlT_T0_E_clISt17integral_constantIbLb0EESY_IbLb1EEEEDaSU_SV_EUlSU_E_NS1_11comp_targetILNS1_3genE5ELNS1_11target_archE942ELNS1_3gpuE9ELNS1_3repE0EEENS1_30default_config_static_selectorELNS0_4arch9wavefront6targetE1EEEvT1_,comdat
	.protected	_ZN7rocprim17ROCPRIM_400000_NS6detail17trampoline_kernelINS0_14default_configENS1_27scan_by_key_config_selectorIssEEZZNS1_16scan_by_key_implILNS1_25lookback_scan_determinismE0ELb0ES3_N6thrust23THRUST_200600_302600_NS6detail15normal_iteratorINS9_10device_ptrIsEEEESE_SE_sNS9_4plusIvEENS9_8equal_toIvEEsEE10hipError_tPvRmT2_T3_T4_T5_mT6_T7_P12ihipStream_tbENKUlT_T0_E_clISt17integral_constantIbLb0EESY_IbLb1EEEEDaSU_SV_EUlSU_E_NS1_11comp_targetILNS1_3genE5ELNS1_11target_archE942ELNS1_3gpuE9ELNS1_3repE0EEENS1_30default_config_static_selectorELNS0_4arch9wavefront6targetE1EEEvT1_ ; -- Begin function _ZN7rocprim17ROCPRIM_400000_NS6detail17trampoline_kernelINS0_14default_configENS1_27scan_by_key_config_selectorIssEEZZNS1_16scan_by_key_implILNS1_25lookback_scan_determinismE0ELb0ES3_N6thrust23THRUST_200600_302600_NS6detail15normal_iteratorINS9_10device_ptrIsEEEESE_SE_sNS9_4plusIvEENS9_8equal_toIvEEsEE10hipError_tPvRmT2_T3_T4_T5_mT6_T7_P12ihipStream_tbENKUlT_T0_E_clISt17integral_constantIbLb0EESY_IbLb1EEEEDaSU_SV_EUlSU_E_NS1_11comp_targetILNS1_3genE5ELNS1_11target_archE942ELNS1_3gpuE9ELNS1_3repE0EEENS1_30default_config_static_selectorELNS0_4arch9wavefront6targetE1EEEvT1_
	.globl	_ZN7rocprim17ROCPRIM_400000_NS6detail17trampoline_kernelINS0_14default_configENS1_27scan_by_key_config_selectorIssEEZZNS1_16scan_by_key_implILNS1_25lookback_scan_determinismE0ELb0ES3_N6thrust23THRUST_200600_302600_NS6detail15normal_iteratorINS9_10device_ptrIsEEEESE_SE_sNS9_4plusIvEENS9_8equal_toIvEEsEE10hipError_tPvRmT2_T3_T4_T5_mT6_T7_P12ihipStream_tbENKUlT_T0_E_clISt17integral_constantIbLb0EESY_IbLb1EEEEDaSU_SV_EUlSU_E_NS1_11comp_targetILNS1_3genE5ELNS1_11target_archE942ELNS1_3gpuE9ELNS1_3repE0EEENS1_30default_config_static_selectorELNS0_4arch9wavefront6targetE1EEEvT1_
	.p2align	8
	.type	_ZN7rocprim17ROCPRIM_400000_NS6detail17trampoline_kernelINS0_14default_configENS1_27scan_by_key_config_selectorIssEEZZNS1_16scan_by_key_implILNS1_25lookback_scan_determinismE0ELb0ES3_N6thrust23THRUST_200600_302600_NS6detail15normal_iteratorINS9_10device_ptrIsEEEESE_SE_sNS9_4plusIvEENS9_8equal_toIvEEsEE10hipError_tPvRmT2_T3_T4_T5_mT6_T7_P12ihipStream_tbENKUlT_T0_E_clISt17integral_constantIbLb0EESY_IbLb1EEEEDaSU_SV_EUlSU_E_NS1_11comp_targetILNS1_3genE5ELNS1_11target_archE942ELNS1_3gpuE9ELNS1_3repE0EEENS1_30default_config_static_selectorELNS0_4arch9wavefront6targetE1EEEvT1_,@function
_ZN7rocprim17ROCPRIM_400000_NS6detail17trampoline_kernelINS0_14default_configENS1_27scan_by_key_config_selectorIssEEZZNS1_16scan_by_key_implILNS1_25lookback_scan_determinismE0ELb0ES3_N6thrust23THRUST_200600_302600_NS6detail15normal_iteratorINS9_10device_ptrIsEEEESE_SE_sNS9_4plusIvEENS9_8equal_toIvEEsEE10hipError_tPvRmT2_T3_T4_T5_mT6_T7_P12ihipStream_tbENKUlT_T0_E_clISt17integral_constantIbLb0EESY_IbLb1EEEEDaSU_SV_EUlSU_E_NS1_11comp_targetILNS1_3genE5ELNS1_11target_archE942ELNS1_3gpuE9ELNS1_3repE0EEENS1_30default_config_static_selectorELNS0_4arch9wavefront6targetE1EEEvT1_: ; @_ZN7rocprim17ROCPRIM_400000_NS6detail17trampoline_kernelINS0_14default_configENS1_27scan_by_key_config_selectorIssEEZZNS1_16scan_by_key_implILNS1_25lookback_scan_determinismE0ELb0ES3_N6thrust23THRUST_200600_302600_NS6detail15normal_iteratorINS9_10device_ptrIsEEEESE_SE_sNS9_4plusIvEENS9_8equal_toIvEEsEE10hipError_tPvRmT2_T3_T4_T5_mT6_T7_P12ihipStream_tbENKUlT_T0_E_clISt17integral_constantIbLb0EESY_IbLb1EEEEDaSU_SV_EUlSU_E_NS1_11comp_targetILNS1_3genE5ELNS1_11target_archE942ELNS1_3gpuE9ELNS1_3repE0EEENS1_30default_config_static_selectorELNS0_4arch9wavefront6targetE1EEEvT1_
; %bb.0:
	.section	.rodata,"a",@progbits
	.p2align	6, 0x0
	.amdhsa_kernel _ZN7rocprim17ROCPRIM_400000_NS6detail17trampoline_kernelINS0_14default_configENS1_27scan_by_key_config_selectorIssEEZZNS1_16scan_by_key_implILNS1_25lookback_scan_determinismE0ELb0ES3_N6thrust23THRUST_200600_302600_NS6detail15normal_iteratorINS9_10device_ptrIsEEEESE_SE_sNS9_4plusIvEENS9_8equal_toIvEEsEE10hipError_tPvRmT2_T3_T4_T5_mT6_T7_P12ihipStream_tbENKUlT_T0_E_clISt17integral_constantIbLb0EESY_IbLb1EEEEDaSU_SV_EUlSU_E_NS1_11comp_targetILNS1_3genE5ELNS1_11target_archE942ELNS1_3gpuE9ELNS1_3repE0EEENS1_30default_config_static_selectorELNS0_4arch9wavefront6targetE1EEEvT1_
		.amdhsa_group_segment_fixed_size 0
		.amdhsa_private_segment_fixed_size 0
		.amdhsa_kernarg_size 112
		.amdhsa_user_sgpr_count 6
		.amdhsa_user_sgpr_private_segment_buffer 1
		.amdhsa_user_sgpr_dispatch_ptr 0
		.amdhsa_user_sgpr_queue_ptr 0
		.amdhsa_user_sgpr_kernarg_segment_ptr 1
		.amdhsa_user_sgpr_dispatch_id 0
		.amdhsa_user_sgpr_flat_scratch_init 0
		.amdhsa_user_sgpr_kernarg_preload_length 0
		.amdhsa_user_sgpr_kernarg_preload_offset 0
		.amdhsa_user_sgpr_private_segment_size 0
		.amdhsa_uses_dynamic_stack 0
		.amdhsa_system_sgpr_private_segment_wavefront_offset 0
		.amdhsa_system_sgpr_workgroup_id_x 1
		.amdhsa_system_sgpr_workgroup_id_y 0
		.amdhsa_system_sgpr_workgroup_id_z 0
		.amdhsa_system_sgpr_workgroup_info 0
		.amdhsa_system_vgpr_workitem_id 0
		.amdhsa_next_free_vgpr 1
		.amdhsa_next_free_sgpr 0
		.amdhsa_accum_offset 4
		.amdhsa_reserve_vcc 0
		.amdhsa_reserve_flat_scratch 0
		.amdhsa_float_round_mode_32 0
		.amdhsa_float_round_mode_16_64 0
		.amdhsa_float_denorm_mode_32 3
		.amdhsa_float_denorm_mode_16_64 3
		.amdhsa_dx10_clamp 1
		.amdhsa_ieee_mode 1
		.amdhsa_fp16_overflow 0
		.amdhsa_tg_split 0
		.amdhsa_exception_fp_ieee_invalid_op 0
		.amdhsa_exception_fp_denorm_src 0
		.amdhsa_exception_fp_ieee_div_zero 0
		.amdhsa_exception_fp_ieee_overflow 0
		.amdhsa_exception_fp_ieee_underflow 0
		.amdhsa_exception_fp_ieee_inexact 0
		.amdhsa_exception_int_div_zero 0
	.end_amdhsa_kernel
	.section	.text._ZN7rocprim17ROCPRIM_400000_NS6detail17trampoline_kernelINS0_14default_configENS1_27scan_by_key_config_selectorIssEEZZNS1_16scan_by_key_implILNS1_25lookback_scan_determinismE0ELb0ES3_N6thrust23THRUST_200600_302600_NS6detail15normal_iteratorINS9_10device_ptrIsEEEESE_SE_sNS9_4plusIvEENS9_8equal_toIvEEsEE10hipError_tPvRmT2_T3_T4_T5_mT6_T7_P12ihipStream_tbENKUlT_T0_E_clISt17integral_constantIbLb0EESY_IbLb1EEEEDaSU_SV_EUlSU_E_NS1_11comp_targetILNS1_3genE5ELNS1_11target_archE942ELNS1_3gpuE9ELNS1_3repE0EEENS1_30default_config_static_selectorELNS0_4arch9wavefront6targetE1EEEvT1_,"axG",@progbits,_ZN7rocprim17ROCPRIM_400000_NS6detail17trampoline_kernelINS0_14default_configENS1_27scan_by_key_config_selectorIssEEZZNS1_16scan_by_key_implILNS1_25lookback_scan_determinismE0ELb0ES3_N6thrust23THRUST_200600_302600_NS6detail15normal_iteratorINS9_10device_ptrIsEEEESE_SE_sNS9_4plusIvEENS9_8equal_toIvEEsEE10hipError_tPvRmT2_T3_T4_T5_mT6_T7_P12ihipStream_tbENKUlT_T0_E_clISt17integral_constantIbLb0EESY_IbLb1EEEEDaSU_SV_EUlSU_E_NS1_11comp_targetILNS1_3genE5ELNS1_11target_archE942ELNS1_3gpuE9ELNS1_3repE0EEENS1_30default_config_static_selectorELNS0_4arch9wavefront6targetE1EEEvT1_,comdat
.Lfunc_end274:
	.size	_ZN7rocprim17ROCPRIM_400000_NS6detail17trampoline_kernelINS0_14default_configENS1_27scan_by_key_config_selectorIssEEZZNS1_16scan_by_key_implILNS1_25lookback_scan_determinismE0ELb0ES3_N6thrust23THRUST_200600_302600_NS6detail15normal_iteratorINS9_10device_ptrIsEEEESE_SE_sNS9_4plusIvEENS9_8equal_toIvEEsEE10hipError_tPvRmT2_T3_T4_T5_mT6_T7_P12ihipStream_tbENKUlT_T0_E_clISt17integral_constantIbLb0EESY_IbLb1EEEEDaSU_SV_EUlSU_E_NS1_11comp_targetILNS1_3genE5ELNS1_11target_archE942ELNS1_3gpuE9ELNS1_3repE0EEENS1_30default_config_static_selectorELNS0_4arch9wavefront6targetE1EEEvT1_, .Lfunc_end274-_ZN7rocprim17ROCPRIM_400000_NS6detail17trampoline_kernelINS0_14default_configENS1_27scan_by_key_config_selectorIssEEZZNS1_16scan_by_key_implILNS1_25lookback_scan_determinismE0ELb0ES3_N6thrust23THRUST_200600_302600_NS6detail15normal_iteratorINS9_10device_ptrIsEEEESE_SE_sNS9_4plusIvEENS9_8equal_toIvEEsEE10hipError_tPvRmT2_T3_T4_T5_mT6_T7_P12ihipStream_tbENKUlT_T0_E_clISt17integral_constantIbLb0EESY_IbLb1EEEEDaSU_SV_EUlSU_E_NS1_11comp_targetILNS1_3genE5ELNS1_11target_archE942ELNS1_3gpuE9ELNS1_3repE0EEENS1_30default_config_static_selectorELNS0_4arch9wavefront6targetE1EEEvT1_
                                        ; -- End function
	.section	.AMDGPU.csdata,"",@progbits
; Kernel info:
; codeLenInByte = 0
; NumSgprs: 4
; NumVgprs: 0
; NumAgprs: 0
; TotalNumVgprs: 0
; ScratchSize: 0
; MemoryBound: 0
; FloatMode: 240
; IeeeMode: 1
; LDSByteSize: 0 bytes/workgroup (compile time only)
; SGPRBlocks: 0
; VGPRBlocks: 0
; NumSGPRsForWavesPerEU: 4
; NumVGPRsForWavesPerEU: 1
; AccumOffset: 4
; Occupancy: 8
; WaveLimiterHint : 0
; COMPUTE_PGM_RSRC2:SCRATCH_EN: 0
; COMPUTE_PGM_RSRC2:USER_SGPR: 6
; COMPUTE_PGM_RSRC2:TRAP_HANDLER: 0
; COMPUTE_PGM_RSRC2:TGID_X_EN: 1
; COMPUTE_PGM_RSRC2:TGID_Y_EN: 0
; COMPUTE_PGM_RSRC2:TGID_Z_EN: 0
; COMPUTE_PGM_RSRC2:TIDIG_COMP_CNT: 0
; COMPUTE_PGM_RSRC3_GFX90A:ACCUM_OFFSET: 0
; COMPUTE_PGM_RSRC3_GFX90A:TG_SPLIT: 0
	.section	.text._ZN7rocprim17ROCPRIM_400000_NS6detail17trampoline_kernelINS0_14default_configENS1_27scan_by_key_config_selectorIssEEZZNS1_16scan_by_key_implILNS1_25lookback_scan_determinismE0ELb0ES3_N6thrust23THRUST_200600_302600_NS6detail15normal_iteratorINS9_10device_ptrIsEEEESE_SE_sNS9_4plusIvEENS9_8equal_toIvEEsEE10hipError_tPvRmT2_T3_T4_T5_mT6_T7_P12ihipStream_tbENKUlT_T0_E_clISt17integral_constantIbLb0EESY_IbLb1EEEEDaSU_SV_EUlSU_E_NS1_11comp_targetILNS1_3genE4ELNS1_11target_archE910ELNS1_3gpuE8ELNS1_3repE0EEENS1_30default_config_static_selectorELNS0_4arch9wavefront6targetE1EEEvT1_,"axG",@progbits,_ZN7rocprim17ROCPRIM_400000_NS6detail17trampoline_kernelINS0_14default_configENS1_27scan_by_key_config_selectorIssEEZZNS1_16scan_by_key_implILNS1_25lookback_scan_determinismE0ELb0ES3_N6thrust23THRUST_200600_302600_NS6detail15normal_iteratorINS9_10device_ptrIsEEEESE_SE_sNS9_4plusIvEENS9_8equal_toIvEEsEE10hipError_tPvRmT2_T3_T4_T5_mT6_T7_P12ihipStream_tbENKUlT_T0_E_clISt17integral_constantIbLb0EESY_IbLb1EEEEDaSU_SV_EUlSU_E_NS1_11comp_targetILNS1_3genE4ELNS1_11target_archE910ELNS1_3gpuE8ELNS1_3repE0EEENS1_30default_config_static_selectorELNS0_4arch9wavefront6targetE1EEEvT1_,comdat
	.protected	_ZN7rocprim17ROCPRIM_400000_NS6detail17trampoline_kernelINS0_14default_configENS1_27scan_by_key_config_selectorIssEEZZNS1_16scan_by_key_implILNS1_25lookback_scan_determinismE0ELb0ES3_N6thrust23THRUST_200600_302600_NS6detail15normal_iteratorINS9_10device_ptrIsEEEESE_SE_sNS9_4plusIvEENS9_8equal_toIvEEsEE10hipError_tPvRmT2_T3_T4_T5_mT6_T7_P12ihipStream_tbENKUlT_T0_E_clISt17integral_constantIbLb0EESY_IbLb1EEEEDaSU_SV_EUlSU_E_NS1_11comp_targetILNS1_3genE4ELNS1_11target_archE910ELNS1_3gpuE8ELNS1_3repE0EEENS1_30default_config_static_selectorELNS0_4arch9wavefront6targetE1EEEvT1_ ; -- Begin function _ZN7rocprim17ROCPRIM_400000_NS6detail17trampoline_kernelINS0_14default_configENS1_27scan_by_key_config_selectorIssEEZZNS1_16scan_by_key_implILNS1_25lookback_scan_determinismE0ELb0ES3_N6thrust23THRUST_200600_302600_NS6detail15normal_iteratorINS9_10device_ptrIsEEEESE_SE_sNS9_4plusIvEENS9_8equal_toIvEEsEE10hipError_tPvRmT2_T3_T4_T5_mT6_T7_P12ihipStream_tbENKUlT_T0_E_clISt17integral_constantIbLb0EESY_IbLb1EEEEDaSU_SV_EUlSU_E_NS1_11comp_targetILNS1_3genE4ELNS1_11target_archE910ELNS1_3gpuE8ELNS1_3repE0EEENS1_30default_config_static_selectorELNS0_4arch9wavefront6targetE1EEEvT1_
	.globl	_ZN7rocprim17ROCPRIM_400000_NS6detail17trampoline_kernelINS0_14default_configENS1_27scan_by_key_config_selectorIssEEZZNS1_16scan_by_key_implILNS1_25lookback_scan_determinismE0ELb0ES3_N6thrust23THRUST_200600_302600_NS6detail15normal_iteratorINS9_10device_ptrIsEEEESE_SE_sNS9_4plusIvEENS9_8equal_toIvEEsEE10hipError_tPvRmT2_T3_T4_T5_mT6_T7_P12ihipStream_tbENKUlT_T0_E_clISt17integral_constantIbLb0EESY_IbLb1EEEEDaSU_SV_EUlSU_E_NS1_11comp_targetILNS1_3genE4ELNS1_11target_archE910ELNS1_3gpuE8ELNS1_3repE0EEENS1_30default_config_static_selectorELNS0_4arch9wavefront6targetE1EEEvT1_
	.p2align	8
	.type	_ZN7rocprim17ROCPRIM_400000_NS6detail17trampoline_kernelINS0_14default_configENS1_27scan_by_key_config_selectorIssEEZZNS1_16scan_by_key_implILNS1_25lookback_scan_determinismE0ELb0ES3_N6thrust23THRUST_200600_302600_NS6detail15normal_iteratorINS9_10device_ptrIsEEEESE_SE_sNS9_4plusIvEENS9_8equal_toIvEEsEE10hipError_tPvRmT2_T3_T4_T5_mT6_T7_P12ihipStream_tbENKUlT_T0_E_clISt17integral_constantIbLb0EESY_IbLb1EEEEDaSU_SV_EUlSU_E_NS1_11comp_targetILNS1_3genE4ELNS1_11target_archE910ELNS1_3gpuE8ELNS1_3repE0EEENS1_30default_config_static_selectorELNS0_4arch9wavefront6targetE1EEEvT1_,@function
_ZN7rocprim17ROCPRIM_400000_NS6detail17trampoline_kernelINS0_14default_configENS1_27scan_by_key_config_selectorIssEEZZNS1_16scan_by_key_implILNS1_25lookback_scan_determinismE0ELb0ES3_N6thrust23THRUST_200600_302600_NS6detail15normal_iteratorINS9_10device_ptrIsEEEESE_SE_sNS9_4plusIvEENS9_8equal_toIvEEsEE10hipError_tPvRmT2_T3_T4_T5_mT6_T7_P12ihipStream_tbENKUlT_T0_E_clISt17integral_constantIbLb0EESY_IbLb1EEEEDaSU_SV_EUlSU_E_NS1_11comp_targetILNS1_3genE4ELNS1_11target_archE910ELNS1_3gpuE8ELNS1_3repE0EEENS1_30default_config_static_selectorELNS0_4arch9wavefront6targetE1EEEvT1_: ; @_ZN7rocprim17ROCPRIM_400000_NS6detail17trampoline_kernelINS0_14default_configENS1_27scan_by_key_config_selectorIssEEZZNS1_16scan_by_key_implILNS1_25lookback_scan_determinismE0ELb0ES3_N6thrust23THRUST_200600_302600_NS6detail15normal_iteratorINS9_10device_ptrIsEEEESE_SE_sNS9_4plusIvEENS9_8equal_toIvEEsEE10hipError_tPvRmT2_T3_T4_T5_mT6_T7_P12ihipStream_tbENKUlT_T0_E_clISt17integral_constantIbLb0EESY_IbLb1EEEEDaSU_SV_EUlSU_E_NS1_11comp_targetILNS1_3genE4ELNS1_11target_archE910ELNS1_3gpuE8ELNS1_3repE0EEENS1_30default_config_static_selectorELNS0_4arch9wavefront6targetE1EEEvT1_
; %bb.0:
	s_load_dwordx4 s[72:75], s[4:5], 0x28
	s_load_dwordx2 s[76:77], s[4:5], 0x38
	v_cmp_ne_u32_e64 s[52:53], 0, v0
	v_cmp_eq_u32_e64 s[0:1], 0, v0
	s_and_saveexec_b64 s[2:3], s[0:1]
	s_cbranch_execz .LBB275_4
; %bb.1:
	s_mov_b64 s[8:9], exec
	v_mbcnt_lo_u32_b32 v1, s8, 0
	v_mbcnt_hi_u32_b32 v1, s9, v1
	v_cmp_eq_u32_e32 vcc, 0, v1
                                        ; implicit-def: $vgpr2
	s_and_saveexec_b64 s[6:7], vcc
	s_cbranch_execz .LBB275_3
; %bb.2:
	s_load_dwordx2 s[10:11], s[4:5], 0x68
	s_bcnt1_i32_b64 s8, s[8:9]
	v_mov_b32_e32 v2, 0
	v_mov_b32_e32 v3, s8
	s_waitcnt lgkmcnt(0)
	global_atomic_add v2, v2, v3, s[10:11] glc
.LBB275_3:
	s_or_b64 exec, exec, s[6:7]
	s_waitcnt vmcnt(0)
	v_readfirstlane_b32 s6, v2
	v_add_u32_e32 v1, s6, v1
	v_mov_b32_e32 v2, 0
	ds_write_b32 v2, v1
.LBB275_4:
	s_or_b64 exec, exec, s[2:3]
	s_load_dwordx8 s[56:63], s[4:5], 0x0
	s_load_dword s2, s[4:5], 0x40
	s_load_dwordx8 s[64:71], s[4:5], 0x48
	v_mov_b32_e32 v1, 0
	s_waitcnt lgkmcnt(0)
	s_barrier
	ds_read_b32 v1, v1
	s_lshl_b64 s[54:55], s[58:59], 1
	s_add_u32 s4, s56, s54
	s_addc_u32 s5, s57, s55
	s_add_u32 s6, s60, s54
	s_mul_i32 s3, s77, s2
	s_mul_hi_u32 s8, s76, s2
	s_addc_u32 s7, s61, s55
	s_add_i32 s8, s8, s3
	s_waitcnt lgkmcnt(0)
	v_readfirstlane_b32 s75, v1
	s_mul_i32 s9, s76, s2
	s_cmp_lg_u64 s[68:69], 0
	s_mov_b32 s3, 0
	s_mul_i32 s2, s75, 0x1600
	s_cselect_b64 s[60:61], -1, 0
	s_lshl_b64 s[56:57], s[2:3], 1
	s_add_u32 s58, s4, s56
	s_addc_u32 s59, s5, s57
	s_add_u32 s78, s6, s56
	s_addc_u32 s79, s7, s57
	;; [unrolled: 2-line block ×3, first 2 shown]
	s_add_u32 s4, s64, -1
	s_addc_u32 s5, s65, -1
	v_pk_mov_b32 v[2:3], s[4:5], s[4:5] op_sel:[0,1]
	v_cmp_ge_u64_e64 s[2:3], s[68:69], v[2:3]
	s_mov_b64 s[10:11], 0
	s_mov_b64 s[6:7], -1
	s_and_b64 vcc, exec, s[2:3]
	s_mul_i32 s33, s4, 0xffffea00
	s_barrier
	s_barrier
	s_cbranch_vccz .LBB275_121
; %bb.5:
	v_pk_mov_b32 v[2:3], s[58:59], s[58:59] op_sel:[0,1]
	flat_load_ushort v6, v[2:3]
	s_add_i32 s81, s33, s74
	v_cmp_gt_u32_e64 s[6:7], s81, v0
	s_waitcnt vmcnt(0) lgkmcnt(0)
	v_mov_b32_e32 v7, v6
	s_and_saveexec_b64 s[4:5], s[6:7]
	s_cbranch_execz .LBB275_7
; %bb.6:
	v_lshlrev_b32_e32 v1, 1, v0
	v_mov_b32_e32 v3, s59
	v_add_co_u32_e32 v2, vcc, s58, v1
	v_addc_co_u32_e32 v3, vcc, 0, v3, vcc
	flat_load_ushort v7, v[2:3]
.LBB275_7:
	s_or_b64 exec, exec, s[4:5]
	v_or_b32_e32 v1, 0x100, v0
	v_cmp_gt_u32_e64 s[8:9], s81, v1
	v_mov_b32_e32 v8, v6
	s_and_saveexec_b64 s[4:5], s[8:9]
	s_cbranch_execz .LBB275_9
; %bb.8:
	v_lshlrev_b32_e32 v1, 1, v0
	v_mov_b32_e32 v3, s59
	v_add_co_u32_e32 v2, vcc, s58, v1
	v_addc_co_u32_e32 v3, vcc, 0, v3, vcc
	flat_load_ushort v8, v[2:3] offset:512
.LBB275_9:
	s_or_b64 exec, exec, s[4:5]
	v_or_b32_e32 v1, 0x200, v0
	v_cmp_gt_u32_e64 s[10:11], s81, v1
	v_mov_b32_e32 v9, v6
	s_and_saveexec_b64 s[4:5], s[10:11]
	s_cbranch_execz .LBB275_11
; %bb.10:
	v_lshlrev_b32_e32 v1, 1, v0
	v_mov_b32_e32 v3, s59
	v_add_co_u32_e32 v2, vcc, s58, v1
	v_addc_co_u32_e32 v3, vcc, 0, v3, vcc
	flat_load_ushort v9, v[2:3] offset:1024
.LBB275_11:
	;; [unrolled: 13-line block ×7, first 2 shown]
	s_or_b64 exec, exec, s[4:5]
	v_or_b32_e32 v1, 0x800, v0
	v_cmp_gt_u32_e64 s[22:23], s81, v1
	v_lshlrev_b32_e32 v1, 1, v1
	v_mov_b32_e32 v15, v6
	s_and_saveexec_b64 s[4:5], s[22:23]
	s_cbranch_execz .LBB275_23
; %bb.22:
	v_mov_b32_e32 v3, s59
	v_add_co_u32_e32 v2, vcc, s58, v1
	v_addc_co_u32_e32 v3, vcc, 0, v3, vcc
	flat_load_ushort v15, v[2:3]
.LBB275_23:
	s_or_b64 exec, exec, s[4:5]
	v_or_b32_e32 v2, 0x900, v0
	v_cmp_gt_u32_e64 s[24:25], s81, v2
	v_lshlrev_b32_e32 v2, 1, v2
	v_mov_b32_e32 v26, v6
	s_and_saveexec_b64 s[4:5], s[24:25]
	s_cbranch_execz .LBB275_25
; %bb.24:
	v_mov_b32_e32 v3, s59
	v_add_co_u32_e32 v4, vcc, s58, v2
	v_addc_co_u32_e32 v5, vcc, 0, v3, vcc
	flat_load_ushort v26, v[4:5]
.LBB275_25:
	;; [unrolled: 13-line block ×13, first 2 shown]
	s_or_b64 exec, exec, s[4:5]
	v_or_b32_e32 v20, 0x1500, v0
	v_cmp_gt_u32_e64 s[50:51], s81, v20
	v_lshlrev_b32_e32 v25, 1, v20
	s_and_saveexec_b64 s[4:5], s[50:51]
	s_cbranch_execz .LBB275_49
; %bb.48:
	v_mov_b32_e32 v6, s59
	v_add_co_u32_e32 v38, vcc, s58, v25
	v_addc_co_u32_e32 v39, vcc, 0, v6, vcc
	flat_load_ushort v6, v[38:39]
.LBB275_49:
	s_or_b64 exec, exec, s[4:5]
	v_lshlrev_b32_e32 v20, 1, v0
	s_waitcnt vmcnt(0) lgkmcnt(0)
	ds_write_b16 v20, v7
	ds_write_b16 v20, v8 offset:512
	ds_write_b16 v20, v9 offset:1024
	ds_write_b16 v20, v10 offset:1536
	ds_write_b16 v20, v11 offset:2048
	ds_write_b16 v20, v12 offset:2560
	ds_write_b16 v20, v13 offset:3072
	ds_write_b16 v20, v14 offset:3584
	ds_write_b16 v20, v15 offset:4096
	ds_write_b16 v20, v26 offset:4608
	ds_write_b16 v20, v27 offset:5120
	ds_write_b16 v20, v28 offset:5632
	ds_write_b16 v20, v29 offset:6144
	ds_write_b16 v20, v30 offset:6656
	ds_write_b16 v20, v31 offset:7168
	ds_write_b16 v20, v32 offset:7680
	ds_write_b16 v20, v33 offset:8192
	ds_write_b16 v20, v34 offset:8704
	ds_write_b16 v20, v35 offset:9216
	ds_write_b16 v20, v36 offset:9728
	ds_write_b16 v20, v37 offset:10240
	ds_write_b16 v20, v6 offset:10752
	v_mad_u32_u24 v37, v0, 42, v20
	s_waitcnt lgkmcnt(0)
	s_barrier
	ds_read2_b32 v[14:15], v37 offset1:1
	ds_read2_b32 v[12:13], v37 offset0:2 offset1:3
	ds_read2_b32 v[10:11], v37 offset0:4 offset1:5
	;; [unrolled: 1-line block ×4, first 2 shown]
	ds_read_b32 v38, v37 offset:40
	s_cmp_eq_u64 s[68:69], 0
	s_mov_b64 s[4:5], s[58:59]
	s_cbranch_scc1 .LBB275_53
; %bb.50:
	s_andn2_b64 vcc, exec, s[60:61]
	s_cbranch_vccnz .LBB275_287
; %bb.51:
	s_lshl_b64 s[4:5], s[68:69], 1
	s_add_u32 s4, s70, s4
	s_addc_u32 s5, s71, s5
	s_add_u32 s4, s4, -2
	s_addc_u32 s5, s5, -1
	s_cbranch_execnz .LBB275_53
.LBB275_52:
	s_add_u32 s4, s58, -2
	s_addc_u32 s5, s59, -1
.LBB275_53:
	v_pk_mov_b32 v[26:27], s[4:5], s[4:5] op_sel:[0,1]
	flat_load_ushort v41, v[26:27]
	s_movk_i32 s4, 0xffd6
	s_waitcnt lgkmcnt(0)
	v_lshrrev_b32_e32 v39, 16, v38
	v_mad_i32_i24 v26, v0, s4, v37
	ds_write_b16 v26, v39 offset:11264
	s_waitcnt lgkmcnt(0)
	s_barrier
	s_and_saveexec_b64 s[4:5], s[52:53]
	s_cbranch_execz .LBB275_55
; %bb.54:
	v_mul_i32_i24_e32 v26, 0xffffffd6, v0
	v_add_u32_e32 v26, v37, v26
	s_waitcnt vmcnt(0)
	ds_read_u16 v41, v26 offset:11262
.LBB275_55:
	s_or_b64 exec, exec, s[4:5]
	s_waitcnt lgkmcnt(0)
	s_barrier
	s_waitcnt lgkmcnt(0)
                                        ; implicit-def: $vgpr26
	s_and_saveexec_b64 s[4:5], s[6:7]
	s_cbranch_execnz .LBB275_264
; %bb.56:
	s_or_b64 exec, exec, s[4:5]
                                        ; implicit-def: $vgpr27
	s_and_saveexec_b64 s[4:5], s[8:9]
	s_cbranch_execnz .LBB275_265
.LBB275_57:
	s_or_b64 exec, exec, s[4:5]
                                        ; implicit-def: $vgpr28
	s_and_saveexec_b64 s[4:5], s[10:11]
	s_cbranch_execnz .LBB275_266
.LBB275_58:
	s_or_b64 exec, exec, s[4:5]
                                        ; implicit-def: $vgpr29
	s_and_saveexec_b64 s[4:5], s[12:13]
	s_cbranch_execnz .LBB275_267
.LBB275_59:
	s_or_b64 exec, exec, s[4:5]
                                        ; implicit-def: $vgpr30
	s_and_saveexec_b64 s[4:5], s[14:15]
	s_cbranch_execnz .LBB275_268
.LBB275_60:
	s_or_b64 exec, exec, s[4:5]
                                        ; implicit-def: $vgpr31
	s_and_saveexec_b64 s[4:5], s[16:17]
	s_cbranch_execnz .LBB275_269
.LBB275_61:
	s_or_b64 exec, exec, s[4:5]
                                        ; implicit-def: $vgpr32
	s_and_saveexec_b64 s[4:5], s[18:19]
	s_cbranch_execnz .LBB275_270
.LBB275_62:
	s_or_b64 exec, exec, s[4:5]
                                        ; implicit-def: $vgpr33
	s_and_saveexec_b64 s[4:5], s[20:21]
	s_cbranch_execnz .LBB275_271
.LBB275_63:
	s_or_b64 exec, exec, s[4:5]
                                        ; implicit-def: $vgpr34
	s_and_saveexec_b64 s[4:5], s[22:23]
	s_cbranch_execnz .LBB275_272
.LBB275_64:
	s_or_b64 exec, exec, s[4:5]
                                        ; implicit-def: $vgpr1
	s_and_saveexec_b64 s[4:5], s[24:25]
	s_cbranch_execnz .LBB275_273
.LBB275_65:
	s_or_b64 exec, exec, s[4:5]
                                        ; implicit-def: $vgpr2
	s_and_saveexec_b64 s[4:5], s[26:27]
	s_cbranch_execnz .LBB275_274
.LBB275_66:
	s_or_b64 exec, exec, s[4:5]
                                        ; implicit-def: $vgpr3
	s_and_saveexec_b64 s[4:5], s[28:29]
	s_cbranch_execnz .LBB275_275
.LBB275_67:
	s_or_b64 exec, exec, s[4:5]
                                        ; implicit-def: $vgpr4
	s_and_saveexec_b64 s[4:5], s[30:31]
	s_cbranch_execnz .LBB275_276
.LBB275_68:
	s_or_b64 exec, exec, s[4:5]
                                        ; implicit-def: $vgpr5
	s_and_saveexec_b64 s[4:5], s[34:35]
	s_cbranch_execnz .LBB275_277
.LBB275_69:
	s_or_b64 exec, exec, s[4:5]
                                        ; implicit-def: $vgpr16
	s_and_saveexec_b64 s[4:5], s[36:37]
	s_cbranch_execnz .LBB275_278
.LBB275_70:
	s_or_b64 exec, exec, s[4:5]
                                        ; implicit-def: $vgpr17
	s_and_saveexec_b64 s[4:5], s[38:39]
	s_cbranch_execnz .LBB275_279
.LBB275_71:
	s_or_b64 exec, exec, s[4:5]
                                        ; implicit-def: $vgpr18
	s_and_saveexec_b64 s[4:5], s[40:41]
	s_cbranch_execnz .LBB275_280
.LBB275_72:
	s_or_b64 exec, exec, s[4:5]
                                        ; implicit-def: $vgpr19
	s_and_saveexec_b64 s[4:5], s[42:43]
	s_cbranch_execnz .LBB275_281
.LBB275_73:
	s_or_b64 exec, exec, s[4:5]
                                        ; implicit-def: $vgpr21
	s_and_saveexec_b64 s[4:5], s[44:45]
	s_cbranch_execnz .LBB275_282
.LBB275_74:
	s_or_b64 exec, exec, s[4:5]
                                        ; implicit-def: $vgpr22
	s_and_saveexec_b64 s[4:5], s[46:47]
	s_cbranch_execnz .LBB275_283
.LBB275_75:
	s_or_b64 exec, exec, s[4:5]
                                        ; implicit-def: $vgpr23
	s_and_saveexec_b64 s[4:5], s[48:49]
	s_cbranch_execnz .LBB275_284
.LBB275_76:
	s_or_b64 exec, exec, s[4:5]
                                        ; implicit-def: $vgpr24
	s_and_saveexec_b64 s[4:5], s[50:51]
	s_cbranch_execz .LBB275_78
.LBB275_77:
	v_mov_b32_e32 v35, s79
	v_add_co_u32_e32 v24, vcc, s78, v25
	v_addc_co_u32_e32 v25, vcc, 0, v35, vcc
	flat_load_ushort v24, v[24:25]
.LBB275_78:
	s_or_b64 exec, exec, s[4:5]
	v_mul_u32_u24_e32 v40, 22, v0
	s_waitcnt vmcnt(0) lgkmcnt(0)
	ds_write_b16 v20, v26
	ds_write_b16 v20, v27 offset:512
	ds_write_b16 v20, v28 offset:1024
	;; [unrolled: 1-line block ×21, first 2 shown]
	v_cmp_gt_u32_e32 vcc, s81, v40
	s_mov_b64 s[6:7], 0
	s_mov_b32 s80, 0
	v_mov_b32_e32 v1, 0
	s_mov_b64 s[10:11], 0
	v_mov_b32_e32 v16, 0
	v_mov_b32_e32 v17, 0
	;; [unrolled: 1-line block ×20, first 2 shown]
	s_waitcnt lgkmcnt(0)
	s_barrier
	s_waitcnt lgkmcnt(0)
                                        ; implicit-def: $sgpr4_sgpr5
                                        ; implicit-def: $vgpr36
	s_and_saveexec_b64 s[8:9], vcc
	s_cbranch_execz .LBB275_120
; %bb.79:
	ds_read_u16 v1, v37
	v_cmp_ne_u16_e32 vcc, v41, v14
	v_or_b32_e32 v2, 1, v40
	v_cndmask_b32_e64 v3, 0, 1, vcc
	v_cmp_gt_u32_e32 vcc, s81, v2
	s_waitcnt lgkmcnt(0)
	v_lshl_or_b32 v1, v3, 16, v1
	s_mov_b64 s[12:13], 0
	v_mov_b32_e32 v16, 0
	v_mov_b32_e32 v17, 0
	;; [unrolled: 1-line block ×20, first 2 shown]
                                        ; implicit-def: $sgpr4_sgpr5
                                        ; implicit-def: $vgpr36
	s_and_saveexec_b64 s[10:11], vcc
	s_cbranch_execz .LBB275_119
; %bb.80:
	ds_read_b128 v[2:5], v37 offset:2
	v_add_u32_e32 v16, 2, v40
	v_cmp_ne_u16_sdwa s[4:5], v14, v14 src0_sel:DWORD src1_sel:WORD_1
	v_cndmask_b32_e64 v17, 0, 1, s[4:5]
	v_cmp_gt_u32_e32 vcc, s81, v16
	s_waitcnt lgkmcnt(0)
	v_and_b32_e32 v16, 0xffff, v2
	v_lshl_or_b32 v16, v17, 16, v16
	s_mov_b64 s[14:15], 0
	v_mov_b32_e32 v17, 0
	v_mov_b32_e32 v18, 0
	v_mov_b32_e32 v19, 0
	v_mov_b32_e32 v20, 0
	v_mov_b32_e32 v21, 0
	v_mov_b32_e32 v22, 0
	v_mov_b32_e32 v23, 0
	v_mov_b32_e32 v24, 0
	v_mov_b32_e32 v25, 0
	v_mov_b32_e32 v26, 0
	v_mov_b32_e32 v27, 0
	v_mov_b32_e32 v28, 0
	v_mov_b32_e32 v29, 0
	v_mov_b32_e32 v30, 0
	v_mov_b32_e32 v31, 0
	v_mov_b32_e32 v32, 0
	v_mov_b32_e32 v33, 0
	v_mov_b32_e32 v34, 0
	v_mov_b32_e32 v35, 0
                                        ; implicit-def: $sgpr4_sgpr5
                                        ; implicit-def: $vgpr36
	s_and_saveexec_b64 s[12:13], vcc
	s_cbranch_execz .LBB275_118
; %bb.81:
	v_cmp_ne_u16_sdwa s[4:5], v14, v15 src0_sel:WORD_1 src1_sel:DWORD
	v_add_u32_e32 v18, 3, v40
	v_cndmask_b32_e64 v14, 0, 1, s[4:5]
	v_alignbit_b32 v17, v14, v2, 16
	v_cmp_gt_u32_e32 vcc, s81, v18
	s_mov_b64 s[16:17], 0
	v_mov_b32_e32 v18, 0
	v_mov_b32_e32 v19, 0
	;; [unrolled: 1-line block ×18, first 2 shown]
                                        ; implicit-def: $sgpr4_sgpr5
                                        ; implicit-def: $vgpr36
	s_and_saveexec_b64 s[14:15], vcc
	s_cbranch_execz .LBB275_117
; %bb.82:
	v_cmp_ne_u16_sdwa s[4:5], v15, v15 src0_sel:DWORD src1_sel:WORD_1
	v_and_b32_e32 v2, 0xffff, v3
	v_add_u32_e32 v14, 4, v40
	v_cndmask_b32_e64 v18, 0, 1, s[4:5]
	v_lshl_or_b32 v18, v18, 16, v2
	v_cmp_gt_u32_e32 vcc, s81, v14
	s_mov_b64 s[18:19], 0
	v_mov_b32_e32 v19, 0
	v_mov_b32_e32 v20, 0
	;; [unrolled: 1-line block ×17, first 2 shown]
                                        ; implicit-def: $sgpr4_sgpr5
                                        ; implicit-def: $vgpr36
	s_and_saveexec_b64 s[16:17], vcc
	s_cbranch_execz .LBB275_116
; %bb.83:
	v_cmp_ne_u16_sdwa s[4:5], v15, v12 src0_sel:WORD_1 src1_sel:DWORD
	v_add_u32_e32 v2, 5, v40
	v_cndmask_b32_e64 v14, 0, 1, s[4:5]
	v_alignbit_b32 v19, v14, v3, 16
	v_cmp_gt_u32_e32 vcc, s81, v2
	s_mov_b64 s[20:21], 0
	v_mov_b32_e32 v20, 0
	v_mov_b32_e32 v21, 0
	;; [unrolled: 1-line block ×16, first 2 shown]
                                        ; implicit-def: $sgpr4_sgpr5
                                        ; implicit-def: $vgpr36
	s_and_saveexec_b64 s[18:19], vcc
	s_cbranch_execz .LBB275_115
; %bb.84:
	v_cmp_ne_u16_sdwa s[4:5], v12, v12 src0_sel:DWORD src1_sel:WORD_1
	v_and_b32_e32 v2, 0xffff, v4
	v_add_u32_e32 v3, 6, v40
	v_cndmask_b32_e64 v14, 0, 1, s[4:5]
	v_lshl_or_b32 v20, v14, 16, v2
	v_cmp_gt_u32_e32 vcc, s81, v3
	s_mov_b64 s[22:23], 0
	v_mov_b32_e32 v21, 0
	v_mov_b32_e32 v22, 0
	;; [unrolled: 1-line block ×15, first 2 shown]
                                        ; implicit-def: $sgpr4_sgpr5
                                        ; implicit-def: $vgpr36
	s_and_saveexec_b64 s[20:21], vcc
	s_cbranch_execz .LBB275_114
; %bb.85:
	v_cmp_ne_u16_sdwa s[4:5], v12, v13 src0_sel:WORD_1 src1_sel:DWORD
	v_add_u32_e32 v2, 7, v40
	v_cndmask_b32_e64 v3, 0, 1, s[4:5]
	v_alignbit_b32 v21, v3, v4, 16
	v_cmp_gt_u32_e32 vcc, s81, v2
	s_mov_b64 s[24:25], 0
	v_mov_b32_e32 v22, 0
	v_mov_b32_e32 v23, 0
	;; [unrolled: 1-line block ×14, first 2 shown]
                                        ; implicit-def: $sgpr4_sgpr5
                                        ; implicit-def: $vgpr36
	s_and_saveexec_b64 s[22:23], vcc
	s_cbranch_execz .LBB275_113
; %bb.86:
	v_cmp_ne_u16_sdwa s[4:5], v13, v13 src0_sel:DWORD src1_sel:WORD_1
	v_and_b32_e32 v2, 0xffff, v5
	v_add_u32_e32 v3, 8, v40
	v_cndmask_b32_e64 v4, 0, 1, s[4:5]
	v_lshl_or_b32 v22, v4, 16, v2
	v_cmp_gt_u32_e32 vcc, s81, v3
	s_mov_b64 s[26:27], 0
	v_mov_b32_e32 v23, 0
	v_mov_b32_e32 v24, 0
	;; [unrolled: 1-line block ×13, first 2 shown]
                                        ; implicit-def: $sgpr4_sgpr5
                                        ; implicit-def: $vgpr36
	s_and_saveexec_b64 s[24:25], vcc
	s_cbranch_execz .LBB275_112
; %bb.87:
	v_cmp_ne_u16_sdwa s[4:5], v13, v10 src0_sel:WORD_1 src1_sel:DWORD
	v_add_u32_e32 v2, 9, v40
	v_cndmask_b32_e64 v3, 0, 1, s[4:5]
	v_alignbit_b32 v23, v3, v5, 16
	v_cmp_gt_u32_e32 vcc, s81, v2
	s_mov_b64 s[28:29], 0
	v_mov_b32_e32 v24, 0
	v_mov_b32_e32 v25, 0
	;; [unrolled: 1-line block ×12, first 2 shown]
                                        ; implicit-def: $sgpr4_sgpr5
                                        ; implicit-def: $vgpr36
	s_and_saveexec_b64 s[26:27], vcc
	s_cbranch_execz .LBB275_111
; %bb.88:
	ds_read_b128 v[2:5], v37 offset:18
	v_add_u32_e32 v12, 10, v40
	v_cmp_ne_u16_sdwa s[4:5], v10, v10 src0_sel:DWORD src1_sel:WORD_1
	v_cndmask_b32_e64 v13, 0, 1, s[4:5]
	v_cmp_gt_u32_e32 vcc, s81, v12
	s_waitcnt lgkmcnt(0)
	v_and_b32_e32 v12, 0xffff, v2
	v_lshl_or_b32 v24, v13, 16, v12
	s_mov_b64 s[30:31], 0
	v_mov_b32_e32 v25, 0
	v_mov_b32_e32 v26, 0
	;; [unrolled: 1-line block ×11, first 2 shown]
                                        ; implicit-def: $sgpr4_sgpr5
                                        ; implicit-def: $vgpr36
	s_and_saveexec_b64 s[28:29], vcc
	s_cbranch_execz .LBB275_110
; %bb.89:
	v_cmp_ne_u16_sdwa s[4:5], v10, v11 src0_sel:WORD_1 src1_sel:DWORD
	v_add_u32_e32 v12, 11, v40
	v_cndmask_b32_e64 v10, 0, 1, s[4:5]
	v_alignbit_b32 v25, v10, v2, 16
	v_cmp_gt_u32_e32 vcc, s81, v12
	s_mov_b64 s[34:35], 0
	v_mov_b32_e32 v26, 0
	v_mov_b32_e32 v27, 0
	;; [unrolled: 1-line block ×10, first 2 shown]
                                        ; implicit-def: $sgpr4_sgpr5
                                        ; implicit-def: $vgpr36
	s_and_saveexec_b64 s[30:31], vcc
	s_cbranch_execz .LBB275_109
; %bb.90:
	v_cmp_ne_u16_sdwa s[4:5], v11, v11 src0_sel:DWORD src1_sel:WORD_1
	v_and_b32_e32 v2, 0xffff, v3
	v_add_u32_e32 v10, 12, v40
	v_cndmask_b32_e64 v12, 0, 1, s[4:5]
	v_lshl_or_b32 v26, v12, 16, v2
	v_cmp_gt_u32_e32 vcc, s81, v10
	s_mov_b64 s[36:37], 0
	v_mov_b32_e32 v27, 0
	v_mov_b32_e32 v28, 0
	;; [unrolled: 1-line block ×9, first 2 shown]
                                        ; implicit-def: $sgpr4_sgpr5
                                        ; implicit-def: $vgpr36
	s_and_saveexec_b64 s[34:35], vcc
	s_cbranch_execz .LBB275_108
; %bb.91:
	v_cmp_ne_u16_sdwa s[4:5], v11, v8 src0_sel:WORD_1 src1_sel:DWORD
	v_add_u32_e32 v2, 13, v40
	v_cndmask_b32_e64 v10, 0, 1, s[4:5]
	v_alignbit_b32 v27, v10, v3, 16
	v_cmp_gt_u32_e32 vcc, s81, v2
	s_mov_b64 s[38:39], 0
	v_mov_b32_e32 v28, 0
	v_mov_b32_e32 v29, 0
	;; [unrolled: 1-line block ×8, first 2 shown]
                                        ; implicit-def: $sgpr4_sgpr5
                                        ; implicit-def: $vgpr36
	s_and_saveexec_b64 s[36:37], vcc
	s_cbranch_execz .LBB275_107
; %bb.92:
	v_cmp_ne_u16_sdwa s[4:5], v8, v8 src0_sel:DWORD src1_sel:WORD_1
	v_and_b32_e32 v2, 0xffff, v4
	v_add_u32_e32 v3, 14, v40
	v_cndmask_b32_e64 v10, 0, 1, s[4:5]
	v_lshl_or_b32 v28, v10, 16, v2
	v_cmp_gt_u32_e32 vcc, s81, v3
	s_mov_b64 s[40:41], 0
	v_mov_b32_e32 v29, 0
	v_mov_b32_e32 v30, 0
	;; [unrolled: 1-line block ×7, first 2 shown]
                                        ; implicit-def: $sgpr4_sgpr5
                                        ; implicit-def: $vgpr36
	s_and_saveexec_b64 s[38:39], vcc
	s_cbranch_execz .LBB275_106
; %bb.93:
	v_cmp_ne_u16_sdwa s[4:5], v8, v9 src0_sel:WORD_1 src1_sel:DWORD
	v_add_u32_e32 v2, 15, v40
	v_cndmask_b32_e64 v3, 0, 1, s[4:5]
	v_alignbit_b32 v29, v3, v4, 16
	v_cmp_gt_u32_e32 vcc, s81, v2
	s_mov_b64 s[42:43], 0
	v_mov_b32_e32 v30, 0
	v_mov_b32_e32 v31, 0
	;; [unrolled: 1-line block ×6, first 2 shown]
                                        ; implicit-def: $sgpr4_sgpr5
                                        ; implicit-def: $vgpr36
	s_and_saveexec_b64 s[40:41], vcc
	s_cbranch_execz .LBB275_105
; %bb.94:
	v_cmp_ne_u16_sdwa s[4:5], v9, v9 src0_sel:DWORD src1_sel:WORD_1
	v_and_b32_e32 v2, 0xffff, v5
	v_add_u32_e32 v3, 16, v40
	v_cndmask_b32_e64 v4, 0, 1, s[4:5]
	v_lshl_or_b32 v30, v4, 16, v2
	v_cmp_gt_u32_e32 vcc, s81, v3
	s_mov_b64 s[44:45], 0
	v_mov_b32_e32 v31, 0
	v_mov_b32_e32 v32, 0
	;; [unrolled: 1-line block ×5, first 2 shown]
                                        ; implicit-def: $sgpr4_sgpr5
                                        ; implicit-def: $vgpr36
	s_and_saveexec_b64 s[42:43], vcc
	s_cbranch_execz .LBB275_104
; %bb.95:
	v_cmp_ne_u16_sdwa s[4:5], v9, v6 src0_sel:WORD_1 src1_sel:DWORD
	v_add_u32_e32 v2, 17, v40
	v_cndmask_b32_e64 v3, 0, 1, s[4:5]
	v_alignbit_b32 v31, v3, v5, 16
	v_cmp_gt_u32_e32 vcc, s81, v2
	s_mov_b64 s[46:47], 0
	v_mov_b32_e32 v32, 0
	v_mov_b32_e32 v33, 0
	;; [unrolled: 1-line block ×4, first 2 shown]
                                        ; implicit-def: $sgpr4_sgpr5
                                        ; implicit-def: $vgpr36
	s_and_saveexec_b64 s[44:45], vcc
	s_cbranch_execz .LBB275_103
; %bb.96:
	ds_read_b64 v[2:3], v37 offset:34
	v_add_u32_e32 v4, 18, v40
	v_cmp_ne_u16_sdwa s[4:5], v6, v6 src0_sel:DWORD src1_sel:WORD_1
	v_cndmask_b32_e64 v5, 0, 1, s[4:5]
	v_cmp_gt_u32_e32 vcc, s81, v4
	s_waitcnt lgkmcnt(0)
	v_and_b32_e32 v4, 0xffff, v2
	v_lshl_or_b32 v32, v5, 16, v4
	s_mov_b64 s[48:49], 0
	v_mov_b32_e32 v33, 0
	v_mov_b32_e32 v34, 0
	;; [unrolled: 1-line block ×3, first 2 shown]
                                        ; implicit-def: $sgpr4_sgpr5
                                        ; implicit-def: $vgpr36
	s_and_saveexec_b64 s[46:47], vcc
	s_cbranch_execz .LBB275_102
; %bb.97:
	v_cmp_ne_u16_sdwa s[4:5], v6, v7 src0_sel:WORD_1 src1_sel:DWORD
	v_add_u32_e32 v4, 19, v40
	v_cndmask_b32_e64 v5, 0, 1, s[4:5]
	v_alignbit_b32 v33, v5, v2, 16
	v_cmp_gt_u32_e32 vcc, s81, v4
	s_mov_b64 s[50:51], 0
	v_mov_b32_e32 v34, 0
	v_mov_b32_e32 v35, 0
                                        ; implicit-def: $sgpr64_sgpr65
                                        ; implicit-def: $vgpr36
	s_and_saveexec_b64 s[48:49], vcc
	s_cbranch_execz .LBB275_101
; %bb.98:
	v_cmp_ne_u16_sdwa s[4:5], v7, v7 src0_sel:DWORD src1_sel:WORD_1
	v_and_b32_e32 v2, 0xffff, v3
	v_add_u32_e32 v4, 20, v40
	v_cndmask_b32_e64 v5, 0, 1, s[4:5]
	v_lshl_or_b32 v34, v5, 16, v2
	v_cmp_gt_u32_e32 vcc, s81, v4
	s_mov_b64 s[4:5], 0
	v_mov_b32_e32 v35, 0
                                        ; implicit-def: $sgpr50_sgpr51
                                        ; implicit-def: $vgpr36
	s_and_saveexec_b64 s[64:65], vcc
	s_xor_b64 s[64:65], exec, s[64:65]
	s_cbranch_execz .LBB275_100
; %bb.99:
	ds_read_u16 v36, v37 offset:42
	v_add_u32_e32 v2, 21, v40
	v_cmp_ne_u16_sdwa s[4:5], v7, v38 src0_sel:WORD_1 src1_sel:DWORD
	v_cmp_ne_u16_e32 vcc, v38, v39
	v_cndmask_b32_e64 v4, 0, 1, s[4:5]
	v_cmp_gt_u32_e64 s[4:5], s81, v2
	v_alignbit_b32 v35, v4, v3, 16
	s_and_b64 s[50:51], vcc, exec
	s_and_b64 s[4:5], s[4:5], exec
.LBB275_100:
	s_or_b64 exec, exec, s[64:65]
	s_and_b64 s[64:65], s[50:51], exec
	s_and_b64 s[50:51], s[4:5], exec
.LBB275_101:
	s_or_b64 exec, exec, s[48:49]
	s_and_b64 s[4:5], s[64:65], exec
	s_and_b64 s[48:49], s[50:51], exec
.LBB275_102:
	s_or_b64 exec, exec, s[46:47]
	s_and_b64 s[4:5], s[4:5], exec
	s_and_b64 s[46:47], s[48:49], exec
.LBB275_103:
	s_or_b64 exec, exec, s[44:45]
	s_and_b64 s[4:5], s[4:5], exec
	s_and_b64 s[44:45], s[46:47], exec
.LBB275_104:
	s_or_b64 exec, exec, s[42:43]
	s_and_b64 s[4:5], s[4:5], exec
	s_and_b64 s[42:43], s[44:45], exec
.LBB275_105:
	s_or_b64 exec, exec, s[40:41]
	s_and_b64 s[4:5], s[4:5], exec
	s_and_b64 s[40:41], s[42:43], exec
.LBB275_106:
	s_or_b64 exec, exec, s[38:39]
	s_and_b64 s[4:5], s[4:5], exec
	s_and_b64 s[38:39], s[40:41], exec
.LBB275_107:
	s_or_b64 exec, exec, s[36:37]
	s_and_b64 s[4:5], s[4:5], exec
	s_and_b64 s[36:37], s[38:39], exec
.LBB275_108:
	s_or_b64 exec, exec, s[34:35]
	s_and_b64 s[4:5], s[4:5], exec
	s_and_b64 s[34:35], s[36:37], exec
.LBB275_109:
	s_or_b64 exec, exec, s[30:31]
	s_and_b64 s[4:5], s[4:5], exec
	s_and_b64 s[30:31], s[34:35], exec
.LBB275_110:
	s_or_b64 exec, exec, s[28:29]
	s_and_b64 s[4:5], s[4:5], exec
	s_and_b64 s[28:29], s[30:31], exec
.LBB275_111:
	s_or_b64 exec, exec, s[26:27]
	s_and_b64 s[4:5], s[4:5], exec
	s_and_b64 s[26:27], s[28:29], exec
.LBB275_112:
	s_or_b64 exec, exec, s[24:25]
	s_and_b64 s[4:5], s[4:5], exec
	s_and_b64 s[24:25], s[26:27], exec
.LBB275_113:
	s_or_b64 exec, exec, s[22:23]
	s_and_b64 s[4:5], s[4:5], exec
	s_and_b64 s[22:23], s[24:25], exec
.LBB275_114:
	s_or_b64 exec, exec, s[20:21]
	s_and_b64 s[4:5], s[4:5], exec
	s_and_b64 s[20:21], s[22:23], exec
.LBB275_115:
	s_or_b64 exec, exec, s[18:19]
	s_and_b64 s[4:5], s[4:5], exec
	s_and_b64 s[18:19], s[20:21], exec
.LBB275_116:
	s_or_b64 exec, exec, s[16:17]
	s_and_b64 s[4:5], s[4:5], exec
	s_and_b64 s[16:17], s[18:19], exec
.LBB275_117:
	s_or_b64 exec, exec, s[14:15]
	s_and_b64 s[4:5], s[4:5], exec
	s_and_b64 s[14:15], s[16:17], exec
.LBB275_118:
	s_or_b64 exec, exec, s[12:13]
	s_and_b64 s[4:5], s[4:5], exec
	s_and_b64 s[12:13], s[14:15], exec
.LBB275_119:
	s_or_b64 exec, exec, s[10:11]
	s_and_b64 s[4:5], s[4:5], exec
	s_and_b64 s[10:11], s[12:13], exec
.LBB275_120:
	s_or_b64 exec, exec, s[8:9]
	s_and_b64 vcc, exec, s[6:7]
	v_lshlrev_b32_e32 v12, 1, v0
	s_cbranch_vccnz .LBB275_122
	s_branch .LBB275_130
.LBB275_121:
                                        ; implicit-def: $sgpr4_sgpr5
                                        ; implicit-def: $vgpr36
                                        ; implicit-def: $vgpr1
                                        ; implicit-def: $vgpr16
                                        ; implicit-def: $vgpr17
                                        ; implicit-def: $vgpr18
                                        ; implicit-def: $vgpr19
                                        ; implicit-def: $vgpr20
                                        ; implicit-def: $vgpr21
                                        ; implicit-def: $vgpr22
                                        ; implicit-def: $vgpr23
                                        ; implicit-def: $vgpr24
                                        ; implicit-def: $vgpr25
                                        ; implicit-def: $vgpr26
                                        ; implicit-def: $vgpr27
                                        ; implicit-def: $vgpr28
                                        ; implicit-def: $vgpr29
                                        ; implicit-def: $vgpr30
                                        ; implicit-def: $vgpr31
                                        ; implicit-def: $vgpr32
                                        ; implicit-def: $vgpr33
                                        ; implicit-def: $vgpr34
                                        ; implicit-def: $vgpr35
                                        ; implicit-def: $sgpr80
	s_and_b64 vcc, exec, s[6:7]
	v_lshlrev_b32_e32 v12, 1, v0
	s_cbranch_vccz .LBB275_130
.LBB275_122:
	v_mov_b32_e32 v1, s59
	v_add_co_u32_e32 v2, vcc, s58, v12
	v_addc_co_u32_e32 v3, vcc, 0, v1, vcc
	v_add_co_u32_e32 v4, vcc, 0x1000, v2
	v_addc_co_u32_e32 v5, vcc, 0, v3, vcc
	flat_load_ushort v6, v[2:3]
	flat_load_ushort v7, v[2:3] offset:512
	flat_load_ushort v8, v[2:3] offset:1024
	;; [unrolled: 1-line block ×7, first 2 shown]
	v_add_co_u32_e32 v2, vcc, 0x2000, v2
	v_addc_co_u32_e32 v3, vcc, 0, v3, vcc
	flat_load_ushort v15, v[4:5]
	flat_load_ushort v16, v[4:5] offset:512
	flat_load_ushort v17, v[4:5] offset:1024
	;; [unrolled: 1-line block ×7, first 2 shown]
	s_nop 0
	flat_load_ushort v4, v[2:3]
	flat_load_ushort v5, v[2:3] offset:512
	flat_load_ushort v23, v[2:3] offset:1024
	;; [unrolled: 1-line block ×5, first 2 shown]
	v_mad_u32_u24 v1, v0, 42, v12
	s_cmp_eq_u64 s[68:69], 0
	s_waitcnt vmcnt(0) lgkmcnt(0)
	ds_write_b16 v12, v6
	ds_write_b16 v12, v7 offset:512
	ds_write_b16 v12, v8 offset:1024
	;; [unrolled: 1-line block ×21, first 2 shown]
	s_waitcnt lgkmcnt(0)
	s_barrier
	ds_read2_b32 v[10:11], v1 offset1:1
	ds_read2_b32 v[8:9], v1 offset0:2 offset1:3
	ds_read2_b32 v[6:7], v1 offset0:4 offset1:5
	;; [unrolled: 1-line block ×4, first 2 shown]
	ds_read_b32 v13, v1 offset:40
	s_cbranch_scc1 .LBB275_127
; %bb.123:
	s_andn2_b64 vcc, exec, s[60:61]
	s_cbranch_vccnz .LBB275_288
; %bb.124:
	s_lshl_b64 s[4:5], s[68:69], 1
	s_add_u32 s4, s70, s4
	s_addc_u32 s5, s71, s5
	s_add_u32 s4, s4, -2
	s_addc_u32 s5, s5, -1
	s_cbranch_execnz .LBB275_126
.LBB275_125:
	s_add_u32 s4, s58, -2
	s_addc_u32 s5, s59, -1
.LBB275_126:
	s_mov_b64 s[58:59], s[4:5]
.LBB275_127:
	v_pk_mov_b32 v[14:15], s[58:59], s[58:59] op_sel:[0,1]
	flat_load_ushort v15, v[14:15]
	s_movk_i32 s4, 0xffd6
	s_waitcnt lgkmcnt(0)
	v_lshrrev_b32_e32 v14, 16, v13
	v_mad_i32_i24 v16, v0, s4, v1
	ds_write_b16 v16, v14 offset:11264
	s_waitcnt lgkmcnt(0)
	s_barrier
	s_and_saveexec_b64 s[4:5], s[52:53]
	s_cbranch_execz .LBB275_129
; %bb.128:
	s_waitcnt vmcnt(0)
	v_mul_i32_i24_e32 v15, 0xffffffd6, v0
	v_add_u32_e32 v15, v1, v15
	ds_read_u16 v15, v15 offset:11262
.LBB275_129:
	s_or_b64 exec, exec, s[4:5]
	v_mov_b32_e32 v17, s79
	v_add_co_u32_e32 v16, vcc, s78, v12
	v_addc_co_u32_e32 v17, vcc, 0, v17, vcc
	s_movk_i32 s4, 0x1000
	v_add_co_u32_e32 v18, vcc, s4, v16
	v_addc_co_u32_e32 v19, vcc, 0, v17, vcc
	s_movk_i32 s4, 0x2000
	s_waitcnt lgkmcnt(0)
	s_barrier
	flat_load_ushort v20, v[16:17]
	flat_load_ushort v21, v[16:17] offset:512
	flat_load_ushort v22, v[16:17] offset:1024
	;; [unrolled: 1-line block ×7, first 2 shown]
	v_add_co_u32_e32 v16, vcc, s4, v16
	v_addc_co_u32_e32 v17, vcc, 0, v17, vcc
	flat_load_ushort v28, v[18:19]
	flat_load_ushort v29, v[18:19] offset:512
	flat_load_ushort v30, v[18:19] offset:1024
	flat_load_ushort v31, v[18:19] offset:1536
	flat_load_ushort v32, v[18:19] offset:2048
	flat_load_ushort v33, v[18:19] offset:2560
	flat_load_ushort v34, v[18:19] offset:3072
	flat_load_ushort v35, v[18:19] offset:3584
	s_nop 0
	flat_load_ushort v18, v[16:17]
	flat_load_ushort v19, v[16:17] offset:512
	flat_load_ushort v36, v[16:17] offset:1024
	;; [unrolled: 1-line block ×5, first 2 shown]
	v_cmp_ne_u16_sdwa s[6:7], v10, v10 src0_sel:DWORD src1_sel:WORD_1
	v_cndmask_b32_e64 v16, 0, 1, s[6:7]
	v_cmp_ne_u16_sdwa s[6:7], v10, v11 src0_sel:WORD_1 src1_sel:DWORD
	v_cndmask_b32_e64 v40, 0, 1, s[6:7]
	v_cmp_ne_u16_sdwa s[6:7], v11, v11 src0_sel:DWORD src1_sel:WORD_1
	v_cmp_ne_u16_e64 s[4:5], v13, v14
	s_waitcnt vmcnt(0)
	v_cmp_ne_u16_e32 vcc, v15, v10
	v_cndmask_b32_e64 v41, 0, 1, s[6:7]
	v_cmp_ne_u16_sdwa s[6:7], v11, v8 src0_sel:WORD_1 src1_sel:DWORD
	v_cndmask_b32_e64 v17, 0, 1, vcc
	v_cndmask_b32_e64 v42, 0, 1, s[6:7]
	v_cmp_ne_u16_sdwa s[6:7], v8, v8 src0_sel:DWORD src1_sel:WORD_1
	s_mov_b64 s[10:11], -1
                                        ; implicit-def: $sgpr80
	s_waitcnt lgkmcnt(0)
	ds_write_b16 v12, v20
	ds_write_b16 v12, v21 offset:512
	ds_write_b16 v12, v22 offset:1024
	;; [unrolled: 1-line block ×21, first 2 shown]
	s_waitcnt lgkmcnt(0)
	s_barrier
	ds_read2_b32 v[10:11], v1 offset0:8 offset1:9
	ds_read_b32 v35, v1 offset:40
	ds_read2_b32 v[14:15], v1 offset1:1
	ds_read2_b32 v[22:23], v1 offset0:2 offset1:3
	ds_read2_b32 v[26:27], v1 offset0:4 offset1:5
	;; [unrolled: 1-line block ×3, first 2 shown]
	s_waitcnt lgkmcnt(4)
	v_lshrrev_b32_e32 v36, 16, v35
	s_waitcnt lgkmcnt(3)
	v_and_b32_e32 v1, 0xffff, v14
	v_alignbit_b32 v16, v16, v14, 16
	v_and_b32_e32 v14, 0xffff, v15
	v_lshl_or_b32 v1, v17, 16, v1
	v_lshl_or_b32 v17, v40, 16, v14
	v_cndmask_b32_e64 v14, 0, 1, s[6:7]
	v_cmp_ne_u16_sdwa s[6:7], v8, v9 src0_sel:WORD_1 src1_sel:DWORD
	s_waitcnt lgkmcnt(2)
	v_alignbit_b32 v20, v14, v22, 16
	v_and_b32_e32 v14, 0xffff, v23
	v_cndmask_b32_e64 v8, 0, 1, s[6:7]
	v_cmp_ne_u16_sdwa s[6:7], v9, v9 src0_sel:DWORD src1_sel:WORD_1
	v_lshl_or_b32 v21, v8, 16, v14
	v_cndmask_b32_e64 v8, 0, 1, s[6:7]
	v_cmp_ne_u16_sdwa s[6:7], v9, v6 src0_sel:WORD_1 src1_sel:DWORD
	v_alignbit_b32 v18, v41, v15, 16
	v_and_b32_e32 v15, 0xffff, v22
	v_alignbit_b32 v22, v8, v23, 16
	s_waitcnt lgkmcnt(1)
	v_and_b32_e32 v8, 0xffff, v26
	v_cndmask_b32_e64 v9, 0, 1, s[6:7]
	v_cmp_ne_u16_sdwa s[6:7], v6, v6 src0_sel:DWORD src1_sel:WORD_1
	v_lshl_or_b32 v23, v9, 16, v8
	v_cndmask_b32_e64 v8, 0, 1, s[6:7]
	v_cmp_ne_u16_sdwa s[6:7], v6, v7 src0_sel:WORD_1 src1_sel:DWORD
	v_alignbit_b32 v24, v8, v26, 16
	v_and_b32_e32 v8, 0xffff, v27
	v_cndmask_b32_e64 v6, 0, 1, s[6:7]
	v_cmp_ne_u16_sdwa s[6:7], v7, v7 src0_sel:DWORD src1_sel:WORD_1
	v_lshl_or_b32 v25, v6, 16, v8
	v_cndmask_b32_e64 v6, 0, 1, s[6:7]
	v_cmp_ne_u16_sdwa s[6:7], v7, v4 src0_sel:WORD_1 src1_sel:DWORD
	v_alignbit_b32 v26, v6, v27, 16
	s_waitcnt lgkmcnt(0)
	v_and_b32_e32 v6, 0xffff, v30
	v_cndmask_b32_e64 v7, 0, 1, s[6:7]
	v_cmp_ne_u16_sdwa s[6:7], v4, v4 src0_sel:DWORD src1_sel:WORD_1
	v_lshl_or_b32 v27, v7, 16, v6
	v_cndmask_b32_e64 v6, 0, 1, s[6:7]
	v_cmp_ne_u16_sdwa s[6:7], v4, v5 src0_sel:WORD_1 src1_sel:DWORD
	v_alignbit_b32 v28, v6, v30, 16
	v_and_b32_e32 v6, 0xffff, v31
	v_cndmask_b32_e64 v4, 0, 1, s[6:7]
	v_cmp_ne_u16_sdwa s[6:7], v5, v5 src0_sel:DWORD src1_sel:WORD_1
	v_lshl_or_b32 v29, v4, 16, v6
	v_cndmask_b32_e64 v4, 0, 1, s[6:7]
	v_cmp_ne_u16_sdwa s[6:7], v5, v2 src0_sel:WORD_1 src1_sel:DWORD
	v_alignbit_b32 v30, v4, v31, 16
	;; [unrolled: 7-line block ×4, first 2 shown]
	v_and_b32_e32 v2, 0xffff, v35
	v_cndmask_b32_e64 v3, 0, 1, s[6:7]
	v_lshl_or_b32 v19, v42, 16, v15
	v_lshl_or_b32 v35, v3, 16, v2
.LBB275_130:
	v_mov_b32_e32 v13, s80
	s_and_saveexec_b64 s[6:7], s[10:11]
	s_cbranch_execz .LBB275_132
; %bb.131:
	v_mov_b32_e32 v2, 0x10000
	v_cndmask_b32_e64 v2, 0, v2, s[4:5]
	s_waitcnt lgkmcnt(0)
	v_or_b32_sdwa v13, v2, v36 dst_sel:DWORD dst_unused:UNUSED_PAD src0_sel:DWORD src1_sel:WORD_0
.LBB275_132:
	s_or_b64 exec, exec, s[6:7]
	v_or3_b32 v2, v13, v35, v34
	s_cmp_lg_u32 s75, 0
	v_or3_b32 v15, v2, v33, v32
	v_lshrrev_b32_e32 v14, 5, v0
	v_cmp_gt_u32_e32 vcc, 64, v0
	s_waitcnt lgkmcnt(0)
	s_barrier
	s_cbranch_scc0 .LBB275_193
; %bb.133:
	s_mov_b32 s4, 0x10000
	v_cmp_gt_u32_e64 s[6:7], s4, v16
	v_cndmask_b32_e64 v2, 0, v1, s[6:7]
	v_add_u16_e32 v2, v2, v16
	v_cmp_gt_u32_e64 s[8:9], s4, v17
	v_cndmask_b32_e64 v2, 0, v2, s[8:9]
	v_add_u16_e32 v2, v2, v17
	;; [unrolled: 3-line block ×21, first 2 shown]
	v_or3_b32 v2, v15, v31, v30
	v_or3_b32 v2, v2, v29, v28
	;; [unrolled: 1-line block ×8, first 2 shown]
	v_and_b32_e32 v2, 0x10000, v2
	v_lshrrev_b32_e32 v36, 16, v1
	v_cmp_ne_u32_e64 s[4:5], 0, v2
	v_mov_b32_e32 v5, 0x10000
	v_cndmask_b32_e64 v38, v36, 1, s[4:5]
	v_add_lshl_u32 v2, v14, v0, 2
	ds_write_b16 v2, v37
	ds_write_b8 v2, v38 offset:2
	s_waitcnt lgkmcnt(0)
	s_barrier
	s_and_saveexec_b64 s[50:51], vcc
	s_cbranch_execz .LBB275_147
; %bb.134:
	v_lshlrev_b32_e32 v2, 2, v0
	v_lshrrev_b32_e32 v3, 3, v0
	v_add_lshl_u32 v2, v3, v2, 2
	ds_read_b32 v3, v2
	ds_read_u16 v4, v2 offset:4
	ds_read_u8 v6, v2 offset:6
	ds_read_u16 v7, v2 offset:8
	ds_read_u8 v8, v2 offset:10
	;; [unrolled: 2-line block ×3, first 2 shown]
	v_mov_b32_e32 v11, 0
	s_waitcnt lgkmcnt(4)
	v_cmp_eq_u16_sdwa s[4:5], v6, v11 src0_sel:BYTE_0 src1_sel:DWORD
	v_cndmask_b32_e64 v39, 0, v3, s[4:5]
	v_add_u16_e32 v39, v39, v4
	s_waitcnt lgkmcnt(2)
	v_cmp_eq_u16_sdwa s[4:5], v8, v11 src0_sel:BYTE_0 src1_sel:DWORD
	s_waitcnt lgkmcnt(0)
	v_or_b32_e32 v8, v10, v8
	v_cndmask_b32_e64 v11, 0, v39, s[4:5]
	v_or_b32_e32 v6, v8, v6
	v_add_u16_e32 v7, v11, v7
	v_cmp_eq_u16_e64 s[4:5], 0, v10
	v_and_b32_e32 v6, 1, v6
	v_and_b32_e32 v4, 0x10000, v3
	v_cndmask_b32_e64 v11, 0, v7, s[4:5]
	v_cmp_eq_u32_e64 s[4:5], 1, v6
	v_mbcnt_lo_u32_b32 v6, -1, 0
	v_add_u16_e32 v7, v11, v9
	v_cndmask_b32_e64 v39, v4, v5, s[4:5]
	v_add_u16_e32 v9, v11, v9
	v_and_b32_e32 v5, 0xff000000, v3
	v_mbcnt_hi_u32_b32 v6, -1, v6
	v_or_b32_e32 v10, v39, v5
	v_and_b32_e32 v11, 15, v6
	v_or3_b32 v9, v5, v9, v39
	s_movk_i32 s60, 0xff
	v_lshrrev_b32_e32 v8, 16, v10
	v_mov_b32_dpp v39, v9 row_shr:1 row_mask:0xf bank_mask:0xf
	v_cmp_ne_u32_e64 s[4:5], 0, v11
	s_and_saveexec_b64 s[58:59], s[4:5]
	s_cbranch_execz .LBB275_136
; %bb.135:
	v_and_b32_sdwa v8, v10, s60 dst_sel:DWORD dst_unused:UNUSED_PAD src0_sel:WORD_1 src1_sel:DWORD
	v_cmp_eq_u16_e64 s[4:5], 0, v8
	v_and_b32_e32 v8, 0x10000, v10
	v_mov_b32_e32 v10, 1
	v_cndmask_b32_e64 v9, 0, v39, s[4:5]
	v_and_b32_sdwa v10, v39, v10 dst_sel:DWORD dst_unused:UNUSED_PAD src0_sel:WORD_1 src1_sel:DWORD
	v_cmp_ne_u32_e64 s[4:5], 0, v8
	v_cndmask_b32_e64 v8, v10, 1, s[4:5]
	v_add_u16_e32 v40, v9, v7
	v_lshlrev_b32_e32 v10, 16, v8
	v_add_u16_e32 v7, v9, v7
	v_or3_b32 v9, v10, v7, v5
	v_mov_b32_e32 v7, v40
.LBB275_136:
	s_or_b64 exec, exec, s[58:59]
	v_lshrrev_b32_e32 v10, 16, v9
	v_mov_b32_dpp v39, v9 row_shr:2 row_mask:0xf bank_mask:0xf
	v_cmp_lt_u32_e64 s[4:5], 1, v11
	s_and_saveexec_b64 s[58:59], s[4:5]
	s_cbranch_execz .LBB275_138
; %bb.137:
	v_mov_b32_e32 v8, 0
	v_cmp_eq_u16_sdwa s[4:5], v10, v8 src0_sel:BYTE_0 src1_sel:DWORD
	v_and_b32_e32 v8, 0x10000, v9
	v_mov_b32_e32 v9, 1
	v_cndmask_b32_e64 v10, 0, v39, s[4:5]
	v_and_b32_sdwa v9, v39, v9 dst_sel:DWORD dst_unused:UNUSED_PAD src0_sel:WORD_1 src1_sel:DWORD
	v_cmp_ne_u32_e64 s[4:5], 0, v8
	v_cndmask_b32_e64 v8, v9, 1, s[4:5]
	v_add_u16_e32 v40, v10, v7
	v_lshlrev_b32_e32 v9, 16, v8
	v_add_u16_e32 v7, v10, v7
	v_or3_b32 v9, v9, v7, v5
	v_mov_b32_e32 v10, v8
	v_mov_b32_e32 v7, v40
.LBB275_138:
	s_or_b64 exec, exec, s[58:59]
	v_mov_b32_dpp v39, v9 row_shr:4 row_mask:0xf bank_mask:0xf
	v_cmp_lt_u32_e64 s[4:5], 3, v11
	s_and_saveexec_b64 s[58:59], s[4:5]
	s_cbranch_execz .LBB275_140
; %bb.139:
	v_mov_b32_e32 v8, 0
	v_cmp_eq_u16_sdwa s[4:5], v10, v8 src0_sel:BYTE_0 src1_sel:DWORD
	v_and_b32_e32 v8, 1, v10
	v_mov_b32_e32 v10, 1
	v_cndmask_b32_e64 v9, 0, v39, s[4:5]
	v_and_b32_sdwa v10, v39, v10 dst_sel:DWORD dst_unused:UNUSED_PAD src0_sel:WORD_1 src1_sel:DWORD
	v_cmp_eq_u32_e64 s[4:5], 1, v8
	v_cndmask_b32_e64 v8, v10, 1, s[4:5]
	v_add_u16_e32 v40, v9, v7
	v_lshlrev_b32_e32 v10, 16, v8
	v_add_u16_e32 v7, v9, v7
	v_or3_b32 v9, v10, v7, v5
	v_mov_b32_e32 v10, v8
	v_mov_b32_e32 v7, v40
.LBB275_140:
	s_or_b64 exec, exec, s[58:59]
	v_mov_b32_dpp v39, v9 row_shr:8 row_mask:0xf bank_mask:0xf
	v_cmp_lt_u32_e64 s[4:5], 7, v11
	s_and_saveexec_b64 s[58:59], s[4:5]
	s_cbranch_execz .LBB275_142
; %bb.141:
	v_mov_b32_e32 v8, 0
	v_cmp_eq_u16_sdwa s[4:5], v10, v8 src0_sel:BYTE_0 src1_sel:DWORD
	v_and_b32_e32 v8, 1, v10
	v_mov_b32_e32 v10, 1
	v_cndmask_b32_e64 v9, 0, v39, s[4:5]
	v_and_b32_sdwa v10, v39, v10 dst_sel:DWORD dst_unused:UNUSED_PAD src0_sel:WORD_1 src1_sel:DWORD
	v_cmp_eq_u32_e64 s[4:5], 1, v8
	v_cndmask_b32_e64 v8, v10, 1, s[4:5]
	v_add_u16_e32 v11, v9, v7
	v_lshlrev_b32_e32 v10, 16, v8
	v_add_u16_e32 v7, v9, v7
	v_or3_b32 v9, v10, v7, v5
	v_mov_b32_e32 v10, v8
	v_mov_b32_e32 v7, v11
.LBB275_142:
	s_or_b64 exec, exec, s[58:59]
	v_and_b32_e32 v39, 16, v6
	v_mov_b32_dpp v11, v9 row_bcast:15 row_mask:0xf bank_mask:0xf
	v_cmp_ne_u32_e64 s[4:5], 0, v39
	s_and_saveexec_b64 s[58:59], s[4:5]
	s_cbranch_execz .LBB275_144
; %bb.143:
	v_mov_b32_e32 v8, 0
	v_cmp_eq_u16_sdwa s[4:5], v10, v8 src0_sel:BYTE_0 src1_sel:DWORD
	v_and_b32_e32 v8, 1, v10
	v_mov_b32_e32 v10, 1
	v_cndmask_b32_e64 v9, 0, v11, s[4:5]
	v_and_b32_sdwa v10, v11, v10 dst_sel:DWORD dst_unused:UNUSED_PAD src0_sel:WORD_1 src1_sel:DWORD
	v_cmp_eq_u32_e64 s[4:5], 1, v8
	v_cndmask_b32_e64 v8, v10, 1, s[4:5]
	v_add_u16_e32 v39, v9, v7
	v_lshlrev_b32_e32 v10, 16, v8
	v_add_u16_e32 v7, v9, v7
	v_or3_b32 v9, v10, v7, v5
	v_mov_b32_e32 v10, v8
	v_mov_b32_e32 v7, v39
.LBB275_144:
	s_or_b64 exec, exec, s[58:59]
	v_mov_b32_dpp v9, v9 row_bcast:31 row_mask:0xf bank_mask:0xf
	v_cmp_lt_u32_e64 s[4:5], 31, v6
	s_and_saveexec_b64 s[58:59], s[4:5]
; %bb.145:
	v_mov_b32_e32 v8, 0
	v_cmp_eq_u16_sdwa s[4:5], v10, v8 src0_sel:BYTE_0 src1_sel:DWORD
	v_cndmask_b32_e64 v8, 0, v9, s[4:5]
	v_add_u16_e32 v7, v8, v7
	v_and_b32_e32 v8, 1, v10
	v_mov_b32_e32 v10, 1
	v_and_b32_sdwa v9, v9, v10 dst_sel:DWORD dst_unused:UNUSED_PAD src0_sel:WORD_1 src1_sel:DWORD
	v_cmp_eq_u32_e64 s[4:5], 1, v8
	v_cndmask_b32_e64 v8, v9, 1, s[4:5]
; %bb.146:
	s_or_b64 exec, exec, s[58:59]
	v_and_b32_e32 v8, 0xff, v8
	v_lshlrev_b32_e32 v8, 16, v8
	v_and_b32_e32 v7, 0xffff, v7
	v_or3_b32 v5, v8, v7, v5
	v_add_u32_e32 v7, -1, v6
	v_and_b32_e32 v8, 64, v6
	v_cmp_lt_i32_e64 s[4:5], v7, v8
	v_cndmask_b32_e64 v6, v7, v6, s[4:5]
	v_lshlrev_b32_e32 v6, 2, v6
	ds_bpermute_b32 v5, v6, v5
	v_and_b32_e32 v6, 0xff0000, v3
	v_cmp_eq_u32_e64 s[4:5], 0, v6
	; wave barrier
	s_waitcnt lgkmcnt(0)
	v_cndmask_b32_e64 v6, 0, v5, s[4:5]
	v_add_u16_e32 v3, v6, v3
	v_mov_b32_e32 v6, 1
	v_and_b32_sdwa v5, v5, v6 dst_sel:DWORD dst_unused:UNUSED_PAD src0_sel:WORD_1 src1_sel:DWORD
	v_cmp_eq_u32_e64 s[4:5], 0, v4
	v_cndmask_b32_e64 v4, 1, v5, s[4:5]
	v_cndmask_b32_e64 v3, v3, v37, s[0:1]
	;; [unrolled: 1-line block ×3, first 2 shown]
	ds_write_b16 v2, v3
	ds_write_b8 v2, v4 offset:2
	; wave barrier
	ds_read_u16 v5, v2 offset:4
	ds_read_u8 v6, v2 offset:6
	ds_read_u16 v7, v2 offset:8
	ds_read_u8 v8, v2 offset:10
	;; [unrolled: 2-line block ×3, first 2 shown]
	s_waitcnt lgkmcnt(4)
	v_cmp_eq_u16_e64 s[4:5], 0, v6
	v_cndmask_b32_e64 v3, 0, v3, s[4:5]
	v_add_u16_e32 v3, v3, v5
	v_and_b32_e32 v5, 1, v6
	v_cmp_eq_u32_e64 s[4:5], 1, v5
	v_cndmask_b32_e64 v4, v4, 1, s[4:5]
	s_waitcnt lgkmcnt(2)
	v_cmp_eq_u16_e64 s[4:5], 0, v8
	v_and_b32_e32 v5, 1, v8
	ds_write_b16 v2, v3 offset:4
	ds_write_b8 v2, v4 offset:6
	v_cndmask_b32_e64 v3, 0, v3, s[4:5]
	v_cmp_eq_u32_e64 s[4:5], 1, v5
	v_add_u16_e32 v3, v3, v7
	v_cndmask_b32_e64 v4, v4, 1, s[4:5]
	s_waitcnt lgkmcnt(2)
	v_cmp_eq_u16_e64 s[4:5], 0, v10
	ds_write_b16 v2, v3 offset:8
	ds_write_b8 v2, v4 offset:10
	v_cndmask_b32_e64 v3, 0, v3, s[4:5]
	v_and_b32_e32 v5, 1, v10
	v_add_u16_e32 v3, v3, v9
	v_cmp_eq_u32_e64 s[4:5], 1, v5
	v_cndmask_b32_e64 v4, v4, 1, s[4:5]
	ds_write_b16 v2, v3 offset:12
	ds_write_b8 v2, v4 offset:14
.LBB275_147:
	s_or_b64 exec, exec, s[50:51]
	s_waitcnt lgkmcnt(0)
	s_barrier
	s_and_saveexec_b64 s[4:5], s[52:53]
	s_cbranch_execz .LBB275_149
; %bb.148:
	v_add_u32_e32 v2, -1, v0
	v_lshrrev_b32_e32 v3, 5, v2
	v_add_lshl_u32 v2, v3, v2, 2
	ds_read_u16 v37, v2
	ds_read_u8 v38, v2 offset:2
.LBB275_149:
	s_or_b64 exec, exec, s[4:5]
	s_and_saveexec_b64 s[4:5], vcc
	s_cbranch_execz .LBB275_192
; %bb.150:
	v_mov_b32_e32 v9, 0
	ds_read_b32 v2, v9 offset:1048
	v_mbcnt_lo_u32_b32 v3, -1, 0
	v_mbcnt_hi_u32_b32 v5, -1, v3
	s_mov_b32 s61, 0
	v_cmp_eq_u32_e64 s[50:51], 0, v5
	s_and_saveexec_b64 s[58:59], s[50:51]
	s_cbranch_execz .LBB275_152
; %bb.151:
	s_add_i32 s60, s75, 64
	s_lshl_b64 s[60:61], s[60:61], 3
	s_add_u32 s60, s72, s60
	v_mov_b32_e32 v3, 1
	s_addc_u32 s61, s73, s61
	s_waitcnt lgkmcnt(0)
	global_store_dwordx2 v9, v[2:3], s[60:61]
.LBB275_152:
	s_or_b64 exec, exec, s[58:59]
	v_xad_u32 v4, v5, -1, s75
	v_add_u32_e32 v8, 64, v4
	v_lshlrev_b64 v[6:7], 3, v[8:9]
	v_mov_b32_e32 v3, s73
	v_add_co_u32_e32 v10, vcc, s72, v6
	v_addc_co_u32_e32 v11, vcc, v3, v7, vcc
	global_load_dwordx2 v[6:7], v[10:11], off glc
	s_waitcnt vmcnt(0)
	v_cmp_eq_u16_sdwa s[60:61], v7, v9 src0_sel:BYTE_0 src1_sel:DWORD
	s_and_saveexec_b64 s[58:59], s[60:61]
	s_cbranch_execz .LBB275_156
; %bb.153:
	s_mov_b64 s[60:61], 0
	v_mov_b32_e32 v3, 0
.LBB275_154:                            ; =>This Inner Loop Header: Depth=1
	global_load_dwordx2 v[6:7], v[10:11], off glc
	s_waitcnt vmcnt(0)
	v_cmp_ne_u16_sdwa s[64:65], v7, v3 src0_sel:BYTE_0 src1_sel:DWORD
	s_or_b64 s[60:61], s[64:65], s[60:61]
	s_andn2_b64 exec, exec, s[60:61]
	s_cbranch_execnz .LBB275_154
; %bb.155:
	s_or_b64 exec, exec, s[60:61]
.LBB275_156:
	s_or_b64 exec, exec, s[58:59]
	v_mov_b32_e32 v3, 2
	v_cmp_eq_u16_sdwa s[58:59], v7, v3 src0_sel:BYTE_0 src1_sel:DWORD
	v_lshlrev_b64 v[8:9], v5, -1
	v_and_b32_e32 v3, s59, v9
	v_or_b32_e32 v3, 0x80000000, v3
	v_ffbl_b32_e32 v3, v3
	v_add_u32_e32 v11, 32, v3
	v_and_b32_e32 v3, 63, v5
	v_cmp_ne_u32_e32 vcc, 63, v3
	v_addc_co_u32_e32 v39, vcc, 0, v5, vcc
	v_and_b32_e32 v50, 0xffffff, v6
	v_lshlrev_b32_e32 v39, 2, v39
	ds_bpermute_b32 v40, v39, v50
	v_and_b32_e32 v10, s58, v8
	v_ffbl_b32_e32 v10, v10
	v_min_u32_e32 v11, v10, v11
	v_lshrrev_b32_e32 v10, 16, v6
	v_cmp_lt_u32_e32 vcc, v3, v11
	v_bfe_u32 v48, v6, 16, 8
	s_and_saveexec_b64 s[58:59], vcc
	s_cbranch_execz .LBB275_158
; %bb.157:
	v_and_b32_e32 v10, 0xff0000, v6
	v_cmp_eq_u32_e32 vcc, 0, v10
	v_and_b32_e32 v10, 0x10000, v10
	v_mov_b32_e32 v43, 1
	s_waitcnt lgkmcnt(0)
	v_cndmask_b32_e32 v41, 0, v40, vcc
	v_and_b32_sdwa v40, v40, v43 dst_sel:DWORD dst_unused:UNUSED_PAD src0_sel:WORD_1 src1_sel:DWORD
	v_cmp_ne_u32_e32 vcc, 0, v10
	v_cndmask_b32_e64 v10, v40, 1, vcc
	v_add_u16_e32 v42, v41, v6
	v_lshlrev_b32_e32 v40, 16, v10
	v_add_u16_e32 v6, v41, v6
	v_or_b32_e32 v50, v40, v6
	v_mov_b32_e32 v6, v42
	v_mov_b32_e32 v48, v10
.LBB275_158:
	s_or_b64 exec, exec, s[58:59]
	v_cmp_gt_u32_e32 vcc, 62, v3
	s_waitcnt lgkmcnt(0)
	v_cndmask_b32_e64 v40, 0, 1, vcc
	v_lshlrev_b32_e32 v40, 1, v40
	v_add_lshl_u32 v40, v40, v5, 2
	ds_bpermute_b32 v42, v40, v50
	v_add_u32_e32 v41, 2, v3
	v_cmp_le_u32_e32 vcc, v41, v11
	s_and_saveexec_b64 s[58:59], vcc
	s_cbranch_execz .LBB275_160
; %bb.159:
	v_cmp_eq_u16_e32 vcc, 0, v48
	v_and_b32_e32 v10, 1, v48
	v_mov_b32_e32 v45, 1
	s_waitcnt lgkmcnt(0)
	v_cndmask_b32_e32 v43, 0, v42, vcc
	v_and_b32_sdwa v42, v42, v45 dst_sel:DWORD dst_unused:UNUSED_PAD src0_sel:WORD_1 src1_sel:DWORD
	v_cmp_eq_u32_e32 vcc, 1, v10
	v_cndmask_b32_e64 v10, v42, 1, vcc
	v_add_u16_e32 v44, v43, v6
	v_lshlrev_b32_e32 v42, 16, v10
	v_add_u16_e32 v6, v43, v6
	v_or_b32_e32 v50, v42, v6
	v_mov_b32_e32 v6, v44
	v_mov_b32_e32 v48, v10
.LBB275_160:
	s_or_b64 exec, exec, s[58:59]
	v_cmp_gt_u32_e32 vcc, 60, v3
	s_waitcnt lgkmcnt(0)
	v_cndmask_b32_e64 v42, 0, 1, vcc
	v_lshlrev_b32_e32 v42, 2, v42
	v_add_lshl_u32 v42, v42, v5, 2
	ds_bpermute_b32 v44, v42, v50
	v_add_u32_e32 v43, 4, v3
	v_cmp_le_u32_e32 vcc, v43, v11
	s_and_saveexec_b64 s[58:59], vcc
	s_cbranch_execz .LBB275_162
; %bb.161:
	v_cmp_eq_u16_e32 vcc, 0, v48
	v_and_b32_e32 v10, 1, v48
	v_mov_b32_e32 v47, 1
	s_waitcnt lgkmcnt(0)
	v_cndmask_b32_e32 v45, 0, v44, vcc
	v_and_b32_sdwa v44, v44, v47 dst_sel:DWORD dst_unused:UNUSED_PAD src0_sel:WORD_1 src1_sel:DWORD
	v_cmp_eq_u32_e32 vcc, 1, v10
	v_cndmask_b32_e64 v10, v44, 1, vcc
	v_add_u16_e32 v46, v45, v6
	v_lshlrev_b32_e32 v44, 16, v10
	v_add_u16_e32 v6, v45, v6
	v_or_b32_e32 v50, v44, v6
	v_mov_b32_e32 v6, v46
	v_mov_b32_e32 v48, v10
.LBB275_162:
	;; [unrolled: 27-line block ×4, first 2 shown]
	s_or_b64 exec, exec, s[58:59]
	v_cmp_gt_u32_e32 vcc, 32, v3
	s_waitcnt lgkmcnt(0)
	v_cndmask_b32_e64 v49, 0, 1, vcc
	v_lshlrev_b32_e32 v49, 5, v49
	v_add_lshl_u32 v49, v49, v5, 2
	ds_bpermute_b32 v5, v49, v50
	v_add_u32_e32 v50, 32, v3
	v_cmp_le_u32_e32 vcc, v50, v11
	s_and_saveexec_b64 s[58:59], vcc
	s_cbranch_execz .LBB275_168
; %bb.167:
	v_cmp_eq_u16_e32 vcc, 0, v48
	s_waitcnt lgkmcnt(0)
	v_cndmask_b32_e32 v10, 0, v5, vcc
	v_add_u16_e32 v6, v10, v6
	v_and_b32_e32 v10, 1, v48
	v_mov_b32_e32 v11, 1
	v_and_b32_sdwa v5, v5, v11 dst_sel:DWORD dst_unused:UNUSED_PAD src0_sel:WORD_1 src1_sel:DWORD
	v_cmp_eq_u32_e32 vcc, 1, v10
	v_cndmask_b32_e64 v10, v5, 1, vcc
.LBB275_168:
	s_or_b64 exec, exec, s[58:59]
	s_waitcnt lgkmcnt(0)
	v_mov_b32_e32 v5, 0
	v_mov_b32_e32 v52, 2
	;; [unrolled: 1-line block ×3, first 2 shown]
	s_branch .LBB275_170
.LBB275_169:                            ;   in Loop: Header=BB275_170 Depth=1
	s_or_b64 exec, exec, s[58:59]
	v_cmp_eq_u16_sdwa vcc, v48, v5 src0_sel:BYTE_0 src1_sel:DWORD
	v_and_b32_e32 v10, 1, v48
	v_cndmask_b32_e32 v6, 0, v6, vcc
	v_and_b32_e32 v11, 1, v11
	v_cmp_eq_u32_e32 vcc, 1, v10
	v_subrev_u32_e32 v4, 64, v4
	v_add_u16_e32 v6, v6, v51
	v_cndmask_b32_e64 v10, v11, 1, vcc
.LBB275_170:                            ; =>This Loop Header: Depth=1
                                        ;     Child Loop BB275_173 Depth 2
	v_cmp_ne_u16_sdwa s[58:59], v7, v52 src0_sel:BYTE_0 src1_sel:DWORD
	v_cndmask_b32_e64 v7, 0, 1, s[58:59]
	;;#ASMSTART
	;;#ASMEND
	v_cmp_ne_u32_e32 vcc, 0, v7
	v_mov_b32_e32 v48, v10
	s_cmp_lg_u64 vcc, exec
	v_mov_b32_e32 v51, v6
	s_cbranch_scc1 .LBB275_187
; %bb.171:                              ;   in Loop: Header=BB275_170 Depth=1
	v_lshlrev_b64 v[6:7], 3, v[4:5]
	v_mov_b32_e32 v11, s73
	v_add_co_u32_e32 v10, vcc, s72, v6
	v_addc_co_u32_e32 v11, vcc, v11, v7, vcc
	global_load_dwordx2 v[6:7], v[10:11], off glc
	s_waitcnt vmcnt(0)
	v_cmp_eq_u16_sdwa s[60:61], v7, v5 src0_sel:BYTE_0 src1_sel:DWORD
	s_and_saveexec_b64 s[58:59], s[60:61]
	s_cbranch_execz .LBB275_175
; %bb.172:                              ;   in Loop: Header=BB275_170 Depth=1
	s_mov_b64 s[60:61], 0
.LBB275_173:                            ;   Parent Loop BB275_170 Depth=1
                                        ; =>  This Inner Loop Header: Depth=2
	global_load_dwordx2 v[6:7], v[10:11], off glc
	s_waitcnt vmcnt(0)
	v_cmp_ne_u16_sdwa s[64:65], v7, v5 src0_sel:BYTE_0 src1_sel:DWORD
	s_or_b64 s[60:61], s[64:65], s[60:61]
	s_andn2_b64 exec, exec, s[60:61]
	s_cbranch_execnz .LBB275_173
; %bb.174:                              ;   in Loop: Header=BB275_170 Depth=1
	s_or_b64 exec, exec, s[60:61]
.LBB275_175:                            ;   in Loop: Header=BB275_170 Depth=1
	s_or_b64 exec, exec, s[58:59]
	v_cmp_eq_u16_sdwa s[58:59], v7, v52 src0_sel:BYTE_0 src1_sel:DWORD
	v_and_b32_e32 v10, s59, v9
	s_waitcnt lgkmcnt(0)
	v_and_b32_e32 v55, 0xffffff, v6
	v_or_b32_e32 v10, 0x80000000, v10
	ds_bpermute_b32 v56, v39, v55
	v_and_b32_e32 v11, s58, v8
	v_ffbl_b32_e32 v10, v10
	v_add_u32_e32 v10, 32, v10
	v_ffbl_b32_e32 v11, v11
	v_min_u32_e32 v10, v11, v10
	v_lshrrev_b32_e32 v11, 16, v6
	v_cmp_lt_u32_e32 vcc, v3, v10
	v_bfe_u32 v54, v6, 16, 8
	s_and_saveexec_b64 s[58:59], vcc
	s_cbranch_execz .LBB275_177
; %bb.176:                              ;   in Loop: Header=BB275_170 Depth=1
	v_and_b32_e32 v11, 0xff0000, v6
	v_cmp_eq_u32_e32 vcc, 0, v11
	v_and_b32_e32 v11, 0x10000, v11
	s_waitcnt lgkmcnt(0)
	v_cndmask_b32_e32 v54, 0, v56, vcc
	v_and_b32_sdwa v55, v56, v53 dst_sel:DWORD dst_unused:UNUSED_PAD src0_sel:WORD_1 src1_sel:DWORD
	v_cmp_ne_u32_e32 vcc, 0, v11
	v_cndmask_b32_e64 v11, v55, 1, vcc
	v_add_u16_e32 v57, v54, v6
	v_lshlrev_b32_e32 v55, 16, v11
	v_add_u16_e32 v6, v54, v6
	v_or_b32_e32 v55, v55, v6
	v_mov_b32_e32 v6, v57
	v_mov_b32_e32 v54, v11
.LBB275_177:                            ;   in Loop: Header=BB275_170 Depth=1
	s_or_b64 exec, exec, s[58:59]
	s_waitcnt lgkmcnt(0)
	ds_bpermute_b32 v56, v40, v55
	v_cmp_le_u32_e32 vcc, v41, v10
	s_and_saveexec_b64 s[58:59], vcc
	s_cbranch_execz .LBB275_179
; %bb.178:                              ;   in Loop: Header=BB275_170 Depth=1
	v_cmp_eq_u16_e32 vcc, 0, v54
	v_and_b32_e32 v11, 1, v54
	s_waitcnt lgkmcnt(0)
	v_cndmask_b32_e32 v55, 0, v56, vcc
	v_and_b32_sdwa v54, v56, v53 dst_sel:DWORD dst_unused:UNUSED_PAD src0_sel:WORD_1 src1_sel:DWORD
	v_cmp_eq_u32_e32 vcc, 1, v11
	v_cndmask_b32_e64 v11, v54, 1, vcc
	v_add_u16_e32 v57, v55, v6
	v_lshlrev_b32_e32 v54, 16, v11
	v_add_u16_e32 v6, v55, v6
	v_or_b32_e32 v55, v54, v6
	v_mov_b32_e32 v6, v57
	v_mov_b32_e32 v54, v11
.LBB275_179:                            ;   in Loop: Header=BB275_170 Depth=1
	s_or_b64 exec, exec, s[58:59]
	s_waitcnt lgkmcnt(0)
	ds_bpermute_b32 v56, v42, v55
	v_cmp_le_u32_e32 vcc, v43, v10
	s_and_saveexec_b64 s[58:59], vcc
	s_cbranch_execz .LBB275_181
; %bb.180:                              ;   in Loop: Header=BB275_170 Depth=1
	v_cmp_eq_u16_e32 vcc, 0, v54
	v_and_b32_e32 v11, 1, v54
	s_waitcnt lgkmcnt(0)
	v_cndmask_b32_e32 v55, 0, v56, vcc
	v_and_b32_sdwa v54, v56, v53 dst_sel:DWORD dst_unused:UNUSED_PAD src0_sel:WORD_1 src1_sel:DWORD
	v_cmp_eq_u32_e32 vcc, 1, v11
	v_cndmask_b32_e64 v11, v54, 1, vcc
	v_add_u16_e32 v57, v55, v6
	v_lshlrev_b32_e32 v54, 16, v11
	v_add_u16_e32 v6, v55, v6
	v_or_b32_e32 v55, v54, v6
	v_mov_b32_e32 v6, v57
	v_mov_b32_e32 v54, v11
.LBB275_181:                            ;   in Loop: Header=BB275_170 Depth=1
	s_or_b64 exec, exec, s[58:59]
	s_waitcnt lgkmcnt(0)
	ds_bpermute_b32 v56, v44, v55
	v_cmp_le_u32_e32 vcc, v45, v10
	s_and_saveexec_b64 s[58:59], vcc
	s_cbranch_execz .LBB275_183
; %bb.182:                              ;   in Loop: Header=BB275_170 Depth=1
	v_cmp_eq_u16_e32 vcc, 0, v54
	v_and_b32_e32 v11, 1, v54
	s_waitcnt lgkmcnt(0)
	v_cndmask_b32_e32 v55, 0, v56, vcc
	v_and_b32_sdwa v54, v56, v53 dst_sel:DWORD dst_unused:UNUSED_PAD src0_sel:WORD_1 src1_sel:DWORD
	v_cmp_eq_u32_e32 vcc, 1, v11
	v_cndmask_b32_e64 v11, v54, 1, vcc
	v_add_u16_e32 v57, v55, v6
	v_lshlrev_b32_e32 v54, 16, v11
	v_add_u16_e32 v6, v55, v6
	v_or_b32_e32 v55, v54, v6
	v_mov_b32_e32 v6, v57
	v_mov_b32_e32 v54, v11
.LBB275_183:                            ;   in Loop: Header=BB275_170 Depth=1
	s_or_b64 exec, exec, s[58:59]
	s_waitcnt lgkmcnt(0)
	ds_bpermute_b32 v56, v46, v55
	v_cmp_le_u32_e32 vcc, v47, v10
	s_and_saveexec_b64 s[58:59], vcc
	s_cbranch_execz .LBB275_185
; %bb.184:                              ;   in Loop: Header=BB275_170 Depth=1
	v_cmp_eq_u16_e32 vcc, 0, v54
	v_and_b32_e32 v11, 1, v54
	s_waitcnt lgkmcnt(0)
	v_cndmask_b32_e32 v55, 0, v56, vcc
	v_and_b32_sdwa v54, v56, v53 dst_sel:DWORD dst_unused:UNUSED_PAD src0_sel:WORD_1 src1_sel:DWORD
	v_cmp_eq_u32_e32 vcc, 1, v11
	v_cndmask_b32_e64 v11, v54, 1, vcc
	v_add_u16_e32 v57, v55, v6
	v_lshlrev_b32_e32 v54, 16, v11
	v_add_u16_e32 v6, v55, v6
	v_or_b32_e32 v55, v54, v6
	v_mov_b32_e32 v6, v57
	v_mov_b32_e32 v54, v11
.LBB275_185:                            ;   in Loop: Header=BB275_170 Depth=1
	s_or_b64 exec, exec, s[58:59]
	ds_bpermute_b32 v55, v49, v55
	v_cmp_le_u32_e32 vcc, v50, v10
	s_and_saveexec_b64 s[58:59], vcc
	s_cbranch_execz .LBB275_169
; %bb.186:                              ;   in Loop: Header=BB275_170 Depth=1
	v_cmp_eq_u16_e32 vcc, 0, v54
	s_waitcnt lgkmcnt(0)
	v_cndmask_b32_e32 v10, 0, v55, vcc
	v_add_u16_e32 v6, v10, v6
	v_and_b32_e32 v10, 1, v54
	v_lshrrev_b32_e32 v11, 16, v55
	v_cmp_eq_u32_e32 vcc, 1, v10
	v_cndmask_b32_e64 v11, v11, 1, vcc
	s_branch .LBB275_169
.LBB275_187:                            ;   in Loop: Header=BB275_170 Depth=1
                                        ; implicit-def: $vgpr10
                                        ; implicit-def: $vgpr6
	s_cbranch_execz .LBB275_170
; %bb.188:
	s_and_saveexec_b64 s[58:59], s[50:51]
	s_cbranch_execz .LBB275_190
; %bb.189:
	v_and_b32_e32 v3, 0xff0000, v2
	s_mov_b32 s51, 0
	v_cmp_eq_u32_e32 vcc, 0, v3
	v_and_b32_e32 v4, 0x10000, v2
	v_mov_b32_e32 v5, 1
	s_add_i32 s50, s75, 64
	v_cndmask_b32_e32 v3, 0, v51, vcc
	v_and_b32_sdwa v5, v48, v5 dst_sel:WORD_1 dst_unused:UNUSED_PAD src0_sel:DWORD src1_sel:DWORD
	v_mov_b32_e32 v6, 0x10000
	v_cmp_eq_u32_e32 vcc, 0, v4
	s_lshl_b64 s[50:51], s[50:51], 3
	v_cndmask_b32_e32 v4, v6, v5, vcc
	s_add_u32 s50, s72, s50
	v_add_u16_e32 v2, v3, v2
	s_addc_u32 s51, s73, s51
	v_mov_b32_e32 v5, 0
	v_or_b32_e32 v2, v4, v2
	v_mov_b32_e32 v3, 2
	global_store_dwordx2 v5, v[2:3], s[50:51]
.LBB275_190:
	s_or_b64 exec, exec, s[58:59]
	s_and_b64 exec, exec, s[0:1]
	s_cbranch_execz .LBB275_192
; %bb.191:
	v_mov_b32_e32 v2, 0
	ds_write_b16 v2, v51
	ds_write_b8 v2, v48 offset:2
.LBB275_192:
	s_or_b64 exec, exec, s[4:5]
	v_mov_b32_e32 v2, 0
	s_mov_b32 s4, 0x10000
	s_waitcnt lgkmcnt(0)
	s_barrier
	ds_read_b32 v3, v2
	v_cmp_gt_u32_e32 vcc, s4, v1
	v_and_b32_e32 v5, 0x10000, v1
	v_cndmask_b32_e32 v4, 0, v37, vcc
	v_and_b32_e32 v6, 1, v38
	v_cmp_ne_u32_e32 vcc, 0, v5
	v_cndmask_b32_e64 v5, v6, 1, vcc
	v_cndmask_b32_e64 v5, v5, v36, s[0:1]
	v_cndmask_b32_e64 v4, v4, 0, s[0:1]
	v_cmp_eq_u16_sdwa vcc, v5, v2 src0_sel:BYTE_0 src1_sel:DWORD
	v_add_u16_e32 v4, v4, v1
	s_waitcnt lgkmcnt(0)
	v_cndmask_b32_e32 v2, 0, v3, vcc
	v_add_u16_e32 v49, v4, v2
	v_cndmask_b32_e64 v2, 0, v49, s[6:7]
	v_add_u16_e32 v4, v2, v16
	v_cndmask_b32_e64 v2, 0, v4, s[8:9]
	;; [unrolled: 2-line block ×21, first 2 shown]
	v_add_u16_e32 v48, v2, v13
	s_branch .LBB275_215
.LBB275_193:
                                        ; implicit-def: $vgpr49
                                        ; implicit-def: $vgpr4
                                        ; implicit-def: $vgpr5
                                        ; implicit-def: $vgpr6
                                        ; implicit-def: $vgpr7
                                        ; implicit-def: $vgpr8
                                        ; implicit-def: $vgpr9
                                        ; implicit-def: $vgpr10
                                        ; implicit-def: $vgpr11
                                        ; implicit-def: $vgpr36
                                        ; implicit-def: $vgpr37
                                        ; implicit-def: $vgpr38
                                        ; implicit-def: $vgpr39
                                        ; implicit-def: $vgpr40
                                        ; implicit-def: $vgpr41
                                        ; implicit-def: $vgpr42
                                        ; implicit-def: $vgpr43
                                        ; implicit-def: $vgpr44
                                        ; implicit-def: $vgpr45
                                        ; implicit-def: $vgpr46
                                        ; implicit-def: $vgpr47
                                        ; implicit-def: $vgpr48
	s_cbranch_execz .LBB275_215
; %bb.194:
	s_cmp_lg_u64 s[76:77], 0
	s_cselect_b32 s7, s67, 0
	s_cselect_b32 s6, s66, 0
	s_cmp_lg_u64 s[6:7], 0
	s_cselect_b64 s[4:5], -1, 0
	s_and_b64 s[8:9], s[0:1], s[4:5]
	s_and_saveexec_b64 s[4:5], s[8:9]
	s_cbranch_execz .LBB275_196
; %bb.195:
	v_mov_b32_e32 v2, 0
	global_load_ushort v3, v2, s[6:7]
	global_load_ubyte v4, v2, s[6:7] offset:2
	s_mov_b32 s6, 0x10000
	v_and_b32_e32 v2, 0x10000, v1
	v_mov_b32_e32 v5, 1
	v_cmp_gt_u32_e32 vcc, s6, v1
	v_mov_b32_e32 v6, 0x10000
	s_waitcnt vmcnt(1)
	v_cndmask_b32_e32 v3, 0, v3, vcc
	s_waitcnt vmcnt(0)
	v_and_b32_sdwa v4, v4, v5 dst_sel:WORD_1 dst_unused:UNUSED_PAD src0_sel:DWORD src1_sel:DWORD
	v_cmp_eq_u32_e32 vcc, 0, v2
	v_add_u16_e32 v1, v3, v1
	v_cndmask_b32_e32 v2, v6, v4, vcc
	v_or_b32_e32 v1, v2, v1
.LBB275_196:
	s_or_b64 exec, exec, s[4:5]
	s_mov_b32 s4, 0x10000
	v_cmp_gt_u32_e32 vcc, s4, v16
	v_cndmask_b32_e32 v3, 0, v1, vcc
	v_add_u16_e32 v4, v3, v16
	v_cmp_gt_u32_e64 s[6:7], s4, v17
	v_cndmask_b32_e64 v3, 0, v4, s[6:7]
	v_add_u16_e32 v5, v3, v17
	v_cmp_gt_u32_e64 s[8:9], s4, v18
	v_cndmask_b32_e64 v3, 0, v5, s[8:9]
	;; [unrolled: 3-line block ×20, first 2 shown]
	v_add_u16_e32 v48, v3, v13
	v_or3_b32 v3, v15, v31, v30
	v_or3_b32 v3, v3, v29, v28
	;; [unrolled: 1-line block ×8, first 2 shown]
	v_and_b32_e32 v3, 0x10000, v3
	v_lshrrev_b32_e32 v2, 16, v1
	v_cmp_ne_u32_e64 s[4:5], 0, v3
	v_mov_b32_e32 v49, 0x10000
	v_cndmask_b32_e64 v3, v2, 1, s[4:5]
	v_add_lshl_u32 v2, v14, v0, 2
	v_cmp_gt_u32_e64 s[4:5], 64, v0
	ds_write_b16 v2, v48
	ds_write_b8 v2, v3 offset:2
	s_waitcnt lgkmcnt(0)
	s_barrier
	s_and_saveexec_b64 s[48:49], s[4:5]
	s_cbranch_execz .LBB275_210
; %bb.197:
	v_lshlrev_b32_e32 v2, 2, v0
	v_lshrrev_b32_e32 v14, 3, v0
	v_add_lshl_u32 v2, v14, v2, 2
	ds_read_b32 v14, v2
	ds_read_u16 v15, v2 offset:4
	ds_read_u8 v50, v2 offset:6
	ds_read_u16 v51, v2 offset:8
	ds_read_u8 v52, v2 offset:10
	;; [unrolled: 2-line block ×3, first 2 shown]
	v_mov_b32_e32 v55, 0
	s_waitcnt lgkmcnt(4)
	v_cmp_eq_u16_sdwa s[4:5], v50, v55 src0_sel:BYTE_0 src1_sel:DWORD
	v_cndmask_b32_e64 v56, 0, v14, s[4:5]
	v_add_u16_e32 v56, v56, v15
	s_waitcnt lgkmcnt(2)
	v_cmp_eq_u16_sdwa s[4:5], v52, v55 src0_sel:BYTE_0 src1_sel:DWORD
	s_waitcnt lgkmcnt(0)
	v_or_b32_e32 v52, v54, v52
	v_cndmask_b32_e64 v55, 0, v56, s[4:5]
	v_or_b32_e32 v50, v52, v50
	v_add_u16_e32 v51, v55, v51
	v_cmp_eq_u16_e64 s[4:5], 0, v54
	v_and_b32_e32 v50, 1, v50
	v_and_b32_e32 v15, 0x10000, v14
	v_cndmask_b32_e64 v55, 0, v51, s[4:5]
	v_cmp_eq_u32_e64 s[4:5], 1, v50
	v_mbcnt_lo_u32_b32 v50, -1, 0
	v_add_u16_e32 v51, v55, v53
	v_cndmask_b32_e64 v56, v15, v49, s[4:5]
	v_add_u16_e32 v53, v55, v53
	v_and_b32_e32 v49, 0xff000000, v14
	v_mbcnt_hi_u32_b32 v50, -1, v50
	v_or_b32_e32 v54, v56, v49
	v_and_b32_e32 v55, 15, v50
	v_or3_b32 v53, v49, v53, v56
	s_movk_i32 s58, 0xff
	v_lshrrev_b32_e32 v52, 16, v54
	v_mov_b32_dpp v56, v53 row_shr:1 row_mask:0xf bank_mask:0xf
	v_cmp_ne_u32_e64 s[4:5], 0, v55
	s_and_saveexec_b64 s[50:51], s[4:5]
	s_cbranch_execz .LBB275_199
; %bb.198:
	v_and_b32_sdwa v52, v54, s58 dst_sel:DWORD dst_unused:UNUSED_PAD src0_sel:WORD_1 src1_sel:DWORD
	v_cmp_eq_u16_e64 s[4:5], 0, v52
	v_and_b32_e32 v52, 0x10000, v54
	v_mov_b32_e32 v54, 1
	v_cndmask_b32_e64 v53, 0, v56, s[4:5]
	v_and_b32_sdwa v54, v56, v54 dst_sel:DWORD dst_unused:UNUSED_PAD src0_sel:WORD_1 src1_sel:DWORD
	v_cmp_ne_u32_e64 s[4:5], 0, v52
	v_cndmask_b32_e64 v52, v54, 1, s[4:5]
	v_add_u16_e32 v57, v53, v51
	v_lshlrev_b32_e32 v54, 16, v52
	v_add_u16_e32 v51, v53, v51
	v_or3_b32 v53, v54, v51, v49
	v_mov_b32_e32 v51, v57
.LBB275_199:
	s_or_b64 exec, exec, s[50:51]
	v_lshrrev_b32_e32 v54, 16, v53
	v_mov_b32_dpp v56, v53 row_shr:2 row_mask:0xf bank_mask:0xf
	v_cmp_lt_u32_e64 s[4:5], 1, v55
	s_and_saveexec_b64 s[50:51], s[4:5]
	s_cbranch_execz .LBB275_201
; %bb.200:
	v_mov_b32_e32 v52, 0
	v_cmp_eq_u16_sdwa s[4:5], v54, v52 src0_sel:BYTE_0 src1_sel:DWORD
	v_and_b32_e32 v52, 0x10000, v53
	v_mov_b32_e32 v53, 1
	v_cndmask_b32_e64 v54, 0, v56, s[4:5]
	v_and_b32_sdwa v53, v56, v53 dst_sel:DWORD dst_unused:UNUSED_PAD src0_sel:WORD_1 src1_sel:DWORD
	v_cmp_ne_u32_e64 s[4:5], 0, v52
	v_cndmask_b32_e64 v52, v53, 1, s[4:5]
	v_add_u16_e32 v57, v54, v51
	v_lshlrev_b32_e32 v53, 16, v52
	v_add_u16_e32 v51, v54, v51
	v_or3_b32 v53, v53, v51, v49
	v_mov_b32_e32 v54, v52
	v_mov_b32_e32 v51, v57
.LBB275_201:
	s_or_b64 exec, exec, s[50:51]
	v_mov_b32_dpp v56, v53 row_shr:4 row_mask:0xf bank_mask:0xf
	v_cmp_lt_u32_e64 s[4:5], 3, v55
	s_and_saveexec_b64 s[50:51], s[4:5]
	s_cbranch_execz .LBB275_203
; %bb.202:
	v_mov_b32_e32 v52, 0
	v_cmp_eq_u16_sdwa s[4:5], v54, v52 src0_sel:BYTE_0 src1_sel:DWORD
	v_and_b32_e32 v52, 1, v54
	v_mov_b32_e32 v54, 1
	v_cndmask_b32_e64 v53, 0, v56, s[4:5]
	v_and_b32_sdwa v54, v56, v54 dst_sel:DWORD dst_unused:UNUSED_PAD src0_sel:WORD_1 src1_sel:DWORD
	v_cmp_eq_u32_e64 s[4:5], 1, v52
	v_cndmask_b32_e64 v52, v54, 1, s[4:5]
	v_add_u16_e32 v57, v53, v51
	v_lshlrev_b32_e32 v54, 16, v52
	v_add_u16_e32 v51, v53, v51
	v_or3_b32 v53, v54, v51, v49
	v_mov_b32_e32 v54, v52
	v_mov_b32_e32 v51, v57
.LBB275_203:
	s_or_b64 exec, exec, s[50:51]
	v_mov_b32_dpp v56, v53 row_shr:8 row_mask:0xf bank_mask:0xf
	v_cmp_lt_u32_e64 s[4:5], 7, v55
	s_and_saveexec_b64 s[50:51], s[4:5]
	s_cbranch_execz .LBB275_205
; %bb.204:
	v_mov_b32_e32 v52, 0
	v_cmp_eq_u16_sdwa s[4:5], v54, v52 src0_sel:BYTE_0 src1_sel:DWORD
	v_and_b32_e32 v52, 1, v54
	v_mov_b32_e32 v54, 1
	v_cndmask_b32_e64 v53, 0, v56, s[4:5]
	v_and_b32_sdwa v54, v56, v54 dst_sel:DWORD dst_unused:UNUSED_PAD src0_sel:WORD_1 src1_sel:DWORD
	v_cmp_eq_u32_e64 s[4:5], 1, v52
	v_cndmask_b32_e64 v52, v54, 1, s[4:5]
	v_add_u16_e32 v55, v53, v51
	v_lshlrev_b32_e32 v54, 16, v52
	v_add_u16_e32 v51, v53, v51
	v_or3_b32 v53, v54, v51, v49
	v_mov_b32_e32 v54, v52
	v_mov_b32_e32 v51, v55
.LBB275_205:
	s_or_b64 exec, exec, s[50:51]
	v_and_b32_e32 v56, 16, v50
	v_mov_b32_dpp v55, v53 row_bcast:15 row_mask:0xf bank_mask:0xf
	v_cmp_ne_u32_e64 s[4:5], 0, v56
	s_and_saveexec_b64 s[50:51], s[4:5]
	s_cbranch_execz .LBB275_207
; %bb.206:
	v_mov_b32_e32 v52, 0
	v_cmp_eq_u16_sdwa s[4:5], v54, v52 src0_sel:BYTE_0 src1_sel:DWORD
	v_and_b32_e32 v52, 1, v54
	v_mov_b32_e32 v54, 1
	v_cndmask_b32_e64 v53, 0, v55, s[4:5]
	v_and_b32_sdwa v54, v55, v54 dst_sel:DWORD dst_unused:UNUSED_PAD src0_sel:WORD_1 src1_sel:DWORD
	v_cmp_eq_u32_e64 s[4:5], 1, v52
	v_cndmask_b32_e64 v52, v54, 1, s[4:5]
	v_add_u16_e32 v56, v53, v51
	v_lshlrev_b32_e32 v54, 16, v52
	v_add_u16_e32 v51, v53, v51
	v_or3_b32 v53, v54, v51, v49
	v_mov_b32_e32 v54, v52
	v_mov_b32_e32 v51, v56
.LBB275_207:
	s_or_b64 exec, exec, s[50:51]
	v_mov_b32_dpp v53, v53 row_bcast:31 row_mask:0xf bank_mask:0xf
	v_cmp_lt_u32_e64 s[4:5], 31, v50
	s_and_saveexec_b64 s[50:51], s[4:5]
; %bb.208:
	v_mov_b32_e32 v52, 0
	v_cmp_eq_u16_sdwa s[4:5], v54, v52 src0_sel:BYTE_0 src1_sel:DWORD
	v_cndmask_b32_e64 v52, 0, v53, s[4:5]
	v_add_u16_e32 v51, v52, v51
	v_and_b32_e32 v52, 1, v54
	v_mov_b32_e32 v54, 1
	v_and_b32_sdwa v53, v53, v54 dst_sel:DWORD dst_unused:UNUSED_PAD src0_sel:WORD_1 src1_sel:DWORD
	v_cmp_eq_u32_e64 s[4:5], 1, v52
	v_cndmask_b32_e64 v52, v53, 1, s[4:5]
; %bb.209:
	s_or_b64 exec, exec, s[50:51]
	v_and_b32_e32 v52, 0xff, v52
	v_lshlrev_b32_e32 v52, 16, v52
	v_and_b32_e32 v51, 0xffff, v51
	v_or3_b32 v49, v52, v51, v49
	v_add_u32_e32 v51, -1, v50
	v_and_b32_e32 v52, 64, v50
	v_cmp_lt_i32_e64 s[4:5], v51, v52
	v_cndmask_b32_e64 v50, v51, v50, s[4:5]
	v_lshlrev_b32_e32 v50, 2, v50
	ds_bpermute_b32 v49, v50, v49
	v_and_b32_e32 v50, 0xff0000, v14
	v_cmp_eq_u32_e64 s[4:5], 0, v50
	; wave barrier
	s_waitcnt lgkmcnt(0)
	v_cndmask_b32_e64 v50, 0, v49, s[4:5]
	v_add_u16_e32 v14, v50, v14
	v_mov_b32_e32 v50, 1
	v_and_b32_sdwa v49, v49, v50 dst_sel:DWORD dst_unused:UNUSED_PAD src0_sel:WORD_1 src1_sel:DWORD
	v_cmp_eq_u32_e64 s[4:5], 0, v15
	v_cndmask_b32_e64 v15, 1, v49, s[4:5]
	v_cndmask_b32_e64 v14, v14, v48, s[0:1]
	v_cndmask_b32_e64 v3, v15, v3, s[0:1]
	ds_write_b16 v2, v14
	ds_write_b8 v2, v3 offset:2
	; wave barrier
	ds_read_u16 v15, v2 offset:4
	ds_read_u8 v49, v2 offset:6
	ds_read_u16 v50, v2 offset:8
	ds_read_u8 v51, v2 offset:10
	;; [unrolled: 2-line block ×3, first 2 shown]
	s_waitcnt lgkmcnt(4)
	v_cmp_eq_u16_e64 s[4:5], 0, v49
	v_cndmask_b32_e64 v14, 0, v14, s[4:5]
	v_add_u16_e32 v14, v14, v15
	v_and_b32_e32 v15, 1, v49
	v_cmp_eq_u32_e64 s[4:5], 1, v15
	v_cndmask_b32_e64 v3, v3, 1, s[4:5]
	s_waitcnt lgkmcnt(2)
	v_cmp_eq_u16_e64 s[4:5], 0, v51
	v_and_b32_e32 v15, 1, v51
	ds_write_b16 v2, v14 offset:4
	ds_write_b8 v2, v3 offset:6
	v_cndmask_b32_e64 v14, 0, v14, s[4:5]
	v_cmp_eq_u32_e64 s[4:5], 1, v15
	v_add_u16_e32 v14, v14, v50
	v_cndmask_b32_e64 v3, v3, 1, s[4:5]
	s_waitcnt lgkmcnt(2)
	v_cmp_eq_u16_e64 s[4:5], 0, v53
	ds_write_b16 v2, v14 offset:8
	ds_write_b8 v2, v3 offset:10
	v_cndmask_b32_e64 v14, 0, v14, s[4:5]
	v_and_b32_e32 v15, 1, v53
	v_add_u16_e32 v14, v14, v52
	v_cmp_eq_u32_e64 s[4:5], 1, v15
	v_cndmask_b32_e64 v3, v3, 1, s[4:5]
	ds_write_b16 v2, v14 offset:12
	ds_write_b8 v2, v3 offset:14
.LBB275_210:
	s_or_b64 exec, exec, s[48:49]
	v_mov_b32_e32 v2, v48
	s_waitcnt lgkmcnt(0)
	s_barrier
	s_and_saveexec_b64 s[4:5], s[52:53]
	s_cbranch_execnz .LBB275_285
; %bb.211:
	s_or_b64 exec, exec, s[4:5]
	s_and_saveexec_b64 s[48:49], s[52:53]
	s_cbranch_execnz .LBB275_286
.LBB275_212:
	s_or_b64 exec, exec, s[48:49]
	s_and_saveexec_b64 s[4:5], s[0:1]
	s_cbranch_execz .LBB275_214
.LBB275_213:
	v_mov_b32_e32 v13, 0
	s_waitcnt lgkmcnt(0)
	ds_read_u8 v2, v13 offset:1050
	ds_read_u16 v3, v13 offset:1048
	s_waitcnt lgkmcnt(1)
	v_lshlrev_b32_e32 v2, 16, v2
	s_waitcnt lgkmcnt(0)
	v_or_b32_e32 v2, v2, v3
	v_mov_b32_e32 v3, 2
	global_store_dwordx2 v13, v[2:3], s[72:73] offset:512
.LBB275_214:
	s_or_b64 exec, exec, s[4:5]
	v_mov_b32_e32 v49, v1
.LBB275_215:
	s_add_u32 s0, s62, s54
	s_addc_u32 s1, s63, s55
	s_add_u32 s4, s0, s56
	s_addc_u32 s5, s1, s57
	s_and_b64 vcc, exec, s[2:3]
	v_mul_u32_u24_e32 v14, 22, v0
	s_cbranch_vccz .LBB275_259
; %bb.216:
	s_mov_b32 s0, 0x5040100
	v_lshlrev_b32_e32 v33, 1, v14
	v_perm_b32 v1, v6, v5, s0
	s_waitcnt lgkmcnt(0)
	v_perm_b32 v2, v4, v49, s0
	s_barrier
	ds_write2_b32 v33, v2, v1 offset1:1
	v_perm_b32 v1, v10, v9, s0
	v_perm_b32 v2, v8, v7, s0
	ds_write2_b32 v33, v2, v1 offset0:2 offset1:3
	v_perm_b32 v1, v38, v37, s0
	v_perm_b32 v2, v36, v11, s0
	ds_write2_b32 v33, v2, v1 offset0:4 offset1:5
	;; [unrolled: 3-line block ×4, first 2 shown]
	v_perm_b32 v1, v48, v47, s0
	s_movk_i32 s0, 0xffd6
	v_mad_i32_i24 v2, v0, s0, v33
	ds_write_b32 v33, v1 offset:40
	s_waitcnt lgkmcnt(0)
	s_barrier
	ds_read_u16 v35, v2 offset:512
	ds_read_u16 v34, v2 offset:1024
	;; [unrolled: 1-line block ×21, first 2 shown]
	v_mov_b32_e32 v3, s5
	v_add_co_u32_e32 v2, vcc, s4, v12
	s_add_i32 s33, s33, s74
	v_addc_co_u32_e32 v3, vcc, 0, v3, vcc
	v_mov_b32_e32 v1, 0
	v_cmp_gt_u32_e32 vcc, s33, v0
	s_and_saveexec_b64 s[0:1], vcc
	s_cbranch_execz .LBB275_218
; %bb.217:
	v_mul_i32_i24_e32 v50, 0xffffffd6, v0
	v_add_u32_e32 v33, v33, v50
	ds_read_u16 v33, v33
	s_waitcnt lgkmcnt(0)
	flat_store_short v[2:3], v33
.LBB275_218:
	s_or_b64 exec, exec, s[0:1]
	v_or_b32_e32 v33, 0x100, v0
	v_cmp_gt_u32_e32 vcc, s33, v33
	s_and_saveexec_b64 s[0:1], vcc
	s_cbranch_execz .LBB275_220
; %bb.219:
	s_waitcnt lgkmcnt(0)
	flat_store_short v[2:3], v35 offset:512
.LBB275_220:
	s_or_b64 exec, exec, s[0:1]
	v_or_b32_e32 v33, 0x200, v0
	v_cmp_gt_u32_e32 vcc, s33, v33
	s_and_saveexec_b64 s[0:1], vcc
	s_cbranch_execz .LBB275_222
; %bb.221:
	s_waitcnt lgkmcnt(0)
	flat_store_short v[2:3], v34 offset:1024
.LBB275_222:
	;; [unrolled: 9-line block ×3, first 2 shown]
	s_or_b64 exec, exec, s[0:1]
	s_waitcnt lgkmcnt(0)
	v_or_b32_e32 v32, 0x400, v0
	v_cmp_gt_u32_e32 vcc, s33, v32
	s_and_saveexec_b64 s[0:1], vcc
	s_cbranch_execz .LBB275_226
; %bb.225:
	flat_store_short v[2:3], v31 offset:2048
.LBB275_226:
	s_or_b64 exec, exec, s[0:1]
	v_or_b32_e32 v31, 0x500, v0
	v_cmp_gt_u32_e32 vcc, s33, v31
	s_and_saveexec_b64 s[0:1], vcc
	s_cbranch_execz .LBB275_228
; %bb.227:
	flat_store_short v[2:3], v30 offset:2560
.LBB275_228:
	s_or_b64 exec, exec, s[0:1]
	;; [unrolled: 8-line block ×4, first 2 shown]
	v_or_b32_e32 v28, 0x800, v0
	v_cmp_gt_u32_e32 vcc, s33, v28
	s_and_saveexec_b64 s[0:1], vcc
	s_cbranch_execz .LBB275_234
; %bb.233:
	v_add_co_u32_e32 v28, vcc, 0x1000, v2
	v_addc_co_u32_e32 v29, vcc, 0, v3, vcc
	flat_store_short v[28:29], v27
.LBB275_234:
	s_or_b64 exec, exec, s[0:1]
	v_or_b32_e32 v27, 0x900, v0
	v_cmp_gt_u32_e32 vcc, s33, v27
	s_and_saveexec_b64 s[0:1], vcc
	s_cbranch_execz .LBB275_236
; %bb.235:
	v_add_co_u32_e32 v28, vcc, 0x1000, v2
	v_addc_co_u32_e32 v29, vcc, 0, v3, vcc
	flat_store_short v[28:29], v26 offset:512
.LBB275_236:
	s_or_b64 exec, exec, s[0:1]
	v_or_b32_e32 v26, 0xa00, v0
	v_cmp_gt_u32_e32 vcc, s33, v26
	s_and_saveexec_b64 s[0:1], vcc
	s_cbranch_execz .LBB275_238
; %bb.237:
	v_add_co_u32_e32 v26, vcc, 0x1000, v2
	v_addc_co_u32_e32 v27, vcc, 0, v3, vcc
	flat_store_short v[26:27], v25 offset:1024
.LBB275_238:
	s_or_b64 exec, exec, s[0:1]
	v_or_b32_e32 v25, 0xb00, v0
	v_cmp_gt_u32_e32 vcc, s33, v25
	s_and_saveexec_b64 s[0:1], vcc
	s_cbranch_execz .LBB275_240
; %bb.239:
	v_add_co_u32_e32 v26, vcc, 0x1000, v2
	v_addc_co_u32_e32 v27, vcc, 0, v3, vcc
	flat_store_short v[26:27], v24 offset:1536
.LBB275_240:
	s_or_b64 exec, exec, s[0:1]
	v_or_b32_e32 v24, 0xc00, v0
	v_cmp_gt_u32_e32 vcc, s33, v24
	s_and_saveexec_b64 s[0:1], vcc
	s_cbranch_execz .LBB275_242
; %bb.241:
	v_add_co_u32_e32 v24, vcc, 0x1000, v2
	v_addc_co_u32_e32 v25, vcc, 0, v3, vcc
	flat_store_short v[24:25], v23 offset:2048
.LBB275_242:
	s_or_b64 exec, exec, s[0:1]
	v_or_b32_e32 v23, 0xd00, v0
	v_cmp_gt_u32_e32 vcc, s33, v23
	s_and_saveexec_b64 s[0:1], vcc
	s_cbranch_execz .LBB275_244
; %bb.243:
	v_add_co_u32_e32 v24, vcc, 0x1000, v2
	v_addc_co_u32_e32 v25, vcc, 0, v3, vcc
	flat_store_short v[24:25], v22 offset:2560
.LBB275_244:
	s_or_b64 exec, exec, s[0:1]
	v_or_b32_e32 v22, 0xe00, v0
	v_cmp_gt_u32_e32 vcc, s33, v22
	s_and_saveexec_b64 s[0:1], vcc
	s_cbranch_execz .LBB275_246
; %bb.245:
	v_add_co_u32_e32 v22, vcc, 0x1000, v2
	v_addc_co_u32_e32 v23, vcc, 0, v3, vcc
	flat_store_short v[22:23], v21 offset:3072
.LBB275_246:
	s_or_b64 exec, exec, s[0:1]
	v_or_b32_e32 v21, 0xf00, v0
	v_cmp_gt_u32_e32 vcc, s33, v21
	s_and_saveexec_b64 s[0:1], vcc
	s_cbranch_execz .LBB275_248
; %bb.247:
	v_add_co_u32_e32 v22, vcc, 0x1000, v2
	v_addc_co_u32_e32 v23, vcc, 0, v3, vcc
	flat_store_short v[22:23], v20 offset:3584
.LBB275_248:
	s_or_b64 exec, exec, s[0:1]
	v_or_b32_e32 v20, 0x1000, v0
	v_cmp_gt_u32_e32 vcc, s33, v20
	s_and_saveexec_b64 s[0:1], vcc
	s_cbranch_execz .LBB275_250
; %bb.249:
	v_add_co_u32_e32 v20, vcc, 0x2000, v2
	v_addc_co_u32_e32 v21, vcc, 0, v3, vcc
	flat_store_short v[20:21], v19
.LBB275_250:
	s_or_b64 exec, exec, s[0:1]
	v_or_b32_e32 v19, 0x1100, v0
	v_cmp_gt_u32_e32 vcc, s33, v19
	s_and_saveexec_b64 s[0:1], vcc
	s_cbranch_execz .LBB275_252
; %bb.251:
	v_add_co_u32_e32 v20, vcc, 0x2000, v2
	v_addc_co_u32_e32 v21, vcc, 0, v3, vcc
	flat_store_short v[20:21], v18 offset:512
.LBB275_252:
	s_or_b64 exec, exec, s[0:1]
	v_or_b32_e32 v18, 0x1200, v0
	v_cmp_gt_u32_e32 vcc, s33, v18
	s_and_saveexec_b64 s[0:1], vcc
	s_cbranch_execz .LBB275_254
; %bb.253:
	v_add_co_u32_e32 v18, vcc, 0x2000, v2
	v_addc_co_u32_e32 v19, vcc, 0, v3, vcc
	flat_store_short v[18:19], v17 offset:1024
.LBB275_254:
	;; [unrolled: 10-line block ×4, first 2 shown]
	s_or_b64 exec, exec, s[0:1]
	v_or_b32_e32 v2, 0x1500, v0
	v_cmp_gt_u32_e64 s[0:1], s33, v2
	s_branch .LBB275_261
.LBB275_259:
	s_mov_b64 s[0:1], 0
                                        ; implicit-def: $vgpr13
	s_cbranch_execz .LBB275_261
; %bb.260:
	s_mov_b32 s2, 0x5040100
	s_waitcnt lgkmcnt(0)
	v_lshlrev_b32_e32 v2, 1, v14
	v_perm_b32 v1, v6, v5, s2
	v_perm_b32 v3, v4, v49, s2
	s_barrier
	ds_write2_b32 v2, v3, v1 offset1:1
	v_perm_b32 v1, v10, v9, s2
	v_perm_b32 v3, v8, v7, s2
	ds_write2_b32 v2, v3, v1 offset0:2 offset1:3
	v_perm_b32 v1, v38, v37, s2
	v_perm_b32 v3, v36, v11, s2
	ds_write2_b32 v2, v3, v1 offset0:4 offset1:5
	;; [unrolled: 3-line block ×4, first 2 shown]
	v_perm_b32 v1, v48, v47, s2
	s_movk_i32 s2, 0xffd6
	ds_write_b32 v2, v1 offset:40
	v_mad_i32_i24 v2, v0, s2, v2
	s_waitcnt lgkmcnt(0)
	s_barrier
	ds_read_u16 v4, v2
	ds_read_u16 v5, v2 offset:512
	ds_read_u16 v6, v2 offset:1024
	ds_read_u16 v7, v2 offset:1536
	ds_read_u16 v8, v2 offset:2048
	ds_read_u16 v9, v2 offset:2560
	ds_read_u16 v10, v2 offset:3072
	ds_read_u16 v11, v2 offset:3584
	ds_read_u16 v14, v2 offset:4096
	ds_read_u16 v15, v2 offset:4608
	ds_read_u16 v16, v2 offset:5120
	ds_read_u16 v17, v2 offset:5632
	ds_read_u16 v18, v2 offset:6144
	ds_read_u16 v19, v2 offset:6656
	ds_read_u16 v20, v2 offset:7168
	ds_read_u16 v21, v2 offset:7680
	ds_read_u16 v22, v2 offset:8192
	ds_read_u16 v23, v2 offset:8704
	ds_read_u16 v24, v2 offset:9216
	ds_read_u16 v25, v2 offset:9728
	ds_read_u16 v26, v2 offset:10240
	ds_read_u16 v13, v2 offset:10752
	v_mov_b32_e32 v3, s5
	v_add_co_u32_e32 v2, vcc, s4, v12
	v_addc_co_u32_e32 v3, vcc, 0, v3, vcc
	s_movk_i32 s2, 0x1000
	s_waitcnt lgkmcnt(0)
	flat_store_short v[2:3], v4
	flat_store_short v[2:3], v5 offset:512
	flat_store_short v[2:3], v6 offset:1024
	;; [unrolled: 1-line block ×7, first 2 shown]
	v_add_co_u32_e32 v4, vcc, s2, v2
	v_addc_co_u32_e32 v5, vcc, 0, v3, vcc
	v_add_co_u32_e32 v2, vcc, 0x2000, v2
	v_mov_b32_e32 v1, 0
	v_addc_co_u32_e32 v3, vcc, 0, v3, vcc
	s_or_b64 s[0:1], s[0:1], exec
	flat_store_short v[4:5], v14
	flat_store_short v[4:5], v15 offset:512
	flat_store_short v[4:5], v16 offset:1024
	;; [unrolled: 1-line block ×7, first 2 shown]
	flat_store_short v[2:3], v22
	flat_store_short v[2:3], v23 offset:512
	flat_store_short v[2:3], v24 offset:1024
	;; [unrolled: 1-line block ×4, first 2 shown]
.LBB275_261:
	s_and_saveexec_b64 s[2:3], s[0:1]
	s_cbranch_execnz .LBB275_263
; %bb.262:
	s_endpgm
.LBB275_263:
	v_lshlrev_b64 v[0:1], 1, v[0:1]
	s_waitcnt lgkmcnt(0)
	v_mov_b32_e32 v2, s5
	v_add_co_u32_e32 v0, vcc, s4, v0
	v_addc_co_u32_e32 v1, vcc, v2, v1, vcc
	v_add_co_u32_e32 v0, vcc, 0x2000, v0
	v_addc_co_u32_e32 v1, vcc, 0, v1, vcc
	flat_store_short v[0:1], v13 offset:2560
	s_endpgm
.LBB275_264:
	v_mov_b32_e32 v27, s79
	v_add_co_u32_e32 v26, vcc, s78, v20
	v_addc_co_u32_e32 v27, vcc, 0, v27, vcc
	flat_load_ushort v26, v[26:27]
	s_or_b64 exec, exec, s[4:5]
                                        ; implicit-def: $vgpr27
	s_and_saveexec_b64 s[4:5], s[8:9]
	s_cbranch_execz .LBB275_57
.LBB275_265:
	v_mov_b32_e32 v27, s79
	v_add_co_u32_e32 v28, vcc, s78, v20
	v_addc_co_u32_e32 v29, vcc, 0, v27, vcc
	flat_load_ushort v27, v[28:29] offset:512
	s_or_b64 exec, exec, s[4:5]
                                        ; implicit-def: $vgpr28
	s_and_saveexec_b64 s[4:5], s[10:11]
	s_cbranch_execz .LBB275_58
.LBB275_266:
	v_mov_b32_e32 v29, s79
	v_add_co_u32_e32 v28, vcc, s78, v20
	v_addc_co_u32_e32 v29, vcc, 0, v29, vcc
	flat_load_ushort v28, v[28:29] offset:1024
	s_or_b64 exec, exec, s[4:5]
                                        ; implicit-def: $vgpr29
	s_and_saveexec_b64 s[4:5], s[12:13]
	s_cbranch_execz .LBB275_59
.LBB275_267:
	v_mov_b32_e32 v29, s79
	v_add_co_u32_e32 v30, vcc, s78, v20
	v_addc_co_u32_e32 v31, vcc, 0, v29, vcc
	flat_load_ushort v29, v[30:31] offset:1536
	s_or_b64 exec, exec, s[4:5]
                                        ; implicit-def: $vgpr30
	s_and_saveexec_b64 s[4:5], s[14:15]
	s_cbranch_execz .LBB275_60
.LBB275_268:
	v_mov_b32_e32 v31, s79
	v_add_co_u32_e32 v30, vcc, s78, v20
	v_addc_co_u32_e32 v31, vcc, 0, v31, vcc
	flat_load_ushort v30, v[30:31] offset:2048
	s_or_b64 exec, exec, s[4:5]
                                        ; implicit-def: $vgpr31
	s_and_saveexec_b64 s[4:5], s[16:17]
	s_cbranch_execz .LBB275_61
.LBB275_269:
	v_mov_b32_e32 v31, s79
	v_add_co_u32_e32 v32, vcc, s78, v20
	v_addc_co_u32_e32 v33, vcc, 0, v31, vcc
	flat_load_ushort v31, v[32:33] offset:2560
	s_or_b64 exec, exec, s[4:5]
                                        ; implicit-def: $vgpr32
	s_and_saveexec_b64 s[4:5], s[18:19]
	s_cbranch_execz .LBB275_62
.LBB275_270:
	v_mov_b32_e32 v33, s79
	v_add_co_u32_e32 v32, vcc, s78, v20
	v_addc_co_u32_e32 v33, vcc, 0, v33, vcc
	flat_load_ushort v32, v[32:33] offset:3072
	s_or_b64 exec, exec, s[4:5]
                                        ; implicit-def: $vgpr33
	s_and_saveexec_b64 s[4:5], s[20:21]
	s_cbranch_execz .LBB275_63
.LBB275_271:
	v_mov_b32_e32 v33, s79
	v_add_co_u32_e32 v34, vcc, s78, v20
	v_addc_co_u32_e32 v35, vcc, 0, v33, vcc
	flat_load_ushort v33, v[34:35] offset:3584
	s_or_b64 exec, exec, s[4:5]
                                        ; implicit-def: $vgpr34
	s_and_saveexec_b64 s[4:5], s[22:23]
	s_cbranch_execz .LBB275_64
.LBB275_272:
	v_mov_b32_e32 v35, s79
	v_add_co_u32_e32 v34, vcc, s78, v1
	v_addc_co_u32_e32 v35, vcc, 0, v35, vcc
	flat_load_ushort v34, v[34:35]
	s_or_b64 exec, exec, s[4:5]
                                        ; implicit-def: $vgpr1
	s_and_saveexec_b64 s[4:5], s[24:25]
	s_cbranch_execz .LBB275_65
.LBB275_273:
	v_mov_b32_e32 v1, s79
	v_add_co_u32_e32 v42, vcc, s78, v2
	v_addc_co_u32_e32 v43, vcc, 0, v1, vcc
	flat_load_ushort v1, v[42:43]
	s_or_b64 exec, exec, s[4:5]
                                        ; implicit-def: $vgpr2
	s_and_saveexec_b64 s[4:5], s[26:27]
	s_cbranch_execz .LBB275_66
.LBB275_274:
	v_mov_b32_e32 v35, s79
	v_add_co_u32_e32 v2, vcc, s78, v3
	v_addc_co_u32_e32 v3, vcc, 0, v35, vcc
	flat_load_ushort v2, v[2:3]
	s_or_b64 exec, exec, s[4:5]
                                        ; implicit-def: $vgpr3
	s_and_saveexec_b64 s[4:5], s[28:29]
	s_cbranch_execz .LBB275_67
.LBB275_275:
	v_mov_b32_e32 v3, s79
	v_add_co_u32_e32 v42, vcc, s78, v4
	v_addc_co_u32_e32 v43, vcc, 0, v3, vcc
	flat_load_ushort v3, v[42:43]
	s_or_b64 exec, exec, s[4:5]
                                        ; implicit-def: $vgpr4
	s_and_saveexec_b64 s[4:5], s[30:31]
	s_cbranch_execz .LBB275_68
.LBB275_276:
	v_mov_b32_e32 v35, s79
	v_add_co_u32_e32 v4, vcc, s78, v5
	v_addc_co_u32_e32 v5, vcc, 0, v35, vcc
	flat_load_ushort v4, v[4:5]
	s_or_b64 exec, exec, s[4:5]
                                        ; implicit-def: $vgpr5
	s_and_saveexec_b64 s[4:5], s[34:35]
	s_cbranch_execz .LBB275_69
.LBB275_277:
	v_mov_b32_e32 v5, s79
	v_add_co_u32_e32 v42, vcc, s78, v16
	v_addc_co_u32_e32 v43, vcc, 0, v5, vcc
	flat_load_ushort v5, v[42:43]
	s_or_b64 exec, exec, s[4:5]
                                        ; implicit-def: $vgpr16
	s_and_saveexec_b64 s[4:5], s[36:37]
	s_cbranch_execz .LBB275_70
.LBB275_278:
	v_mov_b32_e32 v35, s79
	v_add_co_u32_e32 v16, vcc, s78, v17
	v_addc_co_u32_e32 v17, vcc, 0, v35, vcc
	flat_load_ushort v16, v[16:17]
	s_or_b64 exec, exec, s[4:5]
                                        ; implicit-def: $vgpr17
	s_and_saveexec_b64 s[4:5], s[38:39]
	s_cbranch_execz .LBB275_71
.LBB275_279:
	v_mov_b32_e32 v17, s79
	v_add_co_u32_e32 v42, vcc, s78, v18
	v_addc_co_u32_e32 v43, vcc, 0, v17, vcc
	flat_load_ushort v17, v[42:43]
	s_or_b64 exec, exec, s[4:5]
                                        ; implicit-def: $vgpr18
	s_and_saveexec_b64 s[4:5], s[40:41]
	s_cbranch_execz .LBB275_72
.LBB275_280:
	v_mov_b32_e32 v35, s79
	v_add_co_u32_e32 v18, vcc, s78, v19
	v_addc_co_u32_e32 v19, vcc, 0, v35, vcc
	flat_load_ushort v18, v[18:19]
	s_or_b64 exec, exec, s[4:5]
                                        ; implicit-def: $vgpr19
	s_and_saveexec_b64 s[4:5], s[42:43]
	s_cbranch_execz .LBB275_73
.LBB275_281:
	v_mov_b32_e32 v19, s79
	v_add_co_u32_e32 v42, vcc, s78, v21
	v_addc_co_u32_e32 v43, vcc, 0, v19, vcc
	flat_load_ushort v19, v[42:43]
	s_or_b64 exec, exec, s[4:5]
                                        ; implicit-def: $vgpr21
	s_and_saveexec_b64 s[4:5], s[44:45]
	s_cbranch_execz .LBB275_74
.LBB275_282:
	v_mov_b32_e32 v21, s79
	v_add_co_u32_e32 v42, vcc, s78, v22
	v_addc_co_u32_e32 v43, vcc, 0, v21, vcc
	flat_load_ushort v21, v[42:43]
	s_or_b64 exec, exec, s[4:5]
                                        ; implicit-def: $vgpr22
	s_and_saveexec_b64 s[4:5], s[46:47]
	s_cbranch_execz .LBB275_75
.LBB275_283:
	v_mov_b32_e32 v35, s79
	v_add_co_u32_e32 v22, vcc, s78, v23
	v_addc_co_u32_e32 v23, vcc, 0, v35, vcc
	flat_load_ushort v22, v[22:23]
	s_or_b64 exec, exec, s[4:5]
                                        ; implicit-def: $vgpr23
	s_and_saveexec_b64 s[4:5], s[48:49]
	s_cbranch_execz .LBB275_76
.LBB275_284:
	v_mov_b32_e32 v23, s79
	v_add_co_u32_e32 v42, vcc, s78, v24
	v_addc_co_u32_e32 v43, vcc, 0, v23, vcc
	flat_load_ushort v23, v[42:43]
	s_or_b64 exec, exec, s[4:5]
                                        ; implicit-def: $vgpr24
	s_and_saveexec_b64 s[4:5], s[50:51]
	s_cbranch_execnz .LBB275_77
	s_branch .LBB275_78
.LBB275_285:
	v_add_u32_e32 v2, -1, v0
	v_lshrrev_b32_e32 v3, 5, v2
	v_add_lshl_u32 v2, v3, v2, 2
	ds_read_u16 v2, v2
	s_or_b64 exec, exec, s[4:5]
	s_and_saveexec_b64 s[48:49], s[52:53]
	s_cbranch_execz .LBB275_212
.LBB275_286:
	s_mov_b32 s4, 0x10000
	s_waitcnt lgkmcnt(0)
	v_and_b32_e32 v2, 0xffff, v2
	v_cmp_gt_u32_e64 s[4:5], s4, v1
	v_cndmask_b32_e64 v2, 0, v2, s[4:5]
	v_add_u32_e32 v1, v2, v1
	v_cndmask_b32_e32 v2, 0, v1, vcc
	v_add_u16_e32 v4, v2, v16
	v_cndmask_b32_e64 v2, 0, v4, s[6:7]
	v_add_u16_e32 v5, v2, v17
	v_cndmask_b32_e64 v2, 0, v5, s[8:9]
	;; [unrolled: 2-line block ×20, first 2 shown]
	v_add_u16_e32 v48, v2, v13
	;;#ASMSTART
	;;#ASMEND
	s_or_b64 exec, exec, s[48:49]
	s_and_saveexec_b64 s[4:5], s[0:1]
	s_cbranch_execnz .LBB275_213
	s_branch .LBB275_214
.LBB275_287:
                                        ; implicit-def: $sgpr4_sgpr5
	s_branch .LBB275_52
.LBB275_288:
                                        ; implicit-def: $sgpr4_sgpr5
	s_branch .LBB275_125
	.section	.rodata,"a",@progbits
	.p2align	6, 0x0
	.amdhsa_kernel _ZN7rocprim17ROCPRIM_400000_NS6detail17trampoline_kernelINS0_14default_configENS1_27scan_by_key_config_selectorIssEEZZNS1_16scan_by_key_implILNS1_25lookback_scan_determinismE0ELb0ES3_N6thrust23THRUST_200600_302600_NS6detail15normal_iteratorINS9_10device_ptrIsEEEESE_SE_sNS9_4plusIvEENS9_8equal_toIvEEsEE10hipError_tPvRmT2_T3_T4_T5_mT6_T7_P12ihipStream_tbENKUlT_T0_E_clISt17integral_constantIbLb0EESY_IbLb1EEEEDaSU_SV_EUlSU_E_NS1_11comp_targetILNS1_3genE4ELNS1_11target_archE910ELNS1_3gpuE8ELNS1_3repE0EEENS1_30default_config_static_selectorELNS0_4arch9wavefront6targetE1EEEvT1_
		.amdhsa_group_segment_fixed_size 12288
		.amdhsa_private_segment_fixed_size 0
		.amdhsa_kernarg_size 112
		.amdhsa_user_sgpr_count 6
		.amdhsa_user_sgpr_private_segment_buffer 1
		.amdhsa_user_sgpr_dispatch_ptr 0
		.amdhsa_user_sgpr_queue_ptr 0
		.amdhsa_user_sgpr_kernarg_segment_ptr 1
		.amdhsa_user_sgpr_dispatch_id 0
		.amdhsa_user_sgpr_flat_scratch_init 0
		.amdhsa_user_sgpr_kernarg_preload_length 0
		.amdhsa_user_sgpr_kernarg_preload_offset 0
		.amdhsa_user_sgpr_private_segment_size 0
		.amdhsa_uses_dynamic_stack 0
		.amdhsa_system_sgpr_private_segment_wavefront_offset 0
		.amdhsa_system_sgpr_workgroup_id_x 1
		.amdhsa_system_sgpr_workgroup_id_y 0
		.amdhsa_system_sgpr_workgroup_id_z 0
		.amdhsa_system_sgpr_workgroup_info 0
		.amdhsa_system_vgpr_workitem_id 0
		.amdhsa_next_free_vgpr 58
		.amdhsa_next_free_sgpr 82
		.amdhsa_accum_offset 60
		.amdhsa_reserve_vcc 1
		.amdhsa_reserve_flat_scratch 0
		.amdhsa_float_round_mode_32 0
		.amdhsa_float_round_mode_16_64 0
		.amdhsa_float_denorm_mode_32 3
		.amdhsa_float_denorm_mode_16_64 3
		.amdhsa_dx10_clamp 1
		.amdhsa_ieee_mode 1
		.amdhsa_fp16_overflow 0
		.amdhsa_tg_split 0
		.amdhsa_exception_fp_ieee_invalid_op 0
		.amdhsa_exception_fp_denorm_src 0
		.amdhsa_exception_fp_ieee_div_zero 0
		.amdhsa_exception_fp_ieee_overflow 0
		.amdhsa_exception_fp_ieee_underflow 0
		.amdhsa_exception_fp_ieee_inexact 0
		.amdhsa_exception_int_div_zero 0
	.end_amdhsa_kernel
	.section	.text._ZN7rocprim17ROCPRIM_400000_NS6detail17trampoline_kernelINS0_14default_configENS1_27scan_by_key_config_selectorIssEEZZNS1_16scan_by_key_implILNS1_25lookback_scan_determinismE0ELb0ES3_N6thrust23THRUST_200600_302600_NS6detail15normal_iteratorINS9_10device_ptrIsEEEESE_SE_sNS9_4plusIvEENS9_8equal_toIvEEsEE10hipError_tPvRmT2_T3_T4_T5_mT6_T7_P12ihipStream_tbENKUlT_T0_E_clISt17integral_constantIbLb0EESY_IbLb1EEEEDaSU_SV_EUlSU_E_NS1_11comp_targetILNS1_3genE4ELNS1_11target_archE910ELNS1_3gpuE8ELNS1_3repE0EEENS1_30default_config_static_selectorELNS0_4arch9wavefront6targetE1EEEvT1_,"axG",@progbits,_ZN7rocprim17ROCPRIM_400000_NS6detail17trampoline_kernelINS0_14default_configENS1_27scan_by_key_config_selectorIssEEZZNS1_16scan_by_key_implILNS1_25lookback_scan_determinismE0ELb0ES3_N6thrust23THRUST_200600_302600_NS6detail15normal_iteratorINS9_10device_ptrIsEEEESE_SE_sNS9_4plusIvEENS9_8equal_toIvEEsEE10hipError_tPvRmT2_T3_T4_T5_mT6_T7_P12ihipStream_tbENKUlT_T0_E_clISt17integral_constantIbLb0EESY_IbLb1EEEEDaSU_SV_EUlSU_E_NS1_11comp_targetILNS1_3genE4ELNS1_11target_archE910ELNS1_3gpuE8ELNS1_3repE0EEENS1_30default_config_static_selectorELNS0_4arch9wavefront6targetE1EEEvT1_,comdat
.Lfunc_end275:
	.size	_ZN7rocprim17ROCPRIM_400000_NS6detail17trampoline_kernelINS0_14default_configENS1_27scan_by_key_config_selectorIssEEZZNS1_16scan_by_key_implILNS1_25lookback_scan_determinismE0ELb0ES3_N6thrust23THRUST_200600_302600_NS6detail15normal_iteratorINS9_10device_ptrIsEEEESE_SE_sNS9_4plusIvEENS9_8equal_toIvEEsEE10hipError_tPvRmT2_T3_T4_T5_mT6_T7_P12ihipStream_tbENKUlT_T0_E_clISt17integral_constantIbLb0EESY_IbLb1EEEEDaSU_SV_EUlSU_E_NS1_11comp_targetILNS1_3genE4ELNS1_11target_archE910ELNS1_3gpuE8ELNS1_3repE0EEENS1_30default_config_static_selectorELNS0_4arch9wavefront6targetE1EEEvT1_, .Lfunc_end275-_ZN7rocprim17ROCPRIM_400000_NS6detail17trampoline_kernelINS0_14default_configENS1_27scan_by_key_config_selectorIssEEZZNS1_16scan_by_key_implILNS1_25lookback_scan_determinismE0ELb0ES3_N6thrust23THRUST_200600_302600_NS6detail15normal_iteratorINS9_10device_ptrIsEEEESE_SE_sNS9_4plusIvEENS9_8equal_toIvEEsEE10hipError_tPvRmT2_T3_T4_T5_mT6_T7_P12ihipStream_tbENKUlT_T0_E_clISt17integral_constantIbLb0EESY_IbLb1EEEEDaSU_SV_EUlSU_E_NS1_11comp_targetILNS1_3genE4ELNS1_11target_archE910ELNS1_3gpuE8ELNS1_3repE0EEENS1_30default_config_static_selectorELNS0_4arch9wavefront6targetE1EEEvT1_
                                        ; -- End function
	.section	.AMDGPU.csdata,"",@progbits
; Kernel info:
; codeLenInByte = 15612
; NumSgprs: 86
; NumVgprs: 58
; NumAgprs: 0
; TotalNumVgprs: 58
; ScratchSize: 0
; MemoryBound: 0
; FloatMode: 240
; IeeeMode: 1
; LDSByteSize: 12288 bytes/workgroup (compile time only)
; SGPRBlocks: 10
; VGPRBlocks: 7
; NumSGPRsForWavesPerEU: 86
; NumVGPRsForWavesPerEU: 58
; AccumOffset: 60
; Occupancy: 5
; WaveLimiterHint : 1
; COMPUTE_PGM_RSRC2:SCRATCH_EN: 0
; COMPUTE_PGM_RSRC2:USER_SGPR: 6
; COMPUTE_PGM_RSRC2:TRAP_HANDLER: 0
; COMPUTE_PGM_RSRC2:TGID_X_EN: 1
; COMPUTE_PGM_RSRC2:TGID_Y_EN: 0
; COMPUTE_PGM_RSRC2:TGID_Z_EN: 0
; COMPUTE_PGM_RSRC2:TIDIG_COMP_CNT: 0
; COMPUTE_PGM_RSRC3_GFX90A:ACCUM_OFFSET: 14
; COMPUTE_PGM_RSRC3_GFX90A:TG_SPLIT: 0
	.section	.text._ZN7rocprim17ROCPRIM_400000_NS6detail17trampoline_kernelINS0_14default_configENS1_27scan_by_key_config_selectorIssEEZZNS1_16scan_by_key_implILNS1_25lookback_scan_determinismE0ELb0ES3_N6thrust23THRUST_200600_302600_NS6detail15normal_iteratorINS9_10device_ptrIsEEEESE_SE_sNS9_4plusIvEENS9_8equal_toIvEEsEE10hipError_tPvRmT2_T3_T4_T5_mT6_T7_P12ihipStream_tbENKUlT_T0_E_clISt17integral_constantIbLb0EESY_IbLb1EEEEDaSU_SV_EUlSU_E_NS1_11comp_targetILNS1_3genE3ELNS1_11target_archE908ELNS1_3gpuE7ELNS1_3repE0EEENS1_30default_config_static_selectorELNS0_4arch9wavefront6targetE1EEEvT1_,"axG",@progbits,_ZN7rocprim17ROCPRIM_400000_NS6detail17trampoline_kernelINS0_14default_configENS1_27scan_by_key_config_selectorIssEEZZNS1_16scan_by_key_implILNS1_25lookback_scan_determinismE0ELb0ES3_N6thrust23THRUST_200600_302600_NS6detail15normal_iteratorINS9_10device_ptrIsEEEESE_SE_sNS9_4plusIvEENS9_8equal_toIvEEsEE10hipError_tPvRmT2_T3_T4_T5_mT6_T7_P12ihipStream_tbENKUlT_T0_E_clISt17integral_constantIbLb0EESY_IbLb1EEEEDaSU_SV_EUlSU_E_NS1_11comp_targetILNS1_3genE3ELNS1_11target_archE908ELNS1_3gpuE7ELNS1_3repE0EEENS1_30default_config_static_selectorELNS0_4arch9wavefront6targetE1EEEvT1_,comdat
	.protected	_ZN7rocprim17ROCPRIM_400000_NS6detail17trampoline_kernelINS0_14default_configENS1_27scan_by_key_config_selectorIssEEZZNS1_16scan_by_key_implILNS1_25lookback_scan_determinismE0ELb0ES3_N6thrust23THRUST_200600_302600_NS6detail15normal_iteratorINS9_10device_ptrIsEEEESE_SE_sNS9_4plusIvEENS9_8equal_toIvEEsEE10hipError_tPvRmT2_T3_T4_T5_mT6_T7_P12ihipStream_tbENKUlT_T0_E_clISt17integral_constantIbLb0EESY_IbLb1EEEEDaSU_SV_EUlSU_E_NS1_11comp_targetILNS1_3genE3ELNS1_11target_archE908ELNS1_3gpuE7ELNS1_3repE0EEENS1_30default_config_static_selectorELNS0_4arch9wavefront6targetE1EEEvT1_ ; -- Begin function _ZN7rocprim17ROCPRIM_400000_NS6detail17trampoline_kernelINS0_14default_configENS1_27scan_by_key_config_selectorIssEEZZNS1_16scan_by_key_implILNS1_25lookback_scan_determinismE0ELb0ES3_N6thrust23THRUST_200600_302600_NS6detail15normal_iteratorINS9_10device_ptrIsEEEESE_SE_sNS9_4plusIvEENS9_8equal_toIvEEsEE10hipError_tPvRmT2_T3_T4_T5_mT6_T7_P12ihipStream_tbENKUlT_T0_E_clISt17integral_constantIbLb0EESY_IbLb1EEEEDaSU_SV_EUlSU_E_NS1_11comp_targetILNS1_3genE3ELNS1_11target_archE908ELNS1_3gpuE7ELNS1_3repE0EEENS1_30default_config_static_selectorELNS0_4arch9wavefront6targetE1EEEvT1_
	.globl	_ZN7rocprim17ROCPRIM_400000_NS6detail17trampoline_kernelINS0_14default_configENS1_27scan_by_key_config_selectorIssEEZZNS1_16scan_by_key_implILNS1_25lookback_scan_determinismE0ELb0ES3_N6thrust23THRUST_200600_302600_NS6detail15normal_iteratorINS9_10device_ptrIsEEEESE_SE_sNS9_4plusIvEENS9_8equal_toIvEEsEE10hipError_tPvRmT2_T3_T4_T5_mT6_T7_P12ihipStream_tbENKUlT_T0_E_clISt17integral_constantIbLb0EESY_IbLb1EEEEDaSU_SV_EUlSU_E_NS1_11comp_targetILNS1_3genE3ELNS1_11target_archE908ELNS1_3gpuE7ELNS1_3repE0EEENS1_30default_config_static_selectorELNS0_4arch9wavefront6targetE1EEEvT1_
	.p2align	8
	.type	_ZN7rocprim17ROCPRIM_400000_NS6detail17trampoline_kernelINS0_14default_configENS1_27scan_by_key_config_selectorIssEEZZNS1_16scan_by_key_implILNS1_25lookback_scan_determinismE0ELb0ES3_N6thrust23THRUST_200600_302600_NS6detail15normal_iteratorINS9_10device_ptrIsEEEESE_SE_sNS9_4plusIvEENS9_8equal_toIvEEsEE10hipError_tPvRmT2_T3_T4_T5_mT6_T7_P12ihipStream_tbENKUlT_T0_E_clISt17integral_constantIbLb0EESY_IbLb1EEEEDaSU_SV_EUlSU_E_NS1_11comp_targetILNS1_3genE3ELNS1_11target_archE908ELNS1_3gpuE7ELNS1_3repE0EEENS1_30default_config_static_selectorELNS0_4arch9wavefront6targetE1EEEvT1_,@function
_ZN7rocprim17ROCPRIM_400000_NS6detail17trampoline_kernelINS0_14default_configENS1_27scan_by_key_config_selectorIssEEZZNS1_16scan_by_key_implILNS1_25lookback_scan_determinismE0ELb0ES3_N6thrust23THRUST_200600_302600_NS6detail15normal_iteratorINS9_10device_ptrIsEEEESE_SE_sNS9_4plusIvEENS9_8equal_toIvEEsEE10hipError_tPvRmT2_T3_T4_T5_mT6_T7_P12ihipStream_tbENKUlT_T0_E_clISt17integral_constantIbLb0EESY_IbLb1EEEEDaSU_SV_EUlSU_E_NS1_11comp_targetILNS1_3genE3ELNS1_11target_archE908ELNS1_3gpuE7ELNS1_3repE0EEENS1_30default_config_static_selectorELNS0_4arch9wavefront6targetE1EEEvT1_: ; @_ZN7rocprim17ROCPRIM_400000_NS6detail17trampoline_kernelINS0_14default_configENS1_27scan_by_key_config_selectorIssEEZZNS1_16scan_by_key_implILNS1_25lookback_scan_determinismE0ELb0ES3_N6thrust23THRUST_200600_302600_NS6detail15normal_iteratorINS9_10device_ptrIsEEEESE_SE_sNS9_4plusIvEENS9_8equal_toIvEEsEE10hipError_tPvRmT2_T3_T4_T5_mT6_T7_P12ihipStream_tbENKUlT_T0_E_clISt17integral_constantIbLb0EESY_IbLb1EEEEDaSU_SV_EUlSU_E_NS1_11comp_targetILNS1_3genE3ELNS1_11target_archE908ELNS1_3gpuE7ELNS1_3repE0EEENS1_30default_config_static_selectorELNS0_4arch9wavefront6targetE1EEEvT1_
; %bb.0:
	.section	.rodata,"a",@progbits
	.p2align	6, 0x0
	.amdhsa_kernel _ZN7rocprim17ROCPRIM_400000_NS6detail17trampoline_kernelINS0_14default_configENS1_27scan_by_key_config_selectorIssEEZZNS1_16scan_by_key_implILNS1_25lookback_scan_determinismE0ELb0ES3_N6thrust23THRUST_200600_302600_NS6detail15normal_iteratorINS9_10device_ptrIsEEEESE_SE_sNS9_4plusIvEENS9_8equal_toIvEEsEE10hipError_tPvRmT2_T3_T4_T5_mT6_T7_P12ihipStream_tbENKUlT_T0_E_clISt17integral_constantIbLb0EESY_IbLb1EEEEDaSU_SV_EUlSU_E_NS1_11comp_targetILNS1_3genE3ELNS1_11target_archE908ELNS1_3gpuE7ELNS1_3repE0EEENS1_30default_config_static_selectorELNS0_4arch9wavefront6targetE1EEEvT1_
		.amdhsa_group_segment_fixed_size 0
		.amdhsa_private_segment_fixed_size 0
		.amdhsa_kernarg_size 112
		.amdhsa_user_sgpr_count 6
		.amdhsa_user_sgpr_private_segment_buffer 1
		.amdhsa_user_sgpr_dispatch_ptr 0
		.amdhsa_user_sgpr_queue_ptr 0
		.amdhsa_user_sgpr_kernarg_segment_ptr 1
		.amdhsa_user_sgpr_dispatch_id 0
		.amdhsa_user_sgpr_flat_scratch_init 0
		.amdhsa_user_sgpr_kernarg_preload_length 0
		.amdhsa_user_sgpr_kernarg_preload_offset 0
		.amdhsa_user_sgpr_private_segment_size 0
		.amdhsa_uses_dynamic_stack 0
		.amdhsa_system_sgpr_private_segment_wavefront_offset 0
		.amdhsa_system_sgpr_workgroup_id_x 1
		.amdhsa_system_sgpr_workgroup_id_y 0
		.amdhsa_system_sgpr_workgroup_id_z 0
		.amdhsa_system_sgpr_workgroup_info 0
		.amdhsa_system_vgpr_workitem_id 0
		.amdhsa_next_free_vgpr 1
		.amdhsa_next_free_sgpr 0
		.amdhsa_accum_offset 4
		.amdhsa_reserve_vcc 0
		.amdhsa_reserve_flat_scratch 0
		.amdhsa_float_round_mode_32 0
		.amdhsa_float_round_mode_16_64 0
		.amdhsa_float_denorm_mode_32 3
		.amdhsa_float_denorm_mode_16_64 3
		.amdhsa_dx10_clamp 1
		.amdhsa_ieee_mode 1
		.amdhsa_fp16_overflow 0
		.amdhsa_tg_split 0
		.amdhsa_exception_fp_ieee_invalid_op 0
		.amdhsa_exception_fp_denorm_src 0
		.amdhsa_exception_fp_ieee_div_zero 0
		.amdhsa_exception_fp_ieee_overflow 0
		.amdhsa_exception_fp_ieee_underflow 0
		.amdhsa_exception_fp_ieee_inexact 0
		.amdhsa_exception_int_div_zero 0
	.end_amdhsa_kernel
	.section	.text._ZN7rocprim17ROCPRIM_400000_NS6detail17trampoline_kernelINS0_14default_configENS1_27scan_by_key_config_selectorIssEEZZNS1_16scan_by_key_implILNS1_25lookback_scan_determinismE0ELb0ES3_N6thrust23THRUST_200600_302600_NS6detail15normal_iteratorINS9_10device_ptrIsEEEESE_SE_sNS9_4plusIvEENS9_8equal_toIvEEsEE10hipError_tPvRmT2_T3_T4_T5_mT6_T7_P12ihipStream_tbENKUlT_T0_E_clISt17integral_constantIbLb0EESY_IbLb1EEEEDaSU_SV_EUlSU_E_NS1_11comp_targetILNS1_3genE3ELNS1_11target_archE908ELNS1_3gpuE7ELNS1_3repE0EEENS1_30default_config_static_selectorELNS0_4arch9wavefront6targetE1EEEvT1_,"axG",@progbits,_ZN7rocprim17ROCPRIM_400000_NS6detail17trampoline_kernelINS0_14default_configENS1_27scan_by_key_config_selectorIssEEZZNS1_16scan_by_key_implILNS1_25lookback_scan_determinismE0ELb0ES3_N6thrust23THRUST_200600_302600_NS6detail15normal_iteratorINS9_10device_ptrIsEEEESE_SE_sNS9_4plusIvEENS9_8equal_toIvEEsEE10hipError_tPvRmT2_T3_T4_T5_mT6_T7_P12ihipStream_tbENKUlT_T0_E_clISt17integral_constantIbLb0EESY_IbLb1EEEEDaSU_SV_EUlSU_E_NS1_11comp_targetILNS1_3genE3ELNS1_11target_archE908ELNS1_3gpuE7ELNS1_3repE0EEENS1_30default_config_static_selectorELNS0_4arch9wavefront6targetE1EEEvT1_,comdat
.Lfunc_end276:
	.size	_ZN7rocprim17ROCPRIM_400000_NS6detail17trampoline_kernelINS0_14default_configENS1_27scan_by_key_config_selectorIssEEZZNS1_16scan_by_key_implILNS1_25lookback_scan_determinismE0ELb0ES3_N6thrust23THRUST_200600_302600_NS6detail15normal_iteratorINS9_10device_ptrIsEEEESE_SE_sNS9_4plusIvEENS9_8equal_toIvEEsEE10hipError_tPvRmT2_T3_T4_T5_mT6_T7_P12ihipStream_tbENKUlT_T0_E_clISt17integral_constantIbLb0EESY_IbLb1EEEEDaSU_SV_EUlSU_E_NS1_11comp_targetILNS1_3genE3ELNS1_11target_archE908ELNS1_3gpuE7ELNS1_3repE0EEENS1_30default_config_static_selectorELNS0_4arch9wavefront6targetE1EEEvT1_, .Lfunc_end276-_ZN7rocprim17ROCPRIM_400000_NS6detail17trampoline_kernelINS0_14default_configENS1_27scan_by_key_config_selectorIssEEZZNS1_16scan_by_key_implILNS1_25lookback_scan_determinismE0ELb0ES3_N6thrust23THRUST_200600_302600_NS6detail15normal_iteratorINS9_10device_ptrIsEEEESE_SE_sNS9_4plusIvEENS9_8equal_toIvEEsEE10hipError_tPvRmT2_T3_T4_T5_mT6_T7_P12ihipStream_tbENKUlT_T0_E_clISt17integral_constantIbLb0EESY_IbLb1EEEEDaSU_SV_EUlSU_E_NS1_11comp_targetILNS1_3genE3ELNS1_11target_archE908ELNS1_3gpuE7ELNS1_3repE0EEENS1_30default_config_static_selectorELNS0_4arch9wavefront6targetE1EEEvT1_
                                        ; -- End function
	.section	.AMDGPU.csdata,"",@progbits
; Kernel info:
; codeLenInByte = 0
; NumSgprs: 4
; NumVgprs: 0
; NumAgprs: 0
; TotalNumVgprs: 0
; ScratchSize: 0
; MemoryBound: 0
; FloatMode: 240
; IeeeMode: 1
; LDSByteSize: 0 bytes/workgroup (compile time only)
; SGPRBlocks: 0
; VGPRBlocks: 0
; NumSGPRsForWavesPerEU: 4
; NumVGPRsForWavesPerEU: 1
; AccumOffset: 4
; Occupancy: 8
; WaveLimiterHint : 0
; COMPUTE_PGM_RSRC2:SCRATCH_EN: 0
; COMPUTE_PGM_RSRC2:USER_SGPR: 6
; COMPUTE_PGM_RSRC2:TRAP_HANDLER: 0
; COMPUTE_PGM_RSRC2:TGID_X_EN: 1
; COMPUTE_PGM_RSRC2:TGID_Y_EN: 0
; COMPUTE_PGM_RSRC2:TGID_Z_EN: 0
; COMPUTE_PGM_RSRC2:TIDIG_COMP_CNT: 0
; COMPUTE_PGM_RSRC3_GFX90A:ACCUM_OFFSET: 0
; COMPUTE_PGM_RSRC3_GFX90A:TG_SPLIT: 0
	.section	.text._ZN7rocprim17ROCPRIM_400000_NS6detail17trampoline_kernelINS0_14default_configENS1_27scan_by_key_config_selectorIssEEZZNS1_16scan_by_key_implILNS1_25lookback_scan_determinismE0ELb0ES3_N6thrust23THRUST_200600_302600_NS6detail15normal_iteratorINS9_10device_ptrIsEEEESE_SE_sNS9_4plusIvEENS9_8equal_toIvEEsEE10hipError_tPvRmT2_T3_T4_T5_mT6_T7_P12ihipStream_tbENKUlT_T0_E_clISt17integral_constantIbLb0EESY_IbLb1EEEEDaSU_SV_EUlSU_E_NS1_11comp_targetILNS1_3genE2ELNS1_11target_archE906ELNS1_3gpuE6ELNS1_3repE0EEENS1_30default_config_static_selectorELNS0_4arch9wavefront6targetE1EEEvT1_,"axG",@progbits,_ZN7rocprim17ROCPRIM_400000_NS6detail17trampoline_kernelINS0_14default_configENS1_27scan_by_key_config_selectorIssEEZZNS1_16scan_by_key_implILNS1_25lookback_scan_determinismE0ELb0ES3_N6thrust23THRUST_200600_302600_NS6detail15normal_iteratorINS9_10device_ptrIsEEEESE_SE_sNS9_4plusIvEENS9_8equal_toIvEEsEE10hipError_tPvRmT2_T3_T4_T5_mT6_T7_P12ihipStream_tbENKUlT_T0_E_clISt17integral_constantIbLb0EESY_IbLb1EEEEDaSU_SV_EUlSU_E_NS1_11comp_targetILNS1_3genE2ELNS1_11target_archE906ELNS1_3gpuE6ELNS1_3repE0EEENS1_30default_config_static_selectorELNS0_4arch9wavefront6targetE1EEEvT1_,comdat
	.protected	_ZN7rocprim17ROCPRIM_400000_NS6detail17trampoline_kernelINS0_14default_configENS1_27scan_by_key_config_selectorIssEEZZNS1_16scan_by_key_implILNS1_25lookback_scan_determinismE0ELb0ES3_N6thrust23THRUST_200600_302600_NS6detail15normal_iteratorINS9_10device_ptrIsEEEESE_SE_sNS9_4plusIvEENS9_8equal_toIvEEsEE10hipError_tPvRmT2_T3_T4_T5_mT6_T7_P12ihipStream_tbENKUlT_T0_E_clISt17integral_constantIbLb0EESY_IbLb1EEEEDaSU_SV_EUlSU_E_NS1_11comp_targetILNS1_3genE2ELNS1_11target_archE906ELNS1_3gpuE6ELNS1_3repE0EEENS1_30default_config_static_selectorELNS0_4arch9wavefront6targetE1EEEvT1_ ; -- Begin function _ZN7rocprim17ROCPRIM_400000_NS6detail17trampoline_kernelINS0_14default_configENS1_27scan_by_key_config_selectorIssEEZZNS1_16scan_by_key_implILNS1_25lookback_scan_determinismE0ELb0ES3_N6thrust23THRUST_200600_302600_NS6detail15normal_iteratorINS9_10device_ptrIsEEEESE_SE_sNS9_4plusIvEENS9_8equal_toIvEEsEE10hipError_tPvRmT2_T3_T4_T5_mT6_T7_P12ihipStream_tbENKUlT_T0_E_clISt17integral_constantIbLb0EESY_IbLb1EEEEDaSU_SV_EUlSU_E_NS1_11comp_targetILNS1_3genE2ELNS1_11target_archE906ELNS1_3gpuE6ELNS1_3repE0EEENS1_30default_config_static_selectorELNS0_4arch9wavefront6targetE1EEEvT1_
	.globl	_ZN7rocprim17ROCPRIM_400000_NS6detail17trampoline_kernelINS0_14default_configENS1_27scan_by_key_config_selectorIssEEZZNS1_16scan_by_key_implILNS1_25lookback_scan_determinismE0ELb0ES3_N6thrust23THRUST_200600_302600_NS6detail15normal_iteratorINS9_10device_ptrIsEEEESE_SE_sNS9_4plusIvEENS9_8equal_toIvEEsEE10hipError_tPvRmT2_T3_T4_T5_mT6_T7_P12ihipStream_tbENKUlT_T0_E_clISt17integral_constantIbLb0EESY_IbLb1EEEEDaSU_SV_EUlSU_E_NS1_11comp_targetILNS1_3genE2ELNS1_11target_archE906ELNS1_3gpuE6ELNS1_3repE0EEENS1_30default_config_static_selectorELNS0_4arch9wavefront6targetE1EEEvT1_
	.p2align	8
	.type	_ZN7rocprim17ROCPRIM_400000_NS6detail17trampoline_kernelINS0_14default_configENS1_27scan_by_key_config_selectorIssEEZZNS1_16scan_by_key_implILNS1_25lookback_scan_determinismE0ELb0ES3_N6thrust23THRUST_200600_302600_NS6detail15normal_iteratorINS9_10device_ptrIsEEEESE_SE_sNS9_4plusIvEENS9_8equal_toIvEEsEE10hipError_tPvRmT2_T3_T4_T5_mT6_T7_P12ihipStream_tbENKUlT_T0_E_clISt17integral_constantIbLb0EESY_IbLb1EEEEDaSU_SV_EUlSU_E_NS1_11comp_targetILNS1_3genE2ELNS1_11target_archE906ELNS1_3gpuE6ELNS1_3repE0EEENS1_30default_config_static_selectorELNS0_4arch9wavefront6targetE1EEEvT1_,@function
_ZN7rocprim17ROCPRIM_400000_NS6detail17trampoline_kernelINS0_14default_configENS1_27scan_by_key_config_selectorIssEEZZNS1_16scan_by_key_implILNS1_25lookback_scan_determinismE0ELb0ES3_N6thrust23THRUST_200600_302600_NS6detail15normal_iteratorINS9_10device_ptrIsEEEESE_SE_sNS9_4plusIvEENS9_8equal_toIvEEsEE10hipError_tPvRmT2_T3_T4_T5_mT6_T7_P12ihipStream_tbENKUlT_T0_E_clISt17integral_constantIbLb0EESY_IbLb1EEEEDaSU_SV_EUlSU_E_NS1_11comp_targetILNS1_3genE2ELNS1_11target_archE906ELNS1_3gpuE6ELNS1_3repE0EEENS1_30default_config_static_selectorELNS0_4arch9wavefront6targetE1EEEvT1_: ; @_ZN7rocprim17ROCPRIM_400000_NS6detail17trampoline_kernelINS0_14default_configENS1_27scan_by_key_config_selectorIssEEZZNS1_16scan_by_key_implILNS1_25lookback_scan_determinismE0ELb0ES3_N6thrust23THRUST_200600_302600_NS6detail15normal_iteratorINS9_10device_ptrIsEEEESE_SE_sNS9_4plusIvEENS9_8equal_toIvEEsEE10hipError_tPvRmT2_T3_T4_T5_mT6_T7_P12ihipStream_tbENKUlT_T0_E_clISt17integral_constantIbLb0EESY_IbLb1EEEEDaSU_SV_EUlSU_E_NS1_11comp_targetILNS1_3genE2ELNS1_11target_archE906ELNS1_3gpuE6ELNS1_3repE0EEENS1_30default_config_static_selectorELNS0_4arch9wavefront6targetE1EEEvT1_
; %bb.0:
	.section	.rodata,"a",@progbits
	.p2align	6, 0x0
	.amdhsa_kernel _ZN7rocprim17ROCPRIM_400000_NS6detail17trampoline_kernelINS0_14default_configENS1_27scan_by_key_config_selectorIssEEZZNS1_16scan_by_key_implILNS1_25lookback_scan_determinismE0ELb0ES3_N6thrust23THRUST_200600_302600_NS6detail15normal_iteratorINS9_10device_ptrIsEEEESE_SE_sNS9_4plusIvEENS9_8equal_toIvEEsEE10hipError_tPvRmT2_T3_T4_T5_mT6_T7_P12ihipStream_tbENKUlT_T0_E_clISt17integral_constantIbLb0EESY_IbLb1EEEEDaSU_SV_EUlSU_E_NS1_11comp_targetILNS1_3genE2ELNS1_11target_archE906ELNS1_3gpuE6ELNS1_3repE0EEENS1_30default_config_static_selectorELNS0_4arch9wavefront6targetE1EEEvT1_
		.amdhsa_group_segment_fixed_size 0
		.amdhsa_private_segment_fixed_size 0
		.amdhsa_kernarg_size 112
		.amdhsa_user_sgpr_count 6
		.amdhsa_user_sgpr_private_segment_buffer 1
		.amdhsa_user_sgpr_dispatch_ptr 0
		.amdhsa_user_sgpr_queue_ptr 0
		.amdhsa_user_sgpr_kernarg_segment_ptr 1
		.amdhsa_user_sgpr_dispatch_id 0
		.amdhsa_user_sgpr_flat_scratch_init 0
		.amdhsa_user_sgpr_kernarg_preload_length 0
		.amdhsa_user_sgpr_kernarg_preload_offset 0
		.amdhsa_user_sgpr_private_segment_size 0
		.amdhsa_uses_dynamic_stack 0
		.amdhsa_system_sgpr_private_segment_wavefront_offset 0
		.amdhsa_system_sgpr_workgroup_id_x 1
		.amdhsa_system_sgpr_workgroup_id_y 0
		.amdhsa_system_sgpr_workgroup_id_z 0
		.amdhsa_system_sgpr_workgroup_info 0
		.amdhsa_system_vgpr_workitem_id 0
		.amdhsa_next_free_vgpr 1
		.amdhsa_next_free_sgpr 0
		.amdhsa_accum_offset 4
		.amdhsa_reserve_vcc 0
		.amdhsa_reserve_flat_scratch 0
		.amdhsa_float_round_mode_32 0
		.amdhsa_float_round_mode_16_64 0
		.amdhsa_float_denorm_mode_32 3
		.amdhsa_float_denorm_mode_16_64 3
		.amdhsa_dx10_clamp 1
		.amdhsa_ieee_mode 1
		.amdhsa_fp16_overflow 0
		.amdhsa_tg_split 0
		.amdhsa_exception_fp_ieee_invalid_op 0
		.amdhsa_exception_fp_denorm_src 0
		.amdhsa_exception_fp_ieee_div_zero 0
		.amdhsa_exception_fp_ieee_overflow 0
		.amdhsa_exception_fp_ieee_underflow 0
		.amdhsa_exception_fp_ieee_inexact 0
		.amdhsa_exception_int_div_zero 0
	.end_amdhsa_kernel
	.section	.text._ZN7rocprim17ROCPRIM_400000_NS6detail17trampoline_kernelINS0_14default_configENS1_27scan_by_key_config_selectorIssEEZZNS1_16scan_by_key_implILNS1_25lookback_scan_determinismE0ELb0ES3_N6thrust23THRUST_200600_302600_NS6detail15normal_iteratorINS9_10device_ptrIsEEEESE_SE_sNS9_4plusIvEENS9_8equal_toIvEEsEE10hipError_tPvRmT2_T3_T4_T5_mT6_T7_P12ihipStream_tbENKUlT_T0_E_clISt17integral_constantIbLb0EESY_IbLb1EEEEDaSU_SV_EUlSU_E_NS1_11comp_targetILNS1_3genE2ELNS1_11target_archE906ELNS1_3gpuE6ELNS1_3repE0EEENS1_30default_config_static_selectorELNS0_4arch9wavefront6targetE1EEEvT1_,"axG",@progbits,_ZN7rocprim17ROCPRIM_400000_NS6detail17trampoline_kernelINS0_14default_configENS1_27scan_by_key_config_selectorIssEEZZNS1_16scan_by_key_implILNS1_25lookback_scan_determinismE0ELb0ES3_N6thrust23THRUST_200600_302600_NS6detail15normal_iteratorINS9_10device_ptrIsEEEESE_SE_sNS9_4plusIvEENS9_8equal_toIvEEsEE10hipError_tPvRmT2_T3_T4_T5_mT6_T7_P12ihipStream_tbENKUlT_T0_E_clISt17integral_constantIbLb0EESY_IbLb1EEEEDaSU_SV_EUlSU_E_NS1_11comp_targetILNS1_3genE2ELNS1_11target_archE906ELNS1_3gpuE6ELNS1_3repE0EEENS1_30default_config_static_selectorELNS0_4arch9wavefront6targetE1EEEvT1_,comdat
.Lfunc_end277:
	.size	_ZN7rocprim17ROCPRIM_400000_NS6detail17trampoline_kernelINS0_14default_configENS1_27scan_by_key_config_selectorIssEEZZNS1_16scan_by_key_implILNS1_25lookback_scan_determinismE0ELb0ES3_N6thrust23THRUST_200600_302600_NS6detail15normal_iteratorINS9_10device_ptrIsEEEESE_SE_sNS9_4plusIvEENS9_8equal_toIvEEsEE10hipError_tPvRmT2_T3_T4_T5_mT6_T7_P12ihipStream_tbENKUlT_T0_E_clISt17integral_constantIbLb0EESY_IbLb1EEEEDaSU_SV_EUlSU_E_NS1_11comp_targetILNS1_3genE2ELNS1_11target_archE906ELNS1_3gpuE6ELNS1_3repE0EEENS1_30default_config_static_selectorELNS0_4arch9wavefront6targetE1EEEvT1_, .Lfunc_end277-_ZN7rocprim17ROCPRIM_400000_NS6detail17trampoline_kernelINS0_14default_configENS1_27scan_by_key_config_selectorIssEEZZNS1_16scan_by_key_implILNS1_25lookback_scan_determinismE0ELb0ES3_N6thrust23THRUST_200600_302600_NS6detail15normal_iteratorINS9_10device_ptrIsEEEESE_SE_sNS9_4plusIvEENS9_8equal_toIvEEsEE10hipError_tPvRmT2_T3_T4_T5_mT6_T7_P12ihipStream_tbENKUlT_T0_E_clISt17integral_constantIbLb0EESY_IbLb1EEEEDaSU_SV_EUlSU_E_NS1_11comp_targetILNS1_3genE2ELNS1_11target_archE906ELNS1_3gpuE6ELNS1_3repE0EEENS1_30default_config_static_selectorELNS0_4arch9wavefront6targetE1EEEvT1_
                                        ; -- End function
	.section	.AMDGPU.csdata,"",@progbits
; Kernel info:
; codeLenInByte = 0
; NumSgprs: 4
; NumVgprs: 0
; NumAgprs: 0
; TotalNumVgprs: 0
; ScratchSize: 0
; MemoryBound: 0
; FloatMode: 240
; IeeeMode: 1
; LDSByteSize: 0 bytes/workgroup (compile time only)
; SGPRBlocks: 0
; VGPRBlocks: 0
; NumSGPRsForWavesPerEU: 4
; NumVGPRsForWavesPerEU: 1
; AccumOffset: 4
; Occupancy: 8
; WaveLimiterHint : 0
; COMPUTE_PGM_RSRC2:SCRATCH_EN: 0
; COMPUTE_PGM_RSRC2:USER_SGPR: 6
; COMPUTE_PGM_RSRC2:TRAP_HANDLER: 0
; COMPUTE_PGM_RSRC2:TGID_X_EN: 1
; COMPUTE_PGM_RSRC2:TGID_Y_EN: 0
; COMPUTE_PGM_RSRC2:TGID_Z_EN: 0
; COMPUTE_PGM_RSRC2:TIDIG_COMP_CNT: 0
; COMPUTE_PGM_RSRC3_GFX90A:ACCUM_OFFSET: 0
; COMPUTE_PGM_RSRC3_GFX90A:TG_SPLIT: 0
	.section	.text._ZN7rocprim17ROCPRIM_400000_NS6detail17trampoline_kernelINS0_14default_configENS1_27scan_by_key_config_selectorIssEEZZNS1_16scan_by_key_implILNS1_25lookback_scan_determinismE0ELb0ES3_N6thrust23THRUST_200600_302600_NS6detail15normal_iteratorINS9_10device_ptrIsEEEESE_SE_sNS9_4plusIvEENS9_8equal_toIvEEsEE10hipError_tPvRmT2_T3_T4_T5_mT6_T7_P12ihipStream_tbENKUlT_T0_E_clISt17integral_constantIbLb0EESY_IbLb1EEEEDaSU_SV_EUlSU_E_NS1_11comp_targetILNS1_3genE10ELNS1_11target_archE1200ELNS1_3gpuE4ELNS1_3repE0EEENS1_30default_config_static_selectorELNS0_4arch9wavefront6targetE1EEEvT1_,"axG",@progbits,_ZN7rocprim17ROCPRIM_400000_NS6detail17trampoline_kernelINS0_14default_configENS1_27scan_by_key_config_selectorIssEEZZNS1_16scan_by_key_implILNS1_25lookback_scan_determinismE0ELb0ES3_N6thrust23THRUST_200600_302600_NS6detail15normal_iteratorINS9_10device_ptrIsEEEESE_SE_sNS9_4plusIvEENS9_8equal_toIvEEsEE10hipError_tPvRmT2_T3_T4_T5_mT6_T7_P12ihipStream_tbENKUlT_T0_E_clISt17integral_constantIbLb0EESY_IbLb1EEEEDaSU_SV_EUlSU_E_NS1_11comp_targetILNS1_3genE10ELNS1_11target_archE1200ELNS1_3gpuE4ELNS1_3repE0EEENS1_30default_config_static_selectorELNS0_4arch9wavefront6targetE1EEEvT1_,comdat
	.protected	_ZN7rocprim17ROCPRIM_400000_NS6detail17trampoline_kernelINS0_14default_configENS1_27scan_by_key_config_selectorIssEEZZNS1_16scan_by_key_implILNS1_25lookback_scan_determinismE0ELb0ES3_N6thrust23THRUST_200600_302600_NS6detail15normal_iteratorINS9_10device_ptrIsEEEESE_SE_sNS9_4plusIvEENS9_8equal_toIvEEsEE10hipError_tPvRmT2_T3_T4_T5_mT6_T7_P12ihipStream_tbENKUlT_T0_E_clISt17integral_constantIbLb0EESY_IbLb1EEEEDaSU_SV_EUlSU_E_NS1_11comp_targetILNS1_3genE10ELNS1_11target_archE1200ELNS1_3gpuE4ELNS1_3repE0EEENS1_30default_config_static_selectorELNS0_4arch9wavefront6targetE1EEEvT1_ ; -- Begin function _ZN7rocprim17ROCPRIM_400000_NS6detail17trampoline_kernelINS0_14default_configENS1_27scan_by_key_config_selectorIssEEZZNS1_16scan_by_key_implILNS1_25lookback_scan_determinismE0ELb0ES3_N6thrust23THRUST_200600_302600_NS6detail15normal_iteratorINS9_10device_ptrIsEEEESE_SE_sNS9_4plusIvEENS9_8equal_toIvEEsEE10hipError_tPvRmT2_T3_T4_T5_mT6_T7_P12ihipStream_tbENKUlT_T0_E_clISt17integral_constantIbLb0EESY_IbLb1EEEEDaSU_SV_EUlSU_E_NS1_11comp_targetILNS1_3genE10ELNS1_11target_archE1200ELNS1_3gpuE4ELNS1_3repE0EEENS1_30default_config_static_selectorELNS0_4arch9wavefront6targetE1EEEvT1_
	.globl	_ZN7rocprim17ROCPRIM_400000_NS6detail17trampoline_kernelINS0_14default_configENS1_27scan_by_key_config_selectorIssEEZZNS1_16scan_by_key_implILNS1_25lookback_scan_determinismE0ELb0ES3_N6thrust23THRUST_200600_302600_NS6detail15normal_iteratorINS9_10device_ptrIsEEEESE_SE_sNS9_4plusIvEENS9_8equal_toIvEEsEE10hipError_tPvRmT2_T3_T4_T5_mT6_T7_P12ihipStream_tbENKUlT_T0_E_clISt17integral_constantIbLb0EESY_IbLb1EEEEDaSU_SV_EUlSU_E_NS1_11comp_targetILNS1_3genE10ELNS1_11target_archE1200ELNS1_3gpuE4ELNS1_3repE0EEENS1_30default_config_static_selectorELNS0_4arch9wavefront6targetE1EEEvT1_
	.p2align	8
	.type	_ZN7rocprim17ROCPRIM_400000_NS6detail17trampoline_kernelINS0_14default_configENS1_27scan_by_key_config_selectorIssEEZZNS1_16scan_by_key_implILNS1_25lookback_scan_determinismE0ELb0ES3_N6thrust23THRUST_200600_302600_NS6detail15normal_iteratorINS9_10device_ptrIsEEEESE_SE_sNS9_4plusIvEENS9_8equal_toIvEEsEE10hipError_tPvRmT2_T3_T4_T5_mT6_T7_P12ihipStream_tbENKUlT_T0_E_clISt17integral_constantIbLb0EESY_IbLb1EEEEDaSU_SV_EUlSU_E_NS1_11comp_targetILNS1_3genE10ELNS1_11target_archE1200ELNS1_3gpuE4ELNS1_3repE0EEENS1_30default_config_static_selectorELNS0_4arch9wavefront6targetE1EEEvT1_,@function
_ZN7rocprim17ROCPRIM_400000_NS6detail17trampoline_kernelINS0_14default_configENS1_27scan_by_key_config_selectorIssEEZZNS1_16scan_by_key_implILNS1_25lookback_scan_determinismE0ELb0ES3_N6thrust23THRUST_200600_302600_NS6detail15normal_iteratorINS9_10device_ptrIsEEEESE_SE_sNS9_4plusIvEENS9_8equal_toIvEEsEE10hipError_tPvRmT2_T3_T4_T5_mT6_T7_P12ihipStream_tbENKUlT_T0_E_clISt17integral_constantIbLb0EESY_IbLb1EEEEDaSU_SV_EUlSU_E_NS1_11comp_targetILNS1_3genE10ELNS1_11target_archE1200ELNS1_3gpuE4ELNS1_3repE0EEENS1_30default_config_static_selectorELNS0_4arch9wavefront6targetE1EEEvT1_: ; @_ZN7rocprim17ROCPRIM_400000_NS6detail17trampoline_kernelINS0_14default_configENS1_27scan_by_key_config_selectorIssEEZZNS1_16scan_by_key_implILNS1_25lookback_scan_determinismE0ELb0ES3_N6thrust23THRUST_200600_302600_NS6detail15normal_iteratorINS9_10device_ptrIsEEEESE_SE_sNS9_4plusIvEENS9_8equal_toIvEEsEE10hipError_tPvRmT2_T3_T4_T5_mT6_T7_P12ihipStream_tbENKUlT_T0_E_clISt17integral_constantIbLb0EESY_IbLb1EEEEDaSU_SV_EUlSU_E_NS1_11comp_targetILNS1_3genE10ELNS1_11target_archE1200ELNS1_3gpuE4ELNS1_3repE0EEENS1_30default_config_static_selectorELNS0_4arch9wavefront6targetE1EEEvT1_
; %bb.0:
	.section	.rodata,"a",@progbits
	.p2align	6, 0x0
	.amdhsa_kernel _ZN7rocprim17ROCPRIM_400000_NS6detail17trampoline_kernelINS0_14default_configENS1_27scan_by_key_config_selectorIssEEZZNS1_16scan_by_key_implILNS1_25lookback_scan_determinismE0ELb0ES3_N6thrust23THRUST_200600_302600_NS6detail15normal_iteratorINS9_10device_ptrIsEEEESE_SE_sNS9_4plusIvEENS9_8equal_toIvEEsEE10hipError_tPvRmT2_T3_T4_T5_mT6_T7_P12ihipStream_tbENKUlT_T0_E_clISt17integral_constantIbLb0EESY_IbLb1EEEEDaSU_SV_EUlSU_E_NS1_11comp_targetILNS1_3genE10ELNS1_11target_archE1200ELNS1_3gpuE4ELNS1_3repE0EEENS1_30default_config_static_selectorELNS0_4arch9wavefront6targetE1EEEvT1_
		.amdhsa_group_segment_fixed_size 0
		.amdhsa_private_segment_fixed_size 0
		.amdhsa_kernarg_size 112
		.amdhsa_user_sgpr_count 6
		.amdhsa_user_sgpr_private_segment_buffer 1
		.amdhsa_user_sgpr_dispatch_ptr 0
		.amdhsa_user_sgpr_queue_ptr 0
		.amdhsa_user_sgpr_kernarg_segment_ptr 1
		.amdhsa_user_sgpr_dispatch_id 0
		.amdhsa_user_sgpr_flat_scratch_init 0
		.amdhsa_user_sgpr_kernarg_preload_length 0
		.amdhsa_user_sgpr_kernarg_preload_offset 0
		.amdhsa_user_sgpr_private_segment_size 0
		.amdhsa_uses_dynamic_stack 0
		.amdhsa_system_sgpr_private_segment_wavefront_offset 0
		.amdhsa_system_sgpr_workgroup_id_x 1
		.amdhsa_system_sgpr_workgroup_id_y 0
		.amdhsa_system_sgpr_workgroup_id_z 0
		.amdhsa_system_sgpr_workgroup_info 0
		.amdhsa_system_vgpr_workitem_id 0
		.amdhsa_next_free_vgpr 1
		.amdhsa_next_free_sgpr 0
		.amdhsa_accum_offset 4
		.amdhsa_reserve_vcc 0
		.amdhsa_reserve_flat_scratch 0
		.amdhsa_float_round_mode_32 0
		.amdhsa_float_round_mode_16_64 0
		.amdhsa_float_denorm_mode_32 3
		.amdhsa_float_denorm_mode_16_64 3
		.amdhsa_dx10_clamp 1
		.amdhsa_ieee_mode 1
		.amdhsa_fp16_overflow 0
		.amdhsa_tg_split 0
		.amdhsa_exception_fp_ieee_invalid_op 0
		.amdhsa_exception_fp_denorm_src 0
		.amdhsa_exception_fp_ieee_div_zero 0
		.amdhsa_exception_fp_ieee_overflow 0
		.amdhsa_exception_fp_ieee_underflow 0
		.amdhsa_exception_fp_ieee_inexact 0
		.amdhsa_exception_int_div_zero 0
	.end_amdhsa_kernel
	.section	.text._ZN7rocprim17ROCPRIM_400000_NS6detail17trampoline_kernelINS0_14default_configENS1_27scan_by_key_config_selectorIssEEZZNS1_16scan_by_key_implILNS1_25lookback_scan_determinismE0ELb0ES3_N6thrust23THRUST_200600_302600_NS6detail15normal_iteratorINS9_10device_ptrIsEEEESE_SE_sNS9_4plusIvEENS9_8equal_toIvEEsEE10hipError_tPvRmT2_T3_T4_T5_mT6_T7_P12ihipStream_tbENKUlT_T0_E_clISt17integral_constantIbLb0EESY_IbLb1EEEEDaSU_SV_EUlSU_E_NS1_11comp_targetILNS1_3genE10ELNS1_11target_archE1200ELNS1_3gpuE4ELNS1_3repE0EEENS1_30default_config_static_selectorELNS0_4arch9wavefront6targetE1EEEvT1_,"axG",@progbits,_ZN7rocprim17ROCPRIM_400000_NS6detail17trampoline_kernelINS0_14default_configENS1_27scan_by_key_config_selectorIssEEZZNS1_16scan_by_key_implILNS1_25lookback_scan_determinismE0ELb0ES3_N6thrust23THRUST_200600_302600_NS6detail15normal_iteratorINS9_10device_ptrIsEEEESE_SE_sNS9_4plusIvEENS9_8equal_toIvEEsEE10hipError_tPvRmT2_T3_T4_T5_mT6_T7_P12ihipStream_tbENKUlT_T0_E_clISt17integral_constantIbLb0EESY_IbLb1EEEEDaSU_SV_EUlSU_E_NS1_11comp_targetILNS1_3genE10ELNS1_11target_archE1200ELNS1_3gpuE4ELNS1_3repE0EEENS1_30default_config_static_selectorELNS0_4arch9wavefront6targetE1EEEvT1_,comdat
.Lfunc_end278:
	.size	_ZN7rocprim17ROCPRIM_400000_NS6detail17trampoline_kernelINS0_14default_configENS1_27scan_by_key_config_selectorIssEEZZNS1_16scan_by_key_implILNS1_25lookback_scan_determinismE0ELb0ES3_N6thrust23THRUST_200600_302600_NS6detail15normal_iteratorINS9_10device_ptrIsEEEESE_SE_sNS9_4plusIvEENS9_8equal_toIvEEsEE10hipError_tPvRmT2_T3_T4_T5_mT6_T7_P12ihipStream_tbENKUlT_T0_E_clISt17integral_constantIbLb0EESY_IbLb1EEEEDaSU_SV_EUlSU_E_NS1_11comp_targetILNS1_3genE10ELNS1_11target_archE1200ELNS1_3gpuE4ELNS1_3repE0EEENS1_30default_config_static_selectorELNS0_4arch9wavefront6targetE1EEEvT1_, .Lfunc_end278-_ZN7rocprim17ROCPRIM_400000_NS6detail17trampoline_kernelINS0_14default_configENS1_27scan_by_key_config_selectorIssEEZZNS1_16scan_by_key_implILNS1_25lookback_scan_determinismE0ELb0ES3_N6thrust23THRUST_200600_302600_NS6detail15normal_iteratorINS9_10device_ptrIsEEEESE_SE_sNS9_4plusIvEENS9_8equal_toIvEEsEE10hipError_tPvRmT2_T3_T4_T5_mT6_T7_P12ihipStream_tbENKUlT_T0_E_clISt17integral_constantIbLb0EESY_IbLb1EEEEDaSU_SV_EUlSU_E_NS1_11comp_targetILNS1_3genE10ELNS1_11target_archE1200ELNS1_3gpuE4ELNS1_3repE0EEENS1_30default_config_static_selectorELNS0_4arch9wavefront6targetE1EEEvT1_
                                        ; -- End function
	.section	.AMDGPU.csdata,"",@progbits
; Kernel info:
; codeLenInByte = 0
; NumSgprs: 4
; NumVgprs: 0
; NumAgprs: 0
; TotalNumVgprs: 0
; ScratchSize: 0
; MemoryBound: 0
; FloatMode: 240
; IeeeMode: 1
; LDSByteSize: 0 bytes/workgroup (compile time only)
; SGPRBlocks: 0
; VGPRBlocks: 0
; NumSGPRsForWavesPerEU: 4
; NumVGPRsForWavesPerEU: 1
; AccumOffset: 4
; Occupancy: 8
; WaveLimiterHint : 0
; COMPUTE_PGM_RSRC2:SCRATCH_EN: 0
; COMPUTE_PGM_RSRC2:USER_SGPR: 6
; COMPUTE_PGM_RSRC2:TRAP_HANDLER: 0
; COMPUTE_PGM_RSRC2:TGID_X_EN: 1
; COMPUTE_PGM_RSRC2:TGID_Y_EN: 0
; COMPUTE_PGM_RSRC2:TGID_Z_EN: 0
; COMPUTE_PGM_RSRC2:TIDIG_COMP_CNT: 0
; COMPUTE_PGM_RSRC3_GFX90A:ACCUM_OFFSET: 0
; COMPUTE_PGM_RSRC3_GFX90A:TG_SPLIT: 0
	.section	.text._ZN7rocprim17ROCPRIM_400000_NS6detail17trampoline_kernelINS0_14default_configENS1_27scan_by_key_config_selectorIssEEZZNS1_16scan_by_key_implILNS1_25lookback_scan_determinismE0ELb0ES3_N6thrust23THRUST_200600_302600_NS6detail15normal_iteratorINS9_10device_ptrIsEEEESE_SE_sNS9_4plusIvEENS9_8equal_toIvEEsEE10hipError_tPvRmT2_T3_T4_T5_mT6_T7_P12ihipStream_tbENKUlT_T0_E_clISt17integral_constantIbLb0EESY_IbLb1EEEEDaSU_SV_EUlSU_E_NS1_11comp_targetILNS1_3genE9ELNS1_11target_archE1100ELNS1_3gpuE3ELNS1_3repE0EEENS1_30default_config_static_selectorELNS0_4arch9wavefront6targetE1EEEvT1_,"axG",@progbits,_ZN7rocprim17ROCPRIM_400000_NS6detail17trampoline_kernelINS0_14default_configENS1_27scan_by_key_config_selectorIssEEZZNS1_16scan_by_key_implILNS1_25lookback_scan_determinismE0ELb0ES3_N6thrust23THRUST_200600_302600_NS6detail15normal_iteratorINS9_10device_ptrIsEEEESE_SE_sNS9_4plusIvEENS9_8equal_toIvEEsEE10hipError_tPvRmT2_T3_T4_T5_mT6_T7_P12ihipStream_tbENKUlT_T0_E_clISt17integral_constantIbLb0EESY_IbLb1EEEEDaSU_SV_EUlSU_E_NS1_11comp_targetILNS1_3genE9ELNS1_11target_archE1100ELNS1_3gpuE3ELNS1_3repE0EEENS1_30default_config_static_selectorELNS0_4arch9wavefront6targetE1EEEvT1_,comdat
	.protected	_ZN7rocprim17ROCPRIM_400000_NS6detail17trampoline_kernelINS0_14default_configENS1_27scan_by_key_config_selectorIssEEZZNS1_16scan_by_key_implILNS1_25lookback_scan_determinismE0ELb0ES3_N6thrust23THRUST_200600_302600_NS6detail15normal_iteratorINS9_10device_ptrIsEEEESE_SE_sNS9_4plusIvEENS9_8equal_toIvEEsEE10hipError_tPvRmT2_T3_T4_T5_mT6_T7_P12ihipStream_tbENKUlT_T0_E_clISt17integral_constantIbLb0EESY_IbLb1EEEEDaSU_SV_EUlSU_E_NS1_11comp_targetILNS1_3genE9ELNS1_11target_archE1100ELNS1_3gpuE3ELNS1_3repE0EEENS1_30default_config_static_selectorELNS0_4arch9wavefront6targetE1EEEvT1_ ; -- Begin function _ZN7rocprim17ROCPRIM_400000_NS6detail17trampoline_kernelINS0_14default_configENS1_27scan_by_key_config_selectorIssEEZZNS1_16scan_by_key_implILNS1_25lookback_scan_determinismE0ELb0ES3_N6thrust23THRUST_200600_302600_NS6detail15normal_iteratorINS9_10device_ptrIsEEEESE_SE_sNS9_4plusIvEENS9_8equal_toIvEEsEE10hipError_tPvRmT2_T3_T4_T5_mT6_T7_P12ihipStream_tbENKUlT_T0_E_clISt17integral_constantIbLb0EESY_IbLb1EEEEDaSU_SV_EUlSU_E_NS1_11comp_targetILNS1_3genE9ELNS1_11target_archE1100ELNS1_3gpuE3ELNS1_3repE0EEENS1_30default_config_static_selectorELNS0_4arch9wavefront6targetE1EEEvT1_
	.globl	_ZN7rocprim17ROCPRIM_400000_NS6detail17trampoline_kernelINS0_14default_configENS1_27scan_by_key_config_selectorIssEEZZNS1_16scan_by_key_implILNS1_25lookback_scan_determinismE0ELb0ES3_N6thrust23THRUST_200600_302600_NS6detail15normal_iteratorINS9_10device_ptrIsEEEESE_SE_sNS9_4plusIvEENS9_8equal_toIvEEsEE10hipError_tPvRmT2_T3_T4_T5_mT6_T7_P12ihipStream_tbENKUlT_T0_E_clISt17integral_constantIbLb0EESY_IbLb1EEEEDaSU_SV_EUlSU_E_NS1_11comp_targetILNS1_3genE9ELNS1_11target_archE1100ELNS1_3gpuE3ELNS1_3repE0EEENS1_30default_config_static_selectorELNS0_4arch9wavefront6targetE1EEEvT1_
	.p2align	8
	.type	_ZN7rocprim17ROCPRIM_400000_NS6detail17trampoline_kernelINS0_14default_configENS1_27scan_by_key_config_selectorIssEEZZNS1_16scan_by_key_implILNS1_25lookback_scan_determinismE0ELb0ES3_N6thrust23THRUST_200600_302600_NS6detail15normal_iteratorINS9_10device_ptrIsEEEESE_SE_sNS9_4plusIvEENS9_8equal_toIvEEsEE10hipError_tPvRmT2_T3_T4_T5_mT6_T7_P12ihipStream_tbENKUlT_T0_E_clISt17integral_constantIbLb0EESY_IbLb1EEEEDaSU_SV_EUlSU_E_NS1_11comp_targetILNS1_3genE9ELNS1_11target_archE1100ELNS1_3gpuE3ELNS1_3repE0EEENS1_30default_config_static_selectorELNS0_4arch9wavefront6targetE1EEEvT1_,@function
_ZN7rocprim17ROCPRIM_400000_NS6detail17trampoline_kernelINS0_14default_configENS1_27scan_by_key_config_selectorIssEEZZNS1_16scan_by_key_implILNS1_25lookback_scan_determinismE0ELb0ES3_N6thrust23THRUST_200600_302600_NS6detail15normal_iteratorINS9_10device_ptrIsEEEESE_SE_sNS9_4plusIvEENS9_8equal_toIvEEsEE10hipError_tPvRmT2_T3_T4_T5_mT6_T7_P12ihipStream_tbENKUlT_T0_E_clISt17integral_constantIbLb0EESY_IbLb1EEEEDaSU_SV_EUlSU_E_NS1_11comp_targetILNS1_3genE9ELNS1_11target_archE1100ELNS1_3gpuE3ELNS1_3repE0EEENS1_30default_config_static_selectorELNS0_4arch9wavefront6targetE1EEEvT1_: ; @_ZN7rocprim17ROCPRIM_400000_NS6detail17trampoline_kernelINS0_14default_configENS1_27scan_by_key_config_selectorIssEEZZNS1_16scan_by_key_implILNS1_25lookback_scan_determinismE0ELb0ES3_N6thrust23THRUST_200600_302600_NS6detail15normal_iteratorINS9_10device_ptrIsEEEESE_SE_sNS9_4plusIvEENS9_8equal_toIvEEsEE10hipError_tPvRmT2_T3_T4_T5_mT6_T7_P12ihipStream_tbENKUlT_T0_E_clISt17integral_constantIbLb0EESY_IbLb1EEEEDaSU_SV_EUlSU_E_NS1_11comp_targetILNS1_3genE9ELNS1_11target_archE1100ELNS1_3gpuE3ELNS1_3repE0EEENS1_30default_config_static_selectorELNS0_4arch9wavefront6targetE1EEEvT1_
; %bb.0:
	.section	.rodata,"a",@progbits
	.p2align	6, 0x0
	.amdhsa_kernel _ZN7rocprim17ROCPRIM_400000_NS6detail17trampoline_kernelINS0_14default_configENS1_27scan_by_key_config_selectorIssEEZZNS1_16scan_by_key_implILNS1_25lookback_scan_determinismE0ELb0ES3_N6thrust23THRUST_200600_302600_NS6detail15normal_iteratorINS9_10device_ptrIsEEEESE_SE_sNS9_4plusIvEENS9_8equal_toIvEEsEE10hipError_tPvRmT2_T3_T4_T5_mT6_T7_P12ihipStream_tbENKUlT_T0_E_clISt17integral_constantIbLb0EESY_IbLb1EEEEDaSU_SV_EUlSU_E_NS1_11comp_targetILNS1_3genE9ELNS1_11target_archE1100ELNS1_3gpuE3ELNS1_3repE0EEENS1_30default_config_static_selectorELNS0_4arch9wavefront6targetE1EEEvT1_
		.amdhsa_group_segment_fixed_size 0
		.amdhsa_private_segment_fixed_size 0
		.amdhsa_kernarg_size 112
		.amdhsa_user_sgpr_count 6
		.amdhsa_user_sgpr_private_segment_buffer 1
		.amdhsa_user_sgpr_dispatch_ptr 0
		.amdhsa_user_sgpr_queue_ptr 0
		.amdhsa_user_sgpr_kernarg_segment_ptr 1
		.amdhsa_user_sgpr_dispatch_id 0
		.amdhsa_user_sgpr_flat_scratch_init 0
		.amdhsa_user_sgpr_kernarg_preload_length 0
		.amdhsa_user_sgpr_kernarg_preload_offset 0
		.amdhsa_user_sgpr_private_segment_size 0
		.amdhsa_uses_dynamic_stack 0
		.amdhsa_system_sgpr_private_segment_wavefront_offset 0
		.amdhsa_system_sgpr_workgroup_id_x 1
		.amdhsa_system_sgpr_workgroup_id_y 0
		.amdhsa_system_sgpr_workgroup_id_z 0
		.amdhsa_system_sgpr_workgroup_info 0
		.amdhsa_system_vgpr_workitem_id 0
		.amdhsa_next_free_vgpr 1
		.amdhsa_next_free_sgpr 0
		.amdhsa_accum_offset 4
		.amdhsa_reserve_vcc 0
		.amdhsa_reserve_flat_scratch 0
		.amdhsa_float_round_mode_32 0
		.amdhsa_float_round_mode_16_64 0
		.amdhsa_float_denorm_mode_32 3
		.amdhsa_float_denorm_mode_16_64 3
		.amdhsa_dx10_clamp 1
		.amdhsa_ieee_mode 1
		.amdhsa_fp16_overflow 0
		.amdhsa_tg_split 0
		.amdhsa_exception_fp_ieee_invalid_op 0
		.amdhsa_exception_fp_denorm_src 0
		.amdhsa_exception_fp_ieee_div_zero 0
		.amdhsa_exception_fp_ieee_overflow 0
		.amdhsa_exception_fp_ieee_underflow 0
		.amdhsa_exception_fp_ieee_inexact 0
		.amdhsa_exception_int_div_zero 0
	.end_amdhsa_kernel
	.section	.text._ZN7rocprim17ROCPRIM_400000_NS6detail17trampoline_kernelINS0_14default_configENS1_27scan_by_key_config_selectorIssEEZZNS1_16scan_by_key_implILNS1_25lookback_scan_determinismE0ELb0ES3_N6thrust23THRUST_200600_302600_NS6detail15normal_iteratorINS9_10device_ptrIsEEEESE_SE_sNS9_4plusIvEENS9_8equal_toIvEEsEE10hipError_tPvRmT2_T3_T4_T5_mT6_T7_P12ihipStream_tbENKUlT_T0_E_clISt17integral_constantIbLb0EESY_IbLb1EEEEDaSU_SV_EUlSU_E_NS1_11comp_targetILNS1_3genE9ELNS1_11target_archE1100ELNS1_3gpuE3ELNS1_3repE0EEENS1_30default_config_static_selectorELNS0_4arch9wavefront6targetE1EEEvT1_,"axG",@progbits,_ZN7rocprim17ROCPRIM_400000_NS6detail17trampoline_kernelINS0_14default_configENS1_27scan_by_key_config_selectorIssEEZZNS1_16scan_by_key_implILNS1_25lookback_scan_determinismE0ELb0ES3_N6thrust23THRUST_200600_302600_NS6detail15normal_iteratorINS9_10device_ptrIsEEEESE_SE_sNS9_4plusIvEENS9_8equal_toIvEEsEE10hipError_tPvRmT2_T3_T4_T5_mT6_T7_P12ihipStream_tbENKUlT_T0_E_clISt17integral_constantIbLb0EESY_IbLb1EEEEDaSU_SV_EUlSU_E_NS1_11comp_targetILNS1_3genE9ELNS1_11target_archE1100ELNS1_3gpuE3ELNS1_3repE0EEENS1_30default_config_static_selectorELNS0_4arch9wavefront6targetE1EEEvT1_,comdat
.Lfunc_end279:
	.size	_ZN7rocprim17ROCPRIM_400000_NS6detail17trampoline_kernelINS0_14default_configENS1_27scan_by_key_config_selectorIssEEZZNS1_16scan_by_key_implILNS1_25lookback_scan_determinismE0ELb0ES3_N6thrust23THRUST_200600_302600_NS6detail15normal_iteratorINS9_10device_ptrIsEEEESE_SE_sNS9_4plusIvEENS9_8equal_toIvEEsEE10hipError_tPvRmT2_T3_T4_T5_mT6_T7_P12ihipStream_tbENKUlT_T0_E_clISt17integral_constantIbLb0EESY_IbLb1EEEEDaSU_SV_EUlSU_E_NS1_11comp_targetILNS1_3genE9ELNS1_11target_archE1100ELNS1_3gpuE3ELNS1_3repE0EEENS1_30default_config_static_selectorELNS0_4arch9wavefront6targetE1EEEvT1_, .Lfunc_end279-_ZN7rocprim17ROCPRIM_400000_NS6detail17trampoline_kernelINS0_14default_configENS1_27scan_by_key_config_selectorIssEEZZNS1_16scan_by_key_implILNS1_25lookback_scan_determinismE0ELb0ES3_N6thrust23THRUST_200600_302600_NS6detail15normal_iteratorINS9_10device_ptrIsEEEESE_SE_sNS9_4plusIvEENS9_8equal_toIvEEsEE10hipError_tPvRmT2_T3_T4_T5_mT6_T7_P12ihipStream_tbENKUlT_T0_E_clISt17integral_constantIbLb0EESY_IbLb1EEEEDaSU_SV_EUlSU_E_NS1_11comp_targetILNS1_3genE9ELNS1_11target_archE1100ELNS1_3gpuE3ELNS1_3repE0EEENS1_30default_config_static_selectorELNS0_4arch9wavefront6targetE1EEEvT1_
                                        ; -- End function
	.section	.AMDGPU.csdata,"",@progbits
; Kernel info:
; codeLenInByte = 0
; NumSgprs: 4
; NumVgprs: 0
; NumAgprs: 0
; TotalNumVgprs: 0
; ScratchSize: 0
; MemoryBound: 0
; FloatMode: 240
; IeeeMode: 1
; LDSByteSize: 0 bytes/workgroup (compile time only)
; SGPRBlocks: 0
; VGPRBlocks: 0
; NumSGPRsForWavesPerEU: 4
; NumVGPRsForWavesPerEU: 1
; AccumOffset: 4
; Occupancy: 8
; WaveLimiterHint : 0
; COMPUTE_PGM_RSRC2:SCRATCH_EN: 0
; COMPUTE_PGM_RSRC2:USER_SGPR: 6
; COMPUTE_PGM_RSRC2:TRAP_HANDLER: 0
; COMPUTE_PGM_RSRC2:TGID_X_EN: 1
; COMPUTE_PGM_RSRC2:TGID_Y_EN: 0
; COMPUTE_PGM_RSRC2:TGID_Z_EN: 0
; COMPUTE_PGM_RSRC2:TIDIG_COMP_CNT: 0
; COMPUTE_PGM_RSRC3_GFX90A:ACCUM_OFFSET: 0
; COMPUTE_PGM_RSRC3_GFX90A:TG_SPLIT: 0
	.section	.text._ZN7rocprim17ROCPRIM_400000_NS6detail17trampoline_kernelINS0_14default_configENS1_27scan_by_key_config_selectorIssEEZZNS1_16scan_by_key_implILNS1_25lookback_scan_determinismE0ELb0ES3_N6thrust23THRUST_200600_302600_NS6detail15normal_iteratorINS9_10device_ptrIsEEEESE_SE_sNS9_4plusIvEENS9_8equal_toIvEEsEE10hipError_tPvRmT2_T3_T4_T5_mT6_T7_P12ihipStream_tbENKUlT_T0_E_clISt17integral_constantIbLb0EESY_IbLb1EEEEDaSU_SV_EUlSU_E_NS1_11comp_targetILNS1_3genE8ELNS1_11target_archE1030ELNS1_3gpuE2ELNS1_3repE0EEENS1_30default_config_static_selectorELNS0_4arch9wavefront6targetE1EEEvT1_,"axG",@progbits,_ZN7rocprim17ROCPRIM_400000_NS6detail17trampoline_kernelINS0_14default_configENS1_27scan_by_key_config_selectorIssEEZZNS1_16scan_by_key_implILNS1_25lookback_scan_determinismE0ELb0ES3_N6thrust23THRUST_200600_302600_NS6detail15normal_iteratorINS9_10device_ptrIsEEEESE_SE_sNS9_4plusIvEENS9_8equal_toIvEEsEE10hipError_tPvRmT2_T3_T4_T5_mT6_T7_P12ihipStream_tbENKUlT_T0_E_clISt17integral_constantIbLb0EESY_IbLb1EEEEDaSU_SV_EUlSU_E_NS1_11comp_targetILNS1_3genE8ELNS1_11target_archE1030ELNS1_3gpuE2ELNS1_3repE0EEENS1_30default_config_static_selectorELNS0_4arch9wavefront6targetE1EEEvT1_,comdat
	.protected	_ZN7rocprim17ROCPRIM_400000_NS6detail17trampoline_kernelINS0_14default_configENS1_27scan_by_key_config_selectorIssEEZZNS1_16scan_by_key_implILNS1_25lookback_scan_determinismE0ELb0ES3_N6thrust23THRUST_200600_302600_NS6detail15normal_iteratorINS9_10device_ptrIsEEEESE_SE_sNS9_4plusIvEENS9_8equal_toIvEEsEE10hipError_tPvRmT2_T3_T4_T5_mT6_T7_P12ihipStream_tbENKUlT_T0_E_clISt17integral_constantIbLb0EESY_IbLb1EEEEDaSU_SV_EUlSU_E_NS1_11comp_targetILNS1_3genE8ELNS1_11target_archE1030ELNS1_3gpuE2ELNS1_3repE0EEENS1_30default_config_static_selectorELNS0_4arch9wavefront6targetE1EEEvT1_ ; -- Begin function _ZN7rocprim17ROCPRIM_400000_NS6detail17trampoline_kernelINS0_14default_configENS1_27scan_by_key_config_selectorIssEEZZNS1_16scan_by_key_implILNS1_25lookback_scan_determinismE0ELb0ES3_N6thrust23THRUST_200600_302600_NS6detail15normal_iteratorINS9_10device_ptrIsEEEESE_SE_sNS9_4plusIvEENS9_8equal_toIvEEsEE10hipError_tPvRmT2_T3_T4_T5_mT6_T7_P12ihipStream_tbENKUlT_T0_E_clISt17integral_constantIbLb0EESY_IbLb1EEEEDaSU_SV_EUlSU_E_NS1_11comp_targetILNS1_3genE8ELNS1_11target_archE1030ELNS1_3gpuE2ELNS1_3repE0EEENS1_30default_config_static_selectorELNS0_4arch9wavefront6targetE1EEEvT1_
	.globl	_ZN7rocprim17ROCPRIM_400000_NS6detail17trampoline_kernelINS0_14default_configENS1_27scan_by_key_config_selectorIssEEZZNS1_16scan_by_key_implILNS1_25lookback_scan_determinismE0ELb0ES3_N6thrust23THRUST_200600_302600_NS6detail15normal_iteratorINS9_10device_ptrIsEEEESE_SE_sNS9_4plusIvEENS9_8equal_toIvEEsEE10hipError_tPvRmT2_T3_T4_T5_mT6_T7_P12ihipStream_tbENKUlT_T0_E_clISt17integral_constantIbLb0EESY_IbLb1EEEEDaSU_SV_EUlSU_E_NS1_11comp_targetILNS1_3genE8ELNS1_11target_archE1030ELNS1_3gpuE2ELNS1_3repE0EEENS1_30default_config_static_selectorELNS0_4arch9wavefront6targetE1EEEvT1_
	.p2align	8
	.type	_ZN7rocprim17ROCPRIM_400000_NS6detail17trampoline_kernelINS0_14default_configENS1_27scan_by_key_config_selectorIssEEZZNS1_16scan_by_key_implILNS1_25lookback_scan_determinismE0ELb0ES3_N6thrust23THRUST_200600_302600_NS6detail15normal_iteratorINS9_10device_ptrIsEEEESE_SE_sNS9_4plusIvEENS9_8equal_toIvEEsEE10hipError_tPvRmT2_T3_T4_T5_mT6_T7_P12ihipStream_tbENKUlT_T0_E_clISt17integral_constantIbLb0EESY_IbLb1EEEEDaSU_SV_EUlSU_E_NS1_11comp_targetILNS1_3genE8ELNS1_11target_archE1030ELNS1_3gpuE2ELNS1_3repE0EEENS1_30default_config_static_selectorELNS0_4arch9wavefront6targetE1EEEvT1_,@function
_ZN7rocprim17ROCPRIM_400000_NS6detail17trampoline_kernelINS0_14default_configENS1_27scan_by_key_config_selectorIssEEZZNS1_16scan_by_key_implILNS1_25lookback_scan_determinismE0ELb0ES3_N6thrust23THRUST_200600_302600_NS6detail15normal_iteratorINS9_10device_ptrIsEEEESE_SE_sNS9_4plusIvEENS9_8equal_toIvEEsEE10hipError_tPvRmT2_T3_T4_T5_mT6_T7_P12ihipStream_tbENKUlT_T0_E_clISt17integral_constantIbLb0EESY_IbLb1EEEEDaSU_SV_EUlSU_E_NS1_11comp_targetILNS1_3genE8ELNS1_11target_archE1030ELNS1_3gpuE2ELNS1_3repE0EEENS1_30default_config_static_selectorELNS0_4arch9wavefront6targetE1EEEvT1_: ; @_ZN7rocprim17ROCPRIM_400000_NS6detail17trampoline_kernelINS0_14default_configENS1_27scan_by_key_config_selectorIssEEZZNS1_16scan_by_key_implILNS1_25lookback_scan_determinismE0ELb0ES3_N6thrust23THRUST_200600_302600_NS6detail15normal_iteratorINS9_10device_ptrIsEEEESE_SE_sNS9_4plusIvEENS9_8equal_toIvEEsEE10hipError_tPvRmT2_T3_T4_T5_mT6_T7_P12ihipStream_tbENKUlT_T0_E_clISt17integral_constantIbLb0EESY_IbLb1EEEEDaSU_SV_EUlSU_E_NS1_11comp_targetILNS1_3genE8ELNS1_11target_archE1030ELNS1_3gpuE2ELNS1_3repE0EEENS1_30default_config_static_selectorELNS0_4arch9wavefront6targetE1EEEvT1_
; %bb.0:
	.section	.rodata,"a",@progbits
	.p2align	6, 0x0
	.amdhsa_kernel _ZN7rocprim17ROCPRIM_400000_NS6detail17trampoline_kernelINS0_14default_configENS1_27scan_by_key_config_selectorIssEEZZNS1_16scan_by_key_implILNS1_25lookback_scan_determinismE0ELb0ES3_N6thrust23THRUST_200600_302600_NS6detail15normal_iteratorINS9_10device_ptrIsEEEESE_SE_sNS9_4plusIvEENS9_8equal_toIvEEsEE10hipError_tPvRmT2_T3_T4_T5_mT6_T7_P12ihipStream_tbENKUlT_T0_E_clISt17integral_constantIbLb0EESY_IbLb1EEEEDaSU_SV_EUlSU_E_NS1_11comp_targetILNS1_3genE8ELNS1_11target_archE1030ELNS1_3gpuE2ELNS1_3repE0EEENS1_30default_config_static_selectorELNS0_4arch9wavefront6targetE1EEEvT1_
		.amdhsa_group_segment_fixed_size 0
		.amdhsa_private_segment_fixed_size 0
		.amdhsa_kernarg_size 112
		.amdhsa_user_sgpr_count 6
		.amdhsa_user_sgpr_private_segment_buffer 1
		.amdhsa_user_sgpr_dispatch_ptr 0
		.amdhsa_user_sgpr_queue_ptr 0
		.amdhsa_user_sgpr_kernarg_segment_ptr 1
		.amdhsa_user_sgpr_dispatch_id 0
		.amdhsa_user_sgpr_flat_scratch_init 0
		.amdhsa_user_sgpr_kernarg_preload_length 0
		.amdhsa_user_sgpr_kernarg_preload_offset 0
		.amdhsa_user_sgpr_private_segment_size 0
		.amdhsa_uses_dynamic_stack 0
		.amdhsa_system_sgpr_private_segment_wavefront_offset 0
		.amdhsa_system_sgpr_workgroup_id_x 1
		.amdhsa_system_sgpr_workgroup_id_y 0
		.amdhsa_system_sgpr_workgroup_id_z 0
		.amdhsa_system_sgpr_workgroup_info 0
		.amdhsa_system_vgpr_workitem_id 0
		.amdhsa_next_free_vgpr 1
		.amdhsa_next_free_sgpr 0
		.amdhsa_accum_offset 4
		.amdhsa_reserve_vcc 0
		.amdhsa_reserve_flat_scratch 0
		.amdhsa_float_round_mode_32 0
		.amdhsa_float_round_mode_16_64 0
		.amdhsa_float_denorm_mode_32 3
		.amdhsa_float_denorm_mode_16_64 3
		.amdhsa_dx10_clamp 1
		.amdhsa_ieee_mode 1
		.amdhsa_fp16_overflow 0
		.amdhsa_tg_split 0
		.amdhsa_exception_fp_ieee_invalid_op 0
		.amdhsa_exception_fp_denorm_src 0
		.amdhsa_exception_fp_ieee_div_zero 0
		.amdhsa_exception_fp_ieee_overflow 0
		.amdhsa_exception_fp_ieee_underflow 0
		.amdhsa_exception_fp_ieee_inexact 0
		.amdhsa_exception_int_div_zero 0
	.end_amdhsa_kernel
	.section	.text._ZN7rocprim17ROCPRIM_400000_NS6detail17trampoline_kernelINS0_14default_configENS1_27scan_by_key_config_selectorIssEEZZNS1_16scan_by_key_implILNS1_25lookback_scan_determinismE0ELb0ES3_N6thrust23THRUST_200600_302600_NS6detail15normal_iteratorINS9_10device_ptrIsEEEESE_SE_sNS9_4plusIvEENS9_8equal_toIvEEsEE10hipError_tPvRmT2_T3_T4_T5_mT6_T7_P12ihipStream_tbENKUlT_T0_E_clISt17integral_constantIbLb0EESY_IbLb1EEEEDaSU_SV_EUlSU_E_NS1_11comp_targetILNS1_3genE8ELNS1_11target_archE1030ELNS1_3gpuE2ELNS1_3repE0EEENS1_30default_config_static_selectorELNS0_4arch9wavefront6targetE1EEEvT1_,"axG",@progbits,_ZN7rocprim17ROCPRIM_400000_NS6detail17trampoline_kernelINS0_14default_configENS1_27scan_by_key_config_selectorIssEEZZNS1_16scan_by_key_implILNS1_25lookback_scan_determinismE0ELb0ES3_N6thrust23THRUST_200600_302600_NS6detail15normal_iteratorINS9_10device_ptrIsEEEESE_SE_sNS9_4plusIvEENS9_8equal_toIvEEsEE10hipError_tPvRmT2_T3_T4_T5_mT6_T7_P12ihipStream_tbENKUlT_T0_E_clISt17integral_constantIbLb0EESY_IbLb1EEEEDaSU_SV_EUlSU_E_NS1_11comp_targetILNS1_3genE8ELNS1_11target_archE1030ELNS1_3gpuE2ELNS1_3repE0EEENS1_30default_config_static_selectorELNS0_4arch9wavefront6targetE1EEEvT1_,comdat
.Lfunc_end280:
	.size	_ZN7rocprim17ROCPRIM_400000_NS6detail17trampoline_kernelINS0_14default_configENS1_27scan_by_key_config_selectorIssEEZZNS1_16scan_by_key_implILNS1_25lookback_scan_determinismE0ELb0ES3_N6thrust23THRUST_200600_302600_NS6detail15normal_iteratorINS9_10device_ptrIsEEEESE_SE_sNS9_4plusIvEENS9_8equal_toIvEEsEE10hipError_tPvRmT2_T3_T4_T5_mT6_T7_P12ihipStream_tbENKUlT_T0_E_clISt17integral_constantIbLb0EESY_IbLb1EEEEDaSU_SV_EUlSU_E_NS1_11comp_targetILNS1_3genE8ELNS1_11target_archE1030ELNS1_3gpuE2ELNS1_3repE0EEENS1_30default_config_static_selectorELNS0_4arch9wavefront6targetE1EEEvT1_, .Lfunc_end280-_ZN7rocprim17ROCPRIM_400000_NS6detail17trampoline_kernelINS0_14default_configENS1_27scan_by_key_config_selectorIssEEZZNS1_16scan_by_key_implILNS1_25lookback_scan_determinismE0ELb0ES3_N6thrust23THRUST_200600_302600_NS6detail15normal_iteratorINS9_10device_ptrIsEEEESE_SE_sNS9_4plusIvEENS9_8equal_toIvEEsEE10hipError_tPvRmT2_T3_T4_T5_mT6_T7_P12ihipStream_tbENKUlT_T0_E_clISt17integral_constantIbLb0EESY_IbLb1EEEEDaSU_SV_EUlSU_E_NS1_11comp_targetILNS1_3genE8ELNS1_11target_archE1030ELNS1_3gpuE2ELNS1_3repE0EEENS1_30default_config_static_selectorELNS0_4arch9wavefront6targetE1EEEvT1_
                                        ; -- End function
	.section	.AMDGPU.csdata,"",@progbits
; Kernel info:
; codeLenInByte = 0
; NumSgprs: 4
; NumVgprs: 0
; NumAgprs: 0
; TotalNumVgprs: 0
; ScratchSize: 0
; MemoryBound: 0
; FloatMode: 240
; IeeeMode: 1
; LDSByteSize: 0 bytes/workgroup (compile time only)
; SGPRBlocks: 0
; VGPRBlocks: 0
; NumSGPRsForWavesPerEU: 4
; NumVGPRsForWavesPerEU: 1
; AccumOffset: 4
; Occupancy: 8
; WaveLimiterHint : 0
; COMPUTE_PGM_RSRC2:SCRATCH_EN: 0
; COMPUTE_PGM_RSRC2:USER_SGPR: 6
; COMPUTE_PGM_RSRC2:TRAP_HANDLER: 0
; COMPUTE_PGM_RSRC2:TGID_X_EN: 1
; COMPUTE_PGM_RSRC2:TGID_Y_EN: 0
; COMPUTE_PGM_RSRC2:TGID_Z_EN: 0
; COMPUTE_PGM_RSRC2:TIDIG_COMP_CNT: 0
; COMPUTE_PGM_RSRC3_GFX90A:ACCUM_OFFSET: 0
; COMPUTE_PGM_RSRC3_GFX90A:TG_SPLIT: 0
	.section	.text._ZN7rocprim17ROCPRIM_400000_NS6detail17trampoline_kernelINS0_14default_configENS1_27scan_by_key_config_selectorIssEEZZNS1_16scan_by_key_implILNS1_25lookback_scan_determinismE0ELb0ES3_N6thrust23THRUST_200600_302600_NS6detail15normal_iteratorINS9_10device_ptrIsEEEESE_SE_sNS9_10multipliesIsEENS9_8equal_toIsEEsEE10hipError_tPvRmT2_T3_T4_T5_mT6_T7_P12ihipStream_tbENKUlT_T0_E_clISt17integral_constantIbLb0EESZ_EEDaSU_SV_EUlSU_E_NS1_11comp_targetILNS1_3genE0ELNS1_11target_archE4294967295ELNS1_3gpuE0ELNS1_3repE0EEENS1_30default_config_static_selectorELNS0_4arch9wavefront6targetE1EEEvT1_,"axG",@progbits,_ZN7rocprim17ROCPRIM_400000_NS6detail17trampoline_kernelINS0_14default_configENS1_27scan_by_key_config_selectorIssEEZZNS1_16scan_by_key_implILNS1_25lookback_scan_determinismE0ELb0ES3_N6thrust23THRUST_200600_302600_NS6detail15normal_iteratorINS9_10device_ptrIsEEEESE_SE_sNS9_10multipliesIsEENS9_8equal_toIsEEsEE10hipError_tPvRmT2_T3_T4_T5_mT6_T7_P12ihipStream_tbENKUlT_T0_E_clISt17integral_constantIbLb0EESZ_EEDaSU_SV_EUlSU_E_NS1_11comp_targetILNS1_3genE0ELNS1_11target_archE4294967295ELNS1_3gpuE0ELNS1_3repE0EEENS1_30default_config_static_selectorELNS0_4arch9wavefront6targetE1EEEvT1_,comdat
	.protected	_ZN7rocprim17ROCPRIM_400000_NS6detail17trampoline_kernelINS0_14default_configENS1_27scan_by_key_config_selectorIssEEZZNS1_16scan_by_key_implILNS1_25lookback_scan_determinismE0ELb0ES3_N6thrust23THRUST_200600_302600_NS6detail15normal_iteratorINS9_10device_ptrIsEEEESE_SE_sNS9_10multipliesIsEENS9_8equal_toIsEEsEE10hipError_tPvRmT2_T3_T4_T5_mT6_T7_P12ihipStream_tbENKUlT_T0_E_clISt17integral_constantIbLb0EESZ_EEDaSU_SV_EUlSU_E_NS1_11comp_targetILNS1_3genE0ELNS1_11target_archE4294967295ELNS1_3gpuE0ELNS1_3repE0EEENS1_30default_config_static_selectorELNS0_4arch9wavefront6targetE1EEEvT1_ ; -- Begin function _ZN7rocprim17ROCPRIM_400000_NS6detail17trampoline_kernelINS0_14default_configENS1_27scan_by_key_config_selectorIssEEZZNS1_16scan_by_key_implILNS1_25lookback_scan_determinismE0ELb0ES3_N6thrust23THRUST_200600_302600_NS6detail15normal_iteratorINS9_10device_ptrIsEEEESE_SE_sNS9_10multipliesIsEENS9_8equal_toIsEEsEE10hipError_tPvRmT2_T3_T4_T5_mT6_T7_P12ihipStream_tbENKUlT_T0_E_clISt17integral_constantIbLb0EESZ_EEDaSU_SV_EUlSU_E_NS1_11comp_targetILNS1_3genE0ELNS1_11target_archE4294967295ELNS1_3gpuE0ELNS1_3repE0EEENS1_30default_config_static_selectorELNS0_4arch9wavefront6targetE1EEEvT1_
	.globl	_ZN7rocprim17ROCPRIM_400000_NS6detail17trampoline_kernelINS0_14default_configENS1_27scan_by_key_config_selectorIssEEZZNS1_16scan_by_key_implILNS1_25lookback_scan_determinismE0ELb0ES3_N6thrust23THRUST_200600_302600_NS6detail15normal_iteratorINS9_10device_ptrIsEEEESE_SE_sNS9_10multipliesIsEENS9_8equal_toIsEEsEE10hipError_tPvRmT2_T3_T4_T5_mT6_T7_P12ihipStream_tbENKUlT_T0_E_clISt17integral_constantIbLb0EESZ_EEDaSU_SV_EUlSU_E_NS1_11comp_targetILNS1_3genE0ELNS1_11target_archE4294967295ELNS1_3gpuE0ELNS1_3repE0EEENS1_30default_config_static_selectorELNS0_4arch9wavefront6targetE1EEEvT1_
	.p2align	8
	.type	_ZN7rocprim17ROCPRIM_400000_NS6detail17trampoline_kernelINS0_14default_configENS1_27scan_by_key_config_selectorIssEEZZNS1_16scan_by_key_implILNS1_25lookback_scan_determinismE0ELb0ES3_N6thrust23THRUST_200600_302600_NS6detail15normal_iteratorINS9_10device_ptrIsEEEESE_SE_sNS9_10multipliesIsEENS9_8equal_toIsEEsEE10hipError_tPvRmT2_T3_T4_T5_mT6_T7_P12ihipStream_tbENKUlT_T0_E_clISt17integral_constantIbLb0EESZ_EEDaSU_SV_EUlSU_E_NS1_11comp_targetILNS1_3genE0ELNS1_11target_archE4294967295ELNS1_3gpuE0ELNS1_3repE0EEENS1_30default_config_static_selectorELNS0_4arch9wavefront6targetE1EEEvT1_,@function
_ZN7rocprim17ROCPRIM_400000_NS6detail17trampoline_kernelINS0_14default_configENS1_27scan_by_key_config_selectorIssEEZZNS1_16scan_by_key_implILNS1_25lookback_scan_determinismE0ELb0ES3_N6thrust23THRUST_200600_302600_NS6detail15normal_iteratorINS9_10device_ptrIsEEEESE_SE_sNS9_10multipliesIsEENS9_8equal_toIsEEsEE10hipError_tPvRmT2_T3_T4_T5_mT6_T7_P12ihipStream_tbENKUlT_T0_E_clISt17integral_constantIbLb0EESZ_EEDaSU_SV_EUlSU_E_NS1_11comp_targetILNS1_3genE0ELNS1_11target_archE4294967295ELNS1_3gpuE0ELNS1_3repE0EEENS1_30default_config_static_selectorELNS0_4arch9wavefront6targetE1EEEvT1_: ; @_ZN7rocprim17ROCPRIM_400000_NS6detail17trampoline_kernelINS0_14default_configENS1_27scan_by_key_config_selectorIssEEZZNS1_16scan_by_key_implILNS1_25lookback_scan_determinismE0ELb0ES3_N6thrust23THRUST_200600_302600_NS6detail15normal_iteratorINS9_10device_ptrIsEEEESE_SE_sNS9_10multipliesIsEENS9_8equal_toIsEEsEE10hipError_tPvRmT2_T3_T4_T5_mT6_T7_P12ihipStream_tbENKUlT_T0_E_clISt17integral_constantIbLb0EESZ_EEDaSU_SV_EUlSU_E_NS1_11comp_targetILNS1_3genE0ELNS1_11target_archE4294967295ELNS1_3gpuE0ELNS1_3repE0EEENS1_30default_config_static_selectorELNS0_4arch9wavefront6targetE1EEEvT1_
; %bb.0:
	.section	.rodata,"a",@progbits
	.p2align	6, 0x0
	.amdhsa_kernel _ZN7rocprim17ROCPRIM_400000_NS6detail17trampoline_kernelINS0_14default_configENS1_27scan_by_key_config_selectorIssEEZZNS1_16scan_by_key_implILNS1_25lookback_scan_determinismE0ELb0ES3_N6thrust23THRUST_200600_302600_NS6detail15normal_iteratorINS9_10device_ptrIsEEEESE_SE_sNS9_10multipliesIsEENS9_8equal_toIsEEsEE10hipError_tPvRmT2_T3_T4_T5_mT6_T7_P12ihipStream_tbENKUlT_T0_E_clISt17integral_constantIbLb0EESZ_EEDaSU_SV_EUlSU_E_NS1_11comp_targetILNS1_3genE0ELNS1_11target_archE4294967295ELNS1_3gpuE0ELNS1_3repE0EEENS1_30default_config_static_selectorELNS0_4arch9wavefront6targetE1EEEvT1_
		.amdhsa_group_segment_fixed_size 0
		.amdhsa_private_segment_fixed_size 0
		.amdhsa_kernarg_size 112
		.amdhsa_user_sgpr_count 6
		.amdhsa_user_sgpr_private_segment_buffer 1
		.amdhsa_user_sgpr_dispatch_ptr 0
		.amdhsa_user_sgpr_queue_ptr 0
		.amdhsa_user_sgpr_kernarg_segment_ptr 1
		.amdhsa_user_sgpr_dispatch_id 0
		.amdhsa_user_sgpr_flat_scratch_init 0
		.amdhsa_user_sgpr_kernarg_preload_length 0
		.amdhsa_user_sgpr_kernarg_preload_offset 0
		.amdhsa_user_sgpr_private_segment_size 0
		.amdhsa_uses_dynamic_stack 0
		.amdhsa_system_sgpr_private_segment_wavefront_offset 0
		.amdhsa_system_sgpr_workgroup_id_x 1
		.amdhsa_system_sgpr_workgroup_id_y 0
		.amdhsa_system_sgpr_workgroup_id_z 0
		.amdhsa_system_sgpr_workgroup_info 0
		.amdhsa_system_vgpr_workitem_id 0
		.amdhsa_next_free_vgpr 1
		.amdhsa_next_free_sgpr 0
		.amdhsa_accum_offset 4
		.amdhsa_reserve_vcc 0
		.amdhsa_reserve_flat_scratch 0
		.amdhsa_float_round_mode_32 0
		.amdhsa_float_round_mode_16_64 0
		.amdhsa_float_denorm_mode_32 3
		.amdhsa_float_denorm_mode_16_64 3
		.amdhsa_dx10_clamp 1
		.amdhsa_ieee_mode 1
		.amdhsa_fp16_overflow 0
		.amdhsa_tg_split 0
		.amdhsa_exception_fp_ieee_invalid_op 0
		.amdhsa_exception_fp_denorm_src 0
		.amdhsa_exception_fp_ieee_div_zero 0
		.amdhsa_exception_fp_ieee_overflow 0
		.amdhsa_exception_fp_ieee_underflow 0
		.amdhsa_exception_fp_ieee_inexact 0
		.amdhsa_exception_int_div_zero 0
	.end_amdhsa_kernel
	.section	.text._ZN7rocprim17ROCPRIM_400000_NS6detail17trampoline_kernelINS0_14default_configENS1_27scan_by_key_config_selectorIssEEZZNS1_16scan_by_key_implILNS1_25lookback_scan_determinismE0ELb0ES3_N6thrust23THRUST_200600_302600_NS6detail15normal_iteratorINS9_10device_ptrIsEEEESE_SE_sNS9_10multipliesIsEENS9_8equal_toIsEEsEE10hipError_tPvRmT2_T3_T4_T5_mT6_T7_P12ihipStream_tbENKUlT_T0_E_clISt17integral_constantIbLb0EESZ_EEDaSU_SV_EUlSU_E_NS1_11comp_targetILNS1_3genE0ELNS1_11target_archE4294967295ELNS1_3gpuE0ELNS1_3repE0EEENS1_30default_config_static_selectorELNS0_4arch9wavefront6targetE1EEEvT1_,"axG",@progbits,_ZN7rocprim17ROCPRIM_400000_NS6detail17trampoline_kernelINS0_14default_configENS1_27scan_by_key_config_selectorIssEEZZNS1_16scan_by_key_implILNS1_25lookback_scan_determinismE0ELb0ES3_N6thrust23THRUST_200600_302600_NS6detail15normal_iteratorINS9_10device_ptrIsEEEESE_SE_sNS9_10multipliesIsEENS9_8equal_toIsEEsEE10hipError_tPvRmT2_T3_T4_T5_mT6_T7_P12ihipStream_tbENKUlT_T0_E_clISt17integral_constantIbLb0EESZ_EEDaSU_SV_EUlSU_E_NS1_11comp_targetILNS1_3genE0ELNS1_11target_archE4294967295ELNS1_3gpuE0ELNS1_3repE0EEENS1_30default_config_static_selectorELNS0_4arch9wavefront6targetE1EEEvT1_,comdat
.Lfunc_end281:
	.size	_ZN7rocprim17ROCPRIM_400000_NS6detail17trampoline_kernelINS0_14default_configENS1_27scan_by_key_config_selectorIssEEZZNS1_16scan_by_key_implILNS1_25lookback_scan_determinismE0ELb0ES3_N6thrust23THRUST_200600_302600_NS6detail15normal_iteratorINS9_10device_ptrIsEEEESE_SE_sNS9_10multipliesIsEENS9_8equal_toIsEEsEE10hipError_tPvRmT2_T3_T4_T5_mT6_T7_P12ihipStream_tbENKUlT_T0_E_clISt17integral_constantIbLb0EESZ_EEDaSU_SV_EUlSU_E_NS1_11comp_targetILNS1_3genE0ELNS1_11target_archE4294967295ELNS1_3gpuE0ELNS1_3repE0EEENS1_30default_config_static_selectorELNS0_4arch9wavefront6targetE1EEEvT1_, .Lfunc_end281-_ZN7rocprim17ROCPRIM_400000_NS6detail17trampoline_kernelINS0_14default_configENS1_27scan_by_key_config_selectorIssEEZZNS1_16scan_by_key_implILNS1_25lookback_scan_determinismE0ELb0ES3_N6thrust23THRUST_200600_302600_NS6detail15normal_iteratorINS9_10device_ptrIsEEEESE_SE_sNS9_10multipliesIsEENS9_8equal_toIsEEsEE10hipError_tPvRmT2_T3_T4_T5_mT6_T7_P12ihipStream_tbENKUlT_T0_E_clISt17integral_constantIbLb0EESZ_EEDaSU_SV_EUlSU_E_NS1_11comp_targetILNS1_3genE0ELNS1_11target_archE4294967295ELNS1_3gpuE0ELNS1_3repE0EEENS1_30default_config_static_selectorELNS0_4arch9wavefront6targetE1EEEvT1_
                                        ; -- End function
	.section	.AMDGPU.csdata,"",@progbits
; Kernel info:
; codeLenInByte = 0
; NumSgprs: 4
; NumVgprs: 0
; NumAgprs: 0
; TotalNumVgprs: 0
; ScratchSize: 0
; MemoryBound: 0
; FloatMode: 240
; IeeeMode: 1
; LDSByteSize: 0 bytes/workgroup (compile time only)
; SGPRBlocks: 0
; VGPRBlocks: 0
; NumSGPRsForWavesPerEU: 4
; NumVGPRsForWavesPerEU: 1
; AccumOffset: 4
; Occupancy: 8
; WaveLimiterHint : 0
; COMPUTE_PGM_RSRC2:SCRATCH_EN: 0
; COMPUTE_PGM_RSRC2:USER_SGPR: 6
; COMPUTE_PGM_RSRC2:TRAP_HANDLER: 0
; COMPUTE_PGM_RSRC2:TGID_X_EN: 1
; COMPUTE_PGM_RSRC2:TGID_Y_EN: 0
; COMPUTE_PGM_RSRC2:TGID_Z_EN: 0
; COMPUTE_PGM_RSRC2:TIDIG_COMP_CNT: 0
; COMPUTE_PGM_RSRC3_GFX90A:ACCUM_OFFSET: 0
; COMPUTE_PGM_RSRC3_GFX90A:TG_SPLIT: 0
	.section	.text._ZN7rocprim17ROCPRIM_400000_NS6detail17trampoline_kernelINS0_14default_configENS1_27scan_by_key_config_selectorIssEEZZNS1_16scan_by_key_implILNS1_25lookback_scan_determinismE0ELb0ES3_N6thrust23THRUST_200600_302600_NS6detail15normal_iteratorINS9_10device_ptrIsEEEESE_SE_sNS9_10multipliesIsEENS9_8equal_toIsEEsEE10hipError_tPvRmT2_T3_T4_T5_mT6_T7_P12ihipStream_tbENKUlT_T0_E_clISt17integral_constantIbLb0EESZ_EEDaSU_SV_EUlSU_E_NS1_11comp_targetILNS1_3genE10ELNS1_11target_archE1201ELNS1_3gpuE5ELNS1_3repE0EEENS1_30default_config_static_selectorELNS0_4arch9wavefront6targetE1EEEvT1_,"axG",@progbits,_ZN7rocprim17ROCPRIM_400000_NS6detail17trampoline_kernelINS0_14default_configENS1_27scan_by_key_config_selectorIssEEZZNS1_16scan_by_key_implILNS1_25lookback_scan_determinismE0ELb0ES3_N6thrust23THRUST_200600_302600_NS6detail15normal_iteratorINS9_10device_ptrIsEEEESE_SE_sNS9_10multipliesIsEENS9_8equal_toIsEEsEE10hipError_tPvRmT2_T3_T4_T5_mT6_T7_P12ihipStream_tbENKUlT_T0_E_clISt17integral_constantIbLb0EESZ_EEDaSU_SV_EUlSU_E_NS1_11comp_targetILNS1_3genE10ELNS1_11target_archE1201ELNS1_3gpuE5ELNS1_3repE0EEENS1_30default_config_static_selectorELNS0_4arch9wavefront6targetE1EEEvT1_,comdat
	.protected	_ZN7rocprim17ROCPRIM_400000_NS6detail17trampoline_kernelINS0_14default_configENS1_27scan_by_key_config_selectorIssEEZZNS1_16scan_by_key_implILNS1_25lookback_scan_determinismE0ELb0ES3_N6thrust23THRUST_200600_302600_NS6detail15normal_iteratorINS9_10device_ptrIsEEEESE_SE_sNS9_10multipliesIsEENS9_8equal_toIsEEsEE10hipError_tPvRmT2_T3_T4_T5_mT6_T7_P12ihipStream_tbENKUlT_T0_E_clISt17integral_constantIbLb0EESZ_EEDaSU_SV_EUlSU_E_NS1_11comp_targetILNS1_3genE10ELNS1_11target_archE1201ELNS1_3gpuE5ELNS1_3repE0EEENS1_30default_config_static_selectorELNS0_4arch9wavefront6targetE1EEEvT1_ ; -- Begin function _ZN7rocprim17ROCPRIM_400000_NS6detail17trampoline_kernelINS0_14default_configENS1_27scan_by_key_config_selectorIssEEZZNS1_16scan_by_key_implILNS1_25lookback_scan_determinismE0ELb0ES3_N6thrust23THRUST_200600_302600_NS6detail15normal_iteratorINS9_10device_ptrIsEEEESE_SE_sNS9_10multipliesIsEENS9_8equal_toIsEEsEE10hipError_tPvRmT2_T3_T4_T5_mT6_T7_P12ihipStream_tbENKUlT_T0_E_clISt17integral_constantIbLb0EESZ_EEDaSU_SV_EUlSU_E_NS1_11comp_targetILNS1_3genE10ELNS1_11target_archE1201ELNS1_3gpuE5ELNS1_3repE0EEENS1_30default_config_static_selectorELNS0_4arch9wavefront6targetE1EEEvT1_
	.globl	_ZN7rocprim17ROCPRIM_400000_NS6detail17trampoline_kernelINS0_14default_configENS1_27scan_by_key_config_selectorIssEEZZNS1_16scan_by_key_implILNS1_25lookback_scan_determinismE0ELb0ES3_N6thrust23THRUST_200600_302600_NS6detail15normal_iteratorINS9_10device_ptrIsEEEESE_SE_sNS9_10multipliesIsEENS9_8equal_toIsEEsEE10hipError_tPvRmT2_T3_T4_T5_mT6_T7_P12ihipStream_tbENKUlT_T0_E_clISt17integral_constantIbLb0EESZ_EEDaSU_SV_EUlSU_E_NS1_11comp_targetILNS1_3genE10ELNS1_11target_archE1201ELNS1_3gpuE5ELNS1_3repE0EEENS1_30default_config_static_selectorELNS0_4arch9wavefront6targetE1EEEvT1_
	.p2align	8
	.type	_ZN7rocprim17ROCPRIM_400000_NS6detail17trampoline_kernelINS0_14default_configENS1_27scan_by_key_config_selectorIssEEZZNS1_16scan_by_key_implILNS1_25lookback_scan_determinismE0ELb0ES3_N6thrust23THRUST_200600_302600_NS6detail15normal_iteratorINS9_10device_ptrIsEEEESE_SE_sNS9_10multipliesIsEENS9_8equal_toIsEEsEE10hipError_tPvRmT2_T3_T4_T5_mT6_T7_P12ihipStream_tbENKUlT_T0_E_clISt17integral_constantIbLb0EESZ_EEDaSU_SV_EUlSU_E_NS1_11comp_targetILNS1_3genE10ELNS1_11target_archE1201ELNS1_3gpuE5ELNS1_3repE0EEENS1_30default_config_static_selectorELNS0_4arch9wavefront6targetE1EEEvT1_,@function
_ZN7rocprim17ROCPRIM_400000_NS6detail17trampoline_kernelINS0_14default_configENS1_27scan_by_key_config_selectorIssEEZZNS1_16scan_by_key_implILNS1_25lookback_scan_determinismE0ELb0ES3_N6thrust23THRUST_200600_302600_NS6detail15normal_iteratorINS9_10device_ptrIsEEEESE_SE_sNS9_10multipliesIsEENS9_8equal_toIsEEsEE10hipError_tPvRmT2_T3_T4_T5_mT6_T7_P12ihipStream_tbENKUlT_T0_E_clISt17integral_constantIbLb0EESZ_EEDaSU_SV_EUlSU_E_NS1_11comp_targetILNS1_3genE10ELNS1_11target_archE1201ELNS1_3gpuE5ELNS1_3repE0EEENS1_30default_config_static_selectorELNS0_4arch9wavefront6targetE1EEEvT1_: ; @_ZN7rocprim17ROCPRIM_400000_NS6detail17trampoline_kernelINS0_14default_configENS1_27scan_by_key_config_selectorIssEEZZNS1_16scan_by_key_implILNS1_25lookback_scan_determinismE0ELb0ES3_N6thrust23THRUST_200600_302600_NS6detail15normal_iteratorINS9_10device_ptrIsEEEESE_SE_sNS9_10multipliesIsEENS9_8equal_toIsEEsEE10hipError_tPvRmT2_T3_T4_T5_mT6_T7_P12ihipStream_tbENKUlT_T0_E_clISt17integral_constantIbLb0EESZ_EEDaSU_SV_EUlSU_E_NS1_11comp_targetILNS1_3genE10ELNS1_11target_archE1201ELNS1_3gpuE5ELNS1_3repE0EEENS1_30default_config_static_selectorELNS0_4arch9wavefront6targetE1EEEvT1_
; %bb.0:
	.section	.rodata,"a",@progbits
	.p2align	6, 0x0
	.amdhsa_kernel _ZN7rocprim17ROCPRIM_400000_NS6detail17trampoline_kernelINS0_14default_configENS1_27scan_by_key_config_selectorIssEEZZNS1_16scan_by_key_implILNS1_25lookback_scan_determinismE0ELb0ES3_N6thrust23THRUST_200600_302600_NS6detail15normal_iteratorINS9_10device_ptrIsEEEESE_SE_sNS9_10multipliesIsEENS9_8equal_toIsEEsEE10hipError_tPvRmT2_T3_T4_T5_mT6_T7_P12ihipStream_tbENKUlT_T0_E_clISt17integral_constantIbLb0EESZ_EEDaSU_SV_EUlSU_E_NS1_11comp_targetILNS1_3genE10ELNS1_11target_archE1201ELNS1_3gpuE5ELNS1_3repE0EEENS1_30default_config_static_selectorELNS0_4arch9wavefront6targetE1EEEvT1_
		.amdhsa_group_segment_fixed_size 0
		.amdhsa_private_segment_fixed_size 0
		.amdhsa_kernarg_size 112
		.amdhsa_user_sgpr_count 6
		.amdhsa_user_sgpr_private_segment_buffer 1
		.amdhsa_user_sgpr_dispatch_ptr 0
		.amdhsa_user_sgpr_queue_ptr 0
		.amdhsa_user_sgpr_kernarg_segment_ptr 1
		.amdhsa_user_sgpr_dispatch_id 0
		.amdhsa_user_sgpr_flat_scratch_init 0
		.amdhsa_user_sgpr_kernarg_preload_length 0
		.amdhsa_user_sgpr_kernarg_preload_offset 0
		.amdhsa_user_sgpr_private_segment_size 0
		.amdhsa_uses_dynamic_stack 0
		.amdhsa_system_sgpr_private_segment_wavefront_offset 0
		.amdhsa_system_sgpr_workgroup_id_x 1
		.amdhsa_system_sgpr_workgroup_id_y 0
		.amdhsa_system_sgpr_workgroup_id_z 0
		.amdhsa_system_sgpr_workgroup_info 0
		.amdhsa_system_vgpr_workitem_id 0
		.amdhsa_next_free_vgpr 1
		.amdhsa_next_free_sgpr 0
		.amdhsa_accum_offset 4
		.amdhsa_reserve_vcc 0
		.amdhsa_reserve_flat_scratch 0
		.amdhsa_float_round_mode_32 0
		.amdhsa_float_round_mode_16_64 0
		.amdhsa_float_denorm_mode_32 3
		.amdhsa_float_denorm_mode_16_64 3
		.amdhsa_dx10_clamp 1
		.amdhsa_ieee_mode 1
		.amdhsa_fp16_overflow 0
		.amdhsa_tg_split 0
		.amdhsa_exception_fp_ieee_invalid_op 0
		.amdhsa_exception_fp_denorm_src 0
		.amdhsa_exception_fp_ieee_div_zero 0
		.amdhsa_exception_fp_ieee_overflow 0
		.amdhsa_exception_fp_ieee_underflow 0
		.amdhsa_exception_fp_ieee_inexact 0
		.amdhsa_exception_int_div_zero 0
	.end_amdhsa_kernel
	.section	.text._ZN7rocprim17ROCPRIM_400000_NS6detail17trampoline_kernelINS0_14default_configENS1_27scan_by_key_config_selectorIssEEZZNS1_16scan_by_key_implILNS1_25lookback_scan_determinismE0ELb0ES3_N6thrust23THRUST_200600_302600_NS6detail15normal_iteratorINS9_10device_ptrIsEEEESE_SE_sNS9_10multipliesIsEENS9_8equal_toIsEEsEE10hipError_tPvRmT2_T3_T4_T5_mT6_T7_P12ihipStream_tbENKUlT_T0_E_clISt17integral_constantIbLb0EESZ_EEDaSU_SV_EUlSU_E_NS1_11comp_targetILNS1_3genE10ELNS1_11target_archE1201ELNS1_3gpuE5ELNS1_3repE0EEENS1_30default_config_static_selectorELNS0_4arch9wavefront6targetE1EEEvT1_,"axG",@progbits,_ZN7rocprim17ROCPRIM_400000_NS6detail17trampoline_kernelINS0_14default_configENS1_27scan_by_key_config_selectorIssEEZZNS1_16scan_by_key_implILNS1_25lookback_scan_determinismE0ELb0ES3_N6thrust23THRUST_200600_302600_NS6detail15normal_iteratorINS9_10device_ptrIsEEEESE_SE_sNS9_10multipliesIsEENS9_8equal_toIsEEsEE10hipError_tPvRmT2_T3_T4_T5_mT6_T7_P12ihipStream_tbENKUlT_T0_E_clISt17integral_constantIbLb0EESZ_EEDaSU_SV_EUlSU_E_NS1_11comp_targetILNS1_3genE10ELNS1_11target_archE1201ELNS1_3gpuE5ELNS1_3repE0EEENS1_30default_config_static_selectorELNS0_4arch9wavefront6targetE1EEEvT1_,comdat
.Lfunc_end282:
	.size	_ZN7rocprim17ROCPRIM_400000_NS6detail17trampoline_kernelINS0_14default_configENS1_27scan_by_key_config_selectorIssEEZZNS1_16scan_by_key_implILNS1_25lookback_scan_determinismE0ELb0ES3_N6thrust23THRUST_200600_302600_NS6detail15normal_iteratorINS9_10device_ptrIsEEEESE_SE_sNS9_10multipliesIsEENS9_8equal_toIsEEsEE10hipError_tPvRmT2_T3_T4_T5_mT6_T7_P12ihipStream_tbENKUlT_T0_E_clISt17integral_constantIbLb0EESZ_EEDaSU_SV_EUlSU_E_NS1_11comp_targetILNS1_3genE10ELNS1_11target_archE1201ELNS1_3gpuE5ELNS1_3repE0EEENS1_30default_config_static_selectorELNS0_4arch9wavefront6targetE1EEEvT1_, .Lfunc_end282-_ZN7rocprim17ROCPRIM_400000_NS6detail17trampoline_kernelINS0_14default_configENS1_27scan_by_key_config_selectorIssEEZZNS1_16scan_by_key_implILNS1_25lookback_scan_determinismE0ELb0ES3_N6thrust23THRUST_200600_302600_NS6detail15normal_iteratorINS9_10device_ptrIsEEEESE_SE_sNS9_10multipliesIsEENS9_8equal_toIsEEsEE10hipError_tPvRmT2_T3_T4_T5_mT6_T7_P12ihipStream_tbENKUlT_T0_E_clISt17integral_constantIbLb0EESZ_EEDaSU_SV_EUlSU_E_NS1_11comp_targetILNS1_3genE10ELNS1_11target_archE1201ELNS1_3gpuE5ELNS1_3repE0EEENS1_30default_config_static_selectorELNS0_4arch9wavefront6targetE1EEEvT1_
                                        ; -- End function
	.section	.AMDGPU.csdata,"",@progbits
; Kernel info:
; codeLenInByte = 0
; NumSgprs: 4
; NumVgprs: 0
; NumAgprs: 0
; TotalNumVgprs: 0
; ScratchSize: 0
; MemoryBound: 0
; FloatMode: 240
; IeeeMode: 1
; LDSByteSize: 0 bytes/workgroup (compile time only)
; SGPRBlocks: 0
; VGPRBlocks: 0
; NumSGPRsForWavesPerEU: 4
; NumVGPRsForWavesPerEU: 1
; AccumOffset: 4
; Occupancy: 8
; WaveLimiterHint : 0
; COMPUTE_PGM_RSRC2:SCRATCH_EN: 0
; COMPUTE_PGM_RSRC2:USER_SGPR: 6
; COMPUTE_PGM_RSRC2:TRAP_HANDLER: 0
; COMPUTE_PGM_RSRC2:TGID_X_EN: 1
; COMPUTE_PGM_RSRC2:TGID_Y_EN: 0
; COMPUTE_PGM_RSRC2:TGID_Z_EN: 0
; COMPUTE_PGM_RSRC2:TIDIG_COMP_CNT: 0
; COMPUTE_PGM_RSRC3_GFX90A:ACCUM_OFFSET: 0
; COMPUTE_PGM_RSRC3_GFX90A:TG_SPLIT: 0
	.section	.text._ZN7rocprim17ROCPRIM_400000_NS6detail17trampoline_kernelINS0_14default_configENS1_27scan_by_key_config_selectorIssEEZZNS1_16scan_by_key_implILNS1_25lookback_scan_determinismE0ELb0ES3_N6thrust23THRUST_200600_302600_NS6detail15normal_iteratorINS9_10device_ptrIsEEEESE_SE_sNS9_10multipliesIsEENS9_8equal_toIsEEsEE10hipError_tPvRmT2_T3_T4_T5_mT6_T7_P12ihipStream_tbENKUlT_T0_E_clISt17integral_constantIbLb0EESZ_EEDaSU_SV_EUlSU_E_NS1_11comp_targetILNS1_3genE5ELNS1_11target_archE942ELNS1_3gpuE9ELNS1_3repE0EEENS1_30default_config_static_selectorELNS0_4arch9wavefront6targetE1EEEvT1_,"axG",@progbits,_ZN7rocprim17ROCPRIM_400000_NS6detail17trampoline_kernelINS0_14default_configENS1_27scan_by_key_config_selectorIssEEZZNS1_16scan_by_key_implILNS1_25lookback_scan_determinismE0ELb0ES3_N6thrust23THRUST_200600_302600_NS6detail15normal_iteratorINS9_10device_ptrIsEEEESE_SE_sNS9_10multipliesIsEENS9_8equal_toIsEEsEE10hipError_tPvRmT2_T3_T4_T5_mT6_T7_P12ihipStream_tbENKUlT_T0_E_clISt17integral_constantIbLb0EESZ_EEDaSU_SV_EUlSU_E_NS1_11comp_targetILNS1_3genE5ELNS1_11target_archE942ELNS1_3gpuE9ELNS1_3repE0EEENS1_30default_config_static_selectorELNS0_4arch9wavefront6targetE1EEEvT1_,comdat
	.protected	_ZN7rocprim17ROCPRIM_400000_NS6detail17trampoline_kernelINS0_14default_configENS1_27scan_by_key_config_selectorIssEEZZNS1_16scan_by_key_implILNS1_25lookback_scan_determinismE0ELb0ES3_N6thrust23THRUST_200600_302600_NS6detail15normal_iteratorINS9_10device_ptrIsEEEESE_SE_sNS9_10multipliesIsEENS9_8equal_toIsEEsEE10hipError_tPvRmT2_T3_T4_T5_mT6_T7_P12ihipStream_tbENKUlT_T0_E_clISt17integral_constantIbLb0EESZ_EEDaSU_SV_EUlSU_E_NS1_11comp_targetILNS1_3genE5ELNS1_11target_archE942ELNS1_3gpuE9ELNS1_3repE0EEENS1_30default_config_static_selectorELNS0_4arch9wavefront6targetE1EEEvT1_ ; -- Begin function _ZN7rocprim17ROCPRIM_400000_NS6detail17trampoline_kernelINS0_14default_configENS1_27scan_by_key_config_selectorIssEEZZNS1_16scan_by_key_implILNS1_25lookback_scan_determinismE0ELb0ES3_N6thrust23THRUST_200600_302600_NS6detail15normal_iteratorINS9_10device_ptrIsEEEESE_SE_sNS9_10multipliesIsEENS9_8equal_toIsEEsEE10hipError_tPvRmT2_T3_T4_T5_mT6_T7_P12ihipStream_tbENKUlT_T0_E_clISt17integral_constantIbLb0EESZ_EEDaSU_SV_EUlSU_E_NS1_11comp_targetILNS1_3genE5ELNS1_11target_archE942ELNS1_3gpuE9ELNS1_3repE0EEENS1_30default_config_static_selectorELNS0_4arch9wavefront6targetE1EEEvT1_
	.globl	_ZN7rocprim17ROCPRIM_400000_NS6detail17trampoline_kernelINS0_14default_configENS1_27scan_by_key_config_selectorIssEEZZNS1_16scan_by_key_implILNS1_25lookback_scan_determinismE0ELb0ES3_N6thrust23THRUST_200600_302600_NS6detail15normal_iteratorINS9_10device_ptrIsEEEESE_SE_sNS9_10multipliesIsEENS9_8equal_toIsEEsEE10hipError_tPvRmT2_T3_T4_T5_mT6_T7_P12ihipStream_tbENKUlT_T0_E_clISt17integral_constantIbLb0EESZ_EEDaSU_SV_EUlSU_E_NS1_11comp_targetILNS1_3genE5ELNS1_11target_archE942ELNS1_3gpuE9ELNS1_3repE0EEENS1_30default_config_static_selectorELNS0_4arch9wavefront6targetE1EEEvT1_
	.p2align	8
	.type	_ZN7rocprim17ROCPRIM_400000_NS6detail17trampoline_kernelINS0_14default_configENS1_27scan_by_key_config_selectorIssEEZZNS1_16scan_by_key_implILNS1_25lookback_scan_determinismE0ELb0ES3_N6thrust23THRUST_200600_302600_NS6detail15normal_iteratorINS9_10device_ptrIsEEEESE_SE_sNS9_10multipliesIsEENS9_8equal_toIsEEsEE10hipError_tPvRmT2_T3_T4_T5_mT6_T7_P12ihipStream_tbENKUlT_T0_E_clISt17integral_constantIbLb0EESZ_EEDaSU_SV_EUlSU_E_NS1_11comp_targetILNS1_3genE5ELNS1_11target_archE942ELNS1_3gpuE9ELNS1_3repE0EEENS1_30default_config_static_selectorELNS0_4arch9wavefront6targetE1EEEvT1_,@function
_ZN7rocprim17ROCPRIM_400000_NS6detail17trampoline_kernelINS0_14default_configENS1_27scan_by_key_config_selectorIssEEZZNS1_16scan_by_key_implILNS1_25lookback_scan_determinismE0ELb0ES3_N6thrust23THRUST_200600_302600_NS6detail15normal_iteratorINS9_10device_ptrIsEEEESE_SE_sNS9_10multipliesIsEENS9_8equal_toIsEEsEE10hipError_tPvRmT2_T3_T4_T5_mT6_T7_P12ihipStream_tbENKUlT_T0_E_clISt17integral_constantIbLb0EESZ_EEDaSU_SV_EUlSU_E_NS1_11comp_targetILNS1_3genE5ELNS1_11target_archE942ELNS1_3gpuE9ELNS1_3repE0EEENS1_30default_config_static_selectorELNS0_4arch9wavefront6targetE1EEEvT1_: ; @_ZN7rocprim17ROCPRIM_400000_NS6detail17trampoline_kernelINS0_14default_configENS1_27scan_by_key_config_selectorIssEEZZNS1_16scan_by_key_implILNS1_25lookback_scan_determinismE0ELb0ES3_N6thrust23THRUST_200600_302600_NS6detail15normal_iteratorINS9_10device_ptrIsEEEESE_SE_sNS9_10multipliesIsEENS9_8equal_toIsEEsEE10hipError_tPvRmT2_T3_T4_T5_mT6_T7_P12ihipStream_tbENKUlT_T0_E_clISt17integral_constantIbLb0EESZ_EEDaSU_SV_EUlSU_E_NS1_11comp_targetILNS1_3genE5ELNS1_11target_archE942ELNS1_3gpuE9ELNS1_3repE0EEENS1_30default_config_static_selectorELNS0_4arch9wavefront6targetE1EEEvT1_
; %bb.0:
	.section	.rodata,"a",@progbits
	.p2align	6, 0x0
	.amdhsa_kernel _ZN7rocprim17ROCPRIM_400000_NS6detail17trampoline_kernelINS0_14default_configENS1_27scan_by_key_config_selectorIssEEZZNS1_16scan_by_key_implILNS1_25lookback_scan_determinismE0ELb0ES3_N6thrust23THRUST_200600_302600_NS6detail15normal_iteratorINS9_10device_ptrIsEEEESE_SE_sNS9_10multipliesIsEENS9_8equal_toIsEEsEE10hipError_tPvRmT2_T3_T4_T5_mT6_T7_P12ihipStream_tbENKUlT_T0_E_clISt17integral_constantIbLb0EESZ_EEDaSU_SV_EUlSU_E_NS1_11comp_targetILNS1_3genE5ELNS1_11target_archE942ELNS1_3gpuE9ELNS1_3repE0EEENS1_30default_config_static_selectorELNS0_4arch9wavefront6targetE1EEEvT1_
		.amdhsa_group_segment_fixed_size 0
		.amdhsa_private_segment_fixed_size 0
		.amdhsa_kernarg_size 112
		.amdhsa_user_sgpr_count 6
		.amdhsa_user_sgpr_private_segment_buffer 1
		.amdhsa_user_sgpr_dispatch_ptr 0
		.amdhsa_user_sgpr_queue_ptr 0
		.amdhsa_user_sgpr_kernarg_segment_ptr 1
		.amdhsa_user_sgpr_dispatch_id 0
		.amdhsa_user_sgpr_flat_scratch_init 0
		.amdhsa_user_sgpr_kernarg_preload_length 0
		.amdhsa_user_sgpr_kernarg_preload_offset 0
		.amdhsa_user_sgpr_private_segment_size 0
		.amdhsa_uses_dynamic_stack 0
		.amdhsa_system_sgpr_private_segment_wavefront_offset 0
		.amdhsa_system_sgpr_workgroup_id_x 1
		.amdhsa_system_sgpr_workgroup_id_y 0
		.amdhsa_system_sgpr_workgroup_id_z 0
		.amdhsa_system_sgpr_workgroup_info 0
		.amdhsa_system_vgpr_workitem_id 0
		.amdhsa_next_free_vgpr 1
		.amdhsa_next_free_sgpr 0
		.amdhsa_accum_offset 4
		.amdhsa_reserve_vcc 0
		.amdhsa_reserve_flat_scratch 0
		.amdhsa_float_round_mode_32 0
		.amdhsa_float_round_mode_16_64 0
		.amdhsa_float_denorm_mode_32 3
		.amdhsa_float_denorm_mode_16_64 3
		.amdhsa_dx10_clamp 1
		.amdhsa_ieee_mode 1
		.amdhsa_fp16_overflow 0
		.amdhsa_tg_split 0
		.amdhsa_exception_fp_ieee_invalid_op 0
		.amdhsa_exception_fp_denorm_src 0
		.amdhsa_exception_fp_ieee_div_zero 0
		.amdhsa_exception_fp_ieee_overflow 0
		.amdhsa_exception_fp_ieee_underflow 0
		.amdhsa_exception_fp_ieee_inexact 0
		.amdhsa_exception_int_div_zero 0
	.end_amdhsa_kernel
	.section	.text._ZN7rocprim17ROCPRIM_400000_NS6detail17trampoline_kernelINS0_14default_configENS1_27scan_by_key_config_selectorIssEEZZNS1_16scan_by_key_implILNS1_25lookback_scan_determinismE0ELb0ES3_N6thrust23THRUST_200600_302600_NS6detail15normal_iteratorINS9_10device_ptrIsEEEESE_SE_sNS9_10multipliesIsEENS9_8equal_toIsEEsEE10hipError_tPvRmT2_T3_T4_T5_mT6_T7_P12ihipStream_tbENKUlT_T0_E_clISt17integral_constantIbLb0EESZ_EEDaSU_SV_EUlSU_E_NS1_11comp_targetILNS1_3genE5ELNS1_11target_archE942ELNS1_3gpuE9ELNS1_3repE0EEENS1_30default_config_static_selectorELNS0_4arch9wavefront6targetE1EEEvT1_,"axG",@progbits,_ZN7rocprim17ROCPRIM_400000_NS6detail17trampoline_kernelINS0_14default_configENS1_27scan_by_key_config_selectorIssEEZZNS1_16scan_by_key_implILNS1_25lookback_scan_determinismE0ELb0ES3_N6thrust23THRUST_200600_302600_NS6detail15normal_iteratorINS9_10device_ptrIsEEEESE_SE_sNS9_10multipliesIsEENS9_8equal_toIsEEsEE10hipError_tPvRmT2_T3_T4_T5_mT6_T7_P12ihipStream_tbENKUlT_T0_E_clISt17integral_constantIbLb0EESZ_EEDaSU_SV_EUlSU_E_NS1_11comp_targetILNS1_3genE5ELNS1_11target_archE942ELNS1_3gpuE9ELNS1_3repE0EEENS1_30default_config_static_selectorELNS0_4arch9wavefront6targetE1EEEvT1_,comdat
.Lfunc_end283:
	.size	_ZN7rocprim17ROCPRIM_400000_NS6detail17trampoline_kernelINS0_14default_configENS1_27scan_by_key_config_selectorIssEEZZNS1_16scan_by_key_implILNS1_25lookback_scan_determinismE0ELb0ES3_N6thrust23THRUST_200600_302600_NS6detail15normal_iteratorINS9_10device_ptrIsEEEESE_SE_sNS9_10multipliesIsEENS9_8equal_toIsEEsEE10hipError_tPvRmT2_T3_T4_T5_mT6_T7_P12ihipStream_tbENKUlT_T0_E_clISt17integral_constantIbLb0EESZ_EEDaSU_SV_EUlSU_E_NS1_11comp_targetILNS1_3genE5ELNS1_11target_archE942ELNS1_3gpuE9ELNS1_3repE0EEENS1_30default_config_static_selectorELNS0_4arch9wavefront6targetE1EEEvT1_, .Lfunc_end283-_ZN7rocprim17ROCPRIM_400000_NS6detail17trampoline_kernelINS0_14default_configENS1_27scan_by_key_config_selectorIssEEZZNS1_16scan_by_key_implILNS1_25lookback_scan_determinismE0ELb0ES3_N6thrust23THRUST_200600_302600_NS6detail15normal_iteratorINS9_10device_ptrIsEEEESE_SE_sNS9_10multipliesIsEENS9_8equal_toIsEEsEE10hipError_tPvRmT2_T3_T4_T5_mT6_T7_P12ihipStream_tbENKUlT_T0_E_clISt17integral_constantIbLb0EESZ_EEDaSU_SV_EUlSU_E_NS1_11comp_targetILNS1_3genE5ELNS1_11target_archE942ELNS1_3gpuE9ELNS1_3repE0EEENS1_30default_config_static_selectorELNS0_4arch9wavefront6targetE1EEEvT1_
                                        ; -- End function
	.section	.AMDGPU.csdata,"",@progbits
; Kernel info:
; codeLenInByte = 0
; NumSgprs: 4
; NumVgprs: 0
; NumAgprs: 0
; TotalNumVgprs: 0
; ScratchSize: 0
; MemoryBound: 0
; FloatMode: 240
; IeeeMode: 1
; LDSByteSize: 0 bytes/workgroup (compile time only)
; SGPRBlocks: 0
; VGPRBlocks: 0
; NumSGPRsForWavesPerEU: 4
; NumVGPRsForWavesPerEU: 1
; AccumOffset: 4
; Occupancy: 8
; WaveLimiterHint : 0
; COMPUTE_PGM_RSRC2:SCRATCH_EN: 0
; COMPUTE_PGM_RSRC2:USER_SGPR: 6
; COMPUTE_PGM_RSRC2:TRAP_HANDLER: 0
; COMPUTE_PGM_RSRC2:TGID_X_EN: 1
; COMPUTE_PGM_RSRC2:TGID_Y_EN: 0
; COMPUTE_PGM_RSRC2:TGID_Z_EN: 0
; COMPUTE_PGM_RSRC2:TIDIG_COMP_CNT: 0
; COMPUTE_PGM_RSRC3_GFX90A:ACCUM_OFFSET: 0
; COMPUTE_PGM_RSRC3_GFX90A:TG_SPLIT: 0
	.section	.text._ZN7rocprim17ROCPRIM_400000_NS6detail17trampoline_kernelINS0_14default_configENS1_27scan_by_key_config_selectorIssEEZZNS1_16scan_by_key_implILNS1_25lookback_scan_determinismE0ELb0ES3_N6thrust23THRUST_200600_302600_NS6detail15normal_iteratorINS9_10device_ptrIsEEEESE_SE_sNS9_10multipliesIsEENS9_8equal_toIsEEsEE10hipError_tPvRmT2_T3_T4_T5_mT6_T7_P12ihipStream_tbENKUlT_T0_E_clISt17integral_constantIbLb0EESZ_EEDaSU_SV_EUlSU_E_NS1_11comp_targetILNS1_3genE4ELNS1_11target_archE910ELNS1_3gpuE8ELNS1_3repE0EEENS1_30default_config_static_selectorELNS0_4arch9wavefront6targetE1EEEvT1_,"axG",@progbits,_ZN7rocprim17ROCPRIM_400000_NS6detail17trampoline_kernelINS0_14default_configENS1_27scan_by_key_config_selectorIssEEZZNS1_16scan_by_key_implILNS1_25lookback_scan_determinismE0ELb0ES3_N6thrust23THRUST_200600_302600_NS6detail15normal_iteratorINS9_10device_ptrIsEEEESE_SE_sNS9_10multipliesIsEENS9_8equal_toIsEEsEE10hipError_tPvRmT2_T3_T4_T5_mT6_T7_P12ihipStream_tbENKUlT_T0_E_clISt17integral_constantIbLb0EESZ_EEDaSU_SV_EUlSU_E_NS1_11comp_targetILNS1_3genE4ELNS1_11target_archE910ELNS1_3gpuE8ELNS1_3repE0EEENS1_30default_config_static_selectorELNS0_4arch9wavefront6targetE1EEEvT1_,comdat
	.protected	_ZN7rocprim17ROCPRIM_400000_NS6detail17trampoline_kernelINS0_14default_configENS1_27scan_by_key_config_selectorIssEEZZNS1_16scan_by_key_implILNS1_25lookback_scan_determinismE0ELb0ES3_N6thrust23THRUST_200600_302600_NS6detail15normal_iteratorINS9_10device_ptrIsEEEESE_SE_sNS9_10multipliesIsEENS9_8equal_toIsEEsEE10hipError_tPvRmT2_T3_T4_T5_mT6_T7_P12ihipStream_tbENKUlT_T0_E_clISt17integral_constantIbLb0EESZ_EEDaSU_SV_EUlSU_E_NS1_11comp_targetILNS1_3genE4ELNS1_11target_archE910ELNS1_3gpuE8ELNS1_3repE0EEENS1_30default_config_static_selectorELNS0_4arch9wavefront6targetE1EEEvT1_ ; -- Begin function _ZN7rocprim17ROCPRIM_400000_NS6detail17trampoline_kernelINS0_14default_configENS1_27scan_by_key_config_selectorIssEEZZNS1_16scan_by_key_implILNS1_25lookback_scan_determinismE0ELb0ES3_N6thrust23THRUST_200600_302600_NS6detail15normal_iteratorINS9_10device_ptrIsEEEESE_SE_sNS9_10multipliesIsEENS9_8equal_toIsEEsEE10hipError_tPvRmT2_T3_T4_T5_mT6_T7_P12ihipStream_tbENKUlT_T0_E_clISt17integral_constantIbLb0EESZ_EEDaSU_SV_EUlSU_E_NS1_11comp_targetILNS1_3genE4ELNS1_11target_archE910ELNS1_3gpuE8ELNS1_3repE0EEENS1_30default_config_static_selectorELNS0_4arch9wavefront6targetE1EEEvT1_
	.globl	_ZN7rocprim17ROCPRIM_400000_NS6detail17trampoline_kernelINS0_14default_configENS1_27scan_by_key_config_selectorIssEEZZNS1_16scan_by_key_implILNS1_25lookback_scan_determinismE0ELb0ES3_N6thrust23THRUST_200600_302600_NS6detail15normal_iteratorINS9_10device_ptrIsEEEESE_SE_sNS9_10multipliesIsEENS9_8equal_toIsEEsEE10hipError_tPvRmT2_T3_T4_T5_mT6_T7_P12ihipStream_tbENKUlT_T0_E_clISt17integral_constantIbLb0EESZ_EEDaSU_SV_EUlSU_E_NS1_11comp_targetILNS1_3genE4ELNS1_11target_archE910ELNS1_3gpuE8ELNS1_3repE0EEENS1_30default_config_static_selectorELNS0_4arch9wavefront6targetE1EEEvT1_
	.p2align	8
	.type	_ZN7rocprim17ROCPRIM_400000_NS6detail17trampoline_kernelINS0_14default_configENS1_27scan_by_key_config_selectorIssEEZZNS1_16scan_by_key_implILNS1_25lookback_scan_determinismE0ELb0ES3_N6thrust23THRUST_200600_302600_NS6detail15normal_iteratorINS9_10device_ptrIsEEEESE_SE_sNS9_10multipliesIsEENS9_8equal_toIsEEsEE10hipError_tPvRmT2_T3_T4_T5_mT6_T7_P12ihipStream_tbENKUlT_T0_E_clISt17integral_constantIbLb0EESZ_EEDaSU_SV_EUlSU_E_NS1_11comp_targetILNS1_3genE4ELNS1_11target_archE910ELNS1_3gpuE8ELNS1_3repE0EEENS1_30default_config_static_selectorELNS0_4arch9wavefront6targetE1EEEvT1_,@function
_ZN7rocprim17ROCPRIM_400000_NS6detail17trampoline_kernelINS0_14default_configENS1_27scan_by_key_config_selectorIssEEZZNS1_16scan_by_key_implILNS1_25lookback_scan_determinismE0ELb0ES3_N6thrust23THRUST_200600_302600_NS6detail15normal_iteratorINS9_10device_ptrIsEEEESE_SE_sNS9_10multipliesIsEENS9_8equal_toIsEEsEE10hipError_tPvRmT2_T3_T4_T5_mT6_T7_P12ihipStream_tbENKUlT_T0_E_clISt17integral_constantIbLb0EESZ_EEDaSU_SV_EUlSU_E_NS1_11comp_targetILNS1_3genE4ELNS1_11target_archE910ELNS1_3gpuE8ELNS1_3repE0EEENS1_30default_config_static_selectorELNS0_4arch9wavefront6targetE1EEEvT1_: ; @_ZN7rocprim17ROCPRIM_400000_NS6detail17trampoline_kernelINS0_14default_configENS1_27scan_by_key_config_selectorIssEEZZNS1_16scan_by_key_implILNS1_25lookback_scan_determinismE0ELb0ES3_N6thrust23THRUST_200600_302600_NS6detail15normal_iteratorINS9_10device_ptrIsEEEESE_SE_sNS9_10multipliesIsEENS9_8equal_toIsEEsEE10hipError_tPvRmT2_T3_T4_T5_mT6_T7_P12ihipStream_tbENKUlT_T0_E_clISt17integral_constantIbLb0EESZ_EEDaSU_SV_EUlSU_E_NS1_11comp_targetILNS1_3genE4ELNS1_11target_archE910ELNS1_3gpuE8ELNS1_3repE0EEENS1_30default_config_static_selectorELNS0_4arch9wavefront6targetE1EEEvT1_
; %bb.0:
	s_load_dwordx8 s[48:55], s[4:5], 0x0
	s_load_dwordx4 s[64:67], s[4:5], 0x28
	s_load_dwordx2 s[70:71], s[4:5], 0x38
	s_load_dword s0, s[4:5], 0x40
	s_load_dwordx8 s[56:63], s[4:5], 0x48
	s_waitcnt lgkmcnt(0)
	s_lshl_b64 s[68:69], s[50:51], 1
	s_add_u32 s2, s48, s68
	s_addc_u32 s3, s49, s69
	s_add_u32 s4, s52, s68
	s_mul_i32 s1, s71, s0
	s_mul_hi_u32 s7, s70, s0
	s_addc_u32 s5, s53, s69
	s_add_i32 s8, s7, s1
	s_mul_i32 s9, s70, s0
	s_cmp_lg_u64 s[60:61], 0
	s_mul_i32 s0, s6, 0x1600
	s_mov_b32 s1, 0
	s_cselect_b64 s[52:53], -1, 0
	s_lshl_b64 s[60:61], s[0:1], 1
	s_add_u32 s50, s2, s60
	s_addc_u32 s51, s3, s61
	s_add_u32 s7, s4, s60
	s_addc_u32 s67, s5, s61
	;; [unrolled: 2-line block ×3, first 2 shown]
	s_add_u32 s2, s56, -1
	s_addc_u32 s3, s57, -1
	v_pk_mov_b32 v[2:3], s[2:3], s[2:3] op_sel:[0,1]
	v_cmp_ge_u64_e64 s[0:1], s[72:73], v[2:3]
	s_mov_b64 s[10:11], 0
	s_mov_b64 s[4:5], -1
	s_and_b64 vcc, exec, s[0:1]
	s_mul_i32 s33, s2, 0xffffea00
	s_barrier
	s_cbranch_vccz .LBB284_117
; %bb.1:
	v_pk_mov_b32 v[2:3], s[50:51], s[50:51] op_sel:[0,1]
	flat_load_ushort v6, v[2:3]
	s_add_i32 s77, s33, s66
	v_cmp_gt_u32_e64 s[2:3], s77, v0
	s_waitcnt vmcnt(0) lgkmcnt(0)
	v_mov_b32_e32 v7, v6
	s_and_saveexec_b64 s[4:5], s[2:3]
	s_cbranch_execz .LBB284_3
; %bb.2:
	v_lshlrev_b32_e32 v1, 1, v0
	v_mov_b32_e32 v3, s51
	v_add_co_u32_e32 v2, vcc, s50, v1
	v_addc_co_u32_e32 v3, vcc, 0, v3, vcc
	flat_load_ushort v7, v[2:3]
.LBB284_3:
	s_or_b64 exec, exec, s[4:5]
	v_or_b32_e32 v1, 0x100, v0
	v_cmp_gt_u32_e64 s[4:5], s77, v1
	v_mov_b32_e32 v8, v6
	s_and_saveexec_b64 s[8:9], s[4:5]
	s_cbranch_execz .LBB284_5
; %bb.4:
	v_lshlrev_b32_e32 v1, 1, v0
	v_mov_b32_e32 v3, s51
	v_add_co_u32_e32 v2, vcc, s50, v1
	v_addc_co_u32_e32 v3, vcc, 0, v3, vcc
	flat_load_ushort v8, v[2:3] offset:512
.LBB284_5:
	s_or_b64 exec, exec, s[8:9]
	v_or_b32_e32 v1, 0x200, v0
	v_cmp_gt_u32_e64 s[48:49], s77, v1
	v_mov_b32_e32 v9, v6
	s_and_saveexec_b64 s[8:9], s[48:49]
	s_cbranch_execz .LBB284_7
; %bb.6:
	v_lshlrev_b32_e32 v1, 1, v0
	v_mov_b32_e32 v3, s51
	v_add_co_u32_e32 v2, vcc, s50, v1
	v_addc_co_u32_e32 v3, vcc, 0, v3, vcc
	flat_load_ushort v9, v[2:3] offset:1024
.LBB284_7:
	;; [unrolled: 13-line block ×7, first 2 shown]
	s_or_b64 exec, exec, s[18:19]
	v_or_b32_e32 v1, 0x800, v0
	v_cmp_gt_u32_e64 s[18:19], s77, v1
	v_lshlrev_b32_e32 v1, 1, v1
	v_mov_b32_e32 v15, v6
	s_and_saveexec_b64 s[20:21], s[18:19]
	s_cbranch_execz .LBB284_19
; %bb.18:
	v_mov_b32_e32 v3, s51
	v_add_co_u32_e32 v2, vcc, s50, v1
	v_addc_co_u32_e32 v3, vcc, 0, v3, vcc
	flat_load_ushort v15, v[2:3]
.LBB284_19:
	s_or_b64 exec, exec, s[20:21]
	v_or_b32_e32 v2, 0x900, v0
	v_cmp_gt_u32_e64 s[20:21], s77, v2
	v_lshlrev_b32_e32 v2, 1, v2
	v_mov_b32_e32 v26, v6
	s_and_saveexec_b64 s[22:23], s[20:21]
	s_cbranch_execz .LBB284_21
; %bb.20:
	v_mov_b32_e32 v3, s51
	v_add_co_u32_e32 v4, vcc, s50, v2
	v_addc_co_u32_e32 v5, vcc, 0, v3, vcc
	flat_load_ushort v26, v[4:5]
.LBB284_21:
	;; [unrolled: 13-line block ×13, first 2 shown]
	s_or_b64 exec, exec, s[46:47]
	v_or_b32_e32 v20, 0x1500, v0
	v_cmp_gt_u32_e64 s[46:47], s77, v20
	v_lshlrev_b32_e32 v25, 1, v20
	s_and_saveexec_b64 s[56:57], s[46:47]
	s_cbranch_execz .LBB284_45
; %bb.44:
	v_mov_b32_e32 v6, s51
	v_add_co_u32_e32 v38, vcc, s50, v25
	v_addc_co_u32_e32 v39, vcc, 0, v6, vcc
	flat_load_ushort v6, v[38:39]
.LBB284_45:
	s_or_b64 exec, exec, s[56:57]
	v_lshlrev_b32_e32 v20, 1, v0
	s_waitcnt vmcnt(0) lgkmcnt(0)
	ds_write_b16 v20, v7
	ds_write_b16 v20, v8 offset:512
	ds_write_b16 v20, v9 offset:1024
	;; [unrolled: 1-line block ×21, first 2 shown]
	v_mad_u32_u24 v37, v0, 42, v20
	s_waitcnt lgkmcnt(0)
	s_barrier
	ds_read2_b32 v[14:15], v37 offset1:1
	ds_read2_b32 v[12:13], v37 offset0:2 offset1:3
	ds_read2_b32 v[10:11], v37 offset0:4 offset1:5
	ds_read2_b32 v[8:9], v37 offset0:6 offset1:7
	ds_read2_b32 v[6:7], v37 offset0:8 offset1:9
	ds_read_b32 v38, v37 offset:40
	s_cmp_eq_u64 s[72:73], 0
	s_mov_b64 s[56:57], s[50:51]
	s_cbranch_scc1 .LBB284_49
; %bb.46:
	s_andn2_b64 vcc, exec, s[52:53]
	s_cbranch_vccnz .LBB284_285
; %bb.47:
	s_lshl_b64 s[56:57], s[72:73], 1
	s_add_u32 s56, s62, s56
	s_addc_u32 s57, s63, s57
	s_add_u32 s56, s56, -2
	s_addc_u32 s57, s57, -1
	s_cbranch_execnz .LBB284_49
.LBB284_48:
	s_add_u32 s56, s50, -2
	s_addc_u32 s57, s51, -1
.LBB284_49:
	v_pk_mov_b32 v[26:27], s[56:57], s[56:57] op_sel:[0,1]
	flat_load_ushort v41, v[26:27]
	s_movk_i32 s56, 0xffd6
	s_waitcnt lgkmcnt(0)
	v_lshrrev_b32_e32 v39, 16, v38
	v_mad_i32_i24 v26, v0, s56, v37
	v_cmp_ne_u32_e32 vcc, 0, v0
	ds_write_b16 v26, v39 offset:11264
	s_waitcnt lgkmcnt(0)
	s_barrier
	s_and_saveexec_b64 s[56:57], vcc
	s_cbranch_execz .LBB284_51
; %bb.50:
	v_mul_i32_i24_e32 v26, 0xffffffd6, v0
	v_add_u32_e32 v26, v37, v26
	s_waitcnt vmcnt(0)
	ds_read_u16 v41, v26 offset:11262
.LBB284_51:
	s_or_b64 exec, exec, s[56:57]
	s_waitcnt lgkmcnt(0)
	s_barrier
	s_waitcnt lgkmcnt(0)
                                        ; implicit-def: $vgpr26
	s_and_saveexec_b64 s[56:57], s[2:3]
	s_cbranch_execnz .LBB284_262
; %bb.52:
	s_or_b64 exec, exec, s[56:57]
                                        ; implicit-def: $vgpr27
	s_and_saveexec_b64 s[2:3], s[4:5]
	s_cbranch_execnz .LBB284_263
.LBB284_53:
	s_or_b64 exec, exec, s[2:3]
                                        ; implicit-def: $vgpr28
	s_and_saveexec_b64 s[2:3], s[48:49]
	s_cbranch_execnz .LBB284_264
.LBB284_54:
	s_or_b64 exec, exec, s[2:3]
                                        ; implicit-def: $vgpr29
	s_and_saveexec_b64 s[2:3], s[8:9]
	s_cbranch_execnz .LBB284_265
.LBB284_55:
	s_or_b64 exec, exec, s[2:3]
                                        ; implicit-def: $vgpr30
	s_and_saveexec_b64 s[2:3], s[10:11]
	s_cbranch_execnz .LBB284_266
.LBB284_56:
	s_or_b64 exec, exec, s[2:3]
                                        ; implicit-def: $vgpr31
	s_and_saveexec_b64 s[2:3], s[12:13]
	s_cbranch_execnz .LBB284_267
.LBB284_57:
	s_or_b64 exec, exec, s[2:3]
                                        ; implicit-def: $vgpr32
	s_and_saveexec_b64 s[2:3], s[14:15]
	s_cbranch_execnz .LBB284_268
.LBB284_58:
	s_or_b64 exec, exec, s[2:3]
                                        ; implicit-def: $vgpr33
	s_and_saveexec_b64 s[2:3], s[16:17]
	s_cbranch_execnz .LBB284_269
.LBB284_59:
	s_or_b64 exec, exec, s[2:3]
                                        ; implicit-def: $vgpr34
	s_and_saveexec_b64 s[2:3], s[18:19]
	s_cbranch_execnz .LBB284_270
.LBB284_60:
	s_or_b64 exec, exec, s[2:3]
                                        ; implicit-def: $vgpr1
	s_and_saveexec_b64 s[2:3], s[20:21]
	s_cbranch_execnz .LBB284_271
.LBB284_61:
	s_or_b64 exec, exec, s[2:3]
                                        ; implicit-def: $vgpr2
	s_and_saveexec_b64 s[2:3], s[22:23]
	s_cbranch_execnz .LBB284_272
.LBB284_62:
	s_or_b64 exec, exec, s[2:3]
                                        ; implicit-def: $vgpr3
	s_and_saveexec_b64 s[2:3], s[24:25]
	s_cbranch_execnz .LBB284_273
.LBB284_63:
	s_or_b64 exec, exec, s[2:3]
                                        ; implicit-def: $vgpr4
	s_and_saveexec_b64 s[2:3], s[26:27]
	s_cbranch_execnz .LBB284_274
.LBB284_64:
	s_or_b64 exec, exec, s[2:3]
                                        ; implicit-def: $vgpr5
	s_and_saveexec_b64 s[2:3], s[28:29]
	s_cbranch_execnz .LBB284_275
.LBB284_65:
	s_or_b64 exec, exec, s[2:3]
                                        ; implicit-def: $vgpr16
	s_and_saveexec_b64 s[2:3], s[30:31]
	s_cbranch_execnz .LBB284_276
.LBB284_66:
	s_or_b64 exec, exec, s[2:3]
                                        ; implicit-def: $vgpr17
	s_and_saveexec_b64 s[2:3], s[34:35]
	s_cbranch_execnz .LBB284_277
.LBB284_67:
	s_or_b64 exec, exec, s[2:3]
                                        ; implicit-def: $vgpr18
	s_and_saveexec_b64 s[2:3], s[36:37]
	s_cbranch_execnz .LBB284_278
.LBB284_68:
	s_or_b64 exec, exec, s[2:3]
                                        ; implicit-def: $vgpr19
	s_and_saveexec_b64 s[2:3], s[38:39]
	s_cbranch_execnz .LBB284_279
.LBB284_69:
	s_or_b64 exec, exec, s[2:3]
                                        ; implicit-def: $vgpr21
	s_and_saveexec_b64 s[2:3], s[40:41]
	s_cbranch_execnz .LBB284_280
.LBB284_70:
	s_or_b64 exec, exec, s[2:3]
                                        ; implicit-def: $vgpr22
	s_and_saveexec_b64 s[2:3], s[42:43]
	s_cbranch_execnz .LBB284_281
.LBB284_71:
	s_or_b64 exec, exec, s[2:3]
                                        ; implicit-def: $vgpr23
	s_and_saveexec_b64 s[2:3], s[44:45]
	s_cbranch_execnz .LBB284_282
.LBB284_72:
	s_or_b64 exec, exec, s[2:3]
                                        ; implicit-def: $vgpr24
	s_and_saveexec_b64 s[2:3], s[46:47]
	s_cbranch_execz .LBB284_74
.LBB284_73:
	v_mov_b32_e32 v35, s67
	v_add_co_u32_e32 v24, vcc, s7, v25
	v_addc_co_u32_e32 v25, vcc, 0, v35, vcc
	flat_load_ushort v24, v[24:25]
.LBB284_74:
	s_or_b64 exec, exec, s[2:3]
	v_mul_u32_u24_e32 v40, 22, v0
	s_waitcnt vmcnt(0) lgkmcnt(0)
	ds_write_b16 v20, v26
	ds_write_b16 v20, v27 offset:512
	ds_write_b16 v20, v28 offset:1024
	;; [unrolled: 1-line block ×21, first 2 shown]
	v_cmp_gt_u32_e32 vcc, s77, v40
	s_mov_b64 s[4:5], 0
	s_mov_b32 s76, 0
	v_mov_b32_e32 v1, 0
	s_mov_b64 s[10:11], 0
	v_mov_b32_e32 v16, 0
	v_mov_b32_e32 v17, 0
	;; [unrolled: 1-line block ×20, first 2 shown]
	s_waitcnt lgkmcnt(0)
	s_barrier
	s_waitcnt lgkmcnt(0)
                                        ; implicit-def: $sgpr2_sgpr3
                                        ; implicit-def: $vgpr36
	s_and_saveexec_b64 s[8:9], vcc
	s_cbranch_execz .LBB284_116
; %bb.75:
	ds_read_u16 v1, v37
	v_cmp_ne_u16_e32 vcc, v41, v14
	v_or_b32_e32 v2, 1, v40
	v_cndmask_b32_e64 v3, 0, 1, vcc
	v_cmp_gt_u32_e32 vcc, s77, v2
	s_waitcnt lgkmcnt(0)
	v_lshl_or_b32 v1, v3, 16, v1
	s_mov_b64 s[12:13], 0
	v_mov_b32_e32 v16, 0
	v_mov_b32_e32 v17, 0
	;; [unrolled: 1-line block ×20, first 2 shown]
                                        ; implicit-def: $sgpr2_sgpr3
                                        ; implicit-def: $vgpr36
	s_and_saveexec_b64 s[10:11], vcc
	s_cbranch_execz .LBB284_115
; %bb.76:
	ds_read_b128 v[2:5], v37 offset:2
	v_add_u32_e32 v16, 2, v40
	v_cmp_ne_u16_sdwa s[2:3], v14, v14 src0_sel:DWORD src1_sel:WORD_1
	v_cndmask_b32_e64 v17, 0, 1, s[2:3]
	v_cmp_gt_u32_e32 vcc, s77, v16
	s_waitcnt lgkmcnt(0)
	v_and_b32_e32 v16, 0xffff, v2
	v_lshl_or_b32 v16, v17, 16, v16
	s_mov_b64 s[14:15], 0
	v_mov_b32_e32 v17, 0
	v_mov_b32_e32 v18, 0
	;; [unrolled: 1-line block ×19, first 2 shown]
                                        ; implicit-def: $sgpr2_sgpr3
                                        ; implicit-def: $vgpr36
	s_and_saveexec_b64 s[12:13], vcc
	s_cbranch_execz .LBB284_114
; %bb.77:
	v_cmp_ne_u16_sdwa s[2:3], v14, v15 src0_sel:WORD_1 src1_sel:DWORD
	v_add_u32_e32 v18, 3, v40
	v_cndmask_b32_e64 v14, 0, 1, s[2:3]
	v_alignbit_b32 v17, v14, v2, 16
	v_cmp_gt_u32_e32 vcc, s77, v18
	s_mov_b64 s[16:17], 0
	v_mov_b32_e32 v18, 0
	v_mov_b32_e32 v19, 0
	;; [unrolled: 1-line block ×18, first 2 shown]
                                        ; implicit-def: $sgpr2_sgpr3
                                        ; implicit-def: $vgpr36
	s_and_saveexec_b64 s[14:15], vcc
	s_cbranch_execz .LBB284_113
; %bb.78:
	v_cmp_ne_u16_sdwa s[2:3], v15, v15 src0_sel:DWORD src1_sel:WORD_1
	v_and_b32_e32 v2, 0xffff, v3
	v_add_u32_e32 v14, 4, v40
	v_cndmask_b32_e64 v18, 0, 1, s[2:3]
	v_lshl_or_b32 v18, v18, 16, v2
	v_cmp_gt_u32_e32 vcc, s77, v14
	s_mov_b64 s[18:19], 0
	v_mov_b32_e32 v19, 0
	v_mov_b32_e32 v20, 0
	;; [unrolled: 1-line block ×17, first 2 shown]
                                        ; implicit-def: $sgpr2_sgpr3
                                        ; implicit-def: $vgpr36
	s_and_saveexec_b64 s[16:17], vcc
	s_cbranch_execz .LBB284_112
; %bb.79:
	v_cmp_ne_u16_sdwa s[2:3], v15, v12 src0_sel:WORD_1 src1_sel:DWORD
	v_add_u32_e32 v2, 5, v40
	v_cndmask_b32_e64 v14, 0, 1, s[2:3]
	v_alignbit_b32 v19, v14, v3, 16
	v_cmp_gt_u32_e32 vcc, s77, v2
	s_mov_b64 s[20:21], 0
	v_mov_b32_e32 v20, 0
	v_mov_b32_e32 v21, 0
	;; [unrolled: 1-line block ×16, first 2 shown]
                                        ; implicit-def: $sgpr2_sgpr3
                                        ; implicit-def: $vgpr36
	s_and_saveexec_b64 s[18:19], vcc
	s_cbranch_execz .LBB284_111
; %bb.80:
	v_cmp_ne_u16_sdwa s[2:3], v12, v12 src0_sel:DWORD src1_sel:WORD_1
	v_and_b32_e32 v2, 0xffff, v4
	v_add_u32_e32 v3, 6, v40
	v_cndmask_b32_e64 v14, 0, 1, s[2:3]
	v_lshl_or_b32 v20, v14, 16, v2
	v_cmp_gt_u32_e32 vcc, s77, v3
	s_mov_b64 s[22:23], 0
	v_mov_b32_e32 v21, 0
	v_mov_b32_e32 v22, 0
	;; [unrolled: 1-line block ×15, first 2 shown]
                                        ; implicit-def: $sgpr2_sgpr3
                                        ; implicit-def: $vgpr36
	s_and_saveexec_b64 s[20:21], vcc
	s_cbranch_execz .LBB284_110
; %bb.81:
	v_cmp_ne_u16_sdwa s[2:3], v12, v13 src0_sel:WORD_1 src1_sel:DWORD
	v_add_u32_e32 v2, 7, v40
	v_cndmask_b32_e64 v3, 0, 1, s[2:3]
	v_alignbit_b32 v21, v3, v4, 16
	v_cmp_gt_u32_e32 vcc, s77, v2
	s_mov_b64 s[24:25], 0
	v_mov_b32_e32 v22, 0
	v_mov_b32_e32 v23, 0
	;; [unrolled: 1-line block ×14, first 2 shown]
                                        ; implicit-def: $sgpr2_sgpr3
                                        ; implicit-def: $vgpr36
	s_and_saveexec_b64 s[22:23], vcc
	s_cbranch_execz .LBB284_109
; %bb.82:
	v_cmp_ne_u16_sdwa s[2:3], v13, v13 src0_sel:DWORD src1_sel:WORD_1
	v_and_b32_e32 v2, 0xffff, v5
	v_add_u32_e32 v3, 8, v40
	v_cndmask_b32_e64 v4, 0, 1, s[2:3]
	v_lshl_or_b32 v22, v4, 16, v2
	v_cmp_gt_u32_e32 vcc, s77, v3
	s_mov_b64 s[26:27], 0
	v_mov_b32_e32 v23, 0
	v_mov_b32_e32 v24, 0
	;; [unrolled: 1-line block ×13, first 2 shown]
                                        ; implicit-def: $sgpr2_sgpr3
                                        ; implicit-def: $vgpr36
	s_and_saveexec_b64 s[24:25], vcc
	s_cbranch_execz .LBB284_108
; %bb.83:
	v_cmp_ne_u16_sdwa s[2:3], v13, v10 src0_sel:WORD_1 src1_sel:DWORD
	v_add_u32_e32 v2, 9, v40
	v_cndmask_b32_e64 v3, 0, 1, s[2:3]
	v_alignbit_b32 v23, v3, v5, 16
	v_cmp_gt_u32_e32 vcc, s77, v2
	s_mov_b64 s[28:29], 0
	v_mov_b32_e32 v24, 0
	v_mov_b32_e32 v25, 0
	;; [unrolled: 1-line block ×12, first 2 shown]
                                        ; implicit-def: $sgpr2_sgpr3
                                        ; implicit-def: $vgpr36
	s_and_saveexec_b64 s[26:27], vcc
	s_cbranch_execz .LBB284_107
; %bb.84:
	ds_read_b128 v[2:5], v37 offset:18
	v_add_u32_e32 v12, 10, v40
	v_cmp_ne_u16_sdwa s[2:3], v10, v10 src0_sel:DWORD src1_sel:WORD_1
	v_cndmask_b32_e64 v13, 0, 1, s[2:3]
	v_cmp_gt_u32_e32 vcc, s77, v12
	s_waitcnt lgkmcnt(0)
	v_and_b32_e32 v12, 0xffff, v2
	v_lshl_or_b32 v24, v13, 16, v12
	s_mov_b64 s[30:31], 0
	v_mov_b32_e32 v25, 0
	v_mov_b32_e32 v26, 0
	;; [unrolled: 1-line block ×11, first 2 shown]
                                        ; implicit-def: $sgpr2_sgpr3
                                        ; implicit-def: $vgpr36
	s_and_saveexec_b64 s[28:29], vcc
	s_cbranch_execz .LBB284_106
; %bb.85:
	v_cmp_ne_u16_sdwa s[2:3], v10, v11 src0_sel:WORD_1 src1_sel:DWORD
	v_add_u32_e32 v12, 11, v40
	v_cndmask_b32_e64 v10, 0, 1, s[2:3]
	v_alignbit_b32 v25, v10, v2, 16
	v_cmp_gt_u32_e32 vcc, s77, v12
	s_mov_b64 s[34:35], 0
	v_mov_b32_e32 v26, 0
	v_mov_b32_e32 v27, 0
	;; [unrolled: 1-line block ×10, first 2 shown]
                                        ; implicit-def: $sgpr2_sgpr3
                                        ; implicit-def: $vgpr36
	s_and_saveexec_b64 s[30:31], vcc
	s_cbranch_execz .LBB284_105
; %bb.86:
	v_cmp_ne_u16_sdwa s[2:3], v11, v11 src0_sel:DWORD src1_sel:WORD_1
	v_and_b32_e32 v2, 0xffff, v3
	v_add_u32_e32 v10, 12, v40
	v_cndmask_b32_e64 v12, 0, 1, s[2:3]
	v_lshl_or_b32 v26, v12, 16, v2
	v_cmp_gt_u32_e32 vcc, s77, v10
	s_mov_b64 s[36:37], 0
	v_mov_b32_e32 v27, 0
	v_mov_b32_e32 v28, 0
	;; [unrolled: 1-line block ×9, first 2 shown]
                                        ; implicit-def: $sgpr2_sgpr3
                                        ; implicit-def: $vgpr36
	s_and_saveexec_b64 s[34:35], vcc
	s_cbranch_execz .LBB284_104
; %bb.87:
	v_cmp_ne_u16_sdwa s[2:3], v11, v8 src0_sel:WORD_1 src1_sel:DWORD
	v_add_u32_e32 v2, 13, v40
	v_cndmask_b32_e64 v10, 0, 1, s[2:3]
	v_alignbit_b32 v27, v10, v3, 16
	v_cmp_gt_u32_e32 vcc, s77, v2
	s_mov_b64 s[38:39], 0
	v_mov_b32_e32 v28, 0
	v_mov_b32_e32 v29, 0
	;; [unrolled: 1-line block ×8, first 2 shown]
                                        ; implicit-def: $sgpr2_sgpr3
                                        ; implicit-def: $vgpr36
	s_and_saveexec_b64 s[36:37], vcc
	s_cbranch_execz .LBB284_103
; %bb.88:
	v_cmp_ne_u16_sdwa s[2:3], v8, v8 src0_sel:DWORD src1_sel:WORD_1
	v_and_b32_e32 v2, 0xffff, v4
	v_add_u32_e32 v3, 14, v40
	v_cndmask_b32_e64 v10, 0, 1, s[2:3]
	v_lshl_or_b32 v28, v10, 16, v2
	v_cmp_gt_u32_e32 vcc, s77, v3
	s_mov_b64 s[40:41], 0
	v_mov_b32_e32 v29, 0
	v_mov_b32_e32 v30, 0
	;; [unrolled: 1-line block ×7, first 2 shown]
                                        ; implicit-def: $sgpr2_sgpr3
                                        ; implicit-def: $vgpr36
	s_and_saveexec_b64 s[38:39], vcc
	s_cbranch_execz .LBB284_102
; %bb.89:
	v_cmp_ne_u16_sdwa s[2:3], v8, v9 src0_sel:WORD_1 src1_sel:DWORD
	v_add_u32_e32 v2, 15, v40
	v_cndmask_b32_e64 v3, 0, 1, s[2:3]
	v_alignbit_b32 v29, v3, v4, 16
	v_cmp_gt_u32_e32 vcc, s77, v2
	s_mov_b64 s[42:43], 0
	v_mov_b32_e32 v30, 0
	v_mov_b32_e32 v31, 0
	;; [unrolled: 1-line block ×6, first 2 shown]
                                        ; implicit-def: $sgpr2_sgpr3
                                        ; implicit-def: $vgpr36
	s_and_saveexec_b64 s[40:41], vcc
	s_cbranch_execz .LBB284_101
; %bb.90:
	v_cmp_ne_u16_sdwa s[2:3], v9, v9 src0_sel:DWORD src1_sel:WORD_1
	v_and_b32_e32 v2, 0xffff, v5
	v_add_u32_e32 v3, 16, v40
	v_cndmask_b32_e64 v4, 0, 1, s[2:3]
	v_lshl_or_b32 v30, v4, 16, v2
	v_cmp_gt_u32_e32 vcc, s77, v3
	s_mov_b64 s[44:45], 0
	v_mov_b32_e32 v31, 0
	v_mov_b32_e32 v32, 0
	;; [unrolled: 1-line block ×5, first 2 shown]
                                        ; implicit-def: $sgpr2_sgpr3
                                        ; implicit-def: $vgpr36
	s_and_saveexec_b64 s[42:43], vcc
	s_cbranch_execz .LBB284_100
; %bb.91:
	v_cmp_ne_u16_sdwa s[2:3], v9, v6 src0_sel:WORD_1 src1_sel:DWORD
	v_add_u32_e32 v2, 17, v40
	v_cndmask_b32_e64 v3, 0, 1, s[2:3]
	v_alignbit_b32 v31, v3, v5, 16
	v_cmp_gt_u32_e32 vcc, s77, v2
	s_mov_b64 s[46:47], 0
	v_mov_b32_e32 v32, 0
	v_mov_b32_e32 v33, 0
	;; [unrolled: 1-line block ×4, first 2 shown]
                                        ; implicit-def: $sgpr2_sgpr3
                                        ; implicit-def: $vgpr36
	s_and_saveexec_b64 s[44:45], vcc
	s_cbranch_execz .LBB284_99
; %bb.92:
	ds_read_b64 v[2:3], v37 offset:34
	v_add_u32_e32 v4, 18, v40
	v_cmp_ne_u16_sdwa s[2:3], v6, v6 src0_sel:DWORD src1_sel:WORD_1
	v_cndmask_b32_e64 v5, 0, 1, s[2:3]
	v_cmp_gt_u32_e32 vcc, s77, v4
	s_waitcnt lgkmcnt(0)
	v_and_b32_e32 v4, 0xffff, v2
	v_lshl_or_b32 v32, v5, 16, v4
	s_mov_b64 s[48:49], 0
	v_mov_b32_e32 v33, 0
	v_mov_b32_e32 v34, 0
	;; [unrolled: 1-line block ×3, first 2 shown]
                                        ; implicit-def: $sgpr2_sgpr3
                                        ; implicit-def: $vgpr36
	s_and_saveexec_b64 s[46:47], vcc
	s_cbranch_execz .LBB284_98
; %bb.93:
	v_cmp_ne_u16_sdwa s[2:3], v6, v7 src0_sel:WORD_1 src1_sel:DWORD
	v_add_u32_e32 v4, 19, v40
	v_cndmask_b32_e64 v5, 0, 1, s[2:3]
	v_alignbit_b32 v33, v5, v2, 16
	v_cmp_gt_u32_e32 vcc, s77, v4
	s_mov_b64 s[56:57], 0
	v_mov_b32_e32 v34, 0
	v_mov_b32_e32 v35, 0
                                        ; implicit-def: $sgpr74_sgpr75
                                        ; implicit-def: $vgpr36
	s_and_saveexec_b64 s[48:49], vcc
	s_cbranch_execz .LBB284_97
; %bb.94:
	v_cmp_ne_u16_sdwa s[2:3], v7, v7 src0_sel:DWORD src1_sel:WORD_1
	v_and_b32_e32 v2, 0xffff, v3
	v_add_u32_e32 v4, 20, v40
	v_cndmask_b32_e64 v5, 0, 1, s[2:3]
	v_lshl_or_b32 v34, v5, 16, v2
	v_cmp_gt_u32_e32 vcc, s77, v4
	s_mov_b64 s[2:3], 0
	v_mov_b32_e32 v35, 0
                                        ; implicit-def: $sgpr56_sgpr57
                                        ; implicit-def: $vgpr36
	s_and_saveexec_b64 s[74:75], vcc
	s_xor_b64 s[74:75], exec, s[74:75]
	s_cbranch_execz .LBB284_96
; %bb.95:
	ds_read_u16 v36, v37 offset:42
	v_add_u32_e32 v2, 21, v40
	v_cmp_ne_u16_sdwa s[2:3], v7, v38 src0_sel:WORD_1 src1_sel:DWORD
	v_cmp_ne_u16_e32 vcc, v38, v39
	v_cndmask_b32_e64 v4, 0, 1, s[2:3]
	v_cmp_gt_u32_e64 s[2:3], s77, v2
	v_alignbit_b32 v35, v4, v3, 16
	s_and_b64 s[56:57], vcc, exec
	s_and_b64 s[2:3], s[2:3], exec
.LBB284_96:
	s_or_b64 exec, exec, s[74:75]
	s_and_b64 s[74:75], s[56:57], exec
	s_and_b64 s[56:57], s[2:3], exec
.LBB284_97:
	s_or_b64 exec, exec, s[48:49]
	s_and_b64 s[2:3], s[74:75], exec
	s_and_b64 s[48:49], s[56:57], exec
.LBB284_98:
	s_or_b64 exec, exec, s[46:47]
	s_and_b64 s[2:3], s[2:3], exec
	s_and_b64 s[46:47], s[48:49], exec
.LBB284_99:
	s_or_b64 exec, exec, s[44:45]
	s_and_b64 s[2:3], s[2:3], exec
	s_and_b64 s[44:45], s[46:47], exec
.LBB284_100:
	s_or_b64 exec, exec, s[42:43]
	s_and_b64 s[2:3], s[2:3], exec
	s_and_b64 s[42:43], s[44:45], exec
.LBB284_101:
	s_or_b64 exec, exec, s[40:41]
	s_and_b64 s[2:3], s[2:3], exec
	s_and_b64 s[40:41], s[42:43], exec
.LBB284_102:
	s_or_b64 exec, exec, s[38:39]
	s_and_b64 s[2:3], s[2:3], exec
	s_and_b64 s[38:39], s[40:41], exec
.LBB284_103:
	s_or_b64 exec, exec, s[36:37]
	s_and_b64 s[2:3], s[2:3], exec
	s_and_b64 s[36:37], s[38:39], exec
.LBB284_104:
	s_or_b64 exec, exec, s[34:35]
	s_and_b64 s[2:3], s[2:3], exec
	s_and_b64 s[34:35], s[36:37], exec
.LBB284_105:
	s_or_b64 exec, exec, s[30:31]
	s_and_b64 s[2:3], s[2:3], exec
	s_and_b64 s[30:31], s[34:35], exec
.LBB284_106:
	s_or_b64 exec, exec, s[28:29]
	s_and_b64 s[2:3], s[2:3], exec
	s_and_b64 s[28:29], s[30:31], exec
.LBB284_107:
	s_or_b64 exec, exec, s[26:27]
	s_and_b64 s[2:3], s[2:3], exec
	s_and_b64 s[26:27], s[28:29], exec
.LBB284_108:
	s_or_b64 exec, exec, s[24:25]
	s_and_b64 s[2:3], s[2:3], exec
	s_and_b64 s[24:25], s[26:27], exec
.LBB284_109:
	s_or_b64 exec, exec, s[22:23]
	s_and_b64 s[2:3], s[2:3], exec
	s_and_b64 s[22:23], s[24:25], exec
.LBB284_110:
	s_or_b64 exec, exec, s[20:21]
	s_and_b64 s[2:3], s[2:3], exec
	s_and_b64 s[20:21], s[22:23], exec
.LBB284_111:
	s_or_b64 exec, exec, s[18:19]
	s_and_b64 s[2:3], s[2:3], exec
	s_and_b64 s[18:19], s[20:21], exec
.LBB284_112:
	s_or_b64 exec, exec, s[16:17]
	s_and_b64 s[2:3], s[2:3], exec
	s_and_b64 s[16:17], s[18:19], exec
.LBB284_113:
	s_or_b64 exec, exec, s[14:15]
	s_and_b64 s[2:3], s[2:3], exec
	s_and_b64 s[14:15], s[16:17], exec
.LBB284_114:
	s_or_b64 exec, exec, s[12:13]
	s_and_b64 s[2:3], s[2:3], exec
	s_and_b64 s[12:13], s[14:15], exec
.LBB284_115:
	s_or_b64 exec, exec, s[10:11]
	s_and_b64 s[2:3], s[2:3], exec
	s_and_b64 s[10:11], s[12:13], exec
.LBB284_116:
	s_or_b64 exec, exec, s[8:9]
	s_and_b64 vcc, exec, s[4:5]
	v_lshlrev_b32_e32 v12, 1, v0
	s_cbranch_vccnz .LBB284_118
	s_branch .LBB284_126
.LBB284_117:
                                        ; implicit-def: $sgpr2_sgpr3
                                        ; implicit-def: $vgpr36
                                        ; implicit-def: $vgpr1
                                        ; implicit-def: $vgpr16
                                        ; implicit-def: $vgpr17
                                        ; implicit-def: $vgpr18
                                        ; implicit-def: $vgpr19
                                        ; implicit-def: $vgpr20
                                        ; implicit-def: $vgpr21
                                        ; implicit-def: $vgpr22
                                        ; implicit-def: $vgpr23
                                        ; implicit-def: $vgpr24
                                        ; implicit-def: $vgpr25
                                        ; implicit-def: $vgpr26
                                        ; implicit-def: $vgpr27
                                        ; implicit-def: $vgpr28
                                        ; implicit-def: $vgpr29
                                        ; implicit-def: $vgpr30
                                        ; implicit-def: $vgpr31
                                        ; implicit-def: $vgpr32
                                        ; implicit-def: $vgpr33
                                        ; implicit-def: $vgpr34
                                        ; implicit-def: $vgpr35
                                        ; implicit-def: $sgpr76
	s_and_b64 vcc, exec, s[4:5]
	v_lshlrev_b32_e32 v12, 1, v0
	s_cbranch_vccz .LBB284_126
.LBB284_118:
	v_mov_b32_e32 v1, s51
	v_add_co_u32_e32 v2, vcc, s50, v12
	v_addc_co_u32_e32 v3, vcc, 0, v1, vcc
	v_add_co_u32_e32 v4, vcc, 0x1000, v2
	v_addc_co_u32_e32 v5, vcc, 0, v3, vcc
	flat_load_ushort v6, v[2:3]
	flat_load_ushort v7, v[2:3] offset:512
	flat_load_ushort v8, v[2:3] offset:1024
	;; [unrolled: 1-line block ×7, first 2 shown]
	v_add_co_u32_e32 v2, vcc, 0x2000, v2
	v_addc_co_u32_e32 v3, vcc, 0, v3, vcc
	flat_load_ushort v15, v[4:5]
	flat_load_ushort v16, v[4:5] offset:512
	flat_load_ushort v17, v[4:5] offset:1024
	flat_load_ushort v18, v[4:5] offset:1536
	flat_load_ushort v19, v[4:5] offset:2048
	flat_load_ushort v20, v[4:5] offset:2560
	flat_load_ushort v21, v[4:5] offset:3072
	flat_load_ushort v22, v[4:5] offset:3584
	s_nop 0
	flat_load_ushort v4, v[2:3]
	flat_load_ushort v5, v[2:3] offset:512
	flat_load_ushort v23, v[2:3] offset:1024
	;; [unrolled: 1-line block ×5, first 2 shown]
	v_mad_u32_u24 v1, v0, 42, v12
	s_cmp_eq_u64 s[72:73], 0
	s_waitcnt vmcnt(0) lgkmcnt(0)
	ds_write_b16 v12, v6
	ds_write_b16 v12, v7 offset:512
	ds_write_b16 v12, v8 offset:1024
	ds_write_b16 v12, v9 offset:1536
	ds_write_b16 v12, v10 offset:2048
	ds_write_b16 v12, v11 offset:2560
	ds_write_b16 v12, v13 offset:3072
	ds_write_b16 v12, v14 offset:3584
	ds_write_b16 v12, v15 offset:4096
	ds_write_b16 v12, v16 offset:4608
	ds_write_b16 v12, v17 offset:5120
	ds_write_b16 v12, v18 offset:5632
	ds_write_b16 v12, v19 offset:6144
	ds_write_b16 v12, v20 offset:6656
	ds_write_b16 v12, v21 offset:7168
	ds_write_b16 v12, v22 offset:7680
	ds_write_b16 v12, v4 offset:8192
	ds_write_b16 v12, v5 offset:8704
	ds_write_b16 v12, v23 offset:9216
	ds_write_b16 v12, v24 offset:9728
	ds_write_b16 v12, v25 offset:10240
	ds_write_b16 v12, v26 offset:10752
	s_waitcnt lgkmcnt(0)
	s_barrier
	ds_read2_b32 v[10:11], v1 offset1:1
	ds_read2_b32 v[8:9], v1 offset0:2 offset1:3
	ds_read2_b32 v[6:7], v1 offset0:4 offset1:5
	;; [unrolled: 1-line block ×4, first 2 shown]
	ds_read_b32 v13, v1 offset:40
	s_cbranch_scc1 .LBB284_123
; %bb.119:
	s_andn2_b64 vcc, exec, s[52:53]
	s_cbranch_vccnz .LBB284_286
; %bb.120:
	s_lshl_b64 s[2:3], s[72:73], 1
	s_add_u32 s2, s62, s2
	s_addc_u32 s3, s63, s3
	s_add_u32 s2, s2, -2
	s_addc_u32 s3, s3, -1
	s_cbranch_execnz .LBB284_122
.LBB284_121:
	s_add_u32 s2, s50, -2
	s_addc_u32 s3, s51, -1
.LBB284_122:
	s_mov_b64 s[50:51], s[2:3]
.LBB284_123:
	v_pk_mov_b32 v[14:15], s[50:51], s[50:51] op_sel:[0,1]
	flat_load_ushort v15, v[14:15]
	s_movk_i32 s2, 0xffd6
	s_waitcnt lgkmcnt(0)
	v_lshrrev_b32_e32 v14, 16, v13
	v_mad_i32_i24 v16, v0, s2, v1
	v_cmp_ne_u32_e32 vcc, 0, v0
	ds_write_b16 v16, v14 offset:11264
	s_waitcnt lgkmcnt(0)
	s_barrier
	s_and_saveexec_b64 s[2:3], vcc
	s_cbranch_execz .LBB284_125
; %bb.124:
	s_waitcnt vmcnt(0)
	v_mul_i32_i24_e32 v15, 0xffffffd6, v0
	v_add_u32_e32 v15, v1, v15
	ds_read_u16 v15, v15 offset:11262
.LBB284_125:
	s_or_b64 exec, exec, s[2:3]
	v_mov_b32_e32 v17, s67
	v_add_co_u32_e32 v16, vcc, s7, v12
	v_addc_co_u32_e32 v17, vcc, 0, v17, vcc
	s_movk_i32 s2, 0x1000
	v_add_co_u32_e32 v18, vcc, s2, v16
	v_addc_co_u32_e32 v19, vcc, 0, v17, vcc
	s_movk_i32 s2, 0x2000
	s_waitcnt lgkmcnt(0)
	s_barrier
	flat_load_ushort v20, v[16:17]
	flat_load_ushort v21, v[16:17] offset:512
	flat_load_ushort v22, v[16:17] offset:1024
	;; [unrolled: 1-line block ×7, first 2 shown]
	v_add_co_u32_e32 v16, vcc, s2, v16
	v_addc_co_u32_e32 v17, vcc, 0, v17, vcc
	flat_load_ushort v28, v[18:19]
	flat_load_ushort v29, v[18:19] offset:512
	flat_load_ushort v30, v[18:19] offset:1024
	;; [unrolled: 1-line block ×7, first 2 shown]
	s_nop 0
	flat_load_ushort v18, v[16:17]
	flat_load_ushort v19, v[16:17] offset:512
	flat_load_ushort v36, v[16:17] offset:1024
	;; [unrolled: 1-line block ×5, first 2 shown]
	v_cmp_ne_u16_sdwa s[4:5], v10, v10 src0_sel:DWORD src1_sel:WORD_1
	v_cndmask_b32_e64 v16, 0, 1, s[4:5]
	v_cmp_ne_u16_sdwa s[4:5], v10, v11 src0_sel:WORD_1 src1_sel:DWORD
	v_cndmask_b32_e64 v40, 0, 1, s[4:5]
	v_cmp_ne_u16_sdwa s[4:5], v11, v11 src0_sel:DWORD src1_sel:WORD_1
	v_cmp_ne_u16_e64 s[2:3], v13, v14
	s_waitcnt vmcnt(0)
	v_cmp_ne_u16_e32 vcc, v15, v10
	v_cndmask_b32_e64 v41, 0, 1, s[4:5]
	v_cmp_ne_u16_sdwa s[4:5], v11, v8 src0_sel:WORD_1 src1_sel:DWORD
	v_cndmask_b32_e64 v17, 0, 1, vcc
	v_cndmask_b32_e64 v42, 0, 1, s[4:5]
	v_cmp_ne_u16_sdwa s[4:5], v8, v8 src0_sel:DWORD src1_sel:WORD_1
	s_mov_b64 s[10:11], -1
                                        ; implicit-def: $sgpr76
	s_waitcnt lgkmcnt(0)
	ds_write_b16 v12, v20
	ds_write_b16 v12, v21 offset:512
	ds_write_b16 v12, v22 offset:1024
	;; [unrolled: 1-line block ×21, first 2 shown]
	s_waitcnt lgkmcnt(0)
	s_barrier
	ds_read2_b32 v[10:11], v1 offset0:8 offset1:9
	ds_read_b32 v35, v1 offset:40
	ds_read2_b32 v[14:15], v1 offset1:1
	ds_read2_b32 v[22:23], v1 offset0:2 offset1:3
	ds_read2_b32 v[26:27], v1 offset0:4 offset1:5
	;; [unrolled: 1-line block ×3, first 2 shown]
	s_waitcnt lgkmcnt(4)
	v_lshrrev_b32_e32 v36, 16, v35
	s_waitcnt lgkmcnt(3)
	v_and_b32_e32 v1, 0xffff, v14
	v_alignbit_b32 v16, v16, v14, 16
	v_and_b32_e32 v14, 0xffff, v15
	v_lshl_or_b32 v1, v17, 16, v1
	v_lshl_or_b32 v17, v40, 16, v14
	v_cndmask_b32_e64 v14, 0, 1, s[4:5]
	v_cmp_ne_u16_sdwa s[4:5], v8, v9 src0_sel:WORD_1 src1_sel:DWORD
	s_waitcnt lgkmcnt(2)
	v_alignbit_b32 v20, v14, v22, 16
	v_and_b32_e32 v14, 0xffff, v23
	v_cndmask_b32_e64 v8, 0, 1, s[4:5]
	v_cmp_ne_u16_sdwa s[4:5], v9, v9 src0_sel:DWORD src1_sel:WORD_1
	v_lshl_or_b32 v21, v8, 16, v14
	v_cndmask_b32_e64 v8, 0, 1, s[4:5]
	v_cmp_ne_u16_sdwa s[4:5], v9, v6 src0_sel:WORD_1 src1_sel:DWORD
	v_alignbit_b32 v18, v41, v15, 16
	v_and_b32_e32 v15, 0xffff, v22
	v_alignbit_b32 v22, v8, v23, 16
	s_waitcnt lgkmcnt(1)
	v_and_b32_e32 v8, 0xffff, v26
	v_cndmask_b32_e64 v9, 0, 1, s[4:5]
	v_cmp_ne_u16_sdwa s[4:5], v6, v6 src0_sel:DWORD src1_sel:WORD_1
	v_lshl_or_b32 v23, v9, 16, v8
	v_cndmask_b32_e64 v8, 0, 1, s[4:5]
	v_cmp_ne_u16_sdwa s[4:5], v6, v7 src0_sel:WORD_1 src1_sel:DWORD
	v_alignbit_b32 v24, v8, v26, 16
	v_and_b32_e32 v8, 0xffff, v27
	v_cndmask_b32_e64 v6, 0, 1, s[4:5]
	v_cmp_ne_u16_sdwa s[4:5], v7, v7 src0_sel:DWORD src1_sel:WORD_1
	v_lshl_or_b32 v25, v6, 16, v8
	v_cndmask_b32_e64 v6, 0, 1, s[4:5]
	v_cmp_ne_u16_sdwa s[4:5], v7, v4 src0_sel:WORD_1 src1_sel:DWORD
	v_alignbit_b32 v26, v6, v27, 16
	s_waitcnt lgkmcnt(0)
	v_and_b32_e32 v6, 0xffff, v30
	v_cndmask_b32_e64 v7, 0, 1, s[4:5]
	v_cmp_ne_u16_sdwa s[4:5], v4, v4 src0_sel:DWORD src1_sel:WORD_1
	v_lshl_or_b32 v27, v7, 16, v6
	v_cndmask_b32_e64 v6, 0, 1, s[4:5]
	v_cmp_ne_u16_sdwa s[4:5], v4, v5 src0_sel:WORD_1 src1_sel:DWORD
	v_alignbit_b32 v28, v6, v30, 16
	v_and_b32_e32 v6, 0xffff, v31
	v_cndmask_b32_e64 v4, 0, 1, s[4:5]
	v_cmp_ne_u16_sdwa s[4:5], v5, v5 src0_sel:DWORD src1_sel:WORD_1
	v_lshl_or_b32 v29, v4, 16, v6
	v_cndmask_b32_e64 v4, 0, 1, s[4:5]
	v_cmp_ne_u16_sdwa s[4:5], v5, v2 src0_sel:WORD_1 src1_sel:DWORD
	v_alignbit_b32 v30, v4, v31, 16
	;; [unrolled: 7-line block ×4, first 2 shown]
	v_and_b32_e32 v2, 0xffff, v35
	v_cndmask_b32_e64 v3, 0, 1, s[4:5]
	v_lshl_or_b32 v19, v42, 16, v15
	v_lshl_or_b32 v35, v3, 16, v2
.LBB284_126:
	v_mov_b32_e32 v13, s76
	s_and_saveexec_b64 s[4:5], s[10:11]
	s_cbranch_execz .LBB284_128
; %bb.127:
	v_mov_b32_e32 v2, 0x10000
	v_cndmask_b32_e64 v2, 0, v2, s[2:3]
	s_waitcnt lgkmcnt(0)
	v_or_b32_sdwa v13, v2, v36 dst_sel:DWORD dst_unused:UNUSED_PAD src0_sel:DWORD src1_sel:WORD_0
.LBB284_128:
	s_or_b64 exec, exec, s[4:5]
	v_or3_b32 v2, v13, v35, v34
	s_cmp_lg_u32 s6, 0
	v_or3_b32 v15, v2, v33, v32
	v_lshrrev_b32_e32 v14, 5, v0
	v_cmp_gt_u32_e32 vcc, 64, v0
	s_waitcnt lgkmcnt(0)
	s_barrier
	s_cbranch_scc0 .LBB284_191
; %bb.129:
	s_mov_b32 s7, 0x10000
	v_cmp_gt_u32_e64 s[2:3], s7, v16
	v_cndmask_b32_e64 v2, 1, v1, s[2:3]
	v_mul_lo_u16_e32 v2, v2, v16
	v_cmp_gt_u32_e64 s[4:5], s7, v17
	v_cndmask_b32_e64 v2, 1, v2, s[4:5]
	v_mul_lo_u16_e32 v2, v2, v17
	v_cmp_gt_u32_e64 s[52:53], s7, v18
	v_cndmask_b32_e64 v2, 1, v2, s[52:53]
	v_mul_lo_u16_e32 v2, v2, v18
	v_cmp_gt_u32_e64 s[8:9], s7, v19
	v_cndmask_b32_e64 v2, 1, v2, s[8:9]
	v_mul_lo_u16_e32 v2, v2, v19
	v_cmp_gt_u32_e64 s[10:11], s7, v20
	v_cndmask_b32_e64 v2, 1, v2, s[10:11]
	v_mul_lo_u16_e32 v2, v2, v20
	v_cmp_gt_u32_e64 s[12:13], s7, v21
	v_cndmask_b32_e64 v2, 1, v2, s[12:13]
	v_mul_lo_u16_e32 v2, v2, v21
	v_cmp_gt_u32_e64 s[14:15], s7, v22
	v_cndmask_b32_e64 v2, 1, v2, s[14:15]
	v_mul_lo_u16_e32 v2, v2, v22
	v_cmp_gt_u32_e64 s[16:17], s7, v23
	v_cndmask_b32_e64 v2, 1, v2, s[16:17]
	v_mul_lo_u16_e32 v2, v2, v23
	v_cmp_gt_u32_e64 s[18:19], s7, v24
	v_cndmask_b32_e64 v2, 1, v2, s[18:19]
	v_mul_lo_u16_e32 v2, v2, v24
	v_cmp_gt_u32_e64 s[20:21], s7, v25
	v_cndmask_b32_e64 v2, 1, v2, s[20:21]
	v_mul_lo_u16_e32 v2, v2, v25
	v_cmp_gt_u32_e64 s[22:23], s7, v26
	v_cndmask_b32_e64 v2, 1, v2, s[22:23]
	v_mul_lo_u16_e32 v2, v2, v26
	v_cmp_gt_u32_e64 s[24:25], s7, v27
	v_cndmask_b32_e64 v2, 1, v2, s[24:25]
	v_mul_lo_u16_e32 v2, v2, v27
	v_cmp_gt_u32_e64 s[26:27], s7, v28
	v_cndmask_b32_e64 v2, 1, v2, s[26:27]
	v_mul_lo_u16_e32 v2, v2, v28
	v_cmp_gt_u32_e64 s[28:29], s7, v29
	v_cndmask_b32_e64 v2, 1, v2, s[28:29]
	v_mul_lo_u16_e32 v2, v2, v29
	v_cmp_gt_u32_e64 s[30:31], s7, v30
	v_cndmask_b32_e64 v2, 1, v2, s[30:31]
	v_mul_lo_u16_e32 v2, v2, v30
	v_cmp_gt_u32_e64 s[34:35], s7, v31
	v_cndmask_b32_e64 v2, 1, v2, s[34:35]
	v_mul_lo_u16_e32 v2, v2, v31
	v_cmp_gt_u32_e64 s[36:37], s7, v32
	v_cndmask_b32_e64 v2, 1, v2, s[36:37]
	v_mul_lo_u16_e32 v2, v2, v32
	v_cmp_gt_u32_e64 s[38:39], s7, v33
	v_cndmask_b32_e64 v2, 1, v2, s[38:39]
	v_mul_lo_u16_e32 v2, v2, v33
	v_cmp_gt_u32_e64 s[40:41], s7, v34
	v_cndmask_b32_e64 v2, 1, v2, s[40:41]
	v_mul_lo_u16_e32 v2, v2, v34
	v_cmp_gt_u32_e64 s[42:43], s7, v35
	v_cndmask_b32_e64 v2, 1, v2, s[42:43]
	v_mul_lo_u16_e32 v2, v2, v35
	v_cmp_gt_u32_e64 s[44:45], s7, v13
	v_cndmask_b32_e64 v2, 1, v2, s[44:45]
	v_mul_lo_u16_e32 v37, v2, v13
	v_or3_b32 v2, v15, v31, v30
	v_or3_b32 v2, v2, v29, v28
	;; [unrolled: 1-line block ×8, first 2 shown]
	v_and_b32_e32 v2, 0x10000, v2
	v_lshrrev_b32_e32 v36, 16, v1
	v_cmp_ne_u32_e64 s[46:47], 0, v2
	v_mov_b32_e32 v5, 0x10000
	v_cndmask_b32_e64 v38, v36, 1, s[46:47]
	v_add_lshl_u32 v2, v14, v0, 2
	ds_write_b16 v2, v37
	ds_write_b8 v2, v38 offset:2
	s_waitcnt lgkmcnt(0)
	s_barrier
	s_and_saveexec_b64 s[48:49], vcc
	s_cbranch_execz .LBB284_143
; %bb.130:
	v_lshlrev_b32_e32 v2, 2, v0
	v_lshrrev_b32_e32 v3, 3, v0
	v_add_lshl_u32 v2, v3, v2, 2
	ds_read_b32 v3, v2
	ds_read_u16 v4, v2 offset:4
	ds_read_u8 v6, v2 offset:6
	ds_read_u16 v7, v2 offset:8
	ds_read_u8 v8, v2 offset:10
	;; [unrolled: 2-line block ×3, first 2 shown]
	v_mov_b32_e32 v11, 0
	s_waitcnt lgkmcnt(4)
	v_cmp_eq_u16_sdwa s[46:47], v6, v11 src0_sel:BYTE_0 src1_sel:DWORD
	v_cndmask_b32_e64 v39, 1, v3, s[46:47]
	v_mul_lo_u16_e32 v39, v39, v4
	s_waitcnt lgkmcnt(2)
	v_cmp_eq_u16_sdwa s[46:47], v8, v11 src0_sel:BYTE_0 src1_sel:DWORD
	s_waitcnt lgkmcnt(0)
	v_or_b32_e32 v8, v10, v8
	v_cndmask_b32_e64 v11, 1, v39, s[46:47]
	v_or_b32_e32 v6, v8, v6
	v_mul_lo_u16_e32 v7, v11, v7
	v_cmp_eq_u16_e64 s[46:47], 0, v10
	v_and_b32_e32 v6, 1, v6
	v_and_b32_e32 v4, 0x10000, v3
	v_cndmask_b32_e64 v11, 1, v7, s[46:47]
	v_cmp_eq_u32_e64 s[46:47], 1, v6
	v_mbcnt_lo_u32_b32 v6, -1, 0
	v_mul_lo_u16_e32 v7, v11, v9
	v_cndmask_b32_e64 v39, v4, v5, s[46:47]
	v_mul_lo_u16_e32 v9, v11, v9
	v_and_b32_e32 v5, 0xff000000, v3
	v_mbcnt_hi_u32_b32 v6, -1, v6
	v_or_b32_e32 v10, v39, v5
	v_and_b32_e32 v11, 15, v6
	v_or3_b32 v9, v5, v9, v39
	s_movk_i32 s7, 0xff
	v_lshrrev_b32_e32 v8, 16, v10
	v_mov_b32_dpp v39, v9 row_shr:1 row_mask:0xf bank_mask:0xf
	v_cmp_ne_u32_e64 s[46:47], 0, v11
	s_and_saveexec_b64 s[50:51], s[46:47]
	s_cbranch_execz .LBB284_132
; %bb.131:
	v_and_b32_sdwa v8, v10, s7 dst_sel:DWORD dst_unused:UNUSED_PAD src0_sel:WORD_1 src1_sel:DWORD
	v_cmp_eq_u16_e64 s[46:47], 0, v8
	v_and_b32_e32 v8, 0x10000, v10
	v_mov_b32_e32 v10, 1
	v_cndmask_b32_e64 v9, 1, v39, s[46:47]
	v_and_b32_sdwa v10, v39, v10 dst_sel:DWORD dst_unused:UNUSED_PAD src0_sel:WORD_1 src1_sel:DWORD
	v_cmp_ne_u32_e64 s[46:47], 0, v8
	v_cndmask_b32_e64 v8, v10, 1, s[46:47]
	v_mul_lo_u16_e32 v40, v9, v7
	v_lshlrev_b32_e32 v10, 16, v8
	v_mul_lo_u16_e32 v7, v9, v7
	v_or3_b32 v9, v10, v7, v5
	v_mov_b32_e32 v7, v40
.LBB284_132:
	s_or_b64 exec, exec, s[50:51]
	v_lshrrev_b32_e32 v10, 16, v9
	v_mov_b32_dpp v39, v9 row_shr:2 row_mask:0xf bank_mask:0xf
	v_cmp_lt_u32_e64 s[46:47], 1, v11
	s_and_saveexec_b64 s[50:51], s[46:47]
	s_cbranch_execz .LBB284_134
; %bb.133:
	v_mov_b32_e32 v8, 0
	v_cmp_eq_u16_sdwa s[46:47], v10, v8 src0_sel:BYTE_0 src1_sel:DWORD
	v_and_b32_e32 v8, 0x10000, v9
	v_mov_b32_e32 v9, 1
	v_cndmask_b32_e64 v10, 1, v39, s[46:47]
	v_and_b32_sdwa v9, v39, v9 dst_sel:DWORD dst_unused:UNUSED_PAD src0_sel:WORD_1 src1_sel:DWORD
	v_cmp_ne_u32_e64 s[46:47], 0, v8
	v_cndmask_b32_e64 v8, v9, 1, s[46:47]
	v_mul_lo_u16_e32 v40, v10, v7
	v_lshlrev_b32_e32 v9, 16, v8
	v_mul_lo_u16_e32 v7, v10, v7
	v_or3_b32 v9, v9, v7, v5
	v_mov_b32_e32 v10, v8
	v_mov_b32_e32 v7, v40
.LBB284_134:
	s_or_b64 exec, exec, s[50:51]
	v_mov_b32_dpp v39, v9 row_shr:4 row_mask:0xf bank_mask:0xf
	v_cmp_lt_u32_e64 s[46:47], 3, v11
	s_and_saveexec_b64 s[50:51], s[46:47]
	s_cbranch_execz .LBB284_136
; %bb.135:
	v_mov_b32_e32 v8, 0
	v_cmp_eq_u16_sdwa s[46:47], v10, v8 src0_sel:BYTE_0 src1_sel:DWORD
	v_and_b32_e32 v8, 1, v10
	v_mov_b32_e32 v10, 1
	v_cndmask_b32_e64 v9, 1, v39, s[46:47]
	v_and_b32_sdwa v10, v39, v10 dst_sel:DWORD dst_unused:UNUSED_PAD src0_sel:WORD_1 src1_sel:DWORD
	v_cmp_eq_u32_e64 s[46:47], 1, v8
	v_cndmask_b32_e64 v8, v10, 1, s[46:47]
	v_mul_lo_u16_e32 v40, v9, v7
	v_lshlrev_b32_e32 v10, 16, v8
	v_mul_lo_u16_e32 v7, v9, v7
	v_or3_b32 v9, v10, v7, v5
	v_mov_b32_e32 v10, v8
	v_mov_b32_e32 v7, v40
.LBB284_136:
	s_or_b64 exec, exec, s[50:51]
	v_mov_b32_dpp v39, v9 row_shr:8 row_mask:0xf bank_mask:0xf
	v_cmp_lt_u32_e64 s[46:47], 7, v11
	s_and_saveexec_b64 s[50:51], s[46:47]
	s_cbranch_execz .LBB284_138
; %bb.137:
	v_mov_b32_e32 v8, 0
	v_cmp_eq_u16_sdwa s[46:47], v10, v8 src0_sel:BYTE_0 src1_sel:DWORD
	v_and_b32_e32 v8, 1, v10
	v_mov_b32_e32 v10, 1
	v_cndmask_b32_e64 v9, 1, v39, s[46:47]
	v_and_b32_sdwa v10, v39, v10 dst_sel:DWORD dst_unused:UNUSED_PAD src0_sel:WORD_1 src1_sel:DWORD
	v_cmp_eq_u32_e64 s[46:47], 1, v8
	v_cndmask_b32_e64 v8, v10, 1, s[46:47]
	v_mul_lo_u16_e32 v11, v9, v7
	v_lshlrev_b32_e32 v10, 16, v8
	v_mul_lo_u16_e32 v7, v9, v7
	v_or3_b32 v9, v10, v7, v5
	v_mov_b32_e32 v10, v8
	v_mov_b32_e32 v7, v11
.LBB284_138:
	s_or_b64 exec, exec, s[50:51]
	v_and_b32_e32 v39, 16, v6
	v_mov_b32_dpp v11, v9 row_bcast:15 row_mask:0xf bank_mask:0xf
	v_cmp_ne_u32_e64 s[46:47], 0, v39
	s_and_saveexec_b64 s[50:51], s[46:47]
	s_cbranch_execz .LBB284_140
; %bb.139:
	v_mov_b32_e32 v8, 0
	v_cmp_eq_u16_sdwa s[46:47], v10, v8 src0_sel:BYTE_0 src1_sel:DWORD
	v_and_b32_e32 v8, 1, v10
	v_mov_b32_e32 v10, 1
	v_cndmask_b32_e64 v9, 1, v11, s[46:47]
	v_and_b32_sdwa v10, v11, v10 dst_sel:DWORD dst_unused:UNUSED_PAD src0_sel:WORD_1 src1_sel:DWORD
	v_cmp_eq_u32_e64 s[46:47], 1, v8
	v_cndmask_b32_e64 v8, v10, 1, s[46:47]
	v_mul_lo_u16_e32 v39, v9, v7
	v_lshlrev_b32_e32 v10, 16, v8
	v_mul_lo_u16_e32 v7, v9, v7
	v_or3_b32 v9, v10, v7, v5
	v_mov_b32_e32 v10, v8
	v_mov_b32_e32 v7, v39
.LBB284_140:
	s_or_b64 exec, exec, s[50:51]
	v_mov_b32_dpp v9, v9 row_bcast:31 row_mask:0xf bank_mask:0xf
	v_cmp_lt_u32_e64 s[46:47], 31, v6
	s_and_saveexec_b64 s[50:51], s[46:47]
; %bb.141:
	v_mov_b32_e32 v8, 0
	v_cmp_eq_u16_sdwa s[46:47], v10, v8 src0_sel:BYTE_0 src1_sel:DWORD
	v_cndmask_b32_e64 v8, 1, v9, s[46:47]
	v_mul_lo_u16_e32 v7, v8, v7
	v_and_b32_e32 v8, 1, v10
	v_mov_b32_e32 v10, 1
	v_and_b32_sdwa v9, v9, v10 dst_sel:DWORD dst_unused:UNUSED_PAD src0_sel:WORD_1 src1_sel:DWORD
	v_cmp_eq_u32_e64 s[46:47], 1, v8
	v_cndmask_b32_e64 v8, v9, 1, s[46:47]
; %bb.142:
	s_or_b64 exec, exec, s[50:51]
	v_and_b32_e32 v8, 0xff, v8
	v_lshlrev_b32_e32 v8, 16, v8
	v_and_b32_e32 v7, 0xffff, v7
	v_or3_b32 v5, v8, v7, v5
	v_add_u32_e32 v7, -1, v6
	v_and_b32_e32 v8, 64, v6
	v_cmp_lt_i32_e64 s[46:47], v7, v8
	v_cndmask_b32_e64 v6, v7, v6, s[46:47]
	v_lshlrev_b32_e32 v6, 2, v6
	ds_bpermute_b32 v5, v6, v5
	v_and_b32_e32 v6, 0xff0000, v3
	v_cmp_eq_u32_e64 s[46:47], 0, v6
	; wave barrier
	s_waitcnt lgkmcnt(0)
	v_cndmask_b32_e64 v6, 1, v5, s[46:47]
	v_mul_lo_u16_e32 v3, v6, v3
	v_mov_b32_e32 v6, 1
	v_and_b32_sdwa v5, v5, v6 dst_sel:DWORD dst_unused:UNUSED_PAD src0_sel:WORD_1 src1_sel:DWORD
	v_cmp_eq_u32_e64 s[46:47], 0, v4
	v_cndmask_b32_e64 v4, 1, v5, s[46:47]
	v_cmp_eq_u32_e64 s[46:47], 0, v0
	v_cndmask_b32_e64 v3, v3, v37, s[46:47]
	v_cndmask_b32_e64 v4, v4, v38, s[46:47]
	ds_write_b16 v2, v3
	ds_write_b8 v2, v4 offset:2
	; wave barrier
	ds_read_u16 v5, v2 offset:4
	ds_read_u8 v6, v2 offset:6
	ds_read_u16 v7, v2 offset:8
	ds_read_u8 v8, v2 offset:10
	;; [unrolled: 2-line block ×3, first 2 shown]
	s_waitcnt lgkmcnt(4)
	v_cmp_eq_u16_e64 s[46:47], 0, v6
	v_cndmask_b32_e64 v3, 1, v3, s[46:47]
	v_mul_lo_u16_e32 v3, v3, v5
	v_and_b32_e32 v5, 1, v6
	v_cmp_eq_u32_e64 s[46:47], 1, v5
	v_cndmask_b32_e64 v4, v4, 1, s[46:47]
	s_waitcnt lgkmcnt(2)
	v_cmp_eq_u16_e64 s[46:47], 0, v8
	v_and_b32_e32 v5, 1, v8
	ds_write_b16 v2, v3 offset:4
	ds_write_b8 v2, v4 offset:6
	v_cndmask_b32_e64 v3, 1, v3, s[46:47]
	v_cmp_eq_u32_e64 s[46:47], 1, v5
	v_mul_lo_u16_e32 v3, v3, v7
	v_cndmask_b32_e64 v4, v4, 1, s[46:47]
	s_waitcnt lgkmcnt(2)
	v_cmp_eq_u16_e64 s[46:47], 0, v10
	ds_write_b16 v2, v3 offset:8
	ds_write_b8 v2, v4 offset:10
	v_cndmask_b32_e64 v3, 1, v3, s[46:47]
	v_and_b32_e32 v5, 1, v10
	v_mul_lo_u16_e32 v3, v3, v9
	v_cmp_eq_u32_e64 s[46:47], 1, v5
	v_cndmask_b32_e64 v4, v4, 1, s[46:47]
	ds_write_b16 v2, v3 offset:12
	ds_write_b8 v2, v4 offset:14
.LBB284_143:
	s_or_b64 exec, exec, s[48:49]
	v_cmp_eq_u32_e64 s[48:49], 0, v0
	v_cmp_ne_u32_e64 s[46:47], 0, v0
	s_waitcnt lgkmcnt(0)
	s_barrier
	s_and_saveexec_b64 s[50:51], s[46:47]
	s_cbranch_execz .LBB284_145
; %bb.144:
	v_add_u32_e32 v2, -1, v0
	v_lshrrev_b32_e32 v3, 5, v2
	v_add_lshl_u32 v2, v3, v2, 2
	ds_read_u16 v37, v2
	ds_read_u8 v38, v2 offset:2
.LBB284_145:
	s_or_b64 exec, exec, s[50:51]
	s_and_saveexec_b64 s[56:57], vcc
	s_cbranch_execz .LBB284_188
; %bb.146:
	v_mov_b32_e32 v9, 0
	ds_read_b32 v2, v9 offset:1048
	v_mbcnt_lo_u32_b32 v3, -1, 0
	v_mbcnt_hi_u32_b32 v5, -1, v3
	s_mov_b32 s73, 0
	v_cmp_eq_u32_e64 s[50:51], 0, v5
	s_and_saveexec_b64 s[62:63], s[50:51]
	s_cbranch_execz .LBB284_148
; %bb.147:
	s_add_i32 s72, s6, 64
	s_lshl_b64 s[72:73], s[72:73], 3
	s_add_u32 s72, s64, s72
	v_mov_b32_e32 v3, 1
	s_addc_u32 s73, s65, s73
	s_waitcnt lgkmcnt(0)
	global_store_dwordx2 v9, v[2:3], s[72:73]
.LBB284_148:
	s_or_b64 exec, exec, s[62:63]
	v_xad_u32 v4, v5, -1, s6
	v_add_u32_e32 v8, 64, v4
	v_lshlrev_b64 v[6:7], 3, v[8:9]
	v_mov_b32_e32 v3, s65
	v_add_co_u32_e32 v10, vcc, s64, v6
	v_addc_co_u32_e32 v11, vcc, v3, v7, vcc
	global_load_dwordx2 v[6:7], v[10:11], off glc
	s_waitcnt vmcnt(0)
	v_cmp_eq_u16_sdwa s[72:73], v7, v9 src0_sel:BYTE_0 src1_sel:DWORD
	s_and_saveexec_b64 s[62:63], s[72:73]
	s_cbranch_execz .LBB284_152
; %bb.149:
	s_mov_b64 s[72:73], 0
	v_mov_b32_e32 v3, 0
.LBB284_150:                            ; =>This Inner Loop Header: Depth=1
	global_load_dwordx2 v[6:7], v[10:11], off glc
	s_waitcnt vmcnt(0)
	v_cmp_ne_u16_sdwa s[74:75], v7, v3 src0_sel:BYTE_0 src1_sel:DWORD
	s_or_b64 s[72:73], s[74:75], s[72:73]
	s_andn2_b64 exec, exec, s[72:73]
	s_cbranch_execnz .LBB284_150
; %bb.151:
	s_or_b64 exec, exec, s[72:73]
.LBB284_152:
	s_or_b64 exec, exec, s[62:63]
	v_mov_b32_e32 v3, 2
	v_cmp_eq_u16_sdwa s[62:63], v7, v3 src0_sel:BYTE_0 src1_sel:DWORD
	v_lshlrev_b64 v[8:9], v5, -1
	v_and_b32_e32 v3, s63, v9
	v_or_b32_e32 v3, 0x80000000, v3
	v_ffbl_b32_e32 v3, v3
	v_add_u32_e32 v11, 32, v3
	v_and_b32_e32 v3, 63, v5
	v_cmp_ne_u32_e32 vcc, 63, v3
	v_addc_co_u32_e32 v39, vcc, 0, v5, vcc
	v_and_b32_e32 v50, 0xffffff, v6
	v_lshlrev_b32_e32 v39, 2, v39
	ds_bpermute_b32 v40, v39, v50
	v_and_b32_e32 v10, s62, v8
	v_ffbl_b32_e32 v10, v10
	v_min_u32_e32 v11, v10, v11
	v_lshrrev_b32_e32 v10, 16, v6
	v_cmp_lt_u32_e32 vcc, v3, v11
	v_bfe_u32 v48, v6, 16, 8
	s_and_saveexec_b64 s[62:63], vcc
	s_cbranch_execz .LBB284_154
; %bb.153:
	v_and_b32_e32 v10, 0xff0000, v6
	v_cmp_eq_u32_e32 vcc, 0, v10
	v_and_b32_e32 v10, 0x10000, v10
	v_mov_b32_e32 v43, 1
	s_waitcnt lgkmcnt(0)
	v_cndmask_b32_e32 v41, 1, v40, vcc
	v_and_b32_sdwa v40, v40, v43 dst_sel:DWORD dst_unused:UNUSED_PAD src0_sel:WORD_1 src1_sel:DWORD
	v_cmp_ne_u32_e32 vcc, 0, v10
	v_cndmask_b32_e64 v10, v40, 1, vcc
	v_mul_lo_u16_e32 v42, v41, v6
	v_lshlrev_b32_e32 v40, 16, v10
	v_mul_lo_u16_e32 v6, v41, v6
	v_or_b32_e32 v50, v40, v6
	v_mov_b32_e32 v6, v42
	v_mov_b32_e32 v48, v10
.LBB284_154:
	s_or_b64 exec, exec, s[62:63]
	v_cmp_gt_u32_e32 vcc, 62, v3
	s_waitcnt lgkmcnt(0)
	v_cndmask_b32_e64 v40, 0, 1, vcc
	v_lshlrev_b32_e32 v40, 1, v40
	v_add_lshl_u32 v40, v40, v5, 2
	ds_bpermute_b32 v42, v40, v50
	v_add_u32_e32 v41, 2, v3
	v_cmp_le_u32_e32 vcc, v41, v11
	s_and_saveexec_b64 s[62:63], vcc
	s_cbranch_execz .LBB284_156
; %bb.155:
	v_cmp_eq_u16_e32 vcc, 0, v48
	v_and_b32_e32 v10, 1, v48
	v_mov_b32_e32 v45, 1
	s_waitcnt lgkmcnt(0)
	v_cndmask_b32_e32 v43, 1, v42, vcc
	v_and_b32_sdwa v42, v42, v45 dst_sel:DWORD dst_unused:UNUSED_PAD src0_sel:WORD_1 src1_sel:DWORD
	v_cmp_eq_u32_e32 vcc, 1, v10
	v_cndmask_b32_e64 v10, v42, 1, vcc
	v_mul_lo_u16_e32 v44, v43, v6
	v_lshlrev_b32_e32 v42, 16, v10
	v_mul_lo_u16_e32 v6, v43, v6
	v_or_b32_e32 v50, v42, v6
	v_mov_b32_e32 v6, v44
	v_mov_b32_e32 v48, v10
.LBB284_156:
	s_or_b64 exec, exec, s[62:63]
	v_cmp_gt_u32_e32 vcc, 60, v3
	s_waitcnt lgkmcnt(0)
	v_cndmask_b32_e64 v42, 0, 1, vcc
	v_lshlrev_b32_e32 v42, 2, v42
	v_add_lshl_u32 v42, v42, v5, 2
	ds_bpermute_b32 v44, v42, v50
	v_add_u32_e32 v43, 4, v3
	v_cmp_le_u32_e32 vcc, v43, v11
	s_and_saveexec_b64 s[62:63], vcc
	s_cbranch_execz .LBB284_158
; %bb.157:
	v_cmp_eq_u16_e32 vcc, 0, v48
	v_and_b32_e32 v10, 1, v48
	v_mov_b32_e32 v47, 1
	s_waitcnt lgkmcnt(0)
	v_cndmask_b32_e32 v45, 1, v44, vcc
	v_and_b32_sdwa v44, v44, v47 dst_sel:DWORD dst_unused:UNUSED_PAD src0_sel:WORD_1 src1_sel:DWORD
	v_cmp_eq_u32_e32 vcc, 1, v10
	v_cndmask_b32_e64 v10, v44, 1, vcc
	v_mul_lo_u16_e32 v46, v45, v6
	v_lshlrev_b32_e32 v44, 16, v10
	v_mul_lo_u16_e32 v6, v45, v6
	v_or_b32_e32 v50, v44, v6
	v_mov_b32_e32 v6, v46
	v_mov_b32_e32 v48, v10
.LBB284_158:
	;; [unrolled: 27-line block ×4, first 2 shown]
	s_or_b64 exec, exec, s[62:63]
	v_cmp_gt_u32_e32 vcc, 32, v3
	s_waitcnt lgkmcnt(0)
	v_cndmask_b32_e64 v49, 0, 1, vcc
	v_lshlrev_b32_e32 v49, 5, v49
	v_add_lshl_u32 v49, v49, v5, 2
	ds_bpermute_b32 v5, v49, v50
	v_add_u32_e32 v50, 32, v3
	v_cmp_le_u32_e32 vcc, v50, v11
	s_and_saveexec_b64 s[62:63], vcc
	s_cbranch_execz .LBB284_164
; %bb.163:
	v_cmp_eq_u16_e32 vcc, 0, v48
	s_waitcnt lgkmcnt(0)
	v_cndmask_b32_e32 v10, 1, v5, vcc
	v_mul_lo_u16_e32 v6, v10, v6
	v_and_b32_e32 v10, 1, v48
	v_mov_b32_e32 v11, 1
	v_and_b32_sdwa v5, v5, v11 dst_sel:DWORD dst_unused:UNUSED_PAD src0_sel:WORD_1 src1_sel:DWORD
	v_cmp_eq_u32_e32 vcc, 1, v10
	v_cndmask_b32_e64 v10, v5, 1, vcc
.LBB284_164:
	s_or_b64 exec, exec, s[62:63]
	s_waitcnt lgkmcnt(0)
	v_mov_b32_e32 v5, 0
	v_mov_b32_e32 v52, 2
	;; [unrolled: 1-line block ×3, first 2 shown]
	s_branch .LBB284_166
.LBB284_165:                            ;   in Loop: Header=BB284_166 Depth=1
	s_or_b64 exec, exec, s[62:63]
	v_cmp_eq_u16_sdwa vcc, v48, v5 src0_sel:BYTE_0 src1_sel:DWORD
	v_and_b32_e32 v10, 1, v48
	v_cndmask_b32_e32 v6, 1, v6, vcc
	v_and_b32_e32 v11, 1, v11
	v_cmp_eq_u32_e32 vcc, 1, v10
	v_subrev_u32_e32 v4, 64, v4
	v_mul_lo_u16_e32 v6, v6, v51
	v_cndmask_b32_e64 v10, v11, 1, vcc
.LBB284_166:                            ; =>This Loop Header: Depth=1
                                        ;     Child Loop BB284_169 Depth 2
	v_cmp_ne_u16_sdwa s[62:63], v7, v52 src0_sel:BYTE_0 src1_sel:DWORD
	v_cndmask_b32_e64 v7, 0, 1, s[62:63]
	;;#ASMSTART
	;;#ASMEND
	v_cmp_ne_u32_e32 vcc, 0, v7
	v_mov_b32_e32 v48, v10
	s_cmp_lg_u64 vcc, exec
	v_mov_b32_e32 v51, v6
	s_cbranch_scc1 .LBB284_183
; %bb.167:                              ;   in Loop: Header=BB284_166 Depth=1
	v_lshlrev_b64 v[6:7], 3, v[4:5]
	v_mov_b32_e32 v11, s65
	v_add_co_u32_e32 v10, vcc, s64, v6
	v_addc_co_u32_e32 v11, vcc, v11, v7, vcc
	global_load_dwordx2 v[6:7], v[10:11], off glc
	s_waitcnt vmcnt(0)
	v_cmp_eq_u16_sdwa s[72:73], v7, v5 src0_sel:BYTE_0 src1_sel:DWORD
	s_and_saveexec_b64 s[62:63], s[72:73]
	s_cbranch_execz .LBB284_171
; %bb.168:                              ;   in Loop: Header=BB284_166 Depth=1
	s_mov_b64 s[72:73], 0
.LBB284_169:                            ;   Parent Loop BB284_166 Depth=1
                                        ; =>  This Inner Loop Header: Depth=2
	global_load_dwordx2 v[6:7], v[10:11], off glc
	s_waitcnt vmcnt(0)
	v_cmp_ne_u16_sdwa s[74:75], v7, v5 src0_sel:BYTE_0 src1_sel:DWORD
	s_or_b64 s[72:73], s[74:75], s[72:73]
	s_andn2_b64 exec, exec, s[72:73]
	s_cbranch_execnz .LBB284_169
; %bb.170:                              ;   in Loop: Header=BB284_166 Depth=1
	s_or_b64 exec, exec, s[72:73]
.LBB284_171:                            ;   in Loop: Header=BB284_166 Depth=1
	s_or_b64 exec, exec, s[62:63]
	v_cmp_eq_u16_sdwa s[62:63], v7, v52 src0_sel:BYTE_0 src1_sel:DWORD
	v_and_b32_e32 v10, s63, v9
	s_waitcnt lgkmcnt(0)
	v_and_b32_e32 v55, 0xffffff, v6
	v_or_b32_e32 v10, 0x80000000, v10
	ds_bpermute_b32 v56, v39, v55
	v_and_b32_e32 v11, s62, v8
	v_ffbl_b32_e32 v10, v10
	v_add_u32_e32 v10, 32, v10
	v_ffbl_b32_e32 v11, v11
	v_min_u32_e32 v10, v11, v10
	v_lshrrev_b32_e32 v11, 16, v6
	v_cmp_lt_u32_e32 vcc, v3, v10
	v_bfe_u32 v54, v6, 16, 8
	s_and_saveexec_b64 s[62:63], vcc
	s_cbranch_execz .LBB284_173
; %bb.172:                              ;   in Loop: Header=BB284_166 Depth=1
	v_and_b32_e32 v11, 0xff0000, v6
	v_cmp_eq_u32_e32 vcc, 0, v11
	v_and_b32_e32 v11, 0x10000, v11
	s_waitcnt lgkmcnt(0)
	v_cndmask_b32_e32 v54, 1, v56, vcc
	v_and_b32_sdwa v55, v56, v53 dst_sel:DWORD dst_unused:UNUSED_PAD src0_sel:WORD_1 src1_sel:DWORD
	v_cmp_ne_u32_e32 vcc, 0, v11
	v_cndmask_b32_e64 v11, v55, 1, vcc
	v_mul_lo_u16_e32 v57, v54, v6
	v_lshlrev_b32_e32 v55, 16, v11
	v_mul_lo_u16_e32 v6, v54, v6
	v_or_b32_e32 v55, v55, v6
	v_mov_b32_e32 v6, v57
	v_mov_b32_e32 v54, v11
.LBB284_173:                            ;   in Loop: Header=BB284_166 Depth=1
	s_or_b64 exec, exec, s[62:63]
	s_waitcnt lgkmcnt(0)
	ds_bpermute_b32 v56, v40, v55
	v_cmp_le_u32_e32 vcc, v41, v10
	s_and_saveexec_b64 s[62:63], vcc
	s_cbranch_execz .LBB284_175
; %bb.174:                              ;   in Loop: Header=BB284_166 Depth=1
	v_cmp_eq_u16_e32 vcc, 0, v54
	v_and_b32_e32 v11, 1, v54
	s_waitcnt lgkmcnt(0)
	v_cndmask_b32_e32 v55, 1, v56, vcc
	v_and_b32_sdwa v54, v56, v53 dst_sel:DWORD dst_unused:UNUSED_PAD src0_sel:WORD_1 src1_sel:DWORD
	v_cmp_eq_u32_e32 vcc, 1, v11
	v_cndmask_b32_e64 v11, v54, 1, vcc
	v_mul_lo_u16_e32 v57, v55, v6
	v_lshlrev_b32_e32 v54, 16, v11
	v_mul_lo_u16_e32 v6, v55, v6
	v_or_b32_e32 v55, v54, v6
	v_mov_b32_e32 v6, v57
	v_mov_b32_e32 v54, v11
.LBB284_175:                            ;   in Loop: Header=BB284_166 Depth=1
	s_or_b64 exec, exec, s[62:63]
	s_waitcnt lgkmcnt(0)
	ds_bpermute_b32 v56, v42, v55
	v_cmp_le_u32_e32 vcc, v43, v10
	s_and_saveexec_b64 s[62:63], vcc
	s_cbranch_execz .LBB284_177
; %bb.176:                              ;   in Loop: Header=BB284_166 Depth=1
	v_cmp_eq_u16_e32 vcc, 0, v54
	v_and_b32_e32 v11, 1, v54
	s_waitcnt lgkmcnt(0)
	v_cndmask_b32_e32 v55, 1, v56, vcc
	v_and_b32_sdwa v54, v56, v53 dst_sel:DWORD dst_unused:UNUSED_PAD src0_sel:WORD_1 src1_sel:DWORD
	v_cmp_eq_u32_e32 vcc, 1, v11
	v_cndmask_b32_e64 v11, v54, 1, vcc
	v_mul_lo_u16_e32 v57, v55, v6
	v_lshlrev_b32_e32 v54, 16, v11
	v_mul_lo_u16_e32 v6, v55, v6
	v_or_b32_e32 v55, v54, v6
	v_mov_b32_e32 v6, v57
	v_mov_b32_e32 v54, v11
.LBB284_177:                            ;   in Loop: Header=BB284_166 Depth=1
	;; [unrolled: 21-line block ×4, first 2 shown]
	s_or_b64 exec, exec, s[62:63]
	ds_bpermute_b32 v55, v49, v55
	v_cmp_le_u32_e32 vcc, v50, v10
	s_and_saveexec_b64 s[62:63], vcc
	s_cbranch_execz .LBB284_165
; %bb.182:                              ;   in Loop: Header=BB284_166 Depth=1
	v_cmp_eq_u16_e32 vcc, 0, v54
	s_waitcnt lgkmcnt(0)
	v_cndmask_b32_e32 v10, 1, v55, vcc
	v_mul_lo_u16_e32 v6, v10, v6
	v_and_b32_e32 v10, 1, v54
	v_lshrrev_b32_e32 v11, 16, v55
	v_cmp_eq_u32_e32 vcc, 1, v10
	v_cndmask_b32_e64 v11, v11, 1, vcc
	s_branch .LBB284_165
.LBB284_183:                            ;   in Loop: Header=BB284_166 Depth=1
                                        ; implicit-def: $vgpr10
                                        ; implicit-def: $vgpr6
	s_cbranch_execz .LBB284_166
; %bb.184:
	s_and_saveexec_b64 s[62:63], s[50:51]
	s_cbranch_execz .LBB284_186
; %bb.185:
	v_and_b32_e32 v3, 0xff0000, v2
	s_mov_b32 s7, 0
	v_cmp_eq_u32_e32 vcc, 0, v3
	v_and_b32_e32 v4, 0x10000, v2
	v_mov_b32_e32 v5, 1
	s_add_i32 s6, s6, 64
	v_cndmask_b32_e32 v3, 1, v51, vcc
	v_and_b32_sdwa v5, v48, v5 dst_sel:WORD_1 dst_unused:UNUSED_PAD src0_sel:DWORD src1_sel:DWORD
	v_mov_b32_e32 v6, 0x10000
	v_cmp_eq_u32_e32 vcc, 0, v4
	s_lshl_b64 s[6:7], s[6:7], 3
	v_cndmask_b32_e32 v4, v6, v5, vcc
	s_add_u32 s6, s64, s6
	v_mul_lo_u16_e32 v2, v3, v2
	s_addc_u32 s7, s65, s7
	v_mov_b32_e32 v5, 0
	v_or_b32_e32 v2, v4, v2
	v_mov_b32_e32 v3, 2
	global_store_dwordx2 v5, v[2:3], s[6:7]
.LBB284_186:
	s_or_b64 exec, exec, s[62:63]
	s_and_b64 exec, exec, s[48:49]
	s_cbranch_execz .LBB284_188
; %bb.187:
	v_mov_b32_e32 v2, 0
	ds_write_b16 v2, v51
	ds_write_b8 v2, v48 offset:2
.LBB284_188:
	s_or_b64 exec, exec, s[56:57]
	v_mov_b32_e32 v2, 0
	s_waitcnt lgkmcnt(0)
	s_barrier
	ds_read_b32 v3, v2
	v_mov_b32_e32 v4, v1
	s_and_saveexec_b64 s[6:7], s[46:47]
; %bb.189:
	v_and_b32_e32 v4, 0x10000, v1
	v_and_b32_e32 v5, 1, v38
	v_cmp_ne_u32_e32 vcc, 0, v4
	s_mov_b32 s46, 0x10000
	v_cndmask_b32_e64 v36, v5, 1, vcc
	v_cmp_gt_u32_e32 vcc, s46, v1
	v_cndmask_b32_e32 v4, 1, v37, vcc
	v_mul_lo_u16_e32 v4, v4, v1
; %bb.190:
	s_or_b64 exec, exec, s[6:7]
	v_cmp_eq_u16_sdwa vcc, v36, v2 src0_sel:BYTE_0 src1_sel:DWORD
	s_waitcnt lgkmcnt(0)
	v_cndmask_b32_e32 v2, 1, v3, vcc
	v_mul_lo_u16_e32 v49, v2, v4
	v_cndmask_b32_e64 v2, 1, v49, s[2:3]
	v_mul_lo_u16_e32 v4, v2, v16
	v_cndmask_b32_e64 v2, 1, v4, s[4:5]
	;; [unrolled: 2-line block ×21, first 2 shown]
	v_mul_lo_u16_e32 v48, v2, v13
	s_branch .LBB284_213
.LBB284_191:
                                        ; implicit-def: $vgpr49
                                        ; implicit-def: $vgpr4
                                        ; implicit-def: $vgpr5
                                        ; implicit-def: $vgpr6
                                        ; implicit-def: $vgpr7
                                        ; implicit-def: $vgpr8
                                        ; implicit-def: $vgpr9
                                        ; implicit-def: $vgpr10
                                        ; implicit-def: $vgpr11
                                        ; implicit-def: $vgpr36
                                        ; implicit-def: $vgpr37
                                        ; implicit-def: $vgpr38
                                        ; implicit-def: $vgpr39
                                        ; implicit-def: $vgpr40
                                        ; implicit-def: $vgpr41
                                        ; implicit-def: $vgpr42
                                        ; implicit-def: $vgpr43
                                        ; implicit-def: $vgpr44
                                        ; implicit-def: $vgpr45
                                        ; implicit-def: $vgpr46
                                        ; implicit-def: $vgpr47
                                        ; implicit-def: $vgpr48
	s_cbranch_execz .LBB284_213
; %bb.192:
	s_cmp_lg_u64 s[70:71], 0
	s_cselect_b32 s5, s59, 0
	s_cselect_b32 s4, s58, 0
	s_cmp_lg_u64 s[4:5], 0
	s_cselect_b64 s[6:7], -1, 0
	v_cmp_eq_u32_e32 vcc, 0, v0
	v_cmp_ne_u32_e64 s[2:3], 0, v0
	s_and_b64 s[8:9], vcc, s[6:7]
	s_and_saveexec_b64 s[6:7], s[8:9]
	s_cbranch_execz .LBB284_194
; %bb.193:
	v_mov_b32_e32 v2, 0
	global_load_ushort v3, v2, s[4:5]
	global_load_ubyte v4, v2, s[4:5] offset:2
	s_mov_b32 s4, 0x10000
	v_and_b32_e32 v2, 0x10000, v1
	v_mov_b32_e32 v5, 1
	v_cmp_gt_u32_e64 s[4:5], s4, v1
	v_mov_b32_e32 v6, 0x10000
	s_waitcnt vmcnt(1)
	v_cndmask_b32_e64 v3, 1, v3, s[4:5]
	s_waitcnt vmcnt(0)
	v_and_b32_sdwa v4, v4, v5 dst_sel:WORD_1 dst_unused:UNUSED_PAD src0_sel:DWORD src1_sel:DWORD
	v_cmp_eq_u32_e64 s[4:5], 0, v2
	v_mul_lo_u16_e32 v1, v3, v1
	v_cndmask_b32_e64 v2, v6, v4, s[4:5]
	v_or_b32_e32 v1, v2, v1
.LBB284_194:
	s_or_b64 exec, exec, s[6:7]
	s_mov_b32 s46, 0x10000
	v_cmp_gt_u32_e64 s[4:5], s46, v16
	v_cndmask_b32_e64 v3, 1, v1, s[4:5]
	v_mul_lo_u16_e32 v4, v3, v16
	v_cmp_gt_u32_e64 s[6:7], s46, v17
	v_cndmask_b32_e64 v3, 1, v4, s[6:7]
	v_mul_lo_u16_e32 v5, v3, v17
	v_cmp_gt_u32_e64 s[8:9], s46, v18
	v_cndmask_b32_e64 v3, 1, v5, s[8:9]
	v_mul_lo_u16_e32 v6, v3, v18
	v_cmp_gt_u32_e64 s[10:11], s46, v19
	v_cndmask_b32_e64 v3, 1, v6, s[10:11]
	v_mul_lo_u16_e32 v7, v3, v19
	v_cmp_gt_u32_e64 s[12:13], s46, v20
	v_cndmask_b32_e64 v3, 1, v7, s[12:13]
	v_mul_lo_u16_e32 v8, v3, v20
	v_cmp_gt_u32_e64 s[14:15], s46, v21
	v_cndmask_b32_e64 v3, 1, v8, s[14:15]
	v_mul_lo_u16_e32 v9, v3, v21
	v_cmp_gt_u32_e64 s[16:17], s46, v22
	v_cndmask_b32_e64 v3, 1, v9, s[16:17]
	v_mul_lo_u16_e32 v10, v3, v22
	v_cmp_gt_u32_e64 s[18:19], s46, v23
	v_cndmask_b32_e64 v3, 1, v10, s[18:19]
	v_mul_lo_u16_e32 v11, v3, v23
	v_cmp_gt_u32_e64 s[20:21], s46, v24
	v_cndmask_b32_e64 v3, 1, v11, s[20:21]
	v_mul_lo_u16_e32 v36, v3, v24
	v_cmp_gt_u32_e64 s[22:23], s46, v25
	v_cndmask_b32_e64 v3, 1, v36, s[22:23]
	v_mul_lo_u16_e32 v37, v3, v25
	v_cmp_gt_u32_e64 s[24:25], s46, v26
	v_cndmask_b32_e64 v3, 1, v37, s[24:25]
	v_mul_lo_u16_e32 v38, v3, v26
	v_cmp_gt_u32_e64 s[26:27], s46, v27
	v_cndmask_b32_e64 v3, 1, v38, s[26:27]
	v_mul_lo_u16_e32 v39, v3, v27
	v_cmp_gt_u32_e64 s[28:29], s46, v28
	v_cndmask_b32_e64 v3, 1, v39, s[28:29]
	v_mul_lo_u16_e32 v40, v3, v28
	v_cmp_gt_u32_e64 s[30:31], s46, v29
	v_cndmask_b32_e64 v3, 1, v40, s[30:31]
	v_mul_lo_u16_e32 v41, v3, v29
	v_cmp_gt_u32_e64 s[34:35], s46, v30
	v_cndmask_b32_e64 v3, 1, v41, s[34:35]
	v_mul_lo_u16_e32 v42, v3, v30
	v_cmp_gt_u32_e64 s[36:37], s46, v31
	v_cndmask_b32_e64 v3, 1, v42, s[36:37]
	v_mul_lo_u16_e32 v43, v3, v31
	v_cmp_gt_u32_e64 s[38:39], s46, v32
	v_cndmask_b32_e64 v3, 1, v43, s[38:39]
	v_mul_lo_u16_e32 v44, v3, v32
	v_cmp_gt_u32_e64 s[40:41], s46, v33
	v_cndmask_b32_e64 v3, 1, v44, s[40:41]
	v_mul_lo_u16_e32 v45, v3, v33
	v_cmp_gt_u32_e64 s[42:43], s46, v34
	v_cndmask_b32_e64 v3, 1, v45, s[42:43]
	v_mul_lo_u16_e32 v46, v3, v34
	v_cmp_gt_u32_e64 s[44:45], s46, v35
	v_cndmask_b32_e64 v3, 1, v46, s[44:45]
	v_mul_lo_u16_e32 v47, v3, v35
	v_cmp_gt_u32_e64 s[46:47], s46, v13
	v_cndmask_b32_e64 v3, 1, v47, s[46:47]
	v_mul_lo_u16_e32 v48, v3, v13
	v_or3_b32 v3, v15, v31, v30
	v_or3_b32 v3, v3, v29, v28
	;; [unrolled: 1-line block ×8, first 2 shown]
	v_and_b32_e32 v3, 0x10000, v3
	v_lshrrev_b32_e32 v2, 16, v1
	v_cmp_ne_u32_e64 s[48:49], 0, v3
	v_mov_b32_e32 v49, 0x10000
	v_cndmask_b32_e64 v3, v2, 1, s[48:49]
	v_add_lshl_u32 v2, v14, v0, 2
	v_cmp_gt_u32_e64 s[48:49], 64, v0
	ds_write_b16 v2, v48
	ds_write_b8 v2, v3 offset:2
	s_waitcnt lgkmcnt(0)
	s_barrier
	s_and_saveexec_b64 s[50:51], s[48:49]
	s_cbranch_execz .LBB284_208
; %bb.195:
	v_lshlrev_b32_e32 v2, 2, v0
	v_lshrrev_b32_e32 v14, 3, v0
	v_add_lshl_u32 v2, v14, v2, 2
	ds_read_b32 v14, v2
	ds_read_u16 v15, v2 offset:4
	ds_read_u8 v50, v2 offset:6
	ds_read_u16 v51, v2 offset:8
	ds_read_u8 v52, v2 offset:10
	;; [unrolled: 2-line block ×3, first 2 shown]
	v_mov_b32_e32 v55, 0
	s_waitcnt lgkmcnt(4)
	v_cmp_eq_u16_sdwa s[48:49], v50, v55 src0_sel:BYTE_0 src1_sel:DWORD
	v_cndmask_b32_e64 v56, 1, v14, s[48:49]
	v_mul_lo_u16_e32 v56, v56, v15
	s_waitcnt lgkmcnt(2)
	v_cmp_eq_u16_sdwa s[48:49], v52, v55 src0_sel:BYTE_0 src1_sel:DWORD
	s_waitcnt lgkmcnt(0)
	v_or_b32_e32 v52, v54, v52
	v_cndmask_b32_e64 v55, 1, v56, s[48:49]
	v_or_b32_e32 v50, v52, v50
	v_mul_lo_u16_e32 v51, v55, v51
	v_cmp_eq_u16_e64 s[48:49], 0, v54
	v_and_b32_e32 v50, 1, v50
	v_and_b32_e32 v15, 0x10000, v14
	v_cndmask_b32_e64 v55, 1, v51, s[48:49]
	v_cmp_eq_u32_e64 s[48:49], 1, v50
	v_mbcnt_lo_u32_b32 v50, -1, 0
	v_mul_lo_u16_e32 v51, v55, v53
	v_cndmask_b32_e64 v56, v15, v49, s[48:49]
	v_mul_lo_u16_e32 v53, v55, v53
	v_and_b32_e32 v49, 0xff000000, v14
	v_mbcnt_hi_u32_b32 v50, -1, v50
	v_or_b32_e32 v54, v56, v49
	v_and_b32_e32 v55, 15, v50
	v_or3_b32 v53, v49, v53, v56
	s_movk_i32 s56, 0xff
	v_lshrrev_b32_e32 v52, 16, v54
	v_mov_b32_dpp v56, v53 row_shr:1 row_mask:0xf bank_mask:0xf
	v_cmp_ne_u32_e64 s[48:49], 0, v55
	s_and_saveexec_b64 s[52:53], s[48:49]
	s_cbranch_execz .LBB284_197
; %bb.196:
	v_and_b32_sdwa v52, v54, s56 dst_sel:DWORD dst_unused:UNUSED_PAD src0_sel:WORD_1 src1_sel:DWORD
	v_cmp_eq_u16_e64 s[48:49], 0, v52
	v_and_b32_e32 v52, 0x10000, v54
	v_mov_b32_e32 v54, 1
	v_cndmask_b32_e64 v53, 1, v56, s[48:49]
	v_and_b32_sdwa v54, v56, v54 dst_sel:DWORD dst_unused:UNUSED_PAD src0_sel:WORD_1 src1_sel:DWORD
	v_cmp_ne_u32_e64 s[48:49], 0, v52
	v_cndmask_b32_e64 v52, v54, 1, s[48:49]
	v_mul_lo_u16_e32 v57, v53, v51
	v_lshlrev_b32_e32 v54, 16, v52
	v_mul_lo_u16_e32 v51, v53, v51
	v_or3_b32 v53, v54, v51, v49
	v_mov_b32_e32 v51, v57
.LBB284_197:
	s_or_b64 exec, exec, s[52:53]
	v_lshrrev_b32_e32 v54, 16, v53
	v_mov_b32_dpp v56, v53 row_shr:2 row_mask:0xf bank_mask:0xf
	v_cmp_lt_u32_e64 s[48:49], 1, v55
	s_and_saveexec_b64 s[52:53], s[48:49]
	s_cbranch_execz .LBB284_199
; %bb.198:
	v_mov_b32_e32 v52, 0
	v_cmp_eq_u16_sdwa s[48:49], v54, v52 src0_sel:BYTE_0 src1_sel:DWORD
	v_and_b32_e32 v52, 0x10000, v53
	v_mov_b32_e32 v53, 1
	v_cndmask_b32_e64 v54, 1, v56, s[48:49]
	v_and_b32_sdwa v53, v56, v53 dst_sel:DWORD dst_unused:UNUSED_PAD src0_sel:WORD_1 src1_sel:DWORD
	v_cmp_ne_u32_e64 s[48:49], 0, v52
	v_cndmask_b32_e64 v52, v53, 1, s[48:49]
	v_mul_lo_u16_e32 v57, v54, v51
	v_lshlrev_b32_e32 v53, 16, v52
	v_mul_lo_u16_e32 v51, v54, v51
	v_or3_b32 v53, v53, v51, v49
	v_mov_b32_e32 v54, v52
	v_mov_b32_e32 v51, v57
.LBB284_199:
	s_or_b64 exec, exec, s[52:53]
	v_mov_b32_dpp v56, v53 row_shr:4 row_mask:0xf bank_mask:0xf
	v_cmp_lt_u32_e64 s[48:49], 3, v55
	s_and_saveexec_b64 s[52:53], s[48:49]
	s_cbranch_execz .LBB284_201
; %bb.200:
	v_mov_b32_e32 v52, 0
	v_cmp_eq_u16_sdwa s[48:49], v54, v52 src0_sel:BYTE_0 src1_sel:DWORD
	v_and_b32_e32 v52, 1, v54
	v_mov_b32_e32 v54, 1
	v_cndmask_b32_e64 v53, 1, v56, s[48:49]
	v_and_b32_sdwa v54, v56, v54 dst_sel:DWORD dst_unused:UNUSED_PAD src0_sel:WORD_1 src1_sel:DWORD
	v_cmp_eq_u32_e64 s[48:49], 1, v52
	v_cndmask_b32_e64 v52, v54, 1, s[48:49]
	v_mul_lo_u16_e32 v57, v53, v51
	v_lshlrev_b32_e32 v54, 16, v52
	v_mul_lo_u16_e32 v51, v53, v51
	v_or3_b32 v53, v54, v51, v49
	v_mov_b32_e32 v54, v52
	v_mov_b32_e32 v51, v57
.LBB284_201:
	s_or_b64 exec, exec, s[52:53]
	v_mov_b32_dpp v56, v53 row_shr:8 row_mask:0xf bank_mask:0xf
	v_cmp_lt_u32_e64 s[48:49], 7, v55
	s_and_saveexec_b64 s[52:53], s[48:49]
	s_cbranch_execz .LBB284_203
; %bb.202:
	v_mov_b32_e32 v52, 0
	v_cmp_eq_u16_sdwa s[48:49], v54, v52 src0_sel:BYTE_0 src1_sel:DWORD
	v_and_b32_e32 v52, 1, v54
	v_mov_b32_e32 v54, 1
	v_cndmask_b32_e64 v53, 1, v56, s[48:49]
	v_and_b32_sdwa v54, v56, v54 dst_sel:DWORD dst_unused:UNUSED_PAD src0_sel:WORD_1 src1_sel:DWORD
	v_cmp_eq_u32_e64 s[48:49], 1, v52
	v_cndmask_b32_e64 v52, v54, 1, s[48:49]
	v_mul_lo_u16_e32 v55, v53, v51
	v_lshlrev_b32_e32 v54, 16, v52
	v_mul_lo_u16_e32 v51, v53, v51
	v_or3_b32 v53, v54, v51, v49
	v_mov_b32_e32 v54, v52
	v_mov_b32_e32 v51, v55
.LBB284_203:
	s_or_b64 exec, exec, s[52:53]
	v_and_b32_e32 v56, 16, v50
	v_mov_b32_dpp v55, v53 row_bcast:15 row_mask:0xf bank_mask:0xf
	v_cmp_ne_u32_e64 s[48:49], 0, v56
	s_and_saveexec_b64 s[52:53], s[48:49]
	s_cbranch_execz .LBB284_205
; %bb.204:
	v_mov_b32_e32 v52, 0
	v_cmp_eq_u16_sdwa s[48:49], v54, v52 src0_sel:BYTE_0 src1_sel:DWORD
	v_and_b32_e32 v52, 1, v54
	v_mov_b32_e32 v54, 1
	v_cndmask_b32_e64 v53, 1, v55, s[48:49]
	v_and_b32_sdwa v54, v55, v54 dst_sel:DWORD dst_unused:UNUSED_PAD src0_sel:WORD_1 src1_sel:DWORD
	v_cmp_eq_u32_e64 s[48:49], 1, v52
	v_cndmask_b32_e64 v52, v54, 1, s[48:49]
	v_mul_lo_u16_e32 v56, v53, v51
	v_lshlrev_b32_e32 v54, 16, v52
	v_mul_lo_u16_e32 v51, v53, v51
	v_or3_b32 v53, v54, v51, v49
	v_mov_b32_e32 v54, v52
	v_mov_b32_e32 v51, v56
.LBB284_205:
	s_or_b64 exec, exec, s[52:53]
	v_mov_b32_dpp v53, v53 row_bcast:31 row_mask:0xf bank_mask:0xf
	v_cmp_lt_u32_e64 s[48:49], 31, v50
	s_and_saveexec_b64 s[52:53], s[48:49]
; %bb.206:
	v_mov_b32_e32 v52, 0
	v_cmp_eq_u16_sdwa s[48:49], v54, v52 src0_sel:BYTE_0 src1_sel:DWORD
	v_cndmask_b32_e64 v52, 1, v53, s[48:49]
	v_mul_lo_u16_e32 v51, v52, v51
	v_and_b32_e32 v52, 1, v54
	v_mov_b32_e32 v54, 1
	v_and_b32_sdwa v53, v53, v54 dst_sel:DWORD dst_unused:UNUSED_PAD src0_sel:WORD_1 src1_sel:DWORD
	v_cmp_eq_u32_e64 s[48:49], 1, v52
	v_cndmask_b32_e64 v52, v53, 1, s[48:49]
; %bb.207:
	s_or_b64 exec, exec, s[52:53]
	v_and_b32_e32 v52, 0xff, v52
	v_lshlrev_b32_e32 v52, 16, v52
	v_and_b32_e32 v51, 0xffff, v51
	v_or3_b32 v49, v52, v51, v49
	v_add_u32_e32 v51, -1, v50
	v_and_b32_e32 v52, 64, v50
	v_cmp_lt_i32_e64 s[48:49], v51, v52
	v_cndmask_b32_e64 v50, v51, v50, s[48:49]
	v_lshlrev_b32_e32 v50, 2, v50
	ds_bpermute_b32 v49, v50, v49
	v_and_b32_e32 v50, 0xff0000, v14
	v_cmp_eq_u32_e64 s[48:49], 0, v50
	; wave barrier
	s_waitcnt lgkmcnt(0)
	v_cndmask_b32_e64 v50, 1, v49, s[48:49]
	v_mul_lo_u16_e32 v14, v50, v14
	v_mov_b32_e32 v50, 1
	v_and_b32_sdwa v49, v49, v50 dst_sel:DWORD dst_unused:UNUSED_PAD src0_sel:WORD_1 src1_sel:DWORD
	v_cmp_eq_u32_e64 s[48:49], 0, v15
	v_cndmask_b32_e64 v15, 1, v49, s[48:49]
	v_cndmask_b32_e32 v14, v14, v48, vcc
	v_cndmask_b32_e32 v3, v15, v3, vcc
	ds_write_b16 v2, v14
	ds_write_b8 v2, v3 offset:2
	; wave barrier
	ds_read_u16 v15, v2 offset:4
	ds_read_u8 v49, v2 offset:6
	ds_read_u16 v50, v2 offset:8
	ds_read_u8 v51, v2 offset:10
	;; [unrolled: 2-line block ×3, first 2 shown]
	s_waitcnt lgkmcnt(4)
	v_cmp_eq_u16_e64 s[48:49], 0, v49
	v_cndmask_b32_e64 v14, 1, v14, s[48:49]
	v_mul_lo_u16_e32 v14, v14, v15
	v_and_b32_e32 v15, 1, v49
	v_cmp_eq_u32_e64 s[48:49], 1, v15
	v_cndmask_b32_e64 v3, v3, 1, s[48:49]
	s_waitcnt lgkmcnt(2)
	v_cmp_eq_u16_e64 s[48:49], 0, v51
	v_and_b32_e32 v15, 1, v51
	ds_write_b16 v2, v14 offset:4
	ds_write_b8 v2, v3 offset:6
	v_cndmask_b32_e64 v14, 1, v14, s[48:49]
	v_cmp_eq_u32_e64 s[48:49], 1, v15
	v_mul_lo_u16_e32 v14, v14, v50
	v_cndmask_b32_e64 v3, v3, 1, s[48:49]
	s_waitcnt lgkmcnt(2)
	v_cmp_eq_u16_e64 s[48:49], 0, v53
	ds_write_b16 v2, v14 offset:8
	ds_write_b8 v2, v3 offset:10
	v_cndmask_b32_e64 v14, 1, v14, s[48:49]
	v_and_b32_e32 v15, 1, v53
	v_mul_lo_u16_e32 v14, v14, v52
	v_cmp_eq_u32_e64 s[48:49], 1, v15
	v_cndmask_b32_e64 v3, v3, 1, s[48:49]
	ds_write_b16 v2, v14 offset:12
	ds_write_b8 v2, v3 offset:14
.LBB284_208:
	s_or_b64 exec, exec, s[50:51]
	v_mov_b32_e32 v2, v48
	s_waitcnt lgkmcnt(0)
	s_barrier
	s_and_saveexec_b64 s[48:49], s[2:3]
	s_cbranch_execnz .LBB284_283
; %bb.209:
	s_or_b64 exec, exec, s[48:49]
	s_and_saveexec_b64 s[48:49], s[2:3]
	s_cbranch_execnz .LBB284_284
.LBB284_210:
	s_or_b64 exec, exec, s[48:49]
	s_and_saveexec_b64 s[2:3], vcc
	s_cbranch_execz .LBB284_212
.LBB284_211:
	v_mov_b32_e32 v13, 0
	s_waitcnt lgkmcnt(0)
	ds_read_u8 v2, v13 offset:1050
	ds_read_u16 v3, v13 offset:1048
	s_waitcnt lgkmcnt(1)
	v_lshlrev_b32_e32 v2, 16, v2
	s_waitcnt lgkmcnt(0)
	v_or_b32_e32 v2, v2, v3
	v_mov_b32_e32 v3, 2
	global_store_dwordx2 v13, v[2:3], s[64:65] offset:512
.LBB284_212:
	s_or_b64 exec, exec, s[2:3]
	v_mov_b32_e32 v49, v1
.LBB284_213:
	s_add_u32 s2, s54, s68
	s_addc_u32 s3, s55, s69
	s_add_u32 s4, s2, s60
	s_addc_u32 s5, s3, s61
	s_and_b64 vcc, exec, s[0:1]
	v_mul_u32_u24_e32 v14, 22, v0
	s_cbranch_vccz .LBB284_257
; %bb.214:
	s_mov_b32 s0, 0x5040100
	v_lshlrev_b32_e32 v33, 1, v14
	v_perm_b32 v1, v6, v5, s0
	s_waitcnt lgkmcnt(0)
	v_perm_b32 v2, v4, v49, s0
	s_barrier
	ds_write2_b32 v33, v2, v1 offset1:1
	v_perm_b32 v1, v10, v9, s0
	v_perm_b32 v2, v8, v7, s0
	ds_write2_b32 v33, v2, v1 offset0:2 offset1:3
	v_perm_b32 v1, v38, v37, s0
	v_perm_b32 v2, v36, v11, s0
	ds_write2_b32 v33, v2, v1 offset0:4 offset1:5
	;; [unrolled: 3-line block ×4, first 2 shown]
	v_perm_b32 v1, v48, v47, s0
	s_movk_i32 s0, 0xffd6
	v_mad_i32_i24 v2, v0, s0, v33
	ds_write_b32 v33, v1 offset:40
	s_waitcnt lgkmcnt(0)
	s_barrier
	ds_read_u16 v35, v2 offset:512
	ds_read_u16 v34, v2 offset:1024
	;; [unrolled: 1-line block ×21, first 2 shown]
	v_mov_b32_e32 v3, s5
	v_add_co_u32_e32 v2, vcc, s4, v12
	s_add_i32 s33, s33, s66
	v_addc_co_u32_e32 v3, vcc, 0, v3, vcc
	v_mov_b32_e32 v1, 0
	v_cmp_gt_u32_e32 vcc, s33, v0
	s_and_saveexec_b64 s[0:1], vcc
	s_cbranch_execz .LBB284_216
; %bb.215:
	v_mul_i32_i24_e32 v50, 0xffffffd6, v0
	v_add_u32_e32 v33, v33, v50
	ds_read_u16 v33, v33
	s_waitcnt lgkmcnt(0)
	flat_store_short v[2:3], v33
.LBB284_216:
	s_or_b64 exec, exec, s[0:1]
	v_or_b32_e32 v33, 0x100, v0
	v_cmp_gt_u32_e32 vcc, s33, v33
	s_and_saveexec_b64 s[0:1], vcc
	s_cbranch_execz .LBB284_218
; %bb.217:
	s_waitcnt lgkmcnt(0)
	flat_store_short v[2:3], v35 offset:512
.LBB284_218:
	s_or_b64 exec, exec, s[0:1]
	v_or_b32_e32 v33, 0x200, v0
	v_cmp_gt_u32_e32 vcc, s33, v33
	s_and_saveexec_b64 s[0:1], vcc
	s_cbranch_execz .LBB284_220
; %bb.219:
	s_waitcnt lgkmcnt(0)
	flat_store_short v[2:3], v34 offset:1024
.LBB284_220:
	;; [unrolled: 9-line block ×3, first 2 shown]
	s_or_b64 exec, exec, s[0:1]
	s_waitcnt lgkmcnt(0)
	v_or_b32_e32 v32, 0x400, v0
	v_cmp_gt_u32_e32 vcc, s33, v32
	s_and_saveexec_b64 s[0:1], vcc
	s_cbranch_execz .LBB284_224
; %bb.223:
	flat_store_short v[2:3], v31 offset:2048
.LBB284_224:
	s_or_b64 exec, exec, s[0:1]
	v_or_b32_e32 v31, 0x500, v0
	v_cmp_gt_u32_e32 vcc, s33, v31
	s_and_saveexec_b64 s[0:1], vcc
	s_cbranch_execz .LBB284_226
; %bb.225:
	flat_store_short v[2:3], v30 offset:2560
.LBB284_226:
	s_or_b64 exec, exec, s[0:1]
	;; [unrolled: 8-line block ×4, first 2 shown]
	v_or_b32_e32 v28, 0x800, v0
	v_cmp_gt_u32_e32 vcc, s33, v28
	s_and_saveexec_b64 s[0:1], vcc
	s_cbranch_execz .LBB284_232
; %bb.231:
	v_add_co_u32_e32 v28, vcc, 0x1000, v2
	v_addc_co_u32_e32 v29, vcc, 0, v3, vcc
	flat_store_short v[28:29], v27
.LBB284_232:
	s_or_b64 exec, exec, s[0:1]
	v_or_b32_e32 v27, 0x900, v0
	v_cmp_gt_u32_e32 vcc, s33, v27
	s_and_saveexec_b64 s[0:1], vcc
	s_cbranch_execz .LBB284_234
; %bb.233:
	v_add_co_u32_e32 v28, vcc, 0x1000, v2
	v_addc_co_u32_e32 v29, vcc, 0, v3, vcc
	flat_store_short v[28:29], v26 offset:512
.LBB284_234:
	s_or_b64 exec, exec, s[0:1]
	v_or_b32_e32 v26, 0xa00, v0
	v_cmp_gt_u32_e32 vcc, s33, v26
	s_and_saveexec_b64 s[0:1], vcc
	s_cbranch_execz .LBB284_236
; %bb.235:
	v_add_co_u32_e32 v26, vcc, 0x1000, v2
	v_addc_co_u32_e32 v27, vcc, 0, v3, vcc
	flat_store_short v[26:27], v25 offset:1024
.LBB284_236:
	;; [unrolled: 10-line block ×7, first 2 shown]
	s_or_b64 exec, exec, s[0:1]
	v_or_b32_e32 v20, 0x1000, v0
	v_cmp_gt_u32_e32 vcc, s33, v20
	s_and_saveexec_b64 s[0:1], vcc
	s_cbranch_execz .LBB284_248
; %bb.247:
	v_add_co_u32_e32 v20, vcc, 0x2000, v2
	v_addc_co_u32_e32 v21, vcc, 0, v3, vcc
	flat_store_short v[20:21], v19
.LBB284_248:
	s_or_b64 exec, exec, s[0:1]
	v_or_b32_e32 v19, 0x1100, v0
	v_cmp_gt_u32_e32 vcc, s33, v19
	s_and_saveexec_b64 s[0:1], vcc
	s_cbranch_execz .LBB284_250
; %bb.249:
	v_add_co_u32_e32 v20, vcc, 0x2000, v2
	v_addc_co_u32_e32 v21, vcc, 0, v3, vcc
	flat_store_short v[20:21], v18 offset:512
.LBB284_250:
	s_or_b64 exec, exec, s[0:1]
	v_or_b32_e32 v18, 0x1200, v0
	v_cmp_gt_u32_e32 vcc, s33, v18
	s_and_saveexec_b64 s[0:1], vcc
	s_cbranch_execz .LBB284_252
; %bb.251:
	v_add_co_u32_e32 v18, vcc, 0x2000, v2
	v_addc_co_u32_e32 v19, vcc, 0, v3, vcc
	flat_store_short v[18:19], v17 offset:1024
.LBB284_252:
	;; [unrolled: 10-line block ×4, first 2 shown]
	s_or_b64 exec, exec, s[0:1]
	v_or_b32_e32 v2, 0x1500, v0
	v_cmp_gt_u32_e64 s[0:1], s33, v2
	s_branch .LBB284_259
.LBB284_257:
	s_mov_b64 s[0:1], 0
                                        ; implicit-def: $vgpr13
	s_cbranch_execz .LBB284_259
; %bb.258:
	s_mov_b32 s2, 0x5040100
	s_waitcnt lgkmcnt(0)
	v_lshlrev_b32_e32 v2, 1, v14
	v_perm_b32 v1, v6, v5, s2
	v_perm_b32 v3, v4, v49, s2
	s_barrier
	ds_write2_b32 v2, v3, v1 offset1:1
	v_perm_b32 v1, v10, v9, s2
	v_perm_b32 v3, v8, v7, s2
	ds_write2_b32 v2, v3, v1 offset0:2 offset1:3
	v_perm_b32 v1, v38, v37, s2
	v_perm_b32 v3, v36, v11, s2
	ds_write2_b32 v2, v3, v1 offset0:4 offset1:5
	;; [unrolled: 3-line block ×4, first 2 shown]
	v_perm_b32 v1, v48, v47, s2
	s_movk_i32 s2, 0xffd6
	ds_write_b32 v2, v1 offset:40
	v_mad_i32_i24 v2, v0, s2, v2
	s_waitcnt lgkmcnt(0)
	s_barrier
	ds_read_u16 v4, v2
	ds_read_u16 v5, v2 offset:512
	ds_read_u16 v6, v2 offset:1024
	;; [unrolled: 1-line block ×21, first 2 shown]
	v_mov_b32_e32 v3, s5
	v_add_co_u32_e32 v2, vcc, s4, v12
	v_addc_co_u32_e32 v3, vcc, 0, v3, vcc
	s_movk_i32 s2, 0x1000
	s_waitcnt lgkmcnt(0)
	flat_store_short v[2:3], v4
	flat_store_short v[2:3], v5 offset:512
	flat_store_short v[2:3], v6 offset:1024
	;; [unrolled: 1-line block ×7, first 2 shown]
	v_add_co_u32_e32 v4, vcc, s2, v2
	v_addc_co_u32_e32 v5, vcc, 0, v3, vcc
	v_add_co_u32_e32 v2, vcc, 0x2000, v2
	v_mov_b32_e32 v1, 0
	v_addc_co_u32_e32 v3, vcc, 0, v3, vcc
	s_or_b64 s[0:1], s[0:1], exec
	flat_store_short v[4:5], v14
	flat_store_short v[4:5], v15 offset:512
	flat_store_short v[4:5], v16 offset:1024
	;; [unrolled: 1-line block ×7, first 2 shown]
	flat_store_short v[2:3], v22
	flat_store_short v[2:3], v23 offset:512
	flat_store_short v[2:3], v24 offset:1024
	;; [unrolled: 1-line block ×4, first 2 shown]
.LBB284_259:
	s_and_saveexec_b64 s[2:3], s[0:1]
	s_cbranch_execnz .LBB284_261
; %bb.260:
	s_endpgm
.LBB284_261:
	v_lshlrev_b64 v[0:1], 1, v[0:1]
	s_waitcnt lgkmcnt(0)
	v_mov_b32_e32 v2, s5
	v_add_co_u32_e32 v0, vcc, s4, v0
	v_addc_co_u32_e32 v1, vcc, v2, v1, vcc
	v_add_co_u32_e32 v0, vcc, 0x2000, v0
	v_addc_co_u32_e32 v1, vcc, 0, v1, vcc
	flat_store_short v[0:1], v13 offset:2560
	s_endpgm
.LBB284_262:
	v_mov_b32_e32 v27, s67
	v_add_co_u32_e32 v26, vcc, s7, v20
	v_addc_co_u32_e32 v27, vcc, 0, v27, vcc
	flat_load_ushort v26, v[26:27]
	s_or_b64 exec, exec, s[56:57]
                                        ; implicit-def: $vgpr27
	s_and_saveexec_b64 s[2:3], s[4:5]
	s_cbranch_execz .LBB284_53
.LBB284_263:
	v_mov_b32_e32 v27, s67
	v_add_co_u32_e32 v28, vcc, s7, v20
	v_addc_co_u32_e32 v29, vcc, 0, v27, vcc
	flat_load_ushort v27, v[28:29] offset:512
	s_or_b64 exec, exec, s[2:3]
                                        ; implicit-def: $vgpr28
	s_and_saveexec_b64 s[2:3], s[48:49]
	s_cbranch_execz .LBB284_54
.LBB284_264:
	v_mov_b32_e32 v29, s67
	v_add_co_u32_e32 v28, vcc, s7, v20
	v_addc_co_u32_e32 v29, vcc, 0, v29, vcc
	flat_load_ushort v28, v[28:29] offset:1024
	s_or_b64 exec, exec, s[2:3]
                                        ; implicit-def: $vgpr29
	s_and_saveexec_b64 s[2:3], s[8:9]
	s_cbranch_execz .LBB284_55
.LBB284_265:
	v_mov_b32_e32 v29, s67
	v_add_co_u32_e32 v30, vcc, s7, v20
	v_addc_co_u32_e32 v31, vcc, 0, v29, vcc
	flat_load_ushort v29, v[30:31] offset:1536
	s_or_b64 exec, exec, s[2:3]
                                        ; implicit-def: $vgpr30
	s_and_saveexec_b64 s[2:3], s[10:11]
	s_cbranch_execz .LBB284_56
.LBB284_266:
	v_mov_b32_e32 v31, s67
	v_add_co_u32_e32 v30, vcc, s7, v20
	v_addc_co_u32_e32 v31, vcc, 0, v31, vcc
	flat_load_ushort v30, v[30:31] offset:2048
	s_or_b64 exec, exec, s[2:3]
                                        ; implicit-def: $vgpr31
	s_and_saveexec_b64 s[2:3], s[12:13]
	s_cbranch_execz .LBB284_57
.LBB284_267:
	v_mov_b32_e32 v31, s67
	v_add_co_u32_e32 v32, vcc, s7, v20
	v_addc_co_u32_e32 v33, vcc, 0, v31, vcc
	flat_load_ushort v31, v[32:33] offset:2560
	s_or_b64 exec, exec, s[2:3]
                                        ; implicit-def: $vgpr32
	s_and_saveexec_b64 s[2:3], s[14:15]
	s_cbranch_execz .LBB284_58
.LBB284_268:
	v_mov_b32_e32 v33, s67
	v_add_co_u32_e32 v32, vcc, s7, v20
	v_addc_co_u32_e32 v33, vcc, 0, v33, vcc
	flat_load_ushort v32, v[32:33] offset:3072
	s_or_b64 exec, exec, s[2:3]
                                        ; implicit-def: $vgpr33
	s_and_saveexec_b64 s[2:3], s[16:17]
	s_cbranch_execz .LBB284_59
.LBB284_269:
	v_mov_b32_e32 v33, s67
	v_add_co_u32_e32 v34, vcc, s7, v20
	v_addc_co_u32_e32 v35, vcc, 0, v33, vcc
	flat_load_ushort v33, v[34:35] offset:3584
	s_or_b64 exec, exec, s[2:3]
                                        ; implicit-def: $vgpr34
	s_and_saveexec_b64 s[2:3], s[18:19]
	s_cbranch_execz .LBB284_60
.LBB284_270:
	v_mov_b32_e32 v35, s67
	v_add_co_u32_e32 v34, vcc, s7, v1
	v_addc_co_u32_e32 v35, vcc, 0, v35, vcc
	flat_load_ushort v34, v[34:35]
	s_or_b64 exec, exec, s[2:3]
                                        ; implicit-def: $vgpr1
	s_and_saveexec_b64 s[2:3], s[20:21]
	s_cbranch_execz .LBB284_61
.LBB284_271:
	v_mov_b32_e32 v1, s67
	v_add_co_u32_e32 v42, vcc, s7, v2
	v_addc_co_u32_e32 v43, vcc, 0, v1, vcc
	flat_load_ushort v1, v[42:43]
	s_or_b64 exec, exec, s[2:3]
                                        ; implicit-def: $vgpr2
	s_and_saveexec_b64 s[2:3], s[22:23]
	s_cbranch_execz .LBB284_62
.LBB284_272:
	v_mov_b32_e32 v35, s67
	v_add_co_u32_e32 v2, vcc, s7, v3
	v_addc_co_u32_e32 v3, vcc, 0, v35, vcc
	flat_load_ushort v2, v[2:3]
	s_or_b64 exec, exec, s[2:3]
                                        ; implicit-def: $vgpr3
	s_and_saveexec_b64 s[2:3], s[24:25]
	s_cbranch_execz .LBB284_63
.LBB284_273:
	v_mov_b32_e32 v3, s67
	v_add_co_u32_e32 v42, vcc, s7, v4
	v_addc_co_u32_e32 v43, vcc, 0, v3, vcc
	flat_load_ushort v3, v[42:43]
	s_or_b64 exec, exec, s[2:3]
                                        ; implicit-def: $vgpr4
	s_and_saveexec_b64 s[2:3], s[26:27]
	s_cbranch_execz .LBB284_64
.LBB284_274:
	v_mov_b32_e32 v35, s67
	v_add_co_u32_e32 v4, vcc, s7, v5
	v_addc_co_u32_e32 v5, vcc, 0, v35, vcc
	flat_load_ushort v4, v[4:5]
	s_or_b64 exec, exec, s[2:3]
                                        ; implicit-def: $vgpr5
	s_and_saveexec_b64 s[2:3], s[28:29]
	s_cbranch_execz .LBB284_65
.LBB284_275:
	v_mov_b32_e32 v5, s67
	v_add_co_u32_e32 v42, vcc, s7, v16
	v_addc_co_u32_e32 v43, vcc, 0, v5, vcc
	flat_load_ushort v5, v[42:43]
	s_or_b64 exec, exec, s[2:3]
                                        ; implicit-def: $vgpr16
	s_and_saveexec_b64 s[2:3], s[30:31]
	s_cbranch_execz .LBB284_66
.LBB284_276:
	v_mov_b32_e32 v35, s67
	v_add_co_u32_e32 v16, vcc, s7, v17
	v_addc_co_u32_e32 v17, vcc, 0, v35, vcc
	flat_load_ushort v16, v[16:17]
	s_or_b64 exec, exec, s[2:3]
                                        ; implicit-def: $vgpr17
	s_and_saveexec_b64 s[2:3], s[34:35]
	s_cbranch_execz .LBB284_67
.LBB284_277:
	v_mov_b32_e32 v17, s67
	v_add_co_u32_e32 v42, vcc, s7, v18
	v_addc_co_u32_e32 v43, vcc, 0, v17, vcc
	flat_load_ushort v17, v[42:43]
	s_or_b64 exec, exec, s[2:3]
                                        ; implicit-def: $vgpr18
	s_and_saveexec_b64 s[2:3], s[36:37]
	s_cbranch_execz .LBB284_68
.LBB284_278:
	v_mov_b32_e32 v35, s67
	v_add_co_u32_e32 v18, vcc, s7, v19
	v_addc_co_u32_e32 v19, vcc, 0, v35, vcc
	flat_load_ushort v18, v[18:19]
	s_or_b64 exec, exec, s[2:3]
                                        ; implicit-def: $vgpr19
	s_and_saveexec_b64 s[2:3], s[38:39]
	s_cbranch_execz .LBB284_69
.LBB284_279:
	v_mov_b32_e32 v19, s67
	v_add_co_u32_e32 v42, vcc, s7, v21
	v_addc_co_u32_e32 v43, vcc, 0, v19, vcc
	flat_load_ushort v19, v[42:43]
	s_or_b64 exec, exec, s[2:3]
                                        ; implicit-def: $vgpr21
	s_and_saveexec_b64 s[2:3], s[40:41]
	s_cbranch_execz .LBB284_70
.LBB284_280:
	v_mov_b32_e32 v21, s67
	v_add_co_u32_e32 v42, vcc, s7, v22
	v_addc_co_u32_e32 v43, vcc, 0, v21, vcc
	flat_load_ushort v21, v[42:43]
	s_or_b64 exec, exec, s[2:3]
                                        ; implicit-def: $vgpr22
	s_and_saveexec_b64 s[2:3], s[42:43]
	s_cbranch_execz .LBB284_71
.LBB284_281:
	v_mov_b32_e32 v35, s67
	v_add_co_u32_e32 v22, vcc, s7, v23
	v_addc_co_u32_e32 v23, vcc, 0, v35, vcc
	flat_load_ushort v22, v[22:23]
	s_or_b64 exec, exec, s[2:3]
                                        ; implicit-def: $vgpr23
	s_and_saveexec_b64 s[2:3], s[44:45]
	s_cbranch_execz .LBB284_72
.LBB284_282:
	v_mov_b32_e32 v23, s67
	v_add_co_u32_e32 v42, vcc, s7, v24
	v_addc_co_u32_e32 v43, vcc, 0, v23, vcc
	flat_load_ushort v23, v[42:43]
	s_or_b64 exec, exec, s[2:3]
                                        ; implicit-def: $vgpr24
	s_and_saveexec_b64 s[2:3], s[46:47]
	s_cbranch_execnz .LBB284_73
	s_branch .LBB284_74
.LBB284_283:
	v_add_u32_e32 v2, -1, v0
	v_lshrrev_b32_e32 v3, 5, v2
	v_add_lshl_u32 v2, v3, v2, 2
	ds_read_u16 v2, v2
	s_or_b64 exec, exec, s[48:49]
	s_and_saveexec_b64 s[48:49], s[2:3]
	s_cbranch_execz .LBB284_210
.LBB284_284:
	s_mov_b32 s2, 0x10000
	s_waitcnt lgkmcnt(0)
	v_and_b32_e32 v2, 0xffff, v2
	v_cmp_gt_u32_e64 s[2:3], s2, v1
	v_cndmask_b32_e64 v2, 1, v2, s[2:3]
	v_mul_lo_u32 v1, v2, v1
	v_cndmask_b32_e64 v2, 1, v1, s[4:5]
	v_mul_lo_u16_e32 v4, v2, v16
	v_cndmask_b32_e64 v2, 1, v4, s[6:7]
	v_mul_lo_u16_e32 v5, v2, v17
	;; [unrolled: 2-line block ×21, first 2 shown]
	;;#ASMSTART
	;;#ASMEND
	s_or_b64 exec, exec, s[48:49]
	s_and_saveexec_b64 s[2:3], vcc
	s_cbranch_execnz .LBB284_211
	s_branch .LBB284_212
.LBB284_285:
                                        ; implicit-def: $sgpr56_sgpr57
	s_branch .LBB284_48
.LBB284_286:
                                        ; implicit-def: $sgpr2_sgpr3
	s_branch .LBB284_121
	.section	.rodata,"a",@progbits
	.p2align	6, 0x0
	.amdhsa_kernel _ZN7rocprim17ROCPRIM_400000_NS6detail17trampoline_kernelINS0_14default_configENS1_27scan_by_key_config_selectorIssEEZZNS1_16scan_by_key_implILNS1_25lookback_scan_determinismE0ELb0ES3_N6thrust23THRUST_200600_302600_NS6detail15normal_iteratorINS9_10device_ptrIsEEEESE_SE_sNS9_10multipliesIsEENS9_8equal_toIsEEsEE10hipError_tPvRmT2_T3_T4_T5_mT6_T7_P12ihipStream_tbENKUlT_T0_E_clISt17integral_constantIbLb0EESZ_EEDaSU_SV_EUlSU_E_NS1_11comp_targetILNS1_3genE4ELNS1_11target_archE910ELNS1_3gpuE8ELNS1_3repE0EEENS1_30default_config_static_selectorELNS0_4arch9wavefront6targetE1EEEvT1_
		.amdhsa_group_segment_fixed_size 12288
		.amdhsa_private_segment_fixed_size 0
		.amdhsa_kernarg_size 112
		.amdhsa_user_sgpr_count 6
		.amdhsa_user_sgpr_private_segment_buffer 1
		.amdhsa_user_sgpr_dispatch_ptr 0
		.amdhsa_user_sgpr_queue_ptr 0
		.amdhsa_user_sgpr_kernarg_segment_ptr 1
		.amdhsa_user_sgpr_dispatch_id 0
		.amdhsa_user_sgpr_flat_scratch_init 0
		.amdhsa_user_sgpr_kernarg_preload_length 0
		.amdhsa_user_sgpr_kernarg_preload_offset 0
		.amdhsa_user_sgpr_private_segment_size 0
		.amdhsa_uses_dynamic_stack 0
		.amdhsa_system_sgpr_private_segment_wavefront_offset 0
		.amdhsa_system_sgpr_workgroup_id_x 1
		.amdhsa_system_sgpr_workgroup_id_y 0
		.amdhsa_system_sgpr_workgroup_id_z 0
		.amdhsa_system_sgpr_workgroup_info 0
		.amdhsa_system_vgpr_workitem_id 0
		.amdhsa_next_free_vgpr 58
		.amdhsa_next_free_sgpr 78
		.amdhsa_accum_offset 60
		.amdhsa_reserve_vcc 1
		.amdhsa_reserve_flat_scratch 0
		.amdhsa_float_round_mode_32 0
		.amdhsa_float_round_mode_16_64 0
		.amdhsa_float_denorm_mode_32 3
		.amdhsa_float_denorm_mode_16_64 3
		.amdhsa_dx10_clamp 1
		.amdhsa_ieee_mode 1
		.amdhsa_fp16_overflow 0
		.amdhsa_tg_split 0
		.amdhsa_exception_fp_ieee_invalid_op 0
		.amdhsa_exception_fp_denorm_src 0
		.amdhsa_exception_fp_ieee_div_zero 0
		.amdhsa_exception_fp_ieee_overflow 0
		.amdhsa_exception_fp_ieee_underflow 0
		.amdhsa_exception_fp_ieee_inexact 0
		.amdhsa_exception_int_div_zero 0
	.end_amdhsa_kernel
	.section	.text._ZN7rocprim17ROCPRIM_400000_NS6detail17trampoline_kernelINS0_14default_configENS1_27scan_by_key_config_selectorIssEEZZNS1_16scan_by_key_implILNS1_25lookback_scan_determinismE0ELb0ES3_N6thrust23THRUST_200600_302600_NS6detail15normal_iteratorINS9_10device_ptrIsEEEESE_SE_sNS9_10multipliesIsEENS9_8equal_toIsEEsEE10hipError_tPvRmT2_T3_T4_T5_mT6_T7_P12ihipStream_tbENKUlT_T0_E_clISt17integral_constantIbLb0EESZ_EEDaSU_SV_EUlSU_E_NS1_11comp_targetILNS1_3genE4ELNS1_11target_archE910ELNS1_3gpuE8ELNS1_3repE0EEENS1_30default_config_static_selectorELNS0_4arch9wavefront6targetE1EEEvT1_,"axG",@progbits,_ZN7rocprim17ROCPRIM_400000_NS6detail17trampoline_kernelINS0_14default_configENS1_27scan_by_key_config_selectorIssEEZZNS1_16scan_by_key_implILNS1_25lookback_scan_determinismE0ELb0ES3_N6thrust23THRUST_200600_302600_NS6detail15normal_iteratorINS9_10device_ptrIsEEEESE_SE_sNS9_10multipliesIsEENS9_8equal_toIsEEsEE10hipError_tPvRmT2_T3_T4_T5_mT6_T7_P12ihipStream_tbENKUlT_T0_E_clISt17integral_constantIbLb0EESZ_EEDaSU_SV_EUlSU_E_NS1_11comp_targetILNS1_3genE4ELNS1_11target_archE910ELNS1_3gpuE8ELNS1_3repE0EEENS1_30default_config_static_selectorELNS0_4arch9wavefront6targetE1EEEvT1_,comdat
.Lfunc_end284:
	.size	_ZN7rocprim17ROCPRIM_400000_NS6detail17trampoline_kernelINS0_14default_configENS1_27scan_by_key_config_selectorIssEEZZNS1_16scan_by_key_implILNS1_25lookback_scan_determinismE0ELb0ES3_N6thrust23THRUST_200600_302600_NS6detail15normal_iteratorINS9_10device_ptrIsEEEESE_SE_sNS9_10multipliesIsEENS9_8equal_toIsEEsEE10hipError_tPvRmT2_T3_T4_T5_mT6_T7_P12ihipStream_tbENKUlT_T0_E_clISt17integral_constantIbLb0EESZ_EEDaSU_SV_EUlSU_E_NS1_11comp_targetILNS1_3genE4ELNS1_11target_archE910ELNS1_3gpuE8ELNS1_3repE0EEENS1_30default_config_static_selectorELNS0_4arch9wavefront6targetE1EEEvT1_, .Lfunc_end284-_ZN7rocprim17ROCPRIM_400000_NS6detail17trampoline_kernelINS0_14default_configENS1_27scan_by_key_config_selectorIssEEZZNS1_16scan_by_key_implILNS1_25lookback_scan_determinismE0ELb0ES3_N6thrust23THRUST_200600_302600_NS6detail15normal_iteratorINS9_10device_ptrIsEEEESE_SE_sNS9_10multipliesIsEENS9_8equal_toIsEEsEE10hipError_tPvRmT2_T3_T4_T5_mT6_T7_P12ihipStream_tbENKUlT_T0_E_clISt17integral_constantIbLb0EESZ_EEDaSU_SV_EUlSU_E_NS1_11comp_targetILNS1_3genE4ELNS1_11target_archE910ELNS1_3gpuE8ELNS1_3repE0EEENS1_30default_config_static_selectorELNS0_4arch9wavefront6targetE1EEEvT1_
                                        ; -- End function
	.section	.AMDGPU.csdata,"",@progbits
; Kernel info:
; codeLenInByte = 15528
; NumSgprs: 82
; NumVgprs: 58
; NumAgprs: 0
; TotalNumVgprs: 58
; ScratchSize: 0
; MemoryBound: 0
; FloatMode: 240
; IeeeMode: 1
; LDSByteSize: 12288 bytes/workgroup (compile time only)
; SGPRBlocks: 10
; VGPRBlocks: 7
; NumSGPRsForWavesPerEU: 82
; NumVGPRsForWavesPerEU: 58
; AccumOffset: 60
; Occupancy: 5
; WaveLimiterHint : 1
; COMPUTE_PGM_RSRC2:SCRATCH_EN: 0
; COMPUTE_PGM_RSRC2:USER_SGPR: 6
; COMPUTE_PGM_RSRC2:TRAP_HANDLER: 0
; COMPUTE_PGM_RSRC2:TGID_X_EN: 1
; COMPUTE_PGM_RSRC2:TGID_Y_EN: 0
; COMPUTE_PGM_RSRC2:TGID_Z_EN: 0
; COMPUTE_PGM_RSRC2:TIDIG_COMP_CNT: 0
; COMPUTE_PGM_RSRC3_GFX90A:ACCUM_OFFSET: 14
; COMPUTE_PGM_RSRC3_GFX90A:TG_SPLIT: 0
	.section	.text._ZN7rocprim17ROCPRIM_400000_NS6detail17trampoline_kernelINS0_14default_configENS1_27scan_by_key_config_selectorIssEEZZNS1_16scan_by_key_implILNS1_25lookback_scan_determinismE0ELb0ES3_N6thrust23THRUST_200600_302600_NS6detail15normal_iteratorINS9_10device_ptrIsEEEESE_SE_sNS9_10multipliesIsEENS9_8equal_toIsEEsEE10hipError_tPvRmT2_T3_T4_T5_mT6_T7_P12ihipStream_tbENKUlT_T0_E_clISt17integral_constantIbLb0EESZ_EEDaSU_SV_EUlSU_E_NS1_11comp_targetILNS1_3genE3ELNS1_11target_archE908ELNS1_3gpuE7ELNS1_3repE0EEENS1_30default_config_static_selectorELNS0_4arch9wavefront6targetE1EEEvT1_,"axG",@progbits,_ZN7rocprim17ROCPRIM_400000_NS6detail17trampoline_kernelINS0_14default_configENS1_27scan_by_key_config_selectorIssEEZZNS1_16scan_by_key_implILNS1_25lookback_scan_determinismE0ELb0ES3_N6thrust23THRUST_200600_302600_NS6detail15normal_iteratorINS9_10device_ptrIsEEEESE_SE_sNS9_10multipliesIsEENS9_8equal_toIsEEsEE10hipError_tPvRmT2_T3_T4_T5_mT6_T7_P12ihipStream_tbENKUlT_T0_E_clISt17integral_constantIbLb0EESZ_EEDaSU_SV_EUlSU_E_NS1_11comp_targetILNS1_3genE3ELNS1_11target_archE908ELNS1_3gpuE7ELNS1_3repE0EEENS1_30default_config_static_selectorELNS0_4arch9wavefront6targetE1EEEvT1_,comdat
	.protected	_ZN7rocprim17ROCPRIM_400000_NS6detail17trampoline_kernelINS0_14default_configENS1_27scan_by_key_config_selectorIssEEZZNS1_16scan_by_key_implILNS1_25lookback_scan_determinismE0ELb0ES3_N6thrust23THRUST_200600_302600_NS6detail15normal_iteratorINS9_10device_ptrIsEEEESE_SE_sNS9_10multipliesIsEENS9_8equal_toIsEEsEE10hipError_tPvRmT2_T3_T4_T5_mT6_T7_P12ihipStream_tbENKUlT_T0_E_clISt17integral_constantIbLb0EESZ_EEDaSU_SV_EUlSU_E_NS1_11comp_targetILNS1_3genE3ELNS1_11target_archE908ELNS1_3gpuE7ELNS1_3repE0EEENS1_30default_config_static_selectorELNS0_4arch9wavefront6targetE1EEEvT1_ ; -- Begin function _ZN7rocprim17ROCPRIM_400000_NS6detail17trampoline_kernelINS0_14default_configENS1_27scan_by_key_config_selectorIssEEZZNS1_16scan_by_key_implILNS1_25lookback_scan_determinismE0ELb0ES3_N6thrust23THRUST_200600_302600_NS6detail15normal_iteratorINS9_10device_ptrIsEEEESE_SE_sNS9_10multipliesIsEENS9_8equal_toIsEEsEE10hipError_tPvRmT2_T3_T4_T5_mT6_T7_P12ihipStream_tbENKUlT_T0_E_clISt17integral_constantIbLb0EESZ_EEDaSU_SV_EUlSU_E_NS1_11comp_targetILNS1_3genE3ELNS1_11target_archE908ELNS1_3gpuE7ELNS1_3repE0EEENS1_30default_config_static_selectorELNS0_4arch9wavefront6targetE1EEEvT1_
	.globl	_ZN7rocprim17ROCPRIM_400000_NS6detail17trampoline_kernelINS0_14default_configENS1_27scan_by_key_config_selectorIssEEZZNS1_16scan_by_key_implILNS1_25lookback_scan_determinismE0ELb0ES3_N6thrust23THRUST_200600_302600_NS6detail15normal_iteratorINS9_10device_ptrIsEEEESE_SE_sNS9_10multipliesIsEENS9_8equal_toIsEEsEE10hipError_tPvRmT2_T3_T4_T5_mT6_T7_P12ihipStream_tbENKUlT_T0_E_clISt17integral_constantIbLb0EESZ_EEDaSU_SV_EUlSU_E_NS1_11comp_targetILNS1_3genE3ELNS1_11target_archE908ELNS1_3gpuE7ELNS1_3repE0EEENS1_30default_config_static_selectorELNS0_4arch9wavefront6targetE1EEEvT1_
	.p2align	8
	.type	_ZN7rocprim17ROCPRIM_400000_NS6detail17trampoline_kernelINS0_14default_configENS1_27scan_by_key_config_selectorIssEEZZNS1_16scan_by_key_implILNS1_25lookback_scan_determinismE0ELb0ES3_N6thrust23THRUST_200600_302600_NS6detail15normal_iteratorINS9_10device_ptrIsEEEESE_SE_sNS9_10multipliesIsEENS9_8equal_toIsEEsEE10hipError_tPvRmT2_T3_T4_T5_mT6_T7_P12ihipStream_tbENKUlT_T0_E_clISt17integral_constantIbLb0EESZ_EEDaSU_SV_EUlSU_E_NS1_11comp_targetILNS1_3genE3ELNS1_11target_archE908ELNS1_3gpuE7ELNS1_3repE0EEENS1_30default_config_static_selectorELNS0_4arch9wavefront6targetE1EEEvT1_,@function
_ZN7rocprim17ROCPRIM_400000_NS6detail17trampoline_kernelINS0_14default_configENS1_27scan_by_key_config_selectorIssEEZZNS1_16scan_by_key_implILNS1_25lookback_scan_determinismE0ELb0ES3_N6thrust23THRUST_200600_302600_NS6detail15normal_iteratorINS9_10device_ptrIsEEEESE_SE_sNS9_10multipliesIsEENS9_8equal_toIsEEsEE10hipError_tPvRmT2_T3_T4_T5_mT6_T7_P12ihipStream_tbENKUlT_T0_E_clISt17integral_constantIbLb0EESZ_EEDaSU_SV_EUlSU_E_NS1_11comp_targetILNS1_3genE3ELNS1_11target_archE908ELNS1_3gpuE7ELNS1_3repE0EEENS1_30default_config_static_selectorELNS0_4arch9wavefront6targetE1EEEvT1_: ; @_ZN7rocprim17ROCPRIM_400000_NS6detail17trampoline_kernelINS0_14default_configENS1_27scan_by_key_config_selectorIssEEZZNS1_16scan_by_key_implILNS1_25lookback_scan_determinismE0ELb0ES3_N6thrust23THRUST_200600_302600_NS6detail15normal_iteratorINS9_10device_ptrIsEEEESE_SE_sNS9_10multipliesIsEENS9_8equal_toIsEEsEE10hipError_tPvRmT2_T3_T4_T5_mT6_T7_P12ihipStream_tbENKUlT_T0_E_clISt17integral_constantIbLb0EESZ_EEDaSU_SV_EUlSU_E_NS1_11comp_targetILNS1_3genE3ELNS1_11target_archE908ELNS1_3gpuE7ELNS1_3repE0EEENS1_30default_config_static_selectorELNS0_4arch9wavefront6targetE1EEEvT1_
; %bb.0:
	.section	.rodata,"a",@progbits
	.p2align	6, 0x0
	.amdhsa_kernel _ZN7rocprim17ROCPRIM_400000_NS6detail17trampoline_kernelINS0_14default_configENS1_27scan_by_key_config_selectorIssEEZZNS1_16scan_by_key_implILNS1_25lookback_scan_determinismE0ELb0ES3_N6thrust23THRUST_200600_302600_NS6detail15normal_iteratorINS9_10device_ptrIsEEEESE_SE_sNS9_10multipliesIsEENS9_8equal_toIsEEsEE10hipError_tPvRmT2_T3_T4_T5_mT6_T7_P12ihipStream_tbENKUlT_T0_E_clISt17integral_constantIbLb0EESZ_EEDaSU_SV_EUlSU_E_NS1_11comp_targetILNS1_3genE3ELNS1_11target_archE908ELNS1_3gpuE7ELNS1_3repE0EEENS1_30default_config_static_selectorELNS0_4arch9wavefront6targetE1EEEvT1_
		.amdhsa_group_segment_fixed_size 0
		.amdhsa_private_segment_fixed_size 0
		.amdhsa_kernarg_size 112
		.amdhsa_user_sgpr_count 6
		.amdhsa_user_sgpr_private_segment_buffer 1
		.amdhsa_user_sgpr_dispatch_ptr 0
		.amdhsa_user_sgpr_queue_ptr 0
		.amdhsa_user_sgpr_kernarg_segment_ptr 1
		.amdhsa_user_sgpr_dispatch_id 0
		.amdhsa_user_sgpr_flat_scratch_init 0
		.amdhsa_user_sgpr_kernarg_preload_length 0
		.amdhsa_user_sgpr_kernarg_preload_offset 0
		.amdhsa_user_sgpr_private_segment_size 0
		.amdhsa_uses_dynamic_stack 0
		.amdhsa_system_sgpr_private_segment_wavefront_offset 0
		.amdhsa_system_sgpr_workgroup_id_x 1
		.amdhsa_system_sgpr_workgroup_id_y 0
		.amdhsa_system_sgpr_workgroup_id_z 0
		.amdhsa_system_sgpr_workgroup_info 0
		.amdhsa_system_vgpr_workitem_id 0
		.amdhsa_next_free_vgpr 1
		.amdhsa_next_free_sgpr 0
		.amdhsa_accum_offset 4
		.amdhsa_reserve_vcc 0
		.amdhsa_reserve_flat_scratch 0
		.amdhsa_float_round_mode_32 0
		.amdhsa_float_round_mode_16_64 0
		.amdhsa_float_denorm_mode_32 3
		.amdhsa_float_denorm_mode_16_64 3
		.amdhsa_dx10_clamp 1
		.amdhsa_ieee_mode 1
		.amdhsa_fp16_overflow 0
		.amdhsa_tg_split 0
		.amdhsa_exception_fp_ieee_invalid_op 0
		.amdhsa_exception_fp_denorm_src 0
		.amdhsa_exception_fp_ieee_div_zero 0
		.amdhsa_exception_fp_ieee_overflow 0
		.amdhsa_exception_fp_ieee_underflow 0
		.amdhsa_exception_fp_ieee_inexact 0
		.amdhsa_exception_int_div_zero 0
	.end_amdhsa_kernel
	.section	.text._ZN7rocprim17ROCPRIM_400000_NS6detail17trampoline_kernelINS0_14default_configENS1_27scan_by_key_config_selectorIssEEZZNS1_16scan_by_key_implILNS1_25lookback_scan_determinismE0ELb0ES3_N6thrust23THRUST_200600_302600_NS6detail15normal_iteratorINS9_10device_ptrIsEEEESE_SE_sNS9_10multipliesIsEENS9_8equal_toIsEEsEE10hipError_tPvRmT2_T3_T4_T5_mT6_T7_P12ihipStream_tbENKUlT_T0_E_clISt17integral_constantIbLb0EESZ_EEDaSU_SV_EUlSU_E_NS1_11comp_targetILNS1_3genE3ELNS1_11target_archE908ELNS1_3gpuE7ELNS1_3repE0EEENS1_30default_config_static_selectorELNS0_4arch9wavefront6targetE1EEEvT1_,"axG",@progbits,_ZN7rocprim17ROCPRIM_400000_NS6detail17trampoline_kernelINS0_14default_configENS1_27scan_by_key_config_selectorIssEEZZNS1_16scan_by_key_implILNS1_25lookback_scan_determinismE0ELb0ES3_N6thrust23THRUST_200600_302600_NS6detail15normal_iteratorINS9_10device_ptrIsEEEESE_SE_sNS9_10multipliesIsEENS9_8equal_toIsEEsEE10hipError_tPvRmT2_T3_T4_T5_mT6_T7_P12ihipStream_tbENKUlT_T0_E_clISt17integral_constantIbLb0EESZ_EEDaSU_SV_EUlSU_E_NS1_11comp_targetILNS1_3genE3ELNS1_11target_archE908ELNS1_3gpuE7ELNS1_3repE0EEENS1_30default_config_static_selectorELNS0_4arch9wavefront6targetE1EEEvT1_,comdat
.Lfunc_end285:
	.size	_ZN7rocprim17ROCPRIM_400000_NS6detail17trampoline_kernelINS0_14default_configENS1_27scan_by_key_config_selectorIssEEZZNS1_16scan_by_key_implILNS1_25lookback_scan_determinismE0ELb0ES3_N6thrust23THRUST_200600_302600_NS6detail15normal_iteratorINS9_10device_ptrIsEEEESE_SE_sNS9_10multipliesIsEENS9_8equal_toIsEEsEE10hipError_tPvRmT2_T3_T4_T5_mT6_T7_P12ihipStream_tbENKUlT_T0_E_clISt17integral_constantIbLb0EESZ_EEDaSU_SV_EUlSU_E_NS1_11comp_targetILNS1_3genE3ELNS1_11target_archE908ELNS1_3gpuE7ELNS1_3repE0EEENS1_30default_config_static_selectorELNS0_4arch9wavefront6targetE1EEEvT1_, .Lfunc_end285-_ZN7rocprim17ROCPRIM_400000_NS6detail17trampoline_kernelINS0_14default_configENS1_27scan_by_key_config_selectorIssEEZZNS1_16scan_by_key_implILNS1_25lookback_scan_determinismE0ELb0ES3_N6thrust23THRUST_200600_302600_NS6detail15normal_iteratorINS9_10device_ptrIsEEEESE_SE_sNS9_10multipliesIsEENS9_8equal_toIsEEsEE10hipError_tPvRmT2_T3_T4_T5_mT6_T7_P12ihipStream_tbENKUlT_T0_E_clISt17integral_constantIbLb0EESZ_EEDaSU_SV_EUlSU_E_NS1_11comp_targetILNS1_3genE3ELNS1_11target_archE908ELNS1_3gpuE7ELNS1_3repE0EEENS1_30default_config_static_selectorELNS0_4arch9wavefront6targetE1EEEvT1_
                                        ; -- End function
	.section	.AMDGPU.csdata,"",@progbits
; Kernel info:
; codeLenInByte = 0
; NumSgprs: 4
; NumVgprs: 0
; NumAgprs: 0
; TotalNumVgprs: 0
; ScratchSize: 0
; MemoryBound: 0
; FloatMode: 240
; IeeeMode: 1
; LDSByteSize: 0 bytes/workgroup (compile time only)
; SGPRBlocks: 0
; VGPRBlocks: 0
; NumSGPRsForWavesPerEU: 4
; NumVGPRsForWavesPerEU: 1
; AccumOffset: 4
; Occupancy: 8
; WaveLimiterHint : 0
; COMPUTE_PGM_RSRC2:SCRATCH_EN: 0
; COMPUTE_PGM_RSRC2:USER_SGPR: 6
; COMPUTE_PGM_RSRC2:TRAP_HANDLER: 0
; COMPUTE_PGM_RSRC2:TGID_X_EN: 1
; COMPUTE_PGM_RSRC2:TGID_Y_EN: 0
; COMPUTE_PGM_RSRC2:TGID_Z_EN: 0
; COMPUTE_PGM_RSRC2:TIDIG_COMP_CNT: 0
; COMPUTE_PGM_RSRC3_GFX90A:ACCUM_OFFSET: 0
; COMPUTE_PGM_RSRC3_GFX90A:TG_SPLIT: 0
	.section	.text._ZN7rocprim17ROCPRIM_400000_NS6detail17trampoline_kernelINS0_14default_configENS1_27scan_by_key_config_selectorIssEEZZNS1_16scan_by_key_implILNS1_25lookback_scan_determinismE0ELb0ES3_N6thrust23THRUST_200600_302600_NS6detail15normal_iteratorINS9_10device_ptrIsEEEESE_SE_sNS9_10multipliesIsEENS9_8equal_toIsEEsEE10hipError_tPvRmT2_T3_T4_T5_mT6_T7_P12ihipStream_tbENKUlT_T0_E_clISt17integral_constantIbLb0EESZ_EEDaSU_SV_EUlSU_E_NS1_11comp_targetILNS1_3genE2ELNS1_11target_archE906ELNS1_3gpuE6ELNS1_3repE0EEENS1_30default_config_static_selectorELNS0_4arch9wavefront6targetE1EEEvT1_,"axG",@progbits,_ZN7rocprim17ROCPRIM_400000_NS6detail17trampoline_kernelINS0_14default_configENS1_27scan_by_key_config_selectorIssEEZZNS1_16scan_by_key_implILNS1_25lookback_scan_determinismE0ELb0ES3_N6thrust23THRUST_200600_302600_NS6detail15normal_iteratorINS9_10device_ptrIsEEEESE_SE_sNS9_10multipliesIsEENS9_8equal_toIsEEsEE10hipError_tPvRmT2_T3_T4_T5_mT6_T7_P12ihipStream_tbENKUlT_T0_E_clISt17integral_constantIbLb0EESZ_EEDaSU_SV_EUlSU_E_NS1_11comp_targetILNS1_3genE2ELNS1_11target_archE906ELNS1_3gpuE6ELNS1_3repE0EEENS1_30default_config_static_selectorELNS0_4arch9wavefront6targetE1EEEvT1_,comdat
	.protected	_ZN7rocprim17ROCPRIM_400000_NS6detail17trampoline_kernelINS0_14default_configENS1_27scan_by_key_config_selectorIssEEZZNS1_16scan_by_key_implILNS1_25lookback_scan_determinismE0ELb0ES3_N6thrust23THRUST_200600_302600_NS6detail15normal_iteratorINS9_10device_ptrIsEEEESE_SE_sNS9_10multipliesIsEENS9_8equal_toIsEEsEE10hipError_tPvRmT2_T3_T4_T5_mT6_T7_P12ihipStream_tbENKUlT_T0_E_clISt17integral_constantIbLb0EESZ_EEDaSU_SV_EUlSU_E_NS1_11comp_targetILNS1_3genE2ELNS1_11target_archE906ELNS1_3gpuE6ELNS1_3repE0EEENS1_30default_config_static_selectorELNS0_4arch9wavefront6targetE1EEEvT1_ ; -- Begin function _ZN7rocprim17ROCPRIM_400000_NS6detail17trampoline_kernelINS0_14default_configENS1_27scan_by_key_config_selectorIssEEZZNS1_16scan_by_key_implILNS1_25lookback_scan_determinismE0ELb0ES3_N6thrust23THRUST_200600_302600_NS6detail15normal_iteratorINS9_10device_ptrIsEEEESE_SE_sNS9_10multipliesIsEENS9_8equal_toIsEEsEE10hipError_tPvRmT2_T3_T4_T5_mT6_T7_P12ihipStream_tbENKUlT_T0_E_clISt17integral_constantIbLb0EESZ_EEDaSU_SV_EUlSU_E_NS1_11comp_targetILNS1_3genE2ELNS1_11target_archE906ELNS1_3gpuE6ELNS1_3repE0EEENS1_30default_config_static_selectorELNS0_4arch9wavefront6targetE1EEEvT1_
	.globl	_ZN7rocprim17ROCPRIM_400000_NS6detail17trampoline_kernelINS0_14default_configENS1_27scan_by_key_config_selectorIssEEZZNS1_16scan_by_key_implILNS1_25lookback_scan_determinismE0ELb0ES3_N6thrust23THRUST_200600_302600_NS6detail15normal_iteratorINS9_10device_ptrIsEEEESE_SE_sNS9_10multipliesIsEENS9_8equal_toIsEEsEE10hipError_tPvRmT2_T3_T4_T5_mT6_T7_P12ihipStream_tbENKUlT_T0_E_clISt17integral_constantIbLb0EESZ_EEDaSU_SV_EUlSU_E_NS1_11comp_targetILNS1_3genE2ELNS1_11target_archE906ELNS1_3gpuE6ELNS1_3repE0EEENS1_30default_config_static_selectorELNS0_4arch9wavefront6targetE1EEEvT1_
	.p2align	8
	.type	_ZN7rocprim17ROCPRIM_400000_NS6detail17trampoline_kernelINS0_14default_configENS1_27scan_by_key_config_selectorIssEEZZNS1_16scan_by_key_implILNS1_25lookback_scan_determinismE0ELb0ES3_N6thrust23THRUST_200600_302600_NS6detail15normal_iteratorINS9_10device_ptrIsEEEESE_SE_sNS9_10multipliesIsEENS9_8equal_toIsEEsEE10hipError_tPvRmT2_T3_T4_T5_mT6_T7_P12ihipStream_tbENKUlT_T0_E_clISt17integral_constantIbLb0EESZ_EEDaSU_SV_EUlSU_E_NS1_11comp_targetILNS1_3genE2ELNS1_11target_archE906ELNS1_3gpuE6ELNS1_3repE0EEENS1_30default_config_static_selectorELNS0_4arch9wavefront6targetE1EEEvT1_,@function
_ZN7rocprim17ROCPRIM_400000_NS6detail17trampoline_kernelINS0_14default_configENS1_27scan_by_key_config_selectorIssEEZZNS1_16scan_by_key_implILNS1_25lookback_scan_determinismE0ELb0ES3_N6thrust23THRUST_200600_302600_NS6detail15normal_iteratorINS9_10device_ptrIsEEEESE_SE_sNS9_10multipliesIsEENS9_8equal_toIsEEsEE10hipError_tPvRmT2_T3_T4_T5_mT6_T7_P12ihipStream_tbENKUlT_T0_E_clISt17integral_constantIbLb0EESZ_EEDaSU_SV_EUlSU_E_NS1_11comp_targetILNS1_3genE2ELNS1_11target_archE906ELNS1_3gpuE6ELNS1_3repE0EEENS1_30default_config_static_selectorELNS0_4arch9wavefront6targetE1EEEvT1_: ; @_ZN7rocprim17ROCPRIM_400000_NS6detail17trampoline_kernelINS0_14default_configENS1_27scan_by_key_config_selectorIssEEZZNS1_16scan_by_key_implILNS1_25lookback_scan_determinismE0ELb0ES3_N6thrust23THRUST_200600_302600_NS6detail15normal_iteratorINS9_10device_ptrIsEEEESE_SE_sNS9_10multipliesIsEENS9_8equal_toIsEEsEE10hipError_tPvRmT2_T3_T4_T5_mT6_T7_P12ihipStream_tbENKUlT_T0_E_clISt17integral_constantIbLb0EESZ_EEDaSU_SV_EUlSU_E_NS1_11comp_targetILNS1_3genE2ELNS1_11target_archE906ELNS1_3gpuE6ELNS1_3repE0EEENS1_30default_config_static_selectorELNS0_4arch9wavefront6targetE1EEEvT1_
; %bb.0:
	.section	.rodata,"a",@progbits
	.p2align	6, 0x0
	.amdhsa_kernel _ZN7rocprim17ROCPRIM_400000_NS6detail17trampoline_kernelINS0_14default_configENS1_27scan_by_key_config_selectorIssEEZZNS1_16scan_by_key_implILNS1_25lookback_scan_determinismE0ELb0ES3_N6thrust23THRUST_200600_302600_NS6detail15normal_iteratorINS9_10device_ptrIsEEEESE_SE_sNS9_10multipliesIsEENS9_8equal_toIsEEsEE10hipError_tPvRmT2_T3_T4_T5_mT6_T7_P12ihipStream_tbENKUlT_T0_E_clISt17integral_constantIbLb0EESZ_EEDaSU_SV_EUlSU_E_NS1_11comp_targetILNS1_3genE2ELNS1_11target_archE906ELNS1_3gpuE6ELNS1_3repE0EEENS1_30default_config_static_selectorELNS0_4arch9wavefront6targetE1EEEvT1_
		.amdhsa_group_segment_fixed_size 0
		.amdhsa_private_segment_fixed_size 0
		.amdhsa_kernarg_size 112
		.amdhsa_user_sgpr_count 6
		.amdhsa_user_sgpr_private_segment_buffer 1
		.amdhsa_user_sgpr_dispatch_ptr 0
		.amdhsa_user_sgpr_queue_ptr 0
		.amdhsa_user_sgpr_kernarg_segment_ptr 1
		.amdhsa_user_sgpr_dispatch_id 0
		.amdhsa_user_sgpr_flat_scratch_init 0
		.amdhsa_user_sgpr_kernarg_preload_length 0
		.amdhsa_user_sgpr_kernarg_preload_offset 0
		.amdhsa_user_sgpr_private_segment_size 0
		.amdhsa_uses_dynamic_stack 0
		.amdhsa_system_sgpr_private_segment_wavefront_offset 0
		.amdhsa_system_sgpr_workgroup_id_x 1
		.amdhsa_system_sgpr_workgroup_id_y 0
		.amdhsa_system_sgpr_workgroup_id_z 0
		.amdhsa_system_sgpr_workgroup_info 0
		.amdhsa_system_vgpr_workitem_id 0
		.amdhsa_next_free_vgpr 1
		.amdhsa_next_free_sgpr 0
		.amdhsa_accum_offset 4
		.amdhsa_reserve_vcc 0
		.amdhsa_reserve_flat_scratch 0
		.amdhsa_float_round_mode_32 0
		.amdhsa_float_round_mode_16_64 0
		.amdhsa_float_denorm_mode_32 3
		.amdhsa_float_denorm_mode_16_64 3
		.amdhsa_dx10_clamp 1
		.amdhsa_ieee_mode 1
		.amdhsa_fp16_overflow 0
		.amdhsa_tg_split 0
		.amdhsa_exception_fp_ieee_invalid_op 0
		.amdhsa_exception_fp_denorm_src 0
		.amdhsa_exception_fp_ieee_div_zero 0
		.amdhsa_exception_fp_ieee_overflow 0
		.amdhsa_exception_fp_ieee_underflow 0
		.amdhsa_exception_fp_ieee_inexact 0
		.amdhsa_exception_int_div_zero 0
	.end_amdhsa_kernel
	.section	.text._ZN7rocprim17ROCPRIM_400000_NS6detail17trampoline_kernelINS0_14default_configENS1_27scan_by_key_config_selectorIssEEZZNS1_16scan_by_key_implILNS1_25lookback_scan_determinismE0ELb0ES3_N6thrust23THRUST_200600_302600_NS6detail15normal_iteratorINS9_10device_ptrIsEEEESE_SE_sNS9_10multipliesIsEENS9_8equal_toIsEEsEE10hipError_tPvRmT2_T3_T4_T5_mT6_T7_P12ihipStream_tbENKUlT_T0_E_clISt17integral_constantIbLb0EESZ_EEDaSU_SV_EUlSU_E_NS1_11comp_targetILNS1_3genE2ELNS1_11target_archE906ELNS1_3gpuE6ELNS1_3repE0EEENS1_30default_config_static_selectorELNS0_4arch9wavefront6targetE1EEEvT1_,"axG",@progbits,_ZN7rocprim17ROCPRIM_400000_NS6detail17trampoline_kernelINS0_14default_configENS1_27scan_by_key_config_selectorIssEEZZNS1_16scan_by_key_implILNS1_25lookback_scan_determinismE0ELb0ES3_N6thrust23THRUST_200600_302600_NS6detail15normal_iteratorINS9_10device_ptrIsEEEESE_SE_sNS9_10multipliesIsEENS9_8equal_toIsEEsEE10hipError_tPvRmT2_T3_T4_T5_mT6_T7_P12ihipStream_tbENKUlT_T0_E_clISt17integral_constantIbLb0EESZ_EEDaSU_SV_EUlSU_E_NS1_11comp_targetILNS1_3genE2ELNS1_11target_archE906ELNS1_3gpuE6ELNS1_3repE0EEENS1_30default_config_static_selectorELNS0_4arch9wavefront6targetE1EEEvT1_,comdat
.Lfunc_end286:
	.size	_ZN7rocprim17ROCPRIM_400000_NS6detail17trampoline_kernelINS0_14default_configENS1_27scan_by_key_config_selectorIssEEZZNS1_16scan_by_key_implILNS1_25lookback_scan_determinismE0ELb0ES3_N6thrust23THRUST_200600_302600_NS6detail15normal_iteratorINS9_10device_ptrIsEEEESE_SE_sNS9_10multipliesIsEENS9_8equal_toIsEEsEE10hipError_tPvRmT2_T3_T4_T5_mT6_T7_P12ihipStream_tbENKUlT_T0_E_clISt17integral_constantIbLb0EESZ_EEDaSU_SV_EUlSU_E_NS1_11comp_targetILNS1_3genE2ELNS1_11target_archE906ELNS1_3gpuE6ELNS1_3repE0EEENS1_30default_config_static_selectorELNS0_4arch9wavefront6targetE1EEEvT1_, .Lfunc_end286-_ZN7rocprim17ROCPRIM_400000_NS6detail17trampoline_kernelINS0_14default_configENS1_27scan_by_key_config_selectorIssEEZZNS1_16scan_by_key_implILNS1_25lookback_scan_determinismE0ELb0ES3_N6thrust23THRUST_200600_302600_NS6detail15normal_iteratorINS9_10device_ptrIsEEEESE_SE_sNS9_10multipliesIsEENS9_8equal_toIsEEsEE10hipError_tPvRmT2_T3_T4_T5_mT6_T7_P12ihipStream_tbENKUlT_T0_E_clISt17integral_constantIbLb0EESZ_EEDaSU_SV_EUlSU_E_NS1_11comp_targetILNS1_3genE2ELNS1_11target_archE906ELNS1_3gpuE6ELNS1_3repE0EEENS1_30default_config_static_selectorELNS0_4arch9wavefront6targetE1EEEvT1_
                                        ; -- End function
	.section	.AMDGPU.csdata,"",@progbits
; Kernel info:
; codeLenInByte = 0
; NumSgprs: 4
; NumVgprs: 0
; NumAgprs: 0
; TotalNumVgprs: 0
; ScratchSize: 0
; MemoryBound: 0
; FloatMode: 240
; IeeeMode: 1
; LDSByteSize: 0 bytes/workgroup (compile time only)
; SGPRBlocks: 0
; VGPRBlocks: 0
; NumSGPRsForWavesPerEU: 4
; NumVGPRsForWavesPerEU: 1
; AccumOffset: 4
; Occupancy: 8
; WaveLimiterHint : 0
; COMPUTE_PGM_RSRC2:SCRATCH_EN: 0
; COMPUTE_PGM_RSRC2:USER_SGPR: 6
; COMPUTE_PGM_RSRC2:TRAP_HANDLER: 0
; COMPUTE_PGM_RSRC2:TGID_X_EN: 1
; COMPUTE_PGM_RSRC2:TGID_Y_EN: 0
; COMPUTE_PGM_RSRC2:TGID_Z_EN: 0
; COMPUTE_PGM_RSRC2:TIDIG_COMP_CNT: 0
; COMPUTE_PGM_RSRC3_GFX90A:ACCUM_OFFSET: 0
; COMPUTE_PGM_RSRC3_GFX90A:TG_SPLIT: 0
	.section	.text._ZN7rocprim17ROCPRIM_400000_NS6detail17trampoline_kernelINS0_14default_configENS1_27scan_by_key_config_selectorIssEEZZNS1_16scan_by_key_implILNS1_25lookback_scan_determinismE0ELb0ES3_N6thrust23THRUST_200600_302600_NS6detail15normal_iteratorINS9_10device_ptrIsEEEESE_SE_sNS9_10multipliesIsEENS9_8equal_toIsEEsEE10hipError_tPvRmT2_T3_T4_T5_mT6_T7_P12ihipStream_tbENKUlT_T0_E_clISt17integral_constantIbLb0EESZ_EEDaSU_SV_EUlSU_E_NS1_11comp_targetILNS1_3genE10ELNS1_11target_archE1200ELNS1_3gpuE4ELNS1_3repE0EEENS1_30default_config_static_selectorELNS0_4arch9wavefront6targetE1EEEvT1_,"axG",@progbits,_ZN7rocprim17ROCPRIM_400000_NS6detail17trampoline_kernelINS0_14default_configENS1_27scan_by_key_config_selectorIssEEZZNS1_16scan_by_key_implILNS1_25lookback_scan_determinismE0ELb0ES3_N6thrust23THRUST_200600_302600_NS6detail15normal_iteratorINS9_10device_ptrIsEEEESE_SE_sNS9_10multipliesIsEENS9_8equal_toIsEEsEE10hipError_tPvRmT2_T3_T4_T5_mT6_T7_P12ihipStream_tbENKUlT_T0_E_clISt17integral_constantIbLb0EESZ_EEDaSU_SV_EUlSU_E_NS1_11comp_targetILNS1_3genE10ELNS1_11target_archE1200ELNS1_3gpuE4ELNS1_3repE0EEENS1_30default_config_static_selectorELNS0_4arch9wavefront6targetE1EEEvT1_,comdat
	.protected	_ZN7rocprim17ROCPRIM_400000_NS6detail17trampoline_kernelINS0_14default_configENS1_27scan_by_key_config_selectorIssEEZZNS1_16scan_by_key_implILNS1_25lookback_scan_determinismE0ELb0ES3_N6thrust23THRUST_200600_302600_NS6detail15normal_iteratorINS9_10device_ptrIsEEEESE_SE_sNS9_10multipliesIsEENS9_8equal_toIsEEsEE10hipError_tPvRmT2_T3_T4_T5_mT6_T7_P12ihipStream_tbENKUlT_T0_E_clISt17integral_constantIbLb0EESZ_EEDaSU_SV_EUlSU_E_NS1_11comp_targetILNS1_3genE10ELNS1_11target_archE1200ELNS1_3gpuE4ELNS1_3repE0EEENS1_30default_config_static_selectorELNS0_4arch9wavefront6targetE1EEEvT1_ ; -- Begin function _ZN7rocprim17ROCPRIM_400000_NS6detail17trampoline_kernelINS0_14default_configENS1_27scan_by_key_config_selectorIssEEZZNS1_16scan_by_key_implILNS1_25lookback_scan_determinismE0ELb0ES3_N6thrust23THRUST_200600_302600_NS6detail15normal_iteratorINS9_10device_ptrIsEEEESE_SE_sNS9_10multipliesIsEENS9_8equal_toIsEEsEE10hipError_tPvRmT2_T3_T4_T5_mT6_T7_P12ihipStream_tbENKUlT_T0_E_clISt17integral_constantIbLb0EESZ_EEDaSU_SV_EUlSU_E_NS1_11comp_targetILNS1_3genE10ELNS1_11target_archE1200ELNS1_3gpuE4ELNS1_3repE0EEENS1_30default_config_static_selectorELNS0_4arch9wavefront6targetE1EEEvT1_
	.globl	_ZN7rocprim17ROCPRIM_400000_NS6detail17trampoline_kernelINS0_14default_configENS1_27scan_by_key_config_selectorIssEEZZNS1_16scan_by_key_implILNS1_25lookback_scan_determinismE0ELb0ES3_N6thrust23THRUST_200600_302600_NS6detail15normal_iteratorINS9_10device_ptrIsEEEESE_SE_sNS9_10multipliesIsEENS9_8equal_toIsEEsEE10hipError_tPvRmT2_T3_T4_T5_mT6_T7_P12ihipStream_tbENKUlT_T0_E_clISt17integral_constantIbLb0EESZ_EEDaSU_SV_EUlSU_E_NS1_11comp_targetILNS1_3genE10ELNS1_11target_archE1200ELNS1_3gpuE4ELNS1_3repE0EEENS1_30default_config_static_selectorELNS0_4arch9wavefront6targetE1EEEvT1_
	.p2align	8
	.type	_ZN7rocprim17ROCPRIM_400000_NS6detail17trampoline_kernelINS0_14default_configENS1_27scan_by_key_config_selectorIssEEZZNS1_16scan_by_key_implILNS1_25lookback_scan_determinismE0ELb0ES3_N6thrust23THRUST_200600_302600_NS6detail15normal_iteratorINS9_10device_ptrIsEEEESE_SE_sNS9_10multipliesIsEENS9_8equal_toIsEEsEE10hipError_tPvRmT2_T3_T4_T5_mT6_T7_P12ihipStream_tbENKUlT_T0_E_clISt17integral_constantIbLb0EESZ_EEDaSU_SV_EUlSU_E_NS1_11comp_targetILNS1_3genE10ELNS1_11target_archE1200ELNS1_3gpuE4ELNS1_3repE0EEENS1_30default_config_static_selectorELNS0_4arch9wavefront6targetE1EEEvT1_,@function
_ZN7rocprim17ROCPRIM_400000_NS6detail17trampoline_kernelINS0_14default_configENS1_27scan_by_key_config_selectorIssEEZZNS1_16scan_by_key_implILNS1_25lookback_scan_determinismE0ELb0ES3_N6thrust23THRUST_200600_302600_NS6detail15normal_iteratorINS9_10device_ptrIsEEEESE_SE_sNS9_10multipliesIsEENS9_8equal_toIsEEsEE10hipError_tPvRmT2_T3_T4_T5_mT6_T7_P12ihipStream_tbENKUlT_T0_E_clISt17integral_constantIbLb0EESZ_EEDaSU_SV_EUlSU_E_NS1_11comp_targetILNS1_3genE10ELNS1_11target_archE1200ELNS1_3gpuE4ELNS1_3repE0EEENS1_30default_config_static_selectorELNS0_4arch9wavefront6targetE1EEEvT1_: ; @_ZN7rocprim17ROCPRIM_400000_NS6detail17trampoline_kernelINS0_14default_configENS1_27scan_by_key_config_selectorIssEEZZNS1_16scan_by_key_implILNS1_25lookback_scan_determinismE0ELb0ES3_N6thrust23THRUST_200600_302600_NS6detail15normal_iteratorINS9_10device_ptrIsEEEESE_SE_sNS9_10multipliesIsEENS9_8equal_toIsEEsEE10hipError_tPvRmT2_T3_T4_T5_mT6_T7_P12ihipStream_tbENKUlT_T0_E_clISt17integral_constantIbLb0EESZ_EEDaSU_SV_EUlSU_E_NS1_11comp_targetILNS1_3genE10ELNS1_11target_archE1200ELNS1_3gpuE4ELNS1_3repE0EEENS1_30default_config_static_selectorELNS0_4arch9wavefront6targetE1EEEvT1_
; %bb.0:
	.section	.rodata,"a",@progbits
	.p2align	6, 0x0
	.amdhsa_kernel _ZN7rocprim17ROCPRIM_400000_NS6detail17trampoline_kernelINS0_14default_configENS1_27scan_by_key_config_selectorIssEEZZNS1_16scan_by_key_implILNS1_25lookback_scan_determinismE0ELb0ES3_N6thrust23THRUST_200600_302600_NS6detail15normal_iteratorINS9_10device_ptrIsEEEESE_SE_sNS9_10multipliesIsEENS9_8equal_toIsEEsEE10hipError_tPvRmT2_T3_T4_T5_mT6_T7_P12ihipStream_tbENKUlT_T0_E_clISt17integral_constantIbLb0EESZ_EEDaSU_SV_EUlSU_E_NS1_11comp_targetILNS1_3genE10ELNS1_11target_archE1200ELNS1_3gpuE4ELNS1_3repE0EEENS1_30default_config_static_selectorELNS0_4arch9wavefront6targetE1EEEvT1_
		.amdhsa_group_segment_fixed_size 0
		.amdhsa_private_segment_fixed_size 0
		.amdhsa_kernarg_size 112
		.amdhsa_user_sgpr_count 6
		.amdhsa_user_sgpr_private_segment_buffer 1
		.amdhsa_user_sgpr_dispatch_ptr 0
		.amdhsa_user_sgpr_queue_ptr 0
		.amdhsa_user_sgpr_kernarg_segment_ptr 1
		.amdhsa_user_sgpr_dispatch_id 0
		.amdhsa_user_sgpr_flat_scratch_init 0
		.amdhsa_user_sgpr_kernarg_preload_length 0
		.amdhsa_user_sgpr_kernarg_preload_offset 0
		.amdhsa_user_sgpr_private_segment_size 0
		.amdhsa_uses_dynamic_stack 0
		.amdhsa_system_sgpr_private_segment_wavefront_offset 0
		.amdhsa_system_sgpr_workgroup_id_x 1
		.amdhsa_system_sgpr_workgroup_id_y 0
		.amdhsa_system_sgpr_workgroup_id_z 0
		.amdhsa_system_sgpr_workgroup_info 0
		.amdhsa_system_vgpr_workitem_id 0
		.amdhsa_next_free_vgpr 1
		.amdhsa_next_free_sgpr 0
		.amdhsa_accum_offset 4
		.amdhsa_reserve_vcc 0
		.amdhsa_reserve_flat_scratch 0
		.amdhsa_float_round_mode_32 0
		.amdhsa_float_round_mode_16_64 0
		.amdhsa_float_denorm_mode_32 3
		.amdhsa_float_denorm_mode_16_64 3
		.amdhsa_dx10_clamp 1
		.amdhsa_ieee_mode 1
		.amdhsa_fp16_overflow 0
		.amdhsa_tg_split 0
		.amdhsa_exception_fp_ieee_invalid_op 0
		.amdhsa_exception_fp_denorm_src 0
		.amdhsa_exception_fp_ieee_div_zero 0
		.amdhsa_exception_fp_ieee_overflow 0
		.amdhsa_exception_fp_ieee_underflow 0
		.amdhsa_exception_fp_ieee_inexact 0
		.amdhsa_exception_int_div_zero 0
	.end_amdhsa_kernel
	.section	.text._ZN7rocprim17ROCPRIM_400000_NS6detail17trampoline_kernelINS0_14default_configENS1_27scan_by_key_config_selectorIssEEZZNS1_16scan_by_key_implILNS1_25lookback_scan_determinismE0ELb0ES3_N6thrust23THRUST_200600_302600_NS6detail15normal_iteratorINS9_10device_ptrIsEEEESE_SE_sNS9_10multipliesIsEENS9_8equal_toIsEEsEE10hipError_tPvRmT2_T3_T4_T5_mT6_T7_P12ihipStream_tbENKUlT_T0_E_clISt17integral_constantIbLb0EESZ_EEDaSU_SV_EUlSU_E_NS1_11comp_targetILNS1_3genE10ELNS1_11target_archE1200ELNS1_3gpuE4ELNS1_3repE0EEENS1_30default_config_static_selectorELNS0_4arch9wavefront6targetE1EEEvT1_,"axG",@progbits,_ZN7rocprim17ROCPRIM_400000_NS6detail17trampoline_kernelINS0_14default_configENS1_27scan_by_key_config_selectorIssEEZZNS1_16scan_by_key_implILNS1_25lookback_scan_determinismE0ELb0ES3_N6thrust23THRUST_200600_302600_NS6detail15normal_iteratorINS9_10device_ptrIsEEEESE_SE_sNS9_10multipliesIsEENS9_8equal_toIsEEsEE10hipError_tPvRmT2_T3_T4_T5_mT6_T7_P12ihipStream_tbENKUlT_T0_E_clISt17integral_constantIbLb0EESZ_EEDaSU_SV_EUlSU_E_NS1_11comp_targetILNS1_3genE10ELNS1_11target_archE1200ELNS1_3gpuE4ELNS1_3repE0EEENS1_30default_config_static_selectorELNS0_4arch9wavefront6targetE1EEEvT1_,comdat
.Lfunc_end287:
	.size	_ZN7rocprim17ROCPRIM_400000_NS6detail17trampoline_kernelINS0_14default_configENS1_27scan_by_key_config_selectorIssEEZZNS1_16scan_by_key_implILNS1_25lookback_scan_determinismE0ELb0ES3_N6thrust23THRUST_200600_302600_NS6detail15normal_iteratorINS9_10device_ptrIsEEEESE_SE_sNS9_10multipliesIsEENS9_8equal_toIsEEsEE10hipError_tPvRmT2_T3_T4_T5_mT6_T7_P12ihipStream_tbENKUlT_T0_E_clISt17integral_constantIbLb0EESZ_EEDaSU_SV_EUlSU_E_NS1_11comp_targetILNS1_3genE10ELNS1_11target_archE1200ELNS1_3gpuE4ELNS1_3repE0EEENS1_30default_config_static_selectorELNS0_4arch9wavefront6targetE1EEEvT1_, .Lfunc_end287-_ZN7rocprim17ROCPRIM_400000_NS6detail17trampoline_kernelINS0_14default_configENS1_27scan_by_key_config_selectorIssEEZZNS1_16scan_by_key_implILNS1_25lookback_scan_determinismE0ELb0ES3_N6thrust23THRUST_200600_302600_NS6detail15normal_iteratorINS9_10device_ptrIsEEEESE_SE_sNS9_10multipliesIsEENS9_8equal_toIsEEsEE10hipError_tPvRmT2_T3_T4_T5_mT6_T7_P12ihipStream_tbENKUlT_T0_E_clISt17integral_constantIbLb0EESZ_EEDaSU_SV_EUlSU_E_NS1_11comp_targetILNS1_3genE10ELNS1_11target_archE1200ELNS1_3gpuE4ELNS1_3repE0EEENS1_30default_config_static_selectorELNS0_4arch9wavefront6targetE1EEEvT1_
                                        ; -- End function
	.section	.AMDGPU.csdata,"",@progbits
; Kernel info:
; codeLenInByte = 0
; NumSgprs: 4
; NumVgprs: 0
; NumAgprs: 0
; TotalNumVgprs: 0
; ScratchSize: 0
; MemoryBound: 0
; FloatMode: 240
; IeeeMode: 1
; LDSByteSize: 0 bytes/workgroup (compile time only)
; SGPRBlocks: 0
; VGPRBlocks: 0
; NumSGPRsForWavesPerEU: 4
; NumVGPRsForWavesPerEU: 1
; AccumOffset: 4
; Occupancy: 8
; WaveLimiterHint : 0
; COMPUTE_PGM_RSRC2:SCRATCH_EN: 0
; COMPUTE_PGM_RSRC2:USER_SGPR: 6
; COMPUTE_PGM_RSRC2:TRAP_HANDLER: 0
; COMPUTE_PGM_RSRC2:TGID_X_EN: 1
; COMPUTE_PGM_RSRC2:TGID_Y_EN: 0
; COMPUTE_PGM_RSRC2:TGID_Z_EN: 0
; COMPUTE_PGM_RSRC2:TIDIG_COMP_CNT: 0
; COMPUTE_PGM_RSRC3_GFX90A:ACCUM_OFFSET: 0
; COMPUTE_PGM_RSRC3_GFX90A:TG_SPLIT: 0
	.section	.text._ZN7rocprim17ROCPRIM_400000_NS6detail17trampoline_kernelINS0_14default_configENS1_27scan_by_key_config_selectorIssEEZZNS1_16scan_by_key_implILNS1_25lookback_scan_determinismE0ELb0ES3_N6thrust23THRUST_200600_302600_NS6detail15normal_iteratorINS9_10device_ptrIsEEEESE_SE_sNS9_10multipliesIsEENS9_8equal_toIsEEsEE10hipError_tPvRmT2_T3_T4_T5_mT6_T7_P12ihipStream_tbENKUlT_T0_E_clISt17integral_constantIbLb0EESZ_EEDaSU_SV_EUlSU_E_NS1_11comp_targetILNS1_3genE9ELNS1_11target_archE1100ELNS1_3gpuE3ELNS1_3repE0EEENS1_30default_config_static_selectorELNS0_4arch9wavefront6targetE1EEEvT1_,"axG",@progbits,_ZN7rocprim17ROCPRIM_400000_NS6detail17trampoline_kernelINS0_14default_configENS1_27scan_by_key_config_selectorIssEEZZNS1_16scan_by_key_implILNS1_25lookback_scan_determinismE0ELb0ES3_N6thrust23THRUST_200600_302600_NS6detail15normal_iteratorINS9_10device_ptrIsEEEESE_SE_sNS9_10multipliesIsEENS9_8equal_toIsEEsEE10hipError_tPvRmT2_T3_T4_T5_mT6_T7_P12ihipStream_tbENKUlT_T0_E_clISt17integral_constantIbLb0EESZ_EEDaSU_SV_EUlSU_E_NS1_11comp_targetILNS1_3genE9ELNS1_11target_archE1100ELNS1_3gpuE3ELNS1_3repE0EEENS1_30default_config_static_selectorELNS0_4arch9wavefront6targetE1EEEvT1_,comdat
	.protected	_ZN7rocprim17ROCPRIM_400000_NS6detail17trampoline_kernelINS0_14default_configENS1_27scan_by_key_config_selectorIssEEZZNS1_16scan_by_key_implILNS1_25lookback_scan_determinismE0ELb0ES3_N6thrust23THRUST_200600_302600_NS6detail15normal_iteratorINS9_10device_ptrIsEEEESE_SE_sNS9_10multipliesIsEENS9_8equal_toIsEEsEE10hipError_tPvRmT2_T3_T4_T5_mT6_T7_P12ihipStream_tbENKUlT_T0_E_clISt17integral_constantIbLb0EESZ_EEDaSU_SV_EUlSU_E_NS1_11comp_targetILNS1_3genE9ELNS1_11target_archE1100ELNS1_3gpuE3ELNS1_3repE0EEENS1_30default_config_static_selectorELNS0_4arch9wavefront6targetE1EEEvT1_ ; -- Begin function _ZN7rocprim17ROCPRIM_400000_NS6detail17trampoline_kernelINS0_14default_configENS1_27scan_by_key_config_selectorIssEEZZNS1_16scan_by_key_implILNS1_25lookback_scan_determinismE0ELb0ES3_N6thrust23THRUST_200600_302600_NS6detail15normal_iteratorINS9_10device_ptrIsEEEESE_SE_sNS9_10multipliesIsEENS9_8equal_toIsEEsEE10hipError_tPvRmT2_T3_T4_T5_mT6_T7_P12ihipStream_tbENKUlT_T0_E_clISt17integral_constantIbLb0EESZ_EEDaSU_SV_EUlSU_E_NS1_11comp_targetILNS1_3genE9ELNS1_11target_archE1100ELNS1_3gpuE3ELNS1_3repE0EEENS1_30default_config_static_selectorELNS0_4arch9wavefront6targetE1EEEvT1_
	.globl	_ZN7rocprim17ROCPRIM_400000_NS6detail17trampoline_kernelINS0_14default_configENS1_27scan_by_key_config_selectorIssEEZZNS1_16scan_by_key_implILNS1_25lookback_scan_determinismE0ELb0ES3_N6thrust23THRUST_200600_302600_NS6detail15normal_iteratorINS9_10device_ptrIsEEEESE_SE_sNS9_10multipliesIsEENS9_8equal_toIsEEsEE10hipError_tPvRmT2_T3_T4_T5_mT6_T7_P12ihipStream_tbENKUlT_T0_E_clISt17integral_constantIbLb0EESZ_EEDaSU_SV_EUlSU_E_NS1_11comp_targetILNS1_3genE9ELNS1_11target_archE1100ELNS1_3gpuE3ELNS1_3repE0EEENS1_30default_config_static_selectorELNS0_4arch9wavefront6targetE1EEEvT1_
	.p2align	8
	.type	_ZN7rocprim17ROCPRIM_400000_NS6detail17trampoline_kernelINS0_14default_configENS1_27scan_by_key_config_selectorIssEEZZNS1_16scan_by_key_implILNS1_25lookback_scan_determinismE0ELb0ES3_N6thrust23THRUST_200600_302600_NS6detail15normal_iteratorINS9_10device_ptrIsEEEESE_SE_sNS9_10multipliesIsEENS9_8equal_toIsEEsEE10hipError_tPvRmT2_T3_T4_T5_mT6_T7_P12ihipStream_tbENKUlT_T0_E_clISt17integral_constantIbLb0EESZ_EEDaSU_SV_EUlSU_E_NS1_11comp_targetILNS1_3genE9ELNS1_11target_archE1100ELNS1_3gpuE3ELNS1_3repE0EEENS1_30default_config_static_selectorELNS0_4arch9wavefront6targetE1EEEvT1_,@function
_ZN7rocprim17ROCPRIM_400000_NS6detail17trampoline_kernelINS0_14default_configENS1_27scan_by_key_config_selectorIssEEZZNS1_16scan_by_key_implILNS1_25lookback_scan_determinismE0ELb0ES3_N6thrust23THRUST_200600_302600_NS6detail15normal_iteratorINS9_10device_ptrIsEEEESE_SE_sNS9_10multipliesIsEENS9_8equal_toIsEEsEE10hipError_tPvRmT2_T3_T4_T5_mT6_T7_P12ihipStream_tbENKUlT_T0_E_clISt17integral_constantIbLb0EESZ_EEDaSU_SV_EUlSU_E_NS1_11comp_targetILNS1_3genE9ELNS1_11target_archE1100ELNS1_3gpuE3ELNS1_3repE0EEENS1_30default_config_static_selectorELNS0_4arch9wavefront6targetE1EEEvT1_: ; @_ZN7rocprim17ROCPRIM_400000_NS6detail17trampoline_kernelINS0_14default_configENS1_27scan_by_key_config_selectorIssEEZZNS1_16scan_by_key_implILNS1_25lookback_scan_determinismE0ELb0ES3_N6thrust23THRUST_200600_302600_NS6detail15normal_iteratorINS9_10device_ptrIsEEEESE_SE_sNS9_10multipliesIsEENS9_8equal_toIsEEsEE10hipError_tPvRmT2_T3_T4_T5_mT6_T7_P12ihipStream_tbENKUlT_T0_E_clISt17integral_constantIbLb0EESZ_EEDaSU_SV_EUlSU_E_NS1_11comp_targetILNS1_3genE9ELNS1_11target_archE1100ELNS1_3gpuE3ELNS1_3repE0EEENS1_30default_config_static_selectorELNS0_4arch9wavefront6targetE1EEEvT1_
; %bb.0:
	.section	.rodata,"a",@progbits
	.p2align	6, 0x0
	.amdhsa_kernel _ZN7rocprim17ROCPRIM_400000_NS6detail17trampoline_kernelINS0_14default_configENS1_27scan_by_key_config_selectorIssEEZZNS1_16scan_by_key_implILNS1_25lookback_scan_determinismE0ELb0ES3_N6thrust23THRUST_200600_302600_NS6detail15normal_iteratorINS9_10device_ptrIsEEEESE_SE_sNS9_10multipliesIsEENS9_8equal_toIsEEsEE10hipError_tPvRmT2_T3_T4_T5_mT6_T7_P12ihipStream_tbENKUlT_T0_E_clISt17integral_constantIbLb0EESZ_EEDaSU_SV_EUlSU_E_NS1_11comp_targetILNS1_3genE9ELNS1_11target_archE1100ELNS1_3gpuE3ELNS1_3repE0EEENS1_30default_config_static_selectorELNS0_4arch9wavefront6targetE1EEEvT1_
		.amdhsa_group_segment_fixed_size 0
		.amdhsa_private_segment_fixed_size 0
		.amdhsa_kernarg_size 112
		.amdhsa_user_sgpr_count 6
		.amdhsa_user_sgpr_private_segment_buffer 1
		.amdhsa_user_sgpr_dispatch_ptr 0
		.amdhsa_user_sgpr_queue_ptr 0
		.amdhsa_user_sgpr_kernarg_segment_ptr 1
		.amdhsa_user_sgpr_dispatch_id 0
		.amdhsa_user_sgpr_flat_scratch_init 0
		.amdhsa_user_sgpr_kernarg_preload_length 0
		.amdhsa_user_sgpr_kernarg_preload_offset 0
		.amdhsa_user_sgpr_private_segment_size 0
		.amdhsa_uses_dynamic_stack 0
		.amdhsa_system_sgpr_private_segment_wavefront_offset 0
		.amdhsa_system_sgpr_workgroup_id_x 1
		.amdhsa_system_sgpr_workgroup_id_y 0
		.amdhsa_system_sgpr_workgroup_id_z 0
		.amdhsa_system_sgpr_workgroup_info 0
		.amdhsa_system_vgpr_workitem_id 0
		.amdhsa_next_free_vgpr 1
		.amdhsa_next_free_sgpr 0
		.amdhsa_accum_offset 4
		.amdhsa_reserve_vcc 0
		.amdhsa_reserve_flat_scratch 0
		.amdhsa_float_round_mode_32 0
		.amdhsa_float_round_mode_16_64 0
		.amdhsa_float_denorm_mode_32 3
		.amdhsa_float_denorm_mode_16_64 3
		.amdhsa_dx10_clamp 1
		.amdhsa_ieee_mode 1
		.amdhsa_fp16_overflow 0
		.amdhsa_tg_split 0
		.amdhsa_exception_fp_ieee_invalid_op 0
		.amdhsa_exception_fp_denorm_src 0
		.amdhsa_exception_fp_ieee_div_zero 0
		.amdhsa_exception_fp_ieee_overflow 0
		.amdhsa_exception_fp_ieee_underflow 0
		.amdhsa_exception_fp_ieee_inexact 0
		.amdhsa_exception_int_div_zero 0
	.end_amdhsa_kernel
	.section	.text._ZN7rocprim17ROCPRIM_400000_NS6detail17trampoline_kernelINS0_14default_configENS1_27scan_by_key_config_selectorIssEEZZNS1_16scan_by_key_implILNS1_25lookback_scan_determinismE0ELb0ES3_N6thrust23THRUST_200600_302600_NS6detail15normal_iteratorINS9_10device_ptrIsEEEESE_SE_sNS9_10multipliesIsEENS9_8equal_toIsEEsEE10hipError_tPvRmT2_T3_T4_T5_mT6_T7_P12ihipStream_tbENKUlT_T0_E_clISt17integral_constantIbLb0EESZ_EEDaSU_SV_EUlSU_E_NS1_11comp_targetILNS1_3genE9ELNS1_11target_archE1100ELNS1_3gpuE3ELNS1_3repE0EEENS1_30default_config_static_selectorELNS0_4arch9wavefront6targetE1EEEvT1_,"axG",@progbits,_ZN7rocprim17ROCPRIM_400000_NS6detail17trampoline_kernelINS0_14default_configENS1_27scan_by_key_config_selectorIssEEZZNS1_16scan_by_key_implILNS1_25lookback_scan_determinismE0ELb0ES3_N6thrust23THRUST_200600_302600_NS6detail15normal_iteratorINS9_10device_ptrIsEEEESE_SE_sNS9_10multipliesIsEENS9_8equal_toIsEEsEE10hipError_tPvRmT2_T3_T4_T5_mT6_T7_P12ihipStream_tbENKUlT_T0_E_clISt17integral_constantIbLb0EESZ_EEDaSU_SV_EUlSU_E_NS1_11comp_targetILNS1_3genE9ELNS1_11target_archE1100ELNS1_3gpuE3ELNS1_3repE0EEENS1_30default_config_static_selectorELNS0_4arch9wavefront6targetE1EEEvT1_,comdat
.Lfunc_end288:
	.size	_ZN7rocprim17ROCPRIM_400000_NS6detail17trampoline_kernelINS0_14default_configENS1_27scan_by_key_config_selectorIssEEZZNS1_16scan_by_key_implILNS1_25lookback_scan_determinismE0ELb0ES3_N6thrust23THRUST_200600_302600_NS6detail15normal_iteratorINS9_10device_ptrIsEEEESE_SE_sNS9_10multipliesIsEENS9_8equal_toIsEEsEE10hipError_tPvRmT2_T3_T4_T5_mT6_T7_P12ihipStream_tbENKUlT_T0_E_clISt17integral_constantIbLb0EESZ_EEDaSU_SV_EUlSU_E_NS1_11comp_targetILNS1_3genE9ELNS1_11target_archE1100ELNS1_3gpuE3ELNS1_3repE0EEENS1_30default_config_static_selectorELNS0_4arch9wavefront6targetE1EEEvT1_, .Lfunc_end288-_ZN7rocprim17ROCPRIM_400000_NS6detail17trampoline_kernelINS0_14default_configENS1_27scan_by_key_config_selectorIssEEZZNS1_16scan_by_key_implILNS1_25lookback_scan_determinismE0ELb0ES3_N6thrust23THRUST_200600_302600_NS6detail15normal_iteratorINS9_10device_ptrIsEEEESE_SE_sNS9_10multipliesIsEENS9_8equal_toIsEEsEE10hipError_tPvRmT2_T3_T4_T5_mT6_T7_P12ihipStream_tbENKUlT_T0_E_clISt17integral_constantIbLb0EESZ_EEDaSU_SV_EUlSU_E_NS1_11comp_targetILNS1_3genE9ELNS1_11target_archE1100ELNS1_3gpuE3ELNS1_3repE0EEENS1_30default_config_static_selectorELNS0_4arch9wavefront6targetE1EEEvT1_
                                        ; -- End function
	.section	.AMDGPU.csdata,"",@progbits
; Kernel info:
; codeLenInByte = 0
; NumSgprs: 4
; NumVgprs: 0
; NumAgprs: 0
; TotalNumVgprs: 0
; ScratchSize: 0
; MemoryBound: 0
; FloatMode: 240
; IeeeMode: 1
; LDSByteSize: 0 bytes/workgroup (compile time only)
; SGPRBlocks: 0
; VGPRBlocks: 0
; NumSGPRsForWavesPerEU: 4
; NumVGPRsForWavesPerEU: 1
; AccumOffset: 4
; Occupancy: 8
; WaveLimiterHint : 0
; COMPUTE_PGM_RSRC2:SCRATCH_EN: 0
; COMPUTE_PGM_RSRC2:USER_SGPR: 6
; COMPUTE_PGM_RSRC2:TRAP_HANDLER: 0
; COMPUTE_PGM_RSRC2:TGID_X_EN: 1
; COMPUTE_PGM_RSRC2:TGID_Y_EN: 0
; COMPUTE_PGM_RSRC2:TGID_Z_EN: 0
; COMPUTE_PGM_RSRC2:TIDIG_COMP_CNT: 0
; COMPUTE_PGM_RSRC3_GFX90A:ACCUM_OFFSET: 0
; COMPUTE_PGM_RSRC3_GFX90A:TG_SPLIT: 0
	.section	.text._ZN7rocprim17ROCPRIM_400000_NS6detail17trampoline_kernelINS0_14default_configENS1_27scan_by_key_config_selectorIssEEZZNS1_16scan_by_key_implILNS1_25lookback_scan_determinismE0ELb0ES3_N6thrust23THRUST_200600_302600_NS6detail15normal_iteratorINS9_10device_ptrIsEEEESE_SE_sNS9_10multipliesIsEENS9_8equal_toIsEEsEE10hipError_tPvRmT2_T3_T4_T5_mT6_T7_P12ihipStream_tbENKUlT_T0_E_clISt17integral_constantIbLb0EESZ_EEDaSU_SV_EUlSU_E_NS1_11comp_targetILNS1_3genE8ELNS1_11target_archE1030ELNS1_3gpuE2ELNS1_3repE0EEENS1_30default_config_static_selectorELNS0_4arch9wavefront6targetE1EEEvT1_,"axG",@progbits,_ZN7rocprim17ROCPRIM_400000_NS6detail17trampoline_kernelINS0_14default_configENS1_27scan_by_key_config_selectorIssEEZZNS1_16scan_by_key_implILNS1_25lookback_scan_determinismE0ELb0ES3_N6thrust23THRUST_200600_302600_NS6detail15normal_iteratorINS9_10device_ptrIsEEEESE_SE_sNS9_10multipliesIsEENS9_8equal_toIsEEsEE10hipError_tPvRmT2_T3_T4_T5_mT6_T7_P12ihipStream_tbENKUlT_T0_E_clISt17integral_constantIbLb0EESZ_EEDaSU_SV_EUlSU_E_NS1_11comp_targetILNS1_3genE8ELNS1_11target_archE1030ELNS1_3gpuE2ELNS1_3repE0EEENS1_30default_config_static_selectorELNS0_4arch9wavefront6targetE1EEEvT1_,comdat
	.protected	_ZN7rocprim17ROCPRIM_400000_NS6detail17trampoline_kernelINS0_14default_configENS1_27scan_by_key_config_selectorIssEEZZNS1_16scan_by_key_implILNS1_25lookback_scan_determinismE0ELb0ES3_N6thrust23THRUST_200600_302600_NS6detail15normal_iteratorINS9_10device_ptrIsEEEESE_SE_sNS9_10multipliesIsEENS9_8equal_toIsEEsEE10hipError_tPvRmT2_T3_T4_T5_mT6_T7_P12ihipStream_tbENKUlT_T0_E_clISt17integral_constantIbLb0EESZ_EEDaSU_SV_EUlSU_E_NS1_11comp_targetILNS1_3genE8ELNS1_11target_archE1030ELNS1_3gpuE2ELNS1_3repE0EEENS1_30default_config_static_selectorELNS0_4arch9wavefront6targetE1EEEvT1_ ; -- Begin function _ZN7rocprim17ROCPRIM_400000_NS6detail17trampoline_kernelINS0_14default_configENS1_27scan_by_key_config_selectorIssEEZZNS1_16scan_by_key_implILNS1_25lookback_scan_determinismE0ELb0ES3_N6thrust23THRUST_200600_302600_NS6detail15normal_iteratorINS9_10device_ptrIsEEEESE_SE_sNS9_10multipliesIsEENS9_8equal_toIsEEsEE10hipError_tPvRmT2_T3_T4_T5_mT6_T7_P12ihipStream_tbENKUlT_T0_E_clISt17integral_constantIbLb0EESZ_EEDaSU_SV_EUlSU_E_NS1_11comp_targetILNS1_3genE8ELNS1_11target_archE1030ELNS1_3gpuE2ELNS1_3repE0EEENS1_30default_config_static_selectorELNS0_4arch9wavefront6targetE1EEEvT1_
	.globl	_ZN7rocprim17ROCPRIM_400000_NS6detail17trampoline_kernelINS0_14default_configENS1_27scan_by_key_config_selectorIssEEZZNS1_16scan_by_key_implILNS1_25lookback_scan_determinismE0ELb0ES3_N6thrust23THRUST_200600_302600_NS6detail15normal_iteratorINS9_10device_ptrIsEEEESE_SE_sNS9_10multipliesIsEENS9_8equal_toIsEEsEE10hipError_tPvRmT2_T3_T4_T5_mT6_T7_P12ihipStream_tbENKUlT_T0_E_clISt17integral_constantIbLb0EESZ_EEDaSU_SV_EUlSU_E_NS1_11comp_targetILNS1_3genE8ELNS1_11target_archE1030ELNS1_3gpuE2ELNS1_3repE0EEENS1_30default_config_static_selectorELNS0_4arch9wavefront6targetE1EEEvT1_
	.p2align	8
	.type	_ZN7rocprim17ROCPRIM_400000_NS6detail17trampoline_kernelINS0_14default_configENS1_27scan_by_key_config_selectorIssEEZZNS1_16scan_by_key_implILNS1_25lookback_scan_determinismE0ELb0ES3_N6thrust23THRUST_200600_302600_NS6detail15normal_iteratorINS9_10device_ptrIsEEEESE_SE_sNS9_10multipliesIsEENS9_8equal_toIsEEsEE10hipError_tPvRmT2_T3_T4_T5_mT6_T7_P12ihipStream_tbENKUlT_T0_E_clISt17integral_constantIbLb0EESZ_EEDaSU_SV_EUlSU_E_NS1_11comp_targetILNS1_3genE8ELNS1_11target_archE1030ELNS1_3gpuE2ELNS1_3repE0EEENS1_30default_config_static_selectorELNS0_4arch9wavefront6targetE1EEEvT1_,@function
_ZN7rocprim17ROCPRIM_400000_NS6detail17trampoline_kernelINS0_14default_configENS1_27scan_by_key_config_selectorIssEEZZNS1_16scan_by_key_implILNS1_25lookback_scan_determinismE0ELb0ES3_N6thrust23THRUST_200600_302600_NS6detail15normal_iteratorINS9_10device_ptrIsEEEESE_SE_sNS9_10multipliesIsEENS9_8equal_toIsEEsEE10hipError_tPvRmT2_T3_T4_T5_mT6_T7_P12ihipStream_tbENKUlT_T0_E_clISt17integral_constantIbLb0EESZ_EEDaSU_SV_EUlSU_E_NS1_11comp_targetILNS1_3genE8ELNS1_11target_archE1030ELNS1_3gpuE2ELNS1_3repE0EEENS1_30default_config_static_selectorELNS0_4arch9wavefront6targetE1EEEvT1_: ; @_ZN7rocprim17ROCPRIM_400000_NS6detail17trampoline_kernelINS0_14default_configENS1_27scan_by_key_config_selectorIssEEZZNS1_16scan_by_key_implILNS1_25lookback_scan_determinismE0ELb0ES3_N6thrust23THRUST_200600_302600_NS6detail15normal_iteratorINS9_10device_ptrIsEEEESE_SE_sNS9_10multipliesIsEENS9_8equal_toIsEEsEE10hipError_tPvRmT2_T3_T4_T5_mT6_T7_P12ihipStream_tbENKUlT_T0_E_clISt17integral_constantIbLb0EESZ_EEDaSU_SV_EUlSU_E_NS1_11comp_targetILNS1_3genE8ELNS1_11target_archE1030ELNS1_3gpuE2ELNS1_3repE0EEENS1_30default_config_static_selectorELNS0_4arch9wavefront6targetE1EEEvT1_
; %bb.0:
	.section	.rodata,"a",@progbits
	.p2align	6, 0x0
	.amdhsa_kernel _ZN7rocprim17ROCPRIM_400000_NS6detail17trampoline_kernelINS0_14default_configENS1_27scan_by_key_config_selectorIssEEZZNS1_16scan_by_key_implILNS1_25lookback_scan_determinismE0ELb0ES3_N6thrust23THRUST_200600_302600_NS6detail15normal_iteratorINS9_10device_ptrIsEEEESE_SE_sNS9_10multipliesIsEENS9_8equal_toIsEEsEE10hipError_tPvRmT2_T3_T4_T5_mT6_T7_P12ihipStream_tbENKUlT_T0_E_clISt17integral_constantIbLb0EESZ_EEDaSU_SV_EUlSU_E_NS1_11comp_targetILNS1_3genE8ELNS1_11target_archE1030ELNS1_3gpuE2ELNS1_3repE0EEENS1_30default_config_static_selectorELNS0_4arch9wavefront6targetE1EEEvT1_
		.amdhsa_group_segment_fixed_size 0
		.amdhsa_private_segment_fixed_size 0
		.amdhsa_kernarg_size 112
		.amdhsa_user_sgpr_count 6
		.amdhsa_user_sgpr_private_segment_buffer 1
		.amdhsa_user_sgpr_dispatch_ptr 0
		.amdhsa_user_sgpr_queue_ptr 0
		.amdhsa_user_sgpr_kernarg_segment_ptr 1
		.amdhsa_user_sgpr_dispatch_id 0
		.amdhsa_user_sgpr_flat_scratch_init 0
		.amdhsa_user_sgpr_kernarg_preload_length 0
		.amdhsa_user_sgpr_kernarg_preload_offset 0
		.amdhsa_user_sgpr_private_segment_size 0
		.amdhsa_uses_dynamic_stack 0
		.amdhsa_system_sgpr_private_segment_wavefront_offset 0
		.amdhsa_system_sgpr_workgroup_id_x 1
		.amdhsa_system_sgpr_workgroup_id_y 0
		.amdhsa_system_sgpr_workgroup_id_z 0
		.amdhsa_system_sgpr_workgroup_info 0
		.amdhsa_system_vgpr_workitem_id 0
		.amdhsa_next_free_vgpr 1
		.amdhsa_next_free_sgpr 0
		.amdhsa_accum_offset 4
		.amdhsa_reserve_vcc 0
		.amdhsa_reserve_flat_scratch 0
		.amdhsa_float_round_mode_32 0
		.amdhsa_float_round_mode_16_64 0
		.amdhsa_float_denorm_mode_32 3
		.amdhsa_float_denorm_mode_16_64 3
		.amdhsa_dx10_clamp 1
		.amdhsa_ieee_mode 1
		.amdhsa_fp16_overflow 0
		.amdhsa_tg_split 0
		.amdhsa_exception_fp_ieee_invalid_op 0
		.amdhsa_exception_fp_denorm_src 0
		.amdhsa_exception_fp_ieee_div_zero 0
		.amdhsa_exception_fp_ieee_overflow 0
		.amdhsa_exception_fp_ieee_underflow 0
		.amdhsa_exception_fp_ieee_inexact 0
		.amdhsa_exception_int_div_zero 0
	.end_amdhsa_kernel
	.section	.text._ZN7rocprim17ROCPRIM_400000_NS6detail17trampoline_kernelINS0_14default_configENS1_27scan_by_key_config_selectorIssEEZZNS1_16scan_by_key_implILNS1_25lookback_scan_determinismE0ELb0ES3_N6thrust23THRUST_200600_302600_NS6detail15normal_iteratorINS9_10device_ptrIsEEEESE_SE_sNS9_10multipliesIsEENS9_8equal_toIsEEsEE10hipError_tPvRmT2_T3_T4_T5_mT6_T7_P12ihipStream_tbENKUlT_T0_E_clISt17integral_constantIbLb0EESZ_EEDaSU_SV_EUlSU_E_NS1_11comp_targetILNS1_3genE8ELNS1_11target_archE1030ELNS1_3gpuE2ELNS1_3repE0EEENS1_30default_config_static_selectorELNS0_4arch9wavefront6targetE1EEEvT1_,"axG",@progbits,_ZN7rocprim17ROCPRIM_400000_NS6detail17trampoline_kernelINS0_14default_configENS1_27scan_by_key_config_selectorIssEEZZNS1_16scan_by_key_implILNS1_25lookback_scan_determinismE0ELb0ES3_N6thrust23THRUST_200600_302600_NS6detail15normal_iteratorINS9_10device_ptrIsEEEESE_SE_sNS9_10multipliesIsEENS9_8equal_toIsEEsEE10hipError_tPvRmT2_T3_T4_T5_mT6_T7_P12ihipStream_tbENKUlT_T0_E_clISt17integral_constantIbLb0EESZ_EEDaSU_SV_EUlSU_E_NS1_11comp_targetILNS1_3genE8ELNS1_11target_archE1030ELNS1_3gpuE2ELNS1_3repE0EEENS1_30default_config_static_selectorELNS0_4arch9wavefront6targetE1EEEvT1_,comdat
.Lfunc_end289:
	.size	_ZN7rocprim17ROCPRIM_400000_NS6detail17trampoline_kernelINS0_14default_configENS1_27scan_by_key_config_selectorIssEEZZNS1_16scan_by_key_implILNS1_25lookback_scan_determinismE0ELb0ES3_N6thrust23THRUST_200600_302600_NS6detail15normal_iteratorINS9_10device_ptrIsEEEESE_SE_sNS9_10multipliesIsEENS9_8equal_toIsEEsEE10hipError_tPvRmT2_T3_T4_T5_mT6_T7_P12ihipStream_tbENKUlT_T0_E_clISt17integral_constantIbLb0EESZ_EEDaSU_SV_EUlSU_E_NS1_11comp_targetILNS1_3genE8ELNS1_11target_archE1030ELNS1_3gpuE2ELNS1_3repE0EEENS1_30default_config_static_selectorELNS0_4arch9wavefront6targetE1EEEvT1_, .Lfunc_end289-_ZN7rocprim17ROCPRIM_400000_NS6detail17trampoline_kernelINS0_14default_configENS1_27scan_by_key_config_selectorIssEEZZNS1_16scan_by_key_implILNS1_25lookback_scan_determinismE0ELb0ES3_N6thrust23THRUST_200600_302600_NS6detail15normal_iteratorINS9_10device_ptrIsEEEESE_SE_sNS9_10multipliesIsEENS9_8equal_toIsEEsEE10hipError_tPvRmT2_T3_T4_T5_mT6_T7_P12ihipStream_tbENKUlT_T0_E_clISt17integral_constantIbLb0EESZ_EEDaSU_SV_EUlSU_E_NS1_11comp_targetILNS1_3genE8ELNS1_11target_archE1030ELNS1_3gpuE2ELNS1_3repE0EEENS1_30default_config_static_selectorELNS0_4arch9wavefront6targetE1EEEvT1_
                                        ; -- End function
	.section	.AMDGPU.csdata,"",@progbits
; Kernel info:
; codeLenInByte = 0
; NumSgprs: 4
; NumVgprs: 0
; NumAgprs: 0
; TotalNumVgprs: 0
; ScratchSize: 0
; MemoryBound: 0
; FloatMode: 240
; IeeeMode: 1
; LDSByteSize: 0 bytes/workgroup (compile time only)
; SGPRBlocks: 0
; VGPRBlocks: 0
; NumSGPRsForWavesPerEU: 4
; NumVGPRsForWavesPerEU: 1
; AccumOffset: 4
; Occupancy: 8
; WaveLimiterHint : 0
; COMPUTE_PGM_RSRC2:SCRATCH_EN: 0
; COMPUTE_PGM_RSRC2:USER_SGPR: 6
; COMPUTE_PGM_RSRC2:TRAP_HANDLER: 0
; COMPUTE_PGM_RSRC2:TGID_X_EN: 1
; COMPUTE_PGM_RSRC2:TGID_Y_EN: 0
; COMPUTE_PGM_RSRC2:TGID_Z_EN: 0
; COMPUTE_PGM_RSRC2:TIDIG_COMP_CNT: 0
; COMPUTE_PGM_RSRC3_GFX90A:ACCUM_OFFSET: 0
; COMPUTE_PGM_RSRC3_GFX90A:TG_SPLIT: 0
	.section	.text._ZN7rocprim17ROCPRIM_400000_NS6detail17trampoline_kernelINS0_14default_configENS1_27scan_by_key_config_selectorIssEEZZNS1_16scan_by_key_implILNS1_25lookback_scan_determinismE0ELb0ES3_N6thrust23THRUST_200600_302600_NS6detail15normal_iteratorINS9_10device_ptrIsEEEESE_SE_sNS9_10multipliesIsEENS9_8equal_toIsEEsEE10hipError_tPvRmT2_T3_T4_T5_mT6_T7_P12ihipStream_tbENKUlT_T0_E_clISt17integral_constantIbLb1EESZ_EEDaSU_SV_EUlSU_E_NS1_11comp_targetILNS1_3genE0ELNS1_11target_archE4294967295ELNS1_3gpuE0ELNS1_3repE0EEENS1_30default_config_static_selectorELNS0_4arch9wavefront6targetE1EEEvT1_,"axG",@progbits,_ZN7rocprim17ROCPRIM_400000_NS6detail17trampoline_kernelINS0_14default_configENS1_27scan_by_key_config_selectorIssEEZZNS1_16scan_by_key_implILNS1_25lookback_scan_determinismE0ELb0ES3_N6thrust23THRUST_200600_302600_NS6detail15normal_iteratorINS9_10device_ptrIsEEEESE_SE_sNS9_10multipliesIsEENS9_8equal_toIsEEsEE10hipError_tPvRmT2_T3_T4_T5_mT6_T7_P12ihipStream_tbENKUlT_T0_E_clISt17integral_constantIbLb1EESZ_EEDaSU_SV_EUlSU_E_NS1_11comp_targetILNS1_3genE0ELNS1_11target_archE4294967295ELNS1_3gpuE0ELNS1_3repE0EEENS1_30default_config_static_selectorELNS0_4arch9wavefront6targetE1EEEvT1_,comdat
	.protected	_ZN7rocprim17ROCPRIM_400000_NS6detail17trampoline_kernelINS0_14default_configENS1_27scan_by_key_config_selectorIssEEZZNS1_16scan_by_key_implILNS1_25lookback_scan_determinismE0ELb0ES3_N6thrust23THRUST_200600_302600_NS6detail15normal_iteratorINS9_10device_ptrIsEEEESE_SE_sNS9_10multipliesIsEENS9_8equal_toIsEEsEE10hipError_tPvRmT2_T3_T4_T5_mT6_T7_P12ihipStream_tbENKUlT_T0_E_clISt17integral_constantIbLb1EESZ_EEDaSU_SV_EUlSU_E_NS1_11comp_targetILNS1_3genE0ELNS1_11target_archE4294967295ELNS1_3gpuE0ELNS1_3repE0EEENS1_30default_config_static_selectorELNS0_4arch9wavefront6targetE1EEEvT1_ ; -- Begin function _ZN7rocprim17ROCPRIM_400000_NS6detail17trampoline_kernelINS0_14default_configENS1_27scan_by_key_config_selectorIssEEZZNS1_16scan_by_key_implILNS1_25lookback_scan_determinismE0ELb0ES3_N6thrust23THRUST_200600_302600_NS6detail15normal_iteratorINS9_10device_ptrIsEEEESE_SE_sNS9_10multipliesIsEENS9_8equal_toIsEEsEE10hipError_tPvRmT2_T3_T4_T5_mT6_T7_P12ihipStream_tbENKUlT_T0_E_clISt17integral_constantIbLb1EESZ_EEDaSU_SV_EUlSU_E_NS1_11comp_targetILNS1_3genE0ELNS1_11target_archE4294967295ELNS1_3gpuE0ELNS1_3repE0EEENS1_30default_config_static_selectorELNS0_4arch9wavefront6targetE1EEEvT1_
	.globl	_ZN7rocprim17ROCPRIM_400000_NS6detail17trampoline_kernelINS0_14default_configENS1_27scan_by_key_config_selectorIssEEZZNS1_16scan_by_key_implILNS1_25lookback_scan_determinismE0ELb0ES3_N6thrust23THRUST_200600_302600_NS6detail15normal_iteratorINS9_10device_ptrIsEEEESE_SE_sNS9_10multipliesIsEENS9_8equal_toIsEEsEE10hipError_tPvRmT2_T3_T4_T5_mT6_T7_P12ihipStream_tbENKUlT_T0_E_clISt17integral_constantIbLb1EESZ_EEDaSU_SV_EUlSU_E_NS1_11comp_targetILNS1_3genE0ELNS1_11target_archE4294967295ELNS1_3gpuE0ELNS1_3repE0EEENS1_30default_config_static_selectorELNS0_4arch9wavefront6targetE1EEEvT1_
	.p2align	8
	.type	_ZN7rocprim17ROCPRIM_400000_NS6detail17trampoline_kernelINS0_14default_configENS1_27scan_by_key_config_selectorIssEEZZNS1_16scan_by_key_implILNS1_25lookback_scan_determinismE0ELb0ES3_N6thrust23THRUST_200600_302600_NS6detail15normal_iteratorINS9_10device_ptrIsEEEESE_SE_sNS9_10multipliesIsEENS9_8equal_toIsEEsEE10hipError_tPvRmT2_T3_T4_T5_mT6_T7_P12ihipStream_tbENKUlT_T0_E_clISt17integral_constantIbLb1EESZ_EEDaSU_SV_EUlSU_E_NS1_11comp_targetILNS1_3genE0ELNS1_11target_archE4294967295ELNS1_3gpuE0ELNS1_3repE0EEENS1_30default_config_static_selectorELNS0_4arch9wavefront6targetE1EEEvT1_,@function
_ZN7rocprim17ROCPRIM_400000_NS6detail17trampoline_kernelINS0_14default_configENS1_27scan_by_key_config_selectorIssEEZZNS1_16scan_by_key_implILNS1_25lookback_scan_determinismE0ELb0ES3_N6thrust23THRUST_200600_302600_NS6detail15normal_iteratorINS9_10device_ptrIsEEEESE_SE_sNS9_10multipliesIsEENS9_8equal_toIsEEsEE10hipError_tPvRmT2_T3_T4_T5_mT6_T7_P12ihipStream_tbENKUlT_T0_E_clISt17integral_constantIbLb1EESZ_EEDaSU_SV_EUlSU_E_NS1_11comp_targetILNS1_3genE0ELNS1_11target_archE4294967295ELNS1_3gpuE0ELNS1_3repE0EEENS1_30default_config_static_selectorELNS0_4arch9wavefront6targetE1EEEvT1_: ; @_ZN7rocprim17ROCPRIM_400000_NS6detail17trampoline_kernelINS0_14default_configENS1_27scan_by_key_config_selectorIssEEZZNS1_16scan_by_key_implILNS1_25lookback_scan_determinismE0ELb0ES3_N6thrust23THRUST_200600_302600_NS6detail15normal_iteratorINS9_10device_ptrIsEEEESE_SE_sNS9_10multipliesIsEENS9_8equal_toIsEEsEE10hipError_tPvRmT2_T3_T4_T5_mT6_T7_P12ihipStream_tbENKUlT_T0_E_clISt17integral_constantIbLb1EESZ_EEDaSU_SV_EUlSU_E_NS1_11comp_targetILNS1_3genE0ELNS1_11target_archE4294967295ELNS1_3gpuE0ELNS1_3repE0EEENS1_30default_config_static_selectorELNS0_4arch9wavefront6targetE1EEEvT1_
; %bb.0:
	.section	.rodata,"a",@progbits
	.p2align	6, 0x0
	.amdhsa_kernel _ZN7rocprim17ROCPRIM_400000_NS6detail17trampoline_kernelINS0_14default_configENS1_27scan_by_key_config_selectorIssEEZZNS1_16scan_by_key_implILNS1_25lookback_scan_determinismE0ELb0ES3_N6thrust23THRUST_200600_302600_NS6detail15normal_iteratorINS9_10device_ptrIsEEEESE_SE_sNS9_10multipliesIsEENS9_8equal_toIsEEsEE10hipError_tPvRmT2_T3_T4_T5_mT6_T7_P12ihipStream_tbENKUlT_T0_E_clISt17integral_constantIbLb1EESZ_EEDaSU_SV_EUlSU_E_NS1_11comp_targetILNS1_3genE0ELNS1_11target_archE4294967295ELNS1_3gpuE0ELNS1_3repE0EEENS1_30default_config_static_selectorELNS0_4arch9wavefront6targetE1EEEvT1_
		.amdhsa_group_segment_fixed_size 0
		.amdhsa_private_segment_fixed_size 0
		.amdhsa_kernarg_size 112
		.amdhsa_user_sgpr_count 6
		.amdhsa_user_sgpr_private_segment_buffer 1
		.amdhsa_user_sgpr_dispatch_ptr 0
		.amdhsa_user_sgpr_queue_ptr 0
		.amdhsa_user_sgpr_kernarg_segment_ptr 1
		.amdhsa_user_sgpr_dispatch_id 0
		.amdhsa_user_sgpr_flat_scratch_init 0
		.amdhsa_user_sgpr_kernarg_preload_length 0
		.amdhsa_user_sgpr_kernarg_preload_offset 0
		.amdhsa_user_sgpr_private_segment_size 0
		.amdhsa_uses_dynamic_stack 0
		.amdhsa_system_sgpr_private_segment_wavefront_offset 0
		.amdhsa_system_sgpr_workgroup_id_x 1
		.amdhsa_system_sgpr_workgroup_id_y 0
		.amdhsa_system_sgpr_workgroup_id_z 0
		.amdhsa_system_sgpr_workgroup_info 0
		.amdhsa_system_vgpr_workitem_id 0
		.amdhsa_next_free_vgpr 1
		.amdhsa_next_free_sgpr 0
		.amdhsa_accum_offset 4
		.amdhsa_reserve_vcc 0
		.amdhsa_reserve_flat_scratch 0
		.amdhsa_float_round_mode_32 0
		.amdhsa_float_round_mode_16_64 0
		.amdhsa_float_denorm_mode_32 3
		.amdhsa_float_denorm_mode_16_64 3
		.amdhsa_dx10_clamp 1
		.amdhsa_ieee_mode 1
		.amdhsa_fp16_overflow 0
		.amdhsa_tg_split 0
		.amdhsa_exception_fp_ieee_invalid_op 0
		.amdhsa_exception_fp_denorm_src 0
		.amdhsa_exception_fp_ieee_div_zero 0
		.amdhsa_exception_fp_ieee_overflow 0
		.amdhsa_exception_fp_ieee_underflow 0
		.amdhsa_exception_fp_ieee_inexact 0
		.amdhsa_exception_int_div_zero 0
	.end_amdhsa_kernel
	.section	.text._ZN7rocprim17ROCPRIM_400000_NS6detail17trampoline_kernelINS0_14default_configENS1_27scan_by_key_config_selectorIssEEZZNS1_16scan_by_key_implILNS1_25lookback_scan_determinismE0ELb0ES3_N6thrust23THRUST_200600_302600_NS6detail15normal_iteratorINS9_10device_ptrIsEEEESE_SE_sNS9_10multipliesIsEENS9_8equal_toIsEEsEE10hipError_tPvRmT2_T3_T4_T5_mT6_T7_P12ihipStream_tbENKUlT_T0_E_clISt17integral_constantIbLb1EESZ_EEDaSU_SV_EUlSU_E_NS1_11comp_targetILNS1_3genE0ELNS1_11target_archE4294967295ELNS1_3gpuE0ELNS1_3repE0EEENS1_30default_config_static_selectorELNS0_4arch9wavefront6targetE1EEEvT1_,"axG",@progbits,_ZN7rocprim17ROCPRIM_400000_NS6detail17trampoline_kernelINS0_14default_configENS1_27scan_by_key_config_selectorIssEEZZNS1_16scan_by_key_implILNS1_25lookback_scan_determinismE0ELb0ES3_N6thrust23THRUST_200600_302600_NS6detail15normal_iteratorINS9_10device_ptrIsEEEESE_SE_sNS9_10multipliesIsEENS9_8equal_toIsEEsEE10hipError_tPvRmT2_T3_T4_T5_mT6_T7_P12ihipStream_tbENKUlT_T0_E_clISt17integral_constantIbLb1EESZ_EEDaSU_SV_EUlSU_E_NS1_11comp_targetILNS1_3genE0ELNS1_11target_archE4294967295ELNS1_3gpuE0ELNS1_3repE0EEENS1_30default_config_static_selectorELNS0_4arch9wavefront6targetE1EEEvT1_,comdat
.Lfunc_end290:
	.size	_ZN7rocprim17ROCPRIM_400000_NS6detail17trampoline_kernelINS0_14default_configENS1_27scan_by_key_config_selectorIssEEZZNS1_16scan_by_key_implILNS1_25lookback_scan_determinismE0ELb0ES3_N6thrust23THRUST_200600_302600_NS6detail15normal_iteratorINS9_10device_ptrIsEEEESE_SE_sNS9_10multipliesIsEENS9_8equal_toIsEEsEE10hipError_tPvRmT2_T3_T4_T5_mT6_T7_P12ihipStream_tbENKUlT_T0_E_clISt17integral_constantIbLb1EESZ_EEDaSU_SV_EUlSU_E_NS1_11comp_targetILNS1_3genE0ELNS1_11target_archE4294967295ELNS1_3gpuE0ELNS1_3repE0EEENS1_30default_config_static_selectorELNS0_4arch9wavefront6targetE1EEEvT1_, .Lfunc_end290-_ZN7rocprim17ROCPRIM_400000_NS6detail17trampoline_kernelINS0_14default_configENS1_27scan_by_key_config_selectorIssEEZZNS1_16scan_by_key_implILNS1_25lookback_scan_determinismE0ELb0ES3_N6thrust23THRUST_200600_302600_NS6detail15normal_iteratorINS9_10device_ptrIsEEEESE_SE_sNS9_10multipliesIsEENS9_8equal_toIsEEsEE10hipError_tPvRmT2_T3_T4_T5_mT6_T7_P12ihipStream_tbENKUlT_T0_E_clISt17integral_constantIbLb1EESZ_EEDaSU_SV_EUlSU_E_NS1_11comp_targetILNS1_3genE0ELNS1_11target_archE4294967295ELNS1_3gpuE0ELNS1_3repE0EEENS1_30default_config_static_selectorELNS0_4arch9wavefront6targetE1EEEvT1_
                                        ; -- End function
	.section	.AMDGPU.csdata,"",@progbits
; Kernel info:
; codeLenInByte = 0
; NumSgprs: 4
; NumVgprs: 0
; NumAgprs: 0
; TotalNumVgprs: 0
; ScratchSize: 0
; MemoryBound: 0
; FloatMode: 240
; IeeeMode: 1
; LDSByteSize: 0 bytes/workgroup (compile time only)
; SGPRBlocks: 0
; VGPRBlocks: 0
; NumSGPRsForWavesPerEU: 4
; NumVGPRsForWavesPerEU: 1
; AccumOffset: 4
; Occupancy: 8
; WaveLimiterHint : 0
; COMPUTE_PGM_RSRC2:SCRATCH_EN: 0
; COMPUTE_PGM_RSRC2:USER_SGPR: 6
; COMPUTE_PGM_RSRC2:TRAP_HANDLER: 0
; COMPUTE_PGM_RSRC2:TGID_X_EN: 1
; COMPUTE_PGM_RSRC2:TGID_Y_EN: 0
; COMPUTE_PGM_RSRC2:TGID_Z_EN: 0
; COMPUTE_PGM_RSRC2:TIDIG_COMP_CNT: 0
; COMPUTE_PGM_RSRC3_GFX90A:ACCUM_OFFSET: 0
; COMPUTE_PGM_RSRC3_GFX90A:TG_SPLIT: 0
	.section	.text._ZN7rocprim17ROCPRIM_400000_NS6detail17trampoline_kernelINS0_14default_configENS1_27scan_by_key_config_selectorIssEEZZNS1_16scan_by_key_implILNS1_25lookback_scan_determinismE0ELb0ES3_N6thrust23THRUST_200600_302600_NS6detail15normal_iteratorINS9_10device_ptrIsEEEESE_SE_sNS9_10multipliesIsEENS9_8equal_toIsEEsEE10hipError_tPvRmT2_T3_T4_T5_mT6_T7_P12ihipStream_tbENKUlT_T0_E_clISt17integral_constantIbLb1EESZ_EEDaSU_SV_EUlSU_E_NS1_11comp_targetILNS1_3genE10ELNS1_11target_archE1201ELNS1_3gpuE5ELNS1_3repE0EEENS1_30default_config_static_selectorELNS0_4arch9wavefront6targetE1EEEvT1_,"axG",@progbits,_ZN7rocprim17ROCPRIM_400000_NS6detail17trampoline_kernelINS0_14default_configENS1_27scan_by_key_config_selectorIssEEZZNS1_16scan_by_key_implILNS1_25lookback_scan_determinismE0ELb0ES3_N6thrust23THRUST_200600_302600_NS6detail15normal_iteratorINS9_10device_ptrIsEEEESE_SE_sNS9_10multipliesIsEENS9_8equal_toIsEEsEE10hipError_tPvRmT2_T3_T4_T5_mT6_T7_P12ihipStream_tbENKUlT_T0_E_clISt17integral_constantIbLb1EESZ_EEDaSU_SV_EUlSU_E_NS1_11comp_targetILNS1_3genE10ELNS1_11target_archE1201ELNS1_3gpuE5ELNS1_3repE0EEENS1_30default_config_static_selectorELNS0_4arch9wavefront6targetE1EEEvT1_,comdat
	.protected	_ZN7rocprim17ROCPRIM_400000_NS6detail17trampoline_kernelINS0_14default_configENS1_27scan_by_key_config_selectorIssEEZZNS1_16scan_by_key_implILNS1_25lookback_scan_determinismE0ELb0ES3_N6thrust23THRUST_200600_302600_NS6detail15normal_iteratorINS9_10device_ptrIsEEEESE_SE_sNS9_10multipliesIsEENS9_8equal_toIsEEsEE10hipError_tPvRmT2_T3_T4_T5_mT6_T7_P12ihipStream_tbENKUlT_T0_E_clISt17integral_constantIbLb1EESZ_EEDaSU_SV_EUlSU_E_NS1_11comp_targetILNS1_3genE10ELNS1_11target_archE1201ELNS1_3gpuE5ELNS1_3repE0EEENS1_30default_config_static_selectorELNS0_4arch9wavefront6targetE1EEEvT1_ ; -- Begin function _ZN7rocprim17ROCPRIM_400000_NS6detail17trampoline_kernelINS0_14default_configENS1_27scan_by_key_config_selectorIssEEZZNS1_16scan_by_key_implILNS1_25lookback_scan_determinismE0ELb0ES3_N6thrust23THRUST_200600_302600_NS6detail15normal_iteratorINS9_10device_ptrIsEEEESE_SE_sNS9_10multipliesIsEENS9_8equal_toIsEEsEE10hipError_tPvRmT2_T3_T4_T5_mT6_T7_P12ihipStream_tbENKUlT_T0_E_clISt17integral_constantIbLb1EESZ_EEDaSU_SV_EUlSU_E_NS1_11comp_targetILNS1_3genE10ELNS1_11target_archE1201ELNS1_3gpuE5ELNS1_3repE0EEENS1_30default_config_static_selectorELNS0_4arch9wavefront6targetE1EEEvT1_
	.globl	_ZN7rocprim17ROCPRIM_400000_NS6detail17trampoline_kernelINS0_14default_configENS1_27scan_by_key_config_selectorIssEEZZNS1_16scan_by_key_implILNS1_25lookback_scan_determinismE0ELb0ES3_N6thrust23THRUST_200600_302600_NS6detail15normal_iteratorINS9_10device_ptrIsEEEESE_SE_sNS9_10multipliesIsEENS9_8equal_toIsEEsEE10hipError_tPvRmT2_T3_T4_T5_mT6_T7_P12ihipStream_tbENKUlT_T0_E_clISt17integral_constantIbLb1EESZ_EEDaSU_SV_EUlSU_E_NS1_11comp_targetILNS1_3genE10ELNS1_11target_archE1201ELNS1_3gpuE5ELNS1_3repE0EEENS1_30default_config_static_selectorELNS0_4arch9wavefront6targetE1EEEvT1_
	.p2align	8
	.type	_ZN7rocprim17ROCPRIM_400000_NS6detail17trampoline_kernelINS0_14default_configENS1_27scan_by_key_config_selectorIssEEZZNS1_16scan_by_key_implILNS1_25lookback_scan_determinismE0ELb0ES3_N6thrust23THRUST_200600_302600_NS6detail15normal_iteratorINS9_10device_ptrIsEEEESE_SE_sNS9_10multipliesIsEENS9_8equal_toIsEEsEE10hipError_tPvRmT2_T3_T4_T5_mT6_T7_P12ihipStream_tbENKUlT_T0_E_clISt17integral_constantIbLb1EESZ_EEDaSU_SV_EUlSU_E_NS1_11comp_targetILNS1_3genE10ELNS1_11target_archE1201ELNS1_3gpuE5ELNS1_3repE0EEENS1_30default_config_static_selectorELNS0_4arch9wavefront6targetE1EEEvT1_,@function
_ZN7rocprim17ROCPRIM_400000_NS6detail17trampoline_kernelINS0_14default_configENS1_27scan_by_key_config_selectorIssEEZZNS1_16scan_by_key_implILNS1_25lookback_scan_determinismE0ELb0ES3_N6thrust23THRUST_200600_302600_NS6detail15normal_iteratorINS9_10device_ptrIsEEEESE_SE_sNS9_10multipliesIsEENS9_8equal_toIsEEsEE10hipError_tPvRmT2_T3_T4_T5_mT6_T7_P12ihipStream_tbENKUlT_T0_E_clISt17integral_constantIbLb1EESZ_EEDaSU_SV_EUlSU_E_NS1_11comp_targetILNS1_3genE10ELNS1_11target_archE1201ELNS1_3gpuE5ELNS1_3repE0EEENS1_30default_config_static_selectorELNS0_4arch9wavefront6targetE1EEEvT1_: ; @_ZN7rocprim17ROCPRIM_400000_NS6detail17trampoline_kernelINS0_14default_configENS1_27scan_by_key_config_selectorIssEEZZNS1_16scan_by_key_implILNS1_25lookback_scan_determinismE0ELb0ES3_N6thrust23THRUST_200600_302600_NS6detail15normal_iteratorINS9_10device_ptrIsEEEESE_SE_sNS9_10multipliesIsEENS9_8equal_toIsEEsEE10hipError_tPvRmT2_T3_T4_T5_mT6_T7_P12ihipStream_tbENKUlT_T0_E_clISt17integral_constantIbLb1EESZ_EEDaSU_SV_EUlSU_E_NS1_11comp_targetILNS1_3genE10ELNS1_11target_archE1201ELNS1_3gpuE5ELNS1_3repE0EEENS1_30default_config_static_selectorELNS0_4arch9wavefront6targetE1EEEvT1_
; %bb.0:
	.section	.rodata,"a",@progbits
	.p2align	6, 0x0
	.amdhsa_kernel _ZN7rocprim17ROCPRIM_400000_NS6detail17trampoline_kernelINS0_14default_configENS1_27scan_by_key_config_selectorIssEEZZNS1_16scan_by_key_implILNS1_25lookback_scan_determinismE0ELb0ES3_N6thrust23THRUST_200600_302600_NS6detail15normal_iteratorINS9_10device_ptrIsEEEESE_SE_sNS9_10multipliesIsEENS9_8equal_toIsEEsEE10hipError_tPvRmT2_T3_T4_T5_mT6_T7_P12ihipStream_tbENKUlT_T0_E_clISt17integral_constantIbLb1EESZ_EEDaSU_SV_EUlSU_E_NS1_11comp_targetILNS1_3genE10ELNS1_11target_archE1201ELNS1_3gpuE5ELNS1_3repE0EEENS1_30default_config_static_selectorELNS0_4arch9wavefront6targetE1EEEvT1_
		.amdhsa_group_segment_fixed_size 0
		.amdhsa_private_segment_fixed_size 0
		.amdhsa_kernarg_size 112
		.amdhsa_user_sgpr_count 6
		.amdhsa_user_sgpr_private_segment_buffer 1
		.amdhsa_user_sgpr_dispatch_ptr 0
		.amdhsa_user_sgpr_queue_ptr 0
		.amdhsa_user_sgpr_kernarg_segment_ptr 1
		.amdhsa_user_sgpr_dispatch_id 0
		.amdhsa_user_sgpr_flat_scratch_init 0
		.amdhsa_user_sgpr_kernarg_preload_length 0
		.amdhsa_user_sgpr_kernarg_preload_offset 0
		.amdhsa_user_sgpr_private_segment_size 0
		.amdhsa_uses_dynamic_stack 0
		.amdhsa_system_sgpr_private_segment_wavefront_offset 0
		.amdhsa_system_sgpr_workgroup_id_x 1
		.amdhsa_system_sgpr_workgroup_id_y 0
		.amdhsa_system_sgpr_workgroup_id_z 0
		.amdhsa_system_sgpr_workgroup_info 0
		.amdhsa_system_vgpr_workitem_id 0
		.amdhsa_next_free_vgpr 1
		.amdhsa_next_free_sgpr 0
		.amdhsa_accum_offset 4
		.amdhsa_reserve_vcc 0
		.amdhsa_reserve_flat_scratch 0
		.amdhsa_float_round_mode_32 0
		.amdhsa_float_round_mode_16_64 0
		.amdhsa_float_denorm_mode_32 3
		.amdhsa_float_denorm_mode_16_64 3
		.amdhsa_dx10_clamp 1
		.amdhsa_ieee_mode 1
		.amdhsa_fp16_overflow 0
		.amdhsa_tg_split 0
		.amdhsa_exception_fp_ieee_invalid_op 0
		.amdhsa_exception_fp_denorm_src 0
		.amdhsa_exception_fp_ieee_div_zero 0
		.amdhsa_exception_fp_ieee_overflow 0
		.amdhsa_exception_fp_ieee_underflow 0
		.amdhsa_exception_fp_ieee_inexact 0
		.amdhsa_exception_int_div_zero 0
	.end_amdhsa_kernel
	.section	.text._ZN7rocprim17ROCPRIM_400000_NS6detail17trampoline_kernelINS0_14default_configENS1_27scan_by_key_config_selectorIssEEZZNS1_16scan_by_key_implILNS1_25lookback_scan_determinismE0ELb0ES3_N6thrust23THRUST_200600_302600_NS6detail15normal_iteratorINS9_10device_ptrIsEEEESE_SE_sNS9_10multipliesIsEENS9_8equal_toIsEEsEE10hipError_tPvRmT2_T3_T4_T5_mT6_T7_P12ihipStream_tbENKUlT_T0_E_clISt17integral_constantIbLb1EESZ_EEDaSU_SV_EUlSU_E_NS1_11comp_targetILNS1_3genE10ELNS1_11target_archE1201ELNS1_3gpuE5ELNS1_3repE0EEENS1_30default_config_static_selectorELNS0_4arch9wavefront6targetE1EEEvT1_,"axG",@progbits,_ZN7rocprim17ROCPRIM_400000_NS6detail17trampoline_kernelINS0_14default_configENS1_27scan_by_key_config_selectorIssEEZZNS1_16scan_by_key_implILNS1_25lookback_scan_determinismE0ELb0ES3_N6thrust23THRUST_200600_302600_NS6detail15normal_iteratorINS9_10device_ptrIsEEEESE_SE_sNS9_10multipliesIsEENS9_8equal_toIsEEsEE10hipError_tPvRmT2_T3_T4_T5_mT6_T7_P12ihipStream_tbENKUlT_T0_E_clISt17integral_constantIbLb1EESZ_EEDaSU_SV_EUlSU_E_NS1_11comp_targetILNS1_3genE10ELNS1_11target_archE1201ELNS1_3gpuE5ELNS1_3repE0EEENS1_30default_config_static_selectorELNS0_4arch9wavefront6targetE1EEEvT1_,comdat
.Lfunc_end291:
	.size	_ZN7rocprim17ROCPRIM_400000_NS6detail17trampoline_kernelINS0_14default_configENS1_27scan_by_key_config_selectorIssEEZZNS1_16scan_by_key_implILNS1_25lookback_scan_determinismE0ELb0ES3_N6thrust23THRUST_200600_302600_NS6detail15normal_iteratorINS9_10device_ptrIsEEEESE_SE_sNS9_10multipliesIsEENS9_8equal_toIsEEsEE10hipError_tPvRmT2_T3_T4_T5_mT6_T7_P12ihipStream_tbENKUlT_T0_E_clISt17integral_constantIbLb1EESZ_EEDaSU_SV_EUlSU_E_NS1_11comp_targetILNS1_3genE10ELNS1_11target_archE1201ELNS1_3gpuE5ELNS1_3repE0EEENS1_30default_config_static_selectorELNS0_4arch9wavefront6targetE1EEEvT1_, .Lfunc_end291-_ZN7rocprim17ROCPRIM_400000_NS6detail17trampoline_kernelINS0_14default_configENS1_27scan_by_key_config_selectorIssEEZZNS1_16scan_by_key_implILNS1_25lookback_scan_determinismE0ELb0ES3_N6thrust23THRUST_200600_302600_NS6detail15normal_iteratorINS9_10device_ptrIsEEEESE_SE_sNS9_10multipliesIsEENS9_8equal_toIsEEsEE10hipError_tPvRmT2_T3_T4_T5_mT6_T7_P12ihipStream_tbENKUlT_T0_E_clISt17integral_constantIbLb1EESZ_EEDaSU_SV_EUlSU_E_NS1_11comp_targetILNS1_3genE10ELNS1_11target_archE1201ELNS1_3gpuE5ELNS1_3repE0EEENS1_30default_config_static_selectorELNS0_4arch9wavefront6targetE1EEEvT1_
                                        ; -- End function
	.section	.AMDGPU.csdata,"",@progbits
; Kernel info:
; codeLenInByte = 0
; NumSgprs: 4
; NumVgprs: 0
; NumAgprs: 0
; TotalNumVgprs: 0
; ScratchSize: 0
; MemoryBound: 0
; FloatMode: 240
; IeeeMode: 1
; LDSByteSize: 0 bytes/workgroup (compile time only)
; SGPRBlocks: 0
; VGPRBlocks: 0
; NumSGPRsForWavesPerEU: 4
; NumVGPRsForWavesPerEU: 1
; AccumOffset: 4
; Occupancy: 8
; WaveLimiterHint : 0
; COMPUTE_PGM_RSRC2:SCRATCH_EN: 0
; COMPUTE_PGM_RSRC2:USER_SGPR: 6
; COMPUTE_PGM_RSRC2:TRAP_HANDLER: 0
; COMPUTE_PGM_RSRC2:TGID_X_EN: 1
; COMPUTE_PGM_RSRC2:TGID_Y_EN: 0
; COMPUTE_PGM_RSRC2:TGID_Z_EN: 0
; COMPUTE_PGM_RSRC2:TIDIG_COMP_CNT: 0
; COMPUTE_PGM_RSRC3_GFX90A:ACCUM_OFFSET: 0
; COMPUTE_PGM_RSRC3_GFX90A:TG_SPLIT: 0
	.section	.text._ZN7rocprim17ROCPRIM_400000_NS6detail17trampoline_kernelINS0_14default_configENS1_27scan_by_key_config_selectorIssEEZZNS1_16scan_by_key_implILNS1_25lookback_scan_determinismE0ELb0ES3_N6thrust23THRUST_200600_302600_NS6detail15normal_iteratorINS9_10device_ptrIsEEEESE_SE_sNS9_10multipliesIsEENS9_8equal_toIsEEsEE10hipError_tPvRmT2_T3_T4_T5_mT6_T7_P12ihipStream_tbENKUlT_T0_E_clISt17integral_constantIbLb1EESZ_EEDaSU_SV_EUlSU_E_NS1_11comp_targetILNS1_3genE5ELNS1_11target_archE942ELNS1_3gpuE9ELNS1_3repE0EEENS1_30default_config_static_selectorELNS0_4arch9wavefront6targetE1EEEvT1_,"axG",@progbits,_ZN7rocprim17ROCPRIM_400000_NS6detail17trampoline_kernelINS0_14default_configENS1_27scan_by_key_config_selectorIssEEZZNS1_16scan_by_key_implILNS1_25lookback_scan_determinismE0ELb0ES3_N6thrust23THRUST_200600_302600_NS6detail15normal_iteratorINS9_10device_ptrIsEEEESE_SE_sNS9_10multipliesIsEENS9_8equal_toIsEEsEE10hipError_tPvRmT2_T3_T4_T5_mT6_T7_P12ihipStream_tbENKUlT_T0_E_clISt17integral_constantIbLb1EESZ_EEDaSU_SV_EUlSU_E_NS1_11comp_targetILNS1_3genE5ELNS1_11target_archE942ELNS1_3gpuE9ELNS1_3repE0EEENS1_30default_config_static_selectorELNS0_4arch9wavefront6targetE1EEEvT1_,comdat
	.protected	_ZN7rocprim17ROCPRIM_400000_NS6detail17trampoline_kernelINS0_14default_configENS1_27scan_by_key_config_selectorIssEEZZNS1_16scan_by_key_implILNS1_25lookback_scan_determinismE0ELb0ES3_N6thrust23THRUST_200600_302600_NS6detail15normal_iteratorINS9_10device_ptrIsEEEESE_SE_sNS9_10multipliesIsEENS9_8equal_toIsEEsEE10hipError_tPvRmT2_T3_T4_T5_mT6_T7_P12ihipStream_tbENKUlT_T0_E_clISt17integral_constantIbLb1EESZ_EEDaSU_SV_EUlSU_E_NS1_11comp_targetILNS1_3genE5ELNS1_11target_archE942ELNS1_3gpuE9ELNS1_3repE0EEENS1_30default_config_static_selectorELNS0_4arch9wavefront6targetE1EEEvT1_ ; -- Begin function _ZN7rocprim17ROCPRIM_400000_NS6detail17trampoline_kernelINS0_14default_configENS1_27scan_by_key_config_selectorIssEEZZNS1_16scan_by_key_implILNS1_25lookback_scan_determinismE0ELb0ES3_N6thrust23THRUST_200600_302600_NS6detail15normal_iteratorINS9_10device_ptrIsEEEESE_SE_sNS9_10multipliesIsEENS9_8equal_toIsEEsEE10hipError_tPvRmT2_T3_T4_T5_mT6_T7_P12ihipStream_tbENKUlT_T0_E_clISt17integral_constantIbLb1EESZ_EEDaSU_SV_EUlSU_E_NS1_11comp_targetILNS1_3genE5ELNS1_11target_archE942ELNS1_3gpuE9ELNS1_3repE0EEENS1_30default_config_static_selectorELNS0_4arch9wavefront6targetE1EEEvT1_
	.globl	_ZN7rocprim17ROCPRIM_400000_NS6detail17trampoline_kernelINS0_14default_configENS1_27scan_by_key_config_selectorIssEEZZNS1_16scan_by_key_implILNS1_25lookback_scan_determinismE0ELb0ES3_N6thrust23THRUST_200600_302600_NS6detail15normal_iteratorINS9_10device_ptrIsEEEESE_SE_sNS9_10multipliesIsEENS9_8equal_toIsEEsEE10hipError_tPvRmT2_T3_T4_T5_mT6_T7_P12ihipStream_tbENKUlT_T0_E_clISt17integral_constantIbLb1EESZ_EEDaSU_SV_EUlSU_E_NS1_11comp_targetILNS1_3genE5ELNS1_11target_archE942ELNS1_3gpuE9ELNS1_3repE0EEENS1_30default_config_static_selectorELNS0_4arch9wavefront6targetE1EEEvT1_
	.p2align	8
	.type	_ZN7rocprim17ROCPRIM_400000_NS6detail17trampoline_kernelINS0_14default_configENS1_27scan_by_key_config_selectorIssEEZZNS1_16scan_by_key_implILNS1_25lookback_scan_determinismE0ELb0ES3_N6thrust23THRUST_200600_302600_NS6detail15normal_iteratorINS9_10device_ptrIsEEEESE_SE_sNS9_10multipliesIsEENS9_8equal_toIsEEsEE10hipError_tPvRmT2_T3_T4_T5_mT6_T7_P12ihipStream_tbENKUlT_T0_E_clISt17integral_constantIbLb1EESZ_EEDaSU_SV_EUlSU_E_NS1_11comp_targetILNS1_3genE5ELNS1_11target_archE942ELNS1_3gpuE9ELNS1_3repE0EEENS1_30default_config_static_selectorELNS0_4arch9wavefront6targetE1EEEvT1_,@function
_ZN7rocprim17ROCPRIM_400000_NS6detail17trampoline_kernelINS0_14default_configENS1_27scan_by_key_config_selectorIssEEZZNS1_16scan_by_key_implILNS1_25lookback_scan_determinismE0ELb0ES3_N6thrust23THRUST_200600_302600_NS6detail15normal_iteratorINS9_10device_ptrIsEEEESE_SE_sNS9_10multipliesIsEENS9_8equal_toIsEEsEE10hipError_tPvRmT2_T3_T4_T5_mT6_T7_P12ihipStream_tbENKUlT_T0_E_clISt17integral_constantIbLb1EESZ_EEDaSU_SV_EUlSU_E_NS1_11comp_targetILNS1_3genE5ELNS1_11target_archE942ELNS1_3gpuE9ELNS1_3repE0EEENS1_30default_config_static_selectorELNS0_4arch9wavefront6targetE1EEEvT1_: ; @_ZN7rocprim17ROCPRIM_400000_NS6detail17trampoline_kernelINS0_14default_configENS1_27scan_by_key_config_selectorIssEEZZNS1_16scan_by_key_implILNS1_25lookback_scan_determinismE0ELb0ES3_N6thrust23THRUST_200600_302600_NS6detail15normal_iteratorINS9_10device_ptrIsEEEESE_SE_sNS9_10multipliesIsEENS9_8equal_toIsEEsEE10hipError_tPvRmT2_T3_T4_T5_mT6_T7_P12ihipStream_tbENKUlT_T0_E_clISt17integral_constantIbLb1EESZ_EEDaSU_SV_EUlSU_E_NS1_11comp_targetILNS1_3genE5ELNS1_11target_archE942ELNS1_3gpuE9ELNS1_3repE0EEENS1_30default_config_static_selectorELNS0_4arch9wavefront6targetE1EEEvT1_
; %bb.0:
	.section	.rodata,"a",@progbits
	.p2align	6, 0x0
	.amdhsa_kernel _ZN7rocprim17ROCPRIM_400000_NS6detail17trampoline_kernelINS0_14default_configENS1_27scan_by_key_config_selectorIssEEZZNS1_16scan_by_key_implILNS1_25lookback_scan_determinismE0ELb0ES3_N6thrust23THRUST_200600_302600_NS6detail15normal_iteratorINS9_10device_ptrIsEEEESE_SE_sNS9_10multipliesIsEENS9_8equal_toIsEEsEE10hipError_tPvRmT2_T3_T4_T5_mT6_T7_P12ihipStream_tbENKUlT_T0_E_clISt17integral_constantIbLb1EESZ_EEDaSU_SV_EUlSU_E_NS1_11comp_targetILNS1_3genE5ELNS1_11target_archE942ELNS1_3gpuE9ELNS1_3repE0EEENS1_30default_config_static_selectorELNS0_4arch9wavefront6targetE1EEEvT1_
		.amdhsa_group_segment_fixed_size 0
		.amdhsa_private_segment_fixed_size 0
		.amdhsa_kernarg_size 112
		.amdhsa_user_sgpr_count 6
		.amdhsa_user_sgpr_private_segment_buffer 1
		.amdhsa_user_sgpr_dispatch_ptr 0
		.amdhsa_user_sgpr_queue_ptr 0
		.amdhsa_user_sgpr_kernarg_segment_ptr 1
		.amdhsa_user_sgpr_dispatch_id 0
		.amdhsa_user_sgpr_flat_scratch_init 0
		.amdhsa_user_sgpr_kernarg_preload_length 0
		.amdhsa_user_sgpr_kernarg_preload_offset 0
		.amdhsa_user_sgpr_private_segment_size 0
		.amdhsa_uses_dynamic_stack 0
		.amdhsa_system_sgpr_private_segment_wavefront_offset 0
		.amdhsa_system_sgpr_workgroup_id_x 1
		.amdhsa_system_sgpr_workgroup_id_y 0
		.amdhsa_system_sgpr_workgroup_id_z 0
		.amdhsa_system_sgpr_workgroup_info 0
		.amdhsa_system_vgpr_workitem_id 0
		.amdhsa_next_free_vgpr 1
		.amdhsa_next_free_sgpr 0
		.amdhsa_accum_offset 4
		.amdhsa_reserve_vcc 0
		.amdhsa_reserve_flat_scratch 0
		.amdhsa_float_round_mode_32 0
		.amdhsa_float_round_mode_16_64 0
		.amdhsa_float_denorm_mode_32 3
		.amdhsa_float_denorm_mode_16_64 3
		.amdhsa_dx10_clamp 1
		.amdhsa_ieee_mode 1
		.amdhsa_fp16_overflow 0
		.amdhsa_tg_split 0
		.amdhsa_exception_fp_ieee_invalid_op 0
		.amdhsa_exception_fp_denorm_src 0
		.amdhsa_exception_fp_ieee_div_zero 0
		.amdhsa_exception_fp_ieee_overflow 0
		.amdhsa_exception_fp_ieee_underflow 0
		.amdhsa_exception_fp_ieee_inexact 0
		.amdhsa_exception_int_div_zero 0
	.end_amdhsa_kernel
	.section	.text._ZN7rocprim17ROCPRIM_400000_NS6detail17trampoline_kernelINS0_14default_configENS1_27scan_by_key_config_selectorIssEEZZNS1_16scan_by_key_implILNS1_25lookback_scan_determinismE0ELb0ES3_N6thrust23THRUST_200600_302600_NS6detail15normal_iteratorINS9_10device_ptrIsEEEESE_SE_sNS9_10multipliesIsEENS9_8equal_toIsEEsEE10hipError_tPvRmT2_T3_T4_T5_mT6_T7_P12ihipStream_tbENKUlT_T0_E_clISt17integral_constantIbLb1EESZ_EEDaSU_SV_EUlSU_E_NS1_11comp_targetILNS1_3genE5ELNS1_11target_archE942ELNS1_3gpuE9ELNS1_3repE0EEENS1_30default_config_static_selectorELNS0_4arch9wavefront6targetE1EEEvT1_,"axG",@progbits,_ZN7rocprim17ROCPRIM_400000_NS6detail17trampoline_kernelINS0_14default_configENS1_27scan_by_key_config_selectorIssEEZZNS1_16scan_by_key_implILNS1_25lookback_scan_determinismE0ELb0ES3_N6thrust23THRUST_200600_302600_NS6detail15normal_iteratorINS9_10device_ptrIsEEEESE_SE_sNS9_10multipliesIsEENS9_8equal_toIsEEsEE10hipError_tPvRmT2_T3_T4_T5_mT6_T7_P12ihipStream_tbENKUlT_T0_E_clISt17integral_constantIbLb1EESZ_EEDaSU_SV_EUlSU_E_NS1_11comp_targetILNS1_3genE5ELNS1_11target_archE942ELNS1_3gpuE9ELNS1_3repE0EEENS1_30default_config_static_selectorELNS0_4arch9wavefront6targetE1EEEvT1_,comdat
.Lfunc_end292:
	.size	_ZN7rocprim17ROCPRIM_400000_NS6detail17trampoline_kernelINS0_14default_configENS1_27scan_by_key_config_selectorIssEEZZNS1_16scan_by_key_implILNS1_25lookback_scan_determinismE0ELb0ES3_N6thrust23THRUST_200600_302600_NS6detail15normal_iteratorINS9_10device_ptrIsEEEESE_SE_sNS9_10multipliesIsEENS9_8equal_toIsEEsEE10hipError_tPvRmT2_T3_T4_T5_mT6_T7_P12ihipStream_tbENKUlT_T0_E_clISt17integral_constantIbLb1EESZ_EEDaSU_SV_EUlSU_E_NS1_11comp_targetILNS1_3genE5ELNS1_11target_archE942ELNS1_3gpuE9ELNS1_3repE0EEENS1_30default_config_static_selectorELNS0_4arch9wavefront6targetE1EEEvT1_, .Lfunc_end292-_ZN7rocprim17ROCPRIM_400000_NS6detail17trampoline_kernelINS0_14default_configENS1_27scan_by_key_config_selectorIssEEZZNS1_16scan_by_key_implILNS1_25lookback_scan_determinismE0ELb0ES3_N6thrust23THRUST_200600_302600_NS6detail15normal_iteratorINS9_10device_ptrIsEEEESE_SE_sNS9_10multipliesIsEENS9_8equal_toIsEEsEE10hipError_tPvRmT2_T3_T4_T5_mT6_T7_P12ihipStream_tbENKUlT_T0_E_clISt17integral_constantIbLb1EESZ_EEDaSU_SV_EUlSU_E_NS1_11comp_targetILNS1_3genE5ELNS1_11target_archE942ELNS1_3gpuE9ELNS1_3repE0EEENS1_30default_config_static_selectorELNS0_4arch9wavefront6targetE1EEEvT1_
                                        ; -- End function
	.section	.AMDGPU.csdata,"",@progbits
; Kernel info:
; codeLenInByte = 0
; NumSgprs: 4
; NumVgprs: 0
; NumAgprs: 0
; TotalNumVgprs: 0
; ScratchSize: 0
; MemoryBound: 0
; FloatMode: 240
; IeeeMode: 1
; LDSByteSize: 0 bytes/workgroup (compile time only)
; SGPRBlocks: 0
; VGPRBlocks: 0
; NumSGPRsForWavesPerEU: 4
; NumVGPRsForWavesPerEU: 1
; AccumOffset: 4
; Occupancy: 8
; WaveLimiterHint : 0
; COMPUTE_PGM_RSRC2:SCRATCH_EN: 0
; COMPUTE_PGM_RSRC2:USER_SGPR: 6
; COMPUTE_PGM_RSRC2:TRAP_HANDLER: 0
; COMPUTE_PGM_RSRC2:TGID_X_EN: 1
; COMPUTE_PGM_RSRC2:TGID_Y_EN: 0
; COMPUTE_PGM_RSRC2:TGID_Z_EN: 0
; COMPUTE_PGM_RSRC2:TIDIG_COMP_CNT: 0
; COMPUTE_PGM_RSRC3_GFX90A:ACCUM_OFFSET: 0
; COMPUTE_PGM_RSRC3_GFX90A:TG_SPLIT: 0
	.section	.text._ZN7rocprim17ROCPRIM_400000_NS6detail17trampoline_kernelINS0_14default_configENS1_27scan_by_key_config_selectorIssEEZZNS1_16scan_by_key_implILNS1_25lookback_scan_determinismE0ELb0ES3_N6thrust23THRUST_200600_302600_NS6detail15normal_iteratorINS9_10device_ptrIsEEEESE_SE_sNS9_10multipliesIsEENS9_8equal_toIsEEsEE10hipError_tPvRmT2_T3_T4_T5_mT6_T7_P12ihipStream_tbENKUlT_T0_E_clISt17integral_constantIbLb1EESZ_EEDaSU_SV_EUlSU_E_NS1_11comp_targetILNS1_3genE4ELNS1_11target_archE910ELNS1_3gpuE8ELNS1_3repE0EEENS1_30default_config_static_selectorELNS0_4arch9wavefront6targetE1EEEvT1_,"axG",@progbits,_ZN7rocprim17ROCPRIM_400000_NS6detail17trampoline_kernelINS0_14default_configENS1_27scan_by_key_config_selectorIssEEZZNS1_16scan_by_key_implILNS1_25lookback_scan_determinismE0ELb0ES3_N6thrust23THRUST_200600_302600_NS6detail15normal_iteratorINS9_10device_ptrIsEEEESE_SE_sNS9_10multipliesIsEENS9_8equal_toIsEEsEE10hipError_tPvRmT2_T3_T4_T5_mT6_T7_P12ihipStream_tbENKUlT_T0_E_clISt17integral_constantIbLb1EESZ_EEDaSU_SV_EUlSU_E_NS1_11comp_targetILNS1_3genE4ELNS1_11target_archE910ELNS1_3gpuE8ELNS1_3repE0EEENS1_30default_config_static_selectorELNS0_4arch9wavefront6targetE1EEEvT1_,comdat
	.protected	_ZN7rocprim17ROCPRIM_400000_NS6detail17trampoline_kernelINS0_14default_configENS1_27scan_by_key_config_selectorIssEEZZNS1_16scan_by_key_implILNS1_25lookback_scan_determinismE0ELb0ES3_N6thrust23THRUST_200600_302600_NS6detail15normal_iteratorINS9_10device_ptrIsEEEESE_SE_sNS9_10multipliesIsEENS9_8equal_toIsEEsEE10hipError_tPvRmT2_T3_T4_T5_mT6_T7_P12ihipStream_tbENKUlT_T0_E_clISt17integral_constantIbLb1EESZ_EEDaSU_SV_EUlSU_E_NS1_11comp_targetILNS1_3genE4ELNS1_11target_archE910ELNS1_3gpuE8ELNS1_3repE0EEENS1_30default_config_static_selectorELNS0_4arch9wavefront6targetE1EEEvT1_ ; -- Begin function _ZN7rocprim17ROCPRIM_400000_NS6detail17trampoline_kernelINS0_14default_configENS1_27scan_by_key_config_selectorIssEEZZNS1_16scan_by_key_implILNS1_25lookback_scan_determinismE0ELb0ES3_N6thrust23THRUST_200600_302600_NS6detail15normal_iteratorINS9_10device_ptrIsEEEESE_SE_sNS9_10multipliesIsEENS9_8equal_toIsEEsEE10hipError_tPvRmT2_T3_T4_T5_mT6_T7_P12ihipStream_tbENKUlT_T0_E_clISt17integral_constantIbLb1EESZ_EEDaSU_SV_EUlSU_E_NS1_11comp_targetILNS1_3genE4ELNS1_11target_archE910ELNS1_3gpuE8ELNS1_3repE0EEENS1_30default_config_static_selectorELNS0_4arch9wavefront6targetE1EEEvT1_
	.globl	_ZN7rocprim17ROCPRIM_400000_NS6detail17trampoline_kernelINS0_14default_configENS1_27scan_by_key_config_selectorIssEEZZNS1_16scan_by_key_implILNS1_25lookback_scan_determinismE0ELb0ES3_N6thrust23THRUST_200600_302600_NS6detail15normal_iteratorINS9_10device_ptrIsEEEESE_SE_sNS9_10multipliesIsEENS9_8equal_toIsEEsEE10hipError_tPvRmT2_T3_T4_T5_mT6_T7_P12ihipStream_tbENKUlT_T0_E_clISt17integral_constantIbLb1EESZ_EEDaSU_SV_EUlSU_E_NS1_11comp_targetILNS1_3genE4ELNS1_11target_archE910ELNS1_3gpuE8ELNS1_3repE0EEENS1_30default_config_static_selectorELNS0_4arch9wavefront6targetE1EEEvT1_
	.p2align	8
	.type	_ZN7rocprim17ROCPRIM_400000_NS6detail17trampoline_kernelINS0_14default_configENS1_27scan_by_key_config_selectorIssEEZZNS1_16scan_by_key_implILNS1_25lookback_scan_determinismE0ELb0ES3_N6thrust23THRUST_200600_302600_NS6detail15normal_iteratorINS9_10device_ptrIsEEEESE_SE_sNS9_10multipliesIsEENS9_8equal_toIsEEsEE10hipError_tPvRmT2_T3_T4_T5_mT6_T7_P12ihipStream_tbENKUlT_T0_E_clISt17integral_constantIbLb1EESZ_EEDaSU_SV_EUlSU_E_NS1_11comp_targetILNS1_3genE4ELNS1_11target_archE910ELNS1_3gpuE8ELNS1_3repE0EEENS1_30default_config_static_selectorELNS0_4arch9wavefront6targetE1EEEvT1_,@function
_ZN7rocprim17ROCPRIM_400000_NS6detail17trampoline_kernelINS0_14default_configENS1_27scan_by_key_config_selectorIssEEZZNS1_16scan_by_key_implILNS1_25lookback_scan_determinismE0ELb0ES3_N6thrust23THRUST_200600_302600_NS6detail15normal_iteratorINS9_10device_ptrIsEEEESE_SE_sNS9_10multipliesIsEENS9_8equal_toIsEEsEE10hipError_tPvRmT2_T3_T4_T5_mT6_T7_P12ihipStream_tbENKUlT_T0_E_clISt17integral_constantIbLb1EESZ_EEDaSU_SV_EUlSU_E_NS1_11comp_targetILNS1_3genE4ELNS1_11target_archE910ELNS1_3gpuE8ELNS1_3repE0EEENS1_30default_config_static_selectorELNS0_4arch9wavefront6targetE1EEEvT1_: ; @_ZN7rocprim17ROCPRIM_400000_NS6detail17trampoline_kernelINS0_14default_configENS1_27scan_by_key_config_selectorIssEEZZNS1_16scan_by_key_implILNS1_25lookback_scan_determinismE0ELb0ES3_N6thrust23THRUST_200600_302600_NS6detail15normal_iteratorINS9_10device_ptrIsEEEESE_SE_sNS9_10multipliesIsEENS9_8equal_toIsEEsEE10hipError_tPvRmT2_T3_T4_T5_mT6_T7_P12ihipStream_tbENKUlT_T0_E_clISt17integral_constantIbLb1EESZ_EEDaSU_SV_EUlSU_E_NS1_11comp_targetILNS1_3genE4ELNS1_11target_archE910ELNS1_3gpuE8ELNS1_3repE0EEENS1_30default_config_static_selectorELNS0_4arch9wavefront6targetE1EEEvT1_
; %bb.0:
	s_load_dwordx4 s[72:75], s[4:5], 0x28
	s_load_dwordx2 s[76:77], s[4:5], 0x38
	v_cmp_ne_u32_e64 s[52:53], 0, v0
	v_cmp_eq_u32_e64 s[0:1], 0, v0
	s_and_saveexec_b64 s[2:3], s[0:1]
	s_cbranch_execz .LBB293_4
; %bb.1:
	s_mov_b64 s[8:9], exec
	v_mbcnt_lo_u32_b32 v1, s8, 0
	v_mbcnt_hi_u32_b32 v1, s9, v1
	v_cmp_eq_u32_e32 vcc, 0, v1
                                        ; implicit-def: $vgpr2
	s_and_saveexec_b64 s[6:7], vcc
	s_cbranch_execz .LBB293_3
; %bb.2:
	s_load_dwordx2 s[10:11], s[4:5], 0x68
	s_bcnt1_i32_b64 s8, s[8:9]
	v_mov_b32_e32 v2, 0
	v_mov_b32_e32 v3, s8
	s_waitcnt lgkmcnt(0)
	global_atomic_add v2, v2, v3, s[10:11] glc
.LBB293_3:
	s_or_b64 exec, exec, s[6:7]
	s_waitcnt vmcnt(0)
	v_readfirstlane_b32 s6, v2
	v_add_u32_e32 v1, s6, v1
	v_mov_b32_e32 v2, 0
	ds_write_b32 v2, v1
.LBB293_4:
	s_or_b64 exec, exec, s[2:3]
	s_load_dwordx8 s[56:63], s[4:5], 0x0
	s_load_dword s2, s[4:5], 0x40
	s_load_dwordx8 s[64:71], s[4:5], 0x48
	v_mov_b32_e32 v1, 0
	s_waitcnt lgkmcnt(0)
	s_barrier
	ds_read_b32 v1, v1
	s_lshl_b64 s[54:55], s[58:59], 1
	s_add_u32 s4, s56, s54
	s_addc_u32 s5, s57, s55
	s_add_u32 s6, s60, s54
	s_mul_i32 s3, s77, s2
	s_mul_hi_u32 s8, s76, s2
	s_addc_u32 s7, s61, s55
	s_add_i32 s8, s8, s3
	s_waitcnt lgkmcnt(0)
	v_readfirstlane_b32 s75, v1
	s_mul_i32 s9, s76, s2
	s_cmp_lg_u64 s[68:69], 0
	s_mov_b32 s3, 0
	s_mul_i32 s2, s75, 0x1600
	s_cselect_b64 s[60:61], -1, 0
	s_lshl_b64 s[56:57], s[2:3], 1
	s_add_u32 s58, s4, s56
	s_addc_u32 s59, s5, s57
	s_add_u32 s78, s6, s56
	s_addc_u32 s79, s7, s57
	;; [unrolled: 2-line block ×3, first 2 shown]
	s_add_u32 s4, s64, -1
	s_addc_u32 s5, s65, -1
	v_pk_mov_b32 v[2:3], s[4:5], s[4:5] op_sel:[0,1]
	v_cmp_ge_u64_e64 s[2:3], s[68:69], v[2:3]
	s_mov_b64 s[10:11], 0
	s_mov_b64 s[6:7], -1
	s_and_b64 vcc, exec, s[2:3]
	s_mul_i32 s33, s4, 0xffffea00
	s_barrier
	s_barrier
	s_cbranch_vccz .LBB293_121
; %bb.5:
	v_pk_mov_b32 v[2:3], s[58:59], s[58:59] op_sel:[0,1]
	flat_load_ushort v6, v[2:3]
	s_add_i32 s81, s33, s74
	v_cmp_gt_u32_e64 s[6:7], s81, v0
	s_waitcnt vmcnt(0) lgkmcnt(0)
	v_mov_b32_e32 v7, v6
	s_and_saveexec_b64 s[4:5], s[6:7]
	s_cbranch_execz .LBB293_7
; %bb.6:
	v_lshlrev_b32_e32 v1, 1, v0
	v_mov_b32_e32 v3, s59
	v_add_co_u32_e32 v2, vcc, s58, v1
	v_addc_co_u32_e32 v3, vcc, 0, v3, vcc
	flat_load_ushort v7, v[2:3]
.LBB293_7:
	s_or_b64 exec, exec, s[4:5]
	v_or_b32_e32 v1, 0x100, v0
	v_cmp_gt_u32_e64 s[8:9], s81, v1
	v_mov_b32_e32 v8, v6
	s_and_saveexec_b64 s[4:5], s[8:9]
	s_cbranch_execz .LBB293_9
; %bb.8:
	v_lshlrev_b32_e32 v1, 1, v0
	v_mov_b32_e32 v3, s59
	v_add_co_u32_e32 v2, vcc, s58, v1
	v_addc_co_u32_e32 v3, vcc, 0, v3, vcc
	flat_load_ushort v8, v[2:3] offset:512
.LBB293_9:
	s_or_b64 exec, exec, s[4:5]
	v_or_b32_e32 v1, 0x200, v0
	v_cmp_gt_u32_e64 s[10:11], s81, v1
	v_mov_b32_e32 v9, v6
	s_and_saveexec_b64 s[4:5], s[10:11]
	s_cbranch_execz .LBB293_11
; %bb.10:
	v_lshlrev_b32_e32 v1, 1, v0
	v_mov_b32_e32 v3, s59
	v_add_co_u32_e32 v2, vcc, s58, v1
	v_addc_co_u32_e32 v3, vcc, 0, v3, vcc
	flat_load_ushort v9, v[2:3] offset:1024
.LBB293_11:
	;; [unrolled: 13-line block ×7, first 2 shown]
	s_or_b64 exec, exec, s[4:5]
	v_or_b32_e32 v1, 0x800, v0
	v_cmp_gt_u32_e64 s[22:23], s81, v1
	v_mov_b32_e32 v15, v6
	s_and_saveexec_b64 s[4:5], s[22:23]
	s_cbranch_execz .LBB293_23
; %bb.22:
	v_lshlrev_b32_e32 v2, 1, v1
	v_mov_b32_e32 v3, s59
	v_add_co_u32_e32 v2, vcc, s58, v2
	v_addc_co_u32_e32 v3, vcc, 0, v3, vcc
	flat_load_ushort v15, v[2:3]
.LBB293_23:
	s_or_b64 exec, exec, s[4:5]
	v_or_b32_e32 v2, 0x900, v0
	v_cmp_gt_u32_e64 s[24:25], s81, v2
	v_mov_b32_e32 v26, v6
	s_and_saveexec_b64 s[4:5], s[24:25]
	s_cbranch_execz .LBB293_25
; %bb.24:
	v_lshlrev_b32_e32 v3, 1, v2
	v_mov_b32_e32 v5, s59
	v_add_co_u32_e32 v4, vcc, s58, v3
	v_addc_co_u32_e32 v5, vcc, 0, v5, vcc
	flat_load_ushort v26, v[4:5]
.LBB293_25:
	;; [unrolled: 13-line block ×13, first 2 shown]
	s_or_b64 exec, exec, s[4:5]
	v_or_b32_e32 v25, 0x1500, v0
	v_cmp_gt_u32_e64 s[50:51], s81, v25
	s_and_saveexec_b64 s[4:5], s[50:51]
	s_cbranch_execz .LBB293_49
; %bb.48:
	v_lshlrev_b32_e32 v6, 1, v25
	v_mov_b32_e32 v18, s59
	v_add_co_u32_e32 v38, vcc, s58, v6
	v_addc_co_u32_e32 v39, vcc, 0, v18, vcc
	flat_load_ushort v6, v[38:39]
.LBB293_49:
	s_or_b64 exec, exec, s[4:5]
	v_lshlrev_b32_e32 v18, 1, v0
	s_waitcnt vmcnt(0) lgkmcnt(0)
	ds_write_b16 v18, v7
	ds_write_b16 v18, v8 offset:512
	ds_write_b16 v18, v9 offset:1024
	ds_write_b16 v18, v10 offset:1536
	ds_write_b16 v18, v11 offset:2048
	ds_write_b16 v18, v12 offset:2560
	ds_write_b16 v18, v13 offset:3072
	ds_write_b16 v18, v14 offset:3584
	ds_write_b16 v18, v15 offset:4096
	ds_write_b16 v18, v26 offset:4608
	ds_write_b16 v18, v27 offset:5120
	ds_write_b16 v18, v28 offset:5632
	ds_write_b16 v18, v29 offset:6144
	ds_write_b16 v18, v30 offset:6656
	ds_write_b16 v18, v31 offset:7168
	ds_write_b16 v18, v32 offset:7680
	ds_write_b16 v18, v33 offset:8192
	ds_write_b16 v18, v34 offset:8704
	ds_write_b16 v18, v35 offset:9216
	ds_write_b16 v18, v36 offset:9728
	ds_write_b16 v18, v37 offset:10240
	ds_write_b16 v18, v6 offset:10752
	v_mad_u32_u24 v37, v0, 42, v18
	s_waitcnt lgkmcnt(0)
	s_barrier
	ds_read2_b32 v[14:15], v37 offset1:1
	ds_read2_b32 v[12:13], v37 offset0:2 offset1:3
	ds_read2_b32 v[10:11], v37 offset0:4 offset1:5
	;; [unrolled: 1-line block ×4, first 2 shown]
	ds_read_b32 v38, v37 offset:40
	s_cmp_eq_u64 s[68:69], 0
	s_mov_b64 s[4:5], s[58:59]
	s_cbranch_scc1 .LBB293_53
; %bb.50:
	s_andn2_b64 vcc, exec, s[60:61]
	s_cbranch_vccnz .LBB293_293
; %bb.51:
	s_lshl_b64 s[4:5], s[68:69], 1
	s_add_u32 s4, s70, s4
	s_addc_u32 s5, s71, s5
	s_add_u32 s4, s4, -2
	s_addc_u32 s5, s5, -1
	s_cbranch_execnz .LBB293_53
.LBB293_52:
	s_add_u32 s4, s58, -2
	s_addc_u32 s5, s59, -1
.LBB293_53:
	v_pk_mov_b32 v[26:27], s[4:5], s[4:5] op_sel:[0,1]
	flat_load_ushort v41, v[26:27]
	s_movk_i32 s4, 0xffd6
	s_waitcnt lgkmcnt(0)
	v_lshrrev_b32_e32 v39, 16, v38
	v_mad_i32_i24 v26, v0, s4, v37
	ds_write_b16 v26, v39 offset:11264
	s_waitcnt lgkmcnt(0)
	s_barrier
	s_and_saveexec_b64 s[4:5], s[52:53]
	s_cbranch_execz .LBB293_55
; %bb.54:
	v_mul_i32_i24_e32 v26, 0xffffffd6, v0
	v_add_u32_e32 v26, v37, v26
	s_waitcnt vmcnt(0)
	ds_read_u16 v41, v26 offset:11262
.LBB293_55:
	s_or_b64 exec, exec, s[4:5]
	s_waitcnt lgkmcnt(0)
	s_barrier
	s_waitcnt lgkmcnt(0)
                                        ; implicit-def: $vgpr26
	s_and_saveexec_b64 s[4:5], s[6:7]
	s_cbranch_execnz .LBB293_270
; %bb.56:
	s_or_b64 exec, exec, s[4:5]
                                        ; implicit-def: $vgpr27
	s_and_saveexec_b64 s[4:5], s[8:9]
	s_cbranch_execnz .LBB293_271
.LBB293_57:
	s_or_b64 exec, exec, s[4:5]
                                        ; implicit-def: $vgpr28
	s_and_saveexec_b64 s[4:5], s[10:11]
	s_cbranch_execnz .LBB293_272
.LBB293_58:
	s_or_b64 exec, exec, s[4:5]
                                        ; implicit-def: $vgpr29
	s_and_saveexec_b64 s[4:5], s[12:13]
	s_cbranch_execnz .LBB293_273
.LBB293_59:
	s_or_b64 exec, exec, s[4:5]
                                        ; implicit-def: $vgpr30
	s_and_saveexec_b64 s[4:5], s[14:15]
	s_cbranch_execnz .LBB293_274
.LBB293_60:
	s_or_b64 exec, exec, s[4:5]
                                        ; implicit-def: $vgpr31
	s_and_saveexec_b64 s[4:5], s[16:17]
	s_cbranch_execnz .LBB293_275
.LBB293_61:
	s_or_b64 exec, exec, s[4:5]
                                        ; implicit-def: $vgpr32
	s_and_saveexec_b64 s[4:5], s[18:19]
	s_cbranch_execnz .LBB293_276
.LBB293_62:
	s_or_b64 exec, exec, s[4:5]
                                        ; implicit-def: $vgpr33
	s_and_saveexec_b64 s[4:5], s[20:21]
	s_cbranch_execnz .LBB293_277
.LBB293_63:
	s_or_b64 exec, exec, s[4:5]
                                        ; implicit-def: $vgpr34
	s_and_saveexec_b64 s[4:5], s[22:23]
	s_cbranch_execnz .LBB293_278
.LBB293_64:
	s_or_b64 exec, exec, s[4:5]
                                        ; implicit-def: $vgpr1
	s_and_saveexec_b64 s[4:5], s[24:25]
	s_cbranch_execnz .LBB293_279
.LBB293_65:
	s_or_b64 exec, exec, s[4:5]
                                        ; implicit-def: $vgpr2
	s_and_saveexec_b64 s[4:5], s[26:27]
	s_cbranch_execnz .LBB293_280
.LBB293_66:
	s_or_b64 exec, exec, s[4:5]
                                        ; implicit-def: $vgpr3
	s_and_saveexec_b64 s[4:5], s[28:29]
	s_cbranch_execnz .LBB293_281
.LBB293_67:
	s_or_b64 exec, exec, s[4:5]
                                        ; implicit-def: $vgpr4
	s_and_saveexec_b64 s[4:5], s[30:31]
	s_cbranch_execnz .LBB293_282
.LBB293_68:
	s_or_b64 exec, exec, s[4:5]
                                        ; implicit-def: $vgpr5
	s_and_saveexec_b64 s[4:5], s[34:35]
	s_cbranch_execnz .LBB293_283
.LBB293_69:
	s_or_b64 exec, exec, s[4:5]
                                        ; implicit-def: $vgpr16
	s_and_saveexec_b64 s[4:5], s[36:37]
	s_cbranch_execnz .LBB293_284
.LBB293_70:
	s_or_b64 exec, exec, s[4:5]
                                        ; implicit-def: $vgpr17
	s_and_saveexec_b64 s[4:5], s[38:39]
	s_cbranch_execnz .LBB293_285
.LBB293_71:
	s_or_b64 exec, exec, s[4:5]
                                        ; implicit-def: $vgpr19
	s_and_saveexec_b64 s[4:5], s[40:41]
	s_cbranch_execnz .LBB293_286
.LBB293_72:
	s_or_b64 exec, exec, s[4:5]
                                        ; implicit-def: $vgpr20
	s_and_saveexec_b64 s[4:5], s[42:43]
	s_cbranch_execnz .LBB293_287
.LBB293_73:
	s_or_b64 exec, exec, s[4:5]
                                        ; implicit-def: $vgpr21
	s_and_saveexec_b64 s[4:5], s[44:45]
	s_cbranch_execnz .LBB293_288
.LBB293_74:
	s_or_b64 exec, exec, s[4:5]
                                        ; implicit-def: $vgpr22
	s_and_saveexec_b64 s[4:5], s[46:47]
	s_cbranch_execnz .LBB293_289
.LBB293_75:
	s_or_b64 exec, exec, s[4:5]
                                        ; implicit-def: $vgpr23
	s_and_saveexec_b64 s[4:5], s[48:49]
	s_cbranch_execnz .LBB293_290
.LBB293_76:
	s_or_b64 exec, exec, s[4:5]
                                        ; implicit-def: $vgpr24
	s_and_saveexec_b64 s[4:5], s[50:51]
	s_cbranch_execz .LBB293_78
.LBB293_77:
	v_lshlrev_b32_e32 v24, 1, v25
	v_mov_b32_e32 v25, s79
	v_add_co_u32_e32 v24, vcc, s78, v24
	v_addc_co_u32_e32 v25, vcc, 0, v25, vcc
	flat_load_ushort v24, v[24:25]
.LBB293_78:
	s_or_b64 exec, exec, s[4:5]
	v_mul_u32_u24_e32 v40, 22, v0
	s_waitcnt vmcnt(0) lgkmcnt(0)
	ds_write_b16 v18, v26
	ds_write_b16 v18, v27 offset:512
	ds_write_b16 v18, v28 offset:1024
	;; [unrolled: 1-line block ×21, first 2 shown]
	v_cmp_gt_u32_e32 vcc, s81, v40
	s_mov_b64 s[6:7], 0
	s_mov_b32 s80, 0
	v_mov_b32_e32 v1, 0
	s_mov_b64 s[10:11], 0
	v_mov_b32_e32 v16, 0
	v_mov_b32_e32 v17, 0
	v_mov_b32_e32 v18, 0
	v_mov_b32_e32 v19, 0
	v_mov_b32_e32 v20, 0
	v_mov_b32_e32 v21, 0
	v_mov_b32_e32 v22, 0
	v_mov_b32_e32 v23, 0
	v_mov_b32_e32 v24, 0
	v_mov_b32_e32 v25, 0
	v_mov_b32_e32 v26, 0
	v_mov_b32_e32 v27, 0
	v_mov_b32_e32 v28, 0
	v_mov_b32_e32 v29, 0
	v_mov_b32_e32 v30, 0
	v_mov_b32_e32 v31, 0
	v_mov_b32_e32 v32, 0
	v_mov_b32_e32 v33, 0
	v_mov_b32_e32 v34, 0
	v_mov_b32_e32 v35, 0
	s_waitcnt lgkmcnt(0)
	s_barrier
	s_waitcnt lgkmcnt(0)
                                        ; implicit-def: $sgpr4_sgpr5
                                        ; implicit-def: $vgpr36
	s_and_saveexec_b64 s[8:9], vcc
	s_cbranch_execz .LBB293_120
; %bb.79:
	ds_read_u16 v1, v37
	v_cmp_ne_u16_e32 vcc, v41, v14
	v_or_b32_e32 v2, 1, v40
	v_cndmask_b32_e64 v3, 0, 1, vcc
	v_cmp_gt_u32_e32 vcc, s81, v2
	s_waitcnt lgkmcnt(0)
	v_lshl_or_b32 v1, v3, 16, v1
	s_mov_b64 s[12:13], 0
	v_mov_b32_e32 v16, 0
	v_mov_b32_e32 v17, 0
	;; [unrolled: 1-line block ×20, first 2 shown]
                                        ; implicit-def: $sgpr4_sgpr5
                                        ; implicit-def: $vgpr36
	s_and_saveexec_b64 s[10:11], vcc
	s_cbranch_execz .LBB293_119
; %bb.80:
	ds_read_b128 v[2:5], v37 offset:2
	v_add_u32_e32 v16, 2, v40
	v_cmp_ne_u16_sdwa s[4:5], v14, v14 src0_sel:DWORD src1_sel:WORD_1
	v_cndmask_b32_e64 v17, 0, 1, s[4:5]
	v_cmp_gt_u32_e32 vcc, s81, v16
	s_waitcnt lgkmcnt(0)
	v_and_b32_e32 v16, 0xffff, v2
	v_lshl_or_b32 v16, v17, 16, v16
	s_mov_b64 s[14:15], 0
	v_mov_b32_e32 v17, 0
	v_mov_b32_e32 v18, 0
	;; [unrolled: 1-line block ×19, first 2 shown]
                                        ; implicit-def: $sgpr4_sgpr5
                                        ; implicit-def: $vgpr36
	s_and_saveexec_b64 s[12:13], vcc
	s_cbranch_execz .LBB293_118
; %bb.81:
	v_cmp_ne_u16_sdwa s[4:5], v14, v15 src0_sel:WORD_1 src1_sel:DWORD
	v_add_u32_e32 v18, 3, v40
	v_cndmask_b32_e64 v14, 0, 1, s[4:5]
	v_alignbit_b32 v17, v14, v2, 16
	v_cmp_gt_u32_e32 vcc, s81, v18
	s_mov_b64 s[16:17], 0
	v_mov_b32_e32 v18, 0
	v_mov_b32_e32 v19, 0
	;; [unrolled: 1-line block ×18, first 2 shown]
                                        ; implicit-def: $sgpr4_sgpr5
                                        ; implicit-def: $vgpr36
	s_and_saveexec_b64 s[14:15], vcc
	s_cbranch_execz .LBB293_117
; %bb.82:
	v_cmp_ne_u16_sdwa s[4:5], v15, v15 src0_sel:DWORD src1_sel:WORD_1
	v_and_b32_e32 v2, 0xffff, v3
	v_add_u32_e32 v14, 4, v40
	v_cndmask_b32_e64 v18, 0, 1, s[4:5]
	v_lshl_or_b32 v18, v18, 16, v2
	v_cmp_gt_u32_e32 vcc, s81, v14
	s_mov_b64 s[18:19], 0
	v_mov_b32_e32 v19, 0
	v_mov_b32_e32 v20, 0
	;; [unrolled: 1-line block ×17, first 2 shown]
                                        ; implicit-def: $sgpr4_sgpr5
                                        ; implicit-def: $vgpr36
	s_and_saveexec_b64 s[16:17], vcc
	s_cbranch_execz .LBB293_116
; %bb.83:
	v_cmp_ne_u16_sdwa s[4:5], v15, v12 src0_sel:WORD_1 src1_sel:DWORD
	v_add_u32_e32 v2, 5, v40
	v_cndmask_b32_e64 v14, 0, 1, s[4:5]
	v_alignbit_b32 v19, v14, v3, 16
	v_cmp_gt_u32_e32 vcc, s81, v2
	s_mov_b64 s[20:21], 0
	v_mov_b32_e32 v20, 0
	v_mov_b32_e32 v21, 0
	;; [unrolled: 1-line block ×16, first 2 shown]
                                        ; implicit-def: $sgpr4_sgpr5
                                        ; implicit-def: $vgpr36
	s_and_saveexec_b64 s[18:19], vcc
	s_cbranch_execz .LBB293_115
; %bb.84:
	v_cmp_ne_u16_sdwa s[4:5], v12, v12 src0_sel:DWORD src1_sel:WORD_1
	v_and_b32_e32 v2, 0xffff, v4
	v_add_u32_e32 v3, 6, v40
	v_cndmask_b32_e64 v14, 0, 1, s[4:5]
	v_lshl_or_b32 v20, v14, 16, v2
	v_cmp_gt_u32_e32 vcc, s81, v3
	s_mov_b64 s[22:23], 0
	v_mov_b32_e32 v21, 0
	v_mov_b32_e32 v22, 0
	v_mov_b32_e32 v23, 0
	v_mov_b32_e32 v24, 0
	v_mov_b32_e32 v25, 0
	v_mov_b32_e32 v26, 0
	v_mov_b32_e32 v27, 0
	v_mov_b32_e32 v28, 0
	v_mov_b32_e32 v29, 0
	v_mov_b32_e32 v30, 0
	v_mov_b32_e32 v31, 0
	v_mov_b32_e32 v32, 0
	v_mov_b32_e32 v33, 0
	v_mov_b32_e32 v34, 0
	v_mov_b32_e32 v35, 0
                                        ; implicit-def: $sgpr4_sgpr5
                                        ; implicit-def: $vgpr36
	s_and_saveexec_b64 s[20:21], vcc
	s_cbranch_execz .LBB293_114
; %bb.85:
	v_cmp_ne_u16_sdwa s[4:5], v12, v13 src0_sel:WORD_1 src1_sel:DWORD
	v_add_u32_e32 v2, 7, v40
	v_cndmask_b32_e64 v3, 0, 1, s[4:5]
	v_alignbit_b32 v21, v3, v4, 16
	v_cmp_gt_u32_e32 vcc, s81, v2
	s_mov_b64 s[24:25], 0
	v_mov_b32_e32 v22, 0
	v_mov_b32_e32 v23, 0
	;; [unrolled: 1-line block ×14, first 2 shown]
                                        ; implicit-def: $sgpr4_sgpr5
                                        ; implicit-def: $vgpr36
	s_and_saveexec_b64 s[22:23], vcc
	s_cbranch_execz .LBB293_113
; %bb.86:
	v_cmp_ne_u16_sdwa s[4:5], v13, v13 src0_sel:DWORD src1_sel:WORD_1
	v_and_b32_e32 v2, 0xffff, v5
	v_add_u32_e32 v3, 8, v40
	v_cndmask_b32_e64 v4, 0, 1, s[4:5]
	v_lshl_or_b32 v22, v4, 16, v2
	v_cmp_gt_u32_e32 vcc, s81, v3
	s_mov_b64 s[26:27], 0
	v_mov_b32_e32 v23, 0
	v_mov_b32_e32 v24, 0
	;; [unrolled: 1-line block ×13, first 2 shown]
                                        ; implicit-def: $sgpr4_sgpr5
                                        ; implicit-def: $vgpr36
	s_and_saveexec_b64 s[24:25], vcc
	s_cbranch_execz .LBB293_112
; %bb.87:
	v_cmp_ne_u16_sdwa s[4:5], v13, v10 src0_sel:WORD_1 src1_sel:DWORD
	v_add_u32_e32 v2, 9, v40
	v_cndmask_b32_e64 v3, 0, 1, s[4:5]
	v_alignbit_b32 v23, v3, v5, 16
	v_cmp_gt_u32_e32 vcc, s81, v2
	s_mov_b64 s[28:29], 0
	v_mov_b32_e32 v24, 0
	v_mov_b32_e32 v25, 0
	;; [unrolled: 1-line block ×12, first 2 shown]
                                        ; implicit-def: $sgpr4_sgpr5
                                        ; implicit-def: $vgpr36
	s_and_saveexec_b64 s[26:27], vcc
	s_cbranch_execz .LBB293_111
; %bb.88:
	ds_read_b128 v[2:5], v37 offset:18
	v_add_u32_e32 v12, 10, v40
	v_cmp_ne_u16_sdwa s[4:5], v10, v10 src0_sel:DWORD src1_sel:WORD_1
	v_cndmask_b32_e64 v13, 0, 1, s[4:5]
	v_cmp_gt_u32_e32 vcc, s81, v12
	s_waitcnt lgkmcnt(0)
	v_and_b32_e32 v12, 0xffff, v2
	v_lshl_or_b32 v24, v13, 16, v12
	s_mov_b64 s[30:31], 0
	v_mov_b32_e32 v25, 0
	v_mov_b32_e32 v26, 0
	v_mov_b32_e32 v27, 0
	v_mov_b32_e32 v28, 0
	v_mov_b32_e32 v29, 0
	v_mov_b32_e32 v30, 0
	v_mov_b32_e32 v31, 0
	v_mov_b32_e32 v32, 0
	v_mov_b32_e32 v33, 0
	v_mov_b32_e32 v34, 0
	v_mov_b32_e32 v35, 0
                                        ; implicit-def: $sgpr4_sgpr5
                                        ; implicit-def: $vgpr36
	s_and_saveexec_b64 s[28:29], vcc
	s_cbranch_execz .LBB293_110
; %bb.89:
	v_cmp_ne_u16_sdwa s[4:5], v10, v11 src0_sel:WORD_1 src1_sel:DWORD
	v_add_u32_e32 v12, 11, v40
	v_cndmask_b32_e64 v10, 0, 1, s[4:5]
	v_alignbit_b32 v25, v10, v2, 16
	v_cmp_gt_u32_e32 vcc, s81, v12
	s_mov_b64 s[34:35], 0
	v_mov_b32_e32 v26, 0
	v_mov_b32_e32 v27, 0
	;; [unrolled: 1-line block ×10, first 2 shown]
                                        ; implicit-def: $sgpr4_sgpr5
                                        ; implicit-def: $vgpr36
	s_and_saveexec_b64 s[30:31], vcc
	s_cbranch_execz .LBB293_109
; %bb.90:
	v_cmp_ne_u16_sdwa s[4:5], v11, v11 src0_sel:DWORD src1_sel:WORD_1
	v_and_b32_e32 v2, 0xffff, v3
	v_add_u32_e32 v10, 12, v40
	v_cndmask_b32_e64 v12, 0, 1, s[4:5]
	v_lshl_or_b32 v26, v12, 16, v2
	v_cmp_gt_u32_e32 vcc, s81, v10
	s_mov_b64 s[36:37], 0
	v_mov_b32_e32 v27, 0
	v_mov_b32_e32 v28, 0
	;; [unrolled: 1-line block ×9, first 2 shown]
                                        ; implicit-def: $sgpr4_sgpr5
                                        ; implicit-def: $vgpr36
	s_and_saveexec_b64 s[34:35], vcc
	s_cbranch_execz .LBB293_108
; %bb.91:
	v_cmp_ne_u16_sdwa s[4:5], v11, v8 src0_sel:WORD_1 src1_sel:DWORD
	v_add_u32_e32 v2, 13, v40
	v_cndmask_b32_e64 v10, 0, 1, s[4:5]
	v_alignbit_b32 v27, v10, v3, 16
	v_cmp_gt_u32_e32 vcc, s81, v2
	s_mov_b64 s[38:39], 0
	v_mov_b32_e32 v28, 0
	v_mov_b32_e32 v29, 0
	;; [unrolled: 1-line block ×8, first 2 shown]
                                        ; implicit-def: $sgpr4_sgpr5
                                        ; implicit-def: $vgpr36
	s_and_saveexec_b64 s[36:37], vcc
	s_cbranch_execz .LBB293_107
; %bb.92:
	v_cmp_ne_u16_sdwa s[4:5], v8, v8 src0_sel:DWORD src1_sel:WORD_1
	v_and_b32_e32 v2, 0xffff, v4
	v_add_u32_e32 v3, 14, v40
	v_cndmask_b32_e64 v10, 0, 1, s[4:5]
	v_lshl_or_b32 v28, v10, 16, v2
	v_cmp_gt_u32_e32 vcc, s81, v3
	s_mov_b64 s[40:41], 0
	v_mov_b32_e32 v29, 0
	v_mov_b32_e32 v30, 0
	;; [unrolled: 1-line block ×7, first 2 shown]
                                        ; implicit-def: $sgpr4_sgpr5
                                        ; implicit-def: $vgpr36
	s_and_saveexec_b64 s[38:39], vcc
	s_cbranch_execz .LBB293_106
; %bb.93:
	v_cmp_ne_u16_sdwa s[4:5], v8, v9 src0_sel:WORD_1 src1_sel:DWORD
	v_add_u32_e32 v2, 15, v40
	v_cndmask_b32_e64 v3, 0, 1, s[4:5]
	v_alignbit_b32 v29, v3, v4, 16
	v_cmp_gt_u32_e32 vcc, s81, v2
	s_mov_b64 s[42:43], 0
	v_mov_b32_e32 v30, 0
	v_mov_b32_e32 v31, 0
	;; [unrolled: 1-line block ×6, first 2 shown]
                                        ; implicit-def: $sgpr4_sgpr5
                                        ; implicit-def: $vgpr36
	s_and_saveexec_b64 s[40:41], vcc
	s_cbranch_execz .LBB293_105
; %bb.94:
	v_cmp_ne_u16_sdwa s[4:5], v9, v9 src0_sel:DWORD src1_sel:WORD_1
	v_and_b32_e32 v2, 0xffff, v5
	v_add_u32_e32 v3, 16, v40
	v_cndmask_b32_e64 v4, 0, 1, s[4:5]
	v_lshl_or_b32 v30, v4, 16, v2
	v_cmp_gt_u32_e32 vcc, s81, v3
	s_mov_b64 s[44:45], 0
	v_mov_b32_e32 v31, 0
	v_mov_b32_e32 v32, 0
	v_mov_b32_e32 v33, 0
	v_mov_b32_e32 v34, 0
	v_mov_b32_e32 v35, 0
                                        ; implicit-def: $sgpr4_sgpr5
                                        ; implicit-def: $vgpr36
	s_and_saveexec_b64 s[42:43], vcc
	s_cbranch_execz .LBB293_104
; %bb.95:
	v_cmp_ne_u16_sdwa s[4:5], v9, v6 src0_sel:WORD_1 src1_sel:DWORD
	v_add_u32_e32 v2, 17, v40
	v_cndmask_b32_e64 v3, 0, 1, s[4:5]
	v_alignbit_b32 v31, v3, v5, 16
	v_cmp_gt_u32_e32 vcc, s81, v2
	s_mov_b64 s[46:47], 0
	v_mov_b32_e32 v32, 0
	v_mov_b32_e32 v33, 0
	;; [unrolled: 1-line block ×4, first 2 shown]
                                        ; implicit-def: $sgpr4_sgpr5
                                        ; implicit-def: $vgpr36
	s_and_saveexec_b64 s[44:45], vcc
	s_cbranch_execz .LBB293_103
; %bb.96:
	ds_read_b64 v[2:3], v37 offset:34
	v_add_u32_e32 v4, 18, v40
	v_cmp_ne_u16_sdwa s[4:5], v6, v6 src0_sel:DWORD src1_sel:WORD_1
	v_cndmask_b32_e64 v5, 0, 1, s[4:5]
	v_cmp_gt_u32_e32 vcc, s81, v4
	s_waitcnt lgkmcnt(0)
	v_and_b32_e32 v4, 0xffff, v2
	v_lshl_or_b32 v32, v5, 16, v4
	s_mov_b64 s[48:49], 0
	v_mov_b32_e32 v33, 0
	v_mov_b32_e32 v34, 0
	v_mov_b32_e32 v35, 0
                                        ; implicit-def: $sgpr4_sgpr5
                                        ; implicit-def: $vgpr36
	s_and_saveexec_b64 s[46:47], vcc
	s_cbranch_execz .LBB293_102
; %bb.97:
	v_cmp_ne_u16_sdwa s[4:5], v6, v7 src0_sel:WORD_1 src1_sel:DWORD
	v_add_u32_e32 v4, 19, v40
	v_cndmask_b32_e64 v5, 0, 1, s[4:5]
	v_alignbit_b32 v33, v5, v2, 16
	v_cmp_gt_u32_e32 vcc, s81, v4
	s_mov_b64 s[50:51], 0
	v_mov_b32_e32 v34, 0
	v_mov_b32_e32 v35, 0
                                        ; implicit-def: $sgpr64_sgpr65
                                        ; implicit-def: $vgpr36
	s_and_saveexec_b64 s[48:49], vcc
	s_cbranch_execz .LBB293_101
; %bb.98:
	v_cmp_ne_u16_sdwa s[4:5], v7, v7 src0_sel:DWORD src1_sel:WORD_1
	v_and_b32_e32 v2, 0xffff, v3
	v_add_u32_e32 v4, 20, v40
	v_cndmask_b32_e64 v5, 0, 1, s[4:5]
	v_lshl_or_b32 v34, v5, 16, v2
	v_cmp_gt_u32_e32 vcc, s81, v4
	s_mov_b64 s[4:5], 0
	v_mov_b32_e32 v35, 0
                                        ; implicit-def: $sgpr50_sgpr51
                                        ; implicit-def: $vgpr36
	s_and_saveexec_b64 s[64:65], vcc
	s_xor_b64 s[64:65], exec, s[64:65]
	s_cbranch_execz .LBB293_100
; %bb.99:
	ds_read_u16 v36, v37 offset:42
	v_add_u32_e32 v2, 21, v40
	v_cmp_ne_u16_sdwa s[4:5], v7, v38 src0_sel:WORD_1 src1_sel:DWORD
	v_cmp_ne_u16_e32 vcc, v38, v39
	v_cndmask_b32_e64 v4, 0, 1, s[4:5]
	v_cmp_gt_u32_e64 s[4:5], s81, v2
	v_alignbit_b32 v35, v4, v3, 16
	s_and_b64 s[50:51], vcc, exec
	s_and_b64 s[4:5], s[4:5], exec
.LBB293_100:
	s_or_b64 exec, exec, s[64:65]
	s_and_b64 s[64:65], s[50:51], exec
	s_and_b64 s[50:51], s[4:5], exec
.LBB293_101:
	s_or_b64 exec, exec, s[48:49]
	s_and_b64 s[4:5], s[64:65], exec
	s_and_b64 s[48:49], s[50:51], exec
.LBB293_102:
	s_or_b64 exec, exec, s[46:47]
	s_and_b64 s[4:5], s[4:5], exec
	s_and_b64 s[46:47], s[48:49], exec
.LBB293_103:
	s_or_b64 exec, exec, s[44:45]
	s_and_b64 s[4:5], s[4:5], exec
	s_and_b64 s[44:45], s[46:47], exec
.LBB293_104:
	s_or_b64 exec, exec, s[42:43]
	s_and_b64 s[4:5], s[4:5], exec
	s_and_b64 s[42:43], s[44:45], exec
.LBB293_105:
	s_or_b64 exec, exec, s[40:41]
	s_and_b64 s[4:5], s[4:5], exec
	s_and_b64 s[40:41], s[42:43], exec
.LBB293_106:
	s_or_b64 exec, exec, s[38:39]
	s_and_b64 s[4:5], s[4:5], exec
	s_and_b64 s[38:39], s[40:41], exec
.LBB293_107:
	s_or_b64 exec, exec, s[36:37]
	s_and_b64 s[4:5], s[4:5], exec
	s_and_b64 s[36:37], s[38:39], exec
.LBB293_108:
	s_or_b64 exec, exec, s[34:35]
	s_and_b64 s[4:5], s[4:5], exec
	s_and_b64 s[34:35], s[36:37], exec
.LBB293_109:
	s_or_b64 exec, exec, s[30:31]
	s_and_b64 s[4:5], s[4:5], exec
	s_and_b64 s[30:31], s[34:35], exec
.LBB293_110:
	s_or_b64 exec, exec, s[28:29]
	s_and_b64 s[4:5], s[4:5], exec
	s_and_b64 s[28:29], s[30:31], exec
.LBB293_111:
	s_or_b64 exec, exec, s[26:27]
	s_and_b64 s[4:5], s[4:5], exec
	s_and_b64 s[26:27], s[28:29], exec
.LBB293_112:
	s_or_b64 exec, exec, s[24:25]
	s_and_b64 s[4:5], s[4:5], exec
	s_and_b64 s[24:25], s[26:27], exec
.LBB293_113:
	s_or_b64 exec, exec, s[22:23]
	s_and_b64 s[4:5], s[4:5], exec
	s_and_b64 s[22:23], s[24:25], exec
.LBB293_114:
	s_or_b64 exec, exec, s[20:21]
	s_and_b64 s[4:5], s[4:5], exec
	s_and_b64 s[20:21], s[22:23], exec
.LBB293_115:
	s_or_b64 exec, exec, s[18:19]
	s_and_b64 s[4:5], s[4:5], exec
	s_and_b64 s[18:19], s[20:21], exec
.LBB293_116:
	s_or_b64 exec, exec, s[16:17]
	s_and_b64 s[4:5], s[4:5], exec
	s_and_b64 s[16:17], s[18:19], exec
.LBB293_117:
	s_or_b64 exec, exec, s[14:15]
	s_and_b64 s[4:5], s[4:5], exec
	s_and_b64 s[14:15], s[16:17], exec
.LBB293_118:
	s_or_b64 exec, exec, s[12:13]
	s_and_b64 s[4:5], s[4:5], exec
	s_and_b64 s[12:13], s[14:15], exec
.LBB293_119:
	s_or_b64 exec, exec, s[10:11]
	s_and_b64 s[4:5], s[4:5], exec
	s_and_b64 s[10:11], s[12:13], exec
.LBB293_120:
	s_or_b64 exec, exec, s[8:9]
	s_and_b64 vcc, exec, s[6:7]
	v_lshlrev_b32_e32 v12, 1, v0
	s_cbranch_vccnz .LBB293_122
	s_branch .LBB293_130
.LBB293_121:
                                        ; implicit-def: $sgpr4_sgpr5
                                        ; implicit-def: $vgpr36
                                        ; implicit-def: $vgpr1
                                        ; implicit-def: $vgpr16
                                        ; implicit-def: $vgpr17
                                        ; implicit-def: $vgpr18
                                        ; implicit-def: $vgpr19
                                        ; implicit-def: $vgpr20
                                        ; implicit-def: $vgpr21
                                        ; implicit-def: $vgpr22
                                        ; implicit-def: $vgpr23
                                        ; implicit-def: $vgpr24
                                        ; implicit-def: $vgpr25
                                        ; implicit-def: $vgpr26
                                        ; implicit-def: $vgpr27
                                        ; implicit-def: $vgpr28
                                        ; implicit-def: $vgpr29
                                        ; implicit-def: $vgpr30
                                        ; implicit-def: $vgpr31
                                        ; implicit-def: $vgpr32
                                        ; implicit-def: $vgpr33
                                        ; implicit-def: $vgpr34
                                        ; implicit-def: $vgpr35
                                        ; implicit-def: $sgpr80
	s_and_b64 vcc, exec, s[6:7]
	v_lshlrev_b32_e32 v12, 1, v0
	s_cbranch_vccz .LBB293_130
.LBB293_122:
	v_mov_b32_e32 v1, s59
	v_add_co_u32_e32 v2, vcc, s58, v12
	v_addc_co_u32_e32 v3, vcc, 0, v1, vcc
	v_add_co_u32_e32 v4, vcc, 0x1000, v2
	v_addc_co_u32_e32 v5, vcc, 0, v3, vcc
	flat_load_ushort v6, v[2:3]
	flat_load_ushort v7, v[2:3] offset:512
	flat_load_ushort v8, v[2:3] offset:1024
	;; [unrolled: 1-line block ×7, first 2 shown]
	v_add_co_u32_e32 v2, vcc, 0x2000, v2
	v_addc_co_u32_e32 v3, vcc, 0, v3, vcc
	flat_load_ushort v15, v[4:5]
	flat_load_ushort v16, v[4:5] offset:512
	flat_load_ushort v17, v[4:5] offset:1024
	;; [unrolled: 1-line block ×7, first 2 shown]
	s_nop 0
	flat_load_ushort v4, v[2:3]
	flat_load_ushort v5, v[2:3] offset:512
	flat_load_ushort v23, v[2:3] offset:1024
	;; [unrolled: 1-line block ×5, first 2 shown]
	v_mad_u32_u24 v1, v0, 42, v12
	s_cmp_eq_u64 s[68:69], 0
	s_waitcnt vmcnt(0) lgkmcnt(0)
	ds_write_b16 v12, v6
	ds_write_b16 v12, v7 offset:512
	ds_write_b16 v12, v8 offset:1024
	;; [unrolled: 1-line block ×21, first 2 shown]
	s_waitcnt lgkmcnt(0)
	s_barrier
	ds_read2_b32 v[10:11], v1 offset1:1
	ds_read2_b32 v[8:9], v1 offset0:2 offset1:3
	ds_read2_b32 v[6:7], v1 offset0:4 offset1:5
	;; [unrolled: 1-line block ×4, first 2 shown]
	ds_read_b32 v13, v1 offset:40
	s_cbranch_scc1 .LBB293_127
; %bb.123:
	s_andn2_b64 vcc, exec, s[60:61]
	s_cbranch_vccnz .LBB293_294
; %bb.124:
	s_lshl_b64 s[4:5], s[68:69], 1
	s_add_u32 s4, s70, s4
	s_addc_u32 s5, s71, s5
	s_add_u32 s4, s4, -2
	s_addc_u32 s5, s5, -1
	s_cbranch_execnz .LBB293_126
.LBB293_125:
	s_add_u32 s4, s58, -2
	s_addc_u32 s5, s59, -1
.LBB293_126:
	s_mov_b64 s[58:59], s[4:5]
.LBB293_127:
	v_pk_mov_b32 v[14:15], s[58:59], s[58:59] op_sel:[0,1]
	flat_load_ushort v15, v[14:15]
	s_movk_i32 s4, 0xffd6
	s_waitcnt lgkmcnt(0)
	v_lshrrev_b32_e32 v14, 16, v13
	v_mad_i32_i24 v16, v0, s4, v1
	ds_write_b16 v16, v14 offset:11264
	s_waitcnt lgkmcnt(0)
	s_barrier
	s_and_saveexec_b64 s[4:5], s[52:53]
	s_cbranch_execz .LBB293_129
; %bb.128:
	s_waitcnt vmcnt(0)
	v_mul_i32_i24_e32 v15, 0xffffffd6, v0
	v_add_u32_e32 v15, v1, v15
	ds_read_u16 v15, v15 offset:11262
.LBB293_129:
	s_or_b64 exec, exec, s[4:5]
	v_mov_b32_e32 v17, s79
	v_add_co_u32_e32 v16, vcc, s78, v12
	v_addc_co_u32_e32 v17, vcc, 0, v17, vcc
	s_movk_i32 s4, 0x1000
	v_add_co_u32_e32 v18, vcc, s4, v16
	v_addc_co_u32_e32 v19, vcc, 0, v17, vcc
	s_movk_i32 s4, 0x2000
	s_waitcnt lgkmcnt(0)
	s_barrier
	flat_load_ushort v20, v[16:17]
	flat_load_ushort v21, v[16:17] offset:512
	flat_load_ushort v22, v[16:17] offset:1024
	;; [unrolled: 1-line block ×7, first 2 shown]
	v_add_co_u32_e32 v16, vcc, s4, v16
	v_addc_co_u32_e32 v17, vcc, 0, v17, vcc
	flat_load_ushort v28, v[18:19]
	flat_load_ushort v29, v[18:19] offset:512
	flat_load_ushort v30, v[18:19] offset:1024
	;; [unrolled: 1-line block ×7, first 2 shown]
	s_nop 0
	flat_load_ushort v18, v[16:17]
	flat_load_ushort v19, v[16:17] offset:512
	flat_load_ushort v36, v[16:17] offset:1024
	flat_load_ushort v37, v[16:17] offset:1536
	flat_load_ushort v38, v[16:17] offset:2048
	flat_load_ushort v39, v[16:17] offset:2560
	v_cmp_ne_u16_sdwa s[6:7], v10, v10 src0_sel:DWORD src1_sel:WORD_1
	v_cndmask_b32_e64 v16, 0, 1, s[6:7]
	v_cmp_ne_u16_sdwa s[6:7], v10, v11 src0_sel:WORD_1 src1_sel:DWORD
	v_cndmask_b32_e64 v40, 0, 1, s[6:7]
	v_cmp_ne_u16_sdwa s[6:7], v11, v11 src0_sel:DWORD src1_sel:WORD_1
	v_cmp_ne_u16_e64 s[4:5], v13, v14
	s_waitcnt vmcnt(0)
	v_cmp_ne_u16_e32 vcc, v15, v10
	v_cndmask_b32_e64 v41, 0, 1, s[6:7]
	v_cmp_ne_u16_sdwa s[6:7], v11, v8 src0_sel:WORD_1 src1_sel:DWORD
	v_cndmask_b32_e64 v17, 0, 1, vcc
	v_cndmask_b32_e64 v42, 0, 1, s[6:7]
	v_cmp_ne_u16_sdwa s[6:7], v8, v8 src0_sel:DWORD src1_sel:WORD_1
	s_mov_b64 s[10:11], -1
                                        ; implicit-def: $sgpr80
	s_waitcnt lgkmcnt(0)
	ds_write_b16 v12, v20
	ds_write_b16 v12, v21 offset:512
	ds_write_b16 v12, v22 offset:1024
	;; [unrolled: 1-line block ×21, first 2 shown]
	s_waitcnt lgkmcnt(0)
	s_barrier
	ds_read2_b32 v[10:11], v1 offset0:8 offset1:9
	ds_read_b32 v35, v1 offset:40
	ds_read2_b32 v[14:15], v1 offset1:1
	ds_read2_b32 v[22:23], v1 offset0:2 offset1:3
	ds_read2_b32 v[26:27], v1 offset0:4 offset1:5
	;; [unrolled: 1-line block ×3, first 2 shown]
	s_waitcnt lgkmcnt(4)
	v_lshrrev_b32_e32 v36, 16, v35
	s_waitcnt lgkmcnt(3)
	v_and_b32_e32 v1, 0xffff, v14
	v_alignbit_b32 v16, v16, v14, 16
	v_and_b32_e32 v14, 0xffff, v15
	v_lshl_or_b32 v1, v17, 16, v1
	v_lshl_or_b32 v17, v40, 16, v14
	v_cndmask_b32_e64 v14, 0, 1, s[6:7]
	v_cmp_ne_u16_sdwa s[6:7], v8, v9 src0_sel:WORD_1 src1_sel:DWORD
	s_waitcnt lgkmcnt(2)
	v_alignbit_b32 v20, v14, v22, 16
	v_and_b32_e32 v14, 0xffff, v23
	v_cndmask_b32_e64 v8, 0, 1, s[6:7]
	v_cmp_ne_u16_sdwa s[6:7], v9, v9 src0_sel:DWORD src1_sel:WORD_1
	v_lshl_or_b32 v21, v8, 16, v14
	v_cndmask_b32_e64 v8, 0, 1, s[6:7]
	v_cmp_ne_u16_sdwa s[6:7], v9, v6 src0_sel:WORD_1 src1_sel:DWORD
	v_alignbit_b32 v18, v41, v15, 16
	v_and_b32_e32 v15, 0xffff, v22
	v_alignbit_b32 v22, v8, v23, 16
	s_waitcnt lgkmcnt(1)
	v_and_b32_e32 v8, 0xffff, v26
	v_cndmask_b32_e64 v9, 0, 1, s[6:7]
	v_cmp_ne_u16_sdwa s[6:7], v6, v6 src0_sel:DWORD src1_sel:WORD_1
	v_lshl_or_b32 v23, v9, 16, v8
	v_cndmask_b32_e64 v8, 0, 1, s[6:7]
	v_cmp_ne_u16_sdwa s[6:7], v6, v7 src0_sel:WORD_1 src1_sel:DWORD
	v_alignbit_b32 v24, v8, v26, 16
	v_and_b32_e32 v8, 0xffff, v27
	v_cndmask_b32_e64 v6, 0, 1, s[6:7]
	v_cmp_ne_u16_sdwa s[6:7], v7, v7 src0_sel:DWORD src1_sel:WORD_1
	v_lshl_or_b32 v25, v6, 16, v8
	v_cndmask_b32_e64 v6, 0, 1, s[6:7]
	v_cmp_ne_u16_sdwa s[6:7], v7, v4 src0_sel:WORD_1 src1_sel:DWORD
	v_alignbit_b32 v26, v6, v27, 16
	s_waitcnt lgkmcnt(0)
	v_and_b32_e32 v6, 0xffff, v30
	v_cndmask_b32_e64 v7, 0, 1, s[6:7]
	v_cmp_ne_u16_sdwa s[6:7], v4, v4 src0_sel:DWORD src1_sel:WORD_1
	v_lshl_or_b32 v27, v7, 16, v6
	v_cndmask_b32_e64 v6, 0, 1, s[6:7]
	v_cmp_ne_u16_sdwa s[6:7], v4, v5 src0_sel:WORD_1 src1_sel:DWORD
	v_alignbit_b32 v28, v6, v30, 16
	v_and_b32_e32 v6, 0xffff, v31
	v_cndmask_b32_e64 v4, 0, 1, s[6:7]
	v_cmp_ne_u16_sdwa s[6:7], v5, v5 src0_sel:DWORD src1_sel:WORD_1
	v_lshl_or_b32 v29, v4, 16, v6
	v_cndmask_b32_e64 v4, 0, 1, s[6:7]
	v_cmp_ne_u16_sdwa s[6:7], v5, v2 src0_sel:WORD_1 src1_sel:DWORD
	v_alignbit_b32 v30, v4, v31, 16
	;; [unrolled: 7-line block ×4, first 2 shown]
	v_and_b32_e32 v2, 0xffff, v35
	v_cndmask_b32_e64 v3, 0, 1, s[6:7]
	v_lshl_or_b32 v19, v42, 16, v15
	v_lshl_or_b32 v35, v3, 16, v2
.LBB293_130:
	v_mov_b32_e32 v13, s80
	s_and_saveexec_b64 s[6:7], s[10:11]
	s_cbranch_execz .LBB293_132
; %bb.131:
	v_mov_b32_e32 v2, 0x10000
	v_cndmask_b32_e64 v2, 0, v2, s[4:5]
	s_waitcnt lgkmcnt(0)
	v_or_b32_sdwa v13, v2, v36 dst_sel:DWORD dst_unused:UNUSED_PAD src0_sel:DWORD src1_sel:WORD_0
.LBB293_132:
	s_or_b64 exec, exec, s[6:7]
	v_or3_b32 v2, v13, v35, v34
	s_cmp_lg_u32 s75, 0
	v_or3_b32 v15, v2, v33, v32
	v_lshrrev_b32_e32 v14, 5, v0
	v_cmp_gt_u32_e32 vcc, 64, v0
	s_waitcnt lgkmcnt(0)
	s_barrier
	s_cbranch_scc0 .LBB293_199
; %bb.133:
	s_mov_b32 s4, 0x10000
	v_cmp_gt_u32_e64 s[6:7], s4, v16
	v_cndmask_b32_e64 v2, 1, v1, s[6:7]
	v_mul_lo_u16_e32 v2, v2, v16
	v_cmp_gt_u32_e64 s[8:9], s4, v17
	v_cndmask_b32_e64 v2, 1, v2, s[8:9]
	v_mul_lo_u16_e32 v2, v2, v17
	;; [unrolled: 3-line block ×21, first 2 shown]
	v_or3_b32 v2, v15, v31, v30
	v_or3_b32 v2, v2, v29, v28
	v_or3_b32 v2, v2, v27, v26
	v_or3_b32 v2, v2, v25, v24
	v_or3_b32 v2, v2, v23, v22
	v_or3_b32 v2, v2, v21, v20
	v_or3_b32 v2, v2, v19, v18
	v_or3_b32 v2, v2, v17, v16
	v_and_b32_e32 v2, 0x10000, v2
	v_lshrrev_b32_e32 v36, 16, v1
	v_cmp_ne_u32_e64 s[4:5], 0, v2
	v_mov_b32_e32 v5, 0x10000
	v_cndmask_b32_e64 v38, v36, 1, s[4:5]
	v_add_lshl_u32 v2, v14, v0, 2
	ds_write_b16 v2, v37
	ds_write_b8 v2, v38 offset:2
	s_waitcnt lgkmcnt(0)
	s_barrier
	s_and_saveexec_b64 s[50:51], vcc
	s_cbranch_execz .LBB293_147
; %bb.134:
	v_lshlrev_b32_e32 v2, 2, v0
	v_lshrrev_b32_e32 v3, 3, v0
	v_add_lshl_u32 v2, v3, v2, 2
	ds_read_b32 v3, v2
	ds_read_u16 v4, v2 offset:4
	ds_read_u8 v6, v2 offset:6
	ds_read_u16 v7, v2 offset:8
	ds_read_u8 v8, v2 offset:10
	;; [unrolled: 2-line block ×3, first 2 shown]
	v_mov_b32_e32 v11, 0
	s_waitcnt lgkmcnt(4)
	v_cmp_eq_u16_sdwa s[4:5], v6, v11 src0_sel:BYTE_0 src1_sel:DWORD
	v_cndmask_b32_e64 v39, 1, v3, s[4:5]
	v_mul_lo_u16_e32 v39, v39, v4
	s_waitcnt lgkmcnt(2)
	v_cmp_eq_u16_sdwa s[4:5], v8, v11 src0_sel:BYTE_0 src1_sel:DWORD
	s_waitcnt lgkmcnt(0)
	v_or_b32_e32 v8, v10, v8
	v_cndmask_b32_e64 v11, 1, v39, s[4:5]
	v_or_b32_e32 v6, v8, v6
	v_mul_lo_u16_e32 v7, v11, v7
	v_cmp_eq_u16_e64 s[4:5], 0, v10
	v_and_b32_e32 v6, 1, v6
	v_and_b32_e32 v4, 0x10000, v3
	v_cndmask_b32_e64 v11, 1, v7, s[4:5]
	v_cmp_eq_u32_e64 s[4:5], 1, v6
	v_mbcnt_lo_u32_b32 v6, -1, 0
	v_mul_lo_u16_e32 v7, v11, v9
	v_cndmask_b32_e64 v39, v4, v5, s[4:5]
	v_mul_lo_u16_e32 v9, v11, v9
	v_and_b32_e32 v5, 0xff000000, v3
	v_mbcnt_hi_u32_b32 v6, -1, v6
	v_or_b32_e32 v10, v39, v5
	v_and_b32_e32 v11, 15, v6
	v_or3_b32 v9, v5, v9, v39
	s_movk_i32 s60, 0xff
	v_lshrrev_b32_e32 v8, 16, v10
	v_mov_b32_dpp v39, v9 row_shr:1 row_mask:0xf bank_mask:0xf
	v_cmp_ne_u32_e64 s[4:5], 0, v11
	s_and_saveexec_b64 s[58:59], s[4:5]
	s_cbranch_execz .LBB293_136
; %bb.135:
	v_and_b32_sdwa v8, v10, s60 dst_sel:DWORD dst_unused:UNUSED_PAD src0_sel:WORD_1 src1_sel:DWORD
	v_cmp_eq_u16_e64 s[4:5], 0, v8
	v_and_b32_e32 v8, 0x10000, v10
	v_mov_b32_e32 v10, 1
	v_cndmask_b32_e64 v9, 1, v39, s[4:5]
	v_and_b32_sdwa v10, v39, v10 dst_sel:DWORD dst_unused:UNUSED_PAD src0_sel:WORD_1 src1_sel:DWORD
	v_cmp_ne_u32_e64 s[4:5], 0, v8
	v_cndmask_b32_e64 v8, v10, 1, s[4:5]
	v_mul_lo_u16_e32 v40, v9, v7
	v_lshlrev_b32_e32 v10, 16, v8
	v_mul_lo_u16_e32 v7, v9, v7
	v_or3_b32 v9, v10, v7, v5
	v_mov_b32_e32 v7, v40
.LBB293_136:
	s_or_b64 exec, exec, s[58:59]
	v_lshrrev_b32_e32 v10, 16, v9
	v_mov_b32_dpp v39, v9 row_shr:2 row_mask:0xf bank_mask:0xf
	v_cmp_lt_u32_e64 s[4:5], 1, v11
	s_and_saveexec_b64 s[58:59], s[4:5]
	s_cbranch_execz .LBB293_138
; %bb.137:
	v_mov_b32_e32 v8, 0
	v_cmp_eq_u16_sdwa s[4:5], v10, v8 src0_sel:BYTE_0 src1_sel:DWORD
	v_and_b32_e32 v8, 0x10000, v9
	v_mov_b32_e32 v9, 1
	v_cndmask_b32_e64 v10, 1, v39, s[4:5]
	v_and_b32_sdwa v9, v39, v9 dst_sel:DWORD dst_unused:UNUSED_PAD src0_sel:WORD_1 src1_sel:DWORD
	v_cmp_ne_u32_e64 s[4:5], 0, v8
	v_cndmask_b32_e64 v8, v9, 1, s[4:5]
	v_mul_lo_u16_e32 v40, v10, v7
	v_lshlrev_b32_e32 v9, 16, v8
	v_mul_lo_u16_e32 v7, v10, v7
	v_or3_b32 v9, v9, v7, v5
	v_mov_b32_e32 v10, v8
	v_mov_b32_e32 v7, v40
.LBB293_138:
	s_or_b64 exec, exec, s[58:59]
	v_mov_b32_dpp v39, v9 row_shr:4 row_mask:0xf bank_mask:0xf
	v_cmp_lt_u32_e64 s[4:5], 3, v11
	s_and_saveexec_b64 s[58:59], s[4:5]
	s_cbranch_execz .LBB293_140
; %bb.139:
	v_mov_b32_e32 v8, 0
	v_cmp_eq_u16_sdwa s[4:5], v10, v8 src0_sel:BYTE_0 src1_sel:DWORD
	v_and_b32_e32 v8, 1, v10
	v_mov_b32_e32 v10, 1
	v_cndmask_b32_e64 v9, 1, v39, s[4:5]
	v_and_b32_sdwa v10, v39, v10 dst_sel:DWORD dst_unused:UNUSED_PAD src0_sel:WORD_1 src1_sel:DWORD
	v_cmp_eq_u32_e64 s[4:5], 1, v8
	v_cndmask_b32_e64 v8, v10, 1, s[4:5]
	v_mul_lo_u16_e32 v40, v9, v7
	v_lshlrev_b32_e32 v10, 16, v8
	v_mul_lo_u16_e32 v7, v9, v7
	v_or3_b32 v9, v10, v7, v5
	v_mov_b32_e32 v10, v8
	v_mov_b32_e32 v7, v40
.LBB293_140:
	s_or_b64 exec, exec, s[58:59]
	v_mov_b32_dpp v39, v9 row_shr:8 row_mask:0xf bank_mask:0xf
	v_cmp_lt_u32_e64 s[4:5], 7, v11
	s_and_saveexec_b64 s[58:59], s[4:5]
	s_cbranch_execz .LBB293_142
; %bb.141:
	v_mov_b32_e32 v8, 0
	v_cmp_eq_u16_sdwa s[4:5], v10, v8 src0_sel:BYTE_0 src1_sel:DWORD
	v_and_b32_e32 v8, 1, v10
	v_mov_b32_e32 v10, 1
	v_cndmask_b32_e64 v9, 1, v39, s[4:5]
	v_and_b32_sdwa v10, v39, v10 dst_sel:DWORD dst_unused:UNUSED_PAD src0_sel:WORD_1 src1_sel:DWORD
	v_cmp_eq_u32_e64 s[4:5], 1, v8
	v_cndmask_b32_e64 v8, v10, 1, s[4:5]
	v_mul_lo_u16_e32 v11, v9, v7
	v_lshlrev_b32_e32 v10, 16, v8
	v_mul_lo_u16_e32 v7, v9, v7
	v_or3_b32 v9, v10, v7, v5
	v_mov_b32_e32 v10, v8
	v_mov_b32_e32 v7, v11
.LBB293_142:
	s_or_b64 exec, exec, s[58:59]
	v_and_b32_e32 v39, 16, v6
	v_mov_b32_dpp v11, v9 row_bcast:15 row_mask:0xf bank_mask:0xf
	v_cmp_ne_u32_e64 s[4:5], 0, v39
	s_and_saveexec_b64 s[58:59], s[4:5]
	s_cbranch_execz .LBB293_144
; %bb.143:
	v_mov_b32_e32 v8, 0
	v_cmp_eq_u16_sdwa s[4:5], v10, v8 src0_sel:BYTE_0 src1_sel:DWORD
	v_and_b32_e32 v8, 1, v10
	v_mov_b32_e32 v10, 1
	v_cndmask_b32_e64 v9, 1, v11, s[4:5]
	v_and_b32_sdwa v10, v11, v10 dst_sel:DWORD dst_unused:UNUSED_PAD src0_sel:WORD_1 src1_sel:DWORD
	v_cmp_eq_u32_e64 s[4:5], 1, v8
	v_cndmask_b32_e64 v8, v10, 1, s[4:5]
	v_mul_lo_u16_e32 v39, v9, v7
	v_lshlrev_b32_e32 v10, 16, v8
	v_mul_lo_u16_e32 v7, v9, v7
	v_or3_b32 v9, v10, v7, v5
	v_mov_b32_e32 v10, v8
	v_mov_b32_e32 v7, v39
.LBB293_144:
	s_or_b64 exec, exec, s[58:59]
	v_mov_b32_dpp v9, v9 row_bcast:31 row_mask:0xf bank_mask:0xf
	v_cmp_lt_u32_e64 s[4:5], 31, v6
	s_and_saveexec_b64 s[58:59], s[4:5]
; %bb.145:
	v_mov_b32_e32 v8, 0
	v_cmp_eq_u16_sdwa s[4:5], v10, v8 src0_sel:BYTE_0 src1_sel:DWORD
	v_cndmask_b32_e64 v8, 1, v9, s[4:5]
	v_mul_lo_u16_e32 v7, v8, v7
	v_and_b32_e32 v8, 1, v10
	v_mov_b32_e32 v10, 1
	v_and_b32_sdwa v9, v9, v10 dst_sel:DWORD dst_unused:UNUSED_PAD src0_sel:WORD_1 src1_sel:DWORD
	v_cmp_eq_u32_e64 s[4:5], 1, v8
	v_cndmask_b32_e64 v8, v9, 1, s[4:5]
; %bb.146:
	s_or_b64 exec, exec, s[58:59]
	v_and_b32_e32 v8, 0xff, v8
	v_lshlrev_b32_e32 v8, 16, v8
	v_and_b32_e32 v7, 0xffff, v7
	v_or3_b32 v5, v8, v7, v5
	v_add_u32_e32 v7, -1, v6
	v_and_b32_e32 v8, 64, v6
	v_cmp_lt_i32_e64 s[4:5], v7, v8
	v_cndmask_b32_e64 v6, v7, v6, s[4:5]
	v_lshlrev_b32_e32 v6, 2, v6
	ds_bpermute_b32 v5, v6, v5
	v_and_b32_e32 v6, 0xff0000, v3
	v_cmp_eq_u32_e64 s[4:5], 0, v6
	; wave barrier
	s_waitcnt lgkmcnt(0)
	v_cndmask_b32_e64 v6, 1, v5, s[4:5]
	v_mul_lo_u16_e32 v3, v6, v3
	v_mov_b32_e32 v6, 1
	v_and_b32_sdwa v5, v5, v6 dst_sel:DWORD dst_unused:UNUSED_PAD src0_sel:WORD_1 src1_sel:DWORD
	v_cmp_eq_u32_e64 s[4:5], 0, v4
	v_cndmask_b32_e64 v4, 1, v5, s[4:5]
	v_cndmask_b32_e64 v3, v3, v37, s[0:1]
	;; [unrolled: 1-line block ×3, first 2 shown]
	ds_write_b16 v2, v3
	ds_write_b8 v2, v4 offset:2
	; wave barrier
	ds_read_u16 v5, v2 offset:4
	ds_read_u8 v6, v2 offset:6
	ds_read_u16 v7, v2 offset:8
	ds_read_u8 v8, v2 offset:10
	;; [unrolled: 2-line block ×3, first 2 shown]
	s_waitcnt lgkmcnt(4)
	v_cmp_eq_u16_e64 s[4:5], 0, v6
	v_cndmask_b32_e64 v3, 1, v3, s[4:5]
	v_mul_lo_u16_e32 v3, v3, v5
	v_and_b32_e32 v5, 1, v6
	v_cmp_eq_u32_e64 s[4:5], 1, v5
	v_cndmask_b32_e64 v4, v4, 1, s[4:5]
	s_waitcnt lgkmcnt(2)
	v_cmp_eq_u16_e64 s[4:5], 0, v8
	v_and_b32_e32 v5, 1, v8
	ds_write_b16 v2, v3 offset:4
	ds_write_b8 v2, v4 offset:6
	v_cndmask_b32_e64 v3, 1, v3, s[4:5]
	v_cmp_eq_u32_e64 s[4:5], 1, v5
	v_mul_lo_u16_e32 v3, v3, v7
	v_cndmask_b32_e64 v4, v4, 1, s[4:5]
	s_waitcnt lgkmcnt(2)
	v_cmp_eq_u16_e64 s[4:5], 0, v10
	ds_write_b16 v2, v3 offset:8
	ds_write_b8 v2, v4 offset:10
	v_cndmask_b32_e64 v3, 1, v3, s[4:5]
	v_and_b32_e32 v5, 1, v10
	v_mul_lo_u16_e32 v3, v3, v9
	v_cmp_eq_u32_e64 s[4:5], 1, v5
	v_cndmask_b32_e64 v4, v4, 1, s[4:5]
	ds_write_b16 v2, v3 offset:12
	ds_write_b8 v2, v4 offset:14
.LBB293_147:
	s_or_b64 exec, exec, s[50:51]
	s_waitcnt lgkmcnt(0)
	s_barrier
	s_and_saveexec_b64 s[4:5], s[52:53]
	s_cbranch_execz .LBB293_149
; %bb.148:
	v_add_u32_e32 v2, -1, v0
	v_lshrrev_b32_e32 v3, 5, v2
	v_add_lshl_u32 v2, v3, v2, 2
	ds_read_u16 v37, v2
	ds_read_u8 v38, v2 offset:2
.LBB293_149:
	s_or_b64 exec, exec, s[4:5]
	s_and_saveexec_b64 s[4:5], vcc
	s_cbranch_execz .LBB293_196
; %bb.150:
	v_mov_b32_e32 v11, 0
	ds_read_b32 v2, v11 offset:1048
	v_mbcnt_lo_u32_b32 v3, -1, 0
	v_mbcnt_hi_u32_b32 v5, -1, v3
	s_mov_b32 s61, 0
	v_cmp_eq_u32_e64 s[50:51], 0, v5
	s_and_saveexec_b64 s[58:59], s[50:51]
	s_cbranch_execz .LBB293_152
; %bb.151:
	s_add_i32 s60, s75, 64
	s_lshl_b64 s[60:61], s[60:61], 3
	s_add_u32 s60, s72, s60
	v_mov_b32_e32 v3, 1
	s_addc_u32 s61, s73, s61
	s_waitcnt lgkmcnt(0)
	global_store_dwordx2 v11, v[2:3], s[60:61]
.LBB293_152:
	s_or_b64 exec, exec, s[58:59]
	v_xad_u32 v4, v5, -1, s75
	v_add_u32_e32 v10, 64, v4
	v_lshlrev_b64 v[6:7], 3, v[10:11]
	v_mov_b32_e32 v3, s73
	v_add_co_u32_e32 v6, vcc, s72, v6
	v_addc_co_u32_e32 v7, vcc, v3, v7, vcc
	global_load_dwordx2 v[8:9], v[6:7], off glc
	s_waitcnt vmcnt(0)
	v_cmp_eq_u16_sdwa s[60:61], v9, v11 src0_sel:BYTE_0 src1_sel:DWORD
	s_and_saveexec_b64 s[58:59], s[60:61]
	s_cbranch_execz .LBB293_158
; %bb.153:
	s_mov_b32 s64, 1
	s_mov_b64 s[60:61], 0
	v_mov_b32_e32 v3, 0
.LBB293_154:                            ; =>This Loop Header: Depth=1
                                        ;     Child Loop BB293_155 Depth 2
	s_max_u32 s65, s64, 1
.LBB293_155:                            ;   Parent Loop BB293_154 Depth=1
                                        ; =>  This Inner Loop Header: Depth=2
	s_add_i32 s65, s65, -1
	s_cmp_eq_u32 s65, 0
	s_sleep 1
	s_cbranch_scc0 .LBB293_155
; %bb.156:                              ;   in Loop: Header=BB293_154 Depth=1
	global_load_dwordx2 v[8:9], v[6:7], off glc
	s_cmp_lt_u32 s64, 32
	s_cselect_b64 s[68:69], -1, 0
	s_cmp_lg_u64 s[68:69], 0
	s_addc_u32 s64, s64, 0
	s_waitcnt vmcnt(0)
	v_cmp_ne_u16_sdwa s[68:69], v9, v3 src0_sel:BYTE_0 src1_sel:DWORD
	s_or_b64 s[60:61], s[68:69], s[60:61]
	s_andn2_b64 exec, exec, s[60:61]
	s_cbranch_execnz .LBB293_154
; %bb.157:
	s_or_b64 exec, exec, s[60:61]
.LBB293_158:
	s_or_b64 exec, exec, s[58:59]
	v_mov_b32_e32 v3, 2
	v_cmp_eq_u16_sdwa s[58:59], v9, v3 src0_sel:BYTE_0 src1_sel:DWORD
	v_lshlrev_b64 v[6:7], v5, -1
	v_and_b32_e32 v3, s59, v7
	v_or_b32_e32 v3, 0x80000000, v3
	v_ffbl_b32_e32 v3, v3
	v_add_u32_e32 v11, 32, v3
	v_and_b32_e32 v3, 63, v5
	v_cmp_ne_u32_e32 vcc, 63, v3
	v_addc_co_u32_e32 v39, vcc, 0, v5, vcc
	v_and_b32_e32 v50, 0xffffff, v8
	v_lshlrev_b32_e32 v39, 2, v39
	ds_bpermute_b32 v40, v39, v50
	v_and_b32_e32 v10, s58, v6
	v_ffbl_b32_e32 v10, v10
	v_min_u32_e32 v11, v10, v11
	v_lshrrev_b32_e32 v10, 16, v8
	v_cmp_lt_u32_e32 vcc, v3, v11
	v_bfe_u32 v48, v8, 16, 8
	s_and_saveexec_b64 s[58:59], vcc
	s_cbranch_execz .LBB293_160
; %bb.159:
	v_and_b32_e32 v10, 0xff0000, v8
	v_cmp_eq_u32_e32 vcc, 0, v10
	v_and_b32_e32 v10, 0x10000, v10
	v_mov_b32_e32 v43, 1
	s_waitcnt lgkmcnt(0)
	v_cndmask_b32_e32 v41, 1, v40, vcc
	v_and_b32_sdwa v40, v40, v43 dst_sel:DWORD dst_unused:UNUSED_PAD src0_sel:WORD_1 src1_sel:DWORD
	v_cmp_ne_u32_e32 vcc, 0, v10
	v_cndmask_b32_e64 v10, v40, 1, vcc
	v_mul_lo_u16_e32 v42, v41, v8
	v_lshlrev_b32_e32 v40, 16, v10
	v_mul_lo_u16_e32 v8, v41, v8
	v_or_b32_e32 v50, v40, v8
	v_mov_b32_e32 v8, v42
	v_mov_b32_e32 v48, v10
.LBB293_160:
	s_or_b64 exec, exec, s[58:59]
	v_cmp_gt_u32_e32 vcc, 62, v3
	s_waitcnt lgkmcnt(0)
	v_cndmask_b32_e64 v40, 0, 1, vcc
	v_lshlrev_b32_e32 v40, 1, v40
	v_add_lshl_u32 v40, v40, v5, 2
	ds_bpermute_b32 v42, v40, v50
	v_add_u32_e32 v41, 2, v3
	v_cmp_le_u32_e32 vcc, v41, v11
	s_and_saveexec_b64 s[58:59], vcc
	s_cbranch_execz .LBB293_162
; %bb.161:
	v_cmp_eq_u16_e32 vcc, 0, v48
	v_and_b32_e32 v10, 1, v48
	v_mov_b32_e32 v45, 1
	s_waitcnt lgkmcnt(0)
	v_cndmask_b32_e32 v43, 1, v42, vcc
	v_and_b32_sdwa v42, v42, v45 dst_sel:DWORD dst_unused:UNUSED_PAD src0_sel:WORD_1 src1_sel:DWORD
	v_cmp_eq_u32_e32 vcc, 1, v10
	v_cndmask_b32_e64 v10, v42, 1, vcc
	v_mul_lo_u16_e32 v44, v43, v8
	v_lshlrev_b32_e32 v42, 16, v10
	v_mul_lo_u16_e32 v8, v43, v8
	v_or_b32_e32 v50, v42, v8
	v_mov_b32_e32 v8, v44
	v_mov_b32_e32 v48, v10
.LBB293_162:
	s_or_b64 exec, exec, s[58:59]
	v_cmp_gt_u32_e32 vcc, 60, v3
	s_waitcnt lgkmcnt(0)
	v_cndmask_b32_e64 v42, 0, 1, vcc
	v_lshlrev_b32_e32 v42, 2, v42
	v_add_lshl_u32 v42, v42, v5, 2
	ds_bpermute_b32 v44, v42, v50
	v_add_u32_e32 v43, 4, v3
	v_cmp_le_u32_e32 vcc, v43, v11
	s_and_saveexec_b64 s[58:59], vcc
	s_cbranch_execz .LBB293_164
; %bb.163:
	v_cmp_eq_u16_e32 vcc, 0, v48
	v_and_b32_e32 v10, 1, v48
	v_mov_b32_e32 v47, 1
	s_waitcnt lgkmcnt(0)
	v_cndmask_b32_e32 v45, 1, v44, vcc
	v_and_b32_sdwa v44, v44, v47 dst_sel:DWORD dst_unused:UNUSED_PAD src0_sel:WORD_1 src1_sel:DWORD
	v_cmp_eq_u32_e32 vcc, 1, v10
	v_cndmask_b32_e64 v10, v44, 1, vcc
	v_mul_lo_u16_e32 v46, v45, v8
	v_lshlrev_b32_e32 v44, 16, v10
	v_mul_lo_u16_e32 v8, v45, v8
	v_or_b32_e32 v50, v44, v8
	v_mov_b32_e32 v8, v46
	v_mov_b32_e32 v48, v10
.LBB293_164:
	;; [unrolled: 27-line block ×4, first 2 shown]
	s_or_b64 exec, exec, s[58:59]
	v_cmp_gt_u32_e32 vcc, 32, v3
	s_waitcnt lgkmcnt(0)
	v_cndmask_b32_e64 v49, 0, 1, vcc
	v_lshlrev_b32_e32 v49, 5, v49
	v_add_lshl_u32 v49, v49, v5, 2
	ds_bpermute_b32 v5, v49, v50
	v_add_u32_e32 v50, 32, v3
	v_cmp_le_u32_e32 vcc, v50, v11
	s_and_saveexec_b64 s[58:59], vcc
	s_cbranch_execz .LBB293_170
; %bb.169:
	v_cmp_eq_u16_e32 vcc, 0, v48
	s_waitcnt lgkmcnt(0)
	v_cndmask_b32_e32 v10, 1, v5, vcc
	v_mul_lo_u16_e32 v8, v10, v8
	v_and_b32_e32 v10, 1, v48
	v_mov_b32_e32 v11, 1
	v_and_b32_sdwa v5, v5, v11 dst_sel:DWORD dst_unused:UNUSED_PAD src0_sel:WORD_1 src1_sel:DWORD
	v_cmp_eq_u32_e32 vcc, 1, v10
	v_cndmask_b32_e64 v10, v5, 1, vcc
.LBB293_170:
	s_or_b64 exec, exec, s[58:59]
	s_waitcnt lgkmcnt(0)
	v_mov_b32_e32 v5, 0
	v_mov_b32_e32 v52, 2
	;; [unrolled: 1-line block ×3, first 2 shown]
	s_branch .LBB293_172
.LBB293_171:                            ;   in Loop: Header=BB293_172 Depth=1
	s_or_b64 exec, exec, s[58:59]
	v_cmp_eq_u16_sdwa vcc, v48, v5 src0_sel:BYTE_0 src1_sel:DWORD
	v_and_b32_e32 v10, 1, v48
	v_cndmask_b32_e32 v8, 1, v8, vcc
	v_and_b32_e32 v11, 1, v11
	v_cmp_eq_u32_e32 vcc, 1, v10
	v_subrev_u32_e32 v4, 64, v4
	v_mul_lo_u16_e32 v8, v8, v51
	v_cndmask_b32_e64 v10, v11, 1, vcc
.LBB293_172:                            ; =>This Loop Header: Depth=1
                                        ;     Child Loop BB293_175 Depth 2
                                        ;       Child Loop BB293_176 Depth 3
	v_cmp_ne_u16_sdwa s[58:59], v9, v52 src0_sel:BYTE_0 src1_sel:DWORD
	v_cndmask_b32_e64 v9, 0, 1, s[58:59]
	;;#ASMSTART
	;;#ASMEND
	v_cmp_ne_u32_e32 vcc, 0, v9
	v_mov_b32_e32 v48, v10
	s_cmp_lg_u64 vcc, exec
	v_mov_b32_e32 v51, v8
	s_cbranch_scc1 .LBB293_191
; %bb.173:                              ;   in Loop: Header=BB293_172 Depth=1
	v_lshlrev_b64 v[8:9], 3, v[4:5]
	v_mov_b32_e32 v11, s73
	v_add_co_u32_e32 v10, vcc, s72, v8
	v_addc_co_u32_e32 v11, vcc, v11, v9, vcc
	global_load_dwordx2 v[8:9], v[10:11], off glc
	s_waitcnt vmcnt(0)
	v_cmp_eq_u16_sdwa s[60:61], v9, v5 src0_sel:BYTE_0 src1_sel:DWORD
	s_and_saveexec_b64 s[58:59], s[60:61]
	s_cbranch_execz .LBB293_179
; %bb.174:                              ;   in Loop: Header=BB293_172 Depth=1
	s_mov_b32 s64, 1
	s_mov_b64 s[60:61], 0
.LBB293_175:                            ;   Parent Loop BB293_172 Depth=1
                                        ; =>  This Loop Header: Depth=2
                                        ;       Child Loop BB293_176 Depth 3
	s_max_u32 s65, s64, 1
.LBB293_176:                            ;   Parent Loop BB293_172 Depth=1
                                        ;     Parent Loop BB293_175 Depth=2
                                        ; =>    This Inner Loop Header: Depth=3
	s_add_i32 s65, s65, -1
	s_cmp_eq_u32 s65, 0
	s_sleep 1
	s_cbranch_scc0 .LBB293_176
; %bb.177:                              ;   in Loop: Header=BB293_175 Depth=2
	global_load_dwordx2 v[8:9], v[10:11], off glc
	s_cmp_lt_u32 s64, 32
	s_cselect_b64 s[68:69], -1, 0
	s_cmp_lg_u64 s[68:69], 0
	s_addc_u32 s64, s64, 0
	s_waitcnt vmcnt(0)
	v_cmp_ne_u16_sdwa s[68:69], v9, v5 src0_sel:BYTE_0 src1_sel:DWORD
	s_or_b64 s[60:61], s[68:69], s[60:61]
	s_andn2_b64 exec, exec, s[60:61]
	s_cbranch_execnz .LBB293_175
; %bb.178:                              ;   in Loop: Header=BB293_172 Depth=1
	s_or_b64 exec, exec, s[60:61]
.LBB293_179:                            ;   in Loop: Header=BB293_172 Depth=1
	s_or_b64 exec, exec, s[58:59]
	v_cmp_eq_u16_sdwa s[58:59], v9, v52 src0_sel:BYTE_0 src1_sel:DWORD
	v_and_b32_e32 v10, s59, v7
	s_waitcnt lgkmcnt(0)
	v_and_b32_e32 v55, 0xffffff, v8
	v_or_b32_e32 v10, 0x80000000, v10
	ds_bpermute_b32 v56, v39, v55
	v_and_b32_e32 v11, s58, v6
	v_ffbl_b32_e32 v10, v10
	v_add_u32_e32 v10, 32, v10
	v_ffbl_b32_e32 v11, v11
	v_min_u32_e32 v10, v11, v10
	v_lshrrev_b32_e32 v11, 16, v8
	v_cmp_lt_u32_e32 vcc, v3, v10
	v_bfe_u32 v54, v8, 16, 8
	s_and_saveexec_b64 s[58:59], vcc
	s_cbranch_execz .LBB293_181
; %bb.180:                              ;   in Loop: Header=BB293_172 Depth=1
	v_and_b32_e32 v11, 0xff0000, v8
	v_cmp_eq_u32_e32 vcc, 0, v11
	v_and_b32_e32 v11, 0x10000, v11
	s_waitcnt lgkmcnt(0)
	v_cndmask_b32_e32 v54, 1, v56, vcc
	v_and_b32_sdwa v55, v56, v53 dst_sel:DWORD dst_unused:UNUSED_PAD src0_sel:WORD_1 src1_sel:DWORD
	v_cmp_ne_u32_e32 vcc, 0, v11
	v_cndmask_b32_e64 v11, v55, 1, vcc
	v_mul_lo_u16_e32 v57, v54, v8
	v_lshlrev_b32_e32 v55, 16, v11
	v_mul_lo_u16_e32 v8, v54, v8
	v_or_b32_e32 v55, v55, v8
	v_mov_b32_e32 v8, v57
	v_mov_b32_e32 v54, v11
.LBB293_181:                            ;   in Loop: Header=BB293_172 Depth=1
	s_or_b64 exec, exec, s[58:59]
	s_waitcnt lgkmcnt(0)
	ds_bpermute_b32 v56, v40, v55
	v_cmp_le_u32_e32 vcc, v41, v10
	s_and_saveexec_b64 s[58:59], vcc
	s_cbranch_execz .LBB293_183
; %bb.182:                              ;   in Loop: Header=BB293_172 Depth=1
	v_cmp_eq_u16_e32 vcc, 0, v54
	v_and_b32_e32 v11, 1, v54
	s_waitcnt lgkmcnt(0)
	v_cndmask_b32_e32 v55, 1, v56, vcc
	v_and_b32_sdwa v54, v56, v53 dst_sel:DWORD dst_unused:UNUSED_PAD src0_sel:WORD_1 src1_sel:DWORD
	v_cmp_eq_u32_e32 vcc, 1, v11
	v_cndmask_b32_e64 v11, v54, 1, vcc
	v_mul_lo_u16_e32 v57, v55, v8
	v_lshlrev_b32_e32 v54, 16, v11
	v_mul_lo_u16_e32 v8, v55, v8
	v_or_b32_e32 v55, v54, v8
	v_mov_b32_e32 v8, v57
	v_mov_b32_e32 v54, v11
.LBB293_183:                            ;   in Loop: Header=BB293_172 Depth=1
	s_or_b64 exec, exec, s[58:59]
	s_waitcnt lgkmcnt(0)
	ds_bpermute_b32 v56, v42, v55
	v_cmp_le_u32_e32 vcc, v43, v10
	s_and_saveexec_b64 s[58:59], vcc
	s_cbranch_execz .LBB293_185
; %bb.184:                              ;   in Loop: Header=BB293_172 Depth=1
	v_cmp_eq_u16_e32 vcc, 0, v54
	v_and_b32_e32 v11, 1, v54
	s_waitcnt lgkmcnt(0)
	v_cndmask_b32_e32 v55, 1, v56, vcc
	v_and_b32_sdwa v54, v56, v53 dst_sel:DWORD dst_unused:UNUSED_PAD src0_sel:WORD_1 src1_sel:DWORD
	v_cmp_eq_u32_e32 vcc, 1, v11
	v_cndmask_b32_e64 v11, v54, 1, vcc
	v_mul_lo_u16_e32 v57, v55, v8
	v_lshlrev_b32_e32 v54, 16, v11
	v_mul_lo_u16_e32 v8, v55, v8
	v_or_b32_e32 v55, v54, v8
	v_mov_b32_e32 v8, v57
	v_mov_b32_e32 v54, v11
.LBB293_185:                            ;   in Loop: Header=BB293_172 Depth=1
	;; [unrolled: 21-line block ×4, first 2 shown]
	s_or_b64 exec, exec, s[58:59]
	ds_bpermute_b32 v55, v49, v55
	v_cmp_le_u32_e32 vcc, v50, v10
	s_and_saveexec_b64 s[58:59], vcc
	s_cbranch_execz .LBB293_171
; %bb.190:                              ;   in Loop: Header=BB293_172 Depth=1
	v_cmp_eq_u16_e32 vcc, 0, v54
	s_waitcnt lgkmcnt(0)
	v_cndmask_b32_e32 v10, 1, v55, vcc
	v_mul_lo_u16_e32 v8, v10, v8
	v_and_b32_e32 v10, 1, v54
	v_lshrrev_b32_e32 v11, 16, v55
	v_cmp_eq_u32_e32 vcc, 1, v10
	v_cndmask_b32_e64 v11, v11, 1, vcc
	s_branch .LBB293_171
.LBB293_191:                            ;   in Loop: Header=BB293_172 Depth=1
                                        ; implicit-def: $vgpr10
                                        ; implicit-def: $vgpr8
	s_cbranch_execz .LBB293_172
; %bb.192:
	s_and_saveexec_b64 s[58:59], s[50:51]
	s_cbranch_execz .LBB293_194
; %bb.193:
	v_and_b32_e32 v3, 0xff0000, v2
	s_mov_b32 s51, 0
	v_cmp_eq_u32_e32 vcc, 0, v3
	v_and_b32_e32 v4, 0x10000, v2
	v_mov_b32_e32 v5, 1
	s_add_i32 s50, s75, 64
	v_cndmask_b32_e32 v3, 1, v51, vcc
	v_and_b32_sdwa v5, v48, v5 dst_sel:WORD_1 dst_unused:UNUSED_PAD src0_sel:DWORD src1_sel:DWORD
	v_mov_b32_e32 v6, 0x10000
	v_cmp_eq_u32_e32 vcc, 0, v4
	s_lshl_b64 s[50:51], s[50:51], 3
	v_cndmask_b32_e32 v4, v6, v5, vcc
	s_add_u32 s50, s72, s50
	v_mul_lo_u16_e32 v2, v3, v2
	s_addc_u32 s51, s73, s51
	v_mov_b32_e32 v5, 0
	v_or_b32_e32 v2, v4, v2
	v_mov_b32_e32 v3, 2
	global_store_dwordx2 v5, v[2:3], s[50:51]
.LBB293_194:
	s_or_b64 exec, exec, s[58:59]
	s_and_b64 exec, exec, s[0:1]
	s_cbranch_execz .LBB293_196
; %bb.195:
	v_mov_b32_e32 v2, 0
	ds_write_b16 v2, v51
	ds_write_b8 v2, v48 offset:2
.LBB293_196:
	s_or_b64 exec, exec, s[4:5]
	v_mov_b32_e32 v2, 0
	s_waitcnt lgkmcnt(0)
	s_barrier
	ds_read_b32 v3, v2
	v_mov_b32_e32 v4, v1
	s_and_saveexec_b64 s[4:5], s[52:53]
; %bb.197:
	v_and_b32_e32 v4, 0x10000, v1
	v_and_b32_e32 v5, 1, v38
	v_cmp_ne_u32_e32 vcc, 0, v4
	s_mov_b32 s50, 0x10000
	v_cndmask_b32_e64 v36, v5, 1, vcc
	v_cmp_gt_u32_e32 vcc, s50, v1
	v_cndmask_b32_e32 v4, 1, v37, vcc
	v_mul_lo_u16_e32 v4, v4, v1
; %bb.198:
	s_or_b64 exec, exec, s[4:5]
	v_cmp_eq_u16_sdwa vcc, v36, v2 src0_sel:BYTE_0 src1_sel:DWORD
	s_waitcnt lgkmcnt(0)
	v_cndmask_b32_e32 v2, 1, v3, vcc
	v_mul_lo_u16_e32 v49, v2, v4
	v_cndmask_b32_e64 v2, 1, v49, s[6:7]
	v_mul_lo_u16_e32 v4, v2, v16
	v_cndmask_b32_e64 v2, 1, v4, s[8:9]
	v_mul_lo_u16_e32 v5, v2, v17
	v_cndmask_b32_e64 v2, 1, v5, s[10:11]
	v_mul_lo_u16_e32 v6, v2, v18
	v_cndmask_b32_e64 v2, 1, v6, s[12:13]
	v_mul_lo_u16_e32 v7, v2, v19
	v_cndmask_b32_e64 v2, 1, v7, s[14:15]
	v_mul_lo_u16_e32 v8, v2, v20
	v_cndmask_b32_e64 v2, 1, v8, s[16:17]
	v_mul_lo_u16_e32 v9, v2, v21
	v_cndmask_b32_e64 v2, 1, v9, s[18:19]
	v_mul_lo_u16_e32 v10, v2, v22
	v_cndmask_b32_e64 v2, 1, v10, s[20:21]
	v_mul_lo_u16_e32 v11, v2, v23
	v_cndmask_b32_e64 v2, 1, v11, s[22:23]
	v_mul_lo_u16_e32 v36, v2, v24
	v_cndmask_b32_e64 v2, 1, v36, s[24:25]
	v_mul_lo_u16_e32 v37, v2, v25
	v_cndmask_b32_e64 v2, 1, v37, s[26:27]
	v_mul_lo_u16_e32 v38, v2, v26
	v_cndmask_b32_e64 v2, 1, v38, s[28:29]
	v_mul_lo_u16_e32 v39, v2, v27
	v_cndmask_b32_e64 v2, 1, v39, s[30:31]
	v_mul_lo_u16_e32 v40, v2, v28
	v_cndmask_b32_e64 v2, 1, v40, s[34:35]
	v_mul_lo_u16_e32 v41, v2, v29
	v_cndmask_b32_e64 v2, 1, v41, s[36:37]
	v_mul_lo_u16_e32 v42, v2, v30
	v_cndmask_b32_e64 v2, 1, v42, s[38:39]
	v_mul_lo_u16_e32 v43, v2, v31
	v_cndmask_b32_e64 v2, 1, v43, s[40:41]
	v_mul_lo_u16_e32 v44, v2, v32
	v_cndmask_b32_e64 v2, 1, v44, s[42:43]
	v_mul_lo_u16_e32 v45, v2, v33
	v_cndmask_b32_e64 v2, 1, v45, s[44:45]
	v_mul_lo_u16_e32 v46, v2, v34
	v_cndmask_b32_e64 v2, 1, v46, s[46:47]
	v_mul_lo_u16_e32 v47, v2, v35
	v_cndmask_b32_e64 v2, 1, v47, s[48:49]
	v_mul_lo_u16_e32 v48, v2, v13
	s_branch .LBB293_221
.LBB293_199:
                                        ; implicit-def: $vgpr49
                                        ; implicit-def: $vgpr4
                                        ; implicit-def: $vgpr5
                                        ; implicit-def: $vgpr6
                                        ; implicit-def: $vgpr7
                                        ; implicit-def: $vgpr8
                                        ; implicit-def: $vgpr9
                                        ; implicit-def: $vgpr10
                                        ; implicit-def: $vgpr11
                                        ; implicit-def: $vgpr36
                                        ; implicit-def: $vgpr37
                                        ; implicit-def: $vgpr38
                                        ; implicit-def: $vgpr39
                                        ; implicit-def: $vgpr40
                                        ; implicit-def: $vgpr41
                                        ; implicit-def: $vgpr42
                                        ; implicit-def: $vgpr43
                                        ; implicit-def: $vgpr44
                                        ; implicit-def: $vgpr45
                                        ; implicit-def: $vgpr46
                                        ; implicit-def: $vgpr47
                                        ; implicit-def: $vgpr48
	s_cbranch_execz .LBB293_221
; %bb.200:
	s_cmp_lg_u64 s[76:77], 0
	s_cselect_b32 s7, s67, 0
	s_cselect_b32 s6, s66, 0
	s_cmp_lg_u64 s[6:7], 0
	s_cselect_b64 s[4:5], -1, 0
	s_and_b64 s[8:9], s[0:1], s[4:5]
	s_and_saveexec_b64 s[4:5], s[8:9]
	s_cbranch_execz .LBB293_202
; %bb.201:
	v_mov_b32_e32 v2, 0
	global_load_ushort v3, v2, s[6:7]
	global_load_ubyte v4, v2, s[6:7] offset:2
	s_mov_b32 s6, 0x10000
	v_and_b32_e32 v2, 0x10000, v1
	v_mov_b32_e32 v5, 1
	v_cmp_gt_u32_e32 vcc, s6, v1
	v_mov_b32_e32 v6, 0x10000
	s_waitcnt vmcnt(1)
	v_cndmask_b32_e32 v3, 1, v3, vcc
	s_waitcnt vmcnt(0)
	v_and_b32_sdwa v4, v4, v5 dst_sel:WORD_1 dst_unused:UNUSED_PAD src0_sel:DWORD src1_sel:DWORD
	v_cmp_eq_u32_e32 vcc, 0, v2
	v_mul_lo_u16_e32 v1, v3, v1
	v_cndmask_b32_e32 v2, v6, v4, vcc
	v_or_b32_e32 v1, v2, v1
.LBB293_202:
	s_or_b64 exec, exec, s[4:5]
	s_mov_b32 s4, 0x10000
	v_cmp_gt_u32_e32 vcc, s4, v16
	v_cndmask_b32_e32 v3, 1, v1, vcc
	v_mul_lo_u16_e32 v4, v3, v16
	v_cmp_gt_u32_e64 s[6:7], s4, v17
	v_cndmask_b32_e64 v3, 1, v4, s[6:7]
	v_mul_lo_u16_e32 v5, v3, v17
	v_cmp_gt_u32_e64 s[8:9], s4, v18
	v_cndmask_b32_e64 v3, 1, v5, s[8:9]
	;; [unrolled: 3-line block ×20, first 2 shown]
	v_mul_lo_u16_e32 v48, v3, v13
	v_or3_b32 v3, v15, v31, v30
	v_or3_b32 v3, v3, v29, v28
	;; [unrolled: 1-line block ×8, first 2 shown]
	v_and_b32_e32 v3, 0x10000, v3
	v_lshrrev_b32_e32 v2, 16, v1
	v_cmp_ne_u32_e64 s[4:5], 0, v3
	v_mov_b32_e32 v49, 0x10000
	v_cndmask_b32_e64 v3, v2, 1, s[4:5]
	v_add_lshl_u32 v2, v14, v0, 2
	v_cmp_gt_u32_e64 s[4:5], 64, v0
	ds_write_b16 v2, v48
	ds_write_b8 v2, v3 offset:2
	s_waitcnt lgkmcnt(0)
	s_barrier
	s_and_saveexec_b64 s[48:49], s[4:5]
	s_cbranch_execz .LBB293_216
; %bb.203:
	v_lshlrev_b32_e32 v2, 2, v0
	v_lshrrev_b32_e32 v14, 3, v0
	v_add_lshl_u32 v2, v14, v2, 2
	ds_read_b32 v14, v2
	ds_read_u16 v15, v2 offset:4
	ds_read_u8 v50, v2 offset:6
	ds_read_u16 v51, v2 offset:8
	ds_read_u8 v52, v2 offset:10
	;; [unrolled: 2-line block ×3, first 2 shown]
	v_mov_b32_e32 v55, 0
	s_waitcnt lgkmcnt(4)
	v_cmp_eq_u16_sdwa s[4:5], v50, v55 src0_sel:BYTE_0 src1_sel:DWORD
	v_cndmask_b32_e64 v56, 1, v14, s[4:5]
	v_mul_lo_u16_e32 v56, v56, v15
	s_waitcnt lgkmcnt(2)
	v_cmp_eq_u16_sdwa s[4:5], v52, v55 src0_sel:BYTE_0 src1_sel:DWORD
	s_waitcnt lgkmcnt(0)
	v_or_b32_e32 v52, v54, v52
	v_cndmask_b32_e64 v55, 1, v56, s[4:5]
	v_or_b32_e32 v50, v52, v50
	v_mul_lo_u16_e32 v51, v55, v51
	v_cmp_eq_u16_e64 s[4:5], 0, v54
	v_and_b32_e32 v50, 1, v50
	v_and_b32_e32 v15, 0x10000, v14
	v_cndmask_b32_e64 v55, 1, v51, s[4:5]
	v_cmp_eq_u32_e64 s[4:5], 1, v50
	v_mbcnt_lo_u32_b32 v50, -1, 0
	v_mul_lo_u16_e32 v51, v55, v53
	v_cndmask_b32_e64 v56, v15, v49, s[4:5]
	v_mul_lo_u16_e32 v53, v55, v53
	v_and_b32_e32 v49, 0xff000000, v14
	v_mbcnt_hi_u32_b32 v50, -1, v50
	v_or_b32_e32 v54, v56, v49
	v_and_b32_e32 v55, 15, v50
	v_or3_b32 v53, v49, v53, v56
	s_movk_i32 s58, 0xff
	v_lshrrev_b32_e32 v52, 16, v54
	v_mov_b32_dpp v56, v53 row_shr:1 row_mask:0xf bank_mask:0xf
	v_cmp_ne_u32_e64 s[4:5], 0, v55
	s_and_saveexec_b64 s[50:51], s[4:5]
	s_cbranch_execz .LBB293_205
; %bb.204:
	v_and_b32_sdwa v52, v54, s58 dst_sel:DWORD dst_unused:UNUSED_PAD src0_sel:WORD_1 src1_sel:DWORD
	v_cmp_eq_u16_e64 s[4:5], 0, v52
	v_and_b32_e32 v52, 0x10000, v54
	v_mov_b32_e32 v54, 1
	v_cndmask_b32_e64 v53, 1, v56, s[4:5]
	v_and_b32_sdwa v54, v56, v54 dst_sel:DWORD dst_unused:UNUSED_PAD src0_sel:WORD_1 src1_sel:DWORD
	v_cmp_ne_u32_e64 s[4:5], 0, v52
	v_cndmask_b32_e64 v52, v54, 1, s[4:5]
	v_mul_lo_u16_e32 v57, v53, v51
	v_lshlrev_b32_e32 v54, 16, v52
	v_mul_lo_u16_e32 v51, v53, v51
	v_or3_b32 v53, v54, v51, v49
	v_mov_b32_e32 v51, v57
.LBB293_205:
	s_or_b64 exec, exec, s[50:51]
	v_lshrrev_b32_e32 v54, 16, v53
	v_mov_b32_dpp v56, v53 row_shr:2 row_mask:0xf bank_mask:0xf
	v_cmp_lt_u32_e64 s[4:5], 1, v55
	s_and_saveexec_b64 s[50:51], s[4:5]
	s_cbranch_execz .LBB293_207
; %bb.206:
	v_mov_b32_e32 v52, 0
	v_cmp_eq_u16_sdwa s[4:5], v54, v52 src0_sel:BYTE_0 src1_sel:DWORD
	v_and_b32_e32 v52, 0x10000, v53
	v_mov_b32_e32 v53, 1
	v_cndmask_b32_e64 v54, 1, v56, s[4:5]
	v_and_b32_sdwa v53, v56, v53 dst_sel:DWORD dst_unused:UNUSED_PAD src0_sel:WORD_1 src1_sel:DWORD
	v_cmp_ne_u32_e64 s[4:5], 0, v52
	v_cndmask_b32_e64 v52, v53, 1, s[4:5]
	v_mul_lo_u16_e32 v57, v54, v51
	v_lshlrev_b32_e32 v53, 16, v52
	v_mul_lo_u16_e32 v51, v54, v51
	v_or3_b32 v53, v53, v51, v49
	v_mov_b32_e32 v54, v52
	v_mov_b32_e32 v51, v57
.LBB293_207:
	s_or_b64 exec, exec, s[50:51]
	v_mov_b32_dpp v56, v53 row_shr:4 row_mask:0xf bank_mask:0xf
	v_cmp_lt_u32_e64 s[4:5], 3, v55
	s_and_saveexec_b64 s[50:51], s[4:5]
	s_cbranch_execz .LBB293_209
; %bb.208:
	v_mov_b32_e32 v52, 0
	v_cmp_eq_u16_sdwa s[4:5], v54, v52 src0_sel:BYTE_0 src1_sel:DWORD
	v_and_b32_e32 v52, 1, v54
	v_mov_b32_e32 v54, 1
	v_cndmask_b32_e64 v53, 1, v56, s[4:5]
	v_and_b32_sdwa v54, v56, v54 dst_sel:DWORD dst_unused:UNUSED_PAD src0_sel:WORD_1 src1_sel:DWORD
	v_cmp_eq_u32_e64 s[4:5], 1, v52
	v_cndmask_b32_e64 v52, v54, 1, s[4:5]
	v_mul_lo_u16_e32 v57, v53, v51
	v_lshlrev_b32_e32 v54, 16, v52
	v_mul_lo_u16_e32 v51, v53, v51
	v_or3_b32 v53, v54, v51, v49
	v_mov_b32_e32 v54, v52
	v_mov_b32_e32 v51, v57
.LBB293_209:
	s_or_b64 exec, exec, s[50:51]
	v_mov_b32_dpp v56, v53 row_shr:8 row_mask:0xf bank_mask:0xf
	v_cmp_lt_u32_e64 s[4:5], 7, v55
	s_and_saveexec_b64 s[50:51], s[4:5]
	s_cbranch_execz .LBB293_211
; %bb.210:
	v_mov_b32_e32 v52, 0
	v_cmp_eq_u16_sdwa s[4:5], v54, v52 src0_sel:BYTE_0 src1_sel:DWORD
	v_and_b32_e32 v52, 1, v54
	v_mov_b32_e32 v54, 1
	v_cndmask_b32_e64 v53, 1, v56, s[4:5]
	v_and_b32_sdwa v54, v56, v54 dst_sel:DWORD dst_unused:UNUSED_PAD src0_sel:WORD_1 src1_sel:DWORD
	v_cmp_eq_u32_e64 s[4:5], 1, v52
	v_cndmask_b32_e64 v52, v54, 1, s[4:5]
	v_mul_lo_u16_e32 v55, v53, v51
	v_lshlrev_b32_e32 v54, 16, v52
	v_mul_lo_u16_e32 v51, v53, v51
	v_or3_b32 v53, v54, v51, v49
	v_mov_b32_e32 v54, v52
	v_mov_b32_e32 v51, v55
.LBB293_211:
	s_or_b64 exec, exec, s[50:51]
	v_and_b32_e32 v56, 16, v50
	v_mov_b32_dpp v55, v53 row_bcast:15 row_mask:0xf bank_mask:0xf
	v_cmp_ne_u32_e64 s[4:5], 0, v56
	s_and_saveexec_b64 s[50:51], s[4:5]
	s_cbranch_execz .LBB293_213
; %bb.212:
	v_mov_b32_e32 v52, 0
	v_cmp_eq_u16_sdwa s[4:5], v54, v52 src0_sel:BYTE_0 src1_sel:DWORD
	v_and_b32_e32 v52, 1, v54
	v_mov_b32_e32 v54, 1
	v_cndmask_b32_e64 v53, 1, v55, s[4:5]
	v_and_b32_sdwa v54, v55, v54 dst_sel:DWORD dst_unused:UNUSED_PAD src0_sel:WORD_1 src1_sel:DWORD
	v_cmp_eq_u32_e64 s[4:5], 1, v52
	v_cndmask_b32_e64 v52, v54, 1, s[4:5]
	v_mul_lo_u16_e32 v56, v53, v51
	v_lshlrev_b32_e32 v54, 16, v52
	v_mul_lo_u16_e32 v51, v53, v51
	v_or3_b32 v53, v54, v51, v49
	v_mov_b32_e32 v54, v52
	v_mov_b32_e32 v51, v56
.LBB293_213:
	s_or_b64 exec, exec, s[50:51]
	v_mov_b32_dpp v53, v53 row_bcast:31 row_mask:0xf bank_mask:0xf
	v_cmp_lt_u32_e64 s[4:5], 31, v50
	s_and_saveexec_b64 s[50:51], s[4:5]
; %bb.214:
	v_mov_b32_e32 v52, 0
	v_cmp_eq_u16_sdwa s[4:5], v54, v52 src0_sel:BYTE_0 src1_sel:DWORD
	v_cndmask_b32_e64 v52, 1, v53, s[4:5]
	v_mul_lo_u16_e32 v51, v52, v51
	v_and_b32_e32 v52, 1, v54
	v_mov_b32_e32 v54, 1
	v_and_b32_sdwa v53, v53, v54 dst_sel:DWORD dst_unused:UNUSED_PAD src0_sel:WORD_1 src1_sel:DWORD
	v_cmp_eq_u32_e64 s[4:5], 1, v52
	v_cndmask_b32_e64 v52, v53, 1, s[4:5]
; %bb.215:
	s_or_b64 exec, exec, s[50:51]
	v_and_b32_e32 v52, 0xff, v52
	v_lshlrev_b32_e32 v52, 16, v52
	v_and_b32_e32 v51, 0xffff, v51
	v_or3_b32 v49, v52, v51, v49
	v_add_u32_e32 v51, -1, v50
	v_and_b32_e32 v52, 64, v50
	v_cmp_lt_i32_e64 s[4:5], v51, v52
	v_cndmask_b32_e64 v50, v51, v50, s[4:5]
	v_lshlrev_b32_e32 v50, 2, v50
	ds_bpermute_b32 v49, v50, v49
	v_and_b32_e32 v50, 0xff0000, v14
	v_cmp_eq_u32_e64 s[4:5], 0, v50
	; wave barrier
	s_waitcnt lgkmcnt(0)
	v_cndmask_b32_e64 v50, 1, v49, s[4:5]
	v_mul_lo_u16_e32 v14, v50, v14
	v_mov_b32_e32 v50, 1
	v_and_b32_sdwa v49, v49, v50 dst_sel:DWORD dst_unused:UNUSED_PAD src0_sel:WORD_1 src1_sel:DWORD
	v_cmp_eq_u32_e64 s[4:5], 0, v15
	v_cndmask_b32_e64 v15, 1, v49, s[4:5]
	v_cndmask_b32_e64 v14, v14, v48, s[0:1]
	;; [unrolled: 1-line block ×3, first 2 shown]
	ds_write_b16 v2, v14
	ds_write_b8 v2, v3 offset:2
	; wave barrier
	ds_read_u16 v15, v2 offset:4
	ds_read_u8 v49, v2 offset:6
	ds_read_u16 v50, v2 offset:8
	ds_read_u8 v51, v2 offset:10
	;; [unrolled: 2-line block ×3, first 2 shown]
	s_waitcnt lgkmcnt(4)
	v_cmp_eq_u16_e64 s[4:5], 0, v49
	v_cndmask_b32_e64 v14, 1, v14, s[4:5]
	v_mul_lo_u16_e32 v14, v14, v15
	v_and_b32_e32 v15, 1, v49
	v_cmp_eq_u32_e64 s[4:5], 1, v15
	v_cndmask_b32_e64 v3, v3, 1, s[4:5]
	s_waitcnt lgkmcnt(2)
	v_cmp_eq_u16_e64 s[4:5], 0, v51
	v_and_b32_e32 v15, 1, v51
	ds_write_b16 v2, v14 offset:4
	ds_write_b8 v2, v3 offset:6
	v_cndmask_b32_e64 v14, 1, v14, s[4:5]
	v_cmp_eq_u32_e64 s[4:5], 1, v15
	v_mul_lo_u16_e32 v14, v14, v50
	v_cndmask_b32_e64 v3, v3, 1, s[4:5]
	s_waitcnt lgkmcnt(2)
	v_cmp_eq_u16_e64 s[4:5], 0, v53
	ds_write_b16 v2, v14 offset:8
	ds_write_b8 v2, v3 offset:10
	v_cndmask_b32_e64 v14, 1, v14, s[4:5]
	v_and_b32_e32 v15, 1, v53
	v_mul_lo_u16_e32 v14, v14, v52
	v_cmp_eq_u32_e64 s[4:5], 1, v15
	v_cndmask_b32_e64 v3, v3, 1, s[4:5]
	ds_write_b16 v2, v14 offset:12
	ds_write_b8 v2, v3 offset:14
.LBB293_216:
	s_or_b64 exec, exec, s[48:49]
	v_mov_b32_e32 v2, v48
	s_waitcnt lgkmcnt(0)
	s_barrier
	s_and_saveexec_b64 s[4:5], s[52:53]
	s_cbranch_execnz .LBB293_291
; %bb.217:
	s_or_b64 exec, exec, s[4:5]
	s_and_saveexec_b64 s[48:49], s[52:53]
	s_cbranch_execnz .LBB293_292
.LBB293_218:
	s_or_b64 exec, exec, s[48:49]
	s_and_saveexec_b64 s[4:5], s[0:1]
	s_cbranch_execz .LBB293_220
.LBB293_219:
	v_mov_b32_e32 v13, 0
	s_waitcnt lgkmcnt(0)
	ds_read_u8 v2, v13 offset:1050
	ds_read_u16 v3, v13 offset:1048
	s_waitcnt lgkmcnt(1)
	v_lshlrev_b32_e32 v2, 16, v2
	s_waitcnt lgkmcnt(0)
	v_or_b32_e32 v2, v2, v3
	v_mov_b32_e32 v3, 2
	global_store_dwordx2 v13, v[2:3], s[72:73] offset:512
.LBB293_220:
	s_or_b64 exec, exec, s[4:5]
	v_mov_b32_e32 v49, v1
.LBB293_221:
	s_add_u32 s0, s62, s54
	s_addc_u32 s1, s63, s55
	s_add_u32 s4, s0, s56
	s_addc_u32 s5, s1, s57
	s_and_b64 vcc, exec, s[2:3]
	v_mul_u32_u24_e32 v14, 22, v0
	s_cbranch_vccz .LBB293_265
; %bb.222:
	s_mov_b32 s0, 0x5040100
	v_lshlrev_b32_e32 v33, 1, v14
	v_perm_b32 v1, v6, v5, s0
	s_waitcnt lgkmcnt(0)
	v_perm_b32 v2, v4, v49, s0
	s_barrier
	ds_write2_b32 v33, v2, v1 offset1:1
	v_perm_b32 v1, v10, v9, s0
	v_perm_b32 v2, v8, v7, s0
	ds_write2_b32 v33, v2, v1 offset0:2 offset1:3
	v_perm_b32 v1, v38, v37, s0
	v_perm_b32 v2, v36, v11, s0
	ds_write2_b32 v33, v2, v1 offset0:4 offset1:5
	;; [unrolled: 3-line block ×4, first 2 shown]
	v_perm_b32 v1, v48, v47, s0
	s_movk_i32 s0, 0xffd6
	v_mad_i32_i24 v2, v0, s0, v33
	ds_write_b32 v33, v1 offset:40
	s_waitcnt lgkmcnt(0)
	s_barrier
	ds_read_u16 v35, v2 offset:512
	ds_read_u16 v34, v2 offset:1024
	;; [unrolled: 1-line block ×21, first 2 shown]
	v_mov_b32_e32 v3, s5
	v_add_co_u32_e32 v2, vcc, s4, v12
	s_add_i32 s33, s33, s74
	v_addc_co_u32_e32 v3, vcc, 0, v3, vcc
	v_mov_b32_e32 v1, 0
	v_cmp_gt_u32_e32 vcc, s33, v0
	s_and_saveexec_b64 s[0:1], vcc
	s_cbranch_execz .LBB293_224
; %bb.223:
	v_mul_i32_i24_e32 v50, 0xffffffd6, v0
	v_add_u32_e32 v33, v33, v50
	ds_read_u16 v33, v33
	s_waitcnt lgkmcnt(0)
	flat_store_short v[2:3], v33
.LBB293_224:
	s_or_b64 exec, exec, s[0:1]
	v_or_b32_e32 v33, 0x100, v0
	v_cmp_gt_u32_e32 vcc, s33, v33
	s_and_saveexec_b64 s[0:1], vcc
	s_cbranch_execz .LBB293_226
; %bb.225:
	s_waitcnt lgkmcnt(0)
	flat_store_short v[2:3], v35 offset:512
.LBB293_226:
	s_or_b64 exec, exec, s[0:1]
	v_or_b32_e32 v33, 0x200, v0
	v_cmp_gt_u32_e32 vcc, s33, v33
	s_and_saveexec_b64 s[0:1], vcc
	s_cbranch_execz .LBB293_228
; %bb.227:
	s_waitcnt lgkmcnt(0)
	flat_store_short v[2:3], v34 offset:1024
.LBB293_228:
	;; [unrolled: 9-line block ×3, first 2 shown]
	s_or_b64 exec, exec, s[0:1]
	s_waitcnt lgkmcnt(0)
	v_or_b32_e32 v32, 0x400, v0
	v_cmp_gt_u32_e32 vcc, s33, v32
	s_and_saveexec_b64 s[0:1], vcc
	s_cbranch_execz .LBB293_232
; %bb.231:
	flat_store_short v[2:3], v31 offset:2048
.LBB293_232:
	s_or_b64 exec, exec, s[0:1]
	v_or_b32_e32 v31, 0x500, v0
	v_cmp_gt_u32_e32 vcc, s33, v31
	s_and_saveexec_b64 s[0:1], vcc
	s_cbranch_execz .LBB293_234
; %bb.233:
	flat_store_short v[2:3], v30 offset:2560
.LBB293_234:
	s_or_b64 exec, exec, s[0:1]
	;; [unrolled: 8-line block ×4, first 2 shown]
	v_or_b32_e32 v28, 0x800, v0
	v_cmp_gt_u32_e32 vcc, s33, v28
	s_and_saveexec_b64 s[0:1], vcc
	s_cbranch_execz .LBB293_240
; %bb.239:
	v_add_co_u32_e32 v28, vcc, 0x1000, v2
	v_addc_co_u32_e32 v29, vcc, 0, v3, vcc
	flat_store_short v[28:29], v27
.LBB293_240:
	s_or_b64 exec, exec, s[0:1]
	v_or_b32_e32 v27, 0x900, v0
	v_cmp_gt_u32_e32 vcc, s33, v27
	s_and_saveexec_b64 s[0:1], vcc
	s_cbranch_execz .LBB293_242
; %bb.241:
	v_add_co_u32_e32 v28, vcc, 0x1000, v2
	v_addc_co_u32_e32 v29, vcc, 0, v3, vcc
	flat_store_short v[28:29], v26 offset:512
.LBB293_242:
	s_or_b64 exec, exec, s[0:1]
	v_or_b32_e32 v26, 0xa00, v0
	v_cmp_gt_u32_e32 vcc, s33, v26
	s_and_saveexec_b64 s[0:1], vcc
	s_cbranch_execz .LBB293_244
; %bb.243:
	v_add_co_u32_e32 v26, vcc, 0x1000, v2
	v_addc_co_u32_e32 v27, vcc, 0, v3, vcc
	flat_store_short v[26:27], v25 offset:1024
.LBB293_244:
	;; [unrolled: 10-line block ×7, first 2 shown]
	s_or_b64 exec, exec, s[0:1]
	v_or_b32_e32 v20, 0x1000, v0
	v_cmp_gt_u32_e32 vcc, s33, v20
	s_and_saveexec_b64 s[0:1], vcc
	s_cbranch_execz .LBB293_256
; %bb.255:
	v_add_co_u32_e32 v20, vcc, 0x2000, v2
	v_addc_co_u32_e32 v21, vcc, 0, v3, vcc
	flat_store_short v[20:21], v19
.LBB293_256:
	s_or_b64 exec, exec, s[0:1]
	v_or_b32_e32 v19, 0x1100, v0
	v_cmp_gt_u32_e32 vcc, s33, v19
	s_and_saveexec_b64 s[0:1], vcc
	s_cbranch_execz .LBB293_258
; %bb.257:
	v_add_co_u32_e32 v20, vcc, 0x2000, v2
	v_addc_co_u32_e32 v21, vcc, 0, v3, vcc
	flat_store_short v[20:21], v18 offset:512
.LBB293_258:
	s_or_b64 exec, exec, s[0:1]
	v_or_b32_e32 v18, 0x1200, v0
	v_cmp_gt_u32_e32 vcc, s33, v18
	s_and_saveexec_b64 s[0:1], vcc
	s_cbranch_execz .LBB293_260
; %bb.259:
	v_add_co_u32_e32 v18, vcc, 0x2000, v2
	v_addc_co_u32_e32 v19, vcc, 0, v3, vcc
	flat_store_short v[18:19], v17 offset:1024
.LBB293_260:
	;; [unrolled: 10-line block ×4, first 2 shown]
	s_or_b64 exec, exec, s[0:1]
	v_or_b32_e32 v2, 0x1500, v0
	v_cmp_gt_u32_e64 s[0:1], s33, v2
	s_branch .LBB293_267
.LBB293_265:
	s_mov_b64 s[0:1], 0
                                        ; implicit-def: $vgpr13
	s_cbranch_execz .LBB293_267
; %bb.266:
	s_mov_b32 s2, 0x5040100
	s_waitcnt lgkmcnt(0)
	v_lshlrev_b32_e32 v2, 1, v14
	v_perm_b32 v1, v6, v5, s2
	v_perm_b32 v3, v4, v49, s2
	s_barrier
	ds_write2_b32 v2, v3, v1 offset1:1
	v_perm_b32 v1, v10, v9, s2
	v_perm_b32 v3, v8, v7, s2
	ds_write2_b32 v2, v3, v1 offset0:2 offset1:3
	v_perm_b32 v1, v38, v37, s2
	v_perm_b32 v3, v36, v11, s2
	ds_write2_b32 v2, v3, v1 offset0:4 offset1:5
	;; [unrolled: 3-line block ×4, first 2 shown]
	v_perm_b32 v1, v48, v47, s2
	s_movk_i32 s2, 0xffd6
	ds_write_b32 v2, v1 offset:40
	v_mad_i32_i24 v2, v0, s2, v2
	s_waitcnt lgkmcnt(0)
	s_barrier
	ds_read_u16 v4, v2
	ds_read_u16 v5, v2 offset:512
	ds_read_u16 v6, v2 offset:1024
	;; [unrolled: 1-line block ×21, first 2 shown]
	v_mov_b32_e32 v3, s5
	v_add_co_u32_e32 v2, vcc, s4, v12
	v_addc_co_u32_e32 v3, vcc, 0, v3, vcc
	s_movk_i32 s2, 0x1000
	s_waitcnt lgkmcnt(0)
	flat_store_short v[2:3], v4
	flat_store_short v[2:3], v5 offset:512
	flat_store_short v[2:3], v6 offset:1024
	flat_store_short v[2:3], v7 offset:1536
	flat_store_short v[2:3], v8 offset:2048
	flat_store_short v[2:3], v9 offset:2560
	flat_store_short v[2:3], v10 offset:3072
	flat_store_short v[2:3], v11 offset:3584
	v_add_co_u32_e32 v4, vcc, s2, v2
	v_addc_co_u32_e32 v5, vcc, 0, v3, vcc
	v_add_co_u32_e32 v2, vcc, 0x2000, v2
	v_mov_b32_e32 v1, 0
	v_addc_co_u32_e32 v3, vcc, 0, v3, vcc
	s_or_b64 s[0:1], s[0:1], exec
	flat_store_short v[4:5], v14
	flat_store_short v[4:5], v15 offset:512
	flat_store_short v[4:5], v16 offset:1024
	;; [unrolled: 1-line block ×7, first 2 shown]
	flat_store_short v[2:3], v22
	flat_store_short v[2:3], v23 offset:512
	flat_store_short v[2:3], v24 offset:1024
	;; [unrolled: 1-line block ×4, first 2 shown]
.LBB293_267:
	s_and_saveexec_b64 s[2:3], s[0:1]
	s_cbranch_execnz .LBB293_269
; %bb.268:
	s_endpgm
.LBB293_269:
	v_lshlrev_b64 v[0:1], 1, v[0:1]
	s_waitcnt lgkmcnt(0)
	v_mov_b32_e32 v2, s5
	v_add_co_u32_e32 v0, vcc, s4, v0
	v_addc_co_u32_e32 v1, vcc, v2, v1, vcc
	v_add_co_u32_e32 v0, vcc, 0x2000, v0
	v_addc_co_u32_e32 v1, vcc, 0, v1, vcc
	flat_store_short v[0:1], v13 offset:2560
	s_endpgm
.LBB293_270:
	v_mov_b32_e32 v27, s79
	v_add_co_u32_e32 v26, vcc, s78, v18
	v_addc_co_u32_e32 v27, vcc, 0, v27, vcc
	flat_load_ushort v26, v[26:27]
	s_or_b64 exec, exec, s[4:5]
                                        ; implicit-def: $vgpr27
	s_and_saveexec_b64 s[4:5], s[8:9]
	s_cbranch_execz .LBB293_57
.LBB293_271:
	v_mov_b32_e32 v27, s79
	v_add_co_u32_e32 v28, vcc, s78, v18
	v_addc_co_u32_e32 v29, vcc, 0, v27, vcc
	flat_load_ushort v27, v[28:29] offset:512
	s_or_b64 exec, exec, s[4:5]
                                        ; implicit-def: $vgpr28
	s_and_saveexec_b64 s[4:5], s[10:11]
	s_cbranch_execz .LBB293_58
.LBB293_272:
	v_mov_b32_e32 v29, s79
	v_add_co_u32_e32 v28, vcc, s78, v18
	v_addc_co_u32_e32 v29, vcc, 0, v29, vcc
	flat_load_ushort v28, v[28:29] offset:1024
	s_or_b64 exec, exec, s[4:5]
                                        ; implicit-def: $vgpr29
	s_and_saveexec_b64 s[4:5], s[12:13]
	s_cbranch_execz .LBB293_59
.LBB293_273:
	v_mov_b32_e32 v29, s79
	v_add_co_u32_e32 v30, vcc, s78, v18
	v_addc_co_u32_e32 v31, vcc, 0, v29, vcc
	flat_load_ushort v29, v[30:31] offset:1536
	s_or_b64 exec, exec, s[4:5]
                                        ; implicit-def: $vgpr30
	s_and_saveexec_b64 s[4:5], s[14:15]
	s_cbranch_execz .LBB293_60
.LBB293_274:
	v_mov_b32_e32 v31, s79
	v_add_co_u32_e32 v30, vcc, s78, v18
	v_addc_co_u32_e32 v31, vcc, 0, v31, vcc
	flat_load_ushort v30, v[30:31] offset:2048
	s_or_b64 exec, exec, s[4:5]
                                        ; implicit-def: $vgpr31
	s_and_saveexec_b64 s[4:5], s[16:17]
	s_cbranch_execz .LBB293_61
.LBB293_275:
	v_mov_b32_e32 v31, s79
	v_add_co_u32_e32 v32, vcc, s78, v18
	v_addc_co_u32_e32 v33, vcc, 0, v31, vcc
	flat_load_ushort v31, v[32:33] offset:2560
	s_or_b64 exec, exec, s[4:5]
                                        ; implicit-def: $vgpr32
	s_and_saveexec_b64 s[4:5], s[18:19]
	s_cbranch_execz .LBB293_62
.LBB293_276:
	v_mov_b32_e32 v33, s79
	v_add_co_u32_e32 v32, vcc, s78, v18
	v_addc_co_u32_e32 v33, vcc, 0, v33, vcc
	flat_load_ushort v32, v[32:33] offset:3072
	s_or_b64 exec, exec, s[4:5]
                                        ; implicit-def: $vgpr33
	s_and_saveexec_b64 s[4:5], s[20:21]
	s_cbranch_execz .LBB293_63
.LBB293_277:
	v_mov_b32_e32 v33, s79
	v_add_co_u32_e32 v34, vcc, s78, v18
	v_addc_co_u32_e32 v35, vcc, 0, v33, vcc
	flat_load_ushort v33, v[34:35] offset:3584
	s_or_b64 exec, exec, s[4:5]
                                        ; implicit-def: $vgpr34
	s_and_saveexec_b64 s[4:5], s[22:23]
	s_cbranch_execz .LBB293_64
.LBB293_278:
	v_lshlrev_b32_e32 v1, 1, v1
	v_mov_b32_e32 v35, s79
	v_add_co_u32_e32 v34, vcc, s78, v1
	v_addc_co_u32_e32 v35, vcc, 0, v35, vcc
	flat_load_ushort v34, v[34:35]
	s_or_b64 exec, exec, s[4:5]
                                        ; implicit-def: $vgpr1
	s_and_saveexec_b64 s[4:5], s[24:25]
	s_cbranch_execz .LBB293_65
.LBB293_279:
	v_lshlrev_b32_e32 v1, 1, v2
	v_mov_b32_e32 v2, s79
	v_add_co_u32_e32 v42, vcc, s78, v1
	v_addc_co_u32_e32 v43, vcc, 0, v2, vcc
	flat_load_ushort v1, v[42:43]
	s_or_b64 exec, exec, s[4:5]
                                        ; implicit-def: $vgpr2
	s_and_saveexec_b64 s[4:5], s[26:27]
	s_cbranch_execz .LBB293_66
.LBB293_280:
	v_lshlrev_b32_e32 v2, 1, v3
	v_mov_b32_e32 v3, s79
	v_add_co_u32_e32 v2, vcc, s78, v2
	v_addc_co_u32_e32 v3, vcc, 0, v3, vcc
	flat_load_ushort v2, v[2:3]
	s_or_b64 exec, exec, s[4:5]
                                        ; implicit-def: $vgpr3
	s_and_saveexec_b64 s[4:5], s[28:29]
	s_cbranch_execz .LBB293_67
.LBB293_281:
	v_lshlrev_b32_e32 v3, 1, v4
	v_mov_b32_e32 v4, s79
	v_add_co_u32_e32 v42, vcc, s78, v3
	v_addc_co_u32_e32 v43, vcc, 0, v4, vcc
	flat_load_ushort v3, v[42:43]
	s_or_b64 exec, exec, s[4:5]
                                        ; implicit-def: $vgpr4
	s_and_saveexec_b64 s[4:5], s[30:31]
	s_cbranch_execz .LBB293_68
.LBB293_282:
	v_lshlrev_b32_e32 v4, 1, v5
	v_mov_b32_e32 v5, s79
	v_add_co_u32_e32 v4, vcc, s78, v4
	v_addc_co_u32_e32 v5, vcc, 0, v5, vcc
	flat_load_ushort v4, v[4:5]
	s_or_b64 exec, exec, s[4:5]
                                        ; implicit-def: $vgpr5
	s_and_saveexec_b64 s[4:5], s[34:35]
	s_cbranch_execz .LBB293_69
.LBB293_283:
	v_lshlrev_b32_e32 v5, 1, v16
	v_mov_b32_e32 v16, s79
	v_add_co_u32_e32 v42, vcc, s78, v5
	v_addc_co_u32_e32 v43, vcc, 0, v16, vcc
	flat_load_ushort v5, v[42:43]
	s_or_b64 exec, exec, s[4:5]
                                        ; implicit-def: $vgpr16
	s_and_saveexec_b64 s[4:5], s[36:37]
	s_cbranch_execz .LBB293_70
.LBB293_284:
	v_lshlrev_b32_e32 v16, 1, v17
	v_mov_b32_e32 v17, s79
	v_add_co_u32_e32 v16, vcc, s78, v16
	v_addc_co_u32_e32 v17, vcc, 0, v17, vcc
	flat_load_ushort v16, v[16:17]
	s_or_b64 exec, exec, s[4:5]
                                        ; implicit-def: $vgpr17
	s_and_saveexec_b64 s[4:5], s[38:39]
	s_cbranch_execz .LBB293_71
.LBB293_285:
	v_lshlrev_b32_e32 v17, 1, v19
	v_mov_b32_e32 v19, s79
	v_add_co_u32_e32 v42, vcc, s78, v17
	v_addc_co_u32_e32 v43, vcc, 0, v19, vcc
	flat_load_ushort v17, v[42:43]
	s_or_b64 exec, exec, s[4:5]
                                        ; implicit-def: $vgpr19
	s_and_saveexec_b64 s[4:5], s[40:41]
	s_cbranch_execz .LBB293_72
.LBB293_286:
	v_lshlrev_b32_e32 v19, 1, v20
	v_mov_b32_e32 v20, s79
	v_add_co_u32_e32 v42, vcc, s78, v19
	v_addc_co_u32_e32 v43, vcc, 0, v20, vcc
	flat_load_ushort v19, v[42:43]
	s_or_b64 exec, exec, s[4:5]
                                        ; implicit-def: $vgpr20
	s_and_saveexec_b64 s[4:5], s[42:43]
	s_cbranch_execz .LBB293_73
.LBB293_287:
	v_lshlrev_b32_e32 v20, 1, v21
	v_mov_b32_e32 v21, s79
	v_add_co_u32_e32 v20, vcc, s78, v20
	v_addc_co_u32_e32 v21, vcc, 0, v21, vcc
	flat_load_ushort v20, v[20:21]
	s_or_b64 exec, exec, s[4:5]
                                        ; implicit-def: $vgpr21
	s_and_saveexec_b64 s[4:5], s[44:45]
	s_cbranch_execz .LBB293_74
.LBB293_288:
	v_lshlrev_b32_e32 v21, 1, v22
	v_mov_b32_e32 v22, s79
	v_add_co_u32_e32 v42, vcc, s78, v21
	v_addc_co_u32_e32 v43, vcc, 0, v22, vcc
	flat_load_ushort v21, v[42:43]
	s_or_b64 exec, exec, s[4:5]
                                        ; implicit-def: $vgpr22
	s_and_saveexec_b64 s[4:5], s[46:47]
	s_cbranch_execz .LBB293_75
.LBB293_289:
	v_lshlrev_b32_e32 v22, 1, v23
	v_mov_b32_e32 v23, s79
	v_add_co_u32_e32 v22, vcc, s78, v22
	v_addc_co_u32_e32 v23, vcc, 0, v23, vcc
	flat_load_ushort v22, v[22:23]
	s_or_b64 exec, exec, s[4:5]
                                        ; implicit-def: $vgpr23
	s_and_saveexec_b64 s[4:5], s[48:49]
	s_cbranch_execz .LBB293_76
.LBB293_290:
	v_lshlrev_b32_e32 v23, 1, v24
	v_mov_b32_e32 v24, s79
	v_add_co_u32_e32 v42, vcc, s78, v23
	v_addc_co_u32_e32 v43, vcc, 0, v24, vcc
	flat_load_ushort v23, v[42:43]
	s_or_b64 exec, exec, s[4:5]
                                        ; implicit-def: $vgpr24
	s_and_saveexec_b64 s[4:5], s[50:51]
	s_cbranch_execnz .LBB293_77
	s_branch .LBB293_78
.LBB293_291:
	v_add_u32_e32 v2, -1, v0
	v_lshrrev_b32_e32 v3, 5, v2
	v_add_lshl_u32 v2, v3, v2, 2
	ds_read_u16 v2, v2
	s_or_b64 exec, exec, s[4:5]
	s_and_saveexec_b64 s[48:49], s[52:53]
	s_cbranch_execz .LBB293_218
.LBB293_292:
	s_mov_b32 s4, 0x10000
	s_waitcnt lgkmcnt(0)
	v_and_b32_e32 v2, 0xffff, v2
	v_cmp_gt_u32_e64 s[4:5], s4, v1
	v_cndmask_b32_e64 v2, 1, v2, s[4:5]
	v_mul_lo_u32 v1, v2, v1
	v_cndmask_b32_e32 v2, 1, v1, vcc
	v_mul_lo_u16_e32 v4, v2, v16
	v_cndmask_b32_e64 v2, 1, v4, s[6:7]
	v_mul_lo_u16_e32 v5, v2, v17
	v_cndmask_b32_e64 v2, 1, v5, s[8:9]
	;; [unrolled: 2-line block ×20, first 2 shown]
	v_mul_lo_u16_e32 v48, v2, v13
	;;#ASMSTART
	;;#ASMEND
	s_or_b64 exec, exec, s[48:49]
	s_and_saveexec_b64 s[4:5], s[0:1]
	s_cbranch_execnz .LBB293_219
	s_branch .LBB293_220
.LBB293_293:
                                        ; implicit-def: $sgpr4_sgpr5
	s_branch .LBB293_52
.LBB293_294:
                                        ; implicit-def: $sgpr4_sgpr5
	s_branch .LBB293_125
	.section	.rodata,"a",@progbits
	.p2align	6, 0x0
	.amdhsa_kernel _ZN7rocprim17ROCPRIM_400000_NS6detail17trampoline_kernelINS0_14default_configENS1_27scan_by_key_config_selectorIssEEZZNS1_16scan_by_key_implILNS1_25lookback_scan_determinismE0ELb0ES3_N6thrust23THRUST_200600_302600_NS6detail15normal_iteratorINS9_10device_ptrIsEEEESE_SE_sNS9_10multipliesIsEENS9_8equal_toIsEEsEE10hipError_tPvRmT2_T3_T4_T5_mT6_T7_P12ihipStream_tbENKUlT_T0_E_clISt17integral_constantIbLb1EESZ_EEDaSU_SV_EUlSU_E_NS1_11comp_targetILNS1_3genE4ELNS1_11target_archE910ELNS1_3gpuE8ELNS1_3repE0EEENS1_30default_config_static_selectorELNS0_4arch9wavefront6targetE1EEEvT1_
		.amdhsa_group_segment_fixed_size 12288
		.amdhsa_private_segment_fixed_size 0
		.amdhsa_kernarg_size 112
		.amdhsa_user_sgpr_count 6
		.amdhsa_user_sgpr_private_segment_buffer 1
		.amdhsa_user_sgpr_dispatch_ptr 0
		.amdhsa_user_sgpr_queue_ptr 0
		.amdhsa_user_sgpr_kernarg_segment_ptr 1
		.amdhsa_user_sgpr_dispatch_id 0
		.amdhsa_user_sgpr_flat_scratch_init 0
		.amdhsa_user_sgpr_kernarg_preload_length 0
		.amdhsa_user_sgpr_kernarg_preload_offset 0
		.amdhsa_user_sgpr_private_segment_size 0
		.amdhsa_uses_dynamic_stack 0
		.amdhsa_system_sgpr_private_segment_wavefront_offset 0
		.amdhsa_system_sgpr_workgroup_id_x 1
		.amdhsa_system_sgpr_workgroup_id_y 0
		.amdhsa_system_sgpr_workgroup_id_z 0
		.amdhsa_system_sgpr_workgroup_info 0
		.amdhsa_system_vgpr_workitem_id 0
		.amdhsa_next_free_vgpr 58
		.amdhsa_next_free_sgpr 82
		.amdhsa_accum_offset 60
		.amdhsa_reserve_vcc 1
		.amdhsa_reserve_flat_scratch 0
		.amdhsa_float_round_mode_32 0
		.amdhsa_float_round_mode_16_64 0
		.amdhsa_float_denorm_mode_32 3
		.amdhsa_float_denorm_mode_16_64 3
		.amdhsa_dx10_clamp 1
		.amdhsa_ieee_mode 1
		.amdhsa_fp16_overflow 0
		.amdhsa_tg_split 0
		.amdhsa_exception_fp_ieee_invalid_op 0
		.amdhsa_exception_fp_denorm_src 0
		.amdhsa_exception_fp_ieee_div_zero 0
		.amdhsa_exception_fp_ieee_overflow 0
		.amdhsa_exception_fp_ieee_underflow 0
		.amdhsa_exception_fp_ieee_inexact 0
		.amdhsa_exception_int_div_zero 0
	.end_amdhsa_kernel
	.section	.text._ZN7rocprim17ROCPRIM_400000_NS6detail17trampoline_kernelINS0_14default_configENS1_27scan_by_key_config_selectorIssEEZZNS1_16scan_by_key_implILNS1_25lookback_scan_determinismE0ELb0ES3_N6thrust23THRUST_200600_302600_NS6detail15normal_iteratorINS9_10device_ptrIsEEEESE_SE_sNS9_10multipliesIsEENS9_8equal_toIsEEsEE10hipError_tPvRmT2_T3_T4_T5_mT6_T7_P12ihipStream_tbENKUlT_T0_E_clISt17integral_constantIbLb1EESZ_EEDaSU_SV_EUlSU_E_NS1_11comp_targetILNS1_3genE4ELNS1_11target_archE910ELNS1_3gpuE8ELNS1_3repE0EEENS1_30default_config_static_selectorELNS0_4arch9wavefront6targetE1EEEvT1_,"axG",@progbits,_ZN7rocprim17ROCPRIM_400000_NS6detail17trampoline_kernelINS0_14default_configENS1_27scan_by_key_config_selectorIssEEZZNS1_16scan_by_key_implILNS1_25lookback_scan_determinismE0ELb0ES3_N6thrust23THRUST_200600_302600_NS6detail15normal_iteratorINS9_10device_ptrIsEEEESE_SE_sNS9_10multipliesIsEENS9_8equal_toIsEEsEE10hipError_tPvRmT2_T3_T4_T5_mT6_T7_P12ihipStream_tbENKUlT_T0_E_clISt17integral_constantIbLb1EESZ_EEDaSU_SV_EUlSU_E_NS1_11comp_targetILNS1_3genE4ELNS1_11target_archE910ELNS1_3gpuE8ELNS1_3repE0EEENS1_30default_config_static_selectorELNS0_4arch9wavefront6targetE1EEEvT1_,comdat
.Lfunc_end293:
	.size	_ZN7rocprim17ROCPRIM_400000_NS6detail17trampoline_kernelINS0_14default_configENS1_27scan_by_key_config_selectorIssEEZZNS1_16scan_by_key_implILNS1_25lookback_scan_determinismE0ELb0ES3_N6thrust23THRUST_200600_302600_NS6detail15normal_iteratorINS9_10device_ptrIsEEEESE_SE_sNS9_10multipliesIsEENS9_8equal_toIsEEsEE10hipError_tPvRmT2_T3_T4_T5_mT6_T7_P12ihipStream_tbENKUlT_T0_E_clISt17integral_constantIbLb1EESZ_EEDaSU_SV_EUlSU_E_NS1_11comp_targetILNS1_3genE4ELNS1_11target_archE910ELNS1_3gpuE8ELNS1_3repE0EEENS1_30default_config_static_selectorELNS0_4arch9wavefront6targetE1EEEvT1_, .Lfunc_end293-_ZN7rocprim17ROCPRIM_400000_NS6detail17trampoline_kernelINS0_14default_configENS1_27scan_by_key_config_selectorIssEEZZNS1_16scan_by_key_implILNS1_25lookback_scan_determinismE0ELb0ES3_N6thrust23THRUST_200600_302600_NS6detail15normal_iteratorINS9_10device_ptrIsEEEESE_SE_sNS9_10multipliesIsEENS9_8equal_toIsEEsEE10hipError_tPvRmT2_T3_T4_T5_mT6_T7_P12ihipStream_tbENKUlT_T0_E_clISt17integral_constantIbLb1EESZ_EEDaSU_SV_EUlSU_E_NS1_11comp_targetILNS1_3genE4ELNS1_11target_archE910ELNS1_3gpuE8ELNS1_3repE0EEENS1_30default_config_static_selectorELNS0_4arch9wavefront6targetE1EEEvT1_
                                        ; -- End function
	.section	.AMDGPU.csdata,"",@progbits
; Kernel info:
; codeLenInByte = 15748
; NumSgprs: 86
; NumVgprs: 58
; NumAgprs: 0
; TotalNumVgprs: 58
; ScratchSize: 0
; MemoryBound: 0
; FloatMode: 240
; IeeeMode: 1
; LDSByteSize: 12288 bytes/workgroup (compile time only)
; SGPRBlocks: 10
; VGPRBlocks: 7
; NumSGPRsForWavesPerEU: 86
; NumVGPRsForWavesPerEU: 58
; AccumOffset: 60
; Occupancy: 5
; WaveLimiterHint : 1
; COMPUTE_PGM_RSRC2:SCRATCH_EN: 0
; COMPUTE_PGM_RSRC2:USER_SGPR: 6
; COMPUTE_PGM_RSRC2:TRAP_HANDLER: 0
; COMPUTE_PGM_RSRC2:TGID_X_EN: 1
; COMPUTE_PGM_RSRC2:TGID_Y_EN: 0
; COMPUTE_PGM_RSRC2:TGID_Z_EN: 0
; COMPUTE_PGM_RSRC2:TIDIG_COMP_CNT: 0
; COMPUTE_PGM_RSRC3_GFX90A:ACCUM_OFFSET: 14
; COMPUTE_PGM_RSRC3_GFX90A:TG_SPLIT: 0
	.section	.text._ZN7rocprim17ROCPRIM_400000_NS6detail17trampoline_kernelINS0_14default_configENS1_27scan_by_key_config_selectorIssEEZZNS1_16scan_by_key_implILNS1_25lookback_scan_determinismE0ELb0ES3_N6thrust23THRUST_200600_302600_NS6detail15normal_iteratorINS9_10device_ptrIsEEEESE_SE_sNS9_10multipliesIsEENS9_8equal_toIsEEsEE10hipError_tPvRmT2_T3_T4_T5_mT6_T7_P12ihipStream_tbENKUlT_T0_E_clISt17integral_constantIbLb1EESZ_EEDaSU_SV_EUlSU_E_NS1_11comp_targetILNS1_3genE3ELNS1_11target_archE908ELNS1_3gpuE7ELNS1_3repE0EEENS1_30default_config_static_selectorELNS0_4arch9wavefront6targetE1EEEvT1_,"axG",@progbits,_ZN7rocprim17ROCPRIM_400000_NS6detail17trampoline_kernelINS0_14default_configENS1_27scan_by_key_config_selectorIssEEZZNS1_16scan_by_key_implILNS1_25lookback_scan_determinismE0ELb0ES3_N6thrust23THRUST_200600_302600_NS6detail15normal_iteratorINS9_10device_ptrIsEEEESE_SE_sNS9_10multipliesIsEENS9_8equal_toIsEEsEE10hipError_tPvRmT2_T3_T4_T5_mT6_T7_P12ihipStream_tbENKUlT_T0_E_clISt17integral_constantIbLb1EESZ_EEDaSU_SV_EUlSU_E_NS1_11comp_targetILNS1_3genE3ELNS1_11target_archE908ELNS1_3gpuE7ELNS1_3repE0EEENS1_30default_config_static_selectorELNS0_4arch9wavefront6targetE1EEEvT1_,comdat
	.protected	_ZN7rocprim17ROCPRIM_400000_NS6detail17trampoline_kernelINS0_14default_configENS1_27scan_by_key_config_selectorIssEEZZNS1_16scan_by_key_implILNS1_25lookback_scan_determinismE0ELb0ES3_N6thrust23THRUST_200600_302600_NS6detail15normal_iteratorINS9_10device_ptrIsEEEESE_SE_sNS9_10multipliesIsEENS9_8equal_toIsEEsEE10hipError_tPvRmT2_T3_T4_T5_mT6_T7_P12ihipStream_tbENKUlT_T0_E_clISt17integral_constantIbLb1EESZ_EEDaSU_SV_EUlSU_E_NS1_11comp_targetILNS1_3genE3ELNS1_11target_archE908ELNS1_3gpuE7ELNS1_3repE0EEENS1_30default_config_static_selectorELNS0_4arch9wavefront6targetE1EEEvT1_ ; -- Begin function _ZN7rocprim17ROCPRIM_400000_NS6detail17trampoline_kernelINS0_14default_configENS1_27scan_by_key_config_selectorIssEEZZNS1_16scan_by_key_implILNS1_25lookback_scan_determinismE0ELb0ES3_N6thrust23THRUST_200600_302600_NS6detail15normal_iteratorINS9_10device_ptrIsEEEESE_SE_sNS9_10multipliesIsEENS9_8equal_toIsEEsEE10hipError_tPvRmT2_T3_T4_T5_mT6_T7_P12ihipStream_tbENKUlT_T0_E_clISt17integral_constantIbLb1EESZ_EEDaSU_SV_EUlSU_E_NS1_11comp_targetILNS1_3genE3ELNS1_11target_archE908ELNS1_3gpuE7ELNS1_3repE0EEENS1_30default_config_static_selectorELNS0_4arch9wavefront6targetE1EEEvT1_
	.globl	_ZN7rocprim17ROCPRIM_400000_NS6detail17trampoline_kernelINS0_14default_configENS1_27scan_by_key_config_selectorIssEEZZNS1_16scan_by_key_implILNS1_25lookback_scan_determinismE0ELb0ES3_N6thrust23THRUST_200600_302600_NS6detail15normal_iteratorINS9_10device_ptrIsEEEESE_SE_sNS9_10multipliesIsEENS9_8equal_toIsEEsEE10hipError_tPvRmT2_T3_T4_T5_mT6_T7_P12ihipStream_tbENKUlT_T0_E_clISt17integral_constantIbLb1EESZ_EEDaSU_SV_EUlSU_E_NS1_11comp_targetILNS1_3genE3ELNS1_11target_archE908ELNS1_3gpuE7ELNS1_3repE0EEENS1_30default_config_static_selectorELNS0_4arch9wavefront6targetE1EEEvT1_
	.p2align	8
	.type	_ZN7rocprim17ROCPRIM_400000_NS6detail17trampoline_kernelINS0_14default_configENS1_27scan_by_key_config_selectorIssEEZZNS1_16scan_by_key_implILNS1_25lookback_scan_determinismE0ELb0ES3_N6thrust23THRUST_200600_302600_NS6detail15normal_iteratorINS9_10device_ptrIsEEEESE_SE_sNS9_10multipliesIsEENS9_8equal_toIsEEsEE10hipError_tPvRmT2_T3_T4_T5_mT6_T7_P12ihipStream_tbENKUlT_T0_E_clISt17integral_constantIbLb1EESZ_EEDaSU_SV_EUlSU_E_NS1_11comp_targetILNS1_3genE3ELNS1_11target_archE908ELNS1_3gpuE7ELNS1_3repE0EEENS1_30default_config_static_selectorELNS0_4arch9wavefront6targetE1EEEvT1_,@function
_ZN7rocprim17ROCPRIM_400000_NS6detail17trampoline_kernelINS0_14default_configENS1_27scan_by_key_config_selectorIssEEZZNS1_16scan_by_key_implILNS1_25lookback_scan_determinismE0ELb0ES3_N6thrust23THRUST_200600_302600_NS6detail15normal_iteratorINS9_10device_ptrIsEEEESE_SE_sNS9_10multipliesIsEENS9_8equal_toIsEEsEE10hipError_tPvRmT2_T3_T4_T5_mT6_T7_P12ihipStream_tbENKUlT_T0_E_clISt17integral_constantIbLb1EESZ_EEDaSU_SV_EUlSU_E_NS1_11comp_targetILNS1_3genE3ELNS1_11target_archE908ELNS1_3gpuE7ELNS1_3repE0EEENS1_30default_config_static_selectorELNS0_4arch9wavefront6targetE1EEEvT1_: ; @_ZN7rocprim17ROCPRIM_400000_NS6detail17trampoline_kernelINS0_14default_configENS1_27scan_by_key_config_selectorIssEEZZNS1_16scan_by_key_implILNS1_25lookback_scan_determinismE0ELb0ES3_N6thrust23THRUST_200600_302600_NS6detail15normal_iteratorINS9_10device_ptrIsEEEESE_SE_sNS9_10multipliesIsEENS9_8equal_toIsEEsEE10hipError_tPvRmT2_T3_T4_T5_mT6_T7_P12ihipStream_tbENKUlT_T0_E_clISt17integral_constantIbLb1EESZ_EEDaSU_SV_EUlSU_E_NS1_11comp_targetILNS1_3genE3ELNS1_11target_archE908ELNS1_3gpuE7ELNS1_3repE0EEENS1_30default_config_static_selectorELNS0_4arch9wavefront6targetE1EEEvT1_
; %bb.0:
	.section	.rodata,"a",@progbits
	.p2align	6, 0x0
	.amdhsa_kernel _ZN7rocprim17ROCPRIM_400000_NS6detail17trampoline_kernelINS0_14default_configENS1_27scan_by_key_config_selectorIssEEZZNS1_16scan_by_key_implILNS1_25lookback_scan_determinismE0ELb0ES3_N6thrust23THRUST_200600_302600_NS6detail15normal_iteratorINS9_10device_ptrIsEEEESE_SE_sNS9_10multipliesIsEENS9_8equal_toIsEEsEE10hipError_tPvRmT2_T3_T4_T5_mT6_T7_P12ihipStream_tbENKUlT_T0_E_clISt17integral_constantIbLb1EESZ_EEDaSU_SV_EUlSU_E_NS1_11comp_targetILNS1_3genE3ELNS1_11target_archE908ELNS1_3gpuE7ELNS1_3repE0EEENS1_30default_config_static_selectorELNS0_4arch9wavefront6targetE1EEEvT1_
		.amdhsa_group_segment_fixed_size 0
		.amdhsa_private_segment_fixed_size 0
		.amdhsa_kernarg_size 112
		.amdhsa_user_sgpr_count 6
		.amdhsa_user_sgpr_private_segment_buffer 1
		.amdhsa_user_sgpr_dispatch_ptr 0
		.amdhsa_user_sgpr_queue_ptr 0
		.amdhsa_user_sgpr_kernarg_segment_ptr 1
		.amdhsa_user_sgpr_dispatch_id 0
		.amdhsa_user_sgpr_flat_scratch_init 0
		.amdhsa_user_sgpr_kernarg_preload_length 0
		.amdhsa_user_sgpr_kernarg_preload_offset 0
		.amdhsa_user_sgpr_private_segment_size 0
		.amdhsa_uses_dynamic_stack 0
		.amdhsa_system_sgpr_private_segment_wavefront_offset 0
		.amdhsa_system_sgpr_workgroup_id_x 1
		.amdhsa_system_sgpr_workgroup_id_y 0
		.amdhsa_system_sgpr_workgroup_id_z 0
		.amdhsa_system_sgpr_workgroup_info 0
		.amdhsa_system_vgpr_workitem_id 0
		.amdhsa_next_free_vgpr 1
		.amdhsa_next_free_sgpr 0
		.amdhsa_accum_offset 4
		.amdhsa_reserve_vcc 0
		.amdhsa_reserve_flat_scratch 0
		.amdhsa_float_round_mode_32 0
		.amdhsa_float_round_mode_16_64 0
		.amdhsa_float_denorm_mode_32 3
		.amdhsa_float_denorm_mode_16_64 3
		.amdhsa_dx10_clamp 1
		.amdhsa_ieee_mode 1
		.amdhsa_fp16_overflow 0
		.amdhsa_tg_split 0
		.amdhsa_exception_fp_ieee_invalid_op 0
		.amdhsa_exception_fp_denorm_src 0
		.amdhsa_exception_fp_ieee_div_zero 0
		.amdhsa_exception_fp_ieee_overflow 0
		.amdhsa_exception_fp_ieee_underflow 0
		.amdhsa_exception_fp_ieee_inexact 0
		.amdhsa_exception_int_div_zero 0
	.end_amdhsa_kernel
	.section	.text._ZN7rocprim17ROCPRIM_400000_NS6detail17trampoline_kernelINS0_14default_configENS1_27scan_by_key_config_selectorIssEEZZNS1_16scan_by_key_implILNS1_25lookback_scan_determinismE0ELb0ES3_N6thrust23THRUST_200600_302600_NS6detail15normal_iteratorINS9_10device_ptrIsEEEESE_SE_sNS9_10multipliesIsEENS9_8equal_toIsEEsEE10hipError_tPvRmT2_T3_T4_T5_mT6_T7_P12ihipStream_tbENKUlT_T0_E_clISt17integral_constantIbLb1EESZ_EEDaSU_SV_EUlSU_E_NS1_11comp_targetILNS1_3genE3ELNS1_11target_archE908ELNS1_3gpuE7ELNS1_3repE0EEENS1_30default_config_static_selectorELNS0_4arch9wavefront6targetE1EEEvT1_,"axG",@progbits,_ZN7rocprim17ROCPRIM_400000_NS6detail17trampoline_kernelINS0_14default_configENS1_27scan_by_key_config_selectorIssEEZZNS1_16scan_by_key_implILNS1_25lookback_scan_determinismE0ELb0ES3_N6thrust23THRUST_200600_302600_NS6detail15normal_iteratorINS9_10device_ptrIsEEEESE_SE_sNS9_10multipliesIsEENS9_8equal_toIsEEsEE10hipError_tPvRmT2_T3_T4_T5_mT6_T7_P12ihipStream_tbENKUlT_T0_E_clISt17integral_constantIbLb1EESZ_EEDaSU_SV_EUlSU_E_NS1_11comp_targetILNS1_3genE3ELNS1_11target_archE908ELNS1_3gpuE7ELNS1_3repE0EEENS1_30default_config_static_selectorELNS0_4arch9wavefront6targetE1EEEvT1_,comdat
.Lfunc_end294:
	.size	_ZN7rocprim17ROCPRIM_400000_NS6detail17trampoline_kernelINS0_14default_configENS1_27scan_by_key_config_selectorIssEEZZNS1_16scan_by_key_implILNS1_25lookback_scan_determinismE0ELb0ES3_N6thrust23THRUST_200600_302600_NS6detail15normal_iteratorINS9_10device_ptrIsEEEESE_SE_sNS9_10multipliesIsEENS9_8equal_toIsEEsEE10hipError_tPvRmT2_T3_T4_T5_mT6_T7_P12ihipStream_tbENKUlT_T0_E_clISt17integral_constantIbLb1EESZ_EEDaSU_SV_EUlSU_E_NS1_11comp_targetILNS1_3genE3ELNS1_11target_archE908ELNS1_3gpuE7ELNS1_3repE0EEENS1_30default_config_static_selectorELNS0_4arch9wavefront6targetE1EEEvT1_, .Lfunc_end294-_ZN7rocprim17ROCPRIM_400000_NS6detail17trampoline_kernelINS0_14default_configENS1_27scan_by_key_config_selectorIssEEZZNS1_16scan_by_key_implILNS1_25lookback_scan_determinismE0ELb0ES3_N6thrust23THRUST_200600_302600_NS6detail15normal_iteratorINS9_10device_ptrIsEEEESE_SE_sNS9_10multipliesIsEENS9_8equal_toIsEEsEE10hipError_tPvRmT2_T3_T4_T5_mT6_T7_P12ihipStream_tbENKUlT_T0_E_clISt17integral_constantIbLb1EESZ_EEDaSU_SV_EUlSU_E_NS1_11comp_targetILNS1_3genE3ELNS1_11target_archE908ELNS1_3gpuE7ELNS1_3repE0EEENS1_30default_config_static_selectorELNS0_4arch9wavefront6targetE1EEEvT1_
                                        ; -- End function
	.section	.AMDGPU.csdata,"",@progbits
; Kernel info:
; codeLenInByte = 0
; NumSgprs: 4
; NumVgprs: 0
; NumAgprs: 0
; TotalNumVgprs: 0
; ScratchSize: 0
; MemoryBound: 0
; FloatMode: 240
; IeeeMode: 1
; LDSByteSize: 0 bytes/workgroup (compile time only)
; SGPRBlocks: 0
; VGPRBlocks: 0
; NumSGPRsForWavesPerEU: 4
; NumVGPRsForWavesPerEU: 1
; AccumOffset: 4
; Occupancy: 8
; WaveLimiterHint : 0
; COMPUTE_PGM_RSRC2:SCRATCH_EN: 0
; COMPUTE_PGM_RSRC2:USER_SGPR: 6
; COMPUTE_PGM_RSRC2:TRAP_HANDLER: 0
; COMPUTE_PGM_RSRC2:TGID_X_EN: 1
; COMPUTE_PGM_RSRC2:TGID_Y_EN: 0
; COMPUTE_PGM_RSRC2:TGID_Z_EN: 0
; COMPUTE_PGM_RSRC2:TIDIG_COMP_CNT: 0
; COMPUTE_PGM_RSRC3_GFX90A:ACCUM_OFFSET: 0
; COMPUTE_PGM_RSRC3_GFX90A:TG_SPLIT: 0
	.section	.text._ZN7rocprim17ROCPRIM_400000_NS6detail17trampoline_kernelINS0_14default_configENS1_27scan_by_key_config_selectorIssEEZZNS1_16scan_by_key_implILNS1_25lookback_scan_determinismE0ELb0ES3_N6thrust23THRUST_200600_302600_NS6detail15normal_iteratorINS9_10device_ptrIsEEEESE_SE_sNS9_10multipliesIsEENS9_8equal_toIsEEsEE10hipError_tPvRmT2_T3_T4_T5_mT6_T7_P12ihipStream_tbENKUlT_T0_E_clISt17integral_constantIbLb1EESZ_EEDaSU_SV_EUlSU_E_NS1_11comp_targetILNS1_3genE2ELNS1_11target_archE906ELNS1_3gpuE6ELNS1_3repE0EEENS1_30default_config_static_selectorELNS0_4arch9wavefront6targetE1EEEvT1_,"axG",@progbits,_ZN7rocprim17ROCPRIM_400000_NS6detail17trampoline_kernelINS0_14default_configENS1_27scan_by_key_config_selectorIssEEZZNS1_16scan_by_key_implILNS1_25lookback_scan_determinismE0ELb0ES3_N6thrust23THRUST_200600_302600_NS6detail15normal_iteratorINS9_10device_ptrIsEEEESE_SE_sNS9_10multipliesIsEENS9_8equal_toIsEEsEE10hipError_tPvRmT2_T3_T4_T5_mT6_T7_P12ihipStream_tbENKUlT_T0_E_clISt17integral_constantIbLb1EESZ_EEDaSU_SV_EUlSU_E_NS1_11comp_targetILNS1_3genE2ELNS1_11target_archE906ELNS1_3gpuE6ELNS1_3repE0EEENS1_30default_config_static_selectorELNS0_4arch9wavefront6targetE1EEEvT1_,comdat
	.protected	_ZN7rocprim17ROCPRIM_400000_NS6detail17trampoline_kernelINS0_14default_configENS1_27scan_by_key_config_selectorIssEEZZNS1_16scan_by_key_implILNS1_25lookback_scan_determinismE0ELb0ES3_N6thrust23THRUST_200600_302600_NS6detail15normal_iteratorINS9_10device_ptrIsEEEESE_SE_sNS9_10multipliesIsEENS9_8equal_toIsEEsEE10hipError_tPvRmT2_T3_T4_T5_mT6_T7_P12ihipStream_tbENKUlT_T0_E_clISt17integral_constantIbLb1EESZ_EEDaSU_SV_EUlSU_E_NS1_11comp_targetILNS1_3genE2ELNS1_11target_archE906ELNS1_3gpuE6ELNS1_3repE0EEENS1_30default_config_static_selectorELNS0_4arch9wavefront6targetE1EEEvT1_ ; -- Begin function _ZN7rocprim17ROCPRIM_400000_NS6detail17trampoline_kernelINS0_14default_configENS1_27scan_by_key_config_selectorIssEEZZNS1_16scan_by_key_implILNS1_25lookback_scan_determinismE0ELb0ES3_N6thrust23THRUST_200600_302600_NS6detail15normal_iteratorINS9_10device_ptrIsEEEESE_SE_sNS9_10multipliesIsEENS9_8equal_toIsEEsEE10hipError_tPvRmT2_T3_T4_T5_mT6_T7_P12ihipStream_tbENKUlT_T0_E_clISt17integral_constantIbLb1EESZ_EEDaSU_SV_EUlSU_E_NS1_11comp_targetILNS1_3genE2ELNS1_11target_archE906ELNS1_3gpuE6ELNS1_3repE0EEENS1_30default_config_static_selectorELNS0_4arch9wavefront6targetE1EEEvT1_
	.globl	_ZN7rocprim17ROCPRIM_400000_NS6detail17trampoline_kernelINS0_14default_configENS1_27scan_by_key_config_selectorIssEEZZNS1_16scan_by_key_implILNS1_25lookback_scan_determinismE0ELb0ES3_N6thrust23THRUST_200600_302600_NS6detail15normal_iteratorINS9_10device_ptrIsEEEESE_SE_sNS9_10multipliesIsEENS9_8equal_toIsEEsEE10hipError_tPvRmT2_T3_T4_T5_mT6_T7_P12ihipStream_tbENKUlT_T0_E_clISt17integral_constantIbLb1EESZ_EEDaSU_SV_EUlSU_E_NS1_11comp_targetILNS1_3genE2ELNS1_11target_archE906ELNS1_3gpuE6ELNS1_3repE0EEENS1_30default_config_static_selectorELNS0_4arch9wavefront6targetE1EEEvT1_
	.p2align	8
	.type	_ZN7rocprim17ROCPRIM_400000_NS6detail17trampoline_kernelINS0_14default_configENS1_27scan_by_key_config_selectorIssEEZZNS1_16scan_by_key_implILNS1_25lookback_scan_determinismE0ELb0ES3_N6thrust23THRUST_200600_302600_NS6detail15normal_iteratorINS9_10device_ptrIsEEEESE_SE_sNS9_10multipliesIsEENS9_8equal_toIsEEsEE10hipError_tPvRmT2_T3_T4_T5_mT6_T7_P12ihipStream_tbENKUlT_T0_E_clISt17integral_constantIbLb1EESZ_EEDaSU_SV_EUlSU_E_NS1_11comp_targetILNS1_3genE2ELNS1_11target_archE906ELNS1_3gpuE6ELNS1_3repE0EEENS1_30default_config_static_selectorELNS0_4arch9wavefront6targetE1EEEvT1_,@function
_ZN7rocprim17ROCPRIM_400000_NS6detail17trampoline_kernelINS0_14default_configENS1_27scan_by_key_config_selectorIssEEZZNS1_16scan_by_key_implILNS1_25lookback_scan_determinismE0ELb0ES3_N6thrust23THRUST_200600_302600_NS6detail15normal_iteratorINS9_10device_ptrIsEEEESE_SE_sNS9_10multipliesIsEENS9_8equal_toIsEEsEE10hipError_tPvRmT2_T3_T4_T5_mT6_T7_P12ihipStream_tbENKUlT_T0_E_clISt17integral_constantIbLb1EESZ_EEDaSU_SV_EUlSU_E_NS1_11comp_targetILNS1_3genE2ELNS1_11target_archE906ELNS1_3gpuE6ELNS1_3repE0EEENS1_30default_config_static_selectorELNS0_4arch9wavefront6targetE1EEEvT1_: ; @_ZN7rocprim17ROCPRIM_400000_NS6detail17trampoline_kernelINS0_14default_configENS1_27scan_by_key_config_selectorIssEEZZNS1_16scan_by_key_implILNS1_25lookback_scan_determinismE0ELb0ES3_N6thrust23THRUST_200600_302600_NS6detail15normal_iteratorINS9_10device_ptrIsEEEESE_SE_sNS9_10multipliesIsEENS9_8equal_toIsEEsEE10hipError_tPvRmT2_T3_T4_T5_mT6_T7_P12ihipStream_tbENKUlT_T0_E_clISt17integral_constantIbLb1EESZ_EEDaSU_SV_EUlSU_E_NS1_11comp_targetILNS1_3genE2ELNS1_11target_archE906ELNS1_3gpuE6ELNS1_3repE0EEENS1_30default_config_static_selectorELNS0_4arch9wavefront6targetE1EEEvT1_
; %bb.0:
	.section	.rodata,"a",@progbits
	.p2align	6, 0x0
	.amdhsa_kernel _ZN7rocprim17ROCPRIM_400000_NS6detail17trampoline_kernelINS0_14default_configENS1_27scan_by_key_config_selectorIssEEZZNS1_16scan_by_key_implILNS1_25lookback_scan_determinismE0ELb0ES3_N6thrust23THRUST_200600_302600_NS6detail15normal_iteratorINS9_10device_ptrIsEEEESE_SE_sNS9_10multipliesIsEENS9_8equal_toIsEEsEE10hipError_tPvRmT2_T3_T4_T5_mT6_T7_P12ihipStream_tbENKUlT_T0_E_clISt17integral_constantIbLb1EESZ_EEDaSU_SV_EUlSU_E_NS1_11comp_targetILNS1_3genE2ELNS1_11target_archE906ELNS1_3gpuE6ELNS1_3repE0EEENS1_30default_config_static_selectorELNS0_4arch9wavefront6targetE1EEEvT1_
		.amdhsa_group_segment_fixed_size 0
		.amdhsa_private_segment_fixed_size 0
		.amdhsa_kernarg_size 112
		.amdhsa_user_sgpr_count 6
		.amdhsa_user_sgpr_private_segment_buffer 1
		.amdhsa_user_sgpr_dispatch_ptr 0
		.amdhsa_user_sgpr_queue_ptr 0
		.amdhsa_user_sgpr_kernarg_segment_ptr 1
		.amdhsa_user_sgpr_dispatch_id 0
		.amdhsa_user_sgpr_flat_scratch_init 0
		.amdhsa_user_sgpr_kernarg_preload_length 0
		.amdhsa_user_sgpr_kernarg_preload_offset 0
		.amdhsa_user_sgpr_private_segment_size 0
		.amdhsa_uses_dynamic_stack 0
		.amdhsa_system_sgpr_private_segment_wavefront_offset 0
		.amdhsa_system_sgpr_workgroup_id_x 1
		.amdhsa_system_sgpr_workgroup_id_y 0
		.amdhsa_system_sgpr_workgroup_id_z 0
		.amdhsa_system_sgpr_workgroup_info 0
		.amdhsa_system_vgpr_workitem_id 0
		.amdhsa_next_free_vgpr 1
		.amdhsa_next_free_sgpr 0
		.amdhsa_accum_offset 4
		.amdhsa_reserve_vcc 0
		.amdhsa_reserve_flat_scratch 0
		.amdhsa_float_round_mode_32 0
		.amdhsa_float_round_mode_16_64 0
		.amdhsa_float_denorm_mode_32 3
		.amdhsa_float_denorm_mode_16_64 3
		.amdhsa_dx10_clamp 1
		.amdhsa_ieee_mode 1
		.amdhsa_fp16_overflow 0
		.amdhsa_tg_split 0
		.amdhsa_exception_fp_ieee_invalid_op 0
		.amdhsa_exception_fp_denorm_src 0
		.amdhsa_exception_fp_ieee_div_zero 0
		.amdhsa_exception_fp_ieee_overflow 0
		.amdhsa_exception_fp_ieee_underflow 0
		.amdhsa_exception_fp_ieee_inexact 0
		.amdhsa_exception_int_div_zero 0
	.end_amdhsa_kernel
	.section	.text._ZN7rocprim17ROCPRIM_400000_NS6detail17trampoline_kernelINS0_14default_configENS1_27scan_by_key_config_selectorIssEEZZNS1_16scan_by_key_implILNS1_25lookback_scan_determinismE0ELb0ES3_N6thrust23THRUST_200600_302600_NS6detail15normal_iteratorINS9_10device_ptrIsEEEESE_SE_sNS9_10multipliesIsEENS9_8equal_toIsEEsEE10hipError_tPvRmT2_T3_T4_T5_mT6_T7_P12ihipStream_tbENKUlT_T0_E_clISt17integral_constantIbLb1EESZ_EEDaSU_SV_EUlSU_E_NS1_11comp_targetILNS1_3genE2ELNS1_11target_archE906ELNS1_3gpuE6ELNS1_3repE0EEENS1_30default_config_static_selectorELNS0_4arch9wavefront6targetE1EEEvT1_,"axG",@progbits,_ZN7rocprim17ROCPRIM_400000_NS6detail17trampoline_kernelINS0_14default_configENS1_27scan_by_key_config_selectorIssEEZZNS1_16scan_by_key_implILNS1_25lookback_scan_determinismE0ELb0ES3_N6thrust23THRUST_200600_302600_NS6detail15normal_iteratorINS9_10device_ptrIsEEEESE_SE_sNS9_10multipliesIsEENS9_8equal_toIsEEsEE10hipError_tPvRmT2_T3_T4_T5_mT6_T7_P12ihipStream_tbENKUlT_T0_E_clISt17integral_constantIbLb1EESZ_EEDaSU_SV_EUlSU_E_NS1_11comp_targetILNS1_3genE2ELNS1_11target_archE906ELNS1_3gpuE6ELNS1_3repE0EEENS1_30default_config_static_selectorELNS0_4arch9wavefront6targetE1EEEvT1_,comdat
.Lfunc_end295:
	.size	_ZN7rocprim17ROCPRIM_400000_NS6detail17trampoline_kernelINS0_14default_configENS1_27scan_by_key_config_selectorIssEEZZNS1_16scan_by_key_implILNS1_25lookback_scan_determinismE0ELb0ES3_N6thrust23THRUST_200600_302600_NS6detail15normal_iteratorINS9_10device_ptrIsEEEESE_SE_sNS9_10multipliesIsEENS9_8equal_toIsEEsEE10hipError_tPvRmT2_T3_T4_T5_mT6_T7_P12ihipStream_tbENKUlT_T0_E_clISt17integral_constantIbLb1EESZ_EEDaSU_SV_EUlSU_E_NS1_11comp_targetILNS1_3genE2ELNS1_11target_archE906ELNS1_3gpuE6ELNS1_3repE0EEENS1_30default_config_static_selectorELNS0_4arch9wavefront6targetE1EEEvT1_, .Lfunc_end295-_ZN7rocprim17ROCPRIM_400000_NS6detail17trampoline_kernelINS0_14default_configENS1_27scan_by_key_config_selectorIssEEZZNS1_16scan_by_key_implILNS1_25lookback_scan_determinismE0ELb0ES3_N6thrust23THRUST_200600_302600_NS6detail15normal_iteratorINS9_10device_ptrIsEEEESE_SE_sNS9_10multipliesIsEENS9_8equal_toIsEEsEE10hipError_tPvRmT2_T3_T4_T5_mT6_T7_P12ihipStream_tbENKUlT_T0_E_clISt17integral_constantIbLb1EESZ_EEDaSU_SV_EUlSU_E_NS1_11comp_targetILNS1_3genE2ELNS1_11target_archE906ELNS1_3gpuE6ELNS1_3repE0EEENS1_30default_config_static_selectorELNS0_4arch9wavefront6targetE1EEEvT1_
                                        ; -- End function
	.section	.AMDGPU.csdata,"",@progbits
; Kernel info:
; codeLenInByte = 0
; NumSgprs: 4
; NumVgprs: 0
; NumAgprs: 0
; TotalNumVgprs: 0
; ScratchSize: 0
; MemoryBound: 0
; FloatMode: 240
; IeeeMode: 1
; LDSByteSize: 0 bytes/workgroup (compile time only)
; SGPRBlocks: 0
; VGPRBlocks: 0
; NumSGPRsForWavesPerEU: 4
; NumVGPRsForWavesPerEU: 1
; AccumOffset: 4
; Occupancy: 8
; WaveLimiterHint : 0
; COMPUTE_PGM_RSRC2:SCRATCH_EN: 0
; COMPUTE_PGM_RSRC2:USER_SGPR: 6
; COMPUTE_PGM_RSRC2:TRAP_HANDLER: 0
; COMPUTE_PGM_RSRC2:TGID_X_EN: 1
; COMPUTE_PGM_RSRC2:TGID_Y_EN: 0
; COMPUTE_PGM_RSRC2:TGID_Z_EN: 0
; COMPUTE_PGM_RSRC2:TIDIG_COMP_CNT: 0
; COMPUTE_PGM_RSRC3_GFX90A:ACCUM_OFFSET: 0
; COMPUTE_PGM_RSRC3_GFX90A:TG_SPLIT: 0
	.section	.text._ZN7rocprim17ROCPRIM_400000_NS6detail17trampoline_kernelINS0_14default_configENS1_27scan_by_key_config_selectorIssEEZZNS1_16scan_by_key_implILNS1_25lookback_scan_determinismE0ELb0ES3_N6thrust23THRUST_200600_302600_NS6detail15normal_iteratorINS9_10device_ptrIsEEEESE_SE_sNS9_10multipliesIsEENS9_8equal_toIsEEsEE10hipError_tPvRmT2_T3_T4_T5_mT6_T7_P12ihipStream_tbENKUlT_T0_E_clISt17integral_constantIbLb1EESZ_EEDaSU_SV_EUlSU_E_NS1_11comp_targetILNS1_3genE10ELNS1_11target_archE1200ELNS1_3gpuE4ELNS1_3repE0EEENS1_30default_config_static_selectorELNS0_4arch9wavefront6targetE1EEEvT1_,"axG",@progbits,_ZN7rocprim17ROCPRIM_400000_NS6detail17trampoline_kernelINS0_14default_configENS1_27scan_by_key_config_selectorIssEEZZNS1_16scan_by_key_implILNS1_25lookback_scan_determinismE0ELb0ES3_N6thrust23THRUST_200600_302600_NS6detail15normal_iteratorINS9_10device_ptrIsEEEESE_SE_sNS9_10multipliesIsEENS9_8equal_toIsEEsEE10hipError_tPvRmT2_T3_T4_T5_mT6_T7_P12ihipStream_tbENKUlT_T0_E_clISt17integral_constantIbLb1EESZ_EEDaSU_SV_EUlSU_E_NS1_11comp_targetILNS1_3genE10ELNS1_11target_archE1200ELNS1_3gpuE4ELNS1_3repE0EEENS1_30default_config_static_selectorELNS0_4arch9wavefront6targetE1EEEvT1_,comdat
	.protected	_ZN7rocprim17ROCPRIM_400000_NS6detail17trampoline_kernelINS0_14default_configENS1_27scan_by_key_config_selectorIssEEZZNS1_16scan_by_key_implILNS1_25lookback_scan_determinismE0ELb0ES3_N6thrust23THRUST_200600_302600_NS6detail15normal_iteratorINS9_10device_ptrIsEEEESE_SE_sNS9_10multipliesIsEENS9_8equal_toIsEEsEE10hipError_tPvRmT2_T3_T4_T5_mT6_T7_P12ihipStream_tbENKUlT_T0_E_clISt17integral_constantIbLb1EESZ_EEDaSU_SV_EUlSU_E_NS1_11comp_targetILNS1_3genE10ELNS1_11target_archE1200ELNS1_3gpuE4ELNS1_3repE0EEENS1_30default_config_static_selectorELNS0_4arch9wavefront6targetE1EEEvT1_ ; -- Begin function _ZN7rocprim17ROCPRIM_400000_NS6detail17trampoline_kernelINS0_14default_configENS1_27scan_by_key_config_selectorIssEEZZNS1_16scan_by_key_implILNS1_25lookback_scan_determinismE0ELb0ES3_N6thrust23THRUST_200600_302600_NS6detail15normal_iteratorINS9_10device_ptrIsEEEESE_SE_sNS9_10multipliesIsEENS9_8equal_toIsEEsEE10hipError_tPvRmT2_T3_T4_T5_mT6_T7_P12ihipStream_tbENKUlT_T0_E_clISt17integral_constantIbLb1EESZ_EEDaSU_SV_EUlSU_E_NS1_11comp_targetILNS1_3genE10ELNS1_11target_archE1200ELNS1_3gpuE4ELNS1_3repE0EEENS1_30default_config_static_selectorELNS0_4arch9wavefront6targetE1EEEvT1_
	.globl	_ZN7rocprim17ROCPRIM_400000_NS6detail17trampoline_kernelINS0_14default_configENS1_27scan_by_key_config_selectorIssEEZZNS1_16scan_by_key_implILNS1_25lookback_scan_determinismE0ELb0ES3_N6thrust23THRUST_200600_302600_NS6detail15normal_iteratorINS9_10device_ptrIsEEEESE_SE_sNS9_10multipliesIsEENS9_8equal_toIsEEsEE10hipError_tPvRmT2_T3_T4_T5_mT6_T7_P12ihipStream_tbENKUlT_T0_E_clISt17integral_constantIbLb1EESZ_EEDaSU_SV_EUlSU_E_NS1_11comp_targetILNS1_3genE10ELNS1_11target_archE1200ELNS1_3gpuE4ELNS1_3repE0EEENS1_30default_config_static_selectorELNS0_4arch9wavefront6targetE1EEEvT1_
	.p2align	8
	.type	_ZN7rocprim17ROCPRIM_400000_NS6detail17trampoline_kernelINS0_14default_configENS1_27scan_by_key_config_selectorIssEEZZNS1_16scan_by_key_implILNS1_25lookback_scan_determinismE0ELb0ES3_N6thrust23THRUST_200600_302600_NS6detail15normal_iteratorINS9_10device_ptrIsEEEESE_SE_sNS9_10multipliesIsEENS9_8equal_toIsEEsEE10hipError_tPvRmT2_T3_T4_T5_mT6_T7_P12ihipStream_tbENKUlT_T0_E_clISt17integral_constantIbLb1EESZ_EEDaSU_SV_EUlSU_E_NS1_11comp_targetILNS1_3genE10ELNS1_11target_archE1200ELNS1_3gpuE4ELNS1_3repE0EEENS1_30default_config_static_selectorELNS0_4arch9wavefront6targetE1EEEvT1_,@function
_ZN7rocprim17ROCPRIM_400000_NS6detail17trampoline_kernelINS0_14default_configENS1_27scan_by_key_config_selectorIssEEZZNS1_16scan_by_key_implILNS1_25lookback_scan_determinismE0ELb0ES3_N6thrust23THRUST_200600_302600_NS6detail15normal_iteratorINS9_10device_ptrIsEEEESE_SE_sNS9_10multipliesIsEENS9_8equal_toIsEEsEE10hipError_tPvRmT2_T3_T4_T5_mT6_T7_P12ihipStream_tbENKUlT_T0_E_clISt17integral_constantIbLb1EESZ_EEDaSU_SV_EUlSU_E_NS1_11comp_targetILNS1_3genE10ELNS1_11target_archE1200ELNS1_3gpuE4ELNS1_3repE0EEENS1_30default_config_static_selectorELNS0_4arch9wavefront6targetE1EEEvT1_: ; @_ZN7rocprim17ROCPRIM_400000_NS6detail17trampoline_kernelINS0_14default_configENS1_27scan_by_key_config_selectorIssEEZZNS1_16scan_by_key_implILNS1_25lookback_scan_determinismE0ELb0ES3_N6thrust23THRUST_200600_302600_NS6detail15normal_iteratorINS9_10device_ptrIsEEEESE_SE_sNS9_10multipliesIsEENS9_8equal_toIsEEsEE10hipError_tPvRmT2_T3_T4_T5_mT6_T7_P12ihipStream_tbENKUlT_T0_E_clISt17integral_constantIbLb1EESZ_EEDaSU_SV_EUlSU_E_NS1_11comp_targetILNS1_3genE10ELNS1_11target_archE1200ELNS1_3gpuE4ELNS1_3repE0EEENS1_30default_config_static_selectorELNS0_4arch9wavefront6targetE1EEEvT1_
; %bb.0:
	.section	.rodata,"a",@progbits
	.p2align	6, 0x0
	.amdhsa_kernel _ZN7rocprim17ROCPRIM_400000_NS6detail17trampoline_kernelINS0_14default_configENS1_27scan_by_key_config_selectorIssEEZZNS1_16scan_by_key_implILNS1_25lookback_scan_determinismE0ELb0ES3_N6thrust23THRUST_200600_302600_NS6detail15normal_iteratorINS9_10device_ptrIsEEEESE_SE_sNS9_10multipliesIsEENS9_8equal_toIsEEsEE10hipError_tPvRmT2_T3_T4_T5_mT6_T7_P12ihipStream_tbENKUlT_T0_E_clISt17integral_constantIbLb1EESZ_EEDaSU_SV_EUlSU_E_NS1_11comp_targetILNS1_3genE10ELNS1_11target_archE1200ELNS1_3gpuE4ELNS1_3repE0EEENS1_30default_config_static_selectorELNS0_4arch9wavefront6targetE1EEEvT1_
		.amdhsa_group_segment_fixed_size 0
		.amdhsa_private_segment_fixed_size 0
		.amdhsa_kernarg_size 112
		.amdhsa_user_sgpr_count 6
		.amdhsa_user_sgpr_private_segment_buffer 1
		.amdhsa_user_sgpr_dispatch_ptr 0
		.amdhsa_user_sgpr_queue_ptr 0
		.amdhsa_user_sgpr_kernarg_segment_ptr 1
		.amdhsa_user_sgpr_dispatch_id 0
		.amdhsa_user_sgpr_flat_scratch_init 0
		.amdhsa_user_sgpr_kernarg_preload_length 0
		.amdhsa_user_sgpr_kernarg_preload_offset 0
		.amdhsa_user_sgpr_private_segment_size 0
		.amdhsa_uses_dynamic_stack 0
		.amdhsa_system_sgpr_private_segment_wavefront_offset 0
		.amdhsa_system_sgpr_workgroup_id_x 1
		.amdhsa_system_sgpr_workgroup_id_y 0
		.amdhsa_system_sgpr_workgroup_id_z 0
		.amdhsa_system_sgpr_workgroup_info 0
		.amdhsa_system_vgpr_workitem_id 0
		.amdhsa_next_free_vgpr 1
		.amdhsa_next_free_sgpr 0
		.amdhsa_accum_offset 4
		.amdhsa_reserve_vcc 0
		.amdhsa_reserve_flat_scratch 0
		.amdhsa_float_round_mode_32 0
		.amdhsa_float_round_mode_16_64 0
		.amdhsa_float_denorm_mode_32 3
		.amdhsa_float_denorm_mode_16_64 3
		.amdhsa_dx10_clamp 1
		.amdhsa_ieee_mode 1
		.amdhsa_fp16_overflow 0
		.amdhsa_tg_split 0
		.amdhsa_exception_fp_ieee_invalid_op 0
		.amdhsa_exception_fp_denorm_src 0
		.amdhsa_exception_fp_ieee_div_zero 0
		.amdhsa_exception_fp_ieee_overflow 0
		.amdhsa_exception_fp_ieee_underflow 0
		.amdhsa_exception_fp_ieee_inexact 0
		.amdhsa_exception_int_div_zero 0
	.end_amdhsa_kernel
	.section	.text._ZN7rocprim17ROCPRIM_400000_NS6detail17trampoline_kernelINS0_14default_configENS1_27scan_by_key_config_selectorIssEEZZNS1_16scan_by_key_implILNS1_25lookback_scan_determinismE0ELb0ES3_N6thrust23THRUST_200600_302600_NS6detail15normal_iteratorINS9_10device_ptrIsEEEESE_SE_sNS9_10multipliesIsEENS9_8equal_toIsEEsEE10hipError_tPvRmT2_T3_T4_T5_mT6_T7_P12ihipStream_tbENKUlT_T0_E_clISt17integral_constantIbLb1EESZ_EEDaSU_SV_EUlSU_E_NS1_11comp_targetILNS1_3genE10ELNS1_11target_archE1200ELNS1_3gpuE4ELNS1_3repE0EEENS1_30default_config_static_selectorELNS0_4arch9wavefront6targetE1EEEvT1_,"axG",@progbits,_ZN7rocprim17ROCPRIM_400000_NS6detail17trampoline_kernelINS0_14default_configENS1_27scan_by_key_config_selectorIssEEZZNS1_16scan_by_key_implILNS1_25lookback_scan_determinismE0ELb0ES3_N6thrust23THRUST_200600_302600_NS6detail15normal_iteratorINS9_10device_ptrIsEEEESE_SE_sNS9_10multipliesIsEENS9_8equal_toIsEEsEE10hipError_tPvRmT2_T3_T4_T5_mT6_T7_P12ihipStream_tbENKUlT_T0_E_clISt17integral_constantIbLb1EESZ_EEDaSU_SV_EUlSU_E_NS1_11comp_targetILNS1_3genE10ELNS1_11target_archE1200ELNS1_3gpuE4ELNS1_3repE0EEENS1_30default_config_static_selectorELNS0_4arch9wavefront6targetE1EEEvT1_,comdat
.Lfunc_end296:
	.size	_ZN7rocprim17ROCPRIM_400000_NS6detail17trampoline_kernelINS0_14default_configENS1_27scan_by_key_config_selectorIssEEZZNS1_16scan_by_key_implILNS1_25lookback_scan_determinismE0ELb0ES3_N6thrust23THRUST_200600_302600_NS6detail15normal_iteratorINS9_10device_ptrIsEEEESE_SE_sNS9_10multipliesIsEENS9_8equal_toIsEEsEE10hipError_tPvRmT2_T3_T4_T5_mT6_T7_P12ihipStream_tbENKUlT_T0_E_clISt17integral_constantIbLb1EESZ_EEDaSU_SV_EUlSU_E_NS1_11comp_targetILNS1_3genE10ELNS1_11target_archE1200ELNS1_3gpuE4ELNS1_3repE0EEENS1_30default_config_static_selectorELNS0_4arch9wavefront6targetE1EEEvT1_, .Lfunc_end296-_ZN7rocprim17ROCPRIM_400000_NS6detail17trampoline_kernelINS0_14default_configENS1_27scan_by_key_config_selectorIssEEZZNS1_16scan_by_key_implILNS1_25lookback_scan_determinismE0ELb0ES3_N6thrust23THRUST_200600_302600_NS6detail15normal_iteratorINS9_10device_ptrIsEEEESE_SE_sNS9_10multipliesIsEENS9_8equal_toIsEEsEE10hipError_tPvRmT2_T3_T4_T5_mT6_T7_P12ihipStream_tbENKUlT_T0_E_clISt17integral_constantIbLb1EESZ_EEDaSU_SV_EUlSU_E_NS1_11comp_targetILNS1_3genE10ELNS1_11target_archE1200ELNS1_3gpuE4ELNS1_3repE0EEENS1_30default_config_static_selectorELNS0_4arch9wavefront6targetE1EEEvT1_
                                        ; -- End function
	.section	.AMDGPU.csdata,"",@progbits
; Kernel info:
; codeLenInByte = 0
; NumSgprs: 4
; NumVgprs: 0
; NumAgprs: 0
; TotalNumVgprs: 0
; ScratchSize: 0
; MemoryBound: 0
; FloatMode: 240
; IeeeMode: 1
; LDSByteSize: 0 bytes/workgroup (compile time only)
; SGPRBlocks: 0
; VGPRBlocks: 0
; NumSGPRsForWavesPerEU: 4
; NumVGPRsForWavesPerEU: 1
; AccumOffset: 4
; Occupancy: 8
; WaveLimiterHint : 0
; COMPUTE_PGM_RSRC2:SCRATCH_EN: 0
; COMPUTE_PGM_RSRC2:USER_SGPR: 6
; COMPUTE_PGM_RSRC2:TRAP_HANDLER: 0
; COMPUTE_PGM_RSRC2:TGID_X_EN: 1
; COMPUTE_PGM_RSRC2:TGID_Y_EN: 0
; COMPUTE_PGM_RSRC2:TGID_Z_EN: 0
; COMPUTE_PGM_RSRC2:TIDIG_COMP_CNT: 0
; COMPUTE_PGM_RSRC3_GFX90A:ACCUM_OFFSET: 0
; COMPUTE_PGM_RSRC3_GFX90A:TG_SPLIT: 0
	.section	.text._ZN7rocprim17ROCPRIM_400000_NS6detail17trampoline_kernelINS0_14default_configENS1_27scan_by_key_config_selectorIssEEZZNS1_16scan_by_key_implILNS1_25lookback_scan_determinismE0ELb0ES3_N6thrust23THRUST_200600_302600_NS6detail15normal_iteratorINS9_10device_ptrIsEEEESE_SE_sNS9_10multipliesIsEENS9_8equal_toIsEEsEE10hipError_tPvRmT2_T3_T4_T5_mT6_T7_P12ihipStream_tbENKUlT_T0_E_clISt17integral_constantIbLb1EESZ_EEDaSU_SV_EUlSU_E_NS1_11comp_targetILNS1_3genE9ELNS1_11target_archE1100ELNS1_3gpuE3ELNS1_3repE0EEENS1_30default_config_static_selectorELNS0_4arch9wavefront6targetE1EEEvT1_,"axG",@progbits,_ZN7rocprim17ROCPRIM_400000_NS6detail17trampoline_kernelINS0_14default_configENS1_27scan_by_key_config_selectorIssEEZZNS1_16scan_by_key_implILNS1_25lookback_scan_determinismE0ELb0ES3_N6thrust23THRUST_200600_302600_NS6detail15normal_iteratorINS9_10device_ptrIsEEEESE_SE_sNS9_10multipliesIsEENS9_8equal_toIsEEsEE10hipError_tPvRmT2_T3_T4_T5_mT6_T7_P12ihipStream_tbENKUlT_T0_E_clISt17integral_constantIbLb1EESZ_EEDaSU_SV_EUlSU_E_NS1_11comp_targetILNS1_3genE9ELNS1_11target_archE1100ELNS1_3gpuE3ELNS1_3repE0EEENS1_30default_config_static_selectorELNS0_4arch9wavefront6targetE1EEEvT1_,comdat
	.protected	_ZN7rocprim17ROCPRIM_400000_NS6detail17trampoline_kernelINS0_14default_configENS1_27scan_by_key_config_selectorIssEEZZNS1_16scan_by_key_implILNS1_25lookback_scan_determinismE0ELb0ES3_N6thrust23THRUST_200600_302600_NS6detail15normal_iteratorINS9_10device_ptrIsEEEESE_SE_sNS9_10multipliesIsEENS9_8equal_toIsEEsEE10hipError_tPvRmT2_T3_T4_T5_mT6_T7_P12ihipStream_tbENKUlT_T0_E_clISt17integral_constantIbLb1EESZ_EEDaSU_SV_EUlSU_E_NS1_11comp_targetILNS1_3genE9ELNS1_11target_archE1100ELNS1_3gpuE3ELNS1_3repE0EEENS1_30default_config_static_selectorELNS0_4arch9wavefront6targetE1EEEvT1_ ; -- Begin function _ZN7rocprim17ROCPRIM_400000_NS6detail17trampoline_kernelINS0_14default_configENS1_27scan_by_key_config_selectorIssEEZZNS1_16scan_by_key_implILNS1_25lookback_scan_determinismE0ELb0ES3_N6thrust23THRUST_200600_302600_NS6detail15normal_iteratorINS9_10device_ptrIsEEEESE_SE_sNS9_10multipliesIsEENS9_8equal_toIsEEsEE10hipError_tPvRmT2_T3_T4_T5_mT6_T7_P12ihipStream_tbENKUlT_T0_E_clISt17integral_constantIbLb1EESZ_EEDaSU_SV_EUlSU_E_NS1_11comp_targetILNS1_3genE9ELNS1_11target_archE1100ELNS1_3gpuE3ELNS1_3repE0EEENS1_30default_config_static_selectorELNS0_4arch9wavefront6targetE1EEEvT1_
	.globl	_ZN7rocprim17ROCPRIM_400000_NS6detail17trampoline_kernelINS0_14default_configENS1_27scan_by_key_config_selectorIssEEZZNS1_16scan_by_key_implILNS1_25lookback_scan_determinismE0ELb0ES3_N6thrust23THRUST_200600_302600_NS6detail15normal_iteratorINS9_10device_ptrIsEEEESE_SE_sNS9_10multipliesIsEENS9_8equal_toIsEEsEE10hipError_tPvRmT2_T3_T4_T5_mT6_T7_P12ihipStream_tbENKUlT_T0_E_clISt17integral_constantIbLb1EESZ_EEDaSU_SV_EUlSU_E_NS1_11comp_targetILNS1_3genE9ELNS1_11target_archE1100ELNS1_3gpuE3ELNS1_3repE0EEENS1_30default_config_static_selectorELNS0_4arch9wavefront6targetE1EEEvT1_
	.p2align	8
	.type	_ZN7rocprim17ROCPRIM_400000_NS6detail17trampoline_kernelINS0_14default_configENS1_27scan_by_key_config_selectorIssEEZZNS1_16scan_by_key_implILNS1_25lookback_scan_determinismE0ELb0ES3_N6thrust23THRUST_200600_302600_NS6detail15normal_iteratorINS9_10device_ptrIsEEEESE_SE_sNS9_10multipliesIsEENS9_8equal_toIsEEsEE10hipError_tPvRmT2_T3_T4_T5_mT6_T7_P12ihipStream_tbENKUlT_T0_E_clISt17integral_constantIbLb1EESZ_EEDaSU_SV_EUlSU_E_NS1_11comp_targetILNS1_3genE9ELNS1_11target_archE1100ELNS1_3gpuE3ELNS1_3repE0EEENS1_30default_config_static_selectorELNS0_4arch9wavefront6targetE1EEEvT1_,@function
_ZN7rocprim17ROCPRIM_400000_NS6detail17trampoline_kernelINS0_14default_configENS1_27scan_by_key_config_selectorIssEEZZNS1_16scan_by_key_implILNS1_25lookback_scan_determinismE0ELb0ES3_N6thrust23THRUST_200600_302600_NS6detail15normal_iteratorINS9_10device_ptrIsEEEESE_SE_sNS9_10multipliesIsEENS9_8equal_toIsEEsEE10hipError_tPvRmT2_T3_T4_T5_mT6_T7_P12ihipStream_tbENKUlT_T0_E_clISt17integral_constantIbLb1EESZ_EEDaSU_SV_EUlSU_E_NS1_11comp_targetILNS1_3genE9ELNS1_11target_archE1100ELNS1_3gpuE3ELNS1_3repE0EEENS1_30default_config_static_selectorELNS0_4arch9wavefront6targetE1EEEvT1_: ; @_ZN7rocprim17ROCPRIM_400000_NS6detail17trampoline_kernelINS0_14default_configENS1_27scan_by_key_config_selectorIssEEZZNS1_16scan_by_key_implILNS1_25lookback_scan_determinismE0ELb0ES3_N6thrust23THRUST_200600_302600_NS6detail15normal_iteratorINS9_10device_ptrIsEEEESE_SE_sNS9_10multipliesIsEENS9_8equal_toIsEEsEE10hipError_tPvRmT2_T3_T4_T5_mT6_T7_P12ihipStream_tbENKUlT_T0_E_clISt17integral_constantIbLb1EESZ_EEDaSU_SV_EUlSU_E_NS1_11comp_targetILNS1_3genE9ELNS1_11target_archE1100ELNS1_3gpuE3ELNS1_3repE0EEENS1_30default_config_static_selectorELNS0_4arch9wavefront6targetE1EEEvT1_
; %bb.0:
	.section	.rodata,"a",@progbits
	.p2align	6, 0x0
	.amdhsa_kernel _ZN7rocprim17ROCPRIM_400000_NS6detail17trampoline_kernelINS0_14default_configENS1_27scan_by_key_config_selectorIssEEZZNS1_16scan_by_key_implILNS1_25lookback_scan_determinismE0ELb0ES3_N6thrust23THRUST_200600_302600_NS6detail15normal_iteratorINS9_10device_ptrIsEEEESE_SE_sNS9_10multipliesIsEENS9_8equal_toIsEEsEE10hipError_tPvRmT2_T3_T4_T5_mT6_T7_P12ihipStream_tbENKUlT_T0_E_clISt17integral_constantIbLb1EESZ_EEDaSU_SV_EUlSU_E_NS1_11comp_targetILNS1_3genE9ELNS1_11target_archE1100ELNS1_3gpuE3ELNS1_3repE0EEENS1_30default_config_static_selectorELNS0_4arch9wavefront6targetE1EEEvT1_
		.amdhsa_group_segment_fixed_size 0
		.amdhsa_private_segment_fixed_size 0
		.amdhsa_kernarg_size 112
		.amdhsa_user_sgpr_count 6
		.amdhsa_user_sgpr_private_segment_buffer 1
		.amdhsa_user_sgpr_dispatch_ptr 0
		.amdhsa_user_sgpr_queue_ptr 0
		.amdhsa_user_sgpr_kernarg_segment_ptr 1
		.amdhsa_user_sgpr_dispatch_id 0
		.amdhsa_user_sgpr_flat_scratch_init 0
		.amdhsa_user_sgpr_kernarg_preload_length 0
		.amdhsa_user_sgpr_kernarg_preload_offset 0
		.amdhsa_user_sgpr_private_segment_size 0
		.amdhsa_uses_dynamic_stack 0
		.amdhsa_system_sgpr_private_segment_wavefront_offset 0
		.amdhsa_system_sgpr_workgroup_id_x 1
		.amdhsa_system_sgpr_workgroup_id_y 0
		.amdhsa_system_sgpr_workgroup_id_z 0
		.amdhsa_system_sgpr_workgroup_info 0
		.amdhsa_system_vgpr_workitem_id 0
		.amdhsa_next_free_vgpr 1
		.amdhsa_next_free_sgpr 0
		.amdhsa_accum_offset 4
		.amdhsa_reserve_vcc 0
		.amdhsa_reserve_flat_scratch 0
		.amdhsa_float_round_mode_32 0
		.amdhsa_float_round_mode_16_64 0
		.amdhsa_float_denorm_mode_32 3
		.amdhsa_float_denorm_mode_16_64 3
		.amdhsa_dx10_clamp 1
		.amdhsa_ieee_mode 1
		.amdhsa_fp16_overflow 0
		.amdhsa_tg_split 0
		.amdhsa_exception_fp_ieee_invalid_op 0
		.amdhsa_exception_fp_denorm_src 0
		.amdhsa_exception_fp_ieee_div_zero 0
		.amdhsa_exception_fp_ieee_overflow 0
		.amdhsa_exception_fp_ieee_underflow 0
		.amdhsa_exception_fp_ieee_inexact 0
		.amdhsa_exception_int_div_zero 0
	.end_amdhsa_kernel
	.section	.text._ZN7rocprim17ROCPRIM_400000_NS6detail17trampoline_kernelINS0_14default_configENS1_27scan_by_key_config_selectorIssEEZZNS1_16scan_by_key_implILNS1_25lookback_scan_determinismE0ELb0ES3_N6thrust23THRUST_200600_302600_NS6detail15normal_iteratorINS9_10device_ptrIsEEEESE_SE_sNS9_10multipliesIsEENS9_8equal_toIsEEsEE10hipError_tPvRmT2_T3_T4_T5_mT6_T7_P12ihipStream_tbENKUlT_T0_E_clISt17integral_constantIbLb1EESZ_EEDaSU_SV_EUlSU_E_NS1_11comp_targetILNS1_3genE9ELNS1_11target_archE1100ELNS1_3gpuE3ELNS1_3repE0EEENS1_30default_config_static_selectorELNS0_4arch9wavefront6targetE1EEEvT1_,"axG",@progbits,_ZN7rocprim17ROCPRIM_400000_NS6detail17trampoline_kernelINS0_14default_configENS1_27scan_by_key_config_selectorIssEEZZNS1_16scan_by_key_implILNS1_25lookback_scan_determinismE0ELb0ES3_N6thrust23THRUST_200600_302600_NS6detail15normal_iteratorINS9_10device_ptrIsEEEESE_SE_sNS9_10multipliesIsEENS9_8equal_toIsEEsEE10hipError_tPvRmT2_T3_T4_T5_mT6_T7_P12ihipStream_tbENKUlT_T0_E_clISt17integral_constantIbLb1EESZ_EEDaSU_SV_EUlSU_E_NS1_11comp_targetILNS1_3genE9ELNS1_11target_archE1100ELNS1_3gpuE3ELNS1_3repE0EEENS1_30default_config_static_selectorELNS0_4arch9wavefront6targetE1EEEvT1_,comdat
.Lfunc_end297:
	.size	_ZN7rocprim17ROCPRIM_400000_NS6detail17trampoline_kernelINS0_14default_configENS1_27scan_by_key_config_selectorIssEEZZNS1_16scan_by_key_implILNS1_25lookback_scan_determinismE0ELb0ES3_N6thrust23THRUST_200600_302600_NS6detail15normal_iteratorINS9_10device_ptrIsEEEESE_SE_sNS9_10multipliesIsEENS9_8equal_toIsEEsEE10hipError_tPvRmT2_T3_T4_T5_mT6_T7_P12ihipStream_tbENKUlT_T0_E_clISt17integral_constantIbLb1EESZ_EEDaSU_SV_EUlSU_E_NS1_11comp_targetILNS1_3genE9ELNS1_11target_archE1100ELNS1_3gpuE3ELNS1_3repE0EEENS1_30default_config_static_selectorELNS0_4arch9wavefront6targetE1EEEvT1_, .Lfunc_end297-_ZN7rocprim17ROCPRIM_400000_NS6detail17trampoline_kernelINS0_14default_configENS1_27scan_by_key_config_selectorIssEEZZNS1_16scan_by_key_implILNS1_25lookback_scan_determinismE0ELb0ES3_N6thrust23THRUST_200600_302600_NS6detail15normal_iteratorINS9_10device_ptrIsEEEESE_SE_sNS9_10multipliesIsEENS9_8equal_toIsEEsEE10hipError_tPvRmT2_T3_T4_T5_mT6_T7_P12ihipStream_tbENKUlT_T0_E_clISt17integral_constantIbLb1EESZ_EEDaSU_SV_EUlSU_E_NS1_11comp_targetILNS1_3genE9ELNS1_11target_archE1100ELNS1_3gpuE3ELNS1_3repE0EEENS1_30default_config_static_selectorELNS0_4arch9wavefront6targetE1EEEvT1_
                                        ; -- End function
	.section	.AMDGPU.csdata,"",@progbits
; Kernel info:
; codeLenInByte = 0
; NumSgprs: 4
; NumVgprs: 0
; NumAgprs: 0
; TotalNumVgprs: 0
; ScratchSize: 0
; MemoryBound: 0
; FloatMode: 240
; IeeeMode: 1
; LDSByteSize: 0 bytes/workgroup (compile time only)
; SGPRBlocks: 0
; VGPRBlocks: 0
; NumSGPRsForWavesPerEU: 4
; NumVGPRsForWavesPerEU: 1
; AccumOffset: 4
; Occupancy: 8
; WaveLimiterHint : 0
; COMPUTE_PGM_RSRC2:SCRATCH_EN: 0
; COMPUTE_PGM_RSRC2:USER_SGPR: 6
; COMPUTE_PGM_RSRC2:TRAP_HANDLER: 0
; COMPUTE_PGM_RSRC2:TGID_X_EN: 1
; COMPUTE_PGM_RSRC2:TGID_Y_EN: 0
; COMPUTE_PGM_RSRC2:TGID_Z_EN: 0
; COMPUTE_PGM_RSRC2:TIDIG_COMP_CNT: 0
; COMPUTE_PGM_RSRC3_GFX90A:ACCUM_OFFSET: 0
; COMPUTE_PGM_RSRC3_GFX90A:TG_SPLIT: 0
	.section	.text._ZN7rocprim17ROCPRIM_400000_NS6detail17trampoline_kernelINS0_14default_configENS1_27scan_by_key_config_selectorIssEEZZNS1_16scan_by_key_implILNS1_25lookback_scan_determinismE0ELb0ES3_N6thrust23THRUST_200600_302600_NS6detail15normal_iteratorINS9_10device_ptrIsEEEESE_SE_sNS9_10multipliesIsEENS9_8equal_toIsEEsEE10hipError_tPvRmT2_T3_T4_T5_mT6_T7_P12ihipStream_tbENKUlT_T0_E_clISt17integral_constantIbLb1EESZ_EEDaSU_SV_EUlSU_E_NS1_11comp_targetILNS1_3genE8ELNS1_11target_archE1030ELNS1_3gpuE2ELNS1_3repE0EEENS1_30default_config_static_selectorELNS0_4arch9wavefront6targetE1EEEvT1_,"axG",@progbits,_ZN7rocprim17ROCPRIM_400000_NS6detail17trampoline_kernelINS0_14default_configENS1_27scan_by_key_config_selectorIssEEZZNS1_16scan_by_key_implILNS1_25lookback_scan_determinismE0ELb0ES3_N6thrust23THRUST_200600_302600_NS6detail15normal_iteratorINS9_10device_ptrIsEEEESE_SE_sNS9_10multipliesIsEENS9_8equal_toIsEEsEE10hipError_tPvRmT2_T3_T4_T5_mT6_T7_P12ihipStream_tbENKUlT_T0_E_clISt17integral_constantIbLb1EESZ_EEDaSU_SV_EUlSU_E_NS1_11comp_targetILNS1_3genE8ELNS1_11target_archE1030ELNS1_3gpuE2ELNS1_3repE0EEENS1_30default_config_static_selectorELNS0_4arch9wavefront6targetE1EEEvT1_,comdat
	.protected	_ZN7rocprim17ROCPRIM_400000_NS6detail17trampoline_kernelINS0_14default_configENS1_27scan_by_key_config_selectorIssEEZZNS1_16scan_by_key_implILNS1_25lookback_scan_determinismE0ELb0ES3_N6thrust23THRUST_200600_302600_NS6detail15normal_iteratorINS9_10device_ptrIsEEEESE_SE_sNS9_10multipliesIsEENS9_8equal_toIsEEsEE10hipError_tPvRmT2_T3_T4_T5_mT6_T7_P12ihipStream_tbENKUlT_T0_E_clISt17integral_constantIbLb1EESZ_EEDaSU_SV_EUlSU_E_NS1_11comp_targetILNS1_3genE8ELNS1_11target_archE1030ELNS1_3gpuE2ELNS1_3repE0EEENS1_30default_config_static_selectorELNS0_4arch9wavefront6targetE1EEEvT1_ ; -- Begin function _ZN7rocprim17ROCPRIM_400000_NS6detail17trampoline_kernelINS0_14default_configENS1_27scan_by_key_config_selectorIssEEZZNS1_16scan_by_key_implILNS1_25lookback_scan_determinismE0ELb0ES3_N6thrust23THRUST_200600_302600_NS6detail15normal_iteratorINS9_10device_ptrIsEEEESE_SE_sNS9_10multipliesIsEENS9_8equal_toIsEEsEE10hipError_tPvRmT2_T3_T4_T5_mT6_T7_P12ihipStream_tbENKUlT_T0_E_clISt17integral_constantIbLb1EESZ_EEDaSU_SV_EUlSU_E_NS1_11comp_targetILNS1_3genE8ELNS1_11target_archE1030ELNS1_3gpuE2ELNS1_3repE0EEENS1_30default_config_static_selectorELNS0_4arch9wavefront6targetE1EEEvT1_
	.globl	_ZN7rocprim17ROCPRIM_400000_NS6detail17trampoline_kernelINS0_14default_configENS1_27scan_by_key_config_selectorIssEEZZNS1_16scan_by_key_implILNS1_25lookback_scan_determinismE0ELb0ES3_N6thrust23THRUST_200600_302600_NS6detail15normal_iteratorINS9_10device_ptrIsEEEESE_SE_sNS9_10multipliesIsEENS9_8equal_toIsEEsEE10hipError_tPvRmT2_T3_T4_T5_mT6_T7_P12ihipStream_tbENKUlT_T0_E_clISt17integral_constantIbLb1EESZ_EEDaSU_SV_EUlSU_E_NS1_11comp_targetILNS1_3genE8ELNS1_11target_archE1030ELNS1_3gpuE2ELNS1_3repE0EEENS1_30default_config_static_selectorELNS0_4arch9wavefront6targetE1EEEvT1_
	.p2align	8
	.type	_ZN7rocprim17ROCPRIM_400000_NS6detail17trampoline_kernelINS0_14default_configENS1_27scan_by_key_config_selectorIssEEZZNS1_16scan_by_key_implILNS1_25lookback_scan_determinismE0ELb0ES3_N6thrust23THRUST_200600_302600_NS6detail15normal_iteratorINS9_10device_ptrIsEEEESE_SE_sNS9_10multipliesIsEENS9_8equal_toIsEEsEE10hipError_tPvRmT2_T3_T4_T5_mT6_T7_P12ihipStream_tbENKUlT_T0_E_clISt17integral_constantIbLb1EESZ_EEDaSU_SV_EUlSU_E_NS1_11comp_targetILNS1_3genE8ELNS1_11target_archE1030ELNS1_3gpuE2ELNS1_3repE0EEENS1_30default_config_static_selectorELNS0_4arch9wavefront6targetE1EEEvT1_,@function
_ZN7rocprim17ROCPRIM_400000_NS6detail17trampoline_kernelINS0_14default_configENS1_27scan_by_key_config_selectorIssEEZZNS1_16scan_by_key_implILNS1_25lookback_scan_determinismE0ELb0ES3_N6thrust23THRUST_200600_302600_NS6detail15normal_iteratorINS9_10device_ptrIsEEEESE_SE_sNS9_10multipliesIsEENS9_8equal_toIsEEsEE10hipError_tPvRmT2_T3_T4_T5_mT6_T7_P12ihipStream_tbENKUlT_T0_E_clISt17integral_constantIbLb1EESZ_EEDaSU_SV_EUlSU_E_NS1_11comp_targetILNS1_3genE8ELNS1_11target_archE1030ELNS1_3gpuE2ELNS1_3repE0EEENS1_30default_config_static_selectorELNS0_4arch9wavefront6targetE1EEEvT1_: ; @_ZN7rocprim17ROCPRIM_400000_NS6detail17trampoline_kernelINS0_14default_configENS1_27scan_by_key_config_selectorIssEEZZNS1_16scan_by_key_implILNS1_25lookback_scan_determinismE0ELb0ES3_N6thrust23THRUST_200600_302600_NS6detail15normal_iteratorINS9_10device_ptrIsEEEESE_SE_sNS9_10multipliesIsEENS9_8equal_toIsEEsEE10hipError_tPvRmT2_T3_T4_T5_mT6_T7_P12ihipStream_tbENKUlT_T0_E_clISt17integral_constantIbLb1EESZ_EEDaSU_SV_EUlSU_E_NS1_11comp_targetILNS1_3genE8ELNS1_11target_archE1030ELNS1_3gpuE2ELNS1_3repE0EEENS1_30default_config_static_selectorELNS0_4arch9wavefront6targetE1EEEvT1_
; %bb.0:
	.section	.rodata,"a",@progbits
	.p2align	6, 0x0
	.amdhsa_kernel _ZN7rocprim17ROCPRIM_400000_NS6detail17trampoline_kernelINS0_14default_configENS1_27scan_by_key_config_selectorIssEEZZNS1_16scan_by_key_implILNS1_25lookback_scan_determinismE0ELb0ES3_N6thrust23THRUST_200600_302600_NS6detail15normal_iteratorINS9_10device_ptrIsEEEESE_SE_sNS9_10multipliesIsEENS9_8equal_toIsEEsEE10hipError_tPvRmT2_T3_T4_T5_mT6_T7_P12ihipStream_tbENKUlT_T0_E_clISt17integral_constantIbLb1EESZ_EEDaSU_SV_EUlSU_E_NS1_11comp_targetILNS1_3genE8ELNS1_11target_archE1030ELNS1_3gpuE2ELNS1_3repE0EEENS1_30default_config_static_selectorELNS0_4arch9wavefront6targetE1EEEvT1_
		.amdhsa_group_segment_fixed_size 0
		.amdhsa_private_segment_fixed_size 0
		.amdhsa_kernarg_size 112
		.amdhsa_user_sgpr_count 6
		.amdhsa_user_sgpr_private_segment_buffer 1
		.amdhsa_user_sgpr_dispatch_ptr 0
		.amdhsa_user_sgpr_queue_ptr 0
		.amdhsa_user_sgpr_kernarg_segment_ptr 1
		.amdhsa_user_sgpr_dispatch_id 0
		.amdhsa_user_sgpr_flat_scratch_init 0
		.amdhsa_user_sgpr_kernarg_preload_length 0
		.amdhsa_user_sgpr_kernarg_preload_offset 0
		.amdhsa_user_sgpr_private_segment_size 0
		.amdhsa_uses_dynamic_stack 0
		.amdhsa_system_sgpr_private_segment_wavefront_offset 0
		.amdhsa_system_sgpr_workgroup_id_x 1
		.amdhsa_system_sgpr_workgroup_id_y 0
		.amdhsa_system_sgpr_workgroup_id_z 0
		.amdhsa_system_sgpr_workgroup_info 0
		.amdhsa_system_vgpr_workitem_id 0
		.amdhsa_next_free_vgpr 1
		.amdhsa_next_free_sgpr 0
		.amdhsa_accum_offset 4
		.amdhsa_reserve_vcc 0
		.amdhsa_reserve_flat_scratch 0
		.amdhsa_float_round_mode_32 0
		.amdhsa_float_round_mode_16_64 0
		.amdhsa_float_denorm_mode_32 3
		.amdhsa_float_denorm_mode_16_64 3
		.amdhsa_dx10_clamp 1
		.amdhsa_ieee_mode 1
		.amdhsa_fp16_overflow 0
		.amdhsa_tg_split 0
		.amdhsa_exception_fp_ieee_invalid_op 0
		.amdhsa_exception_fp_denorm_src 0
		.amdhsa_exception_fp_ieee_div_zero 0
		.amdhsa_exception_fp_ieee_overflow 0
		.amdhsa_exception_fp_ieee_underflow 0
		.amdhsa_exception_fp_ieee_inexact 0
		.amdhsa_exception_int_div_zero 0
	.end_amdhsa_kernel
	.section	.text._ZN7rocprim17ROCPRIM_400000_NS6detail17trampoline_kernelINS0_14default_configENS1_27scan_by_key_config_selectorIssEEZZNS1_16scan_by_key_implILNS1_25lookback_scan_determinismE0ELb0ES3_N6thrust23THRUST_200600_302600_NS6detail15normal_iteratorINS9_10device_ptrIsEEEESE_SE_sNS9_10multipliesIsEENS9_8equal_toIsEEsEE10hipError_tPvRmT2_T3_T4_T5_mT6_T7_P12ihipStream_tbENKUlT_T0_E_clISt17integral_constantIbLb1EESZ_EEDaSU_SV_EUlSU_E_NS1_11comp_targetILNS1_3genE8ELNS1_11target_archE1030ELNS1_3gpuE2ELNS1_3repE0EEENS1_30default_config_static_selectorELNS0_4arch9wavefront6targetE1EEEvT1_,"axG",@progbits,_ZN7rocprim17ROCPRIM_400000_NS6detail17trampoline_kernelINS0_14default_configENS1_27scan_by_key_config_selectorIssEEZZNS1_16scan_by_key_implILNS1_25lookback_scan_determinismE0ELb0ES3_N6thrust23THRUST_200600_302600_NS6detail15normal_iteratorINS9_10device_ptrIsEEEESE_SE_sNS9_10multipliesIsEENS9_8equal_toIsEEsEE10hipError_tPvRmT2_T3_T4_T5_mT6_T7_P12ihipStream_tbENKUlT_T0_E_clISt17integral_constantIbLb1EESZ_EEDaSU_SV_EUlSU_E_NS1_11comp_targetILNS1_3genE8ELNS1_11target_archE1030ELNS1_3gpuE2ELNS1_3repE0EEENS1_30default_config_static_selectorELNS0_4arch9wavefront6targetE1EEEvT1_,comdat
.Lfunc_end298:
	.size	_ZN7rocprim17ROCPRIM_400000_NS6detail17trampoline_kernelINS0_14default_configENS1_27scan_by_key_config_selectorIssEEZZNS1_16scan_by_key_implILNS1_25lookback_scan_determinismE0ELb0ES3_N6thrust23THRUST_200600_302600_NS6detail15normal_iteratorINS9_10device_ptrIsEEEESE_SE_sNS9_10multipliesIsEENS9_8equal_toIsEEsEE10hipError_tPvRmT2_T3_T4_T5_mT6_T7_P12ihipStream_tbENKUlT_T0_E_clISt17integral_constantIbLb1EESZ_EEDaSU_SV_EUlSU_E_NS1_11comp_targetILNS1_3genE8ELNS1_11target_archE1030ELNS1_3gpuE2ELNS1_3repE0EEENS1_30default_config_static_selectorELNS0_4arch9wavefront6targetE1EEEvT1_, .Lfunc_end298-_ZN7rocprim17ROCPRIM_400000_NS6detail17trampoline_kernelINS0_14default_configENS1_27scan_by_key_config_selectorIssEEZZNS1_16scan_by_key_implILNS1_25lookback_scan_determinismE0ELb0ES3_N6thrust23THRUST_200600_302600_NS6detail15normal_iteratorINS9_10device_ptrIsEEEESE_SE_sNS9_10multipliesIsEENS9_8equal_toIsEEsEE10hipError_tPvRmT2_T3_T4_T5_mT6_T7_P12ihipStream_tbENKUlT_T0_E_clISt17integral_constantIbLb1EESZ_EEDaSU_SV_EUlSU_E_NS1_11comp_targetILNS1_3genE8ELNS1_11target_archE1030ELNS1_3gpuE2ELNS1_3repE0EEENS1_30default_config_static_selectorELNS0_4arch9wavefront6targetE1EEEvT1_
                                        ; -- End function
	.section	.AMDGPU.csdata,"",@progbits
; Kernel info:
; codeLenInByte = 0
; NumSgprs: 4
; NumVgprs: 0
; NumAgprs: 0
; TotalNumVgprs: 0
; ScratchSize: 0
; MemoryBound: 0
; FloatMode: 240
; IeeeMode: 1
; LDSByteSize: 0 bytes/workgroup (compile time only)
; SGPRBlocks: 0
; VGPRBlocks: 0
; NumSGPRsForWavesPerEU: 4
; NumVGPRsForWavesPerEU: 1
; AccumOffset: 4
; Occupancy: 8
; WaveLimiterHint : 0
; COMPUTE_PGM_RSRC2:SCRATCH_EN: 0
; COMPUTE_PGM_RSRC2:USER_SGPR: 6
; COMPUTE_PGM_RSRC2:TRAP_HANDLER: 0
; COMPUTE_PGM_RSRC2:TGID_X_EN: 1
; COMPUTE_PGM_RSRC2:TGID_Y_EN: 0
; COMPUTE_PGM_RSRC2:TGID_Z_EN: 0
; COMPUTE_PGM_RSRC2:TIDIG_COMP_CNT: 0
; COMPUTE_PGM_RSRC3_GFX90A:ACCUM_OFFSET: 0
; COMPUTE_PGM_RSRC3_GFX90A:TG_SPLIT: 0
	.section	.text._ZN7rocprim17ROCPRIM_400000_NS6detail17trampoline_kernelINS0_14default_configENS1_27scan_by_key_config_selectorIssEEZZNS1_16scan_by_key_implILNS1_25lookback_scan_determinismE0ELb0ES3_N6thrust23THRUST_200600_302600_NS6detail15normal_iteratorINS9_10device_ptrIsEEEESE_SE_sNS9_10multipliesIsEENS9_8equal_toIsEEsEE10hipError_tPvRmT2_T3_T4_T5_mT6_T7_P12ihipStream_tbENKUlT_T0_E_clISt17integral_constantIbLb1EESY_IbLb0EEEEDaSU_SV_EUlSU_E_NS1_11comp_targetILNS1_3genE0ELNS1_11target_archE4294967295ELNS1_3gpuE0ELNS1_3repE0EEENS1_30default_config_static_selectorELNS0_4arch9wavefront6targetE1EEEvT1_,"axG",@progbits,_ZN7rocprim17ROCPRIM_400000_NS6detail17trampoline_kernelINS0_14default_configENS1_27scan_by_key_config_selectorIssEEZZNS1_16scan_by_key_implILNS1_25lookback_scan_determinismE0ELb0ES3_N6thrust23THRUST_200600_302600_NS6detail15normal_iteratorINS9_10device_ptrIsEEEESE_SE_sNS9_10multipliesIsEENS9_8equal_toIsEEsEE10hipError_tPvRmT2_T3_T4_T5_mT6_T7_P12ihipStream_tbENKUlT_T0_E_clISt17integral_constantIbLb1EESY_IbLb0EEEEDaSU_SV_EUlSU_E_NS1_11comp_targetILNS1_3genE0ELNS1_11target_archE4294967295ELNS1_3gpuE0ELNS1_3repE0EEENS1_30default_config_static_selectorELNS0_4arch9wavefront6targetE1EEEvT1_,comdat
	.protected	_ZN7rocprim17ROCPRIM_400000_NS6detail17trampoline_kernelINS0_14default_configENS1_27scan_by_key_config_selectorIssEEZZNS1_16scan_by_key_implILNS1_25lookback_scan_determinismE0ELb0ES3_N6thrust23THRUST_200600_302600_NS6detail15normal_iteratorINS9_10device_ptrIsEEEESE_SE_sNS9_10multipliesIsEENS9_8equal_toIsEEsEE10hipError_tPvRmT2_T3_T4_T5_mT6_T7_P12ihipStream_tbENKUlT_T0_E_clISt17integral_constantIbLb1EESY_IbLb0EEEEDaSU_SV_EUlSU_E_NS1_11comp_targetILNS1_3genE0ELNS1_11target_archE4294967295ELNS1_3gpuE0ELNS1_3repE0EEENS1_30default_config_static_selectorELNS0_4arch9wavefront6targetE1EEEvT1_ ; -- Begin function _ZN7rocprim17ROCPRIM_400000_NS6detail17trampoline_kernelINS0_14default_configENS1_27scan_by_key_config_selectorIssEEZZNS1_16scan_by_key_implILNS1_25lookback_scan_determinismE0ELb0ES3_N6thrust23THRUST_200600_302600_NS6detail15normal_iteratorINS9_10device_ptrIsEEEESE_SE_sNS9_10multipliesIsEENS9_8equal_toIsEEsEE10hipError_tPvRmT2_T3_T4_T5_mT6_T7_P12ihipStream_tbENKUlT_T0_E_clISt17integral_constantIbLb1EESY_IbLb0EEEEDaSU_SV_EUlSU_E_NS1_11comp_targetILNS1_3genE0ELNS1_11target_archE4294967295ELNS1_3gpuE0ELNS1_3repE0EEENS1_30default_config_static_selectorELNS0_4arch9wavefront6targetE1EEEvT1_
	.globl	_ZN7rocprim17ROCPRIM_400000_NS6detail17trampoline_kernelINS0_14default_configENS1_27scan_by_key_config_selectorIssEEZZNS1_16scan_by_key_implILNS1_25lookback_scan_determinismE0ELb0ES3_N6thrust23THRUST_200600_302600_NS6detail15normal_iteratorINS9_10device_ptrIsEEEESE_SE_sNS9_10multipliesIsEENS9_8equal_toIsEEsEE10hipError_tPvRmT2_T3_T4_T5_mT6_T7_P12ihipStream_tbENKUlT_T0_E_clISt17integral_constantIbLb1EESY_IbLb0EEEEDaSU_SV_EUlSU_E_NS1_11comp_targetILNS1_3genE0ELNS1_11target_archE4294967295ELNS1_3gpuE0ELNS1_3repE0EEENS1_30default_config_static_selectorELNS0_4arch9wavefront6targetE1EEEvT1_
	.p2align	8
	.type	_ZN7rocprim17ROCPRIM_400000_NS6detail17trampoline_kernelINS0_14default_configENS1_27scan_by_key_config_selectorIssEEZZNS1_16scan_by_key_implILNS1_25lookback_scan_determinismE0ELb0ES3_N6thrust23THRUST_200600_302600_NS6detail15normal_iteratorINS9_10device_ptrIsEEEESE_SE_sNS9_10multipliesIsEENS9_8equal_toIsEEsEE10hipError_tPvRmT2_T3_T4_T5_mT6_T7_P12ihipStream_tbENKUlT_T0_E_clISt17integral_constantIbLb1EESY_IbLb0EEEEDaSU_SV_EUlSU_E_NS1_11comp_targetILNS1_3genE0ELNS1_11target_archE4294967295ELNS1_3gpuE0ELNS1_3repE0EEENS1_30default_config_static_selectorELNS0_4arch9wavefront6targetE1EEEvT1_,@function
_ZN7rocprim17ROCPRIM_400000_NS6detail17trampoline_kernelINS0_14default_configENS1_27scan_by_key_config_selectorIssEEZZNS1_16scan_by_key_implILNS1_25lookback_scan_determinismE0ELb0ES3_N6thrust23THRUST_200600_302600_NS6detail15normal_iteratorINS9_10device_ptrIsEEEESE_SE_sNS9_10multipliesIsEENS9_8equal_toIsEEsEE10hipError_tPvRmT2_T3_T4_T5_mT6_T7_P12ihipStream_tbENKUlT_T0_E_clISt17integral_constantIbLb1EESY_IbLb0EEEEDaSU_SV_EUlSU_E_NS1_11comp_targetILNS1_3genE0ELNS1_11target_archE4294967295ELNS1_3gpuE0ELNS1_3repE0EEENS1_30default_config_static_selectorELNS0_4arch9wavefront6targetE1EEEvT1_: ; @_ZN7rocprim17ROCPRIM_400000_NS6detail17trampoline_kernelINS0_14default_configENS1_27scan_by_key_config_selectorIssEEZZNS1_16scan_by_key_implILNS1_25lookback_scan_determinismE0ELb0ES3_N6thrust23THRUST_200600_302600_NS6detail15normal_iteratorINS9_10device_ptrIsEEEESE_SE_sNS9_10multipliesIsEENS9_8equal_toIsEEsEE10hipError_tPvRmT2_T3_T4_T5_mT6_T7_P12ihipStream_tbENKUlT_T0_E_clISt17integral_constantIbLb1EESY_IbLb0EEEEDaSU_SV_EUlSU_E_NS1_11comp_targetILNS1_3genE0ELNS1_11target_archE4294967295ELNS1_3gpuE0ELNS1_3repE0EEENS1_30default_config_static_selectorELNS0_4arch9wavefront6targetE1EEEvT1_
; %bb.0:
	.section	.rodata,"a",@progbits
	.p2align	6, 0x0
	.amdhsa_kernel _ZN7rocprim17ROCPRIM_400000_NS6detail17trampoline_kernelINS0_14default_configENS1_27scan_by_key_config_selectorIssEEZZNS1_16scan_by_key_implILNS1_25lookback_scan_determinismE0ELb0ES3_N6thrust23THRUST_200600_302600_NS6detail15normal_iteratorINS9_10device_ptrIsEEEESE_SE_sNS9_10multipliesIsEENS9_8equal_toIsEEsEE10hipError_tPvRmT2_T3_T4_T5_mT6_T7_P12ihipStream_tbENKUlT_T0_E_clISt17integral_constantIbLb1EESY_IbLb0EEEEDaSU_SV_EUlSU_E_NS1_11comp_targetILNS1_3genE0ELNS1_11target_archE4294967295ELNS1_3gpuE0ELNS1_3repE0EEENS1_30default_config_static_selectorELNS0_4arch9wavefront6targetE1EEEvT1_
		.amdhsa_group_segment_fixed_size 0
		.amdhsa_private_segment_fixed_size 0
		.amdhsa_kernarg_size 112
		.amdhsa_user_sgpr_count 6
		.amdhsa_user_sgpr_private_segment_buffer 1
		.amdhsa_user_sgpr_dispatch_ptr 0
		.amdhsa_user_sgpr_queue_ptr 0
		.amdhsa_user_sgpr_kernarg_segment_ptr 1
		.amdhsa_user_sgpr_dispatch_id 0
		.amdhsa_user_sgpr_flat_scratch_init 0
		.amdhsa_user_sgpr_kernarg_preload_length 0
		.amdhsa_user_sgpr_kernarg_preload_offset 0
		.amdhsa_user_sgpr_private_segment_size 0
		.amdhsa_uses_dynamic_stack 0
		.amdhsa_system_sgpr_private_segment_wavefront_offset 0
		.amdhsa_system_sgpr_workgroup_id_x 1
		.amdhsa_system_sgpr_workgroup_id_y 0
		.amdhsa_system_sgpr_workgroup_id_z 0
		.amdhsa_system_sgpr_workgroup_info 0
		.amdhsa_system_vgpr_workitem_id 0
		.amdhsa_next_free_vgpr 1
		.amdhsa_next_free_sgpr 0
		.amdhsa_accum_offset 4
		.amdhsa_reserve_vcc 0
		.amdhsa_reserve_flat_scratch 0
		.amdhsa_float_round_mode_32 0
		.amdhsa_float_round_mode_16_64 0
		.amdhsa_float_denorm_mode_32 3
		.amdhsa_float_denorm_mode_16_64 3
		.amdhsa_dx10_clamp 1
		.amdhsa_ieee_mode 1
		.amdhsa_fp16_overflow 0
		.amdhsa_tg_split 0
		.amdhsa_exception_fp_ieee_invalid_op 0
		.amdhsa_exception_fp_denorm_src 0
		.amdhsa_exception_fp_ieee_div_zero 0
		.amdhsa_exception_fp_ieee_overflow 0
		.amdhsa_exception_fp_ieee_underflow 0
		.amdhsa_exception_fp_ieee_inexact 0
		.amdhsa_exception_int_div_zero 0
	.end_amdhsa_kernel
	.section	.text._ZN7rocprim17ROCPRIM_400000_NS6detail17trampoline_kernelINS0_14default_configENS1_27scan_by_key_config_selectorIssEEZZNS1_16scan_by_key_implILNS1_25lookback_scan_determinismE0ELb0ES3_N6thrust23THRUST_200600_302600_NS6detail15normal_iteratorINS9_10device_ptrIsEEEESE_SE_sNS9_10multipliesIsEENS9_8equal_toIsEEsEE10hipError_tPvRmT2_T3_T4_T5_mT6_T7_P12ihipStream_tbENKUlT_T0_E_clISt17integral_constantIbLb1EESY_IbLb0EEEEDaSU_SV_EUlSU_E_NS1_11comp_targetILNS1_3genE0ELNS1_11target_archE4294967295ELNS1_3gpuE0ELNS1_3repE0EEENS1_30default_config_static_selectorELNS0_4arch9wavefront6targetE1EEEvT1_,"axG",@progbits,_ZN7rocprim17ROCPRIM_400000_NS6detail17trampoline_kernelINS0_14default_configENS1_27scan_by_key_config_selectorIssEEZZNS1_16scan_by_key_implILNS1_25lookback_scan_determinismE0ELb0ES3_N6thrust23THRUST_200600_302600_NS6detail15normal_iteratorINS9_10device_ptrIsEEEESE_SE_sNS9_10multipliesIsEENS9_8equal_toIsEEsEE10hipError_tPvRmT2_T3_T4_T5_mT6_T7_P12ihipStream_tbENKUlT_T0_E_clISt17integral_constantIbLb1EESY_IbLb0EEEEDaSU_SV_EUlSU_E_NS1_11comp_targetILNS1_3genE0ELNS1_11target_archE4294967295ELNS1_3gpuE0ELNS1_3repE0EEENS1_30default_config_static_selectorELNS0_4arch9wavefront6targetE1EEEvT1_,comdat
.Lfunc_end299:
	.size	_ZN7rocprim17ROCPRIM_400000_NS6detail17trampoline_kernelINS0_14default_configENS1_27scan_by_key_config_selectorIssEEZZNS1_16scan_by_key_implILNS1_25lookback_scan_determinismE0ELb0ES3_N6thrust23THRUST_200600_302600_NS6detail15normal_iteratorINS9_10device_ptrIsEEEESE_SE_sNS9_10multipliesIsEENS9_8equal_toIsEEsEE10hipError_tPvRmT2_T3_T4_T5_mT6_T7_P12ihipStream_tbENKUlT_T0_E_clISt17integral_constantIbLb1EESY_IbLb0EEEEDaSU_SV_EUlSU_E_NS1_11comp_targetILNS1_3genE0ELNS1_11target_archE4294967295ELNS1_3gpuE0ELNS1_3repE0EEENS1_30default_config_static_selectorELNS0_4arch9wavefront6targetE1EEEvT1_, .Lfunc_end299-_ZN7rocprim17ROCPRIM_400000_NS6detail17trampoline_kernelINS0_14default_configENS1_27scan_by_key_config_selectorIssEEZZNS1_16scan_by_key_implILNS1_25lookback_scan_determinismE0ELb0ES3_N6thrust23THRUST_200600_302600_NS6detail15normal_iteratorINS9_10device_ptrIsEEEESE_SE_sNS9_10multipliesIsEENS9_8equal_toIsEEsEE10hipError_tPvRmT2_T3_T4_T5_mT6_T7_P12ihipStream_tbENKUlT_T0_E_clISt17integral_constantIbLb1EESY_IbLb0EEEEDaSU_SV_EUlSU_E_NS1_11comp_targetILNS1_3genE0ELNS1_11target_archE4294967295ELNS1_3gpuE0ELNS1_3repE0EEENS1_30default_config_static_selectorELNS0_4arch9wavefront6targetE1EEEvT1_
                                        ; -- End function
	.section	.AMDGPU.csdata,"",@progbits
; Kernel info:
; codeLenInByte = 0
; NumSgprs: 4
; NumVgprs: 0
; NumAgprs: 0
; TotalNumVgprs: 0
; ScratchSize: 0
; MemoryBound: 0
; FloatMode: 240
; IeeeMode: 1
; LDSByteSize: 0 bytes/workgroup (compile time only)
; SGPRBlocks: 0
; VGPRBlocks: 0
; NumSGPRsForWavesPerEU: 4
; NumVGPRsForWavesPerEU: 1
; AccumOffset: 4
; Occupancy: 8
; WaveLimiterHint : 0
; COMPUTE_PGM_RSRC2:SCRATCH_EN: 0
; COMPUTE_PGM_RSRC2:USER_SGPR: 6
; COMPUTE_PGM_RSRC2:TRAP_HANDLER: 0
; COMPUTE_PGM_RSRC2:TGID_X_EN: 1
; COMPUTE_PGM_RSRC2:TGID_Y_EN: 0
; COMPUTE_PGM_RSRC2:TGID_Z_EN: 0
; COMPUTE_PGM_RSRC2:TIDIG_COMP_CNT: 0
; COMPUTE_PGM_RSRC3_GFX90A:ACCUM_OFFSET: 0
; COMPUTE_PGM_RSRC3_GFX90A:TG_SPLIT: 0
	.section	.text._ZN7rocprim17ROCPRIM_400000_NS6detail17trampoline_kernelINS0_14default_configENS1_27scan_by_key_config_selectorIssEEZZNS1_16scan_by_key_implILNS1_25lookback_scan_determinismE0ELb0ES3_N6thrust23THRUST_200600_302600_NS6detail15normal_iteratorINS9_10device_ptrIsEEEESE_SE_sNS9_10multipliesIsEENS9_8equal_toIsEEsEE10hipError_tPvRmT2_T3_T4_T5_mT6_T7_P12ihipStream_tbENKUlT_T0_E_clISt17integral_constantIbLb1EESY_IbLb0EEEEDaSU_SV_EUlSU_E_NS1_11comp_targetILNS1_3genE10ELNS1_11target_archE1201ELNS1_3gpuE5ELNS1_3repE0EEENS1_30default_config_static_selectorELNS0_4arch9wavefront6targetE1EEEvT1_,"axG",@progbits,_ZN7rocprim17ROCPRIM_400000_NS6detail17trampoline_kernelINS0_14default_configENS1_27scan_by_key_config_selectorIssEEZZNS1_16scan_by_key_implILNS1_25lookback_scan_determinismE0ELb0ES3_N6thrust23THRUST_200600_302600_NS6detail15normal_iteratorINS9_10device_ptrIsEEEESE_SE_sNS9_10multipliesIsEENS9_8equal_toIsEEsEE10hipError_tPvRmT2_T3_T4_T5_mT6_T7_P12ihipStream_tbENKUlT_T0_E_clISt17integral_constantIbLb1EESY_IbLb0EEEEDaSU_SV_EUlSU_E_NS1_11comp_targetILNS1_3genE10ELNS1_11target_archE1201ELNS1_3gpuE5ELNS1_3repE0EEENS1_30default_config_static_selectorELNS0_4arch9wavefront6targetE1EEEvT1_,comdat
	.protected	_ZN7rocprim17ROCPRIM_400000_NS6detail17trampoline_kernelINS0_14default_configENS1_27scan_by_key_config_selectorIssEEZZNS1_16scan_by_key_implILNS1_25lookback_scan_determinismE0ELb0ES3_N6thrust23THRUST_200600_302600_NS6detail15normal_iteratorINS9_10device_ptrIsEEEESE_SE_sNS9_10multipliesIsEENS9_8equal_toIsEEsEE10hipError_tPvRmT2_T3_T4_T5_mT6_T7_P12ihipStream_tbENKUlT_T0_E_clISt17integral_constantIbLb1EESY_IbLb0EEEEDaSU_SV_EUlSU_E_NS1_11comp_targetILNS1_3genE10ELNS1_11target_archE1201ELNS1_3gpuE5ELNS1_3repE0EEENS1_30default_config_static_selectorELNS0_4arch9wavefront6targetE1EEEvT1_ ; -- Begin function _ZN7rocprim17ROCPRIM_400000_NS6detail17trampoline_kernelINS0_14default_configENS1_27scan_by_key_config_selectorIssEEZZNS1_16scan_by_key_implILNS1_25lookback_scan_determinismE0ELb0ES3_N6thrust23THRUST_200600_302600_NS6detail15normal_iteratorINS9_10device_ptrIsEEEESE_SE_sNS9_10multipliesIsEENS9_8equal_toIsEEsEE10hipError_tPvRmT2_T3_T4_T5_mT6_T7_P12ihipStream_tbENKUlT_T0_E_clISt17integral_constantIbLb1EESY_IbLb0EEEEDaSU_SV_EUlSU_E_NS1_11comp_targetILNS1_3genE10ELNS1_11target_archE1201ELNS1_3gpuE5ELNS1_3repE0EEENS1_30default_config_static_selectorELNS0_4arch9wavefront6targetE1EEEvT1_
	.globl	_ZN7rocprim17ROCPRIM_400000_NS6detail17trampoline_kernelINS0_14default_configENS1_27scan_by_key_config_selectorIssEEZZNS1_16scan_by_key_implILNS1_25lookback_scan_determinismE0ELb0ES3_N6thrust23THRUST_200600_302600_NS6detail15normal_iteratorINS9_10device_ptrIsEEEESE_SE_sNS9_10multipliesIsEENS9_8equal_toIsEEsEE10hipError_tPvRmT2_T3_T4_T5_mT6_T7_P12ihipStream_tbENKUlT_T0_E_clISt17integral_constantIbLb1EESY_IbLb0EEEEDaSU_SV_EUlSU_E_NS1_11comp_targetILNS1_3genE10ELNS1_11target_archE1201ELNS1_3gpuE5ELNS1_3repE0EEENS1_30default_config_static_selectorELNS0_4arch9wavefront6targetE1EEEvT1_
	.p2align	8
	.type	_ZN7rocprim17ROCPRIM_400000_NS6detail17trampoline_kernelINS0_14default_configENS1_27scan_by_key_config_selectorIssEEZZNS1_16scan_by_key_implILNS1_25lookback_scan_determinismE0ELb0ES3_N6thrust23THRUST_200600_302600_NS6detail15normal_iteratorINS9_10device_ptrIsEEEESE_SE_sNS9_10multipliesIsEENS9_8equal_toIsEEsEE10hipError_tPvRmT2_T3_T4_T5_mT6_T7_P12ihipStream_tbENKUlT_T0_E_clISt17integral_constantIbLb1EESY_IbLb0EEEEDaSU_SV_EUlSU_E_NS1_11comp_targetILNS1_3genE10ELNS1_11target_archE1201ELNS1_3gpuE5ELNS1_3repE0EEENS1_30default_config_static_selectorELNS0_4arch9wavefront6targetE1EEEvT1_,@function
_ZN7rocprim17ROCPRIM_400000_NS6detail17trampoline_kernelINS0_14default_configENS1_27scan_by_key_config_selectorIssEEZZNS1_16scan_by_key_implILNS1_25lookback_scan_determinismE0ELb0ES3_N6thrust23THRUST_200600_302600_NS6detail15normal_iteratorINS9_10device_ptrIsEEEESE_SE_sNS9_10multipliesIsEENS9_8equal_toIsEEsEE10hipError_tPvRmT2_T3_T4_T5_mT6_T7_P12ihipStream_tbENKUlT_T0_E_clISt17integral_constantIbLb1EESY_IbLb0EEEEDaSU_SV_EUlSU_E_NS1_11comp_targetILNS1_3genE10ELNS1_11target_archE1201ELNS1_3gpuE5ELNS1_3repE0EEENS1_30default_config_static_selectorELNS0_4arch9wavefront6targetE1EEEvT1_: ; @_ZN7rocprim17ROCPRIM_400000_NS6detail17trampoline_kernelINS0_14default_configENS1_27scan_by_key_config_selectorIssEEZZNS1_16scan_by_key_implILNS1_25lookback_scan_determinismE0ELb0ES3_N6thrust23THRUST_200600_302600_NS6detail15normal_iteratorINS9_10device_ptrIsEEEESE_SE_sNS9_10multipliesIsEENS9_8equal_toIsEEsEE10hipError_tPvRmT2_T3_T4_T5_mT6_T7_P12ihipStream_tbENKUlT_T0_E_clISt17integral_constantIbLb1EESY_IbLb0EEEEDaSU_SV_EUlSU_E_NS1_11comp_targetILNS1_3genE10ELNS1_11target_archE1201ELNS1_3gpuE5ELNS1_3repE0EEENS1_30default_config_static_selectorELNS0_4arch9wavefront6targetE1EEEvT1_
; %bb.0:
	.section	.rodata,"a",@progbits
	.p2align	6, 0x0
	.amdhsa_kernel _ZN7rocprim17ROCPRIM_400000_NS6detail17trampoline_kernelINS0_14default_configENS1_27scan_by_key_config_selectorIssEEZZNS1_16scan_by_key_implILNS1_25lookback_scan_determinismE0ELb0ES3_N6thrust23THRUST_200600_302600_NS6detail15normal_iteratorINS9_10device_ptrIsEEEESE_SE_sNS9_10multipliesIsEENS9_8equal_toIsEEsEE10hipError_tPvRmT2_T3_T4_T5_mT6_T7_P12ihipStream_tbENKUlT_T0_E_clISt17integral_constantIbLb1EESY_IbLb0EEEEDaSU_SV_EUlSU_E_NS1_11comp_targetILNS1_3genE10ELNS1_11target_archE1201ELNS1_3gpuE5ELNS1_3repE0EEENS1_30default_config_static_selectorELNS0_4arch9wavefront6targetE1EEEvT1_
		.amdhsa_group_segment_fixed_size 0
		.amdhsa_private_segment_fixed_size 0
		.amdhsa_kernarg_size 112
		.amdhsa_user_sgpr_count 6
		.amdhsa_user_sgpr_private_segment_buffer 1
		.amdhsa_user_sgpr_dispatch_ptr 0
		.amdhsa_user_sgpr_queue_ptr 0
		.amdhsa_user_sgpr_kernarg_segment_ptr 1
		.amdhsa_user_sgpr_dispatch_id 0
		.amdhsa_user_sgpr_flat_scratch_init 0
		.amdhsa_user_sgpr_kernarg_preload_length 0
		.amdhsa_user_sgpr_kernarg_preload_offset 0
		.amdhsa_user_sgpr_private_segment_size 0
		.amdhsa_uses_dynamic_stack 0
		.amdhsa_system_sgpr_private_segment_wavefront_offset 0
		.amdhsa_system_sgpr_workgroup_id_x 1
		.amdhsa_system_sgpr_workgroup_id_y 0
		.amdhsa_system_sgpr_workgroup_id_z 0
		.amdhsa_system_sgpr_workgroup_info 0
		.amdhsa_system_vgpr_workitem_id 0
		.amdhsa_next_free_vgpr 1
		.amdhsa_next_free_sgpr 0
		.amdhsa_accum_offset 4
		.amdhsa_reserve_vcc 0
		.amdhsa_reserve_flat_scratch 0
		.amdhsa_float_round_mode_32 0
		.amdhsa_float_round_mode_16_64 0
		.amdhsa_float_denorm_mode_32 3
		.amdhsa_float_denorm_mode_16_64 3
		.amdhsa_dx10_clamp 1
		.amdhsa_ieee_mode 1
		.amdhsa_fp16_overflow 0
		.amdhsa_tg_split 0
		.amdhsa_exception_fp_ieee_invalid_op 0
		.amdhsa_exception_fp_denorm_src 0
		.amdhsa_exception_fp_ieee_div_zero 0
		.amdhsa_exception_fp_ieee_overflow 0
		.amdhsa_exception_fp_ieee_underflow 0
		.amdhsa_exception_fp_ieee_inexact 0
		.amdhsa_exception_int_div_zero 0
	.end_amdhsa_kernel
	.section	.text._ZN7rocprim17ROCPRIM_400000_NS6detail17trampoline_kernelINS0_14default_configENS1_27scan_by_key_config_selectorIssEEZZNS1_16scan_by_key_implILNS1_25lookback_scan_determinismE0ELb0ES3_N6thrust23THRUST_200600_302600_NS6detail15normal_iteratorINS9_10device_ptrIsEEEESE_SE_sNS9_10multipliesIsEENS9_8equal_toIsEEsEE10hipError_tPvRmT2_T3_T4_T5_mT6_T7_P12ihipStream_tbENKUlT_T0_E_clISt17integral_constantIbLb1EESY_IbLb0EEEEDaSU_SV_EUlSU_E_NS1_11comp_targetILNS1_3genE10ELNS1_11target_archE1201ELNS1_3gpuE5ELNS1_3repE0EEENS1_30default_config_static_selectorELNS0_4arch9wavefront6targetE1EEEvT1_,"axG",@progbits,_ZN7rocprim17ROCPRIM_400000_NS6detail17trampoline_kernelINS0_14default_configENS1_27scan_by_key_config_selectorIssEEZZNS1_16scan_by_key_implILNS1_25lookback_scan_determinismE0ELb0ES3_N6thrust23THRUST_200600_302600_NS6detail15normal_iteratorINS9_10device_ptrIsEEEESE_SE_sNS9_10multipliesIsEENS9_8equal_toIsEEsEE10hipError_tPvRmT2_T3_T4_T5_mT6_T7_P12ihipStream_tbENKUlT_T0_E_clISt17integral_constantIbLb1EESY_IbLb0EEEEDaSU_SV_EUlSU_E_NS1_11comp_targetILNS1_3genE10ELNS1_11target_archE1201ELNS1_3gpuE5ELNS1_3repE0EEENS1_30default_config_static_selectorELNS0_4arch9wavefront6targetE1EEEvT1_,comdat
.Lfunc_end300:
	.size	_ZN7rocprim17ROCPRIM_400000_NS6detail17trampoline_kernelINS0_14default_configENS1_27scan_by_key_config_selectorIssEEZZNS1_16scan_by_key_implILNS1_25lookback_scan_determinismE0ELb0ES3_N6thrust23THRUST_200600_302600_NS6detail15normal_iteratorINS9_10device_ptrIsEEEESE_SE_sNS9_10multipliesIsEENS9_8equal_toIsEEsEE10hipError_tPvRmT2_T3_T4_T5_mT6_T7_P12ihipStream_tbENKUlT_T0_E_clISt17integral_constantIbLb1EESY_IbLb0EEEEDaSU_SV_EUlSU_E_NS1_11comp_targetILNS1_3genE10ELNS1_11target_archE1201ELNS1_3gpuE5ELNS1_3repE0EEENS1_30default_config_static_selectorELNS0_4arch9wavefront6targetE1EEEvT1_, .Lfunc_end300-_ZN7rocprim17ROCPRIM_400000_NS6detail17trampoline_kernelINS0_14default_configENS1_27scan_by_key_config_selectorIssEEZZNS1_16scan_by_key_implILNS1_25lookback_scan_determinismE0ELb0ES3_N6thrust23THRUST_200600_302600_NS6detail15normal_iteratorINS9_10device_ptrIsEEEESE_SE_sNS9_10multipliesIsEENS9_8equal_toIsEEsEE10hipError_tPvRmT2_T3_T4_T5_mT6_T7_P12ihipStream_tbENKUlT_T0_E_clISt17integral_constantIbLb1EESY_IbLb0EEEEDaSU_SV_EUlSU_E_NS1_11comp_targetILNS1_3genE10ELNS1_11target_archE1201ELNS1_3gpuE5ELNS1_3repE0EEENS1_30default_config_static_selectorELNS0_4arch9wavefront6targetE1EEEvT1_
                                        ; -- End function
	.section	.AMDGPU.csdata,"",@progbits
; Kernel info:
; codeLenInByte = 0
; NumSgprs: 4
; NumVgprs: 0
; NumAgprs: 0
; TotalNumVgprs: 0
; ScratchSize: 0
; MemoryBound: 0
; FloatMode: 240
; IeeeMode: 1
; LDSByteSize: 0 bytes/workgroup (compile time only)
; SGPRBlocks: 0
; VGPRBlocks: 0
; NumSGPRsForWavesPerEU: 4
; NumVGPRsForWavesPerEU: 1
; AccumOffset: 4
; Occupancy: 8
; WaveLimiterHint : 0
; COMPUTE_PGM_RSRC2:SCRATCH_EN: 0
; COMPUTE_PGM_RSRC2:USER_SGPR: 6
; COMPUTE_PGM_RSRC2:TRAP_HANDLER: 0
; COMPUTE_PGM_RSRC2:TGID_X_EN: 1
; COMPUTE_PGM_RSRC2:TGID_Y_EN: 0
; COMPUTE_PGM_RSRC2:TGID_Z_EN: 0
; COMPUTE_PGM_RSRC2:TIDIG_COMP_CNT: 0
; COMPUTE_PGM_RSRC3_GFX90A:ACCUM_OFFSET: 0
; COMPUTE_PGM_RSRC3_GFX90A:TG_SPLIT: 0
	.section	.text._ZN7rocprim17ROCPRIM_400000_NS6detail17trampoline_kernelINS0_14default_configENS1_27scan_by_key_config_selectorIssEEZZNS1_16scan_by_key_implILNS1_25lookback_scan_determinismE0ELb0ES3_N6thrust23THRUST_200600_302600_NS6detail15normal_iteratorINS9_10device_ptrIsEEEESE_SE_sNS9_10multipliesIsEENS9_8equal_toIsEEsEE10hipError_tPvRmT2_T3_T4_T5_mT6_T7_P12ihipStream_tbENKUlT_T0_E_clISt17integral_constantIbLb1EESY_IbLb0EEEEDaSU_SV_EUlSU_E_NS1_11comp_targetILNS1_3genE5ELNS1_11target_archE942ELNS1_3gpuE9ELNS1_3repE0EEENS1_30default_config_static_selectorELNS0_4arch9wavefront6targetE1EEEvT1_,"axG",@progbits,_ZN7rocprim17ROCPRIM_400000_NS6detail17trampoline_kernelINS0_14default_configENS1_27scan_by_key_config_selectorIssEEZZNS1_16scan_by_key_implILNS1_25lookback_scan_determinismE0ELb0ES3_N6thrust23THRUST_200600_302600_NS6detail15normal_iteratorINS9_10device_ptrIsEEEESE_SE_sNS9_10multipliesIsEENS9_8equal_toIsEEsEE10hipError_tPvRmT2_T3_T4_T5_mT6_T7_P12ihipStream_tbENKUlT_T0_E_clISt17integral_constantIbLb1EESY_IbLb0EEEEDaSU_SV_EUlSU_E_NS1_11comp_targetILNS1_3genE5ELNS1_11target_archE942ELNS1_3gpuE9ELNS1_3repE0EEENS1_30default_config_static_selectorELNS0_4arch9wavefront6targetE1EEEvT1_,comdat
	.protected	_ZN7rocprim17ROCPRIM_400000_NS6detail17trampoline_kernelINS0_14default_configENS1_27scan_by_key_config_selectorIssEEZZNS1_16scan_by_key_implILNS1_25lookback_scan_determinismE0ELb0ES3_N6thrust23THRUST_200600_302600_NS6detail15normal_iteratorINS9_10device_ptrIsEEEESE_SE_sNS9_10multipliesIsEENS9_8equal_toIsEEsEE10hipError_tPvRmT2_T3_T4_T5_mT6_T7_P12ihipStream_tbENKUlT_T0_E_clISt17integral_constantIbLb1EESY_IbLb0EEEEDaSU_SV_EUlSU_E_NS1_11comp_targetILNS1_3genE5ELNS1_11target_archE942ELNS1_3gpuE9ELNS1_3repE0EEENS1_30default_config_static_selectorELNS0_4arch9wavefront6targetE1EEEvT1_ ; -- Begin function _ZN7rocprim17ROCPRIM_400000_NS6detail17trampoline_kernelINS0_14default_configENS1_27scan_by_key_config_selectorIssEEZZNS1_16scan_by_key_implILNS1_25lookback_scan_determinismE0ELb0ES3_N6thrust23THRUST_200600_302600_NS6detail15normal_iteratorINS9_10device_ptrIsEEEESE_SE_sNS9_10multipliesIsEENS9_8equal_toIsEEsEE10hipError_tPvRmT2_T3_T4_T5_mT6_T7_P12ihipStream_tbENKUlT_T0_E_clISt17integral_constantIbLb1EESY_IbLb0EEEEDaSU_SV_EUlSU_E_NS1_11comp_targetILNS1_3genE5ELNS1_11target_archE942ELNS1_3gpuE9ELNS1_3repE0EEENS1_30default_config_static_selectorELNS0_4arch9wavefront6targetE1EEEvT1_
	.globl	_ZN7rocprim17ROCPRIM_400000_NS6detail17trampoline_kernelINS0_14default_configENS1_27scan_by_key_config_selectorIssEEZZNS1_16scan_by_key_implILNS1_25lookback_scan_determinismE0ELb0ES3_N6thrust23THRUST_200600_302600_NS6detail15normal_iteratorINS9_10device_ptrIsEEEESE_SE_sNS9_10multipliesIsEENS9_8equal_toIsEEsEE10hipError_tPvRmT2_T3_T4_T5_mT6_T7_P12ihipStream_tbENKUlT_T0_E_clISt17integral_constantIbLb1EESY_IbLb0EEEEDaSU_SV_EUlSU_E_NS1_11comp_targetILNS1_3genE5ELNS1_11target_archE942ELNS1_3gpuE9ELNS1_3repE0EEENS1_30default_config_static_selectorELNS0_4arch9wavefront6targetE1EEEvT1_
	.p2align	8
	.type	_ZN7rocprim17ROCPRIM_400000_NS6detail17trampoline_kernelINS0_14default_configENS1_27scan_by_key_config_selectorIssEEZZNS1_16scan_by_key_implILNS1_25lookback_scan_determinismE0ELb0ES3_N6thrust23THRUST_200600_302600_NS6detail15normal_iteratorINS9_10device_ptrIsEEEESE_SE_sNS9_10multipliesIsEENS9_8equal_toIsEEsEE10hipError_tPvRmT2_T3_T4_T5_mT6_T7_P12ihipStream_tbENKUlT_T0_E_clISt17integral_constantIbLb1EESY_IbLb0EEEEDaSU_SV_EUlSU_E_NS1_11comp_targetILNS1_3genE5ELNS1_11target_archE942ELNS1_3gpuE9ELNS1_3repE0EEENS1_30default_config_static_selectorELNS0_4arch9wavefront6targetE1EEEvT1_,@function
_ZN7rocprim17ROCPRIM_400000_NS6detail17trampoline_kernelINS0_14default_configENS1_27scan_by_key_config_selectorIssEEZZNS1_16scan_by_key_implILNS1_25lookback_scan_determinismE0ELb0ES3_N6thrust23THRUST_200600_302600_NS6detail15normal_iteratorINS9_10device_ptrIsEEEESE_SE_sNS9_10multipliesIsEENS9_8equal_toIsEEsEE10hipError_tPvRmT2_T3_T4_T5_mT6_T7_P12ihipStream_tbENKUlT_T0_E_clISt17integral_constantIbLb1EESY_IbLb0EEEEDaSU_SV_EUlSU_E_NS1_11comp_targetILNS1_3genE5ELNS1_11target_archE942ELNS1_3gpuE9ELNS1_3repE0EEENS1_30default_config_static_selectorELNS0_4arch9wavefront6targetE1EEEvT1_: ; @_ZN7rocprim17ROCPRIM_400000_NS6detail17trampoline_kernelINS0_14default_configENS1_27scan_by_key_config_selectorIssEEZZNS1_16scan_by_key_implILNS1_25lookback_scan_determinismE0ELb0ES3_N6thrust23THRUST_200600_302600_NS6detail15normal_iteratorINS9_10device_ptrIsEEEESE_SE_sNS9_10multipliesIsEENS9_8equal_toIsEEsEE10hipError_tPvRmT2_T3_T4_T5_mT6_T7_P12ihipStream_tbENKUlT_T0_E_clISt17integral_constantIbLb1EESY_IbLb0EEEEDaSU_SV_EUlSU_E_NS1_11comp_targetILNS1_3genE5ELNS1_11target_archE942ELNS1_3gpuE9ELNS1_3repE0EEENS1_30default_config_static_selectorELNS0_4arch9wavefront6targetE1EEEvT1_
; %bb.0:
	.section	.rodata,"a",@progbits
	.p2align	6, 0x0
	.amdhsa_kernel _ZN7rocprim17ROCPRIM_400000_NS6detail17trampoline_kernelINS0_14default_configENS1_27scan_by_key_config_selectorIssEEZZNS1_16scan_by_key_implILNS1_25lookback_scan_determinismE0ELb0ES3_N6thrust23THRUST_200600_302600_NS6detail15normal_iteratorINS9_10device_ptrIsEEEESE_SE_sNS9_10multipliesIsEENS9_8equal_toIsEEsEE10hipError_tPvRmT2_T3_T4_T5_mT6_T7_P12ihipStream_tbENKUlT_T0_E_clISt17integral_constantIbLb1EESY_IbLb0EEEEDaSU_SV_EUlSU_E_NS1_11comp_targetILNS1_3genE5ELNS1_11target_archE942ELNS1_3gpuE9ELNS1_3repE0EEENS1_30default_config_static_selectorELNS0_4arch9wavefront6targetE1EEEvT1_
		.amdhsa_group_segment_fixed_size 0
		.amdhsa_private_segment_fixed_size 0
		.amdhsa_kernarg_size 112
		.amdhsa_user_sgpr_count 6
		.amdhsa_user_sgpr_private_segment_buffer 1
		.amdhsa_user_sgpr_dispatch_ptr 0
		.amdhsa_user_sgpr_queue_ptr 0
		.amdhsa_user_sgpr_kernarg_segment_ptr 1
		.amdhsa_user_sgpr_dispatch_id 0
		.amdhsa_user_sgpr_flat_scratch_init 0
		.amdhsa_user_sgpr_kernarg_preload_length 0
		.amdhsa_user_sgpr_kernarg_preload_offset 0
		.amdhsa_user_sgpr_private_segment_size 0
		.amdhsa_uses_dynamic_stack 0
		.amdhsa_system_sgpr_private_segment_wavefront_offset 0
		.amdhsa_system_sgpr_workgroup_id_x 1
		.amdhsa_system_sgpr_workgroup_id_y 0
		.amdhsa_system_sgpr_workgroup_id_z 0
		.amdhsa_system_sgpr_workgroup_info 0
		.amdhsa_system_vgpr_workitem_id 0
		.amdhsa_next_free_vgpr 1
		.amdhsa_next_free_sgpr 0
		.amdhsa_accum_offset 4
		.amdhsa_reserve_vcc 0
		.amdhsa_reserve_flat_scratch 0
		.amdhsa_float_round_mode_32 0
		.amdhsa_float_round_mode_16_64 0
		.amdhsa_float_denorm_mode_32 3
		.amdhsa_float_denorm_mode_16_64 3
		.amdhsa_dx10_clamp 1
		.amdhsa_ieee_mode 1
		.amdhsa_fp16_overflow 0
		.amdhsa_tg_split 0
		.amdhsa_exception_fp_ieee_invalid_op 0
		.amdhsa_exception_fp_denorm_src 0
		.amdhsa_exception_fp_ieee_div_zero 0
		.amdhsa_exception_fp_ieee_overflow 0
		.amdhsa_exception_fp_ieee_underflow 0
		.amdhsa_exception_fp_ieee_inexact 0
		.amdhsa_exception_int_div_zero 0
	.end_amdhsa_kernel
	.section	.text._ZN7rocprim17ROCPRIM_400000_NS6detail17trampoline_kernelINS0_14default_configENS1_27scan_by_key_config_selectorIssEEZZNS1_16scan_by_key_implILNS1_25lookback_scan_determinismE0ELb0ES3_N6thrust23THRUST_200600_302600_NS6detail15normal_iteratorINS9_10device_ptrIsEEEESE_SE_sNS9_10multipliesIsEENS9_8equal_toIsEEsEE10hipError_tPvRmT2_T3_T4_T5_mT6_T7_P12ihipStream_tbENKUlT_T0_E_clISt17integral_constantIbLb1EESY_IbLb0EEEEDaSU_SV_EUlSU_E_NS1_11comp_targetILNS1_3genE5ELNS1_11target_archE942ELNS1_3gpuE9ELNS1_3repE0EEENS1_30default_config_static_selectorELNS0_4arch9wavefront6targetE1EEEvT1_,"axG",@progbits,_ZN7rocprim17ROCPRIM_400000_NS6detail17trampoline_kernelINS0_14default_configENS1_27scan_by_key_config_selectorIssEEZZNS1_16scan_by_key_implILNS1_25lookback_scan_determinismE0ELb0ES3_N6thrust23THRUST_200600_302600_NS6detail15normal_iteratorINS9_10device_ptrIsEEEESE_SE_sNS9_10multipliesIsEENS9_8equal_toIsEEsEE10hipError_tPvRmT2_T3_T4_T5_mT6_T7_P12ihipStream_tbENKUlT_T0_E_clISt17integral_constantIbLb1EESY_IbLb0EEEEDaSU_SV_EUlSU_E_NS1_11comp_targetILNS1_3genE5ELNS1_11target_archE942ELNS1_3gpuE9ELNS1_3repE0EEENS1_30default_config_static_selectorELNS0_4arch9wavefront6targetE1EEEvT1_,comdat
.Lfunc_end301:
	.size	_ZN7rocprim17ROCPRIM_400000_NS6detail17trampoline_kernelINS0_14default_configENS1_27scan_by_key_config_selectorIssEEZZNS1_16scan_by_key_implILNS1_25lookback_scan_determinismE0ELb0ES3_N6thrust23THRUST_200600_302600_NS6detail15normal_iteratorINS9_10device_ptrIsEEEESE_SE_sNS9_10multipliesIsEENS9_8equal_toIsEEsEE10hipError_tPvRmT2_T3_T4_T5_mT6_T7_P12ihipStream_tbENKUlT_T0_E_clISt17integral_constantIbLb1EESY_IbLb0EEEEDaSU_SV_EUlSU_E_NS1_11comp_targetILNS1_3genE5ELNS1_11target_archE942ELNS1_3gpuE9ELNS1_3repE0EEENS1_30default_config_static_selectorELNS0_4arch9wavefront6targetE1EEEvT1_, .Lfunc_end301-_ZN7rocprim17ROCPRIM_400000_NS6detail17trampoline_kernelINS0_14default_configENS1_27scan_by_key_config_selectorIssEEZZNS1_16scan_by_key_implILNS1_25lookback_scan_determinismE0ELb0ES3_N6thrust23THRUST_200600_302600_NS6detail15normal_iteratorINS9_10device_ptrIsEEEESE_SE_sNS9_10multipliesIsEENS9_8equal_toIsEEsEE10hipError_tPvRmT2_T3_T4_T5_mT6_T7_P12ihipStream_tbENKUlT_T0_E_clISt17integral_constantIbLb1EESY_IbLb0EEEEDaSU_SV_EUlSU_E_NS1_11comp_targetILNS1_3genE5ELNS1_11target_archE942ELNS1_3gpuE9ELNS1_3repE0EEENS1_30default_config_static_selectorELNS0_4arch9wavefront6targetE1EEEvT1_
                                        ; -- End function
	.section	.AMDGPU.csdata,"",@progbits
; Kernel info:
; codeLenInByte = 0
; NumSgprs: 4
; NumVgprs: 0
; NumAgprs: 0
; TotalNumVgprs: 0
; ScratchSize: 0
; MemoryBound: 0
; FloatMode: 240
; IeeeMode: 1
; LDSByteSize: 0 bytes/workgroup (compile time only)
; SGPRBlocks: 0
; VGPRBlocks: 0
; NumSGPRsForWavesPerEU: 4
; NumVGPRsForWavesPerEU: 1
; AccumOffset: 4
; Occupancy: 8
; WaveLimiterHint : 0
; COMPUTE_PGM_RSRC2:SCRATCH_EN: 0
; COMPUTE_PGM_RSRC2:USER_SGPR: 6
; COMPUTE_PGM_RSRC2:TRAP_HANDLER: 0
; COMPUTE_PGM_RSRC2:TGID_X_EN: 1
; COMPUTE_PGM_RSRC2:TGID_Y_EN: 0
; COMPUTE_PGM_RSRC2:TGID_Z_EN: 0
; COMPUTE_PGM_RSRC2:TIDIG_COMP_CNT: 0
; COMPUTE_PGM_RSRC3_GFX90A:ACCUM_OFFSET: 0
; COMPUTE_PGM_RSRC3_GFX90A:TG_SPLIT: 0
	.section	.text._ZN7rocprim17ROCPRIM_400000_NS6detail17trampoline_kernelINS0_14default_configENS1_27scan_by_key_config_selectorIssEEZZNS1_16scan_by_key_implILNS1_25lookback_scan_determinismE0ELb0ES3_N6thrust23THRUST_200600_302600_NS6detail15normal_iteratorINS9_10device_ptrIsEEEESE_SE_sNS9_10multipliesIsEENS9_8equal_toIsEEsEE10hipError_tPvRmT2_T3_T4_T5_mT6_T7_P12ihipStream_tbENKUlT_T0_E_clISt17integral_constantIbLb1EESY_IbLb0EEEEDaSU_SV_EUlSU_E_NS1_11comp_targetILNS1_3genE4ELNS1_11target_archE910ELNS1_3gpuE8ELNS1_3repE0EEENS1_30default_config_static_selectorELNS0_4arch9wavefront6targetE1EEEvT1_,"axG",@progbits,_ZN7rocprim17ROCPRIM_400000_NS6detail17trampoline_kernelINS0_14default_configENS1_27scan_by_key_config_selectorIssEEZZNS1_16scan_by_key_implILNS1_25lookback_scan_determinismE0ELb0ES3_N6thrust23THRUST_200600_302600_NS6detail15normal_iteratorINS9_10device_ptrIsEEEESE_SE_sNS9_10multipliesIsEENS9_8equal_toIsEEsEE10hipError_tPvRmT2_T3_T4_T5_mT6_T7_P12ihipStream_tbENKUlT_T0_E_clISt17integral_constantIbLb1EESY_IbLb0EEEEDaSU_SV_EUlSU_E_NS1_11comp_targetILNS1_3genE4ELNS1_11target_archE910ELNS1_3gpuE8ELNS1_3repE0EEENS1_30default_config_static_selectorELNS0_4arch9wavefront6targetE1EEEvT1_,comdat
	.protected	_ZN7rocprim17ROCPRIM_400000_NS6detail17trampoline_kernelINS0_14default_configENS1_27scan_by_key_config_selectorIssEEZZNS1_16scan_by_key_implILNS1_25lookback_scan_determinismE0ELb0ES3_N6thrust23THRUST_200600_302600_NS6detail15normal_iteratorINS9_10device_ptrIsEEEESE_SE_sNS9_10multipliesIsEENS9_8equal_toIsEEsEE10hipError_tPvRmT2_T3_T4_T5_mT6_T7_P12ihipStream_tbENKUlT_T0_E_clISt17integral_constantIbLb1EESY_IbLb0EEEEDaSU_SV_EUlSU_E_NS1_11comp_targetILNS1_3genE4ELNS1_11target_archE910ELNS1_3gpuE8ELNS1_3repE0EEENS1_30default_config_static_selectorELNS0_4arch9wavefront6targetE1EEEvT1_ ; -- Begin function _ZN7rocprim17ROCPRIM_400000_NS6detail17trampoline_kernelINS0_14default_configENS1_27scan_by_key_config_selectorIssEEZZNS1_16scan_by_key_implILNS1_25lookback_scan_determinismE0ELb0ES3_N6thrust23THRUST_200600_302600_NS6detail15normal_iteratorINS9_10device_ptrIsEEEESE_SE_sNS9_10multipliesIsEENS9_8equal_toIsEEsEE10hipError_tPvRmT2_T3_T4_T5_mT6_T7_P12ihipStream_tbENKUlT_T0_E_clISt17integral_constantIbLb1EESY_IbLb0EEEEDaSU_SV_EUlSU_E_NS1_11comp_targetILNS1_3genE4ELNS1_11target_archE910ELNS1_3gpuE8ELNS1_3repE0EEENS1_30default_config_static_selectorELNS0_4arch9wavefront6targetE1EEEvT1_
	.globl	_ZN7rocprim17ROCPRIM_400000_NS6detail17trampoline_kernelINS0_14default_configENS1_27scan_by_key_config_selectorIssEEZZNS1_16scan_by_key_implILNS1_25lookback_scan_determinismE0ELb0ES3_N6thrust23THRUST_200600_302600_NS6detail15normal_iteratorINS9_10device_ptrIsEEEESE_SE_sNS9_10multipliesIsEENS9_8equal_toIsEEsEE10hipError_tPvRmT2_T3_T4_T5_mT6_T7_P12ihipStream_tbENKUlT_T0_E_clISt17integral_constantIbLb1EESY_IbLb0EEEEDaSU_SV_EUlSU_E_NS1_11comp_targetILNS1_3genE4ELNS1_11target_archE910ELNS1_3gpuE8ELNS1_3repE0EEENS1_30default_config_static_selectorELNS0_4arch9wavefront6targetE1EEEvT1_
	.p2align	8
	.type	_ZN7rocprim17ROCPRIM_400000_NS6detail17trampoline_kernelINS0_14default_configENS1_27scan_by_key_config_selectorIssEEZZNS1_16scan_by_key_implILNS1_25lookback_scan_determinismE0ELb0ES3_N6thrust23THRUST_200600_302600_NS6detail15normal_iteratorINS9_10device_ptrIsEEEESE_SE_sNS9_10multipliesIsEENS9_8equal_toIsEEsEE10hipError_tPvRmT2_T3_T4_T5_mT6_T7_P12ihipStream_tbENKUlT_T0_E_clISt17integral_constantIbLb1EESY_IbLb0EEEEDaSU_SV_EUlSU_E_NS1_11comp_targetILNS1_3genE4ELNS1_11target_archE910ELNS1_3gpuE8ELNS1_3repE0EEENS1_30default_config_static_selectorELNS0_4arch9wavefront6targetE1EEEvT1_,@function
_ZN7rocprim17ROCPRIM_400000_NS6detail17trampoline_kernelINS0_14default_configENS1_27scan_by_key_config_selectorIssEEZZNS1_16scan_by_key_implILNS1_25lookback_scan_determinismE0ELb0ES3_N6thrust23THRUST_200600_302600_NS6detail15normal_iteratorINS9_10device_ptrIsEEEESE_SE_sNS9_10multipliesIsEENS9_8equal_toIsEEsEE10hipError_tPvRmT2_T3_T4_T5_mT6_T7_P12ihipStream_tbENKUlT_T0_E_clISt17integral_constantIbLb1EESY_IbLb0EEEEDaSU_SV_EUlSU_E_NS1_11comp_targetILNS1_3genE4ELNS1_11target_archE910ELNS1_3gpuE8ELNS1_3repE0EEENS1_30default_config_static_selectorELNS0_4arch9wavefront6targetE1EEEvT1_: ; @_ZN7rocprim17ROCPRIM_400000_NS6detail17trampoline_kernelINS0_14default_configENS1_27scan_by_key_config_selectorIssEEZZNS1_16scan_by_key_implILNS1_25lookback_scan_determinismE0ELb0ES3_N6thrust23THRUST_200600_302600_NS6detail15normal_iteratorINS9_10device_ptrIsEEEESE_SE_sNS9_10multipliesIsEENS9_8equal_toIsEEsEE10hipError_tPvRmT2_T3_T4_T5_mT6_T7_P12ihipStream_tbENKUlT_T0_E_clISt17integral_constantIbLb1EESY_IbLb0EEEEDaSU_SV_EUlSU_E_NS1_11comp_targetILNS1_3genE4ELNS1_11target_archE910ELNS1_3gpuE8ELNS1_3repE0EEENS1_30default_config_static_selectorELNS0_4arch9wavefront6targetE1EEEvT1_
; %bb.0:
	s_load_dwordx8 s[48:55], s[4:5], 0x0
	s_load_dwordx4 s[64:67], s[4:5], 0x28
	s_load_dwordx2 s[70:71], s[4:5], 0x38
	s_load_dword s0, s[4:5], 0x40
	s_load_dwordx8 s[56:63], s[4:5], 0x48
	s_waitcnt lgkmcnt(0)
	s_lshl_b64 s[68:69], s[50:51], 1
	s_add_u32 s2, s48, s68
	s_addc_u32 s3, s49, s69
	s_add_u32 s4, s52, s68
	s_mul_i32 s1, s71, s0
	s_mul_hi_u32 s7, s70, s0
	s_addc_u32 s5, s53, s69
	s_add_i32 s8, s7, s1
	s_mul_i32 s9, s70, s0
	s_cmp_lg_u64 s[60:61], 0
	s_mul_i32 s0, s6, 0x1600
	s_mov_b32 s1, 0
	s_cselect_b64 s[52:53], -1, 0
	s_lshl_b64 s[60:61], s[0:1], 1
	s_add_u32 s50, s2, s60
	s_addc_u32 s51, s3, s61
	s_add_u32 s7, s4, s60
	s_addc_u32 s67, s5, s61
	;; [unrolled: 2-line block ×3, first 2 shown]
	s_add_u32 s2, s56, -1
	s_addc_u32 s3, s57, -1
	v_pk_mov_b32 v[2:3], s[2:3], s[2:3] op_sel:[0,1]
	v_cmp_ge_u64_e64 s[0:1], s[72:73], v[2:3]
	s_mov_b64 s[10:11], 0
	s_mov_b64 s[4:5], -1
	s_and_b64 vcc, exec, s[0:1]
	s_mul_i32 s33, s2, 0xffffea00
	s_barrier
	s_cbranch_vccz .LBB302_117
; %bb.1:
	v_pk_mov_b32 v[2:3], s[50:51], s[50:51] op_sel:[0,1]
	flat_load_ushort v6, v[2:3]
	s_add_i32 s77, s33, s66
	v_cmp_gt_u32_e64 s[2:3], s77, v0
	s_waitcnt vmcnt(0) lgkmcnt(0)
	v_mov_b32_e32 v7, v6
	s_and_saveexec_b64 s[4:5], s[2:3]
	s_cbranch_execz .LBB302_3
; %bb.2:
	v_lshlrev_b32_e32 v1, 1, v0
	v_mov_b32_e32 v3, s51
	v_add_co_u32_e32 v2, vcc, s50, v1
	v_addc_co_u32_e32 v3, vcc, 0, v3, vcc
	flat_load_ushort v7, v[2:3]
.LBB302_3:
	s_or_b64 exec, exec, s[4:5]
	v_or_b32_e32 v1, 0x100, v0
	v_cmp_gt_u32_e64 s[4:5], s77, v1
	v_mov_b32_e32 v8, v6
	s_and_saveexec_b64 s[8:9], s[4:5]
	s_cbranch_execz .LBB302_5
; %bb.4:
	v_lshlrev_b32_e32 v1, 1, v0
	v_mov_b32_e32 v3, s51
	v_add_co_u32_e32 v2, vcc, s50, v1
	v_addc_co_u32_e32 v3, vcc, 0, v3, vcc
	flat_load_ushort v8, v[2:3] offset:512
.LBB302_5:
	s_or_b64 exec, exec, s[8:9]
	v_or_b32_e32 v1, 0x200, v0
	v_cmp_gt_u32_e64 s[48:49], s77, v1
	v_mov_b32_e32 v9, v6
	s_and_saveexec_b64 s[8:9], s[48:49]
	s_cbranch_execz .LBB302_7
; %bb.6:
	v_lshlrev_b32_e32 v1, 1, v0
	v_mov_b32_e32 v3, s51
	v_add_co_u32_e32 v2, vcc, s50, v1
	v_addc_co_u32_e32 v3, vcc, 0, v3, vcc
	flat_load_ushort v9, v[2:3] offset:1024
.LBB302_7:
	;; [unrolled: 13-line block ×7, first 2 shown]
	s_or_b64 exec, exec, s[18:19]
	v_or_b32_e32 v1, 0x800, v0
	v_cmp_gt_u32_e64 s[18:19], s77, v1
	v_mov_b32_e32 v15, v6
	s_and_saveexec_b64 s[20:21], s[18:19]
	s_cbranch_execz .LBB302_19
; %bb.18:
	v_lshlrev_b32_e32 v2, 1, v1
	v_mov_b32_e32 v3, s51
	v_add_co_u32_e32 v2, vcc, s50, v2
	v_addc_co_u32_e32 v3, vcc, 0, v3, vcc
	flat_load_ushort v15, v[2:3]
.LBB302_19:
	s_or_b64 exec, exec, s[20:21]
	v_or_b32_e32 v2, 0x900, v0
	v_cmp_gt_u32_e64 s[20:21], s77, v2
	v_mov_b32_e32 v26, v6
	s_and_saveexec_b64 s[22:23], s[20:21]
	s_cbranch_execz .LBB302_21
; %bb.20:
	v_lshlrev_b32_e32 v3, 1, v2
	v_mov_b32_e32 v5, s51
	v_add_co_u32_e32 v4, vcc, s50, v3
	v_addc_co_u32_e32 v5, vcc, 0, v5, vcc
	flat_load_ushort v26, v[4:5]
.LBB302_21:
	;; [unrolled: 13-line block ×13, first 2 shown]
	s_or_b64 exec, exec, s[46:47]
	v_or_b32_e32 v25, 0x1500, v0
	v_cmp_gt_u32_e64 s[46:47], s77, v25
	s_and_saveexec_b64 s[56:57], s[46:47]
	s_cbranch_execz .LBB302_45
; %bb.44:
	v_lshlrev_b32_e32 v6, 1, v25
	v_mov_b32_e32 v18, s51
	v_add_co_u32_e32 v38, vcc, s50, v6
	v_addc_co_u32_e32 v39, vcc, 0, v18, vcc
	flat_load_ushort v6, v[38:39]
.LBB302_45:
	s_or_b64 exec, exec, s[56:57]
	v_lshlrev_b32_e32 v18, 1, v0
	s_waitcnt vmcnt(0) lgkmcnt(0)
	ds_write_b16 v18, v7
	ds_write_b16 v18, v8 offset:512
	ds_write_b16 v18, v9 offset:1024
	;; [unrolled: 1-line block ×21, first 2 shown]
	v_mad_u32_u24 v37, v0, 42, v18
	s_waitcnt lgkmcnt(0)
	s_barrier
	ds_read2_b32 v[14:15], v37 offset1:1
	ds_read2_b32 v[12:13], v37 offset0:2 offset1:3
	ds_read2_b32 v[10:11], v37 offset0:4 offset1:5
	;; [unrolled: 1-line block ×4, first 2 shown]
	ds_read_b32 v38, v37 offset:40
	s_cmp_eq_u64 s[72:73], 0
	s_mov_b64 s[56:57], s[50:51]
	s_cbranch_scc1 .LBB302_49
; %bb.46:
	s_andn2_b64 vcc, exec, s[52:53]
	s_cbranch_vccnz .LBB302_289
; %bb.47:
	s_lshl_b64 s[56:57], s[72:73], 1
	s_add_u32 s56, s62, s56
	s_addc_u32 s57, s63, s57
	s_add_u32 s56, s56, -2
	s_addc_u32 s57, s57, -1
	s_cbranch_execnz .LBB302_49
.LBB302_48:
	s_add_u32 s56, s50, -2
	s_addc_u32 s57, s51, -1
.LBB302_49:
	v_pk_mov_b32 v[26:27], s[56:57], s[56:57] op_sel:[0,1]
	flat_load_ushort v41, v[26:27]
	s_movk_i32 s56, 0xffd6
	s_waitcnt lgkmcnt(0)
	v_lshrrev_b32_e32 v39, 16, v38
	v_mad_i32_i24 v26, v0, s56, v37
	v_cmp_ne_u32_e32 vcc, 0, v0
	ds_write_b16 v26, v39 offset:11264
	s_waitcnt lgkmcnt(0)
	s_barrier
	s_and_saveexec_b64 s[56:57], vcc
	s_cbranch_execz .LBB302_51
; %bb.50:
	v_mul_i32_i24_e32 v26, 0xffffffd6, v0
	v_add_u32_e32 v26, v37, v26
	s_waitcnt vmcnt(0)
	ds_read_u16 v41, v26 offset:11262
.LBB302_51:
	s_or_b64 exec, exec, s[56:57]
	s_waitcnt lgkmcnt(0)
	s_barrier
	s_waitcnt lgkmcnt(0)
                                        ; implicit-def: $vgpr26
	s_and_saveexec_b64 s[56:57], s[2:3]
	s_cbranch_execnz .LBB302_266
; %bb.52:
	s_or_b64 exec, exec, s[56:57]
                                        ; implicit-def: $vgpr27
	s_and_saveexec_b64 s[2:3], s[4:5]
	s_cbranch_execnz .LBB302_267
.LBB302_53:
	s_or_b64 exec, exec, s[2:3]
                                        ; implicit-def: $vgpr28
	s_and_saveexec_b64 s[2:3], s[48:49]
	s_cbranch_execnz .LBB302_268
.LBB302_54:
	s_or_b64 exec, exec, s[2:3]
                                        ; implicit-def: $vgpr29
	s_and_saveexec_b64 s[2:3], s[8:9]
	s_cbranch_execnz .LBB302_269
.LBB302_55:
	s_or_b64 exec, exec, s[2:3]
                                        ; implicit-def: $vgpr30
	s_and_saveexec_b64 s[2:3], s[10:11]
	s_cbranch_execnz .LBB302_270
.LBB302_56:
	s_or_b64 exec, exec, s[2:3]
                                        ; implicit-def: $vgpr31
	s_and_saveexec_b64 s[2:3], s[12:13]
	s_cbranch_execnz .LBB302_271
.LBB302_57:
	s_or_b64 exec, exec, s[2:3]
                                        ; implicit-def: $vgpr32
	s_and_saveexec_b64 s[2:3], s[14:15]
	s_cbranch_execnz .LBB302_272
.LBB302_58:
	s_or_b64 exec, exec, s[2:3]
                                        ; implicit-def: $vgpr33
	s_and_saveexec_b64 s[2:3], s[16:17]
	s_cbranch_execnz .LBB302_273
.LBB302_59:
	s_or_b64 exec, exec, s[2:3]
                                        ; implicit-def: $vgpr34
	s_and_saveexec_b64 s[2:3], s[18:19]
	s_cbranch_execnz .LBB302_274
.LBB302_60:
	s_or_b64 exec, exec, s[2:3]
                                        ; implicit-def: $vgpr1
	s_and_saveexec_b64 s[2:3], s[20:21]
	s_cbranch_execnz .LBB302_275
.LBB302_61:
	s_or_b64 exec, exec, s[2:3]
                                        ; implicit-def: $vgpr2
	s_and_saveexec_b64 s[2:3], s[22:23]
	s_cbranch_execnz .LBB302_276
.LBB302_62:
	s_or_b64 exec, exec, s[2:3]
                                        ; implicit-def: $vgpr3
	s_and_saveexec_b64 s[2:3], s[24:25]
	s_cbranch_execnz .LBB302_277
.LBB302_63:
	s_or_b64 exec, exec, s[2:3]
                                        ; implicit-def: $vgpr4
	s_and_saveexec_b64 s[2:3], s[26:27]
	s_cbranch_execnz .LBB302_278
.LBB302_64:
	s_or_b64 exec, exec, s[2:3]
                                        ; implicit-def: $vgpr5
	s_and_saveexec_b64 s[2:3], s[28:29]
	s_cbranch_execnz .LBB302_279
.LBB302_65:
	s_or_b64 exec, exec, s[2:3]
                                        ; implicit-def: $vgpr16
	s_and_saveexec_b64 s[2:3], s[30:31]
	s_cbranch_execnz .LBB302_280
.LBB302_66:
	s_or_b64 exec, exec, s[2:3]
                                        ; implicit-def: $vgpr17
	s_and_saveexec_b64 s[2:3], s[34:35]
	s_cbranch_execnz .LBB302_281
.LBB302_67:
	s_or_b64 exec, exec, s[2:3]
                                        ; implicit-def: $vgpr19
	s_and_saveexec_b64 s[2:3], s[36:37]
	s_cbranch_execnz .LBB302_282
.LBB302_68:
	s_or_b64 exec, exec, s[2:3]
                                        ; implicit-def: $vgpr20
	s_and_saveexec_b64 s[2:3], s[38:39]
	s_cbranch_execnz .LBB302_283
.LBB302_69:
	s_or_b64 exec, exec, s[2:3]
                                        ; implicit-def: $vgpr21
	s_and_saveexec_b64 s[2:3], s[40:41]
	s_cbranch_execnz .LBB302_284
.LBB302_70:
	s_or_b64 exec, exec, s[2:3]
                                        ; implicit-def: $vgpr22
	s_and_saveexec_b64 s[2:3], s[42:43]
	s_cbranch_execnz .LBB302_285
.LBB302_71:
	s_or_b64 exec, exec, s[2:3]
                                        ; implicit-def: $vgpr23
	s_and_saveexec_b64 s[2:3], s[44:45]
	s_cbranch_execnz .LBB302_286
.LBB302_72:
	s_or_b64 exec, exec, s[2:3]
                                        ; implicit-def: $vgpr24
	s_and_saveexec_b64 s[2:3], s[46:47]
	s_cbranch_execz .LBB302_74
.LBB302_73:
	v_lshlrev_b32_e32 v24, 1, v25
	v_mov_b32_e32 v25, s67
	v_add_co_u32_e32 v24, vcc, s7, v24
	v_addc_co_u32_e32 v25, vcc, 0, v25, vcc
	flat_load_ushort v24, v[24:25]
.LBB302_74:
	s_or_b64 exec, exec, s[2:3]
	v_mul_u32_u24_e32 v40, 22, v0
	s_waitcnt vmcnt(0) lgkmcnt(0)
	ds_write_b16 v18, v26
	ds_write_b16 v18, v27 offset:512
	ds_write_b16 v18, v28 offset:1024
	;; [unrolled: 1-line block ×21, first 2 shown]
	v_cmp_gt_u32_e32 vcc, s77, v40
	s_mov_b64 s[4:5], 0
	s_mov_b32 s76, 0
	v_mov_b32_e32 v1, 0
	s_mov_b64 s[10:11], 0
	v_mov_b32_e32 v16, 0
	v_mov_b32_e32 v17, 0
	;; [unrolled: 1-line block ×20, first 2 shown]
	s_waitcnt lgkmcnt(0)
	s_barrier
	s_waitcnt lgkmcnt(0)
                                        ; implicit-def: $sgpr2_sgpr3
                                        ; implicit-def: $vgpr36
	s_and_saveexec_b64 s[8:9], vcc
	s_cbranch_execz .LBB302_116
; %bb.75:
	ds_read_u16 v1, v37
	v_cmp_ne_u16_e32 vcc, v41, v14
	v_or_b32_e32 v2, 1, v40
	v_cndmask_b32_e64 v3, 0, 1, vcc
	v_cmp_gt_u32_e32 vcc, s77, v2
	s_waitcnt lgkmcnt(0)
	v_lshl_or_b32 v1, v3, 16, v1
	s_mov_b64 s[12:13], 0
	v_mov_b32_e32 v16, 0
	v_mov_b32_e32 v17, 0
	;; [unrolled: 1-line block ×20, first 2 shown]
                                        ; implicit-def: $sgpr2_sgpr3
                                        ; implicit-def: $vgpr36
	s_and_saveexec_b64 s[10:11], vcc
	s_cbranch_execz .LBB302_115
; %bb.76:
	ds_read_b128 v[2:5], v37 offset:2
	v_add_u32_e32 v16, 2, v40
	v_cmp_ne_u16_sdwa s[2:3], v14, v14 src0_sel:DWORD src1_sel:WORD_1
	v_cndmask_b32_e64 v17, 0, 1, s[2:3]
	v_cmp_gt_u32_e32 vcc, s77, v16
	s_waitcnt lgkmcnt(0)
	v_and_b32_e32 v16, 0xffff, v2
	v_lshl_or_b32 v16, v17, 16, v16
	s_mov_b64 s[14:15], 0
	v_mov_b32_e32 v17, 0
	v_mov_b32_e32 v18, 0
	;; [unrolled: 1-line block ×19, first 2 shown]
                                        ; implicit-def: $sgpr2_sgpr3
                                        ; implicit-def: $vgpr36
	s_and_saveexec_b64 s[12:13], vcc
	s_cbranch_execz .LBB302_114
; %bb.77:
	v_cmp_ne_u16_sdwa s[2:3], v14, v15 src0_sel:WORD_1 src1_sel:DWORD
	v_add_u32_e32 v18, 3, v40
	v_cndmask_b32_e64 v14, 0, 1, s[2:3]
	v_alignbit_b32 v17, v14, v2, 16
	v_cmp_gt_u32_e32 vcc, s77, v18
	s_mov_b64 s[16:17], 0
	v_mov_b32_e32 v18, 0
	v_mov_b32_e32 v19, 0
	;; [unrolled: 1-line block ×18, first 2 shown]
                                        ; implicit-def: $sgpr2_sgpr3
                                        ; implicit-def: $vgpr36
	s_and_saveexec_b64 s[14:15], vcc
	s_cbranch_execz .LBB302_113
; %bb.78:
	v_cmp_ne_u16_sdwa s[2:3], v15, v15 src0_sel:DWORD src1_sel:WORD_1
	v_and_b32_e32 v2, 0xffff, v3
	v_add_u32_e32 v14, 4, v40
	v_cndmask_b32_e64 v18, 0, 1, s[2:3]
	v_lshl_or_b32 v18, v18, 16, v2
	v_cmp_gt_u32_e32 vcc, s77, v14
	s_mov_b64 s[18:19], 0
	v_mov_b32_e32 v19, 0
	v_mov_b32_e32 v20, 0
	;; [unrolled: 1-line block ×17, first 2 shown]
                                        ; implicit-def: $sgpr2_sgpr3
                                        ; implicit-def: $vgpr36
	s_and_saveexec_b64 s[16:17], vcc
	s_cbranch_execz .LBB302_112
; %bb.79:
	v_cmp_ne_u16_sdwa s[2:3], v15, v12 src0_sel:WORD_1 src1_sel:DWORD
	v_add_u32_e32 v2, 5, v40
	v_cndmask_b32_e64 v14, 0, 1, s[2:3]
	v_alignbit_b32 v19, v14, v3, 16
	v_cmp_gt_u32_e32 vcc, s77, v2
	s_mov_b64 s[20:21], 0
	v_mov_b32_e32 v20, 0
	v_mov_b32_e32 v21, 0
	v_mov_b32_e32 v22, 0
	v_mov_b32_e32 v23, 0
	v_mov_b32_e32 v24, 0
	v_mov_b32_e32 v25, 0
	v_mov_b32_e32 v26, 0
	v_mov_b32_e32 v27, 0
	v_mov_b32_e32 v28, 0
	v_mov_b32_e32 v29, 0
	v_mov_b32_e32 v30, 0
	v_mov_b32_e32 v31, 0
	v_mov_b32_e32 v32, 0
	v_mov_b32_e32 v33, 0
	v_mov_b32_e32 v34, 0
	v_mov_b32_e32 v35, 0
                                        ; implicit-def: $sgpr2_sgpr3
                                        ; implicit-def: $vgpr36
	s_and_saveexec_b64 s[18:19], vcc
	s_cbranch_execz .LBB302_111
; %bb.80:
	v_cmp_ne_u16_sdwa s[2:3], v12, v12 src0_sel:DWORD src1_sel:WORD_1
	v_and_b32_e32 v2, 0xffff, v4
	v_add_u32_e32 v3, 6, v40
	v_cndmask_b32_e64 v14, 0, 1, s[2:3]
	v_lshl_or_b32 v20, v14, 16, v2
	v_cmp_gt_u32_e32 vcc, s77, v3
	s_mov_b64 s[22:23], 0
	v_mov_b32_e32 v21, 0
	v_mov_b32_e32 v22, 0
	;; [unrolled: 1-line block ×15, first 2 shown]
                                        ; implicit-def: $sgpr2_sgpr3
                                        ; implicit-def: $vgpr36
	s_and_saveexec_b64 s[20:21], vcc
	s_cbranch_execz .LBB302_110
; %bb.81:
	v_cmp_ne_u16_sdwa s[2:3], v12, v13 src0_sel:WORD_1 src1_sel:DWORD
	v_add_u32_e32 v2, 7, v40
	v_cndmask_b32_e64 v3, 0, 1, s[2:3]
	v_alignbit_b32 v21, v3, v4, 16
	v_cmp_gt_u32_e32 vcc, s77, v2
	s_mov_b64 s[24:25], 0
	v_mov_b32_e32 v22, 0
	v_mov_b32_e32 v23, 0
	;; [unrolled: 1-line block ×14, first 2 shown]
                                        ; implicit-def: $sgpr2_sgpr3
                                        ; implicit-def: $vgpr36
	s_and_saveexec_b64 s[22:23], vcc
	s_cbranch_execz .LBB302_109
; %bb.82:
	v_cmp_ne_u16_sdwa s[2:3], v13, v13 src0_sel:DWORD src1_sel:WORD_1
	v_and_b32_e32 v2, 0xffff, v5
	v_add_u32_e32 v3, 8, v40
	v_cndmask_b32_e64 v4, 0, 1, s[2:3]
	v_lshl_or_b32 v22, v4, 16, v2
	v_cmp_gt_u32_e32 vcc, s77, v3
	s_mov_b64 s[26:27], 0
	v_mov_b32_e32 v23, 0
	v_mov_b32_e32 v24, 0
	;; [unrolled: 1-line block ×13, first 2 shown]
                                        ; implicit-def: $sgpr2_sgpr3
                                        ; implicit-def: $vgpr36
	s_and_saveexec_b64 s[24:25], vcc
	s_cbranch_execz .LBB302_108
; %bb.83:
	v_cmp_ne_u16_sdwa s[2:3], v13, v10 src0_sel:WORD_1 src1_sel:DWORD
	v_add_u32_e32 v2, 9, v40
	v_cndmask_b32_e64 v3, 0, 1, s[2:3]
	v_alignbit_b32 v23, v3, v5, 16
	v_cmp_gt_u32_e32 vcc, s77, v2
	s_mov_b64 s[28:29], 0
	v_mov_b32_e32 v24, 0
	v_mov_b32_e32 v25, 0
	;; [unrolled: 1-line block ×12, first 2 shown]
                                        ; implicit-def: $sgpr2_sgpr3
                                        ; implicit-def: $vgpr36
	s_and_saveexec_b64 s[26:27], vcc
	s_cbranch_execz .LBB302_107
; %bb.84:
	ds_read_b128 v[2:5], v37 offset:18
	v_add_u32_e32 v12, 10, v40
	v_cmp_ne_u16_sdwa s[2:3], v10, v10 src0_sel:DWORD src1_sel:WORD_1
	v_cndmask_b32_e64 v13, 0, 1, s[2:3]
	v_cmp_gt_u32_e32 vcc, s77, v12
	s_waitcnt lgkmcnt(0)
	v_and_b32_e32 v12, 0xffff, v2
	v_lshl_or_b32 v24, v13, 16, v12
	s_mov_b64 s[30:31], 0
	v_mov_b32_e32 v25, 0
	v_mov_b32_e32 v26, 0
	;; [unrolled: 1-line block ×11, first 2 shown]
                                        ; implicit-def: $sgpr2_sgpr3
                                        ; implicit-def: $vgpr36
	s_and_saveexec_b64 s[28:29], vcc
	s_cbranch_execz .LBB302_106
; %bb.85:
	v_cmp_ne_u16_sdwa s[2:3], v10, v11 src0_sel:WORD_1 src1_sel:DWORD
	v_add_u32_e32 v12, 11, v40
	v_cndmask_b32_e64 v10, 0, 1, s[2:3]
	v_alignbit_b32 v25, v10, v2, 16
	v_cmp_gt_u32_e32 vcc, s77, v12
	s_mov_b64 s[34:35], 0
	v_mov_b32_e32 v26, 0
	v_mov_b32_e32 v27, 0
	v_mov_b32_e32 v28, 0
	v_mov_b32_e32 v29, 0
	v_mov_b32_e32 v30, 0
	v_mov_b32_e32 v31, 0
	v_mov_b32_e32 v32, 0
	v_mov_b32_e32 v33, 0
	v_mov_b32_e32 v34, 0
	v_mov_b32_e32 v35, 0
                                        ; implicit-def: $sgpr2_sgpr3
                                        ; implicit-def: $vgpr36
	s_and_saveexec_b64 s[30:31], vcc
	s_cbranch_execz .LBB302_105
; %bb.86:
	v_cmp_ne_u16_sdwa s[2:3], v11, v11 src0_sel:DWORD src1_sel:WORD_1
	v_and_b32_e32 v2, 0xffff, v3
	v_add_u32_e32 v10, 12, v40
	v_cndmask_b32_e64 v12, 0, 1, s[2:3]
	v_lshl_or_b32 v26, v12, 16, v2
	v_cmp_gt_u32_e32 vcc, s77, v10
	s_mov_b64 s[36:37], 0
	v_mov_b32_e32 v27, 0
	v_mov_b32_e32 v28, 0
	;; [unrolled: 1-line block ×9, first 2 shown]
                                        ; implicit-def: $sgpr2_sgpr3
                                        ; implicit-def: $vgpr36
	s_and_saveexec_b64 s[34:35], vcc
	s_cbranch_execz .LBB302_104
; %bb.87:
	v_cmp_ne_u16_sdwa s[2:3], v11, v8 src0_sel:WORD_1 src1_sel:DWORD
	v_add_u32_e32 v2, 13, v40
	v_cndmask_b32_e64 v10, 0, 1, s[2:3]
	v_alignbit_b32 v27, v10, v3, 16
	v_cmp_gt_u32_e32 vcc, s77, v2
	s_mov_b64 s[38:39], 0
	v_mov_b32_e32 v28, 0
	v_mov_b32_e32 v29, 0
	;; [unrolled: 1-line block ×8, first 2 shown]
                                        ; implicit-def: $sgpr2_sgpr3
                                        ; implicit-def: $vgpr36
	s_and_saveexec_b64 s[36:37], vcc
	s_cbranch_execz .LBB302_103
; %bb.88:
	v_cmp_ne_u16_sdwa s[2:3], v8, v8 src0_sel:DWORD src1_sel:WORD_1
	v_and_b32_e32 v2, 0xffff, v4
	v_add_u32_e32 v3, 14, v40
	v_cndmask_b32_e64 v10, 0, 1, s[2:3]
	v_lshl_or_b32 v28, v10, 16, v2
	v_cmp_gt_u32_e32 vcc, s77, v3
	s_mov_b64 s[40:41], 0
	v_mov_b32_e32 v29, 0
	v_mov_b32_e32 v30, 0
	;; [unrolled: 1-line block ×7, first 2 shown]
                                        ; implicit-def: $sgpr2_sgpr3
                                        ; implicit-def: $vgpr36
	s_and_saveexec_b64 s[38:39], vcc
	s_cbranch_execz .LBB302_102
; %bb.89:
	v_cmp_ne_u16_sdwa s[2:3], v8, v9 src0_sel:WORD_1 src1_sel:DWORD
	v_add_u32_e32 v2, 15, v40
	v_cndmask_b32_e64 v3, 0, 1, s[2:3]
	v_alignbit_b32 v29, v3, v4, 16
	v_cmp_gt_u32_e32 vcc, s77, v2
	s_mov_b64 s[42:43], 0
	v_mov_b32_e32 v30, 0
	v_mov_b32_e32 v31, 0
	;; [unrolled: 1-line block ×6, first 2 shown]
                                        ; implicit-def: $sgpr2_sgpr3
                                        ; implicit-def: $vgpr36
	s_and_saveexec_b64 s[40:41], vcc
	s_cbranch_execz .LBB302_101
; %bb.90:
	v_cmp_ne_u16_sdwa s[2:3], v9, v9 src0_sel:DWORD src1_sel:WORD_1
	v_and_b32_e32 v2, 0xffff, v5
	v_add_u32_e32 v3, 16, v40
	v_cndmask_b32_e64 v4, 0, 1, s[2:3]
	v_lshl_or_b32 v30, v4, 16, v2
	v_cmp_gt_u32_e32 vcc, s77, v3
	s_mov_b64 s[44:45], 0
	v_mov_b32_e32 v31, 0
	v_mov_b32_e32 v32, 0
	v_mov_b32_e32 v33, 0
	v_mov_b32_e32 v34, 0
	v_mov_b32_e32 v35, 0
                                        ; implicit-def: $sgpr2_sgpr3
                                        ; implicit-def: $vgpr36
	s_and_saveexec_b64 s[42:43], vcc
	s_cbranch_execz .LBB302_100
; %bb.91:
	v_cmp_ne_u16_sdwa s[2:3], v9, v6 src0_sel:WORD_1 src1_sel:DWORD
	v_add_u32_e32 v2, 17, v40
	v_cndmask_b32_e64 v3, 0, 1, s[2:3]
	v_alignbit_b32 v31, v3, v5, 16
	v_cmp_gt_u32_e32 vcc, s77, v2
	s_mov_b64 s[46:47], 0
	v_mov_b32_e32 v32, 0
	v_mov_b32_e32 v33, 0
	;; [unrolled: 1-line block ×4, first 2 shown]
                                        ; implicit-def: $sgpr2_sgpr3
                                        ; implicit-def: $vgpr36
	s_and_saveexec_b64 s[44:45], vcc
	s_cbranch_execz .LBB302_99
; %bb.92:
	ds_read_b64 v[2:3], v37 offset:34
	v_add_u32_e32 v4, 18, v40
	v_cmp_ne_u16_sdwa s[2:3], v6, v6 src0_sel:DWORD src1_sel:WORD_1
	v_cndmask_b32_e64 v5, 0, 1, s[2:3]
	v_cmp_gt_u32_e32 vcc, s77, v4
	s_waitcnt lgkmcnt(0)
	v_and_b32_e32 v4, 0xffff, v2
	v_lshl_or_b32 v32, v5, 16, v4
	s_mov_b64 s[48:49], 0
	v_mov_b32_e32 v33, 0
	v_mov_b32_e32 v34, 0
	v_mov_b32_e32 v35, 0
                                        ; implicit-def: $sgpr2_sgpr3
                                        ; implicit-def: $vgpr36
	s_and_saveexec_b64 s[46:47], vcc
	s_cbranch_execz .LBB302_98
; %bb.93:
	v_cmp_ne_u16_sdwa s[2:3], v6, v7 src0_sel:WORD_1 src1_sel:DWORD
	v_add_u32_e32 v4, 19, v40
	v_cndmask_b32_e64 v5, 0, 1, s[2:3]
	v_alignbit_b32 v33, v5, v2, 16
	v_cmp_gt_u32_e32 vcc, s77, v4
	s_mov_b64 s[56:57], 0
	v_mov_b32_e32 v34, 0
	v_mov_b32_e32 v35, 0
                                        ; implicit-def: $sgpr74_sgpr75
                                        ; implicit-def: $vgpr36
	s_and_saveexec_b64 s[48:49], vcc
	s_cbranch_execz .LBB302_97
; %bb.94:
	v_cmp_ne_u16_sdwa s[2:3], v7, v7 src0_sel:DWORD src1_sel:WORD_1
	v_and_b32_e32 v2, 0xffff, v3
	v_add_u32_e32 v4, 20, v40
	v_cndmask_b32_e64 v5, 0, 1, s[2:3]
	v_lshl_or_b32 v34, v5, 16, v2
	v_cmp_gt_u32_e32 vcc, s77, v4
	s_mov_b64 s[2:3], 0
	v_mov_b32_e32 v35, 0
                                        ; implicit-def: $sgpr56_sgpr57
                                        ; implicit-def: $vgpr36
	s_and_saveexec_b64 s[74:75], vcc
	s_xor_b64 s[74:75], exec, s[74:75]
	s_cbranch_execz .LBB302_96
; %bb.95:
	ds_read_u16 v36, v37 offset:42
	v_add_u32_e32 v2, 21, v40
	v_cmp_ne_u16_sdwa s[2:3], v7, v38 src0_sel:WORD_1 src1_sel:DWORD
	v_cmp_ne_u16_e32 vcc, v38, v39
	v_cndmask_b32_e64 v4, 0, 1, s[2:3]
	v_cmp_gt_u32_e64 s[2:3], s77, v2
	v_alignbit_b32 v35, v4, v3, 16
	s_and_b64 s[56:57], vcc, exec
	s_and_b64 s[2:3], s[2:3], exec
.LBB302_96:
	s_or_b64 exec, exec, s[74:75]
	s_and_b64 s[74:75], s[56:57], exec
	s_and_b64 s[56:57], s[2:3], exec
.LBB302_97:
	s_or_b64 exec, exec, s[48:49]
	s_and_b64 s[2:3], s[74:75], exec
	s_and_b64 s[48:49], s[56:57], exec
.LBB302_98:
	s_or_b64 exec, exec, s[46:47]
	s_and_b64 s[2:3], s[2:3], exec
	s_and_b64 s[46:47], s[48:49], exec
.LBB302_99:
	s_or_b64 exec, exec, s[44:45]
	s_and_b64 s[2:3], s[2:3], exec
	s_and_b64 s[44:45], s[46:47], exec
.LBB302_100:
	s_or_b64 exec, exec, s[42:43]
	s_and_b64 s[2:3], s[2:3], exec
	s_and_b64 s[42:43], s[44:45], exec
.LBB302_101:
	s_or_b64 exec, exec, s[40:41]
	s_and_b64 s[2:3], s[2:3], exec
	s_and_b64 s[40:41], s[42:43], exec
.LBB302_102:
	s_or_b64 exec, exec, s[38:39]
	s_and_b64 s[2:3], s[2:3], exec
	s_and_b64 s[38:39], s[40:41], exec
.LBB302_103:
	s_or_b64 exec, exec, s[36:37]
	s_and_b64 s[2:3], s[2:3], exec
	s_and_b64 s[36:37], s[38:39], exec
.LBB302_104:
	s_or_b64 exec, exec, s[34:35]
	s_and_b64 s[2:3], s[2:3], exec
	s_and_b64 s[34:35], s[36:37], exec
.LBB302_105:
	s_or_b64 exec, exec, s[30:31]
	s_and_b64 s[2:3], s[2:3], exec
	s_and_b64 s[30:31], s[34:35], exec
.LBB302_106:
	s_or_b64 exec, exec, s[28:29]
	s_and_b64 s[2:3], s[2:3], exec
	s_and_b64 s[28:29], s[30:31], exec
.LBB302_107:
	s_or_b64 exec, exec, s[26:27]
	s_and_b64 s[2:3], s[2:3], exec
	s_and_b64 s[26:27], s[28:29], exec
.LBB302_108:
	s_or_b64 exec, exec, s[24:25]
	s_and_b64 s[2:3], s[2:3], exec
	s_and_b64 s[24:25], s[26:27], exec
.LBB302_109:
	s_or_b64 exec, exec, s[22:23]
	s_and_b64 s[2:3], s[2:3], exec
	s_and_b64 s[22:23], s[24:25], exec
.LBB302_110:
	s_or_b64 exec, exec, s[20:21]
	s_and_b64 s[2:3], s[2:3], exec
	s_and_b64 s[20:21], s[22:23], exec
.LBB302_111:
	s_or_b64 exec, exec, s[18:19]
	s_and_b64 s[2:3], s[2:3], exec
	s_and_b64 s[18:19], s[20:21], exec
.LBB302_112:
	s_or_b64 exec, exec, s[16:17]
	s_and_b64 s[2:3], s[2:3], exec
	s_and_b64 s[16:17], s[18:19], exec
.LBB302_113:
	s_or_b64 exec, exec, s[14:15]
	s_and_b64 s[2:3], s[2:3], exec
	s_and_b64 s[14:15], s[16:17], exec
.LBB302_114:
	s_or_b64 exec, exec, s[12:13]
	s_and_b64 s[2:3], s[2:3], exec
	s_and_b64 s[12:13], s[14:15], exec
.LBB302_115:
	s_or_b64 exec, exec, s[10:11]
	s_and_b64 s[2:3], s[2:3], exec
	s_and_b64 s[10:11], s[12:13], exec
.LBB302_116:
	s_or_b64 exec, exec, s[8:9]
	s_and_b64 vcc, exec, s[4:5]
	v_lshlrev_b32_e32 v12, 1, v0
	s_cbranch_vccnz .LBB302_118
	s_branch .LBB302_126
.LBB302_117:
                                        ; implicit-def: $sgpr2_sgpr3
                                        ; implicit-def: $vgpr36
                                        ; implicit-def: $vgpr1
                                        ; implicit-def: $vgpr16
                                        ; implicit-def: $vgpr17
                                        ; implicit-def: $vgpr18
                                        ; implicit-def: $vgpr19
                                        ; implicit-def: $vgpr20
                                        ; implicit-def: $vgpr21
                                        ; implicit-def: $vgpr22
                                        ; implicit-def: $vgpr23
                                        ; implicit-def: $vgpr24
                                        ; implicit-def: $vgpr25
                                        ; implicit-def: $vgpr26
                                        ; implicit-def: $vgpr27
                                        ; implicit-def: $vgpr28
                                        ; implicit-def: $vgpr29
                                        ; implicit-def: $vgpr30
                                        ; implicit-def: $vgpr31
                                        ; implicit-def: $vgpr32
                                        ; implicit-def: $vgpr33
                                        ; implicit-def: $vgpr34
                                        ; implicit-def: $vgpr35
                                        ; implicit-def: $sgpr76
	s_and_b64 vcc, exec, s[4:5]
	v_lshlrev_b32_e32 v12, 1, v0
	s_cbranch_vccz .LBB302_126
.LBB302_118:
	v_mov_b32_e32 v1, s51
	v_add_co_u32_e32 v2, vcc, s50, v12
	v_addc_co_u32_e32 v3, vcc, 0, v1, vcc
	v_add_co_u32_e32 v4, vcc, 0x1000, v2
	v_addc_co_u32_e32 v5, vcc, 0, v3, vcc
	flat_load_ushort v6, v[2:3]
	flat_load_ushort v7, v[2:3] offset:512
	flat_load_ushort v8, v[2:3] offset:1024
	flat_load_ushort v9, v[2:3] offset:1536
	flat_load_ushort v10, v[2:3] offset:2048
	flat_load_ushort v11, v[2:3] offset:2560
	flat_load_ushort v13, v[2:3] offset:3072
	flat_load_ushort v14, v[2:3] offset:3584
	v_add_co_u32_e32 v2, vcc, 0x2000, v2
	v_addc_co_u32_e32 v3, vcc, 0, v3, vcc
	flat_load_ushort v15, v[4:5]
	flat_load_ushort v16, v[4:5] offset:512
	flat_load_ushort v17, v[4:5] offset:1024
	flat_load_ushort v18, v[4:5] offset:1536
	flat_load_ushort v19, v[4:5] offset:2048
	flat_load_ushort v20, v[4:5] offset:2560
	flat_load_ushort v21, v[4:5] offset:3072
	flat_load_ushort v22, v[4:5] offset:3584
	s_nop 0
	flat_load_ushort v4, v[2:3]
	flat_load_ushort v5, v[2:3] offset:512
	flat_load_ushort v23, v[2:3] offset:1024
	;; [unrolled: 1-line block ×5, first 2 shown]
	v_mad_u32_u24 v1, v0, 42, v12
	s_cmp_eq_u64 s[72:73], 0
	s_waitcnt vmcnt(0) lgkmcnt(0)
	ds_write_b16 v12, v6
	ds_write_b16 v12, v7 offset:512
	ds_write_b16 v12, v8 offset:1024
	;; [unrolled: 1-line block ×21, first 2 shown]
	s_waitcnt lgkmcnt(0)
	s_barrier
	ds_read2_b32 v[10:11], v1 offset1:1
	ds_read2_b32 v[8:9], v1 offset0:2 offset1:3
	ds_read2_b32 v[6:7], v1 offset0:4 offset1:5
	;; [unrolled: 1-line block ×4, first 2 shown]
	ds_read_b32 v13, v1 offset:40
	s_cbranch_scc1 .LBB302_123
; %bb.119:
	s_andn2_b64 vcc, exec, s[52:53]
	s_cbranch_vccnz .LBB302_290
; %bb.120:
	s_lshl_b64 s[2:3], s[72:73], 1
	s_add_u32 s2, s62, s2
	s_addc_u32 s3, s63, s3
	s_add_u32 s2, s2, -2
	s_addc_u32 s3, s3, -1
	s_cbranch_execnz .LBB302_122
.LBB302_121:
	s_add_u32 s2, s50, -2
	s_addc_u32 s3, s51, -1
.LBB302_122:
	s_mov_b64 s[50:51], s[2:3]
.LBB302_123:
	v_pk_mov_b32 v[14:15], s[50:51], s[50:51] op_sel:[0,1]
	flat_load_ushort v15, v[14:15]
	s_movk_i32 s2, 0xffd6
	s_waitcnt lgkmcnt(0)
	v_lshrrev_b32_e32 v14, 16, v13
	v_mad_i32_i24 v16, v0, s2, v1
	v_cmp_ne_u32_e32 vcc, 0, v0
	ds_write_b16 v16, v14 offset:11264
	s_waitcnt lgkmcnt(0)
	s_barrier
	s_and_saveexec_b64 s[2:3], vcc
	s_cbranch_execz .LBB302_125
; %bb.124:
	s_waitcnt vmcnt(0)
	v_mul_i32_i24_e32 v15, 0xffffffd6, v0
	v_add_u32_e32 v15, v1, v15
	ds_read_u16 v15, v15 offset:11262
.LBB302_125:
	s_or_b64 exec, exec, s[2:3]
	v_mov_b32_e32 v17, s67
	v_add_co_u32_e32 v16, vcc, s7, v12
	v_addc_co_u32_e32 v17, vcc, 0, v17, vcc
	s_movk_i32 s2, 0x1000
	v_add_co_u32_e32 v18, vcc, s2, v16
	v_addc_co_u32_e32 v19, vcc, 0, v17, vcc
	s_movk_i32 s2, 0x2000
	s_waitcnt lgkmcnt(0)
	s_barrier
	flat_load_ushort v20, v[16:17]
	flat_load_ushort v21, v[16:17] offset:512
	flat_load_ushort v22, v[16:17] offset:1024
	;; [unrolled: 1-line block ×7, first 2 shown]
	v_add_co_u32_e32 v16, vcc, s2, v16
	v_addc_co_u32_e32 v17, vcc, 0, v17, vcc
	flat_load_ushort v28, v[18:19]
	flat_load_ushort v29, v[18:19] offset:512
	flat_load_ushort v30, v[18:19] offset:1024
	;; [unrolled: 1-line block ×7, first 2 shown]
	s_nop 0
	flat_load_ushort v18, v[16:17]
	flat_load_ushort v19, v[16:17] offset:512
	flat_load_ushort v36, v[16:17] offset:1024
	;; [unrolled: 1-line block ×5, first 2 shown]
	v_cmp_ne_u16_sdwa s[4:5], v10, v10 src0_sel:DWORD src1_sel:WORD_1
	v_cndmask_b32_e64 v16, 0, 1, s[4:5]
	v_cmp_ne_u16_sdwa s[4:5], v10, v11 src0_sel:WORD_1 src1_sel:DWORD
	v_cndmask_b32_e64 v40, 0, 1, s[4:5]
	v_cmp_ne_u16_sdwa s[4:5], v11, v11 src0_sel:DWORD src1_sel:WORD_1
	v_cmp_ne_u16_e64 s[2:3], v13, v14
	s_waitcnt vmcnt(0)
	v_cmp_ne_u16_e32 vcc, v15, v10
	v_cndmask_b32_e64 v41, 0, 1, s[4:5]
	v_cmp_ne_u16_sdwa s[4:5], v11, v8 src0_sel:WORD_1 src1_sel:DWORD
	v_cndmask_b32_e64 v17, 0, 1, vcc
	v_cndmask_b32_e64 v42, 0, 1, s[4:5]
	v_cmp_ne_u16_sdwa s[4:5], v8, v8 src0_sel:DWORD src1_sel:WORD_1
	s_mov_b64 s[10:11], -1
                                        ; implicit-def: $sgpr76
	s_waitcnt lgkmcnt(0)
	ds_write_b16 v12, v20
	ds_write_b16 v12, v21 offset:512
	ds_write_b16 v12, v22 offset:1024
	;; [unrolled: 1-line block ×21, first 2 shown]
	s_waitcnt lgkmcnt(0)
	s_barrier
	ds_read2_b32 v[10:11], v1 offset0:8 offset1:9
	ds_read_b32 v35, v1 offset:40
	ds_read2_b32 v[14:15], v1 offset1:1
	ds_read2_b32 v[22:23], v1 offset0:2 offset1:3
	ds_read2_b32 v[26:27], v1 offset0:4 offset1:5
	;; [unrolled: 1-line block ×3, first 2 shown]
	s_waitcnt lgkmcnt(4)
	v_lshrrev_b32_e32 v36, 16, v35
	s_waitcnt lgkmcnt(3)
	v_and_b32_e32 v1, 0xffff, v14
	v_alignbit_b32 v16, v16, v14, 16
	v_and_b32_e32 v14, 0xffff, v15
	v_lshl_or_b32 v1, v17, 16, v1
	v_lshl_or_b32 v17, v40, 16, v14
	v_cndmask_b32_e64 v14, 0, 1, s[4:5]
	v_cmp_ne_u16_sdwa s[4:5], v8, v9 src0_sel:WORD_1 src1_sel:DWORD
	s_waitcnt lgkmcnt(2)
	v_alignbit_b32 v20, v14, v22, 16
	v_and_b32_e32 v14, 0xffff, v23
	v_cndmask_b32_e64 v8, 0, 1, s[4:5]
	v_cmp_ne_u16_sdwa s[4:5], v9, v9 src0_sel:DWORD src1_sel:WORD_1
	v_lshl_or_b32 v21, v8, 16, v14
	v_cndmask_b32_e64 v8, 0, 1, s[4:5]
	v_cmp_ne_u16_sdwa s[4:5], v9, v6 src0_sel:WORD_1 src1_sel:DWORD
	v_alignbit_b32 v18, v41, v15, 16
	v_and_b32_e32 v15, 0xffff, v22
	v_alignbit_b32 v22, v8, v23, 16
	s_waitcnt lgkmcnt(1)
	v_and_b32_e32 v8, 0xffff, v26
	v_cndmask_b32_e64 v9, 0, 1, s[4:5]
	v_cmp_ne_u16_sdwa s[4:5], v6, v6 src0_sel:DWORD src1_sel:WORD_1
	v_lshl_or_b32 v23, v9, 16, v8
	v_cndmask_b32_e64 v8, 0, 1, s[4:5]
	v_cmp_ne_u16_sdwa s[4:5], v6, v7 src0_sel:WORD_1 src1_sel:DWORD
	v_alignbit_b32 v24, v8, v26, 16
	v_and_b32_e32 v8, 0xffff, v27
	v_cndmask_b32_e64 v6, 0, 1, s[4:5]
	v_cmp_ne_u16_sdwa s[4:5], v7, v7 src0_sel:DWORD src1_sel:WORD_1
	v_lshl_or_b32 v25, v6, 16, v8
	v_cndmask_b32_e64 v6, 0, 1, s[4:5]
	v_cmp_ne_u16_sdwa s[4:5], v7, v4 src0_sel:WORD_1 src1_sel:DWORD
	v_alignbit_b32 v26, v6, v27, 16
	s_waitcnt lgkmcnt(0)
	v_and_b32_e32 v6, 0xffff, v30
	v_cndmask_b32_e64 v7, 0, 1, s[4:5]
	v_cmp_ne_u16_sdwa s[4:5], v4, v4 src0_sel:DWORD src1_sel:WORD_1
	v_lshl_or_b32 v27, v7, 16, v6
	v_cndmask_b32_e64 v6, 0, 1, s[4:5]
	v_cmp_ne_u16_sdwa s[4:5], v4, v5 src0_sel:WORD_1 src1_sel:DWORD
	v_alignbit_b32 v28, v6, v30, 16
	v_and_b32_e32 v6, 0xffff, v31
	v_cndmask_b32_e64 v4, 0, 1, s[4:5]
	v_cmp_ne_u16_sdwa s[4:5], v5, v5 src0_sel:DWORD src1_sel:WORD_1
	v_lshl_or_b32 v29, v4, 16, v6
	v_cndmask_b32_e64 v4, 0, 1, s[4:5]
	v_cmp_ne_u16_sdwa s[4:5], v5, v2 src0_sel:WORD_1 src1_sel:DWORD
	v_alignbit_b32 v30, v4, v31, 16
	;; [unrolled: 7-line block ×4, first 2 shown]
	v_and_b32_e32 v2, 0xffff, v35
	v_cndmask_b32_e64 v3, 0, 1, s[4:5]
	v_lshl_or_b32 v19, v42, 16, v15
	v_lshl_or_b32 v35, v3, 16, v2
.LBB302_126:
	v_mov_b32_e32 v13, s76
	s_and_saveexec_b64 s[4:5], s[10:11]
	s_cbranch_execz .LBB302_128
; %bb.127:
	v_mov_b32_e32 v2, 0x10000
	v_cndmask_b32_e64 v2, 0, v2, s[2:3]
	s_waitcnt lgkmcnt(0)
	v_or_b32_sdwa v13, v2, v36 dst_sel:DWORD dst_unused:UNUSED_PAD src0_sel:DWORD src1_sel:WORD_0
.LBB302_128:
	s_or_b64 exec, exec, s[4:5]
	v_or3_b32 v2, v13, v35, v34
	s_cmp_lg_u32 s6, 0
	v_or3_b32 v15, v2, v33, v32
	v_lshrrev_b32_e32 v14, 5, v0
	v_cmp_gt_u32_e32 vcc, 64, v0
	s_waitcnt lgkmcnt(0)
	s_barrier
	s_cbranch_scc0 .LBB302_195
; %bb.129:
	s_mov_b32 s7, 0x10000
	v_cmp_gt_u32_e64 s[2:3], s7, v16
	v_cndmask_b32_e64 v2, 1, v1, s[2:3]
	v_mul_lo_u16_e32 v2, v2, v16
	v_cmp_gt_u32_e64 s[4:5], s7, v17
	v_cndmask_b32_e64 v2, 1, v2, s[4:5]
	v_mul_lo_u16_e32 v2, v2, v17
	;; [unrolled: 3-line block ×21, first 2 shown]
	v_or3_b32 v2, v15, v31, v30
	v_or3_b32 v2, v2, v29, v28
	;; [unrolled: 1-line block ×8, first 2 shown]
	v_and_b32_e32 v2, 0x10000, v2
	v_lshrrev_b32_e32 v36, 16, v1
	v_cmp_ne_u32_e64 s[46:47], 0, v2
	v_mov_b32_e32 v5, 0x10000
	v_cndmask_b32_e64 v38, v36, 1, s[46:47]
	v_add_lshl_u32 v2, v14, v0, 2
	ds_write_b16 v2, v37
	ds_write_b8 v2, v38 offset:2
	s_waitcnt lgkmcnt(0)
	s_barrier
	s_and_saveexec_b64 s[48:49], vcc
	s_cbranch_execz .LBB302_143
; %bb.130:
	v_lshlrev_b32_e32 v2, 2, v0
	v_lshrrev_b32_e32 v3, 3, v0
	v_add_lshl_u32 v2, v3, v2, 2
	ds_read_b32 v3, v2
	ds_read_u16 v4, v2 offset:4
	ds_read_u8 v6, v2 offset:6
	ds_read_u16 v7, v2 offset:8
	ds_read_u8 v8, v2 offset:10
	;; [unrolled: 2-line block ×3, first 2 shown]
	v_mov_b32_e32 v11, 0
	s_waitcnt lgkmcnt(4)
	v_cmp_eq_u16_sdwa s[46:47], v6, v11 src0_sel:BYTE_0 src1_sel:DWORD
	v_cndmask_b32_e64 v39, 1, v3, s[46:47]
	v_mul_lo_u16_e32 v39, v39, v4
	s_waitcnt lgkmcnt(2)
	v_cmp_eq_u16_sdwa s[46:47], v8, v11 src0_sel:BYTE_0 src1_sel:DWORD
	s_waitcnt lgkmcnt(0)
	v_or_b32_e32 v8, v10, v8
	v_cndmask_b32_e64 v11, 1, v39, s[46:47]
	v_or_b32_e32 v6, v8, v6
	v_mul_lo_u16_e32 v7, v11, v7
	v_cmp_eq_u16_e64 s[46:47], 0, v10
	v_and_b32_e32 v6, 1, v6
	v_and_b32_e32 v4, 0x10000, v3
	v_cndmask_b32_e64 v11, 1, v7, s[46:47]
	v_cmp_eq_u32_e64 s[46:47], 1, v6
	v_mbcnt_lo_u32_b32 v6, -1, 0
	v_mul_lo_u16_e32 v7, v11, v9
	v_cndmask_b32_e64 v39, v4, v5, s[46:47]
	v_mul_lo_u16_e32 v9, v11, v9
	v_and_b32_e32 v5, 0xff000000, v3
	v_mbcnt_hi_u32_b32 v6, -1, v6
	v_or_b32_e32 v10, v39, v5
	v_and_b32_e32 v11, 15, v6
	v_or3_b32 v9, v5, v9, v39
	s_movk_i32 s7, 0xff
	v_lshrrev_b32_e32 v8, 16, v10
	v_mov_b32_dpp v39, v9 row_shr:1 row_mask:0xf bank_mask:0xf
	v_cmp_ne_u32_e64 s[46:47], 0, v11
	s_and_saveexec_b64 s[50:51], s[46:47]
	s_cbranch_execz .LBB302_132
; %bb.131:
	v_and_b32_sdwa v8, v10, s7 dst_sel:DWORD dst_unused:UNUSED_PAD src0_sel:WORD_1 src1_sel:DWORD
	v_cmp_eq_u16_e64 s[46:47], 0, v8
	v_and_b32_e32 v8, 0x10000, v10
	v_mov_b32_e32 v10, 1
	v_cndmask_b32_e64 v9, 1, v39, s[46:47]
	v_and_b32_sdwa v10, v39, v10 dst_sel:DWORD dst_unused:UNUSED_PAD src0_sel:WORD_1 src1_sel:DWORD
	v_cmp_ne_u32_e64 s[46:47], 0, v8
	v_cndmask_b32_e64 v8, v10, 1, s[46:47]
	v_mul_lo_u16_e32 v40, v9, v7
	v_lshlrev_b32_e32 v10, 16, v8
	v_mul_lo_u16_e32 v7, v9, v7
	v_or3_b32 v9, v10, v7, v5
	v_mov_b32_e32 v7, v40
.LBB302_132:
	s_or_b64 exec, exec, s[50:51]
	v_lshrrev_b32_e32 v10, 16, v9
	v_mov_b32_dpp v39, v9 row_shr:2 row_mask:0xf bank_mask:0xf
	v_cmp_lt_u32_e64 s[46:47], 1, v11
	s_and_saveexec_b64 s[50:51], s[46:47]
	s_cbranch_execz .LBB302_134
; %bb.133:
	v_mov_b32_e32 v8, 0
	v_cmp_eq_u16_sdwa s[46:47], v10, v8 src0_sel:BYTE_0 src1_sel:DWORD
	v_and_b32_e32 v8, 0x10000, v9
	v_mov_b32_e32 v9, 1
	v_cndmask_b32_e64 v10, 1, v39, s[46:47]
	v_and_b32_sdwa v9, v39, v9 dst_sel:DWORD dst_unused:UNUSED_PAD src0_sel:WORD_1 src1_sel:DWORD
	v_cmp_ne_u32_e64 s[46:47], 0, v8
	v_cndmask_b32_e64 v8, v9, 1, s[46:47]
	v_mul_lo_u16_e32 v40, v10, v7
	v_lshlrev_b32_e32 v9, 16, v8
	v_mul_lo_u16_e32 v7, v10, v7
	v_or3_b32 v9, v9, v7, v5
	v_mov_b32_e32 v10, v8
	v_mov_b32_e32 v7, v40
.LBB302_134:
	s_or_b64 exec, exec, s[50:51]
	v_mov_b32_dpp v39, v9 row_shr:4 row_mask:0xf bank_mask:0xf
	v_cmp_lt_u32_e64 s[46:47], 3, v11
	s_and_saveexec_b64 s[50:51], s[46:47]
	s_cbranch_execz .LBB302_136
; %bb.135:
	v_mov_b32_e32 v8, 0
	v_cmp_eq_u16_sdwa s[46:47], v10, v8 src0_sel:BYTE_0 src1_sel:DWORD
	v_and_b32_e32 v8, 1, v10
	v_mov_b32_e32 v10, 1
	v_cndmask_b32_e64 v9, 1, v39, s[46:47]
	v_and_b32_sdwa v10, v39, v10 dst_sel:DWORD dst_unused:UNUSED_PAD src0_sel:WORD_1 src1_sel:DWORD
	v_cmp_eq_u32_e64 s[46:47], 1, v8
	v_cndmask_b32_e64 v8, v10, 1, s[46:47]
	v_mul_lo_u16_e32 v40, v9, v7
	v_lshlrev_b32_e32 v10, 16, v8
	v_mul_lo_u16_e32 v7, v9, v7
	v_or3_b32 v9, v10, v7, v5
	v_mov_b32_e32 v10, v8
	v_mov_b32_e32 v7, v40
.LBB302_136:
	s_or_b64 exec, exec, s[50:51]
	v_mov_b32_dpp v39, v9 row_shr:8 row_mask:0xf bank_mask:0xf
	v_cmp_lt_u32_e64 s[46:47], 7, v11
	s_and_saveexec_b64 s[50:51], s[46:47]
	s_cbranch_execz .LBB302_138
; %bb.137:
	v_mov_b32_e32 v8, 0
	v_cmp_eq_u16_sdwa s[46:47], v10, v8 src0_sel:BYTE_0 src1_sel:DWORD
	v_and_b32_e32 v8, 1, v10
	v_mov_b32_e32 v10, 1
	v_cndmask_b32_e64 v9, 1, v39, s[46:47]
	v_and_b32_sdwa v10, v39, v10 dst_sel:DWORD dst_unused:UNUSED_PAD src0_sel:WORD_1 src1_sel:DWORD
	v_cmp_eq_u32_e64 s[46:47], 1, v8
	v_cndmask_b32_e64 v8, v10, 1, s[46:47]
	v_mul_lo_u16_e32 v11, v9, v7
	v_lshlrev_b32_e32 v10, 16, v8
	v_mul_lo_u16_e32 v7, v9, v7
	v_or3_b32 v9, v10, v7, v5
	v_mov_b32_e32 v10, v8
	v_mov_b32_e32 v7, v11
.LBB302_138:
	s_or_b64 exec, exec, s[50:51]
	v_and_b32_e32 v39, 16, v6
	v_mov_b32_dpp v11, v9 row_bcast:15 row_mask:0xf bank_mask:0xf
	v_cmp_ne_u32_e64 s[46:47], 0, v39
	s_and_saveexec_b64 s[50:51], s[46:47]
	s_cbranch_execz .LBB302_140
; %bb.139:
	v_mov_b32_e32 v8, 0
	v_cmp_eq_u16_sdwa s[46:47], v10, v8 src0_sel:BYTE_0 src1_sel:DWORD
	v_and_b32_e32 v8, 1, v10
	v_mov_b32_e32 v10, 1
	v_cndmask_b32_e64 v9, 1, v11, s[46:47]
	v_and_b32_sdwa v10, v11, v10 dst_sel:DWORD dst_unused:UNUSED_PAD src0_sel:WORD_1 src1_sel:DWORD
	v_cmp_eq_u32_e64 s[46:47], 1, v8
	v_cndmask_b32_e64 v8, v10, 1, s[46:47]
	v_mul_lo_u16_e32 v39, v9, v7
	v_lshlrev_b32_e32 v10, 16, v8
	v_mul_lo_u16_e32 v7, v9, v7
	v_or3_b32 v9, v10, v7, v5
	v_mov_b32_e32 v10, v8
	v_mov_b32_e32 v7, v39
.LBB302_140:
	s_or_b64 exec, exec, s[50:51]
	v_mov_b32_dpp v9, v9 row_bcast:31 row_mask:0xf bank_mask:0xf
	v_cmp_lt_u32_e64 s[46:47], 31, v6
	s_and_saveexec_b64 s[50:51], s[46:47]
; %bb.141:
	v_mov_b32_e32 v8, 0
	v_cmp_eq_u16_sdwa s[46:47], v10, v8 src0_sel:BYTE_0 src1_sel:DWORD
	v_cndmask_b32_e64 v8, 1, v9, s[46:47]
	v_mul_lo_u16_e32 v7, v8, v7
	v_and_b32_e32 v8, 1, v10
	v_mov_b32_e32 v10, 1
	v_and_b32_sdwa v9, v9, v10 dst_sel:DWORD dst_unused:UNUSED_PAD src0_sel:WORD_1 src1_sel:DWORD
	v_cmp_eq_u32_e64 s[46:47], 1, v8
	v_cndmask_b32_e64 v8, v9, 1, s[46:47]
; %bb.142:
	s_or_b64 exec, exec, s[50:51]
	v_and_b32_e32 v8, 0xff, v8
	v_lshlrev_b32_e32 v8, 16, v8
	v_and_b32_e32 v7, 0xffff, v7
	v_or3_b32 v5, v8, v7, v5
	v_add_u32_e32 v7, -1, v6
	v_and_b32_e32 v8, 64, v6
	v_cmp_lt_i32_e64 s[46:47], v7, v8
	v_cndmask_b32_e64 v6, v7, v6, s[46:47]
	v_lshlrev_b32_e32 v6, 2, v6
	ds_bpermute_b32 v5, v6, v5
	v_and_b32_e32 v6, 0xff0000, v3
	v_cmp_eq_u32_e64 s[46:47], 0, v6
	; wave barrier
	s_waitcnt lgkmcnt(0)
	v_cndmask_b32_e64 v6, 1, v5, s[46:47]
	v_mul_lo_u16_e32 v3, v6, v3
	v_mov_b32_e32 v6, 1
	v_and_b32_sdwa v5, v5, v6 dst_sel:DWORD dst_unused:UNUSED_PAD src0_sel:WORD_1 src1_sel:DWORD
	v_cmp_eq_u32_e64 s[46:47], 0, v4
	v_cndmask_b32_e64 v4, 1, v5, s[46:47]
	v_cmp_eq_u32_e64 s[46:47], 0, v0
	v_cndmask_b32_e64 v3, v3, v37, s[46:47]
	v_cndmask_b32_e64 v4, v4, v38, s[46:47]
	ds_write_b16 v2, v3
	ds_write_b8 v2, v4 offset:2
	; wave barrier
	ds_read_u16 v5, v2 offset:4
	ds_read_u8 v6, v2 offset:6
	ds_read_u16 v7, v2 offset:8
	ds_read_u8 v8, v2 offset:10
	;; [unrolled: 2-line block ×3, first 2 shown]
	s_waitcnt lgkmcnt(4)
	v_cmp_eq_u16_e64 s[46:47], 0, v6
	v_cndmask_b32_e64 v3, 1, v3, s[46:47]
	v_mul_lo_u16_e32 v3, v3, v5
	v_and_b32_e32 v5, 1, v6
	v_cmp_eq_u32_e64 s[46:47], 1, v5
	v_cndmask_b32_e64 v4, v4, 1, s[46:47]
	s_waitcnt lgkmcnt(2)
	v_cmp_eq_u16_e64 s[46:47], 0, v8
	v_and_b32_e32 v5, 1, v8
	ds_write_b16 v2, v3 offset:4
	ds_write_b8 v2, v4 offset:6
	v_cndmask_b32_e64 v3, 1, v3, s[46:47]
	v_cmp_eq_u32_e64 s[46:47], 1, v5
	v_mul_lo_u16_e32 v3, v3, v7
	v_cndmask_b32_e64 v4, v4, 1, s[46:47]
	s_waitcnt lgkmcnt(2)
	v_cmp_eq_u16_e64 s[46:47], 0, v10
	ds_write_b16 v2, v3 offset:8
	ds_write_b8 v2, v4 offset:10
	v_cndmask_b32_e64 v3, 1, v3, s[46:47]
	v_and_b32_e32 v5, 1, v10
	v_mul_lo_u16_e32 v3, v3, v9
	v_cmp_eq_u32_e64 s[46:47], 1, v5
	v_cndmask_b32_e64 v4, v4, 1, s[46:47]
	ds_write_b16 v2, v3 offset:12
	ds_write_b8 v2, v4 offset:14
.LBB302_143:
	s_or_b64 exec, exec, s[48:49]
	v_cmp_eq_u32_e64 s[48:49], 0, v0
	v_cmp_ne_u32_e64 s[46:47], 0, v0
	s_waitcnt lgkmcnt(0)
	s_barrier
	s_and_saveexec_b64 s[50:51], s[46:47]
	s_cbranch_execz .LBB302_145
; %bb.144:
	v_add_u32_e32 v2, -1, v0
	v_lshrrev_b32_e32 v3, 5, v2
	v_add_lshl_u32 v2, v3, v2, 2
	ds_read_u16 v37, v2
	ds_read_u8 v38, v2 offset:2
.LBB302_145:
	s_or_b64 exec, exec, s[50:51]
	s_and_saveexec_b64 s[56:57], vcc
	s_cbranch_execz .LBB302_192
; %bb.146:
	v_mov_b32_e32 v11, 0
	ds_read_b32 v2, v11 offset:1048
	v_mbcnt_lo_u32_b32 v3, -1, 0
	v_mbcnt_hi_u32_b32 v5, -1, v3
	s_mov_b32 s73, 0
	v_cmp_eq_u32_e64 s[50:51], 0, v5
	s_and_saveexec_b64 s[62:63], s[50:51]
	s_cbranch_execz .LBB302_148
; %bb.147:
	s_add_i32 s72, s6, 64
	s_lshl_b64 s[72:73], s[72:73], 3
	s_add_u32 s72, s64, s72
	v_mov_b32_e32 v3, 1
	s_addc_u32 s73, s65, s73
	s_waitcnt lgkmcnt(0)
	global_store_dwordx2 v11, v[2:3], s[72:73]
.LBB302_148:
	s_or_b64 exec, exec, s[62:63]
	v_xad_u32 v4, v5, -1, s6
	v_add_u32_e32 v10, 64, v4
	v_lshlrev_b64 v[6:7], 3, v[10:11]
	v_mov_b32_e32 v3, s65
	v_add_co_u32_e32 v6, vcc, s64, v6
	v_addc_co_u32_e32 v7, vcc, v3, v7, vcc
	global_load_dwordx2 v[8:9], v[6:7], off glc
	s_waitcnt vmcnt(0)
	v_cmp_eq_u16_sdwa s[72:73], v9, v11 src0_sel:BYTE_0 src1_sel:DWORD
	s_and_saveexec_b64 s[62:63], s[72:73]
	s_cbranch_execz .LBB302_154
; %bb.149:
	s_mov_b32 s7, 1
	s_mov_b64 s[72:73], 0
	v_mov_b32_e32 v3, 0
.LBB302_150:                            ; =>This Loop Header: Depth=1
                                        ;     Child Loop BB302_151 Depth 2
	s_max_u32 s67, s7, 1
.LBB302_151:                            ;   Parent Loop BB302_150 Depth=1
                                        ; =>  This Inner Loop Header: Depth=2
	s_add_i32 s67, s67, -1
	s_cmp_eq_u32 s67, 0
	s_sleep 1
	s_cbranch_scc0 .LBB302_151
; %bb.152:                              ;   in Loop: Header=BB302_150 Depth=1
	global_load_dwordx2 v[8:9], v[6:7], off glc
	s_cmp_lt_u32 s7, 32
	s_cselect_b64 s[74:75], -1, 0
	s_cmp_lg_u64 s[74:75], 0
	s_addc_u32 s7, s7, 0
	s_waitcnt vmcnt(0)
	v_cmp_ne_u16_sdwa s[74:75], v9, v3 src0_sel:BYTE_0 src1_sel:DWORD
	s_or_b64 s[72:73], s[74:75], s[72:73]
	s_andn2_b64 exec, exec, s[72:73]
	s_cbranch_execnz .LBB302_150
; %bb.153:
	s_or_b64 exec, exec, s[72:73]
.LBB302_154:
	s_or_b64 exec, exec, s[62:63]
	v_mov_b32_e32 v3, 2
	v_cmp_eq_u16_sdwa s[62:63], v9, v3 src0_sel:BYTE_0 src1_sel:DWORD
	v_lshlrev_b64 v[6:7], v5, -1
	v_and_b32_e32 v3, s63, v7
	v_or_b32_e32 v3, 0x80000000, v3
	v_ffbl_b32_e32 v3, v3
	v_add_u32_e32 v11, 32, v3
	v_and_b32_e32 v3, 63, v5
	v_cmp_ne_u32_e32 vcc, 63, v3
	v_addc_co_u32_e32 v39, vcc, 0, v5, vcc
	v_and_b32_e32 v50, 0xffffff, v8
	v_lshlrev_b32_e32 v39, 2, v39
	ds_bpermute_b32 v40, v39, v50
	v_and_b32_e32 v10, s62, v6
	v_ffbl_b32_e32 v10, v10
	v_min_u32_e32 v11, v10, v11
	v_lshrrev_b32_e32 v10, 16, v8
	v_cmp_lt_u32_e32 vcc, v3, v11
	v_bfe_u32 v48, v8, 16, 8
	s_and_saveexec_b64 s[62:63], vcc
	s_cbranch_execz .LBB302_156
; %bb.155:
	v_and_b32_e32 v10, 0xff0000, v8
	v_cmp_eq_u32_e32 vcc, 0, v10
	v_and_b32_e32 v10, 0x10000, v10
	v_mov_b32_e32 v43, 1
	s_waitcnt lgkmcnt(0)
	v_cndmask_b32_e32 v41, 1, v40, vcc
	v_and_b32_sdwa v40, v40, v43 dst_sel:DWORD dst_unused:UNUSED_PAD src0_sel:WORD_1 src1_sel:DWORD
	v_cmp_ne_u32_e32 vcc, 0, v10
	v_cndmask_b32_e64 v10, v40, 1, vcc
	v_mul_lo_u16_e32 v42, v41, v8
	v_lshlrev_b32_e32 v40, 16, v10
	v_mul_lo_u16_e32 v8, v41, v8
	v_or_b32_e32 v50, v40, v8
	v_mov_b32_e32 v8, v42
	v_mov_b32_e32 v48, v10
.LBB302_156:
	s_or_b64 exec, exec, s[62:63]
	v_cmp_gt_u32_e32 vcc, 62, v3
	s_waitcnt lgkmcnt(0)
	v_cndmask_b32_e64 v40, 0, 1, vcc
	v_lshlrev_b32_e32 v40, 1, v40
	v_add_lshl_u32 v40, v40, v5, 2
	ds_bpermute_b32 v42, v40, v50
	v_add_u32_e32 v41, 2, v3
	v_cmp_le_u32_e32 vcc, v41, v11
	s_and_saveexec_b64 s[62:63], vcc
	s_cbranch_execz .LBB302_158
; %bb.157:
	v_cmp_eq_u16_e32 vcc, 0, v48
	v_and_b32_e32 v10, 1, v48
	v_mov_b32_e32 v45, 1
	s_waitcnt lgkmcnt(0)
	v_cndmask_b32_e32 v43, 1, v42, vcc
	v_and_b32_sdwa v42, v42, v45 dst_sel:DWORD dst_unused:UNUSED_PAD src0_sel:WORD_1 src1_sel:DWORD
	v_cmp_eq_u32_e32 vcc, 1, v10
	v_cndmask_b32_e64 v10, v42, 1, vcc
	v_mul_lo_u16_e32 v44, v43, v8
	v_lshlrev_b32_e32 v42, 16, v10
	v_mul_lo_u16_e32 v8, v43, v8
	v_or_b32_e32 v50, v42, v8
	v_mov_b32_e32 v8, v44
	v_mov_b32_e32 v48, v10
.LBB302_158:
	s_or_b64 exec, exec, s[62:63]
	v_cmp_gt_u32_e32 vcc, 60, v3
	s_waitcnt lgkmcnt(0)
	v_cndmask_b32_e64 v42, 0, 1, vcc
	v_lshlrev_b32_e32 v42, 2, v42
	v_add_lshl_u32 v42, v42, v5, 2
	ds_bpermute_b32 v44, v42, v50
	v_add_u32_e32 v43, 4, v3
	v_cmp_le_u32_e32 vcc, v43, v11
	s_and_saveexec_b64 s[62:63], vcc
	s_cbranch_execz .LBB302_160
; %bb.159:
	v_cmp_eq_u16_e32 vcc, 0, v48
	v_and_b32_e32 v10, 1, v48
	v_mov_b32_e32 v47, 1
	s_waitcnt lgkmcnt(0)
	v_cndmask_b32_e32 v45, 1, v44, vcc
	v_and_b32_sdwa v44, v44, v47 dst_sel:DWORD dst_unused:UNUSED_PAD src0_sel:WORD_1 src1_sel:DWORD
	v_cmp_eq_u32_e32 vcc, 1, v10
	v_cndmask_b32_e64 v10, v44, 1, vcc
	v_mul_lo_u16_e32 v46, v45, v8
	v_lshlrev_b32_e32 v44, 16, v10
	v_mul_lo_u16_e32 v8, v45, v8
	v_or_b32_e32 v50, v44, v8
	v_mov_b32_e32 v8, v46
	v_mov_b32_e32 v48, v10
.LBB302_160:
	s_or_b64 exec, exec, s[62:63]
	v_cmp_gt_u32_e32 vcc, 56, v3
	s_waitcnt lgkmcnt(0)
	v_cndmask_b32_e64 v44, 0, 1, vcc
	v_lshlrev_b32_e32 v44, 3, v44
	v_add_lshl_u32 v44, v44, v5, 2
	ds_bpermute_b32 v46, v44, v50
	v_add_u32_e32 v45, 8, v3
	v_cmp_le_u32_e32 vcc, v45, v11
	s_and_saveexec_b64 s[62:63], vcc
	s_cbranch_execz .LBB302_162
; %bb.161:
	v_cmp_eq_u16_e32 vcc, 0, v48
	v_and_b32_e32 v10, 1, v48
	v_mov_b32_e32 v48, 1
	s_waitcnt lgkmcnt(0)
	v_cndmask_b32_e32 v47, 1, v46, vcc
	v_and_b32_sdwa v46, v46, v48 dst_sel:DWORD dst_unused:UNUSED_PAD src0_sel:WORD_1 src1_sel:DWORD
	v_cmp_eq_u32_e32 vcc, 1, v10
	v_cndmask_b32_e64 v10, v46, 1, vcc
	v_mul_lo_u16_e32 v49, v47, v8
	v_lshlrev_b32_e32 v46, 16, v10
	v_mul_lo_u16_e32 v8, v47, v8
	v_or_b32_e32 v50, v46, v8
	v_mov_b32_e32 v8, v49
	v_mov_b32_e32 v48, v10
.LBB302_162:
	s_or_b64 exec, exec, s[62:63]
	v_cmp_gt_u32_e32 vcc, 48, v3
	s_waitcnt lgkmcnt(0)
	v_cndmask_b32_e64 v46, 0, 1, vcc
	v_lshlrev_b32_e32 v46, 4, v46
	v_add_lshl_u32 v46, v46, v5, 2
	ds_bpermute_b32 v49, v46, v50
	v_add_u32_e32 v47, 16, v3
	v_cmp_le_u32_e32 vcc, v47, v11
	s_and_saveexec_b64 s[62:63], vcc
	s_cbranch_execz .LBB302_164
; %bb.163:
	v_cmp_eq_u16_e32 vcc, 0, v48
	v_and_b32_e32 v10, 1, v48
	v_mov_b32_e32 v48, 1
	s_waitcnt lgkmcnt(0)
	v_cndmask_b32_e32 v50, 1, v49, vcc
	v_and_b32_sdwa v48, v49, v48 dst_sel:DWORD dst_unused:UNUSED_PAD src0_sel:WORD_1 src1_sel:DWORD
	v_cmp_eq_u32_e32 vcc, 1, v10
	v_cndmask_b32_e64 v10, v48, 1, vcc
	v_mul_lo_u16_e32 v51, v50, v8
	v_lshlrev_b32_e32 v48, 16, v10
	v_mul_lo_u16_e32 v8, v50, v8
	v_or_b32_e32 v50, v48, v8
	v_mov_b32_e32 v8, v51
	v_mov_b32_e32 v48, v10
.LBB302_164:
	s_or_b64 exec, exec, s[62:63]
	v_cmp_gt_u32_e32 vcc, 32, v3
	s_waitcnt lgkmcnt(0)
	v_cndmask_b32_e64 v49, 0, 1, vcc
	v_lshlrev_b32_e32 v49, 5, v49
	v_add_lshl_u32 v49, v49, v5, 2
	ds_bpermute_b32 v5, v49, v50
	v_add_u32_e32 v50, 32, v3
	v_cmp_le_u32_e32 vcc, v50, v11
	s_and_saveexec_b64 s[62:63], vcc
	s_cbranch_execz .LBB302_166
; %bb.165:
	v_cmp_eq_u16_e32 vcc, 0, v48
	s_waitcnt lgkmcnt(0)
	v_cndmask_b32_e32 v10, 1, v5, vcc
	v_mul_lo_u16_e32 v8, v10, v8
	v_and_b32_e32 v10, 1, v48
	v_mov_b32_e32 v11, 1
	v_and_b32_sdwa v5, v5, v11 dst_sel:DWORD dst_unused:UNUSED_PAD src0_sel:WORD_1 src1_sel:DWORD
	v_cmp_eq_u32_e32 vcc, 1, v10
	v_cndmask_b32_e64 v10, v5, 1, vcc
.LBB302_166:
	s_or_b64 exec, exec, s[62:63]
	s_waitcnt lgkmcnt(0)
	v_mov_b32_e32 v5, 0
	v_mov_b32_e32 v52, 2
	;; [unrolled: 1-line block ×3, first 2 shown]
	s_branch .LBB302_168
.LBB302_167:                            ;   in Loop: Header=BB302_168 Depth=1
	s_or_b64 exec, exec, s[62:63]
	v_cmp_eq_u16_sdwa vcc, v48, v5 src0_sel:BYTE_0 src1_sel:DWORD
	v_and_b32_e32 v10, 1, v48
	v_cndmask_b32_e32 v8, 1, v8, vcc
	v_and_b32_e32 v11, 1, v11
	v_cmp_eq_u32_e32 vcc, 1, v10
	v_subrev_u32_e32 v4, 64, v4
	v_mul_lo_u16_e32 v8, v8, v51
	v_cndmask_b32_e64 v10, v11, 1, vcc
.LBB302_168:                            ; =>This Loop Header: Depth=1
                                        ;     Child Loop BB302_171 Depth 2
                                        ;       Child Loop BB302_172 Depth 3
	v_cmp_ne_u16_sdwa s[62:63], v9, v52 src0_sel:BYTE_0 src1_sel:DWORD
	v_cndmask_b32_e64 v9, 0, 1, s[62:63]
	;;#ASMSTART
	;;#ASMEND
	v_cmp_ne_u32_e32 vcc, 0, v9
	v_mov_b32_e32 v48, v10
	s_cmp_lg_u64 vcc, exec
	v_mov_b32_e32 v51, v8
	s_cbranch_scc1 .LBB302_187
; %bb.169:                              ;   in Loop: Header=BB302_168 Depth=1
	v_lshlrev_b64 v[8:9], 3, v[4:5]
	v_mov_b32_e32 v11, s65
	v_add_co_u32_e32 v10, vcc, s64, v8
	v_addc_co_u32_e32 v11, vcc, v11, v9, vcc
	global_load_dwordx2 v[8:9], v[10:11], off glc
	s_waitcnt vmcnt(0)
	v_cmp_eq_u16_sdwa s[72:73], v9, v5 src0_sel:BYTE_0 src1_sel:DWORD
	s_and_saveexec_b64 s[62:63], s[72:73]
	s_cbranch_execz .LBB302_175
; %bb.170:                              ;   in Loop: Header=BB302_168 Depth=1
	s_mov_b32 s7, 1
	s_mov_b64 s[72:73], 0
.LBB302_171:                            ;   Parent Loop BB302_168 Depth=1
                                        ; =>  This Loop Header: Depth=2
                                        ;       Child Loop BB302_172 Depth 3
	s_max_u32 s67, s7, 1
.LBB302_172:                            ;   Parent Loop BB302_168 Depth=1
                                        ;     Parent Loop BB302_171 Depth=2
                                        ; =>    This Inner Loop Header: Depth=3
	s_add_i32 s67, s67, -1
	s_cmp_eq_u32 s67, 0
	s_sleep 1
	s_cbranch_scc0 .LBB302_172
; %bb.173:                              ;   in Loop: Header=BB302_171 Depth=2
	global_load_dwordx2 v[8:9], v[10:11], off glc
	s_cmp_lt_u32 s7, 32
	s_cselect_b64 s[74:75], -1, 0
	s_cmp_lg_u64 s[74:75], 0
	s_addc_u32 s7, s7, 0
	s_waitcnt vmcnt(0)
	v_cmp_ne_u16_sdwa s[74:75], v9, v5 src0_sel:BYTE_0 src1_sel:DWORD
	s_or_b64 s[72:73], s[74:75], s[72:73]
	s_andn2_b64 exec, exec, s[72:73]
	s_cbranch_execnz .LBB302_171
; %bb.174:                              ;   in Loop: Header=BB302_168 Depth=1
	s_or_b64 exec, exec, s[72:73]
.LBB302_175:                            ;   in Loop: Header=BB302_168 Depth=1
	s_or_b64 exec, exec, s[62:63]
	v_cmp_eq_u16_sdwa s[62:63], v9, v52 src0_sel:BYTE_0 src1_sel:DWORD
	v_and_b32_e32 v10, s63, v7
	s_waitcnt lgkmcnt(0)
	v_and_b32_e32 v55, 0xffffff, v8
	v_or_b32_e32 v10, 0x80000000, v10
	ds_bpermute_b32 v56, v39, v55
	v_and_b32_e32 v11, s62, v6
	v_ffbl_b32_e32 v10, v10
	v_add_u32_e32 v10, 32, v10
	v_ffbl_b32_e32 v11, v11
	v_min_u32_e32 v10, v11, v10
	v_lshrrev_b32_e32 v11, 16, v8
	v_cmp_lt_u32_e32 vcc, v3, v10
	v_bfe_u32 v54, v8, 16, 8
	s_and_saveexec_b64 s[62:63], vcc
	s_cbranch_execz .LBB302_177
; %bb.176:                              ;   in Loop: Header=BB302_168 Depth=1
	v_and_b32_e32 v11, 0xff0000, v8
	v_cmp_eq_u32_e32 vcc, 0, v11
	v_and_b32_e32 v11, 0x10000, v11
	s_waitcnt lgkmcnt(0)
	v_cndmask_b32_e32 v54, 1, v56, vcc
	v_and_b32_sdwa v55, v56, v53 dst_sel:DWORD dst_unused:UNUSED_PAD src0_sel:WORD_1 src1_sel:DWORD
	v_cmp_ne_u32_e32 vcc, 0, v11
	v_cndmask_b32_e64 v11, v55, 1, vcc
	v_mul_lo_u16_e32 v57, v54, v8
	v_lshlrev_b32_e32 v55, 16, v11
	v_mul_lo_u16_e32 v8, v54, v8
	v_or_b32_e32 v55, v55, v8
	v_mov_b32_e32 v8, v57
	v_mov_b32_e32 v54, v11
.LBB302_177:                            ;   in Loop: Header=BB302_168 Depth=1
	s_or_b64 exec, exec, s[62:63]
	s_waitcnt lgkmcnt(0)
	ds_bpermute_b32 v56, v40, v55
	v_cmp_le_u32_e32 vcc, v41, v10
	s_and_saveexec_b64 s[62:63], vcc
	s_cbranch_execz .LBB302_179
; %bb.178:                              ;   in Loop: Header=BB302_168 Depth=1
	v_cmp_eq_u16_e32 vcc, 0, v54
	v_and_b32_e32 v11, 1, v54
	s_waitcnt lgkmcnt(0)
	v_cndmask_b32_e32 v55, 1, v56, vcc
	v_and_b32_sdwa v54, v56, v53 dst_sel:DWORD dst_unused:UNUSED_PAD src0_sel:WORD_1 src1_sel:DWORD
	v_cmp_eq_u32_e32 vcc, 1, v11
	v_cndmask_b32_e64 v11, v54, 1, vcc
	v_mul_lo_u16_e32 v57, v55, v8
	v_lshlrev_b32_e32 v54, 16, v11
	v_mul_lo_u16_e32 v8, v55, v8
	v_or_b32_e32 v55, v54, v8
	v_mov_b32_e32 v8, v57
	v_mov_b32_e32 v54, v11
.LBB302_179:                            ;   in Loop: Header=BB302_168 Depth=1
	s_or_b64 exec, exec, s[62:63]
	s_waitcnt lgkmcnt(0)
	ds_bpermute_b32 v56, v42, v55
	v_cmp_le_u32_e32 vcc, v43, v10
	s_and_saveexec_b64 s[62:63], vcc
	s_cbranch_execz .LBB302_181
; %bb.180:                              ;   in Loop: Header=BB302_168 Depth=1
	v_cmp_eq_u16_e32 vcc, 0, v54
	v_and_b32_e32 v11, 1, v54
	s_waitcnt lgkmcnt(0)
	v_cndmask_b32_e32 v55, 1, v56, vcc
	v_and_b32_sdwa v54, v56, v53 dst_sel:DWORD dst_unused:UNUSED_PAD src0_sel:WORD_1 src1_sel:DWORD
	v_cmp_eq_u32_e32 vcc, 1, v11
	v_cndmask_b32_e64 v11, v54, 1, vcc
	v_mul_lo_u16_e32 v57, v55, v8
	v_lshlrev_b32_e32 v54, 16, v11
	v_mul_lo_u16_e32 v8, v55, v8
	v_or_b32_e32 v55, v54, v8
	v_mov_b32_e32 v8, v57
	v_mov_b32_e32 v54, v11
.LBB302_181:                            ;   in Loop: Header=BB302_168 Depth=1
	;; [unrolled: 21-line block ×4, first 2 shown]
	s_or_b64 exec, exec, s[62:63]
	ds_bpermute_b32 v55, v49, v55
	v_cmp_le_u32_e32 vcc, v50, v10
	s_and_saveexec_b64 s[62:63], vcc
	s_cbranch_execz .LBB302_167
; %bb.186:                              ;   in Loop: Header=BB302_168 Depth=1
	v_cmp_eq_u16_e32 vcc, 0, v54
	s_waitcnt lgkmcnt(0)
	v_cndmask_b32_e32 v10, 1, v55, vcc
	v_mul_lo_u16_e32 v8, v10, v8
	v_and_b32_e32 v10, 1, v54
	v_lshrrev_b32_e32 v11, 16, v55
	v_cmp_eq_u32_e32 vcc, 1, v10
	v_cndmask_b32_e64 v11, v11, 1, vcc
	s_branch .LBB302_167
.LBB302_187:                            ;   in Loop: Header=BB302_168 Depth=1
                                        ; implicit-def: $vgpr10
                                        ; implicit-def: $vgpr8
	s_cbranch_execz .LBB302_168
; %bb.188:
	s_and_saveexec_b64 s[62:63], s[50:51]
	s_cbranch_execz .LBB302_190
; %bb.189:
	v_and_b32_e32 v3, 0xff0000, v2
	s_mov_b32 s7, 0
	v_cmp_eq_u32_e32 vcc, 0, v3
	v_and_b32_e32 v4, 0x10000, v2
	v_mov_b32_e32 v5, 1
	s_add_i32 s6, s6, 64
	v_cndmask_b32_e32 v3, 1, v51, vcc
	v_and_b32_sdwa v5, v48, v5 dst_sel:WORD_1 dst_unused:UNUSED_PAD src0_sel:DWORD src1_sel:DWORD
	v_mov_b32_e32 v6, 0x10000
	v_cmp_eq_u32_e32 vcc, 0, v4
	s_lshl_b64 s[6:7], s[6:7], 3
	v_cndmask_b32_e32 v4, v6, v5, vcc
	s_add_u32 s6, s64, s6
	v_mul_lo_u16_e32 v2, v3, v2
	s_addc_u32 s7, s65, s7
	v_mov_b32_e32 v5, 0
	v_or_b32_e32 v2, v4, v2
	v_mov_b32_e32 v3, 2
	global_store_dwordx2 v5, v[2:3], s[6:7]
.LBB302_190:
	s_or_b64 exec, exec, s[62:63]
	s_and_b64 exec, exec, s[48:49]
	s_cbranch_execz .LBB302_192
; %bb.191:
	v_mov_b32_e32 v2, 0
	ds_write_b16 v2, v51
	ds_write_b8 v2, v48 offset:2
.LBB302_192:
	s_or_b64 exec, exec, s[56:57]
	v_mov_b32_e32 v2, 0
	s_waitcnt lgkmcnt(0)
	s_barrier
	ds_read_b32 v3, v2
	v_mov_b32_e32 v4, v1
	s_and_saveexec_b64 s[6:7], s[46:47]
; %bb.193:
	v_and_b32_e32 v4, 0x10000, v1
	v_and_b32_e32 v5, 1, v38
	v_cmp_ne_u32_e32 vcc, 0, v4
	s_mov_b32 s46, 0x10000
	v_cndmask_b32_e64 v36, v5, 1, vcc
	v_cmp_gt_u32_e32 vcc, s46, v1
	v_cndmask_b32_e32 v4, 1, v37, vcc
	v_mul_lo_u16_e32 v4, v4, v1
; %bb.194:
	s_or_b64 exec, exec, s[6:7]
	v_cmp_eq_u16_sdwa vcc, v36, v2 src0_sel:BYTE_0 src1_sel:DWORD
	s_waitcnt lgkmcnt(0)
	v_cndmask_b32_e32 v2, 1, v3, vcc
	v_mul_lo_u16_e32 v49, v2, v4
	v_cndmask_b32_e64 v2, 1, v49, s[2:3]
	v_mul_lo_u16_e32 v4, v2, v16
	v_cndmask_b32_e64 v2, 1, v4, s[4:5]
	;; [unrolled: 2-line block ×21, first 2 shown]
	v_mul_lo_u16_e32 v48, v2, v13
	s_branch .LBB302_217
.LBB302_195:
                                        ; implicit-def: $vgpr49
                                        ; implicit-def: $vgpr4
                                        ; implicit-def: $vgpr5
                                        ; implicit-def: $vgpr6
                                        ; implicit-def: $vgpr7
                                        ; implicit-def: $vgpr8
                                        ; implicit-def: $vgpr9
                                        ; implicit-def: $vgpr10
                                        ; implicit-def: $vgpr11
                                        ; implicit-def: $vgpr36
                                        ; implicit-def: $vgpr37
                                        ; implicit-def: $vgpr38
                                        ; implicit-def: $vgpr39
                                        ; implicit-def: $vgpr40
                                        ; implicit-def: $vgpr41
                                        ; implicit-def: $vgpr42
                                        ; implicit-def: $vgpr43
                                        ; implicit-def: $vgpr44
                                        ; implicit-def: $vgpr45
                                        ; implicit-def: $vgpr46
                                        ; implicit-def: $vgpr47
                                        ; implicit-def: $vgpr48
	s_cbranch_execz .LBB302_217
; %bb.196:
	s_cmp_lg_u64 s[70:71], 0
	s_cselect_b32 s5, s59, 0
	s_cselect_b32 s4, s58, 0
	s_cmp_lg_u64 s[4:5], 0
	s_cselect_b64 s[6:7], -1, 0
	v_cmp_eq_u32_e32 vcc, 0, v0
	v_cmp_ne_u32_e64 s[2:3], 0, v0
	s_and_b64 s[8:9], vcc, s[6:7]
	s_and_saveexec_b64 s[6:7], s[8:9]
	s_cbranch_execz .LBB302_198
; %bb.197:
	v_mov_b32_e32 v2, 0
	global_load_ushort v3, v2, s[4:5]
	global_load_ubyte v4, v2, s[4:5] offset:2
	s_mov_b32 s4, 0x10000
	v_and_b32_e32 v2, 0x10000, v1
	v_mov_b32_e32 v5, 1
	v_cmp_gt_u32_e64 s[4:5], s4, v1
	v_mov_b32_e32 v6, 0x10000
	s_waitcnt vmcnt(1)
	v_cndmask_b32_e64 v3, 1, v3, s[4:5]
	s_waitcnt vmcnt(0)
	v_and_b32_sdwa v4, v4, v5 dst_sel:WORD_1 dst_unused:UNUSED_PAD src0_sel:DWORD src1_sel:DWORD
	v_cmp_eq_u32_e64 s[4:5], 0, v2
	v_mul_lo_u16_e32 v1, v3, v1
	v_cndmask_b32_e64 v2, v6, v4, s[4:5]
	v_or_b32_e32 v1, v2, v1
.LBB302_198:
	s_or_b64 exec, exec, s[6:7]
	s_mov_b32 s46, 0x10000
	v_cmp_gt_u32_e64 s[4:5], s46, v16
	v_cndmask_b32_e64 v3, 1, v1, s[4:5]
	v_mul_lo_u16_e32 v4, v3, v16
	v_cmp_gt_u32_e64 s[6:7], s46, v17
	v_cndmask_b32_e64 v3, 1, v4, s[6:7]
	v_mul_lo_u16_e32 v5, v3, v17
	;; [unrolled: 3-line block ×21, first 2 shown]
	v_or3_b32 v3, v15, v31, v30
	v_or3_b32 v3, v3, v29, v28
	;; [unrolled: 1-line block ×8, first 2 shown]
	v_and_b32_e32 v3, 0x10000, v3
	v_lshrrev_b32_e32 v2, 16, v1
	v_cmp_ne_u32_e64 s[48:49], 0, v3
	v_mov_b32_e32 v49, 0x10000
	v_cndmask_b32_e64 v3, v2, 1, s[48:49]
	v_add_lshl_u32 v2, v14, v0, 2
	v_cmp_gt_u32_e64 s[48:49], 64, v0
	ds_write_b16 v2, v48
	ds_write_b8 v2, v3 offset:2
	s_waitcnt lgkmcnt(0)
	s_barrier
	s_and_saveexec_b64 s[50:51], s[48:49]
	s_cbranch_execz .LBB302_212
; %bb.199:
	v_lshlrev_b32_e32 v2, 2, v0
	v_lshrrev_b32_e32 v14, 3, v0
	v_add_lshl_u32 v2, v14, v2, 2
	ds_read_b32 v14, v2
	ds_read_u16 v15, v2 offset:4
	ds_read_u8 v50, v2 offset:6
	ds_read_u16 v51, v2 offset:8
	ds_read_u8 v52, v2 offset:10
	;; [unrolled: 2-line block ×3, first 2 shown]
	v_mov_b32_e32 v55, 0
	s_waitcnt lgkmcnt(4)
	v_cmp_eq_u16_sdwa s[48:49], v50, v55 src0_sel:BYTE_0 src1_sel:DWORD
	v_cndmask_b32_e64 v56, 1, v14, s[48:49]
	v_mul_lo_u16_e32 v56, v56, v15
	s_waitcnt lgkmcnt(2)
	v_cmp_eq_u16_sdwa s[48:49], v52, v55 src0_sel:BYTE_0 src1_sel:DWORD
	s_waitcnt lgkmcnt(0)
	v_or_b32_e32 v52, v54, v52
	v_cndmask_b32_e64 v55, 1, v56, s[48:49]
	v_or_b32_e32 v50, v52, v50
	v_mul_lo_u16_e32 v51, v55, v51
	v_cmp_eq_u16_e64 s[48:49], 0, v54
	v_and_b32_e32 v50, 1, v50
	v_and_b32_e32 v15, 0x10000, v14
	v_cndmask_b32_e64 v55, 1, v51, s[48:49]
	v_cmp_eq_u32_e64 s[48:49], 1, v50
	v_mbcnt_lo_u32_b32 v50, -1, 0
	v_mul_lo_u16_e32 v51, v55, v53
	v_cndmask_b32_e64 v56, v15, v49, s[48:49]
	v_mul_lo_u16_e32 v53, v55, v53
	v_and_b32_e32 v49, 0xff000000, v14
	v_mbcnt_hi_u32_b32 v50, -1, v50
	v_or_b32_e32 v54, v56, v49
	v_and_b32_e32 v55, 15, v50
	v_or3_b32 v53, v49, v53, v56
	s_movk_i32 s56, 0xff
	v_lshrrev_b32_e32 v52, 16, v54
	v_mov_b32_dpp v56, v53 row_shr:1 row_mask:0xf bank_mask:0xf
	v_cmp_ne_u32_e64 s[48:49], 0, v55
	s_and_saveexec_b64 s[52:53], s[48:49]
	s_cbranch_execz .LBB302_201
; %bb.200:
	v_and_b32_sdwa v52, v54, s56 dst_sel:DWORD dst_unused:UNUSED_PAD src0_sel:WORD_1 src1_sel:DWORD
	v_cmp_eq_u16_e64 s[48:49], 0, v52
	v_and_b32_e32 v52, 0x10000, v54
	v_mov_b32_e32 v54, 1
	v_cndmask_b32_e64 v53, 1, v56, s[48:49]
	v_and_b32_sdwa v54, v56, v54 dst_sel:DWORD dst_unused:UNUSED_PAD src0_sel:WORD_1 src1_sel:DWORD
	v_cmp_ne_u32_e64 s[48:49], 0, v52
	v_cndmask_b32_e64 v52, v54, 1, s[48:49]
	v_mul_lo_u16_e32 v57, v53, v51
	v_lshlrev_b32_e32 v54, 16, v52
	v_mul_lo_u16_e32 v51, v53, v51
	v_or3_b32 v53, v54, v51, v49
	v_mov_b32_e32 v51, v57
.LBB302_201:
	s_or_b64 exec, exec, s[52:53]
	v_lshrrev_b32_e32 v54, 16, v53
	v_mov_b32_dpp v56, v53 row_shr:2 row_mask:0xf bank_mask:0xf
	v_cmp_lt_u32_e64 s[48:49], 1, v55
	s_and_saveexec_b64 s[52:53], s[48:49]
	s_cbranch_execz .LBB302_203
; %bb.202:
	v_mov_b32_e32 v52, 0
	v_cmp_eq_u16_sdwa s[48:49], v54, v52 src0_sel:BYTE_0 src1_sel:DWORD
	v_and_b32_e32 v52, 0x10000, v53
	v_mov_b32_e32 v53, 1
	v_cndmask_b32_e64 v54, 1, v56, s[48:49]
	v_and_b32_sdwa v53, v56, v53 dst_sel:DWORD dst_unused:UNUSED_PAD src0_sel:WORD_1 src1_sel:DWORD
	v_cmp_ne_u32_e64 s[48:49], 0, v52
	v_cndmask_b32_e64 v52, v53, 1, s[48:49]
	v_mul_lo_u16_e32 v57, v54, v51
	v_lshlrev_b32_e32 v53, 16, v52
	v_mul_lo_u16_e32 v51, v54, v51
	v_or3_b32 v53, v53, v51, v49
	v_mov_b32_e32 v54, v52
	v_mov_b32_e32 v51, v57
.LBB302_203:
	s_or_b64 exec, exec, s[52:53]
	v_mov_b32_dpp v56, v53 row_shr:4 row_mask:0xf bank_mask:0xf
	v_cmp_lt_u32_e64 s[48:49], 3, v55
	s_and_saveexec_b64 s[52:53], s[48:49]
	s_cbranch_execz .LBB302_205
; %bb.204:
	v_mov_b32_e32 v52, 0
	v_cmp_eq_u16_sdwa s[48:49], v54, v52 src0_sel:BYTE_0 src1_sel:DWORD
	v_and_b32_e32 v52, 1, v54
	v_mov_b32_e32 v54, 1
	v_cndmask_b32_e64 v53, 1, v56, s[48:49]
	v_and_b32_sdwa v54, v56, v54 dst_sel:DWORD dst_unused:UNUSED_PAD src0_sel:WORD_1 src1_sel:DWORD
	v_cmp_eq_u32_e64 s[48:49], 1, v52
	v_cndmask_b32_e64 v52, v54, 1, s[48:49]
	v_mul_lo_u16_e32 v57, v53, v51
	v_lshlrev_b32_e32 v54, 16, v52
	v_mul_lo_u16_e32 v51, v53, v51
	v_or3_b32 v53, v54, v51, v49
	v_mov_b32_e32 v54, v52
	v_mov_b32_e32 v51, v57
.LBB302_205:
	s_or_b64 exec, exec, s[52:53]
	v_mov_b32_dpp v56, v53 row_shr:8 row_mask:0xf bank_mask:0xf
	v_cmp_lt_u32_e64 s[48:49], 7, v55
	s_and_saveexec_b64 s[52:53], s[48:49]
	s_cbranch_execz .LBB302_207
; %bb.206:
	v_mov_b32_e32 v52, 0
	v_cmp_eq_u16_sdwa s[48:49], v54, v52 src0_sel:BYTE_0 src1_sel:DWORD
	v_and_b32_e32 v52, 1, v54
	v_mov_b32_e32 v54, 1
	v_cndmask_b32_e64 v53, 1, v56, s[48:49]
	v_and_b32_sdwa v54, v56, v54 dst_sel:DWORD dst_unused:UNUSED_PAD src0_sel:WORD_1 src1_sel:DWORD
	v_cmp_eq_u32_e64 s[48:49], 1, v52
	v_cndmask_b32_e64 v52, v54, 1, s[48:49]
	v_mul_lo_u16_e32 v55, v53, v51
	v_lshlrev_b32_e32 v54, 16, v52
	v_mul_lo_u16_e32 v51, v53, v51
	v_or3_b32 v53, v54, v51, v49
	v_mov_b32_e32 v54, v52
	v_mov_b32_e32 v51, v55
.LBB302_207:
	s_or_b64 exec, exec, s[52:53]
	v_and_b32_e32 v56, 16, v50
	v_mov_b32_dpp v55, v53 row_bcast:15 row_mask:0xf bank_mask:0xf
	v_cmp_ne_u32_e64 s[48:49], 0, v56
	s_and_saveexec_b64 s[52:53], s[48:49]
	s_cbranch_execz .LBB302_209
; %bb.208:
	v_mov_b32_e32 v52, 0
	v_cmp_eq_u16_sdwa s[48:49], v54, v52 src0_sel:BYTE_0 src1_sel:DWORD
	v_and_b32_e32 v52, 1, v54
	v_mov_b32_e32 v54, 1
	v_cndmask_b32_e64 v53, 1, v55, s[48:49]
	v_and_b32_sdwa v54, v55, v54 dst_sel:DWORD dst_unused:UNUSED_PAD src0_sel:WORD_1 src1_sel:DWORD
	v_cmp_eq_u32_e64 s[48:49], 1, v52
	v_cndmask_b32_e64 v52, v54, 1, s[48:49]
	v_mul_lo_u16_e32 v56, v53, v51
	v_lshlrev_b32_e32 v54, 16, v52
	v_mul_lo_u16_e32 v51, v53, v51
	v_or3_b32 v53, v54, v51, v49
	v_mov_b32_e32 v54, v52
	v_mov_b32_e32 v51, v56
.LBB302_209:
	s_or_b64 exec, exec, s[52:53]
	v_mov_b32_dpp v53, v53 row_bcast:31 row_mask:0xf bank_mask:0xf
	v_cmp_lt_u32_e64 s[48:49], 31, v50
	s_and_saveexec_b64 s[52:53], s[48:49]
; %bb.210:
	v_mov_b32_e32 v52, 0
	v_cmp_eq_u16_sdwa s[48:49], v54, v52 src0_sel:BYTE_0 src1_sel:DWORD
	v_cndmask_b32_e64 v52, 1, v53, s[48:49]
	v_mul_lo_u16_e32 v51, v52, v51
	v_and_b32_e32 v52, 1, v54
	v_mov_b32_e32 v54, 1
	v_and_b32_sdwa v53, v53, v54 dst_sel:DWORD dst_unused:UNUSED_PAD src0_sel:WORD_1 src1_sel:DWORD
	v_cmp_eq_u32_e64 s[48:49], 1, v52
	v_cndmask_b32_e64 v52, v53, 1, s[48:49]
; %bb.211:
	s_or_b64 exec, exec, s[52:53]
	v_and_b32_e32 v52, 0xff, v52
	v_lshlrev_b32_e32 v52, 16, v52
	v_and_b32_e32 v51, 0xffff, v51
	v_or3_b32 v49, v52, v51, v49
	v_add_u32_e32 v51, -1, v50
	v_and_b32_e32 v52, 64, v50
	v_cmp_lt_i32_e64 s[48:49], v51, v52
	v_cndmask_b32_e64 v50, v51, v50, s[48:49]
	v_lshlrev_b32_e32 v50, 2, v50
	ds_bpermute_b32 v49, v50, v49
	v_and_b32_e32 v50, 0xff0000, v14
	v_cmp_eq_u32_e64 s[48:49], 0, v50
	; wave barrier
	s_waitcnt lgkmcnt(0)
	v_cndmask_b32_e64 v50, 1, v49, s[48:49]
	v_mul_lo_u16_e32 v14, v50, v14
	v_mov_b32_e32 v50, 1
	v_and_b32_sdwa v49, v49, v50 dst_sel:DWORD dst_unused:UNUSED_PAD src0_sel:WORD_1 src1_sel:DWORD
	v_cmp_eq_u32_e64 s[48:49], 0, v15
	v_cndmask_b32_e64 v15, 1, v49, s[48:49]
	v_cndmask_b32_e32 v14, v14, v48, vcc
	v_cndmask_b32_e32 v3, v15, v3, vcc
	ds_write_b16 v2, v14
	ds_write_b8 v2, v3 offset:2
	; wave barrier
	ds_read_u16 v15, v2 offset:4
	ds_read_u8 v49, v2 offset:6
	ds_read_u16 v50, v2 offset:8
	ds_read_u8 v51, v2 offset:10
	;; [unrolled: 2-line block ×3, first 2 shown]
	s_waitcnt lgkmcnt(4)
	v_cmp_eq_u16_e64 s[48:49], 0, v49
	v_cndmask_b32_e64 v14, 1, v14, s[48:49]
	v_mul_lo_u16_e32 v14, v14, v15
	v_and_b32_e32 v15, 1, v49
	v_cmp_eq_u32_e64 s[48:49], 1, v15
	v_cndmask_b32_e64 v3, v3, 1, s[48:49]
	s_waitcnt lgkmcnt(2)
	v_cmp_eq_u16_e64 s[48:49], 0, v51
	v_and_b32_e32 v15, 1, v51
	ds_write_b16 v2, v14 offset:4
	ds_write_b8 v2, v3 offset:6
	v_cndmask_b32_e64 v14, 1, v14, s[48:49]
	v_cmp_eq_u32_e64 s[48:49], 1, v15
	v_mul_lo_u16_e32 v14, v14, v50
	v_cndmask_b32_e64 v3, v3, 1, s[48:49]
	s_waitcnt lgkmcnt(2)
	v_cmp_eq_u16_e64 s[48:49], 0, v53
	ds_write_b16 v2, v14 offset:8
	ds_write_b8 v2, v3 offset:10
	v_cndmask_b32_e64 v14, 1, v14, s[48:49]
	v_and_b32_e32 v15, 1, v53
	v_mul_lo_u16_e32 v14, v14, v52
	v_cmp_eq_u32_e64 s[48:49], 1, v15
	v_cndmask_b32_e64 v3, v3, 1, s[48:49]
	ds_write_b16 v2, v14 offset:12
	ds_write_b8 v2, v3 offset:14
.LBB302_212:
	s_or_b64 exec, exec, s[50:51]
	v_mov_b32_e32 v2, v48
	s_waitcnt lgkmcnt(0)
	s_barrier
	s_and_saveexec_b64 s[48:49], s[2:3]
	s_cbranch_execnz .LBB302_287
; %bb.213:
	s_or_b64 exec, exec, s[48:49]
	s_and_saveexec_b64 s[48:49], s[2:3]
	s_cbranch_execnz .LBB302_288
.LBB302_214:
	s_or_b64 exec, exec, s[48:49]
	s_and_saveexec_b64 s[2:3], vcc
	s_cbranch_execz .LBB302_216
.LBB302_215:
	v_mov_b32_e32 v13, 0
	s_waitcnt lgkmcnt(0)
	ds_read_u8 v2, v13 offset:1050
	ds_read_u16 v3, v13 offset:1048
	s_waitcnt lgkmcnt(1)
	v_lshlrev_b32_e32 v2, 16, v2
	s_waitcnt lgkmcnt(0)
	v_or_b32_e32 v2, v2, v3
	v_mov_b32_e32 v3, 2
	global_store_dwordx2 v13, v[2:3], s[64:65] offset:512
.LBB302_216:
	s_or_b64 exec, exec, s[2:3]
	v_mov_b32_e32 v49, v1
.LBB302_217:
	s_add_u32 s2, s54, s68
	s_addc_u32 s3, s55, s69
	s_add_u32 s4, s2, s60
	s_addc_u32 s5, s3, s61
	s_and_b64 vcc, exec, s[0:1]
	v_mul_u32_u24_e32 v14, 22, v0
	s_cbranch_vccz .LBB302_261
; %bb.218:
	s_mov_b32 s0, 0x5040100
	v_lshlrev_b32_e32 v33, 1, v14
	v_perm_b32 v1, v6, v5, s0
	s_waitcnt lgkmcnt(0)
	v_perm_b32 v2, v4, v49, s0
	s_barrier
	ds_write2_b32 v33, v2, v1 offset1:1
	v_perm_b32 v1, v10, v9, s0
	v_perm_b32 v2, v8, v7, s0
	ds_write2_b32 v33, v2, v1 offset0:2 offset1:3
	v_perm_b32 v1, v38, v37, s0
	v_perm_b32 v2, v36, v11, s0
	ds_write2_b32 v33, v2, v1 offset0:4 offset1:5
	;; [unrolled: 3-line block ×4, first 2 shown]
	v_perm_b32 v1, v48, v47, s0
	s_movk_i32 s0, 0xffd6
	v_mad_i32_i24 v2, v0, s0, v33
	ds_write_b32 v33, v1 offset:40
	s_waitcnt lgkmcnt(0)
	s_barrier
	ds_read_u16 v35, v2 offset:512
	ds_read_u16 v34, v2 offset:1024
	;; [unrolled: 1-line block ×21, first 2 shown]
	v_mov_b32_e32 v3, s5
	v_add_co_u32_e32 v2, vcc, s4, v12
	s_add_i32 s33, s33, s66
	v_addc_co_u32_e32 v3, vcc, 0, v3, vcc
	v_mov_b32_e32 v1, 0
	v_cmp_gt_u32_e32 vcc, s33, v0
	s_and_saveexec_b64 s[0:1], vcc
	s_cbranch_execz .LBB302_220
; %bb.219:
	v_mul_i32_i24_e32 v50, 0xffffffd6, v0
	v_add_u32_e32 v33, v33, v50
	ds_read_u16 v33, v33
	s_waitcnt lgkmcnt(0)
	flat_store_short v[2:3], v33
.LBB302_220:
	s_or_b64 exec, exec, s[0:1]
	v_or_b32_e32 v33, 0x100, v0
	v_cmp_gt_u32_e32 vcc, s33, v33
	s_and_saveexec_b64 s[0:1], vcc
	s_cbranch_execz .LBB302_222
; %bb.221:
	s_waitcnt lgkmcnt(0)
	flat_store_short v[2:3], v35 offset:512
.LBB302_222:
	s_or_b64 exec, exec, s[0:1]
	v_or_b32_e32 v33, 0x200, v0
	v_cmp_gt_u32_e32 vcc, s33, v33
	s_and_saveexec_b64 s[0:1], vcc
	s_cbranch_execz .LBB302_224
; %bb.223:
	s_waitcnt lgkmcnt(0)
	flat_store_short v[2:3], v34 offset:1024
.LBB302_224:
	s_or_b64 exec, exec, s[0:1]
	v_or_b32_e32 v33, 0x300, v0
	v_cmp_gt_u32_e32 vcc, s33, v33
	s_and_saveexec_b64 s[0:1], vcc
	s_cbranch_execz .LBB302_226
; %bb.225:
	s_waitcnt lgkmcnt(0)
	flat_store_short v[2:3], v32 offset:1536
.LBB302_226:
	s_or_b64 exec, exec, s[0:1]
	s_waitcnt lgkmcnt(0)
	v_or_b32_e32 v32, 0x400, v0
	v_cmp_gt_u32_e32 vcc, s33, v32
	s_and_saveexec_b64 s[0:1], vcc
	s_cbranch_execz .LBB302_228
; %bb.227:
	flat_store_short v[2:3], v31 offset:2048
.LBB302_228:
	s_or_b64 exec, exec, s[0:1]
	v_or_b32_e32 v31, 0x500, v0
	v_cmp_gt_u32_e32 vcc, s33, v31
	s_and_saveexec_b64 s[0:1], vcc
	s_cbranch_execz .LBB302_230
; %bb.229:
	flat_store_short v[2:3], v30 offset:2560
.LBB302_230:
	s_or_b64 exec, exec, s[0:1]
	;; [unrolled: 8-line block ×4, first 2 shown]
	v_or_b32_e32 v28, 0x800, v0
	v_cmp_gt_u32_e32 vcc, s33, v28
	s_and_saveexec_b64 s[0:1], vcc
	s_cbranch_execz .LBB302_236
; %bb.235:
	v_add_co_u32_e32 v28, vcc, 0x1000, v2
	v_addc_co_u32_e32 v29, vcc, 0, v3, vcc
	flat_store_short v[28:29], v27
.LBB302_236:
	s_or_b64 exec, exec, s[0:1]
	v_or_b32_e32 v27, 0x900, v0
	v_cmp_gt_u32_e32 vcc, s33, v27
	s_and_saveexec_b64 s[0:1], vcc
	s_cbranch_execz .LBB302_238
; %bb.237:
	v_add_co_u32_e32 v28, vcc, 0x1000, v2
	v_addc_co_u32_e32 v29, vcc, 0, v3, vcc
	flat_store_short v[28:29], v26 offset:512
.LBB302_238:
	s_or_b64 exec, exec, s[0:1]
	v_or_b32_e32 v26, 0xa00, v0
	v_cmp_gt_u32_e32 vcc, s33, v26
	s_and_saveexec_b64 s[0:1], vcc
	s_cbranch_execz .LBB302_240
; %bb.239:
	v_add_co_u32_e32 v26, vcc, 0x1000, v2
	v_addc_co_u32_e32 v27, vcc, 0, v3, vcc
	flat_store_short v[26:27], v25 offset:1024
.LBB302_240:
	;; [unrolled: 10-line block ×7, first 2 shown]
	s_or_b64 exec, exec, s[0:1]
	v_or_b32_e32 v20, 0x1000, v0
	v_cmp_gt_u32_e32 vcc, s33, v20
	s_and_saveexec_b64 s[0:1], vcc
	s_cbranch_execz .LBB302_252
; %bb.251:
	v_add_co_u32_e32 v20, vcc, 0x2000, v2
	v_addc_co_u32_e32 v21, vcc, 0, v3, vcc
	flat_store_short v[20:21], v19
.LBB302_252:
	s_or_b64 exec, exec, s[0:1]
	v_or_b32_e32 v19, 0x1100, v0
	v_cmp_gt_u32_e32 vcc, s33, v19
	s_and_saveexec_b64 s[0:1], vcc
	s_cbranch_execz .LBB302_254
; %bb.253:
	v_add_co_u32_e32 v20, vcc, 0x2000, v2
	v_addc_co_u32_e32 v21, vcc, 0, v3, vcc
	flat_store_short v[20:21], v18 offset:512
.LBB302_254:
	s_or_b64 exec, exec, s[0:1]
	v_or_b32_e32 v18, 0x1200, v0
	v_cmp_gt_u32_e32 vcc, s33, v18
	s_and_saveexec_b64 s[0:1], vcc
	s_cbranch_execz .LBB302_256
; %bb.255:
	v_add_co_u32_e32 v18, vcc, 0x2000, v2
	v_addc_co_u32_e32 v19, vcc, 0, v3, vcc
	flat_store_short v[18:19], v17 offset:1024
.LBB302_256:
	;; [unrolled: 10-line block ×4, first 2 shown]
	s_or_b64 exec, exec, s[0:1]
	v_or_b32_e32 v2, 0x1500, v0
	v_cmp_gt_u32_e64 s[0:1], s33, v2
	s_branch .LBB302_263
.LBB302_261:
	s_mov_b64 s[0:1], 0
                                        ; implicit-def: $vgpr13
	s_cbranch_execz .LBB302_263
; %bb.262:
	s_mov_b32 s2, 0x5040100
	s_waitcnt lgkmcnt(0)
	v_lshlrev_b32_e32 v2, 1, v14
	v_perm_b32 v1, v6, v5, s2
	v_perm_b32 v3, v4, v49, s2
	s_barrier
	ds_write2_b32 v2, v3, v1 offset1:1
	v_perm_b32 v1, v10, v9, s2
	v_perm_b32 v3, v8, v7, s2
	ds_write2_b32 v2, v3, v1 offset0:2 offset1:3
	v_perm_b32 v1, v38, v37, s2
	v_perm_b32 v3, v36, v11, s2
	ds_write2_b32 v2, v3, v1 offset0:4 offset1:5
	;; [unrolled: 3-line block ×4, first 2 shown]
	v_perm_b32 v1, v48, v47, s2
	s_movk_i32 s2, 0xffd6
	ds_write_b32 v2, v1 offset:40
	v_mad_i32_i24 v2, v0, s2, v2
	s_waitcnt lgkmcnt(0)
	s_barrier
	ds_read_u16 v4, v2
	ds_read_u16 v5, v2 offset:512
	ds_read_u16 v6, v2 offset:1024
	;; [unrolled: 1-line block ×21, first 2 shown]
	v_mov_b32_e32 v3, s5
	v_add_co_u32_e32 v2, vcc, s4, v12
	v_addc_co_u32_e32 v3, vcc, 0, v3, vcc
	s_movk_i32 s2, 0x1000
	s_waitcnt lgkmcnt(0)
	flat_store_short v[2:3], v4
	flat_store_short v[2:3], v5 offset:512
	flat_store_short v[2:3], v6 offset:1024
	flat_store_short v[2:3], v7 offset:1536
	flat_store_short v[2:3], v8 offset:2048
	flat_store_short v[2:3], v9 offset:2560
	flat_store_short v[2:3], v10 offset:3072
	flat_store_short v[2:3], v11 offset:3584
	v_add_co_u32_e32 v4, vcc, s2, v2
	v_addc_co_u32_e32 v5, vcc, 0, v3, vcc
	v_add_co_u32_e32 v2, vcc, 0x2000, v2
	v_mov_b32_e32 v1, 0
	v_addc_co_u32_e32 v3, vcc, 0, v3, vcc
	s_or_b64 s[0:1], s[0:1], exec
	flat_store_short v[4:5], v14
	flat_store_short v[4:5], v15 offset:512
	flat_store_short v[4:5], v16 offset:1024
	;; [unrolled: 1-line block ×7, first 2 shown]
	flat_store_short v[2:3], v22
	flat_store_short v[2:3], v23 offset:512
	flat_store_short v[2:3], v24 offset:1024
	;; [unrolled: 1-line block ×4, first 2 shown]
.LBB302_263:
	s_and_saveexec_b64 s[2:3], s[0:1]
	s_cbranch_execnz .LBB302_265
; %bb.264:
	s_endpgm
.LBB302_265:
	v_lshlrev_b64 v[0:1], 1, v[0:1]
	s_waitcnt lgkmcnt(0)
	v_mov_b32_e32 v2, s5
	v_add_co_u32_e32 v0, vcc, s4, v0
	v_addc_co_u32_e32 v1, vcc, v2, v1, vcc
	v_add_co_u32_e32 v0, vcc, 0x2000, v0
	v_addc_co_u32_e32 v1, vcc, 0, v1, vcc
	flat_store_short v[0:1], v13 offset:2560
	s_endpgm
.LBB302_266:
	v_mov_b32_e32 v27, s67
	v_add_co_u32_e32 v26, vcc, s7, v18
	v_addc_co_u32_e32 v27, vcc, 0, v27, vcc
	flat_load_ushort v26, v[26:27]
	s_or_b64 exec, exec, s[56:57]
                                        ; implicit-def: $vgpr27
	s_and_saveexec_b64 s[2:3], s[4:5]
	s_cbranch_execz .LBB302_53
.LBB302_267:
	v_mov_b32_e32 v27, s67
	v_add_co_u32_e32 v28, vcc, s7, v18
	v_addc_co_u32_e32 v29, vcc, 0, v27, vcc
	flat_load_ushort v27, v[28:29] offset:512
	s_or_b64 exec, exec, s[2:3]
                                        ; implicit-def: $vgpr28
	s_and_saveexec_b64 s[2:3], s[48:49]
	s_cbranch_execz .LBB302_54
.LBB302_268:
	v_mov_b32_e32 v29, s67
	v_add_co_u32_e32 v28, vcc, s7, v18
	v_addc_co_u32_e32 v29, vcc, 0, v29, vcc
	flat_load_ushort v28, v[28:29] offset:1024
	s_or_b64 exec, exec, s[2:3]
                                        ; implicit-def: $vgpr29
	s_and_saveexec_b64 s[2:3], s[8:9]
	s_cbranch_execz .LBB302_55
.LBB302_269:
	v_mov_b32_e32 v29, s67
	v_add_co_u32_e32 v30, vcc, s7, v18
	v_addc_co_u32_e32 v31, vcc, 0, v29, vcc
	flat_load_ushort v29, v[30:31] offset:1536
	s_or_b64 exec, exec, s[2:3]
                                        ; implicit-def: $vgpr30
	s_and_saveexec_b64 s[2:3], s[10:11]
	s_cbranch_execz .LBB302_56
.LBB302_270:
	v_mov_b32_e32 v31, s67
	v_add_co_u32_e32 v30, vcc, s7, v18
	v_addc_co_u32_e32 v31, vcc, 0, v31, vcc
	flat_load_ushort v30, v[30:31] offset:2048
	s_or_b64 exec, exec, s[2:3]
                                        ; implicit-def: $vgpr31
	s_and_saveexec_b64 s[2:3], s[12:13]
	s_cbranch_execz .LBB302_57
.LBB302_271:
	v_mov_b32_e32 v31, s67
	v_add_co_u32_e32 v32, vcc, s7, v18
	v_addc_co_u32_e32 v33, vcc, 0, v31, vcc
	flat_load_ushort v31, v[32:33] offset:2560
	s_or_b64 exec, exec, s[2:3]
                                        ; implicit-def: $vgpr32
	s_and_saveexec_b64 s[2:3], s[14:15]
	s_cbranch_execz .LBB302_58
.LBB302_272:
	v_mov_b32_e32 v33, s67
	v_add_co_u32_e32 v32, vcc, s7, v18
	v_addc_co_u32_e32 v33, vcc, 0, v33, vcc
	flat_load_ushort v32, v[32:33] offset:3072
	s_or_b64 exec, exec, s[2:3]
                                        ; implicit-def: $vgpr33
	s_and_saveexec_b64 s[2:3], s[16:17]
	s_cbranch_execz .LBB302_59
.LBB302_273:
	v_mov_b32_e32 v33, s67
	v_add_co_u32_e32 v34, vcc, s7, v18
	v_addc_co_u32_e32 v35, vcc, 0, v33, vcc
	flat_load_ushort v33, v[34:35] offset:3584
	s_or_b64 exec, exec, s[2:3]
                                        ; implicit-def: $vgpr34
	s_and_saveexec_b64 s[2:3], s[18:19]
	s_cbranch_execz .LBB302_60
.LBB302_274:
	v_lshlrev_b32_e32 v1, 1, v1
	v_mov_b32_e32 v35, s67
	v_add_co_u32_e32 v34, vcc, s7, v1
	v_addc_co_u32_e32 v35, vcc, 0, v35, vcc
	flat_load_ushort v34, v[34:35]
	s_or_b64 exec, exec, s[2:3]
                                        ; implicit-def: $vgpr1
	s_and_saveexec_b64 s[2:3], s[20:21]
	s_cbranch_execz .LBB302_61
.LBB302_275:
	v_lshlrev_b32_e32 v1, 1, v2
	v_mov_b32_e32 v2, s67
	v_add_co_u32_e32 v42, vcc, s7, v1
	v_addc_co_u32_e32 v43, vcc, 0, v2, vcc
	flat_load_ushort v1, v[42:43]
	s_or_b64 exec, exec, s[2:3]
                                        ; implicit-def: $vgpr2
	s_and_saveexec_b64 s[2:3], s[22:23]
	s_cbranch_execz .LBB302_62
.LBB302_276:
	v_lshlrev_b32_e32 v2, 1, v3
	v_mov_b32_e32 v3, s67
	v_add_co_u32_e32 v2, vcc, s7, v2
	v_addc_co_u32_e32 v3, vcc, 0, v3, vcc
	flat_load_ushort v2, v[2:3]
	s_or_b64 exec, exec, s[2:3]
                                        ; implicit-def: $vgpr3
	s_and_saveexec_b64 s[2:3], s[24:25]
	s_cbranch_execz .LBB302_63
.LBB302_277:
	v_lshlrev_b32_e32 v3, 1, v4
	v_mov_b32_e32 v4, s67
	v_add_co_u32_e32 v42, vcc, s7, v3
	v_addc_co_u32_e32 v43, vcc, 0, v4, vcc
	flat_load_ushort v3, v[42:43]
	s_or_b64 exec, exec, s[2:3]
                                        ; implicit-def: $vgpr4
	s_and_saveexec_b64 s[2:3], s[26:27]
	s_cbranch_execz .LBB302_64
.LBB302_278:
	v_lshlrev_b32_e32 v4, 1, v5
	v_mov_b32_e32 v5, s67
	v_add_co_u32_e32 v4, vcc, s7, v4
	v_addc_co_u32_e32 v5, vcc, 0, v5, vcc
	flat_load_ushort v4, v[4:5]
	s_or_b64 exec, exec, s[2:3]
                                        ; implicit-def: $vgpr5
	s_and_saveexec_b64 s[2:3], s[28:29]
	s_cbranch_execz .LBB302_65
.LBB302_279:
	v_lshlrev_b32_e32 v5, 1, v16
	v_mov_b32_e32 v16, s67
	v_add_co_u32_e32 v42, vcc, s7, v5
	v_addc_co_u32_e32 v43, vcc, 0, v16, vcc
	flat_load_ushort v5, v[42:43]
	s_or_b64 exec, exec, s[2:3]
                                        ; implicit-def: $vgpr16
	s_and_saveexec_b64 s[2:3], s[30:31]
	s_cbranch_execz .LBB302_66
.LBB302_280:
	v_lshlrev_b32_e32 v16, 1, v17
	v_mov_b32_e32 v17, s67
	v_add_co_u32_e32 v16, vcc, s7, v16
	v_addc_co_u32_e32 v17, vcc, 0, v17, vcc
	flat_load_ushort v16, v[16:17]
	s_or_b64 exec, exec, s[2:3]
                                        ; implicit-def: $vgpr17
	s_and_saveexec_b64 s[2:3], s[34:35]
	s_cbranch_execz .LBB302_67
.LBB302_281:
	v_lshlrev_b32_e32 v17, 1, v19
	v_mov_b32_e32 v19, s67
	v_add_co_u32_e32 v42, vcc, s7, v17
	v_addc_co_u32_e32 v43, vcc, 0, v19, vcc
	flat_load_ushort v17, v[42:43]
	s_or_b64 exec, exec, s[2:3]
                                        ; implicit-def: $vgpr19
	s_and_saveexec_b64 s[2:3], s[36:37]
	s_cbranch_execz .LBB302_68
.LBB302_282:
	v_lshlrev_b32_e32 v19, 1, v20
	v_mov_b32_e32 v20, s67
	v_add_co_u32_e32 v42, vcc, s7, v19
	v_addc_co_u32_e32 v43, vcc, 0, v20, vcc
	flat_load_ushort v19, v[42:43]
	s_or_b64 exec, exec, s[2:3]
                                        ; implicit-def: $vgpr20
	s_and_saveexec_b64 s[2:3], s[38:39]
	s_cbranch_execz .LBB302_69
.LBB302_283:
	v_lshlrev_b32_e32 v20, 1, v21
	v_mov_b32_e32 v21, s67
	v_add_co_u32_e32 v20, vcc, s7, v20
	v_addc_co_u32_e32 v21, vcc, 0, v21, vcc
	flat_load_ushort v20, v[20:21]
	s_or_b64 exec, exec, s[2:3]
                                        ; implicit-def: $vgpr21
	s_and_saveexec_b64 s[2:3], s[40:41]
	s_cbranch_execz .LBB302_70
.LBB302_284:
	v_lshlrev_b32_e32 v21, 1, v22
	v_mov_b32_e32 v22, s67
	v_add_co_u32_e32 v42, vcc, s7, v21
	v_addc_co_u32_e32 v43, vcc, 0, v22, vcc
	flat_load_ushort v21, v[42:43]
	s_or_b64 exec, exec, s[2:3]
                                        ; implicit-def: $vgpr22
	s_and_saveexec_b64 s[2:3], s[42:43]
	s_cbranch_execz .LBB302_71
.LBB302_285:
	v_lshlrev_b32_e32 v22, 1, v23
	v_mov_b32_e32 v23, s67
	v_add_co_u32_e32 v22, vcc, s7, v22
	v_addc_co_u32_e32 v23, vcc, 0, v23, vcc
	flat_load_ushort v22, v[22:23]
	s_or_b64 exec, exec, s[2:3]
                                        ; implicit-def: $vgpr23
	s_and_saveexec_b64 s[2:3], s[44:45]
	s_cbranch_execz .LBB302_72
.LBB302_286:
	v_lshlrev_b32_e32 v23, 1, v24
	v_mov_b32_e32 v24, s67
	v_add_co_u32_e32 v42, vcc, s7, v23
	v_addc_co_u32_e32 v43, vcc, 0, v24, vcc
	flat_load_ushort v23, v[42:43]
	s_or_b64 exec, exec, s[2:3]
                                        ; implicit-def: $vgpr24
	s_and_saveexec_b64 s[2:3], s[46:47]
	s_cbranch_execnz .LBB302_73
	s_branch .LBB302_74
.LBB302_287:
	v_add_u32_e32 v2, -1, v0
	v_lshrrev_b32_e32 v3, 5, v2
	v_add_lshl_u32 v2, v3, v2, 2
	ds_read_u16 v2, v2
	s_or_b64 exec, exec, s[48:49]
	s_and_saveexec_b64 s[48:49], s[2:3]
	s_cbranch_execz .LBB302_214
.LBB302_288:
	s_mov_b32 s2, 0x10000
	s_waitcnt lgkmcnt(0)
	v_and_b32_e32 v2, 0xffff, v2
	v_cmp_gt_u32_e64 s[2:3], s2, v1
	v_cndmask_b32_e64 v2, 1, v2, s[2:3]
	v_mul_lo_u32 v1, v2, v1
	v_cndmask_b32_e64 v2, 1, v1, s[4:5]
	v_mul_lo_u16_e32 v4, v2, v16
	v_cndmask_b32_e64 v2, 1, v4, s[6:7]
	v_mul_lo_u16_e32 v5, v2, v17
	;; [unrolled: 2-line block ×21, first 2 shown]
	;;#ASMSTART
	;;#ASMEND
	s_or_b64 exec, exec, s[48:49]
	s_and_saveexec_b64 s[2:3], vcc
	s_cbranch_execnz .LBB302_215
	s_branch .LBB302_216
.LBB302_289:
                                        ; implicit-def: $sgpr56_sgpr57
	s_branch .LBB302_48
.LBB302_290:
                                        ; implicit-def: $sgpr2_sgpr3
	s_branch .LBB302_121
	.section	.rodata,"a",@progbits
	.p2align	6, 0x0
	.amdhsa_kernel _ZN7rocprim17ROCPRIM_400000_NS6detail17trampoline_kernelINS0_14default_configENS1_27scan_by_key_config_selectorIssEEZZNS1_16scan_by_key_implILNS1_25lookback_scan_determinismE0ELb0ES3_N6thrust23THRUST_200600_302600_NS6detail15normal_iteratorINS9_10device_ptrIsEEEESE_SE_sNS9_10multipliesIsEENS9_8equal_toIsEEsEE10hipError_tPvRmT2_T3_T4_T5_mT6_T7_P12ihipStream_tbENKUlT_T0_E_clISt17integral_constantIbLb1EESY_IbLb0EEEEDaSU_SV_EUlSU_E_NS1_11comp_targetILNS1_3genE4ELNS1_11target_archE910ELNS1_3gpuE8ELNS1_3repE0EEENS1_30default_config_static_selectorELNS0_4arch9wavefront6targetE1EEEvT1_
		.amdhsa_group_segment_fixed_size 12288
		.amdhsa_private_segment_fixed_size 0
		.amdhsa_kernarg_size 112
		.amdhsa_user_sgpr_count 6
		.amdhsa_user_sgpr_private_segment_buffer 1
		.amdhsa_user_sgpr_dispatch_ptr 0
		.amdhsa_user_sgpr_queue_ptr 0
		.amdhsa_user_sgpr_kernarg_segment_ptr 1
		.amdhsa_user_sgpr_dispatch_id 0
		.amdhsa_user_sgpr_flat_scratch_init 0
		.amdhsa_user_sgpr_kernarg_preload_length 0
		.amdhsa_user_sgpr_kernarg_preload_offset 0
		.amdhsa_user_sgpr_private_segment_size 0
		.amdhsa_uses_dynamic_stack 0
		.amdhsa_system_sgpr_private_segment_wavefront_offset 0
		.amdhsa_system_sgpr_workgroup_id_x 1
		.amdhsa_system_sgpr_workgroup_id_y 0
		.amdhsa_system_sgpr_workgroup_id_z 0
		.amdhsa_system_sgpr_workgroup_info 0
		.amdhsa_system_vgpr_workitem_id 0
		.amdhsa_next_free_vgpr 58
		.amdhsa_next_free_sgpr 78
		.amdhsa_accum_offset 60
		.amdhsa_reserve_vcc 1
		.amdhsa_reserve_flat_scratch 0
		.amdhsa_float_round_mode_32 0
		.amdhsa_float_round_mode_16_64 0
		.amdhsa_float_denorm_mode_32 3
		.amdhsa_float_denorm_mode_16_64 3
		.amdhsa_dx10_clamp 1
		.amdhsa_ieee_mode 1
		.amdhsa_fp16_overflow 0
		.amdhsa_tg_split 0
		.amdhsa_exception_fp_ieee_invalid_op 0
		.amdhsa_exception_fp_denorm_src 0
		.amdhsa_exception_fp_ieee_div_zero 0
		.amdhsa_exception_fp_ieee_overflow 0
		.amdhsa_exception_fp_ieee_underflow 0
		.amdhsa_exception_fp_ieee_inexact 0
		.amdhsa_exception_int_div_zero 0
	.end_amdhsa_kernel
	.section	.text._ZN7rocprim17ROCPRIM_400000_NS6detail17trampoline_kernelINS0_14default_configENS1_27scan_by_key_config_selectorIssEEZZNS1_16scan_by_key_implILNS1_25lookback_scan_determinismE0ELb0ES3_N6thrust23THRUST_200600_302600_NS6detail15normal_iteratorINS9_10device_ptrIsEEEESE_SE_sNS9_10multipliesIsEENS9_8equal_toIsEEsEE10hipError_tPvRmT2_T3_T4_T5_mT6_T7_P12ihipStream_tbENKUlT_T0_E_clISt17integral_constantIbLb1EESY_IbLb0EEEEDaSU_SV_EUlSU_E_NS1_11comp_targetILNS1_3genE4ELNS1_11target_archE910ELNS1_3gpuE8ELNS1_3repE0EEENS1_30default_config_static_selectorELNS0_4arch9wavefront6targetE1EEEvT1_,"axG",@progbits,_ZN7rocprim17ROCPRIM_400000_NS6detail17trampoline_kernelINS0_14default_configENS1_27scan_by_key_config_selectorIssEEZZNS1_16scan_by_key_implILNS1_25lookback_scan_determinismE0ELb0ES3_N6thrust23THRUST_200600_302600_NS6detail15normal_iteratorINS9_10device_ptrIsEEEESE_SE_sNS9_10multipliesIsEENS9_8equal_toIsEEsEE10hipError_tPvRmT2_T3_T4_T5_mT6_T7_P12ihipStream_tbENKUlT_T0_E_clISt17integral_constantIbLb1EESY_IbLb0EEEEDaSU_SV_EUlSU_E_NS1_11comp_targetILNS1_3genE4ELNS1_11target_archE910ELNS1_3gpuE8ELNS1_3repE0EEENS1_30default_config_static_selectorELNS0_4arch9wavefront6targetE1EEEvT1_,comdat
.Lfunc_end302:
	.size	_ZN7rocprim17ROCPRIM_400000_NS6detail17trampoline_kernelINS0_14default_configENS1_27scan_by_key_config_selectorIssEEZZNS1_16scan_by_key_implILNS1_25lookback_scan_determinismE0ELb0ES3_N6thrust23THRUST_200600_302600_NS6detail15normal_iteratorINS9_10device_ptrIsEEEESE_SE_sNS9_10multipliesIsEENS9_8equal_toIsEEsEE10hipError_tPvRmT2_T3_T4_T5_mT6_T7_P12ihipStream_tbENKUlT_T0_E_clISt17integral_constantIbLb1EESY_IbLb0EEEEDaSU_SV_EUlSU_E_NS1_11comp_targetILNS1_3genE4ELNS1_11target_archE910ELNS1_3gpuE8ELNS1_3repE0EEENS1_30default_config_static_selectorELNS0_4arch9wavefront6targetE1EEEvT1_, .Lfunc_end302-_ZN7rocprim17ROCPRIM_400000_NS6detail17trampoline_kernelINS0_14default_configENS1_27scan_by_key_config_selectorIssEEZZNS1_16scan_by_key_implILNS1_25lookback_scan_determinismE0ELb0ES3_N6thrust23THRUST_200600_302600_NS6detail15normal_iteratorINS9_10device_ptrIsEEEESE_SE_sNS9_10multipliesIsEENS9_8equal_toIsEEsEE10hipError_tPvRmT2_T3_T4_T5_mT6_T7_P12ihipStream_tbENKUlT_T0_E_clISt17integral_constantIbLb1EESY_IbLb0EEEEDaSU_SV_EUlSU_E_NS1_11comp_targetILNS1_3genE4ELNS1_11target_archE910ELNS1_3gpuE8ELNS1_3repE0EEENS1_30default_config_static_selectorELNS0_4arch9wavefront6targetE1EEEvT1_
                                        ; -- End function
	.section	.AMDGPU.csdata,"",@progbits
; Kernel info:
; codeLenInByte = 15664
; NumSgprs: 82
; NumVgprs: 58
; NumAgprs: 0
; TotalNumVgprs: 58
; ScratchSize: 0
; MemoryBound: 0
; FloatMode: 240
; IeeeMode: 1
; LDSByteSize: 12288 bytes/workgroup (compile time only)
; SGPRBlocks: 10
; VGPRBlocks: 7
; NumSGPRsForWavesPerEU: 82
; NumVGPRsForWavesPerEU: 58
; AccumOffset: 60
; Occupancy: 5
; WaveLimiterHint : 1
; COMPUTE_PGM_RSRC2:SCRATCH_EN: 0
; COMPUTE_PGM_RSRC2:USER_SGPR: 6
; COMPUTE_PGM_RSRC2:TRAP_HANDLER: 0
; COMPUTE_PGM_RSRC2:TGID_X_EN: 1
; COMPUTE_PGM_RSRC2:TGID_Y_EN: 0
; COMPUTE_PGM_RSRC2:TGID_Z_EN: 0
; COMPUTE_PGM_RSRC2:TIDIG_COMP_CNT: 0
; COMPUTE_PGM_RSRC3_GFX90A:ACCUM_OFFSET: 14
; COMPUTE_PGM_RSRC3_GFX90A:TG_SPLIT: 0
	.section	.text._ZN7rocprim17ROCPRIM_400000_NS6detail17trampoline_kernelINS0_14default_configENS1_27scan_by_key_config_selectorIssEEZZNS1_16scan_by_key_implILNS1_25lookback_scan_determinismE0ELb0ES3_N6thrust23THRUST_200600_302600_NS6detail15normal_iteratorINS9_10device_ptrIsEEEESE_SE_sNS9_10multipliesIsEENS9_8equal_toIsEEsEE10hipError_tPvRmT2_T3_T4_T5_mT6_T7_P12ihipStream_tbENKUlT_T0_E_clISt17integral_constantIbLb1EESY_IbLb0EEEEDaSU_SV_EUlSU_E_NS1_11comp_targetILNS1_3genE3ELNS1_11target_archE908ELNS1_3gpuE7ELNS1_3repE0EEENS1_30default_config_static_selectorELNS0_4arch9wavefront6targetE1EEEvT1_,"axG",@progbits,_ZN7rocprim17ROCPRIM_400000_NS6detail17trampoline_kernelINS0_14default_configENS1_27scan_by_key_config_selectorIssEEZZNS1_16scan_by_key_implILNS1_25lookback_scan_determinismE0ELb0ES3_N6thrust23THRUST_200600_302600_NS6detail15normal_iteratorINS9_10device_ptrIsEEEESE_SE_sNS9_10multipliesIsEENS9_8equal_toIsEEsEE10hipError_tPvRmT2_T3_T4_T5_mT6_T7_P12ihipStream_tbENKUlT_T0_E_clISt17integral_constantIbLb1EESY_IbLb0EEEEDaSU_SV_EUlSU_E_NS1_11comp_targetILNS1_3genE3ELNS1_11target_archE908ELNS1_3gpuE7ELNS1_3repE0EEENS1_30default_config_static_selectorELNS0_4arch9wavefront6targetE1EEEvT1_,comdat
	.protected	_ZN7rocprim17ROCPRIM_400000_NS6detail17trampoline_kernelINS0_14default_configENS1_27scan_by_key_config_selectorIssEEZZNS1_16scan_by_key_implILNS1_25lookback_scan_determinismE0ELb0ES3_N6thrust23THRUST_200600_302600_NS6detail15normal_iteratorINS9_10device_ptrIsEEEESE_SE_sNS9_10multipliesIsEENS9_8equal_toIsEEsEE10hipError_tPvRmT2_T3_T4_T5_mT6_T7_P12ihipStream_tbENKUlT_T0_E_clISt17integral_constantIbLb1EESY_IbLb0EEEEDaSU_SV_EUlSU_E_NS1_11comp_targetILNS1_3genE3ELNS1_11target_archE908ELNS1_3gpuE7ELNS1_3repE0EEENS1_30default_config_static_selectorELNS0_4arch9wavefront6targetE1EEEvT1_ ; -- Begin function _ZN7rocprim17ROCPRIM_400000_NS6detail17trampoline_kernelINS0_14default_configENS1_27scan_by_key_config_selectorIssEEZZNS1_16scan_by_key_implILNS1_25lookback_scan_determinismE0ELb0ES3_N6thrust23THRUST_200600_302600_NS6detail15normal_iteratorINS9_10device_ptrIsEEEESE_SE_sNS9_10multipliesIsEENS9_8equal_toIsEEsEE10hipError_tPvRmT2_T3_T4_T5_mT6_T7_P12ihipStream_tbENKUlT_T0_E_clISt17integral_constantIbLb1EESY_IbLb0EEEEDaSU_SV_EUlSU_E_NS1_11comp_targetILNS1_3genE3ELNS1_11target_archE908ELNS1_3gpuE7ELNS1_3repE0EEENS1_30default_config_static_selectorELNS0_4arch9wavefront6targetE1EEEvT1_
	.globl	_ZN7rocprim17ROCPRIM_400000_NS6detail17trampoline_kernelINS0_14default_configENS1_27scan_by_key_config_selectorIssEEZZNS1_16scan_by_key_implILNS1_25lookback_scan_determinismE0ELb0ES3_N6thrust23THRUST_200600_302600_NS6detail15normal_iteratorINS9_10device_ptrIsEEEESE_SE_sNS9_10multipliesIsEENS9_8equal_toIsEEsEE10hipError_tPvRmT2_T3_T4_T5_mT6_T7_P12ihipStream_tbENKUlT_T0_E_clISt17integral_constantIbLb1EESY_IbLb0EEEEDaSU_SV_EUlSU_E_NS1_11comp_targetILNS1_3genE3ELNS1_11target_archE908ELNS1_3gpuE7ELNS1_3repE0EEENS1_30default_config_static_selectorELNS0_4arch9wavefront6targetE1EEEvT1_
	.p2align	8
	.type	_ZN7rocprim17ROCPRIM_400000_NS6detail17trampoline_kernelINS0_14default_configENS1_27scan_by_key_config_selectorIssEEZZNS1_16scan_by_key_implILNS1_25lookback_scan_determinismE0ELb0ES3_N6thrust23THRUST_200600_302600_NS6detail15normal_iteratorINS9_10device_ptrIsEEEESE_SE_sNS9_10multipliesIsEENS9_8equal_toIsEEsEE10hipError_tPvRmT2_T3_T4_T5_mT6_T7_P12ihipStream_tbENKUlT_T0_E_clISt17integral_constantIbLb1EESY_IbLb0EEEEDaSU_SV_EUlSU_E_NS1_11comp_targetILNS1_3genE3ELNS1_11target_archE908ELNS1_3gpuE7ELNS1_3repE0EEENS1_30default_config_static_selectorELNS0_4arch9wavefront6targetE1EEEvT1_,@function
_ZN7rocprim17ROCPRIM_400000_NS6detail17trampoline_kernelINS0_14default_configENS1_27scan_by_key_config_selectorIssEEZZNS1_16scan_by_key_implILNS1_25lookback_scan_determinismE0ELb0ES3_N6thrust23THRUST_200600_302600_NS6detail15normal_iteratorINS9_10device_ptrIsEEEESE_SE_sNS9_10multipliesIsEENS9_8equal_toIsEEsEE10hipError_tPvRmT2_T3_T4_T5_mT6_T7_P12ihipStream_tbENKUlT_T0_E_clISt17integral_constantIbLb1EESY_IbLb0EEEEDaSU_SV_EUlSU_E_NS1_11comp_targetILNS1_3genE3ELNS1_11target_archE908ELNS1_3gpuE7ELNS1_3repE0EEENS1_30default_config_static_selectorELNS0_4arch9wavefront6targetE1EEEvT1_: ; @_ZN7rocprim17ROCPRIM_400000_NS6detail17trampoline_kernelINS0_14default_configENS1_27scan_by_key_config_selectorIssEEZZNS1_16scan_by_key_implILNS1_25lookback_scan_determinismE0ELb0ES3_N6thrust23THRUST_200600_302600_NS6detail15normal_iteratorINS9_10device_ptrIsEEEESE_SE_sNS9_10multipliesIsEENS9_8equal_toIsEEsEE10hipError_tPvRmT2_T3_T4_T5_mT6_T7_P12ihipStream_tbENKUlT_T0_E_clISt17integral_constantIbLb1EESY_IbLb0EEEEDaSU_SV_EUlSU_E_NS1_11comp_targetILNS1_3genE3ELNS1_11target_archE908ELNS1_3gpuE7ELNS1_3repE0EEENS1_30default_config_static_selectorELNS0_4arch9wavefront6targetE1EEEvT1_
; %bb.0:
	.section	.rodata,"a",@progbits
	.p2align	6, 0x0
	.amdhsa_kernel _ZN7rocprim17ROCPRIM_400000_NS6detail17trampoline_kernelINS0_14default_configENS1_27scan_by_key_config_selectorIssEEZZNS1_16scan_by_key_implILNS1_25lookback_scan_determinismE0ELb0ES3_N6thrust23THRUST_200600_302600_NS6detail15normal_iteratorINS9_10device_ptrIsEEEESE_SE_sNS9_10multipliesIsEENS9_8equal_toIsEEsEE10hipError_tPvRmT2_T3_T4_T5_mT6_T7_P12ihipStream_tbENKUlT_T0_E_clISt17integral_constantIbLb1EESY_IbLb0EEEEDaSU_SV_EUlSU_E_NS1_11comp_targetILNS1_3genE3ELNS1_11target_archE908ELNS1_3gpuE7ELNS1_3repE0EEENS1_30default_config_static_selectorELNS0_4arch9wavefront6targetE1EEEvT1_
		.amdhsa_group_segment_fixed_size 0
		.amdhsa_private_segment_fixed_size 0
		.amdhsa_kernarg_size 112
		.amdhsa_user_sgpr_count 6
		.amdhsa_user_sgpr_private_segment_buffer 1
		.amdhsa_user_sgpr_dispatch_ptr 0
		.amdhsa_user_sgpr_queue_ptr 0
		.amdhsa_user_sgpr_kernarg_segment_ptr 1
		.amdhsa_user_sgpr_dispatch_id 0
		.amdhsa_user_sgpr_flat_scratch_init 0
		.amdhsa_user_sgpr_kernarg_preload_length 0
		.amdhsa_user_sgpr_kernarg_preload_offset 0
		.amdhsa_user_sgpr_private_segment_size 0
		.amdhsa_uses_dynamic_stack 0
		.amdhsa_system_sgpr_private_segment_wavefront_offset 0
		.amdhsa_system_sgpr_workgroup_id_x 1
		.amdhsa_system_sgpr_workgroup_id_y 0
		.amdhsa_system_sgpr_workgroup_id_z 0
		.amdhsa_system_sgpr_workgroup_info 0
		.amdhsa_system_vgpr_workitem_id 0
		.amdhsa_next_free_vgpr 1
		.amdhsa_next_free_sgpr 0
		.amdhsa_accum_offset 4
		.amdhsa_reserve_vcc 0
		.amdhsa_reserve_flat_scratch 0
		.amdhsa_float_round_mode_32 0
		.amdhsa_float_round_mode_16_64 0
		.amdhsa_float_denorm_mode_32 3
		.amdhsa_float_denorm_mode_16_64 3
		.amdhsa_dx10_clamp 1
		.amdhsa_ieee_mode 1
		.amdhsa_fp16_overflow 0
		.amdhsa_tg_split 0
		.amdhsa_exception_fp_ieee_invalid_op 0
		.amdhsa_exception_fp_denorm_src 0
		.amdhsa_exception_fp_ieee_div_zero 0
		.amdhsa_exception_fp_ieee_overflow 0
		.amdhsa_exception_fp_ieee_underflow 0
		.amdhsa_exception_fp_ieee_inexact 0
		.amdhsa_exception_int_div_zero 0
	.end_amdhsa_kernel
	.section	.text._ZN7rocprim17ROCPRIM_400000_NS6detail17trampoline_kernelINS0_14default_configENS1_27scan_by_key_config_selectorIssEEZZNS1_16scan_by_key_implILNS1_25lookback_scan_determinismE0ELb0ES3_N6thrust23THRUST_200600_302600_NS6detail15normal_iteratorINS9_10device_ptrIsEEEESE_SE_sNS9_10multipliesIsEENS9_8equal_toIsEEsEE10hipError_tPvRmT2_T3_T4_T5_mT6_T7_P12ihipStream_tbENKUlT_T0_E_clISt17integral_constantIbLb1EESY_IbLb0EEEEDaSU_SV_EUlSU_E_NS1_11comp_targetILNS1_3genE3ELNS1_11target_archE908ELNS1_3gpuE7ELNS1_3repE0EEENS1_30default_config_static_selectorELNS0_4arch9wavefront6targetE1EEEvT1_,"axG",@progbits,_ZN7rocprim17ROCPRIM_400000_NS6detail17trampoline_kernelINS0_14default_configENS1_27scan_by_key_config_selectorIssEEZZNS1_16scan_by_key_implILNS1_25lookback_scan_determinismE0ELb0ES3_N6thrust23THRUST_200600_302600_NS6detail15normal_iteratorINS9_10device_ptrIsEEEESE_SE_sNS9_10multipliesIsEENS9_8equal_toIsEEsEE10hipError_tPvRmT2_T3_T4_T5_mT6_T7_P12ihipStream_tbENKUlT_T0_E_clISt17integral_constantIbLb1EESY_IbLb0EEEEDaSU_SV_EUlSU_E_NS1_11comp_targetILNS1_3genE3ELNS1_11target_archE908ELNS1_3gpuE7ELNS1_3repE0EEENS1_30default_config_static_selectorELNS0_4arch9wavefront6targetE1EEEvT1_,comdat
.Lfunc_end303:
	.size	_ZN7rocprim17ROCPRIM_400000_NS6detail17trampoline_kernelINS0_14default_configENS1_27scan_by_key_config_selectorIssEEZZNS1_16scan_by_key_implILNS1_25lookback_scan_determinismE0ELb0ES3_N6thrust23THRUST_200600_302600_NS6detail15normal_iteratorINS9_10device_ptrIsEEEESE_SE_sNS9_10multipliesIsEENS9_8equal_toIsEEsEE10hipError_tPvRmT2_T3_T4_T5_mT6_T7_P12ihipStream_tbENKUlT_T0_E_clISt17integral_constantIbLb1EESY_IbLb0EEEEDaSU_SV_EUlSU_E_NS1_11comp_targetILNS1_3genE3ELNS1_11target_archE908ELNS1_3gpuE7ELNS1_3repE0EEENS1_30default_config_static_selectorELNS0_4arch9wavefront6targetE1EEEvT1_, .Lfunc_end303-_ZN7rocprim17ROCPRIM_400000_NS6detail17trampoline_kernelINS0_14default_configENS1_27scan_by_key_config_selectorIssEEZZNS1_16scan_by_key_implILNS1_25lookback_scan_determinismE0ELb0ES3_N6thrust23THRUST_200600_302600_NS6detail15normal_iteratorINS9_10device_ptrIsEEEESE_SE_sNS9_10multipliesIsEENS9_8equal_toIsEEsEE10hipError_tPvRmT2_T3_T4_T5_mT6_T7_P12ihipStream_tbENKUlT_T0_E_clISt17integral_constantIbLb1EESY_IbLb0EEEEDaSU_SV_EUlSU_E_NS1_11comp_targetILNS1_3genE3ELNS1_11target_archE908ELNS1_3gpuE7ELNS1_3repE0EEENS1_30default_config_static_selectorELNS0_4arch9wavefront6targetE1EEEvT1_
                                        ; -- End function
	.section	.AMDGPU.csdata,"",@progbits
; Kernel info:
; codeLenInByte = 0
; NumSgprs: 4
; NumVgprs: 0
; NumAgprs: 0
; TotalNumVgprs: 0
; ScratchSize: 0
; MemoryBound: 0
; FloatMode: 240
; IeeeMode: 1
; LDSByteSize: 0 bytes/workgroup (compile time only)
; SGPRBlocks: 0
; VGPRBlocks: 0
; NumSGPRsForWavesPerEU: 4
; NumVGPRsForWavesPerEU: 1
; AccumOffset: 4
; Occupancy: 8
; WaveLimiterHint : 0
; COMPUTE_PGM_RSRC2:SCRATCH_EN: 0
; COMPUTE_PGM_RSRC2:USER_SGPR: 6
; COMPUTE_PGM_RSRC2:TRAP_HANDLER: 0
; COMPUTE_PGM_RSRC2:TGID_X_EN: 1
; COMPUTE_PGM_RSRC2:TGID_Y_EN: 0
; COMPUTE_PGM_RSRC2:TGID_Z_EN: 0
; COMPUTE_PGM_RSRC2:TIDIG_COMP_CNT: 0
; COMPUTE_PGM_RSRC3_GFX90A:ACCUM_OFFSET: 0
; COMPUTE_PGM_RSRC3_GFX90A:TG_SPLIT: 0
	.section	.text._ZN7rocprim17ROCPRIM_400000_NS6detail17trampoline_kernelINS0_14default_configENS1_27scan_by_key_config_selectorIssEEZZNS1_16scan_by_key_implILNS1_25lookback_scan_determinismE0ELb0ES3_N6thrust23THRUST_200600_302600_NS6detail15normal_iteratorINS9_10device_ptrIsEEEESE_SE_sNS9_10multipliesIsEENS9_8equal_toIsEEsEE10hipError_tPvRmT2_T3_T4_T5_mT6_T7_P12ihipStream_tbENKUlT_T0_E_clISt17integral_constantIbLb1EESY_IbLb0EEEEDaSU_SV_EUlSU_E_NS1_11comp_targetILNS1_3genE2ELNS1_11target_archE906ELNS1_3gpuE6ELNS1_3repE0EEENS1_30default_config_static_selectorELNS0_4arch9wavefront6targetE1EEEvT1_,"axG",@progbits,_ZN7rocprim17ROCPRIM_400000_NS6detail17trampoline_kernelINS0_14default_configENS1_27scan_by_key_config_selectorIssEEZZNS1_16scan_by_key_implILNS1_25lookback_scan_determinismE0ELb0ES3_N6thrust23THRUST_200600_302600_NS6detail15normal_iteratorINS9_10device_ptrIsEEEESE_SE_sNS9_10multipliesIsEENS9_8equal_toIsEEsEE10hipError_tPvRmT2_T3_T4_T5_mT6_T7_P12ihipStream_tbENKUlT_T0_E_clISt17integral_constantIbLb1EESY_IbLb0EEEEDaSU_SV_EUlSU_E_NS1_11comp_targetILNS1_3genE2ELNS1_11target_archE906ELNS1_3gpuE6ELNS1_3repE0EEENS1_30default_config_static_selectorELNS0_4arch9wavefront6targetE1EEEvT1_,comdat
	.protected	_ZN7rocprim17ROCPRIM_400000_NS6detail17trampoline_kernelINS0_14default_configENS1_27scan_by_key_config_selectorIssEEZZNS1_16scan_by_key_implILNS1_25lookback_scan_determinismE0ELb0ES3_N6thrust23THRUST_200600_302600_NS6detail15normal_iteratorINS9_10device_ptrIsEEEESE_SE_sNS9_10multipliesIsEENS9_8equal_toIsEEsEE10hipError_tPvRmT2_T3_T4_T5_mT6_T7_P12ihipStream_tbENKUlT_T0_E_clISt17integral_constantIbLb1EESY_IbLb0EEEEDaSU_SV_EUlSU_E_NS1_11comp_targetILNS1_3genE2ELNS1_11target_archE906ELNS1_3gpuE6ELNS1_3repE0EEENS1_30default_config_static_selectorELNS0_4arch9wavefront6targetE1EEEvT1_ ; -- Begin function _ZN7rocprim17ROCPRIM_400000_NS6detail17trampoline_kernelINS0_14default_configENS1_27scan_by_key_config_selectorIssEEZZNS1_16scan_by_key_implILNS1_25lookback_scan_determinismE0ELb0ES3_N6thrust23THRUST_200600_302600_NS6detail15normal_iteratorINS9_10device_ptrIsEEEESE_SE_sNS9_10multipliesIsEENS9_8equal_toIsEEsEE10hipError_tPvRmT2_T3_T4_T5_mT6_T7_P12ihipStream_tbENKUlT_T0_E_clISt17integral_constantIbLb1EESY_IbLb0EEEEDaSU_SV_EUlSU_E_NS1_11comp_targetILNS1_3genE2ELNS1_11target_archE906ELNS1_3gpuE6ELNS1_3repE0EEENS1_30default_config_static_selectorELNS0_4arch9wavefront6targetE1EEEvT1_
	.globl	_ZN7rocprim17ROCPRIM_400000_NS6detail17trampoline_kernelINS0_14default_configENS1_27scan_by_key_config_selectorIssEEZZNS1_16scan_by_key_implILNS1_25lookback_scan_determinismE0ELb0ES3_N6thrust23THRUST_200600_302600_NS6detail15normal_iteratorINS9_10device_ptrIsEEEESE_SE_sNS9_10multipliesIsEENS9_8equal_toIsEEsEE10hipError_tPvRmT2_T3_T4_T5_mT6_T7_P12ihipStream_tbENKUlT_T0_E_clISt17integral_constantIbLb1EESY_IbLb0EEEEDaSU_SV_EUlSU_E_NS1_11comp_targetILNS1_3genE2ELNS1_11target_archE906ELNS1_3gpuE6ELNS1_3repE0EEENS1_30default_config_static_selectorELNS0_4arch9wavefront6targetE1EEEvT1_
	.p2align	8
	.type	_ZN7rocprim17ROCPRIM_400000_NS6detail17trampoline_kernelINS0_14default_configENS1_27scan_by_key_config_selectorIssEEZZNS1_16scan_by_key_implILNS1_25lookback_scan_determinismE0ELb0ES3_N6thrust23THRUST_200600_302600_NS6detail15normal_iteratorINS9_10device_ptrIsEEEESE_SE_sNS9_10multipliesIsEENS9_8equal_toIsEEsEE10hipError_tPvRmT2_T3_T4_T5_mT6_T7_P12ihipStream_tbENKUlT_T0_E_clISt17integral_constantIbLb1EESY_IbLb0EEEEDaSU_SV_EUlSU_E_NS1_11comp_targetILNS1_3genE2ELNS1_11target_archE906ELNS1_3gpuE6ELNS1_3repE0EEENS1_30default_config_static_selectorELNS0_4arch9wavefront6targetE1EEEvT1_,@function
_ZN7rocprim17ROCPRIM_400000_NS6detail17trampoline_kernelINS0_14default_configENS1_27scan_by_key_config_selectorIssEEZZNS1_16scan_by_key_implILNS1_25lookback_scan_determinismE0ELb0ES3_N6thrust23THRUST_200600_302600_NS6detail15normal_iteratorINS9_10device_ptrIsEEEESE_SE_sNS9_10multipliesIsEENS9_8equal_toIsEEsEE10hipError_tPvRmT2_T3_T4_T5_mT6_T7_P12ihipStream_tbENKUlT_T0_E_clISt17integral_constantIbLb1EESY_IbLb0EEEEDaSU_SV_EUlSU_E_NS1_11comp_targetILNS1_3genE2ELNS1_11target_archE906ELNS1_3gpuE6ELNS1_3repE0EEENS1_30default_config_static_selectorELNS0_4arch9wavefront6targetE1EEEvT1_: ; @_ZN7rocprim17ROCPRIM_400000_NS6detail17trampoline_kernelINS0_14default_configENS1_27scan_by_key_config_selectorIssEEZZNS1_16scan_by_key_implILNS1_25lookback_scan_determinismE0ELb0ES3_N6thrust23THRUST_200600_302600_NS6detail15normal_iteratorINS9_10device_ptrIsEEEESE_SE_sNS9_10multipliesIsEENS9_8equal_toIsEEsEE10hipError_tPvRmT2_T3_T4_T5_mT6_T7_P12ihipStream_tbENKUlT_T0_E_clISt17integral_constantIbLb1EESY_IbLb0EEEEDaSU_SV_EUlSU_E_NS1_11comp_targetILNS1_3genE2ELNS1_11target_archE906ELNS1_3gpuE6ELNS1_3repE0EEENS1_30default_config_static_selectorELNS0_4arch9wavefront6targetE1EEEvT1_
; %bb.0:
	.section	.rodata,"a",@progbits
	.p2align	6, 0x0
	.amdhsa_kernel _ZN7rocprim17ROCPRIM_400000_NS6detail17trampoline_kernelINS0_14default_configENS1_27scan_by_key_config_selectorIssEEZZNS1_16scan_by_key_implILNS1_25lookback_scan_determinismE0ELb0ES3_N6thrust23THRUST_200600_302600_NS6detail15normal_iteratorINS9_10device_ptrIsEEEESE_SE_sNS9_10multipliesIsEENS9_8equal_toIsEEsEE10hipError_tPvRmT2_T3_T4_T5_mT6_T7_P12ihipStream_tbENKUlT_T0_E_clISt17integral_constantIbLb1EESY_IbLb0EEEEDaSU_SV_EUlSU_E_NS1_11comp_targetILNS1_3genE2ELNS1_11target_archE906ELNS1_3gpuE6ELNS1_3repE0EEENS1_30default_config_static_selectorELNS0_4arch9wavefront6targetE1EEEvT1_
		.amdhsa_group_segment_fixed_size 0
		.amdhsa_private_segment_fixed_size 0
		.amdhsa_kernarg_size 112
		.amdhsa_user_sgpr_count 6
		.amdhsa_user_sgpr_private_segment_buffer 1
		.amdhsa_user_sgpr_dispatch_ptr 0
		.amdhsa_user_sgpr_queue_ptr 0
		.amdhsa_user_sgpr_kernarg_segment_ptr 1
		.amdhsa_user_sgpr_dispatch_id 0
		.amdhsa_user_sgpr_flat_scratch_init 0
		.amdhsa_user_sgpr_kernarg_preload_length 0
		.amdhsa_user_sgpr_kernarg_preload_offset 0
		.amdhsa_user_sgpr_private_segment_size 0
		.amdhsa_uses_dynamic_stack 0
		.amdhsa_system_sgpr_private_segment_wavefront_offset 0
		.amdhsa_system_sgpr_workgroup_id_x 1
		.amdhsa_system_sgpr_workgroup_id_y 0
		.amdhsa_system_sgpr_workgroup_id_z 0
		.amdhsa_system_sgpr_workgroup_info 0
		.amdhsa_system_vgpr_workitem_id 0
		.amdhsa_next_free_vgpr 1
		.amdhsa_next_free_sgpr 0
		.amdhsa_accum_offset 4
		.amdhsa_reserve_vcc 0
		.amdhsa_reserve_flat_scratch 0
		.amdhsa_float_round_mode_32 0
		.amdhsa_float_round_mode_16_64 0
		.amdhsa_float_denorm_mode_32 3
		.amdhsa_float_denorm_mode_16_64 3
		.amdhsa_dx10_clamp 1
		.amdhsa_ieee_mode 1
		.amdhsa_fp16_overflow 0
		.amdhsa_tg_split 0
		.amdhsa_exception_fp_ieee_invalid_op 0
		.amdhsa_exception_fp_denorm_src 0
		.amdhsa_exception_fp_ieee_div_zero 0
		.amdhsa_exception_fp_ieee_overflow 0
		.amdhsa_exception_fp_ieee_underflow 0
		.amdhsa_exception_fp_ieee_inexact 0
		.amdhsa_exception_int_div_zero 0
	.end_amdhsa_kernel
	.section	.text._ZN7rocprim17ROCPRIM_400000_NS6detail17trampoline_kernelINS0_14default_configENS1_27scan_by_key_config_selectorIssEEZZNS1_16scan_by_key_implILNS1_25lookback_scan_determinismE0ELb0ES3_N6thrust23THRUST_200600_302600_NS6detail15normal_iteratorINS9_10device_ptrIsEEEESE_SE_sNS9_10multipliesIsEENS9_8equal_toIsEEsEE10hipError_tPvRmT2_T3_T4_T5_mT6_T7_P12ihipStream_tbENKUlT_T0_E_clISt17integral_constantIbLb1EESY_IbLb0EEEEDaSU_SV_EUlSU_E_NS1_11comp_targetILNS1_3genE2ELNS1_11target_archE906ELNS1_3gpuE6ELNS1_3repE0EEENS1_30default_config_static_selectorELNS0_4arch9wavefront6targetE1EEEvT1_,"axG",@progbits,_ZN7rocprim17ROCPRIM_400000_NS6detail17trampoline_kernelINS0_14default_configENS1_27scan_by_key_config_selectorIssEEZZNS1_16scan_by_key_implILNS1_25lookback_scan_determinismE0ELb0ES3_N6thrust23THRUST_200600_302600_NS6detail15normal_iteratorINS9_10device_ptrIsEEEESE_SE_sNS9_10multipliesIsEENS9_8equal_toIsEEsEE10hipError_tPvRmT2_T3_T4_T5_mT6_T7_P12ihipStream_tbENKUlT_T0_E_clISt17integral_constantIbLb1EESY_IbLb0EEEEDaSU_SV_EUlSU_E_NS1_11comp_targetILNS1_3genE2ELNS1_11target_archE906ELNS1_3gpuE6ELNS1_3repE0EEENS1_30default_config_static_selectorELNS0_4arch9wavefront6targetE1EEEvT1_,comdat
.Lfunc_end304:
	.size	_ZN7rocprim17ROCPRIM_400000_NS6detail17trampoline_kernelINS0_14default_configENS1_27scan_by_key_config_selectorIssEEZZNS1_16scan_by_key_implILNS1_25lookback_scan_determinismE0ELb0ES3_N6thrust23THRUST_200600_302600_NS6detail15normal_iteratorINS9_10device_ptrIsEEEESE_SE_sNS9_10multipliesIsEENS9_8equal_toIsEEsEE10hipError_tPvRmT2_T3_T4_T5_mT6_T7_P12ihipStream_tbENKUlT_T0_E_clISt17integral_constantIbLb1EESY_IbLb0EEEEDaSU_SV_EUlSU_E_NS1_11comp_targetILNS1_3genE2ELNS1_11target_archE906ELNS1_3gpuE6ELNS1_3repE0EEENS1_30default_config_static_selectorELNS0_4arch9wavefront6targetE1EEEvT1_, .Lfunc_end304-_ZN7rocprim17ROCPRIM_400000_NS6detail17trampoline_kernelINS0_14default_configENS1_27scan_by_key_config_selectorIssEEZZNS1_16scan_by_key_implILNS1_25lookback_scan_determinismE0ELb0ES3_N6thrust23THRUST_200600_302600_NS6detail15normal_iteratorINS9_10device_ptrIsEEEESE_SE_sNS9_10multipliesIsEENS9_8equal_toIsEEsEE10hipError_tPvRmT2_T3_T4_T5_mT6_T7_P12ihipStream_tbENKUlT_T0_E_clISt17integral_constantIbLb1EESY_IbLb0EEEEDaSU_SV_EUlSU_E_NS1_11comp_targetILNS1_3genE2ELNS1_11target_archE906ELNS1_3gpuE6ELNS1_3repE0EEENS1_30default_config_static_selectorELNS0_4arch9wavefront6targetE1EEEvT1_
                                        ; -- End function
	.section	.AMDGPU.csdata,"",@progbits
; Kernel info:
; codeLenInByte = 0
; NumSgprs: 4
; NumVgprs: 0
; NumAgprs: 0
; TotalNumVgprs: 0
; ScratchSize: 0
; MemoryBound: 0
; FloatMode: 240
; IeeeMode: 1
; LDSByteSize: 0 bytes/workgroup (compile time only)
; SGPRBlocks: 0
; VGPRBlocks: 0
; NumSGPRsForWavesPerEU: 4
; NumVGPRsForWavesPerEU: 1
; AccumOffset: 4
; Occupancy: 8
; WaveLimiterHint : 0
; COMPUTE_PGM_RSRC2:SCRATCH_EN: 0
; COMPUTE_PGM_RSRC2:USER_SGPR: 6
; COMPUTE_PGM_RSRC2:TRAP_HANDLER: 0
; COMPUTE_PGM_RSRC2:TGID_X_EN: 1
; COMPUTE_PGM_RSRC2:TGID_Y_EN: 0
; COMPUTE_PGM_RSRC2:TGID_Z_EN: 0
; COMPUTE_PGM_RSRC2:TIDIG_COMP_CNT: 0
; COMPUTE_PGM_RSRC3_GFX90A:ACCUM_OFFSET: 0
; COMPUTE_PGM_RSRC3_GFX90A:TG_SPLIT: 0
	.section	.text._ZN7rocprim17ROCPRIM_400000_NS6detail17trampoline_kernelINS0_14default_configENS1_27scan_by_key_config_selectorIssEEZZNS1_16scan_by_key_implILNS1_25lookback_scan_determinismE0ELb0ES3_N6thrust23THRUST_200600_302600_NS6detail15normal_iteratorINS9_10device_ptrIsEEEESE_SE_sNS9_10multipliesIsEENS9_8equal_toIsEEsEE10hipError_tPvRmT2_T3_T4_T5_mT6_T7_P12ihipStream_tbENKUlT_T0_E_clISt17integral_constantIbLb1EESY_IbLb0EEEEDaSU_SV_EUlSU_E_NS1_11comp_targetILNS1_3genE10ELNS1_11target_archE1200ELNS1_3gpuE4ELNS1_3repE0EEENS1_30default_config_static_selectorELNS0_4arch9wavefront6targetE1EEEvT1_,"axG",@progbits,_ZN7rocprim17ROCPRIM_400000_NS6detail17trampoline_kernelINS0_14default_configENS1_27scan_by_key_config_selectorIssEEZZNS1_16scan_by_key_implILNS1_25lookback_scan_determinismE0ELb0ES3_N6thrust23THRUST_200600_302600_NS6detail15normal_iteratorINS9_10device_ptrIsEEEESE_SE_sNS9_10multipliesIsEENS9_8equal_toIsEEsEE10hipError_tPvRmT2_T3_T4_T5_mT6_T7_P12ihipStream_tbENKUlT_T0_E_clISt17integral_constantIbLb1EESY_IbLb0EEEEDaSU_SV_EUlSU_E_NS1_11comp_targetILNS1_3genE10ELNS1_11target_archE1200ELNS1_3gpuE4ELNS1_3repE0EEENS1_30default_config_static_selectorELNS0_4arch9wavefront6targetE1EEEvT1_,comdat
	.protected	_ZN7rocprim17ROCPRIM_400000_NS6detail17trampoline_kernelINS0_14default_configENS1_27scan_by_key_config_selectorIssEEZZNS1_16scan_by_key_implILNS1_25lookback_scan_determinismE0ELb0ES3_N6thrust23THRUST_200600_302600_NS6detail15normal_iteratorINS9_10device_ptrIsEEEESE_SE_sNS9_10multipliesIsEENS9_8equal_toIsEEsEE10hipError_tPvRmT2_T3_T4_T5_mT6_T7_P12ihipStream_tbENKUlT_T0_E_clISt17integral_constantIbLb1EESY_IbLb0EEEEDaSU_SV_EUlSU_E_NS1_11comp_targetILNS1_3genE10ELNS1_11target_archE1200ELNS1_3gpuE4ELNS1_3repE0EEENS1_30default_config_static_selectorELNS0_4arch9wavefront6targetE1EEEvT1_ ; -- Begin function _ZN7rocprim17ROCPRIM_400000_NS6detail17trampoline_kernelINS0_14default_configENS1_27scan_by_key_config_selectorIssEEZZNS1_16scan_by_key_implILNS1_25lookback_scan_determinismE0ELb0ES3_N6thrust23THRUST_200600_302600_NS6detail15normal_iteratorINS9_10device_ptrIsEEEESE_SE_sNS9_10multipliesIsEENS9_8equal_toIsEEsEE10hipError_tPvRmT2_T3_T4_T5_mT6_T7_P12ihipStream_tbENKUlT_T0_E_clISt17integral_constantIbLb1EESY_IbLb0EEEEDaSU_SV_EUlSU_E_NS1_11comp_targetILNS1_3genE10ELNS1_11target_archE1200ELNS1_3gpuE4ELNS1_3repE0EEENS1_30default_config_static_selectorELNS0_4arch9wavefront6targetE1EEEvT1_
	.globl	_ZN7rocprim17ROCPRIM_400000_NS6detail17trampoline_kernelINS0_14default_configENS1_27scan_by_key_config_selectorIssEEZZNS1_16scan_by_key_implILNS1_25lookback_scan_determinismE0ELb0ES3_N6thrust23THRUST_200600_302600_NS6detail15normal_iteratorINS9_10device_ptrIsEEEESE_SE_sNS9_10multipliesIsEENS9_8equal_toIsEEsEE10hipError_tPvRmT2_T3_T4_T5_mT6_T7_P12ihipStream_tbENKUlT_T0_E_clISt17integral_constantIbLb1EESY_IbLb0EEEEDaSU_SV_EUlSU_E_NS1_11comp_targetILNS1_3genE10ELNS1_11target_archE1200ELNS1_3gpuE4ELNS1_3repE0EEENS1_30default_config_static_selectorELNS0_4arch9wavefront6targetE1EEEvT1_
	.p2align	8
	.type	_ZN7rocprim17ROCPRIM_400000_NS6detail17trampoline_kernelINS0_14default_configENS1_27scan_by_key_config_selectorIssEEZZNS1_16scan_by_key_implILNS1_25lookback_scan_determinismE0ELb0ES3_N6thrust23THRUST_200600_302600_NS6detail15normal_iteratorINS9_10device_ptrIsEEEESE_SE_sNS9_10multipliesIsEENS9_8equal_toIsEEsEE10hipError_tPvRmT2_T3_T4_T5_mT6_T7_P12ihipStream_tbENKUlT_T0_E_clISt17integral_constantIbLb1EESY_IbLb0EEEEDaSU_SV_EUlSU_E_NS1_11comp_targetILNS1_3genE10ELNS1_11target_archE1200ELNS1_3gpuE4ELNS1_3repE0EEENS1_30default_config_static_selectorELNS0_4arch9wavefront6targetE1EEEvT1_,@function
_ZN7rocprim17ROCPRIM_400000_NS6detail17trampoline_kernelINS0_14default_configENS1_27scan_by_key_config_selectorIssEEZZNS1_16scan_by_key_implILNS1_25lookback_scan_determinismE0ELb0ES3_N6thrust23THRUST_200600_302600_NS6detail15normal_iteratorINS9_10device_ptrIsEEEESE_SE_sNS9_10multipliesIsEENS9_8equal_toIsEEsEE10hipError_tPvRmT2_T3_T4_T5_mT6_T7_P12ihipStream_tbENKUlT_T0_E_clISt17integral_constantIbLb1EESY_IbLb0EEEEDaSU_SV_EUlSU_E_NS1_11comp_targetILNS1_3genE10ELNS1_11target_archE1200ELNS1_3gpuE4ELNS1_3repE0EEENS1_30default_config_static_selectorELNS0_4arch9wavefront6targetE1EEEvT1_: ; @_ZN7rocprim17ROCPRIM_400000_NS6detail17trampoline_kernelINS0_14default_configENS1_27scan_by_key_config_selectorIssEEZZNS1_16scan_by_key_implILNS1_25lookback_scan_determinismE0ELb0ES3_N6thrust23THRUST_200600_302600_NS6detail15normal_iteratorINS9_10device_ptrIsEEEESE_SE_sNS9_10multipliesIsEENS9_8equal_toIsEEsEE10hipError_tPvRmT2_T3_T4_T5_mT6_T7_P12ihipStream_tbENKUlT_T0_E_clISt17integral_constantIbLb1EESY_IbLb0EEEEDaSU_SV_EUlSU_E_NS1_11comp_targetILNS1_3genE10ELNS1_11target_archE1200ELNS1_3gpuE4ELNS1_3repE0EEENS1_30default_config_static_selectorELNS0_4arch9wavefront6targetE1EEEvT1_
; %bb.0:
	.section	.rodata,"a",@progbits
	.p2align	6, 0x0
	.amdhsa_kernel _ZN7rocprim17ROCPRIM_400000_NS6detail17trampoline_kernelINS0_14default_configENS1_27scan_by_key_config_selectorIssEEZZNS1_16scan_by_key_implILNS1_25lookback_scan_determinismE0ELb0ES3_N6thrust23THRUST_200600_302600_NS6detail15normal_iteratorINS9_10device_ptrIsEEEESE_SE_sNS9_10multipliesIsEENS9_8equal_toIsEEsEE10hipError_tPvRmT2_T3_T4_T5_mT6_T7_P12ihipStream_tbENKUlT_T0_E_clISt17integral_constantIbLb1EESY_IbLb0EEEEDaSU_SV_EUlSU_E_NS1_11comp_targetILNS1_3genE10ELNS1_11target_archE1200ELNS1_3gpuE4ELNS1_3repE0EEENS1_30default_config_static_selectorELNS0_4arch9wavefront6targetE1EEEvT1_
		.amdhsa_group_segment_fixed_size 0
		.amdhsa_private_segment_fixed_size 0
		.amdhsa_kernarg_size 112
		.amdhsa_user_sgpr_count 6
		.amdhsa_user_sgpr_private_segment_buffer 1
		.amdhsa_user_sgpr_dispatch_ptr 0
		.amdhsa_user_sgpr_queue_ptr 0
		.amdhsa_user_sgpr_kernarg_segment_ptr 1
		.amdhsa_user_sgpr_dispatch_id 0
		.amdhsa_user_sgpr_flat_scratch_init 0
		.amdhsa_user_sgpr_kernarg_preload_length 0
		.amdhsa_user_sgpr_kernarg_preload_offset 0
		.amdhsa_user_sgpr_private_segment_size 0
		.amdhsa_uses_dynamic_stack 0
		.amdhsa_system_sgpr_private_segment_wavefront_offset 0
		.amdhsa_system_sgpr_workgroup_id_x 1
		.amdhsa_system_sgpr_workgroup_id_y 0
		.amdhsa_system_sgpr_workgroup_id_z 0
		.amdhsa_system_sgpr_workgroup_info 0
		.amdhsa_system_vgpr_workitem_id 0
		.amdhsa_next_free_vgpr 1
		.amdhsa_next_free_sgpr 0
		.amdhsa_accum_offset 4
		.amdhsa_reserve_vcc 0
		.amdhsa_reserve_flat_scratch 0
		.amdhsa_float_round_mode_32 0
		.amdhsa_float_round_mode_16_64 0
		.amdhsa_float_denorm_mode_32 3
		.amdhsa_float_denorm_mode_16_64 3
		.amdhsa_dx10_clamp 1
		.amdhsa_ieee_mode 1
		.amdhsa_fp16_overflow 0
		.amdhsa_tg_split 0
		.amdhsa_exception_fp_ieee_invalid_op 0
		.amdhsa_exception_fp_denorm_src 0
		.amdhsa_exception_fp_ieee_div_zero 0
		.amdhsa_exception_fp_ieee_overflow 0
		.amdhsa_exception_fp_ieee_underflow 0
		.amdhsa_exception_fp_ieee_inexact 0
		.amdhsa_exception_int_div_zero 0
	.end_amdhsa_kernel
	.section	.text._ZN7rocprim17ROCPRIM_400000_NS6detail17trampoline_kernelINS0_14default_configENS1_27scan_by_key_config_selectorIssEEZZNS1_16scan_by_key_implILNS1_25lookback_scan_determinismE0ELb0ES3_N6thrust23THRUST_200600_302600_NS6detail15normal_iteratorINS9_10device_ptrIsEEEESE_SE_sNS9_10multipliesIsEENS9_8equal_toIsEEsEE10hipError_tPvRmT2_T3_T4_T5_mT6_T7_P12ihipStream_tbENKUlT_T0_E_clISt17integral_constantIbLb1EESY_IbLb0EEEEDaSU_SV_EUlSU_E_NS1_11comp_targetILNS1_3genE10ELNS1_11target_archE1200ELNS1_3gpuE4ELNS1_3repE0EEENS1_30default_config_static_selectorELNS0_4arch9wavefront6targetE1EEEvT1_,"axG",@progbits,_ZN7rocprim17ROCPRIM_400000_NS6detail17trampoline_kernelINS0_14default_configENS1_27scan_by_key_config_selectorIssEEZZNS1_16scan_by_key_implILNS1_25lookback_scan_determinismE0ELb0ES3_N6thrust23THRUST_200600_302600_NS6detail15normal_iteratorINS9_10device_ptrIsEEEESE_SE_sNS9_10multipliesIsEENS9_8equal_toIsEEsEE10hipError_tPvRmT2_T3_T4_T5_mT6_T7_P12ihipStream_tbENKUlT_T0_E_clISt17integral_constantIbLb1EESY_IbLb0EEEEDaSU_SV_EUlSU_E_NS1_11comp_targetILNS1_3genE10ELNS1_11target_archE1200ELNS1_3gpuE4ELNS1_3repE0EEENS1_30default_config_static_selectorELNS0_4arch9wavefront6targetE1EEEvT1_,comdat
.Lfunc_end305:
	.size	_ZN7rocprim17ROCPRIM_400000_NS6detail17trampoline_kernelINS0_14default_configENS1_27scan_by_key_config_selectorIssEEZZNS1_16scan_by_key_implILNS1_25lookback_scan_determinismE0ELb0ES3_N6thrust23THRUST_200600_302600_NS6detail15normal_iteratorINS9_10device_ptrIsEEEESE_SE_sNS9_10multipliesIsEENS9_8equal_toIsEEsEE10hipError_tPvRmT2_T3_T4_T5_mT6_T7_P12ihipStream_tbENKUlT_T0_E_clISt17integral_constantIbLb1EESY_IbLb0EEEEDaSU_SV_EUlSU_E_NS1_11comp_targetILNS1_3genE10ELNS1_11target_archE1200ELNS1_3gpuE4ELNS1_3repE0EEENS1_30default_config_static_selectorELNS0_4arch9wavefront6targetE1EEEvT1_, .Lfunc_end305-_ZN7rocprim17ROCPRIM_400000_NS6detail17trampoline_kernelINS0_14default_configENS1_27scan_by_key_config_selectorIssEEZZNS1_16scan_by_key_implILNS1_25lookback_scan_determinismE0ELb0ES3_N6thrust23THRUST_200600_302600_NS6detail15normal_iteratorINS9_10device_ptrIsEEEESE_SE_sNS9_10multipliesIsEENS9_8equal_toIsEEsEE10hipError_tPvRmT2_T3_T4_T5_mT6_T7_P12ihipStream_tbENKUlT_T0_E_clISt17integral_constantIbLb1EESY_IbLb0EEEEDaSU_SV_EUlSU_E_NS1_11comp_targetILNS1_3genE10ELNS1_11target_archE1200ELNS1_3gpuE4ELNS1_3repE0EEENS1_30default_config_static_selectorELNS0_4arch9wavefront6targetE1EEEvT1_
                                        ; -- End function
	.section	.AMDGPU.csdata,"",@progbits
; Kernel info:
; codeLenInByte = 0
; NumSgprs: 4
; NumVgprs: 0
; NumAgprs: 0
; TotalNumVgprs: 0
; ScratchSize: 0
; MemoryBound: 0
; FloatMode: 240
; IeeeMode: 1
; LDSByteSize: 0 bytes/workgroup (compile time only)
; SGPRBlocks: 0
; VGPRBlocks: 0
; NumSGPRsForWavesPerEU: 4
; NumVGPRsForWavesPerEU: 1
; AccumOffset: 4
; Occupancy: 8
; WaveLimiterHint : 0
; COMPUTE_PGM_RSRC2:SCRATCH_EN: 0
; COMPUTE_PGM_RSRC2:USER_SGPR: 6
; COMPUTE_PGM_RSRC2:TRAP_HANDLER: 0
; COMPUTE_PGM_RSRC2:TGID_X_EN: 1
; COMPUTE_PGM_RSRC2:TGID_Y_EN: 0
; COMPUTE_PGM_RSRC2:TGID_Z_EN: 0
; COMPUTE_PGM_RSRC2:TIDIG_COMP_CNT: 0
; COMPUTE_PGM_RSRC3_GFX90A:ACCUM_OFFSET: 0
; COMPUTE_PGM_RSRC3_GFX90A:TG_SPLIT: 0
	.section	.text._ZN7rocprim17ROCPRIM_400000_NS6detail17trampoline_kernelINS0_14default_configENS1_27scan_by_key_config_selectorIssEEZZNS1_16scan_by_key_implILNS1_25lookback_scan_determinismE0ELb0ES3_N6thrust23THRUST_200600_302600_NS6detail15normal_iteratorINS9_10device_ptrIsEEEESE_SE_sNS9_10multipliesIsEENS9_8equal_toIsEEsEE10hipError_tPvRmT2_T3_T4_T5_mT6_T7_P12ihipStream_tbENKUlT_T0_E_clISt17integral_constantIbLb1EESY_IbLb0EEEEDaSU_SV_EUlSU_E_NS1_11comp_targetILNS1_3genE9ELNS1_11target_archE1100ELNS1_3gpuE3ELNS1_3repE0EEENS1_30default_config_static_selectorELNS0_4arch9wavefront6targetE1EEEvT1_,"axG",@progbits,_ZN7rocprim17ROCPRIM_400000_NS6detail17trampoline_kernelINS0_14default_configENS1_27scan_by_key_config_selectorIssEEZZNS1_16scan_by_key_implILNS1_25lookback_scan_determinismE0ELb0ES3_N6thrust23THRUST_200600_302600_NS6detail15normal_iteratorINS9_10device_ptrIsEEEESE_SE_sNS9_10multipliesIsEENS9_8equal_toIsEEsEE10hipError_tPvRmT2_T3_T4_T5_mT6_T7_P12ihipStream_tbENKUlT_T0_E_clISt17integral_constantIbLb1EESY_IbLb0EEEEDaSU_SV_EUlSU_E_NS1_11comp_targetILNS1_3genE9ELNS1_11target_archE1100ELNS1_3gpuE3ELNS1_3repE0EEENS1_30default_config_static_selectorELNS0_4arch9wavefront6targetE1EEEvT1_,comdat
	.protected	_ZN7rocprim17ROCPRIM_400000_NS6detail17trampoline_kernelINS0_14default_configENS1_27scan_by_key_config_selectorIssEEZZNS1_16scan_by_key_implILNS1_25lookback_scan_determinismE0ELb0ES3_N6thrust23THRUST_200600_302600_NS6detail15normal_iteratorINS9_10device_ptrIsEEEESE_SE_sNS9_10multipliesIsEENS9_8equal_toIsEEsEE10hipError_tPvRmT2_T3_T4_T5_mT6_T7_P12ihipStream_tbENKUlT_T0_E_clISt17integral_constantIbLb1EESY_IbLb0EEEEDaSU_SV_EUlSU_E_NS1_11comp_targetILNS1_3genE9ELNS1_11target_archE1100ELNS1_3gpuE3ELNS1_3repE0EEENS1_30default_config_static_selectorELNS0_4arch9wavefront6targetE1EEEvT1_ ; -- Begin function _ZN7rocprim17ROCPRIM_400000_NS6detail17trampoline_kernelINS0_14default_configENS1_27scan_by_key_config_selectorIssEEZZNS1_16scan_by_key_implILNS1_25lookback_scan_determinismE0ELb0ES3_N6thrust23THRUST_200600_302600_NS6detail15normal_iteratorINS9_10device_ptrIsEEEESE_SE_sNS9_10multipliesIsEENS9_8equal_toIsEEsEE10hipError_tPvRmT2_T3_T4_T5_mT6_T7_P12ihipStream_tbENKUlT_T0_E_clISt17integral_constantIbLb1EESY_IbLb0EEEEDaSU_SV_EUlSU_E_NS1_11comp_targetILNS1_3genE9ELNS1_11target_archE1100ELNS1_3gpuE3ELNS1_3repE0EEENS1_30default_config_static_selectorELNS0_4arch9wavefront6targetE1EEEvT1_
	.globl	_ZN7rocprim17ROCPRIM_400000_NS6detail17trampoline_kernelINS0_14default_configENS1_27scan_by_key_config_selectorIssEEZZNS1_16scan_by_key_implILNS1_25lookback_scan_determinismE0ELb0ES3_N6thrust23THRUST_200600_302600_NS6detail15normal_iteratorINS9_10device_ptrIsEEEESE_SE_sNS9_10multipliesIsEENS9_8equal_toIsEEsEE10hipError_tPvRmT2_T3_T4_T5_mT6_T7_P12ihipStream_tbENKUlT_T0_E_clISt17integral_constantIbLb1EESY_IbLb0EEEEDaSU_SV_EUlSU_E_NS1_11comp_targetILNS1_3genE9ELNS1_11target_archE1100ELNS1_3gpuE3ELNS1_3repE0EEENS1_30default_config_static_selectorELNS0_4arch9wavefront6targetE1EEEvT1_
	.p2align	8
	.type	_ZN7rocprim17ROCPRIM_400000_NS6detail17trampoline_kernelINS0_14default_configENS1_27scan_by_key_config_selectorIssEEZZNS1_16scan_by_key_implILNS1_25lookback_scan_determinismE0ELb0ES3_N6thrust23THRUST_200600_302600_NS6detail15normal_iteratorINS9_10device_ptrIsEEEESE_SE_sNS9_10multipliesIsEENS9_8equal_toIsEEsEE10hipError_tPvRmT2_T3_T4_T5_mT6_T7_P12ihipStream_tbENKUlT_T0_E_clISt17integral_constantIbLb1EESY_IbLb0EEEEDaSU_SV_EUlSU_E_NS1_11comp_targetILNS1_3genE9ELNS1_11target_archE1100ELNS1_3gpuE3ELNS1_3repE0EEENS1_30default_config_static_selectorELNS0_4arch9wavefront6targetE1EEEvT1_,@function
_ZN7rocprim17ROCPRIM_400000_NS6detail17trampoline_kernelINS0_14default_configENS1_27scan_by_key_config_selectorIssEEZZNS1_16scan_by_key_implILNS1_25lookback_scan_determinismE0ELb0ES3_N6thrust23THRUST_200600_302600_NS6detail15normal_iteratorINS9_10device_ptrIsEEEESE_SE_sNS9_10multipliesIsEENS9_8equal_toIsEEsEE10hipError_tPvRmT2_T3_T4_T5_mT6_T7_P12ihipStream_tbENKUlT_T0_E_clISt17integral_constantIbLb1EESY_IbLb0EEEEDaSU_SV_EUlSU_E_NS1_11comp_targetILNS1_3genE9ELNS1_11target_archE1100ELNS1_3gpuE3ELNS1_3repE0EEENS1_30default_config_static_selectorELNS0_4arch9wavefront6targetE1EEEvT1_: ; @_ZN7rocprim17ROCPRIM_400000_NS6detail17trampoline_kernelINS0_14default_configENS1_27scan_by_key_config_selectorIssEEZZNS1_16scan_by_key_implILNS1_25lookback_scan_determinismE0ELb0ES3_N6thrust23THRUST_200600_302600_NS6detail15normal_iteratorINS9_10device_ptrIsEEEESE_SE_sNS9_10multipliesIsEENS9_8equal_toIsEEsEE10hipError_tPvRmT2_T3_T4_T5_mT6_T7_P12ihipStream_tbENKUlT_T0_E_clISt17integral_constantIbLb1EESY_IbLb0EEEEDaSU_SV_EUlSU_E_NS1_11comp_targetILNS1_3genE9ELNS1_11target_archE1100ELNS1_3gpuE3ELNS1_3repE0EEENS1_30default_config_static_selectorELNS0_4arch9wavefront6targetE1EEEvT1_
; %bb.0:
	.section	.rodata,"a",@progbits
	.p2align	6, 0x0
	.amdhsa_kernel _ZN7rocprim17ROCPRIM_400000_NS6detail17trampoline_kernelINS0_14default_configENS1_27scan_by_key_config_selectorIssEEZZNS1_16scan_by_key_implILNS1_25lookback_scan_determinismE0ELb0ES3_N6thrust23THRUST_200600_302600_NS6detail15normal_iteratorINS9_10device_ptrIsEEEESE_SE_sNS9_10multipliesIsEENS9_8equal_toIsEEsEE10hipError_tPvRmT2_T3_T4_T5_mT6_T7_P12ihipStream_tbENKUlT_T0_E_clISt17integral_constantIbLb1EESY_IbLb0EEEEDaSU_SV_EUlSU_E_NS1_11comp_targetILNS1_3genE9ELNS1_11target_archE1100ELNS1_3gpuE3ELNS1_3repE0EEENS1_30default_config_static_selectorELNS0_4arch9wavefront6targetE1EEEvT1_
		.amdhsa_group_segment_fixed_size 0
		.amdhsa_private_segment_fixed_size 0
		.amdhsa_kernarg_size 112
		.amdhsa_user_sgpr_count 6
		.amdhsa_user_sgpr_private_segment_buffer 1
		.amdhsa_user_sgpr_dispatch_ptr 0
		.amdhsa_user_sgpr_queue_ptr 0
		.amdhsa_user_sgpr_kernarg_segment_ptr 1
		.amdhsa_user_sgpr_dispatch_id 0
		.amdhsa_user_sgpr_flat_scratch_init 0
		.amdhsa_user_sgpr_kernarg_preload_length 0
		.amdhsa_user_sgpr_kernarg_preload_offset 0
		.amdhsa_user_sgpr_private_segment_size 0
		.amdhsa_uses_dynamic_stack 0
		.amdhsa_system_sgpr_private_segment_wavefront_offset 0
		.amdhsa_system_sgpr_workgroup_id_x 1
		.amdhsa_system_sgpr_workgroup_id_y 0
		.amdhsa_system_sgpr_workgroup_id_z 0
		.amdhsa_system_sgpr_workgroup_info 0
		.amdhsa_system_vgpr_workitem_id 0
		.amdhsa_next_free_vgpr 1
		.amdhsa_next_free_sgpr 0
		.amdhsa_accum_offset 4
		.amdhsa_reserve_vcc 0
		.amdhsa_reserve_flat_scratch 0
		.amdhsa_float_round_mode_32 0
		.amdhsa_float_round_mode_16_64 0
		.amdhsa_float_denorm_mode_32 3
		.amdhsa_float_denorm_mode_16_64 3
		.amdhsa_dx10_clamp 1
		.amdhsa_ieee_mode 1
		.amdhsa_fp16_overflow 0
		.amdhsa_tg_split 0
		.amdhsa_exception_fp_ieee_invalid_op 0
		.amdhsa_exception_fp_denorm_src 0
		.amdhsa_exception_fp_ieee_div_zero 0
		.amdhsa_exception_fp_ieee_overflow 0
		.amdhsa_exception_fp_ieee_underflow 0
		.amdhsa_exception_fp_ieee_inexact 0
		.amdhsa_exception_int_div_zero 0
	.end_amdhsa_kernel
	.section	.text._ZN7rocprim17ROCPRIM_400000_NS6detail17trampoline_kernelINS0_14default_configENS1_27scan_by_key_config_selectorIssEEZZNS1_16scan_by_key_implILNS1_25lookback_scan_determinismE0ELb0ES3_N6thrust23THRUST_200600_302600_NS6detail15normal_iteratorINS9_10device_ptrIsEEEESE_SE_sNS9_10multipliesIsEENS9_8equal_toIsEEsEE10hipError_tPvRmT2_T3_T4_T5_mT6_T7_P12ihipStream_tbENKUlT_T0_E_clISt17integral_constantIbLb1EESY_IbLb0EEEEDaSU_SV_EUlSU_E_NS1_11comp_targetILNS1_3genE9ELNS1_11target_archE1100ELNS1_3gpuE3ELNS1_3repE0EEENS1_30default_config_static_selectorELNS0_4arch9wavefront6targetE1EEEvT1_,"axG",@progbits,_ZN7rocprim17ROCPRIM_400000_NS6detail17trampoline_kernelINS0_14default_configENS1_27scan_by_key_config_selectorIssEEZZNS1_16scan_by_key_implILNS1_25lookback_scan_determinismE0ELb0ES3_N6thrust23THRUST_200600_302600_NS6detail15normal_iteratorINS9_10device_ptrIsEEEESE_SE_sNS9_10multipliesIsEENS9_8equal_toIsEEsEE10hipError_tPvRmT2_T3_T4_T5_mT6_T7_P12ihipStream_tbENKUlT_T0_E_clISt17integral_constantIbLb1EESY_IbLb0EEEEDaSU_SV_EUlSU_E_NS1_11comp_targetILNS1_3genE9ELNS1_11target_archE1100ELNS1_3gpuE3ELNS1_3repE0EEENS1_30default_config_static_selectorELNS0_4arch9wavefront6targetE1EEEvT1_,comdat
.Lfunc_end306:
	.size	_ZN7rocprim17ROCPRIM_400000_NS6detail17trampoline_kernelINS0_14default_configENS1_27scan_by_key_config_selectorIssEEZZNS1_16scan_by_key_implILNS1_25lookback_scan_determinismE0ELb0ES3_N6thrust23THRUST_200600_302600_NS6detail15normal_iteratorINS9_10device_ptrIsEEEESE_SE_sNS9_10multipliesIsEENS9_8equal_toIsEEsEE10hipError_tPvRmT2_T3_T4_T5_mT6_T7_P12ihipStream_tbENKUlT_T0_E_clISt17integral_constantIbLb1EESY_IbLb0EEEEDaSU_SV_EUlSU_E_NS1_11comp_targetILNS1_3genE9ELNS1_11target_archE1100ELNS1_3gpuE3ELNS1_3repE0EEENS1_30default_config_static_selectorELNS0_4arch9wavefront6targetE1EEEvT1_, .Lfunc_end306-_ZN7rocprim17ROCPRIM_400000_NS6detail17trampoline_kernelINS0_14default_configENS1_27scan_by_key_config_selectorIssEEZZNS1_16scan_by_key_implILNS1_25lookback_scan_determinismE0ELb0ES3_N6thrust23THRUST_200600_302600_NS6detail15normal_iteratorINS9_10device_ptrIsEEEESE_SE_sNS9_10multipliesIsEENS9_8equal_toIsEEsEE10hipError_tPvRmT2_T3_T4_T5_mT6_T7_P12ihipStream_tbENKUlT_T0_E_clISt17integral_constantIbLb1EESY_IbLb0EEEEDaSU_SV_EUlSU_E_NS1_11comp_targetILNS1_3genE9ELNS1_11target_archE1100ELNS1_3gpuE3ELNS1_3repE0EEENS1_30default_config_static_selectorELNS0_4arch9wavefront6targetE1EEEvT1_
                                        ; -- End function
	.section	.AMDGPU.csdata,"",@progbits
; Kernel info:
; codeLenInByte = 0
; NumSgprs: 4
; NumVgprs: 0
; NumAgprs: 0
; TotalNumVgprs: 0
; ScratchSize: 0
; MemoryBound: 0
; FloatMode: 240
; IeeeMode: 1
; LDSByteSize: 0 bytes/workgroup (compile time only)
; SGPRBlocks: 0
; VGPRBlocks: 0
; NumSGPRsForWavesPerEU: 4
; NumVGPRsForWavesPerEU: 1
; AccumOffset: 4
; Occupancy: 8
; WaveLimiterHint : 0
; COMPUTE_PGM_RSRC2:SCRATCH_EN: 0
; COMPUTE_PGM_RSRC2:USER_SGPR: 6
; COMPUTE_PGM_RSRC2:TRAP_HANDLER: 0
; COMPUTE_PGM_RSRC2:TGID_X_EN: 1
; COMPUTE_PGM_RSRC2:TGID_Y_EN: 0
; COMPUTE_PGM_RSRC2:TGID_Z_EN: 0
; COMPUTE_PGM_RSRC2:TIDIG_COMP_CNT: 0
; COMPUTE_PGM_RSRC3_GFX90A:ACCUM_OFFSET: 0
; COMPUTE_PGM_RSRC3_GFX90A:TG_SPLIT: 0
	.section	.text._ZN7rocprim17ROCPRIM_400000_NS6detail17trampoline_kernelINS0_14default_configENS1_27scan_by_key_config_selectorIssEEZZNS1_16scan_by_key_implILNS1_25lookback_scan_determinismE0ELb0ES3_N6thrust23THRUST_200600_302600_NS6detail15normal_iteratorINS9_10device_ptrIsEEEESE_SE_sNS9_10multipliesIsEENS9_8equal_toIsEEsEE10hipError_tPvRmT2_T3_T4_T5_mT6_T7_P12ihipStream_tbENKUlT_T0_E_clISt17integral_constantIbLb1EESY_IbLb0EEEEDaSU_SV_EUlSU_E_NS1_11comp_targetILNS1_3genE8ELNS1_11target_archE1030ELNS1_3gpuE2ELNS1_3repE0EEENS1_30default_config_static_selectorELNS0_4arch9wavefront6targetE1EEEvT1_,"axG",@progbits,_ZN7rocprim17ROCPRIM_400000_NS6detail17trampoline_kernelINS0_14default_configENS1_27scan_by_key_config_selectorIssEEZZNS1_16scan_by_key_implILNS1_25lookback_scan_determinismE0ELb0ES3_N6thrust23THRUST_200600_302600_NS6detail15normal_iteratorINS9_10device_ptrIsEEEESE_SE_sNS9_10multipliesIsEENS9_8equal_toIsEEsEE10hipError_tPvRmT2_T3_T4_T5_mT6_T7_P12ihipStream_tbENKUlT_T0_E_clISt17integral_constantIbLb1EESY_IbLb0EEEEDaSU_SV_EUlSU_E_NS1_11comp_targetILNS1_3genE8ELNS1_11target_archE1030ELNS1_3gpuE2ELNS1_3repE0EEENS1_30default_config_static_selectorELNS0_4arch9wavefront6targetE1EEEvT1_,comdat
	.protected	_ZN7rocprim17ROCPRIM_400000_NS6detail17trampoline_kernelINS0_14default_configENS1_27scan_by_key_config_selectorIssEEZZNS1_16scan_by_key_implILNS1_25lookback_scan_determinismE0ELb0ES3_N6thrust23THRUST_200600_302600_NS6detail15normal_iteratorINS9_10device_ptrIsEEEESE_SE_sNS9_10multipliesIsEENS9_8equal_toIsEEsEE10hipError_tPvRmT2_T3_T4_T5_mT6_T7_P12ihipStream_tbENKUlT_T0_E_clISt17integral_constantIbLb1EESY_IbLb0EEEEDaSU_SV_EUlSU_E_NS1_11comp_targetILNS1_3genE8ELNS1_11target_archE1030ELNS1_3gpuE2ELNS1_3repE0EEENS1_30default_config_static_selectorELNS0_4arch9wavefront6targetE1EEEvT1_ ; -- Begin function _ZN7rocprim17ROCPRIM_400000_NS6detail17trampoline_kernelINS0_14default_configENS1_27scan_by_key_config_selectorIssEEZZNS1_16scan_by_key_implILNS1_25lookback_scan_determinismE0ELb0ES3_N6thrust23THRUST_200600_302600_NS6detail15normal_iteratorINS9_10device_ptrIsEEEESE_SE_sNS9_10multipliesIsEENS9_8equal_toIsEEsEE10hipError_tPvRmT2_T3_T4_T5_mT6_T7_P12ihipStream_tbENKUlT_T0_E_clISt17integral_constantIbLb1EESY_IbLb0EEEEDaSU_SV_EUlSU_E_NS1_11comp_targetILNS1_3genE8ELNS1_11target_archE1030ELNS1_3gpuE2ELNS1_3repE0EEENS1_30default_config_static_selectorELNS0_4arch9wavefront6targetE1EEEvT1_
	.globl	_ZN7rocprim17ROCPRIM_400000_NS6detail17trampoline_kernelINS0_14default_configENS1_27scan_by_key_config_selectorIssEEZZNS1_16scan_by_key_implILNS1_25lookback_scan_determinismE0ELb0ES3_N6thrust23THRUST_200600_302600_NS6detail15normal_iteratorINS9_10device_ptrIsEEEESE_SE_sNS9_10multipliesIsEENS9_8equal_toIsEEsEE10hipError_tPvRmT2_T3_T4_T5_mT6_T7_P12ihipStream_tbENKUlT_T0_E_clISt17integral_constantIbLb1EESY_IbLb0EEEEDaSU_SV_EUlSU_E_NS1_11comp_targetILNS1_3genE8ELNS1_11target_archE1030ELNS1_3gpuE2ELNS1_3repE0EEENS1_30default_config_static_selectorELNS0_4arch9wavefront6targetE1EEEvT1_
	.p2align	8
	.type	_ZN7rocprim17ROCPRIM_400000_NS6detail17trampoline_kernelINS0_14default_configENS1_27scan_by_key_config_selectorIssEEZZNS1_16scan_by_key_implILNS1_25lookback_scan_determinismE0ELb0ES3_N6thrust23THRUST_200600_302600_NS6detail15normal_iteratorINS9_10device_ptrIsEEEESE_SE_sNS9_10multipliesIsEENS9_8equal_toIsEEsEE10hipError_tPvRmT2_T3_T4_T5_mT6_T7_P12ihipStream_tbENKUlT_T0_E_clISt17integral_constantIbLb1EESY_IbLb0EEEEDaSU_SV_EUlSU_E_NS1_11comp_targetILNS1_3genE8ELNS1_11target_archE1030ELNS1_3gpuE2ELNS1_3repE0EEENS1_30default_config_static_selectorELNS0_4arch9wavefront6targetE1EEEvT1_,@function
_ZN7rocprim17ROCPRIM_400000_NS6detail17trampoline_kernelINS0_14default_configENS1_27scan_by_key_config_selectorIssEEZZNS1_16scan_by_key_implILNS1_25lookback_scan_determinismE0ELb0ES3_N6thrust23THRUST_200600_302600_NS6detail15normal_iteratorINS9_10device_ptrIsEEEESE_SE_sNS9_10multipliesIsEENS9_8equal_toIsEEsEE10hipError_tPvRmT2_T3_T4_T5_mT6_T7_P12ihipStream_tbENKUlT_T0_E_clISt17integral_constantIbLb1EESY_IbLb0EEEEDaSU_SV_EUlSU_E_NS1_11comp_targetILNS1_3genE8ELNS1_11target_archE1030ELNS1_3gpuE2ELNS1_3repE0EEENS1_30default_config_static_selectorELNS0_4arch9wavefront6targetE1EEEvT1_: ; @_ZN7rocprim17ROCPRIM_400000_NS6detail17trampoline_kernelINS0_14default_configENS1_27scan_by_key_config_selectorIssEEZZNS1_16scan_by_key_implILNS1_25lookback_scan_determinismE0ELb0ES3_N6thrust23THRUST_200600_302600_NS6detail15normal_iteratorINS9_10device_ptrIsEEEESE_SE_sNS9_10multipliesIsEENS9_8equal_toIsEEsEE10hipError_tPvRmT2_T3_T4_T5_mT6_T7_P12ihipStream_tbENKUlT_T0_E_clISt17integral_constantIbLb1EESY_IbLb0EEEEDaSU_SV_EUlSU_E_NS1_11comp_targetILNS1_3genE8ELNS1_11target_archE1030ELNS1_3gpuE2ELNS1_3repE0EEENS1_30default_config_static_selectorELNS0_4arch9wavefront6targetE1EEEvT1_
; %bb.0:
	.section	.rodata,"a",@progbits
	.p2align	6, 0x0
	.amdhsa_kernel _ZN7rocprim17ROCPRIM_400000_NS6detail17trampoline_kernelINS0_14default_configENS1_27scan_by_key_config_selectorIssEEZZNS1_16scan_by_key_implILNS1_25lookback_scan_determinismE0ELb0ES3_N6thrust23THRUST_200600_302600_NS6detail15normal_iteratorINS9_10device_ptrIsEEEESE_SE_sNS9_10multipliesIsEENS9_8equal_toIsEEsEE10hipError_tPvRmT2_T3_T4_T5_mT6_T7_P12ihipStream_tbENKUlT_T0_E_clISt17integral_constantIbLb1EESY_IbLb0EEEEDaSU_SV_EUlSU_E_NS1_11comp_targetILNS1_3genE8ELNS1_11target_archE1030ELNS1_3gpuE2ELNS1_3repE0EEENS1_30default_config_static_selectorELNS0_4arch9wavefront6targetE1EEEvT1_
		.amdhsa_group_segment_fixed_size 0
		.amdhsa_private_segment_fixed_size 0
		.amdhsa_kernarg_size 112
		.amdhsa_user_sgpr_count 6
		.amdhsa_user_sgpr_private_segment_buffer 1
		.amdhsa_user_sgpr_dispatch_ptr 0
		.amdhsa_user_sgpr_queue_ptr 0
		.amdhsa_user_sgpr_kernarg_segment_ptr 1
		.amdhsa_user_sgpr_dispatch_id 0
		.amdhsa_user_sgpr_flat_scratch_init 0
		.amdhsa_user_sgpr_kernarg_preload_length 0
		.amdhsa_user_sgpr_kernarg_preload_offset 0
		.amdhsa_user_sgpr_private_segment_size 0
		.amdhsa_uses_dynamic_stack 0
		.amdhsa_system_sgpr_private_segment_wavefront_offset 0
		.amdhsa_system_sgpr_workgroup_id_x 1
		.amdhsa_system_sgpr_workgroup_id_y 0
		.amdhsa_system_sgpr_workgroup_id_z 0
		.amdhsa_system_sgpr_workgroup_info 0
		.amdhsa_system_vgpr_workitem_id 0
		.amdhsa_next_free_vgpr 1
		.amdhsa_next_free_sgpr 0
		.amdhsa_accum_offset 4
		.amdhsa_reserve_vcc 0
		.amdhsa_reserve_flat_scratch 0
		.amdhsa_float_round_mode_32 0
		.amdhsa_float_round_mode_16_64 0
		.amdhsa_float_denorm_mode_32 3
		.amdhsa_float_denorm_mode_16_64 3
		.amdhsa_dx10_clamp 1
		.amdhsa_ieee_mode 1
		.amdhsa_fp16_overflow 0
		.amdhsa_tg_split 0
		.amdhsa_exception_fp_ieee_invalid_op 0
		.amdhsa_exception_fp_denorm_src 0
		.amdhsa_exception_fp_ieee_div_zero 0
		.amdhsa_exception_fp_ieee_overflow 0
		.amdhsa_exception_fp_ieee_underflow 0
		.amdhsa_exception_fp_ieee_inexact 0
		.amdhsa_exception_int_div_zero 0
	.end_amdhsa_kernel
	.section	.text._ZN7rocprim17ROCPRIM_400000_NS6detail17trampoline_kernelINS0_14default_configENS1_27scan_by_key_config_selectorIssEEZZNS1_16scan_by_key_implILNS1_25lookback_scan_determinismE0ELb0ES3_N6thrust23THRUST_200600_302600_NS6detail15normal_iteratorINS9_10device_ptrIsEEEESE_SE_sNS9_10multipliesIsEENS9_8equal_toIsEEsEE10hipError_tPvRmT2_T3_T4_T5_mT6_T7_P12ihipStream_tbENKUlT_T0_E_clISt17integral_constantIbLb1EESY_IbLb0EEEEDaSU_SV_EUlSU_E_NS1_11comp_targetILNS1_3genE8ELNS1_11target_archE1030ELNS1_3gpuE2ELNS1_3repE0EEENS1_30default_config_static_selectorELNS0_4arch9wavefront6targetE1EEEvT1_,"axG",@progbits,_ZN7rocprim17ROCPRIM_400000_NS6detail17trampoline_kernelINS0_14default_configENS1_27scan_by_key_config_selectorIssEEZZNS1_16scan_by_key_implILNS1_25lookback_scan_determinismE0ELb0ES3_N6thrust23THRUST_200600_302600_NS6detail15normal_iteratorINS9_10device_ptrIsEEEESE_SE_sNS9_10multipliesIsEENS9_8equal_toIsEEsEE10hipError_tPvRmT2_T3_T4_T5_mT6_T7_P12ihipStream_tbENKUlT_T0_E_clISt17integral_constantIbLb1EESY_IbLb0EEEEDaSU_SV_EUlSU_E_NS1_11comp_targetILNS1_3genE8ELNS1_11target_archE1030ELNS1_3gpuE2ELNS1_3repE0EEENS1_30default_config_static_selectorELNS0_4arch9wavefront6targetE1EEEvT1_,comdat
.Lfunc_end307:
	.size	_ZN7rocprim17ROCPRIM_400000_NS6detail17trampoline_kernelINS0_14default_configENS1_27scan_by_key_config_selectorIssEEZZNS1_16scan_by_key_implILNS1_25lookback_scan_determinismE0ELb0ES3_N6thrust23THRUST_200600_302600_NS6detail15normal_iteratorINS9_10device_ptrIsEEEESE_SE_sNS9_10multipliesIsEENS9_8equal_toIsEEsEE10hipError_tPvRmT2_T3_T4_T5_mT6_T7_P12ihipStream_tbENKUlT_T0_E_clISt17integral_constantIbLb1EESY_IbLb0EEEEDaSU_SV_EUlSU_E_NS1_11comp_targetILNS1_3genE8ELNS1_11target_archE1030ELNS1_3gpuE2ELNS1_3repE0EEENS1_30default_config_static_selectorELNS0_4arch9wavefront6targetE1EEEvT1_, .Lfunc_end307-_ZN7rocprim17ROCPRIM_400000_NS6detail17trampoline_kernelINS0_14default_configENS1_27scan_by_key_config_selectorIssEEZZNS1_16scan_by_key_implILNS1_25lookback_scan_determinismE0ELb0ES3_N6thrust23THRUST_200600_302600_NS6detail15normal_iteratorINS9_10device_ptrIsEEEESE_SE_sNS9_10multipliesIsEENS9_8equal_toIsEEsEE10hipError_tPvRmT2_T3_T4_T5_mT6_T7_P12ihipStream_tbENKUlT_T0_E_clISt17integral_constantIbLb1EESY_IbLb0EEEEDaSU_SV_EUlSU_E_NS1_11comp_targetILNS1_3genE8ELNS1_11target_archE1030ELNS1_3gpuE2ELNS1_3repE0EEENS1_30default_config_static_selectorELNS0_4arch9wavefront6targetE1EEEvT1_
                                        ; -- End function
	.section	.AMDGPU.csdata,"",@progbits
; Kernel info:
; codeLenInByte = 0
; NumSgprs: 4
; NumVgprs: 0
; NumAgprs: 0
; TotalNumVgprs: 0
; ScratchSize: 0
; MemoryBound: 0
; FloatMode: 240
; IeeeMode: 1
; LDSByteSize: 0 bytes/workgroup (compile time only)
; SGPRBlocks: 0
; VGPRBlocks: 0
; NumSGPRsForWavesPerEU: 4
; NumVGPRsForWavesPerEU: 1
; AccumOffset: 4
; Occupancy: 8
; WaveLimiterHint : 0
; COMPUTE_PGM_RSRC2:SCRATCH_EN: 0
; COMPUTE_PGM_RSRC2:USER_SGPR: 6
; COMPUTE_PGM_RSRC2:TRAP_HANDLER: 0
; COMPUTE_PGM_RSRC2:TGID_X_EN: 1
; COMPUTE_PGM_RSRC2:TGID_Y_EN: 0
; COMPUTE_PGM_RSRC2:TGID_Z_EN: 0
; COMPUTE_PGM_RSRC2:TIDIG_COMP_CNT: 0
; COMPUTE_PGM_RSRC3_GFX90A:ACCUM_OFFSET: 0
; COMPUTE_PGM_RSRC3_GFX90A:TG_SPLIT: 0
	.section	.text._ZN7rocprim17ROCPRIM_400000_NS6detail17trampoline_kernelINS0_14default_configENS1_27scan_by_key_config_selectorIssEEZZNS1_16scan_by_key_implILNS1_25lookback_scan_determinismE0ELb0ES3_N6thrust23THRUST_200600_302600_NS6detail15normal_iteratorINS9_10device_ptrIsEEEESE_SE_sNS9_10multipliesIsEENS9_8equal_toIsEEsEE10hipError_tPvRmT2_T3_T4_T5_mT6_T7_P12ihipStream_tbENKUlT_T0_E_clISt17integral_constantIbLb0EESY_IbLb1EEEEDaSU_SV_EUlSU_E_NS1_11comp_targetILNS1_3genE0ELNS1_11target_archE4294967295ELNS1_3gpuE0ELNS1_3repE0EEENS1_30default_config_static_selectorELNS0_4arch9wavefront6targetE1EEEvT1_,"axG",@progbits,_ZN7rocprim17ROCPRIM_400000_NS6detail17trampoline_kernelINS0_14default_configENS1_27scan_by_key_config_selectorIssEEZZNS1_16scan_by_key_implILNS1_25lookback_scan_determinismE0ELb0ES3_N6thrust23THRUST_200600_302600_NS6detail15normal_iteratorINS9_10device_ptrIsEEEESE_SE_sNS9_10multipliesIsEENS9_8equal_toIsEEsEE10hipError_tPvRmT2_T3_T4_T5_mT6_T7_P12ihipStream_tbENKUlT_T0_E_clISt17integral_constantIbLb0EESY_IbLb1EEEEDaSU_SV_EUlSU_E_NS1_11comp_targetILNS1_3genE0ELNS1_11target_archE4294967295ELNS1_3gpuE0ELNS1_3repE0EEENS1_30default_config_static_selectorELNS0_4arch9wavefront6targetE1EEEvT1_,comdat
	.protected	_ZN7rocprim17ROCPRIM_400000_NS6detail17trampoline_kernelINS0_14default_configENS1_27scan_by_key_config_selectorIssEEZZNS1_16scan_by_key_implILNS1_25lookback_scan_determinismE0ELb0ES3_N6thrust23THRUST_200600_302600_NS6detail15normal_iteratorINS9_10device_ptrIsEEEESE_SE_sNS9_10multipliesIsEENS9_8equal_toIsEEsEE10hipError_tPvRmT2_T3_T4_T5_mT6_T7_P12ihipStream_tbENKUlT_T0_E_clISt17integral_constantIbLb0EESY_IbLb1EEEEDaSU_SV_EUlSU_E_NS1_11comp_targetILNS1_3genE0ELNS1_11target_archE4294967295ELNS1_3gpuE0ELNS1_3repE0EEENS1_30default_config_static_selectorELNS0_4arch9wavefront6targetE1EEEvT1_ ; -- Begin function _ZN7rocprim17ROCPRIM_400000_NS6detail17trampoline_kernelINS0_14default_configENS1_27scan_by_key_config_selectorIssEEZZNS1_16scan_by_key_implILNS1_25lookback_scan_determinismE0ELb0ES3_N6thrust23THRUST_200600_302600_NS6detail15normal_iteratorINS9_10device_ptrIsEEEESE_SE_sNS9_10multipliesIsEENS9_8equal_toIsEEsEE10hipError_tPvRmT2_T3_T4_T5_mT6_T7_P12ihipStream_tbENKUlT_T0_E_clISt17integral_constantIbLb0EESY_IbLb1EEEEDaSU_SV_EUlSU_E_NS1_11comp_targetILNS1_3genE0ELNS1_11target_archE4294967295ELNS1_3gpuE0ELNS1_3repE0EEENS1_30default_config_static_selectorELNS0_4arch9wavefront6targetE1EEEvT1_
	.globl	_ZN7rocprim17ROCPRIM_400000_NS6detail17trampoline_kernelINS0_14default_configENS1_27scan_by_key_config_selectorIssEEZZNS1_16scan_by_key_implILNS1_25lookback_scan_determinismE0ELb0ES3_N6thrust23THRUST_200600_302600_NS6detail15normal_iteratorINS9_10device_ptrIsEEEESE_SE_sNS9_10multipliesIsEENS9_8equal_toIsEEsEE10hipError_tPvRmT2_T3_T4_T5_mT6_T7_P12ihipStream_tbENKUlT_T0_E_clISt17integral_constantIbLb0EESY_IbLb1EEEEDaSU_SV_EUlSU_E_NS1_11comp_targetILNS1_3genE0ELNS1_11target_archE4294967295ELNS1_3gpuE0ELNS1_3repE0EEENS1_30default_config_static_selectorELNS0_4arch9wavefront6targetE1EEEvT1_
	.p2align	8
	.type	_ZN7rocprim17ROCPRIM_400000_NS6detail17trampoline_kernelINS0_14default_configENS1_27scan_by_key_config_selectorIssEEZZNS1_16scan_by_key_implILNS1_25lookback_scan_determinismE0ELb0ES3_N6thrust23THRUST_200600_302600_NS6detail15normal_iteratorINS9_10device_ptrIsEEEESE_SE_sNS9_10multipliesIsEENS9_8equal_toIsEEsEE10hipError_tPvRmT2_T3_T4_T5_mT6_T7_P12ihipStream_tbENKUlT_T0_E_clISt17integral_constantIbLb0EESY_IbLb1EEEEDaSU_SV_EUlSU_E_NS1_11comp_targetILNS1_3genE0ELNS1_11target_archE4294967295ELNS1_3gpuE0ELNS1_3repE0EEENS1_30default_config_static_selectorELNS0_4arch9wavefront6targetE1EEEvT1_,@function
_ZN7rocprim17ROCPRIM_400000_NS6detail17trampoline_kernelINS0_14default_configENS1_27scan_by_key_config_selectorIssEEZZNS1_16scan_by_key_implILNS1_25lookback_scan_determinismE0ELb0ES3_N6thrust23THRUST_200600_302600_NS6detail15normal_iteratorINS9_10device_ptrIsEEEESE_SE_sNS9_10multipliesIsEENS9_8equal_toIsEEsEE10hipError_tPvRmT2_T3_T4_T5_mT6_T7_P12ihipStream_tbENKUlT_T0_E_clISt17integral_constantIbLb0EESY_IbLb1EEEEDaSU_SV_EUlSU_E_NS1_11comp_targetILNS1_3genE0ELNS1_11target_archE4294967295ELNS1_3gpuE0ELNS1_3repE0EEENS1_30default_config_static_selectorELNS0_4arch9wavefront6targetE1EEEvT1_: ; @_ZN7rocprim17ROCPRIM_400000_NS6detail17trampoline_kernelINS0_14default_configENS1_27scan_by_key_config_selectorIssEEZZNS1_16scan_by_key_implILNS1_25lookback_scan_determinismE0ELb0ES3_N6thrust23THRUST_200600_302600_NS6detail15normal_iteratorINS9_10device_ptrIsEEEESE_SE_sNS9_10multipliesIsEENS9_8equal_toIsEEsEE10hipError_tPvRmT2_T3_T4_T5_mT6_T7_P12ihipStream_tbENKUlT_T0_E_clISt17integral_constantIbLb0EESY_IbLb1EEEEDaSU_SV_EUlSU_E_NS1_11comp_targetILNS1_3genE0ELNS1_11target_archE4294967295ELNS1_3gpuE0ELNS1_3repE0EEENS1_30default_config_static_selectorELNS0_4arch9wavefront6targetE1EEEvT1_
; %bb.0:
	.section	.rodata,"a",@progbits
	.p2align	6, 0x0
	.amdhsa_kernel _ZN7rocprim17ROCPRIM_400000_NS6detail17trampoline_kernelINS0_14default_configENS1_27scan_by_key_config_selectorIssEEZZNS1_16scan_by_key_implILNS1_25lookback_scan_determinismE0ELb0ES3_N6thrust23THRUST_200600_302600_NS6detail15normal_iteratorINS9_10device_ptrIsEEEESE_SE_sNS9_10multipliesIsEENS9_8equal_toIsEEsEE10hipError_tPvRmT2_T3_T4_T5_mT6_T7_P12ihipStream_tbENKUlT_T0_E_clISt17integral_constantIbLb0EESY_IbLb1EEEEDaSU_SV_EUlSU_E_NS1_11comp_targetILNS1_3genE0ELNS1_11target_archE4294967295ELNS1_3gpuE0ELNS1_3repE0EEENS1_30default_config_static_selectorELNS0_4arch9wavefront6targetE1EEEvT1_
		.amdhsa_group_segment_fixed_size 0
		.amdhsa_private_segment_fixed_size 0
		.amdhsa_kernarg_size 112
		.amdhsa_user_sgpr_count 6
		.amdhsa_user_sgpr_private_segment_buffer 1
		.amdhsa_user_sgpr_dispatch_ptr 0
		.amdhsa_user_sgpr_queue_ptr 0
		.amdhsa_user_sgpr_kernarg_segment_ptr 1
		.amdhsa_user_sgpr_dispatch_id 0
		.amdhsa_user_sgpr_flat_scratch_init 0
		.amdhsa_user_sgpr_kernarg_preload_length 0
		.amdhsa_user_sgpr_kernarg_preload_offset 0
		.amdhsa_user_sgpr_private_segment_size 0
		.amdhsa_uses_dynamic_stack 0
		.amdhsa_system_sgpr_private_segment_wavefront_offset 0
		.amdhsa_system_sgpr_workgroup_id_x 1
		.amdhsa_system_sgpr_workgroup_id_y 0
		.amdhsa_system_sgpr_workgroup_id_z 0
		.amdhsa_system_sgpr_workgroup_info 0
		.amdhsa_system_vgpr_workitem_id 0
		.amdhsa_next_free_vgpr 1
		.amdhsa_next_free_sgpr 0
		.amdhsa_accum_offset 4
		.amdhsa_reserve_vcc 0
		.amdhsa_reserve_flat_scratch 0
		.amdhsa_float_round_mode_32 0
		.amdhsa_float_round_mode_16_64 0
		.amdhsa_float_denorm_mode_32 3
		.amdhsa_float_denorm_mode_16_64 3
		.amdhsa_dx10_clamp 1
		.amdhsa_ieee_mode 1
		.amdhsa_fp16_overflow 0
		.amdhsa_tg_split 0
		.amdhsa_exception_fp_ieee_invalid_op 0
		.amdhsa_exception_fp_denorm_src 0
		.amdhsa_exception_fp_ieee_div_zero 0
		.amdhsa_exception_fp_ieee_overflow 0
		.amdhsa_exception_fp_ieee_underflow 0
		.amdhsa_exception_fp_ieee_inexact 0
		.amdhsa_exception_int_div_zero 0
	.end_amdhsa_kernel
	.section	.text._ZN7rocprim17ROCPRIM_400000_NS6detail17trampoline_kernelINS0_14default_configENS1_27scan_by_key_config_selectorIssEEZZNS1_16scan_by_key_implILNS1_25lookback_scan_determinismE0ELb0ES3_N6thrust23THRUST_200600_302600_NS6detail15normal_iteratorINS9_10device_ptrIsEEEESE_SE_sNS9_10multipliesIsEENS9_8equal_toIsEEsEE10hipError_tPvRmT2_T3_T4_T5_mT6_T7_P12ihipStream_tbENKUlT_T0_E_clISt17integral_constantIbLb0EESY_IbLb1EEEEDaSU_SV_EUlSU_E_NS1_11comp_targetILNS1_3genE0ELNS1_11target_archE4294967295ELNS1_3gpuE0ELNS1_3repE0EEENS1_30default_config_static_selectorELNS0_4arch9wavefront6targetE1EEEvT1_,"axG",@progbits,_ZN7rocprim17ROCPRIM_400000_NS6detail17trampoline_kernelINS0_14default_configENS1_27scan_by_key_config_selectorIssEEZZNS1_16scan_by_key_implILNS1_25lookback_scan_determinismE0ELb0ES3_N6thrust23THRUST_200600_302600_NS6detail15normal_iteratorINS9_10device_ptrIsEEEESE_SE_sNS9_10multipliesIsEENS9_8equal_toIsEEsEE10hipError_tPvRmT2_T3_T4_T5_mT6_T7_P12ihipStream_tbENKUlT_T0_E_clISt17integral_constantIbLb0EESY_IbLb1EEEEDaSU_SV_EUlSU_E_NS1_11comp_targetILNS1_3genE0ELNS1_11target_archE4294967295ELNS1_3gpuE0ELNS1_3repE0EEENS1_30default_config_static_selectorELNS0_4arch9wavefront6targetE1EEEvT1_,comdat
.Lfunc_end308:
	.size	_ZN7rocprim17ROCPRIM_400000_NS6detail17trampoline_kernelINS0_14default_configENS1_27scan_by_key_config_selectorIssEEZZNS1_16scan_by_key_implILNS1_25lookback_scan_determinismE0ELb0ES3_N6thrust23THRUST_200600_302600_NS6detail15normal_iteratorINS9_10device_ptrIsEEEESE_SE_sNS9_10multipliesIsEENS9_8equal_toIsEEsEE10hipError_tPvRmT2_T3_T4_T5_mT6_T7_P12ihipStream_tbENKUlT_T0_E_clISt17integral_constantIbLb0EESY_IbLb1EEEEDaSU_SV_EUlSU_E_NS1_11comp_targetILNS1_3genE0ELNS1_11target_archE4294967295ELNS1_3gpuE0ELNS1_3repE0EEENS1_30default_config_static_selectorELNS0_4arch9wavefront6targetE1EEEvT1_, .Lfunc_end308-_ZN7rocprim17ROCPRIM_400000_NS6detail17trampoline_kernelINS0_14default_configENS1_27scan_by_key_config_selectorIssEEZZNS1_16scan_by_key_implILNS1_25lookback_scan_determinismE0ELb0ES3_N6thrust23THRUST_200600_302600_NS6detail15normal_iteratorINS9_10device_ptrIsEEEESE_SE_sNS9_10multipliesIsEENS9_8equal_toIsEEsEE10hipError_tPvRmT2_T3_T4_T5_mT6_T7_P12ihipStream_tbENKUlT_T0_E_clISt17integral_constantIbLb0EESY_IbLb1EEEEDaSU_SV_EUlSU_E_NS1_11comp_targetILNS1_3genE0ELNS1_11target_archE4294967295ELNS1_3gpuE0ELNS1_3repE0EEENS1_30default_config_static_selectorELNS0_4arch9wavefront6targetE1EEEvT1_
                                        ; -- End function
	.section	.AMDGPU.csdata,"",@progbits
; Kernel info:
; codeLenInByte = 0
; NumSgprs: 4
; NumVgprs: 0
; NumAgprs: 0
; TotalNumVgprs: 0
; ScratchSize: 0
; MemoryBound: 0
; FloatMode: 240
; IeeeMode: 1
; LDSByteSize: 0 bytes/workgroup (compile time only)
; SGPRBlocks: 0
; VGPRBlocks: 0
; NumSGPRsForWavesPerEU: 4
; NumVGPRsForWavesPerEU: 1
; AccumOffset: 4
; Occupancy: 8
; WaveLimiterHint : 0
; COMPUTE_PGM_RSRC2:SCRATCH_EN: 0
; COMPUTE_PGM_RSRC2:USER_SGPR: 6
; COMPUTE_PGM_RSRC2:TRAP_HANDLER: 0
; COMPUTE_PGM_RSRC2:TGID_X_EN: 1
; COMPUTE_PGM_RSRC2:TGID_Y_EN: 0
; COMPUTE_PGM_RSRC2:TGID_Z_EN: 0
; COMPUTE_PGM_RSRC2:TIDIG_COMP_CNT: 0
; COMPUTE_PGM_RSRC3_GFX90A:ACCUM_OFFSET: 0
; COMPUTE_PGM_RSRC3_GFX90A:TG_SPLIT: 0
	.section	.text._ZN7rocprim17ROCPRIM_400000_NS6detail17trampoline_kernelINS0_14default_configENS1_27scan_by_key_config_selectorIssEEZZNS1_16scan_by_key_implILNS1_25lookback_scan_determinismE0ELb0ES3_N6thrust23THRUST_200600_302600_NS6detail15normal_iteratorINS9_10device_ptrIsEEEESE_SE_sNS9_10multipliesIsEENS9_8equal_toIsEEsEE10hipError_tPvRmT2_T3_T4_T5_mT6_T7_P12ihipStream_tbENKUlT_T0_E_clISt17integral_constantIbLb0EESY_IbLb1EEEEDaSU_SV_EUlSU_E_NS1_11comp_targetILNS1_3genE10ELNS1_11target_archE1201ELNS1_3gpuE5ELNS1_3repE0EEENS1_30default_config_static_selectorELNS0_4arch9wavefront6targetE1EEEvT1_,"axG",@progbits,_ZN7rocprim17ROCPRIM_400000_NS6detail17trampoline_kernelINS0_14default_configENS1_27scan_by_key_config_selectorIssEEZZNS1_16scan_by_key_implILNS1_25lookback_scan_determinismE0ELb0ES3_N6thrust23THRUST_200600_302600_NS6detail15normal_iteratorINS9_10device_ptrIsEEEESE_SE_sNS9_10multipliesIsEENS9_8equal_toIsEEsEE10hipError_tPvRmT2_T3_T4_T5_mT6_T7_P12ihipStream_tbENKUlT_T0_E_clISt17integral_constantIbLb0EESY_IbLb1EEEEDaSU_SV_EUlSU_E_NS1_11comp_targetILNS1_3genE10ELNS1_11target_archE1201ELNS1_3gpuE5ELNS1_3repE0EEENS1_30default_config_static_selectorELNS0_4arch9wavefront6targetE1EEEvT1_,comdat
	.protected	_ZN7rocprim17ROCPRIM_400000_NS6detail17trampoline_kernelINS0_14default_configENS1_27scan_by_key_config_selectorIssEEZZNS1_16scan_by_key_implILNS1_25lookback_scan_determinismE0ELb0ES3_N6thrust23THRUST_200600_302600_NS6detail15normal_iteratorINS9_10device_ptrIsEEEESE_SE_sNS9_10multipliesIsEENS9_8equal_toIsEEsEE10hipError_tPvRmT2_T3_T4_T5_mT6_T7_P12ihipStream_tbENKUlT_T0_E_clISt17integral_constantIbLb0EESY_IbLb1EEEEDaSU_SV_EUlSU_E_NS1_11comp_targetILNS1_3genE10ELNS1_11target_archE1201ELNS1_3gpuE5ELNS1_3repE0EEENS1_30default_config_static_selectorELNS0_4arch9wavefront6targetE1EEEvT1_ ; -- Begin function _ZN7rocprim17ROCPRIM_400000_NS6detail17trampoline_kernelINS0_14default_configENS1_27scan_by_key_config_selectorIssEEZZNS1_16scan_by_key_implILNS1_25lookback_scan_determinismE0ELb0ES3_N6thrust23THRUST_200600_302600_NS6detail15normal_iteratorINS9_10device_ptrIsEEEESE_SE_sNS9_10multipliesIsEENS9_8equal_toIsEEsEE10hipError_tPvRmT2_T3_T4_T5_mT6_T7_P12ihipStream_tbENKUlT_T0_E_clISt17integral_constantIbLb0EESY_IbLb1EEEEDaSU_SV_EUlSU_E_NS1_11comp_targetILNS1_3genE10ELNS1_11target_archE1201ELNS1_3gpuE5ELNS1_3repE0EEENS1_30default_config_static_selectorELNS0_4arch9wavefront6targetE1EEEvT1_
	.globl	_ZN7rocprim17ROCPRIM_400000_NS6detail17trampoline_kernelINS0_14default_configENS1_27scan_by_key_config_selectorIssEEZZNS1_16scan_by_key_implILNS1_25lookback_scan_determinismE0ELb0ES3_N6thrust23THRUST_200600_302600_NS6detail15normal_iteratorINS9_10device_ptrIsEEEESE_SE_sNS9_10multipliesIsEENS9_8equal_toIsEEsEE10hipError_tPvRmT2_T3_T4_T5_mT6_T7_P12ihipStream_tbENKUlT_T0_E_clISt17integral_constantIbLb0EESY_IbLb1EEEEDaSU_SV_EUlSU_E_NS1_11comp_targetILNS1_3genE10ELNS1_11target_archE1201ELNS1_3gpuE5ELNS1_3repE0EEENS1_30default_config_static_selectorELNS0_4arch9wavefront6targetE1EEEvT1_
	.p2align	8
	.type	_ZN7rocprim17ROCPRIM_400000_NS6detail17trampoline_kernelINS0_14default_configENS1_27scan_by_key_config_selectorIssEEZZNS1_16scan_by_key_implILNS1_25lookback_scan_determinismE0ELb0ES3_N6thrust23THRUST_200600_302600_NS6detail15normal_iteratorINS9_10device_ptrIsEEEESE_SE_sNS9_10multipliesIsEENS9_8equal_toIsEEsEE10hipError_tPvRmT2_T3_T4_T5_mT6_T7_P12ihipStream_tbENKUlT_T0_E_clISt17integral_constantIbLb0EESY_IbLb1EEEEDaSU_SV_EUlSU_E_NS1_11comp_targetILNS1_3genE10ELNS1_11target_archE1201ELNS1_3gpuE5ELNS1_3repE0EEENS1_30default_config_static_selectorELNS0_4arch9wavefront6targetE1EEEvT1_,@function
_ZN7rocprim17ROCPRIM_400000_NS6detail17trampoline_kernelINS0_14default_configENS1_27scan_by_key_config_selectorIssEEZZNS1_16scan_by_key_implILNS1_25lookback_scan_determinismE0ELb0ES3_N6thrust23THRUST_200600_302600_NS6detail15normal_iteratorINS9_10device_ptrIsEEEESE_SE_sNS9_10multipliesIsEENS9_8equal_toIsEEsEE10hipError_tPvRmT2_T3_T4_T5_mT6_T7_P12ihipStream_tbENKUlT_T0_E_clISt17integral_constantIbLb0EESY_IbLb1EEEEDaSU_SV_EUlSU_E_NS1_11comp_targetILNS1_3genE10ELNS1_11target_archE1201ELNS1_3gpuE5ELNS1_3repE0EEENS1_30default_config_static_selectorELNS0_4arch9wavefront6targetE1EEEvT1_: ; @_ZN7rocprim17ROCPRIM_400000_NS6detail17trampoline_kernelINS0_14default_configENS1_27scan_by_key_config_selectorIssEEZZNS1_16scan_by_key_implILNS1_25lookback_scan_determinismE0ELb0ES3_N6thrust23THRUST_200600_302600_NS6detail15normal_iteratorINS9_10device_ptrIsEEEESE_SE_sNS9_10multipliesIsEENS9_8equal_toIsEEsEE10hipError_tPvRmT2_T3_T4_T5_mT6_T7_P12ihipStream_tbENKUlT_T0_E_clISt17integral_constantIbLb0EESY_IbLb1EEEEDaSU_SV_EUlSU_E_NS1_11comp_targetILNS1_3genE10ELNS1_11target_archE1201ELNS1_3gpuE5ELNS1_3repE0EEENS1_30default_config_static_selectorELNS0_4arch9wavefront6targetE1EEEvT1_
; %bb.0:
	.section	.rodata,"a",@progbits
	.p2align	6, 0x0
	.amdhsa_kernel _ZN7rocprim17ROCPRIM_400000_NS6detail17trampoline_kernelINS0_14default_configENS1_27scan_by_key_config_selectorIssEEZZNS1_16scan_by_key_implILNS1_25lookback_scan_determinismE0ELb0ES3_N6thrust23THRUST_200600_302600_NS6detail15normal_iteratorINS9_10device_ptrIsEEEESE_SE_sNS9_10multipliesIsEENS9_8equal_toIsEEsEE10hipError_tPvRmT2_T3_T4_T5_mT6_T7_P12ihipStream_tbENKUlT_T0_E_clISt17integral_constantIbLb0EESY_IbLb1EEEEDaSU_SV_EUlSU_E_NS1_11comp_targetILNS1_3genE10ELNS1_11target_archE1201ELNS1_3gpuE5ELNS1_3repE0EEENS1_30default_config_static_selectorELNS0_4arch9wavefront6targetE1EEEvT1_
		.amdhsa_group_segment_fixed_size 0
		.amdhsa_private_segment_fixed_size 0
		.amdhsa_kernarg_size 112
		.amdhsa_user_sgpr_count 6
		.amdhsa_user_sgpr_private_segment_buffer 1
		.amdhsa_user_sgpr_dispatch_ptr 0
		.amdhsa_user_sgpr_queue_ptr 0
		.amdhsa_user_sgpr_kernarg_segment_ptr 1
		.amdhsa_user_sgpr_dispatch_id 0
		.amdhsa_user_sgpr_flat_scratch_init 0
		.amdhsa_user_sgpr_kernarg_preload_length 0
		.amdhsa_user_sgpr_kernarg_preload_offset 0
		.amdhsa_user_sgpr_private_segment_size 0
		.amdhsa_uses_dynamic_stack 0
		.amdhsa_system_sgpr_private_segment_wavefront_offset 0
		.amdhsa_system_sgpr_workgroup_id_x 1
		.amdhsa_system_sgpr_workgroup_id_y 0
		.amdhsa_system_sgpr_workgroup_id_z 0
		.amdhsa_system_sgpr_workgroup_info 0
		.amdhsa_system_vgpr_workitem_id 0
		.amdhsa_next_free_vgpr 1
		.amdhsa_next_free_sgpr 0
		.amdhsa_accum_offset 4
		.amdhsa_reserve_vcc 0
		.amdhsa_reserve_flat_scratch 0
		.amdhsa_float_round_mode_32 0
		.amdhsa_float_round_mode_16_64 0
		.amdhsa_float_denorm_mode_32 3
		.amdhsa_float_denorm_mode_16_64 3
		.amdhsa_dx10_clamp 1
		.amdhsa_ieee_mode 1
		.amdhsa_fp16_overflow 0
		.amdhsa_tg_split 0
		.amdhsa_exception_fp_ieee_invalid_op 0
		.amdhsa_exception_fp_denorm_src 0
		.amdhsa_exception_fp_ieee_div_zero 0
		.amdhsa_exception_fp_ieee_overflow 0
		.amdhsa_exception_fp_ieee_underflow 0
		.amdhsa_exception_fp_ieee_inexact 0
		.amdhsa_exception_int_div_zero 0
	.end_amdhsa_kernel
	.section	.text._ZN7rocprim17ROCPRIM_400000_NS6detail17trampoline_kernelINS0_14default_configENS1_27scan_by_key_config_selectorIssEEZZNS1_16scan_by_key_implILNS1_25lookback_scan_determinismE0ELb0ES3_N6thrust23THRUST_200600_302600_NS6detail15normal_iteratorINS9_10device_ptrIsEEEESE_SE_sNS9_10multipliesIsEENS9_8equal_toIsEEsEE10hipError_tPvRmT2_T3_T4_T5_mT6_T7_P12ihipStream_tbENKUlT_T0_E_clISt17integral_constantIbLb0EESY_IbLb1EEEEDaSU_SV_EUlSU_E_NS1_11comp_targetILNS1_3genE10ELNS1_11target_archE1201ELNS1_3gpuE5ELNS1_3repE0EEENS1_30default_config_static_selectorELNS0_4arch9wavefront6targetE1EEEvT1_,"axG",@progbits,_ZN7rocprim17ROCPRIM_400000_NS6detail17trampoline_kernelINS0_14default_configENS1_27scan_by_key_config_selectorIssEEZZNS1_16scan_by_key_implILNS1_25lookback_scan_determinismE0ELb0ES3_N6thrust23THRUST_200600_302600_NS6detail15normal_iteratorINS9_10device_ptrIsEEEESE_SE_sNS9_10multipliesIsEENS9_8equal_toIsEEsEE10hipError_tPvRmT2_T3_T4_T5_mT6_T7_P12ihipStream_tbENKUlT_T0_E_clISt17integral_constantIbLb0EESY_IbLb1EEEEDaSU_SV_EUlSU_E_NS1_11comp_targetILNS1_3genE10ELNS1_11target_archE1201ELNS1_3gpuE5ELNS1_3repE0EEENS1_30default_config_static_selectorELNS0_4arch9wavefront6targetE1EEEvT1_,comdat
.Lfunc_end309:
	.size	_ZN7rocprim17ROCPRIM_400000_NS6detail17trampoline_kernelINS0_14default_configENS1_27scan_by_key_config_selectorIssEEZZNS1_16scan_by_key_implILNS1_25lookback_scan_determinismE0ELb0ES3_N6thrust23THRUST_200600_302600_NS6detail15normal_iteratorINS9_10device_ptrIsEEEESE_SE_sNS9_10multipliesIsEENS9_8equal_toIsEEsEE10hipError_tPvRmT2_T3_T4_T5_mT6_T7_P12ihipStream_tbENKUlT_T0_E_clISt17integral_constantIbLb0EESY_IbLb1EEEEDaSU_SV_EUlSU_E_NS1_11comp_targetILNS1_3genE10ELNS1_11target_archE1201ELNS1_3gpuE5ELNS1_3repE0EEENS1_30default_config_static_selectorELNS0_4arch9wavefront6targetE1EEEvT1_, .Lfunc_end309-_ZN7rocprim17ROCPRIM_400000_NS6detail17trampoline_kernelINS0_14default_configENS1_27scan_by_key_config_selectorIssEEZZNS1_16scan_by_key_implILNS1_25lookback_scan_determinismE0ELb0ES3_N6thrust23THRUST_200600_302600_NS6detail15normal_iteratorINS9_10device_ptrIsEEEESE_SE_sNS9_10multipliesIsEENS9_8equal_toIsEEsEE10hipError_tPvRmT2_T3_T4_T5_mT6_T7_P12ihipStream_tbENKUlT_T0_E_clISt17integral_constantIbLb0EESY_IbLb1EEEEDaSU_SV_EUlSU_E_NS1_11comp_targetILNS1_3genE10ELNS1_11target_archE1201ELNS1_3gpuE5ELNS1_3repE0EEENS1_30default_config_static_selectorELNS0_4arch9wavefront6targetE1EEEvT1_
                                        ; -- End function
	.section	.AMDGPU.csdata,"",@progbits
; Kernel info:
; codeLenInByte = 0
; NumSgprs: 4
; NumVgprs: 0
; NumAgprs: 0
; TotalNumVgprs: 0
; ScratchSize: 0
; MemoryBound: 0
; FloatMode: 240
; IeeeMode: 1
; LDSByteSize: 0 bytes/workgroup (compile time only)
; SGPRBlocks: 0
; VGPRBlocks: 0
; NumSGPRsForWavesPerEU: 4
; NumVGPRsForWavesPerEU: 1
; AccumOffset: 4
; Occupancy: 8
; WaveLimiterHint : 0
; COMPUTE_PGM_RSRC2:SCRATCH_EN: 0
; COMPUTE_PGM_RSRC2:USER_SGPR: 6
; COMPUTE_PGM_RSRC2:TRAP_HANDLER: 0
; COMPUTE_PGM_RSRC2:TGID_X_EN: 1
; COMPUTE_PGM_RSRC2:TGID_Y_EN: 0
; COMPUTE_PGM_RSRC2:TGID_Z_EN: 0
; COMPUTE_PGM_RSRC2:TIDIG_COMP_CNT: 0
; COMPUTE_PGM_RSRC3_GFX90A:ACCUM_OFFSET: 0
; COMPUTE_PGM_RSRC3_GFX90A:TG_SPLIT: 0
	.section	.text._ZN7rocprim17ROCPRIM_400000_NS6detail17trampoline_kernelINS0_14default_configENS1_27scan_by_key_config_selectorIssEEZZNS1_16scan_by_key_implILNS1_25lookback_scan_determinismE0ELb0ES3_N6thrust23THRUST_200600_302600_NS6detail15normal_iteratorINS9_10device_ptrIsEEEESE_SE_sNS9_10multipliesIsEENS9_8equal_toIsEEsEE10hipError_tPvRmT2_T3_T4_T5_mT6_T7_P12ihipStream_tbENKUlT_T0_E_clISt17integral_constantIbLb0EESY_IbLb1EEEEDaSU_SV_EUlSU_E_NS1_11comp_targetILNS1_3genE5ELNS1_11target_archE942ELNS1_3gpuE9ELNS1_3repE0EEENS1_30default_config_static_selectorELNS0_4arch9wavefront6targetE1EEEvT1_,"axG",@progbits,_ZN7rocprim17ROCPRIM_400000_NS6detail17trampoline_kernelINS0_14default_configENS1_27scan_by_key_config_selectorIssEEZZNS1_16scan_by_key_implILNS1_25lookback_scan_determinismE0ELb0ES3_N6thrust23THRUST_200600_302600_NS6detail15normal_iteratorINS9_10device_ptrIsEEEESE_SE_sNS9_10multipliesIsEENS9_8equal_toIsEEsEE10hipError_tPvRmT2_T3_T4_T5_mT6_T7_P12ihipStream_tbENKUlT_T0_E_clISt17integral_constantIbLb0EESY_IbLb1EEEEDaSU_SV_EUlSU_E_NS1_11comp_targetILNS1_3genE5ELNS1_11target_archE942ELNS1_3gpuE9ELNS1_3repE0EEENS1_30default_config_static_selectorELNS0_4arch9wavefront6targetE1EEEvT1_,comdat
	.protected	_ZN7rocprim17ROCPRIM_400000_NS6detail17trampoline_kernelINS0_14default_configENS1_27scan_by_key_config_selectorIssEEZZNS1_16scan_by_key_implILNS1_25lookback_scan_determinismE0ELb0ES3_N6thrust23THRUST_200600_302600_NS6detail15normal_iteratorINS9_10device_ptrIsEEEESE_SE_sNS9_10multipliesIsEENS9_8equal_toIsEEsEE10hipError_tPvRmT2_T3_T4_T5_mT6_T7_P12ihipStream_tbENKUlT_T0_E_clISt17integral_constantIbLb0EESY_IbLb1EEEEDaSU_SV_EUlSU_E_NS1_11comp_targetILNS1_3genE5ELNS1_11target_archE942ELNS1_3gpuE9ELNS1_3repE0EEENS1_30default_config_static_selectorELNS0_4arch9wavefront6targetE1EEEvT1_ ; -- Begin function _ZN7rocprim17ROCPRIM_400000_NS6detail17trampoline_kernelINS0_14default_configENS1_27scan_by_key_config_selectorIssEEZZNS1_16scan_by_key_implILNS1_25lookback_scan_determinismE0ELb0ES3_N6thrust23THRUST_200600_302600_NS6detail15normal_iteratorINS9_10device_ptrIsEEEESE_SE_sNS9_10multipliesIsEENS9_8equal_toIsEEsEE10hipError_tPvRmT2_T3_T4_T5_mT6_T7_P12ihipStream_tbENKUlT_T0_E_clISt17integral_constantIbLb0EESY_IbLb1EEEEDaSU_SV_EUlSU_E_NS1_11comp_targetILNS1_3genE5ELNS1_11target_archE942ELNS1_3gpuE9ELNS1_3repE0EEENS1_30default_config_static_selectorELNS0_4arch9wavefront6targetE1EEEvT1_
	.globl	_ZN7rocprim17ROCPRIM_400000_NS6detail17trampoline_kernelINS0_14default_configENS1_27scan_by_key_config_selectorIssEEZZNS1_16scan_by_key_implILNS1_25lookback_scan_determinismE0ELb0ES3_N6thrust23THRUST_200600_302600_NS6detail15normal_iteratorINS9_10device_ptrIsEEEESE_SE_sNS9_10multipliesIsEENS9_8equal_toIsEEsEE10hipError_tPvRmT2_T3_T4_T5_mT6_T7_P12ihipStream_tbENKUlT_T0_E_clISt17integral_constantIbLb0EESY_IbLb1EEEEDaSU_SV_EUlSU_E_NS1_11comp_targetILNS1_3genE5ELNS1_11target_archE942ELNS1_3gpuE9ELNS1_3repE0EEENS1_30default_config_static_selectorELNS0_4arch9wavefront6targetE1EEEvT1_
	.p2align	8
	.type	_ZN7rocprim17ROCPRIM_400000_NS6detail17trampoline_kernelINS0_14default_configENS1_27scan_by_key_config_selectorIssEEZZNS1_16scan_by_key_implILNS1_25lookback_scan_determinismE0ELb0ES3_N6thrust23THRUST_200600_302600_NS6detail15normal_iteratorINS9_10device_ptrIsEEEESE_SE_sNS9_10multipliesIsEENS9_8equal_toIsEEsEE10hipError_tPvRmT2_T3_T4_T5_mT6_T7_P12ihipStream_tbENKUlT_T0_E_clISt17integral_constantIbLb0EESY_IbLb1EEEEDaSU_SV_EUlSU_E_NS1_11comp_targetILNS1_3genE5ELNS1_11target_archE942ELNS1_3gpuE9ELNS1_3repE0EEENS1_30default_config_static_selectorELNS0_4arch9wavefront6targetE1EEEvT1_,@function
_ZN7rocprim17ROCPRIM_400000_NS6detail17trampoline_kernelINS0_14default_configENS1_27scan_by_key_config_selectorIssEEZZNS1_16scan_by_key_implILNS1_25lookback_scan_determinismE0ELb0ES3_N6thrust23THRUST_200600_302600_NS6detail15normal_iteratorINS9_10device_ptrIsEEEESE_SE_sNS9_10multipliesIsEENS9_8equal_toIsEEsEE10hipError_tPvRmT2_T3_T4_T5_mT6_T7_P12ihipStream_tbENKUlT_T0_E_clISt17integral_constantIbLb0EESY_IbLb1EEEEDaSU_SV_EUlSU_E_NS1_11comp_targetILNS1_3genE5ELNS1_11target_archE942ELNS1_3gpuE9ELNS1_3repE0EEENS1_30default_config_static_selectorELNS0_4arch9wavefront6targetE1EEEvT1_: ; @_ZN7rocprim17ROCPRIM_400000_NS6detail17trampoline_kernelINS0_14default_configENS1_27scan_by_key_config_selectorIssEEZZNS1_16scan_by_key_implILNS1_25lookback_scan_determinismE0ELb0ES3_N6thrust23THRUST_200600_302600_NS6detail15normal_iteratorINS9_10device_ptrIsEEEESE_SE_sNS9_10multipliesIsEENS9_8equal_toIsEEsEE10hipError_tPvRmT2_T3_T4_T5_mT6_T7_P12ihipStream_tbENKUlT_T0_E_clISt17integral_constantIbLb0EESY_IbLb1EEEEDaSU_SV_EUlSU_E_NS1_11comp_targetILNS1_3genE5ELNS1_11target_archE942ELNS1_3gpuE9ELNS1_3repE0EEENS1_30default_config_static_selectorELNS0_4arch9wavefront6targetE1EEEvT1_
; %bb.0:
	.section	.rodata,"a",@progbits
	.p2align	6, 0x0
	.amdhsa_kernel _ZN7rocprim17ROCPRIM_400000_NS6detail17trampoline_kernelINS0_14default_configENS1_27scan_by_key_config_selectorIssEEZZNS1_16scan_by_key_implILNS1_25lookback_scan_determinismE0ELb0ES3_N6thrust23THRUST_200600_302600_NS6detail15normal_iteratorINS9_10device_ptrIsEEEESE_SE_sNS9_10multipliesIsEENS9_8equal_toIsEEsEE10hipError_tPvRmT2_T3_T4_T5_mT6_T7_P12ihipStream_tbENKUlT_T0_E_clISt17integral_constantIbLb0EESY_IbLb1EEEEDaSU_SV_EUlSU_E_NS1_11comp_targetILNS1_3genE5ELNS1_11target_archE942ELNS1_3gpuE9ELNS1_3repE0EEENS1_30default_config_static_selectorELNS0_4arch9wavefront6targetE1EEEvT1_
		.amdhsa_group_segment_fixed_size 0
		.amdhsa_private_segment_fixed_size 0
		.amdhsa_kernarg_size 112
		.amdhsa_user_sgpr_count 6
		.amdhsa_user_sgpr_private_segment_buffer 1
		.amdhsa_user_sgpr_dispatch_ptr 0
		.amdhsa_user_sgpr_queue_ptr 0
		.amdhsa_user_sgpr_kernarg_segment_ptr 1
		.amdhsa_user_sgpr_dispatch_id 0
		.amdhsa_user_sgpr_flat_scratch_init 0
		.amdhsa_user_sgpr_kernarg_preload_length 0
		.amdhsa_user_sgpr_kernarg_preload_offset 0
		.amdhsa_user_sgpr_private_segment_size 0
		.amdhsa_uses_dynamic_stack 0
		.amdhsa_system_sgpr_private_segment_wavefront_offset 0
		.amdhsa_system_sgpr_workgroup_id_x 1
		.amdhsa_system_sgpr_workgroup_id_y 0
		.amdhsa_system_sgpr_workgroup_id_z 0
		.amdhsa_system_sgpr_workgroup_info 0
		.amdhsa_system_vgpr_workitem_id 0
		.amdhsa_next_free_vgpr 1
		.amdhsa_next_free_sgpr 0
		.amdhsa_accum_offset 4
		.amdhsa_reserve_vcc 0
		.amdhsa_reserve_flat_scratch 0
		.amdhsa_float_round_mode_32 0
		.amdhsa_float_round_mode_16_64 0
		.amdhsa_float_denorm_mode_32 3
		.amdhsa_float_denorm_mode_16_64 3
		.amdhsa_dx10_clamp 1
		.amdhsa_ieee_mode 1
		.amdhsa_fp16_overflow 0
		.amdhsa_tg_split 0
		.amdhsa_exception_fp_ieee_invalid_op 0
		.amdhsa_exception_fp_denorm_src 0
		.amdhsa_exception_fp_ieee_div_zero 0
		.amdhsa_exception_fp_ieee_overflow 0
		.amdhsa_exception_fp_ieee_underflow 0
		.amdhsa_exception_fp_ieee_inexact 0
		.amdhsa_exception_int_div_zero 0
	.end_amdhsa_kernel
	.section	.text._ZN7rocprim17ROCPRIM_400000_NS6detail17trampoline_kernelINS0_14default_configENS1_27scan_by_key_config_selectorIssEEZZNS1_16scan_by_key_implILNS1_25lookback_scan_determinismE0ELb0ES3_N6thrust23THRUST_200600_302600_NS6detail15normal_iteratorINS9_10device_ptrIsEEEESE_SE_sNS9_10multipliesIsEENS9_8equal_toIsEEsEE10hipError_tPvRmT2_T3_T4_T5_mT6_T7_P12ihipStream_tbENKUlT_T0_E_clISt17integral_constantIbLb0EESY_IbLb1EEEEDaSU_SV_EUlSU_E_NS1_11comp_targetILNS1_3genE5ELNS1_11target_archE942ELNS1_3gpuE9ELNS1_3repE0EEENS1_30default_config_static_selectorELNS0_4arch9wavefront6targetE1EEEvT1_,"axG",@progbits,_ZN7rocprim17ROCPRIM_400000_NS6detail17trampoline_kernelINS0_14default_configENS1_27scan_by_key_config_selectorIssEEZZNS1_16scan_by_key_implILNS1_25lookback_scan_determinismE0ELb0ES3_N6thrust23THRUST_200600_302600_NS6detail15normal_iteratorINS9_10device_ptrIsEEEESE_SE_sNS9_10multipliesIsEENS9_8equal_toIsEEsEE10hipError_tPvRmT2_T3_T4_T5_mT6_T7_P12ihipStream_tbENKUlT_T0_E_clISt17integral_constantIbLb0EESY_IbLb1EEEEDaSU_SV_EUlSU_E_NS1_11comp_targetILNS1_3genE5ELNS1_11target_archE942ELNS1_3gpuE9ELNS1_3repE0EEENS1_30default_config_static_selectorELNS0_4arch9wavefront6targetE1EEEvT1_,comdat
.Lfunc_end310:
	.size	_ZN7rocprim17ROCPRIM_400000_NS6detail17trampoline_kernelINS0_14default_configENS1_27scan_by_key_config_selectorIssEEZZNS1_16scan_by_key_implILNS1_25lookback_scan_determinismE0ELb0ES3_N6thrust23THRUST_200600_302600_NS6detail15normal_iteratorINS9_10device_ptrIsEEEESE_SE_sNS9_10multipliesIsEENS9_8equal_toIsEEsEE10hipError_tPvRmT2_T3_T4_T5_mT6_T7_P12ihipStream_tbENKUlT_T0_E_clISt17integral_constantIbLb0EESY_IbLb1EEEEDaSU_SV_EUlSU_E_NS1_11comp_targetILNS1_3genE5ELNS1_11target_archE942ELNS1_3gpuE9ELNS1_3repE0EEENS1_30default_config_static_selectorELNS0_4arch9wavefront6targetE1EEEvT1_, .Lfunc_end310-_ZN7rocprim17ROCPRIM_400000_NS6detail17trampoline_kernelINS0_14default_configENS1_27scan_by_key_config_selectorIssEEZZNS1_16scan_by_key_implILNS1_25lookback_scan_determinismE0ELb0ES3_N6thrust23THRUST_200600_302600_NS6detail15normal_iteratorINS9_10device_ptrIsEEEESE_SE_sNS9_10multipliesIsEENS9_8equal_toIsEEsEE10hipError_tPvRmT2_T3_T4_T5_mT6_T7_P12ihipStream_tbENKUlT_T0_E_clISt17integral_constantIbLb0EESY_IbLb1EEEEDaSU_SV_EUlSU_E_NS1_11comp_targetILNS1_3genE5ELNS1_11target_archE942ELNS1_3gpuE9ELNS1_3repE0EEENS1_30default_config_static_selectorELNS0_4arch9wavefront6targetE1EEEvT1_
                                        ; -- End function
	.section	.AMDGPU.csdata,"",@progbits
; Kernel info:
; codeLenInByte = 0
; NumSgprs: 4
; NumVgprs: 0
; NumAgprs: 0
; TotalNumVgprs: 0
; ScratchSize: 0
; MemoryBound: 0
; FloatMode: 240
; IeeeMode: 1
; LDSByteSize: 0 bytes/workgroup (compile time only)
; SGPRBlocks: 0
; VGPRBlocks: 0
; NumSGPRsForWavesPerEU: 4
; NumVGPRsForWavesPerEU: 1
; AccumOffset: 4
; Occupancy: 8
; WaveLimiterHint : 0
; COMPUTE_PGM_RSRC2:SCRATCH_EN: 0
; COMPUTE_PGM_RSRC2:USER_SGPR: 6
; COMPUTE_PGM_RSRC2:TRAP_HANDLER: 0
; COMPUTE_PGM_RSRC2:TGID_X_EN: 1
; COMPUTE_PGM_RSRC2:TGID_Y_EN: 0
; COMPUTE_PGM_RSRC2:TGID_Z_EN: 0
; COMPUTE_PGM_RSRC2:TIDIG_COMP_CNT: 0
; COMPUTE_PGM_RSRC3_GFX90A:ACCUM_OFFSET: 0
; COMPUTE_PGM_RSRC3_GFX90A:TG_SPLIT: 0
	.section	.text._ZN7rocprim17ROCPRIM_400000_NS6detail17trampoline_kernelINS0_14default_configENS1_27scan_by_key_config_selectorIssEEZZNS1_16scan_by_key_implILNS1_25lookback_scan_determinismE0ELb0ES3_N6thrust23THRUST_200600_302600_NS6detail15normal_iteratorINS9_10device_ptrIsEEEESE_SE_sNS9_10multipliesIsEENS9_8equal_toIsEEsEE10hipError_tPvRmT2_T3_T4_T5_mT6_T7_P12ihipStream_tbENKUlT_T0_E_clISt17integral_constantIbLb0EESY_IbLb1EEEEDaSU_SV_EUlSU_E_NS1_11comp_targetILNS1_3genE4ELNS1_11target_archE910ELNS1_3gpuE8ELNS1_3repE0EEENS1_30default_config_static_selectorELNS0_4arch9wavefront6targetE1EEEvT1_,"axG",@progbits,_ZN7rocprim17ROCPRIM_400000_NS6detail17trampoline_kernelINS0_14default_configENS1_27scan_by_key_config_selectorIssEEZZNS1_16scan_by_key_implILNS1_25lookback_scan_determinismE0ELb0ES3_N6thrust23THRUST_200600_302600_NS6detail15normal_iteratorINS9_10device_ptrIsEEEESE_SE_sNS9_10multipliesIsEENS9_8equal_toIsEEsEE10hipError_tPvRmT2_T3_T4_T5_mT6_T7_P12ihipStream_tbENKUlT_T0_E_clISt17integral_constantIbLb0EESY_IbLb1EEEEDaSU_SV_EUlSU_E_NS1_11comp_targetILNS1_3genE4ELNS1_11target_archE910ELNS1_3gpuE8ELNS1_3repE0EEENS1_30default_config_static_selectorELNS0_4arch9wavefront6targetE1EEEvT1_,comdat
	.protected	_ZN7rocprim17ROCPRIM_400000_NS6detail17trampoline_kernelINS0_14default_configENS1_27scan_by_key_config_selectorIssEEZZNS1_16scan_by_key_implILNS1_25lookback_scan_determinismE0ELb0ES3_N6thrust23THRUST_200600_302600_NS6detail15normal_iteratorINS9_10device_ptrIsEEEESE_SE_sNS9_10multipliesIsEENS9_8equal_toIsEEsEE10hipError_tPvRmT2_T3_T4_T5_mT6_T7_P12ihipStream_tbENKUlT_T0_E_clISt17integral_constantIbLb0EESY_IbLb1EEEEDaSU_SV_EUlSU_E_NS1_11comp_targetILNS1_3genE4ELNS1_11target_archE910ELNS1_3gpuE8ELNS1_3repE0EEENS1_30default_config_static_selectorELNS0_4arch9wavefront6targetE1EEEvT1_ ; -- Begin function _ZN7rocprim17ROCPRIM_400000_NS6detail17trampoline_kernelINS0_14default_configENS1_27scan_by_key_config_selectorIssEEZZNS1_16scan_by_key_implILNS1_25lookback_scan_determinismE0ELb0ES3_N6thrust23THRUST_200600_302600_NS6detail15normal_iteratorINS9_10device_ptrIsEEEESE_SE_sNS9_10multipliesIsEENS9_8equal_toIsEEsEE10hipError_tPvRmT2_T3_T4_T5_mT6_T7_P12ihipStream_tbENKUlT_T0_E_clISt17integral_constantIbLb0EESY_IbLb1EEEEDaSU_SV_EUlSU_E_NS1_11comp_targetILNS1_3genE4ELNS1_11target_archE910ELNS1_3gpuE8ELNS1_3repE0EEENS1_30default_config_static_selectorELNS0_4arch9wavefront6targetE1EEEvT1_
	.globl	_ZN7rocprim17ROCPRIM_400000_NS6detail17trampoline_kernelINS0_14default_configENS1_27scan_by_key_config_selectorIssEEZZNS1_16scan_by_key_implILNS1_25lookback_scan_determinismE0ELb0ES3_N6thrust23THRUST_200600_302600_NS6detail15normal_iteratorINS9_10device_ptrIsEEEESE_SE_sNS9_10multipliesIsEENS9_8equal_toIsEEsEE10hipError_tPvRmT2_T3_T4_T5_mT6_T7_P12ihipStream_tbENKUlT_T0_E_clISt17integral_constantIbLb0EESY_IbLb1EEEEDaSU_SV_EUlSU_E_NS1_11comp_targetILNS1_3genE4ELNS1_11target_archE910ELNS1_3gpuE8ELNS1_3repE0EEENS1_30default_config_static_selectorELNS0_4arch9wavefront6targetE1EEEvT1_
	.p2align	8
	.type	_ZN7rocprim17ROCPRIM_400000_NS6detail17trampoline_kernelINS0_14default_configENS1_27scan_by_key_config_selectorIssEEZZNS1_16scan_by_key_implILNS1_25lookback_scan_determinismE0ELb0ES3_N6thrust23THRUST_200600_302600_NS6detail15normal_iteratorINS9_10device_ptrIsEEEESE_SE_sNS9_10multipliesIsEENS9_8equal_toIsEEsEE10hipError_tPvRmT2_T3_T4_T5_mT6_T7_P12ihipStream_tbENKUlT_T0_E_clISt17integral_constantIbLb0EESY_IbLb1EEEEDaSU_SV_EUlSU_E_NS1_11comp_targetILNS1_3genE4ELNS1_11target_archE910ELNS1_3gpuE8ELNS1_3repE0EEENS1_30default_config_static_selectorELNS0_4arch9wavefront6targetE1EEEvT1_,@function
_ZN7rocprim17ROCPRIM_400000_NS6detail17trampoline_kernelINS0_14default_configENS1_27scan_by_key_config_selectorIssEEZZNS1_16scan_by_key_implILNS1_25lookback_scan_determinismE0ELb0ES3_N6thrust23THRUST_200600_302600_NS6detail15normal_iteratorINS9_10device_ptrIsEEEESE_SE_sNS9_10multipliesIsEENS9_8equal_toIsEEsEE10hipError_tPvRmT2_T3_T4_T5_mT6_T7_P12ihipStream_tbENKUlT_T0_E_clISt17integral_constantIbLb0EESY_IbLb1EEEEDaSU_SV_EUlSU_E_NS1_11comp_targetILNS1_3genE4ELNS1_11target_archE910ELNS1_3gpuE8ELNS1_3repE0EEENS1_30default_config_static_selectorELNS0_4arch9wavefront6targetE1EEEvT1_: ; @_ZN7rocprim17ROCPRIM_400000_NS6detail17trampoline_kernelINS0_14default_configENS1_27scan_by_key_config_selectorIssEEZZNS1_16scan_by_key_implILNS1_25lookback_scan_determinismE0ELb0ES3_N6thrust23THRUST_200600_302600_NS6detail15normal_iteratorINS9_10device_ptrIsEEEESE_SE_sNS9_10multipliesIsEENS9_8equal_toIsEEsEE10hipError_tPvRmT2_T3_T4_T5_mT6_T7_P12ihipStream_tbENKUlT_T0_E_clISt17integral_constantIbLb0EESY_IbLb1EEEEDaSU_SV_EUlSU_E_NS1_11comp_targetILNS1_3genE4ELNS1_11target_archE910ELNS1_3gpuE8ELNS1_3repE0EEENS1_30default_config_static_selectorELNS0_4arch9wavefront6targetE1EEEvT1_
; %bb.0:
	s_load_dwordx4 s[72:75], s[4:5], 0x28
	s_load_dwordx2 s[76:77], s[4:5], 0x38
	v_cmp_ne_u32_e64 s[52:53], 0, v0
	v_cmp_eq_u32_e64 s[0:1], 0, v0
	s_and_saveexec_b64 s[2:3], s[0:1]
	s_cbranch_execz .LBB311_4
; %bb.1:
	s_mov_b64 s[8:9], exec
	v_mbcnt_lo_u32_b32 v1, s8, 0
	v_mbcnt_hi_u32_b32 v1, s9, v1
	v_cmp_eq_u32_e32 vcc, 0, v1
                                        ; implicit-def: $vgpr2
	s_and_saveexec_b64 s[6:7], vcc
	s_cbranch_execz .LBB311_3
; %bb.2:
	s_load_dwordx2 s[10:11], s[4:5], 0x68
	s_bcnt1_i32_b64 s8, s[8:9]
	v_mov_b32_e32 v2, 0
	v_mov_b32_e32 v3, s8
	s_waitcnt lgkmcnt(0)
	global_atomic_add v2, v2, v3, s[10:11] glc
.LBB311_3:
	s_or_b64 exec, exec, s[6:7]
	s_waitcnt vmcnt(0)
	v_readfirstlane_b32 s6, v2
	v_add_u32_e32 v1, s6, v1
	v_mov_b32_e32 v2, 0
	ds_write_b32 v2, v1
.LBB311_4:
	s_or_b64 exec, exec, s[2:3]
	s_load_dwordx8 s[56:63], s[4:5], 0x0
	s_load_dword s2, s[4:5], 0x40
	s_load_dwordx8 s[64:71], s[4:5], 0x48
	v_mov_b32_e32 v1, 0
	s_waitcnt lgkmcnt(0)
	s_barrier
	ds_read_b32 v1, v1
	s_lshl_b64 s[54:55], s[58:59], 1
	s_add_u32 s4, s56, s54
	s_addc_u32 s5, s57, s55
	s_add_u32 s6, s60, s54
	s_mul_i32 s3, s77, s2
	s_mul_hi_u32 s8, s76, s2
	s_addc_u32 s7, s61, s55
	s_add_i32 s8, s8, s3
	s_waitcnt lgkmcnt(0)
	v_readfirstlane_b32 s75, v1
	s_mul_i32 s9, s76, s2
	s_cmp_lg_u64 s[68:69], 0
	s_mov_b32 s3, 0
	s_mul_i32 s2, s75, 0x1600
	s_cselect_b64 s[60:61], -1, 0
	s_lshl_b64 s[56:57], s[2:3], 1
	s_add_u32 s58, s4, s56
	s_addc_u32 s59, s5, s57
	s_add_u32 s78, s6, s56
	s_addc_u32 s79, s7, s57
	;; [unrolled: 2-line block ×3, first 2 shown]
	s_add_u32 s4, s64, -1
	s_addc_u32 s5, s65, -1
	v_pk_mov_b32 v[2:3], s[4:5], s[4:5] op_sel:[0,1]
	v_cmp_ge_u64_e64 s[2:3], s[68:69], v[2:3]
	s_mov_b64 s[10:11], 0
	s_mov_b64 s[6:7], -1
	s_and_b64 vcc, exec, s[2:3]
	s_mul_i32 s33, s4, 0xffffea00
	s_barrier
	s_barrier
	s_cbranch_vccz .LBB311_121
; %bb.5:
	v_pk_mov_b32 v[2:3], s[58:59], s[58:59] op_sel:[0,1]
	flat_load_ushort v6, v[2:3]
	s_add_i32 s81, s33, s74
	v_cmp_gt_u32_e64 s[6:7], s81, v0
	s_waitcnt vmcnt(0) lgkmcnt(0)
	v_mov_b32_e32 v7, v6
	s_and_saveexec_b64 s[4:5], s[6:7]
	s_cbranch_execz .LBB311_7
; %bb.6:
	v_lshlrev_b32_e32 v1, 1, v0
	v_mov_b32_e32 v3, s59
	v_add_co_u32_e32 v2, vcc, s58, v1
	v_addc_co_u32_e32 v3, vcc, 0, v3, vcc
	flat_load_ushort v7, v[2:3]
.LBB311_7:
	s_or_b64 exec, exec, s[4:5]
	v_or_b32_e32 v1, 0x100, v0
	v_cmp_gt_u32_e64 s[8:9], s81, v1
	v_mov_b32_e32 v8, v6
	s_and_saveexec_b64 s[4:5], s[8:9]
	s_cbranch_execz .LBB311_9
; %bb.8:
	v_lshlrev_b32_e32 v1, 1, v0
	v_mov_b32_e32 v3, s59
	v_add_co_u32_e32 v2, vcc, s58, v1
	v_addc_co_u32_e32 v3, vcc, 0, v3, vcc
	flat_load_ushort v8, v[2:3] offset:512
.LBB311_9:
	s_or_b64 exec, exec, s[4:5]
	v_or_b32_e32 v1, 0x200, v0
	v_cmp_gt_u32_e64 s[10:11], s81, v1
	v_mov_b32_e32 v9, v6
	s_and_saveexec_b64 s[4:5], s[10:11]
	s_cbranch_execz .LBB311_11
; %bb.10:
	v_lshlrev_b32_e32 v1, 1, v0
	v_mov_b32_e32 v3, s59
	v_add_co_u32_e32 v2, vcc, s58, v1
	v_addc_co_u32_e32 v3, vcc, 0, v3, vcc
	flat_load_ushort v9, v[2:3] offset:1024
.LBB311_11:
	;; [unrolled: 13-line block ×7, first 2 shown]
	s_or_b64 exec, exec, s[4:5]
	v_or_b32_e32 v1, 0x800, v0
	v_cmp_gt_u32_e64 s[22:23], s81, v1
	v_lshlrev_b32_e32 v1, 1, v1
	v_mov_b32_e32 v15, v6
	s_and_saveexec_b64 s[4:5], s[22:23]
	s_cbranch_execz .LBB311_23
; %bb.22:
	v_mov_b32_e32 v3, s59
	v_add_co_u32_e32 v2, vcc, s58, v1
	v_addc_co_u32_e32 v3, vcc, 0, v3, vcc
	flat_load_ushort v15, v[2:3]
.LBB311_23:
	s_or_b64 exec, exec, s[4:5]
	v_or_b32_e32 v2, 0x900, v0
	v_cmp_gt_u32_e64 s[24:25], s81, v2
	v_lshlrev_b32_e32 v2, 1, v2
	v_mov_b32_e32 v26, v6
	s_and_saveexec_b64 s[4:5], s[24:25]
	s_cbranch_execz .LBB311_25
; %bb.24:
	v_mov_b32_e32 v3, s59
	v_add_co_u32_e32 v4, vcc, s58, v2
	v_addc_co_u32_e32 v5, vcc, 0, v3, vcc
	flat_load_ushort v26, v[4:5]
.LBB311_25:
	;; [unrolled: 13-line block ×13, first 2 shown]
	s_or_b64 exec, exec, s[4:5]
	v_or_b32_e32 v20, 0x1500, v0
	v_cmp_gt_u32_e64 s[50:51], s81, v20
	v_lshlrev_b32_e32 v25, 1, v20
	s_and_saveexec_b64 s[4:5], s[50:51]
	s_cbranch_execz .LBB311_49
; %bb.48:
	v_mov_b32_e32 v6, s59
	v_add_co_u32_e32 v38, vcc, s58, v25
	v_addc_co_u32_e32 v39, vcc, 0, v6, vcc
	flat_load_ushort v6, v[38:39]
.LBB311_49:
	s_or_b64 exec, exec, s[4:5]
	v_lshlrev_b32_e32 v20, 1, v0
	s_waitcnt vmcnt(0) lgkmcnt(0)
	ds_write_b16 v20, v7
	ds_write_b16 v20, v8 offset:512
	ds_write_b16 v20, v9 offset:1024
	;; [unrolled: 1-line block ×21, first 2 shown]
	v_mad_u32_u24 v37, v0, 42, v20
	s_waitcnt lgkmcnt(0)
	s_barrier
	ds_read2_b32 v[14:15], v37 offset1:1
	ds_read2_b32 v[12:13], v37 offset0:2 offset1:3
	ds_read2_b32 v[10:11], v37 offset0:4 offset1:5
	;; [unrolled: 1-line block ×4, first 2 shown]
	ds_read_b32 v38, v37 offset:40
	s_cmp_eq_u64 s[68:69], 0
	s_mov_b64 s[4:5], s[58:59]
	s_cbranch_scc1 .LBB311_53
; %bb.50:
	s_andn2_b64 vcc, exec, s[60:61]
	s_cbranch_vccnz .LBB311_289
; %bb.51:
	s_lshl_b64 s[4:5], s[68:69], 1
	s_add_u32 s4, s70, s4
	s_addc_u32 s5, s71, s5
	s_add_u32 s4, s4, -2
	s_addc_u32 s5, s5, -1
	s_cbranch_execnz .LBB311_53
.LBB311_52:
	s_add_u32 s4, s58, -2
	s_addc_u32 s5, s59, -1
.LBB311_53:
	v_pk_mov_b32 v[26:27], s[4:5], s[4:5] op_sel:[0,1]
	flat_load_ushort v41, v[26:27]
	s_movk_i32 s4, 0xffd6
	s_waitcnt lgkmcnt(0)
	v_lshrrev_b32_e32 v39, 16, v38
	v_mad_i32_i24 v26, v0, s4, v37
	ds_write_b16 v26, v39 offset:11264
	s_waitcnt lgkmcnt(0)
	s_barrier
	s_and_saveexec_b64 s[4:5], s[52:53]
	s_cbranch_execz .LBB311_55
; %bb.54:
	v_mul_i32_i24_e32 v26, 0xffffffd6, v0
	v_add_u32_e32 v26, v37, v26
	s_waitcnt vmcnt(0)
	ds_read_u16 v41, v26 offset:11262
.LBB311_55:
	s_or_b64 exec, exec, s[4:5]
	s_waitcnt lgkmcnt(0)
	s_barrier
	s_waitcnt lgkmcnt(0)
                                        ; implicit-def: $vgpr26
	s_and_saveexec_b64 s[4:5], s[6:7]
	s_cbranch_execnz .LBB311_266
; %bb.56:
	s_or_b64 exec, exec, s[4:5]
                                        ; implicit-def: $vgpr27
	s_and_saveexec_b64 s[4:5], s[8:9]
	s_cbranch_execnz .LBB311_267
.LBB311_57:
	s_or_b64 exec, exec, s[4:5]
                                        ; implicit-def: $vgpr28
	s_and_saveexec_b64 s[4:5], s[10:11]
	s_cbranch_execnz .LBB311_268
.LBB311_58:
	s_or_b64 exec, exec, s[4:5]
                                        ; implicit-def: $vgpr29
	s_and_saveexec_b64 s[4:5], s[12:13]
	s_cbranch_execnz .LBB311_269
.LBB311_59:
	s_or_b64 exec, exec, s[4:5]
                                        ; implicit-def: $vgpr30
	s_and_saveexec_b64 s[4:5], s[14:15]
	s_cbranch_execnz .LBB311_270
.LBB311_60:
	s_or_b64 exec, exec, s[4:5]
                                        ; implicit-def: $vgpr31
	s_and_saveexec_b64 s[4:5], s[16:17]
	s_cbranch_execnz .LBB311_271
.LBB311_61:
	s_or_b64 exec, exec, s[4:5]
                                        ; implicit-def: $vgpr32
	s_and_saveexec_b64 s[4:5], s[18:19]
	s_cbranch_execnz .LBB311_272
.LBB311_62:
	s_or_b64 exec, exec, s[4:5]
                                        ; implicit-def: $vgpr33
	s_and_saveexec_b64 s[4:5], s[20:21]
	s_cbranch_execnz .LBB311_273
.LBB311_63:
	s_or_b64 exec, exec, s[4:5]
                                        ; implicit-def: $vgpr34
	s_and_saveexec_b64 s[4:5], s[22:23]
	s_cbranch_execnz .LBB311_274
.LBB311_64:
	s_or_b64 exec, exec, s[4:5]
                                        ; implicit-def: $vgpr1
	s_and_saveexec_b64 s[4:5], s[24:25]
	s_cbranch_execnz .LBB311_275
.LBB311_65:
	s_or_b64 exec, exec, s[4:5]
                                        ; implicit-def: $vgpr2
	s_and_saveexec_b64 s[4:5], s[26:27]
	s_cbranch_execnz .LBB311_276
.LBB311_66:
	s_or_b64 exec, exec, s[4:5]
                                        ; implicit-def: $vgpr3
	s_and_saveexec_b64 s[4:5], s[28:29]
	s_cbranch_execnz .LBB311_277
.LBB311_67:
	s_or_b64 exec, exec, s[4:5]
                                        ; implicit-def: $vgpr4
	s_and_saveexec_b64 s[4:5], s[30:31]
	s_cbranch_execnz .LBB311_278
.LBB311_68:
	s_or_b64 exec, exec, s[4:5]
                                        ; implicit-def: $vgpr5
	s_and_saveexec_b64 s[4:5], s[34:35]
	s_cbranch_execnz .LBB311_279
.LBB311_69:
	s_or_b64 exec, exec, s[4:5]
                                        ; implicit-def: $vgpr16
	s_and_saveexec_b64 s[4:5], s[36:37]
	s_cbranch_execnz .LBB311_280
.LBB311_70:
	s_or_b64 exec, exec, s[4:5]
                                        ; implicit-def: $vgpr17
	s_and_saveexec_b64 s[4:5], s[38:39]
	s_cbranch_execnz .LBB311_281
.LBB311_71:
	s_or_b64 exec, exec, s[4:5]
                                        ; implicit-def: $vgpr18
	s_and_saveexec_b64 s[4:5], s[40:41]
	s_cbranch_execnz .LBB311_282
.LBB311_72:
	s_or_b64 exec, exec, s[4:5]
                                        ; implicit-def: $vgpr19
	s_and_saveexec_b64 s[4:5], s[42:43]
	s_cbranch_execnz .LBB311_283
.LBB311_73:
	s_or_b64 exec, exec, s[4:5]
                                        ; implicit-def: $vgpr21
	s_and_saveexec_b64 s[4:5], s[44:45]
	s_cbranch_execnz .LBB311_284
.LBB311_74:
	s_or_b64 exec, exec, s[4:5]
                                        ; implicit-def: $vgpr22
	s_and_saveexec_b64 s[4:5], s[46:47]
	s_cbranch_execnz .LBB311_285
.LBB311_75:
	s_or_b64 exec, exec, s[4:5]
                                        ; implicit-def: $vgpr23
	s_and_saveexec_b64 s[4:5], s[48:49]
	s_cbranch_execnz .LBB311_286
.LBB311_76:
	s_or_b64 exec, exec, s[4:5]
                                        ; implicit-def: $vgpr24
	s_and_saveexec_b64 s[4:5], s[50:51]
	s_cbranch_execz .LBB311_78
.LBB311_77:
	v_mov_b32_e32 v35, s79
	v_add_co_u32_e32 v24, vcc, s78, v25
	v_addc_co_u32_e32 v25, vcc, 0, v35, vcc
	flat_load_ushort v24, v[24:25]
.LBB311_78:
	s_or_b64 exec, exec, s[4:5]
	v_mul_u32_u24_e32 v40, 22, v0
	s_waitcnt vmcnt(0) lgkmcnt(0)
	ds_write_b16 v20, v26
	ds_write_b16 v20, v27 offset:512
	ds_write_b16 v20, v28 offset:1024
	ds_write_b16 v20, v29 offset:1536
	ds_write_b16 v20, v30 offset:2048
	ds_write_b16 v20, v31 offset:2560
	ds_write_b16 v20, v32 offset:3072
	ds_write_b16 v20, v33 offset:3584
	ds_write_b16 v20, v34 offset:4096
	ds_write_b16 v20, v1 offset:4608
	ds_write_b16 v20, v2 offset:5120
	ds_write_b16 v20, v3 offset:5632
	ds_write_b16 v20, v4 offset:6144
	ds_write_b16 v20, v5 offset:6656
	ds_write_b16 v20, v16 offset:7168
	ds_write_b16 v20, v17 offset:7680
	ds_write_b16 v20, v18 offset:8192
	ds_write_b16 v20, v19 offset:8704
	ds_write_b16 v20, v21 offset:9216
	ds_write_b16 v20, v22 offset:9728
	ds_write_b16 v20, v23 offset:10240
	ds_write_b16 v20, v24 offset:10752
	v_cmp_gt_u32_e32 vcc, s81, v40
	s_mov_b64 s[6:7], 0
	s_mov_b32 s80, 0
	v_mov_b32_e32 v1, 0
	s_mov_b64 s[10:11], 0
	v_mov_b32_e32 v16, 0
	v_mov_b32_e32 v17, 0
	;; [unrolled: 1-line block ×20, first 2 shown]
	s_waitcnt lgkmcnt(0)
	s_barrier
	s_waitcnt lgkmcnt(0)
                                        ; implicit-def: $sgpr4_sgpr5
                                        ; implicit-def: $vgpr36
	s_and_saveexec_b64 s[8:9], vcc
	s_cbranch_execz .LBB311_120
; %bb.79:
	ds_read_u16 v1, v37
	v_cmp_ne_u16_e32 vcc, v41, v14
	v_or_b32_e32 v2, 1, v40
	v_cndmask_b32_e64 v3, 0, 1, vcc
	v_cmp_gt_u32_e32 vcc, s81, v2
	s_waitcnt lgkmcnt(0)
	v_lshl_or_b32 v1, v3, 16, v1
	s_mov_b64 s[12:13], 0
	v_mov_b32_e32 v16, 0
	v_mov_b32_e32 v17, 0
	;; [unrolled: 1-line block ×20, first 2 shown]
                                        ; implicit-def: $sgpr4_sgpr5
                                        ; implicit-def: $vgpr36
	s_and_saveexec_b64 s[10:11], vcc
	s_cbranch_execz .LBB311_119
; %bb.80:
	ds_read_b128 v[2:5], v37 offset:2
	v_add_u32_e32 v16, 2, v40
	v_cmp_ne_u16_sdwa s[4:5], v14, v14 src0_sel:DWORD src1_sel:WORD_1
	v_cndmask_b32_e64 v17, 0, 1, s[4:5]
	v_cmp_gt_u32_e32 vcc, s81, v16
	s_waitcnt lgkmcnt(0)
	v_and_b32_e32 v16, 0xffff, v2
	v_lshl_or_b32 v16, v17, 16, v16
	s_mov_b64 s[14:15], 0
	v_mov_b32_e32 v17, 0
	v_mov_b32_e32 v18, 0
	;; [unrolled: 1-line block ×19, first 2 shown]
                                        ; implicit-def: $sgpr4_sgpr5
                                        ; implicit-def: $vgpr36
	s_and_saveexec_b64 s[12:13], vcc
	s_cbranch_execz .LBB311_118
; %bb.81:
	v_cmp_ne_u16_sdwa s[4:5], v14, v15 src0_sel:WORD_1 src1_sel:DWORD
	v_add_u32_e32 v18, 3, v40
	v_cndmask_b32_e64 v14, 0, 1, s[4:5]
	v_alignbit_b32 v17, v14, v2, 16
	v_cmp_gt_u32_e32 vcc, s81, v18
	s_mov_b64 s[16:17], 0
	v_mov_b32_e32 v18, 0
	v_mov_b32_e32 v19, 0
	v_mov_b32_e32 v20, 0
	v_mov_b32_e32 v21, 0
	v_mov_b32_e32 v22, 0
	v_mov_b32_e32 v23, 0
	v_mov_b32_e32 v24, 0
	v_mov_b32_e32 v25, 0
	v_mov_b32_e32 v26, 0
	v_mov_b32_e32 v27, 0
	v_mov_b32_e32 v28, 0
	v_mov_b32_e32 v29, 0
	v_mov_b32_e32 v30, 0
	v_mov_b32_e32 v31, 0
	v_mov_b32_e32 v32, 0
	v_mov_b32_e32 v33, 0
	v_mov_b32_e32 v34, 0
	v_mov_b32_e32 v35, 0
                                        ; implicit-def: $sgpr4_sgpr5
                                        ; implicit-def: $vgpr36
	s_and_saveexec_b64 s[14:15], vcc
	s_cbranch_execz .LBB311_117
; %bb.82:
	v_cmp_ne_u16_sdwa s[4:5], v15, v15 src0_sel:DWORD src1_sel:WORD_1
	v_and_b32_e32 v2, 0xffff, v3
	v_add_u32_e32 v14, 4, v40
	v_cndmask_b32_e64 v18, 0, 1, s[4:5]
	v_lshl_or_b32 v18, v18, 16, v2
	v_cmp_gt_u32_e32 vcc, s81, v14
	s_mov_b64 s[18:19], 0
	v_mov_b32_e32 v19, 0
	v_mov_b32_e32 v20, 0
	v_mov_b32_e32 v21, 0
	v_mov_b32_e32 v22, 0
	v_mov_b32_e32 v23, 0
	v_mov_b32_e32 v24, 0
	v_mov_b32_e32 v25, 0
	v_mov_b32_e32 v26, 0
	v_mov_b32_e32 v27, 0
	v_mov_b32_e32 v28, 0
	v_mov_b32_e32 v29, 0
	v_mov_b32_e32 v30, 0
	v_mov_b32_e32 v31, 0
	v_mov_b32_e32 v32, 0
	v_mov_b32_e32 v33, 0
	v_mov_b32_e32 v34, 0
	v_mov_b32_e32 v35, 0
                                        ; implicit-def: $sgpr4_sgpr5
                                        ; implicit-def: $vgpr36
	s_and_saveexec_b64 s[16:17], vcc
	s_cbranch_execz .LBB311_116
; %bb.83:
	v_cmp_ne_u16_sdwa s[4:5], v15, v12 src0_sel:WORD_1 src1_sel:DWORD
	v_add_u32_e32 v2, 5, v40
	v_cndmask_b32_e64 v14, 0, 1, s[4:5]
	v_alignbit_b32 v19, v14, v3, 16
	v_cmp_gt_u32_e32 vcc, s81, v2
	s_mov_b64 s[20:21], 0
	v_mov_b32_e32 v20, 0
	v_mov_b32_e32 v21, 0
	v_mov_b32_e32 v22, 0
	v_mov_b32_e32 v23, 0
	v_mov_b32_e32 v24, 0
	v_mov_b32_e32 v25, 0
	v_mov_b32_e32 v26, 0
	v_mov_b32_e32 v27, 0
	v_mov_b32_e32 v28, 0
	v_mov_b32_e32 v29, 0
	v_mov_b32_e32 v30, 0
	v_mov_b32_e32 v31, 0
	v_mov_b32_e32 v32, 0
	v_mov_b32_e32 v33, 0
	v_mov_b32_e32 v34, 0
	v_mov_b32_e32 v35, 0
                                        ; implicit-def: $sgpr4_sgpr5
                                        ; implicit-def: $vgpr36
	s_and_saveexec_b64 s[18:19], vcc
	s_cbranch_execz .LBB311_115
; %bb.84:
	v_cmp_ne_u16_sdwa s[4:5], v12, v12 src0_sel:DWORD src1_sel:WORD_1
	v_and_b32_e32 v2, 0xffff, v4
	v_add_u32_e32 v3, 6, v40
	v_cndmask_b32_e64 v14, 0, 1, s[4:5]
	v_lshl_or_b32 v20, v14, 16, v2
	v_cmp_gt_u32_e32 vcc, s81, v3
	s_mov_b64 s[22:23], 0
	v_mov_b32_e32 v21, 0
	v_mov_b32_e32 v22, 0
	;; [unrolled: 1-line block ×15, first 2 shown]
                                        ; implicit-def: $sgpr4_sgpr5
                                        ; implicit-def: $vgpr36
	s_and_saveexec_b64 s[20:21], vcc
	s_cbranch_execz .LBB311_114
; %bb.85:
	v_cmp_ne_u16_sdwa s[4:5], v12, v13 src0_sel:WORD_1 src1_sel:DWORD
	v_add_u32_e32 v2, 7, v40
	v_cndmask_b32_e64 v3, 0, 1, s[4:5]
	v_alignbit_b32 v21, v3, v4, 16
	v_cmp_gt_u32_e32 vcc, s81, v2
	s_mov_b64 s[24:25], 0
	v_mov_b32_e32 v22, 0
	v_mov_b32_e32 v23, 0
	;; [unrolled: 1-line block ×14, first 2 shown]
                                        ; implicit-def: $sgpr4_sgpr5
                                        ; implicit-def: $vgpr36
	s_and_saveexec_b64 s[22:23], vcc
	s_cbranch_execz .LBB311_113
; %bb.86:
	v_cmp_ne_u16_sdwa s[4:5], v13, v13 src0_sel:DWORD src1_sel:WORD_1
	v_and_b32_e32 v2, 0xffff, v5
	v_add_u32_e32 v3, 8, v40
	v_cndmask_b32_e64 v4, 0, 1, s[4:5]
	v_lshl_or_b32 v22, v4, 16, v2
	v_cmp_gt_u32_e32 vcc, s81, v3
	s_mov_b64 s[26:27], 0
	v_mov_b32_e32 v23, 0
	v_mov_b32_e32 v24, 0
	;; [unrolled: 1-line block ×13, first 2 shown]
                                        ; implicit-def: $sgpr4_sgpr5
                                        ; implicit-def: $vgpr36
	s_and_saveexec_b64 s[24:25], vcc
	s_cbranch_execz .LBB311_112
; %bb.87:
	v_cmp_ne_u16_sdwa s[4:5], v13, v10 src0_sel:WORD_1 src1_sel:DWORD
	v_add_u32_e32 v2, 9, v40
	v_cndmask_b32_e64 v3, 0, 1, s[4:5]
	v_alignbit_b32 v23, v3, v5, 16
	v_cmp_gt_u32_e32 vcc, s81, v2
	s_mov_b64 s[28:29], 0
	v_mov_b32_e32 v24, 0
	v_mov_b32_e32 v25, 0
	;; [unrolled: 1-line block ×12, first 2 shown]
                                        ; implicit-def: $sgpr4_sgpr5
                                        ; implicit-def: $vgpr36
	s_and_saveexec_b64 s[26:27], vcc
	s_cbranch_execz .LBB311_111
; %bb.88:
	ds_read_b128 v[2:5], v37 offset:18
	v_add_u32_e32 v12, 10, v40
	v_cmp_ne_u16_sdwa s[4:5], v10, v10 src0_sel:DWORD src1_sel:WORD_1
	v_cndmask_b32_e64 v13, 0, 1, s[4:5]
	v_cmp_gt_u32_e32 vcc, s81, v12
	s_waitcnt lgkmcnt(0)
	v_and_b32_e32 v12, 0xffff, v2
	v_lshl_or_b32 v24, v13, 16, v12
	s_mov_b64 s[30:31], 0
	v_mov_b32_e32 v25, 0
	v_mov_b32_e32 v26, 0
	;; [unrolled: 1-line block ×11, first 2 shown]
                                        ; implicit-def: $sgpr4_sgpr5
                                        ; implicit-def: $vgpr36
	s_and_saveexec_b64 s[28:29], vcc
	s_cbranch_execz .LBB311_110
; %bb.89:
	v_cmp_ne_u16_sdwa s[4:5], v10, v11 src0_sel:WORD_1 src1_sel:DWORD
	v_add_u32_e32 v12, 11, v40
	v_cndmask_b32_e64 v10, 0, 1, s[4:5]
	v_alignbit_b32 v25, v10, v2, 16
	v_cmp_gt_u32_e32 vcc, s81, v12
	s_mov_b64 s[34:35], 0
	v_mov_b32_e32 v26, 0
	v_mov_b32_e32 v27, 0
	;; [unrolled: 1-line block ×10, first 2 shown]
                                        ; implicit-def: $sgpr4_sgpr5
                                        ; implicit-def: $vgpr36
	s_and_saveexec_b64 s[30:31], vcc
	s_cbranch_execz .LBB311_109
; %bb.90:
	v_cmp_ne_u16_sdwa s[4:5], v11, v11 src0_sel:DWORD src1_sel:WORD_1
	v_and_b32_e32 v2, 0xffff, v3
	v_add_u32_e32 v10, 12, v40
	v_cndmask_b32_e64 v12, 0, 1, s[4:5]
	v_lshl_or_b32 v26, v12, 16, v2
	v_cmp_gt_u32_e32 vcc, s81, v10
	s_mov_b64 s[36:37], 0
	v_mov_b32_e32 v27, 0
	v_mov_b32_e32 v28, 0
	;; [unrolled: 1-line block ×9, first 2 shown]
                                        ; implicit-def: $sgpr4_sgpr5
                                        ; implicit-def: $vgpr36
	s_and_saveexec_b64 s[34:35], vcc
	s_cbranch_execz .LBB311_108
; %bb.91:
	v_cmp_ne_u16_sdwa s[4:5], v11, v8 src0_sel:WORD_1 src1_sel:DWORD
	v_add_u32_e32 v2, 13, v40
	v_cndmask_b32_e64 v10, 0, 1, s[4:5]
	v_alignbit_b32 v27, v10, v3, 16
	v_cmp_gt_u32_e32 vcc, s81, v2
	s_mov_b64 s[38:39], 0
	v_mov_b32_e32 v28, 0
	v_mov_b32_e32 v29, 0
	;; [unrolled: 1-line block ×8, first 2 shown]
                                        ; implicit-def: $sgpr4_sgpr5
                                        ; implicit-def: $vgpr36
	s_and_saveexec_b64 s[36:37], vcc
	s_cbranch_execz .LBB311_107
; %bb.92:
	v_cmp_ne_u16_sdwa s[4:5], v8, v8 src0_sel:DWORD src1_sel:WORD_1
	v_and_b32_e32 v2, 0xffff, v4
	v_add_u32_e32 v3, 14, v40
	v_cndmask_b32_e64 v10, 0, 1, s[4:5]
	v_lshl_or_b32 v28, v10, 16, v2
	v_cmp_gt_u32_e32 vcc, s81, v3
	s_mov_b64 s[40:41], 0
	v_mov_b32_e32 v29, 0
	v_mov_b32_e32 v30, 0
	;; [unrolled: 1-line block ×7, first 2 shown]
                                        ; implicit-def: $sgpr4_sgpr5
                                        ; implicit-def: $vgpr36
	s_and_saveexec_b64 s[38:39], vcc
	s_cbranch_execz .LBB311_106
; %bb.93:
	v_cmp_ne_u16_sdwa s[4:5], v8, v9 src0_sel:WORD_1 src1_sel:DWORD
	v_add_u32_e32 v2, 15, v40
	v_cndmask_b32_e64 v3, 0, 1, s[4:5]
	v_alignbit_b32 v29, v3, v4, 16
	v_cmp_gt_u32_e32 vcc, s81, v2
	s_mov_b64 s[42:43], 0
	v_mov_b32_e32 v30, 0
	v_mov_b32_e32 v31, 0
	;; [unrolled: 1-line block ×6, first 2 shown]
                                        ; implicit-def: $sgpr4_sgpr5
                                        ; implicit-def: $vgpr36
	s_and_saveexec_b64 s[40:41], vcc
	s_cbranch_execz .LBB311_105
; %bb.94:
	v_cmp_ne_u16_sdwa s[4:5], v9, v9 src0_sel:DWORD src1_sel:WORD_1
	v_and_b32_e32 v2, 0xffff, v5
	v_add_u32_e32 v3, 16, v40
	v_cndmask_b32_e64 v4, 0, 1, s[4:5]
	v_lshl_or_b32 v30, v4, 16, v2
	v_cmp_gt_u32_e32 vcc, s81, v3
	s_mov_b64 s[44:45], 0
	v_mov_b32_e32 v31, 0
	v_mov_b32_e32 v32, 0
	;; [unrolled: 1-line block ×5, first 2 shown]
                                        ; implicit-def: $sgpr4_sgpr5
                                        ; implicit-def: $vgpr36
	s_and_saveexec_b64 s[42:43], vcc
	s_cbranch_execz .LBB311_104
; %bb.95:
	v_cmp_ne_u16_sdwa s[4:5], v9, v6 src0_sel:WORD_1 src1_sel:DWORD
	v_add_u32_e32 v2, 17, v40
	v_cndmask_b32_e64 v3, 0, 1, s[4:5]
	v_alignbit_b32 v31, v3, v5, 16
	v_cmp_gt_u32_e32 vcc, s81, v2
	s_mov_b64 s[46:47], 0
	v_mov_b32_e32 v32, 0
	v_mov_b32_e32 v33, 0
	;; [unrolled: 1-line block ×4, first 2 shown]
                                        ; implicit-def: $sgpr4_sgpr5
                                        ; implicit-def: $vgpr36
	s_and_saveexec_b64 s[44:45], vcc
	s_cbranch_execz .LBB311_103
; %bb.96:
	ds_read_b64 v[2:3], v37 offset:34
	v_add_u32_e32 v4, 18, v40
	v_cmp_ne_u16_sdwa s[4:5], v6, v6 src0_sel:DWORD src1_sel:WORD_1
	v_cndmask_b32_e64 v5, 0, 1, s[4:5]
	v_cmp_gt_u32_e32 vcc, s81, v4
	s_waitcnt lgkmcnt(0)
	v_and_b32_e32 v4, 0xffff, v2
	v_lshl_or_b32 v32, v5, 16, v4
	s_mov_b64 s[48:49], 0
	v_mov_b32_e32 v33, 0
	v_mov_b32_e32 v34, 0
	;; [unrolled: 1-line block ×3, first 2 shown]
                                        ; implicit-def: $sgpr4_sgpr5
                                        ; implicit-def: $vgpr36
	s_and_saveexec_b64 s[46:47], vcc
	s_cbranch_execz .LBB311_102
; %bb.97:
	v_cmp_ne_u16_sdwa s[4:5], v6, v7 src0_sel:WORD_1 src1_sel:DWORD
	v_add_u32_e32 v4, 19, v40
	v_cndmask_b32_e64 v5, 0, 1, s[4:5]
	v_alignbit_b32 v33, v5, v2, 16
	v_cmp_gt_u32_e32 vcc, s81, v4
	s_mov_b64 s[50:51], 0
	v_mov_b32_e32 v34, 0
	v_mov_b32_e32 v35, 0
                                        ; implicit-def: $sgpr64_sgpr65
                                        ; implicit-def: $vgpr36
	s_and_saveexec_b64 s[48:49], vcc
	s_cbranch_execz .LBB311_101
; %bb.98:
	v_cmp_ne_u16_sdwa s[4:5], v7, v7 src0_sel:DWORD src1_sel:WORD_1
	v_and_b32_e32 v2, 0xffff, v3
	v_add_u32_e32 v4, 20, v40
	v_cndmask_b32_e64 v5, 0, 1, s[4:5]
	v_lshl_or_b32 v34, v5, 16, v2
	v_cmp_gt_u32_e32 vcc, s81, v4
	s_mov_b64 s[4:5], 0
	v_mov_b32_e32 v35, 0
                                        ; implicit-def: $sgpr50_sgpr51
                                        ; implicit-def: $vgpr36
	s_and_saveexec_b64 s[64:65], vcc
	s_xor_b64 s[64:65], exec, s[64:65]
	s_cbranch_execz .LBB311_100
; %bb.99:
	ds_read_u16 v36, v37 offset:42
	v_add_u32_e32 v2, 21, v40
	v_cmp_ne_u16_sdwa s[4:5], v7, v38 src0_sel:WORD_1 src1_sel:DWORD
	v_cmp_ne_u16_e32 vcc, v38, v39
	v_cndmask_b32_e64 v4, 0, 1, s[4:5]
	v_cmp_gt_u32_e64 s[4:5], s81, v2
	v_alignbit_b32 v35, v4, v3, 16
	s_and_b64 s[50:51], vcc, exec
	s_and_b64 s[4:5], s[4:5], exec
.LBB311_100:
	s_or_b64 exec, exec, s[64:65]
	s_and_b64 s[64:65], s[50:51], exec
	s_and_b64 s[50:51], s[4:5], exec
.LBB311_101:
	s_or_b64 exec, exec, s[48:49]
	s_and_b64 s[4:5], s[64:65], exec
	s_and_b64 s[48:49], s[50:51], exec
.LBB311_102:
	s_or_b64 exec, exec, s[46:47]
	s_and_b64 s[4:5], s[4:5], exec
	s_and_b64 s[46:47], s[48:49], exec
.LBB311_103:
	s_or_b64 exec, exec, s[44:45]
	s_and_b64 s[4:5], s[4:5], exec
	s_and_b64 s[44:45], s[46:47], exec
.LBB311_104:
	s_or_b64 exec, exec, s[42:43]
	s_and_b64 s[4:5], s[4:5], exec
	s_and_b64 s[42:43], s[44:45], exec
.LBB311_105:
	s_or_b64 exec, exec, s[40:41]
	s_and_b64 s[4:5], s[4:5], exec
	s_and_b64 s[40:41], s[42:43], exec
.LBB311_106:
	s_or_b64 exec, exec, s[38:39]
	s_and_b64 s[4:5], s[4:5], exec
	s_and_b64 s[38:39], s[40:41], exec
.LBB311_107:
	s_or_b64 exec, exec, s[36:37]
	s_and_b64 s[4:5], s[4:5], exec
	s_and_b64 s[36:37], s[38:39], exec
.LBB311_108:
	s_or_b64 exec, exec, s[34:35]
	s_and_b64 s[4:5], s[4:5], exec
	s_and_b64 s[34:35], s[36:37], exec
.LBB311_109:
	s_or_b64 exec, exec, s[30:31]
	s_and_b64 s[4:5], s[4:5], exec
	s_and_b64 s[30:31], s[34:35], exec
.LBB311_110:
	s_or_b64 exec, exec, s[28:29]
	s_and_b64 s[4:5], s[4:5], exec
	s_and_b64 s[28:29], s[30:31], exec
.LBB311_111:
	s_or_b64 exec, exec, s[26:27]
	s_and_b64 s[4:5], s[4:5], exec
	s_and_b64 s[26:27], s[28:29], exec
.LBB311_112:
	s_or_b64 exec, exec, s[24:25]
	s_and_b64 s[4:5], s[4:5], exec
	s_and_b64 s[24:25], s[26:27], exec
.LBB311_113:
	s_or_b64 exec, exec, s[22:23]
	s_and_b64 s[4:5], s[4:5], exec
	s_and_b64 s[22:23], s[24:25], exec
.LBB311_114:
	s_or_b64 exec, exec, s[20:21]
	s_and_b64 s[4:5], s[4:5], exec
	s_and_b64 s[20:21], s[22:23], exec
.LBB311_115:
	s_or_b64 exec, exec, s[18:19]
	s_and_b64 s[4:5], s[4:5], exec
	s_and_b64 s[18:19], s[20:21], exec
.LBB311_116:
	s_or_b64 exec, exec, s[16:17]
	s_and_b64 s[4:5], s[4:5], exec
	s_and_b64 s[16:17], s[18:19], exec
.LBB311_117:
	s_or_b64 exec, exec, s[14:15]
	s_and_b64 s[4:5], s[4:5], exec
	s_and_b64 s[14:15], s[16:17], exec
.LBB311_118:
	s_or_b64 exec, exec, s[12:13]
	s_and_b64 s[4:5], s[4:5], exec
	s_and_b64 s[12:13], s[14:15], exec
.LBB311_119:
	s_or_b64 exec, exec, s[10:11]
	s_and_b64 s[4:5], s[4:5], exec
	s_and_b64 s[10:11], s[12:13], exec
.LBB311_120:
	s_or_b64 exec, exec, s[8:9]
	s_and_b64 vcc, exec, s[6:7]
	v_lshlrev_b32_e32 v12, 1, v0
	s_cbranch_vccnz .LBB311_122
	s_branch .LBB311_130
.LBB311_121:
                                        ; implicit-def: $sgpr4_sgpr5
                                        ; implicit-def: $vgpr36
                                        ; implicit-def: $vgpr1
                                        ; implicit-def: $vgpr16
                                        ; implicit-def: $vgpr17
                                        ; implicit-def: $vgpr18
                                        ; implicit-def: $vgpr19
                                        ; implicit-def: $vgpr20
                                        ; implicit-def: $vgpr21
                                        ; implicit-def: $vgpr22
                                        ; implicit-def: $vgpr23
                                        ; implicit-def: $vgpr24
                                        ; implicit-def: $vgpr25
                                        ; implicit-def: $vgpr26
                                        ; implicit-def: $vgpr27
                                        ; implicit-def: $vgpr28
                                        ; implicit-def: $vgpr29
                                        ; implicit-def: $vgpr30
                                        ; implicit-def: $vgpr31
                                        ; implicit-def: $vgpr32
                                        ; implicit-def: $vgpr33
                                        ; implicit-def: $vgpr34
                                        ; implicit-def: $vgpr35
                                        ; implicit-def: $sgpr80
	s_and_b64 vcc, exec, s[6:7]
	v_lshlrev_b32_e32 v12, 1, v0
	s_cbranch_vccz .LBB311_130
.LBB311_122:
	v_mov_b32_e32 v1, s59
	v_add_co_u32_e32 v2, vcc, s58, v12
	v_addc_co_u32_e32 v3, vcc, 0, v1, vcc
	v_add_co_u32_e32 v4, vcc, 0x1000, v2
	v_addc_co_u32_e32 v5, vcc, 0, v3, vcc
	flat_load_ushort v6, v[2:3]
	flat_load_ushort v7, v[2:3] offset:512
	flat_load_ushort v8, v[2:3] offset:1024
	;; [unrolled: 1-line block ×7, first 2 shown]
	v_add_co_u32_e32 v2, vcc, 0x2000, v2
	v_addc_co_u32_e32 v3, vcc, 0, v3, vcc
	flat_load_ushort v15, v[4:5]
	flat_load_ushort v16, v[4:5] offset:512
	flat_load_ushort v17, v[4:5] offset:1024
	;; [unrolled: 1-line block ×7, first 2 shown]
	s_nop 0
	flat_load_ushort v4, v[2:3]
	flat_load_ushort v5, v[2:3] offset:512
	flat_load_ushort v23, v[2:3] offset:1024
	;; [unrolled: 1-line block ×5, first 2 shown]
	v_mad_u32_u24 v1, v0, 42, v12
	s_cmp_eq_u64 s[68:69], 0
	s_waitcnt vmcnt(0) lgkmcnt(0)
	ds_write_b16 v12, v6
	ds_write_b16 v12, v7 offset:512
	ds_write_b16 v12, v8 offset:1024
	;; [unrolled: 1-line block ×21, first 2 shown]
	s_waitcnt lgkmcnt(0)
	s_barrier
	ds_read2_b32 v[10:11], v1 offset1:1
	ds_read2_b32 v[8:9], v1 offset0:2 offset1:3
	ds_read2_b32 v[6:7], v1 offset0:4 offset1:5
	;; [unrolled: 1-line block ×4, first 2 shown]
	ds_read_b32 v13, v1 offset:40
	s_cbranch_scc1 .LBB311_127
; %bb.123:
	s_andn2_b64 vcc, exec, s[60:61]
	s_cbranch_vccnz .LBB311_290
; %bb.124:
	s_lshl_b64 s[4:5], s[68:69], 1
	s_add_u32 s4, s70, s4
	s_addc_u32 s5, s71, s5
	s_add_u32 s4, s4, -2
	s_addc_u32 s5, s5, -1
	s_cbranch_execnz .LBB311_126
.LBB311_125:
	s_add_u32 s4, s58, -2
	s_addc_u32 s5, s59, -1
.LBB311_126:
	s_mov_b64 s[58:59], s[4:5]
.LBB311_127:
	v_pk_mov_b32 v[14:15], s[58:59], s[58:59] op_sel:[0,1]
	flat_load_ushort v15, v[14:15]
	s_movk_i32 s4, 0xffd6
	s_waitcnt lgkmcnt(0)
	v_lshrrev_b32_e32 v14, 16, v13
	v_mad_i32_i24 v16, v0, s4, v1
	ds_write_b16 v16, v14 offset:11264
	s_waitcnt lgkmcnt(0)
	s_barrier
	s_and_saveexec_b64 s[4:5], s[52:53]
	s_cbranch_execz .LBB311_129
; %bb.128:
	s_waitcnt vmcnt(0)
	v_mul_i32_i24_e32 v15, 0xffffffd6, v0
	v_add_u32_e32 v15, v1, v15
	ds_read_u16 v15, v15 offset:11262
.LBB311_129:
	s_or_b64 exec, exec, s[4:5]
	v_mov_b32_e32 v17, s79
	v_add_co_u32_e32 v16, vcc, s78, v12
	v_addc_co_u32_e32 v17, vcc, 0, v17, vcc
	s_movk_i32 s4, 0x1000
	v_add_co_u32_e32 v18, vcc, s4, v16
	v_addc_co_u32_e32 v19, vcc, 0, v17, vcc
	s_movk_i32 s4, 0x2000
	s_waitcnt lgkmcnt(0)
	s_barrier
	flat_load_ushort v20, v[16:17]
	flat_load_ushort v21, v[16:17] offset:512
	flat_load_ushort v22, v[16:17] offset:1024
	;; [unrolled: 1-line block ×7, first 2 shown]
	v_add_co_u32_e32 v16, vcc, s4, v16
	v_addc_co_u32_e32 v17, vcc, 0, v17, vcc
	flat_load_ushort v28, v[18:19]
	flat_load_ushort v29, v[18:19] offset:512
	flat_load_ushort v30, v[18:19] offset:1024
	;; [unrolled: 1-line block ×7, first 2 shown]
	s_nop 0
	flat_load_ushort v18, v[16:17]
	flat_load_ushort v19, v[16:17] offset:512
	flat_load_ushort v36, v[16:17] offset:1024
	flat_load_ushort v37, v[16:17] offset:1536
	flat_load_ushort v38, v[16:17] offset:2048
	flat_load_ushort v39, v[16:17] offset:2560
	v_cmp_ne_u16_sdwa s[6:7], v10, v10 src0_sel:DWORD src1_sel:WORD_1
	v_cndmask_b32_e64 v16, 0, 1, s[6:7]
	v_cmp_ne_u16_sdwa s[6:7], v10, v11 src0_sel:WORD_1 src1_sel:DWORD
	v_cndmask_b32_e64 v40, 0, 1, s[6:7]
	v_cmp_ne_u16_sdwa s[6:7], v11, v11 src0_sel:DWORD src1_sel:WORD_1
	v_cmp_ne_u16_e64 s[4:5], v13, v14
	s_waitcnt vmcnt(0)
	v_cmp_ne_u16_e32 vcc, v15, v10
	v_cndmask_b32_e64 v41, 0, 1, s[6:7]
	v_cmp_ne_u16_sdwa s[6:7], v11, v8 src0_sel:WORD_1 src1_sel:DWORD
	v_cndmask_b32_e64 v17, 0, 1, vcc
	v_cndmask_b32_e64 v42, 0, 1, s[6:7]
	v_cmp_ne_u16_sdwa s[6:7], v8, v8 src0_sel:DWORD src1_sel:WORD_1
	s_mov_b64 s[10:11], -1
                                        ; implicit-def: $sgpr80
	s_waitcnt lgkmcnt(0)
	ds_write_b16 v12, v20
	ds_write_b16 v12, v21 offset:512
	ds_write_b16 v12, v22 offset:1024
	;; [unrolled: 1-line block ×21, first 2 shown]
	s_waitcnt lgkmcnt(0)
	s_barrier
	ds_read2_b32 v[10:11], v1 offset0:8 offset1:9
	ds_read_b32 v35, v1 offset:40
	ds_read2_b32 v[14:15], v1 offset1:1
	ds_read2_b32 v[22:23], v1 offset0:2 offset1:3
	ds_read2_b32 v[26:27], v1 offset0:4 offset1:5
	;; [unrolled: 1-line block ×3, first 2 shown]
	s_waitcnt lgkmcnt(4)
	v_lshrrev_b32_e32 v36, 16, v35
	s_waitcnt lgkmcnt(3)
	v_and_b32_e32 v1, 0xffff, v14
	v_alignbit_b32 v16, v16, v14, 16
	v_and_b32_e32 v14, 0xffff, v15
	v_lshl_or_b32 v1, v17, 16, v1
	v_lshl_or_b32 v17, v40, 16, v14
	v_cndmask_b32_e64 v14, 0, 1, s[6:7]
	v_cmp_ne_u16_sdwa s[6:7], v8, v9 src0_sel:WORD_1 src1_sel:DWORD
	s_waitcnt lgkmcnt(2)
	v_alignbit_b32 v20, v14, v22, 16
	v_and_b32_e32 v14, 0xffff, v23
	v_cndmask_b32_e64 v8, 0, 1, s[6:7]
	v_cmp_ne_u16_sdwa s[6:7], v9, v9 src0_sel:DWORD src1_sel:WORD_1
	v_lshl_or_b32 v21, v8, 16, v14
	v_cndmask_b32_e64 v8, 0, 1, s[6:7]
	v_cmp_ne_u16_sdwa s[6:7], v9, v6 src0_sel:WORD_1 src1_sel:DWORD
	v_alignbit_b32 v18, v41, v15, 16
	v_and_b32_e32 v15, 0xffff, v22
	v_alignbit_b32 v22, v8, v23, 16
	s_waitcnt lgkmcnt(1)
	v_and_b32_e32 v8, 0xffff, v26
	v_cndmask_b32_e64 v9, 0, 1, s[6:7]
	v_cmp_ne_u16_sdwa s[6:7], v6, v6 src0_sel:DWORD src1_sel:WORD_1
	v_lshl_or_b32 v23, v9, 16, v8
	v_cndmask_b32_e64 v8, 0, 1, s[6:7]
	v_cmp_ne_u16_sdwa s[6:7], v6, v7 src0_sel:WORD_1 src1_sel:DWORD
	v_alignbit_b32 v24, v8, v26, 16
	v_and_b32_e32 v8, 0xffff, v27
	v_cndmask_b32_e64 v6, 0, 1, s[6:7]
	v_cmp_ne_u16_sdwa s[6:7], v7, v7 src0_sel:DWORD src1_sel:WORD_1
	v_lshl_or_b32 v25, v6, 16, v8
	v_cndmask_b32_e64 v6, 0, 1, s[6:7]
	v_cmp_ne_u16_sdwa s[6:7], v7, v4 src0_sel:WORD_1 src1_sel:DWORD
	v_alignbit_b32 v26, v6, v27, 16
	s_waitcnt lgkmcnt(0)
	v_and_b32_e32 v6, 0xffff, v30
	v_cndmask_b32_e64 v7, 0, 1, s[6:7]
	v_cmp_ne_u16_sdwa s[6:7], v4, v4 src0_sel:DWORD src1_sel:WORD_1
	v_lshl_or_b32 v27, v7, 16, v6
	v_cndmask_b32_e64 v6, 0, 1, s[6:7]
	v_cmp_ne_u16_sdwa s[6:7], v4, v5 src0_sel:WORD_1 src1_sel:DWORD
	v_alignbit_b32 v28, v6, v30, 16
	v_and_b32_e32 v6, 0xffff, v31
	v_cndmask_b32_e64 v4, 0, 1, s[6:7]
	v_cmp_ne_u16_sdwa s[6:7], v5, v5 src0_sel:DWORD src1_sel:WORD_1
	v_lshl_or_b32 v29, v4, 16, v6
	v_cndmask_b32_e64 v4, 0, 1, s[6:7]
	v_cmp_ne_u16_sdwa s[6:7], v5, v2 src0_sel:WORD_1 src1_sel:DWORD
	v_alignbit_b32 v30, v4, v31, 16
	;; [unrolled: 7-line block ×4, first 2 shown]
	v_and_b32_e32 v2, 0xffff, v35
	v_cndmask_b32_e64 v3, 0, 1, s[6:7]
	v_lshl_or_b32 v19, v42, 16, v15
	v_lshl_or_b32 v35, v3, 16, v2
.LBB311_130:
	v_mov_b32_e32 v13, s80
	s_and_saveexec_b64 s[6:7], s[10:11]
	s_cbranch_execz .LBB311_132
; %bb.131:
	v_mov_b32_e32 v2, 0x10000
	v_cndmask_b32_e64 v2, 0, v2, s[4:5]
	s_waitcnt lgkmcnt(0)
	v_or_b32_sdwa v13, v2, v36 dst_sel:DWORD dst_unused:UNUSED_PAD src0_sel:DWORD src1_sel:WORD_0
.LBB311_132:
	s_or_b64 exec, exec, s[6:7]
	v_or3_b32 v2, v13, v35, v34
	s_cmp_lg_u32 s75, 0
	v_or3_b32 v15, v2, v33, v32
	v_lshrrev_b32_e32 v14, 5, v0
	v_cmp_gt_u32_e32 vcc, 64, v0
	s_waitcnt lgkmcnt(0)
	s_barrier
	s_cbranch_scc0 .LBB311_195
; %bb.133:
	s_mov_b32 s4, 0x10000
	v_cmp_gt_u32_e64 s[6:7], s4, v16
	v_cndmask_b32_e64 v2, 1, v1, s[6:7]
	v_mul_lo_u16_e32 v2, v2, v16
	v_cmp_gt_u32_e64 s[8:9], s4, v17
	v_cndmask_b32_e64 v2, 1, v2, s[8:9]
	v_mul_lo_u16_e32 v2, v2, v17
	;; [unrolled: 3-line block ×21, first 2 shown]
	v_or3_b32 v2, v15, v31, v30
	v_or3_b32 v2, v2, v29, v28
	;; [unrolled: 1-line block ×8, first 2 shown]
	v_and_b32_e32 v2, 0x10000, v2
	v_lshrrev_b32_e32 v36, 16, v1
	v_cmp_ne_u32_e64 s[4:5], 0, v2
	v_mov_b32_e32 v5, 0x10000
	v_cndmask_b32_e64 v38, v36, 1, s[4:5]
	v_add_lshl_u32 v2, v14, v0, 2
	ds_write_b16 v2, v37
	ds_write_b8 v2, v38 offset:2
	s_waitcnt lgkmcnt(0)
	s_barrier
	s_and_saveexec_b64 s[50:51], vcc
	s_cbranch_execz .LBB311_147
; %bb.134:
	v_lshlrev_b32_e32 v2, 2, v0
	v_lshrrev_b32_e32 v3, 3, v0
	v_add_lshl_u32 v2, v3, v2, 2
	ds_read_b32 v3, v2
	ds_read_u16 v4, v2 offset:4
	ds_read_u8 v6, v2 offset:6
	ds_read_u16 v7, v2 offset:8
	ds_read_u8 v8, v2 offset:10
	;; [unrolled: 2-line block ×3, first 2 shown]
	v_mov_b32_e32 v11, 0
	s_waitcnt lgkmcnt(4)
	v_cmp_eq_u16_sdwa s[4:5], v6, v11 src0_sel:BYTE_0 src1_sel:DWORD
	v_cndmask_b32_e64 v39, 1, v3, s[4:5]
	v_mul_lo_u16_e32 v39, v39, v4
	s_waitcnt lgkmcnt(2)
	v_cmp_eq_u16_sdwa s[4:5], v8, v11 src0_sel:BYTE_0 src1_sel:DWORD
	s_waitcnt lgkmcnt(0)
	v_or_b32_e32 v8, v10, v8
	v_cndmask_b32_e64 v11, 1, v39, s[4:5]
	v_or_b32_e32 v6, v8, v6
	v_mul_lo_u16_e32 v7, v11, v7
	v_cmp_eq_u16_e64 s[4:5], 0, v10
	v_and_b32_e32 v6, 1, v6
	v_and_b32_e32 v4, 0x10000, v3
	v_cndmask_b32_e64 v11, 1, v7, s[4:5]
	v_cmp_eq_u32_e64 s[4:5], 1, v6
	v_mbcnt_lo_u32_b32 v6, -1, 0
	v_mul_lo_u16_e32 v7, v11, v9
	v_cndmask_b32_e64 v39, v4, v5, s[4:5]
	v_mul_lo_u16_e32 v9, v11, v9
	v_and_b32_e32 v5, 0xff000000, v3
	v_mbcnt_hi_u32_b32 v6, -1, v6
	v_or_b32_e32 v10, v39, v5
	v_and_b32_e32 v11, 15, v6
	v_or3_b32 v9, v5, v9, v39
	s_movk_i32 s60, 0xff
	v_lshrrev_b32_e32 v8, 16, v10
	v_mov_b32_dpp v39, v9 row_shr:1 row_mask:0xf bank_mask:0xf
	v_cmp_ne_u32_e64 s[4:5], 0, v11
	s_and_saveexec_b64 s[58:59], s[4:5]
	s_cbranch_execz .LBB311_136
; %bb.135:
	v_and_b32_sdwa v8, v10, s60 dst_sel:DWORD dst_unused:UNUSED_PAD src0_sel:WORD_1 src1_sel:DWORD
	v_cmp_eq_u16_e64 s[4:5], 0, v8
	v_and_b32_e32 v8, 0x10000, v10
	v_mov_b32_e32 v10, 1
	v_cndmask_b32_e64 v9, 1, v39, s[4:5]
	v_and_b32_sdwa v10, v39, v10 dst_sel:DWORD dst_unused:UNUSED_PAD src0_sel:WORD_1 src1_sel:DWORD
	v_cmp_ne_u32_e64 s[4:5], 0, v8
	v_cndmask_b32_e64 v8, v10, 1, s[4:5]
	v_mul_lo_u16_e32 v40, v9, v7
	v_lshlrev_b32_e32 v10, 16, v8
	v_mul_lo_u16_e32 v7, v9, v7
	v_or3_b32 v9, v10, v7, v5
	v_mov_b32_e32 v7, v40
.LBB311_136:
	s_or_b64 exec, exec, s[58:59]
	v_lshrrev_b32_e32 v10, 16, v9
	v_mov_b32_dpp v39, v9 row_shr:2 row_mask:0xf bank_mask:0xf
	v_cmp_lt_u32_e64 s[4:5], 1, v11
	s_and_saveexec_b64 s[58:59], s[4:5]
	s_cbranch_execz .LBB311_138
; %bb.137:
	v_mov_b32_e32 v8, 0
	v_cmp_eq_u16_sdwa s[4:5], v10, v8 src0_sel:BYTE_0 src1_sel:DWORD
	v_and_b32_e32 v8, 0x10000, v9
	v_mov_b32_e32 v9, 1
	v_cndmask_b32_e64 v10, 1, v39, s[4:5]
	v_and_b32_sdwa v9, v39, v9 dst_sel:DWORD dst_unused:UNUSED_PAD src0_sel:WORD_1 src1_sel:DWORD
	v_cmp_ne_u32_e64 s[4:5], 0, v8
	v_cndmask_b32_e64 v8, v9, 1, s[4:5]
	v_mul_lo_u16_e32 v40, v10, v7
	v_lshlrev_b32_e32 v9, 16, v8
	v_mul_lo_u16_e32 v7, v10, v7
	v_or3_b32 v9, v9, v7, v5
	v_mov_b32_e32 v10, v8
	v_mov_b32_e32 v7, v40
.LBB311_138:
	s_or_b64 exec, exec, s[58:59]
	v_mov_b32_dpp v39, v9 row_shr:4 row_mask:0xf bank_mask:0xf
	v_cmp_lt_u32_e64 s[4:5], 3, v11
	s_and_saveexec_b64 s[58:59], s[4:5]
	s_cbranch_execz .LBB311_140
; %bb.139:
	v_mov_b32_e32 v8, 0
	v_cmp_eq_u16_sdwa s[4:5], v10, v8 src0_sel:BYTE_0 src1_sel:DWORD
	v_and_b32_e32 v8, 1, v10
	v_mov_b32_e32 v10, 1
	v_cndmask_b32_e64 v9, 1, v39, s[4:5]
	v_and_b32_sdwa v10, v39, v10 dst_sel:DWORD dst_unused:UNUSED_PAD src0_sel:WORD_1 src1_sel:DWORD
	v_cmp_eq_u32_e64 s[4:5], 1, v8
	v_cndmask_b32_e64 v8, v10, 1, s[4:5]
	v_mul_lo_u16_e32 v40, v9, v7
	v_lshlrev_b32_e32 v10, 16, v8
	v_mul_lo_u16_e32 v7, v9, v7
	v_or3_b32 v9, v10, v7, v5
	v_mov_b32_e32 v10, v8
	v_mov_b32_e32 v7, v40
.LBB311_140:
	s_or_b64 exec, exec, s[58:59]
	v_mov_b32_dpp v39, v9 row_shr:8 row_mask:0xf bank_mask:0xf
	v_cmp_lt_u32_e64 s[4:5], 7, v11
	s_and_saveexec_b64 s[58:59], s[4:5]
	s_cbranch_execz .LBB311_142
; %bb.141:
	v_mov_b32_e32 v8, 0
	v_cmp_eq_u16_sdwa s[4:5], v10, v8 src0_sel:BYTE_0 src1_sel:DWORD
	v_and_b32_e32 v8, 1, v10
	v_mov_b32_e32 v10, 1
	v_cndmask_b32_e64 v9, 1, v39, s[4:5]
	v_and_b32_sdwa v10, v39, v10 dst_sel:DWORD dst_unused:UNUSED_PAD src0_sel:WORD_1 src1_sel:DWORD
	v_cmp_eq_u32_e64 s[4:5], 1, v8
	v_cndmask_b32_e64 v8, v10, 1, s[4:5]
	v_mul_lo_u16_e32 v11, v9, v7
	v_lshlrev_b32_e32 v10, 16, v8
	v_mul_lo_u16_e32 v7, v9, v7
	v_or3_b32 v9, v10, v7, v5
	v_mov_b32_e32 v10, v8
	v_mov_b32_e32 v7, v11
.LBB311_142:
	s_or_b64 exec, exec, s[58:59]
	v_and_b32_e32 v39, 16, v6
	v_mov_b32_dpp v11, v9 row_bcast:15 row_mask:0xf bank_mask:0xf
	v_cmp_ne_u32_e64 s[4:5], 0, v39
	s_and_saveexec_b64 s[58:59], s[4:5]
	s_cbranch_execz .LBB311_144
; %bb.143:
	v_mov_b32_e32 v8, 0
	v_cmp_eq_u16_sdwa s[4:5], v10, v8 src0_sel:BYTE_0 src1_sel:DWORD
	v_and_b32_e32 v8, 1, v10
	v_mov_b32_e32 v10, 1
	v_cndmask_b32_e64 v9, 1, v11, s[4:5]
	v_and_b32_sdwa v10, v11, v10 dst_sel:DWORD dst_unused:UNUSED_PAD src0_sel:WORD_1 src1_sel:DWORD
	v_cmp_eq_u32_e64 s[4:5], 1, v8
	v_cndmask_b32_e64 v8, v10, 1, s[4:5]
	v_mul_lo_u16_e32 v39, v9, v7
	v_lshlrev_b32_e32 v10, 16, v8
	v_mul_lo_u16_e32 v7, v9, v7
	v_or3_b32 v9, v10, v7, v5
	v_mov_b32_e32 v10, v8
	v_mov_b32_e32 v7, v39
.LBB311_144:
	s_or_b64 exec, exec, s[58:59]
	v_mov_b32_dpp v9, v9 row_bcast:31 row_mask:0xf bank_mask:0xf
	v_cmp_lt_u32_e64 s[4:5], 31, v6
	s_and_saveexec_b64 s[58:59], s[4:5]
; %bb.145:
	v_mov_b32_e32 v8, 0
	v_cmp_eq_u16_sdwa s[4:5], v10, v8 src0_sel:BYTE_0 src1_sel:DWORD
	v_cndmask_b32_e64 v8, 1, v9, s[4:5]
	v_mul_lo_u16_e32 v7, v8, v7
	v_and_b32_e32 v8, 1, v10
	v_mov_b32_e32 v10, 1
	v_and_b32_sdwa v9, v9, v10 dst_sel:DWORD dst_unused:UNUSED_PAD src0_sel:WORD_1 src1_sel:DWORD
	v_cmp_eq_u32_e64 s[4:5], 1, v8
	v_cndmask_b32_e64 v8, v9, 1, s[4:5]
; %bb.146:
	s_or_b64 exec, exec, s[58:59]
	v_and_b32_e32 v8, 0xff, v8
	v_lshlrev_b32_e32 v8, 16, v8
	v_and_b32_e32 v7, 0xffff, v7
	v_or3_b32 v5, v8, v7, v5
	v_add_u32_e32 v7, -1, v6
	v_and_b32_e32 v8, 64, v6
	v_cmp_lt_i32_e64 s[4:5], v7, v8
	v_cndmask_b32_e64 v6, v7, v6, s[4:5]
	v_lshlrev_b32_e32 v6, 2, v6
	ds_bpermute_b32 v5, v6, v5
	v_and_b32_e32 v6, 0xff0000, v3
	v_cmp_eq_u32_e64 s[4:5], 0, v6
	; wave barrier
	s_waitcnt lgkmcnt(0)
	v_cndmask_b32_e64 v6, 1, v5, s[4:5]
	v_mul_lo_u16_e32 v3, v6, v3
	v_mov_b32_e32 v6, 1
	v_and_b32_sdwa v5, v5, v6 dst_sel:DWORD dst_unused:UNUSED_PAD src0_sel:WORD_1 src1_sel:DWORD
	v_cmp_eq_u32_e64 s[4:5], 0, v4
	v_cndmask_b32_e64 v4, 1, v5, s[4:5]
	v_cndmask_b32_e64 v3, v3, v37, s[0:1]
	;; [unrolled: 1-line block ×3, first 2 shown]
	ds_write_b16 v2, v3
	ds_write_b8 v2, v4 offset:2
	; wave barrier
	ds_read_u16 v5, v2 offset:4
	ds_read_u8 v6, v2 offset:6
	ds_read_u16 v7, v2 offset:8
	ds_read_u8 v8, v2 offset:10
	;; [unrolled: 2-line block ×3, first 2 shown]
	s_waitcnt lgkmcnt(4)
	v_cmp_eq_u16_e64 s[4:5], 0, v6
	v_cndmask_b32_e64 v3, 1, v3, s[4:5]
	v_mul_lo_u16_e32 v3, v3, v5
	v_and_b32_e32 v5, 1, v6
	v_cmp_eq_u32_e64 s[4:5], 1, v5
	v_cndmask_b32_e64 v4, v4, 1, s[4:5]
	s_waitcnt lgkmcnt(2)
	v_cmp_eq_u16_e64 s[4:5], 0, v8
	v_and_b32_e32 v5, 1, v8
	ds_write_b16 v2, v3 offset:4
	ds_write_b8 v2, v4 offset:6
	v_cndmask_b32_e64 v3, 1, v3, s[4:5]
	v_cmp_eq_u32_e64 s[4:5], 1, v5
	v_mul_lo_u16_e32 v3, v3, v7
	v_cndmask_b32_e64 v4, v4, 1, s[4:5]
	s_waitcnt lgkmcnt(2)
	v_cmp_eq_u16_e64 s[4:5], 0, v10
	ds_write_b16 v2, v3 offset:8
	ds_write_b8 v2, v4 offset:10
	v_cndmask_b32_e64 v3, 1, v3, s[4:5]
	v_and_b32_e32 v5, 1, v10
	v_mul_lo_u16_e32 v3, v3, v9
	v_cmp_eq_u32_e64 s[4:5], 1, v5
	v_cndmask_b32_e64 v4, v4, 1, s[4:5]
	ds_write_b16 v2, v3 offset:12
	ds_write_b8 v2, v4 offset:14
.LBB311_147:
	s_or_b64 exec, exec, s[50:51]
	s_waitcnt lgkmcnt(0)
	s_barrier
	s_and_saveexec_b64 s[4:5], s[52:53]
	s_cbranch_execz .LBB311_149
; %bb.148:
	v_add_u32_e32 v2, -1, v0
	v_lshrrev_b32_e32 v3, 5, v2
	v_add_lshl_u32 v2, v3, v2, 2
	ds_read_u16 v37, v2
	ds_read_u8 v38, v2 offset:2
.LBB311_149:
	s_or_b64 exec, exec, s[4:5]
	s_and_saveexec_b64 s[4:5], vcc
	s_cbranch_execz .LBB311_192
; %bb.150:
	v_mov_b32_e32 v9, 0
	ds_read_b32 v2, v9 offset:1048
	v_mbcnt_lo_u32_b32 v3, -1, 0
	v_mbcnt_hi_u32_b32 v5, -1, v3
	s_mov_b32 s61, 0
	v_cmp_eq_u32_e64 s[50:51], 0, v5
	s_and_saveexec_b64 s[58:59], s[50:51]
	s_cbranch_execz .LBB311_152
; %bb.151:
	s_add_i32 s60, s75, 64
	s_lshl_b64 s[60:61], s[60:61], 3
	s_add_u32 s60, s72, s60
	v_mov_b32_e32 v3, 1
	s_addc_u32 s61, s73, s61
	s_waitcnt lgkmcnt(0)
	global_store_dwordx2 v9, v[2:3], s[60:61]
.LBB311_152:
	s_or_b64 exec, exec, s[58:59]
	v_xad_u32 v4, v5, -1, s75
	v_add_u32_e32 v8, 64, v4
	v_lshlrev_b64 v[6:7], 3, v[8:9]
	v_mov_b32_e32 v3, s73
	v_add_co_u32_e32 v10, vcc, s72, v6
	v_addc_co_u32_e32 v11, vcc, v3, v7, vcc
	global_load_dwordx2 v[6:7], v[10:11], off glc
	s_waitcnt vmcnt(0)
	v_cmp_eq_u16_sdwa s[60:61], v7, v9 src0_sel:BYTE_0 src1_sel:DWORD
	s_and_saveexec_b64 s[58:59], s[60:61]
	s_cbranch_execz .LBB311_156
; %bb.153:
	s_mov_b64 s[60:61], 0
	v_mov_b32_e32 v3, 0
.LBB311_154:                            ; =>This Inner Loop Header: Depth=1
	global_load_dwordx2 v[6:7], v[10:11], off glc
	s_waitcnt vmcnt(0)
	v_cmp_ne_u16_sdwa s[64:65], v7, v3 src0_sel:BYTE_0 src1_sel:DWORD
	s_or_b64 s[60:61], s[64:65], s[60:61]
	s_andn2_b64 exec, exec, s[60:61]
	s_cbranch_execnz .LBB311_154
; %bb.155:
	s_or_b64 exec, exec, s[60:61]
.LBB311_156:
	s_or_b64 exec, exec, s[58:59]
	v_mov_b32_e32 v3, 2
	v_cmp_eq_u16_sdwa s[58:59], v7, v3 src0_sel:BYTE_0 src1_sel:DWORD
	v_lshlrev_b64 v[8:9], v5, -1
	v_and_b32_e32 v3, s59, v9
	v_or_b32_e32 v3, 0x80000000, v3
	v_ffbl_b32_e32 v3, v3
	v_add_u32_e32 v11, 32, v3
	v_and_b32_e32 v3, 63, v5
	v_cmp_ne_u32_e32 vcc, 63, v3
	v_addc_co_u32_e32 v39, vcc, 0, v5, vcc
	v_and_b32_e32 v50, 0xffffff, v6
	v_lshlrev_b32_e32 v39, 2, v39
	ds_bpermute_b32 v40, v39, v50
	v_and_b32_e32 v10, s58, v8
	v_ffbl_b32_e32 v10, v10
	v_min_u32_e32 v11, v10, v11
	v_lshrrev_b32_e32 v10, 16, v6
	v_cmp_lt_u32_e32 vcc, v3, v11
	v_bfe_u32 v48, v6, 16, 8
	s_and_saveexec_b64 s[58:59], vcc
	s_cbranch_execz .LBB311_158
; %bb.157:
	v_and_b32_e32 v10, 0xff0000, v6
	v_cmp_eq_u32_e32 vcc, 0, v10
	v_and_b32_e32 v10, 0x10000, v10
	v_mov_b32_e32 v43, 1
	s_waitcnt lgkmcnt(0)
	v_cndmask_b32_e32 v41, 1, v40, vcc
	v_and_b32_sdwa v40, v40, v43 dst_sel:DWORD dst_unused:UNUSED_PAD src0_sel:WORD_1 src1_sel:DWORD
	v_cmp_ne_u32_e32 vcc, 0, v10
	v_cndmask_b32_e64 v10, v40, 1, vcc
	v_mul_lo_u16_e32 v42, v41, v6
	v_lshlrev_b32_e32 v40, 16, v10
	v_mul_lo_u16_e32 v6, v41, v6
	v_or_b32_e32 v50, v40, v6
	v_mov_b32_e32 v6, v42
	v_mov_b32_e32 v48, v10
.LBB311_158:
	s_or_b64 exec, exec, s[58:59]
	v_cmp_gt_u32_e32 vcc, 62, v3
	s_waitcnt lgkmcnt(0)
	v_cndmask_b32_e64 v40, 0, 1, vcc
	v_lshlrev_b32_e32 v40, 1, v40
	v_add_lshl_u32 v40, v40, v5, 2
	ds_bpermute_b32 v42, v40, v50
	v_add_u32_e32 v41, 2, v3
	v_cmp_le_u32_e32 vcc, v41, v11
	s_and_saveexec_b64 s[58:59], vcc
	s_cbranch_execz .LBB311_160
; %bb.159:
	v_cmp_eq_u16_e32 vcc, 0, v48
	v_and_b32_e32 v10, 1, v48
	v_mov_b32_e32 v45, 1
	s_waitcnt lgkmcnt(0)
	v_cndmask_b32_e32 v43, 1, v42, vcc
	v_and_b32_sdwa v42, v42, v45 dst_sel:DWORD dst_unused:UNUSED_PAD src0_sel:WORD_1 src1_sel:DWORD
	v_cmp_eq_u32_e32 vcc, 1, v10
	v_cndmask_b32_e64 v10, v42, 1, vcc
	v_mul_lo_u16_e32 v44, v43, v6
	v_lshlrev_b32_e32 v42, 16, v10
	v_mul_lo_u16_e32 v6, v43, v6
	v_or_b32_e32 v50, v42, v6
	v_mov_b32_e32 v6, v44
	v_mov_b32_e32 v48, v10
.LBB311_160:
	s_or_b64 exec, exec, s[58:59]
	v_cmp_gt_u32_e32 vcc, 60, v3
	s_waitcnt lgkmcnt(0)
	v_cndmask_b32_e64 v42, 0, 1, vcc
	v_lshlrev_b32_e32 v42, 2, v42
	v_add_lshl_u32 v42, v42, v5, 2
	ds_bpermute_b32 v44, v42, v50
	v_add_u32_e32 v43, 4, v3
	v_cmp_le_u32_e32 vcc, v43, v11
	s_and_saveexec_b64 s[58:59], vcc
	s_cbranch_execz .LBB311_162
; %bb.161:
	v_cmp_eq_u16_e32 vcc, 0, v48
	v_and_b32_e32 v10, 1, v48
	v_mov_b32_e32 v47, 1
	s_waitcnt lgkmcnt(0)
	v_cndmask_b32_e32 v45, 1, v44, vcc
	v_and_b32_sdwa v44, v44, v47 dst_sel:DWORD dst_unused:UNUSED_PAD src0_sel:WORD_1 src1_sel:DWORD
	v_cmp_eq_u32_e32 vcc, 1, v10
	v_cndmask_b32_e64 v10, v44, 1, vcc
	v_mul_lo_u16_e32 v46, v45, v6
	v_lshlrev_b32_e32 v44, 16, v10
	v_mul_lo_u16_e32 v6, v45, v6
	v_or_b32_e32 v50, v44, v6
	v_mov_b32_e32 v6, v46
	v_mov_b32_e32 v48, v10
.LBB311_162:
	;; [unrolled: 27-line block ×4, first 2 shown]
	s_or_b64 exec, exec, s[58:59]
	v_cmp_gt_u32_e32 vcc, 32, v3
	s_waitcnt lgkmcnt(0)
	v_cndmask_b32_e64 v49, 0, 1, vcc
	v_lshlrev_b32_e32 v49, 5, v49
	v_add_lshl_u32 v49, v49, v5, 2
	ds_bpermute_b32 v5, v49, v50
	v_add_u32_e32 v50, 32, v3
	v_cmp_le_u32_e32 vcc, v50, v11
	s_and_saveexec_b64 s[58:59], vcc
	s_cbranch_execz .LBB311_168
; %bb.167:
	v_cmp_eq_u16_e32 vcc, 0, v48
	s_waitcnt lgkmcnt(0)
	v_cndmask_b32_e32 v10, 1, v5, vcc
	v_mul_lo_u16_e32 v6, v10, v6
	v_and_b32_e32 v10, 1, v48
	v_mov_b32_e32 v11, 1
	v_and_b32_sdwa v5, v5, v11 dst_sel:DWORD dst_unused:UNUSED_PAD src0_sel:WORD_1 src1_sel:DWORD
	v_cmp_eq_u32_e32 vcc, 1, v10
	v_cndmask_b32_e64 v10, v5, 1, vcc
.LBB311_168:
	s_or_b64 exec, exec, s[58:59]
	s_waitcnt lgkmcnt(0)
	v_mov_b32_e32 v5, 0
	v_mov_b32_e32 v52, 2
	;; [unrolled: 1-line block ×3, first 2 shown]
	s_branch .LBB311_170
.LBB311_169:                            ;   in Loop: Header=BB311_170 Depth=1
	s_or_b64 exec, exec, s[58:59]
	v_cmp_eq_u16_sdwa vcc, v48, v5 src0_sel:BYTE_0 src1_sel:DWORD
	v_and_b32_e32 v10, 1, v48
	v_cndmask_b32_e32 v6, 1, v6, vcc
	v_and_b32_e32 v11, 1, v11
	v_cmp_eq_u32_e32 vcc, 1, v10
	v_subrev_u32_e32 v4, 64, v4
	v_mul_lo_u16_e32 v6, v6, v51
	v_cndmask_b32_e64 v10, v11, 1, vcc
.LBB311_170:                            ; =>This Loop Header: Depth=1
                                        ;     Child Loop BB311_173 Depth 2
	v_cmp_ne_u16_sdwa s[58:59], v7, v52 src0_sel:BYTE_0 src1_sel:DWORD
	v_cndmask_b32_e64 v7, 0, 1, s[58:59]
	;;#ASMSTART
	;;#ASMEND
	v_cmp_ne_u32_e32 vcc, 0, v7
	v_mov_b32_e32 v48, v10
	s_cmp_lg_u64 vcc, exec
	v_mov_b32_e32 v51, v6
	s_cbranch_scc1 .LBB311_187
; %bb.171:                              ;   in Loop: Header=BB311_170 Depth=1
	v_lshlrev_b64 v[6:7], 3, v[4:5]
	v_mov_b32_e32 v11, s73
	v_add_co_u32_e32 v10, vcc, s72, v6
	v_addc_co_u32_e32 v11, vcc, v11, v7, vcc
	global_load_dwordx2 v[6:7], v[10:11], off glc
	s_waitcnt vmcnt(0)
	v_cmp_eq_u16_sdwa s[60:61], v7, v5 src0_sel:BYTE_0 src1_sel:DWORD
	s_and_saveexec_b64 s[58:59], s[60:61]
	s_cbranch_execz .LBB311_175
; %bb.172:                              ;   in Loop: Header=BB311_170 Depth=1
	s_mov_b64 s[60:61], 0
.LBB311_173:                            ;   Parent Loop BB311_170 Depth=1
                                        ; =>  This Inner Loop Header: Depth=2
	global_load_dwordx2 v[6:7], v[10:11], off glc
	s_waitcnt vmcnt(0)
	v_cmp_ne_u16_sdwa s[64:65], v7, v5 src0_sel:BYTE_0 src1_sel:DWORD
	s_or_b64 s[60:61], s[64:65], s[60:61]
	s_andn2_b64 exec, exec, s[60:61]
	s_cbranch_execnz .LBB311_173
; %bb.174:                              ;   in Loop: Header=BB311_170 Depth=1
	s_or_b64 exec, exec, s[60:61]
.LBB311_175:                            ;   in Loop: Header=BB311_170 Depth=1
	s_or_b64 exec, exec, s[58:59]
	v_cmp_eq_u16_sdwa s[58:59], v7, v52 src0_sel:BYTE_0 src1_sel:DWORD
	v_and_b32_e32 v10, s59, v9
	s_waitcnt lgkmcnt(0)
	v_and_b32_e32 v55, 0xffffff, v6
	v_or_b32_e32 v10, 0x80000000, v10
	ds_bpermute_b32 v56, v39, v55
	v_and_b32_e32 v11, s58, v8
	v_ffbl_b32_e32 v10, v10
	v_add_u32_e32 v10, 32, v10
	v_ffbl_b32_e32 v11, v11
	v_min_u32_e32 v10, v11, v10
	v_lshrrev_b32_e32 v11, 16, v6
	v_cmp_lt_u32_e32 vcc, v3, v10
	v_bfe_u32 v54, v6, 16, 8
	s_and_saveexec_b64 s[58:59], vcc
	s_cbranch_execz .LBB311_177
; %bb.176:                              ;   in Loop: Header=BB311_170 Depth=1
	v_and_b32_e32 v11, 0xff0000, v6
	v_cmp_eq_u32_e32 vcc, 0, v11
	v_and_b32_e32 v11, 0x10000, v11
	s_waitcnt lgkmcnt(0)
	v_cndmask_b32_e32 v54, 1, v56, vcc
	v_and_b32_sdwa v55, v56, v53 dst_sel:DWORD dst_unused:UNUSED_PAD src0_sel:WORD_1 src1_sel:DWORD
	v_cmp_ne_u32_e32 vcc, 0, v11
	v_cndmask_b32_e64 v11, v55, 1, vcc
	v_mul_lo_u16_e32 v57, v54, v6
	v_lshlrev_b32_e32 v55, 16, v11
	v_mul_lo_u16_e32 v6, v54, v6
	v_or_b32_e32 v55, v55, v6
	v_mov_b32_e32 v6, v57
	v_mov_b32_e32 v54, v11
.LBB311_177:                            ;   in Loop: Header=BB311_170 Depth=1
	s_or_b64 exec, exec, s[58:59]
	s_waitcnt lgkmcnt(0)
	ds_bpermute_b32 v56, v40, v55
	v_cmp_le_u32_e32 vcc, v41, v10
	s_and_saveexec_b64 s[58:59], vcc
	s_cbranch_execz .LBB311_179
; %bb.178:                              ;   in Loop: Header=BB311_170 Depth=1
	v_cmp_eq_u16_e32 vcc, 0, v54
	v_and_b32_e32 v11, 1, v54
	s_waitcnt lgkmcnt(0)
	v_cndmask_b32_e32 v55, 1, v56, vcc
	v_and_b32_sdwa v54, v56, v53 dst_sel:DWORD dst_unused:UNUSED_PAD src0_sel:WORD_1 src1_sel:DWORD
	v_cmp_eq_u32_e32 vcc, 1, v11
	v_cndmask_b32_e64 v11, v54, 1, vcc
	v_mul_lo_u16_e32 v57, v55, v6
	v_lshlrev_b32_e32 v54, 16, v11
	v_mul_lo_u16_e32 v6, v55, v6
	v_or_b32_e32 v55, v54, v6
	v_mov_b32_e32 v6, v57
	v_mov_b32_e32 v54, v11
.LBB311_179:                            ;   in Loop: Header=BB311_170 Depth=1
	s_or_b64 exec, exec, s[58:59]
	s_waitcnt lgkmcnt(0)
	ds_bpermute_b32 v56, v42, v55
	v_cmp_le_u32_e32 vcc, v43, v10
	s_and_saveexec_b64 s[58:59], vcc
	s_cbranch_execz .LBB311_181
; %bb.180:                              ;   in Loop: Header=BB311_170 Depth=1
	v_cmp_eq_u16_e32 vcc, 0, v54
	v_and_b32_e32 v11, 1, v54
	s_waitcnt lgkmcnt(0)
	v_cndmask_b32_e32 v55, 1, v56, vcc
	v_and_b32_sdwa v54, v56, v53 dst_sel:DWORD dst_unused:UNUSED_PAD src0_sel:WORD_1 src1_sel:DWORD
	v_cmp_eq_u32_e32 vcc, 1, v11
	v_cndmask_b32_e64 v11, v54, 1, vcc
	v_mul_lo_u16_e32 v57, v55, v6
	v_lshlrev_b32_e32 v54, 16, v11
	v_mul_lo_u16_e32 v6, v55, v6
	v_or_b32_e32 v55, v54, v6
	v_mov_b32_e32 v6, v57
	v_mov_b32_e32 v54, v11
.LBB311_181:                            ;   in Loop: Header=BB311_170 Depth=1
	;; [unrolled: 21-line block ×4, first 2 shown]
	s_or_b64 exec, exec, s[58:59]
	ds_bpermute_b32 v55, v49, v55
	v_cmp_le_u32_e32 vcc, v50, v10
	s_and_saveexec_b64 s[58:59], vcc
	s_cbranch_execz .LBB311_169
; %bb.186:                              ;   in Loop: Header=BB311_170 Depth=1
	v_cmp_eq_u16_e32 vcc, 0, v54
	s_waitcnt lgkmcnt(0)
	v_cndmask_b32_e32 v10, 1, v55, vcc
	v_mul_lo_u16_e32 v6, v10, v6
	v_and_b32_e32 v10, 1, v54
	v_lshrrev_b32_e32 v11, 16, v55
	v_cmp_eq_u32_e32 vcc, 1, v10
	v_cndmask_b32_e64 v11, v11, 1, vcc
	s_branch .LBB311_169
.LBB311_187:                            ;   in Loop: Header=BB311_170 Depth=1
                                        ; implicit-def: $vgpr10
                                        ; implicit-def: $vgpr6
	s_cbranch_execz .LBB311_170
; %bb.188:
	s_and_saveexec_b64 s[58:59], s[50:51]
	s_cbranch_execz .LBB311_190
; %bb.189:
	v_and_b32_e32 v3, 0xff0000, v2
	s_mov_b32 s51, 0
	v_cmp_eq_u32_e32 vcc, 0, v3
	v_and_b32_e32 v4, 0x10000, v2
	v_mov_b32_e32 v5, 1
	s_add_i32 s50, s75, 64
	v_cndmask_b32_e32 v3, 1, v51, vcc
	v_and_b32_sdwa v5, v48, v5 dst_sel:WORD_1 dst_unused:UNUSED_PAD src0_sel:DWORD src1_sel:DWORD
	v_mov_b32_e32 v6, 0x10000
	v_cmp_eq_u32_e32 vcc, 0, v4
	s_lshl_b64 s[50:51], s[50:51], 3
	v_cndmask_b32_e32 v4, v6, v5, vcc
	s_add_u32 s50, s72, s50
	v_mul_lo_u16_e32 v2, v3, v2
	s_addc_u32 s51, s73, s51
	v_mov_b32_e32 v5, 0
	v_or_b32_e32 v2, v4, v2
	v_mov_b32_e32 v3, 2
	global_store_dwordx2 v5, v[2:3], s[50:51]
.LBB311_190:
	s_or_b64 exec, exec, s[58:59]
	s_and_b64 exec, exec, s[0:1]
	s_cbranch_execz .LBB311_192
; %bb.191:
	v_mov_b32_e32 v2, 0
	ds_write_b16 v2, v51
	ds_write_b8 v2, v48 offset:2
.LBB311_192:
	s_or_b64 exec, exec, s[4:5]
	v_mov_b32_e32 v2, 0
	s_waitcnt lgkmcnt(0)
	s_barrier
	ds_read_b32 v3, v2
	v_mov_b32_e32 v4, v1
	s_and_saveexec_b64 s[4:5], s[52:53]
; %bb.193:
	v_and_b32_e32 v4, 0x10000, v1
	v_and_b32_e32 v5, 1, v38
	v_cmp_ne_u32_e32 vcc, 0, v4
	s_mov_b32 s50, 0x10000
	v_cndmask_b32_e64 v36, v5, 1, vcc
	v_cmp_gt_u32_e32 vcc, s50, v1
	v_cndmask_b32_e32 v4, 1, v37, vcc
	v_mul_lo_u16_e32 v4, v4, v1
; %bb.194:
	s_or_b64 exec, exec, s[4:5]
	v_cmp_eq_u16_sdwa vcc, v36, v2 src0_sel:BYTE_0 src1_sel:DWORD
	s_waitcnt lgkmcnt(0)
	v_cndmask_b32_e32 v2, 1, v3, vcc
	v_mul_lo_u16_e32 v49, v2, v4
	v_cndmask_b32_e64 v2, 1, v49, s[6:7]
	v_mul_lo_u16_e32 v4, v2, v16
	v_cndmask_b32_e64 v2, 1, v4, s[8:9]
	;; [unrolled: 2-line block ×21, first 2 shown]
	v_mul_lo_u16_e32 v48, v2, v13
	s_branch .LBB311_217
.LBB311_195:
                                        ; implicit-def: $vgpr49
                                        ; implicit-def: $vgpr4
                                        ; implicit-def: $vgpr5
                                        ; implicit-def: $vgpr6
                                        ; implicit-def: $vgpr7
                                        ; implicit-def: $vgpr8
                                        ; implicit-def: $vgpr9
                                        ; implicit-def: $vgpr10
                                        ; implicit-def: $vgpr11
                                        ; implicit-def: $vgpr36
                                        ; implicit-def: $vgpr37
                                        ; implicit-def: $vgpr38
                                        ; implicit-def: $vgpr39
                                        ; implicit-def: $vgpr40
                                        ; implicit-def: $vgpr41
                                        ; implicit-def: $vgpr42
                                        ; implicit-def: $vgpr43
                                        ; implicit-def: $vgpr44
                                        ; implicit-def: $vgpr45
                                        ; implicit-def: $vgpr46
                                        ; implicit-def: $vgpr47
                                        ; implicit-def: $vgpr48
	s_cbranch_execz .LBB311_217
; %bb.196:
	s_cmp_lg_u64 s[76:77], 0
	s_cselect_b32 s7, s67, 0
	s_cselect_b32 s6, s66, 0
	s_cmp_lg_u64 s[6:7], 0
	s_cselect_b64 s[4:5], -1, 0
	s_and_b64 s[8:9], s[0:1], s[4:5]
	s_and_saveexec_b64 s[4:5], s[8:9]
	s_cbranch_execz .LBB311_198
; %bb.197:
	v_mov_b32_e32 v2, 0
	global_load_ushort v3, v2, s[6:7]
	global_load_ubyte v4, v2, s[6:7] offset:2
	s_mov_b32 s6, 0x10000
	v_and_b32_e32 v2, 0x10000, v1
	v_mov_b32_e32 v5, 1
	v_cmp_gt_u32_e32 vcc, s6, v1
	v_mov_b32_e32 v6, 0x10000
	s_waitcnt vmcnt(1)
	v_cndmask_b32_e32 v3, 1, v3, vcc
	s_waitcnt vmcnt(0)
	v_and_b32_sdwa v4, v4, v5 dst_sel:WORD_1 dst_unused:UNUSED_PAD src0_sel:DWORD src1_sel:DWORD
	v_cmp_eq_u32_e32 vcc, 0, v2
	v_mul_lo_u16_e32 v1, v3, v1
	v_cndmask_b32_e32 v2, v6, v4, vcc
	v_or_b32_e32 v1, v2, v1
.LBB311_198:
	s_or_b64 exec, exec, s[4:5]
	s_mov_b32 s4, 0x10000
	v_cmp_gt_u32_e32 vcc, s4, v16
	v_cndmask_b32_e32 v3, 1, v1, vcc
	v_mul_lo_u16_e32 v4, v3, v16
	v_cmp_gt_u32_e64 s[6:7], s4, v17
	v_cndmask_b32_e64 v3, 1, v4, s[6:7]
	v_mul_lo_u16_e32 v5, v3, v17
	v_cmp_gt_u32_e64 s[8:9], s4, v18
	v_cndmask_b32_e64 v3, 1, v5, s[8:9]
	;; [unrolled: 3-line block ×20, first 2 shown]
	v_mul_lo_u16_e32 v48, v3, v13
	v_or3_b32 v3, v15, v31, v30
	v_or3_b32 v3, v3, v29, v28
	;; [unrolled: 1-line block ×8, first 2 shown]
	v_and_b32_e32 v3, 0x10000, v3
	v_lshrrev_b32_e32 v2, 16, v1
	v_cmp_ne_u32_e64 s[4:5], 0, v3
	v_mov_b32_e32 v49, 0x10000
	v_cndmask_b32_e64 v3, v2, 1, s[4:5]
	v_add_lshl_u32 v2, v14, v0, 2
	v_cmp_gt_u32_e64 s[4:5], 64, v0
	ds_write_b16 v2, v48
	ds_write_b8 v2, v3 offset:2
	s_waitcnt lgkmcnt(0)
	s_barrier
	s_and_saveexec_b64 s[48:49], s[4:5]
	s_cbranch_execz .LBB311_212
; %bb.199:
	v_lshlrev_b32_e32 v2, 2, v0
	v_lshrrev_b32_e32 v14, 3, v0
	v_add_lshl_u32 v2, v14, v2, 2
	ds_read_b32 v14, v2
	ds_read_u16 v15, v2 offset:4
	ds_read_u8 v50, v2 offset:6
	ds_read_u16 v51, v2 offset:8
	ds_read_u8 v52, v2 offset:10
	;; [unrolled: 2-line block ×3, first 2 shown]
	v_mov_b32_e32 v55, 0
	s_waitcnt lgkmcnt(4)
	v_cmp_eq_u16_sdwa s[4:5], v50, v55 src0_sel:BYTE_0 src1_sel:DWORD
	v_cndmask_b32_e64 v56, 1, v14, s[4:5]
	v_mul_lo_u16_e32 v56, v56, v15
	s_waitcnt lgkmcnt(2)
	v_cmp_eq_u16_sdwa s[4:5], v52, v55 src0_sel:BYTE_0 src1_sel:DWORD
	s_waitcnt lgkmcnt(0)
	v_or_b32_e32 v52, v54, v52
	v_cndmask_b32_e64 v55, 1, v56, s[4:5]
	v_or_b32_e32 v50, v52, v50
	v_mul_lo_u16_e32 v51, v55, v51
	v_cmp_eq_u16_e64 s[4:5], 0, v54
	v_and_b32_e32 v50, 1, v50
	v_and_b32_e32 v15, 0x10000, v14
	v_cndmask_b32_e64 v55, 1, v51, s[4:5]
	v_cmp_eq_u32_e64 s[4:5], 1, v50
	v_mbcnt_lo_u32_b32 v50, -1, 0
	v_mul_lo_u16_e32 v51, v55, v53
	v_cndmask_b32_e64 v56, v15, v49, s[4:5]
	v_mul_lo_u16_e32 v53, v55, v53
	v_and_b32_e32 v49, 0xff000000, v14
	v_mbcnt_hi_u32_b32 v50, -1, v50
	v_or_b32_e32 v54, v56, v49
	v_and_b32_e32 v55, 15, v50
	v_or3_b32 v53, v49, v53, v56
	s_movk_i32 s58, 0xff
	v_lshrrev_b32_e32 v52, 16, v54
	v_mov_b32_dpp v56, v53 row_shr:1 row_mask:0xf bank_mask:0xf
	v_cmp_ne_u32_e64 s[4:5], 0, v55
	s_and_saveexec_b64 s[50:51], s[4:5]
	s_cbranch_execz .LBB311_201
; %bb.200:
	v_and_b32_sdwa v52, v54, s58 dst_sel:DWORD dst_unused:UNUSED_PAD src0_sel:WORD_1 src1_sel:DWORD
	v_cmp_eq_u16_e64 s[4:5], 0, v52
	v_and_b32_e32 v52, 0x10000, v54
	v_mov_b32_e32 v54, 1
	v_cndmask_b32_e64 v53, 1, v56, s[4:5]
	v_and_b32_sdwa v54, v56, v54 dst_sel:DWORD dst_unused:UNUSED_PAD src0_sel:WORD_1 src1_sel:DWORD
	v_cmp_ne_u32_e64 s[4:5], 0, v52
	v_cndmask_b32_e64 v52, v54, 1, s[4:5]
	v_mul_lo_u16_e32 v57, v53, v51
	v_lshlrev_b32_e32 v54, 16, v52
	v_mul_lo_u16_e32 v51, v53, v51
	v_or3_b32 v53, v54, v51, v49
	v_mov_b32_e32 v51, v57
.LBB311_201:
	s_or_b64 exec, exec, s[50:51]
	v_lshrrev_b32_e32 v54, 16, v53
	v_mov_b32_dpp v56, v53 row_shr:2 row_mask:0xf bank_mask:0xf
	v_cmp_lt_u32_e64 s[4:5], 1, v55
	s_and_saveexec_b64 s[50:51], s[4:5]
	s_cbranch_execz .LBB311_203
; %bb.202:
	v_mov_b32_e32 v52, 0
	v_cmp_eq_u16_sdwa s[4:5], v54, v52 src0_sel:BYTE_0 src1_sel:DWORD
	v_and_b32_e32 v52, 0x10000, v53
	v_mov_b32_e32 v53, 1
	v_cndmask_b32_e64 v54, 1, v56, s[4:5]
	v_and_b32_sdwa v53, v56, v53 dst_sel:DWORD dst_unused:UNUSED_PAD src0_sel:WORD_1 src1_sel:DWORD
	v_cmp_ne_u32_e64 s[4:5], 0, v52
	v_cndmask_b32_e64 v52, v53, 1, s[4:5]
	v_mul_lo_u16_e32 v57, v54, v51
	v_lshlrev_b32_e32 v53, 16, v52
	v_mul_lo_u16_e32 v51, v54, v51
	v_or3_b32 v53, v53, v51, v49
	v_mov_b32_e32 v54, v52
	v_mov_b32_e32 v51, v57
.LBB311_203:
	s_or_b64 exec, exec, s[50:51]
	v_mov_b32_dpp v56, v53 row_shr:4 row_mask:0xf bank_mask:0xf
	v_cmp_lt_u32_e64 s[4:5], 3, v55
	s_and_saveexec_b64 s[50:51], s[4:5]
	s_cbranch_execz .LBB311_205
; %bb.204:
	v_mov_b32_e32 v52, 0
	v_cmp_eq_u16_sdwa s[4:5], v54, v52 src0_sel:BYTE_0 src1_sel:DWORD
	v_and_b32_e32 v52, 1, v54
	v_mov_b32_e32 v54, 1
	v_cndmask_b32_e64 v53, 1, v56, s[4:5]
	v_and_b32_sdwa v54, v56, v54 dst_sel:DWORD dst_unused:UNUSED_PAD src0_sel:WORD_1 src1_sel:DWORD
	v_cmp_eq_u32_e64 s[4:5], 1, v52
	v_cndmask_b32_e64 v52, v54, 1, s[4:5]
	v_mul_lo_u16_e32 v57, v53, v51
	v_lshlrev_b32_e32 v54, 16, v52
	v_mul_lo_u16_e32 v51, v53, v51
	v_or3_b32 v53, v54, v51, v49
	v_mov_b32_e32 v54, v52
	v_mov_b32_e32 v51, v57
.LBB311_205:
	s_or_b64 exec, exec, s[50:51]
	v_mov_b32_dpp v56, v53 row_shr:8 row_mask:0xf bank_mask:0xf
	v_cmp_lt_u32_e64 s[4:5], 7, v55
	s_and_saveexec_b64 s[50:51], s[4:5]
	s_cbranch_execz .LBB311_207
; %bb.206:
	v_mov_b32_e32 v52, 0
	v_cmp_eq_u16_sdwa s[4:5], v54, v52 src0_sel:BYTE_0 src1_sel:DWORD
	v_and_b32_e32 v52, 1, v54
	v_mov_b32_e32 v54, 1
	v_cndmask_b32_e64 v53, 1, v56, s[4:5]
	v_and_b32_sdwa v54, v56, v54 dst_sel:DWORD dst_unused:UNUSED_PAD src0_sel:WORD_1 src1_sel:DWORD
	v_cmp_eq_u32_e64 s[4:5], 1, v52
	v_cndmask_b32_e64 v52, v54, 1, s[4:5]
	v_mul_lo_u16_e32 v55, v53, v51
	v_lshlrev_b32_e32 v54, 16, v52
	v_mul_lo_u16_e32 v51, v53, v51
	v_or3_b32 v53, v54, v51, v49
	v_mov_b32_e32 v54, v52
	v_mov_b32_e32 v51, v55
.LBB311_207:
	s_or_b64 exec, exec, s[50:51]
	v_and_b32_e32 v56, 16, v50
	v_mov_b32_dpp v55, v53 row_bcast:15 row_mask:0xf bank_mask:0xf
	v_cmp_ne_u32_e64 s[4:5], 0, v56
	s_and_saveexec_b64 s[50:51], s[4:5]
	s_cbranch_execz .LBB311_209
; %bb.208:
	v_mov_b32_e32 v52, 0
	v_cmp_eq_u16_sdwa s[4:5], v54, v52 src0_sel:BYTE_0 src1_sel:DWORD
	v_and_b32_e32 v52, 1, v54
	v_mov_b32_e32 v54, 1
	v_cndmask_b32_e64 v53, 1, v55, s[4:5]
	v_and_b32_sdwa v54, v55, v54 dst_sel:DWORD dst_unused:UNUSED_PAD src0_sel:WORD_1 src1_sel:DWORD
	v_cmp_eq_u32_e64 s[4:5], 1, v52
	v_cndmask_b32_e64 v52, v54, 1, s[4:5]
	v_mul_lo_u16_e32 v56, v53, v51
	v_lshlrev_b32_e32 v54, 16, v52
	v_mul_lo_u16_e32 v51, v53, v51
	v_or3_b32 v53, v54, v51, v49
	v_mov_b32_e32 v54, v52
	v_mov_b32_e32 v51, v56
.LBB311_209:
	s_or_b64 exec, exec, s[50:51]
	v_mov_b32_dpp v53, v53 row_bcast:31 row_mask:0xf bank_mask:0xf
	v_cmp_lt_u32_e64 s[4:5], 31, v50
	s_and_saveexec_b64 s[50:51], s[4:5]
; %bb.210:
	v_mov_b32_e32 v52, 0
	v_cmp_eq_u16_sdwa s[4:5], v54, v52 src0_sel:BYTE_0 src1_sel:DWORD
	v_cndmask_b32_e64 v52, 1, v53, s[4:5]
	v_mul_lo_u16_e32 v51, v52, v51
	v_and_b32_e32 v52, 1, v54
	v_mov_b32_e32 v54, 1
	v_and_b32_sdwa v53, v53, v54 dst_sel:DWORD dst_unused:UNUSED_PAD src0_sel:WORD_1 src1_sel:DWORD
	v_cmp_eq_u32_e64 s[4:5], 1, v52
	v_cndmask_b32_e64 v52, v53, 1, s[4:5]
; %bb.211:
	s_or_b64 exec, exec, s[50:51]
	v_and_b32_e32 v52, 0xff, v52
	v_lshlrev_b32_e32 v52, 16, v52
	v_and_b32_e32 v51, 0xffff, v51
	v_or3_b32 v49, v52, v51, v49
	v_add_u32_e32 v51, -1, v50
	v_and_b32_e32 v52, 64, v50
	v_cmp_lt_i32_e64 s[4:5], v51, v52
	v_cndmask_b32_e64 v50, v51, v50, s[4:5]
	v_lshlrev_b32_e32 v50, 2, v50
	ds_bpermute_b32 v49, v50, v49
	v_and_b32_e32 v50, 0xff0000, v14
	v_cmp_eq_u32_e64 s[4:5], 0, v50
	; wave barrier
	s_waitcnt lgkmcnt(0)
	v_cndmask_b32_e64 v50, 1, v49, s[4:5]
	v_mul_lo_u16_e32 v14, v50, v14
	v_mov_b32_e32 v50, 1
	v_and_b32_sdwa v49, v49, v50 dst_sel:DWORD dst_unused:UNUSED_PAD src0_sel:WORD_1 src1_sel:DWORD
	v_cmp_eq_u32_e64 s[4:5], 0, v15
	v_cndmask_b32_e64 v15, 1, v49, s[4:5]
	v_cndmask_b32_e64 v14, v14, v48, s[0:1]
	;; [unrolled: 1-line block ×3, first 2 shown]
	ds_write_b16 v2, v14
	ds_write_b8 v2, v3 offset:2
	; wave barrier
	ds_read_u16 v15, v2 offset:4
	ds_read_u8 v49, v2 offset:6
	ds_read_u16 v50, v2 offset:8
	ds_read_u8 v51, v2 offset:10
	ds_read_u16 v52, v2 offset:12
	ds_read_u8 v53, v2 offset:14
	s_waitcnt lgkmcnt(4)
	v_cmp_eq_u16_e64 s[4:5], 0, v49
	v_cndmask_b32_e64 v14, 1, v14, s[4:5]
	v_mul_lo_u16_e32 v14, v14, v15
	v_and_b32_e32 v15, 1, v49
	v_cmp_eq_u32_e64 s[4:5], 1, v15
	v_cndmask_b32_e64 v3, v3, 1, s[4:5]
	s_waitcnt lgkmcnt(2)
	v_cmp_eq_u16_e64 s[4:5], 0, v51
	v_and_b32_e32 v15, 1, v51
	ds_write_b16 v2, v14 offset:4
	ds_write_b8 v2, v3 offset:6
	v_cndmask_b32_e64 v14, 1, v14, s[4:5]
	v_cmp_eq_u32_e64 s[4:5], 1, v15
	v_mul_lo_u16_e32 v14, v14, v50
	v_cndmask_b32_e64 v3, v3, 1, s[4:5]
	s_waitcnt lgkmcnt(2)
	v_cmp_eq_u16_e64 s[4:5], 0, v53
	ds_write_b16 v2, v14 offset:8
	ds_write_b8 v2, v3 offset:10
	v_cndmask_b32_e64 v14, 1, v14, s[4:5]
	v_and_b32_e32 v15, 1, v53
	v_mul_lo_u16_e32 v14, v14, v52
	v_cmp_eq_u32_e64 s[4:5], 1, v15
	v_cndmask_b32_e64 v3, v3, 1, s[4:5]
	ds_write_b16 v2, v14 offset:12
	ds_write_b8 v2, v3 offset:14
.LBB311_212:
	s_or_b64 exec, exec, s[48:49]
	v_mov_b32_e32 v2, v48
	s_waitcnt lgkmcnt(0)
	s_barrier
	s_and_saveexec_b64 s[4:5], s[52:53]
	s_cbranch_execnz .LBB311_287
; %bb.213:
	s_or_b64 exec, exec, s[4:5]
	s_and_saveexec_b64 s[48:49], s[52:53]
	s_cbranch_execnz .LBB311_288
.LBB311_214:
	s_or_b64 exec, exec, s[48:49]
	s_and_saveexec_b64 s[4:5], s[0:1]
	s_cbranch_execz .LBB311_216
.LBB311_215:
	v_mov_b32_e32 v13, 0
	s_waitcnt lgkmcnt(0)
	ds_read_u8 v2, v13 offset:1050
	ds_read_u16 v3, v13 offset:1048
	s_waitcnt lgkmcnt(1)
	v_lshlrev_b32_e32 v2, 16, v2
	s_waitcnt lgkmcnt(0)
	v_or_b32_e32 v2, v2, v3
	v_mov_b32_e32 v3, 2
	global_store_dwordx2 v13, v[2:3], s[72:73] offset:512
.LBB311_216:
	s_or_b64 exec, exec, s[4:5]
	v_mov_b32_e32 v49, v1
.LBB311_217:
	s_add_u32 s0, s62, s54
	s_addc_u32 s1, s63, s55
	s_add_u32 s4, s0, s56
	s_addc_u32 s5, s1, s57
	s_and_b64 vcc, exec, s[2:3]
	v_mul_u32_u24_e32 v14, 22, v0
	s_cbranch_vccz .LBB311_261
; %bb.218:
	s_mov_b32 s0, 0x5040100
	v_lshlrev_b32_e32 v33, 1, v14
	v_perm_b32 v1, v6, v5, s0
	s_waitcnt lgkmcnt(0)
	v_perm_b32 v2, v4, v49, s0
	s_barrier
	ds_write2_b32 v33, v2, v1 offset1:1
	v_perm_b32 v1, v10, v9, s0
	v_perm_b32 v2, v8, v7, s0
	ds_write2_b32 v33, v2, v1 offset0:2 offset1:3
	v_perm_b32 v1, v38, v37, s0
	v_perm_b32 v2, v36, v11, s0
	ds_write2_b32 v33, v2, v1 offset0:4 offset1:5
	;; [unrolled: 3-line block ×4, first 2 shown]
	v_perm_b32 v1, v48, v47, s0
	s_movk_i32 s0, 0xffd6
	v_mad_i32_i24 v2, v0, s0, v33
	ds_write_b32 v33, v1 offset:40
	s_waitcnt lgkmcnt(0)
	s_barrier
	ds_read_u16 v35, v2 offset:512
	ds_read_u16 v34, v2 offset:1024
	;; [unrolled: 1-line block ×21, first 2 shown]
	v_mov_b32_e32 v3, s5
	v_add_co_u32_e32 v2, vcc, s4, v12
	s_add_i32 s33, s33, s74
	v_addc_co_u32_e32 v3, vcc, 0, v3, vcc
	v_mov_b32_e32 v1, 0
	v_cmp_gt_u32_e32 vcc, s33, v0
	s_and_saveexec_b64 s[0:1], vcc
	s_cbranch_execz .LBB311_220
; %bb.219:
	v_mul_i32_i24_e32 v50, 0xffffffd6, v0
	v_add_u32_e32 v33, v33, v50
	ds_read_u16 v33, v33
	s_waitcnt lgkmcnt(0)
	flat_store_short v[2:3], v33
.LBB311_220:
	s_or_b64 exec, exec, s[0:1]
	v_or_b32_e32 v33, 0x100, v0
	v_cmp_gt_u32_e32 vcc, s33, v33
	s_and_saveexec_b64 s[0:1], vcc
	s_cbranch_execz .LBB311_222
; %bb.221:
	s_waitcnt lgkmcnt(0)
	flat_store_short v[2:3], v35 offset:512
.LBB311_222:
	s_or_b64 exec, exec, s[0:1]
	v_or_b32_e32 v33, 0x200, v0
	v_cmp_gt_u32_e32 vcc, s33, v33
	s_and_saveexec_b64 s[0:1], vcc
	s_cbranch_execz .LBB311_224
; %bb.223:
	s_waitcnt lgkmcnt(0)
	flat_store_short v[2:3], v34 offset:1024
.LBB311_224:
	;; [unrolled: 9-line block ×3, first 2 shown]
	s_or_b64 exec, exec, s[0:1]
	s_waitcnt lgkmcnt(0)
	v_or_b32_e32 v32, 0x400, v0
	v_cmp_gt_u32_e32 vcc, s33, v32
	s_and_saveexec_b64 s[0:1], vcc
	s_cbranch_execz .LBB311_228
; %bb.227:
	flat_store_short v[2:3], v31 offset:2048
.LBB311_228:
	s_or_b64 exec, exec, s[0:1]
	v_or_b32_e32 v31, 0x500, v0
	v_cmp_gt_u32_e32 vcc, s33, v31
	s_and_saveexec_b64 s[0:1], vcc
	s_cbranch_execz .LBB311_230
; %bb.229:
	flat_store_short v[2:3], v30 offset:2560
.LBB311_230:
	s_or_b64 exec, exec, s[0:1]
	;; [unrolled: 8-line block ×4, first 2 shown]
	v_or_b32_e32 v28, 0x800, v0
	v_cmp_gt_u32_e32 vcc, s33, v28
	s_and_saveexec_b64 s[0:1], vcc
	s_cbranch_execz .LBB311_236
; %bb.235:
	v_add_co_u32_e32 v28, vcc, 0x1000, v2
	v_addc_co_u32_e32 v29, vcc, 0, v3, vcc
	flat_store_short v[28:29], v27
.LBB311_236:
	s_or_b64 exec, exec, s[0:1]
	v_or_b32_e32 v27, 0x900, v0
	v_cmp_gt_u32_e32 vcc, s33, v27
	s_and_saveexec_b64 s[0:1], vcc
	s_cbranch_execz .LBB311_238
; %bb.237:
	v_add_co_u32_e32 v28, vcc, 0x1000, v2
	v_addc_co_u32_e32 v29, vcc, 0, v3, vcc
	flat_store_short v[28:29], v26 offset:512
.LBB311_238:
	s_or_b64 exec, exec, s[0:1]
	v_or_b32_e32 v26, 0xa00, v0
	v_cmp_gt_u32_e32 vcc, s33, v26
	s_and_saveexec_b64 s[0:1], vcc
	s_cbranch_execz .LBB311_240
; %bb.239:
	v_add_co_u32_e32 v26, vcc, 0x1000, v2
	v_addc_co_u32_e32 v27, vcc, 0, v3, vcc
	flat_store_short v[26:27], v25 offset:1024
.LBB311_240:
	;; [unrolled: 10-line block ×7, first 2 shown]
	s_or_b64 exec, exec, s[0:1]
	v_or_b32_e32 v20, 0x1000, v0
	v_cmp_gt_u32_e32 vcc, s33, v20
	s_and_saveexec_b64 s[0:1], vcc
	s_cbranch_execz .LBB311_252
; %bb.251:
	v_add_co_u32_e32 v20, vcc, 0x2000, v2
	v_addc_co_u32_e32 v21, vcc, 0, v3, vcc
	flat_store_short v[20:21], v19
.LBB311_252:
	s_or_b64 exec, exec, s[0:1]
	v_or_b32_e32 v19, 0x1100, v0
	v_cmp_gt_u32_e32 vcc, s33, v19
	s_and_saveexec_b64 s[0:1], vcc
	s_cbranch_execz .LBB311_254
; %bb.253:
	v_add_co_u32_e32 v20, vcc, 0x2000, v2
	v_addc_co_u32_e32 v21, vcc, 0, v3, vcc
	flat_store_short v[20:21], v18 offset:512
.LBB311_254:
	s_or_b64 exec, exec, s[0:1]
	v_or_b32_e32 v18, 0x1200, v0
	v_cmp_gt_u32_e32 vcc, s33, v18
	s_and_saveexec_b64 s[0:1], vcc
	s_cbranch_execz .LBB311_256
; %bb.255:
	v_add_co_u32_e32 v18, vcc, 0x2000, v2
	v_addc_co_u32_e32 v19, vcc, 0, v3, vcc
	flat_store_short v[18:19], v17 offset:1024
.LBB311_256:
	;; [unrolled: 10-line block ×4, first 2 shown]
	s_or_b64 exec, exec, s[0:1]
	v_or_b32_e32 v2, 0x1500, v0
	v_cmp_gt_u32_e64 s[0:1], s33, v2
	s_branch .LBB311_263
.LBB311_261:
	s_mov_b64 s[0:1], 0
                                        ; implicit-def: $vgpr13
	s_cbranch_execz .LBB311_263
; %bb.262:
	s_mov_b32 s2, 0x5040100
	s_waitcnt lgkmcnt(0)
	v_lshlrev_b32_e32 v2, 1, v14
	v_perm_b32 v1, v6, v5, s2
	v_perm_b32 v3, v4, v49, s2
	s_barrier
	ds_write2_b32 v2, v3, v1 offset1:1
	v_perm_b32 v1, v10, v9, s2
	v_perm_b32 v3, v8, v7, s2
	ds_write2_b32 v2, v3, v1 offset0:2 offset1:3
	v_perm_b32 v1, v38, v37, s2
	v_perm_b32 v3, v36, v11, s2
	ds_write2_b32 v2, v3, v1 offset0:4 offset1:5
	;; [unrolled: 3-line block ×4, first 2 shown]
	v_perm_b32 v1, v48, v47, s2
	s_movk_i32 s2, 0xffd6
	ds_write_b32 v2, v1 offset:40
	v_mad_i32_i24 v2, v0, s2, v2
	s_waitcnt lgkmcnt(0)
	s_barrier
	ds_read_u16 v4, v2
	ds_read_u16 v5, v2 offset:512
	ds_read_u16 v6, v2 offset:1024
	;; [unrolled: 1-line block ×21, first 2 shown]
	v_mov_b32_e32 v3, s5
	v_add_co_u32_e32 v2, vcc, s4, v12
	v_addc_co_u32_e32 v3, vcc, 0, v3, vcc
	s_movk_i32 s2, 0x1000
	s_waitcnt lgkmcnt(0)
	flat_store_short v[2:3], v4
	flat_store_short v[2:3], v5 offset:512
	flat_store_short v[2:3], v6 offset:1024
	;; [unrolled: 1-line block ×7, first 2 shown]
	v_add_co_u32_e32 v4, vcc, s2, v2
	v_addc_co_u32_e32 v5, vcc, 0, v3, vcc
	v_add_co_u32_e32 v2, vcc, 0x2000, v2
	v_mov_b32_e32 v1, 0
	v_addc_co_u32_e32 v3, vcc, 0, v3, vcc
	s_or_b64 s[0:1], s[0:1], exec
	flat_store_short v[4:5], v14
	flat_store_short v[4:5], v15 offset:512
	flat_store_short v[4:5], v16 offset:1024
	;; [unrolled: 1-line block ×7, first 2 shown]
	flat_store_short v[2:3], v22
	flat_store_short v[2:3], v23 offset:512
	flat_store_short v[2:3], v24 offset:1024
	flat_store_short v[2:3], v25 offset:1536
	flat_store_short v[2:3], v26 offset:2048
.LBB311_263:
	s_and_saveexec_b64 s[2:3], s[0:1]
	s_cbranch_execnz .LBB311_265
; %bb.264:
	s_endpgm
.LBB311_265:
	v_lshlrev_b64 v[0:1], 1, v[0:1]
	s_waitcnt lgkmcnt(0)
	v_mov_b32_e32 v2, s5
	v_add_co_u32_e32 v0, vcc, s4, v0
	v_addc_co_u32_e32 v1, vcc, v2, v1, vcc
	v_add_co_u32_e32 v0, vcc, 0x2000, v0
	v_addc_co_u32_e32 v1, vcc, 0, v1, vcc
	flat_store_short v[0:1], v13 offset:2560
	s_endpgm
.LBB311_266:
	v_mov_b32_e32 v27, s79
	v_add_co_u32_e32 v26, vcc, s78, v20
	v_addc_co_u32_e32 v27, vcc, 0, v27, vcc
	flat_load_ushort v26, v[26:27]
	s_or_b64 exec, exec, s[4:5]
                                        ; implicit-def: $vgpr27
	s_and_saveexec_b64 s[4:5], s[8:9]
	s_cbranch_execz .LBB311_57
.LBB311_267:
	v_mov_b32_e32 v27, s79
	v_add_co_u32_e32 v28, vcc, s78, v20
	v_addc_co_u32_e32 v29, vcc, 0, v27, vcc
	flat_load_ushort v27, v[28:29] offset:512
	s_or_b64 exec, exec, s[4:5]
                                        ; implicit-def: $vgpr28
	s_and_saveexec_b64 s[4:5], s[10:11]
	s_cbranch_execz .LBB311_58
.LBB311_268:
	v_mov_b32_e32 v29, s79
	v_add_co_u32_e32 v28, vcc, s78, v20
	v_addc_co_u32_e32 v29, vcc, 0, v29, vcc
	flat_load_ushort v28, v[28:29] offset:1024
	s_or_b64 exec, exec, s[4:5]
                                        ; implicit-def: $vgpr29
	s_and_saveexec_b64 s[4:5], s[12:13]
	s_cbranch_execz .LBB311_59
.LBB311_269:
	v_mov_b32_e32 v29, s79
	v_add_co_u32_e32 v30, vcc, s78, v20
	v_addc_co_u32_e32 v31, vcc, 0, v29, vcc
	flat_load_ushort v29, v[30:31] offset:1536
	s_or_b64 exec, exec, s[4:5]
                                        ; implicit-def: $vgpr30
	s_and_saveexec_b64 s[4:5], s[14:15]
	s_cbranch_execz .LBB311_60
.LBB311_270:
	v_mov_b32_e32 v31, s79
	v_add_co_u32_e32 v30, vcc, s78, v20
	v_addc_co_u32_e32 v31, vcc, 0, v31, vcc
	flat_load_ushort v30, v[30:31] offset:2048
	s_or_b64 exec, exec, s[4:5]
                                        ; implicit-def: $vgpr31
	s_and_saveexec_b64 s[4:5], s[16:17]
	s_cbranch_execz .LBB311_61
.LBB311_271:
	v_mov_b32_e32 v31, s79
	v_add_co_u32_e32 v32, vcc, s78, v20
	v_addc_co_u32_e32 v33, vcc, 0, v31, vcc
	flat_load_ushort v31, v[32:33] offset:2560
	s_or_b64 exec, exec, s[4:5]
                                        ; implicit-def: $vgpr32
	s_and_saveexec_b64 s[4:5], s[18:19]
	s_cbranch_execz .LBB311_62
.LBB311_272:
	v_mov_b32_e32 v33, s79
	v_add_co_u32_e32 v32, vcc, s78, v20
	v_addc_co_u32_e32 v33, vcc, 0, v33, vcc
	flat_load_ushort v32, v[32:33] offset:3072
	s_or_b64 exec, exec, s[4:5]
                                        ; implicit-def: $vgpr33
	s_and_saveexec_b64 s[4:5], s[20:21]
	s_cbranch_execz .LBB311_63
.LBB311_273:
	v_mov_b32_e32 v33, s79
	v_add_co_u32_e32 v34, vcc, s78, v20
	v_addc_co_u32_e32 v35, vcc, 0, v33, vcc
	flat_load_ushort v33, v[34:35] offset:3584
	s_or_b64 exec, exec, s[4:5]
                                        ; implicit-def: $vgpr34
	s_and_saveexec_b64 s[4:5], s[22:23]
	s_cbranch_execz .LBB311_64
.LBB311_274:
	v_mov_b32_e32 v35, s79
	v_add_co_u32_e32 v34, vcc, s78, v1
	v_addc_co_u32_e32 v35, vcc, 0, v35, vcc
	flat_load_ushort v34, v[34:35]
	s_or_b64 exec, exec, s[4:5]
                                        ; implicit-def: $vgpr1
	s_and_saveexec_b64 s[4:5], s[24:25]
	s_cbranch_execz .LBB311_65
.LBB311_275:
	v_mov_b32_e32 v1, s79
	v_add_co_u32_e32 v42, vcc, s78, v2
	v_addc_co_u32_e32 v43, vcc, 0, v1, vcc
	flat_load_ushort v1, v[42:43]
	s_or_b64 exec, exec, s[4:5]
                                        ; implicit-def: $vgpr2
	s_and_saveexec_b64 s[4:5], s[26:27]
	s_cbranch_execz .LBB311_66
.LBB311_276:
	v_mov_b32_e32 v35, s79
	v_add_co_u32_e32 v2, vcc, s78, v3
	v_addc_co_u32_e32 v3, vcc, 0, v35, vcc
	flat_load_ushort v2, v[2:3]
	s_or_b64 exec, exec, s[4:5]
                                        ; implicit-def: $vgpr3
	s_and_saveexec_b64 s[4:5], s[28:29]
	s_cbranch_execz .LBB311_67
.LBB311_277:
	v_mov_b32_e32 v3, s79
	v_add_co_u32_e32 v42, vcc, s78, v4
	v_addc_co_u32_e32 v43, vcc, 0, v3, vcc
	flat_load_ushort v3, v[42:43]
	s_or_b64 exec, exec, s[4:5]
                                        ; implicit-def: $vgpr4
	s_and_saveexec_b64 s[4:5], s[30:31]
	s_cbranch_execz .LBB311_68
.LBB311_278:
	v_mov_b32_e32 v35, s79
	v_add_co_u32_e32 v4, vcc, s78, v5
	v_addc_co_u32_e32 v5, vcc, 0, v35, vcc
	flat_load_ushort v4, v[4:5]
	s_or_b64 exec, exec, s[4:5]
                                        ; implicit-def: $vgpr5
	s_and_saveexec_b64 s[4:5], s[34:35]
	s_cbranch_execz .LBB311_69
.LBB311_279:
	v_mov_b32_e32 v5, s79
	v_add_co_u32_e32 v42, vcc, s78, v16
	v_addc_co_u32_e32 v43, vcc, 0, v5, vcc
	flat_load_ushort v5, v[42:43]
	s_or_b64 exec, exec, s[4:5]
                                        ; implicit-def: $vgpr16
	s_and_saveexec_b64 s[4:5], s[36:37]
	s_cbranch_execz .LBB311_70
.LBB311_280:
	v_mov_b32_e32 v35, s79
	v_add_co_u32_e32 v16, vcc, s78, v17
	v_addc_co_u32_e32 v17, vcc, 0, v35, vcc
	flat_load_ushort v16, v[16:17]
	s_or_b64 exec, exec, s[4:5]
                                        ; implicit-def: $vgpr17
	s_and_saveexec_b64 s[4:5], s[38:39]
	s_cbranch_execz .LBB311_71
.LBB311_281:
	v_mov_b32_e32 v17, s79
	v_add_co_u32_e32 v42, vcc, s78, v18
	v_addc_co_u32_e32 v43, vcc, 0, v17, vcc
	flat_load_ushort v17, v[42:43]
	s_or_b64 exec, exec, s[4:5]
                                        ; implicit-def: $vgpr18
	s_and_saveexec_b64 s[4:5], s[40:41]
	s_cbranch_execz .LBB311_72
.LBB311_282:
	v_mov_b32_e32 v35, s79
	v_add_co_u32_e32 v18, vcc, s78, v19
	v_addc_co_u32_e32 v19, vcc, 0, v35, vcc
	flat_load_ushort v18, v[18:19]
	s_or_b64 exec, exec, s[4:5]
                                        ; implicit-def: $vgpr19
	s_and_saveexec_b64 s[4:5], s[42:43]
	s_cbranch_execz .LBB311_73
.LBB311_283:
	v_mov_b32_e32 v19, s79
	v_add_co_u32_e32 v42, vcc, s78, v21
	v_addc_co_u32_e32 v43, vcc, 0, v19, vcc
	flat_load_ushort v19, v[42:43]
	s_or_b64 exec, exec, s[4:5]
                                        ; implicit-def: $vgpr21
	s_and_saveexec_b64 s[4:5], s[44:45]
	s_cbranch_execz .LBB311_74
.LBB311_284:
	v_mov_b32_e32 v21, s79
	v_add_co_u32_e32 v42, vcc, s78, v22
	v_addc_co_u32_e32 v43, vcc, 0, v21, vcc
	flat_load_ushort v21, v[42:43]
	s_or_b64 exec, exec, s[4:5]
                                        ; implicit-def: $vgpr22
	s_and_saveexec_b64 s[4:5], s[46:47]
	s_cbranch_execz .LBB311_75
.LBB311_285:
	v_mov_b32_e32 v35, s79
	v_add_co_u32_e32 v22, vcc, s78, v23
	v_addc_co_u32_e32 v23, vcc, 0, v35, vcc
	flat_load_ushort v22, v[22:23]
	s_or_b64 exec, exec, s[4:5]
                                        ; implicit-def: $vgpr23
	s_and_saveexec_b64 s[4:5], s[48:49]
	s_cbranch_execz .LBB311_76
.LBB311_286:
	v_mov_b32_e32 v23, s79
	v_add_co_u32_e32 v42, vcc, s78, v24
	v_addc_co_u32_e32 v43, vcc, 0, v23, vcc
	flat_load_ushort v23, v[42:43]
	s_or_b64 exec, exec, s[4:5]
                                        ; implicit-def: $vgpr24
	s_and_saveexec_b64 s[4:5], s[50:51]
	s_cbranch_execnz .LBB311_77
	s_branch .LBB311_78
.LBB311_287:
	v_add_u32_e32 v2, -1, v0
	v_lshrrev_b32_e32 v3, 5, v2
	v_add_lshl_u32 v2, v3, v2, 2
	ds_read_u16 v2, v2
	s_or_b64 exec, exec, s[4:5]
	s_and_saveexec_b64 s[48:49], s[52:53]
	s_cbranch_execz .LBB311_214
.LBB311_288:
	s_mov_b32 s4, 0x10000
	s_waitcnt lgkmcnt(0)
	v_and_b32_e32 v2, 0xffff, v2
	v_cmp_gt_u32_e64 s[4:5], s4, v1
	v_cndmask_b32_e64 v2, 1, v2, s[4:5]
	v_mul_lo_u32 v1, v2, v1
	v_cndmask_b32_e32 v2, 1, v1, vcc
	v_mul_lo_u16_e32 v4, v2, v16
	v_cndmask_b32_e64 v2, 1, v4, s[6:7]
	v_mul_lo_u16_e32 v5, v2, v17
	v_cndmask_b32_e64 v2, 1, v5, s[8:9]
	;; [unrolled: 2-line block ×20, first 2 shown]
	v_mul_lo_u16_e32 v48, v2, v13
	;;#ASMSTART
	;;#ASMEND
	s_or_b64 exec, exec, s[48:49]
	s_and_saveexec_b64 s[4:5], s[0:1]
	s_cbranch_execnz .LBB311_215
	s_branch .LBB311_216
.LBB311_289:
                                        ; implicit-def: $sgpr4_sgpr5
	s_branch .LBB311_52
.LBB311_290:
                                        ; implicit-def: $sgpr4_sgpr5
	s_branch .LBB311_125
	.section	.rodata,"a",@progbits
	.p2align	6, 0x0
	.amdhsa_kernel _ZN7rocprim17ROCPRIM_400000_NS6detail17trampoline_kernelINS0_14default_configENS1_27scan_by_key_config_selectorIssEEZZNS1_16scan_by_key_implILNS1_25lookback_scan_determinismE0ELb0ES3_N6thrust23THRUST_200600_302600_NS6detail15normal_iteratorINS9_10device_ptrIsEEEESE_SE_sNS9_10multipliesIsEENS9_8equal_toIsEEsEE10hipError_tPvRmT2_T3_T4_T5_mT6_T7_P12ihipStream_tbENKUlT_T0_E_clISt17integral_constantIbLb0EESY_IbLb1EEEEDaSU_SV_EUlSU_E_NS1_11comp_targetILNS1_3genE4ELNS1_11target_archE910ELNS1_3gpuE8ELNS1_3repE0EEENS1_30default_config_static_selectorELNS0_4arch9wavefront6targetE1EEEvT1_
		.amdhsa_group_segment_fixed_size 12288
		.amdhsa_private_segment_fixed_size 0
		.amdhsa_kernarg_size 112
		.amdhsa_user_sgpr_count 6
		.amdhsa_user_sgpr_private_segment_buffer 1
		.amdhsa_user_sgpr_dispatch_ptr 0
		.amdhsa_user_sgpr_queue_ptr 0
		.amdhsa_user_sgpr_kernarg_segment_ptr 1
		.amdhsa_user_sgpr_dispatch_id 0
		.amdhsa_user_sgpr_flat_scratch_init 0
		.amdhsa_user_sgpr_kernarg_preload_length 0
		.amdhsa_user_sgpr_kernarg_preload_offset 0
		.amdhsa_user_sgpr_private_segment_size 0
		.amdhsa_uses_dynamic_stack 0
		.amdhsa_system_sgpr_private_segment_wavefront_offset 0
		.amdhsa_system_sgpr_workgroup_id_x 1
		.amdhsa_system_sgpr_workgroup_id_y 0
		.amdhsa_system_sgpr_workgroup_id_z 0
		.amdhsa_system_sgpr_workgroup_info 0
		.amdhsa_system_vgpr_workitem_id 0
		.amdhsa_next_free_vgpr 58
		.amdhsa_next_free_sgpr 82
		.amdhsa_accum_offset 60
		.amdhsa_reserve_vcc 1
		.amdhsa_reserve_flat_scratch 0
		.amdhsa_float_round_mode_32 0
		.amdhsa_float_round_mode_16_64 0
		.amdhsa_float_denorm_mode_32 3
		.amdhsa_float_denorm_mode_16_64 3
		.amdhsa_dx10_clamp 1
		.amdhsa_ieee_mode 1
		.amdhsa_fp16_overflow 0
		.amdhsa_tg_split 0
		.amdhsa_exception_fp_ieee_invalid_op 0
		.amdhsa_exception_fp_denorm_src 0
		.amdhsa_exception_fp_ieee_div_zero 0
		.amdhsa_exception_fp_ieee_overflow 0
		.amdhsa_exception_fp_ieee_underflow 0
		.amdhsa_exception_fp_ieee_inexact 0
		.amdhsa_exception_int_div_zero 0
	.end_amdhsa_kernel
	.section	.text._ZN7rocprim17ROCPRIM_400000_NS6detail17trampoline_kernelINS0_14default_configENS1_27scan_by_key_config_selectorIssEEZZNS1_16scan_by_key_implILNS1_25lookback_scan_determinismE0ELb0ES3_N6thrust23THRUST_200600_302600_NS6detail15normal_iteratorINS9_10device_ptrIsEEEESE_SE_sNS9_10multipliesIsEENS9_8equal_toIsEEsEE10hipError_tPvRmT2_T3_T4_T5_mT6_T7_P12ihipStream_tbENKUlT_T0_E_clISt17integral_constantIbLb0EESY_IbLb1EEEEDaSU_SV_EUlSU_E_NS1_11comp_targetILNS1_3genE4ELNS1_11target_archE910ELNS1_3gpuE8ELNS1_3repE0EEENS1_30default_config_static_selectorELNS0_4arch9wavefront6targetE1EEEvT1_,"axG",@progbits,_ZN7rocprim17ROCPRIM_400000_NS6detail17trampoline_kernelINS0_14default_configENS1_27scan_by_key_config_selectorIssEEZZNS1_16scan_by_key_implILNS1_25lookback_scan_determinismE0ELb0ES3_N6thrust23THRUST_200600_302600_NS6detail15normal_iteratorINS9_10device_ptrIsEEEESE_SE_sNS9_10multipliesIsEENS9_8equal_toIsEEsEE10hipError_tPvRmT2_T3_T4_T5_mT6_T7_P12ihipStream_tbENKUlT_T0_E_clISt17integral_constantIbLb0EESY_IbLb1EEEEDaSU_SV_EUlSU_E_NS1_11comp_targetILNS1_3genE4ELNS1_11target_archE910ELNS1_3gpuE8ELNS1_3repE0EEENS1_30default_config_static_selectorELNS0_4arch9wavefront6targetE1EEEvT1_,comdat
.Lfunc_end311:
	.size	_ZN7rocprim17ROCPRIM_400000_NS6detail17trampoline_kernelINS0_14default_configENS1_27scan_by_key_config_selectorIssEEZZNS1_16scan_by_key_implILNS1_25lookback_scan_determinismE0ELb0ES3_N6thrust23THRUST_200600_302600_NS6detail15normal_iteratorINS9_10device_ptrIsEEEESE_SE_sNS9_10multipliesIsEENS9_8equal_toIsEEsEE10hipError_tPvRmT2_T3_T4_T5_mT6_T7_P12ihipStream_tbENKUlT_T0_E_clISt17integral_constantIbLb0EESY_IbLb1EEEEDaSU_SV_EUlSU_E_NS1_11comp_targetILNS1_3genE4ELNS1_11target_archE910ELNS1_3gpuE8ELNS1_3repE0EEENS1_30default_config_static_selectorELNS0_4arch9wavefront6targetE1EEEvT1_, .Lfunc_end311-_ZN7rocprim17ROCPRIM_400000_NS6detail17trampoline_kernelINS0_14default_configENS1_27scan_by_key_config_selectorIssEEZZNS1_16scan_by_key_implILNS1_25lookback_scan_determinismE0ELb0ES3_N6thrust23THRUST_200600_302600_NS6detail15normal_iteratorINS9_10device_ptrIsEEEESE_SE_sNS9_10multipliesIsEENS9_8equal_toIsEEsEE10hipError_tPvRmT2_T3_T4_T5_mT6_T7_P12ihipStream_tbENKUlT_T0_E_clISt17integral_constantIbLb0EESY_IbLb1EEEEDaSU_SV_EUlSU_E_NS1_11comp_targetILNS1_3genE4ELNS1_11target_archE910ELNS1_3gpuE8ELNS1_3repE0EEENS1_30default_config_static_selectorELNS0_4arch9wavefront6targetE1EEEvT1_
                                        ; -- End function
	.section	.AMDGPU.csdata,"",@progbits
; Kernel info:
; codeLenInByte = 15612
; NumSgprs: 86
; NumVgprs: 58
; NumAgprs: 0
; TotalNumVgprs: 58
; ScratchSize: 0
; MemoryBound: 0
; FloatMode: 240
; IeeeMode: 1
; LDSByteSize: 12288 bytes/workgroup (compile time only)
; SGPRBlocks: 10
; VGPRBlocks: 7
; NumSGPRsForWavesPerEU: 86
; NumVGPRsForWavesPerEU: 58
; AccumOffset: 60
; Occupancy: 5
; WaveLimiterHint : 1
; COMPUTE_PGM_RSRC2:SCRATCH_EN: 0
; COMPUTE_PGM_RSRC2:USER_SGPR: 6
; COMPUTE_PGM_RSRC2:TRAP_HANDLER: 0
; COMPUTE_PGM_RSRC2:TGID_X_EN: 1
; COMPUTE_PGM_RSRC2:TGID_Y_EN: 0
; COMPUTE_PGM_RSRC2:TGID_Z_EN: 0
; COMPUTE_PGM_RSRC2:TIDIG_COMP_CNT: 0
; COMPUTE_PGM_RSRC3_GFX90A:ACCUM_OFFSET: 14
; COMPUTE_PGM_RSRC3_GFX90A:TG_SPLIT: 0
	.section	.text._ZN7rocprim17ROCPRIM_400000_NS6detail17trampoline_kernelINS0_14default_configENS1_27scan_by_key_config_selectorIssEEZZNS1_16scan_by_key_implILNS1_25lookback_scan_determinismE0ELb0ES3_N6thrust23THRUST_200600_302600_NS6detail15normal_iteratorINS9_10device_ptrIsEEEESE_SE_sNS9_10multipliesIsEENS9_8equal_toIsEEsEE10hipError_tPvRmT2_T3_T4_T5_mT6_T7_P12ihipStream_tbENKUlT_T0_E_clISt17integral_constantIbLb0EESY_IbLb1EEEEDaSU_SV_EUlSU_E_NS1_11comp_targetILNS1_3genE3ELNS1_11target_archE908ELNS1_3gpuE7ELNS1_3repE0EEENS1_30default_config_static_selectorELNS0_4arch9wavefront6targetE1EEEvT1_,"axG",@progbits,_ZN7rocprim17ROCPRIM_400000_NS6detail17trampoline_kernelINS0_14default_configENS1_27scan_by_key_config_selectorIssEEZZNS1_16scan_by_key_implILNS1_25lookback_scan_determinismE0ELb0ES3_N6thrust23THRUST_200600_302600_NS6detail15normal_iteratorINS9_10device_ptrIsEEEESE_SE_sNS9_10multipliesIsEENS9_8equal_toIsEEsEE10hipError_tPvRmT2_T3_T4_T5_mT6_T7_P12ihipStream_tbENKUlT_T0_E_clISt17integral_constantIbLb0EESY_IbLb1EEEEDaSU_SV_EUlSU_E_NS1_11comp_targetILNS1_3genE3ELNS1_11target_archE908ELNS1_3gpuE7ELNS1_3repE0EEENS1_30default_config_static_selectorELNS0_4arch9wavefront6targetE1EEEvT1_,comdat
	.protected	_ZN7rocprim17ROCPRIM_400000_NS6detail17trampoline_kernelINS0_14default_configENS1_27scan_by_key_config_selectorIssEEZZNS1_16scan_by_key_implILNS1_25lookback_scan_determinismE0ELb0ES3_N6thrust23THRUST_200600_302600_NS6detail15normal_iteratorINS9_10device_ptrIsEEEESE_SE_sNS9_10multipliesIsEENS9_8equal_toIsEEsEE10hipError_tPvRmT2_T3_T4_T5_mT6_T7_P12ihipStream_tbENKUlT_T0_E_clISt17integral_constantIbLb0EESY_IbLb1EEEEDaSU_SV_EUlSU_E_NS1_11comp_targetILNS1_3genE3ELNS1_11target_archE908ELNS1_3gpuE7ELNS1_3repE0EEENS1_30default_config_static_selectorELNS0_4arch9wavefront6targetE1EEEvT1_ ; -- Begin function _ZN7rocprim17ROCPRIM_400000_NS6detail17trampoline_kernelINS0_14default_configENS1_27scan_by_key_config_selectorIssEEZZNS1_16scan_by_key_implILNS1_25lookback_scan_determinismE0ELb0ES3_N6thrust23THRUST_200600_302600_NS6detail15normal_iteratorINS9_10device_ptrIsEEEESE_SE_sNS9_10multipliesIsEENS9_8equal_toIsEEsEE10hipError_tPvRmT2_T3_T4_T5_mT6_T7_P12ihipStream_tbENKUlT_T0_E_clISt17integral_constantIbLb0EESY_IbLb1EEEEDaSU_SV_EUlSU_E_NS1_11comp_targetILNS1_3genE3ELNS1_11target_archE908ELNS1_3gpuE7ELNS1_3repE0EEENS1_30default_config_static_selectorELNS0_4arch9wavefront6targetE1EEEvT1_
	.globl	_ZN7rocprim17ROCPRIM_400000_NS6detail17trampoline_kernelINS0_14default_configENS1_27scan_by_key_config_selectorIssEEZZNS1_16scan_by_key_implILNS1_25lookback_scan_determinismE0ELb0ES3_N6thrust23THRUST_200600_302600_NS6detail15normal_iteratorINS9_10device_ptrIsEEEESE_SE_sNS9_10multipliesIsEENS9_8equal_toIsEEsEE10hipError_tPvRmT2_T3_T4_T5_mT6_T7_P12ihipStream_tbENKUlT_T0_E_clISt17integral_constantIbLb0EESY_IbLb1EEEEDaSU_SV_EUlSU_E_NS1_11comp_targetILNS1_3genE3ELNS1_11target_archE908ELNS1_3gpuE7ELNS1_3repE0EEENS1_30default_config_static_selectorELNS0_4arch9wavefront6targetE1EEEvT1_
	.p2align	8
	.type	_ZN7rocprim17ROCPRIM_400000_NS6detail17trampoline_kernelINS0_14default_configENS1_27scan_by_key_config_selectorIssEEZZNS1_16scan_by_key_implILNS1_25lookback_scan_determinismE0ELb0ES3_N6thrust23THRUST_200600_302600_NS6detail15normal_iteratorINS9_10device_ptrIsEEEESE_SE_sNS9_10multipliesIsEENS9_8equal_toIsEEsEE10hipError_tPvRmT2_T3_T4_T5_mT6_T7_P12ihipStream_tbENKUlT_T0_E_clISt17integral_constantIbLb0EESY_IbLb1EEEEDaSU_SV_EUlSU_E_NS1_11comp_targetILNS1_3genE3ELNS1_11target_archE908ELNS1_3gpuE7ELNS1_3repE0EEENS1_30default_config_static_selectorELNS0_4arch9wavefront6targetE1EEEvT1_,@function
_ZN7rocprim17ROCPRIM_400000_NS6detail17trampoline_kernelINS0_14default_configENS1_27scan_by_key_config_selectorIssEEZZNS1_16scan_by_key_implILNS1_25lookback_scan_determinismE0ELb0ES3_N6thrust23THRUST_200600_302600_NS6detail15normal_iteratorINS9_10device_ptrIsEEEESE_SE_sNS9_10multipliesIsEENS9_8equal_toIsEEsEE10hipError_tPvRmT2_T3_T4_T5_mT6_T7_P12ihipStream_tbENKUlT_T0_E_clISt17integral_constantIbLb0EESY_IbLb1EEEEDaSU_SV_EUlSU_E_NS1_11comp_targetILNS1_3genE3ELNS1_11target_archE908ELNS1_3gpuE7ELNS1_3repE0EEENS1_30default_config_static_selectorELNS0_4arch9wavefront6targetE1EEEvT1_: ; @_ZN7rocprim17ROCPRIM_400000_NS6detail17trampoline_kernelINS0_14default_configENS1_27scan_by_key_config_selectorIssEEZZNS1_16scan_by_key_implILNS1_25lookback_scan_determinismE0ELb0ES3_N6thrust23THRUST_200600_302600_NS6detail15normal_iteratorINS9_10device_ptrIsEEEESE_SE_sNS9_10multipliesIsEENS9_8equal_toIsEEsEE10hipError_tPvRmT2_T3_T4_T5_mT6_T7_P12ihipStream_tbENKUlT_T0_E_clISt17integral_constantIbLb0EESY_IbLb1EEEEDaSU_SV_EUlSU_E_NS1_11comp_targetILNS1_3genE3ELNS1_11target_archE908ELNS1_3gpuE7ELNS1_3repE0EEENS1_30default_config_static_selectorELNS0_4arch9wavefront6targetE1EEEvT1_
; %bb.0:
	.section	.rodata,"a",@progbits
	.p2align	6, 0x0
	.amdhsa_kernel _ZN7rocprim17ROCPRIM_400000_NS6detail17trampoline_kernelINS0_14default_configENS1_27scan_by_key_config_selectorIssEEZZNS1_16scan_by_key_implILNS1_25lookback_scan_determinismE0ELb0ES3_N6thrust23THRUST_200600_302600_NS6detail15normal_iteratorINS9_10device_ptrIsEEEESE_SE_sNS9_10multipliesIsEENS9_8equal_toIsEEsEE10hipError_tPvRmT2_T3_T4_T5_mT6_T7_P12ihipStream_tbENKUlT_T0_E_clISt17integral_constantIbLb0EESY_IbLb1EEEEDaSU_SV_EUlSU_E_NS1_11comp_targetILNS1_3genE3ELNS1_11target_archE908ELNS1_3gpuE7ELNS1_3repE0EEENS1_30default_config_static_selectorELNS0_4arch9wavefront6targetE1EEEvT1_
		.amdhsa_group_segment_fixed_size 0
		.amdhsa_private_segment_fixed_size 0
		.amdhsa_kernarg_size 112
		.amdhsa_user_sgpr_count 6
		.amdhsa_user_sgpr_private_segment_buffer 1
		.amdhsa_user_sgpr_dispatch_ptr 0
		.amdhsa_user_sgpr_queue_ptr 0
		.amdhsa_user_sgpr_kernarg_segment_ptr 1
		.amdhsa_user_sgpr_dispatch_id 0
		.amdhsa_user_sgpr_flat_scratch_init 0
		.amdhsa_user_sgpr_kernarg_preload_length 0
		.amdhsa_user_sgpr_kernarg_preload_offset 0
		.amdhsa_user_sgpr_private_segment_size 0
		.amdhsa_uses_dynamic_stack 0
		.amdhsa_system_sgpr_private_segment_wavefront_offset 0
		.amdhsa_system_sgpr_workgroup_id_x 1
		.amdhsa_system_sgpr_workgroup_id_y 0
		.amdhsa_system_sgpr_workgroup_id_z 0
		.amdhsa_system_sgpr_workgroup_info 0
		.amdhsa_system_vgpr_workitem_id 0
		.amdhsa_next_free_vgpr 1
		.amdhsa_next_free_sgpr 0
		.amdhsa_accum_offset 4
		.amdhsa_reserve_vcc 0
		.amdhsa_reserve_flat_scratch 0
		.amdhsa_float_round_mode_32 0
		.amdhsa_float_round_mode_16_64 0
		.amdhsa_float_denorm_mode_32 3
		.amdhsa_float_denorm_mode_16_64 3
		.amdhsa_dx10_clamp 1
		.amdhsa_ieee_mode 1
		.amdhsa_fp16_overflow 0
		.amdhsa_tg_split 0
		.amdhsa_exception_fp_ieee_invalid_op 0
		.amdhsa_exception_fp_denorm_src 0
		.amdhsa_exception_fp_ieee_div_zero 0
		.amdhsa_exception_fp_ieee_overflow 0
		.amdhsa_exception_fp_ieee_underflow 0
		.amdhsa_exception_fp_ieee_inexact 0
		.amdhsa_exception_int_div_zero 0
	.end_amdhsa_kernel
	.section	.text._ZN7rocprim17ROCPRIM_400000_NS6detail17trampoline_kernelINS0_14default_configENS1_27scan_by_key_config_selectorIssEEZZNS1_16scan_by_key_implILNS1_25lookback_scan_determinismE0ELb0ES3_N6thrust23THRUST_200600_302600_NS6detail15normal_iteratorINS9_10device_ptrIsEEEESE_SE_sNS9_10multipliesIsEENS9_8equal_toIsEEsEE10hipError_tPvRmT2_T3_T4_T5_mT6_T7_P12ihipStream_tbENKUlT_T0_E_clISt17integral_constantIbLb0EESY_IbLb1EEEEDaSU_SV_EUlSU_E_NS1_11comp_targetILNS1_3genE3ELNS1_11target_archE908ELNS1_3gpuE7ELNS1_3repE0EEENS1_30default_config_static_selectorELNS0_4arch9wavefront6targetE1EEEvT1_,"axG",@progbits,_ZN7rocprim17ROCPRIM_400000_NS6detail17trampoline_kernelINS0_14default_configENS1_27scan_by_key_config_selectorIssEEZZNS1_16scan_by_key_implILNS1_25lookback_scan_determinismE0ELb0ES3_N6thrust23THRUST_200600_302600_NS6detail15normal_iteratorINS9_10device_ptrIsEEEESE_SE_sNS9_10multipliesIsEENS9_8equal_toIsEEsEE10hipError_tPvRmT2_T3_T4_T5_mT6_T7_P12ihipStream_tbENKUlT_T0_E_clISt17integral_constantIbLb0EESY_IbLb1EEEEDaSU_SV_EUlSU_E_NS1_11comp_targetILNS1_3genE3ELNS1_11target_archE908ELNS1_3gpuE7ELNS1_3repE0EEENS1_30default_config_static_selectorELNS0_4arch9wavefront6targetE1EEEvT1_,comdat
.Lfunc_end312:
	.size	_ZN7rocprim17ROCPRIM_400000_NS6detail17trampoline_kernelINS0_14default_configENS1_27scan_by_key_config_selectorIssEEZZNS1_16scan_by_key_implILNS1_25lookback_scan_determinismE0ELb0ES3_N6thrust23THRUST_200600_302600_NS6detail15normal_iteratorINS9_10device_ptrIsEEEESE_SE_sNS9_10multipliesIsEENS9_8equal_toIsEEsEE10hipError_tPvRmT2_T3_T4_T5_mT6_T7_P12ihipStream_tbENKUlT_T0_E_clISt17integral_constantIbLb0EESY_IbLb1EEEEDaSU_SV_EUlSU_E_NS1_11comp_targetILNS1_3genE3ELNS1_11target_archE908ELNS1_3gpuE7ELNS1_3repE0EEENS1_30default_config_static_selectorELNS0_4arch9wavefront6targetE1EEEvT1_, .Lfunc_end312-_ZN7rocprim17ROCPRIM_400000_NS6detail17trampoline_kernelINS0_14default_configENS1_27scan_by_key_config_selectorIssEEZZNS1_16scan_by_key_implILNS1_25lookback_scan_determinismE0ELb0ES3_N6thrust23THRUST_200600_302600_NS6detail15normal_iteratorINS9_10device_ptrIsEEEESE_SE_sNS9_10multipliesIsEENS9_8equal_toIsEEsEE10hipError_tPvRmT2_T3_T4_T5_mT6_T7_P12ihipStream_tbENKUlT_T0_E_clISt17integral_constantIbLb0EESY_IbLb1EEEEDaSU_SV_EUlSU_E_NS1_11comp_targetILNS1_3genE3ELNS1_11target_archE908ELNS1_3gpuE7ELNS1_3repE0EEENS1_30default_config_static_selectorELNS0_4arch9wavefront6targetE1EEEvT1_
                                        ; -- End function
	.section	.AMDGPU.csdata,"",@progbits
; Kernel info:
; codeLenInByte = 0
; NumSgprs: 4
; NumVgprs: 0
; NumAgprs: 0
; TotalNumVgprs: 0
; ScratchSize: 0
; MemoryBound: 0
; FloatMode: 240
; IeeeMode: 1
; LDSByteSize: 0 bytes/workgroup (compile time only)
; SGPRBlocks: 0
; VGPRBlocks: 0
; NumSGPRsForWavesPerEU: 4
; NumVGPRsForWavesPerEU: 1
; AccumOffset: 4
; Occupancy: 8
; WaveLimiterHint : 0
; COMPUTE_PGM_RSRC2:SCRATCH_EN: 0
; COMPUTE_PGM_RSRC2:USER_SGPR: 6
; COMPUTE_PGM_RSRC2:TRAP_HANDLER: 0
; COMPUTE_PGM_RSRC2:TGID_X_EN: 1
; COMPUTE_PGM_RSRC2:TGID_Y_EN: 0
; COMPUTE_PGM_RSRC2:TGID_Z_EN: 0
; COMPUTE_PGM_RSRC2:TIDIG_COMP_CNT: 0
; COMPUTE_PGM_RSRC3_GFX90A:ACCUM_OFFSET: 0
; COMPUTE_PGM_RSRC3_GFX90A:TG_SPLIT: 0
	.section	.text._ZN7rocprim17ROCPRIM_400000_NS6detail17trampoline_kernelINS0_14default_configENS1_27scan_by_key_config_selectorIssEEZZNS1_16scan_by_key_implILNS1_25lookback_scan_determinismE0ELb0ES3_N6thrust23THRUST_200600_302600_NS6detail15normal_iteratorINS9_10device_ptrIsEEEESE_SE_sNS9_10multipliesIsEENS9_8equal_toIsEEsEE10hipError_tPvRmT2_T3_T4_T5_mT6_T7_P12ihipStream_tbENKUlT_T0_E_clISt17integral_constantIbLb0EESY_IbLb1EEEEDaSU_SV_EUlSU_E_NS1_11comp_targetILNS1_3genE2ELNS1_11target_archE906ELNS1_3gpuE6ELNS1_3repE0EEENS1_30default_config_static_selectorELNS0_4arch9wavefront6targetE1EEEvT1_,"axG",@progbits,_ZN7rocprim17ROCPRIM_400000_NS6detail17trampoline_kernelINS0_14default_configENS1_27scan_by_key_config_selectorIssEEZZNS1_16scan_by_key_implILNS1_25lookback_scan_determinismE0ELb0ES3_N6thrust23THRUST_200600_302600_NS6detail15normal_iteratorINS9_10device_ptrIsEEEESE_SE_sNS9_10multipliesIsEENS9_8equal_toIsEEsEE10hipError_tPvRmT2_T3_T4_T5_mT6_T7_P12ihipStream_tbENKUlT_T0_E_clISt17integral_constantIbLb0EESY_IbLb1EEEEDaSU_SV_EUlSU_E_NS1_11comp_targetILNS1_3genE2ELNS1_11target_archE906ELNS1_3gpuE6ELNS1_3repE0EEENS1_30default_config_static_selectorELNS0_4arch9wavefront6targetE1EEEvT1_,comdat
	.protected	_ZN7rocprim17ROCPRIM_400000_NS6detail17trampoline_kernelINS0_14default_configENS1_27scan_by_key_config_selectorIssEEZZNS1_16scan_by_key_implILNS1_25lookback_scan_determinismE0ELb0ES3_N6thrust23THRUST_200600_302600_NS6detail15normal_iteratorINS9_10device_ptrIsEEEESE_SE_sNS9_10multipliesIsEENS9_8equal_toIsEEsEE10hipError_tPvRmT2_T3_T4_T5_mT6_T7_P12ihipStream_tbENKUlT_T0_E_clISt17integral_constantIbLb0EESY_IbLb1EEEEDaSU_SV_EUlSU_E_NS1_11comp_targetILNS1_3genE2ELNS1_11target_archE906ELNS1_3gpuE6ELNS1_3repE0EEENS1_30default_config_static_selectorELNS0_4arch9wavefront6targetE1EEEvT1_ ; -- Begin function _ZN7rocprim17ROCPRIM_400000_NS6detail17trampoline_kernelINS0_14default_configENS1_27scan_by_key_config_selectorIssEEZZNS1_16scan_by_key_implILNS1_25lookback_scan_determinismE0ELb0ES3_N6thrust23THRUST_200600_302600_NS6detail15normal_iteratorINS9_10device_ptrIsEEEESE_SE_sNS9_10multipliesIsEENS9_8equal_toIsEEsEE10hipError_tPvRmT2_T3_T4_T5_mT6_T7_P12ihipStream_tbENKUlT_T0_E_clISt17integral_constantIbLb0EESY_IbLb1EEEEDaSU_SV_EUlSU_E_NS1_11comp_targetILNS1_3genE2ELNS1_11target_archE906ELNS1_3gpuE6ELNS1_3repE0EEENS1_30default_config_static_selectorELNS0_4arch9wavefront6targetE1EEEvT1_
	.globl	_ZN7rocprim17ROCPRIM_400000_NS6detail17trampoline_kernelINS0_14default_configENS1_27scan_by_key_config_selectorIssEEZZNS1_16scan_by_key_implILNS1_25lookback_scan_determinismE0ELb0ES3_N6thrust23THRUST_200600_302600_NS6detail15normal_iteratorINS9_10device_ptrIsEEEESE_SE_sNS9_10multipliesIsEENS9_8equal_toIsEEsEE10hipError_tPvRmT2_T3_T4_T5_mT6_T7_P12ihipStream_tbENKUlT_T0_E_clISt17integral_constantIbLb0EESY_IbLb1EEEEDaSU_SV_EUlSU_E_NS1_11comp_targetILNS1_3genE2ELNS1_11target_archE906ELNS1_3gpuE6ELNS1_3repE0EEENS1_30default_config_static_selectorELNS0_4arch9wavefront6targetE1EEEvT1_
	.p2align	8
	.type	_ZN7rocprim17ROCPRIM_400000_NS6detail17trampoline_kernelINS0_14default_configENS1_27scan_by_key_config_selectorIssEEZZNS1_16scan_by_key_implILNS1_25lookback_scan_determinismE0ELb0ES3_N6thrust23THRUST_200600_302600_NS6detail15normal_iteratorINS9_10device_ptrIsEEEESE_SE_sNS9_10multipliesIsEENS9_8equal_toIsEEsEE10hipError_tPvRmT2_T3_T4_T5_mT6_T7_P12ihipStream_tbENKUlT_T0_E_clISt17integral_constantIbLb0EESY_IbLb1EEEEDaSU_SV_EUlSU_E_NS1_11comp_targetILNS1_3genE2ELNS1_11target_archE906ELNS1_3gpuE6ELNS1_3repE0EEENS1_30default_config_static_selectorELNS0_4arch9wavefront6targetE1EEEvT1_,@function
_ZN7rocprim17ROCPRIM_400000_NS6detail17trampoline_kernelINS0_14default_configENS1_27scan_by_key_config_selectorIssEEZZNS1_16scan_by_key_implILNS1_25lookback_scan_determinismE0ELb0ES3_N6thrust23THRUST_200600_302600_NS6detail15normal_iteratorINS9_10device_ptrIsEEEESE_SE_sNS9_10multipliesIsEENS9_8equal_toIsEEsEE10hipError_tPvRmT2_T3_T4_T5_mT6_T7_P12ihipStream_tbENKUlT_T0_E_clISt17integral_constantIbLb0EESY_IbLb1EEEEDaSU_SV_EUlSU_E_NS1_11comp_targetILNS1_3genE2ELNS1_11target_archE906ELNS1_3gpuE6ELNS1_3repE0EEENS1_30default_config_static_selectorELNS0_4arch9wavefront6targetE1EEEvT1_: ; @_ZN7rocprim17ROCPRIM_400000_NS6detail17trampoline_kernelINS0_14default_configENS1_27scan_by_key_config_selectorIssEEZZNS1_16scan_by_key_implILNS1_25lookback_scan_determinismE0ELb0ES3_N6thrust23THRUST_200600_302600_NS6detail15normal_iteratorINS9_10device_ptrIsEEEESE_SE_sNS9_10multipliesIsEENS9_8equal_toIsEEsEE10hipError_tPvRmT2_T3_T4_T5_mT6_T7_P12ihipStream_tbENKUlT_T0_E_clISt17integral_constantIbLb0EESY_IbLb1EEEEDaSU_SV_EUlSU_E_NS1_11comp_targetILNS1_3genE2ELNS1_11target_archE906ELNS1_3gpuE6ELNS1_3repE0EEENS1_30default_config_static_selectorELNS0_4arch9wavefront6targetE1EEEvT1_
; %bb.0:
	.section	.rodata,"a",@progbits
	.p2align	6, 0x0
	.amdhsa_kernel _ZN7rocprim17ROCPRIM_400000_NS6detail17trampoline_kernelINS0_14default_configENS1_27scan_by_key_config_selectorIssEEZZNS1_16scan_by_key_implILNS1_25lookback_scan_determinismE0ELb0ES3_N6thrust23THRUST_200600_302600_NS6detail15normal_iteratorINS9_10device_ptrIsEEEESE_SE_sNS9_10multipliesIsEENS9_8equal_toIsEEsEE10hipError_tPvRmT2_T3_T4_T5_mT6_T7_P12ihipStream_tbENKUlT_T0_E_clISt17integral_constantIbLb0EESY_IbLb1EEEEDaSU_SV_EUlSU_E_NS1_11comp_targetILNS1_3genE2ELNS1_11target_archE906ELNS1_3gpuE6ELNS1_3repE0EEENS1_30default_config_static_selectorELNS0_4arch9wavefront6targetE1EEEvT1_
		.amdhsa_group_segment_fixed_size 0
		.amdhsa_private_segment_fixed_size 0
		.amdhsa_kernarg_size 112
		.amdhsa_user_sgpr_count 6
		.amdhsa_user_sgpr_private_segment_buffer 1
		.amdhsa_user_sgpr_dispatch_ptr 0
		.amdhsa_user_sgpr_queue_ptr 0
		.amdhsa_user_sgpr_kernarg_segment_ptr 1
		.amdhsa_user_sgpr_dispatch_id 0
		.amdhsa_user_sgpr_flat_scratch_init 0
		.amdhsa_user_sgpr_kernarg_preload_length 0
		.amdhsa_user_sgpr_kernarg_preload_offset 0
		.amdhsa_user_sgpr_private_segment_size 0
		.amdhsa_uses_dynamic_stack 0
		.amdhsa_system_sgpr_private_segment_wavefront_offset 0
		.amdhsa_system_sgpr_workgroup_id_x 1
		.amdhsa_system_sgpr_workgroup_id_y 0
		.amdhsa_system_sgpr_workgroup_id_z 0
		.amdhsa_system_sgpr_workgroup_info 0
		.amdhsa_system_vgpr_workitem_id 0
		.amdhsa_next_free_vgpr 1
		.amdhsa_next_free_sgpr 0
		.amdhsa_accum_offset 4
		.amdhsa_reserve_vcc 0
		.amdhsa_reserve_flat_scratch 0
		.amdhsa_float_round_mode_32 0
		.amdhsa_float_round_mode_16_64 0
		.amdhsa_float_denorm_mode_32 3
		.amdhsa_float_denorm_mode_16_64 3
		.amdhsa_dx10_clamp 1
		.amdhsa_ieee_mode 1
		.amdhsa_fp16_overflow 0
		.amdhsa_tg_split 0
		.amdhsa_exception_fp_ieee_invalid_op 0
		.amdhsa_exception_fp_denorm_src 0
		.amdhsa_exception_fp_ieee_div_zero 0
		.amdhsa_exception_fp_ieee_overflow 0
		.amdhsa_exception_fp_ieee_underflow 0
		.amdhsa_exception_fp_ieee_inexact 0
		.amdhsa_exception_int_div_zero 0
	.end_amdhsa_kernel
	.section	.text._ZN7rocprim17ROCPRIM_400000_NS6detail17trampoline_kernelINS0_14default_configENS1_27scan_by_key_config_selectorIssEEZZNS1_16scan_by_key_implILNS1_25lookback_scan_determinismE0ELb0ES3_N6thrust23THRUST_200600_302600_NS6detail15normal_iteratorINS9_10device_ptrIsEEEESE_SE_sNS9_10multipliesIsEENS9_8equal_toIsEEsEE10hipError_tPvRmT2_T3_T4_T5_mT6_T7_P12ihipStream_tbENKUlT_T0_E_clISt17integral_constantIbLb0EESY_IbLb1EEEEDaSU_SV_EUlSU_E_NS1_11comp_targetILNS1_3genE2ELNS1_11target_archE906ELNS1_3gpuE6ELNS1_3repE0EEENS1_30default_config_static_selectorELNS0_4arch9wavefront6targetE1EEEvT1_,"axG",@progbits,_ZN7rocprim17ROCPRIM_400000_NS6detail17trampoline_kernelINS0_14default_configENS1_27scan_by_key_config_selectorIssEEZZNS1_16scan_by_key_implILNS1_25lookback_scan_determinismE0ELb0ES3_N6thrust23THRUST_200600_302600_NS6detail15normal_iteratorINS9_10device_ptrIsEEEESE_SE_sNS9_10multipliesIsEENS9_8equal_toIsEEsEE10hipError_tPvRmT2_T3_T4_T5_mT6_T7_P12ihipStream_tbENKUlT_T0_E_clISt17integral_constantIbLb0EESY_IbLb1EEEEDaSU_SV_EUlSU_E_NS1_11comp_targetILNS1_3genE2ELNS1_11target_archE906ELNS1_3gpuE6ELNS1_3repE0EEENS1_30default_config_static_selectorELNS0_4arch9wavefront6targetE1EEEvT1_,comdat
.Lfunc_end313:
	.size	_ZN7rocprim17ROCPRIM_400000_NS6detail17trampoline_kernelINS0_14default_configENS1_27scan_by_key_config_selectorIssEEZZNS1_16scan_by_key_implILNS1_25lookback_scan_determinismE0ELb0ES3_N6thrust23THRUST_200600_302600_NS6detail15normal_iteratorINS9_10device_ptrIsEEEESE_SE_sNS9_10multipliesIsEENS9_8equal_toIsEEsEE10hipError_tPvRmT2_T3_T4_T5_mT6_T7_P12ihipStream_tbENKUlT_T0_E_clISt17integral_constantIbLb0EESY_IbLb1EEEEDaSU_SV_EUlSU_E_NS1_11comp_targetILNS1_3genE2ELNS1_11target_archE906ELNS1_3gpuE6ELNS1_3repE0EEENS1_30default_config_static_selectorELNS0_4arch9wavefront6targetE1EEEvT1_, .Lfunc_end313-_ZN7rocprim17ROCPRIM_400000_NS6detail17trampoline_kernelINS0_14default_configENS1_27scan_by_key_config_selectorIssEEZZNS1_16scan_by_key_implILNS1_25lookback_scan_determinismE0ELb0ES3_N6thrust23THRUST_200600_302600_NS6detail15normal_iteratorINS9_10device_ptrIsEEEESE_SE_sNS9_10multipliesIsEENS9_8equal_toIsEEsEE10hipError_tPvRmT2_T3_T4_T5_mT6_T7_P12ihipStream_tbENKUlT_T0_E_clISt17integral_constantIbLb0EESY_IbLb1EEEEDaSU_SV_EUlSU_E_NS1_11comp_targetILNS1_3genE2ELNS1_11target_archE906ELNS1_3gpuE6ELNS1_3repE0EEENS1_30default_config_static_selectorELNS0_4arch9wavefront6targetE1EEEvT1_
                                        ; -- End function
	.section	.AMDGPU.csdata,"",@progbits
; Kernel info:
; codeLenInByte = 0
; NumSgprs: 4
; NumVgprs: 0
; NumAgprs: 0
; TotalNumVgprs: 0
; ScratchSize: 0
; MemoryBound: 0
; FloatMode: 240
; IeeeMode: 1
; LDSByteSize: 0 bytes/workgroup (compile time only)
; SGPRBlocks: 0
; VGPRBlocks: 0
; NumSGPRsForWavesPerEU: 4
; NumVGPRsForWavesPerEU: 1
; AccumOffset: 4
; Occupancy: 8
; WaveLimiterHint : 0
; COMPUTE_PGM_RSRC2:SCRATCH_EN: 0
; COMPUTE_PGM_RSRC2:USER_SGPR: 6
; COMPUTE_PGM_RSRC2:TRAP_HANDLER: 0
; COMPUTE_PGM_RSRC2:TGID_X_EN: 1
; COMPUTE_PGM_RSRC2:TGID_Y_EN: 0
; COMPUTE_PGM_RSRC2:TGID_Z_EN: 0
; COMPUTE_PGM_RSRC2:TIDIG_COMP_CNT: 0
; COMPUTE_PGM_RSRC3_GFX90A:ACCUM_OFFSET: 0
; COMPUTE_PGM_RSRC3_GFX90A:TG_SPLIT: 0
	.section	.text._ZN7rocprim17ROCPRIM_400000_NS6detail17trampoline_kernelINS0_14default_configENS1_27scan_by_key_config_selectorIssEEZZNS1_16scan_by_key_implILNS1_25lookback_scan_determinismE0ELb0ES3_N6thrust23THRUST_200600_302600_NS6detail15normal_iteratorINS9_10device_ptrIsEEEESE_SE_sNS9_10multipliesIsEENS9_8equal_toIsEEsEE10hipError_tPvRmT2_T3_T4_T5_mT6_T7_P12ihipStream_tbENKUlT_T0_E_clISt17integral_constantIbLb0EESY_IbLb1EEEEDaSU_SV_EUlSU_E_NS1_11comp_targetILNS1_3genE10ELNS1_11target_archE1200ELNS1_3gpuE4ELNS1_3repE0EEENS1_30default_config_static_selectorELNS0_4arch9wavefront6targetE1EEEvT1_,"axG",@progbits,_ZN7rocprim17ROCPRIM_400000_NS6detail17trampoline_kernelINS0_14default_configENS1_27scan_by_key_config_selectorIssEEZZNS1_16scan_by_key_implILNS1_25lookback_scan_determinismE0ELb0ES3_N6thrust23THRUST_200600_302600_NS6detail15normal_iteratorINS9_10device_ptrIsEEEESE_SE_sNS9_10multipliesIsEENS9_8equal_toIsEEsEE10hipError_tPvRmT2_T3_T4_T5_mT6_T7_P12ihipStream_tbENKUlT_T0_E_clISt17integral_constantIbLb0EESY_IbLb1EEEEDaSU_SV_EUlSU_E_NS1_11comp_targetILNS1_3genE10ELNS1_11target_archE1200ELNS1_3gpuE4ELNS1_3repE0EEENS1_30default_config_static_selectorELNS0_4arch9wavefront6targetE1EEEvT1_,comdat
	.protected	_ZN7rocprim17ROCPRIM_400000_NS6detail17trampoline_kernelINS0_14default_configENS1_27scan_by_key_config_selectorIssEEZZNS1_16scan_by_key_implILNS1_25lookback_scan_determinismE0ELb0ES3_N6thrust23THRUST_200600_302600_NS6detail15normal_iteratorINS9_10device_ptrIsEEEESE_SE_sNS9_10multipliesIsEENS9_8equal_toIsEEsEE10hipError_tPvRmT2_T3_T4_T5_mT6_T7_P12ihipStream_tbENKUlT_T0_E_clISt17integral_constantIbLb0EESY_IbLb1EEEEDaSU_SV_EUlSU_E_NS1_11comp_targetILNS1_3genE10ELNS1_11target_archE1200ELNS1_3gpuE4ELNS1_3repE0EEENS1_30default_config_static_selectorELNS0_4arch9wavefront6targetE1EEEvT1_ ; -- Begin function _ZN7rocprim17ROCPRIM_400000_NS6detail17trampoline_kernelINS0_14default_configENS1_27scan_by_key_config_selectorIssEEZZNS1_16scan_by_key_implILNS1_25lookback_scan_determinismE0ELb0ES3_N6thrust23THRUST_200600_302600_NS6detail15normal_iteratorINS9_10device_ptrIsEEEESE_SE_sNS9_10multipliesIsEENS9_8equal_toIsEEsEE10hipError_tPvRmT2_T3_T4_T5_mT6_T7_P12ihipStream_tbENKUlT_T0_E_clISt17integral_constantIbLb0EESY_IbLb1EEEEDaSU_SV_EUlSU_E_NS1_11comp_targetILNS1_3genE10ELNS1_11target_archE1200ELNS1_3gpuE4ELNS1_3repE0EEENS1_30default_config_static_selectorELNS0_4arch9wavefront6targetE1EEEvT1_
	.globl	_ZN7rocprim17ROCPRIM_400000_NS6detail17trampoline_kernelINS0_14default_configENS1_27scan_by_key_config_selectorIssEEZZNS1_16scan_by_key_implILNS1_25lookback_scan_determinismE0ELb0ES3_N6thrust23THRUST_200600_302600_NS6detail15normal_iteratorINS9_10device_ptrIsEEEESE_SE_sNS9_10multipliesIsEENS9_8equal_toIsEEsEE10hipError_tPvRmT2_T3_T4_T5_mT6_T7_P12ihipStream_tbENKUlT_T0_E_clISt17integral_constantIbLb0EESY_IbLb1EEEEDaSU_SV_EUlSU_E_NS1_11comp_targetILNS1_3genE10ELNS1_11target_archE1200ELNS1_3gpuE4ELNS1_3repE0EEENS1_30default_config_static_selectorELNS0_4arch9wavefront6targetE1EEEvT1_
	.p2align	8
	.type	_ZN7rocprim17ROCPRIM_400000_NS6detail17trampoline_kernelINS0_14default_configENS1_27scan_by_key_config_selectorIssEEZZNS1_16scan_by_key_implILNS1_25lookback_scan_determinismE0ELb0ES3_N6thrust23THRUST_200600_302600_NS6detail15normal_iteratorINS9_10device_ptrIsEEEESE_SE_sNS9_10multipliesIsEENS9_8equal_toIsEEsEE10hipError_tPvRmT2_T3_T4_T5_mT6_T7_P12ihipStream_tbENKUlT_T0_E_clISt17integral_constantIbLb0EESY_IbLb1EEEEDaSU_SV_EUlSU_E_NS1_11comp_targetILNS1_3genE10ELNS1_11target_archE1200ELNS1_3gpuE4ELNS1_3repE0EEENS1_30default_config_static_selectorELNS0_4arch9wavefront6targetE1EEEvT1_,@function
_ZN7rocprim17ROCPRIM_400000_NS6detail17trampoline_kernelINS0_14default_configENS1_27scan_by_key_config_selectorIssEEZZNS1_16scan_by_key_implILNS1_25lookback_scan_determinismE0ELb0ES3_N6thrust23THRUST_200600_302600_NS6detail15normal_iteratorINS9_10device_ptrIsEEEESE_SE_sNS9_10multipliesIsEENS9_8equal_toIsEEsEE10hipError_tPvRmT2_T3_T4_T5_mT6_T7_P12ihipStream_tbENKUlT_T0_E_clISt17integral_constantIbLb0EESY_IbLb1EEEEDaSU_SV_EUlSU_E_NS1_11comp_targetILNS1_3genE10ELNS1_11target_archE1200ELNS1_3gpuE4ELNS1_3repE0EEENS1_30default_config_static_selectorELNS0_4arch9wavefront6targetE1EEEvT1_: ; @_ZN7rocprim17ROCPRIM_400000_NS6detail17trampoline_kernelINS0_14default_configENS1_27scan_by_key_config_selectorIssEEZZNS1_16scan_by_key_implILNS1_25lookback_scan_determinismE0ELb0ES3_N6thrust23THRUST_200600_302600_NS6detail15normal_iteratorINS9_10device_ptrIsEEEESE_SE_sNS9_10multipliesIsEENS9_8equal_toIsEEsEE10hipError_tPvRmT2_T3_T4_T5_mT6_T7_P12ihipStream_tbENKUlT_T0_E_clISt17integral_constantIbLb0EESY_IbLb1EEEEDaSU_SV_EUlSU_E_NS1_11comp_targetILNS1_3genE10ELNS1_11target_archE1200ELNS1_3gpuE4ELNS1_3repE0EEENS1_30default_config_static_selectorELNS0_4arch9wavefront6targetE1EEEvT1_
; %bb.0:
	.section	.rodata,"a",@progbits
	.p2align	6, 0x0
	.amdhsa_kernel _ZN7rocprim17ROCPRIM_400000_NS6detail17trampoline_kernelINS0_14default_configENS1_27scan_by_key_config_selectorIssEEZZNS1_16scan_by_key_implILNS1_25lookback_scan_determinismE0ELb0ES3_N6thrust23THRUST_200600_302600_NS6detail15normal_iteratorINS9_10device_ptrIsEEEESE_SE_sNS9_10multipliesIsEENS9_8equal_toIsEEsEE10hipError_tPvRmT2_T3_T4_T5_mT6_T7_P12ihipStream_tbENKUlT_T0_E_clISt17integral_constantIbLb0EESY_IbLb1EEEEDaSU_SV_EUlSU_E_NS1_11comp_targetILNS1_3genE10ELNS1_11target_archE1200ELNS1_3gpuE4ELNS1_3repE0EEENS1_30default_config_static_selectorELNS0_4arch9wavefront6targetE1EEEvT1_
		.amdhsa_group_segment_fixed_size 0
		.amdhsa_private_segment_fixed_size 0
		.amdhsa_kernarg_size 112
		.amdhsa_user_sgpr_count 6
		.amdhsa_user_sgpr_private_segment_buffer 1
		.amdhsa_user_sgpr_dispatch_ptr 0
		.amdhsa_user_sgpr_queue_ptr 0
		.amdhsa_user_sgpr_kernarg_segment_ptr 1
		.amdhsa_user_sgpr_dispatch_id 0
		.amdhsa_user_sgpr_flat_scratch_init 0
		.amdhsa_user_sgpr_kernarg_preload_length 0
		.amdhsa_user_sgpr_kernarg_preload_offset 0
		.amdhsa_user_sgpr_private_segment_size 0
		.amdhsa_uses_dynamic_stack 0
		.amdhsa_system_sgpr_private_segment_wavefront_offset 0
		.amdhsa_system_sgpr_workgroup_id_x 1
		.amdhsa_system_sgpr_workgroup_id_y 0
		.amdhsa_system_sgpr_workgroup_id_z 0
		.amdhsa_system_sgpr_workgroup_info 0
		.amdhsa_system_vgpr_workitem_id 0
		.amdhsa_next_free_vgpr 1
		.amdhsa_next_free_sgpr 0
		.amdhsa_accum_offset 4
		.amdhsa_reserve_vcc 0
		.amdhsa_reserve_flat_scratch 0
		.amdhsa_float_round_mode_32 0
		.amdhsa_float_round_mode_16_64 0
		.amdhsa_float_denorm_mode_32 3
		.amdhsa_float_denorm_mode_16_64 3
		.amdhsa_dx10_clamp 1
		.amdhsa_ieee_mode 1
		.amdhsa_fp16_overflow 0
		.amdhsa_tg_split 0
		.amdhsa_exception_fp_ieee_invalid_op 0
		.amdhsa_exception_fp_denorm_src 0
		.amdhsa_exception_fp_ieee_div_zero 0
		.amdhsa_exception_fp_ieee_overflow 0
		.amdhsa_exception_fp_ieee_underflow 0
		.amdhsa_exception_fp_ieee_inexact 0
		.amdhsa_exception_int_div_zero 0
	.end_amdhsa_kernel
	.section	.text._ZN7rocprim17ROCPRIM_400000_NS6detail17trampoline_kernelINS0_14default_configENS1_27scan_by_key_config_selectorIssEEZZNS1_16scan_by_key_implILNS1_25lookback_scan_determinismE0ELb0ES3_N6thrust23THRUST_200600_302600_NS6detail15normal_iteratorINS9_10device_ptrIsEEEESE_SE_sNS9_10multipliesIsEENS9_8equal_toIsEEsEE10hipError_tPvRmT2_T3_T4_T5_mT6_T7_P12ihipStream_tbENKUlT_T0_E_clISt17integral_constantIbLb0EESY_IbLb1EEEEDaSU_SV_EUlSU_E_NS1_11comp_targetILNS1_3genE10ELNS1_11target_archE1200ELNS1_3gpuE4ELNS1_3repE0EEENS1_30default_config_static_selectorELNS0_4arch9wavefront6targetE1EEEvT1_,"axG",@progbits,_ZN7rocprim17ROCPRIM_400000_NS6detail17trampoline_kernelINS0_14default_configENS1_27scan_by_key_config_selectorIssEEZZNS1_16scan_by_key_implILNS1_25lookback_scan_determinismE0ELb0ES3_N6thrust23THRUST_200600_302600_NS6detail15normal_iteratorINS9_10device_ptrIsEEEESE_SE_sNS9_10multipliesIsEENS9_8equal_toIsEEsEE10hipError_tPvRmT2_T3_T4_T5_mT6_T7_P12ihipStream_tbENKUlT_T0_E_clISt17integral_constantIbLb0EESY_IbLb1EEEEDaSU_SV_EUlSU_E_NS1_11comp_targetILNS1_3genE10ELNS1_11target_archE1200ELNS1_3gpuE4ELNS1_3repE0EEENS1_30default_config_static_selectorELNS0_4arch9wavefront6targetE1EEEvT1_,comdat
.Lfunc_end314:
	.size	_ZN7rocprim17ROCPRIM_400000_NS6detail17trampoline_kernelINS0_14default_configENS1_27scan_by_key_config_selectorIssEEZZNS1_16scan_by_key_implILNS1_25lookback_scan_determinismE0ELb0ES3_N6thrust23THRUST_200600_302600_NS6detail15normal_iteratorINS9_10device_ptrIsEEEESE_SE_sNS9_10multipliesIsEENS9_8equal_toIsEEsEE10hipError_tPvRmT2_T3_T4_T5_mT6_T7_P12ihipStream_tbENKUlT_T0_E_clISt17integral_constantIbLb0EESY_IbLb1EEEEDaSU_SV_EUlSU_E_NS1_11comp_targetILNS1_3genE10ELNS1_11target_archE1200ELNS1_3gpuE4ELNS1_3repE0EEENS1_30default_config_static_selectorELNS0_4arch9wavefront6targetE1EEEvT1_, .Lfunc_end314-_ZN7rocprim17ROCPRIM_400000_NS6detail17trampoline_kernelINS0_14default_configENS1_27scan_by_key_config_selectorIssEEZZNS1_16scan_by_key_implILNS1_25lookback_scan_determinismE0ELb0ES3_N6thrust23THRUST_200600_302600_NS6detail15normal_iteratorINS9_10device_ptrIsEEEESE_SE_sNS9_10multipliesIsEENS9_8equal_toIsEEsEE10hipError_tPvRmT2_T3_T4_T5_mT6_T7_P12ihipStream_tbENKUlT_T0_E_clISt17integral_constantIbLb0EESY_IbLb1EEEEDaSU_SV_EUlSU_E_NS1_11comp_targetILNS1_3genE10ELNS1_11target_archE1200ELNS1_3gpuE4ELNS1_3repE0EEENS1_30default_config_static_selectorELNS0_4arch9wavefront6targetE1EEEvT1_
                                        ; -- End function
	.section	.AMDGPU.csdata,"",@progbits
; Kernel info:
; codeLenInByte = 0
; NumSgprs: 4
; NumVgprs: 0
; NumAgprs: 0
; TotalNumVgprs: 0
; ScratchSize: 0
; MemoryBound: 0
; FloatMode: 240
; IeeeMode: 1
; LDSByteSize: 0 bytes/workgroup (compile time only)
; SGPRBlocks: 0
; VGPRBlocks: 0
; NumSGPRsForWavesPerEU: 4
; NumVGPRsForWavesPerEU: 1
; AccumOffset: 4
; Occupancy: 8
; WaveLimiterHint : 0
; COMPUTE_PGM_RSRC2:SCRATCH_EN: 0
; COMPUTE_PGM_RSRC2:USER_SGPR: 6
; COMPUTE_PGM_RSRC2:TRAP_HANDLER: 0
; COMPUTE_PGM_RSRC2:TGID_X_EN: 1
; COMPUTE_PGM_RSRC2:TGID_Y_EN: 0
; COMPUTE_PGM_RSRC2:TGID_Z_EN: 0
; COMPUTE_PGM_RSRC2:TIDIG_COMP_CNT: 0
; COMPUTE_PGM_RSRC3_GFX90A:ACCUM_OFFSET: 0
; COMPUTE_PGM_RSRC3_GFX90A:TG_SPLIT: 0
	.section	.text._ZN7rocprim17ROCPRIM_400000_NS6detail17trampoline_kernelINS0_14default_configENS1_27scan_by_key_config_selectorIssEEZZNS1_16scan_by_key_implILNS1_25lookback_scan_determinismE0ELb0ES3_N6thrust23THRUST_200600_302600_NS6detail15normal_iteratorINS9_10device_ptrIsEEEESE_SE_sNS9_10multipliesIsEENS9_8equal_toIsEEsEE10hipError_tPvRmT2_T3_T4_T5_mT6_T7_P12ihipStream_tbENKUlT_T0_E_clISt17integral_constantIbLb0EESY_IbLb1EEEEDaSU_SV_EUlSU_E_NS1_11comp_targetILNS1_3genE9ELNS1_11target_archE1100ELNS1_3gpuE3ELNS1_3repE0EEENS1_30default_config_static_selectorELNS0_4arch9wavefront6targetE1EEEvT1_,"axG",@progbits,_ZN7rocprim17ROCPRIM_400000_NS6detail17trampoline_kernelINS0_14default_configENS1_27scan_by_key_config_selectorIssEEZZNS1_16scan_by_key_implILNS1_25lookback_scan_determinismE0ELb0ES3_N6thrust23THRUST_200600_302600_NS6detail15normal_iteratorINS9_10device_ptrIsEEEESE_SE_sNS9_10multipliesIsEENS9_8equal_toIsEEsEE10hipError_tPvRmT2_T3_T4_T5_mT6_T7_P12ihipStream_tbENKUlT_T0_E_clISt17integral_constantIbLb0EESY_IbLb1EEEEDaSU_SV_EUlSU_E_NS1_11comp_targetILNS1_3genE9ELNS1_11target_archE1100ELNS1_3gpuE3ELNS1_3repE0EEENS1_30default_config_static_selectorELNS0_4arch9wavefront6targetE1EEEvT1_,comdat
	.protected	_ZN7rocprim17ROCPRIM_400000_NS6detail17trampoline_kernelINS0_14default_configENS1_27scan_by_key_config_selectorIssEEZZNS1_16scan_by_key_implILNS1_25lookback_scan_determinismE0ELb0ES3_N6thrust23THRUST_200600_302600_NS6detail15normal_iteratorINS9_10device_ptrIsEEEESE_SE_sNS9_10multipliesIsEENS9_8equal_toIsEEsEE10hipError_tPvRmT2_T3_T4_T5_mT6_T7_P12ihipStream_tbENKUlT_T0_E_clISt17integral_constantIbLb0EESY_IbLb1EEEEDaSU_SV_EUlSU_E_NS1_11comp_targetILNS1_3genE9ELNS1_11target_archE1100ELNS1_3gpuE3ELNS1_3repE0EEENS1_30default_config_static_selectorELNS0_4arch9wavefront6targetE1EEEvT1_ ; -- Begin function _ZN7rocprim17ROCPRIM_400000_NS6detail17trampoline_kernelINS0_14default_configENS1_27scan_by_key_config_selectorIssEEZZNS1_16scan_by_key_implILNS1_25lookback_scan_determinismE0ELb0ES3_N6thrust23THRUST_200600_302600_NS6detail15normal_iteratorINS9_10device_ptrIsEEEESE_SE_sNS9_10multipliesIsEENS9_8equal_toIsEEsEE10hipError_tPvRmT2_T3_T4_T5_mT6_T7_P12ihipStream_tbENKUlT_T0_E_clISt17integral_constantIbLb0EESY_IbLb1EEEEDaSU_SV_EUlSU_E_NS1_11comp_targetILNS1_3genE9ELNS1_11target_archE1100ELNS1_3gpuE3ELNS1_3repE0EEENS1_30default_config_static_selectorELNS0_4arch9wavefront6targetE1EEEvT1_
	.globl	_ZN7rocprim17ROCPRIM_400000_NS6detail17trampoline_kernelINS0_14default_configENS1_27scan_by_key_config_selectorIssEEZZNS1_16scan_by_key_implILNS1_25lookback_scan_determinismE0ELb0ES3_N6thrust23THRUST_200600_302600_NS6detail15normal_iteratorINS9_10device_ptrIsEEEESE_SE_sNS9_10multipliesIsEENS9_8equal_toIsEEsEE10hipError_tPvRmT2_T3_T4_T5_mT6_T7_P12ihipStream_tbENKUlT_T0_E_clISt17integral_constantIbLb0EESY_IbLb1EEEEDaSU_SV_EUlSU_E_NS1_11comp_targetILNS1_3genE9ELNS1_11target_archE1100ELNS1_3gpuE3ELNS1_3repE0EEENS1_30default_config_static_selectorELNS0_4arch9wavefront6targetE1EEEvT1_
	.p2align	8
	.type	_ZN7rocprim17ROCPRIM_400000_NS6detail17trampoline_kernelINS0_14default_configENS1_27scan_by_key_config_selectorIssEEZZNS1_16scan_by_key_implILNS1_25lookback_scan_determinismE0ELb0ES3_N6thrust23THRUST_200600_302600_NS6detail15normal_iteratorINS9_10device_ptrIsEEEESE_SE_sNS9_10multipliesIsEENS9_8equal_toIsEEsEE10hipError_tPvRmT2_T3_T4_T5_mT6_T7_P12ihipStream_tbENKUlT_T0_E_clISt17integral_constantIbLb0EESY_IbLb1EEEEDaSU_SV_EUlSU_E_NS1_11comp_targetILNS1_3genE9ELNS1_11target_archE1100ELNS1_3gpuE3ELNS1_3repE0EEENS1_30default_config_static_selectorELNS0_4arch9wavefront6targetE1EEEvT1_,@function
_ZN7rocprim17ROCPRIM_400000_NS6detail17trampoline_kernelINS0_14default_configENS1_27scan_by_key_config_selectorIssEEZZNS1_16scan_by_key_implILNS1_25lookback_scan_determinismE0ELb0ES3_N6thrust23THRUST_200600_302600_NS6detail15normal_iteratorINS9_10device_ptrIsEEEESE_SE_sNS9_10multipliesIsEENS9_8equal_toIsEEsEE10hipError_tPvRmT2_T3_T4_T5_mT6_T7_P12ihipStream_tbENKUlT_T0_E_clISt17integral_constantIbLb0EESY_IbLb1EEEEDaSU_SV_EUlSU_E_NS1_11comp_targetILNS1_3genE9ELNS1_11target_archE1100ELNS1_3gpuE3ELNS1_3repE0EEENS1_30default_config_static_selectorELNS0_4arch9wavefront6targetE1EEEvT1_: ; @_ZN7rocprim17ROCPRIM_400000_NS6detail17trampoline_kernelINS0_14default_configENS1_27scan_by_key_config_selectorIssEEZZNS1_16scan_by_key_implILNS1_25lookback_scan_determinismE0ELb0ES3_N6thrust23THRUST_200600_302600_NS6detail15normal_iteratorINS9_10device_ptrIsEEEESE_SE_sNS9_10multipliesIsEENS9_8equal_toIsEEsEE10hipError_tPvRmT2_T3_T4_T5_mT6_T7_P12ihipStream_tbENKUlT_T0_E_clISt17integral_constantIbLb0EESY_IbLb1EEEEDaSU_SV_EUlSU_E_NS1_11comp_targetILNS1_3genE9ELNS1_11target_archE1100ELNS1_3gpuE3ELNS1_3repE0EEENS1_30default_config_static_selectorELNS0_4arch9wavefront6targetE1EEEvT1_
; %bb.0:
	.section	.rodata,"a",@progbits
	.p2align	6, 0x0
	.amdhsa_kernel _ZN7rocprim17ROCPRIM_400000_NS6detail17trampoline_kernelINS0_14default_configENS1_27scan_by_key_config_selectorIssEEZZNS1_16scan_by_key_implILNS1_25lookback_scan_determinismE0ELb0ES3_N6thrust23THRUST_200600_302600_NS6detail15normal_iteratorINS9_10device_ptrIsEEEESE_SE_sNS9_10multipliesIsEENS9_8equal_toIsEEsEE10hipError_tPvRmT2_T3_T4_T5_mT6_T7_P12ihipStream_tbENKUlT_T0_E_clISt17integral_constantIbLb0EESY_IbLb1EEEEDaSU_SV_EUlSU_E_NS1_11comp_targetILNS1_3genE9ELNS1_11target_archE1100ELNS1_3gpuE3ELNS1_3repE0EEENS1_30default_config_static_selectorELNS0_4arch9wavefront6targetE1EEEvT1_
		.amdhsa_group_segment_fixed_size 0
		.amdhsa_private_segment_fixed_size 0
		.amdhsa_kernarg_size 112
		.amdhsa_user_sgpr_count 6
		.amdhsa_user_sgpr_private_segment_buffer 1
		.amdhsa_user_sgpr_dispatch_ptr 0
		.amdhsa_user_sgpr_queue_ptr 0
		.amdhsa_user_sgpr_kernarg_segment_ptr 1
		.amdhsa_user_sgpr_dispatch_id 0
		.amdhsa_user_sgpr_flat_scratch_init 0
		.amdhsa_user_sgpr_kernarg_preload_length 0
		.amdhsa_user_sgpr_kernarg_preload_offset 0
		.amdhsa_user_sgpr_private_segment_size 0
		.amdhsa_uses_dynamic_stack 0
		.amdhsa_system_sgpr_private_segment_wavefront_offset 0
		.amdhsa_system_sgpr_workgroup_id_x 1
		.amdhsa_system_sgpr_workgroup_id_y 0
		.amdhsa_system_sgpr_workgroup_id_z 0
		.amdhsa_system_sgpr_workgroup_info 0
		.amdhsa_system_vgpr_workitem_id 0
		.amdhsa_next_free_vgpr 1
		.amdhsa_next_free_sgpr 0
		.amdhsa_accum_offset 4
		.amdhsa_reserve_vcc 0
		.amdhsa_reserve_flat_scratch 0
		.amdhsa_float_round_mode_32 0
		.amdhsa_float_round_mode_16_64 0
		.amdhsa_float_denorm_mode_32 3
		.amdhsa_float_denorm_mode_16_64 3
		.amdhsa_dx10_clamp 1
		.amdhsa_ieee_mode 1
		.amdhsa_fp16_overflow 0
		.amdhsa_tg_split 0
		.amdhsa_exception_fp_ieee_invalid_op 0
		.amdhsa_exception_fp_denorm_src 0
		.amdhsa_exception_fp_ieee_div_zero 0
		.amdhsa_exception_fp_ieee_overflow 0
		.amdhsa_exception_fp_ieee_underflow 0
		.amdhsa_exception_fp_ieee_inexact 0
		.amdhsa_exception_int_div_zero 0
	.end_amdhsa_kernel
	.section	.text._ZN7rocprim17ROCPRIM_400000_NS6detail17trampoline_kernelINS0_14default_configENS1_27scan_by_key_config_selectorIssEEZZNS1_16scan_by_key_implILNS1_25lookback_scan_determinismE0ELb0ES3_N6thrust23THRUST_200600_302600_NS6detail15normal_iteratorINS9_10device_ptrIsEEEESE_SE_sNS9_10multipliesIsEENS9_8equal_toIsEEsEE10hipError_tPvRmT2_T3_T4_T5_mT6_T7_P12ihipStream_tbENKUlT_T0_E_clISt17integral_constantIbLb0EESY_IbLb1EEEEDaSU_SV_EUlSU_E_NS1_11comp_targetILNS1_3genE9ELNS1_11target_archE1100ELNS1_3gpuE3ELNS1_3repE0EEENS1_30default_config_static_selectorELNS0_4arch9wavefront6targetE1EEEvT1_,"axG",@progbits,_ZN7rocprim17ROCPRIM_400000_NS6detail17trampoline_kernelINS0_14default_configENS1_27scan_by_key_config_selectorIssEEZZNS1_16scan_by_key_implILNS1_25lookback_scan_determinismE0ELb0ES3_N6thrust23THRUST_200600_302600_NS6detail15normal_iteratorINS9_10device_ptrIsEEEESE_SE_sNS9_10multipliesIsEENS9_8equal_toIsEEsEE10hipError_tPvRmT2_T3_T4_T5_mT6_T7_P12ihipStream_tbENKUlT_T0_E_clISt17integral_constantIbLb0EESY_IbLb1EEEEDaSU_SV_EUlSU_E_NS1_11comp_targetILNS1_3genE9ELNS1_11target_archE1100ELNS1_3gpuE3ELNS1_3repE0EEENS1_30default_config_static_selectorELNS0_4arch9wavefront6targetE1EEEvT1_,comdat
.Lfunc_end315:
	.size	_ZN7rocprim17ROCPRIM_400000_NS6detail17trampoline_kernelINS0_14default_configENS1_27scan_by_key_config_selectorIssEEZZNS1_16scan_by_key_implILNS1_25lookback_scan_determinismE0ELb0ES3_N6thrust23THRUST_200600_302600_NS6detail15normal_iteratorINS9_10device_ptrIsEEEESE_SE_sNS9_10multipliesIsEENS9_8equal_toIsEEsEE10hipError_tPvRmT2_T3_T4_T5_mT6_T7_P12ihipStream_tbENKUlT_T0_E_clISt17integral_constantIbLb0EESY_IbLb1EEEEDaSU_SV_EUlSU_E_NS1_11comp_targetILNS1_3genE9ELNS1_11target_archE1100ELNS1_3gpuE3ELNS1_3repE0EEENS1_30default_config_static_selectorELNS0_4arch9wavefront6targetE1EEEvT1_, .Lfunc_end315-_ZN7rocprim17ROCPRIM_400000_NS6detail17trampoline_kernelINS0_14default_configENS1_27scan_by_key_config_selectorIssEEZZNS1_16scan_by_key_implILNS1_25lookback_scan_determinismE0ELb0ES3_N6thrust23THRUST_200600_302600_NS6detail15normal_iteratorINS9_10device_ptrIsEEEESE_SE_sNS9_10multipliesIsEENS9_8equal_toIsEEsEE10hipError_tPvRmT2_T3_T4_T5_mT6_T7_P12ihipStream_tbENKUlT_T0_E_clISt17integral_constantIbLb0EESY_IbLb1EEEEDaSU_SV_EUlSU_E_NS1_11comp_targetILNS1_3genE9ELNS1_11target_archE1100ELNS1_3gpuE3ELNS1_3repE0EEENS1_30default_config_static_selectorELNS0_4arch9wavefront6targetE1EEEvT1_
                                        ; -- End function
	.section	.AMDGPU.csdata,"",@progbits
; Kernel info:
; codeLenInByte = 0
; NumSgprs: 4
; NumVgprs: 0
; NumAgprs: 0
; TotalNumVgprs: 0
; ScratchSize: 0
; MemoryBound: 0
; FloatMode: 240
; IeeeMode: 1
; LDSByteSize: 0 bytes/workgroup (compile time only)
; SGPRBlocks: 0
; VGPRBlocks: 0
; NumSGPRsForWavesPerEU: 4
; NumVGPRsForWavesPerEU: 1
; AccumOffset: 4
; Occupancy: 8
; WaveLimiterHint : 0
; COMPUTE_PGM_RSRC2:SCRATCH_EN: 0
; COMPUTE_PGM_RSRC2:USER_SGPR: 6
; COMPUTE_PGM_RSRC2:TRAP_HANDLER: 0
; COMPUTE_PGM_RSRC2:TGID_X_EN: 1
; COMPUTE_PGM_RSRC2:TGID_Y_EN: 0
; COMPUTE_PGM_RSRC2:TGID_Z_EN: 0
; COMPUTE_PGM_RSRC2:TIDIG_COMP_CNT: 0
; COMPUTE_PGM_RSRC3_GFX90A:ACCUM_OFFSET: 0
; COMPUTE_PGM_RSRC3_GFX90A:TG_SPLIT: 0
	.section	.text._ZN7rocprim17ROCPRIM_400000_NS6detail17trampoline_kernelINS0_14default_configENS1_27scan_by_key_config_selectorIssEEZZNS1_16scan_by_key_implILNS1_25lookback_scan_determinismE0ELb0ES3_N6thrust23THRUST_200600_302600_NS6detail15normal_iteratorINS9_10device_ptrIsEEEESE_SE_sNS9_10multipliesIsEENS9_8equal_toIsEEsEE10hipError_tPvRmT2_T3_T4_T5_mT6_T7_P12ihipStream_tbENKUlT_T0_E_clISt17integral_constantIbLb0EESY_IbLb1EEEEDaSU_SV_EUlSU_E_NS1_11comp_targetILNS1_3genE8ELNS1_11target_archE1030ELNS1_3gpuE2ELNS1_3repE0EEENS1_30default_config_static_selectorELNS0_4arch9wavefront6targetE1EEEvT1_,"axG",@progbits,_ZN7rocprim17ROCPRIM_400000_NS6detail17trampoline_kernelINS0_14default_configENS1_27scan_by_key_config_selectorIssEEZZNS1_16scan_by_key_implILNS1_25lookback_scan_determinismE0ELb0ES3_N6thrust23THRUST_200600_302600_NS6detail15normal_iteratorINS9_10device_ptrIsEEEESE_SE_sNS9_10multipliesIsEENS9_8equal_toIsEEsEE10hipError_tPvRmT2_T3_T4_T5_mT6_T7_P12ihipStream_tbENKUlT_T0_E_clISt17integral_constantIbLb0EESY_IbLb1EEEEDaSU_SV_EUlSU_E_NS1_11comp_targetILNS1_3genE8ELNS1_11target_archE1030ELNS1_3gpuE2ELNS1_3repE0EEENS1_30default_config_static_selectorELNS0_4arch9wavefront6targetE1EEEvT1_,comdat
	.protected	_ZN7rocprim17ROCPRIM_400000_NS6detail17trampoline_kernelINS0_14default_configENS1_27scan_by_key_config_selectorIssEEZZNS1_16scan_by_key_implILNS1_25lookback_scan_determinismE0ELb0ES3_N6thrust23THRUST_200600_302600_NS6detail15normal_iteratorINS9_10device_ptrIsEEEESE_SE_sNS9_10multipliesIsEENS9_8equal_toIsEEsEE10hipError_tPvRmT2_T3_T4_T5_mT6_T7_P12ihipStream_tbENKUlT_T0_E_clISt17integral_constantIbLb0EESY_IbLb1EEEEDaSU_SV_EUlSU_E_NS1_11comp_targetILNS1_3genE8ELNS1_11target_archE1030ELNS1_3gpuE2ELNS1_3repE0EEENS1_30default_config_static_selectorELNS0_4arch9wavefront6targetE1EEEvT1_ ; -- Begin function _ZN7rocprim17ROCPRIM_400000_NS6detail17trampoline_kernelINS0_14default_configENS1_27scan_by_key_config_selectorIssEEZZNS1_16scan_by_key_implILNS1_25lookback_scan_determinismE0ELb0ES3_N6thrust23THRUST_200600_302600_NS6detail15normal_iteratorINS9_10device_ptrIsEEEESE_SE_sNS9_10multipliesIsEENS9_8equal_toIsEEsEE10hipError_tPvRmT2_T3_T4_T5_mT6_T7_P12ihipStream_tbENKUlT_T0_E_clISt17integral_constantIbLb0EESY_IbLb1EEEEDaSU_SV_EUlSU_E_NS1_11comp_targetILNS1_3genE8ELNS1_11target_archE1030ELNS1_3gpuE2ELNS1_3repE0EEENS1_30default_config_static_selectorELNS0_4arch9wavefront6targetE1EEEvT1_
	.globl	_ZN7rocprim17ROCPRIM_400000_NS6detail17trampoline_kernelINS0_14default_configENS1_27scan_by_key_config_selectorIssEEZZNS1_16scan_by_key_implILNS1_25lookback_scan_determinismE0ELb0ES3_N6thrust23THRUST_200600_302600_NS6detail15normal_iteratorINS9_10device_ptrIsEEEESE_SE_sNS9_10multipliesIsEENS9_8equal_toIsEEsEE10hipError_tPvRmT2_T3_T4_T5_mT6_T7_P12ihipStream_tbENKUlT_T0_E_clISt17integral_constantIbLb0EESY_IbLb1EEEEDaSU_SV_EUlSU_E_NS1_11comp_targetILNS1_3genE8ELNS1_11target_archE1030ELNS1_3gpuE2ELNS1_3repE0EEENS1_30default_config_static_selectorELNS0_4arch9wavefront6targetE1EEEvT1_
	.p2align	8
	.type	_ZN7rocprim17ROCPRIM_400000_NS6detail17trampoline_kernelINS0_14default_configENS1_27scan_by_key_config_selectorIssEEZZNS1_16scan_by_key_implILNS1_25lookback_scan_determinismE0ELb0ES3_N6thrust23THRUST_200600_302600_NS6detail15normal_iteratorINS9_10device_ptrIsEEEESE_SE_sNS9_10multipliesIsEENS9_8equal_toIsEEsEE10hipError_tPvRmT2_T3_T4_T5_mT6_T7_P12ihipStream_tbENKUlT_T0_E_clISt17integral_constantIbLb0EESY_IbLb1EEEEDaSU_SV_EUlSU_E_NS1_11comp_targetILNS1_3genE8ELNS1_11target_archE1030ELNS1_3gpuE2ELNS1_3repE0EEENS1_30default_config_static_selectorELNS0_4arch9wavefront6targetE1EEEvT1_,@function
_ZN7rocprim17ROCPRIM_400000_NS6detail17trampoline_kernelINS0_14default_configENS1_27scan_by_key_config_selectorIssEEZZNS1_16scan_by_key_implILNS1_25lookback_scan_determinismE0ELb0ES3_N6thrust23THRUST_200600_302600_NS6detail15normal_iteratorINS9_10device_ptrIsEEEESE_SE_sNS9_10multipliesIsEENS9_8equal_toIsEEsEE10hipError_tPvRmT2_T3_T4_T5_mT6_T7_P12ihipStream_tbENKUlT_T0_E_clISt17integral_constantIbLb0EESY_IbLb1EEEEDaSU_SV_EUlSU_E_NS1_11comp_targetILNS1_3genE8ELNS1_11target_archE1030ELNS1_3gpuE2ELNS1_3repE0EEENS1_30default_config_static_selectorELNS0_4arch9wavefront6targetE1EEEvT1_: ; @_ZN7rocprim17ROCPRIM_400000_NS6detail17trampoline_kernelINS0_14default_configENS1_27scan_by_key_config_selectorIssEEZZNS1_16scan_by_key_implILNS1_25lookback_scan_determinismE0ELb0ES3_N6thrust23THRUST_200600_302600_NS6detail15normal_iteratorINS9_10device_ptrIsEEEESE_SE_sNS9_10multipliesIsEENS9_8equal_toIsEEsEE10hipError_tPvRmT2_T3_T4_T5_mT6_T7_P12ihipStream_tbENKUlT_T0_E_clISt17integral_constantIbLb0EESY_IbLb1EEEEDaSU_SV_EUlSU_E_NS1_11comp_targetILNS1_3genE8ELNS1_11target_archE1030ELNS1_3gpuE2ELNS1_3repE0EEENS1_30default_config_static_selectorELNS0_4arch9wavefront6targetE1EEEvT1_
; %bb.0:
	.section	.rodata,"a",@progbits
	.p2align	6, 0x0
	.amdhsa_kernel _ZN7rocprim17ROCPRIM_400000_NS6detail17trampoline_kernelINS0_14default_configENS1_27scan_by_key_config_selectorIssEEZZNS1_16scan_by_key_implILNS1_25lookback_scan_determinismE0ELb0ES3_N6thrust23THRUST_200600_302600_NS6detail15normal_iteratorINS9_10device_ptrIsEEEESE_SE_sNS9_10multipliesIsEENS9_8equal_toIsEEsEE10hipError_tPvRmT2_T3_T4_T5_mT6_T7_P12ihipStream_tbENKUlT_T0_E_clISt17integral_constantIbLb0EESY_IbLb1EEEEDaSU_SV_EUlSU_E_NS1_11comp_targetILNS1_3genE8ELNS1_11target_archE1030ELNS1_3gpuE2ELNS1_3repE0EEENS1_30default_config_static_selectorELNS0_4arch9wavefront6targetE1EEEvT1_
		.amdhsa_group_segment_fixed_size 0
		.amdhsa_private_segment_fixed_size 0
		.amdhsa_kernarg_size 112
		.amdhsa_user_sgpr_count 6
		.amdhsa_user_sgpr_private_segment_buffer 1
		.amdhsa_user_sgpr_dispatch_ptr 0
		.amdhsa_user_sgpr_queue_ptr 0
		.amdhsa_user_sgpr_kernarg_segment_ptr 1
		.amdhsa_user_sgpr_dispatch_id 0
		.amdhsa_user_sgpr_flat_scratch_init 0
		.amdhsa_user_sgpr_kernarg_preload_length 0
		.amdhsa_user_sgpr_kernarg_preload_offset 0
		.amdhsa_user_sgpr_private_segment_size 0
		.amdhsa_uses_dynamic_stack 0
		.amdhsa_system_sgpr_private_segment_wavefront_offset 0
		.amdhsa_system_sgpr_workgroup_id_x 1
		.amdhsa_system_sgpr_workgroup_id_y 0
		.amdhsa_system_sgpr_workgroup_id_z 0
		.amdhsa_system_sgpr_workgroup_info 0
		.amdhsa_system_vgpr_workitem_id 0
		.amdhsa_next_free_vgpr 1
		.amdhsa_next_free_sgpr 0
		.amdhsa_accum_offset 4
		.amdhsa_reserve_vcc 0
		.amdhsa_reserve_flat_scratch 0
		.amdhsa_float_round_mode_32 0
		.amdhsa_float_round_mode_16_64 0
		.amdhsa_float_denorm_mode_32 3
		.amdhsa_float_denorm_mode_16_64 3
		.amdhsa_dx10_clamp 1
		.amdhsa_ieee_mode 1
		.amdhsa_fp16_overflow 0
		.amdhsa_tg_split 0
		.amdhsa_exception_fp_ieee_invalid_op 0
		.amdhsa_exception_fp_denorm_src 0
		.amdhsa_exception_fp_ieee_div_zero 0
		.amdhsa_exception_fp_ieee_overflow 0
		.amdhsa_exception_fp_ieee_underflow 0
		.amdhsa_exception_fp_ieee_inexact 0
		.amdhsa_exception_int_div_zero 0
	.end_amdhsa_kernel
	.section	.text._ZN7rocprim17ROCPRIM_400000_NS6detail17trampoline_kernelINS0_14default_configENS1_27scan_by_key_config_selectorIssEEZZNS1_16scan_by_key_implILNS1_25lookback_scan_determinismE0ELb0ES3_N6thrust23THRUST_200600_302600_NS6detail15normal_iteratorINS9_10device_ptrIsEEEESE_SE_sNS9_10multipliesIsEENS9_8equal_toIsEEsEE10hipError_tPvRmT2_T3_T4_T5_mT6_T7_P12ihipStream_tbENKUlT_T0_E_clISt17integral_constantIbLb0EESY_IbLb1EEEEDaSU_SV_EUlSU_E_NS1_11comp_targetILNS1_3genE8ELNS1_11target_archE1030ELNS1_3gpuE2ELNS1_3repE0EEENS1_30default_config_static_selectorELNS0_4arch9wavefront6targetE1EEEvT1_,"axG",@progbits,_ZN7rocprim17ROCPRIM_400000_NS6detail17trampoline_kernelINS0_14default_configENS1_27scan_by_key_config_selectorIssEEZZNS1_16scan_by_key_implILNS1_25lookback_scan_determinismE0ELb0ES3_N6thrust23THRUST_200600_302600_NS6detail15normal_iteratorINS9_10device_ptrIsEEEESE_SE_sNS9_10multipliesIsEENS9_8equal_toIsEEsEE10hipError_tPvRmT2_T3_T4_T5_mT6_T7_P12ihipStream_tbENKUlT_T0_E_clISt17integral_constantIbLb0EESY_IbLb1EEEEDaSU_SV_EUlSU_E_NS1_11comp_targetILNS1_3genE8ELNS1_11target_archE1030ELNS1_3gpuE2ELNS1_3repE0EEENS1_30default_config_static_selectorELNS0_4arch9wavefront6targetE1EEEvT1_,comdat
.Lfunc_end316:
	.size	_ZN7rocprim17ROCPRIM_400000_NS6detail17trampoline_kernelINS0_14default_configENS1_27scan_by_key_config_selectorIssEEZZNS1_16scan_by_key_implILNS1_25lookback_scan_determinismE0ELb0ES3_N6thrust23THRUST_200600_302600_NS6detail15normal_iteratorINS9_10device_ptrIsEEEESE_SE_sNS9_10multipliesIsEENS9_8equal_toIsEEsEE10hipError_tPvRmT2_T3_T4_T5_mT6_T7_P12ihipStream_tbENKUlT_T0_E_clISt17integral_constantIbLb0EESY_IbLb1EEEEDaSU_SV_EUlSU_E_NS1_11comp_targetILNS1_3genE8ELNS1_11target_archE1030ELNS1_3gpuE2ELNS1_3repE0EEENS1_30default_config_static_selectorELNS0_4arch9wavefront6targetE1EEEvT1_, .Lfunc_end316-_ZN7rocprim17ROCPRIM_400000_NS6detail17trampoline_kernelINS0_14default_configENS1_27scan_by_key_config_selectorIssEEZZNS1_16scan_by_key_implILNS1_25lookback_scan_determinismE0ELb0ES3_N6thrust23THRUST_200600_302600_NS6detail15normal_iteratorINS9_10device_ptrIsEEEESE_SE_sNS9_10multipliesIsEENS9_8equal_toIsEEsEE10hipError_tPvRmT2_T3_T4_T5_mT6_T7_P12ihipStream_tbENKUlT_T0_E_clISt17integral_constantIbLb0EESY_IbLb1EEEEDaSU_SV_EUlSU_E_NS1_11comp_targetILNS1_3genE8ELNS1_11target_archE1030ELNS1_3gpuE2ELNS1_3repE0EEENS1_30default_config_static_selectorELNS0_4arch9wavefront6targetE1EEEvT1_
                                        ; -- End function
	.section	.AMDGPU.csdata,"",@progbits
; Kernel info:
; codeLenInByte = 0
; NumSgprs: 4
; NumVgprs: 0
; NumAgprs: 0
; TotalNumVgprs: 0
; ScratchSize: 0
; MemoryBound: 0
; FloatMode: 240
; IeeeMode: 1
; LDSByteSize: 0 bytes/workgroup (compile time only)
; SGPRBlocks: 0
; VGPRBlocks: 0
; NumSGPRsForWavesPerEU: 4
; NumVGPRsForWavesPerEU: 1
; AccumOffset: 4
; Occupancy: 8
; WaveLimiterHint : 0
; COMPUTE_PGM_RSRC2:SCRATCH_EN: 0
; COMPUTE_PGM_RSRC2:USER_SGPR: 6
; COMPUTE_PGM_RSRC2:TRAP_HANDLER: 0
; COMPUTE_PGM_RSRC2:TGID_X_EN: 1
; COMPUTE_PGM_RSRC2:TGID_Y_EN: 0
; COMPUTE_PGM_RSRC2:TGID_Z_EN: 0
; COMPUTE_PGM_RSRC2:TIDIG_COMP_CNT: 0
; COMPUTE_PGM_RSRC3_GFX90A:ACCUM_OFFSET: 0
; COMPUTE_PGM_RSRC3_GFX90A:TG_SPLIT: 0
	.section	.text._ZN7rocprim17ROCPRIM_400000_NS6detail17trampoline_kernelINS0_14default_configENS1_27scan_by_key_config_selectorIssEEZZNS1_16scan_by_key_implILNS1_25lookback_scan_determinismE0ELb0ES3_N6thrust23THRUST_200600_302600_NS6detail15normal_iteratorINS9_10device_ptrIsEEEESE_SE_sNS9_4plusIvEENS9_8equal_toIsEEsEE10hipError_tPvRmT2_T3_T4_T5_mT6_T7_P12ihipStream_tbENKUlT_T0_E_clISt17integral_constantIbLb0EESZ_EEDaSU_SV_EUlSU_E_NS1_11comp_targetILNS1_3genE0ELNS1_11target_archE4294967295ELNS1_3gpuE0ELNS1_3repE0EEENS1_30default_config_static_selectorELNS0_4arch9wavefront6targetE1EEEvT1_,"axG",@progbits,_ZN7rocprim17ROCPRIM_400000_NS6detail17trampoline_kernelINS0_14default_configENS1_27scan_by_key_config_selectorIssEEZZNS1_16scan_by_key_implILNS1_25lookback_scan_determinismE0ELb0ES3_N6thrust23THRUST_200600_302600_NS6detail15normal_iteratorINS9_10device_ptrIsEEEESE_SE_sNS9_4plusIvEENS9_8equal_toIsEEsEE10hipError_tPvRmT2_T3_T4_T5_mT6_T7_P12ihipStream_tbENKUlT_T0_E_clISt17integral_constantIbLb0EESZ_EEDaSU_SV_EUlSU_E_NS1_11comp_targetILNS1_3genE0ELNS1_11target_archE4294967295ELNS1_3gpuE0ELNS1_3repE0EEENS1_30default_config_static_selectorELNS0_4arch9wavefront6targetE1EEEvT1_,comdat
	.protected	_ZN7rocprim17ROCPRIM_400000_NS6detail17trampoline_kernelINS0_14default_configENS1_27scan_by_key_config_selectorIssEEZZNS1_16scan_by_key_implILNS1_25lookback_scan_determinismE0ELb0ES3_N6thrust23THRUST_200600_302600_NS6detail15normal_iteratorINS9_10device_ptrIsEEEESE_SE_sNS9_4plusIvEENS9_8equal_toIsEEsEE10hipError_tPvRmT2_T3_T4_T5_mT6_T7_P12ihipStream_tbENKUlT_T0_E_clISt17integral_constantIbLb0EESZ_EEDaSU_SV_EUlSU_E_NS1_11comp_targetILNS1_3genE0ELNS1_11target_archE4294967295ELNS1_3gpuE0ELNS1_3repE0EEENS1_30default_config_static_selectorELNS0_4arch9wavefront6targetE1EEEvT1_ ; -- Begin function _ZN7rocprim17ROCPRIM_400000_NS6detail17trampoline_kernelINS0_14default_configENS1_27scan_by_key_config_selectorIssEEZZNS1_16scan_by_key_implILNS1_25lookback_scan_determinismE0ELb0ES3_N6thrust23THRUST_200600_302600_NS6detail15normal_iteratorINS9_10device_ptrIsEEEESE_SE_sNS9_4plusIvEENS9_8equal_toIsEEsEE10hipError_tPvRmT2_T3_T4_T5_mT6_T7_P12ihipStream_tbENKUlT_T0_E_clISt17integral_constantIbLb0EESZ_EEDaSU_SV_EUlSU_E_NS1_11comp_targetILNS1_3genE0ELNS1_11target_archE4294967295ELNS1_3gpuE0ELNS1_3repE0EEENS1_30default_config_static_selectorELNS0_4arch9wavefront6targetE1EEEvT1_
	.globl	_ZN7rocprim17ROCPRIM_400000_NS6detail17trampoline_kernelINS0_14default_configENS1_27scan_by_key_config_selectorIssEEZZNS1_16scan_by_key_implILNS1_25lookback_scan_determinismE0ELb0ES3_N6thrust23THRUST_200600_302600_NS6detail15normal_iteratorINS9_10device_ptrIsEEEESE_SE_sNS9_4plusIvEENS9_8equal_toIsEEsEE10hipError_tPvRmT2_T3_T4_T5_mT6_T7_P12ihipStream_tbENKUlT_T0_E_clISt17integral_constantIbLb0EESZ_EEDaSU_SV_EUlSU_E_NS1_11comp_targetILNS1_3genE0ELNS1_11target_archE4294967295ELNS1_3gpuE0ELNS1_3repE0EEENS1_30default_config_static_selectorELNS0_4arch9wavefront6targetE1EEEvT1_
	.p2align	8
	.type	_ZN7rocprim17ROCPRIM_400000_NS6detail17trampoline_kernelINS0_14default_configENS1_27scan_by_key_config_selectorIssEEZZNS1_16scan_by_key_implILNS1_25lookback_scan_determinismE0ELb0ES3_N6thrust23THRUST_200600_302600_NS6detail15normal_iteratorINS9_10device_ptrIsEEEESE_SE_sNS9_4plusIvEENS9_8equal_toIsEEsEE10hipError_tPvRmT2_T3_T4_T5_mT6_T7_P12ihipStream_tbENKUlT_T0_E_clISt17integral_constantIbLb0EESZ_EEDaSU_SV_EUlSU_E_NS1_11comp_targetILNS1_3genE0ELNS1_11target_archE4294967295ELNS1_3gpuE0ELNS1_3repE0EEENS1_30default_config_static_selectorELNS0_4arch9wavefront6targetE1EEEvT1_,@function
_ZN7rocprim17ROCPRIM_400000_NS6detail17trampoline_kernelINS0_14default_configENS1_27scan_by_key_config_selectorIssEEZZNS1_16scan_by_key_implILNS1_25lookback_scan_determinismE0ELb0ES3_N6thrust23THRUST_200600_302600_NS6detail15normal_iteratorINS9_10device_ptrIsEEEESE_SE_sNS9_4plusIvEENS9_8equal_toIsEEsEE10hipError_tPvRmT2_T3_T4_T5_mT6_T7_P12ihipStream_tbENKUlT_T0_E_clISt17integral_constantIbLb0EESZ_EEDaSU_SV_EUlSU_E_NS1_11comp_targetILNS1_3genE0ELNS1_11target_archE4294967295ELNS1_3gpuE0ELNS1_3repE0EEENS1_30default_config_static_selectorELNS0_4arch9wavefront6targetE1EEEvT1_: ; @_ZN7rocprim17ROCPRIM_400000_NS6detail17trampoline_kernelINS0_14default_configENS1_27scan_by_key_config_selectorIssEEZZNS1_16scan_by_key_implILNS1_25lookback_scan_determinismE0ELb0ES3_N6thrust23THRUST_200600_302600_NS6detail15normal_iteratorINS9_10device_ptrIsEEEESE_SE_sNS9_4plusIvEENS9_8equal_toIsEEsEE10hipError_tPvRmT2_T3_T4_T5_mT6_T7_P12ihipStream_tbENKUlT_T0_E_clISt17integral_constantIbLb0EESZ_EEDaSU_SV_EUlSU_E_NS1_11comp_targetILNS1_3genE0ELNS1_11target_archE4294967295ELNS1_3gpuE0ELNS1_3repE0EEENS1_30default_config_static_selectorELNS0_4arch9wavefront6targetE1EEEvT1_
; %bb.0:
	.section	.rodata,"a",@progbits
	.p2align	6, 0x0
	.amdhsa_kernel _ZN7rocprim17ROCPRIM_400000_NS6detail17trampoline_kernelINS0_14default_configENS1_27scan_by_key_config_selectorIssEEZZNS1_16scan_by_key_implILNS1_25lookback_scan_determinismE0ELb0ES3_N6thrust23THRUST_200600_302600_NS6detail15normal_iteratorINS9_10device_ptrIsEEEESE_SE_sNS9_4plusIvEENS9_8equal_toIsEEsEE10hipError_tPvRmT2_T3_T4_T5_mT6_T7_P12ihipStream_tbENKUlT_T0_E_clISt17integral_constantIbLb0EESZ_EEDaSU_SV_EUlSU_E_NS1_11comp_targetILNS1_3genE0ELNS1_11target_archE4294967295ELNS1_3gpuE0ELNS1_3repE0EEENS1_30default_config_static_selectorELNS0_4arch9wavefront6targetE1EEEvT1_
		.amdhsa_group_segment_fixed_size 0
		.amdhsa_private_segment_fixed_size 0
		.amdhsa_kernarg_size 112
		.amdhsa_user_sgpr_count 6
		.amdhsa_user_sgpr_private_segment_buffer 1
		.amdhsa_user_sgpr_dispatch_ptr 0
		.amdhsa_user_sgpr_queue_ptr 0
		.amdhsa_user_sgpr_kernarg_segment_ptr 1
		.amdhsa_user_sgpr_dispatch_id 0
		.amdhsa_user_sgpr_flat_scratch_init 0
		.amdhsa_user_sgpr_kernarg_preload_length 0
		.amdhsa_user_sgpr_kernarg_preload_offset 0
		.amdhsa_user_sgpr_private_segment_size 0
		.amdhsa_uses_dynamic_stack 0
		.amdhsa_system_sgpr_private_segment_wavefront_offset 0
		.amdhsa_system_sgpr_workgroup_id_x 1
		.amdhsa_system_sgpr_workgroup_id_y 0
		.amdhsa_system_sgpr_workgroup_id_z 0
		.amdhsa_system_sgpr_workgroup_info 0
		.amdhsa_system_vgpr_workitem_id 0
		.amdhsa_next_free_vgpr 1
		.amdhsa_next_free_sgpr 0
		.amdhsa_accum_offset 4
		.amdhsa_reserve_vcc 0
		.amdhsa_reserve_flat_scratch 0
		.amdhsa_float_round_mode_32 0
		.amdhsa_float_round_mode_16_64 0
		.amdhsa_float_denorm_mode_32 3
		.amdhsa_float_denorm_mode_16_64 3
		.amdhsa_dx10_clamp 1
		.amdhsa_ieee_mode 1
		.amdhsa_fp16_overflow 0
		.amdhsa_tg_split 0
		.amdhsa_exception_fp_ieee_invalid_op 0
		.amdhsa_exception_fp_denorm_src 0
		.amdhsa_exception_fp_ieee_div_zero 0
		.amdhsa_exception_fp_ieee_overflow 0
		.amdhsa_exception_fp_ieee_underflow 0
		.amdhsa_exception_fp_ieee_inexact 0
		.amdhsa_exception_int_div_zero 0
	.end_amdhsa_kernel
	.section	.text._ZN7rocprim17ROCPRIM_400000_NS6detail17trampoline_kernelINS0_14default_configENS1_27scan_by_key_config_selectorIssEEZZNS1_16scan_by_key_implILNS1_25lookback_scan_determinismE0ELb0ES3_N6thrust23THRUST_200600_302600_NS6detail15normal_iteratorINS9_10device_ptrIsEEEESE_SE_sNS9_4plusIvEENS9_8equal_toIsEEsEE10hipError_tPvRmT2_T3_T4_T5_mT6_T7_P12ihipStream_tbENKUlT_T0_E_clISt17integral_constantIbLb0EESZ_EEDaSU_SV_EUlSU_E_NS1_11comp_targetILNS1_3genE0ELNS1_11target_archE4294967295ELNS1_3gpuE0ELNS1_3repE0EEENS1_30default_config_static_selectorELNS0_4arch9wavefront6targetE1EEEvT1_,"axG",@progbits,_ZN7rocprim17ROCPRIM_400000_NS6detail17trampoline_kernelINS0_14default_configENS1_27scan_by_key_config_selectorIssEEZZNS1_16scan_by_key_implILNS1_25lookback_scan_determinismE0ELb0ES3_N6thrust23THRUST_200600_302600_NS6detail15normal_iteratorINS9_10device_ptrIsEEEESE_SE_sNS9_4plusIvEENS9_8equal_toIsEEsEE10hipError_tPvRmT2_T3_T4_T5_mT6_T7_P12ihipStream_tbENKUlT_T0_E_clISt17integral_constantIbLb0EESZ_EEDaSU_SV_EUlSU_E_NS1_11comp_targetILNS1_3genE0ELNS1_11target_archE4294967295ELNS1_3gpuE0ELNS1_3repE0EEENS1_30default_config_static_selectorELNS0_4arch9wavefront6targetE1EEEvT1_,comdat
.Lfunc_end317:
	.size	_ZN7rocprim17ROCPRIM_400000_NS6detail17trampoline_kernelINS0_14default_configENS1_27scan_by_key_config_selectorIssEEZZNS1_16scan_by_key_implILNS1_25lookback_scan_determinismE0ELb0ES3_N6thrust23THRUST_200600_302600_NS6detail15normal_iteratorINS9_10device_ptrIsEEEESE_SE_sNS9_4plusIvEENS9_8equal_toIsEEsEE10hipError_tPvRmT2_T3_T4_T5_mT6_T7_P12ihipStream_tbENKUlT_T0_E_clISt17integral_constantIbLb0EESZ_EEDaSU_SV_EUlSU_E_NS1_11comp_targetILNS1_3genE0ELNS1_11target_archE4294967295ELNS1_3gpuE0ELNS1_3repE0EEENS1_30default_config_static_selectorELNS0_4arch9wavefront6targetE1EEEvT1_, .Lfunc_end317-_ZN7rocprim17ROCPRIM_400000_NS6detail17trampoline_kernelINS0_14default_configENS1_27scan_by_key_config_selectorIssEEZZNS1_16scan_by_key_implILNS1_25lookback_scan_determinismE0ELb0ES3_N6thrust23THRUST_200600_302600_NS6detail15normal_iteratorINS9_10device_ptrIsEEEESE_SE_sNS9_4plusIvEENS9_8equal_toIsEEsEE10hipError_tPvRmT2_T3_T4_T5_mT6_T7_P12ihipStream_tbENKUlT_T0_E_clISt17integral_constantIbLb0EESZ_EEDaSU_SV_EUlSU_E_NS1_11comp_targetILNS1_3genE0ELNS1_11target_archE4294967295ELNS1_3gpuE0ELNS1_3repE0EEENS1_30default_config_static_selectorELNS0_4arch9wavefront6targetE1EEEvT1_
                                        ; -- End function
	.section	.AMDGPU.csdata,"",@progbits
; Kernel info:
; codeLenInByte = 0
; NumSgprs: 4
; NumVgprs: 0
; NumAgprs: 0
; TotalNumVgprs: 0
; ScratchSize: 0
; MemoryBound: 0
; FloatMode: 240
; IeeeMode: 1
; LDSByteSize: 0 bytes/workgroup (compile time only)
; SGPRBlocks: 0
; VGPRBlocks: 0
; NumSGPRsForWavesPerEU: 4
; NumVGPRsForWavesPerEU: 1
; AccumOffset: 4
; Occupancy: 8
; WaveLimiterHint : 0
; COMPUTE_PGM_RSRC2:SCRATCH_EN: 0
; COMPUTE_PGM_RSRC2:USER_SGPR: 6
; COMPUTE_PGM_RSRC2:TRAP_HANDLER: 0
; COMPUTE_PGM_RSRC2:TGID_X_EN: 1
; COMPUTE_PGM_RSRC2:TGID_Y_EN: 0
; COMPUTE_PGM_RSRC2:TGID_Z_EN: 0
; COMPUTE_PGM_RSRC2:TIDIG_COMP_CNT: 0
; COMPUTE_PGM_RSRC3_GFX90A:ACCUM_OFFSET: 0
; COMPUTE_PGM_RSRC3_GFX90A:TG_SPLIT: 0
	.section	.text._ZN7rocprim17ROCPRIM_400000_NS6detail17trampoline_kernelINS0_14default_configENS1_27scan_by_key_config_selectorIssEEZZNS1_16scan_by_key_implILNS1_25lookback_scan_determinismE0ELb0ES3_N6thrust23THRUST_200600_302600_NS6detail15normal_iteratorINS9_10device_ptrIsEEEESE_SE_sNS9_4plusIvEENS9_8equal_toIsEEsEE10hipError_tPvRmT2_T3_T4_T5_mT6_T7_P12ihipStream_tbENKUlT_T0_E_clISt17integral_constantIbLb0EESZ_EEDaSU_SV_EUlSU_E_NS1_11comp_targetILNS1_3genE10ELNS1_11target_archE1201ELNS1_3gpuE5ELNS1_3repE0EEENS1_30default_config_static_selectorELNS0_4arch9wavefront6targetE1EEEvT1_,"axG",@progbits,_ZN7rocprim17ROCPRIM_400000_NS6detail17trampoline_kernelINS0_14default_configENS1_27scan_by_key_config_selectorIssEEZZNS1_16scan_by_key_implILNS1_25lookback_scan_determinismE0ELb0ES3_N6thrust23THRUST_200600_302600_NS6detail15normal_iteratorINS9_10device_ptrIsEEEESE_SE_sNS9_4plusIvEENS9_8equal_toIsEEsEE10hipError_tPvRmT2_T3_T4_T5_mT6_T7_P12ihipStream_tbENKUlT_T0_E_clISt17integral_constantIbLb0EESZ_EEDaSU_SV_EUlSU_E_NS1_11comp_targetILNS1_3genE10ELNS1_11target_archE1201ELNS1_3gpuE5ELNS1_3repE0EEENS1_30default_config_static_selectorELNS0_4arch9wavefront6targetE1EEEvT1_,comdat
	.protected	_ZN7rocprim17ROCPRIM_400000_NS6detail17trampoline_kernelINS0_14default_configENS1_27scan_by_key_config_selectorIssEEZZNS1_16scan_by_key_implILNS1_25lookback_scan_determinismE0ELb0ES3_N6thrust23THRUST_200600_302600_NS6detail15normal_iteratorINS9_10device_ptrIsEEEESE_SE_sNS9_4plusIvEENS9_8equal_toIsEEsEE10hipError_tPvRmT2_T3_T4_T5_mT6_T7_P12ihipStream_tbENKUlT_T0_E_clISt17integral_constantIbLb0EESZ_EEDaSU_SV_EUlSU_E_NS1_11comp_targetILNS1_3genE10ELNS1_11target_archE1201ELNS1_3gpuE5ELNS1_3repE0EEENS1_30default_config_static_selectorELNS0_4arch9wavefront6targetE1EEEvT1_ ; -- Begin function _ZN7rocprim17ROCPRIM_400000_NS6detail17trampoline_kernelINS0_14default_configENS1_27scan_by_key_config_selectorIssEEZZNS1_16scan_by_key_implILNS1_25lookback_scan_determinismE0ELb0ES3_N6thrust23THRUST_200600_302600_NS6detail15normal_iteratorINS9_10device_ptrIsEEEESE_SE_sNS9_4plusIvEENS9_8equal_toIsEEsEE10hipError_tPvRmT2_T3_T4_T5_mT6_T7_P12ihipStream_tbENKUlT_T0_E_clISt17integral_constantIbLb0EESZ_EEDaSU_SV_EUlSU_E_NS1_11comp_targetILNS1_3genE10ELNS1_11target_archE1201ELNS1_3gpuE5ELNS1_3repE0EEENS1_30default_config_static_selectorELNS0_4arch9wavefront6targetE1EEEvT1_
	.globl	_ZN7rocprim17ROCPRIM_400000_NS6detail17trampoline_kernelINS0_14default_configENS1_27scan_by_key_config_selectorIssEEZZNS1_16scan_by_key_implILNS1_25lookback_scan_determinismE0ELb0ES3_N6thrust23THRUST_200600_302600_NS6detail15normal_iteratorINS9_10device_ptrIsEEEESE_SE_sNS9_4plusIvEENS9_8equal_toIsEEsEE10hipError_tPvRmT2_T3_T4_T5_mT6_T7_P12ihipStream_tbENKUlT_T0_E_clISt17integral_constantIbLb0EESZ_EEDaSU_SV_EUlSU_E_NS1_11comp_targetILNS1_3genE10ELNS1_11target_archE1201ELNS1_3gpuE5ELNS1_3repE0EEENS1_30default_config_static_selectorELNS0_4arch9wavefront6targetE1EEEvT1_
	.p2align	8
	.type	_ZN7rocprim17ROCPRIM_400000_NS6detail17trampoline_kernelINS0_14default_configENS1_27scan_by_key_config_selectorIssEEZZNS1_16scan_by_key_implILNS1_25lookback_scan_determinismE0ELb0ES3_N6thrust23THRUST_200600_302600_NS6detail15normal_iteratorINS9_10device_ptrIsEEEESE_SE_sNS9_4plusIvEENS9_8equal_toIsEEsEE10hipError_tPvRmT2_T3_T4_T5_mT6_T7_P12ihipStream_tbENKUlT_T0_E_clISt17integral_constantIbLb0EESZ_EEDaSU_SV_EUlSU_E_NS1_11comp_targetILNS1_3genE10ELNS1_11target_archE1201ELNS1_3gpuE5ELNS1_3repE0EEENS1_30default_config_static_selectorELNS0_4arch9wavefront6targetE1EEEvT1_,@function
_ZN7rocprim17ROCPRIM_400000_NS6detail17trampoline_kernelINS0_14default_configENS1_27scan_by_key_config_selectorIssEEZZNS1_16scan_by_key_implILNS1_25lookback_scan_determinismE0ELb0ES3_N6thrust23THRUST_200600_302600_NS6detail15normal_iteratorINS9_10device_ptrIsEEEESE_SE_sNS9_4plusIvEENS9_8equal_toIsEEsEE10hipError_tPvRmT2_T3_T4_T5_mT6_T7_P12ihipStream_tbENKUlT_T0_E_clISt17integral_constantIbLb0EESZ_EEDaSU_SV_EUlSU_E_NS1_11comp_targetILNS1_3genE10ELNS1_11target_archE1201ELNS1_3gpuE5ELNS1_3repE0EEENS1_30default_config_static_selectorELNS0_4arch9wavefront6targetE1EEEvT1_: ; @_ZN7rocprim17ROCPRIM_400000_NS6detail17trampoline_kernelINS0_14default_configENS1_27scan_by_key_config_selectorIssEEZZNS1_16scan_by_key_implILNS1_25lookback_scan_determinismE0ELb0ES3_N6thrust23THRUST_200600_302600_NS6detail15normal_iteratorINS9_10device_ptrIsEEEESE_SE_sNS9_4plusIvEENS9_8equal_toIsEEsEE10hipError_tPvRmT2_T3_T4_T5_mT6_T7_P12ihipStream_tbENKUlT_T0_E_clISt17integral_constantIbLb0EESZ_EEDaSU_SV_EUlSU_E_NS1_11comp_targetILNS1_3genE10ELNS1_11target_archE1201ELNS1_3gpuE5ELNS1_3repE0EEENS1_30default_config_static_selectorELNS0_4arch9wavefront6targetE1EEEvT1_
; %bb.0:
	.section	.rodata,"a",@progbits
	.p2align	6, 0x0
	.amdhsa_kernel _ZN7rocprim17ROCPRIM_400000_NS6detail17trampoline_kernelINS0_14default_configENS1_27scan_by_key_config_selectorIssEEZZNS1_16scan_by_key_implILNS1_25lookback_scan_determinismE0ELb0ES3_N6thrust23THRUST_200600_302600_NS6detail15normal_iteratorINS9_10device_ptrIsEEEESE_SE_sNS9_4plusIvEENS9_8equal_toIsEEsEE10hipError_tPvRmT2_T3_T4_T5_mT6_T7_P12ihipStream_tbENKUlT_T0_E_clISt17integral_constantIbLb0EESZ_EEDaSU_SV_EUlSU_E_NS1_11comp_targetILNS1_3genE10ELNS1_11target_archE1201ELNS1_3gpuE5ELNS1_3repE0EEENS1_30default_config_static_selectorELNS0_4arch9wavefront6targetE1EEEvT1_
		.amdhsa_group_segment_fixed_size 0
		.amdhsa_private_segment_fixed_size 0
		.amdhsa_kernarg_size 112
		.amdhsa_user_sgpr_count 6
		.amdhsa_user_sgpr_private_segment_buffer 1
		.amdhsa_user_sgpr_dispatch_ptr 0
		.amdhsa_user_sgpr_queue_ptr 0
		.amdhsa_user_sgpr_kernarg_segment_ptr 1
		.amdhsa_user_sgpr_dispatch_id 0
		.amdhsa_user_sgpr_flat_scratch_init 0
		.amdhsa_user_sgpr_kernarg_preload_length 0
		.amdhsa_user_sgpr_kernarg_preload_offset 0
		.amdhsa_user_sgpr_private_segment_size 0
		.amdhsa_uses_dynamic_stack 0
		.amdhsa_system_sgpr_private_segment_wavefront_offset 0
		.amdhsa_system_sgpr_workgroup_id_x 1
		.amdhsa_system_sgpr_workgroup_id_y 0
		.amdhsa_system_sgpr_workgroup_id_z 0
		.amdhsa_system_sgpr_workgroup_info 0
		.amdhsa_system_vgpr_workitem_id 0
		.amdhsa_next_free_vgpr 1
		.amdhsa_next_free_sgpr 0
		.amdhsa_accum_offset 4
		.amdhsa_reserve_vcc 0
		.amdhsa_reserve_flat_scratch 0
		.amdhsa_float_round_mode_32 0
		.amdhsa_float_round_mode_16_64 0
		.amdhsa_float_denorm_mode_32 3
		.amdhsa_float_denorm_mode_16_64 3
		.amdhsa_dx10_clamp 1
		.amdhsa_ieee_mode 1
		.amdhsa_fp16_overflow 0
		.amdhsa_tg_split 0
		.amdhsa_exception_fp_ieee_invalid_op 0
		.amdhsa_exception_fp_denorm_src 0
		.amdhsa_exception_fp_ieee_div_zero 0
		.amdhsa_exception_fp_ieee_overflow 0
		.amdhsa_exception_fp_ieee_underflow 0
		.amdhsa_exception_fp_ieee_inexact 0
		.amdhsa_exception_int_div_zero 0
	.end_amdhsa_kernel
	.section	.text._ZN7rocprim17ROCPRIM_400000_NS6detail17trampoline_kernelINS0_14default_configENS1_27scan_by_key_config_selectorIssEEZZNS1_16scan_by_key_implILNS1_25lookback_scan_determinismE0ELb0ES3_N6thrust23THRUST_200600_302600_NS6detail15normal_iteratorINS9_10device_ptrIsEEEESE_SE_sNS9_4plusIvEENS9_8equal_toIsEEsEE10hipError_tPvRmT2_T3_T4_T5_mT6_T7_P12ihipStream_tbENKUlT_T0_E_clISt17integral_constantIbLb0EESZ_EEDaSU_SV_EUlSU_E_NS1_11comp_targetILNS1_3genE10ELNS1_11target_archE1201ELNS1_3gpuE5ELNS1_3repE0EEENS1_30default_config_static_selectorELNS0_4arch9wavefront6targetE1EEEvT1_,"axG",@progbits,_ZN7rocprim17ROCPRIM_400000_NS6detail17trampoline_kernelINS0_14default_configENS1_27scan_by_key_config_selectorIssEEZZNS1_16scan_by_key_implILNS1_25lookback_scan_determinismE0ELb0ES3_N6thrust23THRUST_200600_302600_NS6detail15normal_iteratorINS9_10device_ptrIsEEEESE_SE_sNS9_4plusIvEENS9_8equal_toIsEEsEE10hipError_tPvRmT2_T3_T4_T5_mT6_T7_P12ihipStream_tbENKUlT_T0_E_clISt17integral_constantIbLb0EESZ_EEDaSU_SV_EUlSU_E_NS1_11comp_targetILNS1_3genE10ELNS1_11target_archE1201ELNS1_3gpuE5ELNS1_3repE0EEENS1_30default_config_static_selectorELNS0_4arch9wavefront6targetE1EEEvT1_,comdat
.Lfunc_end318:
	.size	_ZN7rocprim17ROCPRIM_400000_NS6detail17trampoline_kernelINS0_14default_configENS1_27scan_by_key_config_selectorIssEEZZNS1_16scan_by_key_implILNS1_25lookback_scan_determinismE0ELb0ES3_N6thrust23THRUST_200600_302600_NS6detail15normal_iteratorINS9_10device_ptrIsEEEESE_SE_sNS9_4plusIvEENS9_8equal_toIsEEsEE10hipError_tPvRmT2_T3_T4_T5_mT6_T7_P12ihipStream_tbENKUlT_T0_E_clISt17integral_constantIbLb0EESZ_EEDaSU_SV_EUlSU_E_NS1_11comp_targetILNS1_3genE10ELNS1_11target_archE1201ELNS1_3gpuE5ELNS1_3repE0EEENS1_30default_config_static_selectorELNS0_4arch9wavefront6targetE1EEEvT1_, .Lfunc_end318-_ZN7rocprim17ROCPRIM_400000_NS6detail17trampoline_kernelINS0_14default_configENS1_27scan_by_key_config_selectorIssEEZZNS1_16scan_by_key_implILNS1_25lookback_scan_determinismE0ELb0ES3_N6thrust23THRUST_200600_302600_NS6detail15normal_iteratorINS9_10device_ptrIsEEEESE_SE_sNS9_4plusIvEENS9_8equal_toIsEEsEE10hipError_tPvRmT2_T3_T4_T5_mT6_T7_P12ihipStream_tbENKUlT_T0_E_clISt17integral_constantIbLb0EESZ_EEDaSU_SV_EUlSU_E_NS1_11comp_targetILNS1_3genE10ELNS1_11target_archE1201ELNS1_3gpuE5ELNS1_3repE0EEENS1_30default_config_static_selectorELNS0_4arch9wavefront6targetE1EEEvT1_
                                        ; -- End function
	.section	.AMDGPU.csdata,"",@progbits
; Kernel info:
; codeLenInByte = 0
; NumSgprs: 4
; NumVgprs: 0
; NumAgprs: 0
; TotalNumVgprs: 0
; ScratchSize: 0
; MemoryBound: 0
; FloatMode: 240
; IeeeMode: 1
; LDSByteSize: 0 bytes/workgroup (compile time only)
; SGPRBlocks: 0
; VGPRBlocks: 0
; NumSGPRsForWavesPerEU: 4
; NumVGPRsForWavesPerEU: 1
; AccumOffset: 4
; Occupancy: 8
; WaveLimiterHint : 0
; COMPUTE_PGM_RSRC2:SCRATCH_EN: 0
; COMPUTE_PGM_RSRC2:USER_SGPR: 6
; COMPUTE_PGM_RSRC2:TRAP_HANDLER: 0
; COMPUTE_PGM_RSRC2:TGID_X_EN: 1
; COMPUTE_PGM_RSRC2:TGID_Y_EN: 0
; COMPUTE_PGM_RSRC2:TGID_Z_EN: 0
; COMPUTE_PGM_RSRC2:TIDIG_COMP_CNT: 0
; COMPUTE_PGM_RSRC3_GFX90A:ACCUM_OFFSET: 0
; COMPUTE_PGM_RSRC3_GFX90A:TG_SPLIT: 0
	.section	.text._ZN7rocprim17ROCPRIM_400000_NS6detail17trampoline_kernelINS0_14default_configENS1_27scan_by_key_config_selectorIssEEZZNS1_16scan_by_key_implILNS1_25lookback_scan_determinismE0ELb0ES3_N6thrust23THRUST_200600_302600_NS6detail15normal_iteratorINS9_10device_ptrIsEEEESE_SE_sNS9_4plusIvEENS9_8equal_toIsEEsEE10hipError_tPvRmT2_T3_T4_T5_mT6_T7_P12ihipStream_tbENKUlT_T0_E_clISt17integral_constantIbLb0EESZ_EEDaSU_SV_EUlSU_E_NS1_11comp_targetILNS1_3genE5ELNS1_11target_archE942ELNS1_3gpuE9ELNS1_3repE0EEENS1_30default_config_static_selectorELNS0_4arch9wavefront6targetE1EEEvT1_,"axG",@progbits,_ZN7rocprim17ROCPRIM_400000_NS6detail17trampoline_kernelINS0_14default_configENS1_27scan_by_key_config_selectorIssEEZZNS1_16scan_by_key_implILNS1_25lookback_scan_determinismE0ELb0ES3_N6thrust23THRUST_200600_302600_NS6detail15normal_iteratorINS9_10device_ptrIsEEEESE_SE_sNS9_4plusIvEENS9_8equal_toIsEEsEE10hipError_tPvRmT2_T3_T4_T5_mT6_T7_P12ihipStream_tbENKUlT_T0_E_clISt17integral_constantIbLb0EESZ_EEDaSU_SV_EUlSU_E_NS1_11comp_targetILNS1_3genE5ELNS1_11target_archE942ELNS1_3gpuE9ELNS1_3repE0EEENS1_30default_config_static_selectorELNS0_4arch9wavefront6targetE1EEEvT1_,comdat
	.protected	_ZN7rocprim17ROCPRIM_400000_NS6detail17trampoline_kernelINS0_14default_configENS1_27scan_by_key_config_selectorIssEEZZNS1_16scan_by_key_implILNS1_25lookback_scan_determinismE0ELb0ES3_N6thrust23THRUST_200600_302600_NS6detail15normal_iteratorINS9_10device_ptrIsEEEESE_SE_sNS9_4plusIvEENS9_8equal_toIsEEsEE10hipError_tPvRmT2_T3_T4_T5_mT6_T7_P12ihipStream_tbENKUlT_T0_E_clISt17integral_constantIbLb0EESZ_EEDaSU_SV_EUlSU_E_NS1_11comp_targetILNS1_3genE5ELNS1_11target_archE942ELNS1_3gpuE9ELNS1_3repE0EEENS1_30default_config_static_selectorELNS0_4arch9wavefront6targetE1EEEvT1_ ; -- Begin function _ZN7rocprim17ROCPRIM_400000_NS6detail17trampoline_kernelINS0_14default_configENS1_27scan_by_key_config_selectorIssEEZZNS1_16scan_by_key_implILNS1_25lookback_scan_determinismE0ELb0ES3_N6thrust23THRUST_200600_302600_NS6detail15normal_iteratorINS9_10device_ptrIsEEEESE_SE_sNS9_4plusIvEENS9_8equal_toIsEEsEE10hipError_tPvRmT2_T3_T4_T5_mT6_T7_P12ihipStream_tbENKUlT_T0_E_clISt17integral_constantIbLb0EESZ_EEDaSU_SV_EUlSU_E_NS1_11comp_targetILNS1_3genE5ELNS1_11target_archE942ELNS1_3gpuE9ELNS1_3repE0EEENS1_30default_config_static_selectorELNS0_4arch9wavefront6targetE1EEEvT1_
	.globl	_ZN7rocprim17ROCPRIM_400000_NS6detail17trampoline_kernelINS0_14default_configENS1_27scan_by_key_config_selectorIssEEZZNS1_16scan_by_key_implILNS1_25lookback_scan_determinismE0ELb0ES3_N6thrust23THRUST_200600_302600_NS6detail15normal_iteratorINS9_10device_ptrIsEEEESE_SE_sNS9_4plusIvEENS9_8equal_toIsEEsEE10hipError_tPvRmT2_T3_T4_T5_mT6_T7_P12ihipStream_tbENKUlT_T0_E_clISt17integral_constantIbLb0EESZ_EEDaSU_SV_EUlSU_E_NS1_11comp_targetILNS1_3genE5ELNS1_11target_archE942ELNS1_3gpuE9ELNS1_3repE0EEENS1_30default_config_static_selectorELNS0_4arch9wavefront6targetE1EEEvT1_
	.p2align	8
	.type	_ZN7rocprim17ROCPRIM_400000_NS6detail17trampoline_kernelINS0_14default_configENS1_27scan_by_key_config_selectorIssEEZZNS1_16scan_by_key_implILNS1_25lookback_scan_determinismE0ELb0ES3_N6thrust23THRUST_200600_302600_NS6detail15normal_iteratorINS9_10device_ptrIsEEEESE_SE_sNS9_4plusIvEENS9_8equal_toIsEEsEE10hipError_tPvRmT2_T3_T4_T5_mT6_T7_P12ihipStream_tbENKUlT_T0_E_clISt17integral_constantIbLb0EESZ_EEDaSU_SV_EUlSU_E_NS1_11comp_targetILNS1_3genE5ELNS1_11target_archE942ELNS1_3gpuE9ELNS1_3repE0EEENS1_30default_config_static_selectorELNS0_4arch9wavefront6targetE1EEEvT1_,@function
_ZN7rocprim17ROCPRIM_400000_NS6detail17trampoline_kernelINS0_14default_configENS1_27scan_by_key_config_selectorIssEEZZNS1_16scan_by_key_implILNS1_25lookback_scan_determinismE0ELb0ES3_N6thrust23THRUST_200600_302600_NS6detail15normal_iteratorINS9_10device_ptrIsEEEESE_SE_sNS9_4plusIvEENS9_8equal_toIsEEsEE10hipError_tPvRmT2_T3_T4_T5_mT6_T7_P12ihipStream_tbENKUlT_T0_E_clISt17integral_constantIbLb0EESZ_EEDaSU_SV_EUlSU_E_NS1_11comp_targetILNS1_3genE5ELNS1_11target_archE942ELNS1_3gpuE9ELNS1_3repE0EEENS1_30default_config_static_selectorELNS0_4arch9wavefront6targetE1EEEvT1_: ; @_ZN7rocprim17ROCPRIM_400000_NS6detail17trampoline_kernelINS0_14default_configENS1_27scan_by_key_config_selectorIssEEZZNS1_16scan_by_key_implILNS1_25lookback_scan_determinismE0ELb0ES3_N6thrust23THRUST_200600_302600_NS6detail15normal_iteratorINS9_10device_ptrIsEEEESE_SE_sNS9_4plusIvEENS9_8equal_toIsEEsEE10hipError_tPvRmT2_T3_T4_T5_mT6_T7_P12ihipStream_tbENKUlT_T0_E_clISt17integral_constantIbLb0EESZ_EEDaSU_SV_EUlSU_E_NS1_11comp_targetILNS1_3genE5ELNS1_11target_archE942ELNS1_3gpuE9ELNS1_3repE0EEENS1_30default_config_static_selectorELNS0_4arch9wavefront6targetE1EEEvT1_
; %bb.0:
	.section	.rodata,"a",@progbits
	.p2align	6, 0x0
	.amdhsa_kernel _ZN7rocprim17ROCPRIM_400000_NS6detail17trampoline_kernelINS0_14default_configENS1_27scan_by_key_config_selectorIssEEZZNS1_16scan_by_key_implILNS1_25lookback_scan_determinismE0ELb0ES3_N6thrust23THRUST_200600_302600_NS6detail15normal_iteratorINS9_10device_ptrIsEEEESE_SE_sNS9_4plusIvEENS9_8equal_toIsEEsEE10hipError_tPvRmT2_T3_T4_T5_mT6_T7_P12ihipStream_tbENKUlT_T0_E_clISt17integral_constantIbLb0EESZ_EEDaSU_SV_EUlSU_E_NS1_11comp_targetILNS1_3genE5ELNS1_11target_archE942ELNS1_3gpuE9ELNS1_3repE0EEENS1_30default_config_static_selectorELNS0_4arch9wavefront6targetE1EEEvT1_
		.amdhsa_group_segment_fixed_size 0
		.amdhsa_private_segment_fixed_size 0
		.amdhsa_kernarg_size 112
		.amdhsa_user_sgpr_count 6
		.amdhsa_user_sgpr_private_segment_buffer 1
		.amdhsa_user_sgpr_dispatch_ptr 0
		.amdhsa_user_sgpr_queue_ptr 0
		.amdhsa_user_sgpr_kernarg_segment_ptr 1
		.amdhsa_user_sgpr_dispatch_id 0
		.amdhsa_user_sgpr_flat_scratch_init 0
		.amdhsa_user_sgpr_kernarg_preload_length 0
		.amdhsa_user_sgpr_kernarg_preload_offset 0
		.amdhsa_user_sgpr_private_segment_size 0
		.amdhsa_uses_dynamic_stack 0
		.amdhsa_system_sgpr_private_segment_wavefront_offset 0
		.amdhsa_system_sgpr_workgroup_id_x 1
		.amdhsa_system_sgpr_workgroup_id_y 0
		.amdhsa_system_sgpr_workgroup_id_z 0
		.amdhsa_system_sgpr_workgroup_info 0
		.amdhsa_system_vgpr_workitem_id 0
		.amdhsa_next_free_vgpr 1
		.amdhsa_next_free_sgpr 0
		.amdhsa_accum_offset 4
		.amdhsa_reserve_vcc 0
		.amdhsa_reserve_flat_scratch 0
		.amdhsa_float_round_mode_32 0
		.amdhsa_float_round_mode_16_64 0
		.amdhsa_float_denorm_mode_32 3
		.amdhsa_float_denorm_mode_16_64 3
		.amdhsa_dx10_clamp 1
		.amdhsa_ieee_mode 1
		.amdhsa_fp16_overflow 0
		.amdhsa_tg_split 0
		.amdhsa_exception_fp_ieee_invalid_op 0
		.amdhsa_exception_fp_denorm_src 0
		.amdhsa_exception_fp_ieee_div_zero 0
		.amdhsa_exception_fp_ieee_overflow 0
		.amdhsa_exception_fp_ieee_underflow 0
		.amdhsa_exception_fp_ieee_inexact 0
		.amdhsa_exception_int_div_zero 0
	.end_amdhsa_kernel
	.section	.text._ZN7rocprim17ROCPRIM_400000_NS6detail17trampoline_kernelINS0_14default_configENS1_27scan_by_key_config_selectorIssEEZZNS1_16scan_by_key_implILNS1_25lookback_scan_determinismE0ELb0ES3_N6thrust23THRUST_200600_302600_NS6detail15normal_iteratorINS9_10device_ptrIsEEEESE_SE_sNS9_4plusIvEENS9_8equal_toIsEEsEE10hipError_tPvRmT2_T3_T4_T5_mT6_T7_P12ihipStream_tbENKUlT_T0_E_clISt17integral_constantIbLb0EESZ_EEDaSU_SV_EUlSU_E_NS1_11comp_targetILNS1_3genE5ELNS1_11target_archE942ELNS1_3gpuE9ELNS1_3repE0EEENS1_30default_config_static_selectorELNS0_4arch9wavefront6targetE1EEEvT1_,"axG",@progbits,_ZN7rocprim17ROCPRIM_400000_NS6detail17trampoline_kernelINS0_14default_configENS1_27scan_by_key_config_selectorIssEEZZNS1_16scan_by_key_implILNS1_25lookback_scan_determinismE0ELb0ES3_N6thrust23THRUST_200600_302600_NS6detail15normal_iteratorINS9_10device_ptrIsEEEESE_SE_sNS9_4plusIvEENS9_8equal_toIsEEsEE10hipError_tPvRmT2_T3_T4_T5_mT6_T7_P12ihipStream_tbENKUlT_T0_E_clISt17integral_constantIbLb0EESZ_EEDaSU_SV_EUlSU_E_NS1_11comp_targetILNS1_3genE5ELNS1_11target_archE942ELNS1_3gpuE9ELNS1_3repE0EEENS1_30default_config_static_selectorELNS0_4arch9wavefront6targetE1EEEvT1_,comdat
.Lfunc_end319:
	.size	_ZN7rocprim17ROCPRIM_400000_NS6detail17trampoline_kernelINS0_14default_configENS1_27scan_by_key_config_selectorIssEEZZNS1_16scan_by_key_implILNS1_25lookback_scan_determinismE0ELb0ES3_N6thrust23THRUST_200600_302600_NS6detail15normal_iteratorINS9_10device_ptrIsEEEESE_SE_sNS9_4plusIvEENS9_8equal_toIsEEsEE10hipError_tPvRmT2_T3_T4_T5_mT6_T7_P12ihipStream_tbENKUlT_T0_E_clISt17integral_constantIbLb0EESZ_EEDaSU_SV_EUlSU_E_NS1_11comp_targetILNS1_3genE5ELNS1_11target_archE942ELNS1_3gpuE9ELNS1_3repE0EEENS1_30default_config_static_selectorELNS0_4arch9wavefront6targetE1EEEvT1_, .Lfunc_end319-_ZN7rocprim17ROCPRIM_400000_NS6detail17trampoline_kernelINS0_14default_configENS1_27scan_by_key_config_selectorIssEEZZNS1_16scan_by_key_implILNS1_25lookback_scan_determinismE0ELb0ES3_N6thrust23THRUST_200600_302600_NS6detail15normal_iteratorINS9_10device_ptrIsEEEESE_SE_sNS9_4plusIvEENS9_8equal_toIsEEsEE10hipError_tPvRmT2_T3_T4_T5_mT6_T7_P12ihipStream_tbENKUlT_T0_E_clISt17integral_constantIbLb0EESZ_EEDaSU_SV_EUlSU_E_NS1_11comp_targetILNS1_3genE5ELNS1_11target_archE942ELNS1_3gpuE9ELNS1_3repE0EEENS1_30default_config_static_selectorELNS0_4arch9wavefront6targetE1EEEvT1_
                                        ; -- End function
	.section	.AMDGPU.csdata,"",@progbits
; Kernel info:
; codeLenInByte = 0
; NumSgprs: 4
; NumVgprs: 0
; NumAgprs: 0
; TotalNumVgprs: 0
; ScratchSize: 0
; MemoryBound: 0
; FloatMode: 240
; IeeeMode: 1
; LDSByteSize: 0 bytes/workgroup (compile time only)
; SGPRBlocks: 0
; VGPRBlocks: 0
; NumSGPRsForWavesPerEU: 4
; NumVGPRsForWavesPerEU: 1
; AccumOffset: 4
; Occupancy: 8
; WaveLimiterHint : 0
; COMPUTE_PGM_RSRC2:SCRATCH_EN: 0
; COMPUTE_PGM_RSRC2:USER_SGPR: 6
; COMPUTE_PGM_RSRC2:TRAP_HANDLER: 0
; COMPUTE_PGM_RSRC2:TGID_X_EN: 1
; COMPUTE_PGM_RSRC2:TGID_Y_EN: 0
; COMPUTE_PGM_RSRC2:TGID_Z_EN: 0
; COMPUTE_PGM_RSRC2:TIDIG_COMP_CNT: 0
; COMPUTE_PGM_RSRC3_GFX90A:ACCUM_OFFSET: 0
; COMPUTE_PGM_RSRC3_GFX90A:TG_SPLIT: 0
	.section	.text._ZN7rocprim17ROCPRIM_400000_NS6detail17trampoline_kernelINS0_14default_configENS1_27scan_by_key_config_selectorIssEEZZNS1_16scan_by_key_implILNS1_25lookback_scan_determinismE0ELb0ES3_N6thrust23THRUST_200600_302600_NS6detail15normal_iteratorINS9_10device_ptrIsEEEESE_SE_sNS9_4plusIvEENS9_8equal_toIsEEsEE10hipError_tPvRmT2_T3_T4_T5_mT6_T7_P12ihipStream_tbENKUlT_T0_E_clISt17integral_constantIbLb0EESZ_EEDaSU_SV_EUlSU_E_NS1_11comp_targetILNS1_3genE4ELNS1_11target_archE910ELNS1_3gpuE8ELNS1_3repE0EEENS1_30default_config_static_selectorELNS0_4arch9wavefront6targetE1EEEvT1_,"axG",@progbits,_ZN7rocprim17ROCPRIM_400000_NS6detail17trampoline_kernelINS0_14default_configENS1_27scan_by_key_config_selectorIssEEZZNS1_16scan_by_key_implILNS1_25lookback_scan_determinismE0ELb0ES3_N6thrust23THRUST_200600_302600_NS6detail15normal_iteratorINS9_10device_ptrIsEEEESE_SE_sNS9_4plusIvEENS9_8equal_toIsEEsEE10hipError_tPvRmT2_T3_T4_T5_mT6_T7_P12ihipStream_tbENKUlT_T0_E_clISt17integral_constantIbLb0EESZ_EEDaSU_SV_EUlSU_E_NS1_11comp_targetILNS1_3genE4ELNS1_11target_archE910ELNS1_3gpuE8ELNS1_3repE0EEENS1_30default_config_static_selectorELNS0_4arch9wavefront6targetE1EEEvT1_,comdat
	.protected	_ZN7rocprim17ROCPRIM_400000_NS6detail17trampoline_kernelINS0_14default_configENS1_27scan_by_key_config_selectorIssEEZZNS1_16scan_by_key_implILNS1_25lookback_scan_determinismE0ELb0ES3_N6thrust23THRUST_200600_302600_NS6detail15normal_iteratorINS9_10device_ptrIsEEEESE_SE_sNS9_4plusIvEENS9_8equal_toIsEEsEE10hipError_tPvRmT2_T3_T4_T5_mT6_T7_P12ihipStream_tbENKUlT_T0_E_clISt17integral_constantIbLb0EESZ_EEDaSU_SV_EUlSU_E_NS1_11comp_targetILNS1_3genE4ELNS1_11target_archE910ELNS1_3gpuE8ELNS1_3repE0EEENS1_30default_config_static_selectorELNS0_4arch9wavefront6targetE1EEEvT1_ ; -- Begin function _ZN7rocprim17ROCPRIM_400000_NS6detail17trampoline_kernelINS0_14default_configENS1_27scan_by_key_config_selectorIssEEZZNS1_16scan_by_key_implILNS1_25lookback_scan_determinismE0ELb0ES3_N6thrust23THRUST_200600_302600_NS6detail15normal_iteratorINS9_10device_ptrIsEEEESE_SE_sNS9_4plusIvEENS9_8equal_toIsEEsEE10hipError_tPvRmT2_T3_T4_T5_mT6_T7_P12ihipStream_tbENKUlT_T0_E_clISt17integral_constantIbLb0EESZ_EEDaSU_SV_EUlSU_E_NS1_11comp_targetILNS1_3genE4ELNS1_11target_archE910ELNS1_3gpuE8ELNS1_3repE0EEENS1_30default_config_static_selectorELNS0_4arch9wavefront6targetE1EEEvT1_
	.globl	_ZN7rocprim17ROCPRIM_400000_NS6detail17trampoline_kernelINS0_14default_configENS1_27scan_by_key_config_selectorIssEEZZNS1_16scan_by_key_implILNS1_25lookback_scan_determinismE0ELb0ES3_N6thrust23THRUST_200600_302600_NS6detail15normal_iteratorINS9_10device_ptrIsEEEESE_SE_sNS9_4plusIvEENS9_8equal_toIsEEsEE10hipError_tPvRmT2_T3_T4_T5_mT6_T7_P12ihipStream_tbENKUlT_T0_E_clISt17integral_constantIbLb0EESZ_EEDaSU_SV_EUlSU_E_NS1_11comp_targetILNS1_3genE4ELNS1_11target_archE910ELNS1_3gpuE8ELNS1_3repE0EEENS1_30default_config_static_selectorELNS0_4arch9wavefront6targetE1EEEvT1_
	.p2align	8
	.type	_ZN7rocprim17ROCPRIM_400000_NS6detail17trampoline_kernelINS0_14default_configENS1_27scan_by_key_config_selectorIssEEZZNS1_16scan_by_key_implILNS1_25lookback_scan_determinismE0ELb0ES3_N6thrust23THRUST_200600_302600_NS6detail15normal_iteratorINS9_10device_ptrIsEEEESE_SE_sNS9_4plusIvEENS9_8equal_toIsEEsEE10hipError_tPvRmT2_T3_T4_T5_mT6_T7_P12ihipStream_tbENKUlT_T0_E_clISt17integral_constantIbLb0EESZ_EEDaSU_SV_EUlSU_E_NS1_11comp_targetILNS1_3genE4ELNS1_11target_archE910ELNS1_3gpuE8ELNS1_3repE0EEENS1_30default_config_static_selectorELNS0_4arch9wavefront6targetE1EEEvT1_,@function
_ZN7rocprim17ROCPRIM_400000_NS6detail17trampoline_kernelINS0_14default_configENS1_27scan_by_key_config_selectorIssEEZZNS1_16scan_by_key_implILNS1_25lookback_scan_determinismE0ELb0ES3_N6thrust23THRUST_200600_302600_NS6detail15normal_iteratorINS9_10device_ptrIsEEEESE_SE_sNS9_4plusIvEENS9_8equal_toIsEEsEE10hipError_tPvRmT2_T3_T4_T5_mT6_T7_P12ihipStream_tbENKUlT_T0_E_clISt17integral_constantIbLb0EESZ_EEDaSU_SV_EUlSU_E_NS1_11comp_targetILNS1_3genE4ELNS1_11target_archE910ELNS1_3gpuE8ELNS1_3repE0EEENS1_30default_config_static_selectorELNS0_4arch9wavefront6targetE1EEEvT1_: ; @_ZN7rocprim17ROCPRIM_400000_NS6detail17trampoline_kernelINS0_14default_configENS1_27scan_by_key_config_selectorIssEEZZNS1_16scan_by_key_implILNS1_25lookback_scan_determinismE0ELb0ES3_N6thrust23THRUST_200600_302600_NS6detail15normal_iteratorINS9_10device_ptrIsEEEESE_SE_sNS9_4plusIvEENS9_8equal_toIsEEsEE10hipError_tPvRmT2_T3_T4_T5_mT6_T7_P12ihipStream_tbENKUlT_T0_E_clISt17integral_constantIbLb0EESZ_EEDaSU_SV_EUlSU_E_NS1_11comp_targetILNS1_3genE4ELNS1_11target_archE910ELNS1_3gpuE8ELNS1_3repE0EEENS1_30default_config_static_selectorELNS0_4arch9wavefront6targetE1EEEvT1_
; %bb.0:
	s_load_dwordx8 s[48:55], s[4:5], 0x0
	s_load_dwordx4 s[64:67], s[4:5], 0x28
	s_load_dwordx2 s[70:71], s[4:5], 0x38
	s_load_dword s0, s[4:5], 0x40
	s_load_dwordx8 s[56:63], s[4:5], 0x48
	s_waitcnt lgkmcnt(0)
	s_lshl_b64 s[68:69], s[50:51], 1
	s_add_u32 s2, s48, s68
	s_addc_u32 s3, s49, s69
	s_add_u32 s4, s52, s68
	s_mul_i32 s1, s71, s0
	s_mul_hi_u32 s7, s70, s0
	s_addc_u32 s5, s53, s69
	s_add_i32 s8, s7, s1
	s_mul_i32 s9, s70, s0
	s_cmp_lg_u64 s[60:61], 0
	s_mul_i32 s0, s6, 0x1600
	s_mov_b32 s1, 0
	s_cselect_b64 s[60:61], -1, 0
	s_lshl_b64 s[52:53], s[0:1], 1
	s_add_u32 s50, s2, s52
	s_addc_u32 s51, s3, s53
	s_add_u32 s7, s4, s52
	s_addc_u32 s67, s5, s53
	;; [unrolled: 2-line block ×3, first 2 shown]
	s_add_u32 s2, s56, -1
	s_addc_u32 s3, s57, -1
	v_pk_mov_b32 v[2:3], s[2:3], s[2:3] op_sel:[0,1]
	v_cmp_ge_u64_e64 s[0:1], s[72:73], v[2:3]
	s_mov_b64 s[10:11], 0
	s_mov_b64 s[4:5], -1
	s_and_b64 vcc, exec, s[0:1]
	s_mul_i32 s33, s2, 0xffffea00
	s_barrier
	s_cbranch_vccz .LBB320_117
; %bb.1:
	v_pk_mov_b32 v[2:3], s[50:51], s[50:51] op_sel:[0,1]
	flat_load_ushort v6, v[2:3]
	s_add_i32 s77, s33, s66
	v_cmp_gt_u32_e64 s[2:3], s77, v0
	s_waitcnt vmcnt(0) lgkmcnt(0)
	v_mov_b32_e32 v7, v6
	s_and_saveexec_b64 s[4:5], s[2:3]
	s_cbranch_execz .LBB320_3
; %bb.2:
	v_lshlrev_b32_e32 v1, 1, v0
	v_mov_b32_e32 v3, s51
	v_add_co_u32_e32 v2, vcc, s50, v1
	v_addc_co_u32_e32 v3, vcc, 0, v3, vcc
	flat_load_ushort v7, v[2:3]
.LBB320_3:
	s_or_b64 exec, exec, s[4:5]
	v_or_b32_e32 v1, 0x100, v0
	v_cmp_gt_u32_e64 s[4:5], s77, v1
	v_mov_b32_e32 v8, v6
	s_and_saveexec_b64 s[8:9], s[4:5]
	s_cbranch_execz .LBB320_5
; %bb.4:
	v_lshlrev_b32_e32 v1, 1, v0
	v_mov_b32_e32 v3, s51
	v_add_co_u32_e32 v2, vcc, s50, v1
	v_addc_co_u32_e32 v3, vcc, 0, v3, vcc
	flat_load_ushort v8, v[2:3] offset:512
.LBB320_5:
	s_or_b64 exec, exec, s[8:9]
	v_or_b32_e32 v1, 0x200, v0
	v_cmp_gt_u32_e64 s[48:49], s77, v1
	v_mov_b32_e32 v9, v6
	s_and_saveexec_b64 s[8:9], s[48:49]
	s_cbranch_execz .LBB320_7
; %bb.6:
	v_lshlrev_b32_e32 v1, 1, v0
	v_mov_b32_e32 v3, s51
	v_add_co_u32_e32 v2, vcc, s50, v1
	v_addc_co_u32_e32 v3, vcc, 0, v3, vcc
	flat_load_ushort v9, v[2:3] offset:1024
.LBB320_7:
	;; [unrolled: 13-line block ×7, first 2 shown]
	s_or_b64 exec, exec, s[18:19]
	v_or_b32_e32 v1, 0x800, v0
	v_cmp_gt_u32_e64 s[18:19], s77, v1
	v_lshlrev_b32_e32 v1, 1, v1
	v_mov_b32_e32 v15, v6
	s_and_saveexec_b64 s[20:21], s[18:19]
	s_cbranch_execz .LBB320_19
; %bb.18:
	v_mov_b32_e32 v3, s51
	v_add_co_u32_e32 v2, vcc, s50, v1
	v_addc_co_u32_e32 v3, vcc, 0, v3, vcc
	flat_load_ushort v15, v[2:3]
.LBB320_19:
	s_or_b64 exec, exec, s[20:21]
	v_or_b32_e32 v2, 0x900, v0
	v_cmp_gt_u32_e64 s[20:21], s77, v2
	v_lshlrev_b32_e32 v2, 1, v2
	v_mov_b32_e32 v26, v6
	s_and_saveexec_b64 s[22:23], s[20:21]
	s_cbranch_execz .LBB320_21
; %bb.20:
	v_mov_b32_e32 v3, s51
	v_add_co_u32_e32 v4, vcc, s50, v2
	v_addc_co_u32_e32 v5, vcc, 0, v3, vcc
	flat_load_ushort v26, v[4:5]
.LBB320_21:
	;; [unrolled: 13-line block ×13, first 2 shown]
	s_or_b64 exec, exec, s[46:47]
	v_or_b32_e32 v20, 0x1500, v0
	v_cmp_gt_u32_e64 s[46:47], s77, v20
	v_lshlrev_b32_e32 v25, 1, v20
	s_and_saveexec_b64 s[56:57], s[46:47]
	s_cbranch_execz .LBB320_45
; %bb.44:
	v_mov_b32_e32 v6, s51
	v_add_co_u32_e32 v38, vcc, s50, v25
	v_addc_co_u32_e32 v39, vcc, 0, v6, vcc
	flat_load_ushort v6, v[38:39]
.LBB320_45:
	s_or_b64 exec, exec, s[56:57]
	v_lshlrev_b32_e32 v20, 1, v0
	s_waitcnt vmcnt(0) lgkmcnt(0)
	ds_write_b16 v20, v7
	ds_write_b16 v20, v8 offset:512
	ds_write_b16 v20, v9 offset:1024
	ds_write_b16 v20, v10 offset:1536
	ds_write_b16 v20, v11 offset:2048
	ds_write_b16 v20, v12 offset:2560
	ds_write_b16 v20, v13 offset:3072
	ds_write_b16 v20, v14 offset:3584
	ds_write_b16 v20, v15 offset:4096
	ds_write_b16 v20, v26 offset:4608
	ds_write_b16 v20, v27 offset:5120
	ds_write_b16 v20, v28 offset:5632
	ds_write_b16 v20, v29 offset:6144
	ds_write_b16 v20, v30 offset:6656
	ds_write_b16 v20, v31 offset:7168
	ds_write_b16 v20, v32 offset:7680
	ds_write_b16 v20, v33 offset:8192
	ds_write_b16 v20, v34 offset:8704
	ds_write_b16 v20, v35 offset:9216
	ds_write_b16 v20, v36 offset:9728
	ds_write_b16 v20, v37 offset:10240
	ds_write_b16 v20, v6 offset:10752
	v_mad_u32_u24 v37, v0, 42, v20
	s_waitcnt lgkmcnt(0)
	s_barrier
	ds_read2_b32 v[14:15], v37 offset1:1
	ds_read2_b32 v[12:13], v37 offset0:2 offset1:3
	ds_read2_b32 v[10:11], v37 offset0:4 offset1:5
	;; [unrolled: 1-line block ×4, first 2 shown]
	ds_read_b32 v38, v37 offset:40
	s_cmp_eq_u64 s[72:73], 0
	s_mov_b64 s[56:57], s[50:51]
	s_cbranch_scc1 .LBB320_49
; %bb.46:
	s_andn2_b64 vcc, exec, s[60:61]
	s_cbranch_vccnz .LBB320_283
; %bb.47:
	s_lshl_b64 s[56:57], s[72:73], 1
	s_add_u32 s56, s62, s56
	s_addc_u32 s57, s63, s57
	s_add_u32 s56, s56, -2
	s_addc_u32 s57, s57, -1
	s_cbranch_execnz .LBB320_49
.LBB320_48:
	s_add_u32 s56, s50, -2
	s_addc_u32 s57, s51, -1
.LBB320_49:
	v_pk_mov_b32 v[26:27], s[56:57], s[56:57] op_sel:[0,1]
	flat_load_ushort v41, v[26:27]
	s_movk_i32 s56, 0xffd6
	s_waitcnt lgkmcnt(0)
	v_lshrrev_b32_e32 v39, 16, v38
	v_mad_i32_i24 v26, v0, s56, v37
	v_cmp_ne_u32_e32 vcc, 0, v0
	ds_write_b16 v26, v39 offset:11264
	s_waitcnt lgkmcnt(0)
	s_barrier
	s_and_saveexec_b64 s[56:57], vcc
	s_cbranch_execz .LBB320_51
; %bb.50:
	v_mul_i32_i24_e32 v26, 0xffffffd6, v0
	v_add_u32_e32 v26, v37, v26
	s_waitcnt vmcnt(0)
	ds_read_u16 v41, v26 offset:11262
.LBB320_51:
	s_or_b64 exec, exec, s[56:57]
	s_waitcnt lgkmcnt(0)
	s_barrier
	s_waitcnt lgkmcnt(0)
                                        ; implicit-def: $vgpr26
	s_and_saveexec_b64 s[56:57], s[2:3]
	s_cbranch_execnz .LBB320_260
; %bb.52:
	s_or_b64 exec, exec, s[56:57]
                                        ; implicit-def: $vgpr27
	s_and_saveexec_b64 s[2:3], s[4:5]
	s_cbranch_execnz .LBB320_261
.LBB320_53:
	s_or_b64 exec, exec, s[2:3]
                                        ; implicit-def: $vgpr28
	s_and_saveexec_b64 s[2:3], s[48:49]
	s_cbranch_execnz .LBB320_262
.LBB320_54:
	s_or_b64 exec, exec, s[2:3]
                                        ; implicit-def: $vgpr29
	s_and_saveexec_b64 s[2:3], s[8:9]
	s_cbranch_execnz .LBB320_263
.LBB320_55:
	s_or_b64 exec, exec, s[2:3]
                                        ; implicit-def: $vgpr30
	s_and_saveexec_b64 s[2:3], s[10:11]
	s_cbranch_execnz .LBB320_264
.LBB320_56:
	s_or_b64 exec, exec, s[2:3]
                                        ; implicit-def: $vgpr31
	s_and_saveexec_b64 s[2:3], s[12:13]
	s_cbranch_execnz .LBB320_265
.LBB320_57:
	s_or_b64 exec, exec, s[2:3]
                                        ; implicit-def: $vgpr32
	s_and_saveexec_b64 s[2:3], s[14:15]
	s_cbranch_execnz .LBB320_266
.LBB320_58:
	s_or_b64 exec, exec, s[2:3]
                                        ; implicit-def: $vgpr33
	s_and_saveexec_b64 s[2:3], s[16:17]
	s_cbranch_execnz .LBB320_267
.LBB320_59:
	s_or_b64 exec, exec, s[2:3]
                                        ; implicit-def: $vgpr34
	s_and_saveexec_b64 s[2:3], s[18:19]
	s_cbranch_execnz .LBB320_268
.LBB320_60:
	s_or_b64 exec, exec, s[2:3]
                                        ; implicit-def: $vgpr1
	s_and_saveexec_b64 s[2:3], s[20:21]
	s_cbranch_execnz .LBB320_269
.LBB320_61:
	s_or_b64 exec, exec, s[2:3]
                                        ; implicit-def: $vgpr2
	s_and_saveexec_b64 s[2:3], s[22:23]
	s_cbranch_execnz .LBB320_270
.LBB320_62:
	s_or_b64 exec, exec, s[2:3]
                                        ; implicit-def: $vgpr3
	s_and_saveexec_b64 s[2:3], s[24:25]
	s_cbranch_execnz .LBB320_271
.LBB320_63:
	s_or_b64 exec, exec, s[2:3]
                                        ; implicit-def: $vgpr4
	s_and_saveexec_b64 s[2:3], s[26:27]
	s_cbranch_execnz .LBB320_272
.LBB320_64:
	s_or_b64 exec, exec, s[2:3]
                                        ; implicit-def: $vgpr5
	s_and_saveexec_b64 s[2:3], s[28:29]
	s_cbranch_execnz .LBB320_273
.LBB320_65:
	s_or_b64 exec, exec, s[2:3]
                                        ; implicit-def: $vgpr16
	s_and_saveexec_b64 s[2:3], s[30:31]
	s_cbranch_execnz .LBB320_274
.LBB320_66:
	s_or_b64 exec, exec, s[2:3]
                                        ; implicit-def: $vgpr17
	s_and_saveexec_b64 s[2:3], s[34:35]
	s_cbranch_execnz .LBB320_275
.LBB320_67:
	s_or_b64 exec, exec, s[2:3]
                                        ; implicit-def: $vgpr18
	s_and_saveexec_b64 s[2:3], s[36:37]
	s_cbranch_execnz .LBB320_276
.LBB320_68:
	s_or_b64 exec, exec, s[2:3]
                                        ; implicit-def: $vgpr19
	s_and_saveexec_b64 s[2:3], s[38:39]
	s_cbranch_execnz .LBB320_277
.LBB320_69:
	s_or_b64 exec, exec, s[2:3]
                                        ; implicit-def: $vgpr21
	s_and_saveexec_b64 s[2:3], s[40:41]
	s_cbranch_execnz .LBB320_278
.LBB320_70:
	s_or_b64 exec, exec, s[2:3]
                                        ; implicit-def: $vgpr22
	s_and_saveexec_b64 s[2:3], s[42:43]
	s_cbranch_execnz .LBB320_279
.LBB320_71:
	s_or_b64 exec, exec, s[2:3]
                                        ; implicit-def: $vgpr23
	s_and_saveexec_b64 s[2:3], s[44:45]
	s_cbranch_execnz .LBB320_280
.LBB320_72:
	s_or_b64 exec, exec, s[2:3]
                                        ; implicit-def: $vgpr24
	s_and_saveexec_b64 s[2:3], s[46:47]
	s_cbranch_execz .LBB320_74
.LBB320_73:
	v_mov_b32_e32 v35, s67
	v_add_co_u32_e32 v24, vcc, s7, v25
	v_addc_co_u32_e32 v25, vcc, 0, v35, vcc
	flat_load_ushort v24, v[24:25]
.LBB320_74:
	s_or_b64 exec, exec, s[2:3]
	v_mul_u32_u24_e32 v40, 22, v0
	s_waitcnt vmcnt(0) lgkmcnt(0)
	ds_write_b16 v20, v26
	ds_write_b16 v20, v27 offset:512
	ds_write_b16 v20, v28 offset:1024
	ds_write_b16 v20, v29 offset:1536
	ds_write_b16 v20, v30 offset:2048
	ds_write_b16 v20, v31 offset:2560
	ds_write_b16 v20, v32 offset:3072
	ds_write_b16 v20, v33 offset:3584
	ds_write_b16 v20, v34 offset:4096
	ds_write_b16 v20, v1 offset:4608
	ds_write_b16 v20, v2 offset:5120
	ds_write_b16 v20, v3 offset:5632
	ds_write_b16 v20, v4 offset:6144
	ds_write_b16 v20, v5 offset:6656
	ds_write_b16 v20, v16 offset:7168
	ds_write_b16 v20, v17 offset:7680
	ds_write_b16 v20, v18 offset:8192
	ds_write_b16 v20, v19 offset:8704
	ds_write_b16 v20, v21 offset:9216
	ds_write_b16 v20, v22 offset:9728
	ds_write_b16 v20, v23 offset:10240
	ds_write_b16 v20, v24 offset:10752
	v_cmp_gt_u32_e32 vcc, s77, v40
	s_mov_b64 s[4:5], 0
	s_mov_b32 s76, 0
	v_mov_b32_e32 v1, 0
	s_mov_b64 s[10:11], 0
	v_mov_b32_e32 v16, 0
	v_mov_b32_e32 v17, 0
	;; [unrolled: 1-line block ×20, first 2 shown]
	s_waitcnt lgkmcnt(0)
	s_barrier
	s_waitcnt lgkmcnt(0)
                                        ; implicit-def: $sgpr2_sgpr3
                                        ; implicit-def: $vgpr36
	s_and_saveexec_b64 s[8:9], vcc
	s_cbranch_execz .LBB320_116
; %bb.75:
	ds_read_u16 v1, v37
	v_cmp_ne_u16_e32 vcc, v41, v14
	v_or_b32_e32 v2, 1, v40
	v_cndmask_b32_e64 v3, 0, 1, vcc
	v_cmp_gt_u32_e32 vcc, s77, v2
	s_waitcnt lgkmcnt(0)
	v_lshl_or_b32 v1, v3, 16, v1
	s_mov_b64 s[12:13], 0
	v_mov_b32_e32 v16, 0
	v_mov_b32_e32 v17, 0
	;; [unrolled: 1-line block ×20, first 2 shown]
                                        ; implicit-def: $sgpr2_sgpr3
                                        ; implicit-def: $vgpr36
	s_and_saveexec_b64 s[10:11], vcc
	s_cbranch_execz .LBB320_115
; %bb.76:
	ds_read_b128 v[2:5], v37 offset:2
	v_add_u32_e32 v16, 2, v40
	v_cmp_ne_u16_sdwa s[2:3], v14, v14 src0_sel:DWORD src1_sel:WORD_1
	v_cndmask_b32_e64 v17, 0, 1, s[2:3]
	v_cmp_gt_u32_e32 vcc, s77, v16
	s_waitcnt lgkmcnt(0)
	v_and_b32_e32 v16, 0xffff, v2
	v_lshl_or_b32 v16, v17, 16, v16
	s_mov_b64 s[14:15], 0
	v_mov_b32_e32 v17, 0
	v_mov_b32_e32 v18, 0
	;; [unrolled: 1-line block ×19, first 2 shown]
                                        ; implicit-def: $sgpr2_sgpr3
                                        ; implicit-def: $vgpr36
	s_and_saveexec_b64 s[12:13], vcc
	s_cbranch_execz .LBB320_114
; %bb.77:
	v_cmp_ne_u16_sdwa s[2:3], v14, v15 src0_sel:WORD_1 src1_sel:DWORD
	v_add_u32_e32 v18, 3, v40
	v_cndmask_b32_e64 v14, 0, 1, s[2:3]
	v_alignbit_b32 v17, v14, v2, 16
	v_cmp_gt_u32_e32 vcc, s77, v18
	s_mov_b64 s[16:17], 0
	v_mov_b32_e32 v18, 0
	v_mov_b32_e32 v19, 0
	v_mov_b32_e32 v20, 0
	v_mov_b32_e32 v21, 0
	v_mov_b32_e32 v22, 0
	v_mov_b32_e32 v23, 0
	v_mov_b32_e32 v24, 0
	v_mov_b32_e32 v25, 0
	v_mov_b32_e32 v26, 0
	v_mov_b32_e32 v27, 0
	v_mov_b32_e32 v28, 0
	v_mov_b32_e32 v29, 0
	v_mov_b32_e32 v30, 0
	v_mov_b32_e32 v31, 0
	v_mov_b32_e32 v32, 0
	v_mov_b32_e32 v33, 0
	v_mov_b32_e32 v34, 0
	v_mov_b32_e32 v35, 0
                                        ; implicit-def: $sgpr2_sgpr3
                                        ; implicit-def: $vgpr36
	s_and_saveexec_b64 s[14:15], vcc
	s_cbranch_execz .LBB320_113
; %bb.78:
	v_cmp_ne_u16_sdwa s[2:3], v15, v15 src0_sel:DWORD src1_sel:WORD_1
	v_and_b32_e32 v2, 0xffff, v3
	v_add_u32_e32 v14, 4, v40
	v_cndmask_b32_e64 v18, 0, 1, s[2:3]
	v_lshl_or_b32 v18, v18, 16, v2
	v_cmp_gt_u32_e32 vcc, s77, v14
	s_mov_b64 s[18:19], 0
	v_mov_b32_e32 v19, 0
	v_mov_b32_e32 v20, 0
	;; [unrolled: 1-line block ×17, first 2 shown]
                                        ; implicit-def: $sgpr2_sgpr3
                                        ; implicit-def: $vgpr36
	s_and_saveexec_b64 s[16:17], vcc
	s_cbranch_execz .LBB320_112
; %bb.79:
	v_cmp_ne_u16_sdwa s[2:3], v15, v12 src0_sel:WORD_1 src1_sel:DWORD
	v_add_u32_e32 v2, 5, v40
	v_cndmask_b32_e64 v14, 0, 1, s[2:3]
	v_alignbit_b32 v19, v14, v3, 16
	v_cmp_gt_u32_e32 vcc, s77, v2
	s_mov_b64 s[20:21], 0
	v_mov_b32_e32 v20, 0
	v_mov_b32_e32 v21, 0
	;; [unrolled: 1-line block ×16, first 2 shown]
                                        ; implicit-def: $sgpr2_sgpr3
                                        ; implicit-def: $vgpr36
	s_and_saveexec_b64 s[18:19], vcc
	s_cbranch_execz .LBB320_111
; %bb.80:
	v_cmp_ne_u16_sdwa s[2:3], v12, v12 src0_sel:DWORD src1_sel:WORD_1
	v_and_b32_e32 v2, 0xffff, v4
	v_add_u32_e32 v3, 6, v40
	v_cndmask_b32_e64 v14, 0, 1, s[2:3]
	v_lshl_or_b32 v20, v14, 16, v2
	v_cmp_gt_u32_e32 vcc, s77, v3
	s_mov_b64 s[22:23], 0
	v_mov_b32_e32 v21, 0
	v_mov_b32_e32 v22, 0
	;; [unrolled: 1-line block ×15, first 2 shown]
                                        ; implicit-def: $sgpr2_sgpr3
                                        ; implicit-def: $vgpr36
	s_and_saveexec_b64 s[20:21], vcc
	s_cbranch_execz .LBB320_110
; %bb.81:
	v_cmp_ne_u16_sdwa s[2:3], v12, v13 src0_sel:WORD_1 src1_sel:DWORD
	v_add_u32_e32 v2, 7, v40
	v_cndmask_b32_e64 v3, 0, 1, s[2:3]
	v_alignbit_b32 v21, v3, v4, 16
	v_cmp_gt_u32_e32 vcc, s77, v2
	s_mov_b64 s[24:25], 0
	v_mov_b32_e32 v22, 0
	v_mov_b32_e32 v23, 0
	;; [unrolled: 1-line block ×14, first 2 shown]
                                        ; implicit-def: $sgpr2_sgpr3
                                        ; implicit-def: $vgpr36
	s_and_saveexec_b64 s[22:23], vcc
	s_cbranch_execz .LBB320_109
; %bb.82:
	v_cmp_ne_u16_sdwa s[2:3], v13, v13 src0_sel:DWORD src1_sel:WORD_1
	v_and_b32_e32 v2, 0xffff, v5
	v_add_u32_e32 v3, 8, v40
	v_cndmask_b32_e64 v4, 0, 1, s[2:3]
	v_lshl_or_b32 v22, v4, 16, v2
	v_cmp_gt_u32_e32 vcc, s77, v3
	s_mov_b64 s[26:27], 0
	v_mov_b32_e32 v23, 0
	v_mov_b32_e32 v24, 0
	;; [unrolled: 1-line block ×13, first 2 shown]
                                        ; implicit-def: $sgpr2_sgpr3
                                        ; implicit-def: $vgpr36
	s_and_saveexec_b64 s[24:25], vcc
	s_cbranch_execz .LBB320_108
; %bb.83:
	v_cmp_ne_u16_sdwa s[2:3], v13, v10 src0_sel:WORD_1 src1_sel:DWORD
	v_add_u32_e32 v2, 9, v40
	v_cndmask_b32_e64 v3, 0, 1, s[2:3]
	v_alignbit_b32 v23, v3, v5, 16
	v_cmp_gt_u32_e32 vcc, s77, v2
	s_mov_b64 s[28:29], 0
	v_mov_b32_e32 v24, 0
	v_mov_b32_e32 v25, 0
	;; [unrolled: 1-line block ×12, first 2 shown]
                                        ; implicit-def: $sgpr2_sgpr3
                                        ; implicit-def: $vgpr36
	s_and_saveexec_b64 s[26:27], vcc
	s_cbranch_execz .LBB320_107
; %bb.84:
	ds_read_b128 v[2:5], v37 offset:18
	v_add_u32_e32 v12, 10, v40
	v_cmp_ne_u16_sdwa s[2:3], v10, v10 src0_sel:DWORD src1_sel:WORD_1
	v_cndmask_b32_e64 v13, 0, 1, s[2:3]
	v_cmp_gt_u32_e32 vcc, s77, v12
	s_waitcnt lgkmcnt(0)
	v_and_b32_e32 v12, 0xffff, v2
	v_lshl_or_b32 v24, v13, 16, v12
	s_mov_b64 s[30:31], 0
	v_mov_b32_e32 v25, 0
	v_mov_b32_e32 v26, 0
	;; [unrolled: 1-line block ×11, first 2 shown]
                                        ; implicit-def: $sgpr2_sgpr3
                                        ; implicit-def: $vgpr36
	s_and_saveexec_b64 s[28:29], vcc
	s_cbranch_execz .LBB320_106
; %bb.85:
	v_cmp_ne_u16_sdwa s[2:3], v10, v11 src0_sel:WORD_1 src1_sel:DWORD
	v_add_u32_e32 v12, 11, v40
	v_cndmask_b32_e64 v10, 0, 1, s[2:3]
	v_alignbit_b32 v25, v10, v2, 16
	v_cmp_gt_u32_e32 vcc, s77, v12
	s_mov_b64 s[34:35], 0
	v_mov_b32_e32 v26, 0
	v_mov_b32_e32 v27, 0
	;; [unrolled: 1-line block ×10, first 2 shown]
                                        ; implicit-def: $sgpr2_sgpr3
                                        ; implicit-def: $vgpr36
	s_and_saveexec_b64 s[30:31], vcc
	s_cbranch_execz .LBB320_105
; %bb.86:
	v_cmp_ne_u16_sdwa s[2:3], v11, v11 src0_sel:DWORD src1_sel:WORD_1
	v_and_b32_e32 v2, 0xffff, v3
	v_add_u32_e32 v10, 12, v40
	v_cndmask_b32_e64 v12, 0, 1, s[2:3]
	v_lshl_or_b32 v26, v12, 16, v2
	v_cmp_gt_u32_e32 vcc, s77, v10
	s_mov_b64 s[36:37], 0
	v_mov_b32_e32 v27, 0
	v_mov_b32_e32 v28, 0
	;; [unrolled: 1-line block ×9, first 2 shown]
                                        ; implicit-def: $sgpr2_sgpr3
                                        ; implicit-def: $vgpr36
	s_and_saveexec_b64 s[34:35], vcc
	s_cbranch_execz .LBB320_104
; %bb.87:
	v_cmp_ne_u16_sdwa s[2:3], v11, v8 src0_sel:WORD_1 src1_sel:DWORD
	v_add_u32_e32 v2, 13, v40
	v_cndmask_b32_e64 v10, 0, 1, s[2:3]
	v_alignbit_b32 v27, v10, v3, 16
	v_cmp_gt_u32_e32 vcc, s77, v2
	s_mov_b64 s[38:39], 0
	v_mov_b32_e32 v28, 0
	v_mov_b32_e32 v29, 0
	;; [unrolled: 1-line block ×8, first 2 shown]
                                        ; implicit-def: $sgpr2_sgpr3
                                        ; implicit-def: $vgpr36
	s_and_saveexec_b64 s[36:37], vcc
	s_cbranch_execz .LBB320_103
; %bb.88:
	v_cmp_ne_u16_sdwa s[2:3], v8, v8 src0_sel:DWORD src1_sel:WORD_1
	v_and_b32_e32 v2, 0xffff, v4
	v_add_u32_e32 v3, 14, v40
	v_cndmask_b32_e64 v10, 0, 1, s[2:3]
	v_lshl_or_b32 v28, v10, 16, v2
	v_cmp_gt_u32_e32 vcc, s77, v3
	s_mov_b64 s[40:41], 0
	v_mov_b32_e32 v29, 0
	v_mov_b32_e32 v30, 0
	;; [unrolled: 1-line block ×7, first 2 shown]
                                        ; implicit-def: $sgpr2_sgpr3
                                        ; implicit-def: $vgpr36
	s_and_saveexec_b64 s[38:39], vcc
	s_cbranch_execz .LBB320_102
; %bb.89:
	v_cmp_ne_u16_sdwa s[2:3], v8, v9 src0_sel:WORD_1 src1_sel:DWORD
	v_add_u32_e32 v2, 15, v40
	v_cndmask_b32_e64 v3, 0, 1, s[2:3]
	v_alignbit_b32 v29, v3, v4, 16
	v_cmp_gt_u32_e32 vcc, s77, v2
	s_mov_b64 s[42:43], 0
	v_mov_b32_e32 v30, 0
	v_mov_b32_e32 v31, 0
	;; [unrolled: 1-line block ×6, first 2 shown]
                                        ; implicit-def: $sgpr2_sgpr3
                                        ; implicit-def: $vgpr36
	s_and_saveexec_b64 s[40:41], vcc
	s_cbranch_execz .LBB320_101
; %bb.90:
	v_cmp_ne_u16_sdwa s[2:3], v9, v9 src0_sel:DWORD src1_sel:WORD_1
	v_and_b32_e32 v2, 0xffff, v5
	v_add_u32_e32 v3, 16, v40
	v_cndmask_b32_e64 v4, 0, 1, s[2:3]
	v_lshl_or_b32 v30, v4, 16, v2
	v_cmp_gt_u32_e32 vcc, s77, v3
	s_mov_b64 s[44:45], 0
	v_mov_b32_e32 v31, 0
	v_mov_b32_e32 v32, 0
	;; [unrolled: 1-line block ×5, first 2 shown]
                                        ; implicit-def: $sgpr2_sgpr3
                                        ; implicit-def: $vgpr36
	s_and_saveexec_b64 s[42:43], vcc
	s_cbranch_execz .LBB320_100
; %bb.91:
	v_cmp_ne_u16_sdwa s[2:3], v9, v6 src0_sel:WORD_1 src1_sel:DWORD
	v_add_u32_e32 v2, 17, v40
	v_cndmask_b32_e64 v3, 0, 1, s[2:3]
	v_alignbit_b32 v31, v3, v5, 16
	v_cmp_gt_u32_e32 vcc, s77, v2
	s_mov_b64 s[46:47], 0
	v_mov_b32_e32 v32, 0
	v_mov_b32_e32 v33, 0
	;; [unrolled: 1-line block ×4, first 2 shown]
                                        ; implicit-def: $sgpr2_sgpr3
                                        ; implicit-def: $vgpr36
	s_and_saveexec_b64 s[44:45], vcc
	s_cbranch_execz .LBB320_99
; %bb.92:
	ds_read_b64 v[2:3], v37 offset:34
	v_add_u32_e32 v4, 18, v40
	v_cmp_ne_u16_sdwa s[2:3], v6, v6 src0_sel:DWORD src1_sel:WORD_1
	v_cndmask_b32_e64 v5, 0, 1, s[2:3]
	v_cmp_gt_u32_e32 vcc, s77, v4
	s_waitcnt lgkmcnt(0)
	v_and_b32_e32 v4, 0xffff, v2
	v_lshl_or_b32 v32, v5, 16, v4
	s_mov_b64 s[48:49], 0
	v_mov_b32_e32 v33, 0
	v_mov_b32_e32 v34, 0
	;; [unrolled: 1-line block ×3, first 2 shown]
                                        ; implicit-def: $sgpr2_sgpr3
                                        ; implicit-def: $vgpr36
	s_and_saveexec_b64 s[46:47], vcc
	s_cbranch_execz .LBB320_98
; %bb.93:
	v_cmp_ne_u16_sdwa s[2:3], v6, v7 src0_sel:WORD_1 src1_sel:DWORD
	v_add_u32_e32 v4, 19, v40
	v_cndmask_b32_e64 v5, 0, 1, s[2:3]
	v_alignbit_b32 v33, v5, v2, 16
	v_cmp_gt_u32_e32 vcc, s77, v4
	s_mov_b64 s[56:57], 0
	v_mov_b32_e32 v34, 0
	v_mov_b32_e32 v35, 0
                                        ; implicit-def: $sgpr74_sgpr75
                                        ; implicit-def: $vgpr36
	s_and_saveexec_b64 s[48:49], vcc
	s_cbranch_execz .LBB320_97
; %bb.94:
	v_cmp_ne_u16_sdwa s[2:3], v7, v7 src0_sel:DWORD src1_sel:WORD_1
	v_and_b32_e32 v2, 0xffff, v3
	v_add_u32_e32 v4, 20, v40
	v_cndmask_b32_e64 v5, 0, 1, s[2:3]
	v_lshl_or_b32 v34, v5, 16, v2
	v_cmp_gt_u32_e32 vcc, s77, v4
	s_mov_b64 s[2:3], 0
	v_mov_b32_e32 v35, 0
                                        ; implicit-def: $sgpr56_sgpr57
                                        ; implicit-def: $vgpr36
	s_and_saveexec_b64 s[74:75], vcc
	s_xor_b64 s[74:75], exec, s[74:75]
	s_cbranch_execz .LBB320_96
; %bb.95:
	ds_read_u16 v36, v37 offset:42
	v_add_u32_e32 v2, 21, v40
	v_cmp_ne_u16_sdwa s[2:3], v7, v38 src0_sel:WORD_1 src1_sel:DWORD
	v_cmp_ne_u16_e32 vcc, v38, v39
	v_cndmask_b32_e64 v4, 0, 1, s[2:3]
	v_cmp_gt_u32_e64 s[2:3], s77, v2
	v_alignbit_b32 v35, v4, v3, 16
	s_and_b64 s[56:57], vcc, exec
	s_and_b64 s[2:3], s[2:3], exec
.LBB320_96:
	s_or_b64 exec, exec, s[74:75]
	s_and_b64 s[74:75], s[56:57], exec
	s_and_b64 s[56:57], s[2:3], exec
.LBB320_97:
	s_or_b64 exec, exec, s[48:49]
	s_and_b64 s[2:3], s[74:75], exec
	s_and_b64 s[48:49], s[56:57], exec
.LBB320_98:
	s_or_b64 exec, exec, s[46:47]
	s_and_b64 s[2:3], s[2:3], exec
	s_and_b64 s[46:47], s[48:49], exec
.LBB320_99:
	s_or_b64 exec, exec, s[44:45]
	s_and_b64 s[2:3], s[2:3], exec
	s_and_b64 s[44:45], s[46:47], exec
.LBB320_100:
	s_or_b64 exec, exec, s[42:43]
	s_and_b64 s[2:3], s[2:3], exec
	s_and_b64 s[42:43], s[44:45], exec
.LBB320_101:
	s_or_b64 exec, exec, s[40:41]
	s_and_b64 s[2:3], s[2:3], exec
	s_and_b64 s[40:41], s[42:43], exec
.LBB320_102:
	s_or_b64 exec, exec, s[38:39]
	s_and_b64 s[2:3], s[2:3], exec
	s_and_b64 s[38:39], s[40:41], exec
.LBB320_103:
	s_or_b64 exec, exec, s[36:37]
	s_and_b64 s[2:3], s[2:3], exec
	s_and_b64 s[36:37], s[38:39], exec
.LBB320_104:
	s_or_b64 exec, exec, s[34:35]
	s_and_b64 s[2:3], s[2:3], exec
	s_and_b64 s[34:35], s[36:37], exec
.LBB320_105:
	s_or_b64 exec, exec, s[30:31]
	s_and_b64 s[2:3], s[2:3], exec
	s_and_b64 s[30:31], s[34:35], exec
.LBB320_106:
	s_or_b64 exec, exec, s[28:29]
	s_and_b64 s[2:3], s[2:3], exec
	s_and_b64 s[28:29], s[30:31], exec
.LBB320_107:
	s_or_b64 exec, exec, s[26:27]
	s_and_b64 s[2:3], s[2:3], exec
	s_and_b64 s[26:27], s[28:29], exec
.LBB320_108:
	s_or_b64 exec, exec, s[24:25]
	s_and_b64 s[2:3], s[2:3], exec
	s_and_b64 s[24:25], s[26:27], exec
.LBB320_109:
	s_or_b64 exec, exec, s[22:23]
	s_and_b64 s[2:3], s[2:3], exec
	s_and_b64 s[22:23], s[24:25], exec
.LBB320_110:
	s_or_b64 exec, exec, s[20:21]
	s_and_b64 s[2:3], s[2:3], exec
	s_and_b64 s[20:21], s[22:23], exec
.LBB320_111:
	s_or_b64 exec, exec, s[18:19]
	s_and_b64 s[2:3], s[2:3], exec
	s_and_b64 s[18:19], s[20:21], exec
.LBB320_112:
	s_or_b64 exec, exec, s[16:17]
	s_and_b64 s[2:3], s[2:3], exec
	s_and_b64 s[16:17], s[18:19], exec
.LBB320_113:
	s_or_b64 exec, exec, s[14:15]
	s_and_b64 s[2:3], s[2:3], exec
	s_and_b64 s[14:15], s[16:17], exec
.LBB320_114:
	s_or_b64 exec, exec, s[12:13]
	s_and_b64 s[2:3], s[2:3], exec
	s_and_b64 s[12:13], s[14:15], exec
.LBB320_115:
	s_or_b64 exec, exec, s[10:11]
	s_and_b64 s[2:3], s[2:3], exec
	s_and_b64 s[10:11], s[12:13], exec
.LBB320_116:
	s_or_b64 exec, exec, s[8:9]
	s_and_b64 vcc, exec, s[4:5]
	v_lshlrev_b32_e32 v12, 1, v0
	s_cbranch_vccnz .LBB320_118
	s_branch .LBB320_126
.LBB320_117:
                                        ; implicit-def: $sgpr2_sgpr3
                                        ; implicit-def: $vgpr36
                                        ; implicit-def: $vgpr1
                                        ; implicit-def: $vgpr16
                                        ; implicit-def: $vgpr17
                                        ; implicit-def: $vgpr18
                                        ; implicit-def: $vgpr19
                                        ; implicit-def: $vgpr20
                                        ; implicit-def: $vgpr21
                                        ; implicit-def: $vgpr22
                                        ; implicit-def: $vgpr23
                                        ; implicit-def: $vgpr24
                                        ; implicit-def: $vgpr25
                                        ; implicit-def: $vgpr26
                                        ; implicit-def: $vgpr27
                                        ; implicit-def: $vgpr28
                                        ; implicit-def: $vgpr29
                                        ; implicit-def: $vgpr30
                                        ; implicit-def: $vgpr31
                                        ; implicit-def: $vgpr32
                                        ; implicit-def: $vgpr33
                                        ; implicit-def: $vgpr34
                                        ; implicit-def: $vgpr35
                                        ; implicit-def: $sgpr76
	s_and_b64 vcc, exec, s[4:5]
	v_lshlrev_b32_e32 v12, 1, v0
	s_cbranch_vccz .LBB320_126
.LBB320_118:
	v_mov_b32_e32 v1, s51
	v_add_co_u32_e32 v2, vcc, s50, v12
	v_addc_co_u32_e32 v3, vcc, 0, v1, vcc
	v_add_co_u32_e32 v4, vcc, 0x1000, v2
	v_addc_co_u32_e32 v5, vcc, 0, v3, vcc
	flat_load_ushort v6, v[2:3]
	flat_load_ushort v7, v[2:3] offset:512
	flat_load_ushort v8, v[2:3] offset:1024
	;; [unrolled: 1-line block ×7, first 2 shown]
	v_add_co_u32_e32 v2, vcc, 0x2000, v2
	v_addc_co_u32_e32 v3, vcc, 0, v3, vcc
	flat_load_ushort v15, v[4:5]
	flat_load_ushort v16, v[4:5] offset:512
	flat_load_ushort v17, v[4:5] offset:1024
	;; [unrolled: 1-line block ×7, first 2 shown]
	s_nop 0
	flat_load_ushort v4, v[2:3]
	flat_load_ushort v5, v[2:3] offset:512
	flat_load_ushort v23, v[2:3] offset:1024
	;; [unrolled: 1-line block ×5, first 2 shown]
	v_mad_u32_u24 v1, v0, 42, v12
	s_cmp_eq_u64 s[72:73], 0
	s_waitcnt vmcnt(0) lgkmcnt(0)
	ds_write_b16 v12, v6
	ds_write_b16 v12, v7 offset:512
	ds_write_b16 v12, v8 offset:1024
	;; [unrolled: 1-line block ×21, first 2 shown]
	s_waitcnt lgkmcnt(0)
	s_barrier
	ds_read2_b32 v[10:11], v1 offset1:1
	ds_read2_b32 v[8:9], v1 offset0:2 offset1:3
	ds_read2_b32 v[6:7], v1 offset0:4 offset1:5
	;; [unrolled: 1-line block ×4, first 2 shown]
	ds_read_b32 v13, v1 offset:40
	s_cbranch_scc1 .LBB320_123
; %bb.119:
	s_andn2_b64 vcc, exec, s[60:61]
	s_cbranch_vccnz .LBB320_284
; %bb.120:
	s_lshl_b64 s[2:3], s[72:73], 1
	s_add_u32 s2, s62, s2
	s_addc_u32 s3, s63, s3
	s_add_u32 s2, s2, -2
	s_addc_u32 s3, s3, -1
	s_cbranch_execnz .LBB320_122
.LBB320_121:
	s_add_u32 s2, s50, -2
	s_addc_u32 s3, s51, -1
.LBB320_122:
	s_mov_b64 s[50:51], s[2:3]
.LBB320_123:
	v_pk_mov_b32 v[14:15], s[50:51], s[50:51] op_sel:[0,1]
	flat_load_ushort v15, v[14:15]
	s_movk_i32 s2, 0xffd6
	s_waitcnt lgkmcnt(0)
	v_lshrrev_b32_e32 v14, 16, v13
	v_mad_i32_i24 v16, v0, s2, v1
	v_cmp_ne_u32_e32 vcc, 0, v0
	ds_write_b16 v16, v14 offset:11264
	s_waitcnt lgkmcnt(0)
	s_barrier
	s_and_saveexec_b64 s[2:3], vcc
	s_cbranch_execz .LBB320_125
; %bb.124:
	s_waitcnt vmcnt(0)
	v_mul_i32_i24_e32 v15, 0xffffffd6, v0
	v_add_u32_e32 v15, v1, v15
	ds_read_u16 v15, v15 offset:11262
.LBB320_125:
	s_or_b64 exec, exec, s[2:3]
	v_mov_b32_e32 v17, s67
	v_add_co_u32_e32 v16, vcc, s7, v12
	v_addc_co_u32_e32 v17, vcc, 0, v17, vcc
	s_movk_i32 s2, 0x1000
	v_add_co_u32_e32 v18, vcc, s2, v16
	v_addc_co_u32_e32 v19, vcc, 0, v17, vcc
	s_movk_i32 s2, 0x2000
	s_waitcnt lgkmcnt(0)
	s_barrier
	flat_load_ushort v20, v[16:17]
	flat_load_ushort v21, v[16:17] offset:512
	flat_load_ushort v22, v[16:17] offset:1024
	;; [unrolled: 1-line block ×7, first 2 shown]
	v_add_co_u32_e32 v16, vcc, s2, v16
	v_addc_co_u32_e32 v17, vcc, 0, v17, vcc
	flat_load_ushort v28, v[18:19]
	flat_load_ushort v29, v[18:19] offset:512
	flat_load_ushort v30, v[18:19] offset:1024
	;; [unrolled: 1-line block ×7, first 2 shown]
	s_nop 0
	flat_load_ushort v18, v[16:17]
	flat_load_ushort v19, v[16:17] offset:512
	flat_load_ushort v36, v[16:17] offset:1024
	;; [unrolled: 1-line block ×5, first 2 shown]
	v_cmp_ne_u16_sdwa s[4:5], v10, v10 src0_sel:DWORD src1_sel:WORD_1
	v_cndmask_b32_e64 v16, 0, 1, s[4:5]
	v_cmp_ne_u16_sdwa s[4:5], v10, v11 src0_sel:WORD_1 src1_sel:DWORD
	v_cndmask_b32_e64 v40, 0, 1, s[4:5]
	v_cmp_ne_u16_sdwa s[4:5], v11, v11 src0_sel:DWORD src1_sel:WORD_1
	v_cmp_ne_u16_e64 s[2:3], v13, v14
	s_waitcnt vmcnt(0)
	v_cmp_ne_u16_e32 vcc, v15, v10
	v_cndmask_b32_e64 v41, 0, 1, s[4:5]
	v_cmp_ne_u16_sdwa s[4:5], v11, v8 src0_sel:WORD_1 src1_sel:DWORD
	v_cndmask_b32_e64 v17, 0, 1, vcc
	v_cndmask_b32_e64 v42, 0, 1, s[4:5]
	v_cmp_ne_u16_sdwa s[4:5], v8, v8 src0_sel:DWORD src1_sel:WORD_1
	s_mov_b64 s[10:11], -1
                                        ; implicit-def: $sgpr76
	s_waitcnt lgkmcnt(0)
	ds_write_b16 v12, v20
	ds_write_b16 v12, v21 offset:512
	ds_write_b16 v12, v22 offset:1024
	;; [unrolled: 1-line block ×21, first 2 shown]
	s_waitcnt lgkmcnt(0)
	s_barrier
	ds_read2_b32 v[10:11], v1 offset0:8 offset1:9
	ds_read_b32 v35, v1 offset:40
	ds_read2_b32 v[14:15], v1 offset1:1
	ds_read2_b32 v[22:23], v1 offset0:2 offset1:3
	ds_read2_b32 v[26:27], v1 offset0:4 offset1:5
	;; [unrolled: 1-line block ×3, first 2 shown]
	s_waitcnt lgkmcnt(4)
	v_lshrrev_b32_e32 v36, 16, v35
	s_waitcnt lgkmcnt(3)
	v_and_b32_e32 v1, 0xffff, v14
	v_alignbit_b32 v16, v16, v14, 16
	v_and_b32_e32 v14, 0xffff, v15
	v_lshl_or_b32 v1, v17, 16, v1
	v_lshl_or_b32 v17, v40, 16, v14
	v_cndmask_b32_e64 v14, 0, 1, s[4:5]
	v_cmp_ne_u16_sdwa s[4:5], v8, v9 src0_sel:WORD_1 src1_sel:DWORD
	s_waitcnt lgkmcnt(2)
	v_alignbit_b32 v20, v14, v22, 16
	v_and_b32_e32 v14, 0xffff, v23
	v_cndmask_b32_e64 v8, 0, 1, s[4:5]
	v_cmp_ne_u16_sdwa s[4:5], v9, v9 src0_sel:DWORD src1_sel:WORD_1
	v_lshl_or_b32 v21, v8, 16, v14
	v_cndmask_b32_e64 v8, 0, 1, s[4:5]
	v_cmp_ne_u16_sdwa s[4:5], v9, v6 src0_sel:WORD_1 src1_sel:DWORD
	v_alignbit_b32 v18, v41, v15, 16
	v_and_b32_e32 v15, 0xffff, v22
	v_alignbit_b32 v22, v8, v23, 16
	s_waitcnt lgkmcnt(1)
	v_and_b32_e32 v8, 0xffff, v26
	v_cndmask_b32_e64 v9, 0, 1, s[4:5]
	v_cmp_ne_u16_sdwa s[4:5], v6, v6 src0_sel:DWORD src1_sel:WORD_1
	v_lshl_or_b32 v23, v9, 16, v8
	v_cndmask_b32_e64 v8, 0, 1, s[4:5]
	v_cmp_ne_u16_sdwa s[4:5], v6, v7 src0_sel:WORD_1 src1_sel:DWORD
	v_alignbit_b32 v24, v8, v26, 16
	v_and_b32_e32 v8, 0xffff, v27
	v_cndmask_b32_e64 v6, 0, 1, s[4:5]
	v_cmp_ne_u16_sdwa s[4:5], v7, v7 src0_sel:DWORD src1_sel:WORD_1
	v_lshl_or_b32 v25, v6, 16, v8
	v_cndmask_b32_e64 v6, 0, 1, s[4:5]
	v_cmp_ne_u16_sdwa s[4:5], v7, v4 src0_sel:WORD_1 src1_sel:DWORD
	v_alignbit_b32 v26, v6, v27, 16
	s_waitcnt lgkmcnt(0)
	v_and_b32_e32 v6, 0xffff, v30
	v_cndmask_b32_e64 v7, 0, 1, s[4:5]
	v_cmp_ne_u16_sdwa s[4:5], v4, v4 src0_sel:DWORD src1_sel:WORD_1
	v_lshl_or_b32 v27, v7, 16, v6
	v_cndmask_b32_e64 v6, 0, 1, s[4:5]
	v_cmp_ne_u16_sdwa s[4:5], v4, v5 src0_sel:WORD_1 src1_sel:DWORD
	v_alignbit_b32 v28, v6, v30, 16
	v_and_b32_e32 v6, 0xffff, v31
	v_cndmask_b32_e64 v4, 0, 1, s[4:5]
	v_cmp_ne_u16_sdwa s[4:5], v5, v5 src0_sel:DWORD src1_sel:WORD_1
	v_lshl_or_b32 v29, v4, 16, v6
	v_cndmask_b32_e64 v4, 0, 1, s[4:5]
	v_cmp_ne_u16_sdwa s[4:5], v5, v2 src0_sel:WORD_1 src1_sel:DWORD
	v_alignbit_b32 v30, v4, v31, 16
	;; [unrolled: 7-line block ×4, first 2 shown]
	v_and_b32_e32 v2, 0xffff, v35
	v_cndmask_b32_e64 v3, 0, 1, s[4:5]
	v_lshl_or_b32 v19, v42, 16, v15
	v_lshl_or_b32 v35, v3, 16, v2
.LBB320_126:
	v_mov_b32_e32 v13, s76
	s_and_saveexec_b64 s[4:5], s[10:11]
	s_cbranch_execz .LBB320_128
; %bb.127:
	v_mov_b32_e32 v2, 0x10000
	v_cndmask_b32_e64 v2, 0, v2, s[2:3]
	s_waitcnt lgkmcnt(0)
	v_or_b32_sdwa v13, v2, v36 dst_sel:DWORD dst_unused:UNUSED_PAD src0_sel:DWORD src1_sel:WORD_0
.LBB320_128:
	s_or_b64 exec, exec, s[4:5]
	v_or3_b32 v2, v13, v35, v34
	s_cmp_lg_u32 s6, 0
	v_or3_b32 v15, v2, v33, v32
	v_lshrrev_b32_e32 v14, 5, v0
	v_cmp_gt_u32_e32 vcc, 64, v0
	s_waitcnt lgkmcnt(0)
	s_barrier
	s_cbranch_scc0 .LBB320_189
; %bb.129:
	s_mov_b32 s7, 0x10000
	v_cmp_gt_u32_e64 s[2:3], s7, v16
	v_cndmask_b32_e64 v2, 0, v1, s[2:3]
	v_add_u16_e32 v2, v2, v16
	v_cmp_gt_u32_e64 s[4:5], s7, v17
	v_cndmask_b32_e64 v2, 0, v2, s[4:5]
	v_add_u16_e32 v2, v2, v17
	;; [unrolled: 3-line block ×21, first 2 shown]
	v_or3_b32 v2, v15, v31, v30
	v_or3_b32 v2, v2, v29, v28
	;; [unrolled: 1-line block ×8, first 2 shown]
	v_and_b32_e32 v2, 0x10000, v2
	v_lshrrev_b32_e32 v36, 16, v1
	v_cmp_ne_u32_e64 s[46:47], 0, v2
	v_mov_b32_e32 v5, 0x10000
	v_cndmask_b32_e64 v38, v36, 1, s[46:47]
	v_add_lshl_u32 v2, v14, v0, 2
	ds_write_b16 v2, v37
	ds_write_b8 v2, v38 offset:2
	s_waitcnt lgkmcnt(0)
	s_barrier
	s_and_saveexec_b64 s[48:49], vcc
	s_cbranch_execz .LBB320_143
; %bb.130:
	v_lshlrev_b32_e32 v2, 2, v0
	v_lshrrev_b32_e32 v3, 3, v0
	v_add_lshl_u32 v2, v3, v2, 2
	ds_read_b32 v3, v2
	ds_read_u16 v4, v2 offset:4
	ds_read_u8 v6, v2 offset:6
	ds_read_u16 v7, v2 offset:8
	ds_read_u8 v8, v2 offset:10
	;; [unrolled: 2-line block ×3, first 2 shown]
	v_mov_b32_e32 v11, 0
	s_waitcnt lgkmcnt(4)
	v_cmp_eq_u16_sdwa s[46:47], v6, v11 src0_sel:BYTE_0 src1_sel:DWORD
	v_cndmask_b32_e64 v39, 0, v3, s[46:47]
	v_add_u16_e32 v39, v39, v4
	s_waitcnt lgkmcnt(2)
	v_cmp_eq_u16_sdwa s[46:47], v8, v11 src0_sel:BYTE_0 src1_sel:DWORD
	s_waitcnt lgkmcnt(0)
	v_or_b32_e32 v8, v10, v8
	v_cndmask_b32_e64 v11, 0, v39, s[46:47]
	v_or_b32_e32 v6, v8, v6
	v_add_u16_e32 v7, v11, v7
	v_cmp_eq_u16_e64 s[46:47], 0, v10
	v_and_b32_e32 v6, 1, v6
	v_and_b32_e32 v4, 0x10000, v3
	v_cndmask_b32_e64 v11, 0, v7, s[46:47]
	v_cmp_eq_u32_e64 s[46:47], 1, v6
	v_mbcnt_lo_u32_b32 v6, -1, 0
	v_add_u16_e32 v7, v11, v9
	v_cndmask_b32_e64 v39, v4, v5, s[46:47]
	v_add_u16_e32 v9, v11, v9
	v_and_b32_e32 v5, 0xff000000, v3
	v_mbcnt_hi_u32_b32 v6, -1, v6
	v_or_b32_e32 v10, v39, v5
	v_and_b32_e32 v11, 15, v6
	v_or3_b32 v9, v5, v9, v39
	s_movk_i32 s7, 0xff
	v_lshrrev_b32_e32 v8, 16, v10
	v_mov_b32_dpp v39, v9 row_shr:1 row_mask:0xf bank_mask:0xf
	v_cmp_ne_u32_e64 s[46:47], 0, v11
	s_and_saveexec_b64 s[56:57], s[46:47]
	s_cbranch_execz .LBB320_132
; %bb.131:
	v_and_b32_sdwa v8, v10, s7 dst_sel:DWORD dst_unused:UNUSED_PAD src0_sel:WORD_1 src1_sel:DWORD
	v_cmp_eq_u16_e64 s[46:47], 0, v8
	v_and_b32_e32 v8, 0x10000, v10
	v_mov_b32_e32 v10, 1
	v_cndmask_b32_e64 v9, 0, v39, s[46:47]
	v_and_b32_sdwa v10, v39, v10 dst_sel:DWORD dst_unused:UNUSED_PAD src0_sel:WORD_1 src1_sel:DWORD
	v_cmp_ne_u32_e64 s[46:47], 0, v8
	v_cndmask_b32_e64 v8, v10, 1, s[46:47]
	v_add_u16_e32 v40, v9, v7
	v_lshlrev_b32_e32 v10, 16, v8
	v_add_u16_e32 v7, v9, v7
	v_or3_b32 v9, v10, v7, v5
	v_mov_b32_e32 v7, v40
.LBB320_132:
	s_or_b64 exec, exec, s[56:57]
	v_lshrrev_b32_e32 v10, 16, v9
	v_mov_b32_dpp v39, v9 row_shr:2 row_mask:0xf bank_mask:0xf
	v_cmp_lt_u32_e64 s[46:47], 1, v11
	s_and_saveexec_b64 s[56:57], s[46:47]
	s_cbranch_execz .LBB320_134
; %bb.133:
	v_mov_b32_e32 v8, 0
	v_cmp_eq_u16_sdwa s[46:47], v10, v8 src0_sel:BYTE_0 src1_sel:DWORD
	v_and_b32_e32 v8, 0x10000, v9
	v_mov_b32_e32 v9, 1
	v_cndmask_b32_e64 v10, 0, v39, s[46:47]
	v_and_b32_sdwa v9, v39, v9 dst_sel:DWORD dst_unused:UNUSED_PAD src0_sel:WORD_1 src1_sel:DWORD
	v_cmp_ne_u32_e64 s[46:47], 0, v8
	v_cndmask_b32_e64 v8, v9, 1, s[46:47]
	v_add_u16_e32 v40, v10, v7
	v_lshlrev_b32_e32 v9, 16, v8
	v_add_u16_e32 v7, v10, v7
	v_or3_b32 v9, v9, v7, v5
	v_mov_b32_e32 v10, v8
	v_mov_b32_e32 v7, v40
.LBB320_134:
	s_or_b64 exec, exec, s[56:57]
	v_mov_b32_dpp v39, v9 row_shr:4 row_mask:0xf bank_mask:0xf
	v_cmp_lt_u32_e64 s[46:47], 3, v11
	s_and_saveexec_b64 s[56:57], s[46:47]
	s_cbranch_execz .LBB320_136
; %bb.135:
	v_mov_b32_e32 v8, 0
	v_cmp_eq_u16_sdwa s[46:47], v10, v8 src0_sel:BYTE_0 src1_sel:DWORD
	v_and_b32_e32 v8, 1, v10
	v_mov_b32_e32 v10, 1
	v_cndmask_b32_e64 v9, 0, v39, s[46:47]
	v_and_b32_sdwa v10, v39, v10 dst_sel:DWORD dst_unused:UNUSED_PAD src0_sel:WORD_1 src1_sel:DWORD
	v_cmp_eq_u32_e64 s[46:47], 1, v8
	v_cndmask_b32_e64 v8, v10, 1, s[46:47]
	v_add_u16_e32 v40, v9, v7
	v_lshlrev_b32_e32 v10, 16, v8
	v_add_u16_e32 v7, v9, v7
	v_or3_b32 v9, v10, v7, v5
	v_mov_b32_e32 v10, v8
	v_mov_b32_e32 v7, v40
.LBB320_136:
	s_or_b64 exec, exec, s[56:57]
	v_mov_b32_dpp v39, v9 row_shr:8 row_mask:0xf bank_mask:0xf
	v_cmp_lt_u32_e64 s[46:47], 7, v11
	s_and_saveexec_b64 s[56:57], s[46:47]
	s_cbranch_execz .LBB320_138
; %bb.137:
	v_mov_b32_e32 v8, 0
	v_cmp_eq_u16_sdwa s[46:47], v10, v8 src0_sel:BYTE_0 src1_sel:DWORD
	v_and_b32_e32 v8, 1, v10
	v_mov_b32_e32 v10, 1
	v_cndmask_b32_e64 v9, 0, v39, s[46:47]
	v_and_b32_sdwa v10, v39, v10 dst_sel:DWORD dst_unused:UNUSED_PAD src0_sel:WORD_1 src1_sel:DWORD
	v_cmp_eq_u32_e64 s[46:47], 1, v8
	v_cndmask_b32_e64 v8, v10, 1, s[46:47]
	v_add_u16_e32 v11, v9, v7
	v_lshlrev_b32_e32 v10, 16, v8
	v_add_u16_e32 v7, v9, v7
	v_or3_b32 v9, v10, v7, v5
	v_mov_b32_e32 v10, v8
	v_mov_b32_e32 v7, v11
.LBB320_138:
	s_or_b64 exec, exec, s[56:57]
	v_and_b32_e32 v39, 16, v6
	v_mov_b32_dpp v11, v9 row_bcast:15 row_mask:0xf bank_mask:0xf
	v_cmp_ne_u32_e64 s[46:47], 0, v39
	s_and_saveexec_b64 s[56:57], s[46:47]
	s_cbranch_execz .LBB320_140
; %bb.139:
	v_mov_b32_e32 v8, 0
	v_cmp_eq_u16_sdwa s[46:47], v10, v8 src0_sel:BYTE_0 src1_sel:DWORD
	v_and_b32_e32 v8, 1, v10
	v_mov_b32_e32 v10, 1
	v_cndmask_b32_e64 v9, 0, v11, s[46:47]
	v_and_b32_sdwa v10, v11, v10 dst_sel:DWORD dst_unused:UNUSED_PAD src0_sel:WORD_1 src1_sel:DWORD
	v_cmp_eq_u32_e64 s[46:47], 1, v8
	v_cndmask_b32_e64 v8, v10, 1, s[46:47]
	v_add_u16_e32 v39, v9, v7
	v_lshlrev_b32_e32 v10, 16, v8
	v_add_u16_e32 v7, v9, v7
	v_or3_b32 v9, v10, v7, v5
	v_mov_b32_e32 v10, v8
	v_mov_b32_e32 v7, v39
.LBB320_140:
	s_or_b64 exec, exec, s[56:57]
	v_mov_b32_dpp v9, v9 row_bcast:31 row_mask:0xf bank_mask:0xf
	v_cmp_lt_u32_e64 s[46:47], 31, v6
	s_and_saveexec_b64 s[56:57], s[46:47]
; %bb.141:
	v_mov_b32_e32 v8, 0
	v_cmp_eq_u16_sdwa s[46:47], v10, v8 src0_sel:BYTE_0 src1_sel:DWORD
	v_cndmask_b32_e64 v8, 0, v9, s[46:47]
	v_add_u16_e32 v7, v8, v7
	v_and_b32_e32 v8, 1, v10
	v_mov_b32_e32 v10, 1
	v_and_b32_sdwa v9, v9, v10 dst_sel:DWORD dst_unused:UNUSED_PAD src0_sel:WORD_1 src1_sel:DWORD
	v_cmp_eq_u32_e64 s[46:47], 1, v8
	v_cndmask_b32_e64 v8, v9, 1, s[46:47]
; %bb.142:
	s_or_b64 exec, exec, s[56:57]
	v_and_b32_e32 v8, 0xff, v8
	v_lshlrev_b32_e32 v8, 16, v8
	v_and_b32_e32 v7, 0xffff, v7
	v_or3_b32 v5, v8, v7, v5
	v_add_u32_e32 v7, -1, v6
	v_and_b32_e32 v8, 64, v6
	v_cmp_lt_i32_e64 s[46:47], v7, v8
	v_cndmask_b32_e64 v6, v7, v6, s[46:47]
	v_lshlrev_b32_e32 v6, 2, v6
	ds_bpermute_b32 v5, v6, v5
	v_and_b32_e32 v6, 0xff0000, v3
	v_cmp_eq_u32_e64 s[46:47], 0, v6
	; wave barrier
	s_waitcnt lgkmcnt(0)
	v_cndmask_b32_e64 v6, 0, v5, s[46:47]
	v_add_u16_e32 v3, v6, v3
	v_mov_b32_e32 v6, 1
	v_and_b32_sdwa v5, v5, v6 dst_sel:DWORD dst_unused:UNUSED_PAD src0_sel:WORD_1 src1_sel:DWORD
	v_cmp_eq_u32_e64 s[46:47], 0, v4
	v_cndmask_b32_e64 v4, 1, v5, s[46:47]
	v_cmp_eq_u32_e64 s[46:47], 0, v0
	v_cndmask_b32_e64 v3, v3, v37, s[46:47]
	v_cndmask_b32_e64 v4, v4, v38, s[46:47]
	ds_write_b16 v2, v3
	ds_write_b8 v2, v4 offset:2
	; wave barrier
	ds_read_u16 v5, v2 offset:4
	ds_read_u8 v6, v2 offset:6
	ds_read_u16 v7, v2 offset:8
	ds_read_u8 v8, v2 offset:10
	;; [unrolled: 2-line block ×3, first 2 shown]
	s_waitcnt lgkmcnt(4)
	v_cmp_eq_u16_e64 s[46:47], 0, v6
	v_cndmask_b32_e64 v3, 0, v3, s[46:47]
	v_add_u16_e32 v3, v3, v5
	v_and_b32_e32 v5, 1, v6
	v_cmp_eq_u32_e64 s[46:47], 1, v5
	v_cndmask_b32_e64 v4, v4, 1, s[46:47]
	s_waitcnt lgkmcnt(2)
	v_cmp_eq_u16_e64 s[46:47], 0, v8
	v_and_b32_e32 v5, 1, v8
	ds_write_b16 v2, v3 offset:4
	ds_write_b8 v2, v4 offset:6
	v_cndmask_b32_e64 v3, 0, v3, s[46:47]
	v_cmp_eq_u32_e64 s[46:47], 1, v5
	v_add_u16_e32 v3, v3, v7
	v_cndmask_b32_e64 v4, v4, 1, s[46:47]
	s_waitcnt lgkmcnt(2)
	v_cmp_eq_u16_e64 s[46:47], 0, v10
	ds_write_b16 v2, v3 offset:8
	ds_write_b8 v2, v4 offset:10
	v_cndmask_b32_e64 v3, 0, v3, s[46:47]
	v_and_b32_e32 v5, 1, v10
	v_add_u16_e32 v3, v3, v9
	v_cmp_eq_u32_e64 s[46:47], 1, v5
	v_cndmask_b32_e64 v4, v4, 1, s[46:47]
	ds_write_b16 v2, v3 offset:12
	ds_write_b8 v2, v4 offset:14
.LBB320_143:
	s_or_b64 exec, exec, s[48:49]
	v_cmp_eq_u32_e64 s[46:47], 0, v0
	v_cmp_ne_u32_e64 s[48:49], 0, v0
	s_waitcnt lgkmcnt(0)
	s_barrier
	s_and_saveexec_b64 s[56:57], s[48:49]
	s_cbranch_execz .LBB320_145
; %bb.144:
	v_add_u32_e32 v2, -1, v0
	v_lshrrev_b32_e32 v3, 5, v2
	v_add_lshl_u32 v2, v3, v2, 2
	ds_read_u16 v37, v2
	ds_read_u8 v38, v2 offset:2
.LBB320_145:
	s_or_b64 exec, exec, s[56:57]
	s_and_saveexec_b64 s[56:57], vcc
	s_cbranch_execz .LBB320_188
; %bb.146:
	v_mov_b32_e32 v9, 0
	ds_read_b32 v2, v9 offset:1048
	v_mbcnt_lo_u32_b32 v3, -1, 0
	v_mbcnt_hi_u32_b32 v5, -1, v3
	s_mov_b32 s63, 0
	v_cmp_eq_u32_e64 s[48:49], 0, v5
	s_and_saveexec_b64 s[60:61], s[48:49]
	s_cbranch_execz .LBB320_148
; %bb.147:
	s_add_i32 s62, s6, 64
	s_lshl_b64 s[62:63], s[62:63], 3
	s_add_u32 s62, s64, s62
	v_mov_b32_e32 v3, 1
	s_addc_u32 s63, s65, s63
	s_waitcnt lgkmcnt(0)
	global_store_dwordx2 v9, v[2:3], s[62:63]
.LBB320_148:
	s_or_b64 exec, exec, s[60:61]
	v_xad_u32 v4, v5, -1, s6
	v_add_u32_e32 v8, 64, v4
	v_lshlrev_b64 v[6:7], 3, v[8:9]
	v_mov_b32_e32 v3, s65
	v_add_co_u32_e32 v10, vcc, s64, v6
	v_addc_co_u32_e32 v11, vcc, v3, v7, vcc
	global_load_dwordx2 v[6:7], v[10:11], off glc
	s_waitcnt vmcnt(0)
	v_cmp_eq_u16_sdwa s[62:63], v7, v9 src0_sel:BYTE_0 src1_sel:DWORD
	s_and_saveexec_b64 s[60:61], s[62:63]
	s_cbranch_execz .LBB320_152
; %bb.149:
	s_mov_b64 s[62:63], 0
	v_mov_b32_e32 v3, 0
.LBB320_150:                            ; =>This Inner Loop Header: Depth=1
	global_load_dwordx2 v[6:7], v[10:11], off glc
	s_waitcnt vmcnt(0)
	v_cmp_ne_u16_sdwa s[72:73], v7, v3 src0_sel:BYTE_0 src1_sel:DWORD
	s_or_b64 s[62:63], s[72:73], s[62:63]
	s_andn2_b64 exec, exec, s[62:63]
	s_cbranch_execnz .LBB320_150
; %bb.151:
	s_or_b64 exec, exec, s[62:63]
.LBB320_152:
	s_or_b64 exec, exec, s[60:61]
	v_mov_b32_e32 v3, 2
	v_cmp_eq_u16_sdwa s[60:61], v7, v3 src0_sel:BYTE_0 src1_sel:DWORD
	v_lshlrev_b64 v[8:9], v5, -1
	v_and_b32_e32 v3, s61, v9
	v_or_b32_e32 v3, 0x80000000, v3
	v_ffbl_b32_e32 v3, v3
	v_add_u32_e32 v11, 32, v3
	v_and_b32_e32 v3, 63, v5
	v_cmp_ne_u32_e32 vcc, 63, v3
	v_addc_co_u32_e32 v39, vcc, 0, v5, vcc
	v_and_b32_e32 v50, 0xffffff, v6
	v_lshlrev_b32_e32 v39, 2, v39
	ds_bpermute_b32 v40, v39, v50
	v_and_b32_e32 v10, s60, v8
	v_ffbl_b32_e32 v10, v10
	v_min_u32_e32 v11, v10, v11
	v_lshrrev_b32_e32 v10, 16, v6
	v_cmp_lt_u32_e32 vcc, v3, v11
	v_bfe_u32 v48, v6, 16, 8
	s_and_saveexec_b64 s[60:61], vcc
	s_cbranch_execz .LBB320_154
; %bb.153:
	v_and_b32_e32 v10, 0xff0000, v6
	v_cmp_eq_u32_e32 vcc, 0, v10
	v_and_b32_e32 v10, 0x10000, v10
	v_mov_b32_e32 v43, 1
	s_waitcnt lgkmcnt(0)
	v_cndmask_b32_e32 v41, 0, v40, vcc
	v_and_b32_sdwa v40, v40, v43 dst_sel:DWORD dst_unused:UNUSED_PAD src0_sel:WORD_1 src1_sel:DWORD
	v_cmp_ne_u32_e32 vcc, 0, v10
	v_cndmask_b32_e64 v10, v40, 1, vcc
	v_add_u16_e32 v42, v41, v6
	v_lshlrev_b32_e32 v40, 16, v10
	v_add_u16_e32 v6, v41, v6
	v_or_b32_e32 v50, v40, v6
	v_mov_b32_e32 v6, v42
	v_mov_b32_e32 v48, v10
.LBB320_154:
	s_or_b64 exec, exec, s[60:61]
	v_cmp_gt_u32_e32 vcc, 62, v3
	s_waitcnt lgkmcnt(0)
	v_cndmask_b32_e64 v40, 0, 1, vcc
	v_lshlrev_b32_e32 v40, 1, v40
	v_add_lshl_u32 v40, v40, v5, 2
	ds_bpermute_b32 v42, v40, v50
	v_add_u32_e32 v41, 2, v3
	v_cmp_le_u32_e32 vcc, v41, v11
	s_and_saveexec_b64 s[60:61], vcc
	s_cbranch_execz .LBB320_156
; %bb.155:
	v_cmp_eq_u16_e32 vcc, 0, v48
	v_and_b32_e32 v10, 1, v48
	v_mov_b32_e32 v45, 1
	s_waitcnt lgkmcnt(0)
	v_cndmask_b32_e32 v43, 0, v42, vcc
	v_and_b32_sdwa v42, v42, v45 dst_sel:DWORD dst_unused:UNUSED_PAD src0_sel:WORD_1 src1_sel:DWORD
	v_cmp_eq_u32_e32 vcc, 1, v10
	v_cndmask_b32_e64 v10, v42, 1, vcc
	v_add_u16_e32 v44, v43, v6
	v_lshlrev_b32_e32 v42, 16, v10
	v_add_u16_e32 v6, v43, v6
	v_or_b32_e32 v50, v42, v6
	v_mov_b32_e32 v6, v44
	v_mov_b32_e32 v48, v10
.LBB320_156:
	s_or_b64 exec, exec, s[60:61]
	v_cmp_gt_u32_e32 vcc, 60, v3
	s_waitcnt lgkmcnt(0)
	v_cndmask_b32_e64 v42, 0, 1, vcc
	v_lshlrev_b32_e32 v42, 2, v42
	v_add_lshl_u32 v42, v42, v5, 2
	ds_bpermute_b32 v44, v42, v50
	v_add_u32_e32 v43, 4, v3
	v_cmp_le_u32_e32 vcc, v43, v11
	s_and_saveexec_b64 s[60:61], vcc
	s_cbranch_execz .LBB320_158
; %bb.157:
	v_cmp_eq_u16_e32 vcc, 0, v48
	v_and_b32_e32 v10, 1, v48
	v_mov_b32_e32 v47, 1
	s_waitcnt lgkmcnt(0)
	v_cndmask_b32_e32 v45, 0, v44, vcc
	v_and_b32_sdwa v44, v44, v47 dst_sel:DWORD dst_unused:UNUSED_PAD src0_sel:WORD_1 src1_sel:DWORD
	v_cmp_eq_u32_e32 vcc, 1, v10
	v_cndmask_b32_e64 v10, v44, 1, vcc
	v_add_u16_e32 v46, v45, v6
	v_lshlrev_b32_e32 v44, 16, v10
	v_add_u16_e32 v6, v45, v6
	v_or_b32_e32 v50, v44, v6
	v_mov_b32_e32 v6, v46
	v_mov_b32_e32 v48, v10
.LBB320_158:
	;; [unrolled: 27-line block ×4, first 2 shown]
	s_or_b64 exec, exec, s[60:61]
	v_cmp_gt_u32_e32 vcc, 32, v3
	s_waitcnt lgkmcnt(0)
	v_cndmask_b32_e64 v49, 0, 1, vcc
	v_lshlrev_b32_e32 v49, 5, v49
	v_add_lshl_u32 v49, v49, v5, 2
	ds_bpermute_b32 v5, v49, v50
	v_add_u32_e32 v50, 32, v3
	v_cmp_le_u32_e32 vcc, v50, v11
	s_and_saveexec_b64 s[60:61], vcc
	s_cbranch_execz .LBB320_164
; %bb.163:
	v_cmp_eq_u16_e32 vcc, 0, v48
	s_waitcnt lgkmcnt(0)
	v_cndmask_b32_e32 v10, 0, v5, vcc
	v_add_u16_e32 v6, v10, v6
	v_and_b32_e32 v10, 1, v48
	v_mov_b32_e32 v11, 1
	v_and_b32_sdwa v5, v5, v11 dst_sel:DWORD dst_unused:UNUSED_PAD src0_sel:WORD_1 src1_sel:DWORD
	v_cmp_eq_u32_e32 vcc, 1, v10
	v_cndmask_b32_e64 v10, v5, 1, vcc
.LBB320_164:
	s_or_b64 exec, exec, s[60:61]
	s_waitcnt lgkmcnt(0)
	v_mov_b32_e32 v5, 0
	v_mov_b32_e32 v52, 2
	;; [unrolled: 1-line block ×3, first 2 shown]
	s_branch .LBB320_166
.LBB320_165:                            ;   in Loop: Header=BB320_166 Depth=1
	s_or_b64 exec, exec, s[60:61]
	v_cmp_eq_u16_sdwa vcc, v48, v5 src0_sel:BYTE_0 src1_sel:DWORD
	v_and_b32_e32 v10, 1, v48
	v_cndmask_b32_e32 v6, 0, v6, vcc
	v_and_b32_e32 v11, 1, v11
	v_cmp_eq_u32_e32 vcc, 1, v10
	v_subrev_u32_e32 v4, 64, v4
	v_add_u16_e32 v6, v6, v51
	v_cndmask_b32_e64 v10, v11, 1, vcc
.LBB320_166:                            ; =>This Loop Header: Depth=1
                                        ;     Child Loop BB320_169 Depth 2
	v_cmp_ne_u16_sdwa s[60:61], v7, v52 src0_sel:BYTE_0 src1_sel:DWORD
	v_cndmask_b32_e64 v7, 0, 1, s[60:61]
	;;#ASMSTART
	;;#ASMEND
	v_cmp_ne_u32_e32 vcc, 0, v7
	v_mov_b32_e32 v48, v10
	s_cmp_lg_u64 vcc, exec
	v_mov_b32_e32 v51, v6
	s_cbranch_scc1 .LBB320_183
; %bb.167:                              ;   in Loop: Header=BB320_166 Depth=1
	v_lshlrev_b64 v[6:7], 3, v[4:5]
	v_mov_b32_e32 v11, s65
	v_add_co_u32_e32 v10, vcc, s64, v6
	v_addc_co_u32_e32 v11, vcc, v11, v7, vcc
	global_load_dwordx2 v[6:7], v[10:11], off glc
	s_waitcnt vmcnt(0)
	v_cmp_eq_u16_sdwa s[62:63], v7, v5 src0_sel:BYTE_0 src1_sel:DWORD
	s_and_saveexec_b64 s[60:61], s[62:63]
	s_cbranch_execz .LBB320_171
; %bb.168:                              ;   in Loop: Header=BB320_166 Depth=1
	s_mov_b64 s[62:63], 0
.LBB320_169:                            ;   Parent Loop BB320_166 Depth=1
                                        ; =>  This Inner Loop Header: Depth=2
	global_load_dwordx2 v[6:7], v[10:11], off glc
	s_waitcnt vmcnt(0)
	v_cmp_ne_u16_sdwa s[72:73], v7, v5 src0_sel:BYTE_0 src1_sel:DWORD
	s_or_b64 s[62:63], s[72:73], s[62:63]
	s_andn2_b64 exec, exec, s[62:63]
	s_cbranch_execnz .LBB320_169
; %bb.170:                              ;   in Loop: Header=BB320_166 Depth=1
	s_or_b64 exec, exec, s[62:63]
.LBB320_171:                            ;   in Loop: Header=BB320_166 Depth=1
	s_or_b64 exec, exec, s[60:61]
	v_cmp_eq_u16_sdwa s[60:61], v7, v52 src0_sel:BYTE_0 src1_sel:DWORD
	v_and_b32_e32 v10, s61, v9
	s_waitcnt lgkmcnt(0)
	v_and_b32_e32 v55, 0xffffff, v6
	v_or_b32_e32 v10, 0x80000000, v10
	ds_bpermute_b32 v56, v39, v55
	v_and_b32_e32 v11, s60, v8
	v_ffbl_b32_e32 v10, v10
	v_add_u32_e32 v10, 32, v10
	v_ffbl_b32_e32 v11, v11
	v_min_u32_e32 v10, v11, v10
	v_lshrrev_b32_e32 v11, 16, v6
	v_cmp_lt_u32_e32 vcc, v3, v10
	v_bfe_u32 v54, v6, 16, 8
	s_and_saveexec_b64 s[60:61], vcc
	s_cbranch_execz .LBB320_173
; %bb.172:                              ;   in Loop: Header=BB320_166 Depth=1
	v_and_b32_e32 v11, 0xff0000, v6
	v_cmp_eq_u32_e32 vcc, 0, v11
	v_and_b32_e32 v11, 0x10000, v11
	s_waitcnt lgkmcnt(0)
	v_cndmask_b32_e32 v54, 0, v56, vcc
	v_and_b32_sdwa v55, v56, v53 dst_sel:DWORD dst_unused:UNUSED_PAD src0_sel:WORD_1 src1_sel:DWORD
	v_cmp_ne_u32_e32 vcc, 0, v11
	v_cndmask_b32_e64 v11, v55, 1, vcc
	v_add_u16_e32 v57, v54, v6
	v_lshlrev_b32_e32 v55, 16, v11
	v_add_u16_e32 v6, v54, v6
	v_or_b32_e32 v55, v55, v6
	v_mov_b32_e32 v6, v57
	v_mov_b32_e32 v54, v11
.LBB320_173:                            ;   in Loop: Header=BB320_166 Depth=1
	s_or_b64 exec, exec, s[60:61]
	s_waitcnt lgkmcnt(0)
	ds_bpermute_b32 v56, v40, v55
	v_cmp_le_u32_e32 vcc, v41, v10
	s_and_saveexec_b64 s[60:61], vcc
	s_cbranch_execz .LBB320_175
; %bb.174:                              ;   in Loop: Header=BB320_166 Depth=1
	v_cmp_eq_u16_e32 vcc, 0, v54
	v_and_b32_e32 v11, 1, v54
	s_waitcnt lgkmcnt(0)
	v_cndmask_b32_e32 v55, 0, v56, vcc
	v_and_b32_sdwa v54, v56, v53 dst_sel:DWORD dst_unused:UNUSED_PAD src0_sel:WORD_1 src1_sel:DWORD
	v_cmp_eq_u32_e32 vcc, 1, v11
	v_cndmask_b32_e64 v11, v54, 1, vcc
	v_add_u16_e32 v57, v55, v6
	v_lshlrev_b32_e32 v54, 16, v11
	v_add_u16_e32 v6, v55, v6
	v_or_b32_e32 v55, v54, v6
	v_mov_b32_e32 v6, v57
	v_mov_b32_e32 v54, v11
.LBB320_175:                            ;   in Loop: Header=BB320_166 Depth=1
	s_or_b64 exec, exec, s[60:61]
	s_waitcnt lgkmcnt(0)
	ds_bpermute_b32 v56, v42, v55
	v_cmp_le_u32_e32 vcc, v43, v10
	s_and_saveexec_b64 s[60:61], vcc
	s_cbranch_execz .LBB320_177
; %bb.176:                              ;   in Loop: Header=BB320_166 Depth=1
	v_cmp_eq_u16_e32 vcc, 0, v54
	v_and_b32_e32 v11, 1, v54
	s_waitcnt lgkmcnt(0)
	v_cndmask_b32_e32 v55, 0, v56, vcc
	v_and_b32_sdwa v54, v56, v53 dst_sel:DWORD dst_unused:UNUSED_PAD src0_sel:WORD_1 src1_sel:DWORD
	v_cmp_eq_u32_e32 vcc, 1, v11
	v_cndmask_b32_e64 v11, v54, 1, vcc
	v_add_u16_e32 v57, v55, v6
	v_lshlrev_b32_e32 v54, 16, v11
	v_add_u16_e32 v6, v55, v6
	v_or_b32_e32 v55, v54, v6
	v_mov_b32_e32 v6, v57
	v_mov_b32_e32 v54, v11
.LBB320_177:                            ;   in Loop: Header=BB320_166 Depth=1
	;; [unrolled: 21-line block ×4, first 2 shown]
	s_or_b64 exec, exec, s[60:61]
	ds_bpermute_b32 v55, v49, v55
	v_cmp_le_u32_e32 vcc, v50, v10
	s_and_saveexec_b64 s[60:61], vcc
	s_cbranch_execz .LBB320_165
; %bb.182:                              ;   in Loop: Header=BB320_166 Depth=1
	v_cmp_eq_u16_e32 vcc, 0, v54
	s_waitcnt lgkmcnt(0)
	v_cndmask_b32_e32 v10, 0, v55, vcc
	v_add_u16_e32 v6, v10, v6
	v_and_b32_e32 v10, 1, v54
	v_lshrrev_b32_e32 v11, 16, v55
	v_cmp_eq_u32_e32 vcc, 1, v10
	v_cndmask_b32_e64 v11, v11, 1, vcc
	s_branch .LBB320_165
.LBB320_183:                            ;   in Loop: Header=BB320_166 Depth=1
                                        ; implicit-def: $vgpr10
                                        ; implicit-def: $vgpr6
	s_cbranch_execz .LBB320_166
; %bb.184:
	s_and_saveexec_b64 s[60:61], s[48:49]
	s_cbranch_execz .LBB320_186
; %bb.185:
	v_and_b32_e32 v3, 0xff0000, v2
	s_mov_b32 s7, 0
	v_cmp_eq_u32_e32 vcc, 0, v3
	v_and_b32_e32 v4, 0x10000, v2
	v_mov_b32_e32 v5, 1
	s_add_i32 s6, s6, 64
	v_cndmask_b32_e32 v3, 0, v51, vcc
	v_and_b32_sdwa v5, v48, v5 dst_sel:WORD_1 dst_unused:UNUSED_PAD src0_sel:DWORD src1_sel:DWORD
	v_mov_b32_e32 v6, 0x10000
	v_cmp_eq_u32_e32 vcc, 0, v4
	s_lshl_b64 s[6:7], s[6:7], 3
	v_cndmask_b32_e32 v4, v6, v5, vcc
	s_add_u32 s6, s64, s6
	v_add_u16_e32 v2, v3, v2
	s_addc_u32 s7, s65, s7
	v_mov_b32_e32 v5, 0
	v_or_b32_e32 v2, v4, v2
	v_mov_b32_e32 v3, 2
	global_store_dwordx2 v5, v[2:3], s[6:7]
.LBB320_186:
	s_or_b64 exec, exec, s[60:61]
	s_and_b64 exec, exec, s[46:47]
	s_cbranch_execz .LBB320_188
; %bb.187:
	v_mov_b32_e32 v2, 0
	ds_write_b16 v2, v51
	ds_write_b8 v2, v48 offset:2
.LBB320_188:
	s_or_b64 exec, exec, s[56:57]
	v_mov_b32_e32 v2, 0
	s_mov_b32 s6, 0x10000
	s_waitcnt lgkmcnt(0)
	s_barrier
	ds_read_b32 v3, v2
	v_cmp_gt_u32_e32 vcc, s6, v1
	v_and_b32_e32 v5, 0x10000, v1
	v_cndmask_b32_e32 v4, 0, v37, vcc
	v_and_b32_e32 v6, 1, v38
	v_cmp_ne_u32_e32 vcc, 0, v5
	v_cndmask_b32_e64 v5, v6, 1, vcc
	v_cndmask_b32_e64 v5, v5, v36, s[46:47]
	v_cndmask_b32_e64 v4, v4, 0, s[46:47]
	v_cmp_eq_u16_sdwa vcc, v5, v2 src0_sel:BYTE_0 src1_sel:DWORD
	v_add_u16_e32 v4, v4, v1
	s_waitcnt lgkmcnt(0)
	v_cndmask_b32_e32 v2, 0, v3, vcc
	v_add_u16_e32 v49, v4, v2
	v_cndmask_b32_e64 v2, 0, v49, s[2:3]
	v_add_u16_e32 v4, v2, v16
	v_cndmask_b32_e64 v2, 0, v4, s[4:5]
	;; [unrolled: 2-line block ×21, first 2 shown]
	v_add_u16_e32 v48, v2, v13
	s_branch .LBB320_211
.LBB320_189:
                                        ; implicit-def: $vgpr49
                                        ; implicit-def: $vgpr4
                                        ; implicit-def: $vgpr5
                                        ; implicit-def: $vgpr6
                                        ; implicit-def: $vgpr7
                                        ; implicit-def: $vgpr8
                                        ; implicit-def: $vgpr9
                                        ; implicit-def: $vgpr10
                                        ; implicit-def: $vgpr11
                                        ; implicit-def: $vgpr36
                                        ; implicit-def: $vgpr37
                                        ; implicit-def: $vgpr38
                                        ; implicit-def: $vgpr39
                                        ; implicit-def: $vgpr40
                                        ; implicit-def: $vgpr41
                                        ; implicit-def: $vgpr42
                                        ; implicit-def: $vgpr43
                                        ; implicit-def: $vgpr44
                                        ; implicit-def: $vgpr45
                                        ; implicit-def: $vgpr46
                                        ; implicit-def: $vgpr47
                                        ; implicit-def: $vgpr48
	s_cbranch_execz .LBB320_211
; %bb.190:
	s_cmp_lg_u64 s[70:71], 0
	s_cselect_b32 s5, s59, 0
	s_cselect_b32 s4, s58, 0
	s_cmp_lg_u64 s[4:5], 0
	s_cselect_b64 s[6:7], -1, 0
	v_cmp_eq_u32_e32 vcc, 0, v0
	v_cmp_ne_u32_e64 s[2:3], 0, v0
	s_and_b64 s[8:9], vcc, s[6:7]
	s_and_saveexec_b64 s[6:7], s[8:9]
	s_cbranch_execz .LBB320_192
; %bb.191:
	v_mov_b32_e32 v2, 0
	global_load_ushort v3, v2, s[4:5]
	global_load_ubyte v4, v2, s[4:5] offset:2
	s_mov_b32 s4, 0x10000
	v_and_b32_e32 v2, 0x10000, v1
	v_mov_b32_e32 v5, 1
	v_cmp_gt_u32_e64 s[4:5], s4, v1
	v_mov_b32_e32 v6, 0x10000
	s_waitcnt vmcnt(1)
	v_cndmask_b32_e64 v3, 0, v3, s[4:5]
	s_waitcnt vmcnt(0)
	v_and_b32_sdwa v4, v4, v5 dst_sel:WORD_1 dst_unused:UNUSED_PAD src0_sel:DWORD src1_sel:DWORD
	v_cmp_eq_u32_e64 s[4:5], 0, v2
	v_add_u16_e32 v1, v3, v1
	v_cndmask_b32_e64 v2, v6, v4, s[4:5]
	v_or_b32_e32 v1, v2, v1
.LBB320_192:
	s_or_b64 exec, exec, s[6:7]
	s_mov_b32 s46, 0x10000
	v_cmp_gt_u32_e64 s[4:5], s46, v16
	v_cndmask_b32_e64 v3, 0, v1, s[4:5]
	v_add_u16_e32 v4, v3, v16
	v_cmp_gt_u32_e64 s[6:7], s46, v17
	v_cndmask_b32_e64 v3, 0, v4, s[6:7]
	v_add_u16_e32 v5, v3, v17
	v_cmp_gt_u32_e64 s[8:9], s46, v18
	v_cndmask_b32_e64 v3, 0, v5, s[8:9]
	v_add_u16_e32 v6, v3, v18
	v_cmp_gt_u32_e64 s[10:11], s46, v19
	v_cndmask_b32_e64 v3, 0, v6, s[10:11]
	v_add_u16_e32 v7, v3, v19
	v_cmp_gt_u32_e64 s[12:13], s46, v20
	v_cndmask_b32_e64 v3, 0, v7, s[12:13]
	v_add_u16_e32 v8, v3, v20
	v_cmp_gt_u32_e64 s[14:15], s46, v21
	v_cndmask_b32_e64 v3, 0, v8, s[14:15]
	v_add_u16_e32 v9, v3, v21
	v_cmp_gt_u32_e64 s[16:17], s46, v22
	v_cndmask_b32_e64 v3, 0, v9, s[16:17]
	v_add_u16_e32 v10, v3, v22
	v_cmp_gt_u32_e64 s[18:19], s46, v23
	v_cndmask_b32_e64 v3, 0, v10, s[18:19]
	v_add_u16_e32 v11, v3, v23
	v_cmp_gt_u32_e64 s[20:21], s46, v24
	v_cndmask_b32_e64 v3, 0, v11, s[20:21]
	v_add_u16_e32 v36, v3, v24
	v_cmp_gt_u32_e64 s[22:23], s46, v25
	v_cndmask_b32_e64 v3, 0, v36, s[22:23]
	v_add_u16_e32 v37, v3, v25
	v_cmp_gt_u32_e64 s[24:25], s46, v26
	v_cndmask_b32_e64 v3, 0, v37, s[24:25]
	v_add_u16_e32 v38, v3, v26
	v_cmp_gt_u32_e64 s[26:27], s46, v27
	v_cndmask_b32_e64 v3, 0, v38, s[26:27]
	v_add_u16_e32 v39, v3, v27
	v_cmp_gt_u32_e64 s[28:29], s46, v28
	v_cndmask_b32_e64 v3, 0, v39, s[28:29]
	v_add_u16_e32 v40, v3, v28
	v_cmp_gt_u32_e64 s[30:31], s46, v29
	v_cndmask_b32_e64 v3, 0, v40, s[30:31]
	v_add_u16_e32 v41, v3, v29
	v_cmp_gt_u32_e64 s[34:35], s46, v30
	v_cndmask_b32_e64 v3, 0, v41, s[34:35]
	v_add_u16_e32 v42, v3, v30
	v_cmp_gt_u32_e64 s[36:37], s46, v31
	v_cndmask_b32_e64 v3, 0, v42, s[36:37]
	v_add_u16_e32 v43, v3, v31
	v_cmp_gt_u32_e64 s[38:39], s46, v32
	v_cndmask_b32_e64 v3, 0, v43, s[38:39]
	v_add_u16_e32 v44, v3, v32
	v_cmp_gt_u32_e64 s[40:41], s46, v33
	v_cndmask_b32_e64 v3, 0, v44, s[40:41]
	v_add_u16_e32 v45, v3, v33
	v_cmp_gt_u32_e64 s[42:43], s46, v34
	v_cndmask_b32_e64 v3, 0, v45, s[42:43]
	v_add_u16_e32 v46, v3, v34
	v_cmp_gt_u32_e64 s[44:45], s46, v35
	v_cndmask_b32_e64 v3, 0, v46, s[44:45]
	v_add_u16_e32 v47, v3, v35
	v_cmp_gt_u32_e64 s[46:47], s46, v13
	v_cndmask_b32_e64 v3, 0, v47, s[46:47]
	v_add_u16_e32 v48, v3, v13
	v_or3_b32 v3, v15, v31, v30
	v_or3_b32 v3, v3, v29, v28
	;; [unrolled: 1-line block ×8, first 2 shown]
	v_and_b32_e32 v3, 0x10000, v3
	v_lshrrev_b32_e32 v2, 16, v1
	v_cmp_ne_u32_e64 s[48:49], 0, v3
	v_mov_b32_e32 v49, 0x10000
	v_cndmask_b32_e64 v3, v2, 1, s[48:49]
	v_add_lshl_u32 v2, v14, v0, 2
	v_cmp_gt_u32_e64 s[48:49], 64, v0
	ds_write_b16 v2, v48
	ds_write_b8 v2, v3 offset:2
	s_waitcnt lgkmcnt(0)
	s_barrier
	s_and_saveexec_b64 s[50:51], s[48:49]
	s_cbranch_execz .LBB320_206
; %bb.193:
	v_lshlrev_b32_e32 v2, 2, v0
	v_lshrrev_b32_e32 v14, 3, v0
	v_add_lshl_u32 v2, v14, v2, 2
	ds_read_b32 v14, v2
	ds_read_u16 v15, v2 offset:4
	ds_read_u8 v50, v2 offset:6
	ds_read_u16 v51, v2 offset:8
	ds_read_u8 v52, v2 offset:10
	;; [unrolled: 2-line block ×3, first 2 shown]
	v_mov_b32_e32 v55, 0
	s_waitcnt lgkmcnt(4)
	v_cmp_eq_u16_sdwa s[48:49], v50, v55 src0_sel:BYTE_0 src1_sel:DWORD
	v_cndmask_b32_e64 v56, 0, v14, s[48:49]
	v_add_u16_e32 v56, v56, v15
	s_waitcnt lgkmcnt(2)
	v_cmp_eq_u16_sdwa s[48:49], v52, v55 src0_sel:BYTE_0 src1_sel:DWORD
	s_waitcnt lgkmcnt(0)
	v_or_b32_e32 v52, v54, v52
	v_cndmask_b32_e64 v55, 0, v56, s[48:49]
	v_or_b32_e32 v50, v52, v50
	v_add_u16_e32 v51, v55, v51
	v_cmp_eq_u16_e64 s[48:49], 0, v54
	v_and_b32_e32 v50, 1, v50
	v_and_b32_e32 v15, 0x10000, v14
	v_cndmask_b32_e64 v55, 0, v51, s[48:49]
	v_cmp_eq_u32_e64 s[48:49], 1, v50
	v_mbcnt_lo_u32_b32 v50, -1, 0
	v_add_u16_e32 v51, v55, v53
	v_cndmask_b32_e64 v56, v15, v49, s[48:49]
	v_add_u16_e32 v53, v55, v53
	v_and_b32_e32 v49, 0xff000000, v14
	v_mbcnt_hi_u32_b32 v50, -1, v50
	v_or_b32_e32 v54, v56, v49
	v_and_b32_e32 v55, 15, v50
	v_or3_b32 v53, v49, v53, v56
	s_movk_i32 s58, 0xff
	v_lshrrev_b32_e32 v52, 16, v54
	v_mov_b32_dpp v56, v53 row_shr:1 row_mask:0xf bank_mask:0xf
	v_cmp_ne_u32_e64 s[48:49], 0, v55
	s_and_saveexec_b64 s[56:57], s[48:49]
	s_cbranch_execz .LBB320_195
; %bb.194:
	v_and_b32_sdwa v52, v54, s58 dst_sel:DWORD dst_unused:UNUSED_PAD src0_sel:WORD_1 src1_sel:DWORD
	v_cmp_eq_u16_e64 s[48:49], 0, v52
	v_and_b32_e32 v52, 0x10000, v54
	v_mov_b32_e32 v54, 1
	v_cndmask_b32_e64 v53, 0, v56, s[48:49]
	v_and_b32_sdwa v54, v56, v54 dst_sel:DWORD dst_unused:UNUSED_PAD src0_sel:WORD_1 src1_sel:DWORD
	v_cmp_ne_u32_e64 s[48:49], 0, v52
	v_cndmask_b32_e64 v52, v54, 1, s[48:49]
	v_add_u16_e32 v57, v53, v51
	v_lshlrev_b32_e32 v54, 16, v52
	v_add_u16_e32 v51, v53, v51
	v_or3_b32 v53, v54, v51, v49
	v_mov_b32_e32 v51, v57
.LBB320_195:
	s_or_b64 exec, exec, s[56:57]
	v_lshrrev_b32_e32 v54, 16, v53
	v_mov_b32_dpp v56, v53 row_shr:2 row_mask:0xf bank_mask:0xf
	v_cmp_lt_u32_e64 s[48:49], 1, v55
	s_and_saveexec_b64 s[56:57], s[48:49]
	s_cbranch_execz .LBB320_197
; %bb.196:
	v_mov_b32_e32 v52, 0
	v_cmp_eq_u16_sdwa s[48:49], v54, v52 src0_sel:BYTE_0 src1_sel:DWORD
	v_and_b32_e32 v52, 0x10000, v53
	v_mov_b32_e32 v53, 1
	v_cndmask_b32_e64 v54, 0, v56, s[48:49]
	v_and_b32_sdwa v53, v56, v53 dst_sel:DWORD dst_unused:UNUSED_PAD src0_sel:WORD_1 src1_sel:DWORD
	v_cmp_ne_u32_e64 s[48:49], 0, v52
	v_cndmask_b32_e64 v52, v53, 1, s[48:49]
	v_add_u16_e32 v57, v54, v51
	v_lshlrev_b32_e32 v53, 16, v52
	v_add_u16_e32 v51, v54, v51
	v_or3_b32 v53, v53, v51, v49
	v_mov_b32_e32 v54, v52
	v_mov_b32_e32 v51, v57
.LBB320_197:
	s_or_b64 exec, exec, s[56:57]
	v_mov_b32_dpp v56, v53 row_shr:4 row_mask:0xf bank_mask:0xf
	v_cmp_lt_u32_e64 s[48:49], 3, v55
	s_and_saveexec_b64 s[56:57], s[48:49]
	s_cbranch_execz .LBB320_199
; %bb.198:
	v_mov_b32_e32 v52, 0
	v_cmp_eq_u16_sdwa s[48:49], v54, v52 src0_sel:BYTE_0 src1_sel:DWORD
	v_and_b32_e32 v52, 1, v54
	v_mov_b32_e32 v54, 1
	v_cndmask_b32_e64 v53, 0, v56, s[48:49]
	v_and_b32_sdwa v54, v56, v54 dst_sel:DWORD dst_unused:UNUSED_PAD src0_sel:WORD_1 src1_sel:DWORD
	v_cmp_eq_u32_e64 s[48:49], 1, v52
	v_cndmask_b32_e64 v52, v54, 1, s[48:49]
	v_add_u16_e32 v57, v53, v51
	v_lshlrev_b32_e32 v54, 16, v52
	v_add_u16_e32 v51, v53, v51
	v_or3_b32 v53, v54, v51, v49
	v_mov_b32_e32 v54, v52
	v_mov_b32_e32 v51, v57
.LBB320_199:
	s_or_b64 exec, exec, s[56:57]
	v_mov_b32_dpp v56, v53 row_shr:8 row_mask:0xf bank_mask:0xf
	v_cmp_lt_u32_e64 s[48:49], 7, v55
	s_and_saveexec_b64 s[56:57], s[48:49]
	s_cbranch_execz .LBB320_201
; %bb.200:
	v_mov_b32_e32 v52, 0
	v_cmp_eq_u16_sdwa s[48:49], v54, v52 src0_sel:BYTE_0 src1_sel:DWORD
	v_and_b32_e32 v52, 1, v54
	v_mov_b32_e32 v54, 1
	v_cndmask_b32_e64 v53, 0, v56, s[48:49]
	v_and_b32_sdwa v54, v56, v54 dst_sel:DWORD dst_unused:UNUSED_PAD src0_sel:WORD_1 src1_sel:DWORD
	v_cmp_eq_u32_e64 s[48:49], 1, v52
	v_cndmask_b32_e64 v52, v54, 1, s[48:49]
	v_add_u16_e32 v55, v53, v51
	v_lshlrev_b32_e32 v54, 16, v52
	v_add_u16_e32 v51, v53, v51
	v_or3_b32 v53, v54, v51, v49
	v_mov_b32_e32 v54, v52
	v_mov_b32_e32 v51, v55
.LBB320_201:
	s_or_b64 exec, exec, s[56:57]
	v_and_b32_e32 v56, 16, v50
	v_mov_b32_dpp v55, v53 row_bcast:15 row_mask:0xf bank_mask:0xf
	v_cmp_ne_u32_e64 s[48:49], 0, v56
	s_and_saveexec_b64 s[56:57], s[48:49]
	s_cbranch_execz .LBB320_203
; %bb.202:
	v_mov_b32_e32 v52, 0
	v_cmp_eq_u16_sdwa s[48:49], v54, v52 src0_sel:BYTE_0 src1_sel:DWORD
	v_and_b32_e32 v52, 1, v54
	v_mov_b32_e32 v54, 1
	v_cndmask_b32_e64 v53, 0, v55, s[48:49]
	v_and_b32_sdwa v54, v55, v54 dst_sel:DWORD dst_unused:UNUSED_PAD src0_sel:WORD_1 src1_sel:DWORD
	v_cmp_eq_u32_e64 s[48:49], 1, v52
	v_cndmask_b32_e64 v52, v54, 1, s[48:49]
	v_add_u16_e32 v56, v53, v51
	v_lshlrev_b32_e32 v54, 16, v52
	v_add_u16_e32 v51, v53, v51
	v_or3_b32 v53, v54, v51, v49
	v_mov_b32_e32 v54, v52
	v_mov_b32_e32 v51, v56
.LBB320_203:
	s_or_b64 exec, exec, s[56:57]
	v_mov_b32_dpp v53, v53 row_bcast:31 row_mask:0xf bank_mask:0xf
	v_cmp_lt_u32_e64 s[48:49], 31, v50
	s_and_saveexec_b64 s[56:57], s[48:49]
; %bb.204:
	v_mov_b32_e32 v52, 0
	v_cmp_eq_u16_sdwa s[48:49], v54, v52 src0_sel:BYTE_0 src1_sel:DWORD
	v_cndmask_b32_e64 v52, 0, v53, s[48:49]
	v_add_u16_e32 v51, v52, v51
	v_and_b32_e32 v52, 1, v54
	v_mov_b32_e32 v54, 1
	v_and_b32_sdwa v53, v53, v54 dst_sel:DWORD dst_unused:UNUSED_PAD src0_sel:WORD_1 src1_sel:DWORD
	v_cmp_eq_u32_e64 s[48:49], 1, v52
	v_cndmask_b32_e64 v52, v53, 1, s[48:49]
; %bb.205:
	s_or_b64 exec, exec, s[56:57]
	v_and_b32_e32 v52, 0xff, v52
	v_lshlrev_b32_e32 v52, 16, v52
	v_and_b32_e32 v51, 0xffff, v51
	v_or3_b32 v49, v52, v51, v49
	v_add_u32_e32 v51, -1, v50
	v_and_b32_e32 v52, 64, v50
	v_cmp_lt_i32_e64 s[48:49], v51, v52
	v_cndmask_b32_e64 v50, v51, v50, s[48:49]
	v_lshlrev_b32_e32 v50, 2, v50
	ds_bpermute_b32 v49, v50, v49
	v_and_b32_e32 v50, 0xff0000, v14
	v_cmp_eq_u32_e64 s[48:49], 0, v50
	; wave barrier
	s_waitcnt lgkmcnt(0)
	v_cndmask_b32_e64 v50, 0, v49, s[48:49]
	v_add_u16_e32 v14, v50, v14
	v_mov_b32_e32 v50, 1
	v_and_b32_sdwa v49, v49, v50 dst_sel:DWORD dst_unused:UNUSED_PAD src0_sel:WORD_1 src1_sel:DWORD
	v_cmp_eq_u32_e64 s[48:49], 0, v15
	v_cndmask_b32_e64 v15, 1, v49, s[48:49]
	v_cndmask_b32_e32 v14, v14, v48, vcc
	v_cndmask_b32_e32 v3, v15, v3, vcc
	ds_write_b16 v2, v14
	ds_write_b8 v2, v3 offset:2
	; wave barrier
	ds_read_u16 v15, v2 offset:4
	ds_read_u8 v49, v2 offset:6
	ds_read_u16 v50, v2 offset:8
	ds_read_u8 v51, v2 offset:10
	;; [unrolled: 2-line block ×3, first 2 shown]
	s_waitcnt lgkmcnt(4)
	v_cmp_eq_u16_e64 s[48:49], 0, v49
	v_cndmask_b32_e64 v14, 0, v14, s[48:49]
	v_add_u16_e32 v14, v14, v15
	v_and_b32_e32 v15, 1, v49
	v_cmp_eq_u32_e64 s[48:49], 1, v15
	v_cndmask_b32_e64 v3, v3, 1, s[48:49]
	s_waitcnt lgkmcnt(2)
	v_cmp_eq_u16_e64 s[48:49], 0, v51
	v_and_b32_e32 v15, 1, v51
	ds_write_b16 v2, v14 offset:4
	ds_write_b8 v2, v3 offset:6
	v_cndmask_b32_e64 v14, 0, v14, s[48:49]
	v_cmp_eq_u32_e64 s[48:49], 1, v15
	v_add_u16_e32 v14, v14, v50
	v_cndmask_b32_e64 v3, v3, 1, s[48:49]
	s_waitcnt lgkmcnt(2)
	v_cmp_eq_u16_e64 s[48:49], 0, v53
	ds_write_b16 v2, v14 offset:8
	ds_write_b8 v2, v3 offset:10
	v_cndmask_b32_e64 v14, 0, v14, s[48:49]
	v_and_b32_e32 v15, 1, v53
	v_add_u16_e32 v14, v14, v52
	v_cmp_eq_u32_e64 s[48:49], 1, v15
	v_cndmask_b32_e64 v3, v3, 1, s[48:49]
	ds_write_b16 v2, v14 offset:12
	ds_write_b8 v2, v3 offset:14
.LBB320_206:
	s_or_b64 exec, exec, s[50:51]
	v_mov_b32_e32 v2, v48
	s_waitcnt lgkmcnt(0)
	s_barrier
	s_and_saveexec_b64 s[48:49], s[2:3]
	s_cbranch_execnz .LBB320_281
; %bb.207:
	s_or_b64 exec, exec, s[48:49]
	s_and_saveexec_b64 s[48:49], s[2:3]
	s_cbranch_execnz .LBB320_282
.LBB320_208:
	s_or_b64 exec, exec, s[48:49]
	s_and_saveexec_b64 s[2:3], vcc
	s_cbranch_execz .LBB320_210
.LBB320_209:
	v_mov_b32_e32 v13, 0
	s_waitcnt lgkmcnt(0)
	ds_read_u8 v2, v13 offset:1050
	ds_read_u16 v3, v13 offset:1048
	s_waitcnt lgkmcnt(1)
	v_lshlrev_b32_e32 v2, 16, v2
	s_waitcnt lgkmcnt(0)
	v_or_b32_e32 v2, v2, v3
	v_mov_b32_e32 v3, 2
	global_store_dwordx2 v13, v[2:3], s[64:65] offset:512
.LBB320_210:
	s_or_b64 exec, exec, s[2:3]
	v_mov_b32_e32 v49, v1
.LBB320_211:
	s_add_u32 s2, s54, s68
	s_addc_u32 s3, s55, s69
	s_add_u32 s4, s2, s52
	s_addc_u32 s5, s3, s53
	s_and_b64 vcc, exec, s[0:1]
	v_mul_u32_u24_e32 v14, 22, v0
	s_cbranch_vccz .LBB320_255
; %bb.212:
	s_mov_b32 s0, 0x5040100
	v_lshlrev_b32_e32 v33, 1, v14
	v_perm_b32 v1, v6, v5, s0
	s_waitcnt lgkmcnt(0)
	v_perm_b32 v2, v4, v49, s0
	s_barrier
	ds_write2_b32 v33, v2, v1 offset1:1
	v_perm_b32 v1, v10, v9, s0
	v_perm_b32 v2, v8, v7, s0
	ds_write2_b32 v33, v2, v1 offset0:2 offset1:3
	v_perm_b32 v1, v38, v37, s0
	v_perm_b32 v2, v36, v11, s0
	ds_write2_b32 v33, v2, v1 offset0:4 offset1:5
	;; [unrolled: 3-line block ×4, first 2 shown]
	v_perm_b32 v1, v48, v47, s0
	s_movk_i32 s0, 0xffd6
	v_mad_i32_i24 v2, v0, s0, v33
	ds_write_b32 v33, v1 offset:40
	s_waitcnt lgkmcnt(0)
	s_barrier
	ds_read_u16 v35, v2 offset:512
	ds_read_u16 v34, v2 offset:1024
	;; [unrolled: 1-line block ×21, first 2 shown]
	v_mov_b32_e32 v3, s5
	v_add_co_u32_e32 v2, vcc, s4, v12
	s_add_i32 s33, s33, s66
	v_addc_co_u32_e32 v3, vcc, 0, v3, vcc
	v_mov_b32_e32 v1, 0
	v_cmp_gt_u32_e32 vcc, s33, v0
	s_and_saveexec_b64 s[0:1], vcc
	s_cbranch_execz .LBB320_214
; %bb.213:
	v_mul_i32_i24_e32 v50, 0xffffffd6, v0
	v_add_u32_e32 v33, v33, v50
	ds_read_u16 v33, v33
	s_waitcnt lgkmcnt(0)
	flat_store_short v[2:3], v33
.LBB320_214:
	s_or_b64 exec, exec, s[0:1]
	v_or_b32_e32 v33, 0x100, v0
	v_cmp_gt_u32_e32 vcc, s33, v33
	s_and_saveexec_b64 s[0:1], vcc
	s_cbranch_execz .LBB320_216
; %bb.215:
	s_waitcnt lgkmcnt(0)
	flat_store_short v[2:3], v35 offset:512
.LBB320_216:
	s_or_b64 exec, exec, s[0:1]
	v_or_b32_e32 v33, 0x200, v0
	v_cmp_gt_u32_e32 vcc, s33, v33
	s_and_saveexec_b64 s[0:1], vcc
	s_cbranch_execz .LBB320_218
; %bb.217:
	s_waitcnt lgkmcnt(0)
	flat_store_short v[2:3], v34 offset:1024
.LBB320_218:
	;; [unrolled: 9-line block ×3, first 2 shown]
	s_or_b64 exec, exec, s[0:1]
	s_waitcnt lgkmcnt(0)
	v_or_b32_e32 v32, 0x400, v0
	v_cmp_gt_u32_e32 vcc, s33, v32
	s_and_saveexec_b64 s[0:1], vcc
	s_cbranch_execz .LBB320_222
; %bb.221:
	flat_store_short v[2:3], v31 offset:2048
.LBB320_222:
	s_or_b64 exec, exec, s[0:1]
	v_or_b32_e32 v31, 0x500, v0
	v_cmp_gt_u32_e32 vcc, s33, v31
	s_and_saveexec_b64 s[0:1], vcc
	s_cbranch_execz .LBB320_224
; %bb.223:
	flat_store_short v[2:3], v30 offset:2560
.LBB320_224:
	s_or_b64 exec, exec, s[0:1]
	;; [unrolled: 8-line block ×4, first 2 shown]
	v_or_b32_e32 v28, 0x800, v0
	v_cmp_gt_u32_e32 vcc, s33, v28
	s_and_saveexec_b64 s[0:1], vcc
	s_cbranch_execz .LBB320_230
; %bb.229:
	v_add_co_u32_e32 v28, vcc, 0x1000, v2
	v_addc_co_u32_e32 v29, vcc, 0, v3, vcc
	flat_store_short v[28:29], v27
.LBB320_230:
	s_or_b64 exec, exec, s[0:1]
	v_or_b32_e32 v27, 0x900, v0
	v_cmp_gt_u32_e32 vcc, s33, v27
	s_and_saveexec_b64 s[0:1], vcc
	s_cbranch_execz .LBB320_232
; %bb.231:
	v_add_co_u32_e32 v28, vcc, 0x1000, v2
	v_addc_co_u32_e32 v29, vcc, 0, v3, vcc
	flat_store_short v[28:29], v26 offset:512
.LBB320_232:
	s_or_b64 exec, exec, s[0:1]
	v_or_b32_e32 v26, 0xa00, v0
	v_cmp_gt_u32_e32 vcc, s33, v26
	s_and_saveexec_b64 s[0:1], vcc
	s_cbranch_execz .LBB320_234
; %bb.233:
	v_add_co_u32_e32 v26, vcc, 0x1000, v2
	v_addc_co_u32_e32 v27, vcc, 0, v3, vcc
	flat_store_short v[26:27], v25 offset:1024
.LBB320_234:
	;; [unrolled: 10-line block ×7, first 2 shown]
	s_or_b64 exec, exec, s[0:1]
	v_or_b32_e32 v20, 0x1000, v0
	v_cmp_gt_u32_e32 vcc, s33, v20
	s_and_saveexec_b64 s[0:1], vcc
	s_cbranch_execz .LBB320_246
; %bb.245:
	v_add_co_u32_e32 v20, vcc, 0x2000, v2
	v_addc_co_u32_e32 v21, vcc, 0, v3, vcc
	flat_store_short v[20:21], v19
.LBB320_246:
	s_or_b64 exec, exec, s[0:1]
	v_or_b32_e32 v19, 0x1100, v0
	v_cmp_gt_u32_e32 vcc, s33, v19
	s_and_saveexec_b64 s[0:1], vcc
	s_cbranch_execz .LBB320_248
; %bb.247:
	v_add_co_u32_e32 v20, vcc, 0x2000, v2
	v_addc_co_u32_e32 v21, vcc, 0, v3, vcc
	flat_store_short v[20:21], v18 offset:512
.LBB320_248:
	s_or_b64 exec, exec, s[0:1]
	v_or_b32_e32 v18, 0x1200, v0
	v_cmp_gt_u32_e32 vcc, s33, v18
	s_and_saveexec_b64 s[0:1], vcc
	s_cbranch_execz .LBB320_250
; %bb.249:
	v_add_co_u32_e32 v18, vcc, 0x2000, v2
	v_addc_co_u32_e32 v19, vcc, 0, v3, vcc
	flat_store_short v[18:19], v17 offset:1024
.LBB320_250:
	;; [unrolled: 10-line block ×4, first 2 shown]
	s_or_b64 exec, exec, s[0:1]
	v_or_b32_e32 v2, 0x1500, v0
	v_cmp_gt_u32_e64 s[0:1], s33, v2
	s_branch .LBB320_257
.LBB320_255:
	s_mov_b64 s[0:1], 0
                                        ; implicit-def: $vgpr13
	s_cbranch_execz .LBB320_257
; %bb.256:
	s_mov_b32 s2, 0x5040100
	s_waitcnt lgkmcnt(0)
	v_lshlrev_b32_e32 v2, 1, v14
	v_perm_b32 v1, v6, v5, s2
	v_perm_b32 v3, v4, v49, s2
	s_barrier
	ds_write2_b32 v2, v3, v1 offset1:1
	v_perm_b32 v1, v10, v9, s2
	v_perm_b32 v3, v8, v7, s2
	ds_write2_b32 v2, v3, v1 offset0:2 offset1:3
	v_perm_b32 v1, v38, v37, s2
	v_perm_b32 v3, v36, v11, s2
	ds_write2_b32 v2, v3, v1 offset0:4 offset1:5
	;; [unrolled: 3-line block ×4, first 2 shown]
	v_perm_b32 v1, v48, v47, s2
	s_movk_i32 s2, 0xffd6
	ds_write_b32 v2, v1 offset:40
	v_mad_i32_i24 v2, v0, s2, v2
	s_waitcnt lgkmcnt(0)
	s_barrier
	ds_read_u16 v4, v2
	ds_read_u16 v5, v2 offset:512
	ds_read_u16 v6, v2 offset:1024
	;; [unrolled: 1-line block ×21, first 2 shown]
	v_mov_b32_e32 v3, s5
	v_add_co_u32_e32 v2, vcc, s4, v12
	v_addc_co_u32_e32 v3, vcc, 0, v3, vcc
	s_movk_i32 s2, 0x1000
	s_waitcnt lgkmcnt(0)
	flat_store_short v[2:3], v4
	flat_store_short v[2:3], v5 offset:512
	flat_store_short v[2:3], v6 offset:1024
	flat_store_short v[2:3], v7 offset:1536
	flat_store_short v[2:3], v8 offset:2048
	flat_store_short v[2:3], v9 offset:2560
	flat_store_short v[2:3], v10 offset:3072
	flat_store_short v[2:3], v11 offset:3584
	v_add_co_u32_e32 v4, vcc, s2, v2
	v_addc_co_u32_e32 v5, vcc, 0, v3, vcc
	v_add_co_u32_e32 v2, vcc, 0x2000, v2
	v_mov_b32_e32 v1, 0
	v_addc_co_u32_e32 v3, vcc, 0, v3, vcc
	s_or_b64 s[0:1], s[0:1], exec
	flat_store_short v[4:5], v14
	flat_store_short v[4:5], v15 offset:512
	flat_store_short v[4:5], v16 offset:1024
	;; [unrolled: 1-line block ×7, first 2 shown]
	flat_store_short v[2:3], v22
	flat_store_short v[2:3], v23 offset:512
	flat_store_short v[2:3], v24 offset:1024
	;; [unrolled: 1-line block ×4, first 2 shown]
.LBB320_257:
	s_and_saveexec_b64 s[2:3], s[0:1]
	s_cbranch_execnz .LBB320_259
; %bb.258:
	s_endpgm
.LBB320_259:
	v_lshlrev_b64 v[0:1], 1, v[0:1]
	s_waitcnt lgkmcnt(0)
	v_mov_b32_e32 v2, s5
	v_add_co_u32_e32 v0, vcc, s4, v0
	v_addc_co_u32_e32 v1, vcc, v2, v1, vcc
	v_add_co_u32_e32 v0, vcc, 0x2000, v0
	v_addc_co_u32_e32 v1, vcc, 0, v1, vcc
	flat_store_short v[0:1], v13 offset:2560
	s_endpgm
.LBB320_260:
	v_mov_b32_e32 v27, s67
	v_add_co_u32_e32 v26, vcc, s7, v20
	v_addc_co_u32_e32 v27, vcc, 0, v27, vcc
	flat_load_ushort v26, v[26:27]
	s_or_b64 exec, exec, s[56:57]
                                        ; implicit-def: $vgpr27
	s_and_saveexec_b64 s[2:3], s[4:5]
	s_cbranch_execz .LBB320_53
.LBB320_261:
	v_mov_b32_e32 v27, s67
	v_add_co_u32_e32 v28, vcc, s7, v20
	v_addc_co_u32_e32 v29, vcc, 0, v27, vcc
	flat_load_ushort v27, v[28:29] offset:512
	s_or_b64 exec, exec, s[2:3]
                                        ; implicit-def: $vgpr28
	s_and_saveexec_b64 s[2:3], s[48:49]
	s_cbranch_execz .LBB320_54
.LBB320_262:
	v_mov_b32_e32 v29, s67
	v_add_co_u32_e32 v28, vcc, s7, v20
	v_addc_co_u32_e32 v29, vcc, 0, v29, vcc
	flat_load_ushort v28, v[28:29] offset:1024
	s_or_b64 exec, exec, s[2:3]
                                        ; implicit-def: $vgpr29
	s_and_saveexec_b64 s[2:3], s[8:9]
	s_cbranch_execz .LBB320_55
.LBB320_263:
	v_mov_b32_e32 v29, s67
	v_add_co_u32_e32 v30, vcc, s7, v20
	v_addc_co_u32_e32 v31, vcc, 0, v29, vcc
	flat_load_ushort v29, v[30:31] offset:1536
	s_or_b64 exec, exec, s[2:3]
                                        ; implicit-def: $vgpr30
	s_and_saveexec_b64 s[2:3], s[10:11]
	s_cbranch_execz .LBB320_56
.LBB320_264:
	v_mov_b32_e32 v31, s67
	v_add_co_u32_e32 v30, vcc, s7, v20
	v_addc_co_u32_e32 v31, vcc, 0, v31, vcc
	flat_load_ushort v30, v[30:31] offset:2048
	s_or_b64 exec, exec, s[2:3]
                                        ; implicit-def: $vgpr31
	s_and_saveexec_b64 s[2:3], s[12:13]
	s_cbranch_execz .LBB320_57
.LBB320_265:
	v_mov_b32_e32 v31, s67
	v_add_co_u32_e32 v32, vcc, s7, v20
	v_addc_co_u32_e32 v33, vcc, 0, v31, vcc
	flat_load_ushort v31, v[32:33] offset:2560
	s_or_b64 exec, exec, s[2:3]
                                        ; implicit-def: $vgpr32
	s_and_saveexec_b64 s[2:3], s[14:15]
	s_cbranch_execz .LBB320_58
.LBB320_266:
	v_mov_b32_e32 v33, s67
	v_add_co_u32_e32 v32, vcc, s7, v20
	v_addc_co_u32_e32 v33, vcc, 0, v33, vcc
	flat_load_ushort v32, v[32:33] offset:3072
	s_or_b64 exec, exec, s[2:3]
                                        ; implicit-def: $vgpr33
	s_and_saveexec_b64 s[2:3], s[16:17]
	s_cbranch_execz .LBB320_59
.LBB320_267:
	v_mov_b32_e32 v33, s67
	v_add_co_u32_e32 v34, vcc, s7, v20
	v_addc_co_u32_e32 v35, vcc, 0, v33, vcc
	flat_load_ushort v33, v[34:35] offset:3584
	s_or_b64 exec, exec, s[2:3]
                                        ; implicit-def: $vgpr34
	s_and_saveexec_b64 s[2:3], s[18:19]
	s_cbranch_execz .LBB320_60
.LBB320_268:
	v_mov_b32_e32 v35, s67
	v_add_co_u32_e32 v34, vcc, s7, v1
	v_addc_co_u32_e32 v35, vcc, 0, v35, vcc
	flat_load_ushort v34, v[34:35]
	s_or_b64 exec, exec, s[2:3]
                                        ; implicit-def: $vgpr1
	s_and_saveexec_b64 s[2:3], s[20:21]
	s_cbranch_execz .LBB320_61
.LBB320_269:
	v_mov_b32_e32 v1, s67
	v_add_co_u32_e32 v42, vcc, s7, v2
	v_addc_co_u32_e32 v43, vcc, 0, v1, vcc
	flat_load_ushort v1, v[42:43]
	s_or_b64 exec, exec, s[2:3]
                                        ; implicit-def: $vgpr2
	s_and_saveexec_b64 s[2:3], s[22:23]
	s_cbranch_execz .LBB320_62
.LBB320_270:
	v_mov_b32_e32 v35, s67
	v_add_co_u32_e32 v2, vcc, s7, v3
	v_addc_co_u32_e32 v3, vcc, 0, v35, vcc
	flat_load_ushort v2, v[2:3]
	s_or_b64 exec, exec, s[2:3]
                                        ; implicit-def: $vgpr3
	s_and_saveexec_b64 s[2:3], s[24:25]
	s_cbranch_execz .LBB320_63
.LBB320_271:
	v_mov_b32_e32 v3, s67
	v_add_co_u32_e32 v42, vcc, s7, v4
	v_addc_co_u32_e32 v43, vcc, 0, v3, vcc
	flat_load_ushort v3, v[42:43]
	s_or_b64 exec, exec, s[2:3]
                                        ; implicit-def: $vgpr4
	s_and_saveexec_b64 s[2:3], s[26:27]
	s_cbranch_execz .LBB320_64
.LBB320_272:
	v_mov_b32_e32 v35, s67
	v_add_co_u32_e32 v4, vcc, s7, v5
	v_addc_co_u32_e32 v5, vcc, 0, v35, vcc
	flat_load_ushort v4, v[4:5]
	s_or_b64 exec, exec, s[2:3]
                                        ; implicit-def: $vgpr5
	s_and_saveexec_b64 s[2:3], s[28:29]
	s_cbranch_execz .LBB320_65
.LBB320_273:
	v_mov_b32_e32 v5, s67
	v_add_co_u32_e32 v42, vcc, s7, v16
	v_addc_co_u32_e32 v43, vcc, 0, v5, vcc
	flat_load_ushort v5, v[42:43]
	s_or_b64 exec, exec, s[2:3]
                                        ; implicit-def: $vgpr16
	s_and_saveexec_b64 s[2:3], s[30:31]
	s_cbranch_execz .LBB320_66
.LBB320_274:
	v_mov_b32_e32 v35, s67
	v_add_co_u32_e32 v16, vcc, s7, v17
	v_addc_co_u32_e32 v17, vcc, 0, v35, vcc
	flat_load_ushort v16, v[16:17]
	s_or_b64 exec, exec, s[2:3]
                                        ; implicit-def: $vgpr17
	s_and_saveexec_b64 s[2:3], s[34:35]
	s_cbranch_execz .LBB320_67
.LBB320_275:
	v_mov_b32_e32 v17, s67
	v_add_co_u32_e32 v42, vcc, s7, v18
	v_addc_co_u32_e32 v43, vcc, 0, v17, vcc
	flat_load_ushort v17, v[42:43]
	s_or_b64 exec, exec, s[2:3]
                                        ; implicit-def: $vgpr18
	s_and_saveexec_b64 s[2:3], s[36:37]
	s_cbranch_execz .LBB320_68
.LBB320_276:
	v_mov_b32_e32 v35, s67
	v_add_co_u32_e32 v18, vcc, s7, v19
	v_addc_co_u32_e32 v19, vcc, 0, v35, vcc
	flat_load_ushort v18, v[18:19]
	s_or_b64 exec, exec, s[2:3]
                                        ; implicit-def: $vgpr19
	s_and_saveexec_b64 s[2:3], s[38:39]
	s_cbranch_execz .LBB320_69
.LBB320_277:
	v_mov_b32_e32 v19, s67
	v_add_co_u32_e32 v42, vcc, s7, v21
	v_addc_co_u32_e32 v43, vcc, 0, v19, vcc
	flat_load_ushort v19, v[42:43]
	s_or_b64 exec, exec, s[2:3]
                                        ; implicit-def: $vgpr21
	s_and_saveexec_b64 s[2:3], s[40:41]
	s_cbranch_execz .LBB320_70
.LBB320_278:
	v_mov_b32_e32 v21, s67
	v_add_co_u32_e32 v42, vcc, s7, v22
	v_addc_co_u32_e32 v43, vcc, 0, v21, vcc
	flat_load_ushort v21, v[42:43]
	s_or_b64 exec, exec, s[2:3]
                                        ; implicit-def: $vgpr22
	s_and_saveexec_b64 s[2:3], s[42:43]
	s_cbranch_execz .LBB320_71
.LBB320_279:
	v_mov_b32_e32 v35, s67
	v_add_co_u32_e32 v22, vcc, s7, v23
	v_addc_co_u32_e32 v23, vcc, 0, v35, vcc
	flat_load_ushort v22, v[22:23]
	s_or_b64 exec, exec, s[2:3]
                                        ; implicit-def: $vgpr23
	s_and_saveexec_b64 s[2:3], s[44:45]
	s_cbranch_execz .LBB320_72
.LBB320_280:
	v_mov_b32_e32 v23, s67
	v_add_co_u32_e32 v42, vcc, s7, v24
	v_addc_co_u32_e32 v43, vcc, 0, v23, vcc
	flat_load_ushort v23, v[42:43]
	s_or_b64 exec, exec, s[2:3]
                                        ; implicit-def: $vgpr24
	s_and_saveexec_b64 s[2:3], s[46:47]
	s_cbranch_execnz .LBB320_73
	s_branch .LBB320_74
.LBB320_281:
	v_add_u32_e32 v2, -1, v0
	v_lshrrev_b32_e32 v3, 5, v2
	v_add_lshl_u32 v2, v3, v2, 2
	ds_read_u16 v2, v2
	s_or_b64 exec, exec, s[48:49]
	s_and_saveexec_b64 s[48:49], s[2:3]
	s_cbranch_execz .LBB320_208
.LBB320_282:
	s_mov_b32 s2, 0x10000
	s_waitcnt lgkmcnt(0)
	v_and_b32_e32 v2, 0xffff, v2
	v_cmp_gt_u32_e64 s[2:3], s2, v1
	v_cndmask_b32_e64 v2, 0, v2, s[2:3]
	v_add_u32_e32 v1, v2, v1
	v_cndmask_b32_e64 v2, 0, v1, s[4:5]
	v_add_u16_e32 v4, v2, v16
	v_cndmask_b32_e64 v2, 0, v4, s[6:7]
	v_add_u16_e32 v5, v2, v17
	;; [unrolled: 2-line block ×21, first 2 shown]
	;;#ASMSTART
	;;#ASMEND
	s_or_b64 exec, exec, s[48:49]
	s_and_saveexec_b64 s[2:3], vcc
	s_cbranch_execnz .LBB320_209
	s_branch .LBB320_210
.LBB320_283:
                                        ; implicit-def: $sgpr56_sgpr57
	s_branch .LBB320_48
.LBB320_284:
                                        ; implicit-def: $sgpr2_sgpr3
	s_branch .LBB320_121
	.section	.rodata,"a",@progbits
	.p2align	6, 0x0
	.amdhsa_kernel _ZN7rocprim17ROCPRIM_400000_NS6detail17trampoline_kernelINS0_14default_configENS1_27scan_by_key_config_selectorIssEEZZNS1_16scan_by_key_implILNS1_25lookback_scan_determinismE0ELb0ES3_N6thrust23THRUST_200600_302600_NS6detail15normal_iteratorINS9_10device_ptrIsEEEESE_SE_sNS9_4plusIvEENS9_8equal_toIsEEsEE10hipError_tPvRmT2_T3_T4_T5_mT6_T7_P12ihipStream_tbENKUlT_T0_E_clISt17integral_constantIbLb0EESZ_EEDaSU_SV_EUlSU_E_NS1_11comp_targetILNS1_3genE4ELNS1_11target_archE910ELNS1_3gpuE8ELNS1_3repE0EEENS1_30default_config_static_selectorELNS0_4arch9wavefront6targetE1EEEvT1_
		.amdhsa_group_segment_fixed_size 12288
		.amdhsa_private_segment_fixed_size 0
		.amdhsa_kernarg_size 112
		.amdhsa_user_sgpr_count 6
		.amdhsa_user_sgpr_private_segment_buffer 1
		.amdhsa_user_sgpr_dispatch_ptr 0
		.amdhsa_user_sgpr_queue_ptr 0
		.amdhsa_user_sgpr_kernarg_segment_ptr 1
		.amdhsa_user_sgpr_dispatch_id 0
		.amdhsa_user_sgpr_flat_scratch_init 0
		.amdhsa_user_sgpr_kernarg_preload_length 0
		.amdhsa_user_sgpr_kernarg_preload_offset 0
		.amdhsa_user_sgpr_private_segment_size 0
		.amdhsa_uses_dynamic_stack 0
		.amdhsa_system_sgpr_private_segment_wavefront_offset 0
		.amdhsa_system_sgpr_workgroup_id_x 1
		.amdhsa_system_sgpr_workgroup_id_y 0
		.amdhsa_system_sgpr_workgroup_id_z 0
		.amdhsa_system_sgpr_workgroup_info 0
		.amdhsa_system_vgpr_workitem_id 0
		.amdhsa_next_free_vgpr 58
		.amdhsa_next_free_sgpr 78
		.amdhsa_accum_offset 60
		.amdhsa_reserve_vcc 1
		.amdhsa_reserve_flat_scratch 0
		.amdhsa_float_round_mode_32 0
		.amdhsa_float_round_mode_16_64 0
		.amdhsa_float_denorm_mode_32 3
		.amdhsa_float_denorm_mode_16_64 3
		.amdhsa_dx10_clamp 1
		.amdhsa_ieee_mode 1
		.amdhsa_fp16_overflow 0
		.amdhsa_tg_split 0
		.amdhsa_exception_fp_ieee_invalid_op 0
		.amdhsa_exception_fp_denorm_src 0
		.amdhsa_exception_fp_ieee_div_zero 0
		.amdhsa_exception_fp_ieee_overflow 0
		.amdhsa_exception_fp_ieee_underflow 0
		.amdhsa_exception_fp_ieee_inexact 0
		.amdhsa_exception_int_div_zero 0
	.end_amdhsa_kernel
	.section	.text._ZN7rocprim17ROCPRIM_400000_NS6detail17trampoline_kernelINS0_14default_configENS1_27scan_by_key_config_selectorIssEEZZNS1_16scan_by_key_implILNS1_25lookback_scan_determinismE0ELb0ES3_N6thrust23THRUST_200600_302600_NS6detail15normal_iteratorINS9_10device_ptrIsEEEESE_SE_sNS9_4plusIvEENS9_8equal_toIsEEsEE10hipError_tPvRmT2_T3_T4_T5_mT6_T7_P12ihipStream_tbENKUlT_T0_E_clISt17integral_constantIbLb0EESZ_EEDaSU_SV_EUlSU_E_NS1_11comp_targetILNS1_3genE4ELNS1_11target_archE910ELNS1_3gpuE8ELNS1_3repE0EEENS1_30default_config_static_selectorELNS0_4arch9wavefront6targetE1EEEvT1_,"axG",@progbits,_ZN7rocprim17ROCPRIM_400000_NS6detail17trampoline_kernelINS0_14default_configENS1_27scan_by_key_config_selectorIssEEZZNS1_16scan_by_key_implILNS1_25lookback_scan_determinismE0ELb0ES3_N6thrust23THRUST_200600_302600_NS6detail15normal_iteratorINS9_10device_ptrIsEEEESE_SE_sNS9_4plusIvEENS9_8equal_toIsEEsEE10hipError_tPvRmT2_T3_T4_T5_mT6_T7_P12ihipStream_tbENKUlT_T0_E_clISt17integral_constantIbLb0EESZ_EEDaSU_SV_EUlSU_E_NS1_11comp_targetILNS1_3genE4ELNS1_11target_archE910ELNS1_3gpuE8ELNS1_3repE0EEENS1_30default_config_static_selectorELNS0_4arch9wavefront6targetE1EEEvT1_,comdat
.Lfunc_end320:
	.size	_ZN7rocprim17ROCPRIM_400000_NS6detail17trampoline_kernelINS0_14default_configENS1_27scan_by_key_config_selectorIssEEZZNS1_16scan_by_key_implILNS1_25lookback_scan_determinismE0ELb0ES3_N6thrust23THRUST_200600_302600_NS6detail15normal_iteratorINS9_10device_ptrIsEEEESE_SE_sNS9_4plusIvEENS9_8equal_toIsEEsEE10hipError_tPvRmT2_T3_T4_T5_mT6_T7_P12ihipStream_tbENKUlT_T0_E_clISt17integral_constantIbLb0EESZ_EEDaSU_SV_EUlSU_E_NS1_11comp_targetILNS1_3genE4ELNS1_11target_archE910ELNS1_3gpuE8ELNS1_3repE0EEENS1_30default_config_static_selectorELNS0_4arch9wavefront6targetE1EEEvT1_, .Lfunc_end320-_ZN7rocprim17ROCPRIM_400000_NS6detail17trampoline_kernelINS0_14default_configENS1_27scan_by_key_config_selectorIssEEZZNS1_16scan_by_key_implILNS1_25lookback_scan_determinismE0ELb0ES3_N6thrust23THRUST_200600_302600_NS6detail15normal_iteratorINS9_10device_ptrIsEEEESE_SE_sNS9_4plusIvEENS9_8equal_toIsEEsEE10hipError_tPvRmT2_T3_T4_T5_mT6_T7_P12ihipStream_tbENKUlT_T0_E_clISt17integral_constantIbLb0EESZ_EEDaSU_SV_EUlSU_E_NS1_11comp_targetILNS1_3genE4ELNS1_11target_archE910ELNS1_3gpuE8ELNS1_3repE0EEENS1_30default_config_static_selectorELNS0_4arch9wavefront6targetE1EEEvT1_
                                        ; -- End function
	.section	.AMDGPU.csdata,"",@progbits
; Kernel info:
; codeLenInByte = 15528
; NumSgprs: 82
; NumVgprs: 58
; NumAgprs: 0
; TotalNumVgprs: 58
; ScratchSize: 0
; MemoryBound: 0
; FloatMode: 240
; IeeeMode: 1
; LDSByteSize: 12288 bytes/workgroup (compile time only)
; SGPRBlocks: 10
; VGPRBlocks: 7
; NumSGPRsForWavesPerEU: 82
; NumVGPRsForWavesPerEU: 58
; AccumOffset: 60
; Occupancy: 5
; WaveLimiterHint : 1
; COMPUTE_PGM_RSRC2:SCRATCH_EN: 0
; COMPUTE_PGM_RSRC2:USER_SGPR: 6
; COMPUTE_PGM_RSRC2:TRAP_HANDLER: 0
; COMPUTE_PGM_RSRC2:TGID_X_EN: 1
; COMPUTE_PGM_RSRC2:TGID_Y_EN: 0
; COMPUTE_PGM_RSRC2:TGID_Z_EN: 0
; COMPUTE_PGM_RSRC2:TIDIG_COMP_CNT: 0
; COMPUTE_PGM_RSRC3_GFX90A:ACCUM_OFFSET: 14
; COMPUTE_PGM_RSRC3_GFX90A:TG_SPLIT: 0
	.section	.text._ZN7rocprim17ROCPRIM_400000_NS6detail17trampoline_kernelINS0_14default_configENS1_27scan_by_key_config_selectorIssEEZZNS1_16scan_by_key_implILNS1_25lookback_scan_determinismE0ELb0ES3_N6thrust23THRUST_200600_302600_NS6detail15normal_iteratorINS9_10device_ptrIsEEEESE_SE_sNS9_4plusIvEENS9_8equal_toIsEEsEE10hipError_tPvRmT2_T3_T4_T5_mT6_T7_P12ihipStream_tbENKUlT_T0_E_clISt17integral_constantIbLb0EESZ_EEDaSU_SV_EUlSU_E_NS1_11comp_targetILNS1_3genE3ELNS1_11target_archE908ELNS1_3gpuE7ELNS1_3repE0EEENS1_30default_config_static_selectorELNS0_4arch9wavefront6targetE1EEEvT1_,"axG",@progbits,_ZN7rocprim17ROCPRIM_400000_NS6detail17trampoline_kernelINS0_14default_configENS1_27scan_by_key_config_selectorIssEEZZNS1_16scan_by_key_implILNS1_25lookback_scan_determinismE0ELb0ES3_N6thrust23THRUST_200600_302600_NS6detail15normal_iteratorINS9_10device_ptrIsEEEESE_SE_sNS9_4plusIvEENS9_8equal_toIsEEsEE10hipError_tPvRmT2_T3_T4_T5_mT6_T7_P12ihipStream_tbENKUlT_T0_E_clISt17integral_constantIbLb0EESZ_EEDaSU_SV_EUlSU_E_NS1_11comp_targetILNS1_3genE3ELNS1_11target_archE908ELNS1_3gpuE7ELNS1_3repE0EEENS1_30default_config_static_selectorELNS0_4arch9wavefront6targetE1EEEvT1_,comdat
	.protected	_ZN7rocprim17ROCPRIM_400000_NS6detail17trampoline_kernelINS0_14default_configENS1_27scan_by_key_config_selectorIssEEZZNS1_16scan_by_key_implILNS1_25lookback_scan_determinismE0ELb0ES3_N6thrust23THRUST_200600_302600_NS6detail15normal_iteratorINS9_10device_ptrIsEEEESE_SE_sNS9_4plusIvEENS9_8equal_toIsEEsEE10hipError_tPvRmT2_T3_T4_T5_mT6_T7_P12ihipStream_tbENKUlT_T0_E_clISt17integral_constantIbLb0EESZ_EEDaSU_SV_EUlSU_E_NS1_11comp_targetILNS1_3genE3ELNS1_11target_archE908ELNS1_3gpuE7ELNS1_3repE0EEENS1_30default_config_static_selectorELNS0_4arch9wavefront6targetE1EEEvT1_ ; -- Begin function _ZN7rocprim17ROCPRIM_400000_NS6detail17trampoline_kernelINS0_14default_configENS1_27scan_by_key_config_selectorIssEEZZNS1_16scan_by_key_implILNS1_25lookback_scan_determinismE0ELb0ES3_N6thrust23THRUST_200600_302600_NS6detail15normal_iteratorINS9_10device_ptrIsEEEESE_SE_sNS9_4plusIvEENS9_8equal_toIsEEsEE10hipError_tPvRmT2_T3_T4_T5_mT6_T7_P12ihipStream_tbENKUlT_T0_E_clISt17integral_constantIbLb0EESZ_EEDaSU_SV_EUlSU_E_NS1_11comp_targetILNS1_3genE3ELNS1_11target_archE908ELNS1_3gpuE7ELNS1_3repE0EEENS1_30default_config_static_selectorELNS0_4arch9wavefront6targetE1EEEvT1_
	.globl	_ZN7rocprim17ROCPRIM_400000_NS6detail17trampoline_kernelINS0_14default_configENS1_27scan_by_key_config_selectorIssEEZZNS1_16scan_by_key_implILNS1_25lookback_scan_determinismE0ELb0ES3_N6thrust23THRUST_200600_302600_NS6detail15normal_iteratorINS9_10device_ptrIsEEEESE_SE_sNS9_4plusIvEENS9_8equal_toIsEEsEE10hipError_tPvRmT2_T3_T4_T5_mT6_T7_P12ihipStream_tbENKUlT_T0_E_clISt17integral_constantIbLb0EESZ_EEDaSU_SV_EUlSU_E_NS1_11comp_targetILNS1_3genE3ELNS1_11target_archE908ELNS1_3gpuE7ELNS1_3repE0EEENS1_30default_config_static_selectorELNS0_4arch9wavefront6targetE1EEEvT1_
	.p2align	8
	.type	_ZN7rocprim17ROCPRIM_400000_NS6detail17trampoline_kernelINS0_14default_configENS1_27scan_by_key_config_selectorIssEEZZNS1_16scan_by_key_implILNS1_25lookback_scan_determinismE0ELb0ES3_N6thrust23THRUST_200600_302600_NS6detail15normal_iteratorINS9_10device_ptrIsEEEESE_SE_sNS9_4plusIvEENS9_8equal_toIsEEsEE10hipError_tPvRmT2_T3_T4_T5_mT6_T7_P12ihipStream_tbENKUlT_T0_E_clISt17integral_constantIbLb0EESZ_EEDaSU_SV_EUlSU_E_NS1_11comp_targetILNS1_3genE3ELNS1_11target_archE908ELNS1_3gpuE7ELNS1_3repE0EEENS1_30default_config_static_selectorELNS0_4arch9wavefront6targetE1EEEvT1_,@function
_ZN7rocprim17ROCPRIM_400000_NS6detail17trampoline_kernelINS0_14default_configENS1_27scan_by_key_config_selectorIssEEZZNS1_16scan_by_key_implILNS1_25lookback_scan_determinismE0ELb0ES3_N6thrust23THRUST_200600_302600_NS6detail15normal_iteratorINS9_10device_ptrIsEEEESE_SE_sNS9_4plusIvEENS9_8equal_toIsEEsEE10hipError_tPvRmT2_T3_T4_T5_mT6_T7_P12ihipStream_tbENKUlT_T0_E_clISt17integral_constantIbLb0EESZ_EEDaSU_SV_EUlSU_E_NS1_11comp_targetILNS1_3genE3ELNS1_11target_archE908ELNS1_3gpuE7ELNS1_3repE0EEENS1_30default_config_static_selectorELNS0_4arch9wavefront6targetE1EEEvT1_: ; @_ZN7rocprim17ROCPRIM_400000_NS6detail17trampoline_kernelINS0_14default_configENS1_27scan_by_key_config_selectorIssEEZZNS1_16scan_by_key_implILNS1_25lookback_scan_determinismE0ELb0ES3_N6thrust23THRUST_200600_302600_NS6detail15normal_iteratorINS9_10device_ptrIsEEEESE_SE_sNS9_4plusIvEENS9_8equal_toIsEEsEE10hipError_tPvRmT2_T3_T4_T5_mT6_T7_P12ihipStream_tbENKUlT_T0_E_clISt17integral_constantIbLb0EESZ_EEDaSU_SV_EUlSU_E_NS1_11comp_targetILNS1_3genE3ELNS1_11target_archE908ELNS1_3gpuE7ELNS1_3repE0EEENS1_30default_config_static_selectorELNS0_4arch9wavefront6targetE1EEEvT1_
; %bb.0:
	.section	.rodata,"a",@progbits
	.p2align	6, 0x0
	.amdhsa_kernel _ZN7rocprim17ROCPRIM_400000_NS6detail17trampoline_kernelINS0_14default_configENS1_27scan_by_key_config_selectorIssEEZZNS1_16scan_by_key_implILNS1_25lookback_scan_determinismE0ELb0ES3_N6thrust23THRUST_200600_302600_NS6detail15normal_iteratorINS9_10device_ptrIsEEEESE_SE_sNS9_4plusIvEENS9_8equal_toIsEEsEE10hipError_tPvRmT2_T3_T4_T5_mT6_T7_P12ihipStream_tbENKUlT_T0_E_clISt17integral_constantIbLb0EESZ_EEDaSU_SV_EUlSU_E_NS1_11comp_targetILNS1_3genE3ELNS1_11target_archE908ELNS1_3gpuE7ELNS1_3repE0EEENS1_30default_config_static_selectorELNS0_4arch9wavefront6targetE1EEEvT1_
		.amdhsa_group_segment_fixed_size 0
		.amdhsa_private_segment_fixed_size 0
		.amdhsa_kernarg_size 112
		.amdhsa_user_sgpr_count 6
		.amdhsa_user_sgpr_private_segment_buffer 1
		.amdhsa_user_sgpr_dispatch_ptr 0
		.amdhsa_user_sgpr_queue_ptr 0
		.amdhsa_user_sgpr_kernarg_segment_ptr 1
		.amdhsa_user_sgpr_dispatch_id 0
		.amdhsa_user_sgpr_flat_scratch_init 0
		.amdhsa_user_sgpr_kernarg_preload_length 0
		.amdhsa_user_sgpr_kernarg_preload_offset 0
		.amdhsa_user_sgpr_private_segment_size 0
		.amdhsa_uses_dynamic_stack 0
		.amdhsa_system_sgpr_private_segment_wavefront_offset 0
		.amdhsa_system_sgpr_workgroup_id_x 1
		.amdhsa_system_sgpr_workgroup_id_y 0
		.amdhsa_system_sgpr_workgroup_id_z 0
		.amdhsa_system_sgpr_workgroup_info 0
		.amdhsa_system_vgpr_workitem_id 0
		.amdhsa_next_free_vgpr 1
		.amdhsa_next_free_sgpr 0
		.amdhsa_accum_offset 4
		.amdhsa_reserve_vcc 0
		.amdhsa_reserve_flat_scratch 0
		.amdhsa_float_round_mode_32 0
		.amdhsa_float_round_mode_16_64 0
		.amdhsa_float_denorm_mode_32 3
		.amdhsa_float_denorm_mode_16_64 3
		.amdhsa_dx10_clamp 1
		.amdhsa_ieee_mode 1
		.amdhsa_fp16_overflow 0
		.amdhsa_tg_split 0
		.amdhsa_exception_fp_ieee_invalid_op 0
		.amdhsa_exception_fp_denorm_src 0
		.amdhsa_exception_fp_ieee_div_zero 0
		.amdhsa_exception_fp_ieee_overflow 0
		.amdhsa_exception_fp_ieee_underflow 0
		.amdhsa_exception_fp_ieee_inexact 0
		.amdhsa_exception_int_div_zero 0
	.end_amdhsa_kernel
	.section	.text._ZN7rocprim17ROCPRIM_400000_NS6detail17trampoline_kernelINS0_14default_configENS1_27scan_by_key_config_selectorIssEEZZNS1_16scan_by_key_implILNS1_25lookback_scan_determinismE0ELb0ES3_N6thrust23THRUST_200600_302600_NS6detail15normal_iteratorINS9_10device_ptrIsEEEESE_SE_sNS9_4plusIvEENS9_8equal_toIsEEsEE10hipError_tPvRmT2_T3_T4_T5_mT6_T7_P12ihipStream_tbENKUlT_T0_E_clISt17integral_constantIbLb0EESZ_EEDaSU_SV_EUlSU_E_NS1_11comp_targetILNS1_3genE3ELNS1_11target_archE908ELNS1_3gpuE7ELNS1_3repE0EEENS1_30default_config_static_selectorELNS0_4arch9wavefront6targetE1EEEvT1_,"axG",@progbits,_ZN7rocprim17ROCPRIM_400000_NS6detail17trampoline_kernelINS0_14default_configENS1_27scan_by_key_config_selectorIssEEZZNS1_16scan_by_key_implILNS1_25lookback_scan_determinismE0ELb0ES3_N6thrust23THRUST_200600_302600_NS6detail15normal_iteratorINS9_10device_ptrIsEEEESE_SE_sNS9_4plusIvEENS9_8equal_toIsEEsEE10hipError_tPvRmT2_T3_T4_T5_mT6_T7_P12ihipStream_tbENKUlT_T0_E_clISt17integral_constantIbLb0EESZ_EEDaSU_SV_EUlSU_E_NS1_11comp_targetILNS1_3genE3ELNS1_11target_archE908ELNS1_3gpuE7ELNS1_3repE0EEENS1_30default_config_static_selectorELNS0_4arch9wavefront6targetE1EEEvT1_,comdat
.Lfunc_end321:
	.size	_ZN7rocprim17ROCPRIM_400000_NS6detail17trampoline_kernelINS0_14default_configENS1_27scan_by_key_config_selectorIssEEZZNS1_16scan_by_key_implILNS1_25lookback_scan_determinismE0ELb0ES3_N6thrust23THRUST_200600_302600_NS6detail15normal_iteratorINS9_10device_ptrIsEEEESE_SE_sNS9_4plusIvEENS9_8equal_toIsEEsEE10hipError_tPvRmT2_T3_T4_T5_mT6_T7_P12ihipStream_tbENKUlT_T0_E_clISt17integral_constantIbLb0EESZ_EEDaSU_SV_EUlSU_E_NS1_11comp_targetILNS1_3genE3ELNS1_11target_archE908ELNS1_3gpuE7ELNS1_3repE0EEENS1_30default_config_static_selectorELNS0_4arch9wavefront6targetE1EEEvT1_, .Lfunc_end321-_ZN7rocprim17ROCPRIM_400000_NS6detail17trampoline_kernelINS0_14default_configENS1_27scan_by_key_config_selectorIssEEZZNS1_16scan_by_key_implILNS1_25lookback_scan_determinismE0ELb0ES3_N6thrust23THRUST_200600_302600_NS6detail15normal_iteratorINS9_10device_ptrIsEEEESE_SE_sNS9_4plusIvEENS9_8equal_toIsEEsEE10hipError_tPvRmT2_T3_T4_T5_mT6_T7_P12ihipStream_tbENKUlT_T0_E_clISt17integral_constantIbLb0EESZ_EEDaSU_SV_EUlSU_E_NS1_11comp_targetILNS1_3genE3ELNS1_11target_archE908ELNS1_3gpuE7ELNS1_3repE0EEENS1_30default_config_static_selectorELNS0_4arch9wavefront6targetE1EEEvT1_
                                        ; -- End function
	.section	.AMDGPU.csdata,"",@progbits
; Kernel info:
; codeLenInByte = 0
; NumSgprs: 4
; NumVgprs: 0
; NumAgprs: 0
; TotalNumVgprs: 0
; ScratchSize: 0
; MemoryBound: 0
; FloatMode: 240
; IeeeMode: 1
; LDSByteSize: 0 bytes/workgroup (compile time only)
; SGPRBlocks: 0
; VGPRBlocks: 0
; NumSGPRsForWavesPerEU: 4
; NumVGPRsForWavesPerEU: 1
; AccumOffset: 4
; Occupancy: 8
; WaveLimiterHint : 0
; COMPUTE_PGM_RSRC2:SCRATCH_EN: 0
; COMPUTE_PGM_RSRC2:USER_SGPR: 6
; COMPUTE_PGM_RSRC2:TRAP_HANDLER: 0
; COMPUTE_PGM_RSRC2:TGID_X_EN: 1
; COMPUTE_PGM_RSRC2:TGID_Y_EN: 0
; COMPUTE_PGM_RSRC2:TGID_Z_EN: 0
; COMPUTE_PGM_RSRC2:TIDIG_COMP_CNT: 0
; COMPUTE_PGM_RSRC3_GFX90A:ACCUM_OFFSET: 0
; COMPUTE_PGM_RSRC3_GFX90A:TG_SPLIT: 0
	.section	.text._ZN7rocprim17ROCPRIM_400000_NS6detail17trampoline_kernelINS0_14default_configENS1_27scan_by_key_config_selectorIssEEZZNS1_16scan_by_key_implILNS1_25lookback_scan_determinismE0ELb0ES3_N6thrust23THRUST_200600_302600_NS6detail15normal_iteratorINS9_10device_ptrIsEEEESE_SE_sNS9_4plusIvEENS9_8equal_toIsEEsEE10hipError_tPvRmT2_T3_T4_T5_mT6_T7_P12ihipStream_tbENKUlT_T0_E_clISt17integral_constantIbLb0EESZ_EEDaSU_SV_EUlSU_E_NS1_11comp_targetILNS1_3genE2ELNS1_11target_archE906ELNS1_3gpuE6ELNS1_3repE0EEENS1_30default_config_static_selectorELNS0_4arch9wavefront6targetE1EEEvT1_,"axG",@progbits,_ZN7rocprim17ROCPRIM_400000_NS6detail17trampoline_kernelINS0_14default_configENS1_27scan_by_key_config_selectorIssEEZZNS1_16scan_by_key_implILNS1_25lookback_scan_determinismE0ELb0ES3_N6thrust23THRUST_200600_302600_NS6detail15normal_iteratorINS9_10device_ptrIsEEEESE_SE_sNS9_4plusIvEENS9_8equal_toIsEEsEE10hipError_tPvRmT2_T3_T4_T5_mT6_T7_P12ihipStream_tbENKUlT_T0_E_clISt17integral_constantIbLb0EESZ_EEDaSU_SV_EUlSU_E_NS1_11comp_targetILNS1_3genE2ELNS1_11target_archE906ELNS1_3gpuE6ELNS1_3repE0EEENS1_30default_config_static_selectorELNS0_4arch9wavefront6targetE1EEEvT1_,comdat
	.protected	_ZN7rocprim17ROCPRIM_400000_NS6detail17trampoline_kernelINS0_14default_configENS1_27scan_by_key_config_selectorIssEEZZNS1_16scan_by_key_implILNS1_25lookback_scan_determinismE0ELb0ES3_N6thrust23THRUST_200600_302600_NS6detail15normal_iteratorINS9_10device_ptrIsEEEESE_SE_sNS9_4plusIvEENS9_8equal_toIsEEsEE10hipError_tPvRmT2_T3_T4_T5_mT6_T7_P12ihipStream_tbENKUlT_T0_E_clISt17integral_constantIbLb0EESZ_EEDaSU_SV_EUlSU_E_NS1_11comp_targetILNS1_3genE2ELNS1_11target_archE906ELNS1_3gpuE6ELNS1_3repE0EEENS1_30default_config_static_selectorELNS0_4arch9wavefront6targetE1EEEvT1_ ; -- Begin function _ZN7rocprim17ROCPRIM_400000_NS6detail17trampoline_kernelINS0_14default_configENS1_27scan_by_key_config_selectorIssEEZZNS1_16scan_by_key_implILNS1_25lookback_scan_determinismE0ELb0ES3_N6thrust23THRUST_200600_302600_NS6detail15normal_iteratorINS9_10device_ptrIsEEEESE_SE_sNS9_4plusIvEENS9_8equal_toIsEEsEE10hipError_tPvRmT2_T3_T4_T5_mT6_T7_P12ihipStream_tbENKUlT_T0_E_clISt17integral_constantIbLb0EESZ_EEDaSU_SV_EUlSU_E_NS1_11comp_targetILNS1_3genE2ELNS1_11target_archE906ELNS1_3gpuE6ELNS1_3repE0EEENS1_30default_config_static_selectorELNS0_4arch9wavefront6targetE1EEEvT1_
	.globl	_ZN7rocprim17ROCPRIM_400000_NS6detail17trampoline_kernelINS0_14default_configENS1_27scan_by_key_config_selectorIssEEZZNS1_16scan_by_key_implILNS1_25lookback_scan_determinismE0ELb0ES3_N6thrust23THRUST_200600_302600_NS6detail15normal_iteratorINS9_10device_ptrIsEEEESE_SE_sNS9_4plusIvEENS9_8equal_toIsEEsEE10hipError_tPvRmT2_T3_T4_T5_mT6_T7_P12ihipStream_tbENKUlT_T0_E_clISt17integral_constantIbLb0EESZ_EEDaSU_SV_EUlSU_E_NS1_11comp_targetILNS1_3genE2ELNS1_11target_archE906ELNS1_3gpuE6ELNS1_3repE0EEENS1_30default_config_static_selectorELNS0_4arch9wavefront6targetE1EEEvT1_
	.p2align	8
	.type	_ZN7rocprim17ROCPRIM_400000_NS6detail17trampoline_kernelINS0_14default_configENS1_27scan_by_key_config_selectorIssEEZZNS1_16scan_by_key_implILNS1_25lookback_scan_determinismE0ELb0ES3_N6thrust23THRUST_200600_302600_NS6detail15normal_iteratorINS9_10device_ptrIsEEEESE_SE_sNS9_4plusIvEENS9_8equal_toIsEEsEE10hipError_tPvRmT2_T3_T4_T5_mT6_T7_P12ihipStream_tbENKUlT_T0_E_clISt17integral_constantIbLb0EESZ_EEDaSU_SV_EUlSU_E_NS1_11comp_targetILNS1_3genE2ELNS1_11target_archE906ELNS1_3gpuE6ELNS1_3repE0EEENS1_30default_config_static_selectorELNS0_4arch9wavefront6targetE1EEEvT1_,@function
_ZN7rocprim17ROCPRIM_400000_NS6detail17trampoline_kernelINS0_14default_configENS1_27scan_by_key_config_selectorIssEEZZNS1_16scan_by_key_implILNS1_25lookback_scan_determinismE0ELb0ES3_N6thrust23THRUST_200600_302600_NS6detail15normal_iteratorINS9_10device_ptrIsEEEESE_SE_sNS9_4plusIvEENS9_8equal_toIsEEsEE10hipError_tPvRmT2_T3_T4_T5_mT6_T7_P12ihipStream_tbENKUlT_T0_E_clISt17integral_constantIbLb0EESZ_EEDaSU_SV_EUlSU_E_NS1_11comp_targetILNS1_3genE2ELNS1_11target_archE906ELNS1_3gpuE6ELNS1_3repE0EEENS1_30default_config_static_selectorELNS0_4arch9wavefront6targetE1EEEvT1_: ; @_ZN7rocprim17ROCPRIM_400000_NS6detail17trampoline_kernelINS0_14default_configENS1_27scan_by_key_config_selectorIssEEZZNS1_16scan_by_key_implILNS1_25lookback_scan_determinismE0ELb0ES3_N6thrust23THRUST_200600_302600_NS6detail15normal_iteratorINS9_10device_ptrIsEEEESE_SE_sNS9_4plusIvEENS9_8equal_toIsEEsEE10hipError_tPvRmT2_T3_T4_T5_mT6_T7_P12ihipStream_tbENKUlT_T0_E_clISt17integral_constantIbLb0EESZ_EEDaSU_SV_EUlSU_E_NS1_11comp_targetILNS1_3genE2ELNS1_11target_archE906ELNS1_3gpuE6ELNS1_3repE0EEENS1_30default_config_static_selectorELNS0_4arch9wavefront6targetE1EEEvT1_
; %bb.0:
	.section	.rodata,"a",@progbits
	.p2align	6, 0x0
	.amdhsa_kernel _ZN7rocprim17ROCPRIM_400000_NS6detail17trampoline_kernelINS0_14default_configENS1_27scan_by_key_config_selectorIssEEZZNS1_16scan_by_key_implILNS1_25lookback_scan_determinismE0ELb0ES3_N6thrust23THRUST_200600_302600_NS6detail15normal_iteratorINS9_10device_ptrIsEEEESE_SE_sNS9_4plusIvEENS9_8equal_toIsEEsEE10hipError_tPvRmT2_T3_T4_T5_mT6_T7_P12ihipStream_tbENKUlT_T0_E_clISt17integral_constantIbLb0EESZ_EEDaSU_SV_EUlSU_E_NS1_11comp_targetILNS1_3genE2ELNS1_11target_archE906ELNS1_3gpuE6ELNS1_3repE0EEENS1_30default_config_static_selectorELNS0_4arch9wavefront6targetE1EEEvT1_
		.amdhsa_group_segment_fixed_size 0
		.amdhsa_private_segment_fixed_size 0
		.amdhsa_kernarg_size 112
		.amdhsa_user_sgpr_count 6
		.amdhsa_user_sgpr_private_segment_buffer 1
		.amdhsa_user_sgpr_dispatch_ptr 0
		.amdhsa_user_sgpr_queue_ptr 0
		.amdhsa_user_sgpr_kernarg_segment_ptr 1
		.amdhsa_user_sgpr_dispatch_id 0
		.amdhsa_user_sgpr_flat_scratch_init 0
		.amdhsa_user_sgpr_kernarg_preload_length 0
		.amdhsa_user_sgpr_kernarg_preload_offset 0
		.amdhsa_user_sgpr_private_segment_size 0
		.amdhsa_uses_dynamic_stack 0
		.amdhsa_system_sgpr_private_segment_wavefront_offset 0
		.amdhsa_system_sgpr_workgroup_id_x 1
		.amdhsa_system_sgpr_workgroup_id_y 0
		.amdhsa_system_sgpr_workgroup_id_z 0
		.amdhsa_system_sgpr_workgroup_info 0
		.amdhsa_system_vgpr_workitem_id 0
		.amdhsa_next_free_vgpr 1
		.amdhsa_next_free_sgpr 0
		.amdhsa_accum_offset 4
		.amdhsa_reserve_vcc 0
		.amdhsa_reserve_flat_scratch 0
		.amdhsa_float_round_mode_32 0
		.amdhsa_float_round_mode_16_64 0
		.amdhsa_float_denorm_mode_32 3
		.amdhsa_float_denorm_mode_16_64 3
		.amdhsa_dx10_clamp 1
		.amdhsa_ieee_mode 1
		.amdhsa_fp16_overflow 0
		.amdhsa_tg_split 0
		.amdhsa_exception_fp_ieee_invalid_op 0
		.amdhsa_exception_fp_denorm_src 0
		.amdhsa_exception_fp_ieee_div_zero 0
		.amdhsa_exception_fp_ieee_overflow 0
		.amdhsa_exception_fp_ieee_underflow 0
		.amdhsa_exception_fp_ieee_inexact 0
		.amdhsa_exception_int_div_zero 0
	.end_amdhsa_kernel
	.section	.text._ZN7rocprim17ROCPRIM_400000_NS6detail17trampoline_kernelINS0_14default_configENS1_27scan_by_key_config_selectorIssEEZZNS1_16scan_by_key_implILNS1_25lookback_scan_determinismE0ELb0ES3_N6thrust23THRUST_200600_302600_NS6detail15normal_iteratorINS9_10device_ptrIsEEEESE_SE_sNS9_4plusIvEENS9_8equal_toIsEEsEE10hipError_tPvRmT2_T3_T4_T5_mT6_T7_P12ihipStream_tbENKUlT_T0_E_clISt17integral_constantIbLb0EESZ_EEDaSU_SV_EUlSU_E_NS1_11comp_targetILNS1_3genE2ELNS1_11target_archE906ELNS1_3gpuE6ELNS1_3repE0EEENS1_30default_config_static_selectorELNS0_4arch9wavefront6targetE1EEEvT1_,"axG",@progbits,_ZN7rocprim17ROCPRIM_400000_NS6detail17trampoline_kernelINS0_14default_configENS1_27scan_by_key_config_selectorIssEEZZNS1_16scan_by_key_implILNS1_25lookback_scan_determinismE0ELb0ES3_N6thrust23THRUST_200600_302600_NS6detail15normal_iteratorINS9_10device_ptrIsEEEESE_SE_sNS9_4plusIvEENS9_8equal_toIsEEsEE10hipError_tPvRmT2_T3_T4_T5_mT6_T7_P12ihipStream_tbENKUlT_T0_E_clISt17integral_constantIbLb0EESZ_EEDaSU_SV_EUlSU_E_NS1_11comp_targetILNS1_3genE2ELNS1_11target_archE906ELNS1_3gpuE6ELNS1_3repE0EEENS1_30default_config_static_selectorELNS0_4arch9wavefront6targetE1EEEvT1_,comdat
.Lfunc_end322:
	.size	_ZN7rocprim17ROCPRIM_400000_NS6detail17trampoline_kernelINS0_14default_configENS1_27scan_by_key_config_selectorIssEEZZNS1_16scan_by_key_implILNS1_25lookback_scan_determinismE0ELb0ES3_N6thrust23THRUST_200600_302600_NS6detail15normal_iteratorINS9_10device_ptrIsEEEESE_SE_sNS9_4plusIvEENS9_8equal_toIsEEsEE10hipError_tPvRmT2_T3_T4_T5_mT6_T7_P12ihipStream_tbENKUlT_T0_E_clISt17integral_constantIbLb0EESZ_EEDaSU_SV_EUlSU_E_NS1_11comp_targetILNS1_3genE2ELNS1_11target_archE906ELNS1_3gpuE6ELNS1_3repE0EEENS1_30default_config_static_selectorELNS0_4arch9wavefront6targetE1EEEvT1_, .Lfunc_end322-_ZN7rocprim17ROCPRIM_400000_NS6detail17trampoline_kernelINS0_14default_configENS1_27scan_by_key_config_selectorIssEEZZNS1_16scan_by_key_implILNS1_25lookback_scan_determinismE0ELb0ES3_N6thrust23THRUST_200600_302600_NS6detail15normal_iteratorINS9_10device_ptrIsEEEESE_SE_sNS9_4plusIvEENS9_8equal_toIsEEsEE10hipError_tPvRmT2_T3_T4_T5_mT6_T7_P12ihipStream_tbENKUlT_T0_E_clISt17integral_constantIbLb0EESZ_EEDaSU_SV_EUlSU_E_NS1_11comp_targetILNS1_3genE2ELNS1_11target_archE906ELNS1_3gpuE6ELNS1_3repE0EEENS1_30default_config_static_selectorELNS0_4arch9wavefront6targetE1EEEvT1_
                                        ; -- End function
	.section	.AMDGPU.csdata,"",@progbits
; Kernel info:
; codeLenInByte = 0
; NumSgprs: 4
; NumVgprs: 0
; NumAgprs: 0
; TotalNumVgprs: 0
; ScratchSize: 0
; MemoryBound: 0
; FloatMode: 240
; IeeeMode: 1
; LDSByteSize: 0 bytes/workgroup (compile time only)
; SGPRBlocks: 0
; VGPRBlocks: 0
; NumSGPRsForWavesPerEU: 4
; NumVGPRsForWavesPerEU: 1
; AccumOffset: 4
; Occupancy: 8
; WaveLimiterHint : 0
; COMPUTE_PGM_RSRC2:SCRATCH_EN: 0
; COMPUTE_PGM_RSRC2:USER_SGPR: 6
; COMPUTE_PGM_RSRC2:TRAP_HANDLER: 0
; COMPUTE_PGM_RSRC2:TGID_X_EN: 1
; COMPUTE_PGM_RSRC2:TGID_Y_EN: 0
; COMPUTE_PGM_RSRC2:TGID_Z_EN: 0
; COMPUTE_PGM_RSRC2:TIDIG_COMP_CNT: 0
; COMPUTE_PGM_RSRC3_GFX90A:ACCUM_OFFSET: 0
; COMPUTE_PGM_RSRC3_GFX90A:TG_SPLIT: 0
	.section	.text._ZN7rocprim17ROCPRIM_400000_NS6detail17trampoline_kernelINS0_14default_configENS1_27scan_by_key_config_selectorIssEEZZNS1_16scan_by_key_implILNS1_25lookback_scan_determinismE0ELb0ES3_N6thrust23THRUST_200600_302600_NS6detail15normal_iteratorINS9_10device_ptrIsEEEESE_SE_sNS9_4plusIvEENS9_8equal_toIsEEsEE10hipError_tPvRmT2_T3_T4_T5_mT6_T7_P12ihipStream_tbENKUlT_T0_E_clISt17integral_constantIbLb0EESZ_EEDaSU_SV_EUlSU_E_NS1_11comp_targetILNS1_3genE10ELNS1_11target_archE1200ELNS1_3gpuE4ELNS1_3repE0EEENS1_30default_config_static_selectorELNS0_4arch9wavefront6targetE1EEEvT1_,"axG",@progbits,_ZN7rocprim17ROCPRIM_400000_NS6detail17trampoline_kernelINS0_14default_configENS1_27scan_by_key_config_selectorIssEEZZNS1_16scan_by_key_implILNS1_25lookback_scan_determinismE0ELb0ES3_N6thrust23THRUST_200600_302600_NS6detail15normal_iteratorINS9_10device_ptrIsEEEESE_SE_sNS9_4plusIvEENS9_8equal_toIsEEsEE10hipError_tPvRmT2_T3_T4_T5_mT6_T7_P12ihipStream_tbENKUlT_T0_E_clISt17integral_constantIbLb0EESZ_EEDaSU_SV_EUlSU_E_NS1_11comp_targetILNS1_3genE10ELNS1_11target_archE1200ELNS1_3gpuE4ELNS1_3repE0EEENS1_30default_config_static_selectorELNS0_4arch9wavefront6targetE1EEEvT1_,comdat
	.protected	_ZN7rocprim17ROCPRIM_400000_NS6detail17trampoline_kernelINS0_14default_configENS1_27scan_by_key_config_selectorIssEEZZNS1_16scan_by_key_implILNS1_25lookback_scan_determinismE0ELb0ES3_N6thrust23THRUST_200600_302600_NS6detail15normal_iteratorINS9_10device_ptrIsEEEESE_SE_sNS9_4plusIvEENS9_8equal_toIsEEsEE10hipError_tPvRmT2_T3_T4_T5_mT6_T7_P12ihipStream_tbENKUlT_T0_E_clISt17integral_constantIbLb0EESZ_EEDaSU_SV_EUlSU_E_NS1_11comp_targetILNS1_3genE10ELNS1_11target_archE1200ELNS1_3gpuE4ELNS1_3repE0EEENS1_30default_config_static_selectorELNS0_4arch9wavefront6targetE1EEEvT1_ ; -- Begin function _ZN7rocprim17ROCPRIM_400000_NS6detail17trampoline_kernelINS0_14default_configENS1_27scan_by_key_config_selectorIssEEZZNS1_16scan_by_key_implILNS1_25lookback_scan_determinismE0ELb0ES3_N6thrust23THRUST_200600_302600_NS6detail15normal_iteratorINS9_10device_ptrIsEEEESE_SE_sNS9_4plusIvEENS9_8equal_toIsEEsEE10hipError_tPvRmT2_T3_T4_T5_mT6_T7_P12ihipStream_tbENKUlT_T0_E_clISt17integral_constantIbLb0EESZ_EEDaSU_SV_EUlSU_E_NS1_11comp_targetILNS1_3genE10ELNS1_11target_archE1200ELNS1_3gpuE4ELNS1_3repE0EEENS1_30default_config_static_selectorELNS0_4arch9wavefront6targetE1EEEvT1_
	.globl	_ZN7rocprim17ROCPRIM_400000_NS6detail17trampoline_kernelINS0_14default_configENS1_27scan_by_key_config_selectorIssEEZZNS1_16scan_by_key_implILNS1_25lookback_scan_determinismE0ELb0ES3_N6thrust23THRUST_200600_302600_NS6detail15normal_iteratorINS9_10device_ptrIsEEEESE_SE_sNS9_4plusIvEENS9_8equal_toIsEEsEE10hipError_tPvRmT2_T3_T4_T5_mT6_T7_P12ihipStream_tbENKUlT_T0_E_clISt17integral_constantIbLb0EESZ_EEDaSU_SV_EUlSU_E_NS1_11comp_targetILNS1_3genE10ELNS1_11target_archE1200ELNS1_3gpuE4ELNS1_3repE0EEENS1_30default_config_static_selectorELNS0_4arch9wavefront6targetE1EEEvT1_
	.p2align	8
	.type	_ZN7rocprim17ROCPRIM_400000_NS6detail17trampoline_kernelINS0_14default_configENS1_27scan_by_key_config_selectorIssEEZZNS1_16scan_by_key_implILNS1_25lookback_scan_determinismE0ELb0ES3_N6thrust23THRUST_200600_302600_NS6detail15normal_iteratorINS9_10device_ptrIsEEEESE_SE_sNS9_4plusIvEENS9_8equal_toIsEEsEE10hipError_tPvRmT2_T3_T4_T5_mT6_T7_P12ihipStream_tbENKUlT_T0_E_clISt17integral_constantIbLb0EESZ_EEDaSU_SV_EUlSU_E_NS1_11comp_targetILNS1_3genE10ELNS1_11target_archE1200ELNS1_3gpuE4ELNS1_3repE0EEENS1_30default_config_static_selectorELNS0_4arch9wavefront6targetE1EEEvT1_,@function
_ZN7rocprim17ROCPRIM_400000_NS6detail17trampoline_kernelINS0_14default_configENS1_27scan_by_key_config_selectorIssEEZZNS1_16scan_by_key_implILNS1_25lookback_scan_determinismE0ELb0ES3_N6thrust23THRUST_200600_302600_NS6detail15normal_iteratorINS9_10device_ptrIsEEEESE_SE_sNS9_4plusIvEENS9_8equal_toIsEEsEE10hipError_tPvRmT2_T3_T4_T5_mT6_T7_P12ihipStream_tbENKUlT_T0_E_clISt17integral_constantIbLb0EESZ_EEDaSU_SV_EUlSU_E_NS1_11comp_targetILNS1_3genE10ELNS1_11target_archE1200ELNS1_3gpuE4ELNS1_3repE0EEENS1_30default_config_static_selectorELNS0_4arch9wavefront6targetE1EEEvT1_: ; @_ZN7rocprim17ROCPRIM_400000_NS6detail17trampoline_kernelINS0_14default_configENS1_27scan_by_key_config_selectorIssEEZZNS1_16scan_by_key_implILNS1_25lookback_scan_determinismE0ELb0ES3_N6thrust23THRUST_200600_302600_NS6detail15normal_iteratorINS9_10device_ptrIsEEEESE_SE_sNS9_4plusIvEENS9_8equal_toIsEEsEE10hipError_tPvRmT2_T3_T4_T5_mT6_T7_P12ihipStream_tbENKUlT_T0_E_clISt17integral_constantIbLb0EESZ_EEDaSU_SV_EUlSU_E_NS1_11comp_targetILNS1_3genE10ELNS1_11target_archE1200ELNS1_3gpuE4ELNS1_3repE0EEENS1_30default_config_static_selectorELNS0_4arch9wavefront6targetE1EEEvT1_
; %bb.0:
	.section	.rodata,"a",@progbits
	.p2align	6, 0x0
	.amdhsa_kernel _ZN7rocprim17ROCPRIM_400000_NS6detail17trampoline_kernelINS0_14default_configENS1_27scan_by_key_config_selectorIssEEZZNS1_16scan_by_key_implILNS1_25lookback_scan_determinismE0ELb0ES3_N6thrust23THRUST_200600_302600_NS6detail15normal_iteratorINS9_10device_ptrIsEEEESE_SE_sNS9_4plusIvEENS9_8equal_toIsEEsEE10hipError_tPvRmT2_T3_T4_T5_mT6_T7_P12ihipStream_tbENKUlT_T0_E_clISt17integral_constantIbLb0EESZ_EEDaSU_SV_EUlSU_E_NS1_11comp_targetILNS1_3genE10ELNS1_11target_archE1200ELNS1_3gpuE4ELNS1_3repE0EEENS1_30default_config_static_selectorELNS0_4arch9wavefront6targetE1EEEvT1_
		.amdhsa_group_segment_fixed_size 0
		.amdhsa_private_segment_fixed_size 0
		.amdhsa_kernarg_size 112
		.amdhsa_user_sgpr_count 6
		.amdhsa_user_sgpr_private_segment_buffer 1
		.amdhsa_user_sgpr_dispatch_ptr 0
		.amdhsa_user_sgpr_queue_ptr 0
		.amdhsa_user_sgpr_kernarg_segment_ptr 1
		.amdhsa_user_sgpr_dispatch_id 0
		.amdhsa_user_sgpr_flat_scratch_init 0
		.amdhsa_user_sgpr_kernarg_preload_length 0
		.amdhsa_user_sgpr_kernarg_preload_offset 0
		.amdhsa_user_sgpr_private_segment_size 0
		.amdhsa_uses_dynamic_stack 0
		.amdhsa_system_sgpr_private_segment_wavefront_offset 0
		.amdhsa_system_sgpr_workgroup_id_x 1
		.amdhsa_system_sgpr_workgroup_id_y 0
		.amdhsa_system_sgpr_workgroup_id_z 0
		.amdhsa_system_sgpr_workgroup_info 0
		.amdhsa_system_vgpr_workitem_id 0
		.amdhsa_next_free_vgpr 1
		.amdhsa_next_free_sgpr 0
		.amdhsa_accum_offset 4
		.amdhsa_reserve_vcc 0
		.amdhsa_reserve_flat_scratch 0
		.amdhsa_float_round_mode_32 0
		.amdhsa_float_round_mode_16_64 0
		.amdhsa_float_denorm_mode_32 3
		.amdhsa_float_denorm_mode_16_64 3
		.amdhsa_dx10_clamp 1
		.amdhsa_ieee_mode 1
		.amdhsa_fp16_overflow 0
		.amdhsa_tg_split 0
		.amdhsa_exception_fp_ieee_invalid_op 0
		.amdhsa_exception_fp_denorm_src 0
		.amdhsa_exception_fp_ieee_div_zero 0
		.amdhsa_exception_fp_ieee_overflow 0
		.amdhsa_exception_fp_ieee_underflow 0
		.amdhsa_exception_fp_ieee_inexact 0
		.amdhsa_exception_int_div_zero 0
	.end_amdhsa_kernel
	.section	.text._ZN7rocprim17ROCPRIM_400000_NS6detail17trampoline_kernelINS0_14default_configENS1_27scan_by_key_config_selectorIssEEZZNS1_16scan_by_key_implILNS1_25lookback_scan_determinismE0ELb0ES3_N6thrust23THRUST_200600_302600_NS6detail15normal_iteratorINS9_10device_ptrIsEEEESE_SE_sNS9_4plusIvEENS9_8equal_toIsEEsEE10hipError_tPvRmT2_T3_T4_T5_mT6_T7_P12ihipStream_tbENKUlT_T0_E_clISt17integral_constantIbLb0EESZ_EEDaSU_SV_EUlSU_E_NS1_11comp_targetILNS1_3genE10ELNS1_11target_archE1200ELNS1_3gpuE4ELNS1_3repE0EEENS1_30default_config_static_selectorELNS0_4arch9wavefront6targetE1EEEvT1_,"axG",@progbits,_ZN7rocprim17ROCPRIM_400000_NS6detail17trampoline_kernelINS0_14default_configENS1_27scan_by_key_config_selectorIssEEZZNS1_16scan_by_key_implILNS1_25lookback_scan_determinismE0ELb0ES3_N6thrust23THRUST_200600_302600_NS6detail15normal_iteratorINS9_10device_ptrIsEEEESE_SE_sNS9_4plusIvEENS9_8equal_toIsEEsEE10hipError_tPvRmT2_T3_T4_T5_mT6_T7_P12ihipStream_tbENKUlT_T0_E_clISt17integral_constantIbLb0EESZ_EEDaSU_SV_EUlSU_E_NS1_11comp_targetILNS1_3genE10ELNS1_11target_archE1200ELNS1_3gpuE4ELNS1_3repE0EEENS1_30default_config_static_selectorELNS0_4arch9wavefront6targetE1EEEvT1_,comdat
.Lfunc_end323:
	.size	_ZN7rocprim17ROCPRIM_400000_NS6detail17trampoline_kernelINS0_14default_configENS1_27scan_by_key_config_selectorIssEEZZNS1_16scan_by_key_implILNS1_25lookback_scan_determinismE0ELb0ES3_N6thrust23THRUST_200600_302600_NS6detail15normal_iteratorINS9_10device_ptrIsEEEESE_SE_sNS9_4plusIvEENS9_8equal_toIsEEsEE10hipError_tPvRmT2_T3_T4_T5_mT6_T7_P12ihipStream_tbENKUlT_T0_E_clISt17integral_constantIbLb0EESZ_EEDaSU_SV_EUlSU_E_NS1_11comp_targetILNS1_3genE10ELNS1_11target_archE1200ELNS1_3gpuE4ELNS1_3repE0EEENS1_30default_config_static_selectorELNS0_4arch9wavefront6targetE1EEEvT1_, .Lfunc_end323-_ZN7rocprim17ROCPRIM_400000_NS6detail17trampoline_kernelINS0_14default_configENS1_27scan_by_key_config_selectorIssEEZZNS1_16scan_by_key_implILNS1_25lookback_scan_determinismE0ELb0ES3_N6thrust23THRUST_200600_302600_NS6detail15normal_iteratorINS9_10device_ptrIsEEEESE_SE_sNS9_4plusIvEENS9_8equal_toIsEEsEE10hipError_tPvRmT2_T3_T4_T5_mT6_T7_P12ihipStream_tbENKUlT_T0_E_clISt17integral_constantIbLb0EESZ_EEDaSU_SV_EUlSU_E_NS1_11comp_targetILNS1_3genE10ELNS1_11target_archE1200ELNS1_3gpuE4ELNS1_3repE0EEENS1_30default_config_static_selectorELNS0_4arch9wavefront6targetE1EEEvT1_
                                        ; -- End function
	.section	.AMDGPU.csdata,"",@progbits
; Kernel info:
; codeLenInByte = 0
; NumSgprs: 4
; NumVgprs: 0
; NumAgprs: 0
; TotalNumVgprs: 0
; ScratchSize: 0
; MemoryBound: 0
; FloatMode: 240
; IeeeMode: 1
; LDSByteSize: 0 bytes/workgroup (compile time only)
; SGPRBlocks: 0
; VGPRBlocks: 0
; NumSGPRsForWavesPerEU: 4
; NumVGPRsForWavesPerEU: 1
; AccumOffset: 4
; Occupancy: 8
; WaveLimiterHint : 0
; COMPUTE_PGM_RSRC2:SCRATCH_EN: 0
; COMPUTE_PGM_RSRC2:USER_SGPR: 6
; COMPUTE_PGM_RSRC2:TRAP_HANDLER: 0
; COMPUTE_PGM_RSRC2:TGID_X_EN: 1
; COMPUTE_PGM_RSRC2:TGID_Y_EN: 0
; COMPUTE_PGM_RSRC2:TGID_Z_EN: 0
; COMPUTE_PGM_RSRC2:TIDIG_COMP_CNT: 0
; COMPUTE_PGM_RSRC3_GFX90A:ACCUM_OFFSET: 0
; COMPUTE_PGM_RSRC3_GFX90A:TG_SPLIT: 0
	.section	.text._ZN7rocprim17ROCPRIM_400000_NS6detail17trampoline_kernelINS0_14default_configENS1_27scan_by_key_config_selectorIssEEZZNS1_16scan_by_key_implILNS1_25lookback_scan_determinismE0ELb0ES3_N6thrust23THRUST_200600_302600_NS6detail15normal_iteratorINS9_10device_ptrIsEEEESE_SE_sNS9_4plusIvEENS9_8equal_toIsEEsEE10hipError_tPvRmT2_T3_T4_T5_mT6_T7_P12ihipStream_tbENKUlT_T0_E_clISt17integral_constantIbLb0EESZ_EEDaSU_SV_EUlSU_E_NS1_11comp_targetILNS1_3genE9ELNS1_11target_archE1100ELNS1_3gpuE3ELNS1_3repE0EEENS1_30default_config_static_selectorELNS0_4arch9wavefront6targetE1EEEvT1_,"axG",@progbits,_ZN7rocprim17ROCPRIM_400000_NS6detail17trampoline_kernelINS0_14default_configENS1_27scan_by_key_config_selectorIssEEZZNS1_16scan_by_key_implILNS1_25lookback_scan_determinismE0ELb0ES3_N6thrust23THRUST_200600_302600_NS6detail15normal_iteratorINS9_10device_ptrIsEEEESE_SE_sNS9_4plusIvEENS9_8equal_toIsEEsEE10hipError_tPvRmT2_T3_T4_T5_mT6_T7_P12ihipStream_tbENKUlT_T0_E_clISt17integral_constantIbLb0EESZ_EEDaSU_SV_EUlSU_E_NS1_11comp_targetILNS1_3genE9ELNS1_11target_archE1100ELNS1_3gpuE3ELNS1_3repE0EEENS1_30default_config_static_selectorELNS0_4arch9wavefront6targetE1EEEvT1_,comdat
	.protected	_ZN7rocprim17ROCPRIM_400000_NS6detail17trampoline_kernelINS0_14default_configENS1_27scan_by_key_config_selectorIssEEZZNS1_16scan_by_key_implILNS1_25lookback_scan_determinismE0ELb0ES3_N6thrust23THRUST_200600_302600_NS6detail15normal_iteratorINS9_10device_ptrIsEEEESE_SE_sNS9_4plusIvEENS9_8equal_toIsEEsEE10hipError_tPvRmT2_T3_T4_T5_mT6_T7_P12ihipStream_tbENKUlT_T0_E_clISt17integral_constantIbLb0EESZ_EEDaSU_SV_EUlSU_E_NS1_11comp_targetILNS1_3genE9ELNS1_11target_archE1100ELNS1_3gpuE3ELNS1_3repE0EEENS1_30default_config_static_selectorELNS0_4arch9wavefront6targetE1EEEvT1_ ; -- Begin function _ZN7rocprim17ROCPRIM_400000_NS6detail17trampoline_kernelINS0_14default_configENS1_27scan_by_key_config_selectorIssEEZZNS1_16scan_by_key_implILNS1_25lookback_scan_determinismE0ELb0ES3_N6thrust23THRUST_200600_302600_NS6detail15normal_iteratorINS9_10device_ptrIsEEEESE_SE_sNS9_4plusIvEENS9_8equal_toIsEEsEE10hipError_tPvRmT2_T3_T4_T5_mT6_T7_P12ihipStream_tbENKUlT_T0_E_clISt17integral_constantIbLb0EESZ_EEDaSU_SV_EUlSU_E_NS1_11comp_targetILNS1_3genE9ELNS1_11target_archE1100ELNS1_3gpuE3ELNS1_3repE0EEENS1_30default_config_static_selectorELNS0_4arch9wavefront6targetE1EEEvT1_
	.globl	_ZN7rocprim17ROCPRIM_400000_NS6detail17trampoline_kernelINS0_14default_configENS1_27scan_by_key_config_selectorIssEEZZNS1_16scan_by_key_implILNS1_25lookback_scan_determinismE0ELb0ES3_N6thrust23THRUST_200600_302600_NS6detail15normal_iteratorINS9_10device_ptrIsEEEESE_SE_sNS9_4plusIvEENS9_8equal_toIsEEsEE10hipError_tPvRmT2_T3_T4_T5_mT6_T7_P12ihipStream_tbENKUlT_T0_E_clISt17integral_constantIbLb0EESZ_EEDaSU_SV_EUlSU_E_NS1_11comp_targetILNS1_3genE9ELNS1_11target_archE1100ELNS1_3gpuE3ELNS1_3repE0EEENS1_30default_config_static_selectorELNS0_4arch9wavefront6targetE1EEEvT1_
	.p2align	8
	.type	_ZN7rocprim17ROCPRIM_400000_NS6detail17trampoline_kernelINS0_14default_configENS1_27scan_by_key_config_selectorIssEEZZNS1_16scan_by_key_implILNS1_25lookback_scan_determinismE0ELb0ES3_N6thrust23THRUST_200600_302600_NS6detail15normal_iteratorINS9_10device_ptrIsEEEESE_SE_sNS9_4plusIvEENS9_8equal_toIsEEsEE10hipError_tPvRmT2_T3_T4_T5_mT6_T7_P12ihipStream_tbENKUlT_T0_E_clISt17integral_constantIbLb0EESZ_EEDaSU_SV_EUlSU_E_NS1_11comp_targetILNS1_3genE9ELNS1_11target_archE1100ELNS1_3gpuE3ELNS1_3repE0EEENS1_30default_config_static_selectorELNS0_4arch9wavefront6targetE1EEEvT1_,@function
_ZN7rocprim17ROCPRIM_400000_NS6detail17trampoline_kernelINS0_14default_configENS1_27scan_by_key_config_selectorIssEEZZNS1_16scan_by_key_implILNS1_25lookback_scan_determinismE0ELb0ES3_N6thrust23THRUST_200600_302600_NS6detail15normal_iteratorINS9_10device_ptrIsEEEESE_SE_sNS9_4plusIvEENS9_8equal_toIsEEsEE10hipError_tPvRmT2_T3_T4_T5_mT6_T7_P12ihipStream_tbENKUlT_T0_E_clISt17integral_constantIbLb0EESZ_EEDaSU_SV_EUlSU_E_NS1_11comp_targetILNS1_3genE9ELNS1_11target_archE1100ELNS1_3gpuE3ELNS1_3repE0EEENS1_30default_config_static_selectorELNS0_4arch9wavefront6targetE1EEEvT1_: ; @_ZN7rocprim17ROCPRIM_400000_NS6detail17trampoline_kernelINS0_14default_configENS1_27scan_by_key_config_selectorIssEEZZNS1_16scan_by_key_implILNS1_25lookback_scan_determinismE0ELb0ES3_N6thrust23THRUST_200600_302600_NS6detail15normal_iteratorINS9_10device_ptrIsEEEESE_SE_sNS9_4plusIvEENS9_8equal_toIsEEsEE10hipError_tPvRmT2_T3_T4_T5_mT6_T7_P12ihipStream_tbENKUlT_T0_E_clISt17integral_constantIbLb0EESZ_EEDaSU_SV_EUlSU_E_NS1_11comp_targetILNS1_3genE9ELNS1_11target_archE1100ELNS1_3gpuE3ELNS1_3repE0EEENS1_30default_config_static_selectorELNS0_4arch9wavefront6targetE1EEEvT1_
; %bb.0:
	.section	.rodata,"a",@progbits
	.p2align	6, 0x0
	.amdhsa_kernel _ZN7rocprim17ROCPRIM_400000_NS6detail17trampoline_kernelINS0_14default_configENS1_27scan_by_key_config_selectorIssEEZZNS1_16scan_by_key_implILNS1_25lookback_scan_determinismE0ELb0ES3_N6thrust23THRUST_200600_302600_NS6detail15normal_iteratorINS9_10device_ptrIsEEEESE_SE_sNS9_4plusIvEENS9_8equal_toIsEEsEE10hipError_tPvRmT2_T3_T4_T5_mT6_T7_P12ihipStream_tbENKUlT_T0_E_clISt17integral_constantIbLb0EESZ_EEDaSU_SV_EUlSU_E_NS1_11comp_targetILNS1_3genE9ELNS1_11target_archE1100ELNS1_3gpuE3ELNS1_3repE0EEENS1_30default_config_static_selectorELNS0_4arch9wavefront6targetE1EEEvT1_
		.amdhsa_group_segment_fixed_size 0
		.amdhsa_private_segment_fixed_size 0
		.amdhsa_kernarg_size 112
		.amdhsa_user_sgpr_count 6
		.amdhsa_user_sgpr_private_segment_buffer 1
		.amdhsa_user_sgpr_dispatch_ptr 0
		.amdhsa_user_sgpr_queue_ptr 0
		.amdhsa_user_sgpr_kernarg_segment_ptr 1
		.amdhsa_user_sgpr_dispatch_id 0
		.amdhsa_user_sgpr_flat_scratch_init 0
		.amdhsa_user_sgpr_kernarg_preload_length 0
		.amdhsa_user_sgpr_kernarg_preload_offset 0
		.amdhsa_user_sgpr_private_segment_size 0
		.amdhsa_uses_dynamic_stack 0
		.amdhsa_system_sgpr_private_segment_wavefront_offset 0
		.amdhsa_system_sgpr_workgroup_id_x 1
		.amdhsa_system_sgpr_workgroup_id_y 0
		.amdhsa_system_sgpr_workgroup_id_z 0
		.amdhsa_system_sgpr_workgroup_info 0
		.amdhsa_system_vgpr_workitem_id 0
		.amdhsa_next_free_vgpr 1
		.amdhsa_next_free_sgpr 0
		.amdhsa_accum_offset 4
		.amdhsa_reserve_vcc 0
		.amdhsa_reserve_flat_scratch 0
		.amdhsa_float_round_mode_32 0
		.amdhsa_float_round_mode_16_64 0
		.amdhsa_float_denorm_mode_32 3
		.amdhsa_float_denorm_mode_16_64 3
		.amdhsa_dx10_clamp 1
		.amdhsa_ieee_mode 1
		.amdhsa_fp16_overflow 0
		.amdhsa_tg_split 0
		.amdhsa_exception_fp_ieee_invalid_op 0
		.amdhsa_exception_fp_denorm_src 0
		.amdhsa_exception_fp_ieee_div_zero 0
		.amdhsa_exception_fp_ieee_overflow 0
		.amdhsa_exception_fp_ieee_underflow 0
		.amdhsa_exception_fp_ieee_inexact 0
		.amdhsa_exception_int_div_zero 0
	.end_amdhsa_kernel
	.section	.text._ZN7rocprim17ROCPRIM_400000_NS6detail17trampoline_kernelINS0_14default_configENS1_27scan_by_key_config_selectorIssEEZZNS1_16scan_by_key_implILNS1_25lookback_scan_determinismE0ELb0ES3_N6thrust23THRUST_200600_302600_NS6detail15normal_iteratorINS9_10device_ptrIsEEEESE_SE_sNS9_4plusIvEENS9_8equal_toIsEEsEE10hipError_tPvRmT2_T3_T4_T5_mT6_T7_P12ihipStream_tbENKUlT_T0_E_clISt17integral_constantIbLb0EESZ_EEDaSU_SV_EUlSU_E_NS1_11comp_targetILNS1_3genE9ELNS1_11target_archE1100ELNS1_3gpuE3ELNS1_3repE0EEENS1_30default_config_static_selectorELNS0_4arch9wavefront6targetE1EEEvT1_,"axG",@progbits,_ZN7rocprim17ROCPRIM_400000_NS6detail17trampoline_kernelINS0_14default_configENS1_27scan_by_key_config_selectorIssEEZZNS1_16scan_by_key_implILNS1_25lookback_scan_determinismE0ELb0ES3_N6thrust23THRUST_200600_302600_NS6detail15normal_iteratorINS9_10device_ptrIsEEEESE_SE_sNS9_4plusIvEENS9_8equal_toIsEEsEE10hipError_tPvRmT2_T3_T4_T5_mT6_T7_P12ihipStream_tbENKUlT_T0_E_clISt17integral_constantIbLb0EESZ_EEDaSU_SV_EUlSU_E_NS1_11comp_targetILNS1_3genE9ELNS1_11target_archE1100ELNS1_3gpuE3ELNS1_3repE0EEENS1_30default_config_static_selectorELNS0_4arch9wavefront6targetE1EEEvT1_,comdat
.Lfunc_end324:
	.size	_ZN7rocprim17ROCPRIM_400000_NS6detail17trampoline_kernelINS0_14default_configENS1_27scan_by_key_config_selectorIssEEZZNS1_16scan_by_key_implILNS1_25lookback_scan_determinismE0ELb0ES3_N6thrust23THRUST_200600_302600_NS6detail15normal_iteratorINS9_10device_ptrIsEEEESE_SE_sNS9_4plusIvEENS9_8equal_toIsEEsEE10hipError_tPvRmT2_T3_T4_T5_mT6_T7_P12ihipStream_tbENKUlT_T0_E_clISt17integral_constantIbLb0EESZ_EEDaSU_SV_EUlSU_E_NS1_11comp_targetILNS1_3genE9ELNS1_11target_archE1100ELNS1_3gpuE3ELNS1_3repE0EEENS1_30default_config_static_selectorELNS0_4arch9wavefront6targetE1EEEvT1_, .Lfunc_end324-_ZN7rocprim17ROCPRIM_400000_NS6detail17trampoline_kernelINS0_14default_configENS1_27scan_by_key_config_selectorIssEEZZNS1_16scan_by_key_implILNS1_25lookback_scan_determinismE0ELb0ES3_N6thrust23THRUST_200600_302600_NS6detail15normal_iteratorINS9_10device_ptrIsEEEESE_SE_sNS9_4plusIvEENS9_8equal_toIsEEsEE10hipError_tPvRmT2_T3_T4_T5_mT6_T7_P12ihipStream_tbENKUlT_T0_E_clISt17integral_constantIbLb0EESZ_EEDaSU_SV_EUlSU_E_NS1_11comp_targetILNS1_3genE9ELNS1_11target_archE1100ELNS1_3gpuE3ELNS1_3repE0EEENS1_30default_config_static_selectorELNS0_4arch9wavefront6targetE1EEEvT1_
                                        ; -- End function
	.section	.AMDGPU.csdata,"",@progbits
; Kernel info:
; codeLenInByte = 0
; NumSgprs: 4
; NumVgprs: 0
; NumAgprs: 0
; TotalNumVgprs: 0
; ScratchSize: 0
; MemoryBound: 0
; FloatMode: 240
; IeeeMode: 1
; LDSByteSize: 0 bytes/workgroup (compile time only)
; SGPRBlocks: 0
; VGPRBlocks: 0
; NumSGPRsForWavesPerEU: 4
; NumVGPRsForWavesPerEU: 1
; AccumOffset: 4
; Occupancy: 8
; WaveLimiterHint : 0
; COMPUTE_PGM_RSRC2:SCRATCH_EN: 0
; COMPUTE_PGM_RSRC2:USER_SGPR: 6
; COMPUTE_PGM_RSRC2:TRAP_HANDLER: 0
; COMPUTE_PGM_RSRC2:TGID_X_EN: 1
; COMPUTE_PGM_RSRC2:TGID_Y_EN: 0
; COMPUTE_PGM_RSRC2:TGID_Z_EN: 0
; COMPUTE_PGM_RSRC2:TIDIG_COMP_CNT: 0
; COMPUTE_PGM_RSRC3_GFX90A:ACCUM_OFFSET: 0
; COMPUTE_PGM_RSRC3_GFX90A:TG_SPLIT: 0
	.section	.text._ZN7rocprim17ROCPRIM_400000_NS6detail17trampoline_kernelINS0_14default_configENS1_27scan_by_key_config_selectorIssEEZZNS1_16scan_by_key_implILNS1_25lookback_scan_determinismE0ELb0ES3_N6thrust23THRUST_200600_302600_NS6detail15normal_iteratorINS9_10device_ptrIsEEEESE_SE_sNS9_4plusIvEENS9_8equal_toIsEEsEE10hipError_tPvRmT2_T3_T4_T5_mT6_T7_P12ihipStream_tbENKUlT_T0_E_clISt17integral_constantIbLb0EESZ_EEDaSU_SV_EUlSU_E_NS1_11comp_targetILNS1_3genE8ELNS1_11target_archE1030ELNS1_3gpuE2ELNS1_3repE0EEENS1_30default_config_static_selectorELNS0_4arch9wavefront6targetE1EEEvT1_,"axG",@progbits,_ZN7rocprim17ROCPRIM_400000_NS6detail17trampoline_kernelINS0_14default_configENS1_27scan_by_key_config_selectorIssEEZZNS1_16scan_by_key_implILNS1_25lookback_scan_determinismE0ELb0ES3_N6thrust23THRUST_200600_302600_NS6detail15normal_iteratorINS9_10device_ptrIsEEEESE_SE_sNS9_4plusIvEENS9_8equal_toIsEEsEE10hipError_tPvRmT2_T3_T4_T5_mT6_T7_P12ihipStream_tbENKUlT_T0_E_clISt17integral_constantIbLb0EESZ_EEDaSU_SV_EUlSU_E_NS1_11comp_targetILNS1_3genE8ELNS1_11target_archE1030ELNS1_3gpuE2ELNS1_3repE0EEENS1_30default_config_static_selectorELNS0_4arch9wavefront6targetE1EEEvT1_,comdat
	.protected	_ZN7rocprim17ROCPRIM_400000_NS6detail17trampoline_kernelINS0_14default_configENS1_27scan_by_key_config_selectorIssEEZZNS1_16scan_by_key_implILNS1_25lookback_scan_determinismE0ELb0ES3_N6thrust23THRUST_200600_302600_NS6detail15normal_iteratorINS9_10device_ptrIsEEEESE_SE_sNS9_4plusIvEENS9_8equal_toIsEEsEE10hipError_tPvRmT2_T3_T4_T5_mT6_T7_P12ihipStream_tbENKUlT_T0_E_clISt17integral_constantIbLb0EESZ_EEDaSU_SV_EUlSU_E_NS1_11comp_targetILNS1_3genE8ELNS1_11target_archE1030ELNS1_3gpuE2ELNS1_3repE0EEENS1_30default_config_static_selectorELNS0_4arch9wavefront6targetE1EEEvT1_ ; -- Begin function _ZN7rocprim17ROCPRIM_400000_NS6detail17trampoline_kernelINS0_14default_configENS1_27scan_by_key_config_selectorIssEEZZNS1_16scan_by_key_implILNS1_25lookback_scan_determinismE0ELb0ES3_N6thrust23THRUST_200600_302600_NS6detail15normal_iteratorINS9_10device_ptrIsEEEESE_SE_sNS9_4plusIvEENS9_8equal_toIsEEsEE10hipError_tPvRmT2_T3_T4_T5_mT6_T7_P12ihipStream_tbENKUlT_T0_E_clISt17integral_constantIbLb0EESZ_EEDaSU_SV_EUlSU_E_NS1_11comp_targetILNS1_3genE8ELNS1_11target_archE1030ELNS1_3gpuE2ELNS1_3repE0EEENS1_30default_config_static_selectorELNS0_4arch9wavefront6targetE1EEEvT1_
	.globl	_ZN7rocprim17ROCPRIM_400000_NS6detail17trampoline_kernelINS0_14default_configENS1_27scan_by_key_config_selectorIssEEZZNS1_16scan_by_key_implILNS1_25lookback_scan_determinismE0ELb0ES3_N6thrust23THRUST_200600_302600_NS6detail15normal_iteratorINS9_10device_ptrIsEEEESE_SE_sNS9_4plusIvEENS9_8equal_toIsEEsEE10hipError_tPvRmT2_T3_T4_T5_mT6_T7_P12ihipStream_tbENKUlT_T0_E_clISt17integral_constantIbLb0EESZ_EEDaSU_SV_EUlSU_E_NS1_11comp_targetILNS1_3genE8ELNS1_11target_archE1030ELNS1_3gpuE2ELNS1_3repE0EEENS1_30default_config_static_selectorELNS0_4arch9wavefront6targetE1EEEvT1_
	.p2align	8
	.type	_ZN7rocprim17ROCPRIM_400000_NS6detail17trampoline_kernelINS0_14default_configENS1_27scan_by_key_config_selectorIssEEZZNS1_16scan_by_key_implILNS1_25lookback_scan_determinismE0ELb0ES3_N6thrust23THRUST_200600_302600_NS6detail15normal_iteratorINS9_10device_ptrIsEEEESE_SE_sNS9_4plusIvEENS9_8equal_toIsEEsEE10hipError_tPvRmT2_T3_T4_T5_mT6_T7_P12ihipStream_tbENKUlT_T0_E_clISt17integral_constantIbLb0EESZ_EEDaSU_SV_EUlSU_E_NS1_11comp_targetILNS1_3genE8ELNS1_11target_archE1030ELNS1_3gpuE2ELNS1_3repE0EEENS1_30default_config_static_selectorELNS0_4arch9wavefront6targetE1EEEvT1_,@function
_ZN7rocprim17ROCPRIM_400000_NS6detail17trampoline_kernelINS0_14default_configENS1_27scan_by_key_config_selectorIssEEZZNS1_16scan_by_key_implILNS1_25lookback_scan_determinismE0ELb0ES3_N6thrust23THRUST_200600_302600_NS6detail15normal_iteratorINS9_10device_ptrIsEEEESE_SE_sNS9_4plusIvEENS9_8equal_toIsEEsEE10hipError_tPvRmT2_T3_T4_T5_mT6_T7_P12ihipStream_tbENKUlT_T0_E_clISt17integral_constantIbLb0EESZ_EEDaSU_SV_EUlSU_E_NS1_11comp_targetILNS1_3genE8ELNS1_11target_archE1030ELNS1_3gpuE2ELNS1_3repE0EEENS1_30default_config_static_selectorELNS0_4arch9wavefront6targetE1EEEvT1_: ; @_ZN7rocprim17ROCPRIM_400000_NS6detail17trampoline_kernelINS0_14default_configENS1_27scan_by_key_config_selectorIssEEZZNS1_16scan_by_key_implILNS1_25lookback_scan_determinismE0ELb0ES3_N6thrust23THRUST_200600_302600_NS6detail15normal_iteratorINS9_10device_ptrIsEEEESE_SE_sNS9_4plusIvEENS9_8equal_toIsEEsEE10hipError_tPvRmT2_T3_T4_T5_mT6_T7_P12ihipStream_tbENKUlT_T0_E_clISt17integral_constantIbLb0EESZ_EEDaSU_SV_EUlSU_E_NS1_11comp_targetILNS1_3genE8ELNS1_11target_archE1030ELNS1_3gpuE2ELNS1_3repE0EEENS1_30default_config_static_selectorELNS0_4arch9wavefront6targetE1EEEvT1_
; %bb.0:
	.section	.rodata,"a",@progbits
	.p2align	6, 0x0
	.amdhsa_kernel _ZN7rocprim17ROCPRIM_400000_NS6detail17trampoline_kernelINS0_14default_configENS1_27scan_by_key_config_selectorIssEEZZNS1_16scan_by_key_implILNS1_25lookback_scan_determinismE0ELb0ES3_N6thrust23THRUST_200600_302600_NS6detail15normal_iteratorINS9_10device_ptrIsEEEESE_SE_sNS9_4plusIvEENS9_8equal_toIsEEsEE10hipError_tPvRmT2_T3_T4_T5_mT6_T7_P12ihipStream_tbENKUlT_T0_E_clISt17integral_constantIbLb0EESZ_EEDaSU_SV_EUlSU_E_NS1_11comp_targetILNS1_3genE8ELNS1_11target_archE1030ELNS1_3gpuE2ELNS1_3repE0EEENS1_30default_config_static_selectorELNS0_4arch9wavefront6targetE1EEEvT1_
		.amdhsa_group_segment_fixed_size 0
		.amdhsa_private_segment_fixed_size 0
		.amdhsa_kernarg_size 112
		.amdhsa_user_sgpr_count 6
		.amdhsa_user_sgpr_private_segment_buffer 1
		.amdhsa_user_sgpr_dispatch_ptr 0
		.amdhsa_user_sgpr_queue_ptr 0
		.amdhsa_user_sgpr_kernarg_segment_ptr 1
		.amdhsa_user_sgpr_dispatch_id 0
		.amdhsa_user_sgpr_flat_scratch_init 0
		.amdhsa_user_sgpr_kernarg_preload_length 0
		.amdhsa_user_sgpr_kernarg_preload_offset 0
		.amdhsa_user_sgpr_private_segment_size 0
		.amdhsa_uses_dynamic_stack 0
		.amdhsa_system_sgpr_private_segment_wavefront_offset 0
		.amdhsa_system_sgpr_workgroup_id_x 1
		.amdhsa_system_sgpr_workgroup_id_y 0
		.amdhsa_system_sgpr_workgroup_id_z 0
		.amdhsa_system_sgpr_workgroup_info 0
		.amdhsa_system_vgpr_workitem_id 0
		.amdhsa_next_free_vgpr 1
		.amdhsa_next_free_sgpr 0
		.amdhsa_accum_offset 4
		.amdhsa_reserve_vcc 0
		.amdhsa_reserve_flat_scratch 0
		.amdhsa_float_round_mode_32 0
		.amdhsa_float_round_mode_16_64 0
		.amdhsa_float_denorm_mode_32 3
		.amdhsa_float_denorm_mode_16_64 3
		.amdhsa_dx10_clamp 1
		.amdhsa_ieee_mode 1
		.amdhsa_fp16_overflow 0
		.amdhsa_tg_split 0
		.amdhsa_exception_fp_ieee_invalid_op 0
		.amdhsa_exception_fp_denorm_src 0
		.amdhsa_exception_fp_ieee_div_zero 0
		.amdhsa_exception_fp_ieee_overflow 0
		.amdhsa_exception_fp_ieee_underflow 0
		.amdhsa_exception_fp_ieee_inexact 0
		.amdhsa_exception_int_div_zero 0
	.end_amdhsa_kernel
	.section	.text._ZN7rocprim17ROCPRIM_400000_NS6detail17trampoline_kernelINS0_14default_configENS1_27scan_by_key_config_selectorIssEEZZNS1_16scan_by_key_implILNS1_25lookback_scan_determinismE0ELb0ES3_N6thrust23THRUST_200600_302600_NS6detail15normal_iteratorINS9_10device_ptrIsEEEESE_SE_sNS9_4plusIvEENS9_8equal_toIsEEsEE10hipError_tPvRmT2_T3_T4_T5_mT6_T7_P12ihipStream_tbENKUlT_T0_E_clISt17integral_constantIbLb0EESZ_EEDaSU_SV_EUlSU_E_NS1_11comp_targetILNS1_3genE8ELNS1_11target_archE1030ELNS1_3gpuE2ELNS1_3repE0EEENS1_30default_config_static_selectorELNS0_4arch9wavefront6targetE1EEEvT1_,"axG",@progbits,_ZN7rocprim17ROCPRIM_400000_NS6detail17trampoline_kernelINS0_14default_configENS1_27scan_by_key_config_selectorIssEEZZNS1_16scan_by_key_implILNS1_25lookback_scan_determinismE0ELb0ES3_N6thrust23THRUST_200600_302600_NS6detail15normal_iteratorINS9_10device_ptrIsEEEESE_SE_sNS9_4plusIvEENS9_8equal_toIsEEsEE10hipError_tPvRmT2_T3_T4_T5_mT6_T7_P12ihipStream_tbENKUlT_T0_E_clISt17integral_constantIbLb0EESZ_EEDaSU_SV_EUlSU_E_NS1_11comp_targetILNS1_3genE8ELNS1_11target_archE1030ELNS1_3gpuE2ELNS1_3repE0EEENS1_30default_config_static_selectorELNS0_4arch9wavefront6targetE1EEEvT1_,comdat
.Lfunc_end325:
	.size	_ZN7rocprim17ROCPRIM_400000_NS6detail17trampoline_kernelINS0_14default_configENS1_27scan_by_key_config_selectorIssEEZZNS1_16scan_by_key_implILNS1_25lookback_scan_determinismE0ELb0ES3_N6thrust23THRUST_200600_302600_NS6detail15normal_iteratorINS9_10device_ptrIsEEEESE_SE_sNS9_4plusIvEENS9_8equal_toIsEEsEE10hipError_tPvRmT2_T3_T4_T5_mT6_T7_P12ihipStream_tbENKUlT_T0_E_clISt17integral_constantIbLb0EESZ_EEDaSU_SV_EUlSU_E_NS1_11comp_targetILNS1_3genE8ELNS1_11target_archE1030ELNS1_3gpuE2ELNS1_3repE0EEENS1_30default_config_static_selectorELNS0_4arch9wavefront6targetE1EEEvT1_, .Lfunc_end325-_ZN7rocprim17ROCPRIM_400000_NS6detail17trampoline_kernelINS0_14default_configENS1_27scan_by_key_config_selectorIssEEZZNS1_16scan_by_key_implILNS1_25lookback_scan_determinismE0ELb0ES3_N6thrust23THRUST_200600_302600_NS6detail15normal_iteratorINS9_10device_ptrIsEEEESE_SE_sNS9_4plusIvEENS9_8equal_toIsEEsEE10hipError_tPvRmT2_T3_T4_T5_mT6_T7_P12ihipStream_tbENKUlT_T0_E_clISt17integral_constantIbLb0EESZ_EEDaSU_SV_EUlSU_E_NS1_11comp_targetILNS1_3genE8ELNS1_11target_archE1030ELNS1_3gpuE2ELNS1_3repE0EEENS1_30default_config_static_selectorELNS0_4arch9wavefront6targetE1EEEvT1_
                                        ; -- End function
	.section	.AMDGPU.csdata,"",@progbits
; Kernel info:
; codeLenInByte = 0
; NumSgprs: 4
; NumVgprs: 0
; NumAgprs: 0
; TotalNumVgprs: 0
; ScratchSize: 0
; MemoryBound: 0
; FloatMode: 240
; IeeeMode: 1
; LDSByteSize: 0 bytes/workgroup (compile time only)
; SGPRBlocks: 0
; VGPRBlocks: 0
; NumSGPRsForWavesPerEU: 4
; NumVGPRsForWavesPerEU: 1
; AccumOffset: 4
; Occupancy: 8
; WaveLimiterHint : 0
; COMPUTE_PGM_RSRC2:SCRATCH_EN: 0
; COMPUTE_PGM_RSRC2:USER_SGPR: 6
; COMPUTE_PGM_RSRC2:TRAP_HANDLER: 0
; COMPUTE_PGM_RSRC2:TGID_X_EN: 1
; COMPUTE_PGM_RSRC2:TGID_Y_EN: 0
; COMPUTE_PGM_RSRC2:TGID_Z_EN: 0
; COMPUTE_PGM_RSRC2:TIDIG_COMP_CNT: 0
; COMPUTE_PGM_RSRC3_GFX90A:ACCUM_OFFSET: 0
; COMPUTE_PGM_RSRC3_GFX90A:TG_SPLIT: 0
	.section	.text._ZN7rocprim17ROCPRIM_400000_NS6detail17trampoline_kernelINS0_14default_configENS1_27scan_by_key_config_selectorIssEEZZNS1_16scan_by_key_implILNS1_25lookback_scan_determinismE0ELb0ES3_N6thrust23THRUST_200600_302600_NS6detail15normal_iteratorINS9_10device_ptrIsEEEESE_SE_sNS9_4plusIvEENS9_8equal_toIsEEsEE10hipError_tPvRmT2_T3_T4_T5_mT6_T7_P12ihipStream_tbENKUlT_T0_E_clISt17integral_constantIbLb1EESZ_EEDaSU_SV_EUlSU_E_NS1_11comp_targetILNS1_3genE0ELNS1_11target_archE4294967295ELNS1_3gpuE0ELNS1_3repE0EEENS1_30default_config_static_selectorELNS0_4arch9wavefront6targetE1EEEvT1_,"axG",@progbits,_ZN7rocprim17ROCPRIM_400000_NS6detail17trampoline_kernelINS0_14default_configENS1_27scan_by_key_config_selectorIssEEZZNS1_16scan_by_key_implILNS1_25lookback_scan_determinismE0ELb0ES3_N6thrust23THRUST_200600_302600_NS6detail15normal_iteratorINS9_10device_ptrIsEEEESE_SE_sNS9_4plusIvEENS9_8equal_toIsEEsEE10hipError_tPvRmT2_T3_T4_T5_mT6_T7_P12ihipStream_tbENKUlT_T0_E_clISt17integral_constantIbLb1EESZ_EEDaSU_SV_EUlSU_E_NS1_11comp_targetILNS1_3genE0ELNS1_11target_archE4294967295ELNS1_3gpuE0ELNS1_3repE0EEENS1_30default_config_static_selectorELNS0_4arch9wavefront6targetE1EEEvT1_,comdat
	.protected	_ZN7rocprim17ROCPRIM_400000_NS6detail17trampoline_kernelINS0_14default_configENS1_27scan_by_key_config_selectorIssEEZZNS1_16scan_by_key_implILNS1_25lookback_scan_determinismE0ELb0ES3_N6thrust23THRUST_200600_302600_NS6detail15normal_iteratorINS9_10device_ptrIsEEEESE_SE_sNS9_4plusIvEENS9_8equal_toIsEEsEE10hipError_tPvRmT2_T3_T4_T5_mT6_T7_P12ihipStream_tbENKUlT_T0_E_clISt17integral_constantIbLb1EESZ_EEDaSU_SV_EUlSU_E_NS1_11comp_targetILNS1_3genE0ELNS1_11target_archE4294967295ELNS1_3gpuE0ELNS1_3repE0EEENS1_30default_config_static_selectorELNS0_4arch9wavefront6targetE1EEEvT1_ ; -- Begin function _ZN7rocprim17ROCPRIM_400000_NS6detail17trampoline_kernelINS0_14default_configENS1_27scan_by_key_config_selectorIssEEZZNS1_16scan_by_key_implILNS1_25lookback_scan_determinismE0ELb0ES3_N6thrust23THRUST_200600_302600_NS6detail15normal_iteratorINS9_10device_ptrIsEEEESE_SE_sNS9_4plusIvEENS9_8equal_toIsEEsEE10hipError_tPvRmT2_T3_T4_T5_mT6_T7_P12ihipStream_tbENKUlT_T0_E_clISt17integral_constantIbLb1EESZ_EEDaSU_SV_EUlSU_E_NS1_11comp_targetILNS1_3genE0ELNS1_11target_archE4294967295ELNS1_3gpuE0ELNS1_3repE0EEENS1_30default_config_static_selectorELNS0_4arch9wavefront6targetE1EEEvT1_
	.globl	_ZN7rocprim17ROCPRIM_400000_NS6detail17trampoline_kernelINS0_14default_configENS1_27scan_by_key_config_selectorIssEEZZNS1_16scan_by_key_implILNS1_25lookback_scan_determinismE0ELb0ES3_N6thrust23THRUST_200600_302600_NS6detail15normal_iteratorINS9_10device_ptrIsEEEESE_SE_sNS9_4plusIvEENS9_8equal_toIsEEsEE10hipError_tPvRmT2_T3_T4_T5_mT6_T7_P12ihipStream_tbENKUlT_T0_E_clISt17integral_constantIbLb1EESZ_EEDaSU_SV_EUlSU_E_NS1_11comp_targetILNS1_3genE0ELNS1_11target_archE4294967295ELNS1_3gpuE0ELNS1_3repE0EEENS1_30default_config_static_selectorELNS0_4arch9wavefront6targetE1EEEvT1_
	.p2align	8
	.type	_ZN7rocprim17ROCPRIM_400000_NS6detail17trampoline_kernelINS0_14default_configENS1_27scan_by_key_config_selectorIssEEZZNS1_16scan_by_key_implILNS1_25lookback_scan_determinismE0ELb0ES3_N6thrust23THRUST_200600_302600_NS6detail15normal_iteratorINS9_10device_ptrIsEEEESE_SE_sNS9_4plusIvEENS9_8equal_toIsEEsEE10hipError_tPvRmT2_T3_T4_T5_mT6_T7_P12ihipStream_tbENKUlT_T0_E_clISt17integral_constantIbLb1EESZ_EEDaSU_SV_EUlSU_E_NS1_11comp_targetILNS1_3genE0ELNS1_11target_archE4294967295ELNS1_3gpuE0ELNS1_3repE0EEENS1_30default_config_static_selectorELNS0_4arch9wavefront6targetE1EEEvT1_,@function
_ZN7rocprim17ROCPRIM_400000_NS6detail17trampoline_kernelINS0_14default_configENS1_27scan_by_key_config_selectorIssEEZZNS1_16scan_by_key_implILNS1_25lookback_scan_determinismE0ELb0ES3_N6thrust23THRUST_200600_302600_NS6detail15normal_iteratorINS9_10device_ptrIsEEEESE_SE_sNS9_4plusIvEENS9_8equal_toIsEEsEE10hipError_tPvRmT2_T3_T4_T5_mT6_T7_P12ihipStream_tbENKUlT_T0_E_clISt17integral_constantIbLb1EESZ_EEDaSU_SV_EUlSU_E_NS1_11comp_targetILNS1_3genE0ELNS1_11target_archE4294967295ELNS1_3gpuE0ELNS1_3repE0EEENS1_30default_config_static_selectorELNS0_4arch9wavefront6targetE1EEEvT1_: ; @_ZN7rocprim17ROCPRIM_400000_NS6detail17trampoline_kernelINS0_14default_configENS1_27scan_by_key_config_selectorIssEEZZNS1_16scan_by_key_implILNS1_25lookback_scan_determinismE0ELb0ES3_N6thrust23THRUST_200600_302600_NS6detail15normal_iteratorINS9_10device_ptrIsEEEESE_SE_sNS9_4plusIvEENS9_8equal_toIsEEsEE10hipError_tPvRmT2_T3_T4_T5_mT6_T7_P12ihipStream_tbENKUlT_T0_E_clISt17integral_constantIbLb1EESZ_EEDaSU_SV_EUlSU_E_NS1_11comp_targetILNS1_3genE0ELNS1_11target_archE4294967295ELNS1_3gpuE0ELNS1_3repE0EEENS1_30default_config_static_selectorELNS0_4arch9wavefront6targetE1EEEvT1_
; %bb.0:
	.section	.rodata,"a",@progbits
	.p2align	6, 0x0
	.amdhsa_kernel _ZN7rocprim17ROCPRIM_400000_NS6detail17trampoline_kernelINS0_14default_configENS1_27scan_by_key_config_selectorIssEEZZNS1_16scan_by_key_implILNS1_25lookback_scan_determinismE0ELb0ES3_N6thrust23THRUST_200600_302600_NS6detail15normal_iteratorINS9_10device_ptrIsEEEESE_SE_sNS9_4plusIvEENS9_8equal_toIsEEsEE10hipError_tPvRmT2_T3_T4_T5_mT6_T7_P12ihipStream_tbENKUlT_T0_E_clISt17integral_constantIbLb1EESZ_EEDaSU_SV_EUlSU_E_NS1_11comp_targetILNS1_3genE0ELNS1_11target_archE4294967295ELNS1_3gpuE0ELNS1_3repE0EEENS1_30default_config_static_selectorELNS0_4arch9wavefront6targetE1EEEvT1_
		.amdhsa_group_segment_fixed_size 0
		.amdhsa_private_segment_fixed_size 0
		.amdhsa_kernarg_size 112
		.amdhsa_user_sgpr_count 6
		.amdhsa_user_sgpr_private_segment_buffer 1
		.amdhsa_user_sgpr_dispatch_ptr 0
		.amdhsa_user_sgpr_queue_ptr 0
		.amdhsa_user_sgpr_kernarg_segment_ptr 1
		.amdhsa_user_sgpr_dispatch_id 0
		.amdhsa_user_sgpr_flat_scratch_init 0
		.amdhsa_user_sgpr_kernarg_preload_length 0
		.amdhsa_user_sgpr_kernarg_preload_offset 0
		.amdhsa_user_sgpr_private_segment_size 0
		.amdhsa_uses_dynamic_stack 0
		.amdhsa_system_sgpr_private_segment_wavefront_offset 0
		.amdhsa_system_sgpr_workgroup_id_x 1
		.amdhsa_system_sgpr_workgroup_id_y 0
		.amdhsa_system_sgpr_workgroup_id_z 0
		.amdhsa_system_sgpr_workgroup_info 0
		.amdhsa_system_vgpr_workitem_id 0
		.amdhsa_next_free_vgpr 1
		.amdhsa_next_free_sgpr 0
		.amdhsa_accum_offset 4
		.amdhsa_reserve_vcc 0
		.amdhsa_reserve_flat_scratch 0
		.amdhsa_float_round_mode_32 0
		.amdhsa_float_round_mode_16_64 0
		.amdhsa_float_denorm_mode_32 3
		.amdhsa_float_denorm_mode_16_64 3
		.amdhsa_dx10_clamp 1
		.amdhsa_ieee_mode 1
		.amdhsa_fp16_overflow 0
		.amdhsa_tg_split 0
		.amdhsa_exception_fp_ieee_invalid_op 0
		.amdhsa_exception_fp_denorm_src 0
		.amdhsa_exception_fp_ieee_div_zero 0
		.amdhsa_exception_fp_ieee_overflow 0
		.amdhsa_exception_fp_ieee_underflow 0
		.amdhsa_exception_fp_ieee_inexact 0
		.amdhsa_exception_int_div_zero 0
	.end_amdhsa_kernel
	.section	.text._ZN7rocprim17ROCPRIM_400000_NS6detail17trampoline_kernelINS0_14default_configENS1_27scan_by_key_config_selectorIssEEZZNS1_16scan_by_key_implILNS1_25lookback_scan_determinismE0ELb0ES3_N6thrust23THRUST_200600_302600_NS6detail15normal_iteratorINS9_10device_ptrIsEEEESE_SE_sNS9_4plusIvEENS9_8equal_toIsEEsEE10hipError_tPvRmT2_T3_T4_T5_mT6_T7_P12ihipStream_tbENKUlT_T0_E_clISt17integral_constantIbLb1EESZ_EEDaSU_SV_EUlSU_E_NS1_11comp_targetILNS1_3genE0ELNS1_11target_archE4294967295ELNS1_3gpuE0ELNS1_3repE0EEENS1_30default_config_static_selectorELNS0_4arch9wavefront6targetE1EEEvT1_,"axG",@progbits,_ZN7rocprim17ROCPRIM_400000_NS6detail17trampoline_kernelINS0_14default_configENS1_27scan_by_key_config_selectorIssEEZZNS1_16scan_by_key_implILNS1_25lookback_scan_determinismE0ELb0ES3_N6thrust23THRUST_200600_302600_NS6detail15normal_iteratorINS9_10device_ptrIsEEEESE_SE_sNS9_4plusIvEENS9_8equal_toIsEEsEE10hipError_tPvRmT2_T3_T4_T5_mT6_T7_P12ihipStream_tbENKUlT_T0_E_clISt17integral_constantIbLb1EESZ_EEDaSU_SV_EUlSU_E_NS1_11comp_targetILNS1_3genE0ELNS1_11target_archE4294967295ELNS1_3gpuE0ELNS1_3repE0EEENS1_30default_config_static_selectorELNS0_4arch9wavefront6targetE1EEEvT1_,comdat
.Lfunc_end326:
	.size	_ZN7rocprim17ROCPRIM_400000_NS6detail17trampoline_kernelINS0_14default_configENS1_27scan_by_key_config_selectorIssEEZZNS1_16scan_by_key_implILNS1_25lookback_scan_determinismE0ELb0ES3_N6thrust23THRUST_200600_302600_NS6detail15normal_iteratorINS9_10device_ptrIsEEEESE_SE_sNS9_4plusIvEENS9_8equal_toIsEEsEE10hipError_tPvRmT2_T3_T4_T5_mT6_T7_P12ihipStream_tbENKUlT_T0_E_clISt17integral_constantIbLb1EESZ_EEDaSU_SV_EUlSU_E_NS1_11comp_targetILNS1_3genE0ELNS1_11target_archE4294967295ELNS1_3gpuE0ELNS1_3repE0EEENS1_30default_config_static_selectorELNS0_4arch9wavefront6targetE1EEEvT1_, .Lfunc_end326-_ZN7rocprim17ROCPRIM_400000_NS6detail17trampoline_kernelINS0_14default_configENS1_27scan_by_key_config_selectorIssEEZZNS1_16scan_by_key_implILNS1_25lookback_scan_determinismE0ELb0ES3_N6thrust23THRUST_200600_302600_NS6detail15normal_iteratorINS9_10device_ptrIsEEEESE_SE_sNS9_4plusIvEENS9_8equal_toIsEEsEE10hipError_tPvRmT2_T3_T4_T5_mT6_T7_P12ihipStream_tbENKUlT_T0_E_clISt17integral_constantIbLb1EESZ_EEDaSU_SV_EUlSU_E_NS1_11comp_targetILNS1_3genE0ELNS1_11target_archE4294967295ELNS1_3gpuE0ELNS1_3repE0EEENS1_30default_config_static_selectorELNS0_4arch9wavefront6targetE1EEEvT1_
                                        ; -- End function
	.section	.AMDGPU.csdata,"",@progbits
; Kernel info:
; codeLenInByte = 0
; NumSgprs: 4
; NumVgprs: 0
; NumAgprs: 0
; TotalNumVgprs: 0
; ScratchSize: 0
; MemoryBound: 0
; FloatMode: 240
; IeeeMode: 1
; LDSByteSize: 0 bytes/workgroup (compile time only)
; SGPRBlocks: 0
; VGPRBlocks: 0
; NumSGPRsForWavesPerEU: 4
; NumVGPRsForWavesPerEU: 1
; AccumOffset: 4
; Occupancy: 8
; WaveLimiterHint : 0
; COMPUTE_PGM_RSRC2:SCRATCH_EN: 0
; COMPUTE_PGM_RSRC2:USER_SGPR: 6
; COMPUTE_PGM_RSRC2:TRAP_HANDLER: 0
; COMPUTE_PGM_RSRC2:TGID_X_EN: 1
; COMPUTE_PGM_RSRC2:TGID_Y_EN: 0
; COMPUTE_PGM_RSRC2:TGID_Z_EN: 0
; COMPUTE_PGM_RSRC2:TIDIG_COMP_CNT: 0
; COMPUTE_PGM_RSRC3_GFX90A:ACCUM_OFFSET: 0
; COMPUTE_PGM_RSRC3_GFX90A:TG_SPLIT: 0
	.section	.text._ZN7rocprim17ROCPRIM_400000_NS6detail17trampoline_kernelINS0_14default_configENS1_27scan_by_key_config_selectorIssEEZZNS1_16scan_by_key_implILNS1_25lookback_scan_determinismE0ELb0ES3_N6thrust23THRUST_200600_302600_NS6detail15normal_iteratorINS9_10device_ptrIsEEEESE_SE_sNS9_4plusIvEENS9_8equal_toIsEEsEE10hipError_tPvRmT2_T3_T4_T5_mT6_T7_P12ihipStream_tbENKUlT_T0_E_clISt17integral_constantIbLb1EESZ_EEDaSU_SV_EUlSU_E_NS1_11comp_targetILNS1_3genE10ELNS1_11target_archE1201ELNS1_3gpuE5ELNS1_3repE0EEENS1_30default_config_static_selectorELNS0_4arch9wavefront6targetE1EEEvT1_,"axG",@progbits,_ZN7rocprim17ROCPRIM_400000_NS6detail17trampoline_kernelINS0_14default_configENS1_27scan_by_key_config_selectorIssEEZZNS1_16scan_by_key_implILNS1_25lookback_scan_determinismE0ELb0ES3_N6thrust23THRUST_200600_302600_NS6detail15normal_iteratorINS9_10device_ptrIsEEEESE_SE_sNS9_4plusIvEENS9_8equal_toIsEEsEE10hipError_tPvRmT2_T3_T4_T5_mT6_T7_P12ihipStream_tbENKUlT_T0_E_clISt17integral_constantIbLb1EESZ_EEDaSU_SV_EUlSU_E_NS1_11comp_targetILNS1_3genE10ELNS1_11target_archE1201ELNS1_3gpuE5ELNS1_3repE0EEENS1_30default_config_static_selectorELNS0_4arch9wavefront6targetE1EEEvT1_,comdat
	.protected	_ZN7rocprim17ROCPRIM_400000_NS6detail17trampoline_kernelINS0_14default_configENS1_27scan_by_key_config_selectorIssEEZZNS1_16scan_by_key_implILNS1_25lookback_scan_determinismE0ELb0ES3_N6thrust23THRUST_200600_302600_NS6detail15normal_iteratorINS9_10device_ptrIsEEEESE_SE_sNS9_4plusIvEENS9_8equal_toIsEEsEE10hipError_tPvRmT2_T3_T4_T5_mT6_T7_P12ihipStream_tbENKUlT_T0_E_clISt17integral_constantIbLb1EESZ_EEDaSU_SV_EUlSU_E_NS1_11comp_targetILNS1_3genE10ELNS1_11target_archE1201ELNS1_3gpuE5ELNS1_3repE0EEENS1_30default_config_static_selectorELNS0_4arch9wavefront6targetE1EEEvT1_ ; -- Begin function _ZN7rocprim17ROCPRIM_400000_NS6detail17trampoline_kernelINS0_14default_configENS1_27scan_by_key_config_selectorIssEEZZNS1_16scan_by_key_implILNS1_25lookback_scan_determinismE0ELb0ES3_N6thrust23THRUST_200600_302600_NS6detail15normal_iteratorINS9_10device_ptrIsEEEESE_SE_sNS9_4plusIvEENS9_8equal_toIsEEsEE10hipError_tPvRmT2_T3_T4_T5_mT6_T7_P12ihipStream_tbENKUlT_T0_E_clISt17integral_constantIbLb1EESZ_EEDaSU_SV_EUlSU_E_NS1_11comp_targetILNS1_3genE10ELNS1_11target_archE1201ELNS1_3gpuE5ELNS1_3repE0EEENS1_30default_config_static_selectorELNS0_4arch9wavefront6targetE1EEEvT1_
	.globl	_ZN7rocprim17ROCPRIM_400000_NS6detail17trampoline_kernelINS0_14default_configENS1_27scan_by_key_config_selectorIssEEZZNS1_16scan_by_key_implILNS1_25lookback_scan_determinismE0ELb0ES3_N6thrust23THRUST_200600_302600_NS6detail15normal_iteratorINS9_10device_ptrIsEEEESE_SE_sNS9_4plusIvEENS9_8equal_toIsEEsEE10hipError_tPvRmT2_T3_T4_T5_mT6_T7_P12ihipStream_tbENKUlT_T0_E_clISt17integral_constantIbLb1EESZ_EEDaSU_SV_EUlSU_E_NS1_11comp_targetILNS1_3genE10ELNS1_11target_archE1201ELNS1_3gpuE5ELNS1_3repE0EEENS1_30default_config_static_selectorELNS0_4arch9wavefront6targetE1EEEvT1_
	.p2align	8
	.type	_ZN7rocprim17ROCPRIM_400000_NS6detail17trampoline_kernelINS0_14default_configENS1_27scan_by_key_config_selectorIssEEZZNS1_16scan_by_key_implILNS1_25lookback_scan_determinismE0ELb0ES3_N6thrust23THRUST_200600_302600_NS6detail15normal_iteratorINS9_10device_ptrIsEEEESE_SE_sNS9_4plusIvEENS9_8equal_toIsEEsEE10hipError_tPvRmT2_T3_T4_T5_mT6_T7_P12ihipStream_tbENKUlT_T0_E_clISt17integral_constantIbLb1EESZ_EEDaSU_SV_EUlSU_E_NS1_11comp_targetILNS1_3genE10ELNS1_11target_archE1201ELNS1_3gpuE5ELNS1_3repE0EEENS1_30default_config_static_selectorELNS0_4arch9wavefront6targetE1EEEvT1_,@function
_ZN7rocprim17ROCPRIM_400000_NS6detail17trampoline_kernelINS0_14default_configENS1_27scan_by_key_config_selectorIssEEZZNS1_16scan_by_key_implILNS1_25lookback_scan_determinismE0ELb0ES3_N6thrust23THRUST_200600_302600_NS6detail15normal_iteratorINS9_10device_ptrIsEEEESE_SE_sNS9_4plusIvEENS9_8equal_toIsEEsEE10hipError_tPvRmT2_T3_T4_T5_mT6_T7_P12ihipStream_tbENKUlT_T0_E_clISt17integral_constantIbLb1EESZ_EEDaSU_SV_EUlSU_E_NS1_11comp_targetILNS1_3genE10ELNS1_11target_archE1201ELNS1_3gpuE5ELNS1_3repE0EEENS1_30default_config_static_selectorELNS0_4arch9wavefront6targetE1EEEvT1_: ; @_ZN7rocprim17ROCPRIM_400000_NS6detail17trampoline_kernelINS0_14default_configENS1_27scan_by_key_config_selectorIssEEZZNS1_16scan_by_key_implILNS1_25lookback_scan_determinismE0ELb0ES3_N6thrust23THRUST_200600_302600_NS6detail15normal_iteratorINS9_10device_ptrIsEEEESE_SE_sNS9_4plusIvEENS9_8equal_toIsEEsEE10hipError_tPvRmT2_T3_T4_T5_mT6_T7_P12ihipStream_tbENKUlT_T0_E_clISt17integral_constantIbLb1EESZ_EEDaSU_SV_EUlSU_E_NS1_11comp_targetILNS1_3genE10ELNS1_11target_archE1201ELNS1_3gpuE5ELNS1_3repE0EEENS1_30default_config_static_selectorELNS0_4arch9wavefront6targetE1EEEvT1_
; %bb.0:
	.section	.rodata,"a",@progbits
	.p2align	6, 0x0
	.amdhsa_kernel _ZN7rocprim17ROCPRIM_400000_NS6detail17trampoline_kernelINS0_14default_configENS1_27scan_by_key_config_selectorIssEEZZNS1_16scan_by_key_implILNS1_25lookback_scan_determinismE0ELb0ES3_N6thrust23THRUST_200600_302600_NS6detail15normal_iteratorINS9_10device_ptrIsEEEESE_SE_sNS9_4plusIvEENS9_8equal_toIsEEsEE10hipError_tPvRmT2_T3_T4_T5_mT6_T7_P12ihipStream_tbENKUlT_T0_E_clISt17integral_constantIbLb1EESZ_EEDaSU_SV_EUlSU_E_NS1_11comp_targetILNS1_3genE10ELNS1_11target_archE1201ELNS1_3gpuE5ELNS1_3repE0EEENS1_30default_config_static_selectorELNS0_4arch9wavefront6targetE1EEEvT1_
		.amdhsa_group_segment_fixed_size 0
		.amdhsa_private_segment_fixed_size 0
		.amdhsa_kernarg_size 112
		.amdhsa_user_sgpr_count 6
		.amdhsa_user_sgpr_private_segment_buffer 1
		.amdhsa_user_sgpr_dispatch_ptr 0
		.amdhsa_user_sgpr_queue_ptr 0
		.amdhsa_user_sgpr_kernarg_segment_ptr 1
		.amdhsa_user_sgpr_dispatch_id 0
		.amdhsa_user_sgpr_flat_scratch_init 0
		.amdhsa_user_sgpr_kernarg_preload_length 0
		.amdhsa_user_sgpr_kernarg_preload_offset 0
		.amdhsa_user_sgpr_private_segment_size 0
		.amdhsa_uses_dynamic_stack 0
		.amdhsa_system_sgpr_private_segment_wavefront_offset 0
		.amdhsa_system_sgpr_workgroup_id_x 1
		.amdhsa_system_sgpr_workgroup_id_y 0
		.amdhsa_system_sgpr_workgroup_id_z 0
		.amdhsa_system_sgpr_workgroup_info 0
		.amdhsa_system_vgpr_workitem_id 0
		.amdhsa_next_free_vgpr 1
		.amdhsa_next_free_sgpr 0
		.amdhsa_accum_offset 4
		.amdhsa_reserve_vcc 0
		.amdhsa_reserve_flat_scratch 0
		.amdhsa_float_round_mode_32 0
		.amdhsa_float_round_mode_16_64 0
		.amdhsa_float_denorm_mode_32 3
		.amdhsa_float_denorm_mode_16_64 3
		.amdhsa_dx10_clamp 1
		.amdhsa_ieee_mode 1
		.amdhsa_fp16_overflow 0
		.amdhsa_tg_split 0
		.amdhsa_exception_fp_ieee_invalid_op 0
		.amdhsa_exception_fp_denorm_src 0
		.amdhsa_exception_fp_ieee_div_zero 0
		.amdhsa_exception_fp_ieee_overflow 0
		.amdhsa_exception_fp_ieee_underflow 0
		.amdhsa_exception_fp_ieee_inexact 0
		.amdhsa_exception_int_div_zero 0
	.end_amdhsa_kernel
	.section	.text._ZN7rocprim17ROCPRIM_400000_NS6detail17trampoline_kernelINS0_14default_configENS1_27scan_by_key_config_selectorIssEEZZNS1_16scan_by_key_implILNS1_25lookback_scan_determinismE0ELb0ES3_N6thrust23THRUST_200600_302600_NS6detail15normal_iteratorINS9_10device_ptrIsEEEESE_SE_sNS9_4plusIvEENS9_8equal_toIsEEsEE10hipError_tPvRmT2_T3_T4_T5_mT6_T7_P12ihipStream_tbENKUlT_T0_E_clISt17integral_constantIbLb1EESZ_EEDaSU_SV_EUlSU_E_NS1_11comp_targetILNS1_3genE10ELNS1_11target_archE1201ELNS1_3gpuE5ELNS1_3repE0EEENS1_30default_config_static_selectorELNS0_4arch9wavefront6targetE1EEEvT1_,"axG",@progbits,_ZN7rocprim17ROCPRIM_400000_NS6detail17trampoline_kernelINS0_14default_configENS1_27scan_by_key_config_selectorIssEEZZNS1_16scan_by_key_implILNS1_25lookback_scan_determinismE0ELb0ES3_N6thrust23THRUST_200600_302600_NS6detail15normal_iteratorINS9_10device_ptrIsEEEESE_SE_sNS9_4plusIvEENS9_8equal_toIsEEsEE10hipError_tPvRmT2_T3_T4_T5_mT6_T7_P12ihipStream_tbENKUlT_T0_E_clISt17integral_constantIbLb1EESZ_EEDaSU_SV_EUlSU_E_NS1_11comp_targetILNS1_3genE10ELNS1_11target_archE1201ELNS1_3gpuE5ELNS1_3repE0EEENS1_30default_config_static_selectorELNS0_4arch9wavefront6targetE1EEEvT1_,comdat
.Lfunc_end327:
	.size	_ZN7rocprim17ROCPRIM_400000_NS6detail17trampoline_kernelINS0_14default_configENS1_27scan_by_key_config_selectorIssEEZZNS1_16scan_by_key_implILNS1_25lookback_scan_determinismE0ELb0ES3_N6thrust23THRUST_200600_302600_NS6detail15normal_iteratorINS9_10device_ptrIsEEEESE_SE_sNS9_4plusIvEENS9_8equal_toIsEEsEE10hipError_tPvRmT2_T3_T4_T5_mT6_T7_P12ihipStream_tbENKUlT_T0_E_clISt17integral_constantIbLb1EESZ_EEDaSU_SV_EUlSU_E_NS1_11comp_targetILNS1_3genE10ELNS1_11target_archE1201ELNS1_3gpuE5ELNS1_3repE0EEENS1_30default_config_static_selectorELNS0_4arch9wavefront6targetE1EEEvT1_, .Lfunc_end327-_ZN7rocprim17ROCPRIM_400000_NS6detail17trampoline_kernelINS0_14default_configENS1_27scan_by_key_config_selectorIssEEZZNS1_16scan_by_key_implILNS1_25lookback_scan_determinismE0ELb0ES3_N6thrust23THRUST_200600_302600_NS6detail15normal_iteratorINS9_10device_ptrIsEEEESE_SE_sNS9_4plusIvEENS9_8equal_toIsEEsEE10hipError_tPvRmT2_T3_T4_T5_mT6_T7_P12ihipStream_tbENKUlT_T0_E_clISt17integral_constantIbLb1EESZ_EEDaSU_SV_EUlSU_E_NS1_11comp_targetILNS1_3genE10ELNS1_11target_archE1201ELNS1_3gpuE5ELNS1_3repE0EEENS1_30default_config_static_selectorELNS0_4arch9wavefront6targetE1EEEvT1_
                                        ; -- End function
	.section	.AMDGPU.csdata,"",@progbits
; Kernel info:
; codeLenInByte = 0
; NumSgprs: 4
; NumVgprs: 0
; NumAgprs: 0
; TotalNumVgprs: 0
; ScratchSize: 0
; MemoryBound: 0
; FloatMode: 240
; IeeeMode: 1
; LDSByteSize: 0 bytes/workgroup (compile time only)
; SGPRBlocks: 0
; VGPRBlocks: 0
; NumSGPRsForWavesPerEU: 4
; NumVGPRsForWavesPerEU: 1
; AccumOffset: 4
; Occupancy: 8
; WaveLimiterHint : 0
; COMPUTE_PGM_RSRC2:SCRATCH_EN: 0
; COMPUTE_PGM_RSRC2:USER_SGPR: 6
; COMPUTE_PGM_RSRC2:TRAP_HANDLER: 0
; COMPUTE_PGM_RSRC2:TGID_X_EN: 1
; COMPUTE_PGM_RSRC2:TGID_Y_EN: 0
; COMPUTE_PGM_RSRC2:TGID_Z_EN: 0
; COMPUTE_PGM_RSRC2:TIDIG_COMP_CNT: 0
; COMPUTE_PGM_RSRC3_GFX90A:ACCUM_OFFSET: 0
; COMPUTE_PGM_RSRC3_GFX90A:TG_SPLIT: 0
	.section	.text._ZN7rocprim17ROCPRIM_400000_NS6detail17trampoline_kernelINS0_14default_configENS1_27scan_by_key_config_selectorIssEEZZNS1_16scan_by_key_implILNS1_25lookback_scan_determinismE0ELb0ES3_N6thrust23THRUST_200600_302600_NS6detail15normal_iteratorINS9_10device_ptrIsEEEESE_SE_sNS9_4plusIvEENS9_8equal_toIsEEsEE10hipError_tPvRmT2_T3_T4_T5_mT6_T7_P12ihipStream_tbENKUlT_T0_E_clISt17integral_constantIbLb1EESZ_EEDaSU_SV_EUlSU_E_NS1_11comp_targetILNS1_3genE5ELNS1_11target_archE942ELNS1_3gpuE9ELNS1_3repE0EEENS1_30default_config_static_selectorELNS0_4arch9wavefront6targetE1EEEvT1_,"axG",@progbits,_ZN7rocprim17ROCPRIM_400000_NS6detail17trampoline_kernelINS0_14default_configENS1_27scan_by_key_config_selectorIssEEZZNS1_16scan_by_key_implILNS1_25lookback_scan_determinismE0ELb0ES3_N6thrust23THRUST_200600_302600_NS6detail15normal_iteratorINS9_10device_ptrIsEEEESE_SE_sNS9_4plusIvEENS9_8equal_toIsEEsEE10hipError_tPvRmT2_T3_T4_T5_mT6_T7_P12ihipStream_tbENKUlT_T0_E_clISt17integral_constantIbLb1EESZ_EEDaSU_SV_EUlSU_E_NS1_11comp_targetILNS1_3genE5ELNS1_11target_archE942ELNS1_3gpuE9ELNS1_3repE0EEENS1_30default_config_static_selectorELNS0_4arch9wavefront6targetE1EEEvT1_,comdat
	.protected	_ZN7rocprim17ROCPRIM_400000_NS6detail17trampoline_kernelINS0_14default_configENS1_27scan_by_key_config_selectorIssEEZZNS1_16scan_by_key_implILNS1_25lookback_scan_determinismE0ELb0ES3_N6thrust23THRUST_200600_302600_NS6detail15normal_iteratorINS9_10device_ptrIsEEEESE_SE_sNS9_4plusIvEENS9_8equal_toIsEEsEE10hipError_tPvRmT2_T3_T4_T5_mT6_T7_P12ihipStream_tbENKUlT_T0_E_clISt17integral_constantIbLb1EESZ_EEDaSU_SV_EUlSU_E_NS1_11comp_targetILNS1_3genE5ELNS1_11target_archE942ELNS1_3gpuE9ELNS1_3repE0EEENS1_30default_config_static_selectorELNS0_4arch9wavefront6targetE1EEEvT1_ ; -- Begin function _ZN7rocprim17ROCPRIM_400000_NS6detail17trampoline_kernelINS0_14default_configENS1_27scan_by_key_config_selectorIssEEZZNS1_16scan_by_key_implILNS1_25lookback_scan_determinismE0ELb0ES3_N6thrust23THRUST_200600_302600_NS6detail15normal_iteratorINS9_10device_ptrIsEEEESE_SE_sNS9_4plusIvEENS9_8equal_toIsEEsEE10hipError_tPvRmT2_T3_T4_T5_mT6_T7_P12ihipStream_tbENKUlT_T0_E_clISt17integral_constantIbLb1EESZ_EEDaSU_SV_EUlSU_E_NS1_11comp_targetILNS1_3genE5ELNS1_11target_archE942ELNS1_3gpuE9ELNS1_3repE0EEENS1_30default_config_static_selectorELNS0_4arch9wavefront6targetE1EEEvT1_
	.globl	_ZN7rocprim17ROCPRIM_400000_NS6detail17trampoline_kernelINS0_14default_configENS1_27scan_by_key_config_selectorIssEEZZNS1_16scan_by_key_implILNS1_25lookback_scan_determinismE0ELb0ES3_N6thrust23THRUST_200600_302600_NS6detail15normal_iteratorINS9_10device_ptrIsEEEESE_SE_sNS9_4plusIvEENS9_8equal_toIsEEsEE10hipError_tPvRmT2_T3_T4_T5_mT6_T7_P12ihipStream_tbENKUlT_T0_E_clISt17integral_constantIbLb1EESZ_EEDaSU_SV_EUlSU_E_NS1_11comp_targetILNS1_3genE5ELNS1_11target_archE942ELNS1_3gpuE9ELNS1_3repE0EEENS1_30default_config_static_selectorELNS0_4arch9wavefront6targetE1EEEvT1_
	.p2align	8
	.type	_ZN7rocprim17ROCPRIM_400000_NS6detail17trampoline_kernelINS0_14default_configENS1_27scan_by_key_config_selectorIssEEZZNS1_16scan_by_key_implILNS1_25lookback_scan_determinismE0ELb0ES3_N6thrust23THRUST_200600_302600_NS6detail15normal_iteratorINS9_10device_ptrIsEEEESE_SE_sNS9_4plusIvEENS9_8equal_toIsEEsEE10hipError_tPvRmT2_T3_T4_T5_mT6_T7_P12ihipStream_tbENKUlT_T0_E_clISt17integral_constantIbLb1EESZ_EEDaSU_SV_EUlSU_E_NS1_11comp_targetILNS1_3genE5ELNS1_11target_archE942ELNS1_3gpuE9ELNS1_3repE0EEENS1_30default_config_static_selectorELNS0_4arch9wavefront6targetE1EEEvT1_,@function
_ZN7rocprim17ROCPRIM_400000_NS6detail17trampoline_kernelINS0_14default_configENS1_27scan_by_key_config_selectorIssEEZZNS1_16scan_by_key_implILNS1_25lookback_scan_determinismE0ELb0ES3_N6thrust23THRUST_200600_302600_NS6detail15normal_iteratorINS9_10device_ptrIsEEEESE_SE_sNS9_4plusIvEENS9_8equal_toIsEEsEE10hipError_tPvRmT2_T3_T4_T5_mT6_T7_P12ihipStream_tbENKUlT_T0_E_clISt17integral_constantIbLb1EESZ_EEDaSU_SV_EUlSU_E_NS1_11comp_targetILNS1_3genE5ELNS1_11target_archE942ELNS1_3gpuE9ELNS1_3repE0EEENS1_30default_config_static_selectorELNS0_4arch9wavefront6targetE1EEEvT1_: ; @_ZN7rocprim17ROCPRIM_400000_NS6detail17trampoline_kernelINS0_14default_configENS1_27scan_by_key_config_selectorIssEEZZNS1_16scan_by_key_implILNS1_25lookback_scan_determinismE0ELb0ES3_N6thrust23THRUST_200600_302600_NS6detail15normal_iteratorINS9_10device_ptrIsEEEESE_SE_sNS9_4plusIvEENS9_8equal_toIsEEsEE10hipError_tPvRmT2_T3_T4_T5_mT6_T7_P12ihipStream_tbENKUlT_T0_E_clISt17integral_constantIbLb1EESZ_EEDaSU_SV_EUlSU_E_NS1_11comp_targetILNS1_3genE5ELNS1_11target_archE942ELNS1_3gpuE9ELNS1_3repE0EEENS1_30default_config_static_selectorELNS0_4arch9wavefront6targetE1EEEvT1_
; %bb.0:
	.section	.rodata,"a",@progbits
	.p2align	6, 0x0
	.amdhsa_kernel _ZN7rocprim17ROCPRIM_400000_NS6detail17trampoline_kernelINS0_14default_configENS1_27scan_by_key_config_selectorIssEEZZNS1_16scan_by_key_implILNS1_25lookback_scan_determinismE0ELb0ES3_N6thrust23THRUST_200600_302600_NS6detail15normal_iteratorINS9_10device_ptrIsEEEESE_SE_sNS9_4plusIvEENS9_8equal_toIsEEsEE10hipError_tPvRmT2_T3_T4_T5_mT6_T7_P12ihipStream_tbENKUlT_T0_E_clISt17integral_constantIbLb1EESZ_EEDaSU_SV_EUlSU_E_NS1_11comp_targetILNS1_3genE5ELNS1_11target_archE942ELNS1_3gpuE9ELNS1_3repE0EEENS1_30default_config_static_selectorELNS0_4arch9wavefront6targetE1EEEvT1_
		.amdhsa_group_segment_fixed_size 0
		.amdhsa_private_segment_fixed_size 0
		.amdhsa_kernarg_size 112
		.amdhsa_user_sgpr_count 6
		.amdhsa_user_sgpr_private_segment_buffer 1
		.amdhsa_user_sgpr_dispatch_ptr 0
		.amdhsa_user_sgpr_queue_ptr 0
		.amdhsa_user_sgpr_kernarg_segment_ptr 1
		.amdhsa_user_sgpr_dispatch_id 0
		.amdhsa_user_sgpr_flat_scratch_init 0
		.amdhsa_user_sgpr_kernarg_preload_length 0
		.amdhsa_user_sgpr_kernarg_preload_offset 0
		.amdhsa_user_sgpr_private_segment_size 0
		.amdhsa_uses_dynamic_stack 0
		.amdhsa_system_sgpr_private_segment_wavefront_offset 0
		.amdhsa_system_sgpr_workgroup_id_x 1
		.amdhsa_system_sgpr_workgroup_id_y 0
		.amdhsa_system_sgpr_workgroup_id_z 0
		.amdhsa_system_sgpr_workgroup_info 0
		.amdhsa_system_vgpr_workitem_id 0
		.amdhsa_next_free_vgpr 1
		.amdhsa_next_free_sgpr 0
		.amdhsa_accum_offset 4
		.amdhsa_reserve_vcc 0
		.amdhsa_reserve_flat_scratch 0
		.amdhsa_float_round_mode_32 0
		.amdhsa_float_round_mode_16_64 0
		.amdhsa_float_denorm_mode_32 3
		.amdhsa_float_denorm_mode_16_64 3
		.amdhsa_dx10_clamp 1
		.amdhsa_ieee_mode 1
		.amdhsa_fp16_overflow 0
		.amdhsa_tg_split 0
		.amdhsa_exception_fp_ieee_invalid_op 0
		.amdhsa_exception_fp_denorm_src 0
		.amdhsa_exception_fp_ieee_div_zero 0
		.amdhsa_exception_fp_ieee_overflow 0
		.amdhsa_exception_fp_ieee_underflow 0
		.amdhsa_exception_fp_ieee_inexact 0
		.amdhsa_exception_int_div_zero 0
	.end_amdhsa_kernel
	.section	.text._ZN7rocprim17ROCPRIM_400000_NS6detail17trampoline_kernelINS0_14default_configENS1_27scan_by_key_config_selectorIssEEZZNS1_16scan_by_key_implILNS1_25lookback_scan_determinismE0ELb0ES3_N6thrust23THRUST_200600_302600_NS6detail15normal_iteratorINS9_10device_ptrIsEEEESE_SE_sNS9_4plusIvEENS9_8equal_toIsEEsEE10hipError_tPvRmT2_T3_T4_T5_mT6_T7_P12ihipStream_tbENKUlT_T0_E_clISt17integral_constantIbLb1EESZ_EEDaSU_SV_EUlSU_E_NS1_11comp_targetILNS1_3genE5ELNS1_11target_archE942ELNS1_3gpuE9ELNS1_3repE0EEENS1_30default_config_static_selectorELNS0_4arch9wavefront6targetE1EEEvT1_,"axG",@progbits,_ZN7rocprim17ROCPRIM_400000_NS6detail17trampoline_kernelINS0_14default_configENS1_27scan_by_key_config_selectorIssEEZZNS1_16scan_by_key_implILNS1_25lookback_scan_determinismE0ELb0ES3_N6thrust23THRUST_200600_302600_NS6detail15normal_iteratorINS9_10device_ptrIsEEEESE_SE_sNS9_4plusIvEENS9_8equal_toIsEEsEE10hipError_tPvRmT2_T3_T4_T5_mT6_T7_P12ihipStream_tbENKUlT_T0_E_clISt17integral_constantIbLb1EESZ_EEDaSU_SV_EUlSU_E_NS1_11comp_targetILNS1_3genE5ELNS1_11target_archE942ELNS1_3gpuE9ELNS1_3repE0EEENS1_30default_config_static_selectorELNS0_4arch9wavefront6targetE1EEEvT1_,comdat
.Lfunc_end328:
	.size	_ZN7rocprim17ROCPRIM_400000_NS6detail17trampoline_kernelINS0_14default_configENS1_27scan_by_key_config_selectorIssEEZZNS1_16scan_by_key_implILNS1_25lookback_scan_determinismE0ELb0ES3_N6thrust23THRUST_200600_302600_NS6detail15normal_iteratorINS9_10device_ptrIsEEEESE_SE_sNS9_4plusIvEENS9_8equal_toIsEEsEE10hipError_tPvRmT2_T3_T4_T5_mT6_T7_P12ihipStream_tbENKUlT_T0_E_clISt17integral_constantIbLb1EESZ_EEDaSU_SV_EUlSU_E_NS1_11comp_targetILNS1_3genE5ELNS1_11target_archE942ELNS1_3gpuE9ELNS1_3repE0EEENS1_30default_config_static_selectorELNS0_4arch9wavefront6targetE1EEEvT1_, .Lfunc_end328-_ZN7rocprim17ROCPRIM_400000_NS6detail17trampoline_kernelINS0_14default_configENS1_27scan_by_key_config_selectorIssEEZZNS1_16scan_by_key_implILNS1_25lookback_scan_determinismE0ELb0ES3_N6thrust23THRUST_200600_302600_NS6detail15normal_iteratorINS9_10device_ptrIsEEEESE_SE_sNS9_4plusIvEENS9_8equal_toIsEEsEE10hipError_tPvRmT2_T3_T4_T5_mT6_T7_P12ihipStream_tbENKUlT_T0_E_clISt17integral_constantIbLb1EESZ_EEDaSU_SV_EUlSU_E_NS1_11comp_targetILNS1_3genE5ELNS1_11target_archE942ELNS1_3gpuE9ELNS1_3repE0EEENS1_30default_config_static_selectorELNS0_4arch9wavefront6targetE1EEEvT1_
                                        ; -- End function
	.section	.AMDGPU.csdata,"",@progbits
; Kernel info:
; codeLenInByte = 0
; NumSgprs: 4
; NumVgprs: 0
; NumAgprs: 0
; TotalNumVgprs: 0
; ScratchSize: 0
; MemoryBound: 0
; FloatMode: 240
; IeeeMode: 1
; LDSByteSize: 0 bytes/workgroup (compile time only)
; SGPRBlocks: 0
; VGPRBlocks: 0
; NumSGPRsForWavesPerEU: 4
; NumVGPRsForWavesPerEU: 1
; AccumOffset: 4
; Occupancy: 8
; WaveLimiterHint : 0
; COMPUTE_PGM_RSRC2:SCRATCH_EN: 0
; COMPUTE_PGM_RSRC2:USER_SGPR: 6
; COMPUTE_PGM_RSRC2:TRAP_HANDLER: 0
; COMPUTE_PGM_RSRC2:TGID_X_EN: 1
; COMPUTE_PGM_RSRC2:TGID_Y_EN: 0
; COMPUTE_PGM_RSRC2:TGID_Z_EN: 0
; COMPUTE_PGM_RSRC2:TIDIG_COMP_CNT: 0
; COMPUTE_PGM_RSRC3_GFX90A:ACCUM_OFFSET: 0
; COMPUTE_PGM_RSRC3_GFX90A:TG_SPLIT: 0
	.section	.text._ZN7rocprim17ROCPRIM_400000_NS6detail17trampoline_kernelINS0_14default_configENS1_27scan_by_key_config_selectorIssEEZZNS1_16scan_by_key_implILNS1_25lookback_scan_determinismE0ELb0ES3_N6thrust23THRUST_200600_302600_NS6detail15normal_iteratorINS9_10device_ptrIsEEEESE_SE_sNS9_4plusIvEENS9_8equal_toIsEEsEE10hipError_tPvRmT2_T3_T4_T5_mT6_T7_P12ihipStream_tbENKUlT_T0_E_clISt17integral_constantIbLb1EESZ_EEDaSU_SV_EUlSU_E_NS1_11comp_targetILNS1_3genE4ELNS1_11target_archE910ELNS1_3gpuE8ELNS1_3repE0EEENS1_30default_config_static_selectorELNS0_4arch9wavefront6targetE1EEEvT1_,"axG",@progbits,_ZN7rocprim17ROCPRIM_400000_NS6detail17trampoline_kernelINS0_14default_configENS1_27scan_by_key_config_selectorIssEEZZNS1_16scan_by_key_implILNS1_25lookback_scan_determinismE0ELb0ES3_N6thrust23THRUST_200600_302600_NS6detail15normal_iteratorINS9_10device_ptrIsEEEESE_SE_sNS9_4plusIvEENS9_8equal_toIsEEsEE10hipError_tPvRmT2_T3_T4_T5_mT6_T7_P12ihipStream_tbENKUlT_T0_E_clISt17integral_constantIbLb1EESZ_EEDaSU_SV_EUlSU_E_NS1_11comp_targetILNS1_3genE4ELNS1_11target_archE910ELNS1_3gpuE8ELNS1_3repE0EEENS1_30default_config_static_selectorELNS0_4arch9wavefront6targetE1EEEvT1_,comdat
	.protected	_ZN7rocprim17ROCPRIM_400000_NS6detail17trampoline_kernelINS0_14default_configENS1_27scan_by_key_config_selectorIssEEZZNS1_16scan_by_key_implILNS1_25lookback_scan_determinismE0ELb0ES3_N6thrust23THRUST_200600_302600_NS6detail15normal_iteratorINS9_10device_ptrIsEEEESE_SE_sNS9_4plusIvEENS9_8equal_toIsEEsEE10hipError_tPvRmT2_T3_T4_T5_mT6_T7_P12ihipStream_tbENKUlT_T0_E_clISt17integral_constantIbLb1EESZ_EEDaSU_SV_EUlSU_E_NS1_11comp_targetILNS1_3genE4ELNS1_11target_archE910ELNS1_3gpuE8ELNS1_3repE0EEENS1_30default_config_static_selectorELNS0_4arch9wavefront6targetE1EEEvT1_ ; -- Begin function _ZN7rocprim17ROCPRIM_400000_NS6detail17trampoline_kernelINS0_14default_configENS1_27scan_by_key_config_selectorIssEEZZNS1_16scan_by_key_implILNS1_25lookback_scan_determinismE0ELb0ES3_N6thrust23THRUST_200600_302600_NS6detail15normal_iteratorINS9_10device_ptrIsEEEESE_SE_sNS9_4plusIvEENS9_8equal_toIsEEsEE10hipError_tPvRmT2_T3_T4_T5_mT6_T7_P12ihipStream_tbENKUlT_T0_E_clISt17integral_constantIbLb1EESZ_EEDaSU_SV_EUlSU_E_NS1_11comp_targetILNS1_3genE4ELNS1_11target_archE910ELNS1_3gpuE8ELNS1_3repE0EEENS1_30default_config_static_selectorELNS0_4arch9wavefront6targetE1EEEvT1_
	.globl	_ZN7rocprim17ROCPRIM_400000_NS6detail17trampoline_kernelINS0_14default_configENS1_27scan_by_key_config_selectorIssEEZZNS1_16scan_by_key_implILNS1_25lookback_scan_determinismE0ELb0ES3_N6thrust23THRUST_200600_302600_NS6detail15normal_iteratorINS9_10device_ptrIsEEEESE_SE_sNS9_4plusIvEENS9_8equal_toIsEEsEE10hipError_tPvRmT2_T3_T4_T5_mT6_T7_P12ihipStream_tbENKUlT_T0_E_clISt17integral_constantIbLb1EESZ_EEDaSU_SV_EUlSU_E_NS1_11comp_targetILNS1_3genE4ELNS1_11target_archE910ELNS1_3gpuE8ELNS1_3repE0EEENS1_30default_config_static_selectorELNS0_4arch9wavefront6targetE1EEEvT1_
	.p2align	8
	.type	_ZN7rocprim17ROCPRIM_400000_NS6detail17trampoline_kernelINS0_14default_configENS1_27scan_by_key_config_selectorIssEEZZNS1_16scan_by_key_implILNS1_25lookback_scan_determinismE0ELb0ES3_N6thrust23THRUST_200600_302600_NS6detail15normal_iteratorINS9_10device_ptrIsEEEESE_SE_sNS9_4plusIvEENS9_8equal_toIsEEsEE10hipError_tPvRmT2_T3_T4_T5_mT6_T7_P12ihipStream_tbENKUlT_T0_E_clISt17integral_constantIbLb1EESZ_EEDaSU_SV_EUlSU_E_NS1_11comp_targetILNS1_3genE4ELNS1_11target_archE910ELNS1_3gpuE8ELNS1_3repE0EEENS1_30default_config_static_selectorELNS0_4arch9wavefront6targetE1EEEvT1_,@function
_ZN7rocprim17ROCPRIM_400000_NS6detail17trampoline_kernelINS0_14default_configENS1_27scan_by_key_config_selectorIssEEZZNS1_16scan_by_key_implILNS1_25lookback_scan_determinismE0ELb0ES3_N6thrust23THRUST_200600_302600_NS6detail15normal_iteratorINS9_10device_ptrIsEEEESE_SE_sNS9_4plusIvEENS9_8equal_toIsEEsEE10hipError_tPvRmT2_T3_T4_T5_mT6_T7_P12ihipStream_tbENKUlT_T0_E_clISt17integral_constantIbLb1EESZ_EEDaSU_SV_EUlSU_E_NS1_11comp_targetILNS1_3genE4ELNS1_11target_archE910ELNS1_3gpuE8ELNS1_3repE0EEENS1_30default_config_static_selectorELNS0_4arch9wavefront6targetE1EEEvT1_: ; @_ZN7rocprim17ROCPRIM_400000_NS6detail17trampoline_kernelINS0_14default_configENS1_27scan_by_key_config_selectorIssEEZZNS1_16scan_by_key_implILNS1_25lookback_scan_determinismE0ELb0ES3_N6thrust23THRUST_200600_302600_NS6detail15normal_iteratorINS9_10device_ptrIsEEEESE_SE_sNS9_4plusIvEENS9_8equal_toIsEEsEE10hipError_tPvRmT2_T3_T4_T5_mT6_T7_P12ihipStream_tbENKUlT_T0_E_clISt17integral_constantIbLb1EESZ_EEDaSU_SV_EUlSU_E_NS1_11comp_targetILNS1_3genE4ELNS1_11target_archE910ELNS1_3gpuE8ELNS1_3repE0EEENS1_30default_config_static_selectorELNS0_4arch9wavefront6targetE1EEEvT1_
; %bb.0:
	s_load_dwordx4 s[72:75], s[4:5], 0x28
	s_load_dwordx2 s[76:77], s[4:5], 0x38
	v_cmp_ne_u32_e64 s[52:53], 0, v0
	v_cmp_eq_u32_e64 s[0:1], 0, v0
	s_and_saveexec_b64 s[2:3], s[0:1]
	s_cbranch_execz .LBB329_4
; %bb.1:
	s_mov_b64 s[8:9], exec
	v_mbcnt_lo_u32_b32 v1, s8, 0
	v_mbcnt_hi_u32_b32 v1, s9, v1
	v_cmp_eq_u32_e32 vcc, 0, v1
                                        ; implicit-def: $vgpr2
	s_and_saveexec_b64 s[6:7], vcc
	s_cbranch_execz .LBB329_3
; %bb.2:
	s_load_dwordx2 s[10:11], s[4:5], 0x68
	s_bcnt1_i32_b64 s8, s[8:9]
	v_mov_b32_e32 v2, 0
	v_mov_b32_e32 v3, s8
	s_waitcnt lgkmcnt(0)
	global_atomic_add v2, v2, v3, s[10:11] glc
.LBB329_3:
	s_or_b64 exec, exec, s[6:7]
	s_waitcnt vmcnt(0)
	v_readfirstlane_b32 s6, v2
	v_add_u32_e32 v1, s6, v1
	v_mov_b32_e32 v2, 0
	ds_write_b32 v2, v1
.LBB329_4:
	s_or_b64 exec, exec, s[2:3]
	s_load_dwordx8 s[56:63], s[4:5], 0x0
	s_load_dword s2, s[4:5], 0x40
	s_load_dwordx8 s[64:71], s[4:5], 0x48
	v_mov_b32_e32 v1, 0
	s_waitcnt lgkmcnt(0)
	s_barrier
	ds_read_b32 v1, v1
	s_lshl_b64 s[54:55], s[58:59], 1
	s_add_u32 s4, s56, s54
	s_addc_u32 s5, s57, s55
	s_add_u32 s6, s60, s54
	s_mul_i32 s3, s77, s2
	s_mul_hi_u32 s8, s76, s2
	s_addc_u32 s7, s61, s55
	s_add_i32 s8, s8, s3
	s_waitcnt lgkmcnt(0)
	v_readfirstlane_b32 s75, v1
	s_mul_i32 s9, s76, s2
	s_cmp_lg_u64 s[68:69], 0
	s_mov_b32 s3, 0
	s_mul_i32 s2, s75, 0x1600
	s_cselect_b64 s[60:61], -1, 0
	s_lshl_b64 s[56:57], s[2:3], 1
	s_add_u32 s58, s4, s56
	s_addc_u32 s59, s5, s57
	s_add_u32 s78, s6, s56
	s_addc_u32 s79, s7, s57
	;; [unrolled: 2-line block ×3, first 2 shown]
	s_add_u32 s4, s64, -1
	s_addc_u32 s5, s65, -1
	v_pk_mov_b32 v[2:3], s[4:5], s[4:5] op_sel:[0,1]
	v_cmp_ge_u64_e64 s[2:3], s[68:69], v[2:3]
	s_mov_b64 s[10:11], 0
	s_mov_b64 s[6:7], -1
	s_and_b64 vcc, exec, s[2:3]
	s_mul_i32 s33, s4, 0xffffea00
	s_barrier
	s_barrier
	s_cbranch_vccz .LBB329_121
; %bb.5:
	v_pk_mov_b32 v[2:3], s[58:59], s[58:59] op_sel:[0,1]
	flat_load_ushort v6, v[2:3]
	s_add_i32 s81, s33, s74
	v_cmp_gt_u32_e64 s[6:7], s81, v0
	s_waitcnt vmcnt(0) lgkmcnt(0)
	v_mov_b32_e32 v7, v6
	s_and_saveexec_b64 s[4:5], s[6:7]
	s_cbranch_execz .LBB329_7
; %bb.6:
	v_lshlrev_b32_e32 v1, 1, v0
	v_mov_b32_e32 v3, s59
	v_add_co_u32_e32 v2, vcc, s58, v1
	v_addc_co_u32_e32 v3, vcc, 0, v3, vcc
	flat_load_ushort v7, v[2:3]
.LBB329_7:
	s_or_b64 exec, exec, s[4:5]
	v_or_b32_e32 v1, 0x100, v0
	v_cmp_gt_u32_e64 s[8:9], s81, v1
	v_mov_b32_e32 v8, v6
	s_and_saveexec_b64 s[4:5], s[8:9]
	s_cbranch_execz .LBB329_9
; %bb.8:
	v_lshlrev_b32_e32 v1, 1, v0
	v_mov_b32_e32 v3, s59
	v_add_co_u32_e32 v2, vcc, s58, v1
	v_addc_co_u32_e32 v3, vcc, 0, v3, vcc
	flat_load_ushort v8, v[2:3] offset:512
.LBB329_9:
	s_or_b64 exec, exec, s[4:5]
	v_or_b32_e32 v1, 0x200, v0
	v_cmp_gt_u32_e64 s[10:11], s81, v1
	v_mov_b32_e32 v9, v6
	s_and_saveexec_b64 s[4:5], s[10:11]
	s_cbranch_execz .LBB329_11
; %bb.10:
	v_lshlrev_b32_e32 v1, 1, v0
	v_mov_b32_e32 v3, s59
	v_add_co_u32_e32 v2, vcc, s58, v1
	v_addc_co_u32_e32 v3, vcc, 0, v3, vcc
	flat_load_ushort v9, v[2:3] offset:1024
.LBB329_11:
	s_or_b64 exec, exec, s[4:5]
	v_or_b32_e32 v1, 0x300, v0
	v_cmp_gt_u32_e64 s[12:13], s81, v1
	v_mov_b32_e32 v10, v6
	s_and_saveexec_b64 s[4:5], s[12:13]
	s_cbranch_execz .LBB329_13
; %bb.12:
	v_lshlrev_b32_e32 v1, 1, v0
	v_mov_b32_e32 v3, s59
	v_add_co_u32_e32 v2, vcc, s58, v1
	v_addc_co_u32_e32 v3, vcc, 0, v3, vcc
	flat_load_ushort v10, v[2:3] offset:1536
.LBB329_13:
	s_or_b64 exec, exec, s[4:5]
	v_or_b32_e32 v1, 0x400, v0
	v_cmp_gt_u32_e64 s[14:15], s81, v1
	v_mov_b32_e32 v11, v6
	s_and_saveexec_b64 s[4:5], s[14:15]
	s_cbranch_execz .LBB329_15
; %bb.14:
	v_lshlrev_b32_e32 v1, 1, v0
	v_mov_b32_e32 v3, s59
	v_add_co_u32_e32 v2, vcc, s58, v1
	v_addc_co_u32_e32 v3, vcc, 0, v3, vcc
	flat_load_ushort v11, v[2:3] offset:2048
.LBB329_15:
	s_or_b64 exec, exec, s[4:5]
	v_or_b32_e32 v1, 0x500, v0
	v_cmp_gt_u32_e64 s[16:17], s81, v1
	v_mov_b32_e32 v12, v6
	s_and_saveexec_b64 s[4:5], s[16:17]
	s_cbranch_execz .LBB329_17
; %bb.16:
	v_lshlrev_b32_e32 v1, 1, v0
	v_mov_b32_e32 v3, s59
	v_add_co_u32_e32 v2, vcc, s58, v1
	v_addc_co_u32_e32 v3, vcc, 0, v3, vcc
	flat_load_ushort v12, v[2:3] offset:2560
.LBB329_17:
	s_or_b64 exec, exec, s[4:5]
	v_or_b32_e32 v1, 0x600, v0
	v_cmp_gt_u32_e64 s[18:19], s81, v1
	v_mov_b32_e32 v13, v6
	s_and_saveexec_b64 s[4:5], s[18:19]
	s_cbranch_execz .LBB329_19
; %bb.18:
	v_lshlrev_b32_e32 v1, 1, v0
	v_mov_b32_e32 v3, s59
	v_add_co_u32_e32 v2, vcc, s58, v1
	v_addc_co_u32_e32 v3, vcc, 0, v3, vcc
	flat_load_ushort v13, v[2:3] offset:3072
.LBB329_19:
	s_or_b64 exec, exec, s[4:5]
	v_or_b32_e32 v1, 0x700, v0
	v_cmp_gt_u32_e64 s[20:21], s81, v1
	v_mov_b32_e32 v14, v6
	s_and_saveexec_b64 s[4:5], s[20:21]
	s_cbranch_execz .LBB329_21
; %bb.20:
	v_lshlrev_b32_e32 v1, 1, v0
	v_mov_b32_e32 v3, s59
	v_add_co_u32_e32 v2, vcc, s58, v1
	v_addc_co_u32_e32 v3, vcc, 0, v3, vcc
	flat_load_ushort v14, v[2:3] offset:3584
.LBB329_21:
	s_or_b64 exec, exec, s[4:5]
	v_or_b32_e32 v1, 0x800, v0
	v_cmp_gt_u32_e64 s[22:23], s81, v1
	v_mov_b32_e32 v15, v6
	s_and_saveexec_b64 s[4:5], s[22:23]
	s_cbranch_execz .LBB329_23
; %bb.22:
	v_lshlrev_b32_e32 v2, 1, v1
	v_mov_b32_e32 v3, s59
	v_add_co_u32_e32 v2, vcc, s58, v2
	v_addc_co_u32_e32 v3, vcc, 0, v3, vcc
	flat_load_ushort v15, v[2:3]
.LBB329_23:
	s_or_b64 exec, exec, s[4:5]
	v_or_b32_e32 v2, 0x900, v0
	v_cmp_gt_u32_e64 s[24:25], s81, v2
	v_mov_b32_e32 v26, v6
	s_and_saveexec_b64 s[4:5], s[24:25]
	s_cbranch_execz .LBB329_25
; %bb.24:
	v_lshlrev_b32_e32 v3, 1, v2
	v_mov_b32_e32 v5, s59
	v_add_co_u32_e32 v4, vcc, s58, v3
	v_addc_co_u32_e32 v5, vcc, 0, v5, vcc
	flat_load_ushort v26, v[4:5]
.LBB329_25:
	;; [unrolled: 13-line block ×13, first 2 shown]
	s_or_b64 exec, exec, s[4:5]
	v_or_b32_e32 v25, 0x1500, v0
	v_cmp_gt_u32_e64 s[50:51], s81, v25
	s_and_saveexec_b64 s[4:5], s[50:51]
	s_cbranch_execz .LBB329_49
; %bb.48:
	v_lshlrev_b32_e32 v6, 1, v25
	v_mov_b32_e32 v18, s59
	v_add_co_u32_e32 v38, vcc, s58, v6
	v_addc_co_u32_e32 v39, vcc, 0, v18, vcc
	flat_load_ushort v6, v[38:39]
.LBB329_49:
	s_or_b64 exec, exec, s[4:5]
	v_lshlrev_b32_e32 v18, 1, v0
	s_waitcnt vmcnt(0) lgkmcnt(0)
	ds_write_b16 v18, v7
	ds_write_b16 v18, v8 offset:512
	ds_write_b16 v18, v9 offset:1024
	;; [unrolled: 1-line block ×21, first 2 shown]
	v_mad_u32_u24 v37, v0, 42, v18
	s_waitcnt lgkmcnt(0)
	s_barrier
	ds_read2_b32 v[14:15], v37 offset1:1
	ds_read2_b32 v[12:13], v37 offset0:2 offset1:3
	ds_read2_b32 v[10:11], v37 offset0:4 offset1:5
	;; [unrolled: 1-line block ×4, first 2 shown]
	ds_read_b32 v38, v37 offset:40
	s_cmp_eq_u64 s[68:69], 0
	s_mov_b64 s[4:5], s[58:59]
	s_cbranch_scc1 .LBB329_53
; %bb.50:
	s_andn2_b64 vcc, exec, s[60:61]
	s_cbranch_vccnz .LBB329_291
; %bb.51:
	s_lshl_b64 s[4:5], s[68:69], 1
	s_add_u32 s4, s70, s4
	s_addc_u32 s5, s71, s5
	s_add_u32 s4, s4, -2
	s_addc_u32 s5, s5, -1
	s_cbranch_execnz .LBB329_53
.LBB329_52:
	s_add_u32 s4, s58, -2
	s_addc_u32 s5, s59, -1
.LBB329_53:
	v_pk_mov_b32 v[26:27], s[4:5], s[4:5] op_sel:[0,1]
	flat_load_ushort v41, v[26:27]
	s_movk_i32 s4, 0xffd6
	s_waitcnt lgkmcnt(0)
	v_lshrrev_b32_e32 v39, 16, v38
	v_mad_i32_i24 v26, v0, s4, v37
	ds_write_b16 v26, v39 offset:11264
	s_waitcnt lgkmcnt(0)
	s_barrier
	s_and_saveexec_b64 s[4:5], s[52:53]
	s_cbranch_execz .LBB329_55
; %bb.54:
	v_mul_i32_i24_e32 v26, 0xffffffd6, v0
	v_add_u32_e32 v26, v37, v26
	s_waitcnt vmcnt(0)
	ds_read_u16 v41, v26 offset:11262
.LBB329_55:
	s_or_b64 exec, exec, s[4:5]
	s_waitcnt lgkmcnt(0)
	s_barrier
	s_waitcnt lgkmcnt(0)
                                        ; implicit-def: $vgpr26
	s_and_saveexec_b64 s[4:5], s[6:7]
	s_cbranch_execnz .LBB329_268
; %bb.56:
	s_or_b64 exec, exec, s[4:5]
                                        ; implicit-def: $vgpr27
	s_and_saveexec_b64 s[4:5], s[8:9]
	s_cbranch_execnz .LBB329_269
.LBB329_57:
	s_or_b64 exec, exec, s[4:5]
                                        ; implicit-def: $vgpr28
	s_and_saveexec_b64 s[4:5], s[10:11]
	s_cbranch_execnz .LBB329_270
.LBB329_58:
	s_or_b64 exec, exec, s[4:5]
                                        ; implicit-def: $vgpr29
	s_and_saveexec_b64 s[4:5], s[12:13]
	s_cbranch_execnz .LBB329_271
.LBB329_59:
	s_or_b64 exec, exec, s[4:5]
                                        ; implicit-def: $vgpr30
	s_and_saveexec_b64 s[4:5], s[14:15]
	s_cbranch_execnz .LBB329_272
.LBB329_60:
	s_or_b64 exec, exec, s[4:5]
                                        ; implicit-def: $vgpr31
	s_and_saveexec_b64 s[4:5], s[16:17]
	s_cbranch_execnz .LBB329_273
.LBB329_61:
	s_or_b64 exec, exec, s[4:5]
                                        ; implicit-def: $vgpr32
	s_and_saveexec_b64 s[4:5], s[18:19]
	s_cbranch_execnz .LBB329_274
.LBB329_62:
	s_or_b64 exec, exec, s[4:5]
                                        ; implicit-def: $vgpr33
	s_and_saveexec_b64 s[4:5], s[20:21]
	s_cbranch_execnz .LBB329_275
.LBB329_63:
	s_or_b64 exec, exec, s[4:5]
                                        ; implicit-def: $vgpr34
	s_and_saveexec_b64 s[4:5], s[22:23]
	s_cbranch_execnz .LBB329_276
.LBB329_64:
	s_or_b64 exec, exec, s[4:5]
                                        ; implicit-def: $vgpr1
	s_and_saveexec_b64 s[4:5], s[24:25]
	s_cbranch_execnz .LBB329_277
.LBB329_65:
	s_or_b64 exec, exec, s[4:5]
                                        ; implicit-def: $vgpr2
	s_and_saveexec_b64 s[4:5], s[26:27]
	s_cbranch_execnz .LBB329_278
.LBB329_66:
	s_or_b64 exec, exec, s[4:5]
                                        ; implicit-def: $vgpr3
	s_and_saveexec_b64 s[4:5], s[28:29]
	s_cbranch_execnz .LBB329_279
.LBB329_67:
	s_or_b64 exec, exec, s[4:5]
                                        ; implicit-def: $vgpr4
	s_and_saveexec_b64 s[4:5], s[30:31]
	s_cbranch_execnz .LBB329_280
.LBB329_68:
	s_or_b64 exec, exec, s[4:5]
                                        ; implicit-def: $vgpr5
	s_and_saveexec_b64 s[4:5], s[34:35]
	s_cbranch_execnz .LBB329_281
.LBB329_69:
	s_or_b64 exec, exec, s[4:5]
                                        ; implicit-def: $vgpr16
	s_and_saveexec_b64 s[4:5], s[36:37]
	s_cbranch_execnz .LBB329_282
.LBB329_70:
	s_or_b64 exec, exec, s[4:5]
                                        ; implicit-def: $vgpr17
	s_and_saveexec_b64 s[4:5], s[38:39]
	s_cbranch_execnz .LBB329_283
.LBB329_71:
	s_or_b64 exec, exec, s[4:5]
                                        ; implicit-def: $vgpr19
	s_and_saveexec_b64 s[4:5], s[40:41]
	s_cbranch_execnz .LBB329_284
.LBB329_72:
	s_or_b64 exec, exec, s[4:5]
                                        ; implicit-def: $vgpr20
	s_and_saveexec_b64 s[4:5], s[42:43]
	s_cbranch_execnz .LBB329_285
.LBB329_73:
	s_or_b64 exec, exec, s[4:5]
                                        ; implicit-def: $vgpr21
	s_and_saveexec_b64 s[4:5], s[44:45]
	s_cbranch_execnz .LBB329_286
.LBB329_74:
	s_or_b64 exec, exec, s[4:5]
                                        ; implicit-def: $vgpr22
	s_and_saveexec_b64 s[4:5], s[46:47]
	s_cbranch_execnz .LBB329_287
.LBB329_75:
	s_or_b64 exec, exec, s[4:5]
                                        ; implicit-def: $vgpr23
	s_and_saveexec_b64 s[4:5], s[48:49]
	s_cbranch_execnz .LBB329_288
.LBB329_76:
	s_or_b64 exec, exec, s[4:5]
                                        ; implicit-def: $vgpr24
	s_and_saveexec_b64 s[4:5], s[50:51]
	s_cbranch_execz .LBB329_78
.LBB329_77:
	v_lshlrev_b32_e32 v24, 1, v25
	v_mov_b32_e32 v25, s79
	v_add_co_u32_e32 v24, vcc, s78, v24
	v_addc_co_u32_e32 v25, vcc, 0, v25, vcc
	flat_load_ushort v24, v[24:25]
.LBB329_78:
	s_or_b64 exec, exec, s[4:5]
	v_mul_u32_u24_e32 v40, 22, v0
	s_waitcnt vmcnt(0) lgkmcnt(0)
	ds_write_b16 v18, v26
	ds_write_b16 v18, v27 offset:512
	ds_write_b16 v18, v28 offset:1024
	;; [unrolled: 1-line block ×21, first 2 shown]
	v_cmp_gt_u32_e32 vcc, s81, v40
	s_mov_b64 s[6:7], 0
	s_mov_b32 s80, 0
	v_mov_b32_e32 v1, 0
	s_mov_b64 s[10:11], 0
	v_mov_b32_e32 v16, 0
	v_mov_b32_e32 v17, 0
	;; [unrolled: 1-line block ×20, first 2 shown]
	s_waitcnt lgkmcnt(0)
	s_barrier
	s_waitcnt lgkmcnt(0)
                                        ; implicit-def: $sgpr4_sgpr5
                                        ; implicit-def: $vgpr36
	s_and_saveexec_b64 s[8:9], vcc
	s_cbranch_execz .LBB329_120
; %bb.79:
	ds_read_u16 v1, v37
	v_cmp_ne_u16_e32 vcc, v41, v14
	v_or_b32_e32 v2, 1, v40
	v_cndmask_b32_e64 v3, 0, 1, vcc
	v_cmp_gt_u32_e32 vcc, s81, v2
	s_waitcnt lgkmcnt(0)
	v_lshl_or_b32 v1, v3, 16, v1
	s_mov_b64 s[12:13], 0
	v_mov_b32_e32 v16, 0
	v_mov_b32_e32 v17, 0
	;; [unrolled: 1-line block ×20, first 2 shown]
                                        ; implicit-def: $sgpr4_sgpr5
                                        ; implicit-def: $vgpr36
	s_and_saveexec_b64 s[10:11], vcc
	s_cbranch_execz .LBB329_119
; %bb.80:
	ds_read_b128 v[2:5], v37 offset:2
	v_add_u32_e32 v16, 2, v40
	v_cmp_ne_u16_sdwa s[4:5], v14, v14 src0_sel:DWORD src1_sel:WORD_1
	v_cndmask_b32_e64 v17, 0, 1, s[4:5]
	v_cmp_gt_u32_e32 vcc, s81, v16
	s_waitcnt lgkmcnt(0)
	v_and_b32_e32 v16, 0xffff, v2
	v_lshl_or_b32 v16, v17, 16, v16
	s_mov_b64 s[14:15], 0
	v_mov_b32_e32 v17, 0
	v_mov_b32_e32 v18, 0
	;; [unrolled: 1-line block ×19, first 2 shown]
                                        ; implicit-def: $sgpr4_sgpr5
                                        ; implicit-def: $vgpr36
	s_and_saveexec_b64 s[12:13], vcc
	s_cbranch_execz .LBB329_118
; %bb.81:
	v_cmp_ne_u16_sdwa s[4:5], v14, v15 src0_sel:WORD_1 src1_sel:DWORD
	v_add_u32_e32 v18, 3, v40
	v_cndmask_b32_e64 v14, 0, 1, s[4:5]
	v_alignbit_b32 v17, v14, v2, 16
	v_cmp_gt_u32_e32 vcc, s81, v18
	s_mov_b64 s[16:17], 0
	v_mov_b32_e32 v18, 0
	v_mov_b32_e32 v19, 0
	;; [unrolled: 1-line block ×18, first 2 shown]
                                        ; implicit-def: $sgpr4_sgpr5
                                        ; implicit-def: $vgpr36
	s_and_saveexec_b64 s[14:15], vcc
	s_cbranch_execz .LBB329_117
; %bb.82:
	v_cmp_ne_u16_sdwa s[4:5], v15, v15 src0_sel:DWORD src1_sel:WORD_1
	v_and_b32_e32 v2, 0xffff, v3
	v_add_u32_e32 v14, 4, v40
	v_cndmask_b32_e64 v18, 0, 1, s[4:5]
	v_lshl_or_b32 v18, v18, 16, v2
	v_cmp_gt_u32_e32 vcc, s81, v14
	s_mov_b64 s[18:19], 0
	v_mov_b32_e32 v19, 0
	v_mov_b32_e32 v20, 0
	;; [unrolled: 1-line block ×17, first 2 shown]
                                        ; implicit-def: $sgpr4_sgpr5
                                        ; implicit-def: $vgpr36
	s_and_saveexec_b64 s[16:17], vcc
	s_cbranch_execz .LBB329_116
; %bb.83:
	v_cmp_ne_u16_sdwa s[4:5], v15, v12 src0_sel:WORD_1 src1_sel:DWORD
	v_add_u32_e32 v2, 5, v40
	v_cndmask_b32_e64 v14, 0, 1, s[4:5]
	v_alignbit_b32 v19, v14, v3, 16
	v_cmp_gt_u32_e32 vcc, s81, v2
	s_mov_b64 s[20:21], 0
	v_mov_b32_e32 v20, 0
	v_mov_b32_e32 v21, 0
	;; [unrolled: 1-line block ×16, first 2 shown]
                                        ; implicit-def: $sgpr4_sgpr5
                                        ; implicit-def: $vgpr36
	s_and_saveexec_b64 s[18:19], vcc
	s_cbranch_execz .LBB329_115
; %bb.84:
	v_cmp_ne_u16_sdwa s[4:5], v12, v12 src0_sel:DWORD src1_sel:WORD_1
	v_and_b32_e32 v2, 0xffff, v4
	v_add_u32_e32 v3, 6, v40
	v_cndmask_b32_e64 v14, 0, 1, s[4:5]
	v_lshl_or_b32 v20, v14, 16, v2
	v_cmp_gt_u32_e32 vcc, s81, v3
	s_mov_b64 s[22:23], 0
	v_mov_b32_e32 v21, 0
	v_mov_b32_e32 v22, 0
	;; [unrolled: 1-line block ×15, first 2 shown]
                                        ; implicit-def: $sgpr4_sgpr5
                                        ; implicit-def: $vgpr36
	s_and_saveexec_b64 s[20:21], vcc
	s_cbranch_execz .LBB329_114
; %bb.85:
	v_cmp_ne_u16_sdwa s[4:5], v12, v13 src0_sel:WORD_1 src1_sel:DWORD
	v_add_u32_e32 v2, 7, v40
	v_cndmask_b32_e64 v3, 0, 1, s[4:5]
	v_alignbit_b32 v21, v3, v4, 16
	v_cmp_gt_u32_e32 vcc, s81, v2
	s_mov_b64 s[24:25], 0
	v_mov_b32_e32 v22, 0
	v_mov_b32_e32 v23, 0
	v_mov_b32_e32 v24, 0
	v_mov_b32_e32 v25, 0
	v_mov_b32_e32 v26, 0
	v_mov_b32_e32 v27, 0
	v_mov_b32_e32 v28, 0
	v_mov_b32_e32 v29, 0
	v_mov_b32_e32 v30, 0
	v_mov_b32_e32 v31, 0
	v_mov_b32_e32 v32, 0
	v_mov_b32_e32 v33, 0
	v_mov_b32_e32 v34, 0
	v_mov_b32_e32 v35, 0
                                        ; implicit-def: $sgpr4_sgpr5
                                        ; implicit-def: $vgpr36
	s_and_saveexec_b64 s[22:23], vcc
	s_cbranch_execz .LBB329_113
; %bb.86:
	v_cmp_ne_u16_sdwa s[4:5], v13, v13 src0_sel:DWORD src1_sel:WORD_1
	v_and_b32_e32 v2, 0xffff, v5
	v_add_u32_e32 v3, 8, v40
	v_cndmask_b32_e64 v4, 0, 1, s[4:5]
	v_lshl_or_b32 v22, v4, 16, v2
	v_cmp_gt_u32_e32 vcc, s81, v3
	s_mov_b64 s[26:27], 0
	v_mov_b32_e32 v23, 0
	v_mov_b32_e32 v24, 0
	;; [unrolled: 1-line block ×13, first 2 shown]
                                        ; implicit-def: $sgpr4_sgpr5
                                        ; implicit-def: $vgpr36
	s_and_saveexec_b64 s[24:25], vcc
	s_cbranch_execz .LBB329_112
; %bb.87:
	v_cmp_ne_u16_sdwa s[4:5], v13, v10 src0_sel:WORD_1 src1_sel:DWORD
	v_add_u32_e32 v2, 9, v40
	v_cndmask_b32_e64 v3, 0, 1, s[4:5]
	v_alignbit_b32 v23, v3, v5, 16
	v_cmp_gt_u32_e32 vcc, s81, v2
	s_mov_b64 s[28:29], 0
	v_mov_b32_e32 v24, 0
	v_mov_b32_e32 v25, 0
	;; [unrolled: 1-line block ×12, first 2 shown]
                                        ; implicit-def: $sgpr4_sgpr5
                                        ; implicit-def: $vgpr36
	s_and_saveexec_b64 s[26:27], vcc
	s_cbranch_execz .LBB329_111
; %bb.88:
	ds_read_b128 v[2:5], v37 offset:18
	v_add_u32_e32 v12, 10, v40
	v_cmp_ne_u16_sdwa s[4:5], v10, v10 src0_sel:DWORD src1_sel:WORD_1
	v_cndmask_b32_e64 v13, 0, 1, s[4:5]
	v_cmp_gt_u32_e32 vcc, s81, v12
	s_waitcnt lgkmcnt(0)
	v_and_b32_e32 v12, 0xffff, v2
	v_lshl_or_b32 v24, v13, 16, v12
	s_mov_b64 s[30:31], 0
	v_mov_b32_e32 v25, 0
	v_mov_b32_e32 v26, 0
	;; [unrolled: 1-line block ×11, first 2 shown]
                                        ; implicit-def: $sgpr4_sgpr5
                                        ; implicit-def: $vgpr36
	s_and_saveexec_b64 s[28:29], vcc
	s_cbranch_execz .LBB329_110
; %bb.89:
	v_cmp_ne_u16_sdwa s[4:5], v10, v11 src0_sel:WORD_1 src1_sel:DWORD
	v_add_u32_e32 v12, 11, v40
	v_cndmask_b32_e64 v10, 0, 1, s[4:5]
	v_alignbit_b32 v25, v10, v2, 16
	v_cmp_gt_u32_e32 vcc, s81, v12
	s_mov_b64 s[34:35], 0
	v_mov_b32_e32 v26, 0
	v_mov_b32_e32 v27, 0
	v_mov_b32_e32 v28, 0
	v_mov_b32_e32 v29, 0
	v_mov_b32_e32 v30, 0
	v_mov_b32_e32 v31, 0
	v_mov_b32_e32 v32, 0
	v_mov_b32_e32 v33, 0
	v_mov_b32_e32 v34, 0
	v_mov_b32_e32 v35, 0
                                        ; implicit-def: $sgpr4_sgpr5
                                        ; implicit-def: $vgpr36
	s_and_saveexec_b64 s[30:31], vcc
	s_cbranch_execz .LBB329_109
; %bb.90:
	v_cmp_ne_u16_sdwa s[4:5], v11, v11 src0_sel:DWORD src1_sel:WORD_1
	v_and_b32_e32 v2, 0xffff, v3
	v_add_u32_e32 v10, 12, v40
	v_cndmask_b32_e64 v12, 0, 1, s[4:5]
	v_lshl_or_b32 v26, v12, 16, v2
	v_cmp_gt_u32_e32 vcc, s81, v10
	s_mov_b64 s[36:37], 0
	v_mov_b32_e32 v27, 0
	v_mov_b32_e32 v28, 0
	v_mov_b32_e32 v29, 0
	v_mov_b32_e32 v30, 0
	v_mov_b32_e32 v31, 0
	v_mov_b32_e32 v32, 0
	v_mov_b32_e32 v33, 0
	v_mov_b32_e32 v34, 0
	v_mov_b32_e32 v35, 0
                                        ; implicit-def: $sgpr4_sgpr5
                                        ; implicit-def: $vgpr36
	s_and_saveexec_b64 s[34:35], vcc
	s_cbranch_execz .LBB329_108
; %bb.91:
	v_cmp_ne_u16_sdwa s[4:5], v11, v8 src0_sel:WORD_1 src1_sel:DWORD
	v_add_u32_e32 v2, 13, v40
	v_cndmask_b32_e64 v10, 0, 1, s[4:5]
	v_alignbit_b32 v27, v10, v3, 16
	v_cmp_gt_u32_e32 vcc, s81, v2
	s_mov_b64 s[38:39], 0
	v_mov_b32_e32 v28, 0
	v_mov_b32_e32 v29, 0
	;; [unrolled: 1-line block ×8, first 2 shown]
                                        ; implicit-def: $sgpr4_sgpr5
                                        ; implicit-def: $vgpr36
	s_and_saveexec_b64 s[36:37], vcc
	s_cbranch_execz .LBB329_107
; %bb.92:
	v_cmp_ne_u16_sdwa s[4:5], v8, v8 src0_sel:DWORD src1_sel:WORD_1
	v_and_b32_e32 v2, 0xffff, v4
	v_add_u32_e32 v3, 14, v40
	v_cndmask_b32_e64 v10, 0, 1, s[4:5]
	v_lshl_or_b32 v28, v10, 16, v2
	v_cmp_gt_u32_e32 vcc, s81, v3
	s_mov_b64 s[40:41], 0
	v_mov_b32_e32 v29, 0
	v_mov_b32_e32 v30, 0
	;; [unrolled: 1-line block ×7, first 2 shown]
                                        ; implicit-def: $sgpr4_sgpr5
                                        ; implicit-def: $vgpr36
	s_and_saveexec_b64 s[38:39], vcc
	s_cbranch_execz .LBB329_106
; %bb.93:
	v_cmp_ne_u16_sdwa s[4:5], v8, v9 src0_sel:WORD_1 src1_sel:DWORD
	v_add_u32_e32 v2, 15, v40
	v_cndmask_b32_e64 v3, 0, 1, s[4:5]
	v_alignbit_b32 v29, v3, v4, 16
	v_cmp_gt_u32_e32 vcc, s81, v2
	s_mov_b64 s[42:43], 0
	v_mov_b32_e32 v30, 0
	v_mov_b32_e32 v31, 0
	v_mov_b32_e32 v32, 0
	v_mov_b32_e32 v33, 0
	v_mov_b32_e32 v34, 0
	v_mov_b32_e32 v35, 0
                                        ; implicit-def: $sgpr4_sgpr5
                                        ; implicit-def: $vgpr36
	s_and_saveexec_b64 s[40:41], vcc
	s_cbranch_execz .LBB329_105
; %bb.94:
	v_cmp_ne_u16_sdwa s[4:5], v9, v9 src0_sel:DWORD src1_sel:WORD_1
	v_and_b32_e32 v2, 0xffff, v5
	v_add_u32_e32 v3, 16, v40
	v_cndmask_b32_e64 v4, 0, 1, s[4:5]
	v_lshl_or_b32 v30, v4, 16, v2
	v_cmp_gt_u32_e32 vcc, s81, v3
	s_mov_b64 s[44:45], 0
	v_mov_b32_e32 v31, 0
	v_mov_b32_e32 v32, 0
	;; [unrolled: 1-line block ×5, first 2 shown]
                                        ; implicit-def: $sgpr4_sgpr5
                                        ; implicit-def: $vgpr36
	s_and_saveexec_b64 s[42:43], vcc
	s_cbranch_execz .LBB329_104
; %bb.95:
	v_cmp_ne_u16_sdwa s[4:5], v9, v6 src0_sel:WORD_1 src1_sel:DWORD
	v_add_u32_e32 v2, 17, v40
	v_cndmask_b32_e64 v3, 0, 1, s[4:5]
	v_alignbit_b32 v31, v3, v5, 16
	v_cmp_gt_u32_e32 vcc, s81, v2
	s_mov_b64 s[46:47], 0
	v_mov_b32_e32 v32, 0
	v_mov_b32_e32 v33, 0
	v_mov_b32_e32 v34, 0
	v_mov_b32_e32 v35, 0
                                        ; implicit-def: $sgpr4_sgpr5
                                        ; implicit-def: $vgpr36
	s_and_saveexec_b64 s[44:45], vcc
	s_cbranch_execz .LBB329_103
; %bb.96:
	ds_read_b64 v[2:3], v37 offset:34
	v_add_u32_e32 v4, 18, v40
	v_cmp_ne_u16_sdwa s[4:5], v6, v6 src0_sel:DWORD src1_sel:WORD_1
	v_cndmask_b32_e64 v5, 0, 1, s[4:5]
	v_cmp_gt_u32_e32 vcc, s81, v4
	s_waitcnt lgkmcnt(0)
	v_and_b32_e32 v4, 0xffff, v2
	v_lshl_or_b32 v32, v5, 16, v4
	s_mov_b64 s[48:49], 0
	v_mov_b32_e32 v33, 0
	v_mov_b32_e32 v34, 0
	v_mov_b32_e32 v35, 0
                                        ; implicit-def: $sgpr4_sgpr5
                                        ; implicit-def: $vgpr36
	s_and_saveexec_b64 s[46:47], vcc
	s_cbranch_execz .LBB329_102
; %bb.97:
	v_cmp_ne_u16_sdwa s[4:5], v6, v7 src0_sel:WORD_1 src1_sel:DWORD
	v_add_u32_e32 v4, 19, v40
	v_cndmask_b32_e64 v5, 0, 1, s[4:5]
	v_alignbit_b32 v33, v5, v2, 16
	v_cmp_gt_u32_e32 vcc, s81, v4
	s_mov_b64 s[50:51], 0
	v_mov_b32_e32 v34, 0
	v_mov_b32_e32 v35, 0
                                        ; implicit-def: $sgpr64_sgpr65
                                        ; implicit-def: $vgpr36
	s_and_saveexec_b64 s[48:49], vcc
	s_cbranch_execz .LBB329_101
; %bb.98:
	v_cmp_ne_u16_sdwa s[4:5], v7, v7 src0_sel:DWORD src1_sel:WORD_1
	v_and_b32_e32 v2, 0xffff, v3
	v_add_u32_e32 v4, 20, v40
	v_cndmask_b32_e64 v5, 0, 1, s[4:5]
	v_lshl_or_b32 v34, v5, 16, v2
	v_cmp_gt_u32_e32 vcc, s81, v4
	s_mov_b64 s[4:5], 0
	v_mov_b32_e32 v35, 0
                                        ; implicit-def: $sgpr50_sgpr51
                                        ; implicit-def: $vgpr36
	s_and_saveexec_b64 s[64:65], vcc
	s_xor_b64 s[64:65], exec, s[64:65]
	s_cbranch_execz .LBB329_100
; %bb.99:
	ds_read_u16 v36, v37 offset:42
	v_add_u32_e32 v2, 21, v40
	v_cmp_ne_u16_sdwa s[4:5], v7, v38 src0_sel:WORD_1 src1_sel:DWORD
	v_cmp_ne_u16_e32 vcc, v38, v39
	v_cndmask_b32_e64 v4, 0, 1, s[4:5]
	v_cmp_gt_u32_e64 s[4:5], s81, v2
	v_alignbit_b32 v35, v4, v3, 16
	s_and_b64 s[50:51], vcc, exec
	s_and_b64 s[4:5], s[4:5], exec
.LBB329_100:
	s_or_b64 exec, exec, s[64:65]
	s_and_b64 s[64:65], s[50:51], exec
	s_and_b64 s[50:51], s[4:5], exec
.LBB329_101:
	s_or_b64 exec, exec, s[48:49]
	s_and_b64 s[4:5], s[64:65], exec
	s_and_b64 s[48:49], s[50:51], exec
.LBB329_102:
	s_or_b64 exec, exec, s[46:47]
	s_and_b64 s[4:5], s[4:5], exec
	s_and_b64 s[46:47], s[48:49], exec
.LBB329_103:
	s_or_b64 exec, exec, s[44:45]
	s_and_b64 s[4:5], s[4:5], exec
	s_and_b64 s[44:45], s[46:47], exec
.LBB329_104:
	s_or_b64 exec, exec, s[42:43]
	s_and_b64 s[4:5], s[4:5], exec
	s_and_b64 s[42:43], s[44:45], exec
.LBB329_105:
	s_or_b64 exec, exec, s[40:41]
	s_and_b64 s[4:5], s[4:5], exec
	s_and_b64 s[40:41], s[42:43], exec
.LBB329_106:
	s_or_b64 exec, exec, s[38:39]
	s_and_b64 s[4:5], s[4:5], exec
	s_and_b64 s[38:39], s[40:41], exec
.LBB329_107:
	s_or_b64 exec, exec, s[36:37]
	s_and_b64 s[4:5], s[4:5], exec
	s_and_b64 s[36:37], s[38:39], exec
.LBB329_108:
	s_or_b64 exec, exec, s[34:35]
	s_and_b64 s[4:5], s[4:5], exec
	s_and_b64 s[34:35], s[36:37], exec
.LBB329_109:
	s_or_b64 exec, exec, s[30:31]
	s_and_b64 s[4:5], s[4:5], exec
	s_and_b64 s[30:31], s[34:35], exec
.LBB329_110:
	s_or_b64 exec, exec, s[28:29]
	s_and_b64 s[4:5], s[4:5], exec
	s_and_b64 s[28:29], s[30:31], exec
.LBB329_111:
	s_or_b64 exec, exec, s[26:27]
	s_and_b64 s[4:5], s[4:5], exec
	s_and_b64 s[26:27], s[28:29], exec
.LBB329_112:
	s_or_b64 exec, exec, s[24:25]
	s_and_b64 s[4:5], s[4:5], exec
	s_and_b64 s[24:25], s[26:27], exec
.LBB329_113:
	s_or_b64 exec, exec, s[22:23]
	s_and_b64 s[4:5], s[4:5], exec
	s_and_b64 s[22:23], s[24:25], exec
.LBB329_114:
	s_or_b64 exec, exec, s[20:21]
	s_and_b64 s[4:5], s[4:5], exec
	s_and_b64 s[20:21], s[22:23], exec
.LBB329_115:
	s_or_b64 exec, exec, s[18:19]
	s_and_b64 s[4:5], s[4:5], exec
	s_and_b64 s[18:19], s[20:21], exec
.LBB329_116:
	s_or_b64 exec, exec, s[16:17]
	s_and_b64 s[4:5], s[4:5], exec
	s_and_b64 s[16:17], s[18:19], exec
.LBB329_117:
	s_or_b64 exec, exec, s[14:15]
	s_and_b64 s[4:5], s[4:5], exec
	s_and_b64 s[14:15], s[16:17], exec
.LBB329_118:
	s_or_b64 exec, exec, s[12:13]
	s_and_b64 s[4:5], s[4:5], exec
	s_and_b64 s[12:13], s[14:15], exec
.LBB329_119:
	s_or_b64 exec, exec, s[10:11]
	s_and_b64 s[4:5], s[4:5], exec
	s_and_b64 s[10:11], s[12:13], exec
.LBB329_120:
	s_or_b64 exec, exec, s[8:9]
	s_and_b64 vcc, exec, s[6:7]
	v_lshlrev_b32_e32 v12, 1, v0
	s_cbranch_vccnz .LBB329_122
	s_branch .LBB329_130
.LBB329_121:
                                        ; implicit-def: $sgpr4_sgpr5
                                        ; implicit-def: $vgpr36
                                        ; implicit-def: $vgpr1
                                        ; implicit-def: $vgpr16
                                        ; implicit-def: $vgpr17
                                        ; implicit-def: $vgpr18
                                        ; implicit-def: $vgpr19
                                        ; implicit-def: $vgpr20
                                        ; implicit-def: $vgpr21
                                        ; implicit-def: $vgpr22
                                        ; implicit-def: $vgpr23
                                        ; implicit-def: $vgpr24
                                        ; implicit-def: $vgpr25
                                        ; implicit-def: $vgpr26
                                        ; implicit-def: $vgpr27
                                        ; implicit-def: $vgpr28
                                        ; implicit-def: $vgpr29
                                        ; implicit-def: $vgpr30
                                        ; implicit-def: $vgpr31
                                        ; implicit-def: $vgpr32
                                        ; implicit-def: $vgpr33
                                        ; implicit-def: $vgpr34
                                        ; implicit-def: $vgpr35
                                        ; implicit-def: $sgpr80
	s_and_b64 vcc, exec, s[6:7]
	v_lshlrev_b32_e32 v12, 1, v0
	s_cbranch_vccz .LBB329_130
.LBB329_122:
	v_mov_b32_e32 v1, s59
	v_add_co_u32_e32 v2, vcc, s58, v12
	v_addc_co_u32_e32 v3, vcc, 0, v1, vcc
	v_add_co_u32_e32 v4, vcc, 0x1000, v2
	v_addc_co_u32_e32 v5, vcc, 0, v3, vcc
	flat_load_ushort v6, v[2:3]
	flat_load_ushort v7, v[2:3] offset:512
	flat_load_ushort v8, v[2:3] offset:1024
	;; [unrolled: 1-line block ×7, first 2 shown]
	v_add_co_u32_e32 v2, vcc, 0x2000, v2
	v_addc_co_u32_e32 v3, vcc, 0, v3, vcc
	flat_load_ushort v15, v[4:5]
	flat_load_ushort v16, v[4:5] offset:512
	flat_load_ushort v17, v[4:5] offset:1024
	;; [unrolled: 1-line block ×7, first 2 shown]
	s_nop 0
	flat_load_ushort v4, v[2:3]
	flat_load_ushort v5, v[2:3] offset:512
	flat_load_ushort v23, v[2:3] offset:1024
	flat_load_ushort v24, v[2:3] offset:1536
	flat_load_ushort v25, v[2:3] offset:2048
	flat_load_ushort v26, v[2:3] offset:2560
	v_mad_u32_u24 v1, v0, 42, v12
	s_cmp_eq_u64 s[68:69], 0
	s_waitcnt vmcnt(0) lgkmcnt(0)
	ds_write_b16 v12, v6
	ds_write_b16 v12, v7 offset:512
	ds_write_b16 v12, v8 offset:1024
	;; [unrolled: 1-line block ×21, first 2 shown]
	s_waitcnt lgkmcnt(0)
	s_barrier
	ds_read2_b32 v[10:11], v1 offset1:1
	ds_read2_b32 v[8:9], v1 offset0:2 offset1:3
	ds_read2_b32 v[6:7], v1 offset0:4 offset1:5
	;; [unrolled: 1-line block ×4, first 2 shown]
	ds_read_b32 v13, v1 offset:40
	s_cbranch_scc1 .LBB329_127
; %bb.123:
	s_andn2_b64 vcc, exec, s[60:61]
	s_cbranch_vccnz .LBB329_292
; %bb.124:
	s_lshl_b64 s[4:5], s[68:69], 1
	s_add_u32 s4, s70, s4
	s_addc_u32 s5, s71, s5
	s_add_u32 s4, s4, -2
	s_addc_u32 s5, s5, -1
	s_cbranch_execnz .LBB329_126
.LBB329_125:
	s_add_u32 s4, s58, -2
	s_addc_u32 s5, s59, -1
.LBB329_126:
	s_mov_b64 s[58:59], s[4:5]
.LBB329_127:
	v_pk_mov_b32 v[14:15], s[58:59], s[58:59] op_sel:[0,1]
	flat_load_ushort v15, v[14:15]
	s_movk_i32 s4, 0xffd6
	s_waitcnt lgkmcnt(0)
	v_lshrrev_b32_e32 v14, 16, v13
	v_mad_i32_i24 v16, v0, s4, v1
	ds_write_b16 v16, v14 offset:11264
	s_waitcnt lgkmcnt(0)
	s_barrier
	s_and_saveexec_b64 s[4:5], s[52:53]
	s_cbranch_execz .LBB329_129
; %bb.128:
	s_waitcnt vmcnt(0)
	v_mul_i32_i24_e32 v15, 0xffffffd6, v0
	v_add_u32_e32 v15, v1, v15
	ds_read_u16 v15, v15 offset:11262
.LBB329_129:
	s_or_b64 exec, exec, s[4:5]
	v_mov_b32_e32 v17, s79
	v_add_co_u32_e32 v16, vcc, s78, v12
	v_addc_co_u32_e32 v17, vcc, 0, v17, vcc
	s_movk_i32 s4, 0x1000
	v_add_co_u32_e32 v18, vcc, s4, v16
	v_addc_co_u32_e32 v19, vcc, 0, v17, vcc
	s_movk_i32 s4, 0x2000
	s_waitcnt lgkmcnt(0)
	s_barrier
	flat_load_ushort v20, v[16:17]
	flat_load_ushort v21, v[16:17] offset:512
	flat_load_ushort v22, v[16:17] offset:1024
	;; [unrolled: 1-line block ×7, first 2 shown]
	v_add_co_u32_e32 v16, vcc, s4, v16
	v_addc_co_u32_e32 v17, vcc, 0, v17, vcc
	flat_load_ushort v28, v[18:19]
	flat_load_ushort v29, v[18:19] offset:512
	flat_load_ushort v30, v[18:19] offset:1024
	;; [unrolled: 1-line block ×7, first 2 shown]
	s_nop 0
	flat_load_ushort v18, v[16:17]
	flat_load_ushort v19, v[16:17] offset:512
	flat_load_ushort v36, v[16:17] offset:1024
	;; [unrolled: 1-line block ×5, first 2 shown]
	v_cmp_ne_u16_sdwa s[6:7], v10, v10 src0_sel:DWORD src1_sel:WORD_1
	v_cndmask_b32_e64 v16, 0, 1, s[6:7]
	v_cmp_ne_u16_sdwa s[6:7], v10, v11 src0_sel:WORD_1 src1_sel:DWORD
	v_cndmask_b32_e64 v40, 0, 1, s[6:7]
	v_cmp_ne_u16_sdwa s[6:7], v11, v11 src0_sel:DWORD src1_sel:WORD_1
	v_cmp_ne_u16_e64 s[4:5], v13, v14
	s_waitcnt vmcnt(0)
	v_cmp_ne_u16_e32 vcc, v15, v10
	v_cndmask_b32_e64 v41, 0, 1, s[6:7]
	v_cmp_ne_u16_sdwa s[6:7], v11, v8 src0_sel:WORD_1 src1_sel:DWORD
	v_cndmask_b32_e64 v17, 0, 1, vcc
	v_cndmask_b32_e64 v42, 0, 1, s[6:7]
	v_cmp_ne_u16_sdwa s[6:7], v8, v8 src0_sel:DWORD src1_sel:WORD_1
	s_mov_b64 s[10:11], -1
                                        ; implicit-def: $sgpr80
	s_waitcnt lgkmcnt(0)
	ds_write_b16 v12, v20
	ds_write_b16 v12, v21 offset:512
	ds_write_b16 v12, v22 offset:1024
	;; [unrolled: 1-line block ×21, first 2 shown]
	s_waitcnt lgkmcnt(0)
	s_barrier
	ds_read2_b32 v[10:11], v1 offset0:8 offset1:9
	ds_read_b32 v35, v1 offset:40
	ds_read2_b32 v[14:15], v1 offset1:1
	ds_read2_b32 v[22:23], v1 offset0:2 offset1:3
	ds_read2_b32 v[26:27], v1 offset0:4 offset1:5
	;; [unrolled: 1-line block ×3, first 2 shown]
	s_waitcnt lgkmcnt(4)
	v_lshrrev_b32_e32 v36, 16, v35
	s_waitcnt lgkmcnt(3)
	v_and_b32_e32 v1, 0xffff, v14
	v_alignbit_b32 v16, v16, v14, 16
	v_and_b32_e32 v14, 0xffff, v15
	v_lshl_or_b32 v1, v17, 16, v1
	v_lshl_or_b32 v17, v40, 16, v14
	v_cndmask_b32_e64 v14, 0, 1, s[6:7]
	v_cmp_ne_u16_sdwa s[6:7], v8, v9 src0_sel:WORD_1 src1_sel:DWORD
	s_waitcnt lgkmcnt(2)
	v_alignbit_b32 v20, v14, v22, 16
	v_and_b32_e32 v14, 0xffff, v23
	v_cndmask_b32_e64 v8, 0, 1, s[6:7]
	v_cmp_ne_u16_sdwa s[6:7], v9, v9 src0_sel:DWORD src1_sel:WORD_1
	v_lshl_or_b32 v21, v8, 16, v14
	v_cndmask_b32_e64 v8, 0, 1, s[6:7]
	v_cmp_ne_u16_sdwa s[6:7], v9, v6 src0_sel:WORD_1 src1_sel:DWORD
	v_alignbit_b32 v18, v41, v15, 16
	v_and_b32_e32 v15, 0xffff, v22
	v_alignbit_b32 v22, v8, v23, 16
	s_waitcnt lgkmcnt(1)
	v_and_b32_e32 v8, 0xffff, v26
	v_cndmask_b32_e64 v9, 0, 1, s[6:7]
	v_cmp_ne_u16_sdwa s[6:7], v6, v6 src0_sel:DWORD src1_sel:WORD_1
	v_lshl_or_b32 v23, v9, 16, v8
	v_cndmask_b32_e64 v8, 0, 1, s[6:7]
	v_cmp_ne_u16_sdwa s[6:7], v6, v7 src0_sel:WORD_1 src1_sel:DWORD
	v_alignbit_b32 v24, v8, v26, 16
	v_and_b32_e32 v8, 0xffff, v27
	v_cndmask_b32_e64 v6, 0, 1, s[6:7]
	v_cmp_ne_u16_sdwa s[6:7], v7, v7 src0_sel:DWORD src1_sel:WORD_1
	v_lshl_or_b32 v25, v6, 16, v8
	v_cndmask_b32_e64 v6, 0, 1, s[6:7]
	v_cmp_ne_u16_sdwa s[6:7], v7, v4 src0_sel:WORD_1 src1_sel:DWORD
	v_alignbit_b32 v26, v6, v27, 16
	s_waitcnt lgkmcnt(0)
	v_and_b32_e32 v6, 0xffff, v30
	v_cndmask_b32_e64 v7, 0, 1, s[6:7]
	v_cmp_ne_u16_sdwa s[6:7], v4, v4 src0_sel:DWORD src1_sel:WORD_1
	v_lshl_or_b32 v27, v7, 16, v6
	v_cndmask_b32_e64 v6, 0, 1, s[6:7]
	v_cmp_ne_u16_sdwa s[6:7], v4, v5 src0_sel:WORD_1 src1_sel:DWORD
	v_alignbit_b32 v28, v6, v30, 16
	v_and_b32_e32 v6, 0xffff, v31
	v_cndmask_b32_e64 v4, 0, 1, s[6:7]
	v_cmp_ne_u16_sdwa s[6:7], v5, v5 src0_sel:DWORD src1_sel:WORD_1
	v_lshl_or_b32 v29, v4, 16, v6
	v_cndmask_b32_e64 v4, 0, 1, s[6:7]
	v_cmp_ne_u16_sdwa s[6:7], v5, v2 src0_sel:WORD_1 src1_sel:DWORD
	v_alignbit_b32 v30, v4, v31, 16
	;; [unrolled: 7-line block ×4, first 2 shown]
	v_and_b32_e32 v2, 0xffff, v35
	v_cndmask_b32_e64 v3, 0, 1, s[6:7]
	v_lshl_or_b32 v19, v42, 16, v15
	v_lshl_or_b32 v35, v3, 16, v2
.LBB329_130:
	v_mov_b32_e32 v13, s80
	s_and_saveexec_b64 s[6:7], s[10:11]
	s_cbranch_execz .LBB329_132
; %bb.131:
	v_mov_b32_e32 v2, 0x10000
	v_cndmask_b32_e64 v2, 0, v2, s[4:5]
	s_waitcnt lgkmcnt(0)
	v_or_b32_sdwa v13, v2, v36 dst_sel:DWORD dst_unused:UNUSED_PAD src0_sel:DWORD src1_sel:WORD_0
.LBB329_132:
	s_or_b64 exec, exec, s[6:7]
	v_or3_b32 v2, v13, v35, v34
	s_cmp_lg_u32 s75, 0
	v_or3_b32 v15, v2, v33, v32
	v_lshrrev_b32_e32 v14, 5, v0
	v_cmp_gt_u32_e32 vcc, 64, v0
	s_waitcnt lgkmcnt(0)
	s_barrier
	s_cbranch_scc0 .LBB329_197
; %bb.133:
	s_mov_b32 s4, 0x10000
	v_cmp_gt_u32_e64 s[6:7], s4, v16
	v_cndmask_b32_e64 v2, 0, v1, s[6:7]
	v_add_u16_e32 v2, v2, v16
	v_cmp_gt_u32_e64 s[8:9], s4, v17
	v_cndmask_b32_e64 v2, 0, v2, s[8:9]
	v_add_u16_e32 v2, v2, v17
	;; [unrolled: 3-line block ×21, first 2 shown]
	v_or3_b32 v2, v15, v31, v30
	v_or3_b32 v2, v2, v29, v28
	;; [unrolled: 1-line block ×8, first 2 shown]
	v_and_b32_e32 v2, 0x10000, v2
	v_lshrrev_b32_e32 v36, 16, v1
	v_cmp_ne_u32_e64 s[4:5], 0, v2
	v_mov_b32_e32 v5, 0x10000
	v_cndmask_b32_e64 v38, v36, 1, s[4:5]
	v_add_lshl_u32 v2, v14, v0, 2
	ds_write_b16 v2, v37
	ds_write_b8 v2, v38 offset:2
	s_waitcnt lgkmcnt(0)
	s_barrier
	s_and_saveexec_b64 s[50:51], vcc
	s_cbranch_execz .LBB329_147
; %bb.134:
	v_lshlrev_b32_e32 v2, 2, v0
	v_lshrrev_b32_e32 v3, 3, v0
	v_add_lshl_u32 v2, v3, v2, 2
	ds_read_b32 v3, v2
	ds_read_u16 v4, v2 offset:4
	ds_read_u8 v6, v2 offset:6
	ds_read_u16 v7, v2 offset:8
	ds_read_u8 v8, v2 offset:10
	;; [unrolled: 2-line block ×3, first 2 shown]
	v_mov_b32_e32 v11, 0
	s_waitcnt lgkmcnt(4)
	v_cmp_eq_u16_sdwa s[4:5], v6, v11 src0_sel:BYTE_0 src1_sel:DWORD
	v_cndmask_b32_e64 v39, 0, v3, s[4:5]
	v_add_u16_e32 v39, v39, v4
	s_waitcnt lgkmcnt(2)
	v_cmp_eq_u16_sdwa s[4:5], v8, v11 src0_sel:BYTE_0 src1_sel:DWORD
	s_waitcnt lgkmcnt(0)
	v_or_b32_e32 v8, v10, v8
	v_cndmask_b32_e64 v11, 0, v39, s[4:5]
	v_or_b32_e32 v6, v8, v6
	v_add_u16_e32 v7, v11, v7
	v_cmp_eq_u16_e64 s[4:5], 0, v10
	v_and_b32_e32 v6, 1, v6
	v_and_b32_e32 v4, 0x10000, v3
	v_cndmask_b32_e64 v11, 0, v7, s[4:5]
	v_cmp_eq_u32_e64 s[4:5], 1, v6
	v_mbcnt_lo_u32_b32 v6, -1, 0
	v_add_u16_e32 v7, v11, v9
	v_cndmask_b32_e64 v39, v4, v5, s[4:5]
	v_add_u16_e32 v9, v11, v9
	v_and_b32_e32 v5, 0xff000000, v3
	v_mbcnt_hi_u32_b32 v6, -1, v6
	v_or_b32_e32 v10, v39, v5
	v_and_b32_e32 v11, 15, v6
	v_or3_b32 v9, v5, v9, v39
	s_movk_i32 s60, 0xff
	v_lshrrev_b32_e32 v8, 16, v10
	v_mov_b32_dpp v39, v9 row_shr:1 row_mask:0xf bank_mask:0xf
	v_cmp_ne_u32_e64 s[4:5], 0, v11
	s_and_saveexec_b64 s[58:59], s[4:5]
	s_cbranch_execz .LBB329_136
; %bb.135:
	v_and_b32_sdwa v8, v10, s60 dst_sel:DWORD dst_unused:UNUSED_PAD src0_sel:WORD_1 src1_sel:DWORD
	v_cmp_eq_u16_e64 s[4:5], 0, v8
	v_and_b32_e32 v8, 0x10000, v10
	v_mov_b32_e32 v10, 1
	v_cndmask_b32_e64 v9, 0, v39, s[4:5]
	v_and_b32_sdwa v10, v39, v10 dst_sel:DWORD dst_unused:UNUSED_PAD src0_sel:WORD_1 src1_sel:DWORD
	v_cmp_ne_u32_e64 s[4:5], 0, v8
	v_cndmask_b32_e64 v8, v10, 1, s[4:5]
	v_add_u16_e32 v40, v9, v7
	v_lshlrev_b32_e32 v10, 16, v8
	v_add_u16_e32 v7, v9, v7
	v_or3_b32 v9, v10, v7, v5
	v_mov_b32_e32 v7, v40
.LBB329_136:
	s_or_b64 exec, exec, s[58:59]
	v_lshrrev_b32_e32 v10, 16, v9
	v_mov_b32_dpp v39, v9 row_shr:2 row_mask:0xf bank_mask:0xf
	v_cmp_lt_u32_e64 s[4:5], 1, v11
	s_and_saveexec_b64 s[58:59], s[4:5]
	s_cbranch_execz .LBB329_138
; %bb.137:
	v_mov_b32_e32 v8, 0
	v_cmp_eq_u16_sdwa s[4:5], v10, v8 src0_sel:BYTE_0 src1_sel:DWORD
	v_and_b32_e32 v8, 0x10000, v9
	v_mov_b32_e32 v9, 1
	v_cndmask_b32_e64 v10, 0, v39, s[4:5]
	v_and_b32_sdwa v9, v39, v9 dst_sel:DWORD dst_unused:UNUSED_PAD src0_sel:WORD_1 src1_sel:DWORD
	v_cmp_ne_u32_e64 s[4:5], 0, v8
	v_cndmask_b32_e64 v8, v9, 1, s[4:5]
	v_add_u16_e32 v40, v10, v7
	v_lshlrev_b32_e32 v9, 16, v8
	v_add_u16_e32 v7, v10, v7
	v_or3_b32 v9, v9, v7, v5
	v_mov_b32_e32 v10, v8
	v_mov_b32_e32 v7, v40
.LBB329_138:
	s_or_b64 exec, exec, s[58:59]
	v_mov_b32_dpp v39, v9 row_shr:4 row_mask:0xf bank_mask:0xf
	v_cmp_lt_u32_e64 s[4:5], 3, v11
	s_and_saveexec_b64 s[58:59], s[4:5]
	s_cbranch_execz .LBB329_140
; %bb.139:
	v_mov_b32_e32 v8, 0
	v_cmp_eq_u16_sdwa s[4:5], v10, v8 src0_sel:BYTE_0 src1_sel:DWORD
	v_and_b32_e32 v8, 1, v10
	v_mov_b32_e32 v10, 1
	v_cndmask_b32_e64 v9, 0, v39, s[4:5]
	v_and_b32_sdwa v10, v39, v10 dst_sel:DWORD dst_unused:UNUSED_PAD src0_sel:WORD_1 src1_sel:DWORD
	v_cmp_eq_u32_e64 s[4:5], 1, v8
	v_cndmask_b32_e64 v8, v10, 1, s[4:5]
	v_add_u16_e32 v40, v9, v7
	v_lshlrev_b32_e32 v10, 16, v8
	v_add_u16_e32 v7, v9, v7
	v_or3_b32 v9, v10, v7, v5
	v_mov_b32_e32 v10, v8
	v_mov_b32_e32 v7, v40
.LBB329_140:
	s_or_b64 exec, exec, s[58:59]
	v_mov_b32_dpp v39, v9 row_shr:8 row_mask:0xf bank_mask:0xf
	v_cmp_lt_u32_e64 s[4:5], 7, v11
	s_and_saveexec_b64 s[58:59], s[4:5]
	s_cbranch_execz .LBB329_142
; %bb.141:
	v_mov_b32_e32 v8, 0
	v_cmp_eq_u16_sdwa s[4:5], v10, v8 src0_sel:BYTE_0 src1_sel:DWORD
	v_and_b32_e32 v8, 1, v10
	v_mov_b32_e32 v10, 1
	v_cndmask_b32_e64 v9, 0, v39, s[4:5]
	v_and_b32_sdwa v10, v39, v10 dst_sel:DWORD dst_unused:UNUSED_PAD src0_sel:WORD_1 src1_sel:DWORD
	v_cmp_eq_u32_e64 s[4:5], 1, v8
	v_cndmask_b32_e64 v8, v10, 1, s[4:5]
	v_add_u16_e32 v11, v9, v7
	v_lshlrev_b32_e32 v10, 16, v8
	v_add_u16_e32 v7, v9, v7
	v_or3_b32 v9, v10, v7, v5
	v_mov_b32_e32 v10, v8
	v_mov_b32_e32 v7, v11
.LBB329_142:
	s_or_b64 exec, exec, s[58:59]
	v_and_b32_e32 v39, 16, v6
	v_mov_b32_dpp v11, v9 row_bcast:15 row_mask:0xf bank_mask:0xf
	v_cmp_ne_u32_e64 s[4:5], 0, v39
	s_and_saveexec_b64 s[58:59], s[4:5]
	s_cbranch_execz .LBB329_144
; %bb.143:
	v_mov_b32_e32 v8, 0
	v_cmp_eq_u16_sdwa s[4:5], v10, v8 src0_sel:BYTE_0 src1_sel:DWORD
	v_and_b32_e32 v8, 1, v10
	v_mov_b32_e32 v10, 1
	v_cndmask_b32_e64 v9, 0, v11, s[4:5]
	v_and_b32_sdwa v10, v11, v10 dst_sel:DWORD dst_unused:UNUSED_PAD src0_sel:WORD_1 src1_sel:DWORD
	v_cmp_eq_u32_e64 s[4:5], 1, v8
	v_cndmask_b32_e64 v8, v10, 1, s[4:5]
	v_add_u16_e32 v39, v9, v7
	v_lshlrev_b32_e32 v10, 16, v8
	v_add_u16_e32 v7, v9, v7
	v_or3_b32 v9, v10, v7, v5
	v_mov_b32_e32 v10, v8
	v_mov_b32_e32 v7, v39
.LBB329_144:
	s_or_b64 exec, exec, s[58:59]
	v_mov_b32_dpp v9, v9 row_bcast:31 row_mask:0xf bank_mask:0xf
	v_cmp_lt_u32_e64 s[4:5], 31, v6
	s_and_saveexec_b64 s[58:59], s[4:5]
; %bb.145:
	v_mov_b32_e32 v8, 0
	v_cmp_eq_u16_sdwa s[4:5], v10, v8 src0_sel:BYTE_0 src1_sel:DWORD
	v_cndmask_b32_e64 v8, 0, v9, s[4:5]
	v_add_u16_e32 v7, v8, v7
	v_and_b32_e32 v8, 1, v10
	v_mov_b32_e32 v10, 1
	v_and_b32_sdwa v9, v9, v10 dst_sel:DWORD dst_unused:UNUSED_PAD src0_sel:WORD_1 src1_sel:DWORD
	v_cmp_eq_u32_e64 s[4:5], 1, v8
	v_cndmask_b32_e64 v8, v9, 1, s[4:5]
; %bb.146:
	s_or_b64 exec, exec, s[58:59]
	v_and_b32_e32 v8, 0xff, v8
	v_lshlrev_b32_e32 v8, 16, v8
	v_and_b32_e32 v7, 0xffff, v7
	v_or3_b32 v5, v8, v7, v5
	v_add_u32_e32 v7, -1, v6
	v_and_b32_e32 v8, 64, v6
	v_cmp_lt_i32_e64 s[4:5], v7, v8
	v_cndmask_b32_e64 v6, v7, v6, s[4:5]
	v_lshlrev_b32_e32 v6, 2, v6
	ds_bpermute_b32 v5, v6, v5
	v_and_b32_e32 v6, 0xff0000, v3
	v_cmp_eq_u32_e64 s[4:5], 0, v6
	; wave barrier
	s_waitcnt lgkmcnt(0)
	v_cndmask_b32_e64 v6, 0, v5, s[4:5]
	v_add_u16_e32 v3, v6, v3
	v_mov_b32_e32 v6, 1
	v_and_b32_sdwa v5, v5, v6 dst_sel:DWORD dst_unused:UNUSED_PAD src0_sel:WORD_1 src1_sel:DWORD
	v_cmp_eq_u32_e64 s[4:5], 0, v4
	v_cndmask_b32_e64 v4, 1, v5, s[4:5]
	v_cndmask_b32_e64 v3, v3, v37, s[0:1]
	;; [unrolled: 1-line block ×3, first 2 shown]
	ds_write_b16 v2, v3
	ds_write_b8 v2, v4 offset:2
	; wave barrier
	ds_read_u16 v5, v2 offset:4
	ds_read_u8 v6, v2 offset:6
	ds_read_u16 v7, v2 offset:8
	ds_read_u8 v8, v2 offset:10
	;; [unrolled: 2-line block ×3, first 2 shown]
	s_waitcnt lgkmcnt(4)
	v_cmp_eq_u16_e64 s[4:5], 0, v6
	v_cndmask_b32_e64 v3, 0, v3, s[4:5]
	v_add_u16_e32 v3, v3, v5
	v_and_b32_e32 v5, 1, v6
	v_cmp_eq_u32_e64 s[4:5], 1, v5
	v_cndmask_b32_e64 v4, v4, 1, s[4:5]
	s_waitcnt lgkmcnt(2)
	v_cmp_eq_u16_e64 s[4:5], 0, v8
	v_and_b32_e32 v5, 1, v8
	ds_write_b16 v2, v3 offset:4
	ds_write_b8 v2, v4 offset:6
	v_cndmask_b32_e64 v3, 0, v3, s[4:5]
	v_cmp_eq_u32_e64 s[4:5], 1, v5
	v_add_u16_e32 v3, v3, v7
	v_cndmask_b32_e64 v4, v4, 1, s[4:5]
	s_waitcnt lgkmcnt(2)
	v_cmp_eq_u16_e64 s[4:5], 0, v10
	ds_write_b16 v2, v3 offset:8
	ds_write_b8 v2, v4 offset:10
	v_cndmask_b32_e64 v3, 0, v3, s[4:5]
	v_and_b32_e32 v5, 1, v10
	v_add_u16_e32 v3, v3, v9
	v_cmp_eq_u32_e64 s[4:5], 1, v5
	v_cndmask_b32_e64 v4, v4, 1, s[4:5]
	ds_write_b16 v2, v3 offset:12
	ds_write_b8 v2, v4 offset:14
.LBB329_147:
	s_or_b64 exec, exec, s[50:51]
	s_waitcnt lgkmcnt(0)
	s_barrier
	s_and_saveexec_b64 s[4:5], s[52:53]
	s_cbranch_execz .LBB329_149
; %bb.148:
	v_add_u32_e32 v2, -1, v0
	v_lshrrev_b32_e32 v3, 5, v2
	v_add_lshl_u32 v2, v3, v2, 2
	ds_read_u16 v37, v2
	ds_read_u8 v38, v2 offset:2
.LBB329_149:
	s_or_b64 exec, exec, s[4:5]
	s_and_saveexec_b64 s[4:5], vcc
	s_cbranch_execz .LBB329_196
; %bb.150:
	v_mov_b32_e32 v11, 0
	ds_read_b32 v2, v11 offset:1048
	v_mbcnt_lo_u32_b32 v3, -1, 0
	v_mbcnt_hi_u32_b32 v5, -1, v3
	s_mov_b32 s61, 0
	v_cmp_eq_u32_e64 s[50:51], 0, v5
	s_and_saveexec_b64 s[58:59], s[50:51]
	s_cbranch_execz .LBB329_152
; %bb.151:
	s_add_i32 s60, s75, 64
	s_lshl_b64 s[60:61], s[60:61], 3
	s_add_u32 s60, s72, s60
	v_mov_b32_e32 v3, 1
	s_addc_u32 s61, s73, s61
	s_waitcnt lgkmcnt(0)
	global_store_dwordx2 v11, v[2:3], s[60:61]
.LBB329_152:
	s_or_b64 exec, exec, s[58:59]
	v_xad_u32 v4, v5, -1, s75
	v_add_u32_e32 v10, 64, v4
	v_lshlrev_b64 v[6:7], 3, v[10:11]
	v_mov_b32_e32 v3, s73
	v_add_co_u32_e32 v6, vcc, s72, v6
	v_addc_co_u32_e32 v7, vcc, v3, v7, vcc
	global_load_dwordx2 v[8:9], v[6:7], off glc
	s_waitcnt vmcnt(0)
	v_cmp_eq_u16_sdwa s[60:61], v9, v11 src0_sel:BYTE_0 src1_sel:DWORD
	s_and_saveexec_b64 s[58:59], s[60:61]
	s_cbranch_execz .LBB329_158
; %bb.153:
	s_mov_b32 s64, 1
	s_mov_b64 s[60:61], 0
	v_mov_b32_e32 v3, 0
.LBB329_154:                            ; =>This Loop Header: Depth=1
                                        ;     Child Loop BB329_155 Depth 2
	s_max_u32 s65, s64, 1
.LBB329_155:                            ;   Parent Loop BB329_154 Depth=1
                                        ; =>  This Inner Loop Header: Depth=2
	s_add_i32 s65, s65, -1
	s_cmp_eq_u32 s65, 0
	s_sleep 1
	s_cbranch_scc0 .LBB329_155
; %bb.156:                              ;   in Loop: Header=BB329_154 Depth=1
	global_load_dwordx2 v[8:9], v[6:7], off glc
	s_cmp_lt_u32 s64, 32
	s_cselect_b64 s[68:69], -1, 0
	s_cmp_lg_u64 s[68:69], 0
	s_addc_u32 s64, s64, 0
	s_waitcnt vmcnt(0)
	v_cmp_ne_u16_sdwa s[68:69], v9, v3 src0_sel:BYTE_0 src1_sel:DWORD
	s_or_b64 s[60:61], s[68:69], s[60:61]
	s_andn2_b64 exec, exec, s[60:61]
	s_cbranch_execnz .LBB329_154
; %bb.157:
	s_or_b64 exec, exec, s[60:61]
.LBB329_158:
	s_or_b64 exec, exec, s[58:59]
	v_mov_b32_e32 v3, 2
	v_cmp_eq_u16_sdwa s[58:59], v9, v3 src0_sel:BYTE_0 src1_sel:DWORD
	v_lshlrev_b64 v[6:7], v5, -1
	v_and_b32_e32 v3, s59, v7
	v_or_b32_e32 v3, 0x80000000, v3
	v_ffbl_b32_e32 v3, v3
	v_add_u32_e32 v11, 32, v3
	v_and_b32_e32 v3, 63, v5
	v_cmp_ne_u32_e32 vcc, 63, v3
	v_addc_co_u32_e32 v39, vcc, 0, v5, vcc
	v_and_b32_e32 v50, 0xffffff, v8
	v_lshlrev_b32_e32 v39, 2, v39
	ds_bpermute_b32 v40, v39, v50
	v_and_b32_e32 v10, s58, v6
	v_ffbl_b32_e32 v10, v10
	v_min_u32_e32 v11, v10, v11
	v_lshrrev_b32_e32 v10, 16, v8
	v_cmp_lt_u32_e32 vcc, v3, v11
	v_bfe_u32 v48, v8, 16, 8
	s_and_saveexec_b64 s[58:59], vcc
	s_cbranch_execz .LBB329_160
; %bb.159:
	v_and_b32_e32 v10, 0xff0000, v8
	v_cmp_eq_u32_e32 vcc, 0, v10
	v_and_b32_e32 v10, 0x10000, v10
	v_mov_b32_e32 v43, 1
	s_waitcnt lgkmcnt(0)
	v_cndmask_b32_e32 v41, 0, v40, vcc
	v_and_b32_sdwa v40, v40, v43 dst_sel:DWORD dst_unused:UNUSED_PAD src0_sel:WORD_1 src1_sel:DWORD
	v_cmp_ne_u32_e32 vcc, 0, v10
	v_cndmask_b32_e64 v10, v40, 1, vcc
	v_add_u16_e32 v42, v41, v8
	v_lshlrev_b32_e32 v40, 16, v10
	v_add_u16_e32 v8, v41, v8
	v_or_b32_e32 v50, v40, v8
	v_mov_b32_e32 v8, v42
	v_mov_b32_e32 v48, v10
.LBB329_160:
	s_or_b64 exec, exec, s[58:59]
	v_cmp_gt_u32_e32 vcc, 62, v3
	s_waitcnt lgkmcnt(0)
	v_cndmask_b32_e64 v40, 0, 1, vcc
	v_lshlrev_b32_e32 v40, 1, v40
	v_add_lshl_u32 v40, v40, v5, 2
	ds_bpermute_b32 v42, v40, v50
	v_add_u32_e32 v41, 2, v3
	v_cmp_le_u32_e32 vcc, v41, v11
	s_and_saveexec_b64 s[58:59], vcc
	s_cbranch_execz .LBB329_162
; %bb.161:
	v_cmp_eq_u16_e32 vcc, 0, v48
	v_and_b32_e32 v10, 1, v48
	v_mov_b32_e32 v45, 1
	s_waitcnt lgkmcnt(0)
	v_cndmask_b32_e32 v43, 0, v42, vcc
	v_and_b32_sdwa v42, v42, v45 dst_sel:DWORD dst_unused:UNUSED_PAD src0_sel:WORD_1 src1_sel:DWORD
	v_cmp_eq_u32_e32 vcc, 1, v10
	v_cndmask_b32_e64 v10, v42, 1, vcc
	v_add_u16_e32 v44, v43, v8
	v_lshlrev_b32_e32 v42, 16, v10
	v_add_u16_e32 v8, v43, v8
	v_or_b32_e32 v50, v42, v8
	v_mov_b32_e32 v8, v44
	v_mov_b32_e32 v48, v10
.LBB329_162:
	s_or_b64 exec, exec, s[58:59]
	v_cmp_gt_u32_e32 vcc, 60, v3
	s_waitcnt lgkmcnt(0)
	v_cndmask_b32_e64 v42, 0, 1, vcc
	v_lshlrev_b32_e32 v42, 2, v42
	v_add_lshl_u32 v42, v42, v5, 2
	ds_bpermute_b32 v44, v42, v50
	v_add_u32_e32 v43, 4, v3
	v_cmp_le_u32_e32 vcc, v43, v11
	s_and_saveexec_b64 s[58:59], vcc
	s_cbranch_execz .LBB329_164
; %bb.163:
	v_cmp_eq_u16_e32 vcc, 0, v48
	v_and_b32_e32 v10, 1, v48
	v_mov_b32_e32 v47, 1
	s_waitcnt lgkmcnt(0)
	v_cndmask_b32_e32 v45, 0, v44, vcc
	v_and_b32_sdwa v44, v44, v47 dst_sel:DWORD dst_unused:UNUSED_PAD src0_sel:WORD_1 src1_sel:DWORD
	v_cmp_eq_u32_e32 vcc, 1, v10
	v_cndmask_b32_e64 v10, v44, 1, vcc
	v_add_u16_e32 v46, v45, v8
	v_lshlrev_b32_e32 v44, 16, v10
	v_add_u16_e32 v8, v45, v8
	v_or_b32_e32 v50, v44, v8
	v_mov_b32_e32 v8, v46
	v_mov_b32_e32 v48, v10
.LBB329_164:
	;; [unrolled: 27-line block ×4, first 2 shown]
	s_or_b64 exec, exec, s[58:59]
	v_cmp_gt_u32_e32 vcc, 32, v3
	s_waitcnt lgkmcnt(0)
	v_cndmask_b32_e64 v49, 0, 1, vcc
	v_lshlrev_b32_e32 v49, 5, v49
	v_add_lshl_u32 v49, v49, v5, 2
	ds_bpermute_b32 v5, v49, v50
	v_add_u32_e32 v50, 32, v3
	v_cmp_le_u32_e32 vcc, v50, v11
	s_and_saveexec_b64 s[58:59], vcc
	s_cbranch_execz .LBB329_170
; %bb.169:
	v_cmp_eq_u16_e32 vcc, 0, v48
	s_waitcnt lgkmcnt(0)
	v_cndmask_b32_e32 v10, 0, v5, vcc
	v_add_u16_e32 v8, v10, v8
	v_and_b32_e32 v10, 1, v48
	v_mov_b32_e32 v11, 1
	v_and_b32_sdwa v5, v5, v11 dst_sel:DWORD dst_unused:UNUSED_PAD src0_sel:WORD_1 src1_sel:DWORD
	v_cmp_eq_u32_e32 vcc, 1, v10
	v_cndmask_b32_e64 v10, v5, 1, vcc
.LBB329_170:
	s_or_b64 exec, exec, s[58:59]
	s_waitcnt lgkmcnt(0)
	v_mov_b32_e32 v5, 0
	v_mov_b32_e32 v52, 2
	;; [unrolled: 1-line block ×3, first 2 shown]
	s_branch .LBB329_172
.LBB329_171:                            ;   in Loop: Header=BB329_172 Depth=1
	s_or_b64 exec, exec, s[58:59]
	v_cmp_eq_u16_sdwa vcc, v48, v5 src0_sel:BYTE_0 src1_sel:DWORD
	v_and_b32_e32 v10, 1, v48
	v_cndmask_b32_e32 v8, 0, v8, vcc
	v_and_b32_e32 v11, 1, v11
	v_cmp_eq_u32_e32 vcc, 1, v10
	v_subrev_u32_e32 v4, 64, v4
	v_add_u16_e32 v8, v8, v51
	v_cndmask_b32_e64 v10, v11, 1, vcc
.LBB329_172:                            ; =>This Loop Header: Depth=1
                                        ;     Child Loop BB329_175 Depth 2
                                        ;       Child Loop BB329_176 Depth 3
	v_cmp_ne_u16_sdwa s[58:59], v9, v52 src0_sel:BYTE_0 src1_sel:DWORD
	v_cndmask_b32_e64 v9, 0, 1, s[58:59]
	;;#ASMSTART
	;;#ASMEND
	v_cmp_ne_u32_e32 vcc, 0, v9
	v_mov_b32_e32 v48, v10
	s_cmp_lg_u64 vcc, exec
	v_mov_b32_e32 v51, v8
	s_cbranch_scc1 .LBB329_191
; %bb.173:                              ;   in Loop: Header=BB329_172 Depth=1
	v_lshlrev_b64 v[8:9], 3, v[4:5]
	v_mov_b32_e32 v11, s73
	v_add_co_u32_e32 v10, vcc, s72, v8
	v_addc_co_u32_e32 v11, vcc, v11, v9, vcc
	global_load_dwordx2 v[8:9], v[10:11], off glc
	s_waitcnt vmcnt(0)
	v_cmp_eq_u16_sdwa s[60:61], v9, v5 src0_sel:BYTE_0 src1_sel:DWORD
	s_and_saveexec_b64 s[58:59], s[60:61]
	s_cbranch_execz .LBB329_179
; %bb.174:                              ;   in Loop: Header=BB329_172 Depth=1
	s_mov_b32 s64, 1
	s_mov_b64 s[60:61], 0
.LBB329_175:                            ;   Parent Loop BB329_172 Depth=1
                                        ; =>  This Loop Header: Depth=2
                                        ;       Child Loop BB329_176 Depth 3
	s_max_u32 s65, s64, 1
.LBB329_176:                            ;   Parent Loop BB329_172 Depth=1
                                        ;     Parent Loop BB329_175 Depth=2
                                        ; =>    This Inner Loop Header: Depth=3
	s_add_i32 s65, s65, -1
	s_cmp_eq_u32 s65, 0
	s_sleep 1
	s_cbranch_scc0 .LBB329_176
; %bb.177:                              ;   in Loop: Header=BB329_175 Depth=2
	global_load_dwordx2 v[8:9], v[10:11], off glc
	s_cmp_lt_u32 s64, 32
	s_cselect_b64 s[68:69], -1, 0
	s_cmp_lg_u64 s[68:69], 0
	s_addc_u32 s64, s64, 0
	s_waitcnt vmcnt(0)
	v_cmp_ne_u16_sdwa s[68:69], v9, v5 src0_sel:BYTE_0 src1_sel:DWORD
	s_or_b64 s[60:61], s[68:69], s[60:61]
	s_andn2_b64 exec, exec, s[60:61]
	s_cbranch_execnz .LBB329_175
; %bb.178:                              ;   in Loop: Header=BB329_172 Depth=1
	s_or_b64 exec, exec, s[60:61]
.LBB329_179:                            ;   in Loop: Header=BB329_172 Depth=1
	s_or_b64 exec, exec, s[58:59]
	v_cmp_eq_u16_sdwa s[58:59], v9, v52 src0_sel:BYTE_0 src1_sel:DWORD
	v_and_b32_e32 v10, s59, v7
	s_waitcnt lgkmcnt(0)
	v_and_b32_e32 v55, 0xffffff, v8
	v_or_b32_e32 v10, 0x80000000, v10
	ds_bpermute_b32 v56, v39, v55
	v_and_b32_e32 v11, s58, v6
	v_ffbl_b32_e32 v10, v10
	v_add_u32_e32 v10, 32, v10
	v_ffbl_b32_e32 v11, v11
	v_min_u32_e32 v10, v11, v10
	v_lshrrev_b32_e32 v11, 16, v8
	v_cmp_lt_u32_e32 vcc, v3, v10
	v_bfe_u32 v54, v8, 16, 8
	s_and_saveexec_b64 s[58:59], vcc
	s_cbranch_execz .LBB329_181
; %bb.180:                              ;   in Loop: Header=BB329_172 Depth=1
	v_and_b32_e32 v11, 0xff0000, v8
	v_cmp_eq_u32_e32 vcc, 0, v11
	v_and_b32_e32 v11, 0x10000, v11
	s_waitcnt lgkmcnt(0)
	v_cndmask_b32_e32 v54, 0, v56, vcc
	v_and_b32_sdwa v55, v56, v53 dst_sel:DWORD dst_unused:UNUSED_PAD src0_sel:WORD_1 src1_sel:DWORD
	v_cmp_ne_u32_e32 vcc, 0, v11
	v_cndmask_b32_e64 v11, v55, 1, vcc
	v_add_u16_e32 v57, v54, v8
	v_lshlrev_b32_e32 v55, 16, v11
	v_add_u16_e32 v8, v54, v8
	v_or_b32_e32 v55, v55, v8
	v_mov_b32_e32 v8, v57
	v_mov_b32_e32 v54, v11
.LBB329_181:                            ;   in Loop: Header=BB329_172 Depth=1
	s_or_b64 exec, exec, s[58:59]
	s_waitcnt lgkmcnt(0)
	ds_bpermute_b32 v56, v40, v55
	v_cmp_le_u32_e32 vcc, v41, v10
	s_and_saveexec_b64 s[58:59], vcc
	s_cbranch_execz .LBB329_183
; %bb.182:                              ;   in Loop: Header=BB329_172 Depth=1
	v_cmp_eq_u16_e32 vcc, 0, v54
	v_and_b32_e32 v11, 1, v54
	s_waitcnt lgkmcnt(0)
	v_cndmask_b32_e32 v55, 0, v56, vcc
	v_and_b32_sdwa v54, v56, v53 dst_sel:DWORD dst_unused:UNUSED_PAD src0_sel:WORD_1 src1_sel:DWORD
	v_cmp_eq_u32_e32 vcc, 1, v11
	v_cndmask_b32_e64 v11, v54, 1, vcc
	v_add_u16_e32 v57, v55, v8
	v_lshlrev_b32_e32 v54, 16, v11
	v_add_u16_e32 v8, v55, v8
	v_or_b32_e32 v55, v54, v8
	v_mov_b32_e32 v8, v57
	v_mov_b32_e32 v54, v11
.LBB329_183:                            ;   in Loop: Header=BB329_172 Depth=1
	s_or_b64 exec, exec, s[58:59]
	s_waitcnt lgkmcnt(0)
	ds_bpermute_b32 v56, v42, v55
	v_cmp_le_u32_e32 vcc, v43, v10
	s_and_saveexec_b64 s[58:59], vcc
	s_cbranch_execz .LBB329_185
; %bb.184:                              ;   in Loop: Header=BB329_172 Depth=1
	v_cmp_eq_u16_e32 vcc, 0, v54
	v_and_b32_e32 v11, 1, v54
	s_waitcnt lgkmcnt(0)
	v_cndmask_b32_e32 v55, 0, v56, vcc
	v_and_b32_sdwa v54, v56, v53 dst_sel:DWORD dst_unused:UNUSED_PAD src0_sel:WORD_1 src1_sel:DWORD
	v_cmp_eq_u32_e32 vcc, 1, v11
	v_cndmask_b32_e64 v11, v54, 1, vcc
	v_add_u16_e32 v57, v55, v8
	v_lshlrev_b32_e32 v54, 16, v11
	v_add_u16_e32 v8, v55, v8
	v_or_b32_e32 v55, v54, v8
	v_mov_b32_e32 v8, v57
	v_mov_b32_e32 v54, v11
.LBB329_185:                            ;   in Loop: Header=BB329_172 Depth=1
	;; [unrolled: 21-line block ×4, first 2 shown]
	s_or_b64 exec, exec, s[58:59]
	ds_bpermute_b32 v55, v49, v55
	v_cmp_le_u32_e32 vcc, v50, v10
	s_and_saveexec_b64 s[58:59], vcc
	s_cbranch_execz .LBB329_171
; %bb.190:                              ;   in Loop: Header=BB329_172 Depth=1
	v_cmp_eq_u16_e32 vcc, 0, v54
	s_waitcnt lgkmcnt(0)
	v_cndmask_b32_e32 v10, 0, v55, vcc
	v_add_u16_e32 v8, v10, v8
	v_and_b32_e32 v10, 1, v54
	v_lshrrev_b32_e32 v11, 16, v55
	v_cmp_eq_u32_e32 vcc, 1, v10
	v_cndmask_b32_e64 v11, v11, 1, vcc
	s_branch .LBB329_171
.LBB329_191:                            ;   in Loop: Header=BB329_172 Depth=1
                                        ; implicit-def: $vgpr10
                                        ; implicit-def: $vgpr8
	s_cbranch_execz .LBB329_172
; %bb.192:
	s_and_saveexec_b64 s[58:59], s[50:51]
	s_cbranch_execz .LBB329_194
; %bb.193:
	v_and_b32_e32 v3, 0xff0000, v2
	s_mov_b32 s51, 0
	v_cmp_eq_u32_e32 vcc, 0, v3
	v_and_b32_e32 v4, 0x10000, v2
	v_mov_b32_e32 v5, 1
	s_add_i32 s50, s75, 64
	v_cndmask_b32_e32 v3, 0, v51, vcc
	v_and_b32_sdwa v5, v48, v5 dst_sel:WORD_1 dst_unused:UNUSED_PAD src0_sel:DWORD src1_sel:DWORD
	v_mov_b32_e32 v6, 0x10000
	v_cmp_eq_u32_e32 vcc, 0, v4
	s_lshl_b64 s[50:51], s[50:51], 3
	v_cndmask_b32_e32 v4, v6, v5, vcc
	s_add_u32 s50, s72, s50
	v_add_u16_e32 v2, v3, v2
	s_addc_u32 s51, s73, s51
	v_mov_b32_e32 v5, 0
	v_or_b32_e32 v2, v4, v2
	v_mov_b32_e32 v3, 2
	global_store_dwordx2 v5, v[2:3], s[50:51]
.LBB329_194:
	s_or_b64 exec, exec, s[58:59]
	s_and_b64 exec, exec, s[0:1]
	s_cbranch_execz .LBB329_196
; %bb.195:
	v_mov_b32_e32 v2, 0
	ds_write_b16 v2, v51
	ds_write_b8 v2, v48 offset:2
.LBB329_196:
	s_or_b64 exec, exec, s[4:5]
	v_mov_b32_e32 v2, 0
	s_mov_b32 s4, 0x10000
	s_waitcnt lgkmcnt(0)
	s_barrier
	ds_read_b32 v3, v2
	v_cmp_gt_u32_e32 vcc, s4, v1
	v_and_b32_e32 v5, 0x10000, v1
	v_cndmask_b32_e32 v4, 0, v37, vcc
	v_and_b32_e32 v6, 1, v38
	v_cmp_ne_u32_e32 vcc, 0, v5
	v_cndmask_b32_e64 v5, v6, 1, vcc
	v_cndmask_b32_e64 v5, v5, v36, s[0:1]
	v_cndmask_b32_e64 v4, v4, 0, s[0:1]
	v_cmp_eq_u16_sdwa vcc, v5, v2 src0_sel:BYTE_0 src1_sel:DWORD
	v_add_u16_e32 v4, v4, v1
	s_waitcnt lgkmcnt(0)
	v_cndmask_b32_e32 v2, 0, v3, vcc
	v_add_u16_e32 v49, v4, v2
	v_cndmask_b32_e64 v2, 0, v49, s[6:7]
	v_add_u16_e32 v4, v2, v16
	v_cndmask_b32_e64 v2, 0, v4, s[8:9]
	;; [unrolled: 2-line block ×21, first 2 shown]
	v_add_u16_e32 v48, v2, v13
	s_branch .LBB329_219
.LBB329_197:
                                        ; implicit-def: $vgpr49
                                        ; implicit-def: $vgpr4
                                        ; implicit-def: $vgpr5
                                        ; implicit-def: $vgpr6
                                        ; implicit-def: $vgpr7
                                        ; implicit-def: $vgpr8
                                        ; implicit-def: $vgpr9
                                        ; implicit-def: $vgpr10
                                        ; implicit-def: $vgpr11
                                        ; implicit-def: $vgpr36
                                        ; implicit-def: $vgpr37
                                        ; implicit-def: $vgpr38
                                        ; implicit-def: $vgpr39
                                        ; implicit-def: $vgpr40
                                        ; implicit-def: $vgpr41
                                        ; implicit-def: $vgpr42
                                        ; implicit-def: $vgpr43
                                        ; implicit-def: $vgpr44
                                        ; implicit-def: $vgpr45
                                        ; implicit-def: $vgpr46
                                        ; implicit-def: $vgpr47
                                        ; implicit-def: $vgpr48
	s_cbranch_execz .LBB329_219
; %bb.198:
	s_cmp_lg_u64 s[76:77], 0
	s_cselect_b32 s7, s67, 0
	s_cselect_b32 s6, s66, 0
	s_cmp_lg_u64 s[6:7], 0
	s_cselect_b64 s[4:5], -1, 0
	s_and_b64 s[8:9], s[0:1], s[4:5]
	s_and_saveexec_b64 s[4:5], s[8:9]
	s_cbranch_execz .LBB329_200
; %bb.199:
	v_mov_b32_e32 v2, 0
	global_load_ushort v3, v2, s[6:7]
	global_load_ubyte v4, v2, s[6:7] offset:2
	s_mov_b32 s6, 0x10000
	v_and_b32_e32 v2, 0x10000, v1
	v_mov_b32_e32 v5, 1
	v_cmp_gt_u32_e32 vcc, s6, v1
	v_mov_b32_e32 v6, 0x10000
	s_waitcnt vmcnt(1)
	v_cndmask_b32_e32 v3, 0, v3, vcc
	s_waitcnt vmcnt(0)
	v_and_b32_sdwa v4, v4, v5 dst_sel:WORD_1 dst_unused:UNUSED_PAD src0_sel:DWORD src1_sel:DWORD
	v_cmp_eq_u32_e32 vcc, 0, v2
	v_add_u16_e32 v1, v3, v1
	v_cndmask_b32_e32 v2, v6, v4, vcc
	v_or_b32_e32 v1, v2, v1
.LBB329_200:
	s_or_b64 exec, exec, s[4:5]
	s_mov_b32 s4, 0x10000
	v_cmp_gt_u32_e32 vcc, s4, v16
	v_cndmask_b32_e32 v3, 0, v1, vcc
	v_add_u16_e32 v4, v3, v16
	v_cmp_gt_u32_e64 s[6:7], s4, v17
	v_cndmask_b32_e64 v3, 0, v4, s[6:7]
	v_add_u16_e32 v5, v3, v17
	v_cmp_gt_u32_e64 s[8:9], s4, v18
	v_cndmask_b32_e64 v3, 0, v5, s[8:9]
	;; [unrolled: 3-line block ×20, first 2 shown]
	v_add_u16_e32 v48, v3, v13
	v_or3_b32 v3, v15, v31, v30
	v_or3_b32 v3, v3, v29, v28
	;; [unrolled: 1-line block ×8, first 2 shown]
	v_and_b32_e32 v3, 0x10000, v3
	v_lshrrev_b32_e32 v2, 16, v1
	v_cmp_ne_u32_e64 s[4:5], 0, v3
	v_mov_b32_e32 v49, 0x10000
	v_cndmask_b32_e64 v3, v2, 1, s[4:5]
	v_add_lshl_u32 v2, v14, v0, 2
	v_cmp_gt_u32_e64 s[4:5], 64, v0
	ds_write_b16 v2, v48
	ds_write_b8 v2, v3 offset:2
	s_waitcnt lgkmcnt(0)
	s_barrier
	s_and_saveexec_b64 s[48:49], s[4:5]
	s_cbranch_execz .LBB329_214
; %bb.201:
	v_lshlrev_b32_e32 v2, 2, v0
	v_lshrrev_b32_e32 v14, 3, v0
	v_add_lshl_u32 v2, v14, v2, 2
	ds_read_b32 v14, v2
	ds_read_u16 v15, v2 offset:4
	ds_read_u8 v50, v2 offset:6
	ds_read_u16 v51, v2 offset:8
	ds_read_u8 v52, v2 offset:10
	;; [unrolled: 2-line block ×3, first 2 shown]
	v_mov_b32_e32 v55, 0
	s_waitcnt lgkmcnt(4)
	v_cmp_eq_u16_sdwa s[4:5], v50, v55 src0_sel:BYTE_0 src1_sel:DWORD
	v_cndmask_b32_e64 v56, 0, v14, s[4:5]
	v_add_u16_e32 v56, v56, v15
	s_waitcnt lgkmcnt(2)
	v_cmp_eq_u16_sdwa s[4:5], v52, v55 src0_sel:BYTE_0 src1_sel:DWORD
	s_waitcnt lgkmcnt(0)
	v_or_b32_e32 v52, v54, v52
	v_cndmask_b32_e64 v55, 0, v56, s[4:5]
	v_or_b32_e32 v50, v52, v50
	v_add_u16_e32 v51, v55, v51
	v_cmp_eq_u16_e64 s[4:5], 0, v54
	v_and_b32_e32 v50, 1, v50
	v_and_b32_e32 v15, 0x10000, v14
	v_cndmask_b32_e64 v55, 0, v51, s[4:5]
	v_cmp_eq_u32_e64 s[4:5], 1, v50
	v_mbcnt_lo_u32_b32 v50, -1, 0
	v_add_u16_e32 v51, v55, v53
	v_cndmask_b32_e64 v56, v15, v49, s[4:5]
	v_add_u16_e32 v53, v55, v53
	v_and_b32_e32 v49, 0xff000000, v14
	v_mbcnt_hi_u32_b32 v50, -1, v50
	v_or_b32_e32 v54, v56, v49
	v_and_b32_e32 v55, 15, v50
	v_or3_b32 v53, v49, v53, v56
	s_movk_i32 s58, 0xff
	v_lshrrev_b32_e32 v52, 16, v54
	v_mov_b32_dpp v56, v53 row_shr:1 row_mask:0xf bank_mask:0xf
	v_cmp_ne_u32_e64 s[4:5], 0, v55
	s_and_saveexec_b64 s[50:51], s[4:5]
	s_cbranch_execz .LBB329_203
; %bb.202:
	v_and_b32_sdwa v52, v54, s58 dst_sel:DWORD dst_unused:UNUSED_PAD src0_sel:WORD_1 src1_sel:DWORD
	v_cmp_eq_u16_e64 s[4:5], 0, v52
	v_and_b32_e32 v52, 0x10000, v54
	v_mov_b32_e32 v54, 1
	v_cndmask_b32_e64 v53, 0, v56, s[4:5]
	v_and_b32_sdwa v54, v56, v54 dst_sel:DWORD dst_unused:UNUSED_PAD src0_sel:WORD_1 src1_sel:DWORD
	v_cmp_ne_u32_e64 s[4:5], 0, v52
	v_cndmask_b32_e64 v52, v54, 1, s[4:5]
	v_add_u16_e32 v57, v53, v51
	v_lshlrev_b32_e32 v54, 16, v52
	v_add_u16_e32 v51, v53, v51
	v_or3_b32 v53, v54, v51, v49
	v_mov_b32_e32 v51, v57
.LBB329_203:
	s_or_b64 exec, exec, s[50:51]
	v_lshrrev_b32_e32 v54, 16, v53
	v_mov_b32_dpp v56, v53 row_shr:2 row_mask:0xf bank_mask:0xf
	v_cmp_lt_u32_e64 s[4:5], 1, v55
	s_and_saveexec_b64 s[50:51], s[4:5]
	s_cbranch_execz .LBB329_205
; %bb.204:
	v_mov_b32_e32 v52, 0
	v_cmp_eq_u16_sdwa s[4:5], v54, v52 src0_sel:BYTE_0 src1_sel:DWORD
	v_and_b32_e32 v52, 0x10000, v53
	v_mov_b32_e32 v53, 1
	v_cndmask_b32_e64 v54, 0, v56, s[4:5]
	v_and_b32_sdwa v53, v56, v53 dst_sel:DWORD dst_unused:UNUSED_PAD src0_sel:WORD_1 src1_sel:DWORD
	v_cmp_ne_u32_e64 s[4:5], 0, v52
	v_cndmask_b32_e64 v52, v53, 1, s[4:5]
	v_add_u16_e32 v57, v54, v51
	v_lshlrev_b32_e32 v53, 16, v52
	v_add_u16_e32 v51, v54, v51
	v_or3_b32 v53, v53, v51, v49
	v_mov_b32_e32 v54, v52
	v_mov_b32_e32 v51, v57
.LBB329_205:
	s_or_b64 exec, exec, s[50:51]
	v_mov_b32_dpp v56, v53 row_shr:4 row_mask:0xf bank_mask:0xf
	v_cmp_lt_u32_e64 s[4:5], 3, v55
	s_and_saveexec_b64 s[50:51], s[4:5]
	s_cbranch_execz .LBB329_207
; %bb.206:
	v_mov_b32_e32 v52, 0
	v_cmp_eq_u16_sdwa s[4:5], v54, v52 src0_sel:BYTE_0 src1_sel:DWORD
	v_and_b32_e32 v52, 1, v54
	v_mov_b32_e32 v54, 1
	v_cndmask_b32_e64 v53, 0, v56, s[4:5]
	v_and_b32_sdwa v54, v56, v54 dst_sel:DWORD dst_unused:UNUSED_PAD src0_sel:WORD_1 src1_sel:DWORD
	v_cmp_eq_u32_e64 s[4:5], 1, v52
	v_cndmask_b32_e64 v52, v54, 1, s[4:5]
	v_add_u16_e32 v57, v53, v51
	v_lshlrev_b32_e32 v54, 16, v52
	v_add_u16_e32 v51, v53, v51
	v_or3_b32 v53, v54, v51, v49
	v_mov_b32_e32 v54, v52
	v_mov_b32_e32 v51, v57
.LBB329_207:
	s_or_b64 exec, exec, s[50:51]
	v_mov_b32_dpp v56, v53 row_shr:8 row_mask:0xf bank_mask:0xf
	v_cmp_lt_u32_e64 s[4:5], 7, v55
	s_and_saveexec_b64 s[50:51], s[4:5]
	s_cbranch_execz .LBB329_209
; %bb.208:
	v_mov_b32_e32 v52, 0
	v_cmp_eq_u16_sdwa s[4:5], v54, v52 src0_sel:BYTE_0 src1_sel:DWORD
	v_and_b32_e32 v52, 1, v54
	v_mov_b32_e32 v54, 1
	v_cndmask_b32_e64 v53, 0, v56, s[4:5]
	v_and_b32_sdwa v54, v56, v54 dst_sel:DWORD dst_unused:UNUSED_PAD src0_sel:WORD_1 src1_sel:DWORD
	v_cmp_eq_u32_e64 s[4:5], 1, v52
	v_cndmask_b32_e64 v52, v54, 1, s[4:5]
	v_add_u16_e32 v55, v53, v51
	v_lshlrev_b32_e32 v54, 16, v52
	v_add_u16_e32 v51, v53, v51
	v_or3_b32 v53, v54, v51, v49
	v_mov_b32_e32 v54, v52
	v_mov_b32_e32 v51, v55
.LBB329_209:
	s_or_b64 exec, exec, s[50:51]
	v_and_b32_e32 v56, 16, v50
	v_mov_b32_dpp v55, v53 row_bcast:15 row_mask:0xf bank_mask:0xf
	v_cmp_ne_u32_e64 s[4:5], 0, v56
	s_and_saveexec_b64 s[50:51], s[4:5]
	s_cbranch_execz .LBB329_211
; %bb.210:
	v_mov_b32_e32 v52, 0
	v_cmp_eq_u16_sdwa s[4:5], v54, v52 src0_sel:BYTE_0 src1_sel:DWORD
	v_and_b32_e32 v52, 1, v54
	v_mov_b32_e32 v54, 1
	v_cndmask_b32_e64 v53, 0, v55, s[4:5]
	v_and_b32_sdwa v54, v55, v54 dst_sel:DWORD dst_unused:UNUSED_PAD src0_sel:WORD_1 src1_sel:DWORD
	v_cmp_eq_u32_e64 s[4:5], 1, v52
	v_cndmask_b32_e64 v52, v54, 1, s[4:5]
	v_add_u16_e32 v56, v53, v51
	v_lshlrev_b32_e32 v54, 16, v52
	v_add_u16_e32 v51, v53, v51
	v_or3_b32 v53, v54, v51, v49
	v_mov_b32_e32 v54, v52
	v_mov_b32_e32 v51, v56
.LBB329_211:
	s_or_b64 exec, exec, s[50:51]
	v_mov_b32_dpp v53, v53 row_bcast:31 row_mask:0xf bank_mask:0xf
	v_cmp_lt_u32_e64 s[4:5], 31, v50
	s_and_saveexec_b64 s[50:51], s[4:5]
; %bb.212:
	v_mov_b32_e32 v52, 0
	v_cmp_eq_u16_sdwa s[4:5], v54, v52 src0_sel:BYTE_0 src1_sel:DWORD
	v_cndmask_b32_e64 v52, 0, v53, s[4:5]
	v_add_u16_e32 v51, v52, v51
	v_and_b32_e32 v52, 1, v54
	v_mov_b32_e32 v54, 1
	v_and_b32_sdwa v53, v53, v54 dst_sel:DWORD dst_unused:UNUSED_PAD src0_sel:WORD_1 src1_sel:DWORD
	v_cmp_eq_u32_e64 s[4:5], 1, v52
	v_cndmask_b32_e64 v52, v53, 1, s[4:5]
; %bb.213:
	s_or_b64 exec, exec, s[50:51]
	v_and_b32_e32 v52, 0xff, v52
	v_lshlrev_b32_e32 v52, 16, v52
	v_and_b32_e32 v51, 0xffff, v51
	v_or3_b32 v49, v52, v51, v49
	v_add_u32_e32 v51, -1, v50
	v_and_b32_e32 v52, 64, v50
	v_cmp_lt_i32_e64 s[4:5], v51, v52
	v_cndmask_b32_e64 v50, v51, v50, s[4:5]
	v_lshlrev_b32_e32 v50, 2, v50
	ds_bpermute_b32 v49, v50, v49
	v_and_b32_e32 v50, 0xff0000, v14
	v_cmp_eq_u32_e64 s[4:5], 0, v50
	; wave barrier
	s_waitcnt lgkmcnt(0)
	v_cndmask_b32_e64 v50, 0, v49, s[4:5]
	v_add_u16_e32 v14, v50, v14
	v_mov_b32_e32 v50, 1
	v_and_b32_sdwa v49, v49, v50 dst_sel:DWORD dst_unused:UNUSED_PAD src0_sel:WORD_1 src1_sel:DWORD
	v_cmp_eq_u32_e64 s[4:5], 0, v15
	v_cndmask_b32_e64 v15, 1, v49, s[4:5]
	v_cndmask_b32_e64 v14, v14, v48, s[0:1]
	;; [unrolled: 1-line block ×3, first 2 shown]
	ds_write_b16 v2, v14
	ds_write_b8 v2, v3 offset:2
	; wave barrier
	ds_read_u16 v15, v2 offset:4
	ds_read_u8 v49, v2 offset:6
	ds_read_u16 v50, v2 offset:8
	ds_read_u8 v51, v2 offset:10
	ds_read_u16 v52, v2 offset:12
	ds_read_u8 v53, v2 offset:14
	s_waitcnt lgkmcnt(4)
	v_cmp_eq_u16_e64 s[4:5], 0, v49
	v_cndmask_b32_e64 v14, 0, v14, s[4:5]
	v_add_u16_e32 v14, v14, v15
	v_and_b32_e32 v15, 1, v49
	v_cmp_eq_u32_e64 s[4:5], 1, v15
	v_cndmask_b32_e64 v3, v3, 1, s[4:5]
	s_waitcnt lgkmcnt(2)
	v_cmp_eq_u16_e64 s[4:5], 0, v51
	v_and_b32_e32 v15, 1, v51
	ds_write_b16 v2, v14 offset:4
	ds_write_b8 v2, v3 offset:6
	v_cndmask_b32_e64 v14, 0, v14, s[4:5]
	v_cmp_eq_u32_e64 s[4:5], 1, v15
	v_add_u16_e32 v14, v14, v50
	v_cndmask_b32_e64 v3, v3, 1, s[4:5]
	s_waitcnt lgkmcnt(2)
	v_cmp_eq_u16_e64 s[4:5], 0, v53
	ds_write_b16 v2, v14 offset:8
	ds_write_b8 v2, v3 offset:10
	v_cndmask_b32_e64 v14, 0, v14, s[4:5]
	v_and_b32_e32 v15, 1, v53
	v_add_u16_e32 v14, v14, v52
	v_cmp_eq_u32_e64 s[4:5], 1, v15
	v_cndmask_b32_e64 v3, v3, 1, s[4:5]
	ds_write_b16 v2, v14 offset:12
	ds_write_b8 v2, v3 offset:14
.LBB329_214:
	s_or_b64 exec, exec, s[48:49]
	v_mov_b32_e32 v2, v48
	s_waitcnt lgkmcnt(0)
	s_barrier
	s_and_saveexec_b64 s[4:5], s[52:53]
	s_cbranch_execnz .LBB329_289
; %bb.215:
	s_or_b64 exec, exec, s[4:5]
	s_and_saveexec_b64 s[48:49], s[52:53]
	s_cbranch_execnz .LBB329_290
.LBB329_216:
	s_or_b64 exec, exec, s[48:49]
	s_and_saveexec_b64 s[4:5], s[0:1]
	s_cbranch_execz .LBB329_218
.LBB329_217:
	v_mov_b32_e32 v13, 0
	s_waitcnt lgkmcnt(0)
	ds_read_u8 v2, v13 offset:1050
	ds_read_u16 v3, v13 offset:1048
	s_waitcnt lgkmcnt(1)
	v_lshlrev_b32_e32 v2, 16, v2
	s_waitcnt lgkmcnt(0)
	v_or_b32_e32 v2, v2, v3
	v_mov_b32_e32 v3, 2
	global_store_dwordx2 v13, v[2:3], s[72:73] offset:512
.LBB329_218:
	s_or_b64 exec, exec, s[4:5]
	v_mov_b32_e32 v49, v1
.LBB329_219:
	s_add_u32 s0, s62, s54
	s_addc_u32 s1, s63, s55
	s_add_u32 s4, s0, s56
	s_addc_u32 s5, s1, s57
	s_and_b64 vcc, exec, s[2:3]
	v_mul_u32_u24_e32 v14, 22, v0
	s_cbranch_vccz .LBB329_263
; %bb.220:
	s_mov_b32 s0, 0x5040100
	v_lshlrev_b32_e32 v33, 1, v14
	v_perm_b32 v1, v6, v5, s0
	s_waitcnt lgkmcnt(0)
	v_perm_b32 v2, v4, v49, s0
	s_barrier
	ds_write2_b32 v33, v2, v1 offset1:1
	v_perm_b32 v1, v10, v9, s0
	v_perm_b32 v2, v8, v7, s0
	ds_write2_b32 v33, v2, v1 offset0:2 offset1:3
	v_perm_b32 v1, v38, v37, s0
	v_perm_b32 v2, v36, v11, s0
	ds_write2_b32 v33, v2, v1 offset0:4 offset1:5
	v_perm_b32 v1, v42, v41, s0
	v_perm_b32 v2, v40, v39, s0
	ds_write2_b32 v33, v2, v1 offset0:6 offset1:7
	v_perm_b32 v1, v46, v45, s0
	v_perm_b32 v2, v44, v43, s0
	ds_write2_b32 v33, v2, v1 offset0:8 offset1:9
	v_perm_b32 v1, v48, v47, s0
	s_movk_i32 s0, 0xffd6
	v_mad_i32_i24 v2, v0, s0, v33
	ds_write_b32 v33, v1 offset:40
	s_waitcnt lgkmcnt(0)
	s_barrier
	ds_read_u16 v35, v2 offset:512
	ds_read_u16 v34, v2 offset:1024
	;; [unrolled: 1-line block ×21, first 2 shown]
	v_mov_b32_e32 v3, s5
	v_add_co_u32_e32 v2, vcc, s4, v12
	s_add_i32 s33, s33, s74
	v_addc_co_u32_e32 v3, vcc, 0, v3, vcc
	v_mov_b32_e32 v1, 0
	v_cmp_gt_u32_e32 vcc, s33, v0
	s_and_saveexec_b64 s[0:1], vcc
	s_cbranch_execz .LBB329_222
; %bb.221:
	v_mul_i32_i24_e32 v50, 0xffffffd6, v0
	v_add_u32_e32 v33, v33, v50
	ds_read_u16 v33, v33
	s_waitcnt lgkmcnt(0)
	flat_store_short v[2:3], v33
.LBB329_222:
	s_or_b64 exec, exec, s[0:1]
	v_or_b32_e32 v33, 0x100, v0
	v_cmp_gt_u32_e32 vcc, s33, v33
	s_and_saveexec_b64 s[0:1], vcc
	s_cbranch_execz .LBB329_224
; %bb.223:
	s_waitcnt lgkmcnt(0)
	flat_store_short v[2:3], v35 offset:512
.LBB329_224:
	s_or_b64 exec, exec, s[0:1]
	v_or_b32_e32 v33, 0x200, v0
	v_cmp_gt_u32_e32 vcc, s33, v33
	s_and_saveexec_b64 s[0:1], vcc
	s_cbranch_execz .LBB329_226
; %bb.225:
	s_waitcnt lgkmcnt(0)
	flat_store_short v[2:3], v34 offset:1024
.LBB329_226:
	;; [unrolled: 9-line block ×3, first 2 shown]
	s_or_b64 exec, exec, s[0:1]
	s_waitcnt lgkmcnt(0)
	v_or_b32_e32 v32, 0x400, v0
	v_cmp_gt_u32_e32 vcc, s33, v32
	s_and_saveexec_b64 s[0:1], vcc
	s_cbranch_execz .LBB329_230
; %bb.229:
	flat_store_short v[2:3], v31 offset:2048
.LBB329_230:
	s_or_b64 exec, exec, s[0:1]
	v_or_b32_e32 v31, 0x500, v0
	v_cmp_gt_u32_e32 vcc, s33, v31
	s_and_saveexec_b64 s[0:1], vcc
	s_cbranch_execz .LBB329_232
; %bb.231:
	flat_store_short v[2:3], v30 offset:2560
.LBB329_232:
	s_or_b64 exec, exec, s[0:1]
	;; [unrolled: 8-line block ×4, first 2 shown]
	v_or_b32_e32 v28, 0x800, v0
	v_cmp_gt_u32_e32 vcc, s33, v28
	s_and_saveexec_b64 s[0:1], vcc
	s_cbranch_execz .LBB329_238
; %bb.237:
	v_add_co_u32_e32 v28, vcc, 0x1000, v2
	v_addc_co_u32_e32 v29, vcc, 0, v3, vcc
	flat_store_short v[28:29], v27
.LBB329_238:
	s_or_b64 exec, exec, s[0:1]
	v_or_b32_e32 v27, 0x900, v0
	v_cmp_gt_u32_e32 vcc, s33, v27
	s_and_saveexec_b64 s[0:1], vcc
	s_cbranch_execz .LBB329_240
; %bb.239:
	v_add_co_u32_e32 v28, vcc, 0x1000, v2
	v_addc_co_u32_e32 v29, vcc, 0, v3, vcc
	flat_store_short v[28:29], v26 offset:512
.LBB329_240:
	s_or_b64 exec, exec, s[0:1]
	v_or_b32_e32 v26, 0xa00, v0
	v_cmp_gt_u32_e32 vcc, s33, v26
	s_and_saveexec_b64 s[0:1], vcc
	s_cbranch_execz .LBB329_242
; %bb.241:
	v_add_co_u32_e32 v26, vcc, 0x1000, v2
	v_addc_co_u32_e32 v27, vcc, 0, v3, vcc
	flat_store_short v[26:27], v25 offset:1024
.LBB329_242:
	;; [unrolled: 10-line block ×7, first 2 shown]
	s_or_b64 exec, exec, s[0:1]
	v_or_b32_e32 v20, 0x1000, v0
	v_cmp_gt_u32_e32 vcc, s33, v20
	s_and_saveexec_b64 s[0:1], vcc
	s_cbranch_execz .LBB329_254
; %bb.253:
	v_add_co_u32_e32 v20, vcc, 0x2000, v2
	v_addc_co_u32_e32 v21, vcc, 0, v3, vcc
	flat_store_short v[20:21], v19
.LBB329_254:
	s_or_b64 exec, exec, s[0:1]
	v_or_b32_e32 v19, 0x1100, v0
	v_cmp_gt_u32_e32 vcc, s33, v19
	s_and_saveexec_b64 s[0:1], vcc
	s_cbranch_execz .LBB329_256
; %bb.255:
	v_add_co_u32_e32 v20, vcc, 0x2000, v2
	v_addc_co_u32_e32 v21, vcc, 0, v3, vcc
	flat_store_short v[20:21], v18 offset:512
.LBB329_256:
	s_or_b64 exec, exec, s[0:1]
	v_or_b32_e32 v18, 0x1200, v0
	v_cmp_gt_u32_e32 vcc, s33, v18
	s_and_saveexec_b64 s[0:1], vcc
	s_cbranch_execz .LBB329_258
; %bb.257:
	v_add_co_u32_e32 v18, vcc, 0x2000, v2
	v_addc_co_u32_e32 v19, vcc, 0, v3, vcc
	flat_store_short v[18:19], v17 offset:1024
.LBB329_258:
	;; [unrolled: 10-line block ×4, first 2 shown]
	s_or_b64 exec, exec, s[0:1]
	v_or_b32_e32 v2, 0x1500, v0
	v_cmp_gt_u32_e64 s[0:1], s33, v2
	s_branch .LBB329_265
.LBB329_263:
	s_mov_b64 s[0:1], 0
                                        ; implicit-def: $vgpr13
	s_cbranch_execz .LBB329_265
; %bb.264:
	s_mov_b32 s2, 0x5040100
	s_waitcnt lgkmcnt(0)
	v_lshlrev_b32_e32 v2, 1, v14
	v_perm_b32 v1, v6, v5, s2
	v_perm_b32 v3, v4, v49, s2
	s_barrier
	ds_write2_b32 v2, v3, v1 offset1:1
	v_perm_b32 v1, v10, v9, s2
	v_perm_b32 v3, v8, v7, s2
	ds_write2_b32 v2, v3, v1 offset0:2 offset1:3
	v_perm_b32 v1, v38, v37, s2
	v_perm_b32 v3, v36, v11, s2
	ds_write2_b32 v2, v3, v1 offset0:4 offset1:5
	;; [unrolled: 3-line block ×4, first 2 shown]
	v_perm_b32 v1, v48, v47, s2
	s_movk_i32 s2, 0xffd6
	ds_write_b32 v2, v1 offset:40
	v_mad_i32_i24 v2, v0, s2, v2
	s_waitcnt lgkmcnt(0)
	s_barrier
	ds_read_u16 v4, v2
	ds_read_u16 v5, v2 offset:512
	ds_read_u16 v6, v2 offset:1024
	;; [unrolled: 1-line block ×21, first 2 shown]
	v_mov_b32_e32 v3, s5
	v_add_co_u32_e32 v2, vcc, s4, v12
	v_addc_co_u32_e32 v3, vcc, 0, v3, vcc
	s_movk_i32 s2, 0x1000
	s_waitcnt lgkmcnt(0)
	flat_store_short v[2:3], v4
	flat_store_short v[2:3], v5 offset:512
	flat_store_short v[2:3], v6 offset:1024
	;; [unrolled: 1-line block ×7, first 2 shown]
	v_add_co_u32_e32 v4, vcc, s2, v2
	v_addc_co_u32_e32 v5, vcc, 0, v3, vcc
	v_add_co_u32_e32 v2, vcc, 0x2000, v2
	v_mov_b32_e32 v1, 0
	v_addc_co_u32_e32 v3, vcc, 0, v3, vcc
	s_or_b64 s[0:1], s[0:1], exec
	flat_store_short v[4:5], v14
	flat_store_short v[4:5], v15 offset:512
	flat_store_short v[4:5], v16 offset:1024
	;; [unrolled: 1-line block ×7, first 2 shown]
	flat_store_short v[2:3], v22
	flat_store_short v[2:3], v23 offset:512
	flat_store_short v[2:3], v24 offset:1024
	;; [unrolled: 1-line block ×4, first 2 shown]
.LBB329_265:
	s_and_saveexec_b64 s[2:3], s[0:1]
	s_cbranch_execnz .LBB329_267
; %bb.266:
	s_endpgm
.LBB329_267:
	v_lshlrev_b64 v[0:1], 1, v[0:1]
	s_waitcnt lgkmcnt(0)
	v_mov_b32_e32 v2, s5
	v_add_co_u32_e32 v0, vcc, s4, v0
	v_addc_co_u32_e32 v1, vcc, v2, v1, vcc
	v_add_co_u32_e32 v0, vcc, 0x2000, v0
	v_addc_co_u32_e32 v1, vcc, 0, v1, vcc
	flat_store_short v[0:1], v13 offset:2560
	s_endpgm
.LBB329_268:
	v_mov_b32_e32 v27, s79
	v_add_co_u32_e32 v26, vcc, s78, v18
	v_addc_co_u32_e32 v27, vcc, 0, v27, vcc
	flat_load_ushort v26, v[26:27]
	s_or_b64 exec, exec, s[4:5]
                                        ; implicit-def: $vgpr27
	s_and_saveexec_b64 s[4:5], s[8:9]
	s_cbranch_execz .LBB329_57
.LBB329_269:
	v_mov_b32_e32 v27, s79
	v_add_co_u32_e32 v28, vcc, s78, v18
	v_addc_co_u32_e32 v29, vcc, 0, v27, vcc
	flat_load_ushort v27, v[28:29] offset:512
	s_or_b64 exec, exec, s[4:5]
                                        ; implicit-def: $vgpr28
	s_and_saveexec_b64 s[4:5], s[10:11]
	s_cbranch_execz .LBB329_58
.LBB329_270:
	v_mov_b32_e32 v29, s79
	v_add_co_u32_e32 v28, vcc, s78, v18
	v_addc_co_u32_e32 v29, vcc, 0, v29, vcc
	flat_load_ushort v28, v[28:29] offset:1024
	s_or_b64 exec, exec, s[4:5]
                                        ; implicit-def: $vgpr29
	s_and_saveexec_b64 s[4:5], s[12:13]
	s_cbranch_execz .LBB329_59
.LBB329_271:
	v_mov_b32_e32 v29, s79
	v_add_co_u32_e32 v30, vcc, s78, v18
	v_addc_co_u32_e32 v31, vcc, 0, v29, vcc
	flat_load_ushort v29, v[30:31] offset:1536
	s_or_b64 exec, exec, s[4:5]
                                        ; implicit-def: $vgpr30
	s_and_saveexec_b64 s[4:5], s[14:15]
	s_cbranch_execz .LBB329_60
.LBB329_272:
	v_mov_b32_e32 v31, s79
	v_add_co_u32_e32 v30, vcc, s78, v18
	v_addc_co_u32_e32 v31, vcc, 0, v31, vcc
	flat_load_ushort v30, v[30:31] offset:2048
	s_or_b64 exec, exec, s[4:5]
                                        ; implicit-def: $vgpr31
	s_and_saveexec_b64 s[4:5], s[16:17]
	s_cbranch_execz .LBB329_61
.LBB329_273:
	v_mov_b32_e32 v31, s79
	v_add_co_u32_e32 v32, vcc, s78, v18
	v_addc_co_u32_e32 v33, vcc, 0, v31, vcc
	flat_load_ushort v31, v[32:33] offset:2560
	s_or_b64 exec, exec, s[4:5]
                                        ; implicit-def: $vgpr32
	s_and_saveexec_b64 s[4:5], s[18:19]
	s_cbranch_execz .LBB329_62
.LBB329_274:
	v_mov_b32_e32 v33, s79
	v_add_co_u32_e32 v32, vcc, s78, v18
	v_addc_co_u32_e32 v33, vcc, 0, v33, vcc
	flat_load_ushort v32, v[32:33] offset:3072
	s_or_b64 exec, exec, s[4:5]
                                        ; implicit-def: $vgpr33
	s_and_saveexec_b64 s[4:5], s[20:21]
	s_cbranch_execz .LBB329_63
.LBB329_275:
	v_mov_b32_e32 v33, s79
	v_add_co_u32_e32 v34, vcc, s78, v18
	v_addc_co_u32_e32 v35, vcc, 0, v33, vcc
	flat_load_ushort v33, v[34:35] offset:3584
	s_or_b64 exec, exec, s[4:5]
                                        ; implicit-def: $vgpr34
	s_and_saveexec_b64 s[4:5], s[22:23]
	s_cbranch_execz .LBB329_64
.LBB329_276:
	v_lshlrev_b32_e32 v1, 1, v1
	v_mov_b32_e32 v35, s79
	v_add_co_u32_e32 v34, vcc, s78, v1
	v_addc_co_u32_e32 v35, vcc, 0, v35, vcc
	flat_load_ushort v34, v[34:35]
	s_or_b64 exec, exec, s[4:5]
                                        ; implicit-def: $vgpr1
	s_and_saveexec_b64 s[4:5], s[24:25]
	s_cbranch_execz .LBB329_65
.LBB329_277:
	v_lshlrev_b32_e32 v1, 1, v2
	v_mov_b32_e32 v2, s79
	v_add_co_u32_e32 v42, vcc, s78, v1
	v_addc_co_u32_e32 v43, vcc, 0, v2, vcc
	flat_load_ushort v1, v[42:43]
	s_or_b64 exec, exec, s[4:5]
                                        ; implicit-def: $vgpr2
	s_and_saveexec_b64 s[4:5], s[26:27]
	s_cbranch_execz .LBB329_66
.LBB329_278:
	v_lshlrev_b32_e32 v2, 1, v3
	v_mov_b32_e32 v3, s79
	v_add_co_u32_e32 v2, vcc, s78, v2
	v_addc_co_u32_e32 v3, vcc, 0, v3, vcc
	flat_load_ushort v2, v[2:3]
	s_or_b64 exec, exec, s[4:5]
                                        ; implicit-def: $vgpr3
	s_and_saveexec_b64 s[4:5], s[28:29]
	s_cbranch_execz .LBB329_67
.LBB329_279:
	v_lshlrev_b32_e32 v3, 1, v4
	v_mov_b32_e32 v4, s79
	v_add_co_u32_e32 v42, vcc, s78, v3
	v_addc_co_u32_e32 v43, vcc, 0, v4, vcc
	flat_load_ushort v3, v[42:43]
	s_or_b64 exec, exec, s[4:5]
                                        ; implicit-def: $vgpr4
	s_and_saveexec_b64 s[4:5], s[30:31]
	s_cbranch_execz .LBB329_68
.LBB329_280:
	v_lshlrev_b32_e32 v4, 1, v5
	v_mov_b32_e32 v5, s79
	v_add_co_u32_e32 v4, vcc, s78, v4
	v_addc_co_u32_e32 v5, vcc, 0, v5, vcc
	flat_load_ushort v4, v[4:5]
	s_or_b64 exec, exec, s[4:5]
                                        ; implicit-def: $vgpr5
	s_and_saveexec_b64 s[4:5], s[34:35]
	s_cbranch_execz .LBB329_69
.LBB329_281:
	v_lshlrev_b32_e32 v5, 1, v16
	v_mov_b32_e32 v16, s79
	v_add_co_u32_e32 v42, vcc, s78, v5
	v_addc_co_u32_e32 v43, vcc, 0, v16, vcc
	flat_load_ushort v5, v[42:43]
	s_or_b64 exec, exec, s[4:5]
                                        ; implicit-def: $vgpr16
	s_and_saveexec_b64 s[4:5], s[36:37]
	s_cbranch_execz .LBB329_70
.LBB329_282:
	v_lshlrev_b32_e32 v16, 1, v17
	v_mov_b32_e32 v17, s79
	v_add_co_u32_e32 v16, vcc, s78, v16
	v_addc_co_u32_e32 v17, vcc, 0, v17, vcc
	flat_load_ushort v16, v[16:17]
	s_or_b64 exec, exec, s[4:5]
                                        ; implicit-def: $vgpr17
	s_and_saveexec_b64 s[4:5], s[38:39]
	s_cbranch_execz .LBB329_71
.LBB329_283:
	v_lshlrev_b32_e32 v17, 1, v19
	v_mov_b32_e32 v19, s79
	v_add_co_u32_e32 v42, vcc, s78, v17
	v_addc_co_u32_e32 v43, vcc, 0, v19, vcc
	flat_load_ushort v17, v[42:43]
	s_or_b64 exec, exec, s[4:5]
                                        ; implicit-def: $vgpr19
	s_and_saveexec_b64 s[4:5], s[40:41]
	s_cbranch_execz .LBB329_72
.LBB329_284:
	v_lshlrev_b32_e32 v19, 1, v20
	v_mov_b32_e32 v20, s79
	v_add_co_u32_e32 v42, vcc, s78, v19
	v_addc_co_u32_e32 v43, vcc, 0, v20, vcc
	flat_load_ushort v19, v[42:43]
	s_or_b64 exec, exec, s[4:5]
                                        ; implicit-def: $vgpr20
	s_and_saveexec_b64 s[4:5], s[42:43]
	s_cbranch_execz .LBB329_73
.LBB329_285:
	v_lshlrev_b32_e32 v20, 1, v21
	v_mov_b32_e32 v21, s79
	v_add_co_u32_e32 v20, vcc, s78, v20
	v_addc_co_u32_e32 v21, vcc, 0, v21, vcc
	flat_load_ushort v20, v[20:21]
	s_or_b64 exec, exec, s[4:5]
                                        ; implicit-def: $vgpr21
	s_and_saveexec_b64 s[4:5], s[44:45]
	s_cbranch_execz .LBB329_74
.LBB329_286:
	v_lshlrev_b32_e32 v21, 1, v22
	v_mov_b32_e32 v22, s79
	v_add_co_u32_e32 v42, vcc, s78, v21
	v_addc_co_u32_e32 v43, vcc, 0, v22, vcc
	flat_load_ushort v21, v[42:43]
	s_or_b64 exec, exec, s[4:5]
                                        ; implicit-def: $vgpr22
	s_and_saveexec_b64 s[4:5], s[46:47]
	s_cbranch_execz .LBB329_75
.LBB329_287:
	v_lshlrev_b32_e32 v22, 1, v23
	v_mov_b32_e32 v23, s79
	v_add_co_u32_e32 v22, vcc, s78, v22
	v_addc_co_u32_e32 v23, vcc, 0, v23, vcc
	flat_load_ushort v22, v[22:23]
	s_or_b64 exec, exec, s[4:5]
                                        ; implicit-def: $vgpr23
	s_and_saveexec_b64 s[4:5], s[48:49]
	s_cbranch_execz .LBB329_76
.LBB329_288:
	v_lshlrev_b32_e32 v23, 1, v24
	v_mov_b32_e32 v24, s79
	v_add_co_u32_e32 v42, vcc, s78, v23
	v_addc_co_u32_e32 v43, vcc, 0, v24, vcc
	flat_load_ushort v23, v[42:43]
	s_or_b64 exec, exec, s[4:5]
                                        ; implicit-def: $vgpr24
	s_and_saveexec_b64 s[4:5], s[50:51]
	s_cbranch_execnz .LBB329_77
	s_branch .LBB329_78
.LBB329_289:
	v_add_u32_e32 v2, -1, v0
	v_lshrrev_b32_e32 v3, 5, v2
	v_add_lshl_u32 v2, v3, v2, 2
	ds_read_u16 v2, v2
	s_or_b64 exec, exec, s[4:5]
	s_and_saveexec_b64 s[48:49], s[52:53]
	s_cbranch_execz .LBB329_216
.LBB329_290:
	s_mov_b32 s4, 0x10000
	s_waitcnt lgkmcnt(0)
	v_and_b32_e32 v2, 0xffff, v2
	v_cmp_gt_u32_e64 s[4:5], s4, v1
	v_cndmask_b32_e64 v2, 0, v2, s[4:5]
	v_add_u32_e32 v1, v2, v1
	v_cndmask_b32_e32 v2, 0, v1, vcc
	v_add_u16_e32 v4, v2, v16
	v_cndmask_b32_e64 v2, 0, v4, s[6:7]
	v_add_u16_e32 v5, v2, v17
	v_cndmask_b32_e64 v2, 0, v5, s[8:9]
	;; [unrolled: 2-line block ×20, first 2 shown]
	v_add_u16_e32 v48, v2, v13
	;;#ASMSTART
	;;#ASMEND
	s_or_b64 exec, exec, s[48:49]
	s_and_saveexec_b64 s[4:5], s[0:1]
	s_cbranch_execnz .LBB329_217
	s_branch .LBB329_218
.LBB329_291:
                                        ; implicit-def: $sgpr4_sgpr5
	s_branch .LBB329_52
.LBB329_292:
                                        ; implicit-def: $sgpr4_sgpr5
	s_branch .LBB329_125
	.section	.rodata,"a",@progbits
	.p2align	6, 0x0
	.amdhsa_kernel _ZN7rocprim17ROCPRIM_400000_NS6detail17trampoline_kernelINS0_14default_configENS1_27scan_by_key_config_selectorIssEEZZNS1_16scan_by_key_implILNS1_25lookback_scan_determinismE0ELb0ES3_N6thrust23THRUST_200600_302600_NS6detail15normal_iteratorINS9_10device_ptrIsEEEESE_SE_sNS9_4plusIvEENS9_8equal_toIsEEsEE10hipError_tPvRmT2_T3_T4_T5_mT6_T7_P12ihipStream_tbENKUlT_T0_E_clISt17integral_constantIbLb1EESZ_EEDaSU_SV_EUlSU_E_NS1_11comp_targetILNS1_3genE4ELNS1_11target_archE910ELNS1_3gpuE8ELNS1_3repE0EEENS1_30default_config_static_selectorELNS0_4arch9wavefront6targetE1EEEvT1_
		.amdhsa_group_segment_fixed_size 12288
		.amdhsa_private_segment_fixed_size 0
		.amdhsa_kernarg_size 112
		.amdhsa_user_sgpr_count 6
		.amdhsa_user_sgpr_private_segment_buffer 1
		.amdhsa_user_sgpr_dispatch_ptr 0
		.amdhsa_user_sgpr_queue_ptr 0
		.amdhsa_user_sgpr_kernarg_segment_ptr 1
		.amdhsa_user_sgpr_dispatch_id 0
		.amdhsa_user_sgpr_flat_scratch_init 0
		.amdhsa_user_sgpr_kernarg_preload_length 0
		.amdhsa_user_sgpr_kernarg_preload_offset 0
		.amdhsa_user_sgpr_private_segment_size 0
		.amdhsa_uses_dynamic_stack 0
		.amdhsa_system_sgpr_private_segment_wavefront_offset 0
		.amdhsa_system_sgpr_workgroup_id_x 1
		.amdhsa_system_sgpr_workgroup_id_y 0
		.amdhsa_system_sgpr_workgroup_id_z 0
		.amdhsa_system_sgpr_workgroup_info 0
		.amdhsa_system_vgpr_workitem_id 0
		.amdhsa_next_free_vgpr 58
		.amdhsa_next_free_sgpr 82
		.amdhsa_accum_offset 60
		.amdhsa_reserve_vcc 1
		.amdhsa_reserve_flat_scratch 0
		.amdhsa_float_round_mode_32 0
		.amdhsa_float_round_mode_16_64 0
		.amdhsa_float_denorm_mode_32 3
		.amdhsa_float_denorm_mode_16_64 3
		.amdhsa_dx10_clamp 1
		.amdhsa_ieee_mode 1
		.amdhsa_fp16_overflow 0
		.amdhsa_tg_split 0
		.amdhsa_exception_fp_ieee_invalid_op 0
		.amdhsa_exception_fp_denorm_src 0
		.amdhsa_exception_fp_ieee_div_zero 0
		.amdhsa_exception_fp_ieee_overflow 0
		.amdhsa_exception_fp_ieee_underflow 0
		.amdhsa_exception_fp_ieee_inexact 0
		.amdhsa_exception_int_div_zero 0
	.end_amdhsa_kernel
	.section	.text._ZN7rocprim17ROCPRIM_400000_NS6detail17trampoline_kernelINS0_14default_configENS1_27scan_by_key_config_selectorIssEEZZNS1_16scan_by_key_implILNS1_25lookback_scan_determinismE0ELb0ES3_N6thrust23THRUST_200600_302600_NS6detail15normal_iteratorINS9_10device_ptrIsEEEESE_SE_sNS9_4plusIvEENS9_8equal_toIsEEsEE10hipError_tPvRmT2_T3_T4_T5_mT6_T7_P12ihipStream_tbENKUlT_T0_E_clISt17integral_constantIbLb1EESZ_EEDaSU_SV_EUlSU_E_NS1_11comp_targetILNS1_3genE4ELNS1_11target_archE910ELNS1_3gpuE8ELNS1_3repE0EEENS1_30default_config_static_selectorELNS0_4arch9wavefront6targetE1EEEvT1_,"axG",@progbits,_ZN7rocprim17ROCPRIM_400000_NS6detail17trampoline_kernelINS0_14default_configENS1_27scan_by_key_config_selectorIssEEZZNS1_16scan_by_key_implILNS1_25lookback_scan_determinismE0ELb0ES3_N6thrust23THRUST_200600_302600_NS6detail15normal_iteratorINS9_10device_ptrIsEEEESE_SE_sNS9_4plusIvEENS9_8equal_toIsEEsEE10hipError_tPvRmT2_T3_T4_T5_mT6_T7_P12ihipStream_tbENKUlT_T0_E_clISt17integral_constantIbLb1EESZ_EEDaSU_SV_EUlSU_E_NS1_11comp_targetILNS1_3genE4ELNS1_11target_archE910ELNS1_3gpuE8ELNS1_3repE0EEENS1_30default_config_static_selectorELNS0_4arch9wavefront6targetE1EEEvT1_,comdat
.Lfunc_end329:
	.size	_ZN7rocprim17ROCPRIM_400000_NS6detail17trampoline_kernelINS0_14default_configENS1_27scan_by_key_config_selectorIssEEZZNS1_16scan_by_key_implILNS1_25lookback_scan_determinismE0ELb0ES3_N6thrust23THRUST_200600_302600_NS6detail15normal_iteratorINS9_10device_ptrIsEEEESE_SE_sNS9_4plusIvEENS9_8equal_toIsEEsEE10hipError_tPvRmT2_T3_T4_T5_mT6_T7_P12ihipStream_tbENKUlT_T0_E_clISt17integral_constantIbLb1EESZ_EEDaSU_SV_EUlSU_E_NS1_11comp_targetILNS1_3genE4ELNS1_11target_archE910ELNS1_3gpuE8ELNS1_3repE0EEENS1_30default_config_static_selectorELNS0_4arch9wavefront6targetE1EEEvT1_, .Lfunc_end329-_ZN7rocprim17ROCPRIM_400000_NS6detail17trampoline_kernelINS0_14default_configENS1_27scan_by_key_config_selectorIssEEZZNS1_16scan_by_key_implILNS1_25lookback_scan_determinismE0ELb0ES3_N6thrust23THRUST_200600_302600_NS6detail15normal_iteratorINS9_10device_ptrIsEEEESE_SE_sNS9_4plusIvEENS9_8equal_toIsEEsEE10hipError_tPvRmT2_T3_T4_T5_mT6_T7_P12ihipStream_tbENKUlT_T0_E_clISt17integral_constantIbLb1EESZ_EEDaSU_SV_EUlSU_E_NS1_11comp_targetILNS1_3genE4ELNS1_11target_archE910ELNS1_3gpuE8ELNS1_3repE0EEENS1_30default_config_static_selectorELNS0_4arch9wavefront6targetE1EEEvT1_
                                        ; -- End function
	.section	.AMDGPU.csdata,"",@progbits
; Kernel info:
; codeLenInByte = 15748
; NumSgprs: 86
; NumVgprs: 58
; NumAgprs: 0
; TotalNumVgprs: 58
; ScratchSize: 0
; MemoryBound: 0
; FloatMode: 240
; IeeeMode: 1
; LDSByteSize: 12288 bytes/workgroup (compile time only)
; SGPRBlocks: 10
; VGPRBlocks: 7
; NumSGPRsForWavesPerEU: 86
; NumVGPRsForWavesPerEU: 58
; AccumOffset: 60
; Occupancy: 5
; WaveLimiterHint : 1
; COMPUTE_PGM_RSRC2:SCRATCH_EN: 0
; COMPUTE_PGM_RSRC2:USER_SGPR: 6
; COMPUTE_PGM_RSRC2:TRAP_HANDLER: 0
; COMPUTE_PGM_RSRC2:TGID_X_EN: 1
; COMPUTE_PGM_RSRC2:TGID_Y_EN: 0
; COMPUTE_PGM_RSRC2:TGID_Z_EN: 0
; COMPUTE_PGM_RSRC2:TIDIG_COMP_CNT: 0
; COMPUTE_PGM_RSRC3_GFX90A:ACCUM_OFFSET: 14
; COMPUTE_PGM_RSRC3_GFX90A:TG_SPLIT: 0
	.section	.text._ZN7rocprim17ROCPRIM_400000_NS6detail17trampoline_kernelINS0_14default_configENS1_27scan_by_key_config_selectorIssEEZZNS1_16scan_by_key_implILNS1_25lookback_scan_determinismE0ELb0ES3_N6thrust23THRUST_200600_302600_NS6detail15normal_iteratorINS9_10device_ptrIsEEEESE_SE_sNS9_4plusIvEENS9_8equal_toIsEEsEE10hipError_tPvRmT2_T3_T4_T5_mT6_T7_P12ihipStream_tbENKUlT_T0_E_clISt17integral_constantIbLb1EESZ_EEDaSU_SV_EUlSU_E_NS1_11comp_targetILNS1_3genE3ELNS1_11target_archE908ELNS1_3gpuE7ELNS1_3repE0EEENS1_30default_config_static_selectorELNS0_4arch9wavefront6targetE1EEEvT1_,"axG",@progbits,_ZN7rocprim17ROCPRIM_400000_NS6detail17trampoline_kernelINS0_14default_configENS1_27scan_by_key_config_selectorIssEEZZNS1_16scan_by_key_implILNS1_25lookback_scan_determinismE0ELb0ES3_N6thrust23THRUST_200600_302600_NS6detail15normal_iteratorINS9_10device_ptrIsEEEESE_SE_sNS9_4plusIvEENS9_8equal_toIsEEsEE10hipError_tPvRmT2_T3_T4_T5_mT6_T7_P12ihipStream_tbENKUlT_T0_E_clISt17integral_constantIbLb1EESZ_EEDaSU_SV_EUlSU_E_NS1_11comp_targetILNS1_3genE3ELNS1_11target_archE908ELNS1_3gpuE7ELNS1_3repE0EEENS1_30default_config_static_selectorELNS0_4arch9wavefront6targetE1EEEvT1_,comdat
	.protected	_ZN7rocprim17ROCPRIM_400000_NS6detail17trampoline_kernelINS0_14default_configENS1_27scan_by_key_config_selectorIssEEZZNS1_16scan_by_key_implILNS1_25lookback_scan_determinismE0ELb0ES3_N6thrust23THRUST_200600_302600_NS6detail15normal_iteratorINS9_10device_ptrIsEEEESE_SE_sNS9_4plusIvEENS9_8equal_toIsEEsEE10hipError_tPvRmT2_T3_T4_T5_mT6_T7_P12ihipStream_tbENKUlT_T0_E_clISt17integral_constantIbLb1EESZ_EEDaSU_SV_EUlSU_E_NS1_11comp_targetILNS1_3genE3ELNS1_11target_archE908ELNS1_3gpuE7ELNS1_3repE0EEENS1_30default_config_static_selectorELNS0_4arch9wavefront6targetE1EEEvT1_ ; -- Begin function _ZN7rocprim17ROCPRIM_400000_NS6detail17trampoline_kernelINS0_14default_configENS1_27scan_by_key_config_selectorIssEEZZNS1_16scan_by_key_implILNS1_25lookback_scan_determinismE0ELb0ES3_N6thrust23THRUST_200600_302600_NS6detail15normal_iteratorINS9_10device_ptrIsEEEESE_SE_sNS9_4plusIvEENS9_8equal_toIsEEsEE10hipError_tPvRmT2_T3_T4_T5_mT6_T7_P12ihipStream_tbENKUlT_T0_E_clISt17integral_constantIbLb1EESZ_EEDaSU_SV_EUlSU_E_NS1_11comp_targetILNS1_3genE3ELNS1_11target_archE908ELNS1_3gpuE7ELNS1_3repE0EEENS1_30default_config_static_selectorELNS0_4arch9wavefront6targetE1EEEvT1_
	.globl	_ZN7rocprim17ROCPRIM_400000_NS6detail17trampoline_kernelINS0_14default_configENS1_27scan_by_key_config_selectorIssEEZZNS1_16scan_by_key_implILNS1_25lookback_scan_determinismE0ELb0ES3_N6thrust23THRUST_200600_302600_NS6detail15normal_iteratorINS9_10device_ptrIsEEEESE_SE_sNS9_4plusIvEENS9_8equal_toIsEEsEE10hipError_tPvRmT2_T3_T4_T5_mT6_T7_P12ihipStream_tbENKUlT_T0_E_clISt17integral_constantIbLb1EESZ_EEDaSU_SV_EUlSU_E_NS1_11comp_targetILNS1_3genE3ELNS1_11target_archE908ELNS1_3gpuE7ELNS1_3repE0EEENS1_30default_config_static_selectorELNS0_4arch9wavefront6targetE1EEEvT1_
	.p2align	8
	.type	_ZN7rocprim17ROCPRIM_400000_NS6detail17trampoline_kernelINS0_14default_configENS1_27scan_by_key_config_selectorIssEEZZNS1_16scan_by_key_implILNS1_25lookback_scan_determinismE0ELb0ES3_N6thrust23THRUST_200600_302600_NS6detail15normal_iteratorINS9_10device_ptrIsEEEESE_SE_sNS9_4plusIvEENS9_8equal_toIsEEsEE10hipError_tPvRmT2_T3_T4_T5_mT6_T7_P12ihipStream_tbENKUlT_T0_E_clISt17integral_constantIbLb1EESZ_EEDaSU_SV_EUlSU_E_NS1_11comp_targetILNS1_3genE3ELNS1_11target_archE908ELNS1_3gpuE7ELNS1_3repE0EEENS1_30default_config_static_selectorELNS0_4arch9wavefront6targetE1EEEvT1_,@function
_ZN7rocprim17ROCPRIM_400000_NS6detail17trampoline_kernelINS0_14default_configENS1_27scan_by_key_config_selectorIssEEZZNS1_16scan_by_key_implILNS1_25lookback_scan_determinismE0ELb0ES3_N6thrust23THRUST_200600_302600_NS6detail15normal_iteratorINS9_10device_ptrIsEEEESE_SE_sNS9_4plusIvEENS9_8equal_toIsEEsEE10hipError_tPvRmT2_T3_T4_T5_mT6_T7_P12ihipStream_tbENKUlT_T0_E_clISt17integral_constantIbLb1EESZ_EEDaSU_SV_EUlSU_E_NS1_11comp_targetILNS1_3genE3ELNS1_11target_archE908ELNS1_3gpuE7ELNS1_3repE0EEENS1_30default_config_static_selectorELNS0_4arch9wavefront6targetE1EEEvT1_: ; @_ZN7rocprim17ROCPRIM_400000_NS6detail17trampoline_kernelINS0_14default_configENS1_27scan_by_key_config_selectorIssEEZZNS1_16scan_by_key_implILNS1_25lookback_scan_determinismE0ELb0ES3_N6thrust23THRUST_200600_302600_NS6detail15normal_iteratorINS9_10device_ptrIsEEEESE_SE_sNS9_4plusIvEENS9_8equal_toIsEEsEE10hipError_tPvRmT2_T3_T4_T5_mT6_T7_P12ihipStream_tbENKUlT_T0_E_clISt17integral_constantIbLb1EESZ_EEDaSU_SV_EUlSU_E_NS1_11comp_targetILNS1_3genE3ELNS1_11target_archE908ELNS1_3gpuE7ELNS1_3repE0EEENS1_30default_config_static_selectorELNS0_4arch9wavefront6targetE1EEEvT1_
; %bb.0:
	.section	.rodata,"a",@progbits
	.p2align	6, 0x0
	.amdhsa_kernel _ZN7rocprim17ROCPRIM_400000_NS6detail17trampoline_kernelINS0_14default_configENS1_27scan_by_key_config_selectorIssEEZZNS1_16scan_by_key_implILNS1_25lookback_scan_determinismE0ELb0ES3_N6thrust23THRUST_200600_302600_NS6detail15normal_iteratorINS9_10device_ptrIsEEEESE_SE_sNS9_4plusIvEENS9_8equal_toIsEEsEE10hipError_tPvRmT2_T3_T4_T5_mT6_T7_P12ihipStream_tbENKUlT_T0_E_clISt17integral_constantIbLb1EESZ_EEDaSU_SV_EUlSU_E_NS1_11comp_targetILNS1_3genE3ELNS1_11target_archE908ELNS1_3gpuE7ELNS1_3repE0EEENS1_30default_config_static_selectorELNS0_4arch9wavefront6targetE1EEEvT1_
		.amdhsa_group_segment_fixed_size 0
		.amdhsa_private_segment_fixed_size 0
		.amdhsa_kernarg_size 112
		.amdhsa_user_sgpr_count 6
		.amdhsa_user_sgpr_private_segment_buffer 1
		.amdhsa_user_sgpr_dispatch_ptr 0
		.amdhsa_user_sgpr_queue_ptr 0
		.amdhsa_user_sgpr_kernarg_segment_ptr 1
		.amdhsa_user_sgpr_dispatch_id 0
		.amdhsa_user_sgpr_flat_scratch_init 0
		.amdhsa_user_sgpr_kernarg_preload_length 0
		.amdhsa_user_sgpr_kernarg_preload_offset 0
		.amdhsa_user_sgpr_private_segment_size 0
		.amdhsa_uses_dynamic_stack 0
		.amdhsa_system_sgpr_private_segment_wavefront_offset 0
		.amdhsa_system_sgpr_workgroup_id_x 1
		.amdhsa_system_sgpr_workgroup_id_y 0
		.amdhsa_system_sgpr_workgroup_id_z 0
		.amdhsa_system_sgpr_workgroup_info 0
		.amdhsa_system_vgpr_workitem_id 0
		.amdhsa_next_free_vgpr 1
		.amdhsa_next_free_sgpr 0
		.amdhsa_accum_offset 4
		.amdhsa_reserve_vcc 0
		.amdhsa_reserve_flat_scratch 0
		.amdhsa_float_round_mode_32 0
		.amdhsa_float_round_mode_16_64 0
		.amdhsa_float_denorm_mode_32 3
		.amdhsa_float_denorm_mode_16_64 3
		.amdhsa_dx10_clamp 1
		.amdhsa_ieee_mode 1
		.amdhsa_fp16_overflow 0
		.amdhsa_tg_split 0
		.amdhsa_exception_fp_ieee_invalid_op 0
		.amdhsa_exception_fp_denorm_src 0
		.amdhsa_exception_fp_ieee_div_zero 0
		.amdhsa_exception_fp_ieee_overflow 0
		.amdhsa_exception_fp_ieee_underflow 0
		.amdhsa_exception_fp_ieee_inexact 0
		.amdhsa_exception_int_div_zero 0
	.end_amdhsa_kernel
	.section	.text._ZN7rocprim17ROCPRIM_400000_NS6detail17trampoline_kernelINS0_14default_configENS1_27scan_by_key_config_selectorIssEEZZNS1_16scan_by_key_implILNS1_25lookback_scan_determinismE0ELb0ES3_N6thrust23THRUST_200600_302600_NS6detail15normal_iteratorINS9_10device_ptrIsEEEESE_SE_sNS9_4plusIvEENS9_8equal_toIsEEsEE10hipError_tPvRmT2_T3_T4_T5_mT6_T7_P12ihipStream_tbENKUlT_T0_E_clISt17integral_constantIbLb1EESZ_EEDaSU_SV_EUlSU_E_NS1_11comp_targetILNS1_3genE3ELNS1_11target_archE908ELNS1_3gpuE7ELNS1_3repE0EEENS1_30default_config_static_selectorELNS0_4arch9wavefront6targetE1EEEvT1_,"axG",@progbits,_ZN7rocprim17ROCPRIM_400000_NS6detail17trampoline_kernelINS0_14default_configENS1_27scan_by_key_config_selectorIssEEZZNS1_16scan_by_key_implILNS1_25lookback_scan_determinismE0ELb0ES3_N6thrust23THRUST_200600_302600_NS6detail15normal_iteratorINS9_10device_ptrIsEEEESE_SE_sNS9_4plusIvEENS9_8equal_toIsEEsEE10hipError_tPvRmT2_T3_T4_T5_mT6_T7_P12ihipStream_tbENKUlT_T0_E_clISt17integral_constantIbLb1EESZ_EEDaSU_SV_EUlSU_E_NS1_11comp_targetILNS1_3genE3ELNS1_11target_archE908ELNS1_3gpuE7ELNS1_3repE0EEENS1_30default_config_static_selectorELNS0_4arch9wavefront6targetE1EEEvT1_,comdat
.Lfunc_end330:
	.size	_ZN7rocprim17ROCPRIM_400000_NS6detail17trampoline_kernelINS0_14default_configENS1_27scan_by_key_config_selectorIssEEZZNS1_16scan_by_key_implILNS1_25lookback_scan_determinismE0ELb0ES3_N6thrust23THRUST_200600_302600_NS6detail15normal_iteratorINS9_10device_ptrIsEEEESE_SE_sNS9_4plusIvEENS9_8equal_toIsEEsEE10hipError_tPvRmT2_T3_T4_T5_mT6_T7_P12ihipStream_tbENKUlT_T0_E_clISt17integral_constantIbLb1EESZ_EEDaSU_SV_EUlSU_E_NS1_11comp_targetILNS1_3genE3ELNS1_11target_archE908ELNS1_3gpuE7ELNS1_3repE0EEENS1_30default_config_static_selectorELNS0_4arch9wavefront6targetE1EEEvT1_, .Lfunc_end330-_ZN7rocprim17ROCPRIM_400000_NS6detail17trampoline_kernelINS0_14default_configENS1_27scan_by_key_config_selectorIssEEZZNS1_16scan_by_key_implILNS1_25lookback_scan_determinismE0ELb0ES3_N6thrust23THRUST_200600_302600_NS6detail15normal_iteratorINS9_10device_ptrIsEEEESE_SE_sNS9_4plusIvEENS9_8equal_toIsEEsEE10hipError_tPvRmT2_T3_T4_T5_mT6_T7_P12ihipStream_tbENKUlT_T0_E_clISt17integral_constantIbLb1EESZ_EEDaSU_SV_EUlSU_E_NS1_11comp_targetILNS1_3genE3ELNS1_11target_archE908ELNS1_3gpuE7ELNS1_3repE0EEENS1_30default_config_static_selectorELNS0_4arch9wavefront6targetE1EEEvT1_
                                        ; -- End function
	.section	.AMDGPU.csdata,"",@progbits
; Kernel info:
; codeLenInByte = 0
; NumSgprs: 4
; NumVgprs: 0
; NumAgprs: 0
; TotalNumVgprs: 0
; ScratchSize: 0
; MemoryBound: 0
; FloatMode: 240
; IeeeMode: 1
; LDSByteSize: 0 bytes/workgroup (compile time only)
; SGPRBlocks: 0
; VGPRBlocks: 0
; NumSGPRsForWavesPerEU: 4
; NumVGPRsForWavesPerEU: 1
; AccumOffset: 4
; Occupancy: 8
; WaveLimiterHint : 0
; COMPUTE_PGM_RSRC2:SCRATCH_EN: 0
; COMPUTE_PGM_RSRC2:USER_SGPR: 6
; COMPUTE_PGM_RSRC2:TRAP_HANDLER: 0
; COMPUTE_PGM_RSRC2:TGID_X_EN: 1
; COMPUTE_PGM_RSRC2:TGID_Y_EN: 0
; COMPUTE_PGM_RSRC2:TGID_Z_EN: 0
; COMPUTE_PGM_RSRC2:TIDIG_COMP_CNT: 0
; COMPUTE_PGM_RSRC3_GFX90A:ACCUM_OFFSET: 0
; COMPUTE_PGM_RSRC3_GFX90A:TG_SPLIT: 0
	.section	.text._ZN7rocprim17ROCPRIM_400000_NS6detail17trampoline_kernelINS0_14default_configENS1_27scan_by_key_config_selectorIssEEZZNS1_16scan_by_key_implILNS1_25lookback_scan_determinismE0ELb0ES3_N6thrust23THRUST_200600_302600_NS6detail15normal_iteratorINS9_10device_ptrIsEEEESE_SE_sNS9_4plusIvEENS9_8equal_toIsEEsEE10hipError_tPvRmT2_T3_T4_T5_mT6_T7_P12ihipStream_tbENKUlT_T0_E_clISt17integral_constantIbLb1EESZ_EEDaSU_SV_EUlSU_E_NS1_11comp_targetILNS1_3genE2ELNS1_11target_archE906ELNS1_3gpuE6ELNS1_3repE0EEENS1_30default_config_static_selectorELNS0_4arch9wavefront6targetE1EEEvT1_,"axG",@progbits,_ZN7rocprim17ROCPRIM_400000_NS6detail17trampoline_kernelINS0_14default_configENS1_27scan_by_key_config_selectorIssEEZZNS1_16scan_by_key_implILNS1_25lookback_scan_determinismE0ELb0ES3_N6thrust23THRUST_200600_302600_NS6detail15normal_iteratorINS9_10device_ptrIsEEEESE_SE_sNS9_4plusIvEENS9_8equal_toIsEEsEE10hipError_tPvRmT2_T3_T4_T5_mT6_T7_P12ihipStream_tbENKUlT_T0_E_clISt17integral_constantIbLb1EESZ_EEDaSU_SV_EUlSU_E_NS1_11comp_targetILNS1_3genE2ELNS1_11target_archE906ELNS1_3gpuE6ELNS1_3repE0EEENS1_30default_config_static_selectorELNS0_4arch9wavefront6targetE1EEEvT1_,comdat
	.protected	_ZN7rocprim17ROCPRIM_400000_NS6detail17trampoline_kernelINS0_14default_configENS1_27scan_by_key_config_selectorIssEEZZNS1_16scan_by_key_implILNS1_25lookback_scan_determinismE0ELb0ES3_N6thrust23THRUST_200600_302600_NS6detail15normal_iteratorINS9_10device_ptrIsEEEESE_SE_sNS9_4plusIvEENS9_8equal_toIsEEsEE10hipError_tPvRmT2_T3_T4_T5_mT6_T7_P12ihipStream_tbENKUlT_T0_E_clISt17integral_constantIbLb1EESZ_EEDaSU_SV_EUlSU_E_NS1_11comp_targetILNS1_3genE2ELNS1_11target_archE906ELNS1_3gpuE6ELNS1_3repE0EEENS1_30default_config_static_selectorELNS0_4arch9wavefront6targetE1EEEvT1_ ; -- Begin function _ZN7rocprim17ROCPRIM_400000_NS6detail17trampoline_kernelINS0_14default_configENS1_27scan_by_key_config_selectorIssEEZZNS1_16scan_by_key_implILNS1_25lookback_scan_determinismE0ELb0ES3_N6thrust23THRUST_200600_302600_NS6detail15normal_iteratorINS9_10device_ptrIsEEEESE_SE_sNS9_4plusIvEENS9_8equal_toIsEEsEE10hipError_tPvRmT2_T3_T4_T5_mT6_T7_P12ihipStream_tbENKUlT_T0_E_clISt17integral_constantIbLb1EESZ_EEDaSU_SV_EUlSU_E_NS1_11comp_targetILNS1_3genE2ELNS1_11target_archE906ELNS1_3gpuE6ELNS1_3repE0EEENS1_30default_config_static_selectorELNS0_4arch9wavefront6targetE1EEEvT1_
	.globl	_ZN7rocprim17ROCPRIM_400000_NS6detail17trampoline_kernelINS0_14default_configENS1_27scan_by_key_config_selectorIssEEZZNS1_16scan_by_key_implILNS1_25lookback_scan_determinismE0ELb0ES3_N6thrust23THRUST_200600_302600_NS6detail15normal_iteratorINS9_10device_ptrIsEEEESE_SE_sNS9_4plusIvEENS9_8equal_toIsEEsEE10hipError_tPvRmT2_T3_T4_T5_mT6_T7_P12ihipStream_tbENKUlT_T0_E_clISt17integral_constantIbLb1EESZ_EEDaSU_SV_EUlSU_E_NS1_11comp_targetILNS1_3genE2ELNS1_11target_archE906ELNS1_3gpuE6ELNS1_3repE0EEENS1_30default_config_static_selectorELNS0_4arch9wavefront6targetE1EEEvT1_
	.p2align	8
	.type	_ZN7rocprim17ROCPRIM_400000_NS6detail17trampoline_kernelINS0_14default_configENS1_27scan_by_key_config_selectorIssEEZZNS1_16scan_by_key_implILNS1_25lookback_scan_determinismE0ELb0ES3_N6thrust23THRUST_200600_302600_NS6detail15normal_iteratorINS9_10device_ptrIsEEEESE_SE_sNS9_4plusIvEENS9_8equal_toIsEEsEE10hipError_tPvRmT2_T3_T4_T5_mT6_T7_P12ihipStream_tbENKUlT_T0_E_clISt17integral_constantIbLb1EESZ_EEDaSU_SV_EUlSU_E_NS1_11comp_targetILNS1_3genE2ELNS1_11target_archE906ELNS1_3gpuE6ELNS1_3repE0EEENS1_30default_config_static_selectorELNS0_4arch9wavefront6targetE1EEEvT1_,@function
_ZN7rocprim17ROCPRIM_400000_NS6detail17trampoline_kernelINS0_14default_configENS1_27scan_by_key_config_selectorIssEEZZNS1_16scan_by_key_implILNS1_25lookback_scan_determinismE0ELb0ES3_N6thrust23THRUST_200600_302600_NS6detail15normal_iteratorINS9_10device_ptrIsEEEESE_SE_sNS9_4plusIvEENS9_8equal_toIsEEsEE10hipError_tPvRmT2_T3_T4_T5_mT6_T7_P12ihipStream_tbENKUlT_T0_E_clISt17integral_constantIbLb1EESZ_EEDaSU_SV_EUlSU_E_NS1_11comp_targetILNS1_3genE2ELNS1_11target_archE906ELNS1_3gpuE6ELNS1_3repE0EEENS1_30default_config_static_selectorELNS0_4arch9wavefront6targetE1EEEvT1_: ; @_ZN7rocprim17ROCPRIM_400000_NS6detail17trampoline_kernelINS0_14default_configENS1_27scan_by_key_config_selectorIssEEZZNS1_16scan_by_key_implILNS1_25lookback_scan_determinismE0ELb0ES3_N6thrust23THRUST_200600_302600_NS6detail15normal_iteratorINS9_10device_ptrIsEEEESE_SE_sNS9_4plusIvEENS9_8equal_toIsEEsEE10hipError_tPvRmT2_T3_T4_T5_mT6_T7_P12ihipStream_tbENKUlT_T0_E_clISt17integral_constantIbLb1EESZ_EEDaSU_SV_EUlSU_E_NS1_11comp_targetILNS1_3genE2ELNS1_11target_archE906ELNS1_3gpuE6ELNS1_3repE0EEENS1_30default_config_static_selectorELNS0_4arch9wavefront6targetE1EEEvT1_
; %bb.0:
	.section	.rodata,"a",@progbits
	.p2align	6, 0x0
	.amdhsa_kernel _ZN7rocprim17ROCPRIM_400000_NS6detail17trampoline_kernelINS0_14default_configENS1_27scan_by_key_config_selectorIssEEZZNS1_16scan_by_key_implILNS1_25lookback_scan_determinismE0ELb0ES3_N6thrust23THRUST_200600_302600_NS6detail15normal_iteratorINS9_10device_ptrIsEEEESE_SE_sNS9_4plusIvEENS9_8equal_toIsEEsEE10hipError_tPvRmT2_T3_T4_T5_mT6_T7_P12ihipStream_tbENKUlT_T0_E_clISt17integral_constantIbLb1EESZ_EEDaSU_SV_EUlSU_E_NS1_11comp_targetILNS1_3genE2ELNS1_11target_archE906ELNS1_3gpuE6ELNS1_3repE0EEENS1_30default_config_static_selectorELNS0_4arch9wavefront6targetE1EEEvT1_
		.amdhsa_group_segment_fixed_size 0
		.amdhsa_private_segment_fixed_size 0
		.amdhsa_kernarg_size 112
		.amdhsa_user_sgpr_count 6
		.amdhsa_user_sgpr_private_segment_buffer 1
		.amdhsa_user_sgpr_dispatch_ptr 0
		.amdhsa_user_sgpr_queue_ptr 0
		.amdhsa_user_sgpr_kernarg_segment_ptr 1
		.amdhsa_user_sgpr_dispatch_id 0
		.amdhsa_user_sgpr_flat_scratch_init 0
		.amdhsa_user_sgpr_kernarg_preload_length 0
		.amdhsa_user_sgpr_kernarg_preload_offset 0
		.amdhsa_user_sgpr_private_segment_size 0
		.amdhsa_uses_dynamic_stack 0
		.amdhsa_system_sgpr_private_segment_wavefront_offset 0
		.amdhsa_system_sgpr_workgroup_id_x 1
		.amdhsa_system_sgpr_workgroup_id_y 0
		.amdhsa_system_sgpr_workgroup_id_z 0
		.amdhsa_system_sgpr_workgroup_info 0
		.amdhsa_system_vgpr_workitem_id 0
		.amdhsa_next_free_vgpr 1
		.amdhsa_next_free_sgpr 0
		.amdhsa_accum_offset 4
		.amdhsa_reserve_vcc 0
		.amdhsa_reserve_flat_scratch 0
		.amdhsa_float_round_mode_32 0
		.amdhsa_float_round_mode_16_64 0
		.amdhsa_float_denorm_mode_32 3
		.amdhsa_float_denorm_mode_16_64 3
		.amdhsa_dx10_clamp 1
		.amdhsa_ieee_mode 1
		.amdhsa_fp16_overflow 0
		.amdhsa_tg_split 0
		.amdhsa_exception_fp_ieee_invalid_op 0
		.amdhsa_exception_fp_denorm_src 0
		.amdhsa_exception_fp_ieee_div_zero 0
		.amdhsa_exception_fp_ieee_overflow 0
		.amdhsa_exception_fp_ieee_underflow 0
		.amdhsa_exception_fp_ieee_inexact 0
		.amdhsa_exception_int_div_zero 0
	.end_amdhsa_kernel
	.section	.text._ZN7rocprim17ROCPRIM_400000_NS6detail17trampoline_kernelINS0_14default_configENS1_27scan_by_key_config_selectorIssEEZZNS1_16scan_by_key_implILNS1_25lookback_scan_determinismE0ELb0ES3_N6thrust23THRUST_200600_302600_NS6detail15normal_iteratorINS9_10device_ptrIsEEEESE_SE_sNS9_4plusIvEENS9_8equal_toIsEEsEE10hipError_tPvRmT2_T3_T4_T5_mT6_T7_P12ihipStream_tbENKUlT_T0_E_clISt17integral_constantIbLb1EESZ_EEDaSU_SV_EUlSU_E_NS1_11comp_targetILNS1_3genE2ELNS1_11target_archE906ELNS1_3gpuE6ELNS1_3repE0EEENS1_30default_config_static_selectorELNS0_4arch9wavefront6targetE1EEEvT1_,"axG",@progbits,_ZN7rocprim17ROCPRIM_400000_NS6detail17trampoline_kernelINS0_14default_configENS1_27scan_by_key_config_selectorIssEEZZNS1_16scan_by_key_implILNS1_25lookback_scan_determinismE0ELb0ES3_N6thrust23THRUST_200600_302600_NS6detail15normal_iteratorINS9_10device_ptrIsEEEESE_SE_sNS9_4plusIvEENS9_8equal_toIsEEsEE10hipError_tPvRmT2_T3_T4_T5_mT6_T7_P12ihipStream_tbENKUlT_T0_E_clISt17integral_constantIbLb1EESZ_EEDaSU_SV_EUlSU_E_NS1_11comp_targetILNS1_3genE2ELNS1_11target_archE906ELNS1_3gpuE6ELNS1_3repE0EEENS1_30default_config_static_selectorELNS0_4arch9wavefront6targetE1EEEvT1_,comdat
.Lfunc_end331:
	.size	_ZN7rocprim17ROCPRIM_400000_NS6detail17trampoline_kernelINS0_14default_configENS1_27scan_by_key_config_selectorIssEEZZNS1_16scan_by_key_implILNS1_25lookback_scan_determinismE0ELb0ES3_N6thrust23THRUST_200600_302600_NS6detail15normal_iteratorINS9_10device_ptrIsEEEESE_SE_sNS9_4plusIvEENS9_8equal_toIsEEsEE10hipError_tPvRmT2_T3_T4_T5_mT6_T7_P12ihipStream_tbENKUlT_T0_E_clISt17integral_constantIbLb1EESZ_EEDaSU_SV_EUlSU_E_NS1_11comp_targetILNS1_3genE2ELNS1_11target_archE906ELNS1_3gpuE6ELNS1_3repE0EEENS1_30default_config_static_selectorELNS0_4arch9wavefront6targetE1EEEvT1_, .Lfunc_end331-_ZN7rocprim17ROCPRIM_400000_NS6detail17trampoline_kernelINS0_14default_configENS1_27scan_by_key_config_selectorIssEEZZNS1_16scan_by_key_implILNS1_25lookback_scan_determinismE0ELb0ES3_N6thrust23THRUST_200600_302600_NS6detail15normal_iteratorINS9_10device_ptrIsEEEESE_SE_sNS9_4plusIvEENS9_8equal_toIsEEsEE10hipError_tPvRmT2_T3_T4_T5_mT6_T7_P12ihipStream_tbENKUlT_T0_E_clISt17integral_constantIbLb1EESZ_EEDaSU_SV_EUlSU_E_NS1_11comp_targetILNS1_3genE2ELNS1_11target_archE906ELNS1_3gpuE6ELNS1_3repE0EEENS1_30default_config_static_selectorELNS0_4arch9wavefront6targetE1EEEvT1_
                                        ; -- End function
	.section	.AMDGPU.csdata,"",@progbits
; Kernel info:
; codeLenInByte = 0
; NumSgprs: 4
; NumVgprs: 0
; NumAgprs: 0
; TotalNumVgprs: 0
; ScratchSize: 0
; MemoryBound: 0
; FloatMode: 240
; IeeeMode: 1
; LDSByteSize: 0 bytes/workgroup (compile time only)
; SGPRBlocks: 0
; VGPRBlocks: 0
; NumSGPRsForWavesPerEU: 4
; NumVGPRsForWavesPerEU: 1
; AccumOffset: 4
; Occupancy: 8
; WaveLimiterHint : 0
; COMPUTE_PGM_RSRC2:SCRATCH_EN: 0
; COMPUTE_PGM_RSRC2:USER_SGPR: 6
; COMPUTE_PGM_RSRC2:TRAP_HANDLER: 0
; COMPUTE_PGM_RSRC2:TGID_X_EN: 1
; COMPUTE_PGM_RSRC2:TGID_Y_EN: 0
; COMPUTE_PGM_RSRC2:TGID_Z_EN: 0
; COMPUTE_PGM_RSRC2:TIDIG_COMP_CNT: 0
; COMPUTE_PGM_RSRC3_GFX90A:ACCUM_OFFSET: 0
; COMPUTE_PGM_RSRC3_GFX90A:TG_SPLIT: 0
	.section	.text._ZN7rocprim17ROCPRIM_400000_NS6detail17trampoline_kernelINS0_14default_configENS1_27scan_by_key_config_selectorIssEEZZNS1_16scan_by_key_implILNS1_25lookback_scan_determinismE0ELb0ES3_N6thrust23THRUST_200600_302600_NS6detail15normal_iteratorINS9_10device_ptrIsEEEESE_SE_sNS9_4plusIvEENS9_8equal_toIsEEsEE10hipError_tPvRmT2_T3_T4_T5_mT6_T7_P12ihipStream_tbENKUlT_T0_E_clISt17integral_constantIbLb1EESZ_EEDaSU_SV_EUlSU_E_NS1_11comp_targetILNS1_3genE10ELNS1_11target_archE1200ELNS1_3gpuE4ELNS1_3repE0EEENS1_30default_config_static_selectorELNS0_4arch9wavefront6targetE1EEEvT1_,"axG",@progbits,_ZN7rocprim17ROCPRIM_400000_NS6detail17trampoline_kernelINS0_14default_configENS1_27scan_by_key_config_selectorIssEEZZNS1_16scan_by_key_implILNS1_25lookback_scan_determinismE0ELb0ES3_N6thrust23THRUST_200600_302600_NS6detail15normal_iteratorINS9_10device_ptrIsEEEESE_SE_sNS9_4plusIvEENS9_8equal_toIsEEsEE10hipError_tPvRmT2_T3_T4_T5_mT6_T7_P12ihipStream_tbENKUlT_T0_E_clISt17integral_constantIbLb1EESZ_EEDaSU_SV_EUlSU_E_NS1_11comp_targetILNS1_3genE10ELNS1_11target_archE1200ELNS1_3gpuE4ELNS1_3repE0EEENS1_30default_config_static_selectorELNS0_4arch9wavefront6targetE1EEEvT1_,comdat
	.protected	_ZN7rocprim17ROCPRIM_400000_NS6detail17trampoline_kernelINS0_14default_configENS1_27scan_by_key_config_selectorIssEEZZNS1_16scan_by_key_implILNS1_25lookback_scan_determinismE0ELb0ES3_N6thrust23THRUST_200600_302600_NS6detail15normal_iteratorINS9_10device_ptrIsEEEESE_SE_sNS9_4plusIvEENS9_8equal_toIsEEsEE10hipError_tPvRmT2_T3_T4_T5_mT6_T7_P12ihipStream_tbENKUlT_T0_E_clISt17integral_constantIbLb1EESZ_EEDaSU_SV_EUlSU_E_NS1_11comp_targetILNS1_3genE10ELNS1_11target_archE1200ELNS1_3gpuE4ELNS1_3repE0EEENS1_30default_config_static_selectorELNS0_4arch9wavefront6targetE1EEEvT1_ ; -- Begin function _ZN7rocprim17ROCPRIM_400000_NS6detail17trampoline_kernelINS0_14default_configENS1_27scan_by_key_config_selectorIssEEZZNS1_16scan_by_key_implILNS1_25lookback_scan_determinismE0ELb0ES3_N6thrust23THRUST_200600_302600_NS6detail15normal_iteratorINS9_10device_ptrIsEEEESE_SE_sNS9_4plusIvEENS9_8equal_toIsEEsEE10hipError_tPvRmT2_T3_T4_T5_mT6_T7_P12ihipStream_tbENKUlT_T0_E_clISt17integral_constantIbLb1EESZ_EEDaSU_SV_EUlSU_E_NS1_11comp_targetILNS1_3genE10ELNS1_11target_archE1200ELNS1_3gpuE4ELNS1_3repE0EEENS1_30default_config_static_selectorELNS0_4arch9wavefront6targetE1EEEvT1_
	.globl	_ZN7rocprim17ROCPRIM_400000_NS6detail17trampoline_kernelINS0_14default_configENS1_27scan_by_key_config_selectorIssEEZZNS1_16scan_by_key_implILNS1_25lookback_scan_determinismE0ELb0ES3_N6thrust23THRUST_200600_302600_NS6detail15normal_iteratorINS9_10device_ptrIsEEEESE_SE_sNS9_4plusIvEENS9_8equal_toIsEEsEE10hipError_tPvRmT2_T3_T4_T5_mT6_T7_P12ihipStream_tbENKUlT_T0_E_clISt17integral_constantIbLb1EESZ_EEDaSU_SV_EUlSU_E_NS1_11comp_targetILNS1_3genE10ELNS1_11target_archE1200ELNS1_3gpuE4ELNS1_3repE0EEENS1_30default_config_static_selectorELNS0_4arch9wavefront6targetE1EEEvT1_
	.p2align	8
	.type	_ZN7rocprim17ROCPRIM_400000_NS6detail17trampoline_kernelINS0_14default_configENS1_27scan_by_key_config_selectorIssEEZZNS1_16scan_by_key_implILNS1_25lookback_scan_determinismE0ELb0ES3_N6thrust23THRUST_200600_302600_NS6detail15normal_iteratorINS9_10device_ptrIsEEEESE_SE_sNS9_4plusIvEENS9_8equal_toIsEEsEE10hipError_tPvRmT2_T3_T4_T5_mT6_T7_P12ihipStream_tbENKUlT_T0_E_clISt17integral_constantIbLb1EESZ_EEDaSU_SV_EUlSU_E_NS1_11comp_targetILNS1_3genE10ELNS1_11target_archE1200ELNS1_3gpuE4ELNS1_3repE0EEENS1_30default_config_static_selectorELNS0_4arch9wavefront6targetE1EEEvT1_,@function
_ZN7rocprim17ROCPRIM_400000_NS6detail17trampoline_kernelINS0_14default_configENS1_27scan_by_key_config_selectorIssEEZZNS1_16scan_by_key_implILNS1_25lookback_scan_determinismE0ELb0ES3_N6thrust23THRUST_200600_302600_NS6detail15normal_iteratorINS9_10device_ptrIsEEEESE_SE_sNS9_4plusIvEENS9_8equal_toIsEEsEE10hipError_tPvRmT2_T3_T4_T5_mT6_T7_P12ihipStream_tbENKUlT_T0_E_clISt17integral_constantIbLb1EESZ_EEDaSU_SV_EUlSU_E_NS1_11comp_targetILNS1_3genE10ELNS1_11target_archE1200ELNS1_3gpuE4ELNS1_3repE0EEENS1_30default_config_static_selectorELNS0_4arch9wavefront6targetE1EEEvT1_: ; @_ZN7rocprim17ROCPRIM_400000_NS6detail17trampoline_kernelINS0_14default_configENS1_27scan_by_key_config_selectorIssEEZZNS1_16scan_by_key_implILNS1_25lookback_scan_determinismE0ELb0ES3_N6thrust23THRUST_200600_302600_NS6detail15normal_iteratorINS9_10device_ptrIsEEEESE_SE_sNS9_4plusIvEENS9_8equal_toIsEEsEE10hipError_tPvRmT2_T3_T4_T5_mT6_T7_P12ihipStream_tbENKUlT_T0_E_clISt17integral_constantIbLb1EESZ_EEDaSU_SV_EUlSU_E_NS1_11comp_targetILNS1_3genE10ELNS1_11target_archE1200ELNS1_3gpuE4ELNS1_3repE0EEENS1_30default_config_static_selectorELNS0_4arch9wavefront6targetE1EEEvT1_
; %bb.0:
	.section	.rodata,"a",@progbits
	.p2align	6, 0x0
	.amdhsa_kernel _ZN7rocprim17ROCPRIM_400000_NS6detail17trampoline_kernelINS0_14default_configENS1_27scan_by_key_config_selectorIssEEZZNS1_16scan_by_key_implILNS1_25lookback_scan_determinismE0ELb0ES3_N6thrust23THRUST_200600_302600_NS6detail15normal_iteratorINS9_10device_ptrIsEEEESE_SE_sNS9_4plusIvEENS9_8equal_toIsEEsEE10hipError_tPvRmT2_T3_T4_T5_mT6_T7_P12ihipStream_tbENKUlT_T0_E_clISt17integral_constantIbLb1EESZ_EEDaSU_SV_EUlSU_E_NS1_11comp_targetILNS1_3genE10ELNS1_11target_archE1200ELNS1_3gpuE4ELNS1_3repE0EEENS1_30default_config_static_selectorELNS0_4arch9wavefront6targetE1EEEvT1_
		.amdhsa_group_segment_fixed_size 0
		.amdhsa_private_segment_fixed_size 0
		.amdhsa_kernarg_size 112
		.amdhsa_user_sgpr_count 6
		.amdhsa_user_sgpr_private_segment_buffer 1
		.amdhsa_user_sgpr_dispatch_ptr 0
		.amdhsa_user_sgpr_queue_ptr 0
		.amdhsa_user_sgpr_kernarg_segment_ptr 1
		.amdhsa_user_sgpr_dispatch_id 0
		.amdhsa_user_sgpr_flat_scratch_init 0
		.amdhsa_user_sgpr_kernarg_preload_length 0
		.amdhsa_user_sgpr_kernarg_preload_offset 0
		.amdhsa_user_sgpr_private_segment_size 0
		.amdhsa_uses_dynamic_stack 0
		.amdhsa_system_sgpr_private_segment_wavefront_offset 0
		.amdhsa_system_sgpr_workgroup_id_x 1
		.amdhsa_system_sgpr_workgroup_id_y 0
		.amdhsa_system_sgpr_workgroup_id_z 0
		.amdhsa_system_sgpr_workgroup_info 0
		.amdhsa_system_vgpr_workitem_id 0
		.amdhsa_next_free_vgpr 1
		.amdhsa_next_free_sgpr 0
		.amdhsa_accum_offset 4
		.amdhsa_reserve_vcc 0
		.amdhsa_reserve_flat_scratch 0
		.amdhsa_float_round_mode_32 0
		.amdhsa_float_round_mode_16_64 0
		.amdhsa_float_denorm_mode_32 3
		.amdhsa_float_denorm_mode_16_64 3
		.amdhsa_dx10_clamp 1
		.amdhsa_ieee_mode 1
		.amdhsa_fp16_overflow 0
		.amdhsa_tg_split 0
		.amdhsa_exception_fp_ieee_invalid_op 0
		.amdhsa_exception_fp_denorm_src 0
		.amdhsa_exception_fp_ieee_div_zero 0
		.amdhsa_exception_fp_ieee_overflow 0
		.amdhsa_exception_fp_ieee_underflow 0
		.amdhsa_exception_fp_ieee_inexact 0
		.amdhsa_exception_int_div_zero 0
	.end_amdhsa_kernel
	.section	.text._ZN7rocprim17ROCPRIM_400000_NS6detail17trampoline_kernelINS0_14default_configENS1_27scan_by_key_config_selectorIssEEZZNS1_16scan_by_key_implILNS1_25lookback_scan_determinismE0ELb0ES3_N6thrust23THRUST_200600_302600_NS6detail15normal_iteratorINS9_10device_ptrIsEEEESE_SE_sNS9_4plusIvEENS9_8equal_toIsEEsEE10hipError_tPvRmT2_T3_T4_T5_mT6_T7_P12ihipStream_tbENKUlT_T0_E_clISt17integral_constantIbLb1EESZ_EEDaSU_SV_EUlSU_E_NS1_11comp_targetILNS1_3genE10ELNS1_11target_archE1200ELNS1_3gpuE4ELNS1_3repE0EEENS1_30default_config_static_selectorELNS0_4arch9wavefront6targetE1EEEvT1_,"axG",@progbits,_ZN7rocprim17ROCPRIM_400000_NS6detail17trampoline_kernelINS0_14default_configENS1_27scan_by_key_config_selectorIssEEZZNS1_16scan_by_key_implILNS1_25lookback_scan_determinismE0ELb0ES3_N6thrust23THRUST_200600_302600_NS6detail15normal_iteratorINS9_10device_ptrIsEEEESE_SE_sNS9_4plusIvEENS9_8equal_toIsEEsEE10hipError_tPvRmT2_T3_T4_T5_mT6_T7_P12ihipStream_tbENKUlT_T0_E_clISt17integral_constantIbLb1EESZ_EEDaSU_SV_EUlSU_E_NS1_11comp_targetILNS1_3genE10ELNS1_11target_archE1200ELNS1_3gpuE4ELNS1_3repE0EEENS1_30default_config_static_selectorELNS0_4arch9wavefront6targetE1EEEvT1_,comdat
.Lfunc_end332:
	.size	_ZN7rocprim17ROCPRIM_400000_NS6detail17trampoline_kernelINS0_14default_configENS1_27scan_by_key_config_selectorIssEEZZNS1_16scan_by_key_implILNS1_25lookback_scan_determinismE0ELb0ES3_N6thrust23THRUST_200600_302600_NS6detail15normal_iteratorINS9_10device_ptrIsEEEESE_SE_sNS9_4plusIvEENS9_8equal_toIsEEsEE10hipError_tPvRmT2_T3_T4_T5_mT6_T7_P12ihipStream_tbENKUlT_T0_E_clISt17integral_constantIbLb1EESZ_EEDaSU_SV_EUlSU_E_NS1_11comp_targetILNS1_3genE10ELNS1_11target_archE1200ELNS1_3gpuE4ELNS1_3repE0EEENS1_30default_config_static_selectorELNS0_4arch9wavefront6targetE1EEEvT1_, .Lfunc_end332-_ZN7rocprim17ROCPRIM_400000_NS6detail17trampoline_kernelINS0_14default_configENS1_27scan_by_key_config_selectorIssEEZZNS1_16scan_by_key_implILNS1_25lookback_scan_determinismE0ELb0ES3_N6thrust23THRUST_200600_302600_NS6detail15normal_iteratorINS9_10device_ptrIsEEEESE_SE_sNS9_4plusIvEENS9_8equal_toIsEEsEE10hipError_tPvRmT2_T3_T4_T5_mT6_T7_P12ihipStream_tbENKUlT_T0_E_clISt17integral_constantIbLb1EESZ_EEDaSU_SV_EUlSU_E_NS1_11comp_targetILNS1_3genE10ELNS1_11target_archE1200ELNS1_3gpuE4ELNS1_3repE0EEENS1_30default_config_static_selectorELNS0_4arch9wavefront6targetE1EEEvT1_
                                        ; -- End function
	.section	.AMDGPU.csdata,"",@progbits
; Kernel info:
; codeLenInByte = 0
; NumSgprs: 4
; NumVgprs: 0
; NumAgprs: 0
; TotalNumVgprs: 0
; ScratchSize: 0
; MemoryBound: 0
; FloatMode: 240
; IeeeMode: 1
; LDSByteSize: 0 bytes/workgroup (compile time only)
; SGPRBlocks: 0
; VGPRBlocks: 0
; NumSGPRsForWavesPerEU: 4
; NumVGPRsForWavesPerEU: 1
; AccumOffset: 4
; Occupancy: 8
; WaveLimiterHint : 0
; COMPUTE_PGM_RSRC2:SCRATCH_EN: 0
; COMPUTE_PGM_RSRC2:USER_SGPR: 6
; COMPUTE_PGM_RSRC2:TRAP_HANDLER: 0
; COMPUTE_PGM_RSRC2:TGID_X_EN: 1
; COMPUTE_PGM_RSRC2:TGID_Y_EN: 0
; COMPUTE_PGM_RSRC2:TGID_Z_EN: 0
; COMPUTE_PGM_RSRC2:TIDIG_COMP_CNT: 0
; COMPUTE_PGM_RSRC3_GFX90A:ACCUM_OFFSET: 0
; COMPUTE_PGM_RSRC3_GFX90A:TG_SPLIT: 0
	.section	.text._ZN7rocprim17ROCPRIM_400000_NS6detail17trampoline_kernelINS0_14default_configENS1_27scan_by_key_config_selectorIssEEZZNS1_16scan_by_key_implILNS1_25lookback_scan_determinismE0ELb0ES3_N6thrust23THRUST_200600_302600_NS6detail15normal_iteratorINS9_10device_ptrIsEEEESE_SE_sNS9_4plusIvEENS9_8equal_toIsEEsEE10hipError_tPvRmT2_T3_T4_T5_mT6_T7_P12ihipStream_tbENKUlT_T0_E_clISt17integral_constantIbLb1EESZ_EEDaSU_SV_EUlSU_E_NS1_11comp_targetILNS1_3genE9ELNS1_11target_archE1100ELNS1_3gpuE3ELNS1_3repE0EEENS1_30default_config_static_selectorELNS0_4arch9wavefront6targetE1EEEvT1_,"axG",@progbits,_ZN7rocprim17ROCPRIM_400000_NS6detail17trampoline_kernelINS0_14default_configENS1_27scan_by_key_config_selectorIssEEZZNS1_16scan_by_key_implILNS1_25lookback_scan_determinismE0ELb0ES3_N6thrust23THRUST_200600_302600_NS6detail15normal_iteratorINS9_10device_ptrIsEEEESE_SE_sNS9_4plusIvEENS9_8equal_toIsEEsEE10hipError_tPvRmT2_T3_T4_T5_mT6_T7_P12ihipStream_tbENKUlT_T0_E_clISt17integral_constantIbLb1EESZ_EEDaSU_SV_EUlSU_E_NS1_11comp_targetILNS1_3genE9ELNS1_11target_archE1100ELNS1_3gpuE3ELNS1_3repE0EEENS1_30default_config_static_selectorELNS0_4arch9wavefront6targetE1EEEvT1_,comdat
	.protected	_ZN7rocprim17ROCPRIM_400000_NS6detail17trampoline_kernelINS0_14default_configENS1_27scan_by_key_config_selectorIssEEZZNS1_16scan_by_key_implILNS1_25lookback_scan_determinismE0ELb0ES3_N6thrust23THRUST_200600_302600_NS6detail15normal_iteratorINS9_10device_ptrIsEEEESE_SE_sNS9_4plusIvEENS9_8equal_toIsEEsEE10hipError_tPvRmT2_T3_T4_T5_mT6_T7_P12ihipStream_tbENKUlT_T0_E_clISt17integral_constantIbLb1EESZ_EEDaSU_SV_EUlSU_E_NS1_11comp_targetILNS1_3genE9ELNS1_11target_archE1100ELNS1_3gpuE3ELNS1_3repE0EEENS1_30default_config_static_selectorELNS0_4arch9wavefront6targetE1EEEvT1_ ; -- Begin function _ZN7rocprim17ROCPRIM_400000_NS6detail17trampoline_kernelINS0_14default_configENS1_27scan_by_key_config_selectorIssEEZZNS1_16scan_by_key_implILNS1_25lookback_scan_determinismE0ELb0ES3_N6thrust23THRUST_200600_302600_NS6detail15normal_iteratorINS9_10device_ptrIsEEEESE_SE_sNS9_4plusIvEENS9_8equal_toIsEEsEE10hipError_tPvRmT2_T3_T4_T5_mT6_T7_P12ihipStream_tbENKUlT_T0_E_clISt17integral_constantIbLb1EESZ_EEDaSU_SV_EUlSU_E_NS1_11comp_targetILNS1_3genE9ELNS1_11target_archE1100ELNS1_3gpuE3ELNS1_3repE0EEENS1_30default_config_static_selectorELNS0_4arch9wavefront6targetE1EEEvT1_
	.globl	_ZN7rocprim17ROCPRIM_400000_NS6detail17trampoline_kernelINS0_14default_configENS1_27scan_by_key_config_selectorIssEEZZNS1_16scan_by_key_implILNS1_25lookback_scan_determinismE0ELb0ES3_N6thrust23THRUST_200600_302600_NS6detail15normal_iteratorINS9_10device_ptrIsEEEESE_SE_sNS9_4plusIvEENS9_8equal_toIsEEsEE10hipError_tPvRmT2_T3_T4_T5_mT6_T7_P12ihipStream_tbENKUlT_T0_E_clISt17integral_constantIbLb1EESZ_EEDaSU_SV_EUlSU_E_NS1_11comp_targetILNS1_3genE9ELNS1_11target_archE1100ELNS1_3gpuE3ELNS1_3repE0EEENS1_30default_config_static_selectorELNS0_4arch9wavefront6targetE1EEEvT1_
	.p2align	8
	.type	_ZN7rocprim17ROCPRIM_400000_NS6detail17trampoline_kernelINS0_14default_configENS1_27scan_by_key_config_selectorIssEEZZNS1_16scan_by_key_implILNS1_25lookback_scan_determinismE0ELb0ES3_N6thrust23THRUST_200600_302600_NS6detail15normal_iteratorINS9_10device_ptrIsEEEESE_SE_sNS9_4plusIvEENS9_8equal_toIsEEsEE10hipError_tPvRmT2_T3_T4_T5_mT6_T7_P12ihipStream_tbENKUlT_T0_E_clISt17integral_constantIbLb1EESZ_EEDaSU_SV_EUlSU_E_NS1_11comp_targetILNS1_3genE9ELNS1_11target_archE1100ELNS1_3gpuE3ELNS1_3repE0EEENS1_30default_config_static_selectorELNS0_4arch9wavefront6targetE1EEEvT1_,@function
_ZN7rocprim17ROCPRIM_400000_NS6detail17trampoline_kernelINS0_14default_configENS1_27scan_by_key_config_selectorIssEEZZNS1_16scan_by_key_implILNS1_25lookback_scan_determinismE0ELb0ES3_N6thrust23THRUST_200600_302600_NS6detail15normal_iteratorINS9_10device_ptrIsEEEESE_SE_sNS9_4plusIvEENS9_8equal_toIsEEsEE10hipError_tPvRmT2_T3_T4_T5_mT6_T7_P12ihipStream_tbENKUlT_T0_E_clISt17integral_constantIbLb1EESZ_EEDaSU_SV_EUlSU_E_NS1_11comp_targetILNS1_3genE9ELNS1_11target_archE1100ELNS1_3gpuE3ELNS1_3repE0EEENS1_30default_config_static_selectorELNS0_4arch9wavefront6targetE1EEEvT1_: ; @_ZN7rocprim17ROCPRIM_400000_NS6detail17trampoline_kernelINS0_14default_configENS1_27scan_by_key_config_selectorIssEEZZNS1_16scan_by_key_implILNS1_25lookback_scan_determinismE0ELb0ES3_N6thrust23THRUST_200600_302600_NS6detail15normal_iteratorINS9_10device_ptrIsEEEESE_SE_sNS9_4plusIvEENS9_8equal_toIsEEsEE10hipError_tPvRmT2_T3_T4_T5_mT6_T7_P12ihipStream_tbENKUlT_T0_E_clISt17integral_constantIbLb1EESZ_EEDaSU_SV_EUlSU_E_NS1_11comp_targetILNS1_3genE9ELNS1_11target_archE1100ELNS1_3gpuE3ELNS1_3repE0EEENS1_30default_config_static_selectorELNS0_4arch9wavefront6targetE1EEEvT1_
; %bb.0:
	.section	.rodata,"a",@progbits
	.p2align	6, 0x0
	.amdhsa_kernel _ZN7rocprim17ROCPRIM_400000_NS6detail17trampoline_kernelINS0_14default_configENS1_27scan_by_key_config_selectorIssEEZZNS1_16scan_by_key_implILNS1_25lookback_scan_determinismE0ELb0ES3_N6thrust23THRUST_200600_302600_NS6detail15normal_iteratorINS9_10device_ptrIsEEEESE_SE_sNS9_4plusIvEENS9_8equal_toIsEEsEE10hipError_tPvRmT2_T3_T4_T5_mT6_T7_P12ihipStream_tbENKUlT_T0_E_clISt17integral_constantIbLb1EESZ_EEDaSU_SV_EUlSU_E_NS1_11comp_targetILNS1_3genE9ELNS1_11target_archE1100ELNS1_3gpuE3ELNS1_3repE0EEENS1_30default_config_static_selectorELNS0_4arch9wavefront6targetE1EEEvT1_
		.amdhsa_group_segment_fixed_size 0
		.amdhsa_private_segment_fixed_size 0
		.amdhsa_kernarg_size 112
		.amdhsa_user_sgpr_count 6
		.amdhsa_user_sgpr_private_segment_buffer 1
		.amdhsa_user_sgpr_dispatch_ptr 0
		.amdhsa_user_sgpr_queue_ptr 0
		.amdhsa_user_sgpr_kernarg_segment_ptr 1
		.amdhsa_user_sgpr_dispatch_id 0
		.amdhsa_user_sgpr_flat_scratch_init 0
		.amdhsa_user_sgpr_kernarg_preload_length 0
		.amdhsa_user_sgpr_kernarg_preload_offset 0
		.amdhsa_user_sgpr_private_segment_size 0
		.amdhsa_uses_dynamic_stack 0
		.amdhsa_system_sgpr_private_segment_wavefront_offset 0
		.amdhsa_system_sgpr_workgroup_id_x 1
		.amdhsa_system_sgpr_workgroup_id_y 0
		.amdhsa_system_sgpr_workgroup_id_z 0
		.amdhsa_system_sgpr_workgroup_info 0
		.amdhsa_system_vgpr_workitem_id 0
		.amdhsa_next_free_vgpr 1
		.amdhsa_next_free_sgpr 0
		.amdhsa_accum_offset 4
		.amdhsa_reserve_vcc 0
		.amdhsa_reserve_flat_scratch 0
		.amdhsa_float_round_mode_32 0
		.amdhsa_float_round_mode_16_64 0
		.amdhsa_float_denorm_mode_32 3
		.amdhsa_float_denorm_mode_16_64 3
		.amdhsa_dx10_clamp 1
		.amdhsa_ieee_mode 1
		.amdhsa_fp16_overflow 0
		.amdhsa_tg_split 0
		.amdhsa_exception_fp_ieee_invalid_op 0
		.amdhsa_exception_fp_denorm_src 0
		.amdhsa_exception_fp_ieee_div_zero 0
		.amdhsa_exception_fp_ieee_overflow 0
		.amdhsa_exception_fp_ieee_underflow 0
		.amdhsa_exception_fp_ieee_inexact 0
		.amdhsa_exception_int_div_zero 0
	.end_amdhsa_kernel
	.section	.text._ZN7rocprim17ROCPRIM_400000_NS6detail17trampoline_kernelINS0_14default_configENS1_27scan_by_key_config_selectorIssEEZZNS1_16scan_by_key_implILNS1_25lookback_scan_determinismE0ELb0ES3_N6thrust23THRUST_200600_302600_NS6detail15normal_iteratorINS9_10device_ptrIsEEEESE_SE_sNS9_4plusIvEENS9_8equal_toIsEEsEE10hipError_tPvRmT2_T3_T4_T5_mT6_T7_P12ihipStream_tbENKUlT_T0_E_clISt17integral_constantIbLb1EESZ_EEDaSU_SV_EUlSU_E_NS1_11comp_targetILNS1_3genE9ELNS1_11target_archE1100ELNS1_3gpuE3ELNS1_3repE0EEENS1_30default_config_static_selectorELNS0_4arch9wavefront6targetE1EEEvT1_,"axG",@progbits,_ZN7rocprim17ROCPRIM_400000_NS6detail17trampoline_kernelINS0_14default_configENS1_27scan_by_key_config_selectorIssEEZZNS1_16scan_by_key_implILNS1_25lookback_scan_determinismE0ELb0ES3_N6thrust23THRUST_200600_302600_NS6detail15normal_iteratorINS9_10device_ptrIsEEEESE_SE_sNS9_4plusIvEENS9_8equal_toIsEEsEE10hipError_tPvRmT2_T3_T4_T5_mT6_T7_P12ihipStream_tbENKUlT_T0_E_clISt17integral_constantIbLb1EESZ_EEDaSU_SV_EUlSU_E_NS1_11comp_targetILNS1_3genE9ELNS1_11target_archE1100ELNS1_3gpuE3ELNS1_3repE0EEENS1_30default_config_static_selectorELNS0_4arch9wavefront6targetE1EEEvT1_,comdat
.Lfunc_end333:
	.size	_ZN7rocprim17ROCPRIM_400000_NS6detail17trampoline_kernelINS0_14default_configENS1_27scan_by_key_config_selectorIssEEZZNS1_16scan_by_key_implILNS1_25lookback_scan_determinismE0ELb0ES3_N6thrust23THRUST_200600_302600_NS6detail15normal_iteratorINS9_10device_ptrIsEEEESE_SE_sNS9_4plusIvEENS9_8equal_toIsEEsEE10hipError_tPvRmT2_T3_T4_T5_mT6_T7_P12ihipStream_tbENKUlT_T0_E_clISt17integral_constantIbLb1EESZ_EEDaSU_SV_EUlSU_E_NS1_11comp_targetILNS1_3genE9ELNS1_11target_archE1100ELNS1_3gpuE3ELNS1_3repE0EEENS1_30default_config_static_selectorELNS0_4arch9wavefront6targetE1EEEvT1_, .Lfunc_end333-_ZN7rocprim17ROCPRIM_400000_NS6detail17trampoline_kernelINS0_14default_configENS1_27scan_by_key_config_selectorIssEEZZNS1_16scan_by_key_implILNS1_25lookback_scan_determinismE0ELb0ES3_N6thrust23THRUST_200600_302600_NS6detail15normal_iteratorINS9_10device_ptrIsEEEESE_SE_sNS9_4plusIvEENS9_8equal_toIsEEsEE10hipError_tPvRmT2_T3_T4_T5_mT6_T7_P12ihipStream_tbENKUlT_T0_E_clISt17integral_constantIbLb1EESZ_EEDaSU_SV_EUlSU_E_NS1_11comp_targetILNS1_3genE9ELNS1_11target_archE1100ELNS1_3gpuE3ELNS1_3repE0EEENS1_30default_config_static_selectorELNS0_4arch9wavefront6targetE1EEEvT1_
                                        ; -- End function
	.section	.AMDGPU.csdata,"",@progbits
; Kernel info:
; codeLenInByte = 0
; NumSgprs: 4
; NumVgprs: 0
; NumAgprs: 0
; TotalNumVgprs: 0
; ScratchSize: 0
; MemoryBound: 0
; FloatMode: 240
; IeeeMode: 1
; LDSByteSize: 0 bytes/workgroup (compile time only)
; SGPRBlocks: 0
; VGPRBlocks: 0
; NumSGPRsForWavesPerEU: 4
; NumVGPRsForWavesPerEU: 1
; AccumOffset: 4
; Occupancy: 8
; WaveLimiterHint : 0
; COMPUTE_PGM_RSRC2:SCRATCH_EN: 0
; COMPUTE_PGM_RSRC2:USER_SGPR: 6
; COMPUTE_PGM_RSRC2:TRAP_HANDLER: 0
; COMPUTE_PGM_RSRC2:TGID_X_EN: 1
; COMPUTE_PGM_RSRC2:TGID_Y_EN: 0
; COMPUTE_PGM_RSRC2:TGID_Z_EN: 0
; COMPUTE_PGM_RSRC2:TIDIG_COMP_CNT: 0
; COMPUTE_PGM_RSRC3_GFX90A:ACCUM_OFFSET: 0
; COMPUTE_PGM_RSRC3_GFX90A:TG_SPLIT: 0
	.section	.text._ZN7rocprim17ROCPRIM_400000_NS6detail17trampoline_kernelINS0_14default_configENS1_27scan_by_key_config_selectorIssEEZZNS1_16scan_by_key_implILNS1_25lookback_scan_determinismE0ELb0ES3_N6thrust23THRUST_200600_302600_NS6detail15normal_iteratorINS9_10device_ptrIsEEEESE_SE_sNS9_4plusIvEENS9_8equal_toIsEEsEE10hipError_tPvRmT2_T3_T4_T5_mT6_T7_P12ihipStream_tbENKUlT_T0_E_clISt17integral_constantIbLb1EESZ_EEDaSU_SV_EUlSU_E_NS1_11comp_targetILNS1_3genE8ELNS1_11target_archE1030ELNS1_3gpuE2ELNS1_3repE0EEENS1_30default_config_static_selectorELNS0_4arch9wavefront6targetE1EEEvT1_,"axG",@progbits,_ZN7rocprim17ROCPRIM_400000_NS6detail17trampoline_kernelINS0_14default_configENS1_27scan_by_key_config_selectorIssEEZZNS1_16scan_by_key_implILNS1_25lookback_scan_determinismE0ELb0ES3_N6thrust23THRUST_200600_302600_NS6detail15normal_iteratorINS9_10device_ptrIsEEEESE_SE_sNS9_4plusIvEENS9_8equal_toIsEEsEE10hipError_tPvRmT2_T3_T4_T5_mT6_T7_P12ihipStream_tbENKUlT_T0_E_clISt17integral_constantIbLb1EESZ_EEDaSU_SV_EUlSU_E_NS1_11comp_targetILNS1_3genE8ELNS1_11target_archE1030ELNS1_3gpuE2ELNS1_3repE0EEENS1_30default_config_static_selectorELNS0_4arch9wavefront6targetE1EEEvT1_,comdat
	.protected	_ZN7rocprim17ROCPRIM_400000_NS6detail17trampoline_kernelINS0_14default_configENS1_27scan_by_key_config_selectorIssEEZZNS1_16scan_by_key_implILNS1_25lookback_scan_determinismE0ELb0ES3_N6thrust23THRUST_200600_302600_NS6detail15normal_iteratorINS9_10device_ptrIsEEEESE_SE_sNS9_4plusIvEENS9_8equal_toIsEEsEE10hipError_tPvRmT2_T3_T4_T5_mT6_T7_P12ihipStream_tbENKUlT_T0_E_clISt17integral_constantIbLb1EESZ_EEDaSU_SV_EUlSU_E_NS1_11comp_targetILNS1_3genE8ELNS1_11target_archE1030ELNS1_3gpuE2ELNS1_3repE0EEENS1_30default_config_static_selectorELNS0_4arch9wavefront6targetE1EEEvT1_ ; -- Begin function _ZN7rocprim17ROCPRIM_400000_NS6detail17trampoline_kernelINS0_14default_configENS1_27scan_by_key_config_selectorIssEEZZNS1_16scan_by_key_implILNS1_25lookback_scan_determinismE0ELb0ES3_N6thrust23THRUST_200600_302600_NS6detail15normal_iteratorINS9_10device_ptrIsEEEESE_SE_sNS9_4plusIvEENS9_8equal_toIsEEsEE10hipError_tPvRmT2_T3_T4_T5_mT6_T7_P12ihipStream_tbENKUlT_T0_E_clISt17integral_constantIbLb1EESZ_EEDaSU_SV_EUlSU_E_NS1_11comp_targetILNS1_3genE8ELNS1_11target_archE1030ELNS1_3gpuE2ELNS1_3repE0EEENS1_30default_config_static_selectorELNS0_4arch9wavefront6targetE1EEEvT1_
	.globl	_ZN7rocprim17ROCPRIM_400000_NS6detail17trampoline_kernelINS0_14default_configENS1_27scan_by_key_config_selectorIssEEZZNS1_16scan_by_key_implILNS1_25lookback_scan_determinismE0ELb0ES3_N6thrust23THRUST_200600_302600_NS6detail15normal_iteratorINS9_10device_ptrIsEEEESE_SE_sNS9_4plusIvEENS9_8equal_toIsEEsEE10hipError_tPvRmT2_T3_T4_T5_mT6_T7_P12ihipStream_tbENKUlT_T0_E_clISt17integral_constantIbLb1EESZ_EEDaSU_SV_EUlSU_E_NS1_11comp_targetILNS1_3genE8ELNS1_11target_archE1030ELNS1_3gpuE2ELNS1_3repE0EEENS1_30default_config_static_selectorELNS0_4arch9wavefront6targetE1EEEvT1_
	.p2align	8
	.type	_ZN7rocprim17ROCPRIM_400000_NS6detail17trampoline_kernelINS0_14default_configENS1_27scan_by_key_config_selectorIssEEZZNS1_16scan_by_key_implILNS1_25lookback_scan_determinismE0ELb0ES3_N6thrust23THRUST_200600_302600_NS6detail15normal_iteratorINS9_10device_ptrIsEEEESE_SE_sNS9_4plusIvEENS9_8equal_toIsEEsEE10hipError_tPvRmT2_T3_T4_T5_mT6_T7_P12ihipStream_tbENKUlT_T0_E_clISt17integral_constantIbLb1EESZ_EEDaSU_SV_EUlSU_E_NS1_11comp_targetILNS1_3genE8ELNS1_11target_archE1030ELNS1_3gpuE2ELNS1_3repE0EEENS1_30default_config_static_selectorELNS0_4arch9wavefront6targetE1EEEvT1_,@function
_ZN7rocprim17ROCPRIM_400000_NS6detail17trampoline_kernelINS0_14default_configENS1_27scan_by_key_config_selectorIssEEZZNS1_16scan_by_key_implILNS1_25lookback_scan_determinismE0ELb0ES3_N6thrust23THRUST_200600_302600_NS6detail15normal_iteratorINS9_10device_ptrIsEEEESE_SE_sNS9_4plusIvEENS9_8equal_toIsEEsEE10hipError_tPvRmT2_T3_T4_T5_mT6_T7_P12ihipStream_tbENKUlT_T0_E_clISt17integral_constantIbLb1EESZ_EEDaSU_SV_EUlSU_E_NS1_11comp_targetILNS1_3genE8ELNS1_11target_archE1030ELNS1_3gpuE2ELNS1_3repE0EEENS1_30default_config_static_selectorELNS0_4arch9wavefront6targetE1EEEvT1_: ; @_ZN7rocprim17ROCPRIM_400000_NS6detail17trampoline_kernelINS0_14default_configENS1_27scan_by_key_config_selectorIssEEZZNS1_16scan_by_key_implILNS1_25lookback_scan_determinismE0ELb0ES3_N6thrust23THRUST_200600_302600_NS6detail15normal_iteratorINS9_10device_ptrIsEEEESE_SE_sNS9_4plusIvEENS9_8equal_toIsEEsEE10hipError_tPvRmT2_T3_T4_T5_mT6_T7_P12ihipStream_tbENKUlT_T0_E_clISt17integral_constantIbLb1EESZ_EEDaSU_SV_EUlSU_E_NS1_11comp_targetILNS1_3genE8ELNS1_11target_archE1030ELNS1_3gpuE2ELNS1_3repE0EEENS1_30default_config_static_selectorELNS0_4arch9wavefront6targetE1EEEvT1_
; %bb.0:
	.section	.rodata,"a",@progbits
	.p2align	6, 0x0
	.amdhsa_kernel _ZN7rocprim17ROCPRIM_400000_NS6detail17trampoline_kernelINS0_14default_configENS1_27scan_by_key_config_selectorIssEEZZNS1_16scan_by_key_implILNS1_25lookback_scan_determinismE0ELb0ES3_N6thrust23THRUST_200600_302600_NS6detail15normal_iteratorINS9_10device_ptrIsEEEESE_SE_sNS9_4plusIvEENS9_8equal_toIsEEsEE10hipError_tPvRmT2_T3_T4_T5_mT6_T7_P12ihipStream_tbENKUlT_T0_E_clISt17integral_constantIbLb1EESZ_EEDaSU_SV_EUlSU_E_NS1_11comp_targetILNS1_3genE8ELNS1_11target_archE1030ELNS1_3gpuE2ELNS1_3repE0EEENS1_30default_config_static_selectorELNS0_4arch9wavefront6targetE1EEEvT1_
		.amdhsa_group_segment_fixed_size 0
		.amdhsa_private_segment_fixed_size 0
		.amdhsa_kernarg_size 112
		.amdhsa_user_sgpr_count 6
		.amdhsa_user_sgpr_private_segment_buffer 1
		.amdhsa_user_sgpr_dispatch_ptr 0
		.amdhsa_user_sgpr_queue_ptr 0
		.amdhsa_user_sgpr_kernarg_segment_ptr 1
		.amdhsa_user_sgpr_dispatch_id 0
		.amdhsa_user_sgpr_flat_scratch_init 0
		.amdhsa_user_sgpr_kernarg_preload_length 0
		.amdhsa_user_sgpr_kernarg_preload_offset 0
		.amdhsa_user_sgpr_private_segment_size 0
		.amdhsa_uses_dynamic_stack 0
		.amdhsa_system_sgpr_private_segment_wavefront_offset 0
		.amdhsa_system_sgpr_workgroup_id_x 1
		.amdhsa_system_sgpr_workgroup_id_y 0
		.amdhsa_system_sgpr_workgroup_id_z 0
		.amdhsa_system_sgpr_workgroup_info 0
		.amdhsa_system_vgpr_workitem_id 0
		.amdhsa_next_free_vgpr 1
		.amdhsa_next_free_sgpr 0
		.amdhsa_accum_offset 4
		.amdhsa_reserve_vcc 0
		.amdhsa_reserve_flat_scratch 0
		.amdhsa_float_round_mode_32 0
		.amdhsa_float_round_mode_16_64 0
		.amdhsa_float_denorm_mode_32 3
		.amdhsa_float_denorm_mode_16_64 3
		.amdhsa_dx10_clamp 1
		.amdhsa_ieee_mode 1
		.amdhsa_fp16_overflow 0
		.amdhsa_tg_split 0
		.amdhsa_exception_fp_ieee_invalid_op 0
		.amdhsa_exception_fp_denorm_src 0
		.amdhsa_exception_fp_ieee_div_zero 0
		.amdhsa_exception_fp_ieee_overflow 0
		.amdhsa_exception_fp_ieee_underflow 0
		.amdhsa_exception_fp_ieee_inexact 0
		.amdhsa_exception_int_div_zero 0
	.end_amdhsa_kernel
	.section	.text._ZN7rocprim17ROCPRIM_400000_NS6detail17trampoline_kernelINS0_14default_configENS1_27scan_by_key_config_selectorIssEEZZNS1_16scan_by_key_implILNS1_25lookback_scan_determinismE0ELb0ES3_N6thrust23THRUST_200600_302600_NS6detail15normal_iteratorINS9_10device_ptrIsEEEESE_SE_sNS9_4plusIvEENS9_8equal_toIsEEsEE10hipError_tPvRmT2_T3_T4_T5_mT6_T7_P12ihipStream_tbENKUlT_T0_E_clISt17integral_constantIbLb1EESZ_EEDaSU_SV_EUlSU_E_NS1_11comp_targetILNS1_3genE8ELNS1_11target_archE1030ELNS1_3gpuE2ELNS1_3repE0EEENS1_30default_config_static_selectorELNS0_4arch9wavefront6targetE1EEEvT1_,"axG",@progbits,_ZN7rocprim17ROCPRIM_400000_NS6detail17trampoline_kernelINS0_14default_configENS1_27scan_by_key_config_selectorIssEEZZNS1_16scan_by_key_implILNS1_25lookback_scan_determinismE0ELb0ES3_N6thrust23THRUST_200600_302600_NS6detail15normal_iteratorINS9_10device_ptrIsEEEESE_SE_sNS9_4plusIvEENS9_8equal_toIsEEsEE10hipError_tPvRmT2_T3_T4_T5_mT6_T7_P12ihipStream_tbENKUlT_T0_E_clISt17integral_constantIbLb1EESZ_EEDaSU_SV_EUlSU_E_NS1_11comp_targetILNS1_3genE8ELNS1_11target_archE1030ELNS1_3gpuE2ELNS1_3repE0EEENS1_30default_config_static_selectorELNS0_4arch9wavefront6targetE1EEEvT1_,comdat
.Lfunc_end334:
	.size	_ZN7rocprim17ROCPRIM_400000_NS6detail17trampoline_kernelINS0_14default_configENS1_27scan_by_key_config_selectorIssEEZZNS1_16scan_by_key_implILNS1_25lookback_scan_determinismE0ELb0ES3_N6thrust23THRUST_200600_302600_NS6detail15normal_iteratorINS9_10device_ptrIsEEEESE_SE_sNS9_4plusIvEENS9_8equal_toIsEEsEE10hipError_tPvRmT2_T3_T4_T5_mT6_T7_P12ihipStream_tbENKUlT_T0_E_clISt17integral_constantIbLb1EESZ_EEDaSU_SV_EUlSU_E_NS1_11comp_targetILNS1_3genE8ELNS1_11target_archE1030ELNS1_3gpuE2ELNS1_3repE0EEENS1_30default_config_static_selectorELNS0_4arch9wavefront6targetE1EEEvT1_, .Lfunc_end334-_ZN7rocprim17ROCPRIM_400000_NS6detail17trampoline_kernelINS0_14default_configENS1_27scan_by_key_config_selectorIssEEZZNS1_16scan_by_key_implILNS1_25lookback_scan_determinismE0ELb0ES3_N6thrust23THRUST_200600_302600_NS6detail15normal_iteratorINS9_10device_ptrIsEEEESE_SE_sNS9_4plusIvEENS9_8equal_toIsEEsEE10hipError_tPvRmT2_T3_T4_T5_mT6_T7_P12ihipStream_tbENKUlT_T0_E_clISt17integral_constantIbLb1EESZ_EEDaSU_SV_EUlSU_E_NS1_11comp_targetILNS1_3genE8ELNS1_11target_archE1030ELNS1_3gpuE2ELNS1_3repE0EEENS1_30default_config_static_selectorELNS0_4arch9wavefront6targetE1EEEvT1_
                                        ; -- End function
	.section	.AMDGPU.csdata,"",@progbits
; Kernel info:
; codeLenInByte = 0
; NumSgprs: 4
; NumVgprs: 0
; NumAgprs: 0
; TotalNumVgprs: 0
; ScratchSize: 0
; MemoryBound: 0
; FloatMode: 240
; IeeeMode: 1
; LDSByteSize: 0 bytes/workgroup (compile time only)
; SGPRBlocks: 0
; VGPRBlocks: 0
; NumSGPRsForWavesPerEU: 4
; NumVGPRsForWavesPerEU: 1
; AccumOffset: 4
; Occupancy: 8
; WaveLimiterHint : 0
; COMPUTE_PGM_RSRC2:SCRATCH_EN: 0
; COMPUTE_PGM_RSRC2:USER_SGPR: 6
; COMPUTE_PGM_RSRC2:TRAP_HANDLER: 0
; COMPUTE_PGM_RSRC2:TGID_X_EN: 1
; COMPUTE_PGM_RSRC2:TGID_Y_EN: 0
; COMPUTE_PGM_RSRC2:TGID_Z_EN: 0
; COMPUTE_PGM_RSRC2:TIDIG_COMP_CNT: 0
; COMPUTE_PGM_RSRC3_GFX90A:ACCUM_OFFSET: 0
; COMPUTE_PGM_RSRC3_GFX90A:TG_SPLIT: 0
	.section	.text._ZN7rocprim17ROCPRIM_400000_NS6detail17trampoline_kernelINS0_14default_configENS1_27scan_by_key_config_selectorIssEEZZNS1_16scan_by_key_implILNS1_25lookback_scan_determinismE0ELb0ES3_N6thrust23THRUST_200600_302600_NS6detail15normal_iteratorINS9_10device_ptrIsEEEESE_SE_sNS9_4plusIvEENS9_8equal_toIsEEsEE10hipError_tPvRmT2_T3_T4_T5_mT6_T7_P12ihipStream_tbENKUlT_T0_E_clISt17integral_constantIbLb1EESY_IbLb0EEEEDaSU_SV_EUlSU_E_NS1_11comp_targetILNS1_3genE0ELNS1_11target_archE4294967295ELNS1_3gpuE0ELNS1_3repE0EEENS1_30default_config_static_selectorELNS0_4arch9wavefront6targetE1EEEvT1_,"axG",@progbits,_ZN7rocprim17ROCPRIM_400000_NS6detail17trampoline_kernelINS0_14default_configENS1_27scan_by_key_config_selectorIssEEZZNS1_16scan_by_key_implILNS1_25lookback_scan_determinismE0ELb0ES3_N6thrust23THRUST_200600_302600_NS6detail15normal_iteratorINS9_10device_ptrIsEEEESE_SE_sNS9_4plusIvEENS9_8equal_toIsEEsEE10hipError_tPvRmT2_T3_T4_T5_mT6_T7_P12ihipStream_tbENKUlT_T0_E_clISt17integral_constantIbLb1EESY_IbLb0EEEEDaSU_SV_EUlSU_E_NS1_11comp_targetILNS1_3genE0ELNS1_11target_archE4294967295ELNS1_3gpuE0ELNS1_3repE0EEENS1_30default_config_static_selectorELNS0_4arch9wavefront6targetE1EEEvT1_,comdat
	.protected	_ZN7rocprim17ROCPRIM_400000_NS6detail17trampoline_kernelINS0_14default_configENS1_27scan_by_key_config_selectorIssEEZZNS1_16scan_by_key_implILNS1_25lookback_scan_determinismE0ELb0ES3_N6thrust23THRUST_200600_302600_NS6detail15normal_iteratorINS9_10device_ptrIsEEEESE_SE_sNS9_4plusIvEENS9_8equal_toIsEEsEE10hipError_tPvRmT2_T3_T4_T5_mT6_T7_P12ihipStream_tbENKUlT_T0_E_clISt17integral_constantIbLb1EESY_IbLb0EEEEDaSU_SV_EUlSU_E_NS1_11comp_targetILNS1_3genE0ELNS1_11target_archE4294967295ELNS1_3gpuE0ELNS1_3repE0EEENS1_30default_config_static_selectorELNS0_4arch9wavefront6targetE1EEEvT1_ ; -- Begin function _ZN7rocprim17ROCPRIM_400000_NS6detail17trampoline_kernelINS0_14default_configENS1_27scan_by_key_config_selectorIssEEZZNS1_16scan_by_key_implILNS1_25lookback_scan_determinismE0ELb0ES3_N6thrust23THRUST_200600_302600_NS6detail15normal_iteratorINS9_10device_ptrIsEEEESE_SE_sNS9_4plusIvEENS9_8equal_toIsEEsEE10hipError_tPvRmT2_T3_T4_T5_mT6_T7_P12ihipStream_tbENKUlT_T0_E_clISt17integral_constantIbLb1EESY_IbLb0EEEEDaSU_SV_EUlSU_E_NS1_11comp_targetILNS1_3genE0ELNS1_11target_archE4294967295ELNS1_3gpuE0ELNS1_3repE0EEENS1_30default_config_static_selectorELNS0_4arch9wavefront6targetE1EEEvT1_
	.globl	_ZN7rocprim17ROCPRIM_400000_NS6detail17trampoline_kernelINS0_14default_configENS1_27scan_by_key_config_selectorIssEEZZNS1_16scan_by_key_implILNS1_25lookback_scan_determinismE0ELb0ES3_N6thrust23THRUST_200600_302600_NS6detail15normal_iteratorINS9_10device_ptrIsEEEESE_SE_sNS9_4plusIvEENS9_8equal_toIsEEsEE10hipError_tPvRmT2_T3_T4_T5_mT6_T7_P12ihipStream_tbENKUlT_T0_E_clISt17integral_constantIbLb1EESY_IbLb0EEEEDaSU_SV_EUlSU_E_NS1_11comp_targetILNS1_3genE0ELNS1_11target_archE4294967295ELNS1_3gpuE0ELNS1_3repE0EEENS1_30default_config_static_selectorELNS0_4arch9wavefront6targetE1EEEvT1_
	.p2align	8
	.type	_ZN7rocprim17ROCPRIM_400000_NS6detail17trampoline_kernelINS0_14default_configENS1_27scan_by_key_config_selectorIssEEZZNS1_16scan_by_key_implILNS1_25lookback_scan_determinismE0ELb0ES3_N6thrust23THRUST_200600_302600_NS6detail15normal_iteratorINS9_10device_ptrIsEEEESE_SE_sNS9_4plusIvEENS9_8equal_toIsEEsEE10hipError_tPvRmT2_T3_T4_T5_mT6_T7_P12ihipStream_tbENKUlT_T0_E_clISt17integral_constantIbLb1EESY_IbLb0EEEEDaSU_SV_EUlSU_E_NS1_11comp_targetILNS1_3genE0ELNS1_11target_archE4294967295ELNS1_3gpuE0ELNS1_3repE0EEENS1_30default_config_static_selectorELNS0_4arch9wavefront6targetE1EEEvT1_,@function
_ZN7rocprim17ROCPRIM_400000_NS6detail17trampoline_kernelINS0_14default_configENS1_27scan_by_key_config_selectorIssEEZZNS1_16scan_by_key_implILNS1_25lookback_scan_determinismE0ELb0ES3_N6thrust23THRUST_200600_302600_NS6detail15normal_iteratorINS9_10device_ptrIsEEEESE_SE_sNS9_4plusIvEENS9_8equal_toIsEEsEE10hipError_tPvRmT2_T3_T4_T5_mT6_T7_P12ihipStream_tbENKUlT_T0_E_clISt17integral_constantIbLb1EESY_IbLb0EEEEDaSU_SV_EUlSU_E_NS1_11comp_targetILNS1_3genE0ELNS1_11target_archE4294967295ELNS1_3gpuE0ELNS1_3repE0EEENS1_30default_config_static_selectorELNS0_4arch9wavefront6targetE1EEEvT1_: ; @_ZN7rocprim17ROCPRIM_400000_NS6detail17trampoline_kernelINS0_14default_configENS1_27scan_by_key_config_selectorIssEEZZNS1_16scan_by_key_implILNS1_25lookback_scan_determinismE0ELb0ES3_N6thrust23THRUST_200600_302600_NS6detail15normal_iteratorINS9_10device_ptrIsEEEESE_SE_sNS9_4plusIvEENS9_8equal_toIsEEsEE10hipError_tPvRmT2_T3_T4_T5_mT6_T7_P12ihipStream_tbENKUlT_T0_E_clISt17integral_constantIbLb1EESY_IbLb0EEEEDaSU_SV_EUlSU_E_NS1_11comp_targetILNS1_3genE0ELNS1_11target_archE4294967295ELNS1_3gpuE0ELNS1_3repE0EEENS1_30default_config_static_selectorELNS0_4arch9wavefront6targetE1EEEvT1_
; %bb.0:
	.section	.rodata,"a",@progbits
	.p2align	6, 0x0
	.amdhsa_kernel _ZN7rocprim17ROCPRIM_400000_NS6detail17trampoline_kernelINS0_14default_configENS1_27scan_by_key_config_selectorIssEEZZNS1_16scan_by_key_implILNS1_25lookback_scan_determinismE0ELb0ES3_N6thrust23THRUST_200600_302600_NS6detail15normal_iteratorINS9_10device_ptrIsEEEESE_SE_sNS9_4plusIvEENS9_8equal_toIsEEsEE10hipError_tPvRmT2_T3_T4_T5_mT6_T7_P12ihipStream_tbENKUlT_T0_E_clISt17integral_constantIbLb1EESY_IbLb0EEEEDaSU_SV_EUlSU_E_NS1_11comp_targetILNS1_3genE0ELNS1_11target_archE4294967295ELNS1_3gpuE0ELNS1_3repE0EEENS1_30default_config_static_selectorELNS0_4arch9wavefront6targetE1EEEvT1_
		.amdhsa_group_segment_fixed_size 0
		.amdhsa_private_segment_fixed_size 0
		.amdhsa_kernarg_size 112
		.amdhsa_user_sgpr_count 6
		.amdhsa_user_sgpr_private_segment_buffer 1
		.amdhsa_user_sgpr_dispatch_ptr 0
		.amdhsa_user_sgpr_queue_ptr 0
		.amdhsa_user_sgpr_kernarg_segment_ptr 1
		.amdhsa_user_sgpr_dispatch_id 0
		.amdhsa_user_sgpr_flat_scratch_init 0
		.amdhsa_user_sgpr_kernarg_preload_length 0
		.amdhsa_user_sgpr_kernarg_preload_offset 0
		.amdhsa_user_sgpr_private_segment_size 0
		.amdhsa_uses_dynamic_stack 0
		.amdhsa_system_sgpr_private_segment_wavefront_offset 0
		.amdhsa_system_sgpr_workgroup_id_x 1
		.amdhsa_system_sgpr_workgroup_id_y 0
		.amdhsa_system_sgpr_workgroup_id_z 0
		.amdhsa_system_sgpr_workgroup_info 0
		.amdhsa_system_vgpr_workitem_id 0
		.amdhsa_next_free_vgpr 1
		.amdhsa_next_free_sgpr 0
		.amdhsa_accum_offset 4
		.amdhsa_reserve_vcc 0
		.amdhsa_reserve_flat_scratch 0
		.amdhsa_float_round_mode_32 0
		.amdhsa_float_round_mode_16_64 0
		.amdhsa_float_denorm_mode_32 3
		.amdhsa_float_denorm_mode_16_64 3
		.amdhsa_dx10_clamp 1
		.amdhsa_ieee_mode 1
		.amdhsa_fp16_overflow 0
		.amdhsa_tg_split 0
		.amdhsa_exception_fp_ieee_invalid_op 0
		.amdhsa_exception_fp_denorm_src 0
		.amdhsa_exception_fp_ieee_div_zero 0
		.amdhsa_exception_fp_ieee_overflow 0
		.amdhsa_exception_fp_ieee_underflow 0
		.amdhsa_exception_fp_ieee_inexact 0
		.amdhsa_exception_int_div_zero 0
	.end_amdhsa_kernel
	.section	.text._ZN7rocprim17ROCPRIM_400000_NS6detail17trampoline_kernelINS0_14default_configENS1_27scan_by_key_config_selectorIssEEZZNS1_16scan_by_key_implILNS1_25lookback_scan_determinismE0ELb0ES3_N6thrust23THRUST_200600_302600_NS6detail15normal_iteratorINS9_10device_ptrIsEEEESE_SE_sNS9_4plusIvEENS9_8equal_toIsEEsEE10hipError_tPvRmT2_T3_T4_T5_mT6_T7_P12ihipStream_tbENKUlT_T0_E_clISt17integral_constantIbLb1EESY_IbLb0EEEEDaSU_SV_EUlSU_E_NS1_11comp_targetILNS1_3genE0ELNS1_11target_archE4294967295ELNS1_3gpuE0ELNS1_3repE0EEENS1_30default_config_static_selectorELNS0_4arch9wavefront6targetE1EEEvT1_,"axG",@progbits,_ZN7rocprim17ROCPRIM_400000_NS6detail17trampoline_kernelINS0_14default_configENS1_27scan_by_key_config_selectorIssEEZZNS1_16scan_by_key_implILNS1_25lookback_scan_determinismE0ELb0ES3_N6thrust23THRUST_200600_302600_NS6detail15normal_iteratorINS9_10device_ptrIsEEEESE_SE_sNS9_4plusIvEENS9_8equal_toIsEEsEE10hipError_tPvRmT2_T3_T4_T5_mT6_T7_P12ihipStream_tbENKUlT_T0_E_clISt17integral_constantIbLb1EESY_IbLb0EEEEDaSU_SV_EUlSU_E_NS1_11comp_targetILNS1_3genE0ELNS1_11target_archE4294967295ELNS1_3gpuE0ELNS1_3repE0EEENS1_30default_config_static_selectorELNS0_4arch9wavefront6targetE1EEEvT1_,comdat
.Lfunc_end335:
	.size	_ZN7rocprim17ROCPRIM_400000_NS6detail17trampoline_kernelINS0_14default_configENS1_27scan_by_key_config_selectorIssEEZZNS1_16scan_by_key_implILNS1_25lookback_scan_determinismE0ELb0ES3_N6thrust23THRUST_200600_302600_NS6detail15normal_iteratorINS9_10device_ptrIsEEEESE_SE_sNS9_4plusIvEENS9_8equal_toIsEEsEE10hipError_tPvRmT2_T3_T4_T5_mT6_T7_P12ihipStream_tbENKUlT_T0_E_clISt17integral_constantIbLb1EESY_IbLb0EEEEDaSU_SV_EUlSU_E_NS1_11comp_targetILNS1_3genE0ELNS1_11target_archE4294967295ELNS1_3gpuE0ELNS1_3repE0EEENS1_30default_config_static_selectorELNS0_4arch9wavefront6targetE1EEEvT1_, .Lfunc_end335-_ZN7rocprim17ROCPRIM_400000_NS6detail17trampoline_kernelINS0_14default_configENS1_27scan_by_key_config_selectorIssEEZZNS1_16scan_by_key_implILNS1_25lookback_scan_determinismE0ELb0ES3_N6thrust23THRUST_200600_302600_NS6detail15normal_iteratorINS9_10device_ptrIsEEEESE_SE_sNS9_4plusIvEENS9_8equal_toIsEEsEE10hipError_tPvRmT2_T3_T4_T5_mT6_T7_P12ihipStream_tbENKUlT_T0_E_clISt17integral_constantIbLb1EESY_IbLb0EEEEDaSU_SV_EUlSU_E_NS1_11comp_targetILNS1_3genE0ELNS1_11target_archE4294967295ELNS1_3gpuE0ELNS1_3repE0EEENS1_30default_config_static_selectorELNS0_4arch9wavefront6targetE1EEEvT1_
                                        ; -- End function
	.section	.AMDGPU.csdata,"",@progbits
; Kernel info:
; codeLenInByte = 0
; NumSgprs: 4
; NumVgprs: 0
; NumAgprs: 0
; TotalNumVgprs: 0
; ScratchSize: 0
; MemoryBound: 0
; FloatMode: 240
; IeeeMode: 1
; LDSByteSize: 0 bytes/workgroup (compile time only)
; SGPRBlocks: 0
; VGPRBlocks: 0
; NumSGPRsForWavesPerEU: 4
; NumVGPRsForWavesPerEU: 1
; AccumOffset: 4
; Occupancy: 8
; WaveLimiterHint : 0
; COMPUTE_PGM_RSRC2:SCRATCH_EN: 0
; COMPUTE_PGM_RSRC2:USER_SGPR: 6
; COMPUTE_PGM_RSRC2:TRAP_HANDLER: 0
; COMPUTE_PGM_RSRC2:TGID_X_EN: 1
; COMPUTE_PGM_RSRC2:TGID_Y_EN: 0
; COMPUTE_PGM_RSRC2:TGID_Z_EN: 0
; COMPUTE_PGM_RSRC2:TIDIG_COMP_CNT: 0
; COMPUTE_PGM_RSRC3_GFX90A:ACCUM_OFFSET: 0
; COMPUTE_PGM_RSRC3_GFX90A:TG_SPLIT: 0
	.section	.text._ZN7rocprim17ROCPRIM_400000_NS6detail17trampoline_kernelINS0_14default_configENS1_27scan_by_key_config_selectorIssEEZZNS1_16scan_by_key_implILNS1_25lookback_scan_determinismE0ELb0ES3_N6thrust23THRUST_200600_302600_NS6detail15normal_iteratorINS9_10device_ptrIsEEEESE_SE_sNS9_4plusIvEENS9_8equal_toIsEEsEE10hipError_tPvRmT2_T3_T4_T5_mT6_T7_P12ihipStream_tbENKUlT_T0_E_clISt17integral_constantIbLb1EESY_IbLb0EEEEDaSU_SV_EUlSU_E_NS1_11comp_targetILNS1_3genE10ELNS1_11target_archE1201ELNS1_3gpuE5ELNS1_3repE0EEENS1_30default_config_static_selectorELNS0_4arch9wavefront6targetE1EEEvT1_,"axG",@progbits,_ZN7rocprim17ROCPRIM_400000_NS6detail17trampoline_kernelINS0_14default_configENS1_27scan_by_key_config_selectorIssEEZZNS1_16scan_by_key_implILNS1_25lookback_scan_determinismE0ELb0ES3_N6thrust23THRUST_200600_302600_NS6detail15normal_iteratorINS9_10device_ptrIsEEEESE_SE_sNS9_4plusIvEENS9_8equal_toIsEEsEE10hipError_tPvRmT2_T3_T4_T5_mT6_T7_P12ihipStream_tbENKUlT_T0_E_clISt17integral_constantIbLb1EESY_IbLb0EEEEDaSU_SV_EUlSU_E_NS1_11comp_targetILNS1_3genE10ELNS1_11target_archE1201ELNS1_3gpuE5ELNS1_3repE0EEENS1_30default_config_static_selectorELNS0_4arch9wavefront6targetE1EEEvT1_,comdat
	.protected	_ZN7rocprim17ROCPRIM_400000_NS6detail17trampoline_kernelINS0_14default_configENS1_27scan_by_key_config_selectorIssEEZZNS1_16scan_by_key_implILNS1_25lookback_scan_determinismE0ELb0ES3_N6thrust23THRUST_200600_302600_NS6detail15normal_iteratorINS9_10device_ptrIsEEEESE_SE_sNS9_4plusIvEENS9_8equal_toIsEEsEE10hipError_tPvRmT2_T3_T4_T5_mT6_T7_P12ihipStream_tbENKUlT_T0_E_clISt17integral_constantIbLb1EESY_IbLb0EEEEDaSU_SV_EUlSU_E_NS1_11comp_targetILNS1_3genE10ELNS1_11target_archE1201ELNS1_3gpuE5ELNS1_3repE0EEENS1_30default_config_static_selectorELNS0_4arch9wavefront6targetE1EEEvT1_ ; -- Begin function _ZN7rocprim17ROCPRIM_400000_NS6detail17trampoline_kernelINS0_14default_configENS1_27scan_by_key_config_selectorIssEEZZNS1_16scan_by_key_implILNS1_25lookback_scan_determinismE0ELb0ES3_N6thrust23THRUST_200600_302600_NS6detail15normal_iteratorINS9_10device_ptrIsEEEESE_SE_sNS9_4plusIvEENS9_8equal_toIsEEsEE10hipError_tPvRmT2_T3_T4_T5_mT6_T7_P12ihipStream_tbENKUlT_T0_E_clISt17integral_constantIbLb1EESY_IbLb0EEEEDaSU_SV_EUlSU_E_NS1_11comp_targetILNS1_3genE10ELNS1_11target_archE1201ELNS1_3gpuE5ELNS1_3repE0EEENS1_30default_config_static_selectorELNS0_4arch9wavefront6targetE1EEEvT1_
	.globl	_ZN7rocprim17ROCPRIM_400000_NS6detail17trampoline_kernelINS0_14default_configENS1_27scan_by_key_config_selectorIssEEZZNS1_16scan_by_key_implILNS1_25lookback_scan_determinismE0ELb0ES3_N6thrust23THRUST_200600_302600_NS6detail15normal_iteratorINS9_10device_ptrIsEEEESE_SE_sNS9_4plusIvEENS9_8equal_toIsEEsEE10hipError_tPvRmT2_T3_T4_T5_mT6_T7_P12ihipStream_tbENKUlT_T0_E_clISt17integral_constantIbLb1EESY_IbLb0EEEEDaSU_SV_EUlSU_E_NS1_11comp_targetILNS1_3genE10ELNS1_11target_archE1201ELNS1_3gpuE5ELNS1_3repE0EEENS1_30default_config_static_selectorELNS0_4arch9wavefront6targetE1EEEvT1_
	.p2align	8
	.type	_ZN7rocprim17ROCPRIM_400000_NS6detail17trampoline_kernelINS0_14default_configENS1_27scan_by_key_config_selectorIssEEZZNS1_16scan_by_key_implILNS1_25lookback_scan_determinismE0ELb0ES3_N6thrust23THRUST_200600_302600_NS6detail15normal_iteratorINS9_10device_ptrIsEEEESE_SE_sNS9_4plusIvEENS9_8equal_toIsEEsEE10hipError_tPvRmT2_T3_T4_T5_mT6_T7_P12ihipStream_tbENKUlT_T0_E_clISt17integral_constantIbLb1EESY_IbLb0EEEEDaSU_SV_EUlSU_E_NS1_11comp_targetILNS1_3genE10ELNS1_11target_archE1201ELNS1_3gpuE5ELNS1_3repE0EEENS1_30default_config_static_selectorELNS0_4arch9wavefront6targetE1EEEvT1_,@function
_ZN7rocprim17ROCPRIM_400000_NS6detail17trampoline_kernelINS0_14default_configENS1_27scan_by_key_config_selectorIssEEZZNS1_16scan_by_key_implILNS1_25lookback_scan_determinismE0ELb0ES3_N6thrust23THRUST_200600_302600_NS6detail15normal_iteratorINS9_10device_ptrIsEEEESE_SE_sNS9_4plusIvEENS9_8equal_toIsEEsEE10hipError_tPvRmT2_T3_T4_T5_mT6_T7_P12ihipStream_tbENKUlT_T0_E_clISt17integral_constantIbLb1EESY_IbLb0EEEEDaSU_SV_EUlSU_E_NS1_11comp_targetILNS1_3genE10ELNS1_11target_archE1201ELNS1_3gpuE5ELNS1_3repE0EEENS1_30default_config_static_selectorELNS0_4arch9wavefront6targetE1EEEvT1_: ; @_ZN7rocprim17ROCPRIM_400000_NS6detail17trampoline_kernelINS0_14default_configENS1_27scan_by_key_config_selectorIssEEZZNS1_16scan_by_key_implILNS1_25lookback_scan_determinismE0ELb0ES3_N6thrust23THRUST_200600_302600_NS6detail15normal_iteratorINS9_10device_ptrIsEEEESE_SE_sNS9_4plusIvEENS9_8equal_toIsEEsEE10hipError_tPvRmT2_T3_T4_T5_mT6_T7_P12ihipStream_tbENKUlT_T0_E_clISt17integral_constantIbLb1EESY_IbLb0EEEEDaSU_SV_EUlSU_E_NS1_11comp_targetILNS1_3genE10ELNS1_11target_archE1201ELNS1_3gpuE5ELNS1_3repE0EEENS1_30default_config_static_selectorELNS0_4arch9wavefront6targetE1EEEvT1_
; %bb.0:
	.section	.rodata,"a",@progbits
	.p2align	6, 0x0
	.amdhsa_kernel _ZN7rocprim17ROCPRIM_400000_NS6detail17trampoline_kernelINS0_14default_configENS1_27scan_by_key_config_selectorIssEEZZNS1_16scan_by_key_implILNS1_25lookback_scan_determinismE0ELb0ES3_N6thrust23THRUST_200600_302600_NS6detail15normal_iteratorINS9_10device_ptrIsEEEESE_SE_sNS9_4plusIvEENS9_8equal_toIsEEsEE10hipError_tPvRmT2_T3_T4_T5_mT6_T7_P12ihipStream_tbENKUlT_T0_E_clISt17integral_constantIbLb1EESY_IbLb0EEEEDaSU_SV_EUlSU_E_NS1_11comp_targetILNS1_3genE10ELNS1_11target_archE1201ELNS1_3gpuE5ELNS1_3repE0EEENS1_30default_config_static_selectorELNS0_4arch9wavefront6targetE1EEEvT1_
		.amdhsa_group_segment_fixed_size 0
		.amdhsa_private_segment_fixed_size 0
		.amdhsa_kernarg_size 112
		.amdhsa_user_sgpr_count 6
		.amdhsa_user_sgpr_private_segment_buffer 1
		.amdhsa_user_sgpr_dispatch_ptr 0
		.amdhsa_user_sgpr_queue_ptr 0
		.amdhsa_user_sgpr_kernarg_segment_ptr 1
		.amdhsa_user_sgpr_dispatch_id 0
		.amdhsa_user_sgpr_flat_scratch_init 0
		.amdhsa_user_sgpr_kernarg_preload_length 0
		.amdhsa_user_sgpr_kernarg_preload_offset 0
		.amdhsa_user_sgpr_private_segment_size 0
		.amdhsa_uses_dynamic_stack 0
		.amdhsa_system_sgpr_private_segment_wavefront_offset 0
		.amdhsa_system_sgpr_workgroup_id_x 1
		.amdhsa_system_sgpr_workgroup_id_y 0
		.amdhsa_system_sgpr_workgroup_id_z 0
		.amdhsa_system_sgpr_workgroup_info 0
		.amdhsa_system_vgpr_workitem_id 0
		.amdhsa_next_free_vgpr 1
		.amdhsa_next_free_sgpr 0
		.amdhsa_accum_offset 4
		.amdhsa_reserve_vcc 0
		.amdhsa_reserve_flat_scratch 0
		.amdhsa_float_round_mode_32 0
		.amdhsa_float_round_mode_16_64 0
		.amdhsa_float_denorm_mode_32 3
		.amdhsa_float_denorm_mode_16_64 3
		.amdhsa_dx10_clamp 1
		.amdhsa_ieee_mode 1
		.amdhsa_fp16_overflow 0
		.amdhsa_tg_split 0
		.amdhsa_exception_fp_ieee_invalid_op 0
		.amdhsa_exception_fp_denorm_src 0
		.amdhsa_exception_fp_ieee_div_zero 0
		.amdhsa_exception_fp_ieee_overflow 0
		.amdhsa_exception_fp_ieee_underflow 0
		.amdhsa_exception_fp_ieee_inexact 0
		.amdhsa_exception_int_div_zero 0
	.end_amdhsa_kernel
	.section	.text._ZN7rocprim17ROCPRIM_400000_NS6detail17trampoline_kernelINS0_14default_configENS1_27scan_by_key_config_selectorIssEEZZNS1_16scan_by_key_implILNS1_25lookback_scan_determinismE0ELb0ES3_N6thrust23THRUST_200600_302600_NS6detail15normal_iteratorINS9_10device_ptrIsEEEESE_SE_sNS9_4plusIvEENS9_8equal_toIsEEsEE10hipError_tPvRmT2_T3_T4_T5_mT6_T7_P12ihipStream_tbENKUlT_T0_E_clISt17integral_constantIbLb1EESY_IbLb0EEEEDaSU_SV_EUlSU_E_NS1_11comp_targetILNS1_3genE10ELNS1_11target_archE1201ELNS1_3gpuE5ELNS1_3repE0EEENS1_30default_config_static_selectorELNS0_4arch9wavefront6targetE1EEEvT1_,"axG",@progbits,_ZN7rocprim17ROCPRIM_400000_NS6detail17trampoline_kernelINS0_14default_configENS1_27scan_by_key_config_selectorIssEEZZNS1_16scan_by_key_implILNS1_25lookback_scan_determinismE0ELb0ES3_N6thrust23THRUST_200600_302600_NS6detail15normal_iteratorINS9_10device_ptrIsEEEESE_SE_sNS9_4plusIvEENS9_8equal_toIsEEsEE10hipError_tPvRmT2_T3_T4_T5_mT6_T7_P12ihipStream_tbENKUlT_T0_E_clISt17integral_constantIbLb1EESY_IbLb0EEEEDaSU_SV_EUlSU_E_NS1_11comp_targetILNS1_3genE10ELNS1_11target_archE1201ELNS1_3gpuE5ELNS1_3repE0EEENS1_30default_config_static_selectorELNS0_4arch9wavefront6targetE1EEEvT1_,comdat
.Lfunc_end336:
	.size	_ZN7rocprim17ROCPRIM_400000_NS6detail17trampoline_kernelINS0_14default_configENS1_27scan_by_key_config_selectorIssEEZZNS1_16scan_by_key_implILNS1_25lookback_scan_determinismE0ELb0ES3_N6thrust23THRUST_200600_302600_NS6detail15normal_iteratorINS9_10device_ptrIsEEEESE_SE_sNS9_4plusIvEENS9_8equal_toIsEEsEE10hipError_tPvRmT2_T3_T4_T5_mT6_T7_P12ihipStream_tbENKUlT_T0_E_clISt17integral_constantIbLb1EESY_IbLb0EEEEDaSU_SV_EUlSU_E_NS1_11comp_targetILNS1_3genE10ELNS1_11target_archE1201ELNS1_3gpuE5ELNS1_3repE0EEENS1_30default_config_static_selectorELNS0_4arch9wavefront6targetE1EEEvT1_, .Lfunc_end336-_ZN7rocprim17ROCPRIM_400000_NS6detail17trampoline_kernelINS0_14default_configENS1_27scan_by_key_config_selectorIssEEZZNS1_16scan_by_key_implILNS1_25lookback_scan_determinismE0ELb0ES3_N6thrust23THRUST_200600_302600_NS6detail15normal_iteratorINS9_10device_ptrIsEEEESE_SE_sNS9_4plusIvEENS9_8equal_toIsEEsEE10hipError_tPvRmT2_T3_T4_T5_mT6_T7_P12ihipStream_tbENKUlT_T0_E_clISt17integral_constantIbLb1EESY_IbLb0EEEEDaSU_SV_EUlSU_E_NS1_11comp_targetILNS1_3genE10ELNS1_11target_archE1201ELNS1_3gpuE5ELNS1_3repE0EEENS1_30default_config_static_selectorELNS0_4arch9wavefront6targetE1EEEvT1_
                                        ; -- End function
	.section	.AMDGPU.csdata,"",@progbits
; Kernel info:
; codeLenInByte = 0
; NumSgprs: 4
; NumVgprs: 0
; NumAgprs: 0
; TotalNumVgprs: 0
; ScratchSize: 0
; MemoryBound: 0
; FloatMode: 240
; IeeeMode: 1
; LDSByteSize: 0 bytes/workgroup (compile time only)
; SGPRBlocks: 0
; VGPRBlocks: 0
; NumSGPRsForWavesPerEU: 4
; NumVGPRsForWavesPerEU: 1
; AccumOffset: 4
; Occupancy: 8
; WaveLimiterHint : 0
; COMPUTE_PGM_RSRC2:SCRATCH_EN: 0
; COMPUTE_PGM_RSRC2:USER_SGPR: 6
; COMPUTE_PGM_RSRC2:TRAP_HANDLER: 0
; COMPUTE_PGM_RSRC2:TGID_X_EN: 1
; COMPUTE_PGM_RSRC2:TGID_Y_EN: 0
; COMPUTE_PGM_RSRC2:TGID_Z_EN: 0
; COMPUTE_PGM_RSRC2:TIDIG_COMP_CNT: 0
; COMPUTE_PGM_RSRC3_GFX90A:ACCUM_OFFSET: 0
; COMPUTE_PGM_RSRC3_GFX90A:TG_SPLIT: 0
	.section	.text._ZN7rocprim17ROCPRIM_400000_NS6detail17trampoline_kernelINS0_14default_configENS1_27scan_by_key_config_selectorIssEEZZNS1_16scan_by_key_implILNS1_25lookback_scan_determinismE0ELb0ES3_N6thrust23THRUST_200600_302600_NS6detail15normal_iteratorINS9_10device_ptrIsEEEESE_SE_sNS9_4plusIvEENS9_8equal_toIsEEsEE10hipError_tPvRmT2_T3_T4_T5_mT6_T7_P12ihipStream_tbENKUlT_T0_E_clISt17integral_constantIbLb1EESY_IbLb0EEEEDaSU_SV_EUlSU_E_NS1_11comp_targetILNS1_3genE5ELNS1_11target_archE942ELNS1_3gpuE9ELNS1_3repE0EEENS1_30default_config_static_selectorELNS0_4arch9wavefront6targetE1EEEvT1_,"axG",@progbits,_ZN7rocprim17ROCPRIM_400000_NS6detail17trampoline_kernelINS0_14default_configENS1_27scan_by_key_config_selectorIssEEZZNS1_16scan_by_key_implILNS1_25lookback_scan_determinismE0ELb0ES3_N6thrust23THRUST_200600_302600_NS6detail15normal_iteratorINS9_10device_ptrIsEEEESE_SE_sNS9_4plusIvEENS9_8equal_toIsEEsEE10hipError_tPvRmT2_T3_T4_T5_mT6_T7_P12ihipStream_tbENKUlT_T0_E_clISt17integral_constantIbLb1EESY_IbLb0EEEEDaSU_SV_EUlSU_E_NS1_11comp_targetILNS1_3genE5ELNS1_11target_archE942ELNS1_3gpuE9ELNS1_3repE0EEENS1_30default_config_static_selectorELNS0_4arch9wavefront6targetE1EEEvT1_,comdat
	.protected	_ZN7rocprim17ROCPRIM_400000_NS6detail17trampoline_kernelINS0_14default_configENS1_27scan_by_key_config_selectorIssEEZZNS1_16scan_by_key_implILNS1_25lookback_scan_determinismE0ELb0ES3_N6thrust23THRUST_200600_302600_NS6detail15normal_iteratorINS9_10device_ptrIsEEEESE_SE_sNS9_4plusIvEENS9_8equal_toIsEEsEE10hipError_tPvRmT2_T3_T4_T5_mT6_T7_P12ihipStream_tbENKUlT_T0_E_clISt17integral_constantIbLb1EESY_IbLb0EEEEDaSU_SV_EUlSU_E_NS1_11comp_targetILNS1_3genE5ELNS1_11target_archE942ELNS1_3gpuE9ELNS1_3repE0EEENS1_30default_config_static_selectorELNS0_4arch9wavefront6targetE1EEEvT1_ ; -- Begin function _ZN7rocprim17ROCPRIM_400000_NS6detail17trampoline_kernelINS0_14default_configENS1_27scan_by_key_config_selectorIssEEZZNS1_16scan_by_key_implILNS1_25lookback_scan_determinismE0ELb0ES3_N6thrust23THRUST_200600_302600_NS6detail15normal_iteratorINS9_10device_ptrIsEEEESE_SE_sNS9_4plusIvEENS9_8equal_toIsEEsEE10hipError_tPvRmT2_T3_T4_T5_mT6_T7_P12ihipStream_tbENKUlT_T0_E_clISt17integral_constantIbLb1EESY_IbLb0EEEEDaSU_SV_EUlSU_E_NS1_11comp_targetILNS1_3genE5ELNS1_11target_archE942ELNS1_3gpuE9ELNS1_3repE0EEENS1_30default_config_static_selectorELNS0_4arch9wavefront6targetE1EEEvT1_
	.globl	_ZN7rocprim17ROCPRIM_400000_NS6detail17trampoline_kernelINS0_14default_configENS1_27scan_by_key_config_selectorIssEEZZNS1_16scan_by_key_implILNS1_25lookback_scan_determinismE0ELb0ES3_N6thrust23THRUST_200600_302600_NS6detail15normal_iteratorINS9_10device_ptrIsEEEESE_SE_sNS9_4plusIvEENS9_8equal_toIsEEsEE10hipError_tPvRmT2_T3_T4_T5_mT6_T7_P12ihipStream_tbENKUlT_T0_E_clISt17integral_constantIbLb1EESY_IbLb0EEEEDaSU_SV_EUlSU_E_NS1_11comp_targetILNS1_3genE5ELNS1_11target_archE942ELNS1_3gpuE9ELNS1_3repE0EEENS1_30default_config_static_selectorELNS0_4arch9wavefront6targetE1EEEvT1_
	.p2align	8
	.type	_ZN7rocprim17ROCPRIM_400000_NS6detail17trampoline_kernelINS0_14default_configENS1_27scan_by_key_config_selectorIssEEZZNS1_16scan_by_key_implILNS1_25lookback_scan_determinismE0ELb0ES3_N6thrust23THRUST_200600_302600_NS6detail15normal_iteratorINS9_10device_ptrIsEEEESE_SE_sNS9_4plusIvEENS9_8equal_toIsEEsEE10hipError_tPvRmT2_T3_T4_T5_mT6_T7_P12ihipStream_tbENKUlT_T0_E_clISt17integral_constantIbLb1EESY_IbLb0EEEEDaSU_SV_EUlSU_E_NS1_11comp_targetILNS1_3genE5ELNS1_11target_archE942ELNS1_3gpuE9ELNS1_3repE0EEENS1_30default_config_static_selectorELNS0_4arch9wavefront6targetE1EEEvT1_,@function
_ZN7rocprim17ROCPRIM_400000_NS6detail17trampoline_kernelINS0_14default_configENS1_27scan_by_key_config_selectorIssEEZZNS1_16scan_by_key_implILNS1_25lookback_scan_determinismE0ELb0ES3_N6thrust23THRUST_200600_302600_NS6detail15normal_iteratorINS9_10device_ptrIsEEEESE_SE_sNS9_4plusIvEENS9_8equal_toIsEEsEE10hipError_tPvRmT2_T3_T4_T5_mT6_T7_P12ihipStream_tbENKUlT_T0_E_clISt17integral_constantIbLb1EESY_IbLb0EEEEDaSU_SV_EUlSU_E_NS1_11comp_targetILNS1_3genE5ELNS1_11target_archE942ELNS1_3gpuE9ELNS1_3repE0EEENS1_30default_config_static_selectorELNS0_4arch9wavefront6targetE1EEEvT1_: ; @_ZN7rocprim17ROCPRIM_400000_NS6detail17trampoline_kernelINS0_14default_configENS1_27scan_by_key_config_selectorIssEEZZNS1_16scan_by_key_implILNS1_25lookback_scan_determinismE0ELb0ES3_N6thrust23THRUST_200600_302600_NS6detail15normal_iteratorINS9_10device_ptrIsEEEESE_SE_sNS9_4plusIvEENS9_8equal_toIsEEsEE10hipError_tPvRmT2_T3_T4_T5_mT6_T7_P12ihipStream_tbENKUlT_T0_E_clISt17integral_constantIbLb1EESY_IbLb0EEEEDaSU_SV_EUlSU_E_NS1_11comp_targetILNS1_3genE5ELNS1_11target_archE942ELNS1_3gpuE9ELNS1_3repE0EEENS1_30default_config_static_selectorELNS0_4arch9wavefront6targetE1EEEvT1_
; %bb.0:
	.section	.rodata,"a",@progbits
	.p2align	6, 0x0
	.amdhsa_kernel _ZN7rocprim17ROCPRIM_400000_NS6detail17trampoline_kernelINS0_14default_configENS1_27scan_by_key_config_selectorIssEEZZNS1_16scan_by_key_implILNS1_25lookback_scan_determinismE0ELb0ES3_N6thrust23THRUST_200600_302600_NS6detail15normal_iteratorINS9_10device_ptrIsEEEESE_SE_sNS9_4plusIvEENS9_8equal_toIsEEsEE10hipError_tPvRmT2_T3_T4_T5_mT6_T7_P12ihipStream_tbENKUlT_T0_E_clISt17integral_constantIbLb1EESY_IbLb0EEEEDaSU_SV_EUlSU_E_NS1_11comp_targetILNS1_3genE5ELNS1_11target_archE942ELNS1_3gpuE9ELNS1_3repE0EEENS1_30default_config_static_selectorELNS0_4arch9wavefront6targetE1EEEvT1_
		.amdhsa_group_segment_fixed_size 0
		.amdhsa_private_segment_fixed_size 0
		.amdhsa_kernarg_size 112
		.amdhsa_user_sgpr_count 6
		.amdhsa_user_sgpr_private_segment_buffer 1
		.amdhsa_user_sgpr_dispatch_ptr 0
		.amdhsa_user_sgpr_queue_ptr 0
		.amdhsa_user_sgpr_kernarg_segment_ptr 1
		.amdhsa_user_sgpr_dispatch_id 0
		.amdhsa_user_sgpr_flat_scratch_init 0
		.amdhsa_user_sgpr_kernarg_preload_length 0
		.amdhsa_user_sgpr_kernarg_preload_offset 0
		.amdhsa_user_sgpr_private_segment_size 0
		.amdhsa_uses_dynamic_stack 0
		.amdhsa_system_sgpr_private_segment_wavefront_offset 0
		.amdhsa_system_sgpr_workgroup_id_x 1
		.amdhsa_system_sgpr_workgroup_id_y 0
		.amdhsa_system_sgpr_workgroup_id_z 0
		.amdhsa_system_sgpr_workgroup_info 0
		.amdhsa_system_vgpr_workitem_id 0
		.amdhsa_next_free_vgpr 1
		.amdhsa_next_free_sgpr 0
		.amdhsa_accum_offset 4
		.amdhsa_reserve_vcc 0
		.amdhsa_reserve_flat_scratch 0
		.amdhsa_float_round_mode_32 0
		.amdhsa_float_round_mode_16_64 0
		.amdhsa_float_denorm_mode_32 3
		.amdhsa_float_denorm_mode_16_64 3
		.amdhsa_dx10_clamp 1
		.amdhsa_ieee_mode 1
		.amdhsa_fp16_overflow 0
		.amdhsa_tg_split 0
		.amdhsa_exception_fp_ieee_invalid_op 0
		.amdhsa_exception_fp_denorm_src 0
		.amdhsa_exception_fp_ieee_div_zero 0
		.amdhsa_exception_fp_ieee_overflow 0
		.amdhsa_exception_fp_ieee_underflow 0
		.amdhsa_exception_fp_ieee_inexact 0
		.amdhsa_exception_int_div_zero 0
	.end_amdhsa_kernel
	.section	.text._ZN7rocprim17ROCPRIM_400000_NS6detail17trampoline_kernelINS0_14default_configENS1_27scan_by_key_config_selectorIssEEZZNS1_16scan_by_key_implILNS1_25lookback_scan_determinismE0ELb0ES3_N6thrust23THRUST_200600_302600_NS6detail15normal_iteratorINS9_10device_ptrIsEEEESE_SE_sNS9_4plusIvEENS9_8equal_toIsEEsEE10hipError_tPvRmT2_T3_T4_T5_mT6_T7_P12ihipStream_tbENKUlT_T0_E_clISt17integral_constantIbLb1EESY_IbLb0EEEEDaSU_SV_EUlSU_E_NS1_11comp_targetILNS1_3genE5ELNS1_11target_archE942ELNS1_3gpuE9ELNS1_3repE0EEENS1_30default_config_static_selectorELNS0_4arch9wavefront6targetE1EEEvT1_,"axG",@progbits,_ZN7rocprim17ROCPRIM_400000_NS6detail17trampoline_kernelINS0_14default_configENS1_27scan_by_key_config_selectorIssEEZZNS1_16scan_by_key_implILNS1_25lookback_scan_determinismE0ELb0ES3_N6thrust23THRUST_200600_302600_NS6detail15normal_iteratorINS9_10device_ptrIsEEEESE_SE_sNS9_4plusIvEENS9_8equal_toIsEEsEE10hipError_tPvRmT2_T3_T4_T5_mT6_T7_P12ihipStream_tbENKUlT_T0_E_clISt17integral_constantIbLb1EESY_IbLb0EEEEDaSU_SV_EUlSU_E_NS1_11comp_targetILNS1_3genE5ELNS1_11target_archE942ELNS1_3gpuE9ELNS1_3repE0EEENS1_30default_config_static_selectorELNS0_4arch9wavefront6targetE1EEEvT1_,comdat
.Lfunc_end337:
	.size	_ZN7rocprim17ROCPRIM_400000_NS6detail17trampoline_kernelINS0_14default_configENS1_27scan_by_key_config_selectorIssEEZZNS1_16scan_by_key_implILNS1_25lookback_scan_determinismE0ELb0ES3_N6thrust23THRUST_200600_302600_NS6detail15normal_iteratorINS9_10device_ptrIsEEEESE_SE_sNS9_4plusIvEENS9_8equal_toIsEEsEE10hipError_tPvRmT2_T3_T4_T5_mT6_T7_P12ihipStream_tbENKUlT_T0_E_clISt17integral_constantIbLb1EESY_IbLb0EEEEDaSU_SV_EUlSU_E_NS1_11comp_targetILNS1_3genE5ELNS1_11target_archE942ELNS1_3gpuE9ELNS1_3repE0EEENS1_30default_config_static_selectorELNS0_4arch9wavefront6targetE1EEEvT1_, .Lfunc_end337-_ZN7rocprim17ROCPRIM_400000_NS6detail17trampoline_kernelINS0_14default_configENS1_27scan_by_key_config_selectorIssEEZZNS1_16scan_by_key_implILNS1_25lookback_scan_determinismE0ELb0ES3_N6thrust23THRUST_200600_302600_NS6detail15normal_iteratorINS9_10device_ptrIsEEEESE_SE_sNS9_4plusIvEENS9_8equal_toIsEEsEE10hipError_tPvRmT2_T3_T4_T5_mT6_T7_P12ihipStream_tbENKUlT_T0_E_clISt17integral_constantIbLb1EESY_IbLb0EEEEDaSU_SV_EUlSU_E_NS1_11comp_targetILNS1_3genE5ELNS1_11target_archE942ELNS1_3gpuE9ELNS1_3repE0EEENS1_30default_config_static_selectorELNS0_4arch9wavefront6targetE1EEEvT1_
                                        ; -- End function
	.section	.AMDGPU.csdata,"",@progbits
; Kernel info:
; codeLenInByte = 0
; NumSgprs: 4
; NumVgprs: 0
; NumAgprs: 0
; TotalNumVgprs: 0
; ScratchSize: 0
; MemoryBound: 0
; FloatMode: 240
; IeeeMode: 1
; LDSByteSize: 0 bytes/workgroup (compile time only)
; SGPRBlocks: 0
; VGPRBlocks: 0
; NumSGPRsForWavesPerEU: 4
; NumVGPRsForWavesPerEU: 1
; AccumOffset: 4
; Occupancy: 8
; WaveLimiterHint : 0
; COMPUTE_PGM_RSRC2:SCRATCH_EN: 0
; COMPUTE_PGM_RSRC2:USER_SGPR: 6
; COMPUTE_PGM_RSRC2:TRAP_HANDLER: 0
; COMPUTE_PGM_RSRC2:TGID_X_EN: 1
; COMPUTE_PGM_RSRC2:TGID_Y_EN: 0
; COMPUTE_PGM_RSRC2:TGID_Z_EN: 0
; COMPUTE_PGM_RSRC2:TIDIG_COMP_CNT: 0
; COMPUTE_PGM_RSRC3_GFX90A:ACCUM_OFFSET: 0
; COMPUTE_PGM_RSRC3_GFX90A:TG_SPLIT: 0
	.section	.text._ZN7rocprim17ROCPRIM_400000_NS6detail17trampoline_kernelINS0_14default_configENS1_27scan_by_key_config_selectorIssEEZZNS1_16scan_by_key_implILNS1_25lookback_scan_determinismE0ELb0ES3_N6thrust23THRUST_200600_302600_NS6detail15normal_iteratorINS9_10device_ptrIsEEEESE_SE_sNS9_4plusIvEENS9_8equal_toIsEEsEE10hipError_tPvRmT2_T3_T4_T5_mT6_T7_P12ihipStream_tbENKUlT_T0_E_clISt17integral_constantIbLb1EESY_IbLb0EEEEDaSU_SV_EUlSU_E_NS1_11comp_targetILNS1_3genE4ELNS1_11target_archE910ELNS1_3gpuE8ELNS1_3repE0EEENS1_30default_config_static_selectorELNS0_4arch9wavefront6targetE1EEEvT1_,"axG",@progbits,_ZN7rocprim17ROCPRIM_400000_NS6detail17trampoline_kernelINS0_14default_configENS1_27scan_by_key_config_selectorIssEEZZNS1_16scan_by_key_implILNS1_25lookback_scan_determinismE0ELb0ES3_N6thrust23THRUST_200600_302600_NS6detail15normal_iteratorINS9_10device_ptrIsEEEESE_SE_sNS9_4plusIvEENS9_8equal_toIsEEsEE10hipError_tPvRmT2_T3_T4_T5_mT6_T7_P12ihipStream_tbENKUlT_T0_E_clISt17integral_constantIbLb1EESY_IbLb0EEEEDaSU_SV_EUlSU_E_NS1_11comp_targetILNS1_3genE4ELNS1_11target_archE910ELNS1_3gpuE8ELNS1_3repE0EEENS1_30default_config_static_selectorELNS0_4arch9wavefront6targetE1EEEvT1_,comdat
	.protected	_ZN7rocprim17ROCPRIM_400000_NS6detail17trampoline_kernelINS0_14default_configENS1_27scan_by_key_config_selectorIssEEZZNS1_16scan_by_key_implILNS1_25lookback_scan_determinismE0ELb0ES3_N6thrust23THRUST_200600_302600_NS6detail15normal_iteratorINS9_10device_ptrIsEEEESE_SE_sNS9_4plusIvEENS9_8equal_toIsEEsEE10hipError_tPvRmT2_T3_T4_T5_mT6_T7_P12ihipStream_tbENKUlT_T0_E_clISt17integral_constantIbLb1EESY_IbLb0EEEEDaSU_SV_EUlSU_E_NS1_11comp_targetILNS1_3genE4ELNS1_11target_archE910ELNS1_3gpuE8ELNS1_3repE0EEENS1_30default_config_static_selectorELNS0_4arch9wavefront6targetE1EEEvT1_ ; -- Begin function _ZN7rocprim17ROCPRIM_400000_NS6detail17trampoline_kernelINS0_14default_configENS1_27scan_by_key_config_selectorIssEEZZNS1_16scan_by_key_implILNS1_25lookback_scan_determinismE0ELb0ES3_N6thrust23THRUST_200600_302600_NS6detail15normal_iteratorINS9_10device_ptrIsEEEESE_SE_sNS9_4plusIvEENS9_8equal_toIsEEsEE10hipError_tPvRmT2_T3_T4_T5_mT6_T7_P12ihipStream_tbENKUlT_T0_E_clISt17integral_constantIbLb1EESY_IbLb0EEEEDaSU_SV_EUlSU_E_NS1_11comp_targetILNS1_3genE4ELNS1_11target_archE910ELNS1_3gpuE8ELNS1_3repE0EEENS1_30default_config_static_selectorELNS0_4arch9wavefront6targetE1EEEvT1_
	.globl	_ZN7rocprim17ROCPRIM_400000_NS6detail17trampoline_kernelINS0_14default_configENS1_27scan_by_key_config_selectorIssEEZZNS1_16scan_by_key_implILNS1_25lookback_scan_determinismE0ELb0ES3_N6thrust23THRUST_200600_302600_NS6detail15normal_iteratorINS9_10device_ptrIsEEEESE_SE_sNS9_4plusIvEENS9_8equal_toIsEEsEE10hipError_tPvRmT2_T3_T4_T5_mT6_T7_P12ihipStream_tbENKUlT_T0_E_clISt17integral_constantIbLb1EESY_IbLb0EEEEDaSU_SV_EUlSU_E_NS1_11comp_targetILNS1_3genE4ELNS1_11target_archE910ELNS1_3gpuE8ELNS1_3repE0EEENS1_30default_config_static_selectorELNS0_4arch9wavefront6targetE1EEEvT1_
	.p2align	8
	.type	_ZN7rocprim17ROCPRIM_400000_NS6detail17trampoline_kernelINS0_14default_configENS1_27scan_by_key_config_selectorIssEEZZNS1_16scan_by_key_implILNS1_25lookback_scan_determinismE0ELb0ES3_N6thrust23THRUST_200600_302600_NS6detail15normal_iteratorINS9_10device_ptrIsEEEESE_SE_sNS9_4plusIvEENS9_8equal_toIsEEsEE10hipError_tPvRmT2_T3_T4_T5_mT6_T7_P12ihipStream_tbENKUlT_T0_E_clISt17integral_constantIbLb1EESY_IbLb0EEEEDaSU_SV_EUlSU_E_NS1_11comp_targetILNS1_3genE4ELNS1_11target_archE910ELNS1_3gpuE8ELNS1_3repE0EEENS1_30default_config_static_selectorELNS0_4arch9wavefront6targetE1EEEvT1_,@function
_ZN7rocprim17ROCPRIM_400000_NS6detail17trampoline_kernelINS0_14default_configENS1_27scan_by_key_config_selectorIssEEZZNS1_16scan_by_key_implILNS1_25lookback_scan_determinismE0ELb0ES3_N6thrust23THRUST_200600_302600_NS6detail15normal_iteratorINS9_10device_ptrIsEEEESE_SE_sNS9_4plusIvEENS9_8equal_toIsEEsEE10hipError_tPvRmT2_T3_T4_T5_mT6_T7_P12ihipStream_tbENKUlT_T0_E_clISt17integral_constantIbLb1EESY_IbLb0EEEEDaSU_SV_EUlSU_E_NS1_11comp_targetILNS1_3genE4ELNS1_11target_archE910ELNS1_3gpuE8ELNS1_3repE0EEENS1_30default_config_static_selectorELNS0_4arch9wavefront6targetE1EEEvT1_: ; @_ZN7rocprim17ROCPRIM_400000_NS6detail17trampoline_kernelINS0_14default_configENS1_27scan_by_key_config_selectorIssEEZZNS1_16scan_by_key_implILNS1_25lookback_scan_determinismE0ELb0ES3_N6thrust23THRUST_200600_302600_NS6detail15normal_iteratorINS9_10device_ptrIsEEEESE_SE_sNS9_4plusIvEENS9_8equal_toIsEEsEE10hipError_tPvRmT2_T3_T4_T5_mT6_T7_P12ihipStream_tbENKUlT_T0_E_clISt17integral_constantIbLb1EESY_IbLb0EEEEDaSU_SV_EUlSU_E_NS1_11comp_targetILNS1_3genE4ELNS1_11target_archE910ELNS1_3gpuE8ELNS1_3repE0EEENS1_30default_config_static_selectorELNS0_4arch9wavefront6targetE1EEEvT1_
; %bb.0:
	s_load_dwordx8 s[48:55], s[4:5], 0x0
	s_load_dwordx4 s[64:67], s[4:5], 0x28
	s_load_dwordx2 s[70:71], s[4:5], 0x38
	s_load_dword s0, s[4:5], 0x40
	s_load_dwordx8 s[56:63], s[4:5], 0x48
	s_waitcnt lgkmcnt(0)
	s_lshl_b64 s[68:69], s[50:51], 1
	s_add_u32 s2, s48, s68
	s_addc_u32 s3, s49, s69
	s_add_u32 s4, s52, s68
	s_mul_i32 s1, s71, s0
	s_mul_hi_u32 s7, s70, s0
	s_addc_u32 s5, s53, s69
	s_add_i32 s8, s7, s1
	s_mul_i32 s9, s70, s0
	s_cmp_lg_u64 s[60:61], 0
	s_mul_i32 s0, s6, 0x1600
	s_mov_b32 s1, 0
	s_cselect_b64 s[60:61], -1, 0
	s_lshl_b64 s[52:53], s[0:1], 1
	s_add_u32 s50, s2, s52
	s_addc_u32 s51, s3, s53
	s_add_u32 s7, s4, s52
	s_addc_u32 s67, s5, s53
	;; [unrolled: 2-line block ×3, first 2 shown]
	s_add_u32 s2, s56, -1
	s_addc_u32 s3, s57, -1
	v_pk_mov_b32 v[2:3], s[2:3], s[2:3] op_sel:[0,1]
	v_cmp_ge_u64_e64 s[0:1], s[72:73], v[2:3]
	s_mov_b64 s[10:11], 0
	s_mov_b64 s[4:5], -1
	s_and_b64 vcc, exec, s[0:1]
	s_mul_i32 s33, s2, 0xffffea00
	s_barrier
	s_cbranch_vccz .LBB338_117
; %bb.1:
	v_pk_mov_b32 v[2:3], s[50:51], s[50:51] op_sel:[0,1]
	flat_load_ushort v6, v[2:3]
	s_add_i32 s77, s33, s66
	v_cmp_gt_u32_e64 s[2:3], s77, v0
	s_waitcnt vmcnt(0) lgkmcnt(0)
	v_mov_b32_e32 v7, v6
	s_and_saveexec_b64 s[4:5], s[2:3]
	s_cbranch_execz .LBB338_3
; %bb.2:
	v_lshlrev_b32_e32 v1, 1, v0
	v_mov_b32_e32 v3, s51
	v_add_co_u32_e32 v2, vcc, s50, v1
	v_addc_co_u32_e32 v3, vcc, 0, v3, vcc
	flat_load_ushort v7, v[2:3]
.LBB338_3:
	s_or_b64 exec, exec, s[4:5]
	v_or_b32_e32 v1, 0x100, v0
	v_cmp_gt_u32_e64 s[4:5], s77, v1
	v_mov_b32_e32 v8, v6
	s_and_saveexec_b64 s[8:9], s[4:5]
	s_cbranch_execz .LBB338_5
; %bb.4:
	v_lshlrev_b32_e32 v1, 1, v0
	v_mov_b32_e32 v3, s51
	v_add_co_u32_e32 v2, vcc, s50, v1
	v_addc_co_u32_e32 v3, vcc, 0, v3, vcc
	flat_load_ushort v8, v[2:3] offset:512
.LBB338_5:
	s_or_b64 exec, exec, s[8:9]
	v_or_b32_e32 v1, 0x200, v0
	v_cmp_gt_u32_e64 s[48:49], s77, v1
	v_mov_b32_e32 v9, v6
	s_and_saveexec_b64 s[8:9], s[48:49]
	s_cbranch_execz .LBB338_7
; %bb.6:
	v_lshlrev_b32_e32 v1, 1, v0
	v_mov_b32_e32 v3, s51
	v_add_co_u32_e32 v2, vcc, s50, v1
	v_addc_co_u32_e32 v3, vcc, 0, v3, vcc
	flat_load_ushort v9, v[2:3] offset:1024
.LBB338_7:
	;; [unrolled: 13-line block ×7, first 2 shown]
	s_or_b64 exec, exec, s[18:19]
	v_or_b32_e32 v1, 0x800, v0
	v_cmp_gt_u32_e64 s[18:19], s77, v1
	v_mov_b32_e32 v15, v6
	s_and_saveexec_b64 s[20:21], s[18:19]
	s_cbranch_execz .LBB338_19
; %bb.18:
	v_lshlrev_b32_e32 v2, 1, v1
	v_mov_b32_e32 v3, s51
	v_add_co_u32_e32 v2, vcc, s50, v2
	v_addc_co_u32_e32 v3, vcc, 0, v3, vcc
	flat_load_ushort v15, v[2:3]
.LBB338_19:
	s_or_b64 exec, exec, s[20:21]
	v_or_b32_e32 v2, 0x900, v0
	v_cmp_gt_u32_e64 s[20:21], s77, v2
	v_mov_b32_e32 v26, v6
	s_and_saveexec_b64 s[22:23], s[20:21]
	s_cbranch_execz .LBB338_21
; %bb.20:
	v_lshlrev_b32_e32 v3, 1, v2
	v_mov_b32_e32 v5, s51
	v_add_co_u32_e32 v4, vcc, s50, v3
	v_addc_co_u32_e32 v5, vcc, 0, v5, vcc
	flat_load_ushort v26, v[4:5]
.LBB338_21:
	s_or_b64 exec, exec, s[22:23]
	v_or_b32_e32 v3, 0xa00, v0
	v_cmp_gt_u32_e64 s[22:23], s77, v3
	v_mov_b32_e32 v27, v6
	s_and_saveexec_b64 s[24:25], s[22:23]
	s_cbranch_execz .LBB338_23
; %bb.22:
	v_lshlrev_b32_e32 v4, 1, v3
	v_mov_b32_e32 v5, s51
	v_add_co_u32_e32 v4, vcc, s50, v4
	v_addc_co_u32_e32 v5, vcc, 0, v5, vcc
	flat_load_ushort v27, v[4:5]
.LBB338_23:
	s_or_b64 exec, exec, s[24:25]
	v_or_b32_e32 v4, 0xb00, v0
	v_cmp_gt_u32_e64 s[24:25], s77, v4
	v_mov_b32_e32 v28, v6
	s_and_saveexec_b64 s[26:27], s[24:25]
	s_cbranch_execz .LBB338_25
; %bb.24:
	v_lshlrev_b32_e32 v5, 1, v4
	v_mov_b32_e32 v17, s51
	v_add_co_u32_e32 v16, vcc, s50, v5
	v_addc_co_u32_e32 v17, vcc, 0, v17, vcc
	flat_load_ushort v28, v[16:17]
.LBB338_25:
	s_or_b64 exec, exec, s[26:27]
	v_or_b32_e32 v5, 0xc00, v0
	v_cmp_gt_u32_e64 s[26:27], s77, v5
	v_mov_b32_e32 v29, v6
	s_and_saveexec_b64 s[28:29], s[26:27]
	s_cbranch_execz .LBB338_27
; %bb.26:
	v_lshlrev_b32_e32 v16, 1, v5
	v_mov_b32_e32 v17, s51
	v_add_co_u32_e32 v16, vcc, s50, v16
	v_addc_co_u32_e32 v17, vcc, 0, v17, vcc
	flat_load_ushort v29, v[16:17]
.LBB338_27:
	s_or_b64 exec, exec, s[28:29]
	v_or_b32_e32 v16, 0xd00, v0
	v_cmp_gt_u32_e64 s[28:29], s77, v16
	v_mov_b32_e32 v30, v6
	s_and_saveexec_b64 s[30:31], s[28:29]
	s_cbranch_execz .LBB338_29
; %bb.28:
	v_lshlrev_b32_e32 v17, 1, v16
	v_mov_b32_e32 v19, s51
	v_add_co_u32_e32 v18, vcc, s50, v17
	v_addc_co_u32_e32 v19, vcc, 0, v19, vcc
	flat_load_ushort v30, v[18:19]
.LBB338_29:
	s_or_b64 exec, exec, s[30:31]
	v_or_b32_e32 v17, 0xe00, v0
	v_cmp_gt_u32_e64 s[30:31], s77, v17
	v_mov_b32_e32 v31, v6
	s_and_saveexec_b64 s[34:35], s[30:31]
	s_cbranch_execz .LBB338_31
; %bb.30:
	v_lshlrev_b32_e32 v18, 1, v17
	v_mov_b32_e32 v19, s51
	v_add_co_u32_e32 v18, vcc, s50, v18
	v_addc_co_u32_e32 v19, vcc, 0, v19, vcc
	flat_load_ushort v31, v[18:19]
.LBB338_31:
	s_or_b64 exec, exec, s[34:35]
	v_or_b32_e32 v19, 0xf00, v0
	v_cmp_gt_u32_e64 s[34:35], s77, v19
	v_mov_b32_e32 v32, v6
	s_and_saveexec_b64 s[36:37], s[34:35]
	s_cbranch_execz .LBB338_33
; %bb.32:
	v_lshlrev_b32_e32 v18, 1, v19
	v_mov_b32_e32 v21, s51
	v_add_co_u32_e32 v20, vcc, s50, v18
	v_addc_co_u32_e32 v21, vcc, 0, v21, vcc
	flat_load_ushort v32, v[20:21]
.LBB338_33:
	s_or_b64 exec, exec, s[36:37]
	v_or_b32_e32 v20, 0x1000, v0
	v_cmp_gt_u32_e64 s[36:37], s77, v20
	v_mov_b32_e32 v33, v6
	s_and_saveexec_b64 s[38:39], s[36:37]
	s_cbranch_execz .LBB338_35
; %bb.34:
	v_lshlrev_b32_e32 v18, 1, v20
	v_mov_b32_e32 v21, s51
	v_add_co_u32_e32 v22, vcc, s50, v18
	v_addc_co_u32_e32 v23, vcc, 0, v21, vcc
	flat_load_ushort v33, v[22:23]
.LBB338_35:
	s_or_b64 exec, exec, s[38:39]
	v_or_b32_e32 v21, 0x1100, v0
	v_cmp_gt_u32_e64 s[38:39], s77, v21
	v_mov_b32_e32 v34, v6
	s_and_saveexec_b64 s[40:41], s[38:39]
	s_cbranch_execz .LBB338_37
; %bb.36:
	v_lshlrev_b32_e32 v18, 1, v21
	v_mov_b32_e32 v23, s51
	v_add_co_u32_e32 v22, vcc, s50, v18
	v_addc_co_u32_e32 v23, vcc, 0, v23, vcc
	flat_load_ushort v34, v[22:23]
.LBB338_37:
	s_or_b64 exec, exec, s[40:41]
	v_or_b32_e32 v22, 0x1200, v0
	v_cmp_gt_u32_e64 s[40:41], s77, v22
	v_mov_b32_e32 v35, v6
	s_and_saveexec_b64 s[42:43], s[40:41]
	s_cbranch_execz .LBB338_39
; %bb.38:
	v_lshlrev_b32_e32 v18, 1, v22
	v_mov_b32_e32 v23, s51
	v_add_co_u32_e32 v24, vcc, s50, v18
	v_addc_co_u32_e32 v25, vcc, 0, v23, vcc
	flat_load_ushort v35, v[24:25]
.LBB338_39:
	s_or_b64 exec, exec, s[42:43]
	v_or_b32_e32 v23, 0x1300, v0
	v_cmp_gt_u32_e64 s[42:43], s77, v23
	v_mov_b32_e32 v36, v6
	s_and_saveexec_b64 s[44:45], s[42:43]
	s_cbranch_execz .LBB338_41
; %bb.40:
	v_lshlrev_b32_e32 v18, 1, v23
	v_mov_b32_e32 v25, s51
	v_add_co_u32_e32 v24, vcc, s50, v18
	v_addc_co_u32_e32 v25, vcc, 0, v25, vcc
	flat_load_ushort v36, v[24:25]
.LBB338_41:
	s_or_b64 exec, exec, s[44:45]
	v_or_b32_e32 v24, 0x1400, v0
	v_cmp_gt_u32_e64 s[44:45], s77, v24
	v_mov_b32_e32 v37, v6
	s_and_saveexec_b64 s[46:47], s[44:45]
	s_cbranch_execz .LBB338_43
; %bb.42:
	v_lshlrev_b32_e32 v18, 1, v24
	v_mov_b32_e32 v25, s51
	v_add_co_u32_e32 v38, vcc, s50, v18
	v_addc_co_u32_e32 v39, vcc, 0, v25, vcc
	flat_load_ushort v37, v[38:39]
.LBB338_43:
	s_or_b64 exec, exec, s[46:47]
	v_or_b32_e32 v25, 0x1500, v0
	v_cmp_gt_u32_e64 s[46:47], s77, v25
	s_and_saveexec_b64 s[56:57], s[46:47]
	s_cbranch_execz .LBB338_45
; %bb.44:
	v_lshlrev_b32_e32 v6, 1, v25
	v_mov_b32_e32 v18, s51
	v_add_co_u32_e32 v38, vcc, s50, v6
	v_addc_co_u32_e32 v39, vcc, 0, v18, vcc
	flat_load_ushort v6, v[38:39]
.LBB338_45:
	s_or_b64 exec, exec, s[56:57]
	v_lshlrev_b32_e32 v18, 1, v0
	s_waitcnt vmcnt(0) lgkmcnt(0)
	ds_write_b16 v18, v7
	ds_write_b16 v18, v8 offset:512
	ds_write_b16 v18, v9 offset:1024
	ds_write_b16 v18, v10 offset:1536
	ds_write_b16 v18, v11 offset:2048
	ds_write_b16 v18, v12 offset:2560
	ds_write_b16 v18, v13 offset:3072
	ds_write_b16 v18, v14 offset:3584
	ds_write_b16 v18, v15 offset:4096
	ds_write_b16 v18, v26 offset:4608
	ds_write_b16 v18, v27 offset:5120
	ds_write_b16 v18, v28 offset:5632
	ds_write_b16 v18, v29 offset:6144
	ds_write_b16 v18, v30 offset:6656
	ds_write_b16 v18, v31 offset:7168
	ds_write_b16 v18, v32 offset:7680
	ds_write_b16 v18, v33 offset:8192
	ds_write_b16 v18, v34 offset:8704
	ds_write_b16 v18, v35 offset:9216
	ds_write_b16 v18, v36 offset:9728
	ds_write_b16 v18, v37 offset:10240
	ds_write_b16 v18, v6 offset:10752
	v_mad_u32_u24 v37, v0, 42, v18
	s_waitcnt lgkmcnt(0)
	s_barrier
	ds_read2_b32 v[14:15], v37 offset1:1
	ds_read2_b32 v[12:13], v37 offset0:2 offset1:3
	ds_read2_b32 v[10:11], v37 offset0:4 offset1:5
	;; [unrolled: 1-line block ×4, first 2 shown]
	ds_read_b32 v38, v37 offset:40
	s_cmp_eq_u64 s[72:73], 0
	s_mov_b64 s[56:57], s[50:51]
	s_cbranch_scc1 .LBB338_49
; %bb.46:
	s_andn2_b64 vcc, exec, s[60:61]
	s_cbranch_vccnz .LBB338_287
; %bb.47:
	s_lshl_b64 s[56:57], s[72:73], 1
	s_add_u32 s56, s62, s56
	s_addc_u32 s57, s63, s57
	s_add_u32 s56, s56, -2
	s_addc_u32 s57, s57, -1
	s_cbranch_execnz .LBB338_49
.LBB338_48:
	s_add_u32 s56, s50, -2
	s_addc_u32 s57, s51, -1
.LBB338_49:
	v_pk_mov_b32 v[26:27], s[56:57], s[56:57] op_sel:[0,1]
	flat_load_ushort v41, v[26:27]
	s_movk_i32 s56, 0xffd6
	s_waitcnt lgkmcnt(0)
	v_lshrrev_b32_e32 v39, 16, v38
	v_mad_i32_i24 v26, v0, s56, v37
	v_cmp_ne_u32_e32 vcc, 0, v0
	ds_write_b16 v26, v39 offset:11264
	s_waitcnt lgkmcnt(0)
	s_barrier
	s_and_saveexec_b64 s[56:57], vcc
	s_cbranch_execz .LBB338_51
; %bb.50:
	v_mul_i32_i24_e32 v26, 0xffffffd6, v0
	v_add_u32_e32 v26, v37, v26
	s_waitcnt vmcnt(0)
	ds_read_u16 v41, v26 offset:11262
.LBB338_51:
	s_or_b64 exec, exec, s[56:57]
	s_waitcnt lgkmcnt(0)
	s_barrier
	s_waitcnt lgkmcnt(0)
                                        ; implicit-def: $vgpr26
	s_and_saveexec_b64 s[56:57], s[2:3]
	s_cbranch_execnz .LBB338_264
; %bb.52:
	s_or_b64 exec, exec, s[56:57]
                                        ; implicit-def: $vgpr27
	s_and_saveexec_b64 s[2:3], s[4:5]
	s_cbranch_execnz .LBB338_265
.LBB338_53:
	s_or_b64 exec, exec, s[2:3]
                                        ; implicit-def: $vgpr28
	s_and_saveexec_b64 s[2:3], s[48:49]
	s_cbranch_execnz .LBB338_266
.LBB338_54:
	s_or_b64 exec, exec, s[2:3]
                                        ; implicit-def: $vgpr29
	s_and_saveexec_b64 s[2:3], s[8:9]
	s_cbranch_execnz .LBB338_267
.LBB338_55:
	s_or_b64 exec, exec, s[2:3]
                                        ; implicit-def: $vgpr30
	s_and_saveexec_b64 s[2:3], s[10:11]
	s_cbranch_execnz .LBB338_268
.LBB338_56:
	s_or_b64 exec, exec, s[2:3]
                                        ; implicit-def: $vgpr31
	s_and_saveexec_b64 s[2:3], s[12:13]
	s_cbranch_execnz .LBB338_269
.LBB338_57:
	s_or_b64 exec, exec, s[2:3]
                                        ; implicit-def: $vgpr32
	s_and_saveexec_b64 s[2:3], s[14:15]
	s_cbranch_execnz .LBB338_270
.LBB338_58:
	s_or_b64 exec, exec, s[2:3]
                                        ; implicit-def: $vgpr33
	s_and_saveexec_b64 s[2:3], s[16:17]
	s_cbranch_execnz .LBB338_271
.LBB338_59:
	s_or_b64 exec, exec, s[2:3]
                                        ; implicit-def: $vgpr34
	s_and_saveexec_b64 s[2:3], s[18:19]
	s_cbranch_execnz .LBB338_272
.LBB338_60:
	s_or_b64 exec, exec, s[2:3]
                                        ; implicit-def: $vgpr1
	s_and_saveexec_b64 s[2:3], s[20:21]
	s_cbranch_execnz .LBB338_273
.LBB338_61:
	s_or_b64 exec, exec, s[2:3]
                                        ; implicit-def: $vgpr2
	s_and_saveexec_b64 s[2:3], s[22:23]
	s_cbranch_execnz .LBB338_274
.LBB338_62:
	s_or_b64 exec, exec, s[2:3]
                                        ; implicit-def: $vgpr3
	s_and_saveexec_b64 s[2:3], s[24:25]
	s_cbranch_execnz .LBB338_275
.LBB338_63:
	s_or_b64 exec, exec, s[2:3]
                                        ; implicit-def: $vgpr4
	s_and_saveexec_b64 s[2:3], s[26:27]
	s_cbranch_execnz .LBB338_276
.LBB338_64:
	s_or_b64 exec, exec, s[2:3]
                                        ; implicit-def: $vgpr5
	s_and_saveexec_b64 s[2:3], s[28:29]
	s_cbranch_execnz .LBB338_277
.LBB338_65:
	s_or_b64 exec, exec, s[2:3]
                                        ; implicit-def: $vgpr16
	s_and_saveexec_b64 s[2:3], s[30:31]
	s_cbranch_execnz .LBB338_278
.LBB338_66:
	s_or_b64 exec, exec, s[2:3]
                                        ; implicit-def: $vgpr17
	s_and_saveexec_b64 s[2:3], s[34:35]
	s_cbranch_execnz .LBB338_279
.LBB338_67:
	s_or_b64 exec, exec, s[2:3]
                                        ; implicit-def: $vgpr19
	s_and_saveexec_b64 s[2:3], s[36:37]
	s_cbranch_execnz .LBB338_280
.LBB338_68:
	s_or_b64 exec, exec, s[2:3]
                                        ; implicit-def: $vgpr20
	s_and_saveexec_b64 s[2:3], s[38:39]
	s_cbranch_execnz .LBB338_281
.LBB338_69:
	s_or_b64 exec, exec, s[2:3]
                                        ; implicit-def: $vgpr21
	s_and_saveexec_b64 s[2:3], s[40:41]
	s_cbranch_execnz .LBB338_282
.LBB338_70:
	s_or_b64 exec, exec, s[2:3]
                                        ; implicit-def: $vgpr22
	s_and_saveexec_b64 s[2:3], s[42:43]
	s_cbranch_execnz .LBB338_283
.LBB338_71:
	s_or_b64 exec, exec, s[2:3]
                                        ; implicit-def: $vgpr23
	s_and_saveexec_b64 s[2:3], s[44:45]
	s_cbranch_execnz .LBB338_284
.LBB338_72:
	s_or_b64 exec, exec, s[2:3]
                                        ; implicit-def: $vgpr24
	s_and_saveexec_b64 s[2:3], s[46:47]
	s_cbranch_execz .LBB338_74
.LBB338_73:
	v_lshlrev_b32_e32 v24, 1, v25
	v_mov_b32_e32 v25, s67
	v_add_co_u32_e32 v24, vcc, s7, v24
	v_addc_co_u32_e32 v25, vcc, 0, v25, vcc
	flat_load_ushort v24, v[24:25]
.LBB338_74:
	s_or_b64 exec, exec, s[2:3]
	v_mul_u32_u24_e32 v40, 22, v0
	s_waitcnt vmcnt(0) lgkmcnt(0)
	ds_write_b16 v18, v26
	ds_write_b16 v18, v27 offset:512
	ds_write_b16 v18, v28 offset:1024
	ds_write_b16 v18, v29 offset:1536
	ds_write_b16 v18, v30 offset:2048
	ds_write_b16 v18, v31 offset:2560
	ds_write_b16 v18, v32 offset:3072
	ds_write_b16 v18, v33 offset:3584
	ds_write_b16 v18, v34 offset:4096
	ds_write_b16 v18, v1 offset:4608
	ds_write_b16 v18, v2 offset:5120
	ds_write_b16 v18, v3 offset:5632
	ds_write_b16 v18, v4 offset:6144
	ds_write_b16 v18, v5 offset:6656
	ds_write_b16 v18, v16 offset:7168
	ds_write_b16 v18, v17 offset:7680
	ds_write_b16 v18, v19 offset:8192
	ds_write_b16 v18, v20 offset:8704
	ds_write_b16 v18, v21 offset:9216
	ds_write_b16 v18, v22 offset:9728
	ds_write_b16 v18, v23 offset:10240
	ds_write_b16 v18, v24 offset:10752
	v_cmp_gt_u32_e32 vcc, s77, v40
	s_mov_b64 s[4:5], 0
	s_mov_b32 s76, 0
	v_mov_b32_e32 v1, 0
	s_mov_b64 s[10:11], 0
	v_mov_b32_e32 v16, 0
	v_mov_b32_e32 v17, 0
	;; [unrolled: 1-line block ×20, first 2 shown]
	s_waitcnt lgkmcnt(0)
	s_barrier
	s_waitcnt lgkmcnt(0)
                                        ; implicit-def: $sgpr2_sgpr3
                                        ; implicit-def: $vgpr36
	s_and_saveexec_b64 s[8:9], vcc
	s_cbranch_execz .LBB338_116
; %bb.75:
	ds_read_u16 v1, v37
	v_cmp_ne_u16_e32 vcc, v41, v14
	v_or_b32_e32 v2, 1, v40
	v_cndmask_b32_e64 v3, 0, 1, vcc
	v_cmp_gt_u32_e32 vcc, s77, v2
	s_waitcnt lgkmcnt(0)
	v_lshl_or_b32 v1, v3, 16, v1
	s_mov_b64 s[12:13], 0
	v_mov_b32_e32 v16, 0
	v_mov_b32_e32 v17, 0
	;; [unrolled: 1-line block ×20, first 2 shown]
                                        ; implicit-def: $sgpr2_sgpr3
                                        ; implicit-def: $vgpr36
	s_and_saveexec_b64 s[10:11], vcc
	s_cbranch_execz .LBB338_115
; %bb.76:
	ds_read_b128 v[2:5], v37 offset:2
	v_add_u32_e32 v16, 2, v40
	v_cmp_ne_u16_sdwa s[2:3], v14, v14 src0_sel:DWORD src1_sel:WORD_1
	v_cndmask_b32_e64 v17, 0, 1, s[2:3]
	v_cmp_gt_u32_e32 vcc, s77, v16
	s_waitcnt lgkmcnt(0)
	v_and_b32_e32 v16, 0xffff, v2
	v_lshl_or_b32 v16, v17, 16, v16
	s_mov_b64 s[14:15], 0
	v_mov_b32_e32 v17, 0
	v_mov_b32_e32 v18, 0
	;; [unrolled: 1-line block ×19, first 2 shown]
                                        ; implicit-def: $sgpr2_sgpr3
                                        ; implicit-def: $vgpr36
	s_and_saveexec_b64 s[12:13], vcc
	s_cbranch_execz .LBB338_114
; %bb.77:
	v_cmp_ne_u16_sdwa s[2:3], v14, v15 src0_sel:WORD_1 src1_sel:DWORD
	v_add_u32_e32 v18, 3, v40
	v_cndmask_b32_e64 v14, 0, 1, s[2:3]
	v_alignbit_b32 v17, v14, v2, 16
	v_cmp_gt_u32_e32 vcc, s77, v18
	s_mov_b64 s[16:17], 0
	v_mov_b32_e32 v18, 0
	v_mov_b32_e32 v19, 0
	;; [unrolled: 1-line block ×18, first 2 shown]
                                        ; implicit-def: $sgpr2_sgpr3
                                        ; implicit-def: $vgpr36
	s_and_saveexec_b64 s[14:15], vcc
	s_cbranch_execz .LBB338_113
; %bb.78:
	v_cmp_ne_u16_sdwa s[2:3], v15, v15 src0_sel:DWORD src1_sel:WORD_1
	v_and_b32_e32 v2, 0xffff, v3
	v_add_u32_e32 v14, 4, v40
	v_cndmask_b32_e64 v18, 0, 1, s[2:3]
	v_lshl_or_b32 v18, v18, 16, v2
	v_cmp_gt_u32_e32 vcc, s77, v14
	s_mov_b64 s[18:19], 0
	v_mov_b32_e32 v19, 0
	v_mov_b32_e32 v20, 0
	;; [unrolled: 1-line block ×17, first 2 shown]
                                        ; implicit-def: $sgpr2_sgpr3
                                        ; implicit-def: $vgpr36
	s_and_saveexec_b64 s[16:17], vcc
	s_cbranch_execz .LBB338_112
; %bb.79:
	v_cmp_ne_u16_sdwa s[2:3], v15, v12 src0_sel:WORD_1 src1_sel:DWORD
	v_add_u32_e32 v2, 5, v40
	v_cndmask_b32_e64 v14, 0, 1, s[2:3]
	v_alignbit_b32 v19, v14, v3, 16
	v_cmp_gt_u32_e32 vcc, s77, v2
	s_mov_b64 s[20:21], 0
	v_mov_b32_e32 v20, 0
	v_mov_b32_e32 v21, 0
	;; [unrolled: 1-line block ×16, first 2 shown]
                                        ; implicit-def: $sgpr2_sgpr3
                                        ; implicit-def: $vgpr36
	s_and_saveexec_b64 s[18:19], vcc
	s_cbranch_execz .LBB338_111
; %bb.80:
	v_cmp_ne_u16_sdwa s[2:3], v12, v12 src0_sel:DWORD src1_sel:WORD_1
	v_and_b32_e32 v2, 0xffff, v4
	v_add_u32_e32 v3, 6, v40
	v_cndmask_b32_e64 v14, 0, 1, s[2:3]
	v_lshl_or_b32 v20, v14, 16, v2
	v_cmp_gt_u32_e32 vcc, s77, v3
	s_mov_b64 s[22:23], 0
	v_mov_b32_e32 v21, 0
	v_mov_b32_e32 v22, 0
	;; [unrolled: 1-line block ×15, first 2 shown]
                                        ; implicit-def: $sgpr2_sgpr3
                                        ; implicit-def: $vgpr36
	s_and_saveexec_b64 s[20:21], vcc
	s_cbranch_execz .LBB338_110
; %bb.81:
	v_cmp_ne_u16_sdwa s[2:3], v12, v13 src0_sel:WORD_1 src1_sel:DWORD
	v_add_u32_e32 v2, 7, v40
	v_cndmask_b32_e64 v3, 0, 1, s[2:3]
	v_alignbit_b32 v21, v3, v4, 16
	v_cmp_gt_u32_e32 vcc, s77, v2
	s_mov_b64 s[24:25], 0
	v_mov_b32_e32 v22, 0
	v_mov_b32_e32 v23, 0
	v_mov_b32_e32 v24, 0
	v_mov_b32_e32 v25, 0
	v_mov_b32_e32 v26, 0
	v_mov_b32_e32 v27, 0
	v_mov_b32_e32 v28, 0
	v_mov_b32_e32 v29, 0
	v_mov_b32_e32 v30, 0
	v_mov_b32_e32 v31, 0
	v_mov_b32_e32 v32, 0
	v_mov_b32_e32 v33, 0
	v_mov_b32_e32 v34, 0
	v_mov_b32_e32 v35, 0
                                        ; implicit-def: $sgpr2_sgpr3
                                        ; implicit-def: $vgpr36
	s_and_saveexec_b64 s[22:23], vcc
	s_cbranch_execz .LBB338_109
; %bb.82:
	v_cmp_ne_u16_sdwa s[2:3], v13, v13 src0_sel:DWORD src1_sel:WORD_1
	v_and_b32_e32 v2, 0xffff, v5
	v_add_u32_e32 v3, 8, v40
	v_cndmask_b32_e64 v4, 0, 1, s[2:3]
	v_lshl_or_b32 v22, v4, 16, v2
	v_cmp_gt_u32_e32 vcc, s77, v3
	s_mov_b64 s[26:27], 0
	v_mov_b32_e32 v23, 0
	v_mov_b32_e32 v24, 0
	;; [unrolled: 1-line block ×13, first 2 shown]
                                        ; implicit-def: $sgpr2_sgpr3
                                        ; implicit-def: $vgpr36
	s_and_saveexec_b64 s[24:25], vcc
	s_cbranch_execz .LBB338_108
; %bb.83:
	v_cmp_ne_u16_sdwa s[2:3], v13, v10 src0_sel:WORD_1 src1_sel:DWORD
	v_add_u32_e32 v2, 9, v40
	v_cndmask_b32_e64 v3, 0, 1, s[2:3]
	v_alignbit_b32 v23, v3, v5, 16
	v_cmp_gt_u32_e32 vcc, s77, v2
	s_mov_b64 s[28:29], 0
	v_mov_b32_e32 v24, 0
	v_mov_b32_e32 v25, 0
	;; [unrolled: 1-line block ×12, first 2 shown]
                                        ; implicit-def: $sgpr2_sgpr3
                                        ; implicit-def: $vgpr36
	s_and_saveexec_b64 s[26:27], vcc
	s_cbranch_execz .LBB338_107
; %bb.84:
	ds_read_b128 v[2:5], v37 offset:18
	v_add_u32_e32 v12, 10, v40
	v_cmp_ne_u16_sdwa s[2:3], v10, v10 src0_sel:DWORD src1_sel:WORD_1
	v_cndmask_b32_e64 v13, 0, 1, s[2:3]
	v_cmp_gt_u32_e32 vcc, s77, v12
	s_waitcnt lgkmcnt(0)
	v_and_b32_e32 v12, 0xffff, v2
	v_lshl_or_b32 v24, v13, 16, v12
	s_mov_b64 s[30:31], 0
	v_mov_b32_e32 v25, 0
	v_mov_b32_e32 v26, 0
	;; [unrolled: 1-line block ×11, first 2 shown]
                                        ; implicit-def: $sgpr2_sgpr3
                                        ; implicit-def: $vgpr36
	s_and_saveexec_b64 s[28:29], vcc
	s_cbranch_execz .LBB338_106
; %bb.85:
	v_cmp_ne_u16_sdwa s[2:3], v10, v11 src0_sel:WORD_1 src1_sel:DWORD
	v_add_u32_e32 v12, 11, v40
	v_cndmask_b32_e64 v10, 0, 1, s[2:3]
	v_alignbit_b32 v25, v10, v2, 16
	v_cmp_gt_u32_e32 vcc, s77, v12
	s_mov_b64 s[34:35], 0
	v_mov_b32_e32 v26, 0
	v_mov_b32_e32 v27, 0
	;; [unrolled: 1-line block ×10, first 2 shown]
                                        ; implicit-def: $sgpr2_sgpr3
                                        ; implicit-def: $vgpr36
	s_and_saveexec_b64 s[30:31], vcc
	s_cbranch_execz .LBB338_105
; %bb.86:
	v_cmp_ne_u16_sdwa s[2:3], v11, v11 src0_sel:DWORD src1_sel:WORD_1
	v_and_b32_e32 v2, 0xffff, v3
	v_add_u32_e32 v10, 12, v40
	v_cndmask_b32_e64 v12, 0, 1, s[2:3]
	v_lshl_or_b32 v26, v12, 16, v2
	v_cmp_gt_u32_e32 vcc, s77, v10
	s_mov_b64 s[36:37], 0
	v_mov_b32_e32 v27, 0
	v_mov_b32_e32 v28, 0
	;; [unrolled: 1-line block ×9, first 2 shown]
                                        ; implicit-def: $sgpr2_sgpr3
                                        ; implicit-def: $vgpr36
	s_and_saveexec_b64 s[34:35], vcc
	s_cbranch_execz .LBB338_104
; %bb.87:
	v_cmp_ne_u16_sdwa s[2:3], v11, v8 src0_sel:WORD_1 src1_sel:DWORD
	v_add_u32_e32 v2, 13, v40
	v_cndmask_b32_e64 v10, 0, 1, s[2:3]
	v_alignbit_b32 v27, v10, v3, 16
	v_cmp_gt_u32_e32 vcc, s77, v2
	s_mov_b64 s[38:39], 0
	v_mov_b32_e32 v28, 0
	v_mov_b32_e32 v29, 0
	;; [unrolled: 1-line block ×8, first 2 shown]
                                        ; implicit-def: $sgpr2_sgpr3
                                        ; implicit-def: $vgpr36
	s_and_saveexec_b64 s[36:37], vcc
	s_cbranch_execz .LBB338_103
; %bb.88:
	v_cmp_ne_u16_sdwa s[2:3], v8, v8 src0_sel:DWORD src1_sel:WORD_1
	v_and_b32_e32 v2, 0xffff, v4
	v_add_u32_e32 v3, 14, v40
	v_cndmask_b32_e64 v10, 0, 1, s[2:3]
	v_lshl_or_b32 v28, v10, 16, v2
	v_cmp_gt_u32_e32 vcc, s77, v3
	s_mov_b64 s[40:41], 0
	v_mov_b32_e32 v29, 0
	v_mov_b32_e32 v30, 0
	;; [unrolled: 1-line block ×7, first 2 shown]
                                        ; implicit-def: $sgpr2_sgpr3
                                        ; implicit-def: $vgpr36
	s_and_saveexec_b64 s[38:39], vcc
	s_cbranch_execz .LBB338_102
; %bb.89:
	v_cmp_ne_u16_sdwa s[2:3], v8, v9 src0_sel:WORD_1 src1_sel:DWORD
	v_add_u32_e32 v2, 15, v40
	v_cndmask_b32_e64 v3, 0, 1, s[2:3]
	v_alignbit_b32 v29, v3, v4, 16
	v_cmp_gt_u32_e32 vcc, s77, v2
	s_mov_b64 s[42:43], 0
	v_mov_b32_e32 v30, 0
	v_mov_b32_e32 v31, 0
	;; [unrolled: 1-line block ×6, first 2 shown]
                                        ; implicit-def: $sgpr2_sgpr3
                                        ; implicit-def: $vgpr36
	s_and_saveexec_b64 s[40:41], vcc
	s_cbranch_execz .LBB338_101
; %bb.90:
	v_cmp_ne_u16_sdwa s[2:3], v9, v9 src0_sel:DWORD src1_sel:WORD_1
	v_and_b32_e32 v2, 0xffff, v5
	v_add_u32_e32 v3, 16, v40
	v_cndmask_b32_e64 v4, 0, 1, s[2:3]
	v_lshl_or_b32 v30, v4, 16, v2
	v_cmp_gt_u32_e32 vcc, s77, v3
	s_mov_b64 s[44:45], 0
	v_mov_b32_e32 v31, 0
	v_mov_b32_e32 v32, 0
	;; [unrolled: 1-line block ×5, first 2 shown]
                                        ; implicit-def: $sgpr2_sgpr3
                                        ; implicit-def: $vgpr36
	s_and_saveexec_b64 s[42:43], vcc
	s_cbranch_execz .LBB338_100
; %bb.91:
	v_cmp_ne_u16_sdwa s[2:3], v9, v6 src0_sel:WORD_1 src1_sel:DWORD
	v_add_u32_e32 v2, 17, v40
	v_cndmask_b32_e64 v3, 0, 1, s[2:3]
	v_alignbit_b32 v31, v3, v5, 16
	v_cmp_gt_u32_e32 vcc, s77, v2
	s_mov_b64 s[46:47], 0
	v_mov_b32_e32 v32, 0
	v_mov_b32_e32 v33, 0
	;; [unrolled: 1-line block ×4, first 2 shown]
                                        ; implicit-def: $sgpr2_sgpr3
                                        ; implicit-def: $vgpr36
	s_and_saveexec_b64 s[44:45], vcc
	s_cbranch_execz .LBB338_99
; %bb.92:
	ds_read_b64 v[2:3], v37 offset:34
	v_add_u32_e32 v4, 18, v40
	v_cmp_ne_u16_sdwa s[2:3], v6, v6 src0_sel:DWORD src1_sel:WORD_1
	v_cndmask_b32_e64 v5, 0, 1, s[2:3]
	v_cmp_gt_u32_e32 vcc, s77, v4
	s_waitcnt lgkmcnt(0)
	v_and_b32_e32 v4, 0xffff, v2
	v_lshl_or_b32 v32, v5, 16, v4
	s_mov_b64 s[48:49], 0
	v_mov_b32_e32 v33, 0
	v_mov_b32_e32 v34, 0
	;; [unrolled: 1-line block ×3, first 2 shown]
                                        ; implicit-def: $sgpr2_sgpr3
                                        ; implicit-def: $vgpr36
	s_and_saveexec_b64 s[46:47], vcc
	s_cbranch_execz .LBB338_98
; %bb.93:
	v_cmp_ne_u16_sdwa s[2:3], v6, v7 src0_sel:WORD_1 src1_sel:DWORD
	v_add_u32_e32 v4, 19, v40
	v_cndmask_b32_e64 v5, 0, 1, s[2:3]
	v_alignbit_b32 v33, v5, v2, 16
	v_cmp_gt_u32_e32 vcc, s77, v4
	s_mov_b64 s[56:57], 0
	v_mov_b32_e32 v34, 0
	v_mov_b32_e32 v35, 0
                                        ; implicit-def: $sgpr74_sgpr75
                                        ; implicit-def: $vgpr36
	s_and_saveexec_b64 s[48:49], vcc
	s_cbranch_execz .LBB338_97
; %bb.94:
	v_cmp_ne_u16_sdwa s[2:3], v7, v7 src0_sel:DWORD src1_sel:WORD_1
	v_and_b32_e32 v2, 0xffff, v3
	v_add_u32_e32 v4, 20, v40
	v_cndmask_b32_e64 v5, 0, 1, s[2:3]
	v_lshl_or_b32 v34, v5, 16, v2
	v_cmp_gt_u32_e32 vcc, s77, v4
	s_mov_b64 s[2:3], 0
	v_mov_b32_e32 v35, 0
                                        ; implicit-def: $sgpr56_sgpr57
                                        ; implicit-def: $vgpr36
	s_and_saveexec_b64 s[74:75], vcc
	s_xor_b64 s[74:75], exec, s[74:75]
	s_cbranch_execz .LBB338_96
; %bb.95:
	ds_read_u16 v36, v37 offset:42
	v_add_u32_e32 v2, 21, v40
	v_cmp_ne_u16_sdwa s[2:3], v7, v38 src0_sel:WORD_1 src1_sel:DWORD
	v_cmp_ne_u16_e32 vcc, v38, v39
	v_cndmask_b32_e64 v4, 0, 1, s[2:3]
	v_cmp_gt_u32_e64 s[2:3], s77, v2
	v_alignbit_b32 v35, v4, v3, 16
	s_and_b64 s[56:57], vcc, exec
	s_and_b64 s[2:3], s[2:3], exec
.LBB338_96:
	s_or_b64 exec, exec, s[74:75]
	s_and_b64 s[74:75], s[56:57], exec
	s_and_b64 s[56:57], s[2:3], exec
.LBB338_97:
	s_or_b64 exec, exec, s[48:49]
	s_and_b64 s[2:3], s[74:75], exec
	s_and_b64 s[48:49], s[56:57], exec
.LBB338_98:
	s_or_b64 exec, exec, s[46:47]
	s_and_b64 s[2:3], s[2:3], exec
	s_and_b64 s[46:47], s[48:49], exec
.LBB338_99:
	s_or_b64 exec, exec, s[44:45]
	s_and_b64 s[2:3], s[2:3], exec
	s_and_b64 s[44:45], s[46:47], exec
.LBB338_100:
	s_or_b64 exec, exec, s[42:43]
	s_and_b64 s[2:3], s[2:3], exec
	s_and_b64 s[42:43], s[44:45], exec
.LBB338_101:
	s_or_b64 exec, exec, s[40:41]
	s_and_b64 s[2:3], s[2:3], exec
	s_and_b64 s[40:41], s[42:43], exec
.LBB338_102:
	s_or_b64 exec, exec, s[38:39]
	s_and_b64 s[2:3], s[2:3], exec
	s_and_b64 s[38:39], s[40:41], exec
.LBB338_103:
	s_or_b64 exec, exec, s[36:37]
	s_and_b64 s[2:3], s[2:3], exec
	s_and_b64 s[36:37], s[38:39], exec
.LBB338_104:
	s_or_b64 exec, exec, s[34:35]
	s_and_b64 s[2:3], s[2:3], exec
	s_and_b64 s[34:35], s[36:37], exec
.LBB338_105:
	s_or_b64 exec, exec, s[30:31]
	s_and_b64 s[2:3], s[2:3], exec
	s_and_b64 s[30:31], s[34:35], exec
.LBB338_106:
	s_or_b64 exec, exec, s[28:29]
	s_and_b64 s[2:3], s[2:3], exec
	s_and_b64 s[28:29], s[30:31], exec
.LBB338_107:
	s_or_b64 exec, exec, s[26:27]
	s_and_b64 s[2:3], s[2:3], exec
	s_and_b64 s[26:27], s[28:29], exec
.LBB338_108:
	s_or_b64 exec, exec, s[24:25]
	s_and_b64 s[2:3], s[2:3], exec
	s_and_b64 s[24:25], s[26:27], exec
.LBB338_109:
	s_or_b64 exec, exec, s[22:23]
	s_and_b64 s[2:3], s[2:3], exec
	s_and_b64 s[22:23], s[24:25], exec
.LBB338_110:
	s_or_b64 exec, exec, s[20:21]
	s_and_b64 s[2:3], s[2:3], exec
	s_and_b64 s[20:21], s[22:23], exec
.LBB338_111:
	s_or_b64 exec, exec, s[18:19]
	s_and_b64 s[2:3], s[2:3], exec
	s_and_b64 s[18:19], s[20:21], exec
.LBB338_112:
	s_or_b64 exec, exec, s[16:17]
	s_and_b64 s[2:3], s[2:3], exec
	s_and_b64 s[16:17], s[18:19], exec
.LBB338_113:
	s_or_b64 exec, exec, s[14:15]
	s_and_b64 s[2:3], s[2:3], exec
	s_and_b64 s[14:15], s[16:17], exec
.LBB338_114:
	s_or_b64 exec, exec, s[12:13]
	s_and_b64 s[2:3], s[2:3], exec
	s_and_b64 s[12:13], s[14:15], exec
.LBB338_115:
	s_or_b64 exec, exec, s[10:11]
	s_and_b64 s[2:3], s[2:3], exec
	s_and_b64 s[10:11], s[12:13], exec
.LBB338_116:
	s_or_b64 exec, exec, s[8:9]
	s_and_b64 vcc, exec, s[4:5]
	v_lshlrev_b32_e32 v12, 1, v0
	s_cbranch_vccnz .LBB338_118
	s_branch .LBB338_126
.LBB338_117:
                                        ; implicit-def: $sgpr2_sgpr3
                                        ; implicit-def: $vgpr36
                                        ; implicit-def: $vgpr1
                                        ; implicit-def: $vgpr16
                                        ; implicit-def: $vgpr17
                                        ; implicit-def: $vgpr18
                                        ; implicit-def: $vgpr19
                                        ; implicit-def: $vgpr20
                                        ; implicit-def: $vgpr21
                                        ; implicit-def: $vgpr22
                                        ; implicit-def: $vgpr23
                                        ; implicit-def: $vgpr24
                                        ; implicit-def: $vgpr25
                                        ; implicit-def: $vgpr26
                                        ; implicit-def: $vgpr27
                                        ; implicit-def: $vgpr28
                                        ; implicit-def: $vgpr29
                                        ; implicit-def: $vgpr30
                                        ; implicit-def: $vgpr31
                                        ; implicit-def: $vgpr32
                                        ; implicit-def: $vgpr33
                                        ; implicit-def: $vgpr34
                                        ; implicit-def: $vgpr35
                                        ; implicit-def: $sgpr76
	s_and_b64 vcc, exec, s[4:5]
	v_lshlrev_b32_e32 v12, 1, v0
	s_cbranch_vccz .LBB338_126
.LBB338_118:
	v_mov_b32_e32 v1, s51
	v_add_co_u32_e32 v2, vcc, s50, v12
	v_addc_co_u32_e32 v3, vcc, 0, v1, vcc
	v_add_co_u32_e32 v4, vcc, 0x1000, v2
	v_addc_co_u32_e32 v5, vcc, 0, v3, vcc
	flat_load_ushort v6, v[2:3]
	flat_load_ushort v7, v[2:3] offset:512
	flat_load_ushort v8, v[2:3] offset:1024
	;; [unrolled: 1-line block ×7, first 2 shown]
	v_add_co_u32_e32 v2, vcc, 0x2000, v2
	v_addc_co_u32_e32 v3, vcc, 0, v3, vcc
	flat_load_ushort v15, v[4:5]
	flat_load_ushort v16, v[4:5] offset:512
	flat_load_ushort v17, v[4:5] offset:1024
	;; [unrolled: 1-line block ×7, first 2 shown]
	s_nop 0
	flat_load_ushort v4, v[2:3]
	flat_load_ushort v5, v[2:3] offset:512
	flat_load_ushort v23, v[2:3] offset:1024
	;; [unrolled: 1-line block ×5, first 2 shown]
	v_mad_u32_u24 v1, v0, 42, v12
	s_cmp_eq_u64 s[72:73], 0
	s_waitcnt vmcnt(0) lgkmcnt(0)
	ds_write_b16 v12, v6
	ds_write_b16 v12, v7 offset:512
	ds_write_b16 v12, v8 offset:1024
	;; [unrolled: 1-line block ×21, first 2 shown]
	s_waitcnt lgkmcnt(0)
	s_barrier
	ds_read2_b32 v[10:11], v1 offset1:1
	ds_read2_b32 v[8:9], v1 offset0:2 offset1:3
	ds_read2_b32 v[6:7], v1 offset0:4 offset1:5
	;; [unrolled: 1-line block ×4, first 2 shown]
	ds_read_b32 v13, v1 offset:40
	s_cbranch_scc1 .LBB338_123
; %bb.119:
	s_andn2_b64 vcc, exec, s[60:61]
	s_cbranch_vccnz .LBB338_288
; %bb.120:
	s_lshl_b64 s[2:3], s[72:73], 1
	s_add_u32 s2, s62, s2
	s_addc_u32 s3, s63, s3
	s_add_u32 s2, s2, -2
	s_addc_u32 s3, s3, -1
	s_cbranch_execnz .LBB338_122
.LBB338_121:
	s_add_u32 s2, s50, -2
	s_addc_u32 s3, s51, -1
.LBB338_122:
	s_mov_b64 s[50:51], s[2:3]
.LBB338_123:
	v_pk_mov_b32 v[14:15], s[50:51], s[50:51] op_sel:[0,1]
	flat_load_ushort v15, v[14:15]
	s_movk_i32 s2, 0xffd6
	s_waitcnt lgkmcnt(0)
	v_lshrrev_b32_e32 v14, 16, v13
	v_mad_i32_i24 v16, v0, s2, v1
	v_cmp_ne_u32_e32 vcc, 0, v0
	ds_write_b16 v16, v14 offset:11264
	s_waitcnt lgkmcnt(0)
	s_barrier
	s_and_saveexec_b64 s[2:3], vcc
	s_cbranch_execz .LBB338_125
; %bb.124:
	s_waitcnt vmcnt(0)
	v_mul_i32_i24_e32 v15, 0xffffffd6, v0
	v_add_u32_e32 v15, v1, v15
	ds_read_u16 v15, v15 offset:11262
.LBB338_125:
	s_or_b64 exec, exec, s[2:3]
	v_mov_b32_e32 v17, s67
	v_add_co_u32_e32 v16, vcc, s7, v12
	v_addc_co_u32_e32 v17, vcc, 0, v17, vcc
	s_movk_i32 s2, 0x1000
	v_add_co_u32_e32 v18, vcc, s2, v16
	v_addc_co_u32_e32 v19, vcc, 0, v17, vcc
	s_movk_i32 s2, 0x2000
	s_waitcnt lgkmcnt(0)
	s_barrier
	flat_load_ushort v20, v[16:17]
	flat_load_ushort v21, v[16:17] offset:512
	flat_load_ushort v22, v[16:17] offset:1024
	;; [unrolled: 1-line block ×7, first 2 shown]
	v_add_co_u32_e32 v16, vcc, s2, v16
	v_addc_co_u32_e32 v17, vcc, 0, v17, vcc
	flat_load_ushort v28, v[18:19]
	flat_load_ushort v29, v[18:19] offset:512
	flat_load_ushort v30, v[18:19] offset:1024
	;; [unrolled: 1-line block ×7, first 2 shown]
	s_nop 0
	flat_load_ushort v18, v[16:17]
	flat_load_ushort v19, v[16:17] offset:512
	flat_load_ushort v36, v[16:17] offset:1024
	;; [unrolled: 1-line block ×5, first 2 shown]
	v_cmp_ne_u16_sdwa s[4:5], v10, v10 src0_sel:DWORD src1_sel:WORD_1
	v_cndmask_b32_e64 v16, 0, 1, s[4:5]
	v_cmp_ne_u16_sdwa s[4:5], v10, v11 src0_sel:WORD_1 src1_sel:DWORD
	v_cndmask_b32_e64 v40, 0, 1, s[4:5]
	v_cmp_ne_u16_sdwa s[4:5], v11, v11 src0_sel:DWORD src1_sel:WORD_1
	v_cmp_ne_u16_e64 s[2:3], v13, v14
	s_waitcnt vmcnt(0)
	v_cmp_ne_u16_e32 vcc, v15, v10
	v_cndmask_b32_e64 v41, 0, 1, s[4:5]
	v_cmp_ne_u16_sdwa s[4:5], v11, v8 src0_sel:WORD_1 src1_sel:DWORD
	v_cndmask_b32_e64 v17, 0, 1, vcc
	v_cndmask_b32_e64 v42, 0, 1, s[4:5]
	v_cmp_ne_u16_sdwa s[4:5], v8, v8 src0_sel:DWORD src1_sel:WORD_1
	s_mov_b64 s[10:11], -1
                                        ; implicit-def: $sgpr76
	s_waitcnt lgkmcnt(0)
	ds_write_b16 v12, v20
	ds_write_b16 v12, v21 offset:512
	ds_write_b16 v12, v22 offset:1024
	;; [unrolled: 1-line block ×21, first 2 shown]
	s_waitcnt lgkmcnt(0)
	s_barrier
	ds_read2_b32 v[10:11], v1 offset0:8 offset1:9
	ds_read_b32 v35, v1 offset:40
	ds_read2_b32 v[14:15], v1 offset1:1
	ds_read2_b32 v[22:23], v1 offset0:2 offset1:3
	ds_read2_b32 v[26:27], v1 offset0:4 offset1:5
	;; [unrolled: 1-line block ×3, first 2 shown]
	s_waitcnt lgkmcnt(4)
	v_lshrrev_b32_e32 v36, 16, v35
	s_waitcnt lgkmcnt(3)
	v_and_b32_e32 v1, 0xffff, v14
	v_alignbit_b32 v16, v16, v14, 16
	v_and_b32_e32 v14, 0xffff, v15
	v_lshl_or_b32 v1, v17, 16, v1
	v_lshl_or_b32 v17, v40, 16, v14
	v_cndmask_b32_e64 v14, 0, 1, s[4:5]
	v_cmp_ne_u16_sdwa s[4:5], v8, v9 src0_sel:WORD_1 src1_sel:DWORD
	s_waitcnt lgkmcnt(2)
	v_alignbit_b32 v20, v14, v22, 16
	v_and_b32_e32 v14, 0xffff, v23
	v_cndmask_b32_e64 v8, 0, 1, s[4:5]
	v_cmp_ne_u16_sdwa s[4:5], v9, v9 src0_sel:DWORD src1_sel:WORD_1
	v_lshl_or_b32 v21, v8, 16, v14
	v_cndmask_b32_e64 v8, 0, 1, s[4:5]
	v_cmp_ne_u16_sdwa s[4:5], v9, v6 src0_sel:WORD_1 src1_sel:DWORD
	v_alignbit_b32 v18, v41, v15, 16
	v_and_b32_e32 v15, 0xffff, v22
	v_alignbit_b32 v22, v8, v23, 16
	s_waitcnt lgkmcnt(1)
	v_and_b32_e32 v8, 0xffff, v26
	v_cndmask_b32_e64 v9, 0, 1, s[4:5]
	v_cmp_ne_u16_sdwa s[4:5], v6, v6 src0_sel:DWORD src1_sel:WORD_1
	v_lshl_or_b32 v23, v9, 16, v8
	v_cndmask_b32_e64 v8, 0, 1, s[4:5]
	v_cmp_ne_u16_sdwa s[4:5], v6, v7 src0_sel:WORD_1 src1_sel:DWORD
	v_alignbit_b32 v24, v8, v26, 16
	v_and_b32_e32 v8, 0xffff, v27
	v_cndmask_b32_e64 v6, 0, 1, s[4:5]
	v_cmp_ne_u16_sdwa s[4:5], v7, v7 src0_sel:DWORD src1_sel:WORD_1
	v_lshl_or_b32 v25, v6, 16, v8
	v_cndmask_b32_e64 v6, 0, 1, s[4:5]
	v_cmp_ne_u16_sdwa s[4:5], v7, v4 src0_sel:WORD_1 src1_sel:DWORD
	v_alignbit_b32 v26, v6, v27, 16
	s_waitcnt lgkmcnt(0)
	v_and_b32_e32 v6, 0xffff, v30
	v_cndmask_b32_e64 v7, 0, 1, s[4:5]
	v_cmp_ne_u16_sdwa s[4:5], v4, v4 src0_sel:DWORD src1_sel:WORD_1
	v_lshl_or_b32 v27, v7, 16, v6
	v_cndmask_b32_e64 v6, 0, 1, s[4:5]
	v_cmp_ne_u16_sdwa s[4:5], v4, v5 src0_sel:WORD_1 src1_sel:DWORD
	v_alignbit_b32 v28, v6, v30, 16
	v_and_b32_e32 v6, 0xffff, v31
	v_cndmask_b32_e64 v4, 0, 1, s[4:5]
	v_cmp_ne_u16_sdwa s[4:5], v5, v5 src0_sel:DWORD src1_sel:WORD_1
	v_lshl_or_b32 v29, v4, 16, v6
	v_cndmask_b32_e64 v4, 0, 1, s[4:5]
	v_cmp_ne_u16_sdwa s[4:5], v5, v2 src0_sel:WORD_1 src1_sel:DWORD
	v_alignbit_b32 v30, v4, v31, 16
	;; [unrolled: 7-line block ×4, first 2 shown]
	v_and_b32_e32 v2, 0xffff, v35
	v_cndmask_b32_e64 v3, 0, 1, s[4:5]
	v_lshl_or_b32 v19, v42, 16, v15
	v_lshl_or_b32 v35, v3, 16, v2
.LBB338_126:
	v_mov_b32_e32 v13, s76
	s_and_saveexec_b64 s[4:5], s[10:11]
	s_cbranch_execz .LBB338_128
; %bb.127:
	v_mov_b32_e32 v2, 0x10000
	v_cndmask_b32_e64 v2, 0, v2, s[2:3]
	s_waitcnt lgkmcnt(0)
	v_or_b32_sdwa v13, v2, v36 dst_sel:DWORD dst_unused:UNUSED_PAD src0_sel:DWORD src1_sel:WORD_0
.LBB338_128:
	s_or_b64 exec, exec, s[4:5]
	v_or3_b32 v2, v13, v35, v34
	s_cmp_lg_u32 s6, 0
	v_or3_b32 v15, v2, v33, v32
	v_lshrrev_b32_e32 v14, 5, v0
	v_cmp_gt_u32_e32 vcc, 64, v0
	s_waitcnt lgkmcnt(0)
	s_barrier
	s_cbranch_scc0 .LBB338_193
; %bb.129:
	s_mov_b32 s7, 0x10000
	v_cmp_gt_u32_e64 s[2:3], s7, v16
	v_cndmask_b32_e64 v2, 0, v1, s[2:3]
	v_add_u16_e32 v2, v2, v16
	v_cmp_gt_u32_e64 s[4:5], s7, v17
	v_cndmask_b32_e64 v2, 0, v2, s[4:5]
	v_add_u16_e32 v2, v2, v17
	;; [unrolled: 3-line block ×21, first 2 shown]
	v_or3_b32 v2, v15, v31, v30
	v_or3_b32 v2, v2, v29, v28
	;; [unrolled: 1-line block ×8, first 2 shown]
	v_and_b32_e32 v2, 0x10000, v2
	v_lshrrev_b32_e32 v36, 16, v1
	v_cmp_ne_u32_e64 s[46:47], 0, v2
	v_mov_b32_e32 v5, 0x10000
	v_cndmask_b32_e64 v38, v36, 1, s[46:47]
	v_add_lshl_u32 v2, v14, v0, 2
	ds_write_b16 v2, v37
	ds_write_b8 v2, v38 offset:2
	s_waitcnt lgkmcnt(0)
	s_barrier
	s_and_saveexec_b64 s[48:49], vcc
	s_cbranch_execz .LBB338_143
; %bb.130:
	v_lshlrev_b32_e32 v2, 2, v0
	v_lshrrev_b32_e32 v3, 3, v0
	v_add_lshl_u32 v2, v3, v2, 2
	ds_read_b32 v3, v2
	ds_read_u16 v4, v2 offset:4
	ds_read_u8 v6, v2 offset:6
	ds_read_u16 v7, v2 offset:8
	ds_read_u8 v8, v2 offset:10
	;; [unrolled: 2-line block ×3, first 2 shown]
	v_mov_b32_e32 v11, 0
	s_waitcnt lgkmcnt(4)
	v_cmp_eq_u16_sdwa s[46:47], v6, v11 src0_sel:BYTE_0 src1_sel:DWORD
	v_cndmask_b32_e64 v39, 0, v3, s[46:47]
	v_add_u16_e32 v39, v39, v4
	s_waitcnt lgkmcnt(2)
	v_cmp_eq_u16_sdwa s[46:47], v8, v11 src0_sel:BYTE_0 src1_sel:DWORD
	s_waitcnt lgkmcnt(0)
	v_or_b32_e32 v8, v10, v8
	v_cndmask_b32_e64 v11, 0, v39, s[46:47]
	v_or_b32_e32 v6, v8, v6
	v_add_u16_e32 v7, v11, v7
	v_cmp_eq_u16_e64 s[46:47], 0, v10
	v_and_b32_e32 v6, 1, v6
	v_and_b32_e32 v4, 0x10000, v3
	v_cndmask_b32_e64 v11, 0, v7, s[46:47]
	v_cmp_eq_u32_e64 s[46:47], 1, v6
	v_mbcnt_lo_u32_b32 v6, -1, 0
	v_add_u16_e32 v7, v11, v9
	v_cndmask_b32_e64 v39, v4, v5, s[46:47]
	v_add_u16_e32 v9, v11, v9
	v_and_b32_e32 v5, 0xff000000, v3
	v_mbcnt_hi_u32_b32 v6, -1, v6
	v_or_b32_e32 v10, v39, v5
	v_and_b32_e32 v11, 15, v6
	v_or3_b32 v9, v5, v9, v39
	s_movk_i32 s7, 0xff
	v_lshrrev_b32_e32 v8, 16, v10
	v_mov_b32_dpp v39, v9 row_shr:1 row_mask:0xf bank_mask:0xf
	v_cmp_ne_u32_e64 s[46:47], 0, v11
	s_and_saveexec_b64 s[56:57], s[46:47]
	s_cbranch_execz .LBB338_132
; %bb.131:
	v_and_b32_sdwa v8, v10, s7 dst_sel:DWORD dst_unused:UNUSED_PAD src0_sel:WORD_1 src1_sel:DWORD
	v_cmp_eq_u16_e64 s[46:47], 0, v8
	v_and_b32_e32 v8, 0x10000, v10
	v_mov_b32_e32 v10, 1
	v_cndmask_b32_e64 v9, 0, v39, s[46:47]
	v_and_b32_sdwa v10, v39, v10 dst_sel:DWORD dst_unused:UNUSED_PAD src0_sel:WORD_1 src1_sel:DWORD
	v_cmp_ne_u32_e64 s[46:47], 0, v8
	v_cndmask_b32_e64 v8, v10, 1, s[46:47]
	v_add_u16_e32 v40, v9, v7
	v_lshlrev_b32_e32 v10, 16, v8
	v_add_u16_e32 v7, v9, v7
	v_or3_b32 v9, v10, v7, v5
	v_mov_b32_e32 v7, v40
.LBB338_132:
	s_or_b64 exec, exec, s[56:57]
	v_lshrrev_b32_e32 v10, 16, v9
	v_mov_b32_dpp v39, v9 row_shr:2 row_mask:0xf bank_mask:0xf
	v_cmp_lt_u32_e64 s[46:47], 1, v11
	s_and_saveexec_b64 s[56:57], s[46:47]
	s_cbranch_execz .LBB338_134
; %bb.133:
	v_mov_b32_e32 v8, 0
	v_cmp_eq_u16_sdwa s[46:47], v10, v8 src0_sel:BYTE_0 src1_sel:DWORD
	v_and_b32_e32 v8, 0x10000, v9
	v_mov_b32_e32 v9, 1
	v_cndmask_b32_e64 v10, 0, v39, s[46:47]
	v_and_b32_sdwa v9, v39, v9 dst_sel:DWORD dst_unused:UNUSED_PAD src0_sel:WORD_1 src1_sel:DWORD
	v_cmp_ne_u32_e64 s[46:47], 0, v8
	v_cndmask_b32_e64 v8, v9, 1, s[46:47]
	v_add_u16_e32 v40, v10, v7
	v_lshlrev_b32_e32 v9, 16, v8
	v_add_u16_e32 v7, v10, v7
	v_or3_b32 v9, v9, v7, v5
	v_mov_b32_e32 v10, v8
	v_mov_b32_e32 v7, v40
.LBB338_134:
	s_or_b64 exec, exec, s[56:57]
	v_mov_b32_dpp v39, v9 row_shr:4 row_mask:0xf bank_mask:0xf
	v_cmp_lt_u32_e64 s[46:47], 3, v11
	s_and_saveexec_b64 s[56:57], s[46:47]
	s_cbranch_execz .LBB338_136
; %bb.135:
	v_mov_b32_e32 v8, 0
	v_cmp_eq_u16_sdwa s[46:47], v10, v8 src0_sel:BYTE_0 src1_sel:DWORD
	v_and_b32_e32 v8, 1, v10
	v_mov_b32_e32 v10, 1
	v_cndmask_b32_e64 v9, 0, v39, s[46:47]
	v_and_b32_sdwa v10, v39, v10 dst_sel:DWORD dst_unused:UNUSED_PAD src0_sel:WORD_1 src1_sel:DWORD
	v_cmp_eq_u32_e64 s[46:47], 1, v8
	v_cndmask_b32_e64 v8, v10, 1, s[46:47]
	v_add_u16_e32 v40, v9, v7
	v_lshlrev_b32_e32 v10, 16, v8
	v_add_u16_e32 v7, v9, v7
	v_or3_b32 v9, v10, v7, v5
	v_mov_b32_e32 v10, v8
	v_mov_b32_e32 v7, v40
.LBB338_136:
	s_or_b64 exec, exec, s[56:57]
	v_mov_b32_dpp v39, v9 row_shr:8 row_mask:0xf bank_mask:0xf
	v_cmp_lt_u32_e64 s[46:47], 7, v11
	s_and_saveexec_b64 s[56:57], s[46:47]
	s_cbranch_execz .LBB338_138
; %bb.137:
	v_mov_b32_e32 v8, 0
	v_cmp_eq_u16_sdwa s[46:47], v10, v8 src0_sel:BYTE_0 src1_sel:DWORD
	v_and_b32_e32 v8, 1, v10
	v_mov_b32_e32 v10, 1
	v_cndmask_b32_e64 v9, 0, v39, s[46:47]
	v_and_b32_sdwa v10, v39, v10 dst_sel:DWORD dst_unused:UNUSED_PAD src0_sel:WORD_1 src1_sel:DWORD
	v_cmp_eq_u32_e64 s[46:47], 1, v8
	v_cndmask_b32_e64 v8, v10, 1, s[46:47]
	v_add_u16_e32 v11, v9, v7
	v_lshlrev_b32_e32 v10, 16, v8
	v_add_u16_e32 v7, v9, v7
	v_or3_b32 v9, v10, v7, v5
	v_mov_b32_e32 v10, v8
	v_mov_b32_e32 v7, v11
.LBB338_138:
	s_or_b64 exec, exec, s[56:57]
	v_and_b32_e32 v39, 16, v6
	v_mov_b32_dpp v11, v9 row_bcast:15 row_mask:0xf bank_mask:0xf
	v_cmp_ne_u32_e64 s[46:47], 0, v39
	s_and_saveexec_b64 s[56:57], s[46:47]
	s_cbranch_execz .LBB338_140
; %bb.139:
	v_mov_b32_e32 v8, 0
	v_cmp_eq_u16_sdwa s[46:47], v10, v8 src0_sel:BYTE_0 src1_sel:DWORD
	v_and_b32_e32 v8, 1, v10
	v_mov_b32_e32 v10, 1
	v_cndmask_b32_e64 v9, 0, v11, s[46:47]
	v_and_b32_sdwa v10, v11, v10 dst_sel:DWORD dst_unused:UNUSED_PAD src0_sel:WORD_1 src1_sel:DWORD
	v_cmp_eq_u32_e64 s[46:47], 1, v8
	v_cndmask_b32_e64 v8, v10, 1, s[46:47]
	v_add_u16_e32 v39, v9, v7
	v_lshlrev_b32_e32 v10, 16, v8
	v_add_u16_e32 v7, v9, v7
	v_or3_b32 v9, v10, v7, v5
	v_mov_b32_e32 v10, v8
	v_mov_b32_e32 v7, v39
.LBB338_140:
	s_or_b64 exec, exec, s[56:57]
	v_mov_b32_dpp v9, v9 row_bcast:31 row_mask:0xf bank_mask:0xf
	v_cmp_lt_u32_e64 s[46:47], 31, v6
	s_and_saveexec_b64 s[56:57], s[46:47]
; %bb.141:
	v_mov_b32_e32 v8, 0
	v_cmp_eq_u16_sdwa s[46:47], v10, v8 src0_sel:BYTE_0 src1_sel:DWORD
	v_cndmask_b32_e64 v8, 0, v9, s[46:47]
	v_add_u16_e32 v7, v8, v7
	v_and_b32_e32 v8, 1, v10
	v_mov_b32_e32 v10, 1
	v_and_b32_sdwa v9, v9, v10 dst_sel:DWORD dst_unused:UNUSED_PAD src0_sel:WORD_1 src1_sel:DWORD
	v_cmp_eq_u32_e64 s[46:47], 1, v8
	v_cndmask_b32_e64 v8, v9, 1, s[46:47]
; %bb.142:
	s_or_b64 exec, exec, s[56:57]
	v_and_b32_e32 v8, 0xff, v8
	v_lshlrev_b32_e32 v8, 16, v8
	v_and_b32_e32 v7, 0xffff, v7
	v_or3_b32 v5, v8, v7, v5
	v_add_u32_e32 v7, -1, v6
	v_and_b32_e32 v8, 64, v6
	v_cmp_lt_i32_e64 s[46:47], v7, v8
	v_cndmask_b32_e64 v6, v7, v6, s[46:47]
	v_lshlrev_b32_e32 v6, 2, v6
	ds_bpermute_b32 v5, v6, v5
	v_and_b32_e32 v6, 0xff0000, v3
	v_cmp_eq_u32_e64 s[46:47], 0, v6
	; wave barrier
	s_waitcnt lgkmcnt(0)
	v_cndmask_b32_e64 v6, 0, v5, s[46:47]
	v_add_u16_e32 v3, v6, v3
	v_mov_b32_e32 v6, 1
	v_and_b32_sdwa v5, v5, v6 dst_sel:DWORD dst_unused:UNUSED_PAD src0_sel:WORD_1 src1_sel:DWORD
	v_cmp_eq_u32_e64 s[46:47], 0, v4
	v_cndmask_b32_e64 v4, 1, v5, s[46:47]
	v_cmp_eq_u32_e64 s[46:47], 0, v0
	v_cndmask_b32_e64 v3, v3, v37, s[46:47]
	v_cndmask_b32_e64 v4, v4, v38, s[46:47]
	ds_write_b16 v2, v3
	ds_write_b8 v2, v4 offset:2
	; wave barrier
	ds_read_u16 v5, v2 offset:4
	ds_read_u8 v6, v2 offset:6
	ds_read_u16 v7, v2 offset:8
	ds_read_u8 v8, v2 offset:10
	;; [unrolled: 2-line block ×3, first 2 shown]
	s_waitcnt lgkmcnt(4)
	v_cmp_eq_u16_e64 s[46:47], 0, v6
	v_cndmask_b32_e64 v3, 0, v3, s[46:47]
	v_add_u16_e32 v3, v3, v5
	v_and_b32_e32 v5, 1, v6
	v_cmp_eq_u32_e64 s[46:47], 1, v5
	v_cndmask_b32_e64 v4, v4, 1, s[46:47]
	s_waitcnt lgkmcnt(2)
	v_cmp_eq_u16_e64 s[46:47], 0, v8
	v_and_b32_e32 v5, 1, v8
	ds_write_b16 v2, v3 offset:4
	ds_write_b8 v2, v4 offset:6
	v_cndmask_b32_e64 v3, 0, v3, s[46:47]
	v_cmp_eq_u32_e64 s[46:47], 1, v5
	v_add_u16_e32 v3, v3, v7
	v_cndmask_b32_e64 v4, v4, 1, s[46:47]
	s_waitcnt lgkmcnt(2)
	v_cmp_eq_u16_e64 s[46:47], 0, v10
	ds_write_b16 v2, v3 offset:8
	ds_write_b8 v2, v4 offset:10
	v_cndmask_b32_e64 v3, 0, v3, s[46:47]
	v_and_b32_e32 v5, 1, v10
	v_add_u16_e32 v3, v3, v9
	v_cmp_eq_u32_e64 s[46:47], 1, v5
	v_cndmask_b32_e64 v4, v4, 1, s[46:47]
	ds_write_b16 v2, v3 offset:12
	ds_write_b8 v2, v4 offset:14
.LBB338_143:
	s_or_b64 exec, exec, s[48:49]
	v_cmp_eq_u32_e64 s[46:47], 0, v0
	v_cmp_ne_u32_e64 s[48:49], 0, v0
	s_waitcnt lgkmcnt(0)
	s_barrier
	s_and_saveexec_b64 s[56:57], s[48:49]
	s_cbranch_execz .LBB338_145
; %bb.144:
	v_add_u32_e32 v2, -1, v0
	v_lshrrev_b32_e32 v3, 5, v2
	v_add_lshl_u32 v2, v3, v2, 2
	ds_read_u16 v37, v2
	ds_read_u8 v38, v2 offset:2
.LBB338_145:
	s_or_b64 exec, exec, s[56:57]
	s_and_saveexec_b64 s[56:57], vcc
	s_cbranch_execz .LBB338_192
; %bb.146:
	v_mov_b32_e32 v11, 0
	ds_read_b32 v2, v11 offset:1048
	v_mbcnt_lo_u32_b32 v3, -1, 0
	v_mbcnt_hi_u32_b32 v5, -1, v3
	s_mov_b32 s63, 0
	v_cmp_eq_u32_e64 s[48:49], 0, v5
	s_and_saveexec_b64 s[60:61], s[48:49]
	s_cbranch_execz .LBB338_148
; %bb.147:
	s_add_i32 s62, s6, 64
	s_lshl_b64 s[62:63], s[62:63], 3
	s_add_u32 s62, s64, s62
	v_mov_b32_e32 v3, 1
	s_addc_u32 s63, s65, s63
	s_waitcnt lgkmcnt(0)
	global_store_dwordx2 v11, v[2:3], s[62:63]
.LBB338_148:
	s_or_b64 exec, exec, s[60:61]
	v_xad_u32 v4, v5, -1, s6
	v_add_u32_e32 v10, 64, v4
	v_lshlrev_b64 v[6:7], 3, v[10:11]
	v_mov_b32_e32 v3, s65
	v_add_co_u32_e32 v6, vcc, s64, v6
	v_addc_co_u32_e32 v7, vcc, v3, v7, vcc
	global_load_dwordx2 v[8:9], v[6:7], off glc
	s_waitcnt vmcnt(0)
	v_cmp_eq_u16_sdwa s[62:63], v9, v11 src0_sel:BYTE_0 src1_sel:DWORD
	s_and_saveexec_b64 s[60:61], s[62:63]
	s_cbranch_execz .LBB338_154
; %bb.149:
	s_mov_b32 s7, 1
	s_mov_b64 s[62:63], 0
	v_mov_b32_e32 v3, 0
.LBB338_150:                            ; =>This Loop Header: Depth=1
                                        ;     Child Loop BB338_151 Depth 2
	s_max_u32 s67, s7, 1
.LBB338_151:                            ;   Parent Loop BB338_150 Depth=1
                                        ; =>  This Inner Loop Header: Depth=2
	s_add_i32 s67, s67, -1
	s_cmp_eq_u32 s67, 0
	s_sleep 1
	s_cbranch_scc0 .LBB338_151
; %bb.152:                              ;   in Loop: Header=BB338_150 Depth=1
	global_load_dwordx2 v[8:9], v[6:7], off glc
	s_cmp_lt_u32 s7, 32
	s_cselect_b64 s[72:73], -1, 0
	s_cmp_lg_u64 s[72:73], 0
	s_addc_u32 s7, s7, 0
	s_waitcnt vmcnt(0)
	v_cmp_ne_u16_sdwa s[72:73], v9, v3 src0_sel:BYTE_0 src1_sel:DWORD
	s_or_b64 s[62:63], s[72:73], s[62:63]
	s_andn2_b64 exec, exec, s[62:63]
	s_cbranch_execnz .LBB338_150
; %bb.153:
	s_or_b64 exec, exec, s[62:63]
.LBB338_154:
	s_or_b64 exec, exec, s[60:61]
	v_mov_b32_e32 v3, 2
	v_cmp_eq_u16_sdwa s[60:61], v9, v3 src0_sel:BYTE_0 src1_sel:DWORD
	v_lshlrev_b64 v[6:7], v5, -1
	v_and_b32_e32 v3, s61, v7
	v_or_b32_e32 v3, 0x80000000, v3
	v_ffbl_b32_e32 v3, v3
	v_add_u32_e32 v11, 32, v3
	v_and_b32_e32 v3, 63, v5
	v_cmp_ne_u32_e32 vcc, 63, v3
	v_addc_co_u32_e32 v39, vcc, 0, v5, vcc
	v_and_b32_e32 v50, 0xffffff, v8
	v_lshlrev_b32_e32 v39, 2, v39
	ds_bpermute_b32 v40, v39, v50
	v_and_b32_e32 v10, s60, v6
	v_ffbl_b32_e32 v10, v10
	v_min_u32_e32 v11, v10, v11
	v_lshrrev_b32_e32 v10, 16, v8
	v_cmp_lt_u32_e32 vcc, v3, v11
	v_bfe_u32 v48, v8, 16, 8
	s_and_saveexec_b64 s[60:61], vcc
	s_cbranch_execz .LBB338_156
; %bb.155:
	v_and_b32_e32 v10, 0xff0000, v8
	v_cmp_eq_u32_e32 vcc, 0, v10
	v_and_b32_e32 v10, 0x10000, v10
	v_mov_b32_e32 v43, 1
	s_waitcnt lgkmcnt(0)
	v_cndmask_b32_e32 v41, 0, v40, vcc
	v_and_b32_sdwa v40, v40, v43 dst_sel:DWORD dst_unused:UNUSED_PAD src0_sel:WORD_1 src1_sel:DWORD
	v_cmp_ne_u32_e32 vcc, 0, v10
	v_cndmask_b32_e64 v10, v40, 1, vcc
	v_add_u16_e32 v42, v41, v8
	v_lshlrev_b32_e32 v40, 16, v10
	v_add_u16_e32 v8, v41, v8
	v_or_b32_e32 v50, v40, v8
	v_mov_b32_e32 v8, v42
	v_mov_b32_e32 v48, v10
.LBB338_156:
	s_or_b64 exec, exec, s[60:61]
	v_cmp_gt_u32_e32 vcc, 62, v3
	s_waitcnt lgkmcnt(0)
	v_cndmask_b32_e64 v40, 0, 1, vcc
	v_lshlrev_b32_e32 v40, 1, v40
	v_add_lshl_u32 v40, v40, v5, 2
	ds_bpermute_b32 v42, v40, v50
	v_add_u32_e32 v41, 2, v3
	v_cmp_le_u32_e32 vcc, v41, v11
	s_and_saveexec_b64 s[60:61], vcc
	s_cbranch_execz .LBB338_158
; %bb.157:
	v_cmp_eq_u16_e32 vcc, 0, v48
	v_and_b32_e32 v10, 1, v48
	v_mov_b32_e32 v45, 1
	s_waitcnt lgkmcnt(0)
	v_cndmask_b32_e32 v43, 0, v42, vcc
	v_and_b32_sdwa v42, v42, v45 dst_sel:DWORD dst_unused:UNUSED_PAD src0_sel:WORD_1 src1_sel:DWORD
	v_cmp_eq_u32_e32 vcc, 1, v10
	v_cndmask_b32_e64 v10, v42, 1, vcc
	v_add_u16_e32 v44, v43, v8
	v_lshlrev_b32_e32 v42, 16, v10
	v_add_u16_e32 v8, v43, v8
	v_or_b32_e32 v50, v42, v8
	v_mov_b32_e32 v8, v44
	v_mov_b32_e32 v48, v10
.LBB338_158:
	s_or_b64 exec, exec, s[60:61]
	v_cmp_gt_u32_e32 vcc, 60, v3
	s_waitcnt lgkmcnt(0)
	v_cndmask_b32_e64 v42, 0, 1, vcc
	v_lshlrev_b32_e32 v42, 2, v42
	v_add_lshl_u32 v42, v42, v5, 2
	ds_bpermute_b32 v44, v42, v50
	v_add_u32_e32 v43, 4, v3
	v_cmp_le_u32_e32 vcc, v43, v11
	s_and_saveexec_b64 s[60:61], vcc
	s_cbranch_execz .LBB338_160
; %bb.159:
	v_cmp_eq_u16_e32 vcc, 0, v48
	v_and_b32_e32 v10, 1, v48
	v_mov_b32_e32 v47, 1
	s_waitcnt lgkmcnt(0)
	v_cndmask_b32_e32 v45, 0, v44, vcc
	v_and_b32_sdwa v44, v44, v47 dst_sel:DWORD dst_unused:UNUSED_PAD src0_sel:WORD_1 src1_sel:DWORD
	v_cmp_eq_u32_e32 vcc, 1, v10
	v_cndmask_b32_e64 v10, v44, 1, vcc
	v_add_u16_e32 v46, v45, v8
	v_lshlrev_b32_e32 v44, 16, v10
	v_add_u16_e32 v8, v45, v8
	v_or_b32_e32 v50, v44, v8
	v_mov_b32_e32 v8, v46
	v_mov_b32_e32 v48, v10
.LBB338_160:
	;; [unrolled: 27-line block ×4, first 2 shown]
	s_or_b64 exec, exec, s[60:61]
	v_cmp_gt_u32_e32 vcc, 32, v3
	s_waitcnt lgkmcnt(0)
	v_cndmask_b32_e64 v49, 0, 1, vcc
	v_lshlrev_b32_e32 v49, 5, v49
	v_add_lshl_u32 v49, v49, v5, 2
	ds_bpermute_b32 v5, v49, v50
	v_add_u32_e32 v50, 32, v3
	v_cmp_le_u32_e32 vcc, v50, v11
	s_and_saveexec_b64 s[60:61], vcc
	s_cbranch_execz .LBB338_166
; %bb.165:
	v_cmp_eq_u16_e32 vcc, 0, v48
	s_waitcnt lgkmcnt(0)
	v_cndmask_b32_e32 v10, 0, v5, vcc
	v_add_u16_e32 v8, v10, v8
	v_and_b32_e32 v10, 1, v48
	v_mov_b32_e32 v11, 1
	v_and_b32_sdwa v5, v5, v11 dst_sel:DWORD dst_unused:UNUSED_PAD src0_sel:WORD_1 src1_sel:DWORD
	v_cmp_eq_u32_e32 vcc, 1, v10
	v_cndmask_b32_e64 v10, v5, 1, vcc
.LBB338_166:
	s_or_b64 exec, exec, s[60:61]
	s_waitcnt lgkmcnt(0)
	v_mov_b32_e32 v5, 0
	v_mov_b32_e32 v52, 2
	;; [unrolled: 1-line block ×3, first 2 shown]
	s_branch .LBB338_168
.LBB338_167:                            ;   in Loop: Header=BB338_168 Depth=1
	s_or_b64 exec, exec, s[60:61]
	v_cmp_eq_u16_sdwa vcc, v48, v5 src0_sel:BYTE_0 src1_sel:DWORD
	v_and_b32_e32 v10, 1, v48
	v_cndmask_b32_e32 v8, 0, v8, vcc
	v_and_b32_e32 v11, 1, v11
	v_cmp_eq_u32_e32 vcc, 1, v10
	v_subrev_u32_e32 v4, 64, v4
	v_add_u16_e32 v8, v8, v51
	v_cndmask_b32_e64 v10, v11, 1, vcc
.LBB338_168:                            ; =>This Loop Header: Depth=1
                                        ;     Child Loop BB338_171 Depth 2
                                        ;       Child Loop BB338_172 Depth 3
	v_cmp_ne_u16_sdwa s[60:61], v9, v52 src0_sel:BYTE_0 src1_sel:DWORD
	v_cndmask_b32_e64 v9, 0, 1, s[60:61]
	;;#ASMSTART
	;;#ASMEND
	v_cmp_ne_u32_e32 vcc, 0, v9
	v_mov_b32_e32 v48, v10
	s_cmp_lg_u64 vcc, exec
	v_mov_b32_e32 v51, v8
	s_cbranch_scc1 .LBB338_187
; %bb.169:                              ;   in Loop: Header=BB338_168 Depth=1
	v_lshlrev_b64 v[8:9], 3, v[4:5]
	v_mov_b32_e32 v11, s65
	v_add_co_u32_e32 v10, vcc, s64, v8
	v_addc_co_u32_e32 v11, vcc, v11, v9, vcc
	global_load_dwordx2 v[8:9], v[10:11], off glc
	s_waitcnt vmcnt(0)
	v_cmp_eq_u16_sdwa s[62:63], v9, v5 src0_sel:BYTE_0 src1_sel:DWORD
	s_and_saveexec_b64 s[60:61], s[62:63]
	s_cbranch_execz .LBB338_175
; %bb.170:                              ;   in Loop: Header=BB338_168 Depth=1
	s_mov_b32 s7, 1
	s_mov_b64 s[62:63], 0
.LBB338_171:                            ;   Parent Loop BB338_168 Depth=1
                                        ; =>  This Loop Header: Depth=2
                                        ;       Child Loop BB338_172 Depth 3
	s_max_u32 s67, s7, 1
.LBB338_172:                            ;   Parent Loop BB338_168 Depth=1
                                        ;     Parent Loop BB338_171 Depth=2
                                        ; =>    This Inner Loop Header: Depth=3
	s_add_i32 s67, s67, -1
	s_cmp_eq_u32 s67, 0
	s_sleep 1
	s_cbranch_scc0 .LBB338_172
; %bb.173:                              ;   in Loop: Header=BB338_171 Depth=2
	global_load_dwordx2 v[8:9], v[10:11], off glc
	s_cmp_lt_u32 s7, 32
	s_cselect_b64 s[72:73], -1, 0
	s_cmp_lg_u64 s[72:73], 0
	s_addc_u32 s7, s7, 0
	s_waitcnt vmcnt(0)
	v_cmp_ne_u16_sdwa s[72:73], v9, v5 src0_sel:BYTE_0 src1_sel:DWORD
	s_or_b64 s[62:63], s[72:73], s[62:63]
	s_andn2_b64 exec, exec, s[62:63]
	s_cbranch_execnz .LBB338_171
; %bb.174:                              ;   in Loop: Header=BB338_168 Depth=1
	s_or_b64 exec, exec, s[62:63]
.LBB338_175:                            ;   in Loop: Header=BB338_168 Depth=1
	s_or_b64 exec, exec, s[60:61]
	v_cmp_eq_u16_sdwa s[60:61], v9, v52 src0_sel:BYTE_0 src1_sel:DWORD
	v_and_b32_e32 v10, s61, v7
	s_waitcnt lgkmcnt(0)
	v_and_b32_e32 v55, 0xffffff, v8
	v_or_b32_e32 v10, 0x80000000, v10
	ds_bpermute_b32 v56, v39, v55
	v_and_b32_e32 v11, s60, v6
	v_ffbl_b32_e32 v10, v10
	v_add_u32_e32 v10, 32, v10
	v_ffbl_b32_e32 v11, v11
	v_min_u32_e32 v10, v11, v10
	v_lshrrev_b32_e32 v11, 16, v8
	v_cmp_lt_u32_e32 vcc, v3, v10
	v_bfe_u32 v54, v8, 16, 8
	s_and_saveexec_b64 s[60:61], vcc
	s_cbranch_execz .LBB338_177
; %bb.176:                              ;   in Loop: Header=BB338_168 Depth=1
	v_and_b32_e32 v11, 0xff0000, v8
	v_cmp_eq_u32_e32 vcc, 0, v11
	v_and_b32_e32 v11, 0x10000, v11
	s_waitcnt lgkmcnt(0)
	v_cndmask_b32_e32 v54, 0, v56, vcc
	v_and_b32_sdwa v55, v56, v53 dst_sel:DWORD dst_unused:UNUSED_PAD src0_sel:WORD_1 src1_sel:DWORD
	v_cmp_ne_u32_e32 vcc, 0, v11
	v_cndmask_b32_e64 v11, v55, 1, vcc
	v_add_u16_e32 v57, v54, v8
	v_lshlrev_b32_e32 v55, 16, v11
	v_add_u16_e32 v8, v54, v8
	v_or_b32_e32 v55, v55, v8
	v_mov_b32_e32 v8, v57
	v_mov_b32_e32 v54, v11
.LBB338_177:                            ;   in Loop: Header=BB338_168 Depth=1
	s_or_b64 exec, exec, s[60:61]
	s_waitcnt lgkmcnt(0)
	ds_bpermute_b32 v56, v40, v55
	v_cmp_le_u32_e32 vcc, v41, v10
	s_and_saveexec_b64 s[60:61], vcc
	s_cbranch_execz .LBB338_179
; %bb.178:                              ;   in Loop: Header=BB338_168 Depth=1
	v_cmp_eq_u16_e32 vcc, 0, v54
	v_and_b32_e32 v11, 1, v54
	s_waitcnt lgkmcnt(0)
	v_cndmask_b32_e32 v55, 0, v56, vcc
	v_and_b32_sdwa v54, v56, v53 dst_sel:DWORD dst_unused:UNUSED_PAD src0_sel:WORD_1 src1_sel:DWORD
	v_cmp_eq_u32_e32 vcc, 1, v11
	v_cndmask_b32_e64 v11, v54, 1, vcc
	v_add_u16_e32 v57, v55, v8
	v_lshlrev_b32_e32 v54, 16, v11
	v_add_u16_e32 v8, v55, v8
	v_or_b32_e32 v55, v54, v8
	v_mov_b32_e32 v8, v57
	v_mov_b32_e32 v54, v11
.LBB338_179:                            ;   in Loop: Header=BB338_168 Depth=1
	s_or_b64 exec, exec, s[60:61]
	s_waitcnt lgkmcnt(0)
	ds_bpermute_b32 v56, v42, v55
	v_cmp_le_u32_e32 vcc, v43, v10
	s_and_saveexec_b64 s[60:61], vcc
	s_cbranch_execz .LBB338_181
; %bb.180:                              ;   in Loop: Header=BB338_168 Depth=1
	v_cmp_eq_u16_e32 vcc, 0, v54
	v_and_b32_e32 v11, 1, v54
	s_waitcnt lgkmcnt(0)
	v_cndmask_b32_e32 v55, 0, v56, vcc
	v_and_b32_sdwa v54, v56, v53 dst_sel:DWORD dst_unused:UNUSED_PAD src0_sel:WORD_1 src1_sel:DWORD
	v_cmp_eq_u32_e32 vcc, 1, v11
	v_cndmask_b32_e64 v11, v54, 1, vcc
	v_add_u16_e32 v57, v55, v8
	v_lshlrev_b32_e32 v54, 16, v11
	v_add_u16_e32 v8, v55, v8
	v_or_b32_e32 v55, v54, v8
	v_mov_b32_e32 v8, v57
	v_mov_b32_e32 v54, v11
.LBB338_181:                            ;   in Loop: Header=BB338_168 Depth=1
	;; [unrolled: 21-line block ×4, first 2 shown]
	s_or_b64 exec, exec, s[60:61]
	ds_bpermute_b32 v55, v49, v55
	v_cmp_le_u32_e32 vcc, v50, v10
	s_and_saveexec_b64 s[60:61], vcc
	s_cbranch_execz .LBB338_167
; %bb.186:                              ;   in Loop: Header=BB338_168 Depth=1
	v_cmp_eq_u16_e32 vcc, 0, v54
	s_waitcnt lgkmcnt(0)
	v_cndmask_b32_e32 v10, 0, v55, vcc
	v_add_u16_e32 v8, v10, v8
	v_and_b32_e32 v10, 1, v54
	v_lshrrev_b32_e32 v11, 16, v55
	v_cmp_eq_u32_e32 vcc, 1, v10
	v_cndmask_b32_e64 v11, v11, 1, vcc
	s_branch .LBB338_167
.LBB338_187:                            ;   in Loop: Header=BB338_168 Depth=1
                                        ; implicit-def: $vgpr10
                                        ; implicit-def: $vgpr8
	s_cbranch_execz .LBB338_168
; %bb.188:
	s_and_saveexec_b64 s[60:61], s[48:49]
	s_cbranch_execz .LBB338_190
; %bb.189:
	v_and_b32_e32 v3, 0xff0000, v2
	s_mov_b32 s7, 0
	v_cmp_eq_u32_e32 vcc, 0, v3
	v_and_b32_e32 v4, 0x10000, v2
	v_mov_b32_e32 v5, 1
	s_add_i32 s6, s6, 64
	v_cndmask_b32_e32 v3, 0, v51, vcc
	v_and_b32_sdwa v5, v48, v5 dst_sel:WORD_1 dst_unused:UNUSED_PAD src0_sel:DWORD src1_sel:DWORD
	v_mov_b32_e32 v6, 0x10000
	v_cmp_eq_u32_e32 vcc, 0, v4
	s_lshl_b64 s[6:7], s[6:7], 3
	v_cndmask_b32_e32 v4, v6, v5, vcc
	s_add_u32 s6, s64, s6
	v_add_u16_e32 v2, v3, v2
	s_addc_u32 s7, s65, s7
	v_mov_b32_e32 v5, 0
	v_or_b32_e32 v2, v4, v2
	v_mov_b32_e32 v3, 2
	global_store_dwordx2 v5, v[2:3], s[6:7]
.LBB338_190:
	s_or_b64 exec, exec, s[60:61]
	s_and_b64 exec, exec, s[46:47]
	s_cbranch_execz .LBB338_192
; %bb.191:
	v_mov_b32_e32 v2, 0
	ds_write_b16 v2, v51
	ds_write_b8 v2, v48 offset:2
.LBB338_192:
	s_or_b64 exec, exec, s[56:57]
	v_mov_b32_e32 v2, 0
	s_mov_b32 s6, 0x10000
	s_waitcnt lgkmcnt(0)
	s_barrier
	ds_read_b32 v3, v2
	v_cmp_gt_u32_e32 vcc, s6, v1
	v_and_b32_e32 v5, 0x10000, v1
	v_cndmask_b32_e32 v4, 0, v37, vcc
	v_and_b32_e32 v6, 1, v38
	v_cmp_ne_u32_e32 vcc, 0, v5
	v_cndmask_b32_e64 v5, v6, 1, vcc
	v_cndmask_b32_e64 v5, v5, v36, s[46:47]
	v_cndmask_b32_e64 v4, v4, 0, s[46:47]
	v_cmp_eq_u16_sdwa vcc, v5, v2 src0_sel:BYTE_0 src1_sel:DWORD
	v_add_u16_e32 v4, v4, v1
	s_waitcnt lgkmcnt(0)
	v_cndmask_b32_e32 v2, 0, v3, vcc
	v_add_u16_e32 v49, v4, v2
	v_cndmask_b32_e64 v2, 0, v49, s[2:3]
	v_add_u16_e32 v4, v2, v16
	v_cndmask_b32_e64 v2, 0, v4, s[4:5]
	;; [unrolled: 2-line block ×21, first 2 shown]
	v_add_u16_e32 v48, v2, v13
	s_branch .LBB338_215
.LBB338_193:
                                        ; implicit-def: $vgpr49
                                        ; implicit-def: $vgpr4
                                        ; implicit-def: $vgpr5
                                        ; implicit-def: $vgpr6
                                        ; implicit-def: $vgpr7
                                        ; implicit-def: $vgpr8
                                        ; implicit-def: $vgpr9
                                        ; implicit-def: $vgpr10
                                        ; implicit-def: $vgpr11
                                        ; implicit-def: $vgpr36
                                        ; implicit-def: $vgpr37
                                        ; implicit-def: $vgpr38
                                        ; implicit-def: $vgpr39
                                        ; implicit-def: $vgpr40
                                        ; implicit-def: $vgpr41
                                        ; implicit-def: $vgpr42
                                        ; implicit-def: $vgpr43
                                        ; implicit-def: $vgpr44
                                        ; implicit-def: $vgpr45
                                        ; implicit-def: $vgpr46
                                        ; implicit-def: $vgpr47
                                        ; implicit-def: $vgpr48
	s_cbranch_execz .LBB338_215
; %bb.194:
	s_cmp_lg_u64 s[70:71], 0
	s_cselect_b32 s5, s59, 0
	s_cselect_b32 s4, s58, 0
	s_cmp_lg_u64 s[4:5], 0
	s_cselect_b64 s[6:7], -1, 0
	v_cmp_eq_u32_e32 vcc, 0, v0
	v_cmp_ne_u32_e64 s[2:3], 0, v0
	s_and_b64 s[8:9], vcc, s[6:7]
	s_and_saveexec_b64 s[6:7], s[8:9]
	s_cbranch_execz .LBB338_196
; %bb.195:
	v_mov_b32_e32 v2, 0
	global_load_ushort v3, v2, s[4:5]
	global_load_ubyte v4, v2, s[4:5] offset:2
	s_mov_b32 s4, 0x10000
	v_and_b32_e32 v2, 0x10000, v1
	v_mov_b32_e32 v5, 1
	v_cmp_gt_u32_e64 s[4:5], s4, v1
	v_mov_b32_e32 v6, 0x10000
	s_waitcnt vmcnt(1)
	v_cndmask_b32_e64 v3, 0, v3, s[4:5]
	s_waitcnt vmcnt(0)
	v_and_b32_sdwa v4, v4, v5 dst_sel:WORD_1 dst_unused:UNUSED_PAD src0_sel:DWORD src1_sel:DWORD
	v_cmp_eq_u32_e64 s[4:5], 0, v2
	v_add_u16_e32 v1, v3, v1
	v_cndmask_b32_e64 v2, v6, v4, s[4:5]
	v_or_b32_e32 v1, v2, v1
.LBB338_196:
	s_or_b64 exec, exec, s[6:7]
	s_mov_b32 s46, 0x10000
	v_cmp_gt_u32_e64 s[4:5], s46, v16
	v_cndmask_b32_e64 v3, 0, v1, s[4:5]
	v_add_u16_e32 v4, v3, v16
	v_cmp_gt_u32_e64 s[6:7], s46, v17
	v_cndmask_b32_e64 v3, 0, v4, s[6:7]
	v_add_u16_e32 v5, v3, v17
	;; [unrolled: 3-line block ×21, first 2 shown]
	v_or3_b32 v3, v15, v31, v30
	v_or3_b32 v3, v3, v29, v28
	v_or3_b32 v3, v3, v27, v26
	v_or3_b32 v3, v3, v25, v24
	v_or3_b32 v3, v3, v23, v22
	v_or3_b32 v3, v3, v21, v20
	v_or3_b32 v3, v3, v19, v18
	v_or3_b32 v3, v3, v17, v16
	v_and_b32_e32 v3, 0x10000, v3
	v_lshrrev_b32_e32 v2, 16, v1
	v_cmp_ne_u32_e64 s[48:49], 0, v3
	v_mov_b32_e32 v49, 0x10000
	v_cndmask_b32_e64 v3, v2, 1, s[48:49]
	v_add_lshl_u32 v2, v14, v0, 2
	v_cmp_gt_u32_e64 s[48:49], 64, v0
	ds_write_b16 v2, v48
	ds_write_b8 v2, v3 offset:2
	s_waitcnt lgkmcnt(0)
	s_barrier
	s_and_saveexec_b64 s[50:51], s[48:49]
	s_cbranch_execz .LBB338_210
; %bb.197:
	v_lshlrev_b32_e32 v2, 2, v0
	v_lshrrev_b32_e32 v14, 3, v0
	v_add_lshl_u32 v2, v14, v2, 2
	ds_read_b32 v14, v2
	ds_read_u16 v15, v2 offset:4
	ds_read_u8 v50, v2 offset:6
	ds_read_u16 v51, v2 offset:8
	ds_read_u8 v52, v2 offset:10
	ds_read_u16 v53, v2 offset:12
	ds_read_u8 v54, v2 offset:14
	v_mov_b32_e32 v55, 0
	s_waitcnt lgkmcnt(4)
	v_cmp_eq_u16_sdwa s[48:49], v50, v55 src0_sel:BYTE_0 src1_sel:DWORD
	v_cndmask_b32_e64 v56, 0, v14, s[48:49]
	v_add_u16_e32 v56, v56, v15
	s_waitcnt lgkmcnt(2)
	v_cmp_eq_u16_sdwa s[48:49], v52, v55 src0_sel:BYTE_0 src1_sel:DWORD
	s_waitcnt lgkmcnt(0)
	v_or_b32_e32 v52, v54, v52
	v_cndmask_b32_e64 v55, 0, v56, s[48:49]
	v_or_b32_e32 v50, v52, v50
	v_add_u16_e32 v51, v55, v51
	v_cmp_eq_u16_e64 s[48:49], 0, v54
	v_and_b32_e32 v50, 1, v50
	v_and_b32_e32 v15, 0x10000, v14
	v_cndmask_b32_e64 v55, 0, v51, s[48:49]
	v_cmp_eq_u32_e64 s[48:49], 1, v50
	v_mbcnt_lo_u32_b32 v50, -1, 0
	v_add_u16_e32 v51, v55, v53
	v_cndmask_b32_e64 v56, v15, v49, s[48:49]
	v_add_u16_e32 v53, v55, v53
	v_and_b32_e32 v49, 0xff000000, v14
	v_mbcnt_hi_u32_b32 v50, -1, v50
	v_or_b32_e32 v54, v56, v49
	v_and_b32_e32 v55, 15, v50
	v_or3_b32 v53, v49, v53, v56
	s_movk_i32 s58, 0xff
	v_lshrrev_b32_e32 v52, 16, v54
	v_mov_b32_dpp v56, v53 row_shr:1 row_mask:0xf bank_mask:0xf
	v_cmp_ne_u32_e64 s[48:49], 0, v55
	s_and_saveexec_b64 s[56:57], s[48:49]
	s_cbranch_execz .LBB338_199
; %bb.198:
	v_and_b32_sdwa v52, v54, s58 dst_sel:DWORD dst_unused:UNUSED_PAD src0_sel:WORD_1 src1_sel:DWORD
	v_cmp_eq_u16_e64 s[48:49], 0, v52
	v_and_b32_e32 v52, 0x10000, v54
	v_mov_b32_e32 v54, 1
	v_cndmask_b32_e64 v53, 0, v56, s[48:49]
	v_and_b32_sdwa v54, v56, v54 dst_sel:DWORD dst_unused:UNUSED_PAD src0_sel:WORD_1 src1_sel:DWORD
	v_cmp_ne_u32_e64 s[48:49], 0, v52
	v_cndmask_b32_e64 v52, v54, 1, s[48:49]
	v_add_u16_e32 v57, v53, v51
	v_lshlrev_b32_e32 v54, 16, v52
	v_add_u16_e32 v51, v53, v51
	v_or3_b32 v53, v54, v51, v49
	v_mov_b32_e32 v51, v57
.LBB338_199:
	s_or_b64 exec, exec, s[56:57]
	v_lshrrev_b32_e32 v54, 16, v53
	v_mov_b32_dpp v56, v53 row_shr:2 row_mask:0xf bank_mask:0xf
	v_cmp_lt_u32_e64 s[48:49], 1, v55
	s_and_saveexec_b64 s[56:57], s[48:49]
	s_cbranch_execz .LBB338_201
; %bb.200:
	v_mov_b32_e32 v52, 0
	v_cmp_eq_u16_sdwa s[48:49], v54, v52 src0_sel:BYTE_0 src1_sel:DWORD
	v_and_b32_e32 v52, 0x10000, v53
	v_mov_b32_e32 v53, 1
	v_cndmask_b32_e64 v54, 0, v56, s[48:49]
	v_and_b32_sdwa v53, v56, v53 dst_sel:DWORD dst_unused:UNUSED_PAD src0_sel:WORD_1 src1_sel:DWORD
	v_cmp_ne_u32_e64 s[48:49], 0, v52
	v_cndmask_b32_e64 v52, v53, 1, s[48:49]
	v_add_u16_e32 v57, v54, v51
	v_lshlrev_b32_e32 v53, 16, v52
	v_add_u16_e32 v51, v54, v51
	v_or3_b32 v53, v53, v51, v49
	v_mov_b32_e32 v54, v52
	v_mov_b32_e32 v51, v57
.LBB338_201:
	s_or_b64 exec, exec, s[56:57]
	v_mov_b32_dpp v56, v53 row_shr:4 row_mask:0xf bank_mask:0xf
	v_cmp_lt_u32_e64 s[48:49], 3, v55
	s_and_saveexec_b64 s[56:57], s[48:49]
	s_cbranch_execz .LBB338_203
; %bb.202:
	v_mov_b32_e32 v52, 0
	v_cmp_eq_u16_sdwa s[48:49], v54, v52 src0_sel:BYTE_0 src1_sel:DWORD
	v_and_b32_e32 v52, 1, v54
	v_mov_b32_e32 v54, 1
	v_cndmask_b32_e64 v53, 0, v56, s[48:49]
	v_and_b32_sdwa v54, v56, v54 dst_sel:DWORD dst_unused:UNUSED_PAD src0_sel:WORD_1 src1_sel:DWORD
	v_cmp_eq_u32_e64 s[48:49], 1, v52
	v_cndmask_b32_e64 v52, v54, 1, s[48:49]
	v_add_u16_e32 v57, v53, v51
	v_lshlrev_b32_e32 v54, 16, v52
	v_add_u16_e32 v51, v53, v51
	v_or3_b32 v53, v54, v51, v49
	v_mov_b32_e32 v54, v52
	v_mov_b32_e32 v51, v57
.LBB338_203:
	s_or_b64 exec, exec, s[56:57]
	v_mov_b32_dpp v56, v53 row_shr:8 row_mask:0xf bank_mask:0xf
	v_cmp_lt_u32_e64 s[48:49], 7, v55
	s_and_saveexec_b64 s[56:57], s[48:49]
	s_cbranch_execz .LBB338_205
; %bb.204:
	v_mov_b32_e32 v52, 0
	v_cmp_eq_u16_sdwa s[48:49], v54, v52 src0_sel:BYTE_0 src1_sel:DWORD
	v_and_b32_e32 v52, 1, v54
	v_mov_b32_e32 v54, 1
	v_cndmask_b32_e64 v53, 0, v56, s[48:49]
	v_and_b32_sdwa v54, v56, v54 dst_sel:DWORD dst_unused:UNUSED_PAD src0_sel:WORD_1 src1_sel:DWORD
	v_cmp_eq_u32_e64 s[48:49], 1, v52
	v_cndmask_b32_e64 v52, v54, 1, s[48:49]
	v_add_u16_e32 v55, v53, v51
	v_lshlrev_b32_e32 v54, 16, v52
	v_add_u16_e32 v51, v53, v51
	v_or3_b32 v53, v54, v51, v49
	v_mov_b32_e32 v54, v52
	v_mov_b32_e32 v51, v55
.LBB338_205:
	s_or_b64 exec, exec, s[56:57]
	v_and_b32_e32 v56, 16, v50
	v_mov_b32_dpp v55, v53 row_bcast:15 row_mask:0xf bank_mask:0xf
	v_cmp_ne_u32_e64 s[48:49], 0, v56
	s_and_saveexec_b64 s[56:57], s[48:49]
	s_cbranch_execz .LBB338_207
; %bb.206:
	v_mov_b32_e32 v52, 0
	v_cmp_eq_u16_sdwa s[48:49], v54, v52 src0_sel:BYTE_0 src1_sel:DWORD
	v_and_b32_e32 v52, 1, v54
	v_mov_b32_e32 v54, 1
	v_cndmask_b32_e64 v53, 0, v55, s[48:49]
	v_and_b32_sdwa v54, v55, v54 dst_sel:DWORD dst_unused:UNUSED_PAD src0_sel:WORD_1 src1_sel:DWORD
	v_cmp_eq_u32_e64 s[48:49], 1, v52
	v_cndmask_b32_e64 v52, v54, 1, s[48:49]
	v_add_u16_e32 v56, v53, v51
	v_lshlrev_b32_e32 v54, 16, v52
	v_add_u16_e32 v51, v53, v51
	v_or3_b32 v53, v54, v51, v49
	v_mov_b32_e32 v54, v52
	v_mov_b32_e32 v51, v56
.LBB338_207:
	s_or_b64 exec, exec, s[56:57]
	v_mov_b32_dpp v53, v53 row_bcast:31 row_mask:0xf bank_mask:0xf
	v_cmp_lt_u32_e64 s[48:49], 31, v50
	s_and_saveexec_b64 s[56:57], s[48:49]
; %bb.208:
	v_mov_b32_e32 v52, 0
	v_cmp_eq_u16_sdwa s[48:49], v54, v52 src0_sel:BYTE_0 src1_sel:DWORD
	v_cndmask_b32_e64 v52, 0, v53, s[48:49]
	v_add_u16_e32 v51, v52, v51
	v_and_b32_e32 v52, 1, v54
	v_mov_b32_e32 v54, 1
	v_and_b32_sdwa v53, v53, v54 dst_sel:DWORD dst_unused:UNUSED_PAD src0_sel:WORD_1 src1_sel:DWORD
	v_cmp_eq_u32_e64 s[48:49], 1, v52
	v_cndmask_b32_e64 v52, v53, 1, s[48:49]
; %bb.209:
	s_or_b64 exec, exec, s[56:57]
	v_and_b32_e32 v52, 0xff, v52
	v_lshlrev_b32_e32 v52, 16, v52
	v_and_b32_e32 v51, 0xffff, v51
	v_or3_b32 v49, v52, v51, v49
	v_add_u32_e32 v51, -1, v50
	v_and_b32_e32 v52, 64, v50
	v_cmp_lt_i32_e64 s[48:49], v51, v52
	v_cndmask_b32_e64 v50, v51, v50, s[48:49]
	v_lshlrev_b32_e32 v50, 2, v50
	ds_bpermute_b32 v49, v50, v49
	v_and_b32_e32 v50, 0xff0000, v14
	v_cmp_eq_u32_e64 s[48:49], 0, v50
	; wave barrier
	s_waitcnt lgkmcnt(0)
	v_cndmask_b32_e64 v50, 0, v49, s[48:49]
	v_add_u16_e32 v14, v50, v14
	v_mov_b32_e32 v50, 1
	v_and_b32_sdwa v49, v49, v50 dst_sel:DWORD dst_unused:UNUSED_PAD src0_sel:WORD_1 src1_sel:DWORD
	v_cmp_eq_u32_e64 s[48:49], 0, v15
	v_cndmask_b32_e64 v15, 1, v49, s[48:49]
	v_cndmask_b32_e32 v14, v14, v48, vcc
	v_cndmask_b32_e32 v3, v15, v3, vcc
	ds_write_b16 v2, v14
	ds_write_b8 v2, v3 offset:2
	; wave barrier
	ds_read_u16 v15, v2 offset:4
	ds_read_u8 v49, v2 offset:6
	ds_read_u16 v50, v2 offset:8
	ds_read_u8 v51, v2 offset:10
	;; [unrolled: 2-line block ×3, first 2 shown]
	s_waitcnt lgkmcnt(4)
	v_cmp_eq_u16_e64 s[48:49], 0, v49
	v_cndmask_b32_e64 v14, 0, v14, s[48:49]
	v_add_u16_e32 v14, v14, v15
	v_and_b32_e32 v15, 1, v49
	v_cmp_eq_u32_e64 s[48:49], 1, v15
	v_cndmask_b32_e64 v3, v3, 1, s[48:49]
	s_waitcnt lgkmcnt(2)
	v_cmp_eq_u16_e64 s[48:49], 0, v51
	v_and_b32_e32 v15, 1, v51
	ds_write_b16 v2, v14 offset:4
	ds_write_b8 v2, v3 offset:6
	v_cndmask_b32_e64 v14, 0, v14, s[48:49]
	v_cmp_eq_u32_e64 s[48:49], 1, v15
	v_add_u16_e32 v14, v14, v50
	v_cndmask_b32_e64 v3, v3, 1, s[48:49]
	s_waitcnt lgkmcnt(2)
	v_cmp_eq_u16_e64 s[48:49], 0, v53
	ds_write_b16 v2, v14 offset:8
	ds_write_b8 v2, v3 offset:10
	v_cndmask_b32_e64 v14, 0, v14, s[48:49]
	v_and_b32_e32 v15, 1, v53
	v_add_u16_e32 v14, v14, v52
	v_cmp_eq_u32_e64 s[48:49], 1, v15
	v_cndmask_b32_e64 v3, v3, 1, s[48:49]
	ds_write_b16 v2, v14 offset:12
	ds_write_b8 v2, v3 offset:14
.LBB338_210:
	s_or_b64 exec, exec, s[50:51]
	v_mov_b32_e32 v2, v48
	s_waitcnt lgkmcnt(0)
	s_barrier
	s_and_saveexec_b64 s[48:49], s[2:3]
	s_cbranch_execnz .LBB338_285
; %bb.211:
	s_or_b64 exec, exec, s[48:49]
	s_and_saveexec_b64 s[48:49], s[2:3]
	s_cbranch_execnz .LBB338_286
.LBB338_212:
	s_or_b64 exec, exec, s[48:49]
	s_and_saveexec_b64 s[2:3], vcc
	s_cbranch_execz .LBB338_214
.LBB338_213:
	v_mov_b32_e32 v13, 0
	s_waitcnt lgkmcnt(0)
	ds_read_u8 v2, v13 offset:1050
	ds_read_u16 v3, v13 offset:1048
	s_waitcnt lgkmcnt(1)
	v_lshlrev_b32_e32 v2, 16, v2
	s_waitcnt lgkmcnt(0)
	v_or_b32_e32 v2, v2, v3
	v_mov_b32_e32 v3, 2
	global_store_dwordx2 v13, v[2:3], s[64:65] offset:512
.LBB338_214:
	s_or_b64 exec, exec, s[2:3]
	v_mov_b32_e32 v49, v1
.LBB338_215:
	s_add_u32 s2, s54, s68
	s_addc_u32 s3, s55, s69
	s_add_u32 s4, s2, s52
	s_addc_u32 s5, s3, s53
	s_and_b64 vcc, exec, s[0:1]
	v_mul_u32_u24_e32 v14, 22, v0
	s_cbranch_vccz .LBB338_259
; %bb.216:
	s_mov_b32 s0, 0x5040100
	v_lshlrev_b32_e32 v33, 1, v14
	v_perm_b32 v1, v6, v5, s0
	s_waitcnt lgkmcnt(0)
	v_perm_b32 v2, v4, v49, s0
	s_barrier
	ds_write2_b32 v33, v2, v1 offset1:1
	v_perm_b32 v1, v10, v9, s0
	v_perm_b32 v2, v8, v7, s0
	ds_write2_b32 v33, v2, v1 offset0:2 offset1:3
	v_perm_b32 v1, v38, v37, s0
	v_perm_b32 v2, v36, v11, s0
	ds_write2_b32 v33, v2, v1 offset0:4 offset1:5
	;; [unrolled: 3-line block ×4, first 2 shown]
	v_perm_b32 v1, v48, v47, s0
	s_movk_i32 s0, 0xffd6
	v_mad_i32_i24 v2, v0, s0, v33
	ds_write_b32 v33, v1 offset:40
	s_waitcnt lgkmcnt(0)
	s_barrier
	ds_read_u16 v35, v2 offset:512
	ds_read_u16 v34, v2 offset:1024
	;; [unrolled: 1-line block ×21, first 2 shown]
	v_mov_b32_e32 v3, s5
	v_add_co_u32_e32 v2, vcc, s4, v12
	s_add_i32 s33, s33, s66
	v_addc_co_u32_e32 v3, vcc, 0, v3, vcc
	v_mov_b32_e32 v1, 0
	v_cmp_gt_u32_e32 vcc, s33, v0
	s_and_saveexec_b64 s[0:1], vcc
	s_cbranch_execz .LBB338_218
; %bb.217:
	v_mul_i32_i24_e32 v50, 0xffffffd6, v0
	v_add_u32_e32 v33, v33, v50
	ds_read_u16 v33, v33
	s_waitcnt lgkmcnt(0)
	flat_store_short v[2:3], v33
.LBB338_218:
	s_or_b64 exec, exec, s[0:1]
	v_or_b32_e32 v33, 0x100, v0
	v_cmp_gt_u32_e32 vcc, s33, v33
	s_and_saveexec_b64 s[0:1], vcc
	s_cbranch_execz .LBB338_220
; %bb.219:
	s_waitcnt lgkmcnt(0)
	flat_store_short v[2:3], v35 offset:512
.LBB338_220:
	s_or_b64 exec, exec, s[0:1]
	v_or_b32_e32 v33, 0x200, v0
	v_cmp_gt_u32_e32 vcc, s33, v33
	s_and_saveexec_b64 s[0:1], vcc
	s_cbranch_execz .LBB338_222
; %bb.221:
	s_waitcnt lgkmcnt(0)
	flat_store_short v[2:3], v34 offset:1024
.LBB338_222:
	;; [unrolled: 9-line block ×3, first 2 shown]
	s_or_b64 exec, exec, s[0:1]
	s_waitcnt lgkmcnt(0)
	v_or_b32_e32 v32, 0x400, v0
	v_cmp_gt_u32_e32 vcc, s33, v32
	s_and_saveexec_b64 s[0:1], vcc
	s_cbranch_execz .LBB338_226
; %bb.225:
	flat_store_short v[2:3], v31 offset:2048
.LBB338_226:
	s_or_b64 exec, exec, s[0:1]
	v_or_b32_e32 v31, 0x500, v0
	v_cmp_gt_u32_e32 vcc, s33, v31
	s_and_saveexec_b64 s[0:1], vcc
	s_cbranch_execz .LBB338_228
; %bb.227:
	flat_store_short v[2:3], v30 offset:2560
.LBB338_228:
	s_or_b64 exec, exec, s[0:1]
	;; [unrolled: 8-line block ×4, first 2 shown]
	v_or_b32_e32 v28, 0x800, v0
	v_cmp_gt_u32_e32 vcc, s33, v28
	s_and_saveexec_b64 s[0:1], vcc
	s_cbranch_execz .LBB338_234
; %bb.233:
	v_add_co_u32_e32 v28, vcc, 0x1000, v2
	v_addc_co_u32_e32 v29, vcc, 0, v3, vcc
	flat_store_short v[28:29], v27
.LBB338_234:
	s_or_b64 exec, exec, s[0:1]
	v_or_b32_e32 v27, 0x900, v0
	v_cmp_gt_u32_e32 vcc, s33, v27
	s_and_saveexec_b64 s[0:1], vcc
	s_cbranch_execz .LBB338_236
; %bb.235:
	v_add_co_u32_e32 v28, vcc, 0x1000, v2
	v_addc_co_u32_e32 v29, vcc, 0, v3, vcc
	flat_store_short v[28:29], v26 offset:512
.LBB338_236:
	s_or_b64 exec, exec, s[0:1]
	v_or_b32_e32 v26, 0xa00, v0
	v_cmp_gt_u32_e32 vcc, s33, v26
	s_and_saveexec_b64 s[0:1], vcc
	s_cbranch_execz .LBB338_238
; %bb.237:
	v_add_co_u32_e32 v26, vcc, 0x1000, v2
	v_addc_co_u32_e32 v27, vcc, 0, v3, vcc
	flat_store_short v[26:27], v25 offset:1024
.LBB338_238:
	s_or_b64 exec, exec, s[0:1]
	v_or_b32_e32 v25, 0xb00, v0
	v_cmp_gt_u32_e32 vcc, s33, v25
	s_and_saveexec_b64 s[0:1], vcc
	s_cbranch_execz .LBB338_240
; %bb.239:
	v_add_co_u32_e32 v26, vcc, 0x1000, v2
	v_addc_co_u32_e32 v27, vcc, 0, v3, vcc
	flat_store_short v[26:27], v24 offset:1536
.LBB338_240:
	s_or_b64 exec, exec, s[0:1]
	v_or_b32_e32 v24, 0xc00, v0
	v_cmp_gt_u32_e32 vcc, s33, v24
	s_and_saveexec_b64 s[0:1], vcc
	s_cbranch_execz .LBB338_242
; %bb.241:
	v_add_co_u32_e32 v24, vcc, 0x1000, v2
	v_addc_co_u32_e32 v25, vcc, 0, v3, vcc
	flat_store_short v[24:25], v23 offset:2048
.LBB338_242:
	s_or_b64 exec, exec, s[0:1]
	v_or_b32_e32 v23, 0xd00, v0
	v_cmp_gt_u32_e32 vcc, s33, v23
	s_and_saveexec_b64 s[0:1], vcc
	s_cbranch_execz .LBB338_244
; %bb.243:
	v_add_co_u32_e32 v24, vcc, 0x1000, v2
	v_addc_co_u32_e32 v25, vcc, 0, v3, vcc
	flat_store_short v[24:25], v22 offset:2560
.LBB338_244:
	s_or_b64 exec, exec, s[0:1]
	v_or_b32_e32 v22, 0xe00, v0
	v_cmp_gt_u32_e32 vcc, s33, v22
	s_and_saveexec_b64 s[0:1], vcc
	s_cbranch_execz .LBB338_246
; %bb.245:
	v_add_co_u32_e32 v22, vcc, 0x1000, v2
	v_addc_co_u32_e32 v23, vcc, 0, v3, vcc
	flat_store_short v[22:23], v21 offset:3072
.LBB338_246:
	s_or_b64 exec, exec, s[0:1]
	v_or_b32_e32 v21, 0xf00, v0
	v_cmp_gt_u32_e32 vcc, s33, v21
	s_and_saveexec_b64 s[0:1], vcc
	s_cbranch_execz .LBB338_248
; %bb.247:
	v_add_co_u32_e32 v22, vcc, 0x1000, v2
	v_addc_co_u32_e32 v23, vcc, 0, v3, vcc
	flat_store_short v[22:23], v20 offset:3584
.LBB338_248:
	s_or_b64 exec, exec, s[0:1]
	v_or_b32_e32 v20, 0x1000, v0
	v_cmp_gt_u32_e32 vcc, s33, v20
	s_and_saveexec_b64 s[0:1], vcc
	s_cbranch_execz .LBB338_250
; %bb.249:
	v_add_co_u32_e32 v20, vcc, 0x2000, v2
	v_addc_co_u32_e32 v21, vcc, 0, v3, vcc
	flat_store_short v[20:21], v19
.LBB338_250:
	s_or_b64 exec, exec, s[0:1]
	v_or_b32_e32 v19, 0x1100, v0
	v_cmp_gt_u32_e32 vcc, s33, v19
	s_and_saveexec_b64 s[0:1], vcc
	s_cbranch_execz .LBB338_252
; %bb.251:
	v_add_co_u32_e32 v20, vcc, 0x2000, v2
	v_addc_co_u32_e32 v21, vcc, 0, v3, vcc
	flat_store_short v[20:21], v18 offset:512
.LBB338_252:
	s_or_b64 exec, exec, s[0:1]
	v_or_b32_e32 v18, 0x1200, v0
	v_cmp_gt_u32_e32 vcc, s33, v18
	s_and_saveexec_b64 s[0:1], vcc
	s_cbranch_execz .LBB338_254
; %bb.253:
	v_add_co_u32_e32 v18, vcc, 0x2000, v2
	v_addc_co_u32_e32 v19, vcc, 0, v3, vcc
	flat_store_short v[18:19], v17 offset:1024
.LBB338_254:
	;; [unrolled: 10-line block ×4, first 2 shown]
	s_or_b64 exec, exec, s[0:1]
	v_or_b32_e32 v2, 0x1500, v0
	v_cmp_gt_u32_e64 s[0:1], s33, v2
	s_branch .LBB338_261
.LBB338_259:
	s_mov_b64 s[0:1], 0
                                        ; implicit-def: $vgpr13
	s_cbranch_execz .LBB338_261
; %bb.260:
	s_mov_b32 s2, 0x5040100
	s_waitcnt lgkmcnt(0)
	v_lshlrev_b32_e32 v2, 1, v14
	v_perm_b32 v1, v6, v5, s2
	v_perm_b32 v3, v4, v49, s2
	s_barrier
	ds_write2_b32 v2, v3, v1 offset1:1
	v_perm_b32 v1, v10, v9, s2
	v_perm_b32 v3, v8, v7, s2
	ds_write2_b32 v2, v3, v1 offset0:2 offset1:3
	v_perm_b32 v1, v38, v37, s2
	v_perm_b32 v3, v36, v11, s2
	ds_write2_b32 v2, v3, v1 offset0:4 offset1:5
	;; [unrolled: 3-line block ×4, first 2 shown]
	v_perm_b32 v1, v48, v47, s2
	s_movk_i32 s2, 0xffd6
	ds_write_b32 v2, v1 offset:40
	v_mad_i32_i24 v2, v0, s2, v2
	s_waitcnt lgkmcnt(0)
	s_barrier
	ds_read_u16 v4, v2
	ds_read_u16 v5, v2 offset:512
	ds_read_u16 v6, v2 offset:1024
	;; [unrolled: 1-line block ×21, first 2 shown]
	v_mov_b32_e32 v3, s5
	v_add_co_u32_e32 v2, vcc, s4, v12
	v_addc_co_u32_e32 v3, vcc, 0, v3, vcc
	s_movk_i32 s2, 0x1000
	s_waitcnt lgkmcnt(0)
	flat_store_short v[2:3], v4
	flat_store_short v[2:3], v5 offset:512
	flat_store_short v[2:3], v6 offset:1024
	;; [unrolled: 1-line block ×7, first 2 shown]
	v_add_co_u32_e32 v4, vcc, s2, v2
	v_addc_co_u32_e32 v5, vcc, 0, v3, vcc
	v_add_co_u32_e32 v2, vcc, 0x2000, v2
	v_mov_b32_e32 v1, 0
	v_addc_co_u32_e32 v3, vcc, 0, v3, vcc
	s_or_b64 s[0:1], s[0:1], exec
	flat_store_short v[4:5], v14
	flat_store_short v[4:5], v15 offset:512
	flat_store_short v[4:5], v16 offset:1024
	flat_store_short v[4:5], v17 offset:1536
	flat_store_short v[4:5], v18 offset:2048
	flat_store_short v[4:5], v19 offset:2560
	flat_store_short v[4:5], v20 offset:3072
	flat_store_short v[4:5], v21 offset:3584
	flat_store_short v[2:3], v22
	flat_store_short v[2:3], v23 offset:512
	flat_store_short v[2:3], v24 offset:1024
	;; [unrolled: 1-line block ×4, first 2 shown]
.LBB338_261:
	s_and_saveexec_b64 s[2:3], s[0:1]
	s_cbranch_execnz .LBB338_263
; %bb.262:
	s_endpgm
.LBB338_263:
	v_lshlrev_b64 v[0:1], 1, v[0:1]
	s_waitcnt lgkmcnt(0)
	v_mov_b32_e32 v2, s5
	v_add_co_u32_e32 v0, vcc, s4, v0
	v_addc_co_u32_e32 v1, vcc, v2, v1, vcc
	v_add_co_u32_e32 v0, vcc, 0x2000, v0
	v_addc_co_u32_e32 v1, vcc, 0, v1, vcc
	flat_store_short v[0:1], v13 offset:2560
	s_endpgm
.LBB338_264:
	v_mov_b32_e32 v27, s67
	v_add_co_u32_e32 v26, vcc, s7, v18
	v_addc_co_u32_e32 v27, vcc, 0, v27, vcc
	flat_load_ushort v26, v[26:27]
	s_or_b64 exec, exec, s[56:57]
                                        ; implicit-def: $vgpr27
	s_and_saveexec_b64 s[2:3], s[4:5]
	s_cbranch_execz .LBB338_53
.LBB338_265:
	v_mov_b32_e32 v27, s67
	v_add_co_u32_e32 v28, vcc, s7, v18
	v_addc_co_u32_e32 v29, vcc, 0, v27, vcc
	flat_load_ushort v27, v[28:29] offset:512
	s_or_b64 exec, exec, s[2:3]
                                        ; implicit-def: $vgpr28
	s_and_saveexec_b64 s[2:3], s[48:49]
	s_cbranch_execz .LBB338_54
.LBB338_266:
	v_mov_b32_e32 v29, s67
	v_add_co_u32_e32 v28, vcc, s7, v18
	v_addc_co_u32_e32 v29, vcc, 0, v29, vcc
	flat_load_ushort v28, v[28:29] offset:1024
	s_or_b64 exec, exec, s[2:3]
                                        ; implicit-def: $vgpr29
	s_and_saveexec_b64 s[2:3], s[8:9]
	s_cbranch_execz .LBB338_55
.LBB338_267:
	v_mov_b32_e32 v29, s67
	v_add_co_u32_e32 v30, vcc, s7, v18
	v_addc_co_u32_e32 v31, vcc, 0, v29, vcc
	flat_load_ushort v29, v[30:31] offset:1536
	s_or_b64 exec, exec, s[2:3]
                                        ; implicit-def: $vgpr30
	s_and_saveexec_b64 s[2:3], s[10:11]
	s_cbranch_execz .LBB338_56
.LBB338_268:
	v_mov_b32_e32 v31, s67
	v_add_co_u32_e32 v30, vcc, s7, v18
	v_addc_co_u32_e32 v31, vcc, 0, v31, vcc
	flat_load_ushort v30, v[30:31] offset:2048
	s_or_b64 exec, exec, s[2:3]
                                        ; implicit-def: $vgpr31
	s_and_saveexec_b64 s[2:3], s[12:13]
	s_cbranch_execz .LBB338_57
.LBB338_269:
	v_mov_b32_e32 v31, s67
	v_add_co_u32_e32 v32, vcc, s7, v18
	v_addc_co_u32_e32 v33, vcc, 0, v31, vcc
	flat_load_ushort v31, v[32:33] offset:2560
	s_or_b64 exec, exec, s[2:3]
                                        ; implicit-def: $vgpr32
	s_and_saveexec_b64 s[2:3], s[14:15]
	s_cbranch_execz .LBB338_58
.LBB338_270:
	v_mov_b32_e32 v33, s67
	v_add_co_u32_e32 v32, vcc, s7, v18
	v_addc_co_u32_e32 v33, vcc, 0, v33, vcc
	flat_load_ushort v32, v[32:33] offset:3072
	s_or_b64 exec, exec, s[2:3]
                                        ; implicit-def: $vgpr33
	s_and_saveexec_b64 s[2:3], s[16:17]
	s_cbranch_execz .LBB338_59
.LBB338_271:
	v_mov_b32_e32 v33, s67
	v_add_co_u32_e32 v34, vcc, s7, v18
	v_addc_co_u32_e32 v35, vcc, 0, v33, vcc
	flat_load_ushort v33, v[34:35] offset:3584
	s_or_b64 exec, exec, s[2:3]
                                        ; implicit-def: $vgpr34
	s_and_saveexec_b64 s[2:3], s[18:19]
	s_cbranch_execz .LBB338_60
.LBB338_272:
	v_lshlrev_b32_e32 v1, 1, v1
	v_mov_b32_e32 v35, s67
	v_add_co_u32_e32 v34, vcc, s7, v1
	v_addc_co_u32_e32 v35, vcc, 0, v35, vcc
	flat_load_ushort v34, v[34:35]
	s_or_b64 exec, exec, s[2:3]
                                        ; implicit-def: $vgpr1
	s_and_saveexec_b64 s[2:3], s[20:21]
	s_cbranch_execz .LBB338_61
.LBB338_273:
	v_lshlrev_b32_e32 v1, 1, v2
	v_mov_b32_e32 v2, s67
	v_add_co_u32_e32 v42, vcc, s7, v1
	v_addc_co_u32_e32 v43, vcc, 0, v2, vcc
	flat_load_ushort v1, v[42:43]
	s_or_b64 exec, exec, s[2:3]
                                        ; implicit-def: $vgpr2
	s_and_saveexec_b64 s[2:3], s[22:23]
	s_cbranch_execz .LBB338_62
.LBB338_274:
	v_lshlrev_b32_e32 v2, 1, v3
	v_mov_b32_e32 v3, s67
	v_add_co_u32_e32 v2, vcc, s7, v2
	v_addc_co_u32_e32 v3, vcc, 0, v3, vcc
	flat_load_ushort v2, v[2:3]
	s_or_b64 exec, exec, s[2:3]
                                        ; implicit-def: $vgpr3
	s_and_saveexec_b64 s[2:3], s[24:25]
	s_cbranch_execz .LBB338_63
.LBB338_275:
	v_lshlrev_b32_e32 v3, 1, v4
	v_mov_b32_e32 v4, s67
	v_add_co_u32_e32 v42, vcc, s7, v3
	v_addc_co_u32_e32 v43, vcc, 0, v4, vcc
	flat_load_ushort v3, v[42:43]
	s_or_b64 exec, exec, s[2:3]
                                        ; implicit-def: $vgpr4
	s_and_saveexec_b64 s[2:3], s[26:27]
	s_cbranch_execz .LBB338_64
.LBB338_276:
	v_lshlrev_b32_e32 v4, 1, v5
	v_mov_b32_e32 v5, s67
	v_add_co_u32_e32 v4, vcc, s7, v4
	v_addc_co_u32_e32 v5, vcc, 0, v5, vcc
	flat_load_ushort v4, v[4:5]
	s_or_b64 exec, exec, s[2:3]
                                        ; implicit-def: $vgpr5
	s_and_saveexec_b64 s[2:3], s[28:29]
	s_cbranch_execz .LBB338_65
.LBB338_277:
	v_lshlrev_b32_e32 v5, 1, v16
	v_mov_b32_e32 v16, s67
	v_add_co_u32_e32 v42, vcc, s7, v5
	v_addc_co_u32_e32 v43, vcc, 0, v16, vcc
	flat_load_ushort v5, v[42:43]
	s_or_b64 exec, exec, s[2:3]
                                        ; implicit-def: $vgpr16
	s_and_saveexec_b64 s[2:3], s[30:31]
	s_cbranch_execz .LBB338_66
.LBB338_278:
	v_lshlrev_b32_e32 v16, 1, v17
	v_mov_b32_e32 v17, s67
	v_add_co_u32_e32 v16, vcc, s7, v16
	v_addc_co_u32_e32 v17, vcc, 0, v17, vcc
	flat_load_ushort v16, v[16:17]
	s_or_b64 exec, exec, s[2:3]
                                        ; implicit-def: $vgpr17
	s_and_saveexec_b64 s[2:3], s[34:35]
	s_cbranch_execz .LBB338_67
.LBB338_279:
	v_lshlrev_b32_e32 v17, 1, v19
	v_mov_b32_e32 v19, s67
	v_add_co_u32_e32 v42, vcc, s7, v17
	v_addc_co_u32_e32 v43, vcc, 0, v19, vcc
	flat_load_ushort v17, v[42:43]
	s_or_b64 exec, exec, s[2:3]
                                        ; implicit-def: $vgpr19
	s_and_saveexec_b64 s[2:3], s[36:37]
	s_cbranch_execz .LBB338_68
.LBB338_280:
	v_lshlrev_b32_e32 v19, 1, v20
	v_mov_b32_e32 v20, s67
	v_add_co_u32_e32 v42, vcc, s7, v19
	v_addc_co_u32_e32 v43, vcc, 0, v20, vcc
	flat_load_ushort v19, v[42:43]
	s_or_b64 exec, exec, s[2:3]
                                        ; implicit-def: $vgpr20
	s_and_saveexec_b64 s[2:3], s[38:39]
	s_cbranch_execz .LBB338_69
.LBB338_281:
	v_lshlrev_b32_e32 v20, 1, v21
	v_mov_b32_e32 v21, s67
	v_add_co_u32_e32 v20, vcc, s7, v20
	v_addc_co_u32_e32 v21, vcc, 0, v21, vcc
	flat_load_ushort v20, v[20:21]
	s_or_b64 exec, exec, s[2:3]
                                        ; implicit-def: $vgpr21
	s_and_saveexec_b64 s[2:3], s[40:41]
	s_cbranch_execz .LBB338_70
.LBB338_282:
	v_lshlrev_b32_e32 v21, 1, v22
	v_mov_b32_e32 v22, s67
	v_add_co_u32_e32 v42, vcc, s7, v21
	v_addc_co_u32_e32 v43, vcc, 0, v22, vcc
	flat_load_ushort v21, v[42:43]
	s_or_b64 exec, exec, s[2:3]
                                        ; implicit-def: $vgpr22
	s_and_saveexec_b64 s[2:3], s[42:43]
	s_cbranch_execz .LBB338_71
.LBB338_283:
	v_lshlrev_b32_e32 v22, 1, v23
	v_mov_b32_e32 v23, s67
	v_add_co_u32_e32 v22, vcc, s7, v22
	v_addc_co_u32_e32 v23, vcc, 0, v23, vcc
	flat_load_ushort v22, v[22:23]
	s_or_b64 exec, exec, s[2:3]
                                        ; implicit-def: $vgpr23
	s_and_saveexec_b64 s[2:3], s[44:45]
	s_cbranch_execz .LBB338_72
.LBB338_284:
	v_lshlrev_b32_e32 v23, 1, v24
	v_mov_b32_e32 v24, s67
	v_add_co_u32_e32 v42, vcc, s7, v23
	v_addc_co_u32_e32 v43, vcc, 0, v24, vcc
	flat_load_ushort v23, v[42:43]
	s_or_b64 exec, exec, s[2:3]
                                        ; implicit-def: $vgpr24
	s_and_saveexec_b64 s[2:3], s[46:47]
	s_cbranch_execnz .LBB338_73
	s_branch .LBB338_74
.LBB338_285:
	v_add_u32_e32 v2, -1, v0
	v_lshrrev_b32_e32 v3, 5, v2
	v_add_lshl_u32 v2, v3, v2, 2
	ds_read_u16 v2, v2
	s_or_b64 exec, exec, s[48:49]
	s_and_saveexec_b64 s[48:49], s[2:3]
	s_cbranch_execz .LBB338_212
.LBB338_286:
	s_mov_b32 s2, 0x10000
	s_waitcnt lgkmcnt(0)
	v_and_b32_e32 v2, 0xffff, v2
	v_cmp_gt_u32_e64 s[2:3], s2, v1
	v_cndmask_b32_e64 v2, 0, v2, s[2:3]
	v_add_u32_e32 v1, v2, v1
	v_cndmask_b32_e64 v2, 0, v1, s[4:5]
	v_add_u16_e32 v4, v2, v16
	v_cndmask_b32_e64 v2, 0, v4, s[6:7]
	v_add_u16_e32 v5, v2, v17
	;; [unrolled: 2-line block ×21, first 2 shown]
	;;#ASMSTART
	;;#ASMEND
	s_or_b64 exec, exec, s[48:49]
	s_and_saveexec_b64 s[2:3], vcc
	s_cbranch_execnz .LBB338_213
	s_branch .LBB338_214
.LBB338_287:
                                        ; implicit-def: $sgpr56_sgpr57
	s_branch .LBB338_48
.LBB338_288:
                                        ; implicit-def: $sgpr2_sgpr3
	s_branch .LBB338_121
	.section	.rodata,"a",@progbits
	.p2align	6, 0x0
	.amdhsa_kernel _ZN7rocprim17ROCPRIM_400000_NS6detail17trampoline_kernelINS0_14default_configENS1_27scan_by_key_config_selectorIssEEZZNS1_16scan_by_key_implILNS1_25lookback_scan_determinismE0ELb0ES3_N6thrust23THRUST_200600_302600_NS6detail15normal_iteratorINS9_10device_ptrIsEEEESE_SE_sNS9_4plusIvEENS9_8equal_toIsEEsEE10hipError_tPvRmT2_T3_T4_T5_mT6_T7_P12ihipStream_tbENKUlT_T0_E_clISt17integral_constantIbLb1EESY_IbLb0EEEEDaSU_SV_EUlSU_E_NS1_11comp_targetILNS1_3genE4ELNS1_11target_archE910ELNS1_3gpuE8ELNS1_3repE0EEENS1_30default_config_static_selectorELNS0_4arch9wavefront6targetE1EEEvT1_
		.amdhsa_group_segment_fixed_size 12288
		.amdhsa_private_segment_fixed_size 0
		.amdhsa_kernarg_size 112
		.amdhsa_user_sgpr_count 6
		.amdhsa_user_sgpr_private_segment_buffer 1
		.amdhsa_user_sgpr_dispatch_ptr 0
		.amdhsa_user_sgpr_queue_ptr 0
		.amdhsa_user_sgpr_kernarg_segment_ptr 1
		.amdhsa_user_sgpr_dispatch_id 0
		.amdhsa_user_sgpr_flat_scratch_init 0
		.amdhsa_user_sgpr_kernarg_preload_length 0
		.amdhsa_user_sgpr_kernarg_preload_offset 0
		.amdhsa_user_sgpr_private_segment_size 0
		.amdhsa_uses_dynamic_stack 0
		.amdhsa_system_sgpr_private_segment_wavefront_offset 0
		.amdhsa_system_sgpr_workgroup_id_x 1
		.amdhsa_system_sgpr_workgroup_id_y 0
		.amdhsa_system_sgpr_workgroup_id_z 0
		.amdhsa_system_sgpr_workgroup_info 0
		.amdhsa_system_vgpr_workitem_id 0
		.amdhsa_next_free_vgpr 58
		.amdhsa_next_free_sgpr 78
		.amdhsa_accum_offset 60
		.amdhsa_reserve_vcc 1
		.amdhsa_reserve_flat_scratch 0
		.amdhsa_float_round_mode_32 0
		.amdhsa_float_round_mode_16_64 0
		.amdhsa_float_denorm_mode_32 3
		.amdhsa_float_denorm_mode_16_64 3
		.amdhsa_dx10_clamp 1
		.amdhsa_ieee_mode 1
		.amdhsa_fp16_overflow 0
		.amdhsa_tg_split 0
		.amdhsa_exception_fp_ieee_invalid_op 0
		.amdhsa_exception_fp_denorm_src 0
		.amdhsa_exception_fp_ieee_div_zero 0
		.amdhsa_exception_fp_ieee_overflow 0
		.amdhsa_exception_fp_ieee_underflow 0
		.amdhsa_exception_fp_ieee_inexact 0
		.amdhsa_exception_int_div_zero 0
	.end_amdhsa_kernel
	.section	.text._ZN7rocprim17ROCPRIM_400000_NS6detail17trampoline_kernelINS0_14default_configENS1_27scan_by_key_config_selectorIssEEZZNS1_16scan_by_key_implILNS1_25lookback_scan_determinismE0ELb0ES3_N6thrust23THRUST_200600_302600_NS6detail15normal_iteratorINS9_10device_ptrIsEEEESE_SE_sNS9_4plusIvEENS9_8equal_toIsEEsEE10hipError_tPvRmT2_T3_T4_T5_mT6_T7_P12ihipStream_tbENKUlT_T0_E_clISt17integral_constantIbLb1EESY_IbLb0EEEEDaSU_SV_EUlSU_E_NS1_11comp_targetILNS1_3genE4ELNS1_11target_archE910ELNS1_3gpuE8ELNS1_3repE0EEENS1_30default_config_static_selectorELNS0_4arch9wavefront6targetE1EEEvT1_,"axG",@progbits,_ZN7rocprim17ROCPRIM_400000_NS6detail17trampoline_kernelINS0_14default_configENS1_27scan_by_key_config_selectorIssEEZZNS1_16scan_by_key_implILNS1_25lookback_scan_determinismE0ELb0ES3_N6thrust23THRUST_200600_302600_NS6detail15normal_iteratorINS9_10device_ptrIsEEEESE_SE_sNS9_4plusIvEENS9_8equal_toIsEEsEE10hipError_tPvRmT2_T3_T4_T5_mT6_T7_P12ihipStream_tbENKUlT_T0_E_clISt17integral_constantIbLb1EESY_IbLb0EEEEDaSU_SV_EUlSU_E_NS1_11comp_targetILNS1_3genE4ELNS1_11target_archE910ELNS1_3gpuE8ELNS1_3repE0EEENS1_30default_config_static_selectorELNS0_4arch9wavefront6targetE1EEEvT1_,comdat
.Lfunc_end338:
	.size	_ZN7rocprim17ROCPRIM_400000_NS6detail17trampoline_kernelINS0_14default_configENS1_27scan_by_key_config_selectorIssEEZZNS1_16scan_by_key_implILNS1_25lookback_scan_determinismE0ELb0ES3_N6thrust23THRUST_200600_302600_NS6detail15normal_iteratorINS9_10device_ptrIsEEEESE_SE_sNS9_4plusIvEENS9_8equal_toIsEEsEE10hipError_tPvRmT2_T3_T4_T5_mT6_T7_P12ihipStream_tbENKUlT_T0_E_clISt17integral_constantIbLb1EESY_IbLb0EEEEDaSU_SV_EUlSU_E_NS1_11comp_targetILNS1_3genE4ELNS1_11target_archE910ELNS1_3gpuE8ELNS1_3repE0EEENS1_30default_config_static_selectorELNS0_4arch9wavefront6targetE1EEEvT1_, .Lfunc_end338-_ZN7rocprim17ROCPRIM_400000_NS6detail17trampoline_kernelINS0_14default_configENS1_27scan_by_key_config_selectorIssEEZZNS1_16scan_by_key_implILNS1_25lookback_scan_determinismE0ELb0ES3_N6thrust23THRUST_200600_302600_NS6detail15normal_iteratorINS9_10device_ptrIsEEEESE_SE_sNS9_4plusIvEENS9_8equal_toIsEEsEE10hipError_tPvRmT2_T3_T4_T5_mT6_T7_P12ihipStream_tbENKUlT_T0_E_clISt17integral_constantIbLb1EESY_IbLb0EEEEDaSU_SV_EUlSU_E_NS1_11comp_targetILNS1_3genE4ELNS1_11target_archE910ELNS1_3gpuE8ELNS1_3repE0EEENS1_30default_config_static_selectorELNS0_4arch9wavefront6targetE1EEEvT1_
                                        ; -- End function
	.section	.AMDGPU.csdata,"",@progbits
; Kernel info:
; codeLenInByte = 15664
; NumSgprs: 82
; NumVgprs: 58
; NumAgprs: 0
; TotalNumVgprs: 58
; ScratchSize: 0
; MemoryBound: 0
; FloatMode: 240
; IeeeMode: 1
; LDSByteSize: 12288 bytes/workgroup (compile time only)
; SGPRBlocks: 10
; VGPRBlocks: 7
; NumSGPRsForWavesPerEU: 82
; NumVGPRsForWavesPerEU: 58
; AccumOffset: 60
; Occupancy: 5
; WaveLimiterHint : 1
; COMPUTE_PGM_RSRC2:SCRATCH_EN: 0
; COMPUTE_PGM_RSRC2:USER_SGPR: 6
; COMPUTE_PGM_RSRC2:TRAP_HANDLER: 0
; COMPUTE_PGM_RSRC2:TGID_X_EN: 1
; COMPUTE_PGM_RSRC2:TGID_Y_EN: 0
; COMPUTE_PGM_RSRC2:TGID_Z_EN: 0
; COMPUTE_PGM_RSRC2:TIDIG_COMP_CNT: 0
; COMPUTE_PGM_RSRC3_GFX90A:ACCUM_OFFSET: 14
; COMPUTE_PGM_RSRC3_GFX90A:TG_SPLIT: 0
	.section	.text._ZN7rocprim17ROCPRIM_400000_NS6detail17trampoline_kernelINS0_14default_configENS1_27scan_by_key_config_selectorIssEEZZNS1_16scan_by_key_implILNS1_25lookback_scan_determinismE0ELb0ES3_N6thrust23THRUST_200600_302600_NS6detail15normal_iteratorINS9_10device_ptrIsEEEESE_SE_sNS9_4plusIvEENS9_8equal_toIsEEsEE10hipError_tPvRmT2_T3_T4_T5_mT6_T7_P12ihipStream_tbENKUlT_T0_E_clISt17integral_constantIbLb1EESY_IbLb0EEEEDaSU_SV_EUlSU_E_NS1_11comp_targetILNS1_3genE3ELNS1_11target_archE908ELNS1_3gpuE7ELNS1_3repE0EEENS1_30default_config_static_selectorELNS0_4arch9wavefront6targetE1EEEvT1_,"axG",@progbits,_ZN7rocprim17ROCPRIM_400000_NS6detail17trampoline_kernelINS0_14default_configENS1_27scan_by_key_config_selectorIssEEZZNS1_16scan_by_key_implILNS1_25lookback_scan_determinismE0ELb0ES3_N6thrust23THRUST_200600_302600_NS6detail15normal_iteratorINS9_10device_ptrIsEEEESE_SE_sNS9_4plusIvEENS9_8equal_toIsEEsEE10hipError_tPvRmT2_T3_T4_T5_mT6_T7_P12ihipStream_tbENKUlT_T0_E_clISt17integral_constantIbLb1EESY_IbLb0EEEEDaSU_SV_EUlSU_E_NS1_11comp_targetILNS1_3genE3ELNS1_11target_archE908ELNS1_3gpuE7ELNS1_3repE0EEENS1_30default_config_static_selectorELNS0_4arch9wavefront6targetE1EEEvT1_,comdat
	.protected	_ZN7rocprim17ROCPRIM_400000_NS6detail17trampoline_kernelINS0_14default_configENS1_27scan_by_key_config_selectorIssEEZZNS1_16scan_by_key_implILNS1_25lookback_scan_determinismE0ELb0ES3_N6thrust23THRUST_200600_302600_NS6detail15normal_iteratorINS9_10device_ptrIsEEEESE_SE_sNS9_4plusIvEENS9_8equal_toIsEEsEE10hipError_tPvRmT2_T3_T4_T5_mT6_T7_P12ihipStream_tbENKUlT_T0_E_clISt17integral_constantIbLb1EESY_IbLb0EEEEDaSU_SV_EUlSU_E_NS1_11comp_targetILNS1_3genE3ELNS1_11target_archE908ELNS1_3gpuE7ELNS1_3repE0EEENS1_30default_config_static_selectorELNS0_4arch9wavefront6targetE1EEEvT1_ ; -- Begin function _ZN7rocprim17ROCPRIM_400000_NS6detail17trampoline_kernelINS0_14default_configENS1_27scan_by_key_config_selectorIssEEZZNS1_16scan_by_key_implILNS1_25lookback_scan_determinismE0ELb0ES3_N6thrust23THRUST_200600_302600_NS6detail15normal_iteratorINS9_10device_ptrIsEEEESE_SE_sNS9_4plusIvEENS9_8equal_toIsEEsEE10hipError_tPvRmT2_T3_T4_T5_mT6_T7_P12ihipStream_tbENKUlT_T0_E_clISt17integral_constantIbLb1EESY_IbLb0EEEEDaSU_SV_EUlSU_E_NS1_11comp_targetILNS1_3genE3ELNS1_11target_archE908ELNS1_3gpuE7ELNS1_3repE0EEENS1_30default_config_static_selectorELNS0_4arch9wavefront6targetE1EEEvT1_
	.globl	_ZN7rocprim17ROCPRIM_400000_NS6detail17trampoline_kernelINS0_14default_configENS1_27scan_by_key_config_selectorIssEEZZNS1_16scan_by_key_implILNS1_25lookback_scan_determinismE0ELb0ES3_N6thrust23THRUST_200600_302600_NS6detail15normal_iteratorINS9_10device_ptrIsEEEESE_SE_sNS9_4plusIvEENS9_8equal_toIsEEsEE10hipError_tPvRmT2_T3_T4_T5_mT6_T7_P12ihipStream_tbENKUlT_T0_E_clISt17integral_constantIbLb1EESY_IbLb0EEEEDaSU_SV_EUlSU_E_NS1_11comp_targetILNS1_3genE3ELNS1_11target_archE908ELNS1_3gpuE7ELNS1_3repE0EEENS1_30default_config_static_selectorELNS0_4arch9wavefront6targetE1EEEvT1_
	.p2align	8
	.type	_ZN7rocprim17ROCPRIM_400000_NS6detail17trampoline_kernelINS0_14default_configENS1_27scan_by_key_config_selectorIssEEZZNS1_16scan_by_key_implILNS1_25lookback_scan_determinismE0ELb0ES3_N6thrust23THRUST_200600_302600_NS6detail15normal_iteratorINS9_10device_ptrIsEEEESE_SE_sNS9_4plusIvEENS9_8equal_toIsEEsEE10hipError_tPvRmT2_T3_T4_T5_mT6_T7_P12ihipStream_tbENKUlT_T0_E_clISt17integral_constantIbLb1EESY_IbLb0EEEEDaSU_SV_EUlSU_E_NS1_11comp_targetILNS1_3genE3ELNS1_11target_archE908ELNS1_3gpuE7ELNS1_3repE0EEENS1_30default_config_static_selectorELNS0_4arch9wavefront6targetE1EEEvT1_,@function
_ZN7rocprim17ROCPRIM_400000_NS6detail17trampoline_kernelINS0_14default_configENS1_27scan_by_key_config_selectorIssEEZZNS1_16scan_by_key_implILNS1_25lookback_scan_determinismE0ELb0ES3_N6thrust23THRUST_200600_302600_NS6detail15normal_iteratorINS9_10device_ptrIsEEEESE_SE_sNS9_4plusIvEENS9_8equal_toIsEEsEE10hipError_tPvRmT2_T3_T4_T5_mT6_T7_P12ihipStream_tbENKUlT_T0_E_clISt17integral_constantIbLb1EESY_IbLb0EEEEDaSU_SV_EUlSU_E_NS1_11comp_targetILNS1_3genE3ELNS1_11target_archE908ELNS1_3gpuE7ELNS1_3repE0EEENS1_30default_config_static_selectorELNS0_4arch9wavefront6targetE1EEEvT1_: ; @_ZN7rocprim17ROCPRIM_400000_NS6detail17trampoline_kernelINS0_14default_configENS1_27scan_by_key_config_selectorIssEEZZNS1_16scan_by_key_implILNS1_25lookback_scan_determinismE0ELb0ES3_N6thrust23THRUST_200600_302600_NS6detail15normal_iteratorINS9_10device_ptrIsEEEESE_SE_sNS9_4plusIvEENS9_8equal_toIsEEsEE10hipError_tPvRmT2_T3_T4_T5_mT6_T7_P12ihipStream_tbENKUlT_T0_E_clISt17integral_constantIbLb1EESY_IbLb0EEEEDaSU_SV_EUlSU_E_NS1_11comp_targetILNS1_3genE3ELNS1_11target_archE908ELNS1_3gpuE7ELNS1_3repE0EEENS1_30default_config_static_selectorELNS0_4arch9wavefront6targetE1EEEvT1_
; %bb.0:
	.section	.rodata,"a",@progbits
	.p2align	6, 0x0
	.amdhsa_kernel _ZN7rocprim17ROCPRIM_400000_NS6detail17trampoline_kernelINS0_14default_configENS1_27scan_by_key_config_selectorIssEEZZNS1_16scan_by_key_implILNS1_25lookback_scan_determinismE0ELb0ES3_N6thrust23THRUST_200600_302600_NS6detail15normal_iteratorINS9_10device_ptrIsEEEESE_SE_sNS9_4plusIvEENS9_8equal_toIsEEsEE10hipError_tPvRmT2_T3_T4_T5_mT6_T7_P12ihipStream_tbENKUlT_T0_E_clISt17integral_constantIbLb1EESY_IbLb0EEEEDaSU_SV_EUlSU_E_NS1_11comp_targetILNS1_3genE3ELNS1_11target_archE908ELNS1_3gpuE7ELNS1_3repE0EEENS1_30default_config_static_selectorELNS0_4arch9wavefront6targetE1EEEvT1_
		.amdhsa_group_segment_fixed_size 0
		.amdhsa_private_segment_fixed_size 0
		.amdhsa_kernarg_size 112
		.amdhsa_user_sgpr_count 6
		.amdhsa_user_sgpr_private_segment_buffer 1
		.amdhsa_user_sgpr_dispatch_ptr 0
		.amdhsa_user_sgpr_queue_ptr 0
		.amdhsa_user_sgpr_kernarg_segment_ptr 1
		.amdhsa_user_sgpr_dispatch_id 0
		.amdhsa_user_sgpr_flat_scratch_init 0
		.amdhsa_user_sgpr_kernarg_preload_length 0
		.amdhsa_user_sgpr_kernarg_preload_offset 0
		.amdhsa_user_sgpr_private_segment_size 0
		.amdhsa_uses_dynamic_stack 0
		.amdhsa_system_sgpr_private_segment_wavefront_offset 0
		.amdhsa_system_sgpr_workgroup_id_x 1
		.amdhsa_system_sgpr_workgroup_id_y 0
		.amdhsa_system_sgpr_workgroup_id_z 0
		.amdhsa_system_sgpr_workgroup_info 0
		.amdhsa_system_vgpr_workitem_id 0
		.amdhsa_next_free_vgpr 1
		.amdhsa_next_free_sgpr 0
		.amdhsa_accum_offset 4
		.amdhsa_reserve_vcc 0
		.amdhsa_reserve_flat_scratch 0
		.amdhsa_float_round_mode_32 0
		.amdhsa_float_round_mode_16_64 0
		.amdhsa_float_denorm_mode_32 3
		.amdhsa_float_denorm_mode_16_64 3
		.amdhsa_dx10_clamp 1
		.amdhsa_ieee_mode 1
		.amdhsa_fp16_overflow 0
		.amdhsa_tg_split 0
		.amdhsa_exception_fp_ieee_invalid_op 0
		.amdhsa_exception_fp_denorm_src 0
		.amdhsa_exception_fp_ieee_div_zero 0
		.amdhsa_exception_fp_ieee_overflow 0
		.amdhsa_exception_fp_ieee_underflow 0
		.amdhsa_exception_fp_ieee_inexact 0
		.amdhsa_exception_int_div_zero 0
	.end_amdhsa_kernel
	.section	.text._ZN7rocprim17ROCPRIM_400000_NS6detail17trampoline_kernelINS0_14default_configENS1_27scan_by_key_config_selectorIssEEZZNS1_16scan_by_key_implILNS1_25lookback_scan_determinismE0ELb0ES3_N6thrust23THRUST_200600_302600_NS6detail15normal_iteratorINS9_10device_ptrIsEEEESE_SE_sNS9_4plusIvEENS9_8equal_toIsEEsEE10hipError_tPvRmT2_T3_T4_T5_mT6_T7_P12ihipStream_tbENKUlT_T0_E_clISt17integral_constantIbLb1EESY_IbLb0EEEEDaSU_SV_EUlSU_E_NS1_11comp_targetILNS1_3genE3ELNS1_11target_archE908ELNS1_3gpuE7ELNS1_3repE0EEENS1_30default_config_static_selectorELNS0_4arch9wavefront6targetE1EEEvT1_,"axG",@progbits,_ZN7rocprim17ROCPRIM_400000_NS6detail17trampoline_kernelINS0_14default_configENS1_27scan_by_key_config_selectorIssEEZZNS1_16scan_by_key_implILNS1_25lookback_scan_determinismE0ELb0ES3_N6thrust23THRUST_200600_302600_NS6detail15normal_iteratorINS9_10device_ptrIsEEEESE_SE_sNS9_4plusIvEENS9_8equal_toIsEEsEE10hipError_tPvRmT2_T3_T4_T5_mT6_T7_P12ihipStream_tbENKUlT_T0_E_clISt17integral_constantIbLb1EESY_IbLb0EEEEDaSU_SV_EUlSU_E_NS1_11comp_targetILNS1_3genE3ELNS1_11target_archE908ELNS1_3gpuE7ELNS1_3repE0EEENS1_30default_config_static_selectorELNS0_4arch9wavefront6targetE1EEEvT1_,comdat
.Lfunc_end339:
	.size	_ZN7rocprim17ROCPRIM_400000_NS6detail17trampoline_kernelINS0_14default_configENS1_27scan_by_key_config_selectorIssEEZZNS1_16scan_by_key_implILNS1_25lookback_scan_determinismE0ELb0ES3_N6thrust23THRUST_200600_302600_NS6detail15normal_iteratorINS9_10device_ptrIsEEEESE_SE_sNS9_4plusIvEENS9_8equal_toIsEEsEE10hipError_tPvRmT2_T3_T4_T5_mT6_T7_P12ihipStream_tbENKUlT_T0_E_clISt17integral_constantIbLb1EESY_IbLb0EEEEDaSU_SV_EUlSU_E_NS1_11comp_targetILNS1_3genE3ELNS1_11target_archE908ELNS1_3gpuE7ELNS1_3repE0EEENS1_30default_config_static_selectorELNS0_4arch9wavefront6targetE1EEEvT1_, .Lfunc_end339-_ZN7rocprim17ROCPRIM_400000_NS6detail17trampoline_kernelINS0_14default_configENS1_27scan_by_key_config_selectorIssEEZZNS1_16scan_by_key_implILNS1_25lookback_scan_determinismE0ELb0ES3_N6thrust23THRUST_200600_302600_NS6detail15normal_iteratorINS9_10device_ptrIsEEEESE_SE_sNS9_4plusIvEENS9_8equal_toIsEEsEE10hipError_tPvRmT2_T3_T4_T5_mT6_T7_P12ihipStream_tbENKUlT_T0_E_clISt17integral_constantIbLb1EESY_IbLb0EEEEDaSU_SV_EUlSU_E_NS1_11comp_targetILNS1_3genE3ELNS1_11target_archE908ELNS1_3gpuE7ELNS1_3repE0EEENS1_30default_config_static_selectorELNS0_4arch9wavefront6targetE1EEEvT1_
                                        ; -- End function
	.section	.AMDGPU.csdata,"",@progbits
; Kernel info:
; codeLenInByte = 0
; NumSgprs: 4
; NumVgprs: 0
; NumAgprs: 0
; TotalNumVgprs: 0
; ScratchSize: 0
; MemoryBound: 0
; FloatMode: 240
; IeeeMode: 1
; LDSByteSize: 0 bytes/workgroup (compile time only)
; SGPRBlocks: 0
; VGPRBlocks: 0
; NumSGPRsForWavesPerEU: 4
; NumVGPRsForWavesPerEU: 1
; AccumOffset: 4
; Occupancy: 8
; WaveLimiterHint : 0
; COMPUTE_PGM_RSRC2:SCRATCH_EN: 0
; COMPUTE_PGM_RSRC2:USER_SGPR: 6
; COMPUTE_PGM_RSRC2:TRAP_HANDLER: 0
; COMPUTE_PGM_RSRC2:TGID_X_EN: 1
; COMPUTE_PGM_RSRC2:TGID_Y_EN: 0
; COMPUTE_PGM_RSRC2:TGID_Z_EN: 0
; COMPUTE_PGM_RSRC2:TIDIG_COMP_CNT: 0
; COMPUTE_PGM_RSRC3_GFX90A:ACCUM_OFFSET: 0
; COMPUTE_PGM_RSRC3_GFX90A:TG_SPLIT: 0
	.section	.text._ZN7rocprim17ROCPRIM_400000_NS6detail17trampoline_kernelINS0_14default_configENS1_27scan_by_key_config_selectorIssEEZZNS1_16scan_by_key_implILNS1_25lookback_scan_determinismE0ELb0ES3_N6thrust23THRUST_200600_302600_NS6detail15normal_iteratorINS9_10device_ptrIsEEEESE_SE_sNS9_4plusIvEENS9_8equal_toIsEEsEE10hipError_tPvRmT2_T3_T4_T5_mT6_T7_P12ihipStream_tbENKUlT_T0_E_clISt17integral_constantIbLb1EESY_IbLb0EEEEDaSU_SV_EUlSU_E_NS1_11comp_targetILNS1_3genE2ELNS1_11target_archE906ELNS1_3gpuE6ELNS1_3repE0EEENS1_30default_config_static_selectorELNS0_4arch9wavefront6targetE1EEEvT1_,"axG",@progbits,_ZN7rocprim17ROCPRIM_400000_NS6detail17trampoline_kernelINS0_14default_configENS1_27scan_by_key_config_selectorIssEEZZNS1_16scan_by_key_implILNS1_25lookback_scan_determinismE0ELb0ES3_N6thrust23THRUST_200600_302600_NS6detail15normal_iteratorINS9_10device_ptrIsEEEESE_SE_sNS9_4plusIvEENS9_8equal_toIsEEsEE10hipError_tPvRmT2_T3_T4_T5_mT6_T7_P12ihipStream_tbENKUlT_T0_E_clISt17integral_constantIbLb1EESY_IbLb0EEEEDaSU_SV_EUlSU_E_NS1_11comp_targetILNS1_3genE2ELNS1_11target_archE906ELNS1_3gpuE6ELNS1_3repE0EEENS1_30default_config_static_selectorELNS0_4arch9wavefront6targetE1EEEvT1_,comdat
	.protected	_ZN7rocprim17ROCPRIM_400000_NS6detail17trampoline_kernelINS0_14default_configENS1_27scan_by_key_config_selectorIssEEZZNS1_16scan_by_key_implILNS1_25lookback_scan_determinismE0ELb0ES3_N6thrust23THRUST_200600_302600_NS6detail15normal_iteratorINS9_10device_ptrIsEEEESE_SE_sNS9_4plusIvEENS9_8equal_toIsEEsEE10hipError_tPvRmT2_T3_T4_T5_mT6_T7_P12ihipStream_tbENKUlT_T0_E_clISt17integral_constantIbLb1EESY_IbLb0EEEEDaSU_SV_EUlSU_E_NS1_11comp_targetILNS1_3genE2ELNS1_11target_archE906ELNS1_3gpuE6ELNS1_3repE0EEENS1_30default_config_static_selectorELNS0_4arch9wavefront6targetE1EEEvT1_ ; -- Begin function _ZN7rocprim17ROCPRIM_400000_NS6detail17trampoline_kernelINS0_14default_configENS1_27scan_by_key_config_selectorIssEEZZNS1_16scan_by_key_implILNS1_25lookback_scan_determinismE0ELb0ES3_N6thrust23THRUST_200600_302600_NS6detail15normal_iteratorINS9_10device_ptrIsEEEESE_SE_sNS9_4plusIvEENS9_8equal_toIsEEsEE10hipError_tPvRmT2_T3_T4_T5_mT6_T7_P12ihipStream_tbENKUlT_T0_E_clISt17integral_constantIbLb1EESY_IbLb0EEEEDaSU_SV_EUlSU_E_NS1_11comp_targetILNS1_3genE2ELNS1_11target_archE906ELNS1_3gpuE6ELNS1_3repE0EEENS1_30default_config_static_selectorELNS0_4arch9wavefront6targetE1EEEvT1_
	.globl	_ZN7rocprim17ROCPRIM_400000_NS6detail17trampoline_kernelINS0_14default_configENS1_27scan_by_key_config_selectorIssEEZZNS1_16scan_by_key_implILNS1_25lookback_scan_determinismE0ELb0ES3_N6thrust23THRUST_200600_302600_NS6detail15normal_iteratorINS9_10device_ptrIsEEEESE_SE_sNS9_4plusIvEENS9_8equal_toIsEEsEE10hipError_tPvRmT2_T3_T4_T5_mT6_T7_P12ihipStream_tbENKUlT_T0_E_clISt17integral_constantIbLb1EESY_IbLb0EEEEDaSU_SV_EUlSU_E_NS1_11comp_targetILNS1_3genE2ELNS1_11target_archE906ELNS1_3gpuE6ELNS1_3repE0EEENS1_30default_config_static_selectorELNS0_4arch9wavefront6targetE1EEEvT1_
	.p2align	8
	.type	_ZN7rocprim17ROCPRIM_400000_NS6detail17trampoline_kernelINS0_14default_configENS1_27scan_by_key_config_selectorIssEEZZNS1_16scan_by_key_implILNS1_25lookback_scan_determinismE0ELb0ES3_N6thrust23THRUST_200600_302600_NS6detail15normal_iteratorINS9_10device_ptrIsEEEESE_SE_sNS9_4plusIvEENS9_8equal_toIsEEsEE10hipError_tPvRmT2_T3_T4_T5_mT6_T7_P12ihipStream_tbENKUlT_T0_E_clISt17integral_constantIbLb1EESY_IbLb0EEEEDaSU_SV_EUlSU_E_NS1_11comp_targetILNS1_3genE2ELNS1_11target_archE906ELNS1_3gpuE6ELNS1_3repE0EEENS1_30default_config_static_selectorELNS0_4arch9wavefront6targetE1EEEvT1_,@function
_ZN7rocprim17ROCPRIM_400000_NS6detail17trampoline_kernelINS0_14default_configENS1_27scan_by_key_config_selectorIssEEZZNS1_16scan_by_key_implILNS1_25lookback_scan_determinismE0ELb0ES3_N6thrust23THRUST_200600_302600_NS6detail15normal_iteratorINS9_10device_ptrIsEEEESE_SE_sNS9_4plusIvEENS9_8equal_toIsEEsEE10hipError_tPvRmT2_T3_T4_T5_mT6_T7_P12ihipStream_tbENKUlT_T0_E_clISt17integral_constantIbLb1EESY_IbLb0EEEEDaSU_SV_EUlSU_E_NS1_11comp_targetILNS1_3genE2ELNS1_11target_archE906ELNS1_3gpuE6ELNS1_3repE0EEENS1_30default_config_static_selectorELNS0_4arch9wavefront6targetE1EEEvT1_: ; @_ZN7rocprim17ROCPRIM_400000_NS6detail17trampoline_kernelINS0_14default_configENS1_27scan_by_key_config_selectorIssEEZZNS1_16scan_by_key_implILNS1_25lookback_scan_determinismE0ELb0ES3_N6thrust23THRUST_200600_302600_NS6detail15normal_iteratorINS9_10device_ptrIsEEEESE_SE_sNS9_4plusIvEENS9_8equal_toIsEEsEE10hipError_tPvRmT2_T3_T4_T5_mT6_T7_P12ihipStream_tbENKUlT_T0_E_clISt17integral_constantIbLb1EESY_IbLb0EEEEDaSU_SV_EUlSU_E_NS1_11comp_targetILNS1_3genE2ELNS1_11target_archE906ELNS1_3gpuE6ELNS1_3repE0EEENS1_30default_config_static_selectorELNS0_4arch9wavefront6targetE1EEEvT1_
; %bb.0:
	.section	.rodata,"a",@progbits
	.p2align	6, 0x0
	.amdhsa_kernel _ZN7rocprim17ROCPRIM_400000_NS6detail17trampoline_kernelINS0_14default_configENS1_27scan_by_key_config_selectorIssEEZZNS1_16scan_by_key_implILNS1_25lookback_scan_determinismE0ELb0ES3_N6thrust23THRUST_200600_302600_NS6detail15normal_iteratorINS9_10device_ptrIsEEEESE_SE_sNS9_4plusIvEENS9_8equal_toIsEEsEE10hipError_tPvRmT2_T3_T4_T5_mT6_T7_P12ihipStream_tbENKUlT_T0_E_clISt17integral_constantIbLb1EESY_IbLb0EEEEDaSU_SV_EUlSU_E_NS1_11comp_targetILNS1_3genE2ELNS1_11target_archE906ELNS1_3gpuE6ELNS1_3repE0EEENS1_30default_config_static_selectorELNS0_4arch9wavefront6targetE1EEEvT1_
		.amdhsa_group_segment_fixed_size 0
		.amdhsa_private_segment_fixed_size 0
		.amdhsa_kernarg_size 112
		.amdhsa_user_sgpr_count 6
		.amdhsa_user_sgpr_private_segment_buffer 1
		.amdhsa_user_sgpr_dispatch_ptr 0
		.amdhsa_user_sgpr_queue_ptr 0
		.amdhsa_user_sgpr_kernarg_segment_ptr 1
		.amdhsa_user_sgpr_dispatch_id 0
		.amdhsa_user_sgpr_flat_scratch_init 0
		.amdhsa_user_sgpr_kernarg_preload_length 0
		.amdhsa_user_sgpr_kernarg_preload_offset 0
		.amdhsa_user_sgpr_private_segment_size 0
		.amdhsa_uses_dynamic_stack 0
		.amdhsa_system_sgpr_private_segment_wavefront_offset 0
		.amdhsa_system_sgpr_workgroup_id_x 1
		.amdhsa_system_sgpr_workgroup_id_y 0
		.amdhsa_system_sgpr_workgroup_id_z 0
		.amdhsa_system_sgpr_workgroup_info 0
		.amdhsa_system_vgpr_workitem_id 0
		.amdhsa_next_free_vgpr 1
		.amdhsa_next_free_sgpr 0
		.amdhsa_accum_offset 4
		.amdhsa_reserve_vcc 0
		.amdhsa_reserve_flat_scratch 0
		.amdhsa_float_round_mode_32 0
		.amdhsa_float_round_mode_16_64 0
		.amdhsa_float_denorm_mode_32 3
		.amdhsa_float_denorm_mode_16_64 3
		.amdhsa_dx10_clamp 1
		.amdhsa_ieee_mode 1
		.amdhsa_fp16_overflow 0
		.amdhsa_tg_split 0
		.amdhsa_exception_fp_ieee_invalid_op 0
		.amdhsa_exception_fp_denorm_src 0
		.amdhsa_exception_fp_ieee_div_zero 0
		.amdhsa_exception_fp_ieee_overflow 0
		.amdhsa_exception_fp_ieee_underflow 0
		.amdhsa_exception_fp_ieee_inexact 0
		.amdhsa_exception_int_div_zero 0
	.end_amdhsa_kernel
	.section	.text._ZN7rocprim17ROCPRIM_400000_NS6detail17trampoline_kernelINS0_14default_configENS1_27scan_by_key_config_selectorIssEEZZNS1_16scan_by_key_implILNS1_25lookback_scan_determinismE0ELb0ES3_N6thrust23THRUST_200600_302600_NS6detail15normal_iteratorINS9_10device_ptrIsEEEESE_SE_sNS9_4plusIvEENS9_8equal_toIsEEsEE10hipError_tPvRmT2_T3_T4_T5_mT6_T7_P12ihipStream_tbENKUlT_T0_E_clISt17integral_constantIbLb1EESY_IbLb0EEEEDaSU_SV_EUlSU_E_NS1_11comp_targetILNS1_3genE2ELNS1_11target_archE906ELNS1_3gpuE6ELNS1_3repE0EEENS1_30default_config_static_selectorELNS0_4arch9wavefront6targetE1EEEvT1_,"axG",@progbits,_ZN7rocprim17ROCPRIM_400000_NS6detail17trampoline_kernelINS0_14default_configENS1_27scan_by_key_config_selectorIssEEZZNS1_16scan_by_key_implILNS1_25lookback_scan_determinismE0ELb0ES3_N6thrust23THRUST_200600_302600_NS6detail15normal_iteratorINS9_10device_ptrIsEEEESE_SE_sNS9_4plusIvEENS9_8equal_toIsEEsEE10hipError_tPvRmT2_T3_T4_T5_mT6_T7_P12ihipStream_tbENKUlT_T0_E_clISt17integral_constantIbLb1EESY_IbLb0EEEEDaSU_SV_EUlSU_E_NS1_11comp_targetILNS1_3genE2ELNS1_11target_archE906ELNS1_3gpuE6ELNS1_3repE0EEENS1_30default_config_static_selectorELNS0_4arch9wavefront6targetE1EEEvT1_,comdat
.Lfunc_end340:
	.size	_ZN7rocprim17ROCPRIM_400000_NS6detail17trampoline_kernelINS0_14default_configENS1_27scan_by_key_config_selectorIssEEZZNS1_16scan_by_key_implILNS1_25lookback_scan_determinismE0ELb0ES3_N6thrust23THRUST_200600_302600_NS6detail15normal_iteratorINS9_10device_ptrIsEEEESE_SE_sNS9_4plusIvEENS9_8equal_toIsEEsEE10hipError_tPvRmT2_T3_T4_T5_mT6_T7_P12ihipStream_tbENKUlT_T0_E_clISt17integral_constantIbLb1EESY_IbLb0EEEEDaSU_SV_EUlSU_E_NS1_11comp_targetILNS1_3genE2ELNS1_11target_archE906ELNS1_3gpuE6ELNS1_3repE0EEENS1_30default_config_static_selectorELNS0_4arch9wavefront6targetE1EEEvT1_, .Lfunc_end340-_ZN7rocprim17ROCPRIM_400000_NS6detail17trampoline_kernelINS0_14default_configENS1_27scan_by_key_config_selectorIssEEZZNS1_16scan_by_key_implILNS1_25lookback_scan_determinismE0ELb0ES3_N6thrust23THRUST_200600_302600_NS6detail15normal_iteratorINS9_10device_ptrIsEEEESE_SE_sNS9_4plusIvEENS9_8equal_toIsEEsEE10hipError_tPvRmT2_T3_T4_T5_mT6_T7_P12ihipStream_tbENKUlT_T0_E_clISt17integral_constantIbLb1EESY_IbLb0EEEEDaSU_SV_EUlSU_E_NS1_11comp_targetILNS1_3genE2ELNS1_11target_archE906ELNS1_3gpuE6ELNS1_3repE0EEENS1_30default_config_static_selectorELNS0_4arch9wavefront6targetE1EEEvT1_
                                        ; -- End function
	.section	.AMDGPU.csdata,"",@progbits
; Kernel info:
; codeLenInByte = 0
; NumSgprs: 4
; NumVgprs: 0
; NumAgprs: 0
; TotalNumVgprs: 0
; ScratchSize: 0
; MemoryBound: 0
; FloatMode: 240
; IeeeMode: 1
; LDSByteSize: 0 bytes/workgroup (compile time only)
; SGPRBlocks: 0
; VGPRBlocks: 0
; NumSGPRsForWavesPerEU: 4
; NumVGPRsForWavesPerEU: 1
; AccumOffset: 4
; Occupancy: 8
; WaveLimiterHint : 0
; COMPUTE_PGM_RSRC2:SCRATCH_EN: 0
; COMPUTE_PGM_RSRC2:USER_SGPR: 6
; COMPUTE_PGM_RSRC2:TRAP_HANDLER: 0
; COMPUTE_PGM_RSRC2:TGID_X_EN: 1
; COMPUTE_PGM_RSRC2:TGID_Y_EN: 0
; COMPUTE_PGM_RSRC2:TGID_Z_EN: 0
; COMPUTE_PGM_RSRC2:TIDIG_COMP_CNT: 0
; COMPUTE_PGM_RSRC3_GFX90A:ACCUM_OFFSET: 0
; COMPUTE_PGM_RSRC3_GFX90A:TG_SPLIT: 0
	.section	.text._ZN7rocprim17ROCPRIM_400000_NS6detail17trampoline_kernelINS0_14default_configENS1_27scan_by_key_config_selectorIssEEZZNS1_16scan_by_key_implILNS1_25lookback_scan_determinismE0ELb0ES3_N6thrust23THRUST_200600_302600_NS6detail15normal_iteratorINS9_10device_ptrIsEEEESE_SE_sNS9_4plusIvEENS9_8equal_toIsEEsEE10hipError_tPvRmT2_T3_T4_T5_mT6_T7_P12ihipStream_tbENKUlT_T0_E_clISt17integral_constantIbLb1EESY_IbLb0EEEEDaSU_SV_EUlSU_E_NS1_11comp_targetILNS1_3genE10ELNS1_11target_archE1200ELNS1_3gpuE4ELNS1_3repE0EEENS1_30default_config_static_selectorELNS0_4arch9wavefront6targetE1EEEvT1_,"axG",@progbits,_ZN7rocprim17ROCPRIM_400000_NS6detail17trampoline_kernelINS0_14default_configENS1_27scan_by_key_config_selectorIssEEZZNS1_16scan_by_key_implILNS1_25lookback_scan_determinismE0ELb0ES3_N6thrust23THRUST_200600_302600_NS6detail15normal_iteratorINS9_10device_ptrIsEEEESE_SE_sNS9_4plusIvEENS9_8equal_toIsEEsEE10hipError_tPvRmT2_T3_T4_T5_mT6_T7_P12ihipStream_tbENKUlT_T0_E_clISt17integral_constantIbLb1EESY_IbLb0EEEEDaSU_SV_EUlSU_E_NS1_11comp_targetILNS1_3genE10ELNS1_11target_archE1200ELNS1_3gpuE4ELNS1_3repE0EEENS1_30default_config_static_selectorELNS0_4arch9wavefront6targetE1EEEvT1_,comdat
	.protected	_ZN7rocprim17ROCPRIM_400000_NS6detail17trampoline_kernelINS0_14default_configENS1_27scan_by_key_config_selectorIssEEZZNS1_16scan_by_key_implILNS1_25lookback_scan_determinismE0ELb0ES3_N6thrust23THRUST_200600_302600_NS6detail15normal_iteratorINS9_10device_ptrIsEEEESE_SE_sNS9_4plusIvEENS9_8equal_toIsEEsEE10hipError_tPvRmT2_T3_T4_T5_mT6_T7_P12ihipStream_tbENKUlT_T0_E_clISt17integral_constantIbLb1EESY_IbLb0EEEEDaSU_SV_EUlSU_E_NS1_11comp_targetILNS1_3genE10ELNS1_11target_archE1200ELNS1_3gpuE4ELNS1_3repE0EEENS1_30default_config_static_selectorELNS0_4arch9wavefront6targetE1EEEvT1_ ; -- Begin function _ZN7rocprim17ROCPRIM_400000_NS6detail17trampoline_kernelINS0_14default_configENS1_27scan_by_key_config_selectorIssEEZZNS1_16scan_by_key_implILNS1_25lookback_scan_determinismE0ELb0ES3_N6thrust23THRUST_200600_302600_NS6detail15normal_iteratorINS9_10device_ptrIsEEEESE_SE_sNS9_4plusIvEENS9_8equal_toIsEEsEE10hipError_tPvRmT2_T3_T4_T5_mT6_T7_P12ihipStream_tbENKUlT_T0_E_clISt17integral_constantIbLb1EESY_IbLb0EEEEDaSU_SV_EUlSU_E_NS1_11comp_targetILNS1_3genE10ELNS1_11target_archE1200ELNS1_3gpuE4ELNS1_3repE0EEENS1_30default_config_static_selectorELNS0_4arch9wavefront6targetE1EEEvT1_
	.globl	_ZN7rocprim17ROCPRIM_400000_NS6detail17trampoline_kernelINS0_14default_configENS1_27scan_by_key_config_selectorIssEEZZNS1_16scan_by_key_implILNS1_25lookback_scan_determinismE0ELb0ES3_N6thrust23THRUST_200600_302600_NS6detail15normal_iteratorINS9_10device_ptrIsEEEESE_SE_sNS9_4plusIvEENS9_8equal_toIsEEsEE10hipError_tPvRmT2_T3_T4_T5_mT6_T7_P12ihipStream_tbENKUlT_T0_E_clISt17integral_constantIbLb1EESY_IbLb0EEEEDaSU_SV_EUlSU_E_NS1_11comp_targetILNS1_3genE10ELNS1_11target_archE1200ELNS1_3gpuE4ELNS1_3repE0EEENS1_30default_config_static_selectorELNS0_4arch9wavefront6targetE1EEEvT1_
	.p2align	8
	.type	_ZN7rocprim17ROCPRIM_400000_NS6detail17trampoline_kernelINS0_14default_configENS1_27scan_by_key_config_selectorIssEEZZNS1_16scan_by_key_implILNS1_25lookback_scan_determinismE0ELb0ES3_N6thrust23THRUST_200600_302600_NS6detail15normal_iteratorINS9_10device_ptrIsEEEESE_SE_sNS9_4plusIvEENS9_8equal_toIsEEsEE10hipError_tPvRmT2_T3_T4_T5_mT6_T7_P12ihipStream_tbENKUlT_T0_E_clISt17integral_constantIbLb1EESY_IbLb0EEEEDaSU_SV_EUlSU_E_NS1_11comp_targetILNS1_3genE10ELNS1_11target_archE1200ELNS1_3gpuE4ELNS1_3repE0EEENS1_30default_config_static_selectorELNS0_4arch9wavefront6targetE1EEEvT1_,@function
_ZN7rocprim17ROCPRIM_400000_NS6detail17trampoline_kernelINS0_14default_configENS1_27scan_by_key_config_selectorIssEEZZNS1_16scan_by_key_implILNS1_25lookback_scan_determinismE0ELb0ES3_N6thrust23THRUST_200600_302600_NS6detail15normal_iteratorINS9_10device_ptrIsEEEESE_SE_sNS9_4plusIvEENS9_8equal_toIsEEsEE10hipError_tPvRmT2_T3_T4_T5_mT6_T7_P12ihipStream_tbENKUlT_T0_E_clISt17integral_constantIbLb1EESY_IbLb0EEEEDaSU_SV_EUlSU_E_NS1_11comp_targetILNS1_3genE10ELNS1_11target_archE1200ELNS1_3gpuE4ELNS1_3repE0EEENS1_30default_config_static_selectorELNS0_4arch9wavefront6targetE1EEEvT1_: ; @_ZN7rocprim17ROCPRIM_400000_NS6detail17trampoline_kernelINS0_14default_configENS1_27scan_by_key_config_selectorIssEEZZNS1_16scan_by_key_implILNS1_25lookback_scan_determinismE0ELb0ES3_N6thrust23THRUST_200600_302600_NS6detail15normal_iteratorINS9_10device_ptrIsEEEESE_SE_sNS9_4plusIvEENS9_8equal_toIsEEsEE10hipError_tPvRmT2_T3_T4_T5_mT6_T7_P12ihipStream_tbENKUlT_T0_E_clISt17integral_constantIbLb1EESY_IbLb0EEEEDaSU_SV_EUlSU_E_NS1_11comp_targetILNS1_3genE10ELNS1_11target_archE1200ELNS1_3gpuE4ELNS1_3repE0EEENS1_30default_config_static_selectorELNS0_4arch9wavefront6targetE1EEEvT1_
; %bb.0:
	.section	.rodata,"a",@progbits
	.p2align	6, 0x0
	.amdhsa_kernel _ZN7rocprim17ROCPRIM_400000_NS6detail17trampoline_kernelINS0_14default_configENS1_27scan_by_key_config_selectorIssEEZZNS1_16scan_by_key_implILNS1_25lookback_scan_determinismE0ELb0ES3_N6thrust23THRUST_200600_302600_NS6detail15normal_iteratorINS9_10device_ptrIsEEEESE_SE_sNS9_4plusIvEENS9_8equal_toIsEEsEE10hipError_tPvRmT2_T3_T4_T5_mT6_T7_P12ihipStream_tbENKUlT_T0_E_clISt17integral_constantIbLb1EESY_IbLb0EEEEDaSU_SV_EUlSU_E_NS1_11comp_targetILNS1_3genE10ELNS1_11target_archE1200ELNS1_3gpuE4ELNS1_3repE0EEENS1_30default_config_static_selectorELNS0_4arch9wavefront6targetE1EEEvT1_
		.amdhsa_group_segment_fixed_size 0
		.amdhsa_private_segment_fixed_size 0
		.amdhsa_kernarg_size 112
		.amdhsa_user_sgpr_count 6
		.amdhsa_user_sgpr_private_segment_buffer 1
		.amdhsa_user_sgpr_dispatch_ptr 0
		.amdhsa_user_sgpr_queue_ptr 0
		.amdhsa_user_sgpr_kernarg_segment_ptr 1
		.amdhsa_user_sgpr_dispatch_id 0
		.amdhsa_user_sgpr_flat_scratch_init 0
		.amdhsa_user_sgpr_kernarg_preload_length 0
		.amdhsa_user_sgpr_kernarg_preload_offset 0
		.amdhsa_user_sgpr_private_segment_size 0
		.amdhsa_uses_dynamic_stack 0
		.amdhsa_system_sgpr_private_segment_wavefront_offset 0
		.amdhsa_system_sgpr_workgroup_id_x 1
		.amdhsa_system_sgpr_workgroup_id_y 0
		.amdhsa_system_sgpr_workgroup_id_z 0
		.amdhsa_system_sgpr_workgroup_info 0
		.amdhsa_system_vgpr_workitem_id 0
		.amdhsa_next_free_vgpr 1
		.amdhsa_next_free_sgpr 0
		.amdhsa_accum_offset 4
		.amdhsa_reserve_vcc 0
		.amdhsa_reserve_flat_scratch 0
		.amdhsa_float_round_mode_32 0
		.amdhsa_float_round_mode_16_64 0
		.amdhsa_float_denorm_mode_32 3
		.amdhsa_float_denorm_mode_16_64 3
		.amdhsa_dx10_clamp 1
		.amdhsa_ieee_mode 1
		.amdhsa_fp16_overflow 0
		.amdhsa_tg_split 0
		.amdhsa_exception_fp_ieee_invalid_op 0
		.amdhsa_exception_fp_denorm_src 0
		.amdhsa_exception_fp_ieee_div_zero 0
		.amdhsa_exception_fp_ieee_overflow 0
		.amdhsa_exception_fp_ieee_underflow 0
		.amdhsa_exception_fp_ieee_inexact 0
		.amdhsa_exception_int_div_zero 0
	.end_amdhsa_kernel
	.section	.text._ZN7rocprim17ROCPRIM_400000_NS6detail17trampoline_kernelINS0_14default_configENS1_27scan_by_key_config_selectorIssEEZZNS1_16scan_by_key_implILNS1_25lookback_scan_determinismE0ELb0ES3_N6thrust23THRUST_200600_302600_NS6detail15normal_iteratorINS9_10device_ptrIsEEEESE_SE_sNS9_4plusIvEENS9_8equal_toIsEEsEE10hipError_tPvRmT2_T3_T4_T5_mT6_T7_P12ihipStream_tbENKUlT_T0_E_clISt17integral_constantIbLb1EESY_IbLb0EEEEDaSU_SV_EUlSU_E_NS1_11comp_targetILNS1_3genE10ELNS1_11target_archE1200ELNS1_3gpuE4ELNS1_3repE0EEENS1_30default_config_static_selectorELNS0_4arch9wavefront6targetE1EEEvT1_,"axG",@progbits,_ZN7rocprim17ROCPRIM_400000_NS6detail17trampoline_kernelINS0_14default_configENS1_27scan_by_key_config_selectorIssEEZZNS1_16scan_by_key_implILNS1_25lookback_scan_determinismE0ELb0ES3_N6thrust23THRUST_200600_302600_NS6detail15normal_iteratorINS9_10device_ptrIsEEEESE_SE_sNS9_4plusIvEENS9_8equal_toIsEEsEE10hipError_tPvRmT2_T3_T4_T5_mT6_T7_P12ihipStream_tbENKUlT_T0_E_clISt17integral_constantIbLb1EESY_IbLb0EEEEDaSU_SV_EUlSU_E_NS1_11comp_targetILNS1_3genE10ELNS1_11target_archE1200ELNS1_3gpuE4ELNS1_3repE0EEENS1_30default_config_static_selectorELNS0_4arch9wavefront6targetE1EEEvT1_,comdat
.Lfunc_end341:
	.size	_ZN7rocprim17ROCPRIM_400000_NS6detail17trampoline_kernelINS0_14default_configENS1_27scan_by_key_config_selectorIssEEZZNS1_16scan_by_key_implILNS1_25lookback_scan_determinismE0ELb0ES3_N6thrust23THRUST_200600_302600_NS6detail15normal_iteratorINS9_10device_ptrIsEEEESE_SE_sNS9_4plusIvEENS9_8equal_toIsEEsEE10hipError_tPvRmT2_T3_T4_T5_mT6_T7_P12ihipStream_tbENKUlT_T0_E_clISt17integral_constantIbLb1EESY_IbLb0EEEEDaSU_SV_EUlSU_E_NS1_11comp_targetILNS1_3genE10ELNS1_11target_archE1200ELNS1_3gpuE4ELNS1_3repE0EEENS1_30default_config_static_selectorELNS0_4arch9wavefront6targetE1EEEvT1_, .Lfunc_end341-_ZN7rocprim17ROCPRIM_400000_NS6detail17trampoline_kernelINS0_14default_configENS1_27scan_by_key_config_selectorIssEEZZNS1_16scan_by_key_implILNS1_25lookback_scan_determinismE0ELb0ES3_N6thrust23THRUST_200600_302600_NS6detail15normal_iteratorINS9_10device_ptrIsEEEESE_SE_sNS9_4plusIvEENS9_8equal_toIsEEsEE10hipError_tPvRmT2_T3_T4_T5_mT6_T7_P12ihipStream_tbENKUlT_T0_E_clISt17integral_constantIbLb1EESY_IbLb0EEEEDaSU_SV_EUlSU_E_NS1_11comp_targetILNS1_3genE10ELNS1_11target_archE1200ELNS1_3gpuE4ELNS1_3repE0EEENS1_30default_config_static_selectorELNS0_4arch9wavefront6targetE1EEEvT1_
                                        ; -- End function
	.section	.AMDGPU.csdata,"",@progbits
; Kernel info:
; codeLenInByte = 0
; NumSgprs: 4
; NumVgprs: 0
; NumAgprs: 0
; TotalNumVgprs: 0
; ScratchSize: 0
; MemoryBound: 0
; FloatMode: 240
; IeeeMode: 1
; LDSByteSize: 0 bytes/workgroup (compile time only)
; SGPRBlocks: 0
; VGPRBlocks: 0
; NumSGPRsForWavesPerEU: 4
; NumVGPRsForWavesPerEU: 1
; AccumOffset: 4
; Occupancy: 8
; WaveLimiterHint : 0
; COMPUTE_PGM_RSRC2:SCRATCH_EN: 0
; COMPUTE_PGM_RSRC2:USER_SGPR: 6
; COMPUTE_PGM_RSRC2:TRAP_HANDLER: 0
; COMPUTE_PGM_RSRC2:TGID_X_EN: 1
; COMPUTE_PGM_RSRC2:TGID_Y_EN: 0
; COMPUTE_PGM_RSRC2:TGID_Z_EN: 0
; COMPUTE_PGM_RSRC2:TIDIG_COMP_CNT: 0
; COMPUTE_PGM_RSRC3_GFX90A:ACCUM_OFFSET: 0
; COMPUTE_PGM_RSRC3_GFX90A:TG_SPLIT: 0
	.section	.text._ZN7rocprim17ROCPRIM_400000_NS6detail17trampoline_kernelINS0_14default_configENS1_27scan_by_key_config_selectorIssEEZZNS1_16scan_by_key_implILNS1_25lookback_scan_determinismE0ELb0ES3_N6thrust23THRUST_200600_302600_NS6detail15normal_iteratorINS9_10device_ptrIsEEEESE_SE_sNS9_4plusIvEENS9_8equal_toIsEEsEE10hipError_tPvRmT2_T3_T4_T5_mT6_T7_P12ihipStream_tbENKUlT_T0_E_clISt17integral_constantIbLb1EESY_IbLb0EEEEDaSU_SV_EUlSU_E_NS1_11comp_targetILNS1_3genE9ELNS1_11target_archE1100ELNS1_3gpuE3ELNS1_3repE0EEENS1_30default_config_static_selectorELNS0_4arch9wavefront6targetE1EEEvT1_,"axG",@progbits,_ZN7rocprim17ROCPRIM_400000_NS6detail17trampoline_kernelINS0_14default_configENS1_27scan_by_key_config_selectorIssEEZZNS1_16scan_by_key_implILNS1_25lookback_scan_determinismE0ELb0ES3_N6thrust23THRUST_200600_302600_NS6detail15normal_iteratorINS9_10device_ptrIsEEEESE_SE_sNS9_4plusIvEENS9_8equal_toIsEEsEE10hipError_tPvRmT2_T3_T4_T5_mT6_T7_P12ihipStream_tbENKUlT_T0_E_clISt17integral_constantIbLb1EESY_IbLb0EEEEDaSU_SV_EUlSU_E_NS1_11comp_targetILNS1_3genE9ELNS1_11target_archE1100ELNS1_3gpuE3ELNS1_3repE0EEENS1_30default_config_static_selectorELNS0_4arch9wavefront6targetE1EEEvT1_,comdat
	.protected	_ZN7rocprim17ROCPRIM_400000_NS6detail17trampoline_kernelINS0_14default_configENS1_27scan_by_key_config_selectorIssEEZZNS1_16scan_by_key_implILNS1_25lookback_scan_determinismE0ELb0ES3_N6thrust23THRUST_200600_302600_NS6detail15normal_iteratorINS9_10device_ptrIsEEEESE_SE_sNS9_4plusIvEENS9_8equal_toIsEEsEE10hipError_tPvRmT2_T3_T4_T5_mT6_T7_P12ihipStream_tbENKUlT_T0_E_clISt17integral_constantIbLb1EESY_IbLb0EEEEDaSU_SV_EUlSU_E_NS1_11comp_targetILNS1_3genE9ELNS1_11target_archE1100ELNS1_3gpuE3ELNS1_3repE0EEENS1_30default_config_static_selectorELNS0_4arch9wavefront6targetE1EEEvT1_ ; -- Begin function _ZN7rocprim17ROCPRIM_400000_NS6detail17trampoline_kernelINS0_14default_configENS1_27scan_by_key_config_selectorIssEEZZNS1_16scan_by_key_implILNS1_25lookback_scan_determinismE0ELb0ES3_N6thrust23THRUST_200600_302600_NS6detail15normal_iteratorINS9_10device_ptrIsEEEESE_SE_sNS9_4plusIvEENS9_8equal_toIsEEsEE10hipError_tPvRmT2_T3_T4_T5_mT6_T7_P12ihipStream_tbENKUlT_T0_E_clISt17integral_constantIbLb1EESY_IbLb0EEEEDaSU_SV_EUlSU_E_NS1_11comp_targetILNS1_3genE9ELNS1_11target_archE1100ELNS1_3gpuE3ELNS1_3repE0EEENS1_30default_config_static_selectorELNS0_4arch9wavefront6targetE1EEEvT1_
	.globl	_ZN7rocprim17ROCPRIM_400000_NS6detail17trampoline_kernelINS0_14default_configENS1_27scan_by_key_config_selectorIssEEZZNS1_16scan_by_key_implILNS1_25lookback_scan_determinismE0ELb0ES3_N6thrust23THRUST_200600_302600_NS6detail15normal_iteratorINS9_10device_ptrIsEEEESE_SE_sNS9_4plusIvEENS9_8equal_toIsEEsEE10hipError_tPvRmT2_T3_T4_T5_mT6_T7_P12ihipStream_tbENKUlT_T0_E_clISt17integral_constantIbLb1EESY_IbLb0EEEEDaSU_SV_EUlSU_E_NS1_11comp_targetILNS1_3genE9ELNS1_11target_archE1100ELNS1_3gpuE3ELNS1_3repE0EEENS1_30default_config_static_selectorELNS0_4arch9wavefront6targetE1EEEvT1_
	.p2align	8
	.type	_ZN7rocprim17ROCPRIM_400000_NS6detail17trampoline_kernelINS0_14default_configENS1_27scan_by_key_config_selectorIssEEZZNS1_16scan_by_key_implILNS1_25lookback_scan_determinismE0ELb0ES3_N6thrust23THRUST_200600_302600_NS6detail15normal_iteratorINS9_10device_ptrIsEEEESE_SE_sNS9_4plusIvEENS9_8equal_toIsEEsEE10hipError_tPvRmT2_T3_T4_T5_mT6_T7_P12ihipStream_tbENKUlT_T0_E_clISt17integral_constantIbLb1EESY_IbLb0EEEEDaSU_SV_EUlSU_E_NS1_11comp_targetILNS1_3genE9ELNS1_11target_archE1100ELNS1_3gpuE3ELNS1_3repE0EEENS1_30default_config_static_selectorELNS0_4arch9wavefront6targetE1EEEvT1_,@function
_ZN7rocprim17ROCPRIM_400000_NS6detail17trampoline_kernelINS0_14default_configENS1_27scan_by_key_config_selectorIssEEZZNS1_16scan_by_key_implILNS1_25lookback_scan_determinismE0ELb0ES3_N6thrust23THRUST_200600_302600_NS6detail15normal_iteratorINS9_10device_ptrIsEEEESE_SE_sNS9_4plusIvEENS9_8equal_toIsEEsEE10hipError_tPvRmT2_T3_T4_T5_mT6_T7_P12ihipStream_tbENKUlT_T0_E_clISt17integral_constantIbLb1EESY_IbLb0EEEEDaSU_SV_EUlSU_E_NS1_11comp_targetILNS1_3genE9ELNS1_11target_archE1100ELNS1_3gpuE3ELNS1_3repE0EEENS1_30default_config_static_selectorELNS0_4arch9wavefront6targetE1EEEvT1_: ; @_ZN7rocprim17ROCPRIM_400000_NS6detail17trampoline_kernelINS0_14default_configENS1_27scan_by_key_config_selectorIssEEZZNS1_16scan_by_key_implILNS1_25lookback_scan_determinismE0ELb0ES3_N6thrust23THRUST_200600_302600_NS6detail15normal_iteratorINS9_10device_ptrIsEEEESE_SE_sNS9_4plusIvEENS9_8equal_toIsEEsEE10hipError_tPvRmT2_T3_T4_T5_mT6_T7_P12ihipStream_tbENKUlT_T0_E_clISt17integral_constantIbLb1EESY_IbLb0EEEEDaSU_SV_EUlSU_E_NS1_11comp_targetILNS1_3genE9ELNS1_11target_archE1100ELNS1_3gpuE3ELNS1_3repE0EEENS1_30default_config_static_selectorELNS0_4arch9wavefront6targetE1EEEvT1_
; %bb.0:
	.section	.rodata,"a",@progbits
	.p2align	6, 0x0
	.amdhsa_kernel _ZN7rocprim17ROCPRIM_400000_NS6detail17trampoline_kernelINS0_14default_configENS1_27scan_by_key_config_selectorIssEEZZNS1_16scan_by_key_implILNS1_25lookback_scan_determinismE0ELb0ES3_N6thrust23THRUST_200600_302600_NS6detail15normal_iteratorINS9_10device_ptrIsEEEESE_SE_sNS9_4plusIvEENS9_8equal_toIsEEsEE10hipError_tPvRmT2_T3_T4_T5_mT6_T7_P12ihipStream_tbENKUlT_T0_E_clISt17integral_constantIbLb1EESY_IbLb0EEEEDaSU_SV_EUlSU_E_NS1_11comp_targetILNS1_3genE9ELNS1_11target_archE1100ELNS1_3gpuE3ELNS1_3repE0EEENS1_30default_config_static_selectorELNS0_4arch9wavefront6targetE1EEEvT1_
		.amdhsa_group_segment_fixed_size 0
		.amdhsa_private_segment_fixed_size 0
		.amdhsa_kernarg_size 112
		.amdhsa_user_sgpr_count 6
		.amdhsa_user_sgpr_private_segment_buffer 1
		.amdhsa_user_sgpr_dispatch_ptr 0
		.amdhsa_user_sgpr_queue_ptr 0
		.amdhsa_user_sgpr_kernarg_segment_ptr 1
		.amdhsa_user_sgpr_dispatch_id 0
		.amdhsa_user_sgpr_flat_scratch_init 0
		.amdhsa_user_sgpr_kernarg_preload_length 0
		.amdhsa_user_sgpr_kernarg_preload_offset 0
		.amdhsa_user_sgpr_private_segment_size 0
		.amdhsa_uses_dynamic_stack 0
		.amdhsa_system_sgpr_private_segment_wavefront_offset 0
		.amdhsa_system_sgpr_workgroup_id_x 1
		.amdhsa_system_sgpr_workgroup_id_y 0
		.amdhsa_system_sgpr_workgroup_id_z 0
		.amdhsa_system_sgpr_workgroup_info 0
		.amdhsa_system_vgpr_workitem_id 0
		.amdhsa_next_free_vgpr 1
		.amdhsa_next_free_sgpr 0
		.amdhsa_accum_offset 4
		.amdhsa_reserve_vcc 0
		.amdhsa_reserve_flat_scratch 0
		.amdhsa_float_round_mode_32 0
		.amdhsa_float_round_mode_16_64 0
		.amdhsa_float_denorm_mode_32 3
		.amdhsa_float_denorm_mode_16_64 3
		.amdhsa_dx10_clamp 1
		.amdhsa_ieee_mode 1
		.amdhsa_fp16_overflow 0
		.amdhsa_tg_split 0
		.amdhsa_exception_fp_ieee_invalid_op 0
		.amdhsa_exception_fp_denorm_src 0
		.amdhsa_exception_fp_ieee_div_zero 0
		.amdhsa_exception_fp_ieee_overflow 0
		.amdhsa_exception_fp_ieee_underflow 0
		.amdhsa_exception_fp_ieee_inexact 0
		.amdhsa_exception_int_div_zero 0
	.end_amdhsa_kernel
	.section	.text._ZN7rocprim17ROCPRIM_400000_NS6detail17trampoline_kernelINS0_14default_configENS1_27scan_by_key_config_selectorIssEEZZNS1_16scan_by_key_implILNS1_25lookback_scan_determinismE0ELb0ES3_N6thrust23THRUST_200600_302600_NS6detail15normal_iteratorINS9_10device_ptrIsEEEESE_SE_sNS9_4plusIvEENS9_8equal_toIsEEsEE10hipError_tPvRmT2_T3_T4_T5_mT6_T7_P12ihipStream_tbENKUlT_T0_E_clISt17integral_constantIbLb1EESY_IbLb0EEEEDaSU_SV_EUlSU_E_NS1_11comp_targetILNS1_3genE9ELNS1_11target_archE1100ELNS1_3gpuE3ELNS1_3repE0EEENS1_30default_config_static_selectorELNS0_4arch9wavefront6targetE1EEEvT1_,"axG",@progbits,_ZN7rocprim17ROCPRIM_400000_NS6detail17trampoline_kernelINS0_14default_configENS1_27scan_by_key_config_selectorIssEEZZNS1_16scan_by_key_implILNS1_25lookback_scan_determinismE0ELb0ES3_N6thrust23THRUST_200600_302600_NS6detail15normal_iteratorINS9_10device_ptrIsEEEESE_SE_sNS9_4plusIvEENS9_8equal_toIsEEsEE10hipError_tPvRmT2_T3_T4_T5_mT6_T7_P12ihipStream_tbENKUlT_T0_E_clISt17integral_constantIbLb1EESY_IbLb0EEEEDaSU_SV_EUlSU_E_NS1_11comp_targetILNS1_3genE9ELNS1_11target_archE1100ELNS1_3gpuE3ELNS1_3repE0EEENS1_30default_config_static_selectorELNS0_4arch9wavefront6targetE1EEEvT1_,comdat
.Lfunc_end342:
	.size	_ZN7rocprim17ROCPRIM_400000_NS6detail17trampoline_kernelINS0_14default_configENS1_27scan_by_key_config_selectorIssEEZZNS1_16scan_by_key_implILNS1_25lookback_scan_determinismE0ELb0ES3_N6thrust23THRUST_200600_302600_NS6detail15normal_iteratorINS9_10device_ptrIsEEEESE_SE_sNS9_4plusIvEENS9_8equal_toIsEEsEE10hipError_tPvRmT2_T3_T4_T5_mT6_T7_P12ihipStream_tbENKUlT_T0_E_clISt17integral_constantIbLb1EESY_IbLb0EEEEDaSU_SV_EUlSU_E_NS1_11comp_targetILNS1_3genE9ELNS1_11target_archE1100ELNS1_3gpuE3ELNS1_3repE0EEENS1_30default_config_static_selectorELNS0_4arch9wavefront6targetE1EEEvT1_, .Lfunc_end342-_ZN7rocprim17ROCPRIM_400000_NS6detail17trampoline_kernelINS0_14default_configENS1_27scan_by_key_config_selectorIssEEZZNS1_16scan_by_key_implILNS1_25lookback_scan_determinismE0ELb0ES3_N6thrust23THRUST_200600_302600_NS6detail15normal_iteratorINS9_10device_ptrIsEEEESE_SE_sNS9_4plusIvEENS9_8equal_toIsEEsEE10hipError_tPvRmT2_T3_T4_T5_mT6_T7_P12ihipStream_tbENKUlT_T0_E_clISt17integral_constantIbLb1EESY_IbLb0EEEEDaSU_SV_EUlSU_E_NS1_11comp_targetILNS1_3genE9ELNS1_11target_archE1100ELNS1_3gpuE3ELNS1_3repE0EEENS1_30default_config_static_selectorELNS0_4arch9wavefront6targetE1EEEvT1_
                                        ; -- End function
	.section	.AMDGPU.csdata,"",@progbits
; Kernel info:
; codeLenInByte = 0
; NumSgprs: 4
; NumVgprs: 0
; NumAgprs: 0
; TotalNumVgprs: 0
; ScratchSize: 0
; MemoryBound: 0
; FloatMode: 240
; IeeeMode: 1
; LDSByteSize: 0 bytes/workgroup (compile time only)
; SGPRBlocks: 0
; VGPRBlocks: 0
; NumSGPRsForWavesPerEU: 4
; NumVGPRsForWavesPerEU: 1
; AccumOffset: 4
; Occupancy: 8
; WaveLimiterHint : 0
; COMPUTE_PGM_RSRC2:SCRATCH_EN: 0
; COMPUTE_PGM_RSRC2:USER_SGPR: 6
; COMPUTE_PGM_RSRC2:TRAP_HANDLER: 0
; COMPUTE_PGM_RSRC2:TGID_X_EN: 1
; COMPUTE_PGM_RSRC2:TGID_Y_EN: 0
; COMPUTE_PGM_RSRC2:TGID_Z_EN: 0
; COMPUTE_PGM_RSRC2:TIDIG_COMP_CNT: 0
; COMPUTE_PGM_RSRC3_GFX90A:ACCUM_OFFSET: 0
; COMPUTE_PGM_RSRC3_GFX90A:TG_SPLIT: 0
	.section	.text._ZN7rocprim17ROCPRIM_400000_NS6detail17trampoline_kernelINS0_14default_configENS1_27scan_by_key_config_selectorIssEEZZNS1_16scan_by_key_implILNS1_25lookback_scan_determinismE0ELb0ES3_N6thrust23THRUST_200600_302600_NS6detail15normal_iteratorINS9_10device_ptrIsEEEESE_SE_sNS9_4plusIvEENS9_8equal_toIsEEsEE10hipError_tPvRmT2_T3_T4_T5_mT6_T7_P12ihipStream_tbENKUlT_T0_E_clISt17integral_constantIbLb1EESY_IbLb0EEEEDaSU_SV_EUlSU_E_NS1_11comp_targetILNS1_3genE8ELNS1_11target_archE1030ELNS1_3gpuE2ELNS1_3repE0EEENS1_30default_config_static_selectorELNS0_4arch9wavefront6targetE1EEEvT1_,"axG",@progbits,_ZN7rocprim17ROCPRIM_400000_NS6detail17trampoline_kernelINS0_14default_configENS1_27scan_by_key_config_selectorIssEEZZNS1_16scan_by_key_implILNS1_25lookback_scan_determinismE0ELb0ES3_N6thrust23THRUST_200600_302600_NS6detail15normal_iteratorINS9_10device_ptrIsEEEESE_SE_sNS9_4plusIvEENS9_8equal_toIsEEsEE10hipError_tPvRmT2_T3_T4_T5_mT6_T7_P12ihipStream_tbENKUlT_T0_E_clISt17integral_constantIbLb1EESY_IbLb0EEEEDaSU_SV_EUlSU_E_NS1_11comp_targetILNS1_3genE8ELNS1_11target_archE1030ELNS1_3gpuE2ELNS1_3repE0EEENS1_30default_config_static_selectorELNS0_4arch9wavefront6targetE1EEEvT1_,comdat
	.protected	_ZN7rocprim17ROCPRIM_400000_NS6detail17trampoline_kernelINS0_14default_configENS1_27scan_by_key_config_selectorIssEEZZNS1_16scan_by_key_implILNS1_25lookback_scan_determinismE0ELb0ES3_N6thrust23THRUST_200600_302600_NS6detail15normal_iteratorINS9_10device_ptrIsEEEESE_SE_sNS9_4plusIvEENS9_8equal_toIsEEsEE10hipError_tPvRmT2_T3_T4_T5_mT6_T7_P12ihipStream_tbENKUlT_T0_E_clISt17integral_constantIbLb1EESY_IbLb0EEEEDaSU_SV_EUlSU_E_NS1_11comp_targetILNS1_3genE8ELNS1_11target_archE1030ELNS1_3gpuE2ELNS1_3repE0EEENS1_30default_config_static_selectorELNS0_4arch9wavefront6targetE1EEEvT1_ ; -- Begin function _ZN7rocprim17ROCPRIM_400000_NS6detail17trampoline_kernelINS0_14default_configENS1_27scan_by_key_config_selectorIssEEZZNS1_16scan_by_key_implILNS1_25lookback_scan_determinismE0ELb0ES3_N6thrust23THRUST_200600_302600_NS6detail15normal_iteratorINS9_10device_ptrIsEEEESE_SE_sNS9_4plusIvEENS9_8equal_toIsEEsEE10hipError_tPvRmT2_T3_T4_T5_mT6_T7_P12ihipStream_tbENKUlT_T0_E_clISt17integral_constantIbLb1EESY_IbLb0EEEEDaSU_SV_EUlSU_E_NS1_11comp_targetILNS1_3genE8ELNS1_11target_archE1030ELNS1_3gpuE2ELNS1_3repE0EEENS1_30default_config_static_selectorELNS0_4arch9wavefront6targetE1EEEvT1_
	.globl	_ZN7rocprim17ROCPRIM_400000_NS6detail17trampoline_kernelINS0_14default_configENS1_27scan_by_key_config_selectorIssEEZZNS1_16scan_by_key_implILNS1_25lookback_scan_determinismE0ELb0ES3_N6thrust23THRUST_200600_302600_NS6detail15normal_iteratorINS9_10device_ptrIsEEEESE_SE_sNS9_4plusIvEENS9_8equal_toIsEEsEE10hipError_tPvRmT2_T3_T4_T5_mT6_T7_P12ihipStream_tbENKUlT_T0_E_clISt17integral_constantIbLb1EESY_IbLb0EEEEDaSU_SV_EUlSU_E_NS1_11comp_targetILNS1_3genE8ELNS1_11target_archE1030ELNS1_3gpuE2ELNS1_3repE0EEENS1_30default_config_static_selectorELNS0_4arch9wavefront6targetE1EEEvT1_
	.p2align	8
	.type	_ZN7rocprim17ROCPRIM_400000_NS6detail17trampoline_kernelINS0_14default_configENS1_27scan_by_key_config_selectorIssEEZZNS1_16scan_by_key_implILNS1_25lookback_scan_determinismE0ELb0ES3_N6thrust23THRUST_200600_302600_NS6detail15normal_iteratorINS9_10device_ptrIsEEEESE_SE_sNS9_4plusIvEENS9_8equal_toIsEEsEE10hipError_tPvRmT2_T3_T4_T5_mT6_T7_P12ihipStream_tbENKUlT_T0_E_clISt17integral_constantIbLb1EESY_IbLb0EEEEDaSU_SV_EUlSU_E_NS1_11comp_targetILNS1_3genE8ELNS1_11target_archE1030ELNS1_3gpuE2ELNS1_3repE0EEENS1_30default_config_static_selectorELNS0_4arch9wavefront6targetE1EEEvT1_,@function
_ZN7rocprim17ROCPRIM_400000_NS6detail17trampoline_kernelINS0_14default_configENS1_27scan_by_key_config_selectorIssEEZZNS1_16scan_by_key_implILNS1_25lookback_scan_determinismE0ELb0ES3_N6thrust23THRUST_200600_302600_NS6detail15normal_iteratorINS9_10device_ptrIsEEEESE_SE_sNS9_4plusIvEENS9_8equal_toIsEEsEE10hipError_tPvRmT2_T3_T4_T5_mT6_T7_P12ihipStream_tbENKUlT_T0_E_clISt17integral_constantIbLb1EESY_IbLb0EEEEDaSU_SV_EUlSU_E_NS1_11comp_targetILNS1_3genE8ELNS1_11target_archE1030ELNS1_3gpuE2ELNS1_3repE0EEENS1_30default_config_static_selectorELNS0_4arch9wavefront6targetE1EEEvT1_: ; @_ZN7rocprim17ROCPRIM_400000_NS6detail17trampoline_kernelINS0_14default_configENS1_27scan_by_key_config_selectorIssEEZZNS1_16scan_by_key_implILNS1_25lookback_scan_determinismE0ELb0ES3_N6thrust23THRUST_200600_302600_NS6detail15normal_iteratorINS9_10device_ptrIsEEEESE_SE_sNS9_4plusIvEENS9_8equal_toIsEEsEE10hipError_tPvRmT2_T3_T4_T5_mT6_T7_P12ihipStream_tbENKUlT_T0_E_clISt17integral_constantIbLb1EESY_IbLb0EEEEDaSU_SV_EUlSU_E_NS1_11comp_targetILNS1_3genE8ELNS1_11target_archE1030ELNS1_3gpuE2ELNS1_3repE0EEENS1_30default_config_static_selectorELNS0_4arch9wavefront6targetE1EEEvT1_
; %bb.0:
	.section	.rodata,"a",@progbits
	.p2align	6, 0x0
	.amdhsa_kernel _ZN7rocprim17ROCPRIM_400000_NS6detail17trampoline_kernelINS0_14default_configENS1_27scan_by_key_config_selectorIssEEZZNS1_16scan_by_key_implILNS1_25lookback_scan_determinismE0ELb0ES3_N6thrust23THRUST_200600_302600_NS6detail15normal_iteratorINS9_10device_ptrIsEEEESE_SE_sNS9_4plusIvEENS9_8equal_toIsEEsEE10hipError_tPvRmT2_T3_T4_T5_mT6_T7_P12ihipStream_tbENKUlT_T0_E_clISt17integral_constantIbLb1EESY_IbLb0EEEEDaSU_SV_EUlSU_E_NS1_11comp_targetILNS1_3genE8ELNS1_11target_archE1030ELNS1_3gpuE2ELNS1_3repE0EEENS1_30default_config_static_selectorELNS0_4arch9wavefront6targetE1EEEvT1_
		.amdhsa_group_segment_fixed_size 0
		.amdhsa_private_segment_fixed_size 0
		.amdhsa_kernarg_size 112
		.amdhsa_user_sgpr_count 6
		.amdhsa_user_sgpr_private_segment_buffer 1
		.amdhsa_user_sgpr_dispatch_ptr 0
		.amdhsa_user_sgpr_queue_ptr 0
		.amdhsa_user_sgpr_kernarg_segment_ptr 1
		.amdhsa_user_sgpr_dispatch_id 0
		.amdhsa_user_sgpr_flat_scratch_init 0
		.amdhsa_user_sgpr_kernarg_preload_length 0
		.amdhsa_user_sgpr_kernarg_preload_offset 0
		.amdhsa_user_sgpr_private_segment_size 0
		.amdhsa_uses_dynamic_stack 0
		.amdhsa_system_sgpr_private_segment_wavefront_offset 0
		.amdhsa_system_sgpr_workgroup_id_x 1
		.amdhsa_system_sgpr_workgroup_id_y 0
		.amdhsa_system_sgpr_workgroup_id_z 0
		.amdhsa_system_sgpr_workgroup_info 0
		.amdhsa_system_vgpr_workitem_id 0
		.amdhsa_next_free_vgpr 1
		.amdhsa_next_free_sgpr 0
		.amdhsa_accum_offset 4
		.amdhsa_reserve_vcc 0
		.amdhsa_reserve_flat_scratch 0
		.amdhsa_float_round_mode_32 0
		.amdhsa_float_round_mode_16_64 0
		.amdhsa_float_denorm_mode_32 3
		.amdhsa_float_denorm_mode_16_64 3
		.amdhsa_dx10_clamp 1
		.amdhsa_ieee_mode 1
		.amdhsa_fp16_overflow 0
		.amdhsa_tg_split 0
		.amdhsa_exception_fp_ieee_invalid_op 0
		.amdhsa_exception_fp_denorm_src 0
		.amdhsa_exception_fp_ieee_div_zero 0
		.amdhsa_exception_fp_ieee_overflow 0
		.amdhsa_exception_fp_ieee_underflow 0
		.amdhsa_exception_fp_ieee_inexact 0
		.amdhsa_exception_int_div_zero 0
	.end_amdhsa_kernel
	.section	.text._ZN7rocprim17ROCPRIM_400000_NS6detail17trampoline_kernelINS0_14default_configENS1_27scan_by_key_config_selectorIssEEZZNS1_16scan_by_key_implILNS1_25lookback_scan_determinismE0ELb0ES3_N6thrust23THRUST_200600_302600_NS6detail15normal_iteratorINS9_10device_ptrIsEEEESE_SE_sNS9_4plusIvEENS9_8equal_toIsEEsEE10hipError_tPvRmT2_T3_T4_T5_mT6_T7_P12ihipStream_tbENKUlT_T0_E_clISt17integral_constantIbLb1EESY_IbLb0EEEEDaSU_SV_EUlSU_E_NS1_11comp_targetILNS1_3genE8ELNS1_11target_archE1030ELNS1_3gpuE2ELNS1_3repE0EEENS1_30default_config_static_selectorELNS0_4arch9wavefront6targetE1EEEvT1_,"axG",@progbits,_ZN7rocprim17ROCPRIM_400000_NS6detail17trampoline_kernelINS0_14default_configENS1_27scan_by_key_config_selectorIssEEZZNS1_16scan_by_key_implILNS1_25lookback_scan_determinismE0ELb0ES3_N6thrust23THRUST_200600_302600_NS6detail15normal_iteratorINS9_10device_ptrIsEEEESE_SE_sNS9_4plusIvEENS9_8equal_toIsEEsEE10hipError_tPvRmT2_T3_T4_T5_mT6_T7_P12ihipStream_tbENKUlT_T0_E_clISt17integral_constantIbLb1EESY_IbLb0EEEEDaSU_SV_EUlSU_E_NS1_11comp_targetILNS1_3genE8ELNS1_11target_archE1030ELNS1_3gpuE2ELNS1_3repE0EEENS1_30default_config_static_selectorELNS0_4arch9wavefront6targetE1EEEvT1_,comdat
.Lfunc_end343:
	.size	_ZN7rocprim17ROCPRIM_400000_NS6detail17trampoline_kernelINS0_14default_configENS1_27scan_by_key_config_selectorIssEEZZNS1_16scan_by_key_implILNS1_25lookback_scan_determinismE0ELb0ES3_N6thrust23THRUST_200600_302600_NS6detail15normal_iteratorINS9_10device_ptrIsEEEESE_SE_sNS9_4plusIvEENS9_8equal_toIsEEsEE10hipError_tPvRmT2_T3_T4_T5_mT6_T7_P12ihipStream_tbENKUlT_T0_E_clISt17integral_constantIbLb1EESY_IbLb0EEEEDaSU_SV_EUlSU_E_NS1_11comp_targetILNS1_3genE8ELNS1_11target_archE1030ELNS1_3gpuE2ELNS1_3repE0EEENS1_30default_config_static_selectorELNS0_4arch9wavefront6targetE1EEEvT1_, .Lfunc_end343-_ZN7rocprim17ROCPRIM_400000_NS6detail17trampoline_kernelINS0_14default_configENS1_27scan_by_key_config_selectorIssEEZZNS1_16scan_by_key_implILNS1_25lookback_scan_determinismE0ELb0ES3_N6thrust23THRUST_200600_302600_NS6detail15normal_iteratorINS9_10device_ptrIsEEEESE_SE_sNS9_4plusIvEENS9_8equal_toIsEEsEE10hipError_tPvRmT2_T3_T4_T5_mT6_T7_P12ihipStream_tbENKUlT_T0_E_clISt17integral_constantIbLb1EESY_IbLb0EEEEDaSU_SV_EUlSU_E_NS1_11comp_targetILNS1_3genE8ELNS1_11target_archE1030ELNS1_3gpuE2ELNS1_3repE0EEENS1_30default_config_static_selectorELNS0_4arch9wavefront6targetE1EEEvT1_
                                        ; -- End function
	.section	.AMDGPU.csdata,"",@progbits
; Kernel info:
; codeLenInByte = 0
; NumSgprs: 4
; NumVgprs: 0
; NumAgprs: 0
; TotalNumVgprs: 0
; ScratchSize: 0
; MemoryBound: 0
; FloatMode: 240
; IeeeMode: 1
; LDSByteSize: 0 bytes/workgroup (compile time only)
; SGPRBlocks: 0
; VGPRBlocks: 0
; NumSGPRsForWavesPerEU: 4
; NumVGPRsForWavesPerEU: 1
; AccumOffset: 4
; Occupancy: 8
; WaveLimiterHint : 0
; COMPUTE_PGM_RSRC2:SCRATCH_EN: 0
; COMPUTE_PGM_RSRC2:USER_SGPR: 6
; COMPUTE_PGM_RSRC2:TRAP_HANDLER: 0
; COMPUTE_PGM_RSRC2:TGID_X_EN: 1
; COMPUTE_PGM_RSRC2:TGID_Y_EN: 0
; COMPUTE_PGM_RSRC2:TGID_Z_EN: 0
; COMPUTE_PGM_RSRC2:TIDIG_COMP_CNT: 0
; COMPUTE_PGM_RSRC3_GFX90A:ACCUM_OFFSET: 0
; COMPUTE_PGM_RSRC3_GFX90A:TG_SPLIT: 0
	.section	.text._ZN7rocprim17ROCPRIM_400000_NS6detail17trampoline_kernelINS0_14default_configENS1_27scan_by_key_config_selectorIssEEZZNS1_16scan_by_key_implILNS1_25lookback_scan_determinismE0ELb0ES3_N6thrust23THRUST_200600_302600_NS6detail15normal_iteratorINS9_10device_ptrIsEEEESE_SE_sNS9_4plusIvEENS9_8equal_toIsEEsEE10hipError_tPvRmT2_T3_T4_T5_mT6_T7_P12ihipStream_tbENKUlT_T0_E_clISt17integral_constantIbLb0EESY_IbLb1EEEEDaSU_SV_EUlSU_E_NS1_11comp_targetILNS1_3genE0ELNS1_11target_archE4294967295ELNS1_3gpuE0ELNS1_3repE0EEENS1_30default_config_static_selectorELNS0_4arch9wavefront6targetE1EEEvT1_,"axG",@progbits,_ZN7rocprim17ROCPRIM_400000_NS6detail17trampoline_kernelINS0_14default_configENS1_27scan_by_key_config_selectorIssEEZZNS1_16scan_by_key_implILNS1_25lookback_scan_determinismE0ELb0ES3_N6thrust23THRUST_200600_302600_NS6detail15normal_iteratorINS9_10device_ptrIsEEEESE_SE_sNS9_4plusIvEENS9_8equal_toIsEEsEE10hipError_tPvRmT2_T3_T4_T5_mT6_T7_P12ihipStream_tbENKUlT_T0_E_clISt17integral_constantIbLb0EESY_IbLb1EEEEDaSU_SV_EUlSU_E_NS1_11comp_targetILNS1_3genE0ELNS1_11target_archE4294967295ELNS1_3gpuE0ELNS1_3repE0EEENS1_30default_config_static_selectorELNS0_4arch9wavefront6targetE1EEEvT1_,comdat
	.protected	_ZN7rocprim17ROCPRIM_400000_NS6detail17trampoline_kernelINS0_14default_configENS1_27scan_by_key_config_selectorIssEEZZNS1_16scan_by_key_implILNS1_25lookback_scan_determinismE0ELb0ES3_N6thrust23THRUST_200600_302600_NS6detail15normal_iteratorINS9_10device_ptrIsEEEESE_SE_sNS9_4plusIvEENS9_8equal_toIsEEsEE10hipError_tPvRmT2_T3_T4_T5_mT6_T7_P12ihipStream_tbENKUlT_T0_E_clISt17integral_constantIbLb0EESY_IbLb1EEEEDaSU_SV_EUlSU_E_NS1_11comp_targetILNS1_3genE0ELNS1_11target_archE4294967295ELNS1_3gpuE0ELNS1_3repE0EEENS1_30default_config_static_selectorELNS0_4arch9wavefront6targetE1EEEvT1_ ; -- Begin function _ZN7rocprim17ROCPRIM_400000_NS6detail17trampoline_kernelINS0_14default_configENS1_27scan_by_key_config_selectorIssEEZZNS1_16scan_by_key_implILNS1_25lookback_scan_determinismE0ELb0ES3_N6thrust23THRUST_200600_302600_NS6detail15normal_iteratorINS9_10device_ptrIsEEEESE_SE_sNS9_4plusIvEENS9_8equal_toIsEEsEE10hipError_tPvRmT2_T3_T4_T5_mT6_T7_P12ihipStream_tbENKUlT_T0_E_clISt17integral_constantIbLb0EESY_IbLb1EEEEDaSU_SV_EUlSU_E_NS1_11comp_targetILNS1_3genE0ELNS1_11target_archE4294967295ELNS1_3gpuE0ELNS1_3repE0EEENS1_30default_config_static_selectorELNS0_4arch9wavefront6targetE1EEEvT1_
	.globl	_ZN7rocprim17ROCPRIM_400000_NS6detail17trampoline_kernelINS0_14default_configENS1_27scan_by_key_config_selectorIssEEZZNS1_16scan_by_key_implILNS1_25lookback_scan_determinismE0ELb0ES3_N6thrust23THRUST_200600_302600_NS6detail15normal_iteratorINS9_10device_ptrIsEEEESE_SE_sNS9_4plusIvEENS9_8equal_toIsEEsEE10hipError_tPvRmT2_T3_T4_T5_mT6_T7_P12ihipStream_tbENKUlT_T0_E_clISt17integral_constantIbLb0EESY_IbLb1EEEEDaSU_SV_EUlSU_E_NS1_11comp_targetILNS1_3genE0ELNS1_11target_archE4294967295ELNS1_3gpuE0ELNS1_3repE0EEENS1_30default_config_static_selectorELNS0_4arch9wavefront6targetE1EEEvT1_
	.p2align	8
	.type	_ZN7rocprim17ROCPRIM_400000_NS6detail17trampoline_kernelINS0_14default_configENS1_27scan_by_key_config_selectorIssEEZZNS1_16scan_by_key_implILNS1_25lookback_scan_determinismE0ELb0ES3_N6thrust23THRUST_200600_302600_NS6detail15normal_iteratorINS9_10device_ptrIsEEEESE_SE_sNS9_4plusIvEENS9_8equal_toIsEEsEE10hipError_tPvRmT2_T3_T4_T5_mT6_T7_P12ihipStream_tbENKUlT_T0_E_clISt17integral_constantIbLb0EESY_IbLb1EEEEDaSU_SV_EUlSU_E_NS1_11comp_targetILNS1_3genE0ELNS1_11target_archE4294967295ELNS1_3gpuE0ELNS1_3repE0EEENS1_30default_config_static_selectorELNS0_4arch9wavefront6targetE1EEEvT1_,@function
_ZN7rocprim17ROCPRIM_400000_NS6detail17trampoline_kernelINS0_14default_configENS1_27scan_by_key_config_selectorIssEEZZNS1_16scan_by_key_implILNS1_25lookback_scan_determinismE0ELb0ES3_N6thrust23THRUST_200600_302600_NS6detail15normal_iteratorINS9_10device_ptrIsEEEESE_SE_sNS9_4plusIvEENS9_8equal_toIsEEsEE10hipError_tPvRmT2_T3_T4_T5_mT6_T7_P12ihipStream_tbENKUlT_T0_E_clISt17integral_constantIbLb0EESY_IbLb1EEEEDaSU_SV_EUlSU_E_NS1_11comp_targetILNS1_3genE0ELNS1_11target_archE4294967295ELNS1_3gpuE0ELNS1_3repE0EEENS1_30default_config_static_selectorELNS0_4arch9wavefront6targetE1EEEvT1_: ; @_ZN7rocprim17ROCPRIM_400000_NS6detail17trampoline_kernelINS0_14default_configENS1_27scan_by_key_config_selectorIssEEZZNS1_16scan_by_key_implILNS1_25lookback_scan_determinismE0ELb0ES3_N6thrust23THRUST_200600_302600_NS6detail15normal_iteratorINS9_10device_ptrIsEEEESE_SE_sNS9_4plusIvEENS9_8equal_toIsEEsEE10hipError_tPvRmT2_T3_T4_T5_mT6_T7_P12ihipStream_tbENKUlT_T0_E_clISt17integral_constantIbLb0EESY_IbLb1EEEEDaSU_SV_EUlSU_E_NS1_11comp_targetILNS1_3genE0ELNS1_11target_archE4294967295ELNS1_3gpuE0ELNS1_3repE0EEENS1_30default_config_static_selectorELNS0_4arch9wavefront6targetE1EEEvT1_
; %bb.0:
	.section	.rodata,"a",@progbits
	.p2align	6, 0x0
	.amdhsa_kernel _ZN7rocprim17ROCPRIM_400000_NS6detail17trampoline_kernelINS0_14default_configENS1_27scan_by_key_config_selectorIssEEZZNS1_16scan_by_key_implILNS1_25lookback_scan_determinismE0ELb0ES3_N6thrust23THRUST_200600_302600_NS6detail15normal_iteratorINS9_10device_ptrIsEEEESE_SE_sNS9_4plusIvEENS9_8equal_toIsEEsEE10hipError_tPvRmT2_T3_T4_T5_mT6_T7_P12ihipStream_tbENKUlT_T0_E_clISt17integral_constantIbLb0EESY_IbLb1EEEEDaSU_SV_EUlSU_E_NS1_11comp_targetILNS1_3genE0ELNS1_11target_archE4294967295ELNS1_3gpuE0ELNS1_3repE0EEENS1_30default_config_static_selectorELNS0_4arch9wavefront6targetE1EEEvT1_
		.amdhsa_group_segment_fixed_size 0
		.amdhsa_private_segment_fixed_size 0
		.amdhsa_kernarg_size 112
		.amdhsa_user_sgpr_count 6
		.amdhsa_user_sgpr_private_segment_buffer 1
		.amdhsa_user_sgpr_dispatch_ptr 0
		.amdhsa_user_sgpr_queue_ptr 0
		.amdhsa_user_sgpr_kernarg_segment_ptr 1
		.amdhsa_user_sgpr_dispatch_id 0
		.amdhsa_user_sgpr_flat_scratch_init 0
		.amdhsa_user_sgpr_kernarg_preload_length 0
		.amdhsa_user_sgpr_kernarg_preload_offset 0
		.amdhsa_user_sgpr_private_segment_size 0
		.amdhsa_uses_dynamic_stack 0
		.amdhsa_system_sgpr_private_segment_wavefront_offset 0
		.amdhsa_system_sgpr_workgroup_id_x 1
		.amdhsa_system_sgpr_workgroup_id_y 0
		.amdhsa_system_sgpr_workgroup_id_z 0
		.amdhsa_system_sgpr_workgroup_info 0
		.amdhsa_system_vgpr_workitem_id 0
		.amdhsa_next_free_vgpr 1
		.amdhsa_next_free_sgpr 0
		.amdhsa_accum_offset 4
		.amdhsa_reserve_vcc 0
		.amdhsa_reserve_flat_scratch 0
		.amdhsa_float_round_mode_32 0
		.amdhsa_float_round_mode_16_64 0
		.amdhsa_float_denorm_mode_32 3
		.amdhsa_float_denorm_mode_16_64 3
		.amdhsa_dx10_clamp 1
		.amdhsa_ieee_mode 1
		.amdhsa_fp16_overflow 0
		.amdhsa_tg_split 0
		.amdhsa_exception_fp_ieee_invalid_op 0
		.amdhsa_exception_fp_denorm_src 0
		.amdhsa_exception_fp_ieee_div_zero 0
		.amdhsa_exception_fp_ieee_overflow 0
		.amdhsa_exception_fp_ieee_underflow 0
		.amdhsa_exception_fp_ieee_inexact 0
		.amdhsa_exception_int_div_zero 0
	.end_amdhsa_kernel
	.section	.text._ZN7rocprim17ROCPRIM_400000_NS6detail17trampoline_kernelINS0_14default_configENS1_27scan_by_key_config_selectorIssEEZZNS1_16scan_by_key_implILNS1_25lookback_scan_determinismE0ELb0ES3_N6thrust23THRUST_200600_302600_NS6detail15normal_iteratorINS9_10device_ptrIsEEEESE_SE_sNS9_4plusIvEENS9_8equal_toIsEEsEE10hipError_tPvRmT2_T3_T4_T5_mT6_T7_P12ihipStream_tbENKUlT_T0_E_clISt17integral_constantIbLb0EESY_IbLb1EEEEDaSU_SV_EUlSU_E_NS1_11comp_targetILNS1_3genE0ELNS1_11target_archE4294967295ELNS1_3gpuE0ELNS1_3repE0EEENS1_30default_config_static_selectorELNS0_4arch9wavefront6targetE1EEEvT1_,"axG",@progbits,_ZN7rocprim17ROCPRIM_400000_NS6detail17trampoline_kernelINS0_14default_configENS1_27scan_by_key_config_selectorIssEEZZNS1_16scan_by_key_implILNS1_25lookback_scan_determinismE0ELb0ES3_N6thrust23THRUST_200600_302600_NS6detail15normal_iteratorINS9_10device_ptrIsEEEESE_SE_sNS9_4plusIvEENS9_8equal_toIsEEsEE10hipError_tPvRmT2_T3_T4_T5_mT6_T7_P12ihipStream_tbENKUlT_T0_E_clISt17integral_constantIbLb0EESY_IbLb1EEEEDaSU_SV_EUlSU_E_NS1_11comp_targetILNS1_3genE0ELNS1_11target_archE4294967295ELNS1_3gpuE0ELNS1_3repE0EEENS1_30default_config_static_selectorELNS0_4arch9wavefront6targetE1EEEvT1_,comdat
.Lfunc_end344:
	.size	_ZN7rocprim17ROCPRIM_400000_NS6detail17trampoline_kernelINS0_14default_configENS1_27scan_by_key_config_selectorIssEEZZNS1_16scan_by_key_implILNS1_25lookback_scan_determinismE0ELb0ES3_N6thrust23THRUST_200600_302600_NS6detail15normal_iteratorINS9_10device_ptrIsEEEESE_SE_sNS9_4plusIvEENS9_8equal_toIsEEsEE10hipError_tPvRmT2_T3_T4_T5_mT6_T7_P12ihipStream_tbENKUlT_T0_E_clISt17integral_constantIbLb0EESY_IbLb1EEEEDaSU_SV_EUlSU_E_NS1_11comp_targetILNS1_3genE0ELNS1_11target_archE4294967295ELNS1_3gpuE0ELNS1_3repE0EEENS1_30default_config_static_selectorELNS0_4arch9wavefront6targetE1EEEvT1_, .Lfunc_end344-_ZN7rocprim17ROCPRIM_400000_NS6detail17trampoline_kernelINS0_14default_configENS1_27scan_by_key_config_selectorIssEEZZNS1_16scan_by_key_implILNS1_25lookback_scan_determinismE0ELb0ES3_N6thrust23THRUST_200600_302600_NS6detail15normal_iteratorINS9_10device_ptrIsEEEESE_SE_sNS9_4plusIvEENS9_8equal_toIsEEsEE10hipError_tPvRmT2_T3_T4_T5_mT6_T7_P12ihipStream_tbENKUlT_T0_E_clISt17integral_constantIbLb0EESY_IbLb1EEEEDaSU_SV_EUlSU_E_NS1_11comp_targetILNS1_3genE0ELNS1_11target_archE4294967295ELNS1_3gpuE0ELNS1_3repE0EEENS1_30default_config_static_selectorELNS0_4arch9wavefront6targetE1EEEvT1_
                                        ; -- End function
	.section	.AMDGPU.csdata,"",@progbits
; Kernel info:
; codeLenInByte = 0
; NumSgprs: 4
; NumVgprs: 0
; NumAgprs: 0
; TotalNumVgprs: 0
; ScratchSize: 0
; MemoryBound: 0
; FloatMode: 240
; IeeeMode: 1
; LDSByteSize: 0 bytes/workgroup (compile time only)
; SGPRBlocks: 0
; VGPRBlocks: 0
; NumSGPRsForWavesPerEU: 4
; NumVGPRsForWavesPerEU: 1
; AccumOffset: 4
; Occupancy: 8
; WaveLimiterHint : 0
; COMPUTE_PGM_RSRC2:SCRATCH_EN: 0
; COMPUTE_PGM_RSRC2:USER_SGPR: 6
; COMPUTE_PGM_RSRC2:TRAP_HANDLER: 0
; COMPUTE_PGM_RSRC2:TGID_X_EN: 1
; COMPUTE_PGM_RSRC2:TGID_Y_EN: 0
; COMPUTE_PGM_RSRC2:TGID_Z_EN: 0
; COMPUTE_PGM_RSRC2:TIDIG_COMP_CNT: 0
; COMPUTE_PGM_RSRC3_GFX90A:ACCUM_OFFSET: 0
; COMPUTE_PGM_RSRC3_GFX90A:TG_SPLIT: 0
	.section	.text._ZN7rocprim17ROCPRIM_400000_NS6detail17trampoline_kernelINS0_14default_configENS1_27scan_by_key_config_selectorIssEEZZNS1_16scan_by_key_implILNS1_25lookback_scan_determinismE0ELb0ES3_N6thrust23THRUST_200600_302600_NS6detail15normal_iteratorINS9_10device_ptrIsEEEESE_SE_sNS9_4plusIvEENS9_8equal_toIsEEsEE10hipError_tPvRmT2_T3_T4_T5_mT6_T7_P12ihipStream_tbENKUlT_T0_E_clISt17integral_constantIbLb0EESY_IbLb1EEEEDaSU_SV_EUlSU_E_NS1_11comp_targetILNS1_3genE10ELNS1_11target_archE1201ELNS1_3gpuE5ELNS1_3repE0EEENS1_30default_config_static_selectorELNS0_4arch9wavefront6targetE1EEEvT1_,"axG",@progbits,_ZN7rocprim17ROCPRIM_400000_NS6detail17trampoline_kernelINS0_14default_configENS1_27scan_by_key_config_selectorIssEEZZNS1_16scan_by_key_implILNS1_25lookback_scan_determinismE0ELb0ES3_N6thrust23THRUST_200600_302600_NS6detail15normal_iteratorINS9_10device_ptrIsEEEESE_SE_sNS9_4plusIvEENS9_8equal_toIsEEsEE10hipError_tPvRmT2_T3_T4_T5_mT6_T7_P12ihipStream_tbENKUlT_T0_E_clISt17integral_constantIbLb0EESY_IbLb1EEEEDaSU_SV_EUlSU_E_NS1_11comp_targetILNS1_3genE10ELNS1_11target_archE1201ELNS1_3gpuE5ELNS1_3repE0EEENS1_30default_config_static_selectorELNS0_4arch9wavefront6targetE1EEEvT1_,comdat
	.protected	_ZN7rocprim17ROCPRIM_400000_NS6detail17trampoline_kernelINS0_14default_configENS1_27scan_by_key_config_selectorIssEEZZNS1_16scan_by_key_implILNS1_25lookback_scan_determinismE0ELb0ES3_N6thrust23THRUST_200600_302600_NS6detail15normal_iteratorINS9_10device_ptrIsEEEESE_SE_sNS9_4plusIvEENS9_8equal_toIsEEsEE10hipError_tPvRmT2_T3_T4_T5_mT6_T7_P12ihipStream_tbENKUlT_T0_E_clISt17integral_constantIbLb0EESY_IbLb1EEEEDaSU_SV_EUlSU_E_NS1_11comp_targetILNS1_3genE10ELNS1_11target_archE1201ELNS1_3gpuE5ELNS1_3repE0EEENS1_30default_config_static_selectorELNS0_4arch9wavefront6targetE1EEEvT1_ ; -- Begin function _ZN7rocprim17ROCPRIM_400000_NS6detail17trampoline_kernelINS0_14default_configENS1_27scan_by_key_config_selectorIssEEZZNS1_16scan_by_key_implILNS1_25lookback_scan_determinismE0ELb0ES3_N6thrust23THRUST_200600_302600_NS6detail15normal_iteratorINS9_10device_ptrIsEEEESE_SE_sNS9_4plusIvEENS9_8equal_toIsEEsEE10hipError_tPvRmT2_T3_T4_T5_mT6_T7_P12ihipStream_tbENKUlT_T0_E_clISt17integral_constantIbLb0EESY_IbLb1EEEEDaSU_SV_EUlSU_E_NS1_11comp_targetILNS1_3genE10ELNS1_11target_archE1201ELNS1_3gpuE5ELNS1_3repE0EEENS1_30default_config_static_selectorELNS0_4arch9wavefront6targetE1EEEvT1_
	.globl	_ZN7rocprim17ROCPRIM_400000_NS6detail17trampoline_kernelINS0_14default_configENS1_27scan_by_key_config_selectorIssEEZZNS1_16scan_by_key_implILNS1_25lookback_scan_determinismE0ELb0ES3_N6thrust23THRUST_200600_302600_NS6detail15normal_iteratorINS9_10device_ptrIsEEEESE_SE_sNS9_4plusIvEENS9_8equal_toIsEEsEE10hipError_tPvRmT2_T3_T4_T5_mT6_T7_P12ihipStream_tbENKUlT_T0_E_clISt17integral_constantIbLb0EESY_IbLb1EEEEDaSU_SV_EUlSU_E_NS1_11comp_targetILNS1_3genE10ELNS1_11target_archE1201ELNS1_3gpuE5ELNS1_3repE0EEENS1_30default_config_static_selectorELNS0_4arch9wavefront6targetE1EEEvT1_
	.p2align	8
	.type	_ZN7rocprim17ROCPRIM_400000_NS6detail17trampoline_kernelINS0_14default_configENS1_27scan_by_key_config_selectorIssEEZZNS1_16scan_by_key_implILNS1_25lookback_scan_determinismE0ELb0ES3_N6thrust23THRUST_200600_302600_NS6detail15normal_iteratorINS9_10device_ptrIsEEEESE_SE_sNS9_4plusIvEENS9_8equal_toIsEEsEE10hipError_tPvRmT2_T3_T4_T5_mT6_T7_P12ihipStream_tbENKUlT_T0_E_clISt17integral_constantIbLb0EESY_IbLb1EEEEDaSU_SV_EUlSU_E_NS1_11comp_targetILNS1_3genE10ELNS1_11target_archE1201ELNS1_3gpuE5ELNS1_3repE0EEENS1_30default_config_static_selectorELNS0_4arch9wavefront6targetE1EEEvT1_,@function
_ZN7rocprim17ROCPRIM_400000_NS6detail17trampoline_kernelINS0_14default_configENS1_27scan_by_key_config_selectorIssEEZZNS1_16scan_by_key_implILNS1_25lookback_scan_determinismE0ELb0ES3_N6thrust23THRUST_200600_302600_NS6detail15normal_iteratorINS9_10device_ptrIsEEEESE_SE_sNS9_4plusIvEENS9_8equal_toIsEEsEE10hipError_tPvRmT2_T3_T4_T5_mT6_T7_P12ihipStream_tbENKUlT_T0_E_clISt17integral_constantIbLb0EESY_IbLb1EEEEDaSU_SV_EUlSU_E_NS1_11comp_targetILNS1_3genE10ELNS1_11target_archE1201ELNS1_3gpuE5ELNS1_3repE0EEENS1_30default_config_static_selectorELNS0_4arch9wavefront6targetE1EEEvT1_: ; @_ZN7rocprim17ROCPRIM_400000_NS6detail17trampoline_kernelINS0_14default_configENS1_27scan_by_key_config_selectorIssEEZZNS1_16scan_by_key_implILNS1_25lookback_scan_determinismE0ELb0ES3_N6thrust23THRUST_200600_302600_NS6detail15normal_iteratorINS9_10device_ptrIsEEEESE_SE_sNS9_4plusIvEENS9_8equal_toIsEEsEE10hipError_tPvRmT2_T3_T4_T5_mT6_T7_P12ihipStream_tbENKUlT_T0_E_clISt17integral_constantIbLb0EESY_IbLb1EEEEDaSU_SV_EUlSU_E_NS1_11comp_targetILNS1_3genE10ELNS1_11target_archE1201ELNS1_3gpuE5ELNS1_3repE0EEENS1_30default_config_static_selectorELNS0_4arch9wavefront6targetE1EEEvT1_
; %bb.0:
	.section	.rodata,"a",@progbits
	.p2align	6, 0x0
	.amdhsa_kernel _ZN7rocprim17ROCPRIM_400000_NS6detail17trampoline_kernelINS0_14default_configENS1_27scan_by_key_config_selectorIssEEZZNS1_16scan_by_key_implILNS1_25lookback_scan_determinismE0ELb0ES3_N6thrust23THRUST_200600_302600_NS6detail15normal_iteratorINS9_10device_ptrIsEEEESE_SE_sNS9_4plusIvEENS9_8equal_toIsEEsEE10hipError_tPvRmT2_T3_T4_T5_mT6_T7_P12ihipStream_tbENKUlT_T0_E_clISt17integral_constantIbLb0EESY_IbLb1EEEEDaSU_SV_EUlSU_E_NS1_11comp_targetILNS1_3genE10ELNS1_11target_archE1201ELNS1_3gpuE5ELNS1_3repE0EEENS1_30default_config_static_selectorELNS0_4arch9wavefront6targetE1EEEvT1_
		.amdhsa_group_segment_fixed_size 0
		.amdhsa_private_segment_fixed_size 0
		.amdhsa_kernarg_size 112
		.amdhsa_user_sgpr_count 6
		.amdhsa_user_sgpr_private_segment_buffer 1
		.amdhsa_user_sgpr_dispatch_ptr 0
		.amdhsa_user_sgpr_queue_ptr 0
		.amdhsa_user_sgpr_kernarg_segment_ptr 1
		.amdhsa_user_sgpr_dispatch_id 0
		.amdhsa_user_sgpr_flat_scratch_init 0
		.amdhsa_user_sgpr_kernarg_preload_length 0
		.amdhsa_user_sgpr_kernarg_preload_offset 0
		.amdhsa_user_sgpr_private_segment_size 0
		.amdhsa_uses_dynamic_stack 0
		.amdhsa_system_sgpr_private_segment_wavefront_offset 0
		.amdhsa_system_sgpr_workgroup_id_x 1
		.amdhsa_system_sgpr_workgroup_id_y 0
		.amdhsa_system_sgpr_workgroup_id_z 0
		.amdhsa_system_sgpr_workgroup_info 0
		.amdhsa_system_vgpr_workitem_id 0
		.amdhsa_next_free_vgpr 1
		.amdhsa_next_free_sgpr 0
		.amdhsa_accum_offset 4
		.amdhsa_reserve_vcc 0
		.amdhsa_reserve_flat_scratch 0
		.amdhsa_float_round_mode_32 0
		.amdhsa_float_round_mode_16_64 0
		.amdhsa_float_denorm_mode_32 3
		.amdhsa_float_denorm_mode_16_64 3
		.amdhsa_dx10_clamp 1
		.amdhsa_ieee_mode 1
		.amdhsa_fp16_overflow 0
		.amdhsa_tg_split 0
		.amdhsa_exception_fp_ieee_invalid_op 0
		.amdhsa_exception_fp_denorm_src 0
		.amdhsa_exception_fp_ieee_div_zero 0
		.amdhsa_exception_fp_ieee_overflow 0
		.amdhsa_exception_fp_ieee_underflow 0
		.amdhsa_exception_fp_ieee_inexact 0
		.amdhsa_exception_int_div_zero 0
	.end_amdhsa_kernel
	.section	.text._ZN7rocprim17ROCPRIM_400000_NS6detail17trampoline_kernelINS0_14default_configENS1_27scan_by_key_config_selectorIssEEZZNS1_16scan_by_key_implILNS1_25lookback_scan_determinismE0ELb0ES3_N6thrust23THRUST_200600_302600_NS6detail15normal_iteratorINS9_10device_ptrIsEEEESE_SE_sNS9_4plusIvEENS9_8equal_toIsEEsEE10hipError_tPvRmT2_T3_T4_T5_mT6_T7_P12ihipStream_tbENKUlT_T0_E_clISt17integral_constantIbLb0EESY_IbLb1EEEEDaSU_SV_EUlSU_E_NS1_11comp_targetILNS1_3genE10ELNS1_11target_archE1201ELNS1_3gpuE5ELNS1_3repE0EEENS1_30default_config_static_selectorELNS0_4arch9wavefront6targetE1EEEvT1_,"axG",@progbits,_ZN7rocprim17ROCPRIM_400000_NS6detail17trampoline_kernelINS0_14default_configENS1_27scan_by_key_config_selectorIssEEZZNS1_16scan_by_key_implILNS1_25lookback_scan_determinismE0ELb0ES3_N6thrust23THRUST_200600_302600_NS6detail15normal_iteratorINS9_10device_ptrIsEEEESE_SE_sNS9_4plusIvEENS9_8equal_toIsEEsEE10hipError_tPvRmT2_T3_T4_T5_mT6_T7_P12ihipStream_tbENKUlT_T0_E_clISt17integral_constantIbLb0EESY_IbLb1EEEEDaSU_SV_EUlSU_E_NS1_11comp_targetILNS1_3genE10ELNS1_11target_archE1201ELNS1_3gpuE5ELNS1_3repE0EEENS1_30default_config_static_selectorELNS0_4arch9wavefront6targetE1EEEvT1_,comdat
.Lfunc_end345:
	.size	_ZN7rocprim17ROCPRIM_400000_NS6detail17trampoline_kernelINS0_14default_configENS1_27scan_by_key_config_selectorIssEEZZNS1_16scan_by_key_implILNS1_25lookback_scan_determinismE0ELb0ES3_N6thrust23THRUST_200600_302600_NS6detail15normal_iteratorINS9_10device_ptrIsEEEESE_SE_sNS9_4plusIvEENS9_8equal_toIsEEsEE10hipError_tPvRmT2_T3_T4_T5_mT6_T7_P12ihipStream_tbENKUlT_T0_E_clISt17integral_constantIbLb0EESY_IbLb1EEEEDaSU_SV_EUlSU_E_NS1_11comp_targetILNS1_3genE10ELNS1_11target_archE1201ELNS1_3gpuE5ELNS1_3repE0EEENS1_30default_config_static_selectorELNS0_4arch9wavefront6targetE1EEEvT1_, .Lfunc_end345-_ZN7rocprim17ROCPRIM_400000_NS6detail17trampoline_kernelINS0_14default_configENS1_27scan_by_key_config_selectorIssEEZZNS1_16scan_by_key_implILNS1_25lookback_scan_determinismE0ELb0ES3_N6thrust23THRUST_200600_302600_NS6detail15normal_iteratorINS9_10device_ptrIsEEEESE_SE_sNS9_4plusIvEENS9_8equal_toIsEEsEE10hipError_tPvRmT2_T3_T4_T5_mT6_T7_P12ihipStream_tbENKUlT_T0_E_clISt17integral_constantIbLb0EESY_IbLb1EEEEDaSU_SV_EUlSU_E_NS1_11comp_targetILNS1_3genE10ELNS1_11target_archE1201ELNS1_3gpuE5ELNS1_3repE0EEENS1_30default_config_static_selectorELNS0_4arch9wavefront6targetE1EEEvT1_
                                        ; -- End function
	.section	.AMDGPU.csdata,"",@progbits
; Kernel info:
; codeLenInByte = 0
; NumSgprs: 4
; NumVgprs: 0
; NumAgprs: 0
; TotalNumVgprs: 0
; ScratchSize: 0
; MemoryBound: 0
; FloatMode: 240
; IeeeMode: 1
; LDSByteSize: 0 bytes/workgroup (compile time only)
; SGPRBlocks: 0
; VGPRBlocks: 0
; NumSGPRsForWavesPerEU: 4
; NumVGPRsForWavesPerEU: 1
; AccumOffset: 4
; Occupancy: 8
; WaveLimiterHint : 0
; COMPUTE_PGM_RSRC2:SCRATCH_EN: 0
; COMPUTE_PGM_RSRC2:USER_SGPR: 6
; COMPUTE_PGM_RSRC2:TRAP_HANDLER: 0
; COMPUTE_PGM_RSRC2:TGID_X_EN: 1
; COMPUTE_PGM_RSRC2:TGID_Y_EN: 0
; COMPUTE_PGM_RSRC2:TGID_Z_EN: 0
; COMPUTE_PGM_RSRC2:TIDIG_COMP_CNT: 0
; COMPUTE_PGM_RSRC3_GFX90A:ACCUM_OFFSET: 0
; COMPUTE_PGM_RSRC3_GFX90A:TG_SPLIT: 0
	.section	.text._ZN7rocprim17ROCPRIM_400000_NS6detail17trampoline_kernelINS0_14default_configENS1_27scan_by_key_config_selectorIssEEZZNS1_16scan_by_key_implILNS1_25lookback_scan_determinismE0ELb0ES3_N6thrust23THRUST_200600_302600_NS6detail15normal_iteratorINS9_10device_ptrIsEEEESE_SE_sNS9_4plusIvEENS9_8equal_toIsEEsEE10hipError_tPvRmT2_T3_T4_T5_mT6_T7_P12ihipStream_tbENKUlT_T0_E_clISt17integral_constantIbLb0EESY_IbLb1EEEEDaSU_SV_EUlSU_E_NS1_11comp_targetILNS1_3genE5ELNS1_11target_archE942ELNS1_3gpuE9ELNS1_3repE0EEENS1_30default_config_static_selectorELNS0_4arch9wavefront6targetE1EEEvT1_,"axG",@progbits,_ZN7rocprim17ROCPRIM_400000_NS6detail17trampoline_kernelINS0_14default_configENS1_27scan_by_key_config_selectorIssEEZZNS1_16scan_by_key_implILNS1_25lookback_scan_determinismE0ELb0ES3_N6thrust23THRUST_200600_302600_NS6detail15normal_iteratorINS9_10device_ptrIsEEEESE_SE_sNS9_4plusIvEENS9_8equal_toIsEEsEE10hipError_tPvRmT2_T3_T4_T5_mT6_T7_P12ihipStream_tbENKUlT_T0_E_clISt17integral_constantIbLb0EESY_IbLb1EEEEDaSU_SV_EUlSU_E_NS1_11comp_targetILNS1_3genE5ELNS1_11target_archE942ELNS1_3gpuE9ELNS1_3repE0EEENS1_30default_config_static_selectorELNS0_4arch9wavefront6targetE1EEEvT1_,comdat
	.protected	_ZN7rocprim17ROCPRIM_400000_NS6detail17trampoline_kernelINS0_14default_configENS1_27scan_by_key_config_selectorIssEEZZNS1_16scan_by_key_implILNS1_25lookback_scan_determinismE0ELb0ES3_N6thrust23THRUST_200600_302600_NS6detail15normal_iteratorINS9_10device_ptrIsEEEESE_SE_sNS9_4plusIvEENS9_8equal_toIsEEsEE10hipError_tPvRmT2_T3_T4_T5_mT6_T7_P12ihipStream_tbENKUlT_T0_E_clISt17integral_constantIbLb0EESY_IbLb1EEEEDaSU_SV_EUlSU_E_NS1_11comp_targetILNS1_3genE5ELNS1_11target_archE942ELNS1_3gpuE9ELNS1_3repE0EEENS1_30default_config_static_selectorELNS0_4arch9wavefront6targetE1EEEvT1_ ; -- Begin function _ZN7rocprim17ROCPRIM_400000_NS6detail17trampoline_kernelINS0_14default_configENS1_27scan_by_key_config_selectorIssEEZZNS1_16scan_by_key_implILNS1_25lookback_scan_determinismE0ELb0ES3_N6thrust23THRUST_200600_302600_NS6detail15normal_iteratorINS9_10device_ptrIsEEEESE_SE_sNS9_4plusIvEENS9_8equal_toIsEEsEE10hipError_tPvRmT2_T3_T4_T5_mT6_T7_P12ihipStream_tbENKUlT_T0_E_clISt17integral_constantIbLb0EESY_IbLb1EEEEDaSU_SV_EUlSU_E_NS1_11comp_targetILNS1_3genE5ELNS1_11target_archE942ELNS1_3gpuE9ELNS1_3repE0EEENS1_30default_config_static_selectorELNS0_4arch9wavefront6targetE1EEEvT1_
	.globl	_ZN7rocprim17ROCPRIM_400000_NS6detail17trampoline_kernelINS0_14default_configENS1_27scan_by_key_config_selectorIssEEZZNS1_16scan_by_key_implILNS1_25lookback_scan_determinismE0ELb0ES3_N6thrust23THRUST_200600_302600_NS6detail15normal_iteratorINS9_10device_ptrIsEEEESE_SE_sNS9_4plusIvEENS9_8equal_toIsEEsEE10hipError_tPvRmT2_T3_T4_T5_mT6_T7_P12ihipStream_tbENKUlT_T0_E_clISt17integral_constantIbLb0EESY_IbLb1EEEEDaSU_SV_EUlSU_E_NS1_11comp_targetILNS1_3genE5ELNS1_11target_archE942ELNS1_3gpuE9ELNS1_3repE0EEENS1_30default_config_static_selectorELNS0_4arch9wavefront6targetE1EEEvT1_
	.p2align	8
	.type	_ZN7rocprim17ROCPRIM_400000_NS6detail17trampoline_kernelINS0_14default_configENS1_27scan_by_key_config_selectorIssEEZZNS1_16scan_by_key_implILNS1_25lookback_scan_determinismE0ELb0ES3_N6thrust23THRUST_200600_302600_NS6detail15normal_iteratorINS9_10device_ptrIsEEEESE_SE_sNS9_4plusIvEENS9_8equal_toIsEEsEE10hipError_tPvRmT2_T3_T4_T5_mT6_T7_P12ihipStream_tbENKUlT_T0_E_clISt17integral_constantIbLb0EESY_IbLb1EEEEDaSU_SV_EUlSU_E_NS1_11comp_targetILNS1_3genE5ELNS1_11target_archE942ELNS1_3gpuE9ELNS1_3repE0EEENS1_30default_config_static_selectorELNS0_4arch9wavefront6targetE1EEEvT1_,@function
_ZN7rocprim17ROCPRIM_400000_NS6detail17trampoline_kernelINS0_14default_configENS1_27scan_by_key_config_selectorIssEEZZNS1_16scan_by_key_implILNS1_25lookback_scan_determinismE0ELb0ES3_N6thrust23THRUST_200600_302600_NS6detail15normal_iteratorINS9_10device_ptrIsEEEESE_SE_sNS9_4plusIvEENS9_8equal_toIsEEsEE10hipError_tPvRmT2_T3_T4_T5_mT6_T7_P12ihipStream_tbENKUlT_T0_E_clISt17integral_constantIbLb0EESY_IbLb1EEEEDaSU_SV_EUlSU_E_NS1_11comp_targetILNS1_3genE5ELNS1_11target_archE942ELNS1_3gpuE9ELNS1_3repE0EEENS1_30default_config_static_selectorELNS0_4arch9wavefront6targetE1EEEvT1_: ; @_ZN7rocprim17ROCPRIM_400000_NS6detail17trampoline_kernelINS0_14default_configENS1_27scan_by_key_config_selectorIssEEZZNS1_16scan_by_key_implILNS1_25lookback_scan_determinismE0ELb0ES3_N6thrust23THRUST_200600_302600_NS6detail15normal_iteratorINS9_10device_ptrIsEEEESE_SE_sNS9_4plusIvEENS9_8equal_toIsEEsEE10hipError_tPvRmT2_T3_T4_T5_mT6_T7_P12ihipStream_tbENKUlT_T0_E_clISt17integral_constantIbLb0EESY_IbLb1EEEEDaSU_SV_EUlSU_E_NS1_11comp_targetILNS1_3genE5ELNS1_11target_archE942ELNS1_3gpuE9ELNS1_3repE0EEENS1_30default_config_static_selectorELNS0_4arch9wavefront6targetE1EEEvT1_
; %bb.0:
	.section	.rodata,"a",@progbits
	.p2align	6, 0x0
	.amdhsa_kernel _ZN7rocprim17ROCPRIM_400000_NS6detail17trampoline_kernelINS0_14default_configENS1_27scan_by_key_config_selectorIssEEZZNS1_16scan_by_key_implILNS1_25lookback_scan_determinismE0ELb0ES3_N6thrust23THRUST_200600_302600_NS6detail15normal_iteratorINS9_10device_ptrIsEEEESE_SE_sNS9_4plusIvEENS9_8equal_toIsEEsEE10hipError_tPvRmT2_T3_T4_T5_mT6_T7_P12ihipStream_tbENKUlT_T0_E_clISt17integral_constantIbLb0EESY_IbLb1EEEEDaSU_SV_EUlSU_E_NS1_11comp_targetILNS1_3genE5ELNS1_11target_archE942ELNS1_3gpuE9ELNS1_3repE0EEENS1_30default_config_static_selectorELNS0_4arch9wavefront6targetE1EEEvT1_
		.amdhsa_group_segment_fixed_size 0
		.amdhsa_private_segment_fixed_size 0
		.amdhsa_kernarg_size 112
		.amdhsa_user_sgpr_count 6
		.amdhsa_user_sgpr_private_segment_buffer 1
		.amdhsa_user_sgpr_dispatch_ptr 0
		.amdhsa_user_sgpr_queue_ptr 0
		.amdhsa_user_sgpr_kernarg_segment_ptr 1
		.amdhsa_user_sgpr_dispatch_id 0
		.amdhsa_user_sgpr_flat_scratch_init 0
		.amdhsa_user_sgpr_kernarg_preload_length 0
		.amdhsa_user_sgpr_kernarg_preload_offset 0
		.amdhsa_user_sgpr_private_segment_size 0
		.amdhsa_uses_dynamic_stack 0
		.amdhsa_system_sgpr_private_segment_wavefront_offset 0
		.amdhsa_system_sgpr_workgroup_id_x 1
		.amdhsa_system_sgpr_workgroup_id_y 0
		.amdhsa_system_sgpr_workgroup_id_z 0
		.amdhsa_system_sgpr_workgroup_info 0
		.amdhsa_system_vgpr_workitem_id 0
		.amdhsa_next_free_vgpr 1
		.amdhsa_next_free_sgpr 0
		.amdhsa_accum_offset 4
		.amdhsa_reserve_vcc 0
		.amdhsa_reserve_flat_scratch 0
		.amdhsa_float_round_mode_32 0
		.amdhsa_float_round_mode_16_64 0
		.amdhsa_float_denorm_mode_32 3
		.amdhsa_float_denorm_mode_16_64 3
		.amdhsa_dx10_clamp 1
		.amdhsa_ieee_mode 1
		.amdhsa_fp16_overflow 0
		.amdhsa_tg_split 0
		.amdhsa_exception_fp_ieee_invalid_op 0
		.amdhsa_exception_fp_denorm_src 0
		.amdhsa_exception_fp_ieee_div_zero 0
		.amdhsa_exception_fp_ieee_overflow 0
		.amdhsa_exception_fp_ieee_underflow 0
		.amdhsa_exception_fp_ieee_inexact 0
		.amdhsa_exception_int_div_zero 0
	.end_amdhsa_kernel
	.section	.text._ZN7rocprim17ROCPRIM_400000_NS6detail17trampoline_kernelINS0_14default_configENS1_27scan_by_key_config_selectorIssEEZZNS1_16scan_by_key_implILNS1_25lookback_scan_determinismE0ELb0ES3_N6thrust23THRUST_200600_302600_NS6detail15normal_iteratorINS9_10device_ptrIsEEEESE_SE_sNS9_4plusIvEENS9_8equal_toIsEEsEE10hipError_tPvRmT2_T3_T4_T5_mT6_T7_P12ihipStream_tbENKUlT_T0_E_clISt17integral_constantIbLb0EESY_IbLb1EEEEDaSU_SV_EUlSU_E_NS1_11comp_targetILNS1_3genE5ELNS1_11target_archE942ELNS1_3gpuE9ELNS1_3repE0EEENS1_30default_config_static_selectorELNS0_4arch9wavefront6targetE1EEEvT1_,"axG",@progbits,_ZN7rocprim17ROCPRIM_400000_NS6detail17trampoline_kernelINS0_14default_configENS1_27scan_by_key_config_selectorIssEEZZNS1_16scan_by_key_implILNS1_25lookback_scan_determinismE0ELb0ES3_N6thrust23THRUST_200600_302600_NS6detail15normal_iteratorINS9_10device_ptrIsEEEESE_SE_sNS9_4plusIvEENS9_8equal_toIsEEsEE10hipError_tPvRmT2_T3_T4_T5_mT6_T7_P12ihipStream_tbENKUlT_T0_E_clISt17integral_constantIbLb0EESY_IbLb1EEEEDaSU_SV_EUlSU_E_NS1_11comp_targetILNS1_3genE5ELNS1_11target_archE942ELNS1_3gpuE9ELNS1_3repE0EEENS1_30default_config_static_selectorELNS0_4arch9wavefront6targetE1EEEvT1_,comdat
.Lfunc_end346:
	.size	_ZN7rocprim17ROCPRIM_400000_NS6detail17trampoline_kernelINS0_14default_configENS1_27scan_by_key_config_selectorIssEEZZNS1_16scan_by_key_implILNS1_25lookback_scan_determinismE0ELb0ES3_N6thrust23THRUST_200600_302600_NS6detail15normal_iteratorINS9_10device_ptrIsEEEESE_SE_sNS9_4plusIvEENS9_8equal_toIsEEsEE10hipError_tPvRmT2_T3_T4_T5_mT6_T7_P12ihipStream_tbENKUlT_T0_E_clISt17integral_constantIbLb0EESY_IbLb1EEEEDaSU_SV_EUlSU_E_NS1_11comp_targetILNS1_3genE5ELNS1_11target_archE942ELNS1_3gpuE9ELNS1_3repE0EEENS1_30default_config_static_selectorELNS0_4arch9wavefront6targetE1EEEvT1_, .Lfunc_end346-_ZN7rocprim17ROCPRIM_400000_NS6detail17trampoline_kernelINS0_14default_configENS1_27scan_by_key_config_selectorIssEEZZNS1_16scan_by_key_implILNS1_25lookback_scan_determinismE0ELb0ES3_N6thrust23THRUST_200600_302600_NS6detail15normal_iteratorINS9_10device_ptrIsEEEESE_SE_sNS9_4plusIvEENS9_8equal_toIsEEsEE10hipError_tPvRmT2_T3_T4_T5_mT6_T7_P12ihipStream_tbENKUlT_T0_E_clISt17integral_constantIbLb0EESY_IbLb1EEEEDaSU_SV_EUlSU_E_NS1_11comp_targetILNS1_3genE5ELNS1_11target_archE942ELNS1_3gpuE9ELNS1_3repE0EEENS1_30default_config_static_selectorELNS0_4arch9wavefront6targetE1EEEvT1_
                                        ; -- End function
	.section	.AMDGPU.csdata,"",@progbits
; Kernel info:
; codeLenInByte = 0
; NumSgprs: 4
; NumVgprs: 0
; NumAgprs: 0
; TotalNumVgprs: 0
; ScratchSize: 0
; MemoryBound: 0
; FloatMode: 240
; IeeeMode: 1
; LDSByteSize: 0 bytes/workgroup (compile time only)
; SGPRBlocks: 0
; VGPRBlocks: 0
; NumSGPRsForWavesPerEU: 4
; NumVGPRsForWavesPerEU: 1
; AccumOffset: 4
; Occupancy: 8
; WaveLimiterHint : 0
; COMPUTE_PGM_RSRC2:SCRATCH_EN: 0
; COMPUTE_PGM_RSRC2:USER_SGPR: 6
; COMPUTE_PGM_RSRC2:TRAP_HANDLER: 0
; COMPUTE_PGM_RSRC2:TGID_X_EN: 1
; COMPUTE_PGM_RSRC2:TGID_Y_EN: 0
; COMPUTE_PGM_RSRC2:TGID_Z_EN: 0
; COMPUTE_PGM_RSRC2:TIDIG_COMP_CNT: 0
; COMPUTE_PGM_RSRC3_GFX90A:ACCUM_OFFSET: 0
; COMPUTE_PGM_RSRC3_GFX90A:TG_SPLIT: 0
	.section	.text._ZN7rocprim17ROCPRIM_400000_NS6detail17trampoline_kernelINS0_14default_configENS1_27scan_by_key_config_selectorIssEEZZNS1_16scan_by_key_implILNS1_25lookback_scan_determinismE0ELb0ES3_N6thrust23THRUST_200600_302600_NS6detail15normal_iteratorINS9_10device_ptrIsEEEESE_SE_sNS9_4plusIvEENS9_8equal_toIsEEsEE10hipError_tPvRmT2_T3_T4_T5_mT6_T7_P12ihipStream_tbENKUlT_T0_E_clISt17integral_constantIbLb0EESY_IbLb1EEEEDaSU_SV_EUlSU_E_NS1_11comp_targetILNS1_3genE4ELNS1_11target_archE910ELNS1_3gpuE8ELNS1_3repE0EEENS1_30default_config_static_selectorELNS0_4arch9wavefront6targetE1EEEvT1_,"axG",@progbits,_ZN7rocprim17ROCPRIM_400000_NS6detail17trampoline_kernelINS0_14default_configENS1_27scan_by_key_config_selectorIssEEZZNS1_16scan_by_key_implILNS1_25lookback_scan_determinismE0ELb0ES3_N6thrust23THRUST_200600_302600_NS6detail15normal_iteratorINS9_10device_ptrIsEEEESE_SE_sNS9_4plusIvEENS9_8equal_toIsEEsEE10hipError_tPvRmT2_T3_T4_T5_mT6_T7_P12ihipStream_tbENKUlT_T0_E_clISt17integral_constantIbLb0EESY_IbLb1EEEEDaSU_SV_EUlSU_E_NS1_11comp_targetILNS1_3genE4ELNS1_11target_archE910ELNS1_3gpuE8ELNS1_3repE0EEENS1_30default_config_static_selectorELNS0_4arch9wavefront6targetE1EEEvT1_,comdat
	.protected	_ZN7rocprim17ROCPRIM_400000_NS6detail17trampoline_kernelINS0_14default_configENS1_27scan_by_key_config_selectorIssEEZZNS1_16scan_by_key_implILNS1_25lookback_scan_determinismE0ELb0ES3_N6thrust23THRUST_200600_302600_NS6detail15normal_iteratorINS9_10device_ptrIsEEEESE_SE_sNS9_4plusIvEENS9_8equal_toIsEEsEE10hipError_tPvRmT2_T3_T4_T5_mT6_T7_P12ihipStream_tbENKUlT_T0_E_clISt17integral_constantIbLb0EESY_IbLb1EEEEDaSU_SV_EUlSU_E_NS1_11comp_targetILNS1_3genE4ELNS1_11target_archE910ELNS1_3gpuE8ELNS1_3repE0EEENS1_30default_config_static_selectorELNS0_4arch9wavefront6targetE1EEEvT1_ ; -- Begin function _ZN7rocprim17ROCPRIM_400000_NS6detail17trampoline_kernelINS0_14default_configENS1_27scan_by_key_config_selectorIssEEZZNS1_16scan_by_key_implILNS1_25lookback_scan_determinismE0ELb0ES3_N6thrust23THRUST_200600_302600_NS6detail15normal_iteratorINS9_10device_ptrIsEEEESE_SE_sNS9_4plusIvEENS9_8equal_toIsEEsEE10hipError_tPvRmT2_T3_T4_T5_mT6_T7_P12ihipStream_tbENKUlT_T0_E_clISt17integral_constantIbLb0EESY_IbLb1EEEEDaSU_SV_EUlSU_E_NS1_11comp_targetILNS1_3genE4ELNS1_11target_archE910ELNS1_3gpuE8ELNS1_3repE0EEENS1_30default_config_static_selectorELNS0_4arch9wavefront6targetE1EEEvT1_
	.globl	_ZN7rocprim17ROCPRIM_400000_NS6detail17trampoline_kernelINS0_14default_configENS1_27scan_by_key_config_selectorIssEEZZNS1_16scan_by_key_implILNS1_25lookback_scan_determinismE0ELb0ES3_N6thrust23THRUST_200600_302600_NS6detail15normal_iteratorINS9_10device_ptrIsEEEESE_SE_sNS9_4plusIvEENS9_8equal_toIsEEsEE10hipError_tPvRmT2_T3_T4_T5_mT6_T7_P12ihipStream_tbENKUlT_T0_E_clISt17integral_constantIbLb0EESY_IbLb1EEEEDaSU_SV_EUlSU_E_NS1_11comp_targetILNS1_3genE4ELNS1_11target_archE910ELNS1_3gpuE8ELNS1_3repE0EEENS1_30default_config_static_selectorELNS0_4arch9wavefront6targetE1EEEvT1_
	.p2align	8
	.type	_ZN7rocprim17ROCPRIM_400000_NS6detail17trampoline_kernelINS0_14default_configENS1_27scan_by_key_config_selectorIssEEZZNS1_16scan_by_key_implILNS1_25lookback_scan_determinismE0ELb0ES3_N6thrust23THRUST_200600_302600_NS6detail15normal_iteratorINS9_10device_ptrIsEEEESE_SE_sNS9_4plusIvEENS9_8equal_toIsEEsEE10hipError_tPvRmT2_T3_T4_T5_mT6_T7_P12ihipStream_tbENKUlT_T0_E_clISt17integral_constantIbLb0EESY_IbLb1EEEEDaSU_SV_EUlSU_E_NS1_11comp_targetILNS1_3genE4ELNS1_11target_archE910ELNS1_3gpuE8ELNS1_3repE0EEENS1_30default_config_static_selectorELNS0_4arch9wavefront6targetE1EEEvT1_,@function
_ZN7rocprim17ROCPRIM_400000_NS6detail17trampoline_kernelINS0_14default_configENS1_27scan_by_key_config_selectorIssEEZZNS1_16scan_by_key_implILNS1_25lookback_scan_determinismE0ELb0ES3_N6thrust23THRUST_200600_302600_NS6detail15normal_iteratorINS9_10device_ptrIsEEEESE_SE_sNS9_4plusIvEENS9_8equal_toIsEEsEE10hipError_tPvRmT2_T3_T4_T5_mT6_T7_P12ihipStream_tbENKUlT_T0_E_clISt17integral_constantIbLb0EESY_IbLb1EEEEDaSU_SV_EUlSU_E_NS1_11comp_targetILNS1_3genE4ELNS1_11target_archE910ELNS1_3gpuE8ELNS1_3repE0EEENS1_30default_config_static_selectorELNS0_4arch9wavefront6targetE1EEEvT1_: ; @_ZN7rocprim17ROCPRIM_400000_NS6detail17trampoline_kernelINS0_14default_configENS1_27scan_by_key_config_selectorIssEEZZNS1_16scan_by_key_implILNS1_25lookback_scan_determinismE0ELb0ES3_N6thrust23THRUST_200600_302600_NS6detail15normal_iteratorINS9_10device_ptrIsEEEESE_SE_sNS9_4plusIvEENS9_8equal_toIsEEsEE10hipError_tPvRmT2_T3_T4_T5_mT6_T7_P12ihipStream_tbENKUlT_T0_E_clISt17integral_constantIbLb0EESY_IbLb1EEEEDaSU_SV_EUlSU_E_NS1_11comp_targetILNS1_3genE4ELNS1_11target_archE910ELNS1_3gpuE8ELNS1_3repE0EEENS1_30default_config_static_selectorELNS0_4arch9wavefront6targetE1EEEvT1_
; %bb.0:
	s_load_dwordx4 s[72:75], s[4:5], 0x28
	s_load_dwordx2 s[76:77], s[4:5], 0x38
	v_cmp_ne_u32_e64 s[52:53], 0, v0
	v_cmp_eq_u32_e64 s[0:1], 0, v0
	s_and_saveexec_b64 s[2:3], s[0:1]
	s_cbranch_execz .LBB347_4
; %bb.1:
	s_mov_b64 s[8:9], exec
	v_mbcnt_lo_u32_b32 v1, s8, 0
	v_mbcnt_hi_u32_b32 v1, s9, v1
	v_cmp_eq_u32_e32 vcc, 0, v1
                                        ; implicit-def: $vgpr2
	s_and_saveexec_b64 s[6:7], vcc
	s_cbranch_execz .LBB347_3
; %bb.2:
	s_load_dwordx2 s[10:11], s[4:5], 0x68
	s_bcnt1_i32_b64 s8, s[8:9]
	v_mov_b32_e32 v2, 0
	v_mov_b32_e32 v3, s8
	s_waitcnt lgkmcnt(0)
	global_atomic_add v2, v2, v3, s[10:11] glc
.LBB347_3:
	s_or_b64 exec, exec, s[6:7]
	s_waitcnt vmcnt(0)
	v_readfirstlane_b32 s6, v2
	v_add_u32_e32 v1, s6, v1
	v_mov_b32_e32 v2, 0
	ds_write_b32 v2, v1
.LBB347_4:
	s_or_b64 exec, exec, s[2:3]
	s_load_dwordx8 s[56:63], s[4:5], 0x0
	s_load_dword s2, s[4:5], 0x40
	s_load_dwordx8 s[64:71], s[4:5], 0x48
	v_mov_b32_e32 v1, 0
	s_waitcnt lgkmcnt(0)
	s_barrier
	ds_read_b32 v1, v1
	s_lshl_b64 s[54:55], s[58:59], 1
	s_add_u32 s4, s56, s54
	s_addc_u32 s5, s57, s55
	s_add_u32 s6, s60, s54
	s_mul_i32 s3, s77, s2
	s_mul_hi_u32 s8, s76, s2
	s_addc_u32 s7, s61, s55
	s_add_i32 s8, s8, s3
	s_waitcnt lgkmcnt(0)
	v_readfirstlane_b32 s75, v1
	s_mul_i32 s9, s76, s2
	s_cmp_lg_u64 s[68:69], 0
	s_mov_b32 s3, 0
	s_mul_i32 s2, s75, 0x1600
	s_cselect_b64 s[60:61], -1, 0
	s_lshl_b64 s[56:57], s[2:3], 1
	s_add_u32 s58, s4, s56
	s_addc_u32 s59, s5, s57
	s_add_u32 s78, s6, s56
	s_addc_u32 s79, s7, s57
	;; [unrolled: 2-line block ×3, first 2 shown]
	s_add_u32 s4, s64, -1
	s_addc_u32 s5, s65, -1
	v_pk_mov_b32 v[2:3], s[4:5], s[4:5] op_sel:[0,1]
	v_cmp_ge_u64_e64 s[2:3], s[68:69], v[2:3]
	s_mov_b64 s[10:11], 0
	s_mov_b64 s[6:7], -1
	s_and_b64 vcc, exec, s[2:3]
	s_mul_i32 s33, s4, 0xffffea00
	s_barrier
	s_barrier
	s_cbranch_vccz .LBB347_121
; %bb.5:
	v_pk_mov_b32 v[2:3], s[58:59], s[58:59] op_sel:[0,1]
	flat_load_ushort v6, v[2:3]
	s_add_i32 s81, s33, s74
	v_cmp_gt_u32_e64 s[6:7], s81, v0
	s_waitcnt vmcnt(0) lgkmcnt(0)
	v_mov_b32_e32 v7, v6
	s_and_saveexec_b64 s[4:5], s[6:7]
	s_cbranch_execz .LBB347_7
; %bb.6:
	v_lshlrev_b32_e32 v1, 1, v0
	v_mov_b32_e32 v3, s59
	v_add_co_u32_e32 v2, vcc, s58, v1
	v_addc_co_u32_e32 v3, vcc, 0, v3, vcc
	flat_load_ushort v7, v[2:3]
.LBB347_7:
	s_or_b64 exec, exec, s[4:5]
	v_or_b32_e32 v1, 0x100, v0
	v_cmp_gt_u32_e64 s[8:9], s81, v1
	v_mov_b32_e32 v8, v6
	s_and_saveexec_b64 s[4:5], s[8:9]
	s_cbranch_execz .LBB347_9
; %bb.8:
	v_lshlrev_b32_e32 v1, 1, v0
	v_mov_b32_e32 v3, s59
	v_add_co_u32_e32 v2, vcc, s58, v1
	v_addc_co_u32_e32 v3, vcc, 0, v3, vcc
	flat_load_ushort v8, v[2:3] offset:512
.LBB347_9:
	s_or_b64 exec, exec, s[4:5]
	v_or_b32_e32 v1, 0x200, v0
	v_cmp_gt_u32_e64 s[10:11], s81, v1
	v_mov_b32_e32 v9, v6
	s_and_saveexec_b64 s[4:5], s[10:11]
	s_cbranch_execz .LBB347_11
; %bb.10:
	v_lshlrev_b32_e32 v1, 1, v0
	v_mov_b32_e32 v3, s59
	v_add_co_u32_e32 v2, vcc, s58, v1
	v_addc_co_u32_e32 v3, vcc, 0, v3, vcc
	flat_load_ushort v9, v[2:3] offset:1024
.LBB347_11:
	s_or_b64 exec, exec, s[4:5]
	v_or_b32_e32 v1, 0x300, v0
	v_cmp_gt_u32_e64 s[12:13], s81, v1
	v_mov_b32_e32 v10, v6
	s_and_saveexec_b64 s[4:5], s[12:13]
	s_cbranch_execz .LBB347_13
; %bb.12:
	v_lshlrev_b32_e32 v1, 1, v0
	v_mov_b32_e32 v3, s59
	v_add_co_u32_e32 v2, vcc, s58, v1
	v_addc_co_u32_e32 v3, vcc, 0, v3, vcc
	flat_load_ushort v10, v[2:3] offset:1536
.LBB347_13:
	s_or_b64 exec, exec, s[4:5]
	v_or_b32_e32 v1, 0x400, v0
	v_cmp_gt_u32_e64 s[14:15], s81, v1
	v_mov_b32_e32 v11, v6
	s_and_saveexec_b64 s[4:5], s[14:15]
	s_cbranch_execz .LBB347_15
; %bb.14:
	v_lshlrev_b32_e32 v1, 1, v0
	v_mov_b32_e32 v3, s59
	v_add_co_u32_e32 v2, vcc, s58, v1
	v_addc_co_u32_e32 v3, vcc, 0, v3, vcc
	flat_load_ushort v11, v[2:3] offset:2048
.LBB347_15:
	s_or_b64 exec, exec, s[4:5]
	v_or_b32_e32 v1, 0x500, v0
	v_cmp_gt_u32_e64 s[16:17], s81, v1
	v_mov_b32_e32 v12, v6
	s_and_saveexec_b64 s[4:5], s[16:17]
	s_cbranch_execz .LBB347_17
; %bb.16:
	v_lshlrev_b32_e32 v1, 1, v0
	v_mov_b32_e32 v3, s59
	v_add_co_u32_e32 v2, vcc, s58, v1
	v_addc_co_u32_e32 v3, vcc, 0, v3, vcc
	flat_load_ushort v12, v[2:3] offset:2560
.LBB347_17:
	s_or_b64 exec, exec, s[4:5]
	v_or_b32_e32 v1, 0x600, v0
	v_cmp_gt_u32_e64 s[18:19], s81, v1
	v_mov_b32_e32 v13, v6
	s_and_saveexec_b64 s[4:5], s[18:19]
	s_cbranch_execz .LBB347_19
; %bb.18:
	v_lshlrev_b32_e32 v1, 1, v0
	v_mov_b32_e32 v3, s59
	v_add_co_u32_e32 v2, vcc, s58, v1
	v_addc_co_u32_e32 v3, vcc, 0, v3, vcc
	flat_load_ushort v13, v[2:3] offset:3072
.LBB347_19:
	s_or_b64 exec, exec, s[4:5]
	v_or_b32_e32 v1, 0x700, v0
	v_cmp_gt_u32_e64 s[20:21], s81, v1
	v_mov_b32_e32 v14, v6
	s_and_saveexec_b64 s[4:5], s[20:21]
	s_cbranch_execz .LBB347_21
; %bb.20:
	v_lshlrev_b32_e32 v1, 1, v0
	v_mov_b32_e32 v3, s59
	v_add_co_u32_e32 v2, vcc, s58, v1
	v_addc_co_u32_e32 v3, vcc, 0, v3, vcc
	flat_load_ushort v14, v[2:3] offset:3584
.LBB347_21:
	s_or_b64 exec, exec, s[4:5]
	v_or_b32_e32 v1, 0x800, v0
	v_cmp_gt_u32_e64 s[22:23], s81, v1
	v_lshlrev_b32_e32 v1, 1, v1
	v_mov_b32_e32 v15, v6
	s_and_saveexec_b64 s[4:5], s[22:23]
	s_cbranch_execz .LBB347_23
; %bb.22:
	v_mov_b32_e32 v3, s59
	v_add_co_u32_e32 v2, vcc, s58, v1
	v_addc_co_u32_e32 v3, vcc, 0, v3, vcc
	flat_load_ushort v15, v[2:3]
.LBB347_23:
	s_or_b64 exec, exec, s[4:5]
	v_or_b32_e32 v2, 0x900, v0
	v_cmp_gt_u32_e64 s[24:25], s81, v2
	v_lshlrev_b32_e32 v2, 1, v2
	v_mov_b32_e32 v26, v6
	s_and_saveexec_b64 s[4:5], s[24:25]
	s_cbranch_execz .LBB347_25
; %bb.24:
	v_mov_b32_e32 v3, s59
	v_add_co_u32_e32 v4, vcc, s58, v2
	v_addc_co_u32_e32 v5, vcc, 0, v3, vcc
	flat_load_ushort v26, v[4:5]
.LBB347_25:
	;; [unrolled: 13-line block ×13, first 2 shown]
	s_or_b64 exec, exec, s[4:5]
	v_or_b32_e32 v20, 0x1500, v0
	v_cmp_gt_u32_e64 s[50:51], s81, v20
	v_lshlrev_b32_e32 v25, 1, v20
	s_and_saveexec_b64 s[4:5], s[50:51]
	s_cbranch_execz .LBB347_49
; %bb.48:
	v_mov_b32_e32 v6, s59
	v_add_co_u32_e32 v38, vcc, s58, v25
	v_addc_co_u32_e32 v39, vcc, 0, v6, vcc
	flat_load_ushort v6, v[38:39]
.LBB347_49:
	s_or_b64 exec, exec, s[4:5]
	v_lshlrev_b32_e32 v20, 1, v0
	s_waitcnt vmcnt(0) lgkmcnt(0)
	ds_write_b16 v20, v7
	ds_write_b16 v20, v8 offset:512
	ds_write_b16 v20, v9 offset:1024
	ds_write_b16 v20, v10 offset:1536
	ds_write_b16 v20, v11 offset:2048
	ds_write_b16 v20, v12 offset:2560
	ds_write_b16 v20, v13 offset:3072
	ds_write_b16 v20, v14 offset:3584
	ds_write_b16 v20, v15 offset:4096
	ds_write_b16 v20, v26 offset:4608
	ds_write_b16 v20, v27 offset:5120
	ds_write_b16 v20, v28 offset:5632
	ds_write_b16 v20, v29 offset:6144
	ds_write_b16 v20, v30 offset:6656
	ds_write_b16 v20, v31 offset:7168
	ds_write_b16 v20, v32 offset:7680
	ds_write_b16 v20, v33 offset:8192
	ds_write_b16 v20, v34 offset:8704
	ds_write_b16 v20, v35 offset:9216
	ds_write_b16 v20, v36 offset:9728
	ds_write_b16 v20, v37 offset:10240
	ds_write_b16 v20, v6 offset:10752
	v_mad_u32_u24 v37, v0, 42, v20
	s_waitcnt lgkmcnt(0)
	s_barrier
	ds_read2_b32 v[14:15], v37 offset1:1
	ds_read2_b32 v[12:13], v37 offset0:2 offset1:3
	ds_read2_b32 v[10:11], v37 offset0:4 offset1:5
	;; [unrolled: 1-line block ×4, first 2 shown]
	ds_read_b32 v38, v37 offset:40
	s_cmp_eq_u64 s[68:69], 0
	s_mov_b64 s[4:5], s[58:59]
	s_cbranch_scc1 .LBB347_53
; %bb.50:
	s_andn2_b64 vcc, exec, s[60:61]
	s_cbranch_vccnz .LBB347_287
; %bb.51:
	s_lshl_b64 s[4:5], s[68:69], 1
	s_add_u32 s4, s70, s4
	s_addc_u32 s5, s71, s5
	s_add_u32 s4, s4, -2
	s_addc_u32 s5, s5, -1
	s_cbranch_execnz .LBB347_53
.LBB347_52:
	s_add_u32 s4, s58, -2
	s_addc_u32 s5, s59, -1
.LBB347_53:
	v_pk_mov_b32 v[26:27], s[4:5], s[4:5] op_sel:[0,1]
	flat_load_ushort v41, v[26:27]
	s_movk_i32 s4, 0xffd6
	s_waitcnt lgkmcnt(0)
	v_lshrrev_b32_e32 v39, 16, v38
	v_mad_i32_i24 v26, v0, s4, v37
	ds_write_b16 v26, v39 offset:11264
	s_waitcnt lgkmcnt(0)
	s_barrier
	s_and_saveexec_b64 s[4:5], s[52:53]
	s_cbranch_execz .LBB347_55
; %bb.54:
	v_mul_i32_i24_e32 v26, 0xffffffd6, v0
	v_add_u32_e32 v26, v37, v26
	s_waitcnt vmcnt(0)
	ds_read_u16 v41, v26 offset:11262
.LBB347_55:
	s_or_b64 exec, exec, s[4:5]
	s_waitcnt lgkmcnt(0)
	s_barrier
	s_waitcnt lgkmcnt(0)
                                        ; implicit-def: $vgpr26
	s_and_saveexec_b64 s[4:5], s[6:7]
	s_cbranch_execnz .LBB347_264
; %bb.56:
	s_or_b64 exec, exec, s[4:5]
                                        ; implicit-def: $vgpr27
	s_and_saveexec_b64 s[4:5], s[8:9]
	s_cbranch_execnz .LBB347_265
.LBB347_57:
	s_or_b64 exec, exec, s[4:5]
                                        ; implicit-def: $vgpr28
	s_and_saveexec_b64 s[4:5], s[10:11]
	s_cbranch_execnz .LBB347_266
.LBB347_58:
	s_or_b64 exec, exec, s[4:5]
                                        ; implicit-def: $vgpr29
	s_and_saveexec_b64 s[4:5], s[12:13]
	s_cbranch_execnz .LBB347_267
.LBB347_59:
	s_or_b64 exec, exec, s[4:5]
                                        ; implicit-def: $vgpr30
	s_and_saveexec_b64 s[4:5], s[14:15]
	s_cbranch_execnz .LBB347_268
.LBB347_60:
	s_or_b64 exec, exec, s[4:5]
                                        ; implicit-def: $vgpr31
	s_and_saveexec_b64 s[4:5], s[16:17]
	s_cbranch_execnz .LBB347_269
.LBB347_61:
	s_or_b64 exec, exec, s[4:5]
                                        ; implicit-def: $vgpr32
	s_and_saveexec_b64 s[4:5], s[18:19]
	s_cbranch_execnz .LBB347_270
.LBB347_62:
	s_or_b64 exec, exec, s[4:5]
                                        ; implicit-def: $vgpr33
	s_and_saveexec_b64 s[4:5], s[20:21]
	s_cbranch_execnz .LBB347_271
.LBB347_63:
	s_or_b64 exec, exec, s[4:5]
                                        ; implicit-def: $vgpr34
	s_and_saveexec_b64 s[4:5], s[22:23]
	s_cbranch_execnz .LBB347_272
.LBB347_64:
	s_or_b64 exec, exec, s[4:5]
                                        ; implicit-def: $vgpr1
	s_and_saveexec_b64 s[4:5], s[24:25]
	s_cbranch_execnz .LBB347_273
.LBB347_65:
	s_or_b64 exec, exec, s[4:5]
                                        ; implicit-def: $vgpr2
	s_and_saveexec_b64 s[4:5], s[26:27]
	s_cbranch_execnz .LBB347_274
.LBB347_66:
	s_or_b64 exec, exec, s[4:5]
                                        ; implicit-def: $vgpr3
	s_and_saveexec_b64 s[4:5], s[28:29]
	s_cbranch_execnz .LBB347_275
.LBB347_67:
	s_or_b64 exec, exec, s[4:5]
                                        ; implicit-def: $vgpr4
	s_and_saveexec_b64 s[4:5], s[30:31]
	s_cbranch_execnz .LBB347_276
.LBB347_68:
	s_or_b64 exec, exec, s[4:5]
                                        ; implicit-def: $vgpr5
	s_and_saveexec_b64 s[4:5], s[34:35]
	s_cbranch_execnz .LBB347_277
.LBB347_69:
	s_or_b64 exec, exec, s[4:5]
                                        ; implicit-def: $vgpr16
	s_and_saveexec_b64 s[4:5], s[36:37]
	s_cbranch_execnz .LBB347_278
.LBB347_70:
	s_or_b64 exec, exec, s[4:5]
                                        ; implicit-def: $vgpr17
	s_and_saveexec_b64 s[4:5], s[38:39]
	s_cbranch_execnz .LBB347_279
.LBB347_71:
	s_or_b64 exec, exec, s[4:5]
                                        ; implicit-def: $vgpr18
	s_and_saveexec_b64 s[4:5], s[40:41]
	s_cbranch_execnz .LBB347_280
.LBB347_72:
	s_or_b64 exec, exec, s[4:5]
                                        ; implicit-def: $vgpr19
	s_and_saveexec_b64 s[4:5], s[42:43]
	s_cbranch_execnz .LBB347_281
.LBB347_73:
	s_or_b64 exec, exec, s[4:5]
                                        ; implicit-def: $vgpr21
	s_and_saveexec_b64 s[4:5], s[44:45]
	s_cbranch_execnz .LBB347_282
.LBB347_74:
	s_or_b64 exec, exec, s[4:5]
                                        ; implicit-def: $vgpr22
	s_and_saveexec_b64 s[4:5], s[46:47]
	s_cbranch_execnz .LBB347_283
.LBB347_75:
	s_or_b64 exec, exec, s[4:5]
                                        ; implicit-def: $vgpr23
	s_and_saveexec_b64 s[4:5], s[48:49]
	s_cbranch_execnz .LBB347_284
.LBB347_76:
	s_or_b64 exec, exec, s[4:5]
                                        ; implicit-def: $vgpr24
	s_and_saveexec_b64 s[4:5], s[50:51]
	s_cbranch_execz .LBB347_78
.LBB347_77:
	v_mov_b32_e32 v35, s79
	v_add_co_u32_e32 v24, vcc, s78, v25
	v_addc_co_u32_e32 v25, vcc, 0, v35, vcc
	flat_load_ushort v24, v[24:25]
.LBB347_78:
	s_or_b64 exec, exec, s[4:5]
	v_mul_u32_u24_e32 v40, 22, v0
	s_waitcnt vmcnt(0) lgkmcnt(0)
	ds_write_b16 v20, v26
	ds_write_b16 v20, v27 offset:512
	ds_write_b16 v20, v28 offset:1024
	;; [unrolled: 1-line block ×21, first 2 shown]
	v_cmp_gt_u32_e32 vcc, s81, v40
	s_mov_b64 s[6:7], 0
	s_mov_b32 s80, 0
	v_mov_b32_e32 v1, 0
	s_mov_b64 s[10:11], 0
	v_mov_b32_e32 v16, 0
	v_mov_b32_e32 v17, 0
	;; [unrolled: 1-line block ×20, first 2 shown]
	s_waitcnt lgkmcnt(0)
	s_barrier
	s_waitcnt lgkmcnt(0)
                                        ; implicit-def: $sgpr4_sgpr5
                                        ; implicit-def: $vgpr36
	s_and_saveexec_b64 s[8:9], vcc
	s_cbranch_execz .LBB347_120
; %bb.79:
	ds_read_u16 v1, v37
	v_cmp_ne_u16_e32 vcc, v41, v14
	v_or_b32_e32 v2, 1, v40
	v_cndmask_b32_e64 v3, 0, 1, vcc
	v_cmp_gt_u32_e32 vcc, s81, v2
	s_waitcnt lgkmcnt(0)
	v_lshl_or_b32 v1, v3, 16, v1
	s_mov_b64 s[12:13], 0
	v_mov_b32_e32 v16, 0
	v_mov_b32_e32 v17, 0
	;; [unrolled: 1-line block ×20, first 2 shown]
                                        ; implicit-def: $sgpr4_sgpr5
                                        ; implicit-def: $vgpr36
	s_and_saveexec_b64 s[10:11], vcc
	s_cbranch_execz .LBB347_119
; %bb.80:
	ds_read_b128 v[2:5], v37 offset:2
	v_add_u32_e32 v16, 2, v40
	v_cmp_ne_u16_sdwa s[4:5], v14, v14 src0_sel:DWORD src1_sel:WORD_1
	v_cndmask_b32_e64 v17, 0, 1, s[4:5]
	v_cmp_gt_u32_e32 vcc, s81, v16
	s_waitcnt lgkmcnt(0)
	v_and_b32_e32 v16, 0xffff, v2
	v_lshl_or_b32 v16, v17, 16, v16
	s_mov_b64 s[14:15], 0
	v_mov_b32_e32 v17, 0
	v_mov_b32_e32 v18, 0
	;; [unrolled: 1-line block ×19, first 2 shown]
                                        ; implicit-def: $sgpr4_sgpr5
                                        ; implicit-def: $vgpr36
	s_and_saveexec_b64 s[12:13], vcc
	s_cbranch_execz .LBB347_118
; %bb.81:
	v_cmp_ne_u16_sdwa s[4:5], v14, v15 src0_sel:WORD_1 src1_sel:DWORD
	v_add_u32_e32 v18, 3, v40
	v_cndmask_b32_e64 v14, 0, 1, s[4:5]
	v_alignbit_b32 v17, v14, v2, 16
	v_cmp_gt_u32_e32 vcc, s81, v18
	s_mov_b64 s[16:17], 0
	v_mov_b32_e32 v18, 0
	v_mov_b32_e32 v19, 0
	;; [unrolled: 1-line block ×18, first 2 shown]
                                        ; implicit-def: $sgpr4_sgpr5
                                        ; implicit-def: $vgpr36
	s_and_saveexec_b64 s[14:15], vcc
	s_cbranch_execz .LBB347_117
; %bb.82:
	v_cmp_ne_u16_sdwa s[4:5], v15, v15 src0_sel:DWORD src1_sel:WORD_1
	v_and_b32_e32 v2, 0xffff, v3
	v_add_u32_e32 v14, 4, v40
	v_cndmask_b32_e64 v18, 0, 1, s[4:5]
	v_lshl_or_b32 v18, v18, 16, v2
	v_cmp_gt_u32_e32 vcc, s81, v14
	s_mov_b64 s[18:19], 0
	v_mov_b32_e32 v19, 0
	v_mov_b32_e32 v20, 0
	;; [unrolled: 1-line block ×17, first 2 shown]
                                        ; implicit-def: $sgpr4_sgpr5
                                        ; implicit-def: $vgpr36
	s_and_saveexec_b64 s[16:17], vcc
	s_cbranch_execz .LBB347_116
; %bb.83:
	v_cmp_ne_u16_sdwa s[4:5], v15, v12 src0_sel:WORD_1 src1_sel:DWORD
	v_add_u32_e32 v2, 5, v40
	v_cndmask_b32_e64 v14, 0, 1, s[4:5]
	v_alignbit_b32 v19, v14, v3, 16
	v_cmp_gt_u32_e32 vcc, s81, v2
	s_mov_b64 s[20:21], 0
	v_mov_b32_e32 v20, 0
	v_mov_b32_e32 v21, 0
	v_mov_b32_e32 v22, 0
	v_mov_b32_e32 v23, 0
	v_mov_b32_e32 v24, 0
	v_mov_b32_e32 v25, 0
	v_mov_b32_e32 v26, 0
	v_mov_b32_e32 v27, 0
	v_mov_b32_e32 v28, 0
	v_mov_b32_e32 v29, 0
	v_mov_b32_e32 v30, 0
	v_mov_b32_e32 v31, 0
	v_mov_b32_e32 v32, 0
	v_mov_b32_e32 v33, 0
	v_mov_b32_e32 v34, 0
	v_mov_b32_e32 v35, 0
                                        ; implicit-def: $sgpr4_sgpr5
                                        ; implicit-def: $vgpr36
	s_and_saveexec_b64 s[18:19], vcc
	s_cbranch_execz .LBB347_115
; %bb.84:
	v_cmp_ne_u16_sdwa s[4:5], v12, v12 src0_sel:DWORD src1_sel:WORD_1
	v_and_b32_e32 v2, 0xffff, v4
	v_add_u32_e32 v3, 6, v40
	v_cndmask_b32_e64 v14, 0, 1, s[4:5]
	v_lshl_or_b32 v20, v14, 16, v2
	v_cmp_gt_u32_e32 vcc, s81, v3
	s_mov_b64 s[22:23], 0
	v_mov_b32_e32 v21, 0
	v_mov_b32_e32 v22, 0
	;; [unrolled: 1-line block ×15, first 2 shown]
                                        ; implicit-def: $sgpr4_sgpr5
                                        ; implicit-def: $vgpr36
	s_and_saveexec_b64 s[20:21], vcc
	s_cbranch_execz .LBB347_114
; %bb.85:
	v_cmp_ne_u16_sdwa s[4:5], v12, v13 src0_sel:WORD_1 src1_sel:DWORD
	v_add_u32_e32 v2, 7, v40
	v_cndmask_b32_e64 v3, 0, 1, s[4:5]
	v_alignbit_b32 v21, v3, v4, 16
	v_cmp_gt_u32_e32 vcc, s81, v2
	s_mov_b64 s[24:25], 0
	v_mov_b32_e32 v22, 0
	v_mov_b32_e32 v23, 0
	;; [unrolled: 1-line block ×14, first 2 shown]
                                        ; implicit-def: $sgpr4_sgpr5
                                        ; implicit-def: $vgpr36
	s_and_saveexec_b64 s[22:23], vcc
	s_cbranch_execz .LBB347_113
; %bb.86:
	v_cmp_ne_u16_sdwa s[4:5], v13, v13 src0_sel:DWORD src1_sel:WORD_1
	v_and_b32_e32 v2, 0xffff, v5
	v_add_u32_e32 v3, 8, v40
	v_cndmask_b32_e64 v4, 0, 1, s[4:5]
	v_lshl_or_b32 v22, v4, 16, v2
	v_cmp_gt_u32_e32 vcc, s81, v3
	s_mov_b64 s[26:27], 0
	v_mov_b32_e32 v23, 0
	v_mov_b32_e32 v24, 0
	;; [unrolled: 1-line block ×13, first 2 shown]
                                        ; implicit-def: $sgpr4_sgpr5
                                        ; implicit-def: $vgpr36
	s_and_saveexec_b64 s[24:25], vcc
	s_cbranch_execz .LBB347_112
; %bb.87:
	v_cmp_ne_u16_sdwa s[4:5], v13, v10 src0_sel:WORD_1 src1_sel:DWORD
	v_add_u32_e32 v2, 9, v40
	v_cndmask_b32_e64 v3, 0, 1, s[4:5]
	v_alignbit_b32 v23, v3, v5, 16
	v_cmp_gt_u32_e32 vcc, s81, v2
	s_mov_b64 s[28:29], 0
	v_mov_b32_e32 v24, 0
	v_mov_b32_e32 v25, 0
	v_mov_b32_e32 v26, 0
	v_mov_b32_e32 v27, 0
	v_mov_b32_e32 v28, 0
	v_mov_b32_e32 v29, 0
	v_mov_b32_e32 v30, 0
	v_mov_b32_e32 v31, 0
	v_mov_b32_e32 v32, 0
	v_mov_b32_e32 v33, 0
	v_mov_b32_e32 v34, 0
	v_mov_b32_e32 v35, 0
                                        ; implicit-def: $sgpr4_sgpr5
                                        ; implicit-def: $vgpr36
	s_and_saveexec_b64 s[26:27], vcc
	s_cbranch_execz .LBB347_111
; %bb.88:
	ds_read_b128 v[2:5], v37 offset:18
	v_add_u32_e32 v12, 10, v40
	v_cmp_ne_u16_sdwa s[4:5], v10, v10 src0_sel:DWORD src1_sel:WORD_1
	v_cndmask_b32_e64 v13, 0, 1, s[4:5]
	v_cmp_gt_u32_e32 vcc, s81, v12
	s_waitcnt lgkmcnt(0)
	v_and_b32_e32 v12, 0xffff, v2
	v_lshl_or_b32 v24, v13, 16, v12
	s_mov_b64 s[30:31], 0
	v_mov_b32_e32 v25, 0
	v_mov_b32_e32 v26, 0
	;; [unrolled: 1-line block ×11, first 2 shown]
                                        ; implicit-def: $sgpr4_sgpr5
                                        ; implicit-def: $vgpr36
	s_and_saveexec_b64 s[28:29], vcc
	s_cbranch_execz .LBB347_110
; %bb.89:
	v_cmp_ne_u16_sdwa s[4:5], v10, v11 src0_sel:WORD_1 src1_sel:DWORD
	v_add_u32_e32 v12, 11, v40
	v_cndmask_b32_e64 v10, 0, 1, s[4:5]
	v_alignbit_b32 v25, v10, v2, 16
	v_cmp_gt_u32_e32 vcc, s81, v12
	s_mov_b64 s[34:35], 0
	v_mov_b32_e32 v26, 0
	v_mov_b32_e32 v27, 0
	;; [unrolled: 1-line block ×10, first 2 shown]
                                        ; implicit-def: $sgpr4_sgpr5
                                        ; implicit-def: $vgpr36
	s_and_saveexec_b64 s[30:31], vcc
	s_cbranch_execz .LBB347_109
; %bb.90:
	v_cmp_ne_u16_sdwa s[4:5], v11, v11 src0_sel:DWORD src1_sel:WORD_1
	v_and_b32_e32 v2, 0xffff, v3
	v_add_u32_e32 v10, 12, v40
	v_cndmask_b32_e64 v12, 0, 1, s[4:5]
	v_lshl_or_b32 v26, v12, 16, v2
	v_cmp_gt_u32_e32 vcc, s81, v10
	s_mov_b64 s[36:37], 0
	v_mov_b32_e32 v27, 0
	v_mov_b32_e32 v28, 0
	;; [unrolled: 1-line block ×9, first 2 shown]
                                        ; implicit-def: $sgpr4_sgpr5
                                        ; implicit-def: $vgpr36
	s_and_saveexec_b64 s[34:35], vcc
	s_cbranch_execz .LBB347_108
; %bb.91:
	v_cmp_ne_u16_sdwa s[4:5], v11, v8 src0_sel:WORD_1 src1_sel:DWORD
	v_add_u32_e32 v2, 13, v40
	v_cndmask_b32_e64 v10, 0, 1, s[4:5]
	v_alignbit_b32 v27, v10, v3, 16
	v_cmp_gt_u32_e32 vcc, s81, v2
	s_mov_b64 s[38:39], 0
	v_mov_b32_e32 v28, 0
	v_mov_b32_e32 v29, 0
	v_mov_b32_e32 v30, 0
	v_mov_b32_e32 v31, 0
	v_mov_b32_e32 v32, 0
	v_mov_b32_e32 v33, 0
	v_mov_b32_e32 v34, 0
	v_mov_b32_e32 v35, 0
                                        ; implicit-def: $sgpr4_sgpr5
                                        ; implicit-def: $vgpr36
	s_and_saveexec_b64 s[36:37], vcc
	s_cbranch_execz .LBB347_107
; %bb.92:
	v_cmp_ne_u16_sdwa s[4:5], v8, v8 src0_sel:DWORD src1_sel:WORD_1
	v_and_b32_e32 v2, 0xffff, v4
	v_add_u32_e32 v3, 14, v40
	v_cndmask_b32_e64 v10, 0, 1, s[4:5]
	v_lshl_or_b32 v28, v10, 16, v2
	v_cmp_gt_u32_e32 vcc, s81, v3
	s_mov_b64 s[40:41], 0
	v_mov_b32_e32 v29, 0
	v_mov_b32_e32 v30, 0
	;; [unrolled: 1-line block ×7, first 2 shown]
                                        ; implicit-def: $sgpr4_sgpr5
                                        ; implicit-def: $vgpr36
	s_and_saveexec_b64 s[38:39], vcc
	s_cbranch_execz .LBB347_106
; %bb.93:
	v_cmp_ne_u16_sdwa s[4:5], v8, v9 src0_sel:WORD_1 src1_sel:DWORD
	v_add_u32_e32 v2, 15, v40
	v_cndmask_b32_e64 v3, 0, 1, s[4:5]
	v_alignbit_b32 v29, v3, v4, 16
	v_cmp_gt_u32_e32 vcc, s81, v2
	s_mov_b64 s[42:43], 0
	v_mov_b32_e32 v30, 0
	v_mov_b32_e32 v31, 0
	;; [unrolled: 1-line block ×6, first 2 shown]
                                        ; implicit-def: $sgpr4_sgpr5
                                        ; implicit-def: $vgpr36
	s_and_saveexec_b64 s[40:41], vcc
	s_cbranch_execz .LBB347_105
; %bb.94:
	v_cmp_ne_u16_sdwa s[4:5], v9, v9 src0_sel:DWORD src1_sel:WORD_1
	v_and_b32_e32 v2, 0xffff, v5
	v_add_u32_e32 v3, 16, v40
	v_cndmask_b32_e64 v4, 0, 1, s[4:5]
	v_lshl_or_b32 v30, v4, 16, v2
	v_cmp_gt_u32_e32 vcc, s81, v3
	s_mov_b64 s[44:45], 0
	v_mov_b32_e32 v31, 0
	v_mov_b32_e32 v32, 0
	;; [unrolled: 1-line block ×5, first 2 shown]
                                        ; implicit-def: $sgpr4_sgpr5
                                        ; implicit-def: $vgpr36
	s_and_saveexec_b64 s[42:43], vcc
	s_cbranch_execz .LBB347_104
; %bb.95:
	v_cmp_ne_u16_sdwa s[4:5], v9, v6 src0_sel:WORD_1 src1_sel:DWORD
	v_add_u32_e32 v2, 17, v40
	v_cndmask_b32_e64 v3, 0, 1, s[4:5]
	v_alignbit_b32 v31, v3, v5, 16
	v_cmp_gt_u32_e32 vcc, s81, v2
	s_mov_b64 s[46:47], 0
	v_mov_b32_e32 v32, 0
	v_mov_b32_e32 v33, 0
	;; [unrolled: 1-line block ×4, first 2 shown]
                                        ; implicit-def: $sgpr4_sgpr5
                                        ; implicit-def: $vgpr36
	s_and_saveexec_b64 s[44:45], vcc
	s_cbranch_execz .LBB347_103
; %bb.96:
	ds_read_b64 v[2:3], v37 offset:34
	v_add_u32_e32 v4, 18, v40
	v_cmp_ne_u16_sdwa s[4:5], v6, v6 src0_sel:DWORD src1_sel:WORD_1
	v_cndmask_b32_e64 v5, 0, 1, s[4:5]
	v_cmp_gt_u32_e32 vcc, s81, v4
	s_waitcnt lgkmcnt(0)
	v_and_b32_e32 v4, 0xffff, v2
	v_lshl_or_b32 v32, v5, 16, v4
	s_mov_b64 s[48:49], 0
	v_mov_b32_e32 v33, 0
	v_mov_b32_e32 v34, 0
	;; [unrolled: 1-line block ×3, first 2 shown]
                                        ; implicit-def: $sgpr4_sgpr5
                                        ; implicit-def: $vgpr36
	s_and_saveexec_b64 s[46:47], vcc
	s_cbranch_execz .LBB347_102
; %bb.97:
	v_cmp_ne_u16_sdwa s[4:5], v6, v7 src0_sel:WORD_1 src1_sel:DWORD
	v_add_u32_e32 v4, 19, v40
	v_cndmask_b32_e64 v5, 0, 1, s[4:5]
	v_alignbit_b32 v33, v5, v2, 16
	v_cmp_gt_u32_e32 vcc, s81, v4
	s_mov_b64 s[50:51], 0
	v_mov_b32_e32 v34, 0
	v_mov_b32_e32 v35, 0
                                        ; implicit-def: $sgpr64_sgpr65
                                        ; implicit-def: $vgpr36
	s_and_saveexec_b64 s[48:49], vcc
	s_cbranch_execz .LBB347_101
; %bb.98:
	v_cmp_ne_u16_sdwa s[4:5], v7, v7 src0_sel:DWORD src1_sel:WORD_1
	v_and_b32_e32 v2, 0xffff, v3
	v_add_u32_e32 v4, 20, v40
	v_cndmask_b32_e64 v5, 0, 1, s[4:5]
	v_lshl_or_b32 v34, v5, 16, v2
	v_cmp_gt_u32_e32 vcc, s81, v4
	s_mov_b64 s[4:5], 0
	v_mov_b32_e32 v35, 0
                                        ; implicit-def: $sgpr50_sgpr51
                                        ; implicit-def: $vgpr36
	s_and_saveexec_b64 s[64:65], vcc
	s_xor_b64 s[64:65], exec, s[64:65]
	s_cbranch_execz .LBB347_100
; %bb.99:
	ds_read_u16 v36, v37 offset:42
	v_add_u32_e32 v2, 21, v40
	v_cmp_ne_u16_sdwa s[4:5], v7, v38 src0_sel:WORD_1 src1_sel:DWORD
	v_cmp_ne_u16_e32 vcc, v38, v39
	v_cndmask_b32_e64 v4, 0, 1, s[4:5]
	v_cmp_gt_u32_e64 s[4:5], s81, v2
	v_alignbit_b32 v35, v4, v3, 16
	s_and_b64 s[50:51], vcc, exec
	s_and_b64 s[4:5], s[4:5], exec
.LBB347_100:
	s_or_b64 exec, exec, s[64:65]
	s_and_b64 s[64:65], s[50:51], exec
	s_and_b64 s[50:51], s[4:5], exec
.LBB347_101:
	s_or_b64 exec, exec, s[48:49]
	s_and_b64 s[4:5], s[64:65], exec
	s_and_b64 s[48:49], s[50:51], exec
.LBB347_102:
	s_or_b64 exec, exec, s[46:47]
	s_and_b64 s[4:5], s[4:5], exec
	s_and_b64 s[46:47], s[48:49], exec
.LBB347_103:
	s_or_b64 exec, exec, s[44:45]
	s_and_b64 s[4:5], s[4:5], exec
	s_and_b64 s[44:45], s[46:47], exec
.LBB347_104:
	s_or_b64 exec, exec, s[42:43]
	s_and_b64 s[4:5], s[4:5], exec
	s_and_b64 s[42:43], s[44:45], exec
.LBB347_105:
	s_or_b64 exec, exec, s[40:41]
	s_and_b64 s[4:5], s[4:5], exec
	s_and_b64 s[40:41], s[42:43], exec
.LBB347_106:
	s_or_b64 exec, exec, s[38:39]
	s_and_b64 s[4:5], s[4:5], exec
	s_and_b64 s[38:39], s[40:41], exec
.LBB347_107:
	s_or_b64 exec, exec, s[36:37]
	s_and_b64 s[4:5], s[4:5], exec
	s_and_b64 s[36:37], s[38:39], exec
.LBB347_108:
	s_or_b64 exec, exec, s[34:35]
	s_and_b64 s[4:5], s[4:5], exec
	s_and_b64 s[34:35], s[36:37], exec
.LBB347_109:
	s_or_b64 exec, exec, s[30:31]
	s_and_b64 s[4:5], s[4:5], exec
	s_and_b64 s[30:31], s[34:35], exec
.LBB347_110:
	s_or_b64 exec, exec, s[28:29]
	s_and_b64 s[4:5], s[4:5], exec
	s_and_b64 s[28:29], s[30:31], exec
.LBB347_111:
	s_or_b64 exec, exec, s[26:27]
	s_and_b64 s[4:5], s[4:5], exec
	s_and_b64 s[26:27], s[28:29], exec
.LBB347_112:
	s_or_b64 exec, exec, s[24:25]
	s_and_b64 s[4:5], s[4:5], exec
	s_and_b64 s[24:25], s[26:27], exec
.LBB347_113:
	s_or_b64 exec, exec, s[22:23]
	s_and_b64 s[4:5], s[4:5], exec
	s_and_b64 s[22:23], s[24:25], exec
.LBB347_114:
	s_or_b64 exec, exec, s[20:21]
	s_and_b64 s[4:5], s[4:5], exec
	s_and_b64 s[20:21], s[22:23], exec
.LBB347_115:
	s_or_b64 exec, exec, s[18:19]
	s_and_b64 s[4:5], s[4:5], exec
	s_and_b64 s[18:19], s[20:21], exec
.LBB347_116:
	s_or_b64 exec, exec, s[16:17]
	s_and_b64 s[4:5], s[4:5], exec
	s_and_b64 s[16:17], s[18:19], exec
.LBB347_117:
	s_or_b64 exec, exec, s[14:15]
	s_and_b64 s[4:5], s[4:5], exec
	s_and_b64 s[14:15], s[16:17], exec
.LBB347_118:
	s_or_b64 exec, exec, s[12:13]
	s_and_b64 s[4:5], s[4:5], exec
	s_and_b64 s[12:13], s[14:15], exec
.LBB347_119:
	s_or_b64 exec, exec, s[10:11]
	s_and_b64 s[4:5], s[4:5], exec
	s_and_b64 s[10:11], s[12:13], exec
.LBB347_120:
	s_or_b64 exec, exec, s[8:9]
	s_and_b64 vcc, exec, s[6:7]
	v_lshlrev_b32_e32 v12, 1, v0
	s_cbranch_vccnz .LBB347_122
	s_branch .LBB347_130
.LBB347_121:
                                        ; implicit-def: $sgpr4_sgpr5
                                        ; implicit-def: $vgpr36
                                        ; implicit-def: $vgpr1
                                        ; implicit-def: $vgpr16
                                        ; implicit-def: $vgpr17
                                        ; implicit-def: $vgpr18
                                        ; implicit-def: $vgpr19
                                        ; implicit-def: $vgpr20
                                        ; implicit-def: $vgpr21
                                        ; implicit-def: $vgpr22
                                        ; implicit-def: $vgpr23
                                        ; implicit-def: $vgpr24
                                        ; implicit-def: $vgpr25
                                        ; implicit-def: $vgpr26
                                        ; implicit-def: $vgpr27
                                        ; implicit-def: $vgpr28
                                        ; implicit-def: $vgpr29
                                        ; implicit-def: $vgpr30
                                        ; implicit-def: $vgpr31
                                        ; implicit-def: $vgpr32
                                        ; implicit-def: $vgpr33
                                        ; implicit-def: $vgpr34
                                        ; implicit-def: $vgpr35
                                        ; implicit-def: $sgpr80
	s_and_b64 vcc, exec, s[6:7]
	v_lshlrev_b32_e32 v12, 1, v0
	s_cbranch_vccz .LBB347_130
.LBB347_122:
	v_mov_b32_e32 v1, s59
	v_add_co_u32_e32 v2, vcc, s58, v12
	v_addc_co_u32_e32 v3, vcc, 0, v1, vcc
	v_add_co_u32_e32 v4, vcc, 0x1000, v2
	v_addc_co_u32_e32 v5, vcc, 0, v3, vcc
	flat_load_ushort v6, v[2:3]
	flat_load_ushort v7, v[2:3] offset:512
	flat_load_ushort v8, v[2:3] offset:1024
	;; [unrolled: 1-line block ×7, first 2 shown]
	v_add_co_u32_e32 v2, vcc, 0x2000, v2
	v_addc_co_u32_e32 v3, vcc, 0, v3, vcc
	flat_load_ushort v15, v[4:5]
	flat_load_ushort v16, v[4:5] offset:512
	flat_load_ushort v17, v[4:5] offset:1024
	;; [unrolled: 1-line block ×7, first 2 shown]
	s_nop 0
	flat_load_ushort v4, v[2:3]
	flat_load_ushort v5, v[2:3] offset:512
	flat_load_ushort v23, v[2:3] offset:1024
	flat_load_ushort v24, v[2:3] offset:1536
	flat_load_ushort v25, v[2:3] offset:2048
	flat_load_ushort v26, v[2:3] offset:2560
	v_mad_u32_u24 v1, v0, 42, v12
	s_cmp_eq_u64 s[68:69], 0
	s_waitcnt vmcnt(0) lgkmcnt(0)
	ds_write_b16 v12, v6
	ds_write_b16 v12, v7 offset:512
	ds_write_b16 v12, v8 offset:1024
	ds_write_b16 v12, v9 offset:1536
	ds_write_b16 v12, v10 offset:2048
	ds_write_b16 v12, v11 offset:2560
	ds_write_b16 v12, v13 offset:3072
	ds_write_b16 v12, v14 offset:3584
	ds_write_b16 v12, v15 offset:4096
	ds_write_b16 v12, v16 offset:4608
	ds_write_b16 v12, v17 offset:5120
	ds_write_b16 v12, v18 offset:5632
	ds_write_b16 v12, v19 offset:6144
	ds_write_b16 v12, v20 offset:6656
	ds_write_b16 v12, v21 offset:7168
	ds_write_b16 v12, v22 offset:7680
	ds_write_b16 v12, v4 offset:8192
	ds_write_b16 v12, v5 offset:8704
	ds_write_b16 v12, v23 offset:9216
	ds_write_b16 v12, v24 offset:9728
	ds_write_b16 v12, v25 offset:10240
	ds_write_b16 v12, v26 offset:10752
	s_waitcnt lgkmcnt(0)
	s_barrier
	ds_read2_b32 v[10:11], v1 offset1:1
	ds_read2_b32 v[8:9], v1 offset0:2 offset1:3
	ds_read2_b32 v[6:7], v1 offset0:4 offset1:5
	;; [unrolled: 1-line block ×4, first 2 shown]
	ds_read_b32 v13, v1 offset:40
	s_cbranch_scc1 .LBB347_127
; %bb.123:
	s_andn2_b64 vcc, exec, s[60:61]
	s_cbranch_vccnz .LBB347_288
; %bb.124:
	s_lshl_b64 s[4:5], s[68:69], 1
	s_add_u32 s4, s70, s4
	s_addc_u32 s5, s71, s5
	s_add_u32 s4, s4, -2
	s_addc_u32 s5, s5, -1
	s_cbranch_execnz .LBB347_126
.LBB347_125:
	s_add_u32 s4, s58, -2
	s_addc_u32 s5, s59, -1
.LBB347_126:
	s_mov_b64 s[58:59], s[4:5]
.LBB347_127:
	v_pk_mov_b32 v[14:15], s[58:59], s[58:59] op_sel:[0,1]
	flat_load_ushort v15, v[14:15]
	s_movk_i32 s4, 0xffd6
	s_waitcnt lgkmcnt(0)
	v_lshrrev_b32_e32 v14, 16, v13
	v_mad_i32_i24 v16, v0, s4, v1
	ds_write_b16 v16, v14 offset:11264
	s_waitcnt lgkmcnt(0)
	s_barrier
	s_and_saveexec_b64 s[4:5], s[52:53]
	s_cbranch_execz .LBB347_129
; %bb.128:
	s_waitcnt vmcnt(0)
	v_mul_i32_i24_e32 v15, 0xffffffd6, v0
	v_add_u32_e32 v15, v1, v15
	ds_read_u16 v15, v15 offset:11262
.LBB347_129:
	s_or_b64 exec, exec, s[4:5]
	v_mov_b32_e32 v17, s79
	v_add_co_u32_e32 v16, vcc, s78, v12
	v_addc_co_u32_e32 v17, vcc, 0, v17, vcc
	s_movk_i32 s4, 0x1000
	v_add_co_u32_e32 v18, vcc, s4, v16
	v_addc_co_u32_e32 v19, vcc, 0, v17, vcc
	s_movk_i32 s4, 0x2000
	s_waitcnt lgkmcnt(0)
	s_barrier
	flat_load_ushort v20, v[16:17]
	flat_load_ushort v21, v[16:17] offset:512
	flat_load_ushort v22, v[16:17] offset:1024
	;; [unrolled: 1-line block ×7, first 2 shown]
	v_add_co_u32_e32 v16, vcc, s4, v16
	v_addc_co_u32_e32 v17, vcc, 0, v17, vcc
	flat_load_ushort v28, v[18:19]
	flat_load_ushort v29, v[18:19] offset:512
	flat_load_ushort v30, v[18:19] offset:1024
	;; [unrolled: 1-line block ×7, first 2 shown]
	s_nop 0
	flat_load_ushort v18, v[16:17]
	flat_load_ushort v19, v[16:17] offset:512
	flat_load_ushort v36, v[16:17] offset:1024
	;; [unrolled: 1-line block ×5, first 2 shown]
	v_cmp_ne_u16_sdwa s[6:7], v10, v10 src0_sel:DWORD src1_sel:WORD_1
	v_cndmask_b32_e64 v16, 0, 1, s[6:7]
	v_cmp_ne_u16_sdwa s[6:7], v10, v11 src0_sel:WORD_1 src1_sel:DWORD
	v_cndmask_b32_e64 v40, 0, 1, s[6:7]
	v_cmp_ne_u16_sdwa s[6:7], v11, v11 src0_sel:DWORD src1_sel:WORD_1
	v_cmp_ne_u16_e64 s[4:5], v13, v14
	s_waitcnt vmcnt(0)
	v_cmp_ne_u16_e32 vcc, v15, v10
	v_cndmask_b32_e64 v41, 0, 1, s[6:7]
	v_cmp_ne_u16_sdwa s[6:7], v11, v8 src0_sel:WORD_1 src1_sel:DWORD
	v_cndmask_b32_e64 v17, 0, 1, vcc
	v_cndmask_b32_e64 v42, 0, 1, s[6:7]
	v_cmp_ne_u16_sdwa s[6:7], v8, v8 src0_sel:DWORD src1_sel:WORD_1
	s_mov_b64 s[10:11], -1
                                        ; implicit-def: $sgpr80
	s_waitcnt lgkmcnt(0)
	ds_write_b16 v12, v20
	ds_write_b16 v12, v21 offset:512
	ds_write_b16 v12, v22 offset:1024
	;; [unrolled: 1-line block ×21, first 2 shown]
	s_waitcnt lgkmcnt(0)
	s_barrier
	ds_read2_b32 v[10:11], v1 offset0:8 offset1:9
	ds_read_b32 v35, v1 offset:40
	ds_read2_b32 v[14:15], v1 offset1:1
	ds_read2_b32 v[22:23], v1 offset0:2 offset1:3
	ds_read2_b32 v[26:27], v1 offset0:4 offset1:5
	;; [unrolled: 1-line block ×3, first 2 shown]
	s_waitcnt lgkmcnt(4)
	v_lshrrev_b32_e32 v36, 16, v35
	s_waitcnt lgkmcnt(3)
	v_and_b32_e32 v1, 0xffff, v14
	v_alignbit_b32 v16, v16, v14, 16
	v_and_b32_e32 v14, 0xffff, v15
	v_lshl_or_b32 v1, v17, 16, v1
	v_lshl_or_b32 v17, v40, 16, v14
	v_cndmask_b32_e64 v14, 0, 1, s[6:7]
	v_cmp_ne_u16_sdwa s[6:7], v8, v9 src0_sel:WORD_1 src1_sel:DWORD
	s_waitcnt lgkmcnt(2)
	v_alignbit_b32 v20, v14, v22, 16
	v_and_b32_e32 v14, 0xffff, v23
	v_cndmask_b32_e64 v8, 0, 1, s[6:7]
	v_cmp_ne_u16_sdwa s[6:7], v9, v9 src0_sel:DWORD src1_sel:WORD_1
	v_lshl_or_b32 v21, v8, 16, v14
	v_cndmask_b32_e64 v8, 0, 1, s[6:7]
	v_cmp_ne_u16_sdwa s[6:7], v9, v6 src0_sel:WORD_1 src1_sel:DWORD
	v_alignbit_b32 v18, v41, v15, 16
	v_and_b32_e32 v15, 0xffff, v22
	v_alignbit_b32 v22, v8, v23, 16
	s_waitcnt lgkmcnt(1)
	v_and_b32_e32 v8, 0xffff, v26
	v_cndmask_b32_e64 v9, 0, 1, s[6:7]
	v_cmp_ne_u16_sdwa s[6:7], v6, v6 src0_sel:DWORD src1_sel:WORD_1
	v_lshl_or_b32 v23, v9, 16, v8
	v_cndmask_b32_e64 v8, 0, 1, s[6:7]
	v_cmp_ne_u16_sdwa s[6:7], v6, v7 src0_sel:WORD_1 src1_sel:DWORD
	v_alignbit_b32 v24, v8, v26, 16
	v_and_b32_e32 v8, 0xffff, v27
	v_cndmask_b32_e64 v6, 0, 1, s[6:7]
	v_cmp_ne_u16_sdwa s[6:7], v7, v7 src0_sel:DWORD src1_sel:WORD_1
	v_lshl_or_b32 v25, v6, 16, v8
	v_cndmask_b32_e64 v6, 0, 1, s[6:7]
	v_cmp_ne_u16_sdwa s[6:7], v7, v4 src0_sel:WORD_1 src1_sel:DWORD
	v_alignbit_b32 v26, v6, v27, 16
	s_waitcnt lgkmcnt(0)
	v_and_b32_e32 v6, 0xffff, v30
	v_cndmask_b32_e64 v7, 0, 1, s[6:7]
	v_cmp_ne_u16_sdwa s[6:7], v4, v4 src0_sel:DWORD src1_sel:WORD_1
	v_lshl_or_b32 v27, v7, 16, v6
	v_cndmask_b32_e64 v6, 0, 1, s[6:7]
	v_cmp_ne_u16_sdwa s[6:7], v4, v5 src0_sel:WORD_1 src1_sel:DWORD
	v_alignbit_b32 v28, v6, v30, 16
	v_and_b32_e32 v6, 0xffff, v31
	v_cndmask_b32_e64 v4, 0, 1, s[6:7]
	v_cmp_ne_u16_sdwa s[6:7], v5, v5 src0_sel:DWORD src1_sel:WORD_1
	v_lshl_or_b32 v29, v4, 16, v6
	v_cndmask_b32_e64 v4, 0, 1, s[6:7]
	v_cmp_ne_u16_sdwa s[6:7], v5, v2 src0_sel:WORD_1 src1_sel:DWORD
	v_alignbit_b32 v30, v4, v31, 16
	;; [unrolled: 7-line block ×4, first 2 shown]
	v_and_b32_e32 v2, 0xffff, v35
	v_cndmask_b32_e64 v3, 0, 1, s[6:7]
	v_lshl_or_b32 v19, v42, 16, v15
	v_lshl_or_b32 v35, v3, 16, v2
.LBB347_130:
	v_mov_b32_e32 v13, s80
	s_and_saveexec_b64 s[6:7], s[10:11]
	s_cbranch_execz .LBB347_132
; %bb.131:
	v_mov_b32_e32 v2, 0x10000
	v_cndmask_b32_e64 v2, 0, v2, s[4:5]
	s_waitcnt lgkmcnt(0)
	v_or_b32_sdwa v13, v2, v36 dst_sel:DWORD dst_unused:UNUSED_PAD src0_sel:DWORD src1_sel:WORD_0
.LBB347_132:
	s_or_b64 exec, exec, s[6:7]
	v_or3_b32 v2, v13, v35, v34
	s_cmp_lg_u32 s75, 0
	v_or3_b32 v15, v2, v33, v32
	v_lshrrev_b32_e32 v14, 5, v0
	v_cmp_gt_u32_e32 vcc, 64, v0
	s_waitcnt lgkmcnt(0)
	s_barrier
	s_cbranch_scc0 .LBB347_193
; %bb.133:
	s_mov_b32 s4, 0x10000
	v_cmp_gt_u32_e64 s[6:7], s4, v16
	v_cndmask_b32_e64 v2, 0, v1, s[6:7]
	v_add_u16_e32 v2, v2, v16
	v_cmp_gt_u32_e64 s[8:9], s4, v17
	v_cndmask_b32_e64 v2, 0, v2, s[8:9]
	v_add_u16_e32 v2, v2, v17
	;; [unrolled: 3-line block ×21, first 2 shown]
	v_or3_b32 v2, v15, v31, v30
	v_or3_b32 v2, v2, v29, v28
	;; [unrolled: 1-line block ×8, first 2 shown]
	v_and_b32_e32 v2, 0x10000, v2
	v_lshrrev_b32_e32 v36, 16, v1
	v_cmp_ne_u32_e64 s[4:5], 0, v2
	v_mov_b32_e32 v5, 0x10000
	v_cndmask_b32_e64 v38, v36, 1, s[4:5]
	v_add_lshl_u32 v2, v14, v0, 2
	ds_write_b16 v2, v37
	ds_write_b8 v2, v38 offset:2
	s_waitcnt lgkmcnt(0)
	s_barrier
	s_and_saveexec_b64 s[50:51], vcc
	s_cbranch_execz .LBB347_147
; %bb.134:
	v_lshlrev_b32_e32 v2, 2, v0
	v_lshrrev_b32_e32 v3, 3, v0
	v_add_lshl_u32 v2, v3, v2, 2
	ds_read_b32 v3, v2
	ds_read_u16 v4, v2 offset:4
	ds_read_u8 v6, v2 offset:6
	ds_read_u16 v7, v2 offset:8
	ds_read_u8 v8, v2 offset:10
	;; [unrolled: 2-line block ×3, first 2 shown]
	v_mov_b32_e32 v11, 0
	s_waitcnt lgkmcnt(4)
	v_cmp_eq_u16_sdwa s[4:5], v6, v11 src0_sel:BYTE_0 src1_sel:DWORD
	v_cndmask_b32_e64 v39, 0, v3, s[4:5]
	v_add_u16_e32 v39, v39, v4
	s_waitcnt lgkmcnt(2)
	v_cmp_eq_u16_sdwa s[4:5], v8, v11 src0_sel:BYTE_0 src1_sel:DWORD
	s_waitcnt lgkmcnt(0)
	v_or_b32_e32 v8, v10, v8
	v_cndmask_b32_e64 v11, 0, v39, s[4:5]
	v_or_b32_e32 v6, v8, v6
	v_add_u16_e32 v7, v11, v7
	v_cmp_eq_u16_e64 s[4:5], 0, v10
	v_and_b32_e32 v6, 1, v6
	v_and_b32_e32 v4, 0x10000, v3
	v_cndmask_b32_e64 v11, 0, v7, s[4:5]
	v_cmp_eq_u32_e64 s[4:5], 1, v6
	v_mbcnt_lo_u32_b32 v6, -1, 0
	v_add_u16_e32 v7, v11, v9
	v_cndmask_b32_e64 v39, v4, v5, s[4:5]
	v_add_u16_e32 v9, v11, v9
	v_and_b32_e32 v5, 0xff000000, v3
	v_mbcnt_hi_u32_b32 v6, -1, v6
	v_or_b32_e32 v10, v39, v5
	v_and_b32_e32 v11, 15, v6
	v_or3_b32 v9, v5, v9, v39
	s_movk_i32 s60, 0xff
	v_lshrrev_b32_e32 v8, 16, v10
	v_mov_b32_dpp v39, v9 row_shr:1 row_mask:0xf bank_mask:0xf
	v_cmp_ne_u32_e64 s[4:5], 0, v11
	s_and_saveexec_b64 s[58:59], s[4:5]
	s_cbranch_execz .LBB347_136
; %bb.135:
	v_and_b32_sdwa v8, v10, s60 dst_sel:DWORD dst_unused:UNUSED_PAD src0_sel:WORD_1 src1_sel:DWORD
	v_cmp_eq_u16_e64 s[4:5], 0, v8
	v_and_b32_e32 v8, 0x10000, v10
	v_mov_b32_e32 v10, 1
	v_cndmask_b32_e64 v9, 0, v39, s[4:5]
	v_and_b32_sdwa v10, v39, v10 dst_sel:DWORD dst_unused:UNUSED_PAD src0_sel:WORD_1 src1_sel:DWORD
	v_cmp_ne_u32_e64 s[4:5], 0, v8
	v_cndmask_b32_e64 v8, v10, 1, s[4:5]
	v_add_u16_e32 v40, v9, v7
	v_lshlrev_b32_e32 v10, 16, v8
	v_add_u16_e32 v7, v9, v7
	v_or3_b32 v9, v10, v7, v5
	v_mov_b32_e32 v7, v40
.LBB347_136:
	s_or_b64 exec, exec, s[58:59]
	v_lshrrev_b32_e32 v10, 16, v9
	v_mov_b32_dpp v39, v9 row_shr:2 row_mask:0xf bank_mask:0xf
	v_cmp_lt_u32_e64 s[4:5], 1, v11
	s_and_saveexec_b64 s[58:59], s[4:5]
	s_cbranch_execz .LBB347_138
; %bb.137:
	v_mov_b32_e32 v8, 0
	v_cmp_eq_u16_sdwa s[4:5], v10, v8 src0_sel:BYTE_0 src1_sel:DWORD
	v_and_b32_e32 v8, 0x10000, v9
	v_mov_b32_e32 v9, 1
	v_cndmask_b32_e64 v10, 0, v39, s[4:5]
	v_and_b32_sdwa v9, v39, v9 dst_sel:DWORD dst_unused:UNUSED_PAD src0_sel:WORD_1 src1_sel:DWORD
	v_cmp_ne_u32_e64 s[4:5], 0, v8
	v_cndmask_b32_e64 v8, v9, 1, s[4:5]
	v_add_u16_e32 v40, v10, v7
	v_lshlrev_b32_e32 v9, 16, v8
	v_add_u16_e32 v7, v10, v7
	v_or3_b32 v9, v9, v7, v5
	v_mov_b32_e32 v10, v8
	v_mov_b32_e32 v7, v40
.LBB347_138:
	s_or_b64 exec, exec, s[58:59]
	v_mov_b32_dpp v39, v9 row_shr:4 row_mask:0xf bank_mask:0xf
	v_cmp_lt_u32_e64 s[4:5], 3, v11
	s_and_saveexec_b64 s[58:59], s[4:5]
	s_cbranch_execz .LBB347_140
; %bb.139:
	v_mov_b32_e32 v8, 0
	v_cmp_eq_u16_sdwa s[4:5], v10, v8 src0_sel:BYTE_0 src1_sel:DWORD
	v_and_b32_e32 v8, 1, v10
	v_mov_b32_e32 v10, 1
	v_cndmask_b32_e64 v9, 0, v39, s[4:5]
	v_and_b32_sdwa v10, v39, v10 dst_sel:DWORD dst_unused:UNUSED_PAD src0_sel:WORD_1 src1_sel:DWORD
	v_cmp_eq_u32_e64 s[4:5], 1, v8
	v_cndmask_b32_e64 v8, v10, 1, s[4:5]
	v_add_u16_e32 v40, v9, v7
	v_lshlrev_b32_e32 v10, 16, v8
	v_add_u16_e32 v7, v9, v7
	v_or3_b32 v9, v10, v7, v5
	v_mov_b32_e32 v10, v8
	v_mov_b32_e32 v7, v40
.LBB347_140:
	s_or_b64 exec, exec, s[58:59]
	v_mov_b32_dpp v39, v9 row_shr:8 row_mask:0xf bank_mask:0xf
	v_cmp_lt_u32_e64 s[4:5], 7, v11
	s_and_saveexec_b64 s[58:59], s[4:5]
	s_cbranch_execz .LBB347_142
; %bb.141:
	v_mov_b32_e32 v8, 0
	v_cmp_eq_u16_sdwa s[4:5], v10, v8 src0_sel:BYTE_0 src1_sel:DWORD
	v_and_b32_e32 v8, 1, v10
	v_mov_b32_e32 v10, 1
	v_cndmask_b32_e64 v9, 0, v39, s[4:5]
	v_and_b32_sdwa v10, v39, v10 dst_sel:DWORD dst_unused:UNUSED_PAD src0_sel:WORD_1 src1_sel:DWORD
	v_cmp_eq_u32_e64 s[4:5], 1, v8
	v_cndmask_b32_e64 v8, v10, 1, s[4:5]
	v_add_u16_e32 v11, v9, v7
	v_lshlrev_b32_e32 v10, 16, v8
	v_add_u16_e32 v7, v9, v7
	v_or3_b32 v9, v10, v7, v5
	v_mov_b32_e32 v10, v8
	v_mov_b32_e32 v7, v11
.LBB347_142:
	s_or_b64 exec, exec, s[58:59]
	v_and_b32_e32 v39, 16, v6
	v_mov_b32_dpp v11, v9 row_bcast:15 row_mask:0xf bank_mask:0xf
	v_cmp_ne_u32_e64 s[4:5], 0, v39
	s_and_saveexec_b64 s[58:59], s[4:5]
	s_cbranch_execz .LBB347_144
; %bb.143:
	v_mov_b32_e32 v8, 0
	v_cmp_eq_u16_sdwa s[4:5], v10, v8 src0_sel:BYTE_0 src1_sel:DWORD
	v_and_b32_e32 v8, 1, v10
	v_mov_b32_e32 v10, 1
	v_cndmask_b32_e64 v9, 0, v11, s[4:5]
	v_and_b32_sdwa v10, v11, v10 dst_sel:DWORD dst_unused:UNUSED_PAD src0_sel:WORD_1 src1_sel:DWORD
	v_cmp_eq_u32_e64 s[4:5], 1, v8
	v_cndmask_b32_e64 v8, v10, 1, s[4:5]
	v_add_u16_e32 v39, v9, v7
	v_lshlrev_b32_e32 v10, 16, v8
	v_add_u16_e32 v7, v9, v7
	v_or3_b32 v9, v10, v7, v5
	v_mov_b32_e32 v10, v8
	v_mov_b32_e32 v7, v39
.LBB347_144:
	s_or_b64 exec, exec, s[58:59]
	v_mov_b32_dpp v9, v9 row_bcast:31 row_mask:0xf bank_mask:0xf
	v_cmp_lt_u32_e64 s[4:5], 31, v6
	s_and_saveexec_b64 s[58:59], s[4:5]
; %bb.145:
	v_mov_b32_e32 v8, 0
	v_cmp_eq_u16_sdwa s[4:5], v10, v8 src0_sel:BYTE_0 src1_sel:DWORD
	v_cndmask_b32_e64 v8, 0, v9, s[4:5]
	v_add_u16_e32 v7, v8, v7
	v_and_b32_e32 v8, 1, v10
	v_mov_b32_e32 v10, 1
	v_and_b32_sdwa v9, v9, v10 dst_sel:DWORD dst_unused:UNUSED_PAD src0_sel:WORD_1 src1_sel:DWORD
	v_cmp_eq_u32_e64 s[4:5], 1, v8
	v_cndmask_b32_e64 v8, v9, 1, s[4:5]
; %bb.146:
	s_or_b64 exec, exec, s[58:59]
	v_and_b32_e32 v8, 0xff, v8
	v_lshlrev_b32_e32 v8, 16, v8
	v_and_b32_e32 v7, 0xffff, v7
	v_or3_b32 v5, v8, v7, v5
	v_add_u32_e32 v7, -1, v6
	v_and_b32_e32 v8, 64, v6
	v_cmp_lt_i32_e64 s[4:5], v7, v8
	v_cndmask_b32_e64 v6, v7, v6, s[4:5]
	v_lshlrev_b32_e32 v6, 2, v6
	ds_bpermute_b32 v5, v6, v5
	v_and_b32_e32 v6, 0xff0000, v3
	v_cmp_eq_u32_e64 s[4:5], 0, v6
	; wave barrier
	s_waitcnt lgkmcnt(0)
	v_cndmask_b32_e64 v6, 0, v5, s[4:5]
	v_add_u16_e32 v3, v6, v3
	v_mov_b32_e32 v6, 1
	v_and_b32_sdwa v5, v5, v6 dst_sel:DWORD dst_unused:UNUSED_PAD src0_sel:WORD_1 src1_sel:DWORD
	v_cmp_eq_u32_e64 s[4:5], 0, v4
	v_cndmask_b32_e64 v4, 1, v5, s[4:5]
	v_cndmask_b32_e64 v3, v3, v37, s[0:1]
	;; [unrolled: 1-line block ×3, first 2 shown]
	ds_write_b16 v2, v3
	ds_write_b8 v2, v4 offset:2
	; wave barrier
	ds_read_u16 v5, v2 offset:4
	ds_read_u8 v6, v2 offset:6
	ds_read_u16 v7, v2 offset:8
	ds_read_u8 v8, v2 offset:10
	;; [unrolled: 2-line block ×3, first 2 shown]
	s_waitcnt lgkmcnt(4)
	v_cmp_eq_u16_e64 s[4:5], 0, v6
	v_cndmask_b32_e64 v3, 0, v3, s[4:5]
	v_add_u16_e32 v3, v3, v5
	v_and_b32_e32 v5, 1, v6
	v_cmp_eq_u32_e64 s[4:5], 1, v5
	v_cndmask_b32_e64 v4, v4, 1, s[4:5]
	s_waitcnt lgkmcnt(2)
	v_cmp_eq_u16_e64 s[4:5], 0, v8
	v_and_b32_e32 v5, 1, v8
	ds_write_b16 v2, v3 offset:4
	ds_write_b8 v2, v4 offset:6
	v_cndmask_b32_e64 v3, 0, v3, s[4:5]
	v_cmp_eq_u32_e64 s[4:5], 1, v5
	v_add_u16_e32 v3, v3, v7
	v_cndmask_b32_e64 v4, v4, 1, s[4:5]
	s_waitcnt lgkmcnt(2)
	v_cmp_eq_u16_e64 s[4:5], 0, v10
	ds_write_b16 v2, v3 offset:8
	ds_write_b8 v2, v4 offset:10
	v_cndmask_b32_e64 v3, 0, v3, s[4:5]
	v_and_b32_e32 v5, 1, v10
	v_add_u16_e32 v3, v3, v9
	v_cmp_eq_u32_e64 s[4:5], 1, v5
	v_cndmask_b32_e64 v4, v4, 1, s[4:5]
	ds_write_b16 v2, v3 offset:12
	ds_write_b8 v2, v4 offset:14
.LBB347_147:
	s_or_b64 exec, exec, s[50:51]
	s_waitcnt lgkmcnt(0)
	s_barrier
	s_and_saveexec_b64 s[4:5], s[52:53]
	s_cbranch_execz .LBB347_149
; %bb.148:
	v_add_u32_e32 v2, -1, v0
	v_lshrrev_b32_e32 v3, 5, v2
	v_add_lshl_u32 v2, v3, v2, 2
	ds_read_u16 v37, v2
	ds_read_u8 v38, v2 offset:2
.LBB347_149:
	s_or_b64 exec, exec, s[4:5]
	s_and_saveexec_b64 s[4:5], vcc
	s_cbranch_execz .LBB347_192
; %bb.150:
	v_mov_b32_e32 v9, 0
	ds_read_b32 v2, v9 offset:1048
	v_mbcnt_lo_u32_b32 v3, -1, 0
	v_mbcnt_hi_u32_b32 v5, -1, v3
	s_mov_b32 s61, 0
	v_cmp_eq_u32_e64 s[50:51], 0, v5
	s_and_saveexec_b64 s[58:59], s[50:51]
	s_cbranch_execz .LBB347_152
; %bb.151:
	s_add_i32 s60, s75, 64
	s_lshl_b64 s[60:61], s[60:61], 3
	s_add_u32 s60, s72, s60
	v_mov_b32_e32 v3, 1
	s_addc_u32 s61, s73, s61
	s_waitcnt lgkmcnt(0)
	global_store_dwordx2 v9, v[2:3], s[60:61]
.LBB347_152:
	s_or_b64 exec, exec, s[58:59]
	v_xad_u32 v4, v5, -1, s75
	v_add_u32_e32 v8, 64, v4
	v_lshlrev_b64 v[6:7], 3, v[8:9]
	v_mov_b32_e32 v3, s73
	v_add_co_u32_e32 v10, vcc, s72, v6
	v_addc_co_u32_e32 v11, vcc, v3, v7, vcc
	global_load_dwordx2 v[6:7], v[10:11], off glc
	s_waitcnt vmcnt(0)
	v_cmp_eq_u16_sdwa s[60:61], v7, v9 src0_sel:BYTE_0 src1_sel:DWORD
	s_and_saveexec_b64 s[58:59], s[60:61]
	s_cbranch_execz .LBB347_156
; %bb.153:
	s_mov_b64 s[60:61], 0
	v_mov_b32_e32 v3, 0
.LBB347_154:                            ; =>This Inner Loop Header: Depth=1
	global_load_dwordx2 v[6:7], v[10:11], off glc
	s_waitcnt vmcnt(0)
	v_cmp_ne_u16_sdwa s[64:65], v7, v3 src0_sel:BYTE_0 src1_sel:DWORD
	s_or_b64 s[60:61], s[64:65], s[60:61]
	s_andn2_b64 exec, exec, s[60:61]
	s_cbranch_execnz .LBB347_154
; %bb.155:
	s_or_b64 exec, exec, s[60:61]
.LBB347_156:
	s_or_b64 exec, exec, s[58:59]
	v_mov_b32_e32 v3, 2
	v_cmp_eq_u16_sdwa s[58:59], v7, v3 src0_sel:BYTE_0 src1_sel:DWORD
	v_lshlrev_b64 v[8:9], v5, -1
	v_and_b32_e32 v3, s59, v9
	v_or_b32_e32 v3, 0x80000000, v3
	v_ffbl_b32_e32 v3, v3
	v_add_u32_e32 v11, 32, v3
	v_and_b32_e32 v3, 63, v5
	v_cmp_ne_u32_e32 vcc, 63, v3
	v_addc_co_u32_e32 v39, vcc, 0, v5, vcc
	v_and_b32_e32 v50, 0xffffff, v6
	v_lshlrev_b32_e32 v39, 2, v39
	ds_bpermute_b32 v40, v39, v50
	v_and_b32_e32 v10, s58, v8
	v_ffbl_b32_e32 v10, v10
	v_min_u32_e32 v11, v10, v11
	v_lshrrev_b32_e32 v10, 16, v6
	v_cmp_lt_u32_e32 vcc, v3, v11
	v_bfe_u32 v48, v6, 16, 8
	s_and_saveexec_b64 s[58:59], vcc
	s_cbranch_execz .LBB347_158
; %bb.157:
	v_and_b32_e32 v10, 0xff0000, v6
	v_cmp_eq_u32_e32 vcc, 0, v10
	v_and_b32_e32 v10, 0x10000, v10
	v_mov_b32_e32 v43, 1
	s_waitcnt lgkmcnt(0)
	v_cndmask_b32_e32 v41, 0, v40, vcc
	v_and_b32_sdwa v40, v40, v43 dst_sel:DWORD dst_unused:UNUSED_PAD src0_sel:WORD_1 src1_sel:DWORD
	v_cmp_ne_u32_e32 vcc, 0, v10
	v_cndmask_b32_e64 v10, v40, 1, vcc
	v_add_u16_e32 v42, v41, v6
	v_lshlrev_b32_e32 v40, 16, v10
	v_add_u16_e32 v6, v41, v6
	v_or_b32_e32 v50, v40, v6
	v_mov_b32_e32 v6, v42
	v_mov_b32_e32 v48, v10
.LBB347_158:
	s_or_b64 exec, exec, s[58:59]
	v_cmp_gt_u32_e32 vcc, 62, v3
	s_waitcnt lgkmcnt(0)
	v_cndmask_b32_e64 v40, 0, 1, vcc
	v_lshlrev_b32_e32 v40, 1, v40
	v_add_lshl_u32 v40, v40, v5, 2
	ds_bpermute_b32 v42, v40, v50
	v_add_u32_e32 v41, 2, v3
	v_cmp_le_u32_e32 vcc, v41, v11
	s_and_saveexec_b64 s[58:59], vcc
	s_cbranch_execz .LBB347_160
; %bb.159:
	v_cmp_eq_u16_e32 vcc, 0, v48
	v_and_b32_e32 v10, 1, v48
	v_mov_b32_e32 v45, 1
	s_waitcnt lgkmcnt(0)
	v_cndmask_b32_e32 v43, 0, v42, vcc
	v_and_b32_sdwa v42, v42, v45 dst_sel:DWORD dst_unused:UNUSED_PAD src0_sel:WORD_1 src1_sel:DWORD
	v_cmp_eq_u32_e32 vcc, 1, v10
	v_cndmask_b32_e64 v10, v42, 1, vcc
	v_add_u16_e32 v44, v43, v6
	v_lshlrev_b32_e32 v42, 16, v10
	v_add_u16_e32 v6, v43, v6
	v_or_b32_e32 v50, v42, v6
	v_mov_b32_e32 v6, v44
	v_mov_b32_e32 v48, v10
.LBB347_160:
	s_or_b64 exec, exec, s[58:59]
	v_cmp_gt_u32_e32 vcc, 60, v3
	s_waitcnt lgkmcnt(0)
	v_cndmask_b32_e64 v42, 0, 1, vcc
	v_lshlrev_b32_e32 v42, 2, v42
	v_add_lshl_u32 v42, v42, v5, 2
	ds_bpermute_b32 v44, v42, v50
	v_add_u32_e32 v43, 4, v3
	v_cmp_le_u32_e32 vcc, v43, v11
	s_and_saveexec_b64 s[58:59], vcc
	s_cbranch_execz .LBB347_162
; %bb.161:
	v_cmp_eq_u16_e32 vcc, 0, v48
	v_and_b32_e32 v10, 1, v48
	v_mov_b32_e32 v47, 1
	s_waitcnt lgkmcnt(0)
	v_cndmask_b32_e32 v45, 0, v44, vcc
	v_and_b32_sdwa v44, v44, v47 dst_sel:DWORD dst_unused:UNUSED_PAD src0_sel:WORD_1 src1_sel:DWORD
	v_cmp_eq_u32_e32 vcc, 1, v10
	v_cndmask_b32_e64 v10, v44, 1, vcc
	v_add_u16_e32 v46, v45, v6
	v_lshlrev_b32_e32 v44, 16, v10
	v_add_u16_e32 v6, v45, v6
	v_or_b32_e32 v50, v44, v6
	v_mov_b32_e32 v6, v46
	v_mov_b32_e32 v48, v10
.LBB347_162:
	;; [unrolled: 27-line block ×4, first 2 shown]
	s_or_b64 exec, exec, s[58:59]
	v_cmp_gt_u32_e32 vcc, 32, v3
	s_waitcnt lgkmcnt(0)
	v_cndmask_b32_e64 v49, 0, 1, vcc
	v_lshlrev_b32_e32 v49, 5, v49
	v_add_lshl_u32 v49, v49, v5, 2
	ds_bpermute_b32 v5, v49, v50
	v_add_u32_e32 v50, 32, v3
	v_cmp_le_u32_e32 vcc, v50, v11
	s_and_saveexec_b64 s[58:59], vcc
	s_cbranch_execz .LBB347_168
; %bb.167:
	v_cmp_eq_u16_e32 vcc, 0, v48
	s_waitcnt lgkmcnt(0)
	v_cndmask_b32_e32 v10, 0, v5, vcc
	v_add_u16_e32 v6, v10, v6
	v_and_b32_e32 v10, 1, v48
	v_mov_b32_e32 v11, 1
	v_and_b32_sdwa v5, v5, v11 dst_sel:DWORD dst_unused:UNUSED_PAD src0_sel:WORD_1 src1_sel:DWORD
	v_cmp_eq_u32_e32 vcc, 1, v10
	v_cndmask_b32_e64 v10, v5, 1, vcc
.LBB347_168:
	s_or_b64 exec, exec, s[58:59]
	s_waitcnt lgkmcnt(0)
	v_mov_b32_e32 v5, 0
	v_mov_b32_e32 v52, 2
	;; [unrolled: 1-line block ×3, first 2 shown]
	s_branch .LBB347_170
.LBB347_169:                            ;   in Loop: Header=BB347_170 Depth=1
	s_or_b64 exec, exec, s[58:59]
	v_cmp_eq_u16_sdwa vcc, v48, v5 src0_sel:BYTE_0 src1_sel:DWORD
	v_and_b32_e32 v10, 1, v48
	v_cndmask_b32_e32 v6, 0, v6, vcc
	v_and_b32_e32 v11, 1, v11
	v_cmp_eq_u32_e32 vcc, 1, v10
	v_subrev_u32_e32 v4, 64, v4
	v_add_u16_e32 v6, v6, v51
	v_cndmask_b32_e64 v10, v11, 1, vcc
.LBB347_170:                            ; =>This Loop Header: Depth=1
                                        ;     Child Loop BB347_173 Depth 2
	v_cmp_ne_u16_sdwa s[58:59], v7, v52 src0_sel:BYTE_0 src1_sel:DWORD
	v_cndmask_b32_e64 v7, 0, 1, s[58:59]
	;;#ASMSTART
	;;#ASMEND
	v_cmp_ne_u32_e32 vcc, 0, v7
	v_mov_b32_e32 v48, v10
	s_cmp_lg_u64 vcc, exec
	v_mov_b32_e32 v51, v6
	s_cbranch_scc1 .LBB347_187
; %bb.171:                              ;   in Loop: Header=BB347_170 Depth=1
	v_lshlrev_b64 v[6:7], 3, v[4:5]
	v_mov_b32_e32 v11, s73
	v_add_co_u32_e32 v10, vcc, s72, v6
	v_addc_co_u32_e32 v11, vcc, v11, v7, vcc
	global_load_dwordx2 v[6:7], v[10:11], off glc
	s_waitcnt vmcnt(0)
	v_cmp_eq_u16_sdwa s[60:61], v7, v5 src0_sel:BYTE_0 src1_sel:DWORD
	s_and_saveexec_b64 s[58:59], s[60:61]
	s_cbranch_execz .LBB347_175
; %bb.172:                              ;   in Loop: Header=BB347_170 Depth=1
	s_mov_b64 s[60:61], 0
.LBB347_173:                            ;   Parent Loop BB347_170 Depth=1
                                        ; =>  This Inner Loop Header: Depth=2
	global_load_dwordx2 v[6:7], v[10:11], off glc
	s_waitcnt vmcnt(0)
	v_cmp_ne_u16_sdwa s[64:65], v7, v5 src0_sel:BYTE_0 src1_sel:DWORD
	s_or_b64 s[60:61], s[64:65], s[60:61]
	s_andn2_b64 exec, exec, s[60:61]
	s_cbranch_execnz .LBB347_173
; %bb.174:                              ;   in Loop: Header=BB347_170 Depth=1
	s_or_b64 exec, exec, s[60:61]
.LBB347_175:                            ;   in Loop: Header=BB347_170 Depth=1
	s_or_b64 exec, exec, s[58:59]
	v_cmp_eq_u16_sdwa s[58:59], v7, v52 src0_sel:BYTE_0 src1_sel:DWORD
	v_and_b32_e32 v10, s59, v9
	s_waitcnt lgkmcnt(0)
	v_and_b32_e32 v55, 0xffffff, v6
	v_or_b32_e32 v10, 0x80000000, v10
	ds_bpermute_b32 v56, v39, v55
	v_and_b32_e32 v11, s58, v8
	v_ffbl_b32_e32 v10, v10
	v_add_u32_e32 v10, 32, v10
	v_ffbl_b32_e32 v11, v11
	v_min_u32_e32 v10, v11, v10
	v_lshrrev_b32_e32 v11, 16, v6
	v_cmp_lt_u32_e32 vcc, v3, v10
	v_bfe_u32 v54, v6, 16, 8
	s_and_saveexec_b64 s[58:59], vcc
	s_cbranch_execz .LBB347_177
; %bb.176:                              ;   in Loop: Header=BB347_170 Depth=1
	v_and_b32_e32 v11, 0xff0000, v6
	v_cmp_eq_u32_e32 vcc, 0, v11
	v_and_b32_e32 v11, 0x10000, v11
	s_waitcnt lgkmcnt(0)
	v_cndmask_b32_e32 v54, 0, v56, vcc
	v_and_b32_sdwa v55, v56, v53 dst_sel:DWORD dst_unused:UNUSED_PAD src0_sel:WORD_1 src1_sel:DWORD
	v_cmp_ne_u32_e32 vcc, 0, v11
	v_cndmask_b32_e64 v11, v55, 1, vcc
	v_add_u16_e32 v57, v54, v6
	v_lshlrev_b32_e32 v55, 16, v11
	v_add_u16_e32 v6, v54, v6
	v_or_b32_e32 v55, v55, v6
	v_mov_b32_e32 v6, v57
	v_mov_b32_e32 v54, v11
.LBB347_177:                            ;   in Loop: Header=BB347_170 Depth=1
	s_or_b64 exec, exec, s[58:59]
	s_waitcnt lgkmcnt(0)
	ds_bpermute_b32 v56, v40, v55
	v_cmp_le_u32_e32 vcc, v41, v10
	s_and_saveexec_b64 s[58:59], vcc
	s_cbranch_execz .LBB347_179
; %bb.178:                              ;   in Loop: Header=BB347_170 Depth=1
	v_cmp_eq_u16_e32 vcc, 0, v54
	v_and_b32_e32 v11, 1, v54
	s_waitcnt lgkmcnt(0)
	v_cndmask_b32_e32 v55, 0, v56, vcc
	v_and_b32_sdwa v54, v56, v53 dst_sel:DWORD dst_unused:UNUSED_PAD src0_sel:WORD_1 src1_sel:DWORD
	v_cmp_eq_u32_e32 vcc, 1, v11
	v_cndmask_b32_e64 v11, v54, 1, vcc
	v_add_u16_e32 v57, v55, v6
	v_lshlrev_b32_e32 v54, 16, v11
	v_add_u16_e32 v6, v55, v6
	v_or_b32_e32 v55, v54, v6
	v_mov_b32_e32 v6, v57
	v_mov_b32_e32 v54, v11
.LBB347_179:                            ;   in Loop: Header=BB347_170 Depth=1
	s_or_b64 exec, exec, s[58:59]
	s_waitcnt lgkmcnt(0)
	ds_bpermute_b32 v56, v42, v55
	v_cmp_le_u32_e32 vcc, v43, v10
	s_and_saveexec_b64 s[58:59], vcc
	s_cbranch_execz .LBB347_181
; %bb.180:                              ;   in Loop: Header=BB347_170 Depth=1
	v_cmp_eq_u16_e32 vcc, 0, v54
	v_and_b32_e32 v11, 1, v54
	s_waitcnt lgkmcnt(0)
	v_cndmask_b32_e32 v55, 0, v56, vcc
	v_and_b32_sdwa v54, v56, v53 dst_sel:DWORD dst_unused:UNUSED_PAD src0_sel:WORD_1 src1_sel:DWORD
	v_cmp_eq_u32_e32 vcc, 1, v11
	v_cndmask_b32_e64 v11, v54, 1, vcc
	v_add_u16_e32 v57, v55, v6
	v_lshlrev_b32_e32 v54, 16, v11
	v_add_u16_e32 v6, v55, v6
	v_or_b32_e32 v55, v54, v6
	v_mov_b32_e32 v6, v57
	v_mov_b32_e32 v54, v11
.LBB347_181:                            ;   in Loop: Header=BB347_170 Depth=1
	;; [unrolled: 21-line block ×4, first 2 shown]
	s_or_b64 exec, exec, s[58:59]
	ds_bpermute_b32 v55, v49, v55
	v_cmp_le_u32_e32 vcc, v50, v10
	s_and_saveexec_b64 s[58:59], vcc
	s_cbranch_execz .LBB347_169
; %bb.186:                              ;   in Loop: Header=BB347_170 Depth=1
	v_cmp_eq_u16_e32 vcc, 0, v54
	s_waitcnt lgkmcnt(0)
	v_cndmask_b32_e32 v10, 0, v55, vcc
	v_add_u16_e32 v6, v10, v6
	v_and_b32_e32 v10, 1, v54
	v_lshrrev_b32_e32 v11, 16, v55
	v_cmp_eq_u32_e32 vcc, 1, v10
	v_cndmask_b32_e64 v11, v11, 1, vcc
	s_branch .LBB347_169
.LBB347_187:                            ;   in Loop: Header=BB347_170 Depth=1
                                        ; implicit-def: $vgpr10
                                        ; implicit-def: $vgpr6
	s_cbranch_execz .LBB347_170
; %bb.188:
	s_and_saveexec_b64 s[58:59], s[50:51]
	s_cbranch_execz .LBB347_190
; %bb.189:
	v_and_b32_e32 v3, 0xff0000, v2
	s_mov_b32 s51, 0
	v_cmp_eq_u32_e32 vcc, 0, v3
	v_and_b32_e32 v4, 0x10000, v2
	v_mov_b32_e32 v5, 1
	s_add_i32 s50, s75, 64
	v_cndmask_b32_e32 v3, 0, v51, vcc
	v_and_b32_sdwa v5, v48, v5 dst_sel:WORD_1 dst_unused:UNUSED_PAD src0_sel:DWORD src1_sel:DWORD
	v_mov_b32_e32 v6, 0x10000
	v_cmp_eq_u32_e32 vcc, 0, v4
	s_lshl_b64 s[50:51], s[50:51], 3
	v_cndmask_b32_e32 v4, v6, v5, vcc
	s_add_u32 s50, s72, s50
	v_add_u16_e32 v2, v3, v2
	s_addc_u32 s51, s73, s51
	v_mov_b32_e32 v5, 0
	v_or_b32_e32 v2, v4, v2
	v_mov_b32_e32 v3, 2
	global_store_dwordx2 v5, v[2:3], s[50:51]
.LBB347_190:
	s_or_b64 exec, exec, s[58:59]
	s_and_b64 exec, exec, s[0:1]
	s_cbranch_execz .LBB347_192
; %bb.191:
	v_mov_b32_e32 v2, 0
	ds_write_b16 v2, v51
	ds_write_b8 v2, v48 offset:2
.LBB347_192:
	s_or_b64 exec, exec, s[4:5]
	v_mov_b32_e32 v2, 0
	s_mov_b32 s4, 0x10000
	s_waitcnt lgkmcnt(0)
	s_barrier
	ds_read_b32 v3, v2
	v_cmp_gt_u32_e32 vcc, s4, v1
	v_and_b32_e32 v5, 0x10000, v1
	v_cndmask_b32_e32 v4, 0, v37, vcc
	v_and_b32_e32 v6, 1, v38
	v_cmp_ne_u32_e32 vcc, 0, v5
	v_cndmask_b32_e64 v5, v6, 1, vcc
	v_cndmask_b32_e64 v5, v5, v36, s[0:1]
	v_cndmask_b32_e64 v4, v4, 0, s[0:1]
	v_cmp_eq_u16_sdwa vcc, v5, v2 src0_sel:BYTE_0 src1_sel:DWORD
	v_add_u16_e32 v4, v4, v1
	s_waitcnt lgkmcnt(0)
	v_cndmask_b32_e32 v2, 0, v3, vcc
	v_add_u16_e32 v49, v4, v2
	v_cndmask_b32_e64 v2, 0, v49, s[6:7]
	v_add_u16_e32 v4, v2, v16
	v_cndmask_b32_e64 v2, 0, v4, s[8:9]
	;; [unrolled: 2-line block ×21, first 2 shown]
	v_add_u16_e32 v48, v2, v13
	s_branch .LBB347_215
.LBB347_193:
                                        ; implicit-def: $vgpr49
                                        ; implicit-def: $vgpr4
                                        ; implicit-def: $vgpr5
                                        ; implicit-def: $vgpr6
                                        ; implicit-def: $vgpr7
                                        ; implicit-def: $vgpr8
                                        ; implicit-def: $vgpr9
                                        ; implicit-def: $vgpr10
                                        ; implicit-def: $vgpr11
                                        ; implicit-def: $vgpr36
                                        ; implicit-def: $vgpr37
                                        ; implicit-def: $vgpr38
                                        ; implicit-def: $vgpr39
                                        ; implicit-def: $vgpr40
                                        ; implicit-def: $vgpr41
                                        ; implicit-def: $vgpr42
                                        ; implicit-def: $vgpr43
                                        ; implicit-def: $vgpr44
                                        ; implicit-def: $vgpr45
                                        ; implicit-def: $vgpr46
                                        ; implicit-def: $vgpr47
                                        ; implicit-def: $vgpr48
	s_cbranch_execz .LBB347_215
; %bb.194:
	s_cmp_lg_u64 s[76:77], 0
	s_cselect_b32 s7, s67, 0
	s_cselect_b32 s6, s66, 0
	s_cmp_lg_u64 s[6:7], 0
	s_cselect_b64 s[4:5], -1, 0
	s_and_b64 s[8:9], s[0:1], s[4:5]
	s_and_saveexec_b64 s[4:5], s[8:9]
	s_cbranch_execz .LBB347_196
; %bb.195:
	v_mov_b32_e32 v2, 0
	global_load_ushort v3, v2, s[6:7]
	global_load_ubyte v4, v2, s[6:7] offset:2
	s_mov_b32 s6, 0x10000
	v_and_b32_e32 v2, 0x10000, v1
	v_mov_b32_e32 v5, 1
	v_cmp_gt_u32_e32 vcc, s6, v1
	v_mov_b32_e32 v6, 0x10000
	s_waitcnt vmcnt(1)
	v_cndmask_b32_e32 v3, 0, v3, vcc
	s_waitcnt vmcnt(0)
	v_and_b32_sdwa v4, v4, v5 dst_sel:WORD_1 dst_unused:UNUSED_PAD src0_sel:DWORD src1_sel:DWORD
	v_cmp_eq_u32_e32 vcc, 0, v2
	v_add_u16_e32 v1, v3, v1
	v_cndmask_b32_e32 v2, v6, v4, vcc
	v_or_b32_e32 v1, v2, v1
.LBB347_196:
	s_or_b64 exec, exec, s[4:5]
	s_mov_b32 s4, 0x10000
	v_cmp_gt_u32_e32 vcc, s4, v16
	v_cndmask_b32_e32 v3, 0, v1, vcc
	v_add_u16_e32 v4, v3, v16
	v_cmp_gt_u32_e64 s[6:7], s4, v17
	v_cndmask_b32_e64 v3, 0, v4, s[6:7]
	v_add_u16_e32 v5, v3, v17
	v_cmp_gt_u32_e64 s[8:9], s4, v18
	v_cndmask_b32_e64 v3, 0, v5, s[8:9]
	v_add_u16_e32 v6, v3, v18
	v_cmp_gt_u32_e64 s[10:11], s4, v19
	v_cndmask_b32_e64 v3, 0, v6, s[10:11]
	v_add_u16_e32 v7, v3, v19
	v_cmp_gt_u32_e64 s[12:13], s4, v20
	v_cndmask_b32_e64 v3, 0, v7, s[12:13]
	v_add_u16_e32 v8, v3, v20
	v_cmp_gt_u32_e64 s[14:15], s4, v21
	v_cndmask_b32_e64 v3, 0, v8, s[14:15]
	v_add_u16_e32 v9, v3, v21
	v_cmp_gt_u32_e64 s[16:17], s4, v22
	v_cndmask_b32_e64 v3, 0, v9, s[16:17]
	v_add_u16_e32 v10, v3, v22
	v_cmp_gt_u32_e64 s[18:19], s4, v23
	v_cndmask_b32_e64 v3, 0, v10, s[18:19]
	v_add_u16_e32 v11, v3, v23
	v_cmp_gt_u32_e64 s[20:21], s4, v24
	v_cndmask_b32_e64 v3, 0, v11, s[20:21]
	v_add_u16_e32 v36, v3, v24
	v_cmp_gt_u32_e64 s[22:23], s4, v25
	v_cndmask_b32_e64 v3, 0, v36, s[22:23]
	v_add_u16_e32 v37, v3, v25
	v_cmp_gt_u32_e64 s[24:25], s4, v26
	v_cndmask_b32_e64 v3, 0, v37, s[24:25]
	v_add_u16_e32 v38, v3, v26
	v_cmp_gt_u32_e64 s[26:27], s4, v27
	v_cndmask_b32_e64 v3, 0, v38, s[26:27]
	v_add_u16_e32 v39, v3, v27
	v_cmp_gt_u32_e64 s[28:29], s4, v28
	v_cndmask_b32_e64 v3, 0, v39, s[28:29]
	v_add_u16_e32 v40, v3, v28
	v_cmp_gt_u32_e64 s[30:31], s4, v29
	v_cndmask_b32_e64 v3, 0, v40, s[30:31]
	v_add_u16_e32 v41, v3, v29
	v_cmp_gt_u32_e64 s[34:35], s4, v30
	v_cndmask_b32_e64 v3, 0, v41, s[34:35]
	v_add_u16_e32 v42, v3, v30
	v_cmp_gt_u32_e64 s[36:37], s4, v31
	v_cndmask_b32_e64 v3, 0, v42, s[36:37]
	v_add_u16_e32 v43, v3, v31
	v_cmp_gt_u32_e64 s[38:39], s4, v32
	v_cndmask_b32_e64 v3, 0, v43, s[38:39]
	v_add_u16_e32 v44, v3, v32
	v_cmp_gt_u32_e64 s[40:41], s4, v33
	v_cndmask_b32_e64 v3, 0, v44, s[40:41]
	v_add_u16_e32 v45, v3, v33
	v_cmp_gt_u32_e64 s[42:43], s4, v34
	v_cndmask_b32_e64 v3, 0, v45, s[42:43]
	v_add_u16_e32 v46, v3, v34
	v_cmp_gt_u32_e64 s[44:45], s4, v35
	v_cndmask_b32_e64 v3, 0, v46, s[44:45]
	v_add_u16_e32 v47, v3, v35
	v_cmp_gt_u32_e64 s[46:47], s4, v13
	v_cndmask_b32_e64 v3, 0, v47, s[46:47]
	v_add_u16_e32 v48, v3, v13
	v_or3_b32 v3, v15, v31, v30
	v_or3_b32 v3, v3, v29, v28
	;; [unrolled: 1-line block ×8, first 2 shown]
	v_and_b32_e32 v3, 0x10000, v3
	v_lshrrev_b32_e32 v2, 16, v1
	v_cmp_ne_u32_e64 s[4:5], 0, v3
	v_mov_b32_e32 v49, 0x10000
	v_cndmask_b32_e64 v3, v2, 1, s[4:5]
	v_add_lshl_u32 v2, v14, v0, 2
	v_cmp_gt_u32_e64 s[4:5], 64, v0
	ds_write_b16 v2, v48
	ds_write_b8 v2, v3 offset:2
	s_waitcnt lgkmcnt(0)
	s_barrier
	s_and_saveexec_b64 s[48:49], s[4:5]
	s_cbranch_execz .LBB347_210
; %bb.197:
	v_lshlrev_b32_e32 v2, 2, v0
	v_lshrrev_b32_e32 v14, 3, v0
	v_add_lshl_u32 v2, v14, v2, 2
	ds_read_b32 v14, v2
	ds_read_u16 v15, v2 offset:4
	ds_read_u8 v50, v2 offset:6
	ds_read_u16 v51, v2 offset:8
	ds_read_u8 v52, v2 offset:10
	;; [unrolled: 2-line block ×3, first 2 shown]
	v_mov_b32_e32 v55, 0
	s_waitcnt lgkmcnt(4)
	v_cmp_eq_u16_sdwa s[4:5], v50, v55 src0_sel:BYTE_0 src1_sel:DWORD
	v_cndmask_b32_e64 v56, 0, v14, s[4:5]
	v_add_u16_e32 v56, v56, v15
	s_waitcnt lgkmcnt(2)
	v_cmp_eq_u16_sdwa s[4:5], v52, v55 src0_sel:BYTE_0 src1_sel:DWORD
	s_waitcnt lgkmcnt(0)
	v_or_b32_e32 v52, v54, v52
	v_cndmask_b32_e64 v55, 0, v56, s[4:5]
	v_or_b32_e32 v50, v52, v50
	v_add_u16_e32 v51, v55, v51
	v_cmp_eq_u16_e64 s[4:5], 0, v54
	v_and_b32_e32 v50, 1, v50
	v_and_b32_e32 v15, 0x10000, v14
	v_cndmask_b32_e64 v55, 0, v51, s[4:5]
	v_cmp_eq_u32_e64 s[4:5], 1, v50
	v_mbcnt_lo_u32_b32 v50, -1, 0
	v_add_u16_e32 v51, v55, v53
	v_cndmask_b32_e64 v56, v15, v49, s[4:5]
	v_add_u16_e32 v53, v55, v53
	v_and_b32_e32 v49, 0xff000000, v14
	v_mbcnt_hi_u32_b32 v50, -1, v50
	v_or_b32_e32 v54, v56, v49
	v_and_b32_e32 v55, 15, v50
	v_or3_b32 v53, v49, v53, v56
	s_movk_i32 s58, 0xff
	v_lshrrev_b32_e32 v52, 16, v54
	v_mov_b32_dpp v56, v53 row_shr:1 row_mask:0xf bank_mask:0xf
	v_cmp_ne_u32_e64 s[4:5], 0, v55
	s_and_saveexec_b64 s[50:51], s[4:5]
	s_cbranch_execz .LBB347_199
; %bb.198:
	v_and_b32_sdwa v52, v54, s58 dst_sel:DWORD dst_unused:UNUSED_PAD src0_sel:WORD_1 src1_sel:DWORD
	v_cmp_eq_u16_e64 s[4:5], 0, v52
	v_and_b32_e32 v52, 0x10000, v54
	v_mov_b32_e32 v54, 1
	v_cndmask_b32_e64 v53, 0, v56, s[4:5]
	v_and_b32_sdwa v54, v56, v54 dst_sel:DWORD dst_unused:UNUSED_PAD src0_sel:WORD_1 src1_sel:DWORD
	v_cmp_ne_u32_e64 s[4:5], 0, v52
	v_cndmask_b32_e64 v52, v54, 1, s[4:5]
	v_add_u16_e32 v57, v53, v51
	v_lshlrev_b32_e32 v54, 16, v52
	v_add_u16_e32 v51, v53, v51
	v_or3_b32 v53, v54, v51, v49
	v_mov_b32_e32 v51, v57
.LBB347_199:
	s_or_b64 exec, exec, s[50:51]
	v_lshrrev_b32_e32 v54, 16, v53
	v_mov_b32_dpp v56, v53 row_shr:2 row_mask:0xf bank_mask:0xf
	v_cmp_lt_u32_e64 s[4:5], 1, v55
	s_and_saveexec_b64 s[50:51], s[4:5]
	s_cbranch_execz .LBB347_201
; %bb.200:
	v_mov_b32_e32 v52, 0
	v_cmp_eq_u16_sdwa s[4:5], v54, v52 src0_sel:BYTE_0 src1_sel:DWORD
	v_and_b32_e32 v52, 0x10000, v53
	v_mov_b32_e32 v53, 1
	v_cndmask_b32_e64 v54, 0, v56, s[4:5]
	v_and_b32_sdwa v53, v56, v53 dst_sel:DWORD dst_unused:UNUSED_PAD src0_sel:WORD_1 src1_sel:DWORD
	v_cmp_ne_u32_e64 s[4:5], 0, v52
	v_cndmask_b32_e64 v52, v53, 1, s[4:5]
	v_add_u16_e32 v57, v54, v51
	v_lshlrev_b32_e32 v53, 16, v52
	v_add_u16_e32 v51, v54, v51
	v_or3_b32 v53, v53, v51, v49
	v_mov_b32_e32 v54, v52
	v_mov_b32_e32 v51, v57
.LBB347_201:
	s_or_b64 exec, exec, s[50:51]
	v_mov_b32_dpp v56, v53 row_shr:4 row_mask:0xf bank_mask:0xf
	v_cmp_lt_u32_e64 s[4:5], 3, v55
	s_and_saveexec_b64 s[50:51], s[4:5]
	s_cbranch_execz .LBB347_203
; %bb.202:
	v_mov_b32_e32 v52, 0
	v_cmp_eq_u16_sdwa s[4:5], v54, v52 src0_sel:BYTE_0 src1_sel:DWORD
	v_and_b32_e32 v52, 1, v54
	v_mov_b32_e32 v54, 1
	v_cndmask_b32_e64 v53, 0, v56, s[4:5]
	v_and_b32_sdwa v54, v56, v54 dst_sel:DWORD dst_unused:UNUSED_PAD src0_sel:WORD_1 src1_sel:DWORD
	v_cmp_eq_u32_e64 s[4:5], 1, v52
	v_cndmask_b32_e64 v52, v54, 1, s[4:5]
	v_add_u16_e32 v57, v53, v51
	v_lshlrev_b32_e32 v54, 16, v52
	v_add_u16_e32 v51, v53, v51
	v_or3_b32 v53, v54, v51, v49
	v_mov_b32_e32 v54, v52
	v_mov_b32_e32 v51, v57
.LBB347_203:
	s_or_b64 exec, exec, s[50:51]
	v_mov_b32_dpp v56, v53 row_shr:8 row_mask:0xf bank_mask:0xf
	v_cmp_lt_u32_e64 s[4:5], 7, v55
	s_and_saveexec_b64 s[50:51], s[4:5]
	s_cbranch_execz .LBB347_205
; %bb.204:
	v_mov_b32_e32 v52, 0
	v_cmp_eq_u16_sdwa s[4:5], v54, v52 src0_sel:BYTE_0 src1_sel:DWORD
	v_and_b32_e32 v52, 1, v54
	v_mov_b32_e32 v54, 1
	v_cndmask_b32_e64 v53, 0, v56, s[4:5]
	v_and_b32_sdwa v54, v56, v54 dst_sel:DWORD dst_unused:UNUSED_PAD src0_sel:WORD_1 src1_sel:DWORD
	v_cmp_eq_u32_e64 s[4:5], 1, v52
	v_cndmask_b32_e64 v52, v54, 1, s[4:5]
	v_add_u16_e32 v55, v53, v51
	v_lshlrev_b32_e32 v54, 16, v52
	v_add_u16_e32 v51, v53, v51
	v_or3_b32 v53, v54, v51, v49
	v_mov_b32_e32 v54, v52
	v_mov_b32_e32 v51, v55
.LBB347_205:
	s_or_b64 exec, exec, s[50:51]
	v_and_b32_e32 v56, 16, v50
	v_mov_b32_dpp v55, v53 row_bcast:15 row_mask:0xf bank_mask:0xf
	v_cmp_ne_u32_e64 s[4:5], 0, v56
	s_and_saveexec_b64 s[50:51], s[4:5]
	s_cbranch_execz .LBB347_207
; %bb.206:
	v_mov_b32_e32 v52, 0
	v_cmp_eq_u16_sdwa s[4:5], v54, v52 src0_sel:BYTE_0 src1_sel:DWORD
	v_and_b32_e32 v52, 1, v54
	v_mov_b32_e32 v54, 1
	v_cndmask_b32_e64 v53, 0, v55, s[4:5]
	v_and_b32_sdwa v54, v55, v54 dst_sel:DWORD dst_unused:UNUSED_PAD src0_sel:WORD_1 src1_sel:DWORD
	v_cmp_eq_u32_e64 s[4:5], 1, v52
	v_cndmask_b32_e64 v52, v54, 1, s[4:5]
	v_add_u16_e32 v56, v53, v51
	v_lshlrev_b32_e32 v54, 16, v52
	v_add_u16_e32 v51, v53, v51
	v_or3_b32 v53, v54, v51, v49
	v_mov_b32_e32 v54, v52
	v_mov_b32_e32 v51, v56
.LBB347_207:
	s_or_b64 exec, exec, s[50:51]
	v_mov_b32_dpp v53, v53 row_bcast:31 row_mask:0xf bank_mask:0xf
	v_cmp_lt_u32_e64 s[4:5], 31, v50
	s_and_saveexec_b64 s[50:51], s[4:5]
; %bb.208:
	v_mov_b32_e32 v52, 0
	v_cmp_eq_u16_sdwa s[4:5], v54, v52 src0_sel:BYTE_0 src1_sel:DWORD
	v_cndmask_b32_e64 v52, 0, v53, s[4:5]
	v_add_u16_e32 v51, v52, v51
	v_and_b32_e32 v52, 1, v54
	v_mov_b32_e32 v54, 1
	v_and_b32_sdwa v53, v53, v54 dst_sel:DWORD dst_unused:UNUSED_PAD src0_sel:WORD_1 src1_sel:DWORD
	v_cmp_eq_u32_e64 s[4:5], 1, v52
	v_cndmask_b32_e64 v52, v53, 1, s[4:5]
; %bb.209:
	s_or_b64 exec, exec, s[50:51]
	v_and_b32_e32 v52, 0xff, v52
	v_lshlrev_b32_e32 v52, 16, v52
	v_and_b32_e32 v51, 0xffff, v51
	v_or3_b32 v49, v52, v51, v49
	v_add_u32_e32 v51, -1, v50
	v_and_b32_e32 v52, 64, v50
	v_cmp_lt_i32_e64 s[4:5], v51, v52
	v_cndmask_b32_e64 v50, v51, v50, s[4:5]
	v_lshlrev_b32_e32 v50, 2, v50
	ds_bpermute_b32 v49, v50, v49
	v_and_b32_e32 v50, 0xff0000, v14
	v_cmp_eq_u32_e64 s[4:5], 0, v50
	; wave barrier
	s_waitcnt lgkmcnt(0)
	v_cndmask_b32_e64 v50, 0, v49, s[4:5]
	v_add_u16_e32 v14, v50, v14
	v_mov_b32_e32 v50, 1
	v_and_b32_sdwa v49, v49, v50 dst_sel:DWORD dst_unused:UNUSED_PAD src0_sel:WORD_1 src1_sel:DWORD
	v_cmp_eq_u32_e64 s[4:5], 0, v15
	v_cndmask_b32_e64 v15, 1, v49, s[4:5]
	v_cndmask_b32_e64 v14, v14, v48, s[0:1]
	;; [unrolled: 1-line block ×3, first 2 shown]
	ds_write_b16 v2, v14
	ds_write_b8 v2, v3 offset:2
	; wave barrier
	ds_read_u16 v15, v2 offset:4
	ds_read_u8 v49, v2 offset:6
	ds_read_u16 v50, v2 offset:8
	ds_read_u8 v51, v2 offset:10
	;; [unrolled: 2-line block ×3, first 2 shown]
	s_waitcnt lgkmcnt(4)
	v_cmp_eq_u16_e64 s[4:5], 0, v49
	v_cndmask_b32_e64 v14, 0, v14, s[4:5]
	v_add_u16_e32 v14, v14, v15
	v_and_b32_e32 v15, 1, v49
	v_cmp_eq_u32_e64 s[4:5], 1, v15
	v_cndmask_b32_e64 v3, v3, 1, s[4:5]
	s_waitcnt lgkmcnt(2)
	v_cmp_eq_u16_e64 s[4:5], 0, v51
	v_and_b32_e32 v15, 1, v51
	ds_write_b16 v2, v14 offset:4
	ds_write_b8 v2, v3 offset:6
	v_cndmask_b32_e64 v14, 0, v14, s[4:5]
	v_cmp_eq_u32_e64 s[4:5], 1, v15
	v_add_u16_e32 v14, v14, v50
	v_cndmask_b32_e64 v3, v3, 1, s[4:5]
	s_waitcnt lgkmcnt(2)
	v_cmp_eq_u16_e64 s[4:5], 0, v53
	ds_write_b16 v2, v14 offset:8
	ds_write_b8 v2, v3 offset:10
	v_cndmask_b32_e64 v14, 0, v14, s[4:5]
	v_and_b32_e32 v15, 1, v53
	v_add_u16_e32 v14, v14, v52
	v_cmp_eq_u32_e64 s[4:5], 1, v15
	v_cndmask_b32_e64 v3, v3, 1, s[4:5]
	ds_write_b16 v2, v14 offset:12
	ds_write_b8 v2, v3 offset:14
.LBB347_210:
	s_or_b64 exec, exec, s[48:49]
	v_mov_b32_e32 v2, v48
	s_waitcnt lgkmcnt(0)
	s_barrier
	s_and_saveexec_b64 s[4:5], s[52:53]
	s_cbranch_execnz .LBB347_285
; %bb.211:
	s_or_b64 exec, exec, s[4:5]
	s_and_saveexec_b64 s[48:49], s[52:53]
	s_cbranch_execnz .LBB347_286
.LBB347_212:
	s_or_b64 exec, exec, s[48:49]
	s_and_saveexec_b64 s[4:5], s[0:1]
	s_cbranch_execz .LBB347_214
.LBB347_213:
	v_mov_b32_e32 v13, 0
	s_waitcnt lgkmcnt(0)
	ds_read_u8 v2, v13 offset:1050
	ds_read_u16 v3, v13 offset:1048
	s_waitcnt lgkmcnt(1)
	v_lshlrev_b32_e32 v2, 16, v2
	s_waitcnt lgkmcnt(0)
	v_or_b32_e32 v2, v2, v3
	v_mov_b32_e32 v3, 2
	global_store_dwordx2 v13, v[2:3], s[72:73] offset:512
.LBB347_214:
	s_or_b64 exec, exec, s[4:5]
	v_mov_b32_e32 v49, v1
.LBB347_215:
	s_add_u32 s0, s62, s54
	s_addc_u32 s1, s63, s55
	s_add_u32 s4, s0, s56
	s_addc_u32 s5, s1, s57
	s_and_b64 vcc, exec, s[2:3]
	v_mul_u32_u24_e32 v14, 22, v0
	s_cbranch_vccz .LBB347_259
; %bb.216:
	s_mov_b32 s0, 0x5040100
	v_lshlrev_b32_e32 v33, 1, v14
	v_perm_b32 v1, v6, v5, s0
	s_waitcnt lgkmcnt(0)
	v_perm_b32 v2, v4, v49, s0
	s_barrier
	ds_write2_b32 v33, v2, v1 offset1:1
	v_perm_b32 v1, v10, v9, s0
	v_perm_b32 v2, v8, v7, s0
	ds_write2_b32 v33, v2, v1 offset0:2 offset1:3
	v_perm_b32 v1, v38, v37, s0
	v_perm_b32 v2, v36, v11, s0
	ds_write2_b32 v33, v2, v1 offset0:4 offset1:5
	;; [unrolled: 3-line block ×4, first 2 shown]
	v_perm_b32 v1, v48, v47, s0
	s_movk_i32 s0, 0xffd6
	v_mad_i32_i24 v2, v0, s0, v33
	ds_write_b32 v33, v1 offset:40
	s_waitcnt lgkmcnt(0)
	s_barrier
	ds_read_u16 v35, v2 offset:512
	ds_read_u16 v34, v2 offset:1024
	;; [unrolled: 1-line block ×21, first 2 shown]
	v_mov_b32_e32 v3, s5
	v_add_co_u32_e32 v2, vcc, s4, v12
	s_add_i32 s33, s33, s74
	v_addc_co_u32_e32 v3, vcc, 0, v3, vcc
	v_mov_b32_e32 v1, 0
	v_cmp_gt_u32_e32 vcc, s33, v0
	s_and_saveexec_b64 s[0:1], vcc
	s_cbranch_execz .LBB347_218
; %bb.217:
	v_mul_i32_i24_e32 v50, 0xffffffd6, v0
	v_add_u32_e32 v33, v33, v50
	ds_read_u16 v33, v33
	s_waitcnt lgkmcnt(0)
	flat_store_short v[2:3], v33
.LBB347_218:
	s_or_b64 exec, exec, s[0:1]
	v_or_b32_e32 v33, 0x100, v0
	v_cmp_gt_u32_e32 vcc, s33, v33
	s_and_saveexec_b64 s[0:1], vcc
	s_cbranch_execz .LBB347_220
; %bb.219:
	s_waitcnt lgkmcnt(0)
	flat_store_short v[2:3], v35 offset:512
.LBB347_220:
	s_or_b64 exec, exec, s[0:1]
	v_or_b32_e32 v33, 0x200, v0
	v_cmp_gt_u32_e32 vcc, s33, v33
	s_and_saveexec_b64 s[0:1], vcc
	s_cbranch_execz .LBB347_222
; %bb.221:
	s_waitcnt lgkmcnt(0)
	flat_store_short v[2:3], v34 offset:1024
.LBB347_222:
	;; [unrolled: 9-line block ×3, first 2 shown]
	s_or_b64 exec, exec, s[0:1]
	s_waitcnt lgkmcnt(0)
	v_or_b32_e32 v32, 0x400, v0
	v_cmp_gt_u32_e32 vcc, s33, v32
	s_and_saveexec_b64 s[0:1], vcc
	s_cbranch_execz .LBB347_226
; %bb.225:
	flat_store_short v[2:3], v31 offset:2048
.LBB347_226:
	s_or_b64 exec, exec, s[0:1]
	v_or_b32_e32 v31, 0x500, v0
	v_cmp_gt_u32_e32 vcc, s33, v31
	s_and_saveexec_b64 s[0:1], vcc
	s_cbranch_execz .LBB347_228
; %bb.227:
	flat_store_short v[2:3], v30 offset:2560
.LBB347_228:
	s_or_b64 exec, exec, s[0:1]
	;; [unrolled: 8-line block ×4, first 2 shown]
	v_or_b32_e32 v28, 0x800, v0
	v_cmp_gt_u32_e32 vcc, s33, v28
	s_and_saveexec_b64 s[0:1], vcc
	s_cbranch_execz .LBB347_234
; %bb.233:
	v_add_co_u32_e32 v28, vcc, 0x1000, v2
	v_addc_co_u32_e32 v29, vcc, 0, v3, vcc
	flat_store_short v[28:29], v27
.LBB347_234:
	s_or_b64 exec, exec, s[0:1]
	v_or_b32_e32 v27, 0x900, v0
	v_cmp_gt_u32_e32 vcc, s33, v27
	s_and_saveexec_b64 s[0:1], vcc
	s_cbranch_execz .LBB347_236
; %bb.235:
	v_add_co_u32_e32 v28, vcc, 0x1000, v2
	v_addc_co_u32_e32 v29, vcc, 0, v3, vcc
	flat_store_short v[28:29], v26 offset:512
.LBB347_236:
	s_or_b64 exec, exec, s[0:1]
	v_or_b32_e32 v26, 0xa00, v0
	v_cmp_gt_u32_e32 vcc, s33, v26
	s_and_saveexec_b64 s[0:1], vcc
	s_cbranch_execz .LBB347_238
; %bb.237:
	v_add_co_u32_e32 v26, vcc, 0x1000, v2
	v_addc_co_u32_e32 v27, vcc, 0, v3, vcc
	flat_store_short v[26:27], v25 offset:1024
.LBB347_238:
	;; [unrolled: 10-line block ×7, first 2 shown]
	s_or_b64 exec, exec, s[0:1]
	v_or_b32_e32 v20, 0x1000, v0
	v_cmp_gt_u32_e32 vcc, s33, v20
	s_and_saveexec_b64 s[0:1], vcc
	s_cbranch_execz .LBB347_250
; %bb.249:
	v_add_co_u32_e32 v20, vcc, 0x2000, v2
	v_addc_co_u32_e32 v21, vcc, 0, v3, vcc
	flat_store_short v[20:21], v19
.LBB347_250:
	s_or_b64 exec, exec, s[0:1]
	v_or_b32_e32 v19, 0x1100, v0
	v_cmp_gt_u32_e32 vcc, s33, v19
	s_and_saveexec_b64 s[0:1], vcc
	s_cbranch_execz .LBB347_252
; %bb.251:
	v_add_co_u32_e32 v20, vcc, 0x2000, v2
	v_addc_co_u32_e32 v21, vcc, 0, v3, vcc
	flat_store_short v[20:21], v18 offset:512
.LBB347_252:
	s_or_b64 exec, exec, s[0:1]
	v_or_b32_e32 v18, 0x1200, v0
	v_cmp_gt_u32_e32 vcc, s33, v18
	s_and_saveexec_b64 s[0:1], vcc
	s_cbranch_execz .LBB347_254
; %bb.253:
	v_add_co_u32_e32 v18, vcc, 0x2000, v2
	v_addc_co_u32_e32 v19, vcc, 0, v3, vcc
	flat_store_short v[18:19], v17 offset:1024
.LBB347_254:
	s_or_b64 exec, exec, s[0:1]
	v_or_b32_e32 v17, 0x1300, v0
	v_cmp_gt_u32_e32 vcc, s33, v17
	s_and_saveexec_b64 s[0:1], vcc
	s_cbranch_execz .LBB347_256
; %bb.255:
	v_add_co_u32_e32 v18, vcc, 0x2000, v2
	v_addc_co_u32_e32 v19, vcc, 0, v3, vcc
	flat_store_short v[18:19], v16 offset:1536
.LBB347_256:
	s_or_b64 exec, exec, s[0:1]
	v_or_b32_e32 v16, 0x1400, v0
	v_cmp_gt_u32_e32 vcc, s33, v16
	s_and_saveexec_b64 s[0:1], vcc
	s_cbranch_execz .LBB347_258
; %bb.257:
	v_add_co_u32_e32 v2, vcc, 0x2000, v2
	v_addc_co_u32_e32 v3, vcc, 0, v3, vcc
	flat_store_short v[2:3], v15 offset:2048
.LBB347_258:
	s_or_b64 exec, exec, s[0:1]
	v_or_b32_e32 v2, 0x1500, v0
	v_cmp_gt_u32_e64 s[0:1], s33, v2
	s_branch .LBB347_261
.LBB347_259:
	s_mov_b64 s[0:1], 0
                                        ; implicit-def: $vgpr13
	s_cbranch_execz .LBB347_261
; %bb.260:
	s_mov_b32 s2, 0x5040100
	s_waitcnt lgkmcnt(0)
	v_lshlrev_b32_e32 v2, 1, v14
	v_perm_b32 v1, v6, v5, s2
	v_perm_b32 v3, v4, v49, s2
	s_barrier
	ds_write2_b32 v2, v3, v1 offset1:1
	v_perm_b32 v1, v10, v9, s2
	v_perm_b32 v3, v8, v7, s2
	ds_write2_b32 v2, v3, v1 offset0:2 offset1:3
	v_perm_b32 v1, v38, v37, s2
	v_perm_b32 v3, v36, v11, s2
	ds_write2_b32 v2, v3, v1 offset0:4 offset1:5
	;; [unrolled: 3-line block ×4, first 2 shown]
	v_perm_b32 v1, v48, v47, s2
	s_movk_i32 s2, 0xffd6
	ds_write_b32 v2, v1 offset:40
	v_mad_i32_i24 v2, v0, s2, v2
	s_waitcnt lgkmcnt(0)
	s_barrier
	ds_read_u16 v4, v2
	ds_read_u16 v5, v2 offset:512
	ds_read_u16 v6, v2 offset:1024
	ds_read_u16 v7, v2 offset:1536
	ds_read_u16 v8, v2 offset:2048
	ds_read_u16 v9, v2 offset:2560
	ds_read_u16 v10, v2 offset:3072
	ds_read_u16 v11, v2 offset:3584
	ds_read_u16 v14, v2 offset:4096
	ds_read_u16 v15, v2 offset:4608
	ds_read_u16 v16, v2 offset:5120
	ds_read_u16 v17, v2 offset:5632
	ds_read_u16 v18, v2 offset:6144
	ds_read_u16 v19, v2 offset:6656
	ds_read_u16 v20, v2 offset:7168
	ds_read_u16 v21, v2 offset:7680
	ds_read_u16 v22, v2 offset:8192
	ds_read_u16 v23, v2 offset:8704
	ds_read_u16 v24, v2 offset:9216
	ds_read_u16 v25, v2 offset:9728
	ds_read_u16 v26, v2 offset:10240
	ds_read_u16 v13, v2 offset:10752
	v_mov_b32_e32 v3, s5
	v_add_co_u32_e32 v2, vcc, s4, v12
	v_addc_co_u32_e32 v3, vcc, 0, v3, vcc
	s_movk_i32 s2, 0x1000
	s_waitcnt lgkmcnt(0)
	flat_store_short v[2:3], v4
	flat_store_short v[2:3], v5 offset:512
	flat_store_short v[2:3], v6 offset:1024
	;; [unrolled: 1-line block ×7, first 2 shown]
	v_add_co_u32_e32 v4, vcc, s2, v2
	v_addc_co_u32_e32 v5, vcc, 0, v3, vcc
	v_add_co_u32_e32 v2, vcc, 0x2000, v2
	v_mov_b32_e32 v1, 0
	v_addc_co_u32_e32 v3, vcc, 0, v3, vcc
	s_or_b64 s[0:1], s[0:1], exec
	flat_store_short v[4:5], v14
	flat_store_short v[4:5], v15 offset:512
	flat_store_short v[4:5], v16 offset:1024
	;; [unrolled: 1-line block ×7, first 2 shown]
	flat_store_short v[2:3], v22
	flat_store_short v[2:3], v23 offset:512
	flat_store_short v[2:3], v24 offset:1024
	;; [unrolled: 1-line block ×4, first 2 shown]
.LBB347_261:
	s_and_saveexec_b64 s[2:3], s[0:1]
	s_cbranch_execnz .LBB347_263
; %bb.262:
	s_endpgm
.LBB347_263:
	v_lshlrev_b64 v[0:1], 1, v[0:1]
	s_waitcnt lgkmcnt(0)
	v_mov_b32_e32 v2, s5
	v_add_co_u32_e32 v0, vcc, s4, v0
	v_addc_co_u32_e32 v1, vcc, v2, v1, vcc
	v_add_co_u32_e32 v0, vcc, 0x2000, v0
	v_addc_co_u32_e32 v1, vcc, 0, v1, vcc
	flat_store_short v[0:1], v13 offset:2560
	s_endpgm
.LBB347_264:
	v_mov_b32_e32 v27, s79
	v_add_co_u32_e32 v26, vcc, s78, v20
	v_addc_co_u32_e32 v27, vcc, 0, v27, vcc
	flat_load_ushort v26, v[26:27]
	s_or_b64 exec, exec, s[4:5]
                                        ; implicit-def: $vgpr27
	s_and_saveexec_b64 s[4:5], s[8:9]
	s_cbranch_execz .LBB347_57
.LBB347_265:
	v_mov_b32_e32 v27, s79
	v_add_co_u32_e32 v28, vcc, s78, v20
	v_addc_co_u32_e32 v29, vcc, 0, v27, vcc
	flat_load_ushort v27, v[28:29] offset:512
	s_or_b64 exec, exec, s[4:5]
                                        ; implicit-def: $vgpr28
	s_and_saveexec_b64 s[4:5], s[10:11]
	s_cbranch_execz .LBB347_58
.LBB347_266:
	v_mov_b32_e32 v29, s79
	v_add_co_u32_e32 v28, vcc, s78, v20
	v_addc_co_u32_e32 v29, vcc, 0, v29, vcc
	flat_load_ushort v28, v[28:29] offset:1024
	s_or_b64 exec, exec, s[4:5]
                                        ; implicit-def: $vgpr29
	s_and_saveexec_b64 s[4:5], s[12:13]
	s_cbranch_execz .LBB347_59
.LBB347_267:
	v_mov_b32_e32 v29, s79
	v_add_co_u32_e32 v30, vcc, s78, v20
	v_addc_co_u32_e32 v31, vcc, 0, v29, vcc
	flat_load_ushort v29, v[30:31] offset:1536
	s_or_b64 exec, exec, s[4:5]
                                        ; implicit-def: $vgpr30
	s_and_saveexec_b64 s[4:5], s[14:15]
	s_cbranch_execz .LBB347_60
.LBB347_268:
	v_mov_b32_e32 v31, s79
	v_add_co_u32_e32 v30, vcc, s78, v20
	v_addc_co_u32_e32 v31, vcc, 0, v31, vcc
	flat_load_ushort v30, v[30:31] offset:2048
	s_or_b64 exec, exec, s[4:5]
                                        ; implicit-def: $vgpr31
	s_and_saveexec_b64 s[4:5], s[16:17]
	s_cbranch_execz .LBB347_61
.LBB347_269:
	v_mov_b32_e32 v31, s79
	v_add_co_u32_e32 v32, vcc, s78, v20
	v_addc_co_u32_e32 v33, vcc, 0, v31, vcc
	flat_load_ushort v31, v[32:33] offset:2560
	s_or_b64 exec, exec, s[4:5]
                                        ; implicit-def: $vgpr32
	s_and_saveexec_b64 s[4:5], s[18:19]
	s_cbranch_execz .LBB347_62
.LBB347_270:
	v_mov_b32_e32 v33, s79
	v_add_co_u32_e32 v32, vcc, s78, v20
	v_addc_co_u32_e32 v33, vcc, 0, v33, vcc
	flat_load_ushort v32, v[32:33] offset:3072
	s_or_b64 exec, exec, s[4:5]
                                        ; implicit-def: $vgpr33
	s_and_saveexec_b64 s[4:5], s[20:21]
	s_cbranch_execz .LBB347_63
.LBB347_271:
	v_mov_b32_e32 v33, s79
	v_add_co_u32_e32 v34, vcc, s78, v20
	v_addc_co_u32_e32 v35, vcc, 0, v33, vcc
	flat_load_ushort v33, v[34:35] offset:3584
	s_or_b64 exec, exec, s[4:5]
                                        ; implicit-def: $vgpr34
	s_and_saveexec_b64 s[4:5], s[22:23]
	s_cbranch_execz .LBB347_64
.LBB347_272:
	v_mov_b32_e32 v35, s79
	v_add_co_u32_e32 v34, vcc, s78, v1
	v_addc_co_u32_e32 v35, vcc, 0, v35, vcc
	flat_load_ushort v34, v[34:35]
	s_or_b64 exec, exec, s[4:5]
                                        ; implicit-def: $vgpr1
	s_and_saveexec_b64 s[4:5], s[24:25]
	s_cbranch_execz .LBB347_65
.LBB347_273:
	v_mov_b32_e32 v1, s79
	v_add_co_u32_e32 v42, vcc, s78, v2
	v_addc_co_u32_e32 v43, vcc, 0, v1, vcc
	flat_load_ushort v1, v[42:43]
	s_or_b64 exec, exec, s[4:5]
                                        ; implicit-def: $vgpr2
	s_and_saveexec_b64 s[4:5], s[26:27]
	s_cbranch_execz .LBB347_66
.LBB347_274:
	v_mov_b32_e32 v35, s79
	v_add_co_u32_e32 v2, vcc, s78, v3
	v_addc_co_u32_e32 v3, vcc, 0, v35, vcc
	flat_load_ushort v2, v[2:3]
	s_or_b64 exec, exec, s[4:5]
                                        ; implicit-def: $vgpr3
	s_and_saveexec_b64 s[4:5], s[28:29]
	s_cbranch_execz .LBB347_67
.LBB347_275:
	v_mov_b32_e32 v3, s79
	v_add_co_u32_e32 v42, vcc, s78, v4
	v_addc_co_u32_e32 v43, vcc, 0, v3, vcc
	flat_load_ushort v3, v[42:43]
	s_or_b64 exec, exec, s[4:5]
                                        ; implicit-def: $vgpr4
	s_and_saveexec_b64 s[4:5], s[30:31]
	s_cbranch_execz .LBB347_68
.LBB347_276:
	v_mov_b32_e32 v35, s79
	v_add_co_u32_e32 v4, vcc, s78, v5
	v_addc_co_u32_e32 v5, vcc, 0, v35, vcc
	flat_load_ushort v4, v[4:5]
	s_or_b64 exec, exec, s[4:5]
                                        ; implicit-def: $vgpr5
	s_and_saveexec_b64 s[4:5], s[34:35]
	s_cbranch_execz .LBB347_69
.LBB347_277:
	v_mov_b32_e32 v5, s79
	v_add_co_u32_e32 v42, vcc, s78, v16
	v_addc_co_u32_e32 v43, vcc, 0, v5, vcc
	flat_load_ushort v5, v[42:43]
	s_or_b64 exec, exec, s[4:5]
                                        ; implicit-def: $vgpr16
	s_and_saveexec_b64 s[4:5], s[36:37]
	s_cbranch_execz .LBB347_70
.LBB347_278:
	v_mov_b32_e32 v35, s79
	v_add_co_u32_e32 v16, vcc, s78, v17
	v_addc_co_u32_e32 v17, vcc, 0, v35, vcc
	flat_load_ushort v16, v[16:17]
	s_or_b64 exec, exec, s[4:5]
                                        ; implicit-def: $vgpr17
	s_and_saveexec_b64 s[4:5], s[38:39]
	s_cbranch_execz .LBB347_71
.LBB347_279:
	v_mov_b32_e32 v17, s79
	v_add_co_u32_e32 v42, vcc, s78, v18
	v_addc_co_u32_e32 v43, vcc, 0, v17, vcc
	flat_load_ushort v17, v[42:43]
	s_or_b64 exec, exec, s[4:5]
                                        ; implicit-def: $vgpr18
	s_and_saveexec_b64 s[4:5], s[40:41]
	s_cbranch_execz .LBB347_72
.LBB347_280:
	v_mov_b32_e32 v35, s79
	v_add_co_u32_e32 v18, vcc, s78, v19
	v_addc_co_u32_e32 v19, vcc, 0, v35, vcc
	flat_load_ushort v18, v[18:19]
	s_or_b64 exec, exec, s[4:5]
                                        ; implicit-def: $vgpr19
	s_and_saveexec_b64 s[4:5], s[42:43]
	s_cbranch_execz .LBB347_73
.LBB347_281:
	v_mov_b32_e32 v19, s79
	v_add_co_u32_e32 v42, vcc, s78, v21
	v_addc_co_u32_e32 v43, vcc, 0, v19, vcc
	flat_load_ushort v19, v[42:43]
	s_or_b64 exec, exec, s[4:5]
                                        ; implicit-def: $vgpr21
	s_and_saveexec_b64 s[4:5], s[44:45]
	s_cbranch_execz .LBB347_74
.LBB347_282:
	v_mov_b32_e32 v21, s79
	v_add_co_u32_e32 v42, vcc, s78, v22
	v_addc_co_u32_e32 v43, vcc, 0, v21, vcc
	flat_load_ushort v21, v[42:43]
	s_or_b64 exec, exec, s[4:5]
                                        ; implicit-def: $vgpr22
	s_and_saveexec_b64 s[4:5], s[46:47]
	s_cbranch_execz .LBB347_75
.LBB347_283:
	v_mov_b32_e32 v35, s79
	v_add_co_u32_e32 v22, vcc, s78, v23
	v_addc_co_u32_e32 v23, vcc, 0, v35, vcc
	flat_load_ushort v22, v[22:23]
	s_or_b64 exec, exec, s[4:5]
                                        ; implicit-def: $vgpr23
	s_and_saveexec_b64 s[4:5], s[48:49]
	s_cbranch_execz .LBB347_76
.LBB347_284:
	v_mov_b32_e32 v23, s79
	v_add_co_u32_e32 v42, vcc, s78, v24
	v_addc_co_u32_e32 v43, vcc, 0, v23, vcc
	flat_load_ushort v23, v[42:43]
	s_or_b64 exec, exec, s[4:5]
                                        ; implicit-def: $vgpr24
	s_and_saveexec_b64 s[4:5], s[50:51]
	s_cbranch_execnz .LBB347_77
	s_branch .LBB347_78
.LBB347_285:
	v_add_u32_e32 v2, -1, v0
	v_lshrrev_b32_e32 v3, 5, v2
	v_add_lshl_u32 v2, v3, v2, 2
	ds_read_u16 v2, v2
	s_or_b64 exec, exec, s[4:5]
	s_and_saveexec_b64 s[48:49], s[52:53]
	s_cbranch_execz .LBB347_212
.LBB347_286:
	s_mov_b32 s4, 0x10000
	s_waitcnt lgkmcnt(0)
	v_and_b32_e32 v2, 0xffff, v2
	v_cmp_gt_u32_e64 s[4:5], s4, v1
	v_cndmask_b32_e64 v2, 0, v2, s[4:5]
	v_add_u32_e32 v1, v2, v1
	v_cndmask_b32_e32 v2, 0, v1, vcc
	v_add_u16_e32 v4, v2, v16
	v_cndmask_b32_e64 v2, 0, v4, s[6:7]
	v_add_u16_e32 v5, v2, v17
	v_cndmask_b32_e64 v2, 0, v5, s[8:9]
	;; [unrolled: 2-line block ×20, first 2 shown]
	v_add_u16_e32 v48, v2, v13
	;;#ASMSTART
	;;#ASMEND
	s_or_b64 exec, exec, s[48:49]
	s_and_saveexec_b64 s[4:5], s[0:1]
	s_cbranch_execnz .LBB347_213
	s_branch .LBB347_214
.LBB347_287:
                                        ; implicit-def: $sgpr4_sgpr5
	s_branch .LBB347_52
.LBB347_288:
                                        ; implicit-def: $sgpr4_sgpr5
	s_branch .LBB347_125
	.section	.rodata,"a",@progbits
	.p2align	6, 0x0
	.amdhsa_kernel _ZN7rocprim17ROCPRIM_400000_NS6detail17trampoline_kernelINS0_14default_configENS1_27scan_by_key_config_selectorIssEEZZNS1_16scan_by_key_implILNS1_25lookback_scan_determinismE0ELb0ES3_N6thrust23THRUST_200600_302600_NS6detail15normal_iteratorINS9_10device_ptrIsEEEESE_SE_sNS9_4plusIvEENS9_8equal_toIsEEsEE10hipError_tPvRmT2_T3_T4_T5_mT6_T7_P12ihipStream_tbENKUlT_T0_E_clISt17integral_constantIbLb0EESY_IbLb1EEEEDaSU_SV_EUlSU_E_NS1_11comp_targetILNS1_3genE4ELNS1_11target_archE910ELNS1_3gpuE8ELNS1_3repE0EEENS1_30default_config_static_selectorELNS0_4arch9wavefront6targetE1EEEvT1_
		.amdhsa_group_segment_fixed_size 12288
		.amdhsa_private_segment_fixed_size 0
		.amdhsa_kernarg_size 112
		.amdhsa_user_sgpr_count 6
		.amdhsa_user_sgpr_private_segment_buffer 1
		.amdhsa_user_sgpr_dispatch_ptr 0
		.amdhsa_user_sgpr_queue_ptr 0
		.amdhsa_user_sgpr_kernarg_segment_ptr 1
		.amdhsa_user_sgpr_dispatch_id 0
		.amdhsa_user_sgpr_flat_scratch_init 0
		.amdhsa_user_sgpr_kernarg_preload_length 0
		.amdhsa_user_sgpr_kernarg_preload_offset 0
		.amdhsa_user_sgpr_private_segment_size 0
		.amdhsa_uses_dynamic_stack 0
		.amdhsa_system_sgpr_private_segment_wavefront_offset 0
		.amdhsa_system_sgpr_workgroup_id_x 1
		.amdhsa_system_sgpr_workgroup_id_y 0
		.amdhsa_system_sgpr_workgroup_id_z 0
		.amdhsa_system_sgpr_workgroup_info 0
		.amdhsa_system_vgpr_workitem_id 0
		.amdhsa_next_free_vgpr 58
		.amdhsa_next_free_sgpr 82
		.amdhsa_accum_offset 60
		.amdhsa_reserve_vcc 1
		.amdhsa_reserve_flat_scratch 0
		.amdhsa_float_round_mode_32 0
		.amdhsa_float_round_mode_16_64 0
		.amdhsa_float_denorm_mode_32 3
		.amdhsa_float_denorm_mode_16_64 3
		.amdhsa_dx10_clamp 1
		.amdhsa_ieee_mode 1
		.amdhsa_fp16_overflow 0
		.amdhsa_tg_split 0
		.amdhsa_exception_fp_ieee_invalid_op 0
		.amdhsa_exception_fp_denorm_src 0
		.amdhsa_exception_fp_ieee_div_zero 0
		.amdhsa_exception_fp_ieee_overflow 0
		.amdhsa_exception_fp_ieee_underflow 0
		.amdhsa_exception_fp_ieee_inexact 0
		.amdhsa_exception_int_div_zero 0
	.end_amdhsa_kernel
	.section	.text._ZN7rocprim17ROCPRIM_400000_NS6detail17trampoline_kernelINS0_14default_configENS1_27scan_by_key_config_selectorIssEEZZNS1_16scan_by_key_implILNS1_25lookback_scan_determinismE0ELb0ES3_N6thrust23THRUST_200600_302600_NS6detail15normal_iteratorINS9_10device_ptrIsEEEESE_SE_sNS9_4plusIvEENS9_8equal_toIsEEsEE10hipError_tPvRmT2_T3_T4_T5_mT6_T7_P12ihipStream_tbENKUlT_T0_E_clISt17integral_constantIbLb0EESY_IbLb1EEEEDaSU_SV_EUlSU_E_NS1_11comp_targetILNS1_3genE4ELNS1_11target_archE910ELNS1_3gpuE8ELNS1_3repE0EEENS1_30default_config_static_selectorELNS0_4arch9wavefront6targetE1EEEvT1_,"axG",@progbits,_ZN7rocprim17ROCPRIM_400000_NS6detail17trampoline_kernelINS0_14default_configENS1_27scan_by_key_config_selectorIssEEZZNS1_16scan_by_key_implILNS1_25lookback_scan_determinismE0ELb0ES3_N6thrust23THRUST_200600_302600_NS6detail15normal_iteratorINS9_10device_ptrIsEEEESE_SE_sNS9_4plusIvEENS9_8equal_toIsEEsEE10hipError_tPvRmT2_T3_T4_T5_mT6_T7_P12ihipStream_tbENKUlT_T0_E_clISt17integral_constantIbLb0EESY_IbLb1EEEEDaSU_SV_EUlSU_E_NS1_11comp_targetILNS1_3genE4ELNS1_11target_archE910ELNS1_3gpuE8ELNS1_3repE0EEENS1_30default_config_static_selectorELNS0_4arch9wavefront6targetE1EEEvT1_,comdat
.Lfunc_end347:
	.size	_ZN7rocprim17ROCPRIM_400000_NS6detail17trampoline_kernelINS0_14default_configENS1_27scan_by_key_config_selectorIssEEZZNS1_16scan_by_key_implILNS1_25lookback_scan_determinismE0ELb0ES3_N6thrust23THRUST_200600_302600_NS6detail15normal_iteratorINS9_10device_ptrIsEEEESE_SE_sNS9_4plusIvEENS9_8equal_toIsEEsEE10hipError_tPvRmT2_T3_T4_T5_mT6_T7_P12ihipStream_tbENKUlT_T0_E_clISt17integral_constantIbLb0EESY_IbLb1EEEEDaSU_SV_EUlSU_E_NS1_11comp_targetILNS1_3genE4ELNS1_11target_archE910ELNS1_3gpuE8ELNS1_3repE0EEENS1_30default_config_static_selectorELNS0_4arch9wavefront6targetE1EEEvT1_, .Lfunc_end347-_ZN7rocprim17ROCPRIM_400000_NS6detail17trampoline_kernelINS0_14default_configENS1_27scan_by_key_config_selectorIssEEZZNS1_16scan_by_key_implILNS1_25lookback_scan_determinismE0ELb0ES3_N6thrust23THRUST_200600_302600_NS6detail15normal_iteratorINS9_10device_ptrIsEEEESE_SE_sNS9_4plusIvEENS9_8equal_toIsEEsEE10hipError_tPvRmT2_T3_T4_T5_mT6_T7_P12ihipStream_tbENKUlT_T0_E_clISt17integral_constantIbLb0EESY_IbLb1EEEEDaSU_SV_EUlSU_E_NS1_11comp_targetILNS1_3genE4ELNS1_11target_archE910ELNS1_3gpuE8ELNS1_3repE0EEENS1_30default_config_static_selectorELNS0_4arch9wavefront6targetE1EEEvT1_
                                        ; -- End function
	.section	.AMDGPU.csdata,"",@progbits
; Kernel info:
; codeLenInByte = 15612
; NumSgprs: 86
; NumVgprs: 58
; NumAgprs: 0
; TotalNumVgprs: 58
; ScratchSize: 0
; MemoryBound: 0
; FloatMode: 240
; IeeeMode: 1
; LDSByteSize: 12288 bytes/workgroup (compile time only)
; SGPRBlocks: 10
; VGPRBlocks: 7
; NumSGPRsForWavesPerEU: 86
; NumVGPRsForWavesPerEU: 58
; AccumOffset: 60
; Occupancy: 5
; WaveLimiterHint : 1
; COMPUTE_PGM_RSRC2:SCRATCH_EN: 0
; COMPUTE_PGM_RSRC2:USER_SGPR: 6
; COMPUTE_PGM_RSRC2:TRAP_HANDLER: 0
; COMPUTE_PGM_RSRC2:TGID_X_EN: 1
; COMPUTE_PGM_RSRC2:TGID_Y_EN: 0
; COMPUTE_PGM_RSRC2:TGID_Z_EN: 0
; COMPUTE_PGM_RSRC2:TIDIG_COMP_CNT: 0
; COMPUTE_PGM_RSRC3_GFX90A:ACCUM_OFFSET: 14
; COMPUTE_PGM_RSRC3_GFX90A:TG_SPLIT: 0
	.section	.text._ZN7rocprim17ROCPRIM_400000_NS6detail17trampoline_kernelINS0_14default_configENS1_27scan_by_key_config_selectorIssEEZZNS1_16scan_by_key_implILNS1_25lookback_scan_determinismE0ELb0ES3_N6thrust23THRUST_200600_302600_NS6detail15normal_iteratorINS9_10device_ptrIsEEEESE_SE_sNS9_4plusIvEENS9_8equal_toIsEEsEE10hipError_tPvRmT2_T3_T4_T5_mT6_T7_P12ihipStream_tbENKUlT_T0_E_clISt17integral_constantIbLb0EESY_IbLb1EEEEDaSU_SV_EUlSU_E_NS1_11comp_targetILNS1_3genE3ELNS1_11target_archE908ELNS1_3gpuE7ELNS1_3repE0EEENS1_30default_config_static_selectorELNS0_4arch9wavefront6targetE1EEEvT1_,"axG",@progbits,_ZN7rocprim17ROCPRIM_400000_NS6detail17trampoline_kernelINS0_14default_configENS1_27scan_by_key_config_selectorIssEEZZNS1_16scan_by_key_implILNS1_25lookback_scan_determinismE0ELb0ES3_N6thrust23THRUST_200600_302600_NS6detail15normal_iteratorINS9_10device_ptrIsEEEESE_SE_sNS9_4plusIvEENS9_8equal_toIsEEsEE10hipError_tPvRmT2_T3_T4_T5_mT6_T7_P12ihipStream_tbENKUlT_T0_E_clISt17integral_constantIbLb0EESY_IbLb1EEEEDaSU_SV_EUlSU_E_NS1_11comp_targetILNS1_3genE3ELNS1_11target_archE908ELNS1_3gpuE7ELNS1_3repE0EEENS1_30default_config_static_selectorELNS0_4arch9wavefront6targetE1EEEvT1_,comdat
	.protected	_ZN7rocprim17ROCPRIM_400000_NS6detail17trampoline_kernelINS0_14default_configENS1_27scan_by_key_config_selectorIssEEZZNS1_16scan_by_key_implILNS1_25lookback_scan_determinismE0ELb0ES3_N6thrust23THRUST_200600_302600_NS6detail15normal_iteratorINS9_10device_ptrIsEEEESE_SE_sNS9_4plusIvEENS9_8equal_toIsEEsEE10hipError_tPvRmT2_T3_T4_T5_mT6_T7_P12ihipStream_tbENKUlT_T0_E_clISt17integral_constantIbLb0EESY_IbLb1EEEEDaSU_SV_EUlSU_E_NS1_11comp_targetILNS1_3genE3ELNS1_11target_archE908ELNS1_3gpuE7ELNS1_3repE0EEENS1_30default_config_static_selectorELNS0_4arch9wavefront6targetE1EEEvT1_ ; -- Begin function _ZN7rocprim17ROCPRIM_400000_NS6detail17trampoline_kernelINS0_14default_configENS1_27scan_by_key_config_selectorIssEEZZNS1_16scan_by_key_implILNS1_25lookback_scan_determinismE0ELb0ES3_N6thrust23THRUST_200600_302600_NS6detail15normal_iteratorINS9_10device_ptrIsEEEESE_SE_sNS9_4plusIvEENS9_8equal_toIsEEsEE10hipError_tPvRmT2_T3_T4_T5_mT6_T7_P12ihipStream_tbENKUlT_T0_E_clISt17integral_constantIbLb0EESY_IbLb1EEEEDaSU_SV_EUlSU_E_NS1_11comp_targetILNS1_3genE3ELNS1_11target_archE908ELNS1_3gpuE7ELNS1_3repE0EEENS1_30default_config_static_selectorELNS0_4arch9wavefront6targetE1EEEvT1_
	.globl	_ZN7rocprim17ROCPRIM_400000_NS6detail17trampoline_kernelINS0_14default_configENS1_27scan_by_key_config_selectorIssEEZZNS1_16scan_by_key_implILNS1_25lookback_scan_determinismE0ELb0ES3_N6thrust23THRUST_200600_302600_NS6detail15normal_iteratorINS9_10device_ptrIsEEEESE_SE_sNS9_4plusIvEENS9_8equal_toIsEEsEE10hipError_tPvRmT2_T3_T4_T5_mT6_T7_P12ihipStream_tbENKUlT_T0_E_clISt17integral_constantIbLb0EESY_IbLb1EEEEDaSU_SV_EUlSU_E_NS1_11comp_targetILNS1_3genE3ELNS1_11target_archE908ELNS1_3gpuE7ELNS1_3repE0EEENS1_30default_config_static_selectorELNS0_4arch9wavefront6targetE1EEEvT1_
	.p2align	8
	.type	_ZN7rocprim17ROCPRIM_400000_NS6detail17trampoline_kernelINS0_14default_configENS1_27scan_by_key_config_selectorIssEEZZNS1_16scan_by_key_implILNS1_25lookback_scan_determinismE0ELb0ES3_N6thrust23THRUST_200600_302600_NS6detail15normal_iteratorINS9_10device_ptrIsEEEESE_SE_sNS9_4plusIvEENS9_8equal_toIsEEsEE10hipError_tPvRmT2_T3_T4_T5_mT6_T7_P12ihipStream_tbENKUlT_T0_E_clISt17integral_constantIbLb0EESY_IbLb1EEEEDaSU_SV_EUlSU_E_NS1_11comp_targetILNS1_3genE3ELNS1_11target_archE908ELNS1_3gpuE7ELNS1_3repE0EEENS1_30default_config_static_selectorELNS0_4arch9wavefront6targetE1EEEvT1_,@function
_ZN7rocprim17ROCPRIM_400000_NS6detail17trampoline_kernelINS0_14default_configENS1_27scan_by_key_config_selectorIssEEZZNS1_16scan_by_key_implILNS1_25lookback_scan_determinismE0ELb0ES3_N6thrust23THRUST_200600_302600_NS6detail15normal_iteratorINS9_10device_ptrIsEEEESE_SE_sNS9_4plusIvEENS9_8equal_toIsEEsEE10hipError_tPvRmT2_T3_T4_T5_mT6_T7_P12ihipStream_tbENKUlT_T0_E_clISt17integral_constantIbLb0EESY_IbLb1EEEEDaSU_SV_EUlSU_E_NS1_11comp_targetILNS1_3genE3ELNS1_11target_archE908ELNS1_3gpuE7ELNS1_3repE0EEENS1_30default_config_static_selectorELNS0_4arch9wavefront6targetE1EEEvT1_: ; @_ZN7rocprim17ROCPRIM_400000_NS6detail17trampoline_kernelINS0_14default_configENS1_27scan_by_key_config_selectorIssEEZZNS1_16scan_by_key_implILNS1_25lookback_scan_determinismE0ELb0ES3_N6thrust23THRUST_200600_302600_NS6detail15normal_iteratorINS9_10device_ptrIsEEEESE_SE_sNS9_4plusIvEENS9_8equal_toIsEEsEE10hipError_tPvRmT2_T3_T4_T5_mT6_T7_P12ihipStream_tbENKUlT_T0_E_clISt17integral_constantIbLb0EESY_IbLb1EEEEDaSU_SV_EUlSU_E_NS1_11comp_targetILNS1_3genE3ELNS1_11target_archE908ELNS1_3gpuE7ELNS1_3repE0EEENS1_30default_config_static_selectorELNS0_4arch9wavefront6targetE1EEEvT1_
; %bb.0:
	.section	.rodata,"a",@progbits
	.p2align	6, 0x0
	.amdhsa_kernel _ZN7rocprim17ROCPRIM_400000_NS6detail17trampoline_kernelINS0_14default_configENS1_27scan_by_key_config_selectorIssEEZZNS1_16scan_by_key_implILNS1_25lookback_scan_determinismE0ELb0ES3_N6thrust23THRUST_200600_302600_NS6detail15normal_iteratorINS9_10device_ptrIsEEEESE_SE_sNS9_4plusIvEENS9_8equal_toIsEEsEE10hipError_tPvRmT2_T3_T4_T5_mT6_T7_P12ihipStream_tbENKUlT_T0_E_clISt17integral_constantIbLb0EESY_IbLb1EEEEDaSU_SV_EUlSU_E_NS1_11comp_targetILNS1_3genE3ELNS1_11target_archE908ELNS1_3gpuE7ELNS1_3repE0EEENS1_30default_config_static_selectorELNS0_4arch9wavefront6targetE1EEEvT1_
		.amdhsa_group_segment_fixed_size 0
		.amdhsa_private_segment_fixed_size 0
		.amdhsa_kernarg_size 112
		.amdhsa_user_sgpr_count 6
		.amdhsa_user_sgpr_private_segment_buffer 1
		.amdhsa_user_sgpr_dispatch_ptr 0
		.amdhsa_user_sgpr_queue_ptr 0
		.amdhsa_user_sgpr_kernarg_segment_ptr 1
		.amdhsa_user_sgpr_dispatch_id 0
		.amdhsa_user_sgpr_flat_scratch_init 0
		.amdhsa_user_sgpr_kernarg_preload_length 0
		.amdhsa_user_sgpr_kernarg_preload_offset 0
		.amdhsa_user_sgpr_private_segment_size 0
		.amdhsa_uses_dynamic_stack 0
		.amdhsa_system_sgpr_private_segment_wavefront_offset 0
		.amdhsa_system_sgpr_workgroup_id_x 1
		.amdhsa_system_sgpr_workgroup_id_y 0
		.amdhsa_system_sgpr_workgroup_id_z 0
		.amdhsa_system_sgpr_workgroup_info 0
		.amdhsa_system_vgpr_workitem_id 0
		.amdhsa_next_free_vgpr 1
		.amdhsa_next_free_sgpr 0
		.amdhsa_accum_offset 4
		.amdhsa_reserve_vcc 0
		.amdhsa_reserve_flat_scratch 0
		.amdhsa_float_round_mode_32 0
		.amdhsa_float_round_mode_16_64 0
		.amdhsa_float_denorm_mode_32 3
		.amdhsa_float_denorm_mode_16_64 3
		.amdhsa_dx10_clamp 1
		.amdhsa_ieee_mode 1
		.amdhsa_fp16_overflow 0
		.amdhsa_tg_split 0
		.amdhsa_exception_fp_ieee_invalid_op 0
		.amdhsa_exception_fp_denorm_src 0
		.amdhsa_exception_fp_ieee_div_zero 0
		.amdhsa_exception_fp_ieee_overflow 0
		.amdhsa_exception_fp_ieee_underflow 0
		.amdhsa_exception_fp_ieee_inexact 0
		.amdhsa_exception_int_div_zero 0
	.end_amdhsa_kernel
	.section	.text._ZN7rocprim17ROCPRIM_400000_NS6detail17trampoline_kernelINS0_14default_configENS1_27scan_by_key_config_selectorIssEEZZNS1_16scan_by_key_implILNS1_25lookback_scan_determinismE0ELb0ES3_N6thrust23THRUST_200600_302600_NS6detail15normal_iteratorINS9_10device_ptrIsEEEESE_SE_sNS9_4plusIvEENS9_8equal_toIsEEsEE10hipError_tPvRmT2_T3_T4_T5_mT6_T7_P12ihipStream_tbENKUlT_T0_E_clISt17integral_constantIbLb0EESY_IbLb1EEEEDaSU_SV_EUlSU_E_NS1_11comp_targetILNS1_3genE3ELNS1_11target_archE908ELNS1_3gpuE7ELNS1_3repE0EEENS1_30default_config_static_selectorELNS0_4arch9wavefront6targetE1EEEvT1_,"axG",@progbits,_ZN7rocprim17ROCPRIM_400000_NS6detail17trampoline_kernelINS0_14default_configENS1_27scan_by_key_config_selectorIssEEZZNS1_16scan_by_key_implILNS1_25lookback_scan_determinismE0ELb0ES3_N6thrust23THRUST_200600_302600_NS6detail15normal_iteratorINS9_10device_ptrIsEEEESE_SE_sNS9_4plusIvEENS9_8equal_toIsEEsEE10hipError_tPvRmT2_T3_T4_T5_mT6_T7_P12ihipStream_tbENKUlT_T0_E_clISt17integral_constantIbLb0EESY_IbLb1EEEEDaSU_SV_EUlSU_E_NS1_11comp_targetILNS1_3genE3ELNS1_11target_archE908ELNS1_3gpuE7ELNS1_3repE0EEENS1_30default_config_static_selectorELNS0_4arch9wavefront6targetE1EEEvT1_,comdat
.Lfunc_end348:
	.size	_ZN7rocprim17ROCPRIM_400000_NS6detail17trampoline_kernelINS0_14default_configENS1_27scan_by_key_config_selectorIssEEZZNS1_16scan_by_key_implILNS1_25lookback_scan_determinismE0ELb0ES3_N6thrust23THRUST_200600_302600_NS6detail15normal_iteratorINS9_10device_ptrIsEEEESE_SE_sNS9_4plusIvEENS9_8equal_toIsEEsEE10hipError_tPvRmT2_T3_T4_T5_mT6_T7_P12ihipStream_tbENKUlT_T0_E_clISt17integral_constantIbLb0EESY_IbLb1EEEEDaSU_SV_EUlSU_E_NS1_11comp_targetILNS1_3genE3ELNS1_11target_archE908ELNS1_3gpuE7ELNS1_3repE0EEENS1_30default_config_static_selectorELNS0_4arch9wavefront6targetE1EEEvT1_, .Lfunc_end348-_ZN7rocprim17ROCPRIM_400000_NS6detail17trampoline_kernelINS0_14default_configENS1_27scan_by_key_config_selectorIssEEZZNS1_16scan_by_key_implILNS1_25lookback_scan_determinismE0ELb0ES3_N6thrust23THRUST_200600_302600_NS6detail15normal_iteratorINS9_10device_ptrIsEEEESE_SE_sNS9_4plusIvEENS9_8equal_toIsEEsEE10hipError_tPvRmT2_T3_T4_T5_mT6_T7_P12ihipStream_tbENKUlT_T0_E_clISt17integral_constantIbLb0EESY_IbLb1EEEEDaSU_SV_EUlSU_E_NS1_11comp_targetILNS1_3genE3ELNS1_11target_archE908ELNS1_3gpuE7ELNS1_3repE0EEENS1_30default_config_static_selectorELNS0_4arch9wavefront6targetE1EEEvT1_
                                        ; -- End function
	.section	.AMDGPU.csdata,"",@progbits
; Kernel info:
; codeLenInByte = 0
; NumSgprs: 4
; NumVgprs: 0
; NumAgprs: 0
; TotalNumVgprs: 0
; ScratchSize: 0
; MemoryBound: 0
; FloatMode: 240
; IeeeMode: 1
; LDSByteSize: 0 bytes/workgroup (compile time only)
; SGPRBlocks: 0
; VGPRBlocks: 0
; NumSGPRsForWavesPerEU: 4
; NumVGPRsForWavesPerEU: 1
; AccumOffset: 4
; Occupancy: 8
; WaveLimiterHint : 0
; COMPUTE_PGM_RSRC2:SCRATCH_EN: 0
; COMPUTE_PGM_RSRC2:USER_SGPR: 6
; COMPUTE_PGM_RSRC2:TRAP_HANDLER: 0
; COMPUTE_PGM_RSRC2:TGID_X_EN: 1
; COMPUTE_PGM_RSRC2:TGID_Y_EN: 0
; COMPUTE_PGM_RSRC2:TGID_Z_EN: 0
; COMPUTE_PGM_RSRC2:TIDIG_COMP_CNT: 0
; COMPUTE_PGM_RSRC3_GFX90A:ACCUM_OFFSET: 0
; COMPUTE_PGM_RSRC3_GFX90A:TG_SPLIT: 0
	.section	.text._ZN7rocprim17ROCPRIM_400000_NS6detail17trampoline_kernelINS0_14default_configENS1_27scan_by_key_config_selectorIssEEZZNS1_16scan_by_key_implILNS1_25lookback_scan_determinismE0ELb0ES3_N6thrust23THRUST_200600_302600_NS6detail15normal_iteratorINS9_10device_ptrIsEEEESE_SE_sNS9_4plusIvEENS9_8equal_toIsEEsEE10hipError_tPvRmT2_T3_T4_T5_mT6_T7_P12ihipStream_tbENKUlT_T0_E_clISt17integral_constantIbLb0EESY_IbLb1EEEEDaSU_SV_EUlSU_E_NS1_11comp_targetILNS1_3genE2ELNS1_11target_archE906ELNS1_3gpuE6ELNS1_3repE0EEENS1_30default_config_static_selectorELNS0_4arch9wavefront6targetE1EEEvT1_,"axG",@progbits,_ZN7rocprim17ROCPRIM_400000_NS6detail17trampoline_kernelINS0_14default_configENS1_27scan_by_key_config_selectorIssEEZZNS1_16scan_by_key_implILNS1_25lookback_scan_determinismE0ELb0ES3_N6thrust23THRUST_200600_302600_NS6detail15normal_iteratorINS9_10device_ptrIsEEEESE_SE_sNS9_4plusIvEENS9_8equal_toIsEEsEE10hipError_tPvRmT2_T3_T4_T5_mT6_T7_P12ihipStream_tbENKUlT_T0_E_clISt17integral_constantIbLb0EESY_IbLb1EEEEDaSU_SV_EUlSU_E_NS1_11comp_targetILNS1_3genE2ELNS1_11target_archE906ELNS1_3gpuE6ELNS1_3repE0EEENS1_30default_config_static_selectorELNS0_4arch9wavefront6targetE1EEEvT1_,comdat
	.protected	_ZN7rocprim17ROCPRIM_400000_NS6detail17trampoline_kernelINS0_14default_configENS1_27scan_by_key_config_selectorIssEEZZNS1_16scan_by_key_implILNS1_25lookback_scan_determinismE0ELb0ES3_N6thrust23THRUST_200600_302600_NS6detail15normal_iteratorINS9_10device_ptrIsEEEESE_SE_sNS9_4plusIvEENS9_8equal_toIsEEsEE10hipError_tPvRmT2_T3_T4_T5_mT6_T7_P12ihipStream_tbENKUlT_T0_E_clISt17integral_constantIbLb0EESY_IbLb1EEEEDaSU_SV_EUlSU_E_NS1_11comp_targetILNS1_3genE2ELNS1_11target_archE906ELNS1_3gpuE6ELNS1_3repE0EEENS1_30default_config_static_selectorELNS0_4arch9wavefront6targetE1EEEvT1_ ; -- Begin function _ZN7rocprim17ROCPRIM_400000_NS6detail17trampoline_kernelINS0_14default_configENS1_27scan_by_key_config_selectorIssEEZZNS1_16scan_by_key_implILNS1_25lookback_scan_determinismE0ELb0ES3_N6thrust23THRUST_200600_302600_NS6detail15normal_iteratorINS9_10device_ptrIsEEEESE_SE_sNS9_4plusIvEENS9_8equal_toIsEEsEE10hipError_tPvRmT2_T3_T4_T5_mT6_T7_P12ihipStream_tbENKUlT_T0_E_clISt17integral_constantIbLb0EESY_IbLb1EEEEDaSU_SV_EUlSU_E_NS1_11comp_targetILNS1_3genE2ELNS1_11target_archE906ELNS1_3gpuE6ELNS1_3repE0EEENS1_30default_config_static_selectorELNS0_4arch9wavefront6targetE1EEEvT1_
	.globl	_ZN7rocprim17ROCPRIM_400000_NS6detail17trampoline_kernelINS0_14default_configENS1_27scan_by_key_config_selectorIssEEZZNS1_16scan_by_key_implILNS1_25lookback_scan_determinismE0ELb0ES3_N6thrust23THRUST_200600_302600_NS6detail15normal_iteratorINS9_10device_ptrIsEEEESE_SE_sNS9_4plusIvEENS9_8equal_toIsEEsEE10hipError_tPvRmT2_T3_T4_T5_mT6_T7_P12ihipStream_tbENKUlT_T0_E_clISt17integral_constantIbLb0EESY_IbLb1EEEEDaSU_SV_EUlSU_E_NS1_11comp_targetILNS1_3genE2ELNS1_11target_archE906ELNS1_3gpuE6ELNS1_3repE0EEENS1_30default_config_static_selectorELNS0_4arch9wavefront6targetE1EEEvT1_
	.p2align	8
	.type	_ZN7rocprim17ROCPRIM_400000_NS6detail17trampoline_kernelINS0_14default_configENS1_27scan_by_key_config_selectorIssEEZZNS1_16scan_by_key_implILNS1_25lookback_scan_determinismE0ELb0ES3_N6thrust23THRUST_200600_302600_NS6detail15normal_iteratorINS9_10device_ptrIsEEEESE_SE_sNS9_4plusIvEENS9_8equal_toIsEEsEE10hipError_tPvRmT2_T3_T4_T5_mT6_T7_P12ihipStream_tbENKUlT_T0_E_clISt17integral_constantIbLb0EESY_IbLb1EEEEDaSU_SV_EUlSU_E_NS1_11comp_targetILNS1_3genE2ELNS1_11target_archE906ELNS1_3gpuE6ELNS1_3repE0EEENS1_30default_config_static_selectorELNS0_4arch9wavefront6targetE1EEEvT1_,@function
_ZN7rocprim17ROCPRIM_400000_NS6detail17trampoline_kernelINS0_14default_configENS1_27scan_by_key_config_selectorIssEEZZNS1_16scan_by_key_implILNS1_25lookback_scan_determinismE0ELb0ES3_N6thrust23THRUST_200600_302600_NS6detail15normal_iteratorINS9_10device_ptrIsEEEESE_SE_sNS9_4plusIvEENS9_8equal_toIsEEsEE10hipError_tPvRmT2_T3_T4_T5_mT6_T7_P12ihipStream_tbENKUlT_T0_E_clISt17integral_constantIbLb0EESY_IbLb1EEEEDaSU_SV_EUlSU_E_NS1_11comp_targetILNS1_3genE2ELNS1_11target_archE906ELNS1_3gpuE6ELNS1_3repE0EEENS1_30default_config_static_selectorELNS0_4arch9wavefront6targetE1EEEvT1_: ; @_ZN7rocprim17ROCPRIM_400000_NS6detail17trampoline_kernelINS0_14default_configENS1_27scan_by_key_config_selectorIssEEZZNS1_16scan_by_key_implILNS1_25lookback_scan_determinismE0ELb0ES3_N6thrust23THRUST_200600_302600_NS6detail15normal_iteratorINS9_10device_ptrIsEEEESE_SE_sNS9_4plusIvEENS9_8equal_toIsEEsEE10hipError_tPvRmT2_T3_T4_T5_mT6_T7_P12ihipStream_tbENKUlT_T0_E_clISt17integral_constantIbLb0EESY_IbLb1EEEEDaSU_SV_EUlSU_E_NS1_11comp_targetILNS1_3genE2ELNS1_11target_archE906ELNS1_3gpuE6ELNS1_3repE0EEENS1_30default_config_static_selectorELNS0_4arch9wavefront6targetE1EEEvT1_
; %bb.0:
	.section	.rodata,"a",@progbits
	.p2align	6, 0x0
	.amdhsa_kernel _ZN7rocprim17ROCPRIM_400000_NS6detail17trampoline_kernelINS0_14default_configENS1_27scan_by_key_config_selectorIssEEZZNS1_16scan_by_key_implILNS1_25lookback_scan_determinismE0ELb0ES3_N6thrust23THRUST_200600_302600_NS6detail15normal_iteratorINS9_10device_ptrIsEEEESE_SE_sNS9_4plusIvEENS9_8equal_toIsEEsEE10hipError_tPvRmT2_T3_T4_T5_mT6_T7_P12ihipStream_tbENKUlT_T0_E_clISt17integral_constantIbLb0EESY_IbLb1EEEEDaSU_SV_EUlSU_E_NS1_11comp_targetILNS1_3genE2ELNS1_11target_archE906ELNS1_3gpuE6ELNS1_3repE0EEENS1_30default_config_static_selectorELNS0_4arch9wavefront6targetE1EEEvT1_
		.amdhsa_group_segment_fixed_size 0
		.amdhsa_private_segment_fixed_size 0
		.amdhsa_kernarg_size 112
		.amdhsa_user_sgpr_count 6
		.amdhsa_user_sgpr_private_segment_buffer 1
		.amdhsa_user_sgpr_dispatch_ptr 0
		.amdhsa_user_sgpr_queue_ptr 0
		.amdhsa_user_sgpr_kernarg_segment_ptr 1
		.amdhsa_user_sgpr_dispatch_id 0
		.amdhsa_user_sgpr_flat_scratch_init 0
		.amdhsa_user_sgpr_kernarg_preload_length 0
		.amdhsa_user_sgpr_kernarg_preload_offset 0
		.amdhsa_user_sgpr_private_segment_size 0
		.amdhsa_uses_dynamic_stack 0
		.amdhsa_system_sgpr_private_segment_wavefront_offset 0
		.amdhsa_system_sgpr_workgroup_id_x 1
		.amdhsa_system_sgpr_workgroup_id_y 0
		.amdhsa_system_sgpr_workgroup_id_z 0
		.amdhsa_system_sgpr_workgroup_info 0
		.amdhsa_system_vgpr_workitem_id 0
		.amdhsa_next_free_vgpr 1
		.amdhsa_next_free_sgpr 0
		.amdhsa_accum_offset 4
		.amdhsa_reserve_vcc 0
		.amdhsa_reserve_flat_scratch 0
		.amdhsa_float_round_mode_32 0
		.amdhsa_float_round_mode_16_64 0
		.amdhsa_float_denorm_mode_32 3
		.amdhsa_float_denorm_mode_16_64 3
		.amdhsa_dx10_clamp 1
		.amdhsa_ieee_mode 1
		.amdhsa_fp16_overflow 0
		.amdhsa_tg_split 0
		.amdhsa_exception_fp_ieee_invalid_op 0
		.amdhsa_exception_fp_denorm_src 0
		.amdhsa_exception_fp_ieee_div_zero 0
		.amdhsa_exception_fp_ieee_overflow 0
		.amdhsa_exception_fp_ieee_underflow 0
		.amdhsa_exception_fp_ieee_inexact 0
		.amdhsa_exception_int_div_zero 0
	.end_amdhsa_kernel
	.section	.text._ZN7rocprim17ROCPRIM_400000_NS6detail17trampoline_kernelINS0_14default_configENS1_27scan_by_key_config_selectorIssEEZZNS1_16scan_by_key_implILNS1_25lookback_scan_determinismE0ELb0ES3_N6thrust23THRUST_200600_302600_NS6detail15normal_iteratorINS9_10device_ptrIsEEEESE_SE_sNS9_4plusIvEENS9_8equal_toIsEEsEE10hipError_tPvRmT2_T3_T4_T5_mT6_T7_P12ihipStream_tbENKUlT_T0_E_clISt17integral_constantIbLb0EESY_IbLb1EEEEDaSU_SV_EUlSU_E_NS1_11comp_targetILNS1_3genE2ELNS1_11target_archE906ELNS1_3gpuE6ELNS1_3repE0EEENS1_30default_config_static_selectorELNS0_4arch9wavefront6targetE1EEEvT1_,"axG",@progbits,_ZN7rocprim17ROCPRIM_400000_NS6detail17trampoline_kernelINS0_14default_configENS1_27scan_by_key_config_selectorIssEEZZNS1_16scan_by_key_implILNS1_25lookback_scan_determinismE0ELb0ES3_N6thrust23THRUST_200600_302600_NS6detail15normal_iteratorINS9_10device_ptrIsEEEESE_SE_sNS9_4plusIvEENS9_8equal_toIsEEsEE10hipError_tPvRmT2_T3_T4_T5_mT6_T7_P12ihipStream_tbENKUlT_T0_E_clISt17integral_constantIbLb0EESY_IbLb1EEEEDaSU_SV_EUlSU_E_NS1_11comp_targetILNS1_3genE2ELNS1_11target_archE906ELNS1_3gpuE6ELNS1_3repE0EEENS1_30default_config_static_selectorELNS0_4arch9wavefront6targetE1EEEvT1_,comdat
.Lfunc_end349:
	.size	_ZN7rocprim17ROCPRIM_400000_NS6detail17trampoline_kernelINS0_14default_configENS1_27scan_by_key_config_selectorIssEEZZNS1_16scan_by_key_implILNS1_25lookback_scan_determinismE0ELb0ES3_N6thrust23THRUST_200600_302600_NS6detail15normal_iteratorINS9_10device_ptrIsEEEESE_SE_sNS9_4plusIvEENS9_8equal_toIsEEsEE10hipError_tPvRmT2_T3_T4_T5_mT6_T7_P12ihipStream_tbENKUlT_T0_E_clISt17integral_constantIbLb0EESY_IbLb1EEEEDaSU_SV_EUlSU_E_NS1_11comp_targetILNS1_3genE2ELNS1_11target_archE906ELNS1_3gpuE6ELNS1_3repE0EEENS1_30default_config_static_selectorELNS0_4arch9wavefront6targetE1EEEvT1_, .Lfunc_end349-_ZN7rocprim17ROCPRIM_400000_NS6detail17trampoline_kernelINS0_14default_configENS1_27scan_by_key_config_selectorIssEEZZNS1_16scan_by_key_implILNS1_25lookback_scan_determinismE0ELb0ES3_N6thrust23THRUST_200600_302600_NS6detail15normal_iteratorINS9_10device_ptrIsEEEESE_SE_sNS9_4plusIvEENS9_8equal_toIsEEsEE10hipError_tPvRmT2_T3_T4_T5_mT6_T7_P12ihipStream_tbENKUlT_T0_E_clISt17integral_constantIbLb0EESY_IbLb1EEEEDaSU_SV_EUlSU_E_NS1_11comp_targetILNS1_3genE2ELNS1_11target_archE906ELNS1_3gpuE6ELNS1_3repE0EEENS1_30default_config_static_selectorELNS0_4arch9wavefront6targetE1EEEvT1_
                                        ; -- End function
	.section	.AMDGPU.csdata,"",@progbits
; Kernel info:
; codeLenInByte = 0
; NumSgprs: 4
; NumVgprs: 0
; NumAgprs: 0
; TotalNumVgprs: 0
; ScratchSize: 0
; MemoryBound: 0
; FloatMode: 240
; IeeeMode: 1
; LDSByteSize: 0 bytes/workgroup (compile time only)
; SGPRBlocks: 0
; VGPRBlocks: 0
; NumSGPRsForWavesPerEU: 4
; NumVGPRsForWavesPerEU: 1
; AccumOffset: 4
; Occupancy: 8
; WaveLimiterHint : 0
; COMPUTE_PGM_RSRC2:SCRATCH_EN: 0
; COMPUTE_PGM_RSRC2:USER_SGPR: 6
; COMPUTE_PGM_RSRC2:TRAP_HANDLER: 0
; COMPUTE_PGM_RSRC2:TGID_X_EN: 1
; COMPUTE_PGM_RSRC2:TGID_Y_EN: 0
; COMPUTE_PGM_RSRC2:TGID_Z_EN: 0
; COMPUTE_PGM_RSRC2:TIDIG_COMP_CNT: 0
; COMPUTE_PGM_RSRC3_GFX90A:ACCUM_OFFSET: 0
; COMPUTE_PGM_RSRC3_GFX90A:TG_SPLIT: 0
	.section	.text._ZN7rocprim17ROCPRIM_400000_NS6detail17trampoline_kernelINS0_14default_configENS1_27scan_by_key_config_selectorIssEEZZNS1_16scan_by_key_implILNS1_25lookback_scan_determinismE0ELb0ES3_N6thrust23THRUST_200600_302600_NS6detail15normal_iteratorINS9_10device_ptrIsEEEESE_SE_sNS9_4plusIvEENS9_8equal_toIsEEsEE10hipError_tPvRmT2_T3_T4_T5_mT6_T7_P12ihipStream_tbENKUlT_T0_E_clISt17integral_constantIbLb0EESY_IbLb1EEEEDaSU_SV_EUlSU_E_NS1_11comp_targetILNS1_3genE10ELNS1_11target_archE1200ELNS1_3gpuE4ELNS1_3repE0EEENS1_30default_config_static_selectorELNS0_4arch9wavefront6targetE1EEEvT1_,"axG",@progbits,_ZN7rocprim17ROCPRIM_400000_NS6detail17trampoline_kernelINS0_14default_configENS1_27scan_by_key_config_selectorIssEEZZNS1_16scan_by_key_implILNS1_25lookback_scan_determinismE0ELb0ES3_N6thrust23THRUST_200600_302600_NS6detail15normal_iteratorINS9_10device_ptrIsEEEESE_SE_sNS9_4plusIvEENS9_8equal_toIsEEsEE10hipError_tPvRmT2_T3_T4_T5_mT6_T7_P12ihipStream_tbENKUlT_T0_E_clISt17integral_constantIbLb0EESY_IbLb1EEEEDaSU_SV_EUlSU_E_NS1_11comp_targetILNS1_3genE10ELNS1_11target_archE1200ELNS1_3gpuE4ELNS1_3repE0EEENS1_30default_config_static_selectorELNS0_4arch9wavefront6targetE1EEEvT1_,comdat
	.protected	_ZN7rocprim17ROCPRIM_400000_NS6detail17trampoline_kernelINS0_14default_configENS1_27scan_by_key_config_selectorIssEEZZNS1_16scan_by_key_implILNS1_25lookback_scan_determinismE0ELb0ES3_N6thrust23THRUST_200600_302600_NS6detail15normal_iteratorINS9_10device_ptrIsEEEESE_SE_sNS9_4plusIvEENS9_8equal_toIsEEsEE10hipError_tPvRmT2_T3_T4_T5_mT6_T7_P12ihipStream_tbENKUlT_T0_E_clISt17integral_constantIbLb0EESY_IbLb1EEEEDaSU_SV_EUlSU_E_NS1_11comp_targetILNS1_3genE10ELNS1_11target_archE1200ELNS1_3gpuE4ELNS1_3repE0EEENS1_30default_config_static_selectorELNS0_4arch9wavefront6targetE1EEEvT1_ ; -- Begin function _ZN7rocprim17ROCPRIM_400000_NS6detail17trampoline_kernelINS0_14default_configENS1_27scan_by_key_config_selectorIssEEZZNS1_16scan_by_key_implILNS1_25lookback_scan_determinismE0ELb0ES3_N6thrust23THRUST_200600_302600_NS6detail15normal_iteratorINS9_10device_ptrIsEEEESE_SE_sNS9_4plusIvEENS9_8equal_toIsEEsEE10hipError_tPvRmT2_T3_T4_T5_mT6_T7_P12ihipStream_tbENKUlT_T0_E_clISt17integral_constantIbLb0EESY_IbLb1EEEEDaSU_SV_EUlSU_E_NS1_11comp_targetILNS1_3genE10ELNS1_11target_archE1200ELNS1_3gpuE4ELNS1_3repE0EEENS1_30default_config_static_selectorELNS0_4arch9wavefront6targetE1EEEvT1_
	.globl	_ZN7rocprim17ROCPRIM_400000_NS6detail17trampoline_kernelINS0_14default_configENS1_27scan_by_key_config_selectorIssEEZZNS1_16scan_by_key_implILNS1_25lookback_scan_determinismE0ELb0ES3_N6thrust23THRUST_200600_302600_NS6detail15normal_iteratorINS9_10device_ptrIsEEEESE_SE_sNS9_4plusIvEENS9_8equal_toIsEEsEE10hipError_tPvRmT2_T3_T4_T5_mT6_T7_P12ihipStream_tbENKUlT_T0_E_clISt17integral_constantIbLb0EESY_IbLb1EEEEDaSU_SV_EUlSU_E_NS1_11comp_targetILNS1_3genE10ELNS1_11target_archE1200ELNS1_3gpuE4ELNS1_3repE0EEENS1_30default_config_static_selectorELNS0_4arch9wavefront6targetE1EEEvT1_
	.p2align	8
	.type	_ZN7rocprim17ROCPRIM_400000_NS6detail17trampoline_kernelINS0_14default_configENS1_27scan_by_key_config_selectorIssEEZZNS1_16scan_by_key_implILNS1_25lookback_scan_determinismE0ELb0ES3_N6thrust23THRUST_200600_302600_NS6detail15normal_iteratorINS9_10device_ptrIsEEEESE_SE_sNS9_4plusIvEENS9_8equal_toIsEEsEE10hipError_tPvRmT2_T3_T4_T5_mT6_T7_P12ihipStream_tbENKUlT_T0_E_clISt17integral_constantIbLb0EESY_IbLb1EEEEDaSU_SV_EUlSU_E_NS1_11comp_targetILNS1_3genE10ELNS1_11target_archE1200ELNS1_3gpuE4ELNS1_3repE0EEENS1_30default_config_static_selectorELNS0_4arch9wavefront6targetE1EEEvT1_,@function
_ZN7rocprim17ROCPRIM_400000_NS6detail17trampoline_kernelINS0_14default_configENS1_27scan_by_key_config_selectorIssEEZZNS1_16scan_by_key_implILNS1_25lookback_scan_determinismE0ELb0ES3_N6thrust23THRUST_200600_302600_NS6detail15normal_iteratorINS9_10device_ptrIsEEEESE_SE_sNS9_4plusIvEENS9_8equal_toIsEEsEE10hipError_tPvRmT2_T3_T4_T5_mT6_T7_P12ihipStream_tbENKUlT_T0_E_clISt17integral_constantIbLb0EESY_IbLb1EEEEDaSU_SV_EUlSU_E_NS1_11comp_targetILNS1_3genE10ELNS1_11target_archE1200ELNS1_3gpuE4ELNS1_3repE0EEENS1_30default_config_static_selectorELNS0_4arch9wavefront6targetE1EEEvT1_: ; @_ZN7rocprim17ROCPRIM_400000_NS6detail17trampoline_kernelINS0_14default_configENS1_27scan_by_key_config_selectorIssEEZZNS1_16scan_by_key_implILNS1_25lookback_scan_determinismE0ELb0ES3_N6thrust23THRUST_200600_302600_NS6detail15normal_iteratorINS9_10device_ptrIsEEEESE_SE_sNS9_4plusIvEENS9_8equal_toIsEEsEE10hipError_tPvRmT2_T3_T4_T5_mT6_T7_P12ihipStream_tbENKUlT_T0_E_clISt17integral_constantIbLb0EESY_IbLb1EEEEDaSU_SV_EUlSU_E_NS1_11comp_targetILNS1_3genE10ELNS1_11target_archE1200ELNS1_3gpuE4ELNS1_3repE0EEENS1_30default_config_static_selectorELNS0_4arch9wavefront6targetE1EEEvT1_
; %bb.0:
	.section	.rodata,"a",@progbits
	.p2align	6, 0x0
	.amdhsa_kernel _ZN7rocprim17ROCPRIM_400000_NS6detail17trampoline_kernelINS0_14default_configENS1_27scan_by_key_config_selectorIssEEZZNS1_16scan_by_key_implILNS1_25lookback_scan_determinismE0ELb0ES3_N6thrust23THRUST_200600_302600_NS6detail15normal_iteratorINS9_10device_ptrIsEEEESE_SE_sNS9_4plusIvEENS9_8equal_toIsEEsEE10hipError_tPvRmT2_T3_T4_T5_mT6_T7_P12ihipStream_tbENKUlT_T0_E_clISt17integral_constantIbLb0EESY_IbLb1EEEEDaSU_SV_EUlSU_E_NS1_11comp_targetILNS1_3genE10ELNS1_11target_archE1200ELNS1_3gpuE4ELNS1_3repE0EEENS1_30default_config_static_selectorELNS0_4arch9wavefront6targetE1EEEvT1_
		.amdhsa_group_segment_fixed_size 0
		.amdhsa_private_segment_fixed_size 0
		.amdhsa_kernarg_size 112
		.amdhsa_user_sgpr_count 6
		.amdhsa_user_sgpr_private_segment_buffer 1
		.amdhsa_user_sgpr_dispatch_ptr 0
		.amdhsa_user_sgpr_queue_ptr 0
		.amdhsa_user_sgpr_kernarg_segment_ptr 1
		.amdhsa_user_sgpr_dispatch_id 0
		.amdhsa_user_sgpr_flat_scratch_init 0
		.amdhsa_user_sgpr_kernarg_preload_length 0
		.amdhsa_user_sgpr_kernarg_preload_offset 0
		.amdhsa_user_sgpr_private_segment_size 0
		.amdhsa_uses_dynamic_stack 0
		.amdhsa_system_sgpr_private_segment_wavefront_offset 0
		.amdhsa_system_sgpr_workgroup_id_x 1
		.amdhsa_system_sgpr_workgroup_id_y 0
		.amdhsa_system_sgpr_workgroup_id_z 0
		.amdhsa_system_sgpr_workgroup_info 0
		.amdhsa_system_vgpr_workitem_id 0
		.amdhsa_next_free_vgpr 1
		.amdhsa_next_free_sgpr 0
		.amdhsa_accum_offset 4
		.amdhsa_reserve_vcc 0
		.amdhsa_reserve_flat_scratch 0
		.amdhsa_float_round_mode_32 0
		.amdhsa_float_round_mode_16_64 0
		.amdhsa_float_denorm_mode_32 3
		.amdhsa_float_denorm_mode_16_64 3
		.amdhsa_dx10_clamp 1
		.amdhsa_ieee_mode 1
		.amdhsa_fp16_overflow 0
		.amdhsa_tg_split 0
		.amdhsa_exception_fp_ieee_invalid_op 0
		.amdhsa_exception_fp_denorm_src 0
		.amdhsa_exception_fp_ieee_div_zero 0
		.amdhsa_exception_fp_ieee_overflow 0
		.amdhsa_exception_fp_ieee_underflow 0
		.amdhsa_exception_fp_ieee_inexact 0
		.amdhsa_exception_int_div_zero 0
	.end_amdhsa_kernel
	.section	.text._ZN7rocprim17ROCPRIM_400000_NS6detail17trampoline_kernelINS0_14default_configENS1_27scan_by_key_config_selectorIssEEZZNS1_16scan_by_key_implILNS1_25lookback_scan_determinismE0ELb0ES3_N6thrust23THRUST_200600_302600_NS6detail15normal_iteratorINS9_10device_ptrIsEEEESE_SE_sNS9_4plusIvEENS9_8equal_toIsEEsEE10hipError_tPvRmT2_T3_T4_T5_mT6_T7_P12ihipStream_tbENKUlT_T0_E_clISt17integral_constantIbLb0EESY_IbLb1EEEEDaSU_SV_EUlSU_E_NS1_11comp_targetILNS1_3genE10ELNS1_11target_archE1200ELNS1_3gpuE4ELNS1_3repE0EEENS1_30default_config_static_selectorELNS0_4arch9wavefront6targetE1EEEvT1_,"axG",@progbits,_ZN7rocprim17ROCPRIM_400000_NS6detail17trampoline_kernelINS0_14default_configENS1_27scan_by_key_config_selectorIssEEZZNS1_16scan_by_key_implILNS1_25lookback_scan_determinismE0ELb0ES3_N6thrust23THRUST_200600_302600_NS6detail15normal_iteratorINS9_10device_ptrIsEEEESE_SE_sNS9_4plusIvEENS9_8equal_toIsEEsEE10hipError_tPvRmT2_T3_T4_T5_mT6_T7_P12ihipStream_tbENKUlT_T0_E_clISt17integral_constantIbLb0EESY_IbLb1EEEEDaSU_SV_EUlSU_E_NS1_11comp_targetILNS1_3genE10ELNS1_11target_archE1200ELNS1_3gpuE4ELNS1_3repE0EEENS1_30default_config_static_selectorELNS0_4arch9wavefront6targetE1EEEvT1_,comdat
.Lfunc_end350:
	.size	_ZN7rocprim17ROCPRIM_400000_NS6detail17trampoline_kernelINS0_14default_configENS1_27scan_by_key_config_selectorIssEEZZNS1_16scan_by_key_implILNS1_25lookback_scan_determinismE0ELb0ES3_N6thrust23THRUST_200600_302600_NS6detail15normal_iteratorINS9_10device_ptrIsEEEESE_SE_sNS9_4plusIvEENS9_8equal_toIsEEsEE10hipError_tPvRmT2_T3_T4_T5_mT6_T7_P12ihipStream_tbENKUlT_T0_E_clISt17integral_constantIbLb0EESY_IbLb1EEEEDaSU_SV_EUlSU_E_NS1_11comp_targetILNS1_3genE10ELNS1_11target_archE1200ELNS1_3gpuE4ELNS1_3repE0EEENS1_30default_config_static_selectorELNS0_4arch9wavefront6targetE1EEEvT1_, .Lfunc_end350-_ZN7rocprim17ROCPRIM_400000_NS6detail17trampoline_kernelINS0_14default_configENS1_27scan_by_key_config_selectorIssEEZZNS1_16scan_by_key_implILNS1_25lookback_scan_determinismE0ELb0ES3_N6thrust23THRUST_200600_302600_NS6detail15normal_iteratorINS9_10device_ptrIsEEEESE_SE_sNS9_4plusIvEENS9_8equal_toIsEEsEE10hipError_tPvRmT2_T3_T4_T5_mT6_T7_P12ihipStream_tbENKUlT_T0_E_clISt17integral_constantIbLb0EESY_IbLb1EEEEDaSU_SV_EUlSU_E_NS1_11comp_targetILNS1_3genE10ELNS1_11target_archE1200ELNS1_3gpuE4ELNS1_3repE0EEENS1_30default_config_static_selectorELNS0_4arch9wavefront6targetE1EEEvT1_
                                        ; -- End function
	.section	.AMDGPU.csdata,"",@progbits
; Kernel info:
; codeLenInByte = 0
; NumSgprs: 4
; NumVgprs: 0
; NumAgprs: 0
; TotalNumVgprs: 0
; ScratchSize: 0
; MemoryBound: 0
; FloatMode: 240
; IeeeMode: 1
; LDSByteSize: 0 bytes/workgroup (compile time only)
; SGPRBlocks: 0
; VGPRBlocks: 0
; NumSGPRsForWavesPerEU: 4
; NumVGPRsForWavesPerEU: 1
; AccumOffset: 4
; Occupancy: 8
; WaveLimiterHint : 0
; COMPUTE_PGM_RSRC2:SCRATCH_EN: 0
; COMPUTE_PGM_RSRC2:USER_SGPR: 6
; COMPUTE_PGM_RSRC2:TRAP_HANDLER: 0
; COMPUTE_PGM_RSRC2:TGID_X_EN: 1
; COMPUTE_PGM_RSRC2:TGID_Y_EN: 0
; COMPUTE_PGM_RSRC2:TGID_Z_EN: 0
; COMPUTE_PGM_RSRC2:TIDIG_COMP_CNT: 0
; COMPUTE_PGM_RSRC3_GFX90A:ACCUM_OFFSET: 0
; COMPUTE_PGM_RSRC3_GFX90A:TG_SPLIT: 0
	.section	.text._ZN7rocprim17ROCPRIM_400000_NS6detail17trampoline_kernelINS0_14default_configENS1_27scan_by_key_config_selectorIssEEZZNS1_16scan_by_key_implILNS1_25lookback_scan_determinismE0ELb0ES3_N6thrust23THRUST_200600_302600_NS6detail15normal_iteratorINS9_10device_ptrIsEEEESE_SE_sNS9_4plusIvEENS9_8equal_toIsEEsEE10hipError_tPvRmT2_T3_T4_T5_mT6_T7_P12ihipStream_tbENKUlT_T0_E_clISt17integral_constantIbLb0EESY_IbLb1EEEEDaSU_SV_EUlSU_E_NS1_11comp_targetILNS1_3genE9ELNS1_11target_archE1100ELNS1_3gpuE3ELNS1_3repE0EEENS1_30default_config_static_selectorELNS0_4arch9wavefront6targetE1EEEvT1_,"axG",@progbits,_ZN7rocprim17ROCPRIM_400000_NS6detail17trampoline_kernelINS0_14default_configENS1_27scan_by_key_config_selectorIssEEZZNS1_16scan_by_key_implILNS1_25lookback_scan_determinismE0ELb0ES3_N6thrust23THRUST_200600_302600_NS6detail15normal_iteratorINS9_10device_ptrIsEEEESE_SE_sNS9_4plusIvEENS9_8equal_toIsEEsEE10hipError_tPvRmT2_T3_T4_T5_mT6_T7_P12ihipStream_tbENKUlT_T0_E_clISt17integral_constantIbLb0EESY_IbLb1EEEEDaSU_SV_EUlSU_E_NS1_11comp_targetILNS1_3genE9ELNS1_11target_archE1100ELNS1_3gpuE3ELNS1_3repE0EEENS1_30default_config_static_selectorELNS0_4arch9wavefront6targetE1EEEvT1_,comdat
	.protected	_ZN7rocprim17ROCPRIM_400000_NS6detail17trampoline_kernelINS0_14default_configENS1_27scan_by_key_config_selectorIssEEZZNS1_16scan_by_key_implILNS1_25lookback_scan_determinismE0ELb0ES3_N6thrust23THRUST_200600_302600_NS6detail15normal_iteratorINS9_10device_ptrIsEEEESE_SE_sNS9_4plusIvEENS9_8equal_toIsEEsEE10hipError_tPvRmT2_T3_T4_T5_mT6_T7_P12ihipStream_tbENKUlT_T0_E_clISt17integral_constantIbLb0EESY_IbLb1EEEEDaSU_SV_EUlSU_E_NS1_11comp_targetILNS1_3genE9ELNS1_11target_archE1100ELNS1_3gpuE3ELNS1_3repE0EEENS1_30default_config_static_selectorELNS0_4arch9wavefront6targetE1EEEvT1_ ; -- Begin function _ZN7rocprim17ROCPRIM_400000_NS6detail17trampoline_kernelINS0_14default_configENS1_27scan_by_key_config_selectorIssEEZZNS1_16scan_by_key_implILNS1_25lookback_scan_determinismE0ELb0ES3_N6thrust23THRUST_200600_302600_NS6detail15normal_iteratorINS9_10device_ptrIsEEEESE_SE_sNS9_4plusIvEENS9_8equal_toIsEEsEE10hipError_tPvRmT2_T3_T4_T5_mT6_T7_P12ihipStream_tbENKUlT_T0_E_clISt17integral_constantIbLb0EESY_IbLb1EEEEDaSU_SV_EUlSU_E_NS1_11comp_targetILNS1_3genE9ELNS1_11target_archE1100ELNS1_3gpuE3ELNS1_3repE0EEENS1_30default_config_static_selectorELNS0_4arch9wavefront6targetE1EEEvT1_
	.globl	_ZN7rocprim17ROCPRIM_400000_NS6detail17trampoline_kernelINS0_14default_configENS1_27scan_by_key_config_selectorIssEEZZNS1_16scan_by_key_implILNS1_25lookback_scan_determinismE0ELb0ES3_N6thrust23THRUST_200600_302600_NS6detail15normal_iteratorINS9_10device_ptrIsEEEESE_SE_sNS9_4plusIvEENS9_8equal_toIsEEsEE10hipError_tPvRmT2_T3_T4_T5_mT6_T7_P12ihipStream_tbENKUlT_T0_E_clISt17integral_constantIbLb0EESY_IbLb1EEEEDaSU_SV_EUlSU_E_NS1_11comp_targetILNS1_3genE9ELNS1_11target_archE1100ELNS1_3gpuE3ELNS1_3repE0EEENS1_30default_config_static_selectorELNS0_4arch9wavefront6targetE1EEEvT1_
	.p2align	8
	.type	_ZN7rocprim17ROCPRIM_400000_NS6detail17trampoline_kernelINS0_14default_configENS1_27scan_by_key_config_selectorIssEEZZNS1_16scan_by_key_implILNS1_25lookback_scan_determinismE0ELb0ES3_N6thrust23THRUST_200600_302600_NS6detail15normal_iteratorINS9_10device_ptrIsEEEESE_SE_sNS9_4plusIvEENS9_8equal_toIsEEsEE10hipError_tPvRmT2_T3_T4_T5_mT6_T7_P12ihipStream_tbENKUlT_T0_E_clISt17integral_constantIbLb0EESY_IbLb1EEEEDaSU_SV_EUlSU_E_NS1_11comp_targetILNS1_3genE9ELNS1_11target_archE1100ELNS1_3gpuE3ELNS1_3repE0EEENS1_30default_config_static_selectorELNS0_4arch9wavefront6targetE1EEEvT1_,@function
_ZN7rocprim17ROCPRIM_400000_NS6detail17trampoline_kernelINS0_14default_configENS1_27scan_by_key_config_selectorIssEEZZNS1_16scan_by_key_implILNS1_25lookback_scan_determinismE0ELb0ES3_N6thrust23THRUST_200600_302600_NS6detail15normal_iteratorINS9_10device_ptrIsEEEESE_SE_sNS9_4plusIvEENS9_8equal_toIsEEsEE10hipError_tPvRmT2_T3_T4_T5_mT6_T7_P12ihipStream_tbENKUlT_T0_E_clISt17integral_constantIbLb0EESY_IbLb1EEEEDaSU_SV_EUlSU_E_NS1_11comp_targetILNS1_3genE9ELNS1_11target_archE1100ELNS1_3gpuE3ELNS1_3repE0EEENS1_30default_config_static_selectorELNS0_4arch9wavefront6targetE1EEEvT1_: ; @_ZN7rocprim17ROCPRIM_400000_NS6detail17trampoline_kernelINS0_14default_configENS1_27scan_by_key_config_selectorIssEEZZNS1_16scan_by_key_implILNS1_25lookback_scan_determinismE0ELb0ES3_N6thrust23THRUST_200600_302600_NS6detail15normal_iteratorINS9_10device_ptrIsEEEESE_SE_sNS9_4plusIvEENS9_8equal_toIsEEsEE10hipError_tPvRmT2_T3_T4_T5_mT6_T7_P12ihipStream_tbENKUlT_T0_E_clISt17integral_constantIbLb0EESY_IbLb1EEEEDaSU_SV_EUlSU_E_NS1_11comp_targetILNS1_3genE9ELNS1_11target_archE1100ELNS1_3gpuE3ELNS1_3repE0EEENS1_30default_config_static_selectorELNS0_4arch9wavefront6targetE1EEEvT1_
; %bb.0:
	.section	.rodata,"a",@progbits
	.p2align	6, 0x0
	.amdhsa_kernel _ZN7rocprim17ROCPRIM_400000_NS6detail17trampoline_kernelINS0_14default_configENS1_27scan_by_key_config_selectorIssEEZZNS1_16scan_by_key_implILNS1_25lookback_scan_determinismE0ELb0ES3_N6thrust23THRUST_200600_302600_NS6detail15normal_iteratorINS9_10device_ptrIsEEEESE_SE_sNS9_4plusIvEENS9_8equal_toIsEEsEE10hipError_tPvRmT2_T3_T4_T5_mT6_T7_P12ihipStream_tbENKUlT_T0_E_clISt17integral_constantIbLb0EESY_IbLb1EEEEDaSU_SV_EUlSU_E_NS1_11comp_targetILNS1_3genE9ELNS1_11target_archE1100ELNS1_3gpuE3ELNS1_3repE0EEENS1_30default_config_static_selectorELNS0_4arch9wavefront6targetE1EEEvT1_
		.amdhsa_group_segment_fixed_size 0
		.amdhsa_private_segment_fixed_size 0
		.amdhsa_kernarg_size 112
		.amdhsa_user_sgpr_count 6
		.amdhsa_user_sgpr_private_segment_buffer 1
		.amdhsa_user_sgpr_dispatch_ptr 0
		.amdhsa_user_sgpr_queue_ptr 0
		.amdhsa_user_sgpr_kernarg_segment_ptr 1
		.amdhsa_user_sgpr_dispatch_id 0
		.amdhsa_user_sgpr_flat_scratch_init 0
		.amdhsa_user_sgpr_kernarg_preload_length 0
		.amdhsa_user_sgpr_kernarg_preload_offset 0
		.amdhsa_user_sgpr_private_segment_size 0
		.amdhsa_uses_dynamic_stack 0
		.amdhsa_system_sgpr_private_segment_wavefront_offset 0
		.amdhsa_system_sgpr_workgroup_id_x 1
		.amdhsa_system_sgpr_workgroup_id_y 0
		.amdhsa_system_sgpr_workgroup_id_z 0
		.amdhsa_system_sgpr_workgroup_info 0
		.amdhsa_system_vgpr_workitem_id 0
		.amdhsa_next_free_vgpr 1
		.amdhsa_next_free_sgpr 0
		.amdhsa_accum_offset 4
		.amdhsa_reserve_vcc 0
		.amdhsa_reserve_flat_scratch 0
		.amdhsa_float_round_mode_32 0
		.amdhsa_float_round_mode_16_64 0
		.amdhsa_float_denorm_mode_32 3
		.amdhsa_float_denorm_mode_16_64 3
		.amdhsa_dx10_clamp 1
		.amdhsa_ieee_mode 1
		.amdhsa_fp16_overflow 0
		.amdhsa_tg_split 0
		.amdhsa_exception_fp_ieee_invalid_op 0
		.amdhsa_exception_fp_denorm_src 0
		.amdhsa_exception_fp_ieee_div_zero 0
		.amdhsa_exception_fp_ieee_overflow 0
		.amdhsa_exception_fp_ieee_underflow 0
		.amdhsa_exception_fp_ieee_inexact 0
		.amdhsa_exception_int_div_zero 0
	.end_amdhsa_kernel
	.section	.text._ZN7rocprim17ROCPRIM_400000_NS6detail17trampoline_kernelINS0_14default_configENS1_27scan_by_key_config_selectorIssEEZZNS1_16scan_by_key_implILNS1_25lookback_scan_determinismE0ELb0ES3_N6thrust23THRUST_200600_302600_NS6detail15normal_iteratorINS9_10device_ptrIsEEEESE_SE_sNS9_4plusIvEENS9_8equal_toIsEEsEE10hipError_tPvRmT2_T3_T4_T5_mT6_T7_P12ihipStream_tbENKUlT_T0_E_clISt17integral_constantIbLb0EESY_IbLb1EEEEDaSU_SV_EUlSU_E_NS1_11comp_targetILNS1_3genE9ELNS1_11target_archE1100ELNS1_3gpuE3ELNS1_3repE0EEENS1_30default_config_static_selectorELNS0_4arch9wavefront6targetE1EEEvT1_,"axG",@progbits,_ZN7rocprim17ROCPRIM_400000_NS6detail17trampoline_kernelINS0_14default_configENS1_27scan_by_key_config_selectorIssEEZZNS1_16scan_by_key_implILNS1_25lookback_scan_determinismE0ELb0ES3_N6thrust23THRUST_200600_302600_NS6detail15normal_iteratorINS9_10device_ptrIsEEEESE_SE_sNS9_4plusIvEENS9_8equal_toIsEEsEE10hipError_tPvRmT2_T3_T4_T5_mT6_T7_P12ihipStream_tbENKUlT_T0_E_clISt17integral_constantIbLb0EESY_IbLb1EEEEDaSU_SV_EUlSU_E_NS1_11comp_targetILNS1_3genE9ELNS1_11target_archE1100ELNS1_3gpuE3ELNS1_3repE0EEENS1_30default_config_static_selectorELNS0_4arch9wavefront6targetE1EEEvT1_,comdat
.Lfunc_end351:
	.size	_ZN7rocprim17ROCPRIM_400000_NS6detail17trampoline_kernelINS0_14default_configENS1_27scan_by_key_config_selectorIssEEZZNS1_16scan_by_key_implILNS1_25lookback_scan_determinismE0ELb0ES3_N6thrust23THRUST_200600_302600_NS6detail15normal_iteratorINS9_10device_ptrIsEEEESE_SE_sNS9_4plusIvEENS9_8equal_toIsEEsEE10hipError_tPvRmT2_T3_T4_T5_mT6_T7_P12ihipStream_tbENKUlT_T0_E_clISt17integral_constantIbLb0EESY_IbLb1EEEEDaSU_SV_EUlSU_E_NS1_11comp_targetILNS1_3genE9ELNS1_11target_archE1100ELNS1_3gpuE3ELNS1_3repE0EEENS1_30default_config_static_selectorELNS0_4arch9wavefront6targetE1EEEvT1_, .Lfunc_end351-_ZN7rocprim17ROCPRIM_400000_NS6detail17trampoline_kernelINS0_14default_configENS1_27scan_by_key_config_selectorIssEEZZNS1_16scan_by_key_implILNS1_25lookback_scan_determinismE0ELb0ES3_N6thrust23THRUST_200600_302600_NS6detail15normal_iteratorINS9_10device_ptrIsEEEESE_SE_sNS9_4plusIvEENS9_8equal_toIsEEsEE10hipError_tPvRmT2_T3_T4_T5_mT6_T7_P12ihipStream_tbENKUlT_T0_E_clISt17integral_constantIbLb0EESY_IbLb1EEEEDaSU_SV_EUlSU_E_NS1_11comp_targetILNS1_3genE9ELNS1_11target_archE1100ELNS1_3gpuE3ELNS1_3repE0EEENS1_30default_config_static_selectorELNS0_4arch9wavefront6targetE1EEEvT1_
                                        ; -- End function
	.section	.AMDGPU.csdata,"",@progbits
; Kernel info:
; codeLenInByte = 0
; NumSgprs: 4
; NumVgprs: 0
; NumAgprs: 0
; TotalNumVgprs: 0
; ScratchSize: 0
; MemoryBound: 0
; FloatMode: 240
; IeeeMode: 1
; LDSByteSize: 0 bytes/workgroup (compile time only)
; SGPRBlocks: 0
; VGPRBlocks: 0
; NumSGPRsForWavesPerEU: 4
; NumVGPRsForWavesPerEU: 1
; AccumOffset: 4
; Occupancy: 8
; WaveLimiterHint : 0
; COMPUTE_PGM_RSRC2:SCRATCH_EN: 0
; COMPUTE_PGM_RSRC2:USER_SGPR: 6
; COMPUTE_PGM_RSRC2:TRAP_HANDLER: 0
; COMPUTE_PGM_RSRC2:TGID_X_EN: 1
; COMPUTE_PGM_RSRC2:TGID_Y_EN: 0
; COMPUTE_PGM_RSRC2:TGID_Z_EN: 0
; COMPUTE_PGM_RSRC2:TIDIG_COMP_CNT: 0
; COMPUTE_PGM_RSRC3_GFX90A:ACCUM_OFFSET: 0
; COMPUTE_PGM_RSRC3_GFX90A:TG_SPLIT: 0
	.section	.text._ZN7rocprim17ROCPRIM_400000_NS6detail17trampoline_kernelINS0_14default_configENS1_27scan_by_key_config_selectorIssEEZZNS1_16scan_by_key_implILNS1_25lookback_scan_determinismE0ELb0ES3_N6thrust23THRUST_200600_302600_NS6detail15normal_iteratorINS9_10device_ptrIsEEEESE_SE_sNS9_4plusIvEENS9_8equal_toIsEEsEE10hipError_tPvRmT2_T3_T4_T5_mT6_T7_P12ihipStream_tbENKUlT_T0_E_clISt17integral_constantIbLb0EESY_IbLb1EEEEDaSU_SV_EUlSU_E_NS1_11comp_targetILNS1_3genE8ELNS1_11target_archE1030ELNS1_3gpuE2ELNS1_3repE0EEENS1_30default_config_static_selectorELNS0_4arch9wavefront6targetE1EEEvT1_,"axG",@progbits,_ZN7rocprim17ROCPRIM_400000_NS6detail17trampoline_kernelINS0_14default_configENS1_27scan_by_key_config_selectorIssEEZZNS1_16scan_by_key_implILNS1_25lookback_scan_determinismE0ELb0ES3_N6thrust23THRUST_200600_302600_NS6detail15normal_iteratorINS9_10device_ptrIsEEEESE_SE_sNS9_4plusIvEENS9_8equal_toIsEEsEE10hipError_tPvRmT2_T3_T4_T5_mT6_T7_P12ihipStream_tbENKUlT_T0_E_clISt17integral_constantIbLb0EESY_IbLb1EEEEDaSU_SV_EUlSU_E_NS1_11comp_targetILNS1_3genE8ELNS1_11target_archE1030ELNS1_3gpuE2ELNS1_3repE0EEENS1_30default_config_static_selectorELNS0_4arch9wavefront6targetE1EEEvT1_,comdat
	.protected	_ZN7rocprim17ROCPRIM_400000_NS6detail17trampoline_kernelINS0_14default_configENS1_27scan_by_key_config_selectorIssEEZZNS1_16scan_by_key_implILNS1_25lookback_scan_determinismE0ELb0ES3_N6thrust23THRUST_200600_302600_NS6detail15normal_iteratorINS9_10device_ptrIsEEEESE_SE_sNS9_4plusIvEENS9_8equal_toIsEEsEE10hipError_tPvRmT2_T3_T4_T5_mT6_T7_P12ihipStream_tbENKUlT_T0_E_clISt17integral_constantIbLb0EESY_IbLb1EEEEDaSU_SV_EUlSU_E_NS1_11comp_targetILNS1_3genE8ELNS1_11target_archE1030ELNS1_3gpuE2ELNS1_3repE0EEENS1_30default_config_static_selectorELNS0_4arch9wavefront6targetE1EEEvT1_ ; -- Begin function _ZN7rocprim17ROCPRIM_400000_NS6detail17trampoline_kernelINS0_14default_configENS1_27scan_by_key_config_selectorIssEEZZNS1_16scan_by_key_implILNS1_25lookback_scan_determinismE0ELb0ES3_N6thrust23THRUST_200600_302600_NS6detail15normal_iteratorINS9_10device_ptrIsEEEESE_SE_sNS9_4plusIvEENS9_8equal_toIsEEsEE10hipError_tPvRmT2_T3_T4_T5_mT6_T7_P12ihipStream_tbENKUlT_T0_E_clISt17integral_constantIbLb0EESY_IbLb1EEEEDaSU_SV_EUlSU_E_NS1_11comp_targetILNS1_3genE8ELNS1_11target_archE1030ELNS1_3gpuE2ELNS1_3repE0EEENS1_30default_config_static_selectorELNS0_4arch9wavefront6targetE1EEEvT1_
	.globl	_ZN7rocprim17ROCPRIM_400000_NS6detail17trampoline_kernelINS0_14default_configENS1_27scan_by_key_config_selectorIssEEZZNS1_16scan_by_key_implILNS1_25lookback_scan_determinismE0ELb0ES3_N6thrust23THRUST_200600_302600_NS6detail15normal_iteratorINS9_10device_ptrIsEEEESE_SE_sNS9_4plusIvEENS9_8equal_toIsEEsEE10hipError_tPvRmT2_T3_T4_T5_mT6_T7_P12ihipStream_tbENKUlT_T0_E_clISt17integral_constantIbLb0EESY_IbLb1EEEEDaSU_SV_EUlSU_E_NS1_11comp_targetILNS1_3genE8ELNS1_11target_archE1030ELNS1_3gpuE2ELNS1_3repE0EEENS1_30default_config_static_selectorELNS0_4arch9wavefront6targetE1EEEvT1_
	.p2align	8
	.type	_ZN7rocprim17ROCPRIM_400000_NS6detail17trampoline_kernelINS0_14default_configENS1_27scan_by_key_config_selectorIssEEZZNS1_16scan_by_key_implILNS1_25lookback_scan_determinismE0ELb0ES3_N6thrust23THRUST_200600_302600_NS6detail15normal_iteratorINS9_10device_ptrIsEEEESE_SE_sNS9_4plusIvEENS9_8equal_toIsEEsEE10hipError_tPvRmT2_T3_T4_T5_mT6_T7_P12ihipStream_tbENKUlT_T0_E_clISt17integral_constantIbLb0EESY_IbLb1EEEEDaSU_SV_EUlSU_E_NS1_11comp_targetILNS1_3genE8ELNS1_11target_archE1030ELNS1_3gpuE2ELNS1_3repE0EEENS1_30default_config_static_selectorELNS0_4arch9wavefront6targetE1EEEvT1_,@function
_ZN7rocprim17ROCPRIM_400000_NS6detail17trampoline_kernelINS0_14default_configENS1_27scan_by_key_config_selectorIssEEZZNS1_16scan_by_key_implILNS1_25lookback_scan_determinismE0ELb0ES3_N6thrust23THRUST_200600_302600_NS6detail15normal_iteratorINS9_10device_ptrIsEEEESE_SE_sNS9_4plusIvEENS9_8equal_toIsEEsEE10hipError_tPvRmT2_T3_T4_T5_mT6_T7_P12ihipStream_tbENKUlT_T0_E_clISt17integral_constantIbLb0EESY_IbLb1EEEEDaSU_SV_EUlSU_E_NS1_11comp_targetILNS1_3genE8ELNS1_11target_archE1030ELNS1_3gpuE2ELNS1_3repE0EEENS1_30default_config_static_selectorELNS0_4arch9wavefront6targetE1EEEvT1_: ; @_ZN7rocprim17ROCPRIM_400000_NS6detail17trampoline_kernelINS0_14default_configENS1_27scan_by_key_config_selectorIssEEZZNS1_16scan_by_key_implILNS1_25lookback_scan_determinismE0ELb0ES3_N6thrust23THRUST_200600_302600_NS6detail15normal_iteratorINS9_10device_ptrIsEEEESE_SE_sNS9_4plusIvEENS9_8equal_toIsEEsEE10hipError_tPvRmT2_T3_T4_T5_mT6_T7_P12ihipStream_tbENKUlT_T0_E_clISt17integral_constantIbLb0EESY_IbLb1EEEEDaSU_SV_EUlSU_E_NS1_11comp_targetILNS1_3genE8ELNS1_11target_archE1030ELNS1_3gpuE2ELNS1_3repE0EEENS1_30default_config_static_selectorELNS0_4arch9wavefront6targetE1EEEvT1_
; %bb.0:
	.section	.rodata,"a",@progbits
	.p2align	6, 0x0
	.amdhsa_kernel _ZN7rocprim17ROCPRIM_400000_NS6detail17trampoline_kernelINS0_14default_configENS1_27scan_by_key_config_selectorIssEEZZNS1_16scan_by_key_implILNS1_25lookback_scan_determinismE0ELb0ES3_N6thrust23THRUST_200600_302600_NS6detail15normal_iteratorINS9_10device_ptrIsEEEESE_SE_sNS9_4plusIvEENS9_8equal_toIsEEsEE10hipError_tPvRmT2_T3_T4_T5_mT6_T7_P12ihipStream_tbENKUlT_T0_E_clISt17integral_constantIbLb0EESY_IbLb1EEEEDaSU_SV_EUlSU_E_NS1_11comp_targetILNS1_3genE8ELNS1_11target_archE1030ELNS1_3gpuE2ELNS1_3repE0EEENS1_30default_config_static_selectorELNS0_4arch9wavefront6targetE1EEEvT1_
		.amdhsa_group_segment_fixed_size 0
		.amdhsa_private_segment_fixed_size 0
		.amdhsa_kernarg_size 112
		.amdhsa_user_sgpr_count 6
		.amdhsa_user_sgpr_private_segment_buffer 1
		.amdhsa_user_sgpr_dispatch_ptr 0
		.amdhsa_user_sgpr_queue_ptr 0
		.amdhsa_user_sgpr_kernarg_segment_ptr 1
		.amdhsa_user_sgpr_dispatch_id 0
		.amdhsa_user_sgpr_flat_scratch_init 0
		.amdhsa_user_sgpr_kernarg_preload_length 0
		.amdhsa_user_sgpr_kernarg_preload_offset 0
		.amdhsa_user_sgpr_private_segment_size 0
		.amdhsa_uses_dynamic_stack 0
		.amdhsa_system_sgpr_private_segment_wavefront_offset 0
		.amdhsa_system_sgpr_workgroup_id_x 1
		.amdhsa_system_sgpr_workgroup_id_y 0
		.amdhsa_system_sgpr_workgroup_id_z 0
		.amdhsa_system_sgpr_workgroup_info 0
		.amdhsa_system_vgpr_workitem_id 0
		.amdhsa_next_free_vgpr 1
		.amdhsa_next_free_sgpr 0
		.amdhsa_accum_offset 4
		.amdhsa_reserve_vcc 0
		.amdhsa_reserve_flat_scratch 0
		.amdhsa_float_round_mode_32 0
		.amdhsa_float_round_mode_16_64 0
		.amdhsa_float_denorm_mode_32 3
		.amdhsa_float_denorm_mode_16_64 3
		.amdhsa_dx10_clamp 1
		.amdhsa_ieee_mode 1
		.amdhsa_fp16_overflow 0
		.amdhsa_tg_split 0
		.amdhsa_exception_fp_ieee_invalid_op 0
		.amdhsa_exception_fp_denorm_src 0
		.amdhsa_exception_fp_ieee_div_zero 0
		.amdhsa_exception_fp_ieee_overflow 0
		.amdhsa_exception_fp_ieee_underflow 0
		.amdhsa_exception_fp_ieee_inexact 0
		.amdhsa_exception_int_div_zero 0
	.end_amdhsa_kernel
	.section	.text._ZN7rocprim17ROCPRIM_400000_NS6detail17trampoline_kernelINS0_14default_configENS1_27scan_by_key_config_selectorIssEEZZNS1_16scan_by_key_implILNS1_25lookback_scan_determinismE0ELb0ES3_N6thrust23THRUST_200600_302600_NS6detail15normal_iteratorINS9_10device_ptrIsEEEESE_SE_sNS9_4plusIvEENS9_8equal_toIsEEsEE10hipError_tPvRmT2_T3_T4_T5_mT6_T7_P12ihipStream_tbENKUlT_T0_E_clISt17integral_constantIbLb0EESY_IbLb1EEEEDaSU_SV_EUlSU_E_NS1_11comp_targetILNS1_3genE8ELNS1_11target_archE1030ELNS1_3gpuE2ELNS1_3repE0EEENS1_30default_config_static_selectorELNS0_4arch9wavefront6targetE1EEEvT1_,"axG",@progbits,_ZN7rocprim17ROCPRIM_400000_NS6detail17trampoline_kernelINS0_14default_configENS1_27scan_by_key_config_selectorIssEEZZNS1_16scan_by_key_implILNS1_25lookback_scan_determinismE0ELb0ES3_N6thrust23THRUST_200600_302600_NS6detail15normal_iteratorINS9_10device_ptrIsEEEESE_SE_sNS9_4plusIvEENS9_8equal_toIsEEsEE10hipError_tPvRmT2_T3_T4_T5_mT6_T7_P12ihipStream_tbENKUlT_T0_E_clISt17integral_constantIbLb0EESY_IbLb1EEEEDaSU_SV_EUlSU_E_NS1_11comp_targetILNS1_3genE8ELNS1_11target_archE1030ELNS1_3gpuE2ELNS1_3repE0EEENS1_30default_config_static_selectorELNS0_4arch9wavefront6targetE1EEEvT1_,comdat
.Lfunc_end352:
	.size	_ZN7rocprim17ROCPRIM_400000_NS6detail17trampoline_kernelINS0_14default_configENS1_27scan_by_key_config_selectorIssEEZZNS1_16scan_by_key_implILNS1_25lookback_scan_determinismE0ELb0ES3_N6thrust23THRUST_200600_302600_NS6detail15normal_iteratorINS9_10device_ptrIsEEEESE_SE_sNS9_4plusIvEENS9_8equal_toIsEEsEE10hipError_tPvRmT2_T3_T4_T5_mT6_T7_P12ihipStream_tbENKUlT_T0_E_clISt17integral_constantIbLb0EESY_IbLb1EEEEDaSU_SV_EUlSU_E_NS1_11comp_targetILNS1_3genE8ELNS1_11target_archE1030ELNS1_3gpuE2ELNS1_3repE0EEENS1_30default_config_static_selectorELNS0_4arch9wavefront6targetE1EEEvT1_, .Lfunc_end352-_ZN7rocprim17ROCPRIM_400000_NS6detail17trampoline_kernelINS0_14default_configENS1_27scan_by_key_config_selectorIssEEZZNS1_16scan_by_key_implILNS1_25lookback_scan_determinismE0ELb0ES3_N6thrust23THRUST_200600_302600_NS6detail15normal_iteratorINS9_10device_ptrIsEEEESE_SE_sNS9_4plusIvEENS9_8equal_toIsEEsEE10hipError_tPvRmT2_T3_T4_T5_mT6_T7_P12ihipStream_tbENKUlT_T0_E_clISt17integral_constantIbLb0EESY_IbLb1EEEEDaSU_SV_EUlSU_E_NS1_11comp_targetILNS1_3genE8ELNS1_11target_archE1030ELNS1_3gpuE2ELNS1_3repE0EEENS1_30default_config_static_selectorELNS0_4arch9wavefront6targetE1EEEvT1_
                                        ; -- End function
	.section	.AMDGPU.csdata,"",@progbits
; Kernel info:
; codeLenInByte = 0
; NumSgprs: 4
; NumVgprs: 0
; NumAgprs: 0
; TotalNumVgprs: 0
; ScratchSize: 0
; MemoryBound: 0
; FloatMode: 240
; IeeeMode: 1
; LDSByteSize: 0 bytes/workgroup (compile time only)
; SGPRBlocks: 0
; VGPRBlocks: 0
; NumSGPRsForWavesPerEU: 4
; NumVGPRsForWavesPerEU: 1
; AccumOffset: 4
; Occupancy: 8
; WaveLimiterHint : 0
; COMPUTE_PGM_RSRC2:SCRATCH_EN: 0
; COMPUTE_PGM_RSRC2:USER_SGPR: 6
; COMPUTE_PGM_RSRC2:TRAP_HANDLER: 0
; COMPUTE_PGM_RSRC2:TGID_X_EN: 1
; COMPUTE_PGM_RSRC2:TGID_Y_EN: 0
; COMPUTE_PGM_RSRC2:TGID_Z_EN: 0
; COMPUTE_PGM_RSRC2:TIDIG_COMP_CNT: 0
; COMPUTE_PGM_RSRC3_GFX90A:ACCUM_OFFSET: 0
; COMPUTE_PGM_RSRC3_GFX90A:TG_SPLIT: 0
	.section	.text._ZN7rocprim17ROCPRIM_400000_NS6detail17trampoline_kernelINS0_14default_configENS1_27scan_by_key_config_selectorIxxEEZZNS1_16scan_by_key_implILNS1_25lookback_scan_determinismE0ELb1ES3_N6thrust23THRUST_200600_302600_NS6detail15normal_iteratorINS9_10device_ptrIxEEEESE_SE_xNS9_4plusIvEENS9_8equal_toIvEExEE10hipError_tPvRmT2_T3_T4_T5_mT6_T7_P12ihipStream_tbENKUlT_T0_E_clISt17integral_constantIbLb0EESZ_EEDaSU_SV_EUlSU_E_NS1_11comp_targetILNS1_3genE0ELNS1_11target_archE4294967295ELNS1_3gpuE0ELNS1_3repE0EEENS1_30default_config_static_selectorELNS0_4arch9wavefront6targetE1EEEvT1_,"axG",@progbits,_ZN7rocprim17ROCPRIM_400000_NS6detail17trampoline_kernelINS0_14default_configENS1_27scan_by_key_config_selectorIxxEEZZNS1_16scan_by_key_implILNS1_25lookback_scan_determinismE0ELb1ES3_N6thrust23THRUST_200600_302600_NS6detail15normal_iteratorINS9_10device_ptrIxEEEESE_SE_xNS9_4plusIvEENS9_8equal_toIvEExEE10hipError_tPvRmT2_T3_T4_T5_mT6_T7_P12ihipStream_tbENKUlT_T0_E_clISt17integral_constantIbLb0EESZ_EEDaSU_SV_EUlSU_E_NS1_11comp_targetILNS1_3genE0ELNS1_11target_archE4294967295ELNS1_3gpuE0ELNS1_3repE0EEENS1_30default_config_static_selectorELNS0_4arch9wavefront6targetE1EEEvT1_,comdat
	.protected	_ZN7rocprim17ROCPRIM_400000_NS6detail17trampoline_kernelINS0_14default_configENS1_27scan_by_key_config_selectorIxxEEZZNS1_16scan_by_key_implILNS1_25lookback_scan_determinismE0ELb1ES3_N6thrust23THRUST_200600_302600_NS6detail15normal_iteratorINS9_10device_ptrIxEEEESE_SE_xNS9_4plusIvEENS9_8equal_toIvEExEE10hipError_tPvRmT2_T3_T4_T5_mT6_T7_P12ihipStream_tbENKUlT_T0_E_clISt17integral_constantIbLb0EESZ_EEDaSU_SV_EUlSU_E_NS1_11comp_targetILNS1_3genE0ELNS1_11target_archE4294967295ELNS1_3gpuE0ELNS1_3repE0EEENS1_30default_config_static_selectorELNS0_4arch9wavefront6targetE1EEEvT1_ ; -- Begin function _ZN7rocprim17ROCPRIM_400000_NS6detail17trampoline_kernelINS0_14default_configENS1_27scan_by_key_config_selectorIxxEEZZNS1_16scan_by_key_implILNS1_25lookback_scan_determinismE0ELb1ES3_N6thrust23THRUST_200600_302600_NS6detail15normal_iteratorINS9_10device_ptrIxEEEESE_SE_xNS9_4plusIvEENS9_8equal_toIvEExEE10hipError_tPvRmT2_T3_T4_T5_mT6_T7_P12ihipStream_tbENKUlT_T0_E_clISt17integral_constantIbLb0EESZ_EEDaSU_SV_EUlSU_E_NS1_11comp_targetILNS1_3genE0ELNS1_11target_archE4294967295ELNS1_3gpuE0ELNS1_3repE0EEENS1_30default_config_static_selectorELNS0_4arch9wavefront6targetE1EEEvT1_
	.globl	_ZN7rocprim17ROCPRIM_400000_NS6detail17trampoline_kernelINS0_14default_configENS1_27scan_by_key_config_selectorIxxEEZZNS1_16scan_by_key_implILNS1_25lookback_scan_determinismE0ELb1ES3_N6thrust23THRUST_200600_302600_NS6detail15normal_iteratorINS9_10device_ptrIxEEEESE_SE_xNS9_4plusIvEENS9_8equal_toIvEExEE10hipError_tPvRmT2_T3_T4_T5_mT6_T7_P12ihipStream_tbENKUlT_T0_E_clISt17integral_constantIbLb0EESZ_EEDaSU_SV_EUlSU_E_NS1_11comp_targetILNS1_3genE0ELNS1_11target_archE4294967295ELNS1_3gpuE0ELNS1_3repE0EEENS1_30default_config_static_selectorELNS0_4arch9wavefront6targetE1EEEvT1_
	.p2align	8
	.type	_ZN7rocprim17ROCPRIM_400000_NS6detail17trampoline_kernelINS0_14default_configENS1_27scan_by_key_config_selectorIxxEEZZNS1_16scan_by_key_implILNS1_25lookback_scan_determinismE0ELb1ES3_N6thrust23THRUST_200600_302600_NS6detail15normal_iteratorINS9_10device_ptrIxEEEESE_SE_xNS9_4plusIvEENS9_8equal_toIvEExEE10hipError_tPvRmT2_T3_T4_T5_mT6_T7_P12ihipStream_tbENKUlT_T0_E_clISt17integral_constantIbLb0EESZ_EEDaSU_SV_EUlSU_E_NS1_11comp_targetILNS1_3genE0ELNS1_11target_archE4294967295ELNS1_3gpuE0ELNS1_3repE0EEENS1_30default_config_static_selectorELNS0_4arch9wavefront6targetE1EEEvT1_,@function
_ZN7rocprim17ROCPRIM_400000_NS6detail17trampoline_kernelINS0_14default_configENS1_27scan_by_key_config_selectorIxxEEZZNS1_16scan_by_key_implILNS1_25lookback_scan_determinismE0ELb1ES3_N6thrust23THRUST_200600_302600_NS6detail15normal_iteratorINS9_10device_ptrIxEEEESE_SE_xNS9_4plusIvEENS9_8equal_toIvEExEE10hipError_tPvRmT2_T3_T4_T5_mT6_T7_P12ihipStream_tbENKUlT_T0_E_clISt17integral_constantIbLb0EESZ_EEDaSU_SV_EUlSU_E_NS1_11comp_targetILNS1_3genE0ELNS1_11target_archE4294967295ELNS1_3gpuE0ELNS1_3repE0EEENS1_30default_config_static_selectorELNS0_4arch9wavefront6targetE1EEEvT1_: ; @_ZN7rocprim17ROCPRIM_400000_NS6detail17trampoline_kernelINS0_14default_configENS1_27scan_by_key_config_selectorIxxEEZZNS1_16scan_by_key_implILNS1_25lookback_scan_determinismE0ELb1ES3_N6thrust23THRUST_200600_302600_NS6detail15normal_iteratorINS9_10device_ptrIxEEEESE_SE_xNS9_4plusIvEENS9_8equal_toIvEExEE10hipError_tPvRmT2_T3_T4_T5_mT6_T7_P12ihipStream_tbENKUlT_T0_E_clISt17integral_constantIbLb0EESZ_EEDaSU_SV_EUlSU_E_NS1_11comp_targetILNS1_3genE0ELNS1_11target_archE4294967295ELNS1_3gpuE0ELNS1_3repE0EEENS1_30default_config_static_selectorELNS0_4arch9wavefront6targetE1EEEvT1_
; %bb.0:
	.section	.rodata,"a",@progbits
	.p2align	6, 0x0
	.amdhsa_kernel _ZN7rocprim17ROCPRIM_400000_NS6detail17trampoline_kernelINS0_14default_configENS1_27scan_by_key_config_selectorIxxEEZZNS1_16scan_by_key_implILNS1_25lookback_scan_determinismE0ELb1ES3_N6thrust23THRUST_200600_302600_NS6detail15normal_iteratorINS9_10device_ptrIxEEEESE_SE_xNS9_4plusIvEENS9_8equal_toIvEExEE10hipError_tPvRmT2_T3_T4_T5_mT6_T7_P12ihipStream_tbENKUlT_T0_E_clISt17integral_constantIbLb0EESZ_EEDaSU_SV_EUlSU_E_NS1_11comp_targetILNS1_3genE0ELNS1_11target_archE4294967295ELNS1_3gpuE0ELNS1_3repE0EEENS1_30default_config_static_selectorELNS0_4arch9wavefront6targetE1EEEvT1_
		.amdhsa_group_segment_fixed_size 0
		.amdhsa_private_segment_fixed_size 0
		.amdhsa_kernarg_size 136
		.amdhsa_user_sgpr_count 6
		.amdhsa_user_sgpr_private_segment_buffer 1
		.amdhsa_user_sgpr_dispatch_ptr 0
		.amdhsa_user_sgpr_queue_ptr 0
		.amdhsa_user_sgpr_kernarg_segment_ptr 1
		.amdhsa_user_sgpr_dispatch_id 0
		.amdhsa_user_sgpr_flat_scratch_init 0
		.amdhsa_user_sgpr_kernarg_preload_length 0
		.amdhsa_user_sgpr_kernarg_preload_offset 0
		.amdhsa_user_sgpr_private_segment_size 0
		.amdhsa_uses_dynamic_stack 0
		.amdhsa_system_sgpr_private_segment_wavefront_offset 0
		.amdhsa_system_sgpr_workgroup_id_x 1
		.amdhsa_system_sgpr_workgroup_id_y 0
		.amdhsa_system_sgpr_workgroup_id_z 0
		.amdhsa_system_sgpr_workgroup_info 0
		.amdhsa_system_vgpr_workitem_id 0
		.amdhsa_next_free_vgpr 1
		.amdhsa_next_free_sgpr 0
		.amdhsa_accum_offset 4
		.amdhsa_reserve_vcc 0
		.amdhsa_reserve_flat_scratch 0
		.amdhsa_float_round_mode_32 0
		.amdhsa_float_round_mode_16_64 0
		.amdhsa_float_denorm_mode_32 3
		.amdhsa_float_denorm_mode_16_64 3
		.amdhsa_dx10_clamp 1
		.amdhsa_ieee_mode 1
		.amdhsa_fp16_overflow 0
		.amdhsa_tg_split 0
		.amdhsa_exception_fp_ieee_invalid_op 0
		.amdhsa_exception_fp_denorm_src 0
		.amdhsa_exception_fp_ieee_div_zero 0
		.amdhsa_exception_fp_ieee_overflow 0
		.amdhsa_exception_fp_ieee_underflow 0
		.amdhsa_exception_fp_ieee_inexact 0
		.amdhsa_exception_int_div_zero 0
	.end_amdhsa_kernel
	.section	.text._ZN7rocprim17ROCPRIM_400000_NS6detail17trampoline_kernelINS0_14default_configENS1_27scan_by_key_config_selectorIxxEEZZNS1_16scan_by_key_implILNS1_25lookback_scan_determinismE0ELb1ES3_N6thrust23THRUST_200600_302600_NS6detail15normal_iteratorINS9_10device_ptrIxEEEESE_SE_xNS9_4plusIvEENS9_8equal_toIvEExEE10hipError_tPvRmT2_T3_T4_T5_mT6_T7_P12ihipStream_tbENKUlT_T0_E_clISt17integral_constantIbLb0EESZ_EEDaSU_SV_EUlSU_E_NS1_11comp_targetILNS1_3genE0ELNS1_11target_archE4294967295ELNS1_3gpuE0ELNS1_3repE0EEENS1_30default_config_static_selectorELNS0_4arch9wavefront6targetE1EEEvT1_,"axG",@progbits,_ZN7rocprim17ROCPRIM_400000_NS6detail17trampoline_kernelINS0_14default_configENS1_27scan_by_key_config_selectorIxxEEZZNS1_16scan_by_key_implILNS1_25lookback_scan_determinismE0ELb1ES3_N6thrust23THRUST_200600_302600_NS6detail15normal_iteratorINS9_10device_ptrIxEEEESE_SE_xNS9_4plusIvEENS9_8equal_toIvEExEE10hipError_tPvRmT2_T3_T4_T5_mT6_T7_P12ihipStream_tbENKUlT_T0_E_clISt17integral_constantIbLb0EESZ_EEDaSU_SV_EUlSU_E_NS1_11comp_targetILNS1_3genE0ELNS1_11target_archE4294967295ELNS1_3gpuE0ELNS1_3repE0EEENS1_30default_config_static_selectorELNS0_4arch9wavefront6targetE1EEEvT1_,comdat
.Lfunc_end353:
	.size	_ZN7rocprim17ROCPRIM_400000_NS6detail17trampoline_kernelINS0_14default_configENS1_27scan_by_key_config_selectorIxxEEZZNS1_16scan_by_key_implILNS1_25lookback_scan_determinismE0ELb1ES3_N6thrust23THRUST_200600_302600_NS6detail15normal_iteratorINS9_10device_ptrIxEEEESE_SE_xNS9_4plusIvEENS9_8equal_toIvEExEE10hipError_tPvRmT2_T3_T4_T5_mT6_T7_P12ihipStream_tbENKUlT_T0_E_clISt17integral_constantIbLb0EESZ_EEDaSU_SV_EUlSU_E_NS1_11comp_targetILNS1_3genE0ELNS1_11target_archE4294967295ELNS1_3gpuE0ELNS1_3repE0EEENS1_30default_config_static_selectorELNS0_4arch9wavefront6targetE1EEEvT1_, .Lfunc_end353-_ZN7rocprim17ROCPRIM_400000_NS6detail17trampoline_kernelINS0_14default_configENS1_27scan_by_key_config_selectorIxxEEZZNS1_16scan_by_key_implILNS1_25lookback_scan_determinismE0ELb1ES3_N6thrust23THRUST_200600_302600_NS6detail15normal_iteratorINS9_10device_ptrIxEEEESE_SE_xNS9_4plusIvEENS9_8equal_toIvEExEE10hipError_tPvRmT2_T3_T4_T5_mT6_T7_P12ihipStream_tbENKUlT_T0_E_clISt17integral_constantIbLb0EESZ_EEDaSU_SV_EUlSU_E_NS1_11comp_targetILNS1_3genE0ELNS1_11target_archE4294967295ELNS1_3gpuE0ELNS1_3repE0EEENS1_30default_config_static_selectorELNS0_4arch9wavefront6targetE1EEEvT1_
                                        ; -- End function
	.section	.AMDGPU.csdata,"",@progbits
; Kernel info:
; codeLenInByte = 0
; NumSgprs: 4
; NumVgprs: 0
; NumAgprs: 0
; TotalNumVgprs: 0
; ScratchSize: 0
; MemoryBound: 0
; FloatMode: 240
; IeeeMode: 1
; LDSByteSize: 0 bytes/workgroup (compile time only)
; SGPRBlocks: 0
; VGPRBlocks: 0
; NumSGPRsForWavesPerEU: 4
; NumVGPRsForWavesPerEU: 1
; AccumOffset: 4
; Occupancy: 8
; WaveLimiterHint : 0
; COMPUTE_PGM_RSRC2:SCRATCH_EN: 0
; COMPUTE_PGM_RSRC2:USER_SGPR: 6
; COMPUTE_PGM_RSRC2:TRAP_HANDLER: 0
; COMPUTE_PGM_RSRC2:TGID_X_EN: 1
; COMPUTE_PGM_RSRC2:TGID_Y_EN: 0
; COMPUTE_PGM_RSRC2:TGID_Z_EN: 0
; COMPUTE_PGM_RSRC2:TIDIG_COMP_CNT: 0
; COMPUTE_PGM_RSRC3_GFX90A:ACCUM_OFFSET: 0
; COMPUTE_PGM_RSRC3_GFX90A:TG_SPLIT: 0
	.section	.text._ZN7rocprim17ROCPRIM_400000_NS6detail17trampoline_kernelINS0_14default_configENS1_27scan_by_key_config_selectorIxxEEZZNS1_16scan_by_key_implILNS1_25lookback_scan_determinismE0ELb1ES3_N6thrust23THRUST_200600_302600_NS6detail15normal_iteratorINS9_10device_ptrIxEEEESE_SE_xNS9_4plusIvEENS9_8equal_toIvEExEE10hipError_tPvRmT2_T3_T4_T5_mT6_T7_P12ihipStream_tbENKUlT_T0_E_clISt17integral_constantIbLb0EESZ_EEDaSU_SV_EUlSU_E_NS1_11comp_targetILNS1_3genE10ELNS1_11target_archE1201ELNS1_3gpuE5ELNS1_3repE0EEENS1_30default_config_static_selectorELNS0_4arch9wavefront6targetE1EEEvT1_,"axG",@progbits,_ZN7rocprim17ROCPRIM_400000_NS6detail17trampoline_kernelINS0_14default_configENS1_27scan_by_key_config_selectorIxxEEZZNS1_16scan_by_key_implILNS1_25lookback_scan_determinismE0ELb1ES3_N6thrust23THRUST_200600_302600_NS6detail15normal_iteratorINS9_10device_ptrIxEEEESE_SE_xNS9_4plusIvEENS9_8equal_toIvEExEE10hipError_tPvRmT2_T3_T4_T5_mT6_T7_P12ihipStream_tbENKUlT_T0_E_clISt17integral_constantIbLb0EESZ_EEDaSU_SV_EUlSU_E_NS1_11comp_targetILNS1_3genE10ELNS1_11target_archE1201ELNS1_3gpuE5ELNS1_3repE0EEENS1_30default_config_static_selectorELNS0_4arch9wavefront6targetE1EEEvT1_,comdat
	.protected	_ZN7rocprim17ROCPRIM_400000_NS6detail17trampoline_kernelINS0_14default_configENS1_27scan_by_key_config_selectorIxxEEZZNS1_16scan_by_key_implILNS1_25lookback_scan_determinismE0ELb1ES3_N6thrust23THRUST_200600_302600_NS6detail15normal_iteratorINS9_10device_ptrIxEEEESE_SE_xNS9_4plusIvEENS9_8equal_toIvEExEE10hipError_tPvRmT2_T3_T4_T5_mT6_T7_P12ihipStream_tbENKUlT_T0_E_clISt17integral_constantIbLb0EESZ_EEDaSU_SV_EUlSU_E_NS1_11comp_targetILNS1_3genE10ELNS1_11target_archE1201ELNS1_3gpuE5ELNS1_3repE0EEENS1_30default_config_static_selectorELNS0_4arch9wavefront6targetE1EEEvT1_ ; -- Begin function _ZN7rocprim17ROCPRIM_400000_NS6detail17trampoline_kernelINS0_14default_configENS1_27scan_by_key_config_selectorIxxEEZZNS1_16scan_by_key_implILNS1_25lookback_scan_determinismE0ELb1ES3_N6thrust23THRUST_200600_302600_NS6detail15normal_iteratorINS9_10device_ptrIxEEEESE_SE_xNS9_4plusIvEENS9_8equal_toIvEExEE10hipError_tPvRmT2_T3_T4_T5_mT6_T7_P12ihipStream_tbENKUlT_T0_E_clISt17integral_constantIbLb0EESZ_EEDaSU_SV_EUlSU_E_NS1_11comp_targetILNS1_3genE10ELNS1_11target_archE1201ELNS1_3gpuE5ELNS1_3repE0EEENS1_30default_config_static_selectorELNS0_4arch9wavefront6targetE1EEEvT1_
	.globl	_ZN7rocprim17ROCPRIM_400000_NS6detail17trampoline_kernelINS0_14default_configENS1_27scan_by_key_config_selectorIxxEEZZNS1_16scan_by_key_implILNS1_25lookback_scan_determinismE0ELb1ES3_N6thrust23THRUST_200600_302600_NS6detail15normal_iteratorINS9_10device_ptrIxEEEESE_SE_xNS9_4plusIvEENS9_8equal_toIvEExEE10hipError_tPvRmT2_T3_T4_T5_mT6_T7_P12ihipStream_tbENKUlT_T0_E_clISt17integral_constantIbLb0EESZ_EEDaSU_SV_EUlSU_E_NS1_11comp_targetILNS1_3genE10ELNS1_11target_archE1201ELNS1_3gpuE5ELNS1_3repE0EEENS1_30default_config_static_selectorELNS0_4arch9wavefront6targetE1EEEvT1_
	.p2align	8
	.type	_ZN7rocprim17ROCPRIM_400000_NS6detail17trampoline_kernelINS0_14default_configENS1_27scan_by_key_config_selectorIxxEEZZNS1_16scan_by_key_implILNS1_25lookback_scan_determinismE0ELb1ES3_N6thrust23THRUST_200600_302600_NS6detail15normal_iteratorINS9_10device_ptrIxEEEESE_SE_xNS9_4plusIvEENS9_8equal_toIvEExEE10hipError_tPvRmT2_T3_T4_T5_mT6_T7_P12ihipStream_tbENKUlT_T0_E_clISt17integral_constantIbLb0EESZ_EEDaSU_SV_EUlSU_E_NS1_11comp_targetILNS1_3genE10ELNS1_11target_archE1201ELNS1_3gpuE5ELNS1_3repE0EEENS1_30default_config_static_selectorELNS0_4arch9wavefront6targetE1EEEvT1_,@function
_ZN7rocprim17ROCPRIM_400000_NS6detail17trampoline_kernelINS0_14default_configENS1_27scan_by_key_config_selectorIxxEEZZNS1_16scan_by_key_implILNS1_25lookback_scan_determinismE0ELb1ES3_N6thrust23THRUST_200600_302600_NS6detail15normal_iteratorINS9_10device_ptrIxEEEESE_SE_xNS9_4plusIvEENS9_8equal_toIvEExEE10hipError_tPvRmT2_T3_T4_T5_mT6_T7_P12ihipStream_tbENKUlT_T0_E_clISt17integral_constantIbLb0EESZ_EEDaSU_SV_EUlSU_E_NS1_11comp_targetILNS1_3genE10ELNS1_11target_archE1201ELNS1_3gpuE5ELNS1_3repE0EEENS1_30default_config_static_selectorELNS0_4arch9wavefront6targetE1EEEvT1_: ; @_ZN7rocprim17ROCPRIM_400000_NS6detail17trampoline_kernelINS0_14default_configENS1_27scan_by_key_config_selectorIxxEEZZNS1_16scan_by_key_implILNS1_25lookback_scan_determinismE0ELb1ES3_N6thrust23THRUST_200600_302600_NS6detail15normal_iteratorINS9_10device_ptrIxEEEESE_SE_xNS9_4plusIvEENS9_8equal_toIvEExEE10hipError_tPvRmT2_T3_T4_T5_mT6_T7_P12ihipStream_tbENKUlT_T0_E_clISt17integral_constantIbLb0EESZ_EEDaSU_SV_EUlSU_E_NS1_11comp_targetILNS1_3genE10ELNS1_11target_archE1201ELNS1_3gpuE5ELNS1_3repE0EEENS1_30default_config_static_selectorELNS0_4arch9wavefront6targetE1EEEvT1_
; %bb.0:
	.section	.rodata,"a",@progbits
	.p2align	6, 0x0
	.amdhsa_kernel _ZN7rocprim17ROCPRIM_400000_NS6detail17trampoline_kernelINS0_14default_configENS1_27scan_by_key_config_selectorIxxEEZZNS1_16scan_by_key_implILNS1_25lookback_scan_determinismE0ELb1ES3_N6thrust23THRUST_200600_302600_NS6detail15normal_iteratorINS9_10device_ptrIxEEEESE_SE_xNS9_4plusIvEENS9_8equal_toIvEExEE10hipError_tPvRmT2_T3_T4_T5_mT6_T7_P12ihipStream_tbENKUlT_T0_E_clISt17integral_constantIbLb0EESZ_EEDaSU_SV_EUlSU_E_NS1_11comp_targetILNS1_3genE10ELNS1_11target_archE1201ELNS1_3gpuE5ELNS1_3repE0EEENS1_30default_config_static_selectorELNS0_4arch9wavefront6targetE1EEEvT1_
		.amdhsa_group_segment_fixed_size 0
		.amdhsa_private_segment_fixed_size 0
		.amdhsa_kernarg_size 136
		.amdhsa_user_sgpr_count 6
		.amdhsa_user_sgpr_private_segment_buffer 1
		.amdhsa_user_sgpr_dispatch_ptr 0
		.amdhsa_user_sgpr_queue_ptr 0
		.amdhsa_user_sgpr_kernarg_segment_ptr 1
		.amdhsa_user_sgpr_dispatch_id 0
		.amdhsa_user_sgpr_flat_scratch_init 0
		.amdhsa_user_sgpr_kernarg_preload_length 0
		.amdhsa_user_sgpr_kernarg_preload_offset 0
		.amdhsa_user_sgpr_private_segment_size 0
		.amdhsa_uses_dynamic_stack 0
		.amdhsa_system_sgpr_private_segment_wavefront_offset 0
		.amdhsa_system_sgpr_workgroup_id_x 1
		.amdhsa_system_sgpr_workgroup_id_y 0
		.amdhsa_system_sgpr_workgroup_id_z 0
		.amdhsa_system_sgpr_workgroup_info 0
		.amdhsa_system_vgpr_workitem_id 0
		.amdhsa_next_free_vgpr 1
		.amdhsa_next_free_sgpr 0
		.amdhsa_accum_offset 4
		.amdhsa_reserve_vcc 0
		.amdhsa_reserve_flat_scratch 0
		.amdhsa_float_round_mode_32 0
		.amdhsa_float_round_mode_16_64 0
		.amdhsa_float_denorm_mode_32 3
		.amdhsa_float_denorm_mode_16_64 3
		.amdhsa_dx10_clamp 1
		.amdhsa_ieee_mode 1
		.amdhsa_fp16_overflow 0
		.amdhsa_tg_split 0
		.amdhsa_exception_fp_ieee_invalid_op 0
		.amdhsa_exception_fp_denorm_src 0
		.amdhsa_exception_fp_ieee_div_zero 0
		.amdhsa_exception_fp_ieee_overflow 0
		.amdhsa_exception_fp_ieee_underflow 0
		.amdhsa_exception_fp_ieee_inexact 0
		.amdhsa_exception_int_div_zero 0
	.end_amdhsa_kernel
	.section	.text._ZN7rocprim17ROCPRIM_400000_NS6detail17trampoline_kernelINS0_14default_configENS1_27scan_by_key_config_selectorIxxEEZZNS1_16scan_by_key_implILNS1_25lookback_scan_determinismE0ELb1ES3_N6thrust23THRUST_200600_302600_NS6detail15normal_iteratorINS9_10device_ptrIxEEEESE_SE_xNS9_4plusIvEENS9_8equal_toIvEExEE10hipError_tPvRmT2_T3_T4_T5_mT6_T7_P12ihipStream_tbENKUlT_T0_E_clISt17integral_constantIbLb0EESZ_EEDaSU_SV_EUlSU_E_NS1_11comp_targetILNS1_3genE10ELNS1_11target_archE1201ELNS1_3gpuE5ELNS1_3repE0EEENS1_30default_config_static_selectorELNS0_4arch9wavefront6targetE1EEEvT1_,"axG",@progbits,_ZN7rocprim17ROCPRIM_400000_NS6detail17trampoline_kernelINS0_14default_configENS1_27scan_by_key_config_selectorIxxEEZZNS1_16scan_by_key_implILNS1_25lookback_scan_determinismE0ELb1ES3_N6thrust23THRUST_200600_302600_NS6detail15normal_iteratorINS9_10device_ptrIxEEEESE_SE_xNS9_4plusIvEENS9_8equal_toIvEExEE10hipError_tPvRmT2_T3_T4_T5_mT6_T7_P12ihipStream_tbENKUlT_T0_E_clISt17integral_constantIbLb0EESZ_EEDaSU_SV_EUlSU_E_NS1_11comp_targetILNS1_3genE10ELNS1_11target_archE1201ELNS1_3gpuE5ELNS1_3repE0EEENS1_30default_config_static_selectorELNS0_4arch9wavefront6targetE1EEEvT1_,comdat
.Lfunc_end354:
	.size	_ZN7rocprim17ROCPRIM_400000_NS6detail17trampoline_kernelINS0_14default_configENS1_27scan_by_key_config_selectorIxxEEZZNS1_16scan_by_key_implILNS1_25lookback_scan_determinismE0ELb1ES3_N6thrust23THRUST_200600_302600_NS6detail15normal_iteratorINS9_10device_ptrIxEEEESE_SE_xNS9_4plusIvEENS9_8equal_toIvEExEE10hipError_tPvRmT2_T3_T4_T5_mT6_T7_P12ihipStream_tbENKUlT_T0_E_clISt17integral_constantIbLb0EESZ_EEDaSU_SV_EUlSU_E_NS1_11comp_targetILNS1_3genE10ELNS1_11target_archE1201ELNS1_3gpuE5ELNS1_3repE0EEENS1_30default_config_static_selectorELNS0_4arch9wavefront6targetE1EEEvT1_, .Lfunc_end354-_ZN7rocprim17ROCPRIM_400000_NS6detail17trampoline_kernelINS0_14default_configENS1_27scan_by_key_config_selectorIxxEEZZNS1_16scan_by_key_implILNS1_25lookback_scan_determinismE0ELb1ES3_N6thrust23THRUST_200600_302600_NS6detail15normal_iteratorINS9_10device_ptrIxEEEESE_SE_xNS9_4plusIvEENS9_8equal_toIvEExEE10hipError_tPvRmT2_T3_T4_T5_mT6_T7_P12ihipStream_tbENKUlT_T0_E_clISt17integral_constantIbLb0EESZ_EEDaSU_SV_EUlSU_E_NS1_11comp_targetILNS1_3genE10ELNS1_11target_archE1201ELNS1_3gpuE5ELNS1_3repE0EEENS1_30default_config_static_selectorELNS0_4arch9wavefront6targetE1EEEvT1_
                                        ; -- End function
	.section	.AMDGPU.csdata,"",@progbits
; Kernel info:
; codeLenInByte = 0
; NumSgprs: 4
; NumVgprs: 0
; NumAgprs: 0
; TotalNumVgprs: 0
; ScratchSize: 0
; MemoryBound: 0
; FloatMode: 240
; IeeeMode: 1
; LDSByteSize: 0 bytes/workgroup (compile time only)
; SGPRBlocks: 0
; VGPRBlocks: 0
; NumSGPRsForWavesPerEU: 4
; NumVGPRsForWavesPerEU: 1
; AccumOffset: 4
; Occupancy: 8
; WaveLimiterHint : 0
; COMPUTE_PGM_RSRC2:SCRATCH_EN: 0
; COMPUTE_PGM_RSRC2:USER_SGPR: 6
; COMPUTE_PGM_RSRC2:TRAP_HANDLER: 0
; COMPUTE_PGM_RSRC2:TGID_X_EN: 1
; COMPUTE_PGM_RSRC2:TGID_Y_EN: 0
; COMPUTE_PGM_RSRC2:TGID_Z_EN: 0
; COMPUTE_PGM_RSRC2:TIDIG_COMP_CNT: 0
; COMPUTE_PGM_RSRC3_GFX90A:ACCUM_OFFSET: 0
; COMPUTE_PGM_RSRC3_GFX90A:TG_SPLIT: 0
	.section	.text._ZN7rocprim17ROCPRIM_400000_NS6detail17trampoline_kernelINS0_14default_configENS1_27scan_by_key_config_selectorIxxEEZZNS1_16scan_by_key_implILNS1_25lookback_scan_determinismE0ELb1ES3_N6thrust23THRUST_200600_302600_NS6detail15normal_iteratorINS9_10device_ptrIxEEEESE_SE_xNS9_4plusIvEENS9_8equal_toIvEExEE10hipError_tPvRmT2_T3_T4_T5_mT6_T7_P12ihipStream_tbENKUlT_T0_E_clISt17integral_constantIbLb0EESZ_EEDaSU_SV_EUlSU_E_NS1_11comp_targetILNS1_3genE5ELNS1_11target_archE942ELNS1_3gpuE9ELNS1_3repE0EEENS1_30default_config_static_selectorELNS0_4arch9wavefront6targetE1EEEvT1_,"axG",@progbits,_ZN7rocprim17ROCPRIM_400000_NS6detail17trampoline_kernelINS0_14default_configENS1_27scan_by_key_config_selectorIxxEEZZNS1_16scan_by_key_implILNS1_25lookback_scan_determinismE0ELb1ES3_N6thrust23THRUST_200600_302600_NS6detail15normal_iteratorINS9_10device_ptrIxEEEESE_SE_xNS9_4plusIvEENS9_8equal_toIvEExEE10hipError_tPvRmT2_T3_T4_T5_mT6_T7_P12ihipStream_tbENKUlT_T0_E_clISt17integral_constantIbLb0EESZ_EEDaSU_SV_EUlSU_E_NS1_11comp_targetILNS1_3genE5ELNS1_11target_archE942ELNS1_3gpuE9ELNS1_3repE0EEENS1_30default_config_static_selectorELNS0_4arch9wavefront6targetE1EEEvT1_,comdat
	.protected	_ZN7rocprim17ROCPRIM_400000_NS6detail17trampoline_kernelINS0_14default_configENS1_27scan_by_key_config_selectorIxxEEZZNS1_16scan_by_key_implILNS1_25lookback_scan_determinismE0ELb1ES3_N6thrust23THRUST_200600_302600_NS6detail15normal_iteratorINS9_10device_ptrIxEEEESE_SE_xNS9_4plusIvEENS9_8equal_toIvEExEE10hipError_tPvRmT2_T3_T4_T5_mT6_T7_P12ihipStream_tbENKUlT_T0_E_clISt17integral_constantIbLb0EESZ_EEDaSU_SV_EUlSU_E_NS1_11comp_targetILNS1_3genE5ELNS1_11target_archE942ELNS1_3gpuE9ELNS1_3repE0EEENS1_30default_config_static_selectorELNS0_4arch9wavefront6targetE1EEEvT1_ ; -- Begin function _ZN7rocprim17ROCPRIM_400000_NS6detail17trampoline_kernelINS0_14default_configENS1_27scan_by_key_config_selectorIxxEEZZNS1_16scan_by_key_implILNS1_25lookback_scan_determinismE0ELb1ES3_N6thrust23THRUST_200600_302600_NS6detail15normal_iteratorINS9_10device_ptrIxEEEESE_SE_xNS9_4plusIvEENS9_8equal_toIvEExEE10hipError_tPvRmT2_T3_T4_T5_mT6_T7_P12ihipStream_tbENKUlT_T0_E_clISt17integral_constantIbLb0EESZ_EEDaSU_SV_EUlSU_E_NS1_11comp_targetILNS1_3genE5ELNS1_11target_archE942ELNS1_3gpuE9ELNS1_3repE0EEENS1_30default_config_static_selectorELNS0_4arch9wavefront6targetE1EEEvT1_
	.globl	_ZN7rocprim17ROCPRIM_400000_NS6detail17trampoline_kernelINS0_14default_configENS1_27scan_by_key_config_selectorIxxEEZZNS1_16scan_by_key_implILNS1_25lookback_scan_determinismE0ELb1ES3_N6thrust23THRUST_200600_302600_NS6detail15normal_iteratorINS9_10device_ptrIxEEEESE_SE_xNS9_4plusIvEENS9_8equal_toIvEExEE10hipError_tPvRmT2_T3_T4_T5_mT6_T7_P12ihipStream_tbENKUlT_T0_E_clISt17integral_constantIbLb0EESZ_EEDaSU_SV_EUlSU_E_NS1_11comp_targetILNS1_3genE5ELNS1_11target_archE942ELNS1_3gpuE9ELNS1_3repE0EEENS1_30default_config_static_selectorELNS0_4arch9wavefront6targetE1EEEvT1_
	.p2align	8
	.type	_ZN7rocprim17ROCPRIM_400000_NS6detail17trampoline_kernelINS0_14default_configENS1_27scan_by_key_config_selectorIxxEEZZNS1_16scan_by_key_implILNS1_25lookback_scan_determinismE0ELb1ES3_N6thrust23THRUST_200600_302600_NS6detail15normal_iteratorINS9_10device_ptrIxEEEESE_SE_xNS9_4plusIvEENS9_8equal_toIvEExEE10hipError_tPvRmT2_T3_T4_T5_mT6_T7_P12ihipStream_tbENKUlT_T0_E_clISt17integral_constantIbLb0EESZ_EEDaSU_SV_EUlSU_E_NS1_11comp_targetILNS1_3genE5ELNS1_11target_archE942ELNS1_3gpuE9ELNS1_3repE0EEENS1_30default_config_static_selectorELNS0_4arch9wavefront6targetE1EEEvT1_,@function
_ZN7rocprim17ROCPRIM_400000_NS6detail17trampoline_kernelINS0_14default_configENS1_27scan_by_key_config_selectorIxxEEZZNS1_16scan_by_key_implILNS1_25lookback_scan_determinismE0ELb1ES3_N6thrust23THRUST_200600_302600_NS6detail15normal_iteratorINS9_10device_ptrIxEEEESE_SE_xNS9_4plusIvEENS9_8equal_toIvEExEE10hipError_tPvRmT2_T3_T4_T5_mT6_T7_P12ihipStream_tbENKUlT_T0_E_clISt17integral_constantIbLb0EESZ_EEDaSU_SV_EUlSU_E_NS1_11comp_targetILNS1_3genE5ELNS1_11target_archE942ELNS1_3gpuE9ELNS1_3repE0EEENS1_30default_config_static_selectorELNS0_4arch9wavefront6targetE1EEEvT1_: ; @_ZN7rocprim17ROCPRIM_400000_NS6detail17trampoline_kernelINS0_14default_configENS1_27scan_by_key_config_selectorIxxEEZZNS1_16scan_by_key_implILNS1_25lookback_scan_determinismE0ELb1ES3_N6thrust23THRUST_200600_302600_NS6detail15normal_iteratorINS9_10device_ptrIxEEEESE_SE_xNS9_4plusIvEENS9_8equal_toIvEExEE10hipError_tPvRmT2_T3_T4_T5_mT6_T7_P12ihipStream_tbENKUlT_T0_E_clISt17integral_constantIbLb0EESZ_EEDaSU_SV_EUlSU_E_NS1_11comp_targetILNS1_3genE5ELNS1_11target_archE942ELNS1_3gpuE9ELNS1_3repE0EEENS1_30default_config_static_selectorELNS0_4arch9wavefront6targetE1EEEvT1_
; %bb.0:
	.section	.rodata,"a",@progbits
	.p2align	6, 0x0
	.amdhsa_kernel _ZN7rocprim17ROCPRIM_400000_NS6detail17trampoline_kernelINS0_14default_configENS1_27scan_by_key_config_selectorIxxEEZZNS1_16scan_by_key_implILNS1_25lookback_scan_determinismE0ELb1ES3_N6thrust23THRUST_200600_302600_NS6detail15normal_iteratorINS9_10device_ptrIxEEEESE_SE_xNS9_4plusIvEENS9_8equal_toIvEExEE10hipError_tPvRmT2_T3_T4_T5_mT6_T7_P12ihipStream_tbENKUlT_T0_E_clISt17integral_constantIbLb0EESZ_EEDaSU_SV_EUlSU_E_NS1_11comp_targetILNS1_3genE5ELNS1_11target_archE942ELNS1_3gpuE9ELNS1_3repE0EEENS1_30default_config_static_selectorELNS0_4arch9wavefront6targetE1EEEvT1_
		.amdhsa_group_segment_fixed_size 0
		.amdhsa_private_segment_fixed_size 0
		.amdhsa_kernarg_size 136
		.amdhsa_user_sgpr_count 6
		.amdhsa_user_sgpr_private_segment_buffer 1
		.amdhsa_user_sgpr_dispatch_ptr 0
		.amdhsa_user_sgpr_queue_ptr 0
		.amdhsa_user_sgpr_kernarg_segment_ptr 1
		.amdhsa_user_sgpr_dispatch_id 0
		.amdhsa_user_sgpr_flat_scratch_init 0
		.amdhsa_user_sgpr_kernarg_preload_length 0
		.amdhsa_user_sgpr_kernarg_preload_offset 0
		.amdhsa_user_sgpr_private_segment_size 0
		.amdhsa_uses_dynamic_stack 0
		.amdhsa_system_sgpr_private_segment_wavefront_offset 0
		.amdhsa_system_sgpr_workgroup_id_x 1
		.amdhsa_system_sgpr_workgroup_id_y 0
		.amdhsa_system_sgpr_workgroup_id_z 0
		.amdhsa_system_sgpr_workgroup_info 0
		.amdhsa_system_vgpr_workitem_id 0
		.amdhsa_next_free_vgpr 1
		.amdhsa_next_free_sgpr 0
		.amdhsa_accum_offset 4
		.amdhsa_reserve_vcc 0
		.amdhsa_reserve_flat_scratch 0
		.amdhsa_float_round_mode_32 0
		.amdhsa_float_round_mode_16_64 0
		.amdhsa_float_denorm_mode_32 3
		.amdhsa_float_denorm_mode_16_64 3
		.amdhsa_dx10_clamp 1
		.amdhsa_ieee_mode 1
		.amdhsa_fp16_overflow 0
		.amdhsa_tg_split 0
		.amdhsa_exception_fp_ieee_invalid_op 0
		.amdhsa_exception_fp_denorm_src 0
		.amdhsa_exception_fp_ieee_div_zero 0
		.amdhsa_exception_fp_ieee_overflow 0
		.amdhsa_exception_fp_ieee_underflow 0
		.amdhsa_exception_fp_ieee_inexact 0
		.amdhsa_exception_int_div_zero 0
	.end_amdhsa_kernel
	.section	.text._ZN7rocprim17ROCPRIM_400000_NS6detail17trampoline_kernelINS0_14default_configENS1_27scan_by_key_config_selectorIxxEEZZNS1_16scan_by_key_implILNS1_25lookback_scan_determinismE0ELb1ES3_N6thrust23THRUST_200600_302600_NS6detail15normal_iteratorINS9_10device_ptrIxEEEESE_SE_xNS9_4plusIvEENS9_8equal_toIvEExEE10hipError_tPvRmT2_T3_T4_T5_mT6_T7_P12ihipStream_tbENKUlT_T0_E_clISt17integral_constantIbLb0EESZ_EEDaSU_SV_EUlSU_E_NS1_11comp_targetILNS1_3genE5ELNS1_11target_archE942ELNS1_3gpuE9ELNS1_3repE0EEENS1_30default_config_static_selectorELNS0_4arch9wavefront6targetE1EEEvT1_,"axG",@progbits,_ZN7rocprim17ROCPRIM_400000_NS6detail17trampoline_kernelINS0_14default_configENS1_27scan_by_key_config_selectorIxxEEZZNS1_16scan_by_key_implILNS1_25lookback_scan_determinismE0ELb1ES3_N6thrust23THRUST_200600_302600_NS6detail15normal_iteratorINS9_10device_ptrIxEEEESE_SE_xNS9_4plusIvEENS9_8equal_toIvEExEE10hipError_tPvRmT2_T3_T4_T5_mT6_T7_P12ihipStream_tbENKUlT_T0_E_clISt17integral_constantIbLb0EESZ_EEDaSU_SV_EUlSU_E_NS1_11comp_targetILNS1_3genE5ELNS1_11target_archE942ELNS1_3gpuE9ELNS1_3repE0EEENS1_30default_config_static_selectorELNS0_4arch9wavefront6targetE1EEEvT1_,comdat
.Lfunc_end355:
	.size	_ZN7rocprim17ROCPRIM_400000_NS6detail17trampoline_kernelINS0_14default_configENS1_27scan_by_key_config_selectorIxxEEZZNS1_16scan_by_key_implILNS1_25lookback_scan_determinismE0ELb1ES3_N6thrust23THRUST_200600_302600_NS6detail15normal_iteratorINS9_10device_ptrIxEEEESE_SE_xNS9_4plusIvEENS9_8equal_toIvEExEE10hipError_tPvRmT2_T3_T4_T5_mT6_T7_P12ihipStream_tbENKUlT_T0_E_clISt17integral_constantIbLb0EESZ_EEDaSU_SV_EUlSU_E_NS1_11comp_targetILNS1_3genE5ELNS1_11target_archE942ELNS1_3gpuE9ELNS1_3repE0EEENS1_30default_config_static_selectorELNS0_4arch9wavefront6targetE1EEEvT1_, .Lfunc_end355-_ZN7rocprim17ROCPRIM_400000_NS6detail17trampoline_kernelINS0_14default_configENS1_27scan_by_key_config_selectorIxxEEZZNS1_16scan_by_key_implILNS1_25lookback_scan_determinismE0ELb1ES3_N6thrust23THRUST_200600_302600_NS6detail15normal_iteratorINS9_10device_ptrIxEEEESE_SE_xNS9_4plusIvEENS9_8equal_toIvEExEE10hipError_tPvRmT2_T3_T4_T5_mT6_T7_P12ihipStream_tbENKUlT_T0_E_clISt17integral_constantIbLb0EESZ_EEDaSU_SV_EUlSU_E_NS1_11comp_targetILNS1_3genE5ELNS1_11target_archE942ELNS1_3gpuE9ELNS1_3repE0EEENS1_30default_config_static_selectorELNS0_4arch9wavefront6targetE1EEEvT1_
                                        ; -- End function
	.section	.AMDGPU.csdata,"",@progbits
; Kernel info:
; codeLenInByte = 0
; NumSgprs: 4
; NumVgprs: 0
; NumAgprs: 0
; TotalNumVgprs: 0
; ScratchSize: 0
; MemoryBound: 0
; FloatMode: 240
; IeeeMode: 1
; LDSByteSize: 0 bytes/workgroup (compile time only)
; SGPRBlocks: 0
; VGPRBlocks: 0
; NumSGPRsForWavesPerEU: 4
; NumVGPRsForWavesPerEU: 1
; AccumOffset: 4
; Occupancy: 8
; WaveLimiterHint : 0
; COMPUTE_PGM_RSRC2:SCRATCH_EN: 0
; COMPUTE_PGM_RSRC2:USER_SGPR: 6
; COMPUTE_PGM_RSRC2:TRAP_HANDLER: 0
; COMPUTE_PGM_RSRC2:TGID_X_EN: 1
; COMPUTE_PGM_RSRC2:TGID_Y_EN: 0
; COMPUTE_PGM_RSRC2:TGID_Z_EN: 0
; COMPUTE_PGM_RSRC2:TIDIG_COMP_CNT: 0
; COMPUTE_PGM_RSRC3_GFX90A:ACCUM_OFFSET: 0
; COMPUTE_PGM_RSRC3_GFX90A:TG_SPLIT: 0
	.section	.text._ZN7rocprim17ROCPRIM_400000_NS6detail17trampoline_kernelINS0_14default_configENS1_27scan_by_key_config_selectorIxxEEZZNS1_16scan_by_key_implILNS1_25lookback_scan_determinismE0ELb1ES3_N6thrust23THRUST_200600_302600_NS6detail15normal_iteratorINS9_10device_ptrIxEEEESE_SE_xNS9_4plusIvEENS9_8equal_toIvEExEE10hipError_tPvRmT2_T3_T4_T5_mT6_T7_P12ihipStream_tbENKUlT_T0_E_clISt17integral_constantIbLb0EESZ_EEDaSU_SV_EUlSU_E_NS1_11comp_targetILNS1_3genE4ELNS1_11target_archE910ELNS1_3gpuE8ELNS1_3repE0EEENS1_30default_config_static_selectorELNS0_4arch9wavefront6targetE1EEEvT1_,"axG",@progbits,_ZN7rocprim17ROCPRIM_400000_NS6detail17trampoline_kernelINS0_14default_configENS1_27scan_by_key_config_selectorIxxEEZZNS1_16scan_by_key_implILNS1_25lookback_scan_determinismE0ELb1ES3_N6thrust23THRUST_200600_302600_NS6detail15normal_iteratorINS9_10device_ptrIxEEEESE_SE_xNS9_4plusIvEENS9_8equal_toIvEExEE10hipError_tPvRmT2_T3_T4_T5_mT6_T7_P12ihipStream_tbENKUlT_T0_E_clISt17integral_constantIbLb0EESZ_EEDaSU_SV_EUlSU_E_NS1_11comp_targetILNS1_3genE4ELNS1_11target_archE910ELNS1_3gpuE8ELNS1_3repE0EEENS1_30default_config_static_selectorELNS0_4arch9wavefront6targetE1EEEvT1_,comdat
	.protected	_ZN7rocprim17ROCPRIM_400000_NS6detail17trampoline_kernelINS0_14default_configENS1_27scan_by_key_config_selectorIxxEEZZNS1_16scan_by_key_implILNS1_25lookback_scan_determinismE0ELb1ES3_N6thrust23THRUST_200600_302600_NS6detail15normal_iteratorINS9_10device_ptrIxEEEESE_SE_xNS9_4plusIvEENS9_8equal_toIvEExEE10hipError_tPvRmT2_T3_T4_T5_mT6_T7_P12ihipStream_tbENKUlT_T0_E_clISt17integral_constantIbLb0EESZ_EEDaSU_SV_EUlSU_E_NS1_11comp_targetILNS1_3genE4ELNS1_11target_archE910ELNS1_3gpuE8ELNS1_3repE0EEENS1_30default_config_static_selectorELNS0_4arch9wavefront6targetE1EEEvT1_ ; -- Begin function _ZN7rocprim17ROCPRIM_400000_NS6detail17trampoline_kernelINS0_14default_configENS1_27scan_by_key_config_selectorIxxEEZZNS1_16scan_by_key_implILNS1_25lookback_scan_determinismE0ELb1ES3_N6thrust23THRUST_200600_302600_NS6detail15normal_iteratorINS9_10device_ptrIxEEEESE_SE_xNS9_4plusIvEENS9_8equal_toIvEExEE10hipError_tPvRmT2_T3_T4_T5_mT6_T7_P12ihipStream_tbENKUlT_T0_E_clISt17integral_constantIbLb0EESZ_EEDaSU_SV_EUlSU_E_NS1_11comp_targetILNS1_3genE4ELNS1_11target_archE910ELNS1_3gpuE8ELNS1_3repE0EEENS1_30default_config_static_selectorELNS0_4arch9wavefront6targetE1EEEvT1_
	.globl	_ZN7rocprim17ROCPRIM_400000_NS6detail17trampoline_kernelINS0_14default_configENS1_27scan_by_key_config_selectorIxxEEZZNS1_16scan_by_key_implILNS1_25lookback_scan_determinismE0ELb1ES3_N6thrust23THRUST_200600_302600_NS6detail15normal_iteratorINS9_10device_ptrIxEEEESE_SE_xNS9_4plusIvEENS9_8equal_toIvEExEE10hipError_tPvRmT2_T3_T4_T5_mT6_T7_P12ihipStream_tbENKUlT_T0_E_clISt17integral_constantIbLb0EESZ_EEDaSU_SV_EUlSU_E_NS1_11comp_targetILNS1_3genE4ELNS1_11target_archE910ELNS1_3gpuE8ELNS1_3repE0EEENS1_30default_config_static_selectorELNS0_4arch9wavefront6targetE1EEEvT1_
	.p2align	8
	.type	_ZN7rocprim17ROCPRIM_400000_NS6detail17trampoline_kernelINS0_14default_configENS1_27scan_by_key_config_selectorIxxEEZZNS1_16scan_by_key_implILNS1_25lookback_scan_determinismE0ELb1ES3_N6thrust23THRUST_200600_302600_NS6detail15normal_iteratorINS9_10device_ptrIxEEEESE_SE_xNS9_4plusIvEENS9_8equal_toIvEExEE10hipError_tPvRmT2_T3_T4_T5_mT6_T7_P12ihipStream_tbENKUlT_T0_E_clISt17integral_constantIbLb0EESZ_EEDaSU_SV_EUlSU_E_NS1_11comp_targetILNS1_3genE4ELNS1_11target_archE910ELNS1_3gpuE8ELNS1_3repE0EEENS1_30default_config_static_selectorELNS0_4arch9wavefront6targetE1EEEvT1_,@function
_ZN7rocprim17ROCPRIM_400000_NS6detail17trampoline_kernelINS0_14default_configENS1_27scan_by_key_config_selectorIxxEEZZNS1_16scan_by_key_implILNS1_25lookback_scan_determinismE0ELb1ES3_N6thrust23THRUST_200600_302600_NS6detail15normal_iteratorINS9_10device_ptrIxEEEESE_SE_xNS9_4plusIvEENS9_8equal_toIvEExEE10hipError_tPvRmT2_T3_T4_T5_mT6_T7_P12ihipStream_tbENKUlT_T0_E_clISt17integral_constantIbLb0EESZ_EEDaSU_SV_EUlSU_E_NS1_11comp_targetILNS1_3genE4ELNS1_11target_archE910ELNS1_3gpuE8ELNS1_3repE0EEENS1_30default_config_static_selectorELNS0_4arch9wavefront6targetE1EEEvT1_: ; @_ZN7rocprim17ROCPRIM_400000_NS6detail17trampoline_kernelINS0_14default_configENS1_27scan_by_key_config_selectorIxxEEZZNS1_16scan_by_key_implILNS1_25lookback_scan_determinismE0ELb1ES3_N6thrust23THRUST_200600_302600_NS6detail15normal_iteratorINS9_10device_ptrIxEEEESE_SE_xNS9_4plusIvEENS9_8equal_toIvEExEE10hipError_tPvRmT2_T3_T4_T5_mT6_T7_P12ihipStream_tbENKUlT_T0_E_clISt17integral_constantIbLb0EESZ_EEDaSU_SV_EUlSU_E_NS1_11comp_targetILNS1_3genE4ELNS1_11target_archE910ELNS1_3gpuE8ELNS1_3repE0EEENS1_30default_config_static_selectorELNS0_4arch9wavefront6targetE1EEEvT1_
; %bb.0:
	s_load_dwordx8 s[52:59], s[4:5], 0x0
	s_load_dwordx2 s[64:65], s[4:5], 0x20
	s_load_dwordx8 s[44:51], s[4:5], 0x30
	s_load_dwordx2 s[66:67], s[4:5], 0x50
	s_load_dword s0, s[4:5], 0x58
	s_load_dwordx4 s[60:63], s[4:5], 0x60
	s_waitcnt lgkmcnt(0)
	s_lshl_b64 s[54:55], s[54:55], 3
	s_add_u32 s2, s52, s54
	s_addc_u32 s3, s53, s55
	s_add_u32 s4, s56, s54
	s_mul_i32 s1, s67, s0
	s_mul_hi_u32 s7, s66, s0
	s_addc_u32 s5, s57, s55
	s_add_i32 s8, s7, s1
	s_mul_i32 s9, s66, s0
	s_mul_i32 s0, s6, 0x4c0
	s_mov_b32 s1, 0
	s_lshl_b64 s[52:53], s[0:1], 3
	s_add_u32 s56, s2, s52
	s_addc_u32 s57, s3, s53
	s_add_u32 s7, s4, s52
	s_addc_u32 s51, s5, s53
	;; [unrolled: 2-line block ×3, first 2 shown]
	s_add_u32 s4, s60, -1
	s_addc_u32 s5, s61, -1
	v_pk_mov_b32 v[2:3], s[4:5], s[4:5] op_sel:[0,1]
	v_cmp_ge_u64_e64 s[0:1], s[0:1], v[2:3]
	s_mov_b64 s[2:3], -1
	s_and_b64 vcc, exec, s[0:1]
	s_mul_i32 s33, s4, 0xfffffb40
	s_waitcnt lgkmcnt(0)
	; wave barrier
	s_cbranch_vccz .LBB356_59
; %bb.1:
	v_pk_mov_b32 v[2:3], s[56:57], s[56:57] op_sel:[0,1]
	flat_load_dwordx2 v[2:3], v[2:3]
	s_add_i32 s70, s33, s50
	v_cmp_gt_u32_e32 vcc, s70, v0
	s_waitcnt vmcnt(0) lgkmcnt(0)
	v_pk_mov_b32 v[4:5], v[2:3], v[2:3] op_sel:[0,1]
	s_and_saveexec_b64 s[4:5], vcc
	s_cbranch_execz .LBB356_3
; %bb.2:
	v_lshlrev_b32_e32 v1, 3, v0
	v_mov_b32_e32 v5, s57
	v_add_co_u32_e64 v4, s[2:3], s56, v1
	v_addc_co_u32_e64 v5, s[2:3], 0, v5, s[2:3]
	flat_load_dwordx2 v[4:5], v[4:5]
.LBB356_3:
	s_or_b64 exec, exec, s[4:5]
	v_or_b32_e32 v1, 64, v0
	v_cmp_gt_u32_e64 s[2:3], s70, v1
	v_pk_mov_b32 v[6:7], v[2:3], v[2:3] op_sel:[0,1]
	s_and_saveexec_b64 s[8:9], s[2:3]
	s_cbranch_execz .LBB356_5
; %bb.4:
	v_lshlrev_b32_e32 v1, 3, v0
	v_mov_b32_e32 v7, s57
	v_add_co_u32_e64 v6, s[4:5], s56, v1
	v_addc_co_u32_e64 v7, s[4:5], 0, v7, s[4:5]
	flat_load_dwordx2 v[6:7], v[6:7] offset:512
.LBB356_5:
	s_or_b64 exec, exec, s[8:9]
	v_or_b32_e32 v1, 0x80, v0
	v_cmp_gt_u32_e64 s[4:5], s70, v1
	v_pk_mov_b32 v[8:9], v[2:3], v[2:3] op_sel:[0,1]
	s_and_saveexec_b64 s[10:11], s[4:5]
	s_cbranch_execz .LBB356_7
; %bb.6:
	v_lshlrev_b32_e32 v1, 3, v0
	v_mov_b32_e32 v9, s57
	v_add_co_u32_e64 v8, s[8:9], s56, v1
	v_addc_co_u32_e64 v9, s[8:9], 0, v9, s[8:9]
	flat_load_dwordx2 v[8:9], v[8:9] offset:1024
.LBB356_7:
	s_or_b64 exec, exec, s[10:11]
	v_or_b32_e32 v1, 0xc0, v0
	v_cmp_gt_u32_e64 s[40:41], s70, v1
	v_pk_mov_b32 v[10:11], v[2:3], v[2:3] op_sel:[0,1]
	s_and_saveexec_b64 s[10:11], s[40:41]
	s_cbranch_execz .LBB356_9
; %bb.8:
	v_lshlrev_b32_e32 v1, 3, v0
	v_mov_b32_e32 v11, s57
	v_add_co_u32_e64 v10, s[8:9], s56, v1
	v_addc_co_u32_e64 v11, s[8:9], 0, v11, s[8:9]
	flat_load_dwordx2 v[10:11], v[10:11] offset:1536
.LBB356_9:
	s_or_b64 exec, exec, s[10:11]
	v_or_b32_e32 v1, 0x100, v0
	v_cmp_gt_u32_e64 s[8:9], s70, v1
	v_pk_mov_b32 v[12:13], v[2:3], v[2:3] op_sel:[0,1]
	s_and_saveexec_b64 s[12:13], s[8:9]
	s_cbranch_execz .LBB356_11
; %bb.10:
	v_lshlrev_b32_e32 v1, 3, v0
	v_mov_b32_e32 v13, s57
	v_add_co_u32_e64 v12, s[10:11], s56, v1
	v_addc_co_u32_e64 v13, s[10:11], 0, v13, s[10:11]
	flat_load_dwordx2 v[12:13], v[12:13] offset:2048
.LBB356_11:
	s_or_b64 exec, exec, s[12:13]
	v_or_b32_e32 v1, 0x140, v0
	v_cmp_gt_u32_e64 s[10:11], s70, v1
	v_pk_mov_b32 v[14:15], v[2:3], v[2:3] op_sel:[0,1]
	s_and_saveexec_b64 s[14:15], s[10:11]
	s_cbranch_execz .LBB356_13
; %bb.12:
	v_lshlrev_b32_e32 v1, 3, v0
	v_mov_b32_e32 v15, s57
	v_add_co_u32_e64 v14, s[12:13], s56, v1
	v_addc_co_u32_e64 v15, s[12:13], 0, v15, s[12:13]
	flat_load_dwordx2 v[14:15], v[14:15] offset:2560
.LBB356_13:
	s_or_b64 exec, exec, s[14:15]
	v_or_b32_e32 v1, 0x180, v0
	v_cmp_gt_u32_e64 s[12:13], s70, v1
	v_pk_mov_b32 v[16:17], v[2:3], v[2:3] op_sel:[0,1]
	s_and_saveexec_b64 s[16:17], s[12:13]
	s_cbranch_execz .LBB356_15
; %bb.14:
	v_lshlrev_b32_e32 v1, 3, v0
	v_mov_b32_e32 v17, s57
	v_add_co_u32_e64 v16, s[14:15], s56, v1
	v_addc_co_u32_e64 v17, s[14:15], 0, v17, s[14:15]
	flat_load_dwordx2 v[16:17], v[16:17] offset:3072
.LBB356_15:
	s_or_b64 exec, exec, s[16:17]
	v_or_b32_e32 v1, 0x1c0, v0
	v_cmp_gt_u32_e64 s[14:15], s70, v1
	v_pk_mov_b32 v[18:19], v[2:3], v[2:3] op_sel:[0,1]
	s_and_saveexec_b64 s[18:19], s[14:15]
	s_cbranch_execz .LBB356_17
; %bb.16:
	v_lshlrev_b32_e32 v1, 3, v0
	v_mov_b32_e32 v19, s57
	v_add_co_u32_e64 v18, s[16:17], s56, v1
	v_addc_co_u32_e64 v19, s[16:17], 0, v19, s[16:17]
	flat_load_dwordx2 v[18:19], v[18:19] offset:3584
.LBB356_17:
	s_or_b64 exec, exec, s[18:19]
	v_or_b32_e32 v1, 0x200, v0
	v_cmp_gt_u32_e64 s[16:17], s70, v1
	v_lshlrev_b32_e32 v1, 3, v1
	v_pk_mov_b32 v[20:21], v[2:3], v[2:3] op_sel:[0,1]
	s_and_saveexec_b64 s[20:21], s[16:17]
	s_cbranch_execz .LBB356_19
; %bb.18:
	v_mov_b32_e32 v21, s57
	v_add_co_u32_e64 v20, s[18:19], s56, v1
	v_addc_co_u32_e64 v21, s[18:19], 0, v21, s[18:19]
	flat_load_dwordx2 v[20:21], v[20:21]
.LBB356_19:
	s_or_b64 exec, exec, s[20:21]
	v_or_b32_e32 v22, 0x240, v0
	v_cmp_gt_u32_e64 s[18:19], s70, v22
	v_lshlrev_b32_e32 v60, 3, v22
	v_pk_mov_b32 v[22:23], v[2:3], v[2:3] op_sel:[0,1]
	s_and_saveexec_b64 s[22:23], s[18:19]
	s_cbranch_execz .LBB356_21
; %bb.20:
	v_mov_b32_e32 v23, s57
	v_add_co_u32_e64 v22, s[20:21], s56, v60
	v_addc_co_u32_e64 v23, s[20:21], 0, v23, s[20:21]
	flat_load_dwordx2 v[22:23], v[22:23]
.LBB356_21:
	;; [unrolled: 13-line block ×10, first 2 shown]
	s_or_b64 exec, exec, s[42:43]
	v_or_b32_e32 v40, 0x480, v0
	v_cmp_gt_u32_e64 s[38:39], s70, v40
	v_lshlrev_b32_e32 v82, 3, v40
	s_and_saveexec_b64 s[60:61], s[38:39]
	s_cbranch_execz .LBB356_39
; %bb.38:
	v_mov_b32_e32 v3, s57
	v_add_co_u32_e64 v2, s[42:43], s56, v82
	v_addc_co_u32_e64 v3, s[42:43], 0, v3, s[42:43]
	flat_load_dwordx2 v[2:3], v[2:3]
.LBB356_39:
	s_or_b64 exec, exec, s[60:61]
	v_lshlrev_b32_e32 v83, 3, v0
	s_waitcnt vmcnt(0) lgkmcnt(0)
	ds_write2st64_b64 v83, v[4:5], v[6:7] offset1:1
	ds_write2st64_b64 v83, v[8:9], v[10:11] offset0:2 offset1:3
	ds_write2st64_b64 v83, v[12:13], v[14:15] offset0:4 offset1:5
	;; [unrolled: 1-line block ×8, first 2 shown]
	ds_write_b64 v83, v[2:3] offset:9216
	v_pk_mov_b32 v[2:3], s[56:57], s[56:57] op_sel:[0,1]
	s_waitcnt lgkmcnt(0)
	; wave barrier
	s_waitcnt lgkmcnt(0)
	flat_load_dwordx2 v[78:79], v[2:3]
	s_movk_i32 s42, 0x90
	v_mad_u32_u24 v80, v0, s42, v83
	s_movk_i32 s42, 0xff70
	v_mad_i32_i24 v38, v0, s42, v80
	v_cmp_ne_u32_e64 s[42:43], 63, v0
	ds_read_b64 v[40:41], v80
	ds_read2_b64 v[34:37], v80 offset0:1 offset1:2
	ds_read2_b64 v[30:33], v80 offset0:3 offset1:4
	;; [unrolled: 1-line block ×9, first 2 shown]
	s_waitcnt lgkmcnt(0)
	ds_write_b64 v38, v[40:41] offset:10240
	s_waitcnt lgkmcnt(0)
	; wave barrier
	s_waitcnt lgkmcnt(0)
	s_and_saveexec_b64 s[60:61], s[42:43]
	s_cbranch_execz .LBB356_41
; %bb.40:
	s_waitcnt vmcnt(0)
	ds_read_b64 v[78:79], v83 offset:10248
.LBB356_41:
	s_or_b64 exec, exec, s[60:61]
	s_waitcnt lgkmcnt(0)
	; wave barrier
	s_waitcnt lgkmcnt(0)
                                        ; implicit-def: $vgpr38_vgpr39
	s_and_saveexec_b64 s[42:43], vcc
	s_cbranch_execz .LBB356_60
; %bb.42:
	v_mov_b32_e32 v39, s51
	v_add_co_u32_e32 v38, vcc, s7, v83
	v_addc_co_u32_e32 v39, vcc, 0, v39, vcc
	flat_load_dwordx2 v[38:39], v[38:39]
	s_or_b64 exec, exec, s[42:43]
                                        ; implicit-def: $vgpr42_vgpr43
	s_and_saveexec_b64 s[42:43], s[2:3]
	s_cbranch_execnz .LBB356_61
.LBB356_43:
	s_or_b64 exec, exec, s[42:43]
                                        ; implicit-def: $vgpr44_vgpr45
	s_and_saveexec_b64 s[2:3], s[4:5]
	s_cbranch_execz .LBB356_62
.LBB356_44:
	v_mov_b32_e32 v45, s51
	v_add_co_u32_e32 v44, vcc, s7, v83
	v_addc_co_u32_e32 v45, vcc, 0, v45, vcc
	flat_load_dwordx2 v[44:45], v[44:45] offset:1024
	s_or_b64 exec, exec, s[2:3]
                                        ; implicit-def: $vgpr46_vgpr47
	s_and_saveexec_b64 s[2:3], s[40:41]
	s_cbranch_execnz .LBB356_63
.LBB356_45:
	s_or_b64 exec, exec, s[2:3]
                                        ; implicit-def: $vgpr48_vgpr49
	s_and_saveexec_b64 s[2:3], s[8:9]
	s_cbranch_execz .LBB356_64
.LBB356_46:
	v_mov_b32_e32 v49, s51
	v_add_co_u32_e32 v48, vcc, s7, v83
	v_addc_co_u32_e32 v49, vcc, 0, v49, vcc
	flat_load_dwordx2 v[48:49], v[48:49] offset:2048
	s_or_b64 exec, exec, s[2:3]
                                        ; implicit-def: $vgpr50_vgpr51
	s_and_saveexec_b64 s[2:3], s[10:11]
	s_cbranch_execnz .LBB356_65
.LBB356_47:
	s_or_b64 exec, exec, s[2:3]
                                        ; implicit-def: $vgpr52_vgpr53
	s_and_saveexec_b64 s[2:3], s[12:13]
	s_cbranch_execz .LBB356_66
.LBB356_48:
	v_mov_b32_e32 v53, s51
	v_add_co_u32_e32 v52, vcc, s7, v83
	v_addc_co_u32_e32 v53, vcc, 0, v53, vcc
	flat_load_dwordx2 v[52:53], v[52:53] offset:3072
	s_or_b64 exec, exec, s[2:3]
                                        ; implicit-def: $vgpr54_vgpr55
	s_and_saveexec_b64 s[2:3], s[14:15]
	s_cbranch_execnz .LBB356_67
.LBB356_49:
	s_or_b64 exec, exec, s[2:3]
                                        ; implicit-def: $vgpr56_vgpr57
	s_and_saveexec_b64 s[2:3], s[16:17]
	s_cbranch_execz .LBB356_68
.LBB356_50:
	v_mov_b32_e32 v57, s51
	v_add_co_u32_e32 v56, vcc, s7, v1
	v_addc_co_u32_e32 v57, vcc, 0, v57, vcc
	flat_load_dwordx2 v[56:57], v[56:57]
	s_or_b64 exec, exec, s[2:3]
                                        ; implicit-def: $vgpr58_vgpr59
	s_and_saveexec_b64 s[2:3], s[18:19]
	s_cbranch_execnz .LBB356_69
.LBB356_51:
	s_or_b64 exec, exec, s[2:3]
                                        ; implicit-def: $vgpr60_vgpr61
	s_and_saveexec_b64 s[2:3], s[20:21]
	s_cbranch_execz .LBB356_70
.LBB356_52:
	v_mov_b32_e32 v1, s51
	v_add_co_u32_e32 v60, vcc, s7, v62
	v_addc_co_u32_e32 v61, vcc, 0, v1, vcc
	flat_load_dwordx2 v[60:61], v[60:61]
	s_or_b64 exec, exec, s[2:3]
                                        ; implicit-def: $vgpr62_vgpr63
	s_and_saveexec_b64 s[2:3], s[22:23]
	s_cbranch_execnz .LBB356_71
.LBB356_53:
	s_or_b64 exec, exec, s[2:3]
                                        ; implicit-def: $vgpr64_vgpr65
	s_and_saveexec_b64 s[2:3], s[24:25]
	s_cbranch_execz .LBB356_72
.LBB356_54:
	v_mov_b32_e32 v1, s51
	v_add_co_u32_e32 v64, vcc, s7, v66
	v_addc_co_u32_e32 v65, vcc, 0, v1, vcc
	flat_load_dwordx2 v[64:65], v[64:65]
	s_or_b64 exec, exec, s[2:3]
                                        ; implicit-def: $vgpr66_vgpr67
	s_and_saveexec_b64 s[2:3], s[26:27]
	s_cbranch_execnz .LBB356_73
.LBB356_55:
	s_or_b64 exec, exec, s[2:3]
                                        ; implicit-def: $vgpr68_vgpr69
	s_and_saveexec_b64 s[2:3], s[28:29]
	s_cbranch_execz .LBB356_74
.LBB356_56:
	v_mov_b32_e32 v1, s51
	v_add_co_u32_e32 v68, vcc, s7, v70
	v_addc_co_u32_e32 v69, vcc, 0, v1, vcc
	flat_load_dwordx2 v[68:69], v[68:69]
	s_or_b64 exec, exec, s[2:3]
                                        ; implicit-def: $vgpr70_vgpr71
	s_and_saveexec_b64 s[2:3], s[30:31]
	s_cbranch_execnz .LBB356_75
.LBB356_57:
	s_or_b64 exec, exec, s[2:3]
                                        ; implicit-def: $vgpr72_vgpr73
	s_and_saveexec_b64 s[2:3], s[34:35]
	s_cbranch_execz .LBB356_76
.LBB356_58:
	v_mov_b32_e32 v1, s51
	v_add_co_u32_e32 v72, vcc, s7, v74
	v_addc_co_u32_e32 v73, vcc, 0, v1, vcc
	flat_load_dwordx2 v[72:73], v[72:73]
	s_or_b64 exec, exec, s[2:3]
                                        ; implicit-def: $vgpr74_vgpr75
	s_and_saveexec_b64 s[2:3], s[36:37]
	s_cbranch_execz .LBB356_78
	s_branch .LBB356_77
.LBB356_59:
	s_mov_b64 s[10:11], 0
                                        ; implicit-def: $sgpr8_sgpr9
                                        ; implicit-def: $vgpr76_vgpr77
                                        ; implicit-def: $vgpr74_vgpr75
                                        ; implicit-def: $vgpr99
                                        ; implicit-def: $vgpr42_vgpr43
                                        ; implicit-def: $vgpr112
                                        ; implicit-def: $vgpr72_vgpr73
                                        ; implicit-def: $vgpr111
                                        ; implicit-def: $vgpr70_vgpr71
                                        ; implicit-def: $vgpr110
                                        ; implicit-def: $vgpr68_vgpr69
                                        ; implicit-def: $vgpr109
                                        ; implicit-def: $vgpr66_vgpr67
                                        ; implicit-def: $vgpr108
                                        ; implicit-def: $vgpr64_vgpr65
                                        ; implicit-def: $vgpr107
                                        ; implicit-def: $vgpr62_vgpr63
                                        ; implicit-def: $vgpr106
                                        ; implicit-def: $vgpr60_vgpr61
                                        ; implicit-def: $vgpr105
                                        ; implicit-def: $vgpr58_vgpr59
                                        ; implicit-def: $vgpr104
                                        ; implicit-def: $vgpr44_vgpr45
                                        ; implicit-def: $vgpr103
                                        ; implicit-def: $vgpr56_vgpr57
                                        ; implicit-def: $vgpr102
                                        ; implicit-def: $vgpr52_vgpr53
                                        ; implicit-def: $vgpr101
                                        ; implicit-def: $vgpr50_vgpr51
                                        ; implicit-def: $vgpr100
                                        ; implicit-def: $vgpr54_vgpr55
                                        ; implicit-def: $vgpr98
                                        ; implicit-def: $vgpr48_vgpr49
                                        ; implicit-def: $vgpr97
                                        ; implicit-def: $vgpr46_vgpr47
                                        ; implicit-def: $vgpr96
                                        ; implicit-def: $vgpr38_vgpr39
                                        ; implicit-def: $vgpr1
                                        ; implicit-def: $sgpr72
                                        ; implicit-def: $sgpr4_sgpr5
	s_and_b64 vcc, exec, s[2:3]
	v_lshlrev_b32_e32 v113, 3, v0
	s_cbranch_vccz .LBB356_124
	s_branch .LBB356_119
.LBB356_60:
	s_or_b64 exec, exec, s[42:43]
                                        ; implicit-def: $vgpr42_vgpr43
	s_and_saveexec_b64 s[42:43], s[2:3]
	s_cbranch_execz .LBB356_43
.LBB356_61:
	v_mov_b32_e32 v43, s51
	v_add_co_u32_e32 v42, vcc, s7, v83
	v_addc_co_u32_e32 v43, vcc, 0, v43, vcc
	flat_load_dwordx2 v[42:43], v[42:43] offset:512
	s_or_b64 exec, exec, s[42:43]
                                        ; implicit-def: $vgpr44_vgpr45
	s_and_saveexec_b64 s[2:3], s[4:5]
	s_cbranch_execnz .LBB356_44
.LBB356_62:
	s_or_b64 exec, exec, s[2:3]
                                        ; implicit-def: $vgpr46_vgpr47
	s_and_saveexec_b64 s[2:3], s[40:41]
	s_cbranch_execz .LBB356_45
.LBB356_63:
	v_mov_b32_e32 v47, s51
	v_add_co_u32_e32 v46, vcc, s7, v83
	v_addc_co_u32_e32 v47, vcc, 0, v47, vcc
	flat_load_dwordx2 v[46:47], v[46:47] offset:1536
	s_or_b64 exec, exec, s[2:3]
                                        ; implicit-def: $vgpr48_vgpr49
	s_and_saveexec_b64 s[2:3], s[8:9]
	s_cbranch_execnz .LBB356_46
.LBB356_64:
	s_or_b64 exec, exec, s[2:3]
                                        ; implicit-def: $vgpr50_vgpr51
	s_and_saveexec_b64 s[2:3], s[10:11]
	s_cbranch_execz .LBB356_47
.LBB356_65:
	v_mov_b32_e32 v51, s51
	v_add_co_u32_e32 v50, vcc, s7, v83
	v_addc_co_u32_e32 v51, vcc, 0, v51, vcc
	flat_load_dwordx2 v[50:51], v[50:51] offset:2560
	s_or_b64 exec, exec, s[2:3]
                                        ; implicit-def: $vgpr52_vgpr53
	s_and_saveexec_b64 s[2:3], s[12:13]
	s_cbranch_execnz .LBB356_48
.LBB356_66:
	s_or_b64 exec, exec, s[2:3]
                                        ; implicit-def: $vgpr54_vgpr55
	s_and_saveexec_b64 s[2:3], s[14:15]
	s_cbranch_execz .LBB356_49
.LBB356_67:
	v_mov_b32_e32 v55, s51
	v_add_co_u32_e32 v54, vcc, s7, v83
	v_addc_co_u32_e32 v55, vcc, 0, v55, vcc
	flat_load_dwordx2 v[54:55], v[54:55] offset:3584
	s_or_b64 exec, exec, s[2:3]
                                        ; implicit-def: $vgpr56_vgpr57
	s_and_saveexec_b64 s[2:3], s[16:17]
	s_cbranch_execnz .LBB356_50
.LBB356_68:
	s_or_b64 exec, exec, s[2:3]
                                        ; implicit-def: $vgpr58_vgpr59
	s_and_saveexec_b64 s[2:3], s[18:19]
	s_cbranch_execz .LBB356_51
.LBB356_69:
	v_mov_b32_e32 v1, s51
	v_add_co_u32_e32 v58, vcc, s7, v60
	v_addc_co_u32_e32 v59, vcc, 0, v1, vcc
	flat_load_dwordx2 v[58:59], v[58:59]
	s_or_b64 exec, exec, s[2:3]
                                        ; implicit-def: $vgpr60_vgpr61
	s_and_saveexec_b64 s[2:3], s[20:21]
	s_cbranch_execnz .LBB356_52
.LBB356_70:
	s_or_b64 exec, exec, s[2:3]
                                        ; implicit-def: $vgpr62_vgpr63
	s_and_saveexec_b64 s[2:3], s[22:23]
	s_cbranch_execz .LBB356_53
.LBB356_71:
	v_mov_b32_e32 v1, s51
	v_add_co_u32_e32 v62, vcc, s7, v64
	v_addc_co_u32_e32 v63, vcc, 0, v1, vcc
	flat_load_dwordx2 v[62:63], v[62:63]
	s_or_b64 exec, exec, s[2:3]
                                        ; implicit-def: $vgpr64_vgpr65
	s_and_saveexec_b64 s[2:3], s[24:25]
	s_cbranch_execnz .LBB356_54
.LBB356_72:
	s_or_b64 exec, exec, s[2:3]
                                        ; implicit-def: $vgpr66_vgpr67
	s_and_saveexec_b64 s[2:3], s[26:27]
	s_cbranch_execz .LBB356_55
.LBB356_73:
	v_mov_b32_e32 v1, s51
	v_add_co_u32_e32 v66, vcc, s7, v68
	v_addc_co_u32_e32 v67, vcc, 0, v1, vcc
	flat_load_dwordx2 v[66:67], v[66:67]
	s_or_b64 exec, exec, s[2:3]
                                        ; implicit-def: $vgpr68_vgpr69
	s_and_saveexec_b64 s[2:3], s[28:29]
	s_cbranch_execnz .LBB356_56
.LBB356_74:
	s_or_b64 exec, exec, s[2:3]
                                        ; implicit-def: $vgpr70_vgpr71
	s_and_saveexec_b64 s[2:3], s[30:31]
	s_cbranch_execz .LBB356_57
.LBB356_75:
	v_mov_b32_e32 v1, s51
	v_add_co_u32_e32 v70, vcc, s7, v72
	v_addc_co_u32_e32 v71, vcc, 0, v1, vcc
	flat_load_dwordx2 v[70:71], v[70:71]
	s_or_b64 exec, exec, s[2:3]
                                        ; implicit-def: $vgpr72_vgpr73
	s_and_saveexec_b64 s[2:3], s[34:35]
	s_cbranch_execnz .LBB356_58
.LBB356_76:
	s_or_b64 exec, exec, s[2:3]
                                        ; implicit-def: $vgpr74_vgpr75
	s_and_saveexec_b64 s[2:3], s[36:37]
	s_cbranch_execz .LBB356_78
.LBB356_77:
	v_mov_b32_e32 v1, s51
	v_add_co_u32_e32 v74, vcc, s7, v76
	v_addc_co_u32_e32 v75, vcc, 0, v1, vcc
	flat_load_dwordx2 v[74:75], v[74:75]
.LBB356_78:
	s_or_b64 exec, exec, s[2:3]
	v_mul_u32_u24_e32 v81, 19, v0
                                        ; implicit-def: $vgpr76_vgpr77
	s_and_saveexec_b64 s[2:3], s[38:39]
	s_cbranch_execz .LBB356_80
; %bb.79:
	v_mov_b32_e32 v1, s51
	v_add_co_u32_e32 v76, vcc, s7, v82
	v_addc_co_u32_e32 v77, vcc, 0, v1, vcc
	flat_load_dwordx2 v[76:77], v[76:77]
.LBB356_80:
	s_or_b64 exec, exec, s[2:3]
	s_waitcnt vmcnt(0) lgkmcnt(0)
	ds_write2st64_b64 v83, v[38:39], v[42:43] offset1:1
	ds_write2st64_b64 v83, v[44:45], v[46:47] offset0:2 offset1:3
	ds_write2st64_b64 v83, v[48:49], v[50:51] offset0:4 offset1:5
	;; [unrolled: 1-line block ×8, first 2 shown]
	ds_write_b64 v83, v[76:77] offset:9216
	v_pk_mov_b32 v[74:75], 0, 0
	v_cmp_gt_u32_e32 vcc, s70, v81
	s_mov_b64 s[10:11], 0
	s_mov_b32 s72, 0
	s_mov_b64 s[2:3], 0
	v_mov_b32_e32 v99, 0
	v_pk_mov_b32 v[42:43], v[74:75], v[74:75] op_sel:[0,1]
	v_mov_b32_e32 v112, 0
	v_pk_mov_b32 v[72:73], v[74:75], v[74:75] op_sel:[0,1]
	;; [unrolled: 2-line block ×17, first 2 shown]
	v_mov_b32_e32 v1, 0
	s_waitcnt lgkmcnt(0)
	; wave barrier
	s_waitcnt lgkmcnt(0)
                                        ; implicit-def: $sgpr8_sgpr9
                                        ; implicit-def: $vgpr76_vgpr77
	s_and_saveexec_b64 s[4:5], vcc
	s_cbranch_execz .LBB356_118
; %bb.81:
	ds_read_b64 v[38:39], v80
	v_cmp_ne_u64_e32 vcc, v[40:41], v[34:35]
	v_mov_b32_e32 v40, s65
	v_add_u32_e32 v42, 1, v81
	v_cndmask_b32_e64 v1, 0, 1, vcc
	s_waitcnt lgkmcnt(0)
	v_cndmask_b32_e32 v75, v39, v40, vcc
	v_mov_b32_e32 v39, s64
	v_cndmask_b32_e32 v74, v38, v39, vcc
	v_cmp_gt_u32_e32 vcc, s70, v42
	v_pk_mov_b32 v[42:43], 0, 0
	s_mov_b64 s[12:13], 0
	v_mov_b32_e32 v99, 0
	v_mov_b32_e32 v112, 0
	v_pk_mov_b32 v[72:73], v[42:43], v[42:43] op_sel:[0,1]
	v_mov_b32_e32 v111, 0
	v_pk_mov_b32 v[70:71], v[42:43], v[42:43] op_sel:[0,1]
	;; [unrolled: 2-line block ×16, first 2 shown]
                                        ; implicit-def: $sgpr14_sgpr15
                                        ; implicit-def: $vgpr76_vgpr77
	s_and_saveexec_b64 s[8:9], vcc
	s_cbranch_execz .LBB356_117
; %bb.82:
	ds_read2_b64 v[38:41], v80 offset0:1 offset1:2
	v_cmp_ne_u64_e32 vcc, v[34:35], v[36:37]
	v_mov_b32_e32 v34, s65
	v_add_u32_e32 v42, 2, v81
	v_cndmask_b32_e64 v96, 0, 1, vcc
	s_waitcnt lgkmcnt(0)
	v_cndmask_b32_e32 v39, v39, v34, vcc
	v_mov_b32_e32 v34, s64
	v_cndmask_b32_e32 v38, v38, v34, vcc
	v_cmp_gt_u32_e32 vcc, s70, v42
	v_pk_mov_b32 v[42:43], 0, 0
	s_mov_b64 s[14:15], 0
	v_mov_b32_e32 v99, 0
	v_mov_b32_e32 v112, 0
	v_pk_mov_b32 v[72:73], v[42:43], v[42:43] op_sel:[0,1]
	v_mov_b32_e32 v111, 0
	v_pk_mov_b32 v[70:71], v[42:43], v[42:43] op_sel:[0,1]
	;; [unrolled: 2-line block ×15, first 2 shown]
                                        ; implicit-def: $sgpr16_sgpr17
                                        ; implicit-def: $vgpr76_vgpr77
	s_and_saveexec_b64 s[10:11], vcc
	s_cbranch_execz .LBB356_116
; %bb.83:
	v_cmp_ne_u64_e32 vcc, v[36:37], v[30:31]
	v_mov_b32_e32 v35, s65
	v_add_u32_e32 v34, 3, v81
	v_cndmask_b32_e32 v47, v41, v35, vcc
	v_mov_b32_e32 v35, s64
	v_pk_mov_b32 v[42:43], 0, 0
	v_cndmask_b32_e64 v97, 0, 1, vcc
	v_cndmask_b32_e32 v46, v40, v35, vcc
	v_cmp_gt_u32_e32 vcc, s70, v34
	s_mov_b64 s[16:17], 0
	v_mov_b32_e32 v99, 0
	v_mov_b32_e32 v112, 0
	v_pk_mov_b32 v[72:73], v[42:43], v[42:43] op_sel:[0,1]
	v_mov_b32_e32 v111, 0
	v_pk_mov_b32 v[70:71], v[42:43], v[42:43] op_sel:[0,1]
	;; [unrolled: 2-line block ×14, first 2 shown]
                                        ; implicit-def: $sgpr18_sgpr19
                                        ; implicit-def: $vgpr76_vgpr77
	s_and_saveexec_b64 s[12:13], vcc
	s_cbranch_execz .LBB356_115
; %bb.84:
	ds_read2_b64 v[34:37], v80 offset0:3 offset1:4
	v_cmp_ne_u64_e32 vcc, v[30:31], v[32:33]
	v_mov_b32_e32 v30, s65
	v_add_u32_e32 v40, 4, v81
	v_pk_mov_b32 v[42:43], 0, 0
	s_waitcnt lgkmcnt(0)
	v_cndmask_b32_e32 v49, v35, v30, vcc
	v_mov_b32_e32 v30, s64
	v_cndmask_b32_e64 v98, 0, 1, vcc
	v_cndmask_b32_e32 v48, v34, v30, vcc
	v_cmp_gt_u32_e32 vcc, s70, v40
	s_mov_b64 s[18:19], 0
	v_mov_b32_e32 v99, 0
	v_mov_b32_e32 v112, 0
	v_pk_mov_b32 v[72:73], v[42:43], v[42:43] op_sel:[0,1]
	v_mov_b32_e32 v111, 0
	v_pk_mov_b32 v[70:71], v[42:43], v[42:43] op_sel:[0,1]
	;; [unrolled: 2-line block ×13, first 2 shown]
                                        ; implicit-def: $sgpr20_sgpr21
                                        ; implicit-def: $vgpr76_vgpr77
	s_and_saveexec_b64 s[14:15], vcc
	s_cbranch_execz .LBB356_114
; %bb.85:
	v_cmp_ne_u64_e32 vcc, v[32:33], v[26:27]
	v_mov_b32_e32 v31, s65
	v_add_u32_e32 v30, 5, v81
	v_cndmask_b32_e32 v55, v37, v31, vcc
	v_mov_b32_e32 v31, s64
	v_pk_mov_b32 v[42:43], 0, 0
	v_cndmask_b32_e64 v100, 0, 1, vcc
	v_cndmask_b32_e32 v54, v36, v31, vcc
	v_cmp_gt_u32_e32 vcc, s70, v30
	s_mov_b64 s[20:21], 0
	v_mov_b32_e32 v99, 0
	v_mov_b32_e32 v112, 0
	v_pk_mov_b32 v[72:73], v[42:43], v[42:43] op_sel:[0,1]
	v_mov_b32_e32 v111, 0
	v_pk_mov_b32 v[70:71], v[42:43], v[42:43] op_sel:[0,1]
	;; [unrolled: 2-line block ×12, first 2 shown]
                                        ; implicit-def: $sgpr22_sgpr23
                                        ; implicit-def: $vgpr76_vgpr77
	s_and_saveexec_b64 s[16:17], vcc
	s_cbranch_execz .LBB356_113
; %bb.86:
	ds_read2_b64 v[30:33], v80 offset0:5 offset1:6
	v_cmp_ne_u64_e32 vcc, v[26:27], v[28:29]
	v_mov_b32_e32 v26, s65
	v_add_u32_e32 v34, 6, v81
	v_pk_mov_b32 v[42:43], 0, 0
	s_waitcnt lgkmcnt(0)
	v_cndmask_b32_e32 v51, v31, v26, vcc
	v_mov_b32_e32 v26, s64
	v_cndmask_b32_e64 v101, 0, 1, vcc
	v_cndmask_b32_e32 v50, v30, v26, vcc
	v_cmp_gt_u32_e32 vcc, s70, v34
	s_mov_b64 s[22:23], 0
	v_mov_b32_e32 v99, 0
	v_mov_b32_e32 v112, 0
	v_pk_mov_b32 v[72:73], v[42:43], v[42:43] op_sel:[0,1]
	v_mov_b32_e32 v111, 0
	v_pk_mov_b32 v[70:71], v[42:43], v[42:43] op_sel:[0,1]
	;; [unrolled: 2-line block ×11, first 2 shown]
                                        ; implicit-def: $sgpr24_sgpr25
                                        ; implicit-def: $vgpr76_vgpr77
	s_and_saveexec_b64 s[18:19], vcc
	s_cbranch_execz .LBB356_112
; %bb.87:
	v_cmp_ne_u64_e32 vcc, v[28:29], v[22:23]
	v_mov_b32_e32 v27, s65
	v_add_u32_e32 v26, 7, v81
	v_cndmask_b32_e32 v53, v33, v27, vcc
	v_mov_b32_e32 v27, s64
	v_pk_mov_b32 v[42:43], 0, 0
	v_cndmask_b32_e64 v102, 0, 1, vcc
	v_cndmask_b32_e32 v52, v32, v27, vcc
	v_cmp_gt_u32_e32 vcc, s70, v26
	s_mov_b64 s[24:25], 0
	v_mov_b32_e32 v99, 0
	v_mov_b32_e32 v112, 0
	v_pk_mov_b32 v[72:73], v[42:43], v[42:43] op_sel:[0,1]
	v_mov_b32_e32 v111, 0
	v_pk_mov_b32 v[70:71], v[42:43], v[42:43] op_sel:[0,1]
	;; [unrolled: 2-line block ×10, first 2 shown]
                                        ; implicit-def: $sgpr26_sgpr27
                                        ; implicit-def: $vgpr76_vgpr77
	s_and_saveexec_b64 s[20:21], vcc
	s_cbranch_execz .LBB356_111
; %bb.88:
	ds_read2_b64 v[26:29], v80 offset0:7 offset1:8
	v_cmp_ne_u64_e32 vcc, v[22:23], v[24:25]
	v_mov_b32_e32 v22, s65
	v_add_u32_e32 v30, 8, v81
	v_pk_mov_b32 v[42:43], 0, 0
	s_waitcnt lgkmcnt(0)
	v_cndmask_b32_e32 v57, v27, v22, vcc
	v_mov_b32_e32 v22, s64
	v_cndmask_b32_e64 v103, 0, 1, vcc
	v_cndmask_b32_e32 v56, v26, v22, vcc
	v_cmp_gt_u32_e32 vcc, s70, v30
	s_mov_b64 s[26:27], 0
	v_mov_b32_e32 v99, 0
	v_mov_b32_e32 v112, 0
	v_pk_mov_b32 v[72:73], v[42:43], v[42:43] op_sel:[0,1]
	v_mov_b32_e32 v111, 0
	v_pk_mov_b32 v[70:71], v[42:43], v[42:43] op_sel:[0,1]
	;; [unrolled: 2-line block ×9, first 2 shown]
                                        ; implicit-def: $sgpr28_sgpr29
                                        ; implicit-def: $vgpr76_vgpr77
	s_and_saveexec_b64 s[22:23], vcc
	s_cbranch_execz .LBB356_110
; %bb.89:
	v_cmp_ne_u64_e32 vcc, v[24:25], v[18:19]
	v_mov_b32_e32 v23, s65
	v_add_u32_e32 v22, 9, v81
	v_cndmask_b32_e32 v45, v29, v23, vcc
	v_mov_b32_e32 v23, s64
	v_pk_mov_b32 v[42:43], 0, 0
	v_cndmask_b32_e64 v104, 0, 1, vcc
	v_cndmask_b32_e32 v44, v28, v23, vcc
	v_cmp_gt_u32_e32 vcc, s70, v22
	s_mov_b64 s[28:29], 0
	v_mov_b32_e32 v99, 0
	v_mov_b32_e32 v112, 0
	v_pk_mov_b32 v[72:73], v[42:43], v[42:43] op_sel:[0,1]
	v_mov_b32_e32 v111, 0
	v_pk_mov_b32 v[70:71], v[42:43], v[42:43] op_sel:[0,1]
	;; [unrolled: 2-line block ×8, first 2 shown]
                                        ; implicit-def: $sgpr30_sgpr31
                                        ; implicit-def: $vgpr76_vgpr77
	s_and_saveexec_b64 s[24:25], vcc
	s_cbranch_execz .LBB356_109
; %bb.90:
	ds_read2_b64 v[22:25], v80 offset0:9 offset1:10
	v_cmp_ne_u64_e32 vcc, v[18:19], v[20:21]
	v_mov_b32_e32 v18, s65
	v_add_u32_e32 v26, 10, v81
	v_pk_mov_b32 v[42:43], 0, 0
	s_waitcnt lgkmcnt(0)
	v_cndmask_b32_e32 v59, v23, v18, vcc
	v_mov_b32_e32 v18, s64
	v_cndmask_b32_e64 v105, 0, 1, vcc
	v_cndmask_b32_e32 v58, v22, v18, vcc
	v_cmp_gt_u32_e32 vcc, s70, v26
	s_mov_b64 s[30:31], 0
	v_mov_b32_e32 v99, 0
	v_mov_b32_e32 v112, 0
	v_pk_mov_b32 v[72:73], v[42:43], v[42:43] op_sel:[0,1]
	v_mov_b32_e32 v111, 0
	v_pk_mov_b32 v[70:71], v[42:43], v[42:43] op_sel:[0,1]
	;; [unrolled: 2-line block ×7, first 2 shown]
                                        ; implicit-def: $sgpr34_sgpr35
                                        ; implicit-def: $vgpr76_vgpr77
	s_and_saveexec_b64 s[26:27], vcc
	s_cbranch_execz .LBB356_108
; %bb.91:
	v_cmp_ne_u64_e32 vcc, v[20:21], v[14:15]
	v_mov_b32_e32 v19, s65
	v_add_u32_e32 v18, 11, v81
	v_cndmask_b32_e32 v61, v25, v19, vcc
	v_mov_b32_e32 v19, s64
	v_pk_mov_b32 v[42:43], 0, 0
	v_cndmask_b32_e64 v106, 0, 1, vcc
	v_cndmask_b32_e32 v60, v24, v19, vcc
	v_cmp_gt_u32_e32 vcc, s70, v18
	s_mov_b64 s[34:35], 0
	v_mov_b32_e32 v99, 0
	v_mov_b32_e32 v112, 0
	v_pk_mov_b32 v[72:73], v[42:43], v[42:43] op_sel:[0,1]
	v_mov_b32_e32 v111, 0
	v_pk_mov_b32 v[70:71], v[42:43], v[42:43] op_sel:[0,1]
	v_mov_b32_e32 v110, 0
	v_pk_mov_b32 v[68:69], v[42:43], v[42:43] op_sel:[0,1]
	v_mov_b32_e32 v109, 0
	v_pk_mov_b32 v[66:67], v[42:43], v[42:43] op_sel:[0,1]
	v_mov_b32_e32 v108, 0
	v_pk_mov_b32 v[64:65], v[42:43], v[42:43] op_sel:[0,1]
	v_mov_b32_e32 v107, 0
	v_pk_mov_b32 v[62:63], v[42:43], v[42:43] op_sel:[0,1]
                                        ; implicit-def: $sgpr36_sgpr37
                                        ; implicit-def: $vgpr76_vgpr77
	s_and_saveexec_b64 s[28:29], vcc
	s_cbranch_execz .LBB356_107
; %bb.92:
	ds_read2_b64 v[18:21], v80 offset0:11 offset1:12
	v_cmp_ne_u64_e32 vcc, v[14:15], v[16:17]
	v_mov_b32_e32 v14, s65
	v_add_u32_e32 v22, 12, v81
	v_pk_mov_b32 v[42:43], 0, 0
	s_waitcnt lgkmcnt(0)
	v_cndmask_b32_e32 v63, v19, v14, vcc
	v_mov_b32_e32 v14, s64
	v_cndmask_b32_e64 v107, 0, 1, vcc
	v_cndmask_b32_e32 v62, v18, v14, vcc
	v_cmp_gt_u32_e32 vcc, s70, v22
	s_mov_b64 s[36:37], 0
	v_mov_b32_e32 v99, 0
	v_mov_b32_e32 v112, 0
	v_pk_mov_b32 v[72:73], v[42:43], v[42:43] op_sel:[0,1]
	v_mov_b32_e32 v111, 0
	v_pk_mov_b32 v[70:71], v[42:43], v[42:43] op_sel:[0,1]
	v_mov_b32_e32 v110, 0
	v_pk_mov_b32 v[68:69], v[42:43], v[42:43] op_sel:[0,1]
	v_mov_b32_e32 v109, 0
	v_pk_mov_b32 v[66:67], v[42:43], v[42:43] op_sel:[0,1]
	v_mov_b32_e32 v108, 0
	v_pk_mov_b32 v[64:65], v[42:43], v[42:43] op_sel:[0,1]
                                        ; implicit-def: $sgpr38_sgpr39
                                        ; implicit-def: $vgpr76_vgpr77
	s_and_saveexec_b64 s[30:31], vcc
	s_cbranch_execz .LBB356_106
; %bb.93:
	v_cmp_ne_u64_e32 vcc, v[16:17], v[10:11]
	v_mov_b32_e32 v15, s65
	v_add_u32_e32 v14, 13, v81
	v_cndmask_b32_e32 v65, v21, v15, vcc
	v_mov_b32_e32 v15, s64
	v_pk_mov_b32 v[42:43], 0, 0
	v_cndmask_b32_e64 v108, 0, 1, vcc
	v_cndmask_b32_e32 v64, v20, v15, vcc
	v_cmp_gt_u32_e32 vcc, s70, v14
	s_mov_b64 s[38:39], 0
	v_mov_b32_e32 v99, 0
	v_mov_b32_e32 v112, 0
	v_pk_mov_b32 v[72:73], v[42:43], v[42:43] op_sel:[0,1]
	v_mov_b32_e32 v111, 0
	v_pk_mov_b32 v[70:71], v[42:43], v[42:43] op_sel:[0,1]
	;; [unrolled: 2-line block ×4, first 2 shown]
                                        ; implicit-def: $sgpr40_sgpr41
                                        ; implicit-def: $vgpr76_vgpr77
	s_and_saveexec_b64 s[34:35], vcc
	s_cbranch_execz .LBB356_105
; %bb.94:
	ds_read2_b64 v[14:17], v80 offset0:13 offset1:14
	v_cmp_ne_u64_e32 vcc, v[10:11], v[12:13]
	v_mov_b32_e32 v10, s65
	v_add_u32_e32 v18, 14, v81
	v_pk_mov_b32 v[42:43], 0, 0
	s_waitcnt lgkmcnt(0)
	v_cndmask_b32_e32 v67, v15, v10, vcc
	v_mov_b32_e32 v10, s64
	v_cndmask_b32_e64 v109, 0, 1, vcc
	v_cndmask_b32_e32 v66, v14, v10, vcc
	v_cmp_gt_u32_e32 vcc, s70, v18
	s_mov_b64 s[40:41], 0
	v_mov_b32_e32 v99, 0
	v_mov_b32_e32 v112, 0
	v_pk_mov_b32 v[72:73], v[42:43], v[42:43] op_sel:[0,1]
	v_mov_b32_e32 v111, 0
	v_pk_mov_b32 v[70:71], v[42:43], v[42:43] op_sel:[0,1]
	;; [unrolled: 2-line block ×3, first 2 shown]
                                        ; implicit-def: $sgpr42_sgpr43
                                        ; implicit-def: $vgpr76_vgpr77
	s_and_saveexec_b64 s[36:37], vcc
	s_cbranch_execz .LBB356_104
; %bb.95:
	v_cmp_ne_u64_e32 vcc, v[12:13], v[6:7]
	v_mov_b32_e32 v11, s65
	v_add_u32_e32 v10, 15, v81
	v_cndmask_b32_e32 v69, v17, v11, vcc
	v_mov_b32_e32 v11, s64
	v_pk_mov_b32 v[42:43], 0, 0
	v_cndmask_b32_e64 v110, 0, 1, vcc
	v_cndmask_b32_e32 v68, v16, v11, vcc
	v_cmp_gt_u32_e32 vcc, s70, v10
	s_mov_b64 s[42:43], 0
	v_mov_b32_e32 v99, 0
	v_mov_b32_e32 v112, 0
	v_pk_mov_b32 v[72:73], v[42:43], v[42:43] op_sel:[0,1]
	v_mov_b32_e32 v111, 0
	v_pk_mov_b32 v[70:71], v[42:43], v[42:43] op_sel:[0,1]
                                        ; implicit-def: $sgpr60_sgpr61
                                        ; implicit-def: $vgpr76_vgpr77
	s_and_saveexec_b64 s[38:39], vcc
	s_cbranch_execz .LBB356_103
; %bb.96:
	ds_read2_b64 v[10:13], v80 offset0:15 offset1:16
	v_cmp_ne_u64_e32 vcc, v[6:7], v[8:9]
	v_mov_b32_e32 v6, s65
	v_add_u32_e32 v14, 16, v81
	v_pk_mov_b32 v[42:43], 0, 0
	s_waitcnt lgkmcnt(0)
	v_cndmask_b32_e32 v71, v11, v6, vcc
	v_mov_b32_e32 v6, s64
	v_cndmask_b32_e64 v111, 0, 1, vcc
	v_cndmask_b32_e32 v70, v10, v6, vcc
	v_cmp_gt_u32_e32 vcc, s70, v14
	s_mov_b64 s[60:61], 0
	v_mov_b32_e32 v99, 0
	v_mov_b32_e32 v112, 0
	v_pk_mov_b32 v[72:73], v[42:43], v[42:43] op_sel:[0,1]
                                        ; implicit-def: $sgpr68_sgpr69
                                        ; implicit-def: $vgpr76_vgpr77
	s_and_saveexec_b64 s[40:41], vcc
	s_cbranch_execz .LBB356_102
; %bb.97:
	v_cmp_ne_u64_e32 vcc, v[8:9], v[2:3]
	v_mov_b32_e32 v7, s65
	v_add_u32_e32 v6, 17, v81
	v_cndmask_b32_e32 v73, v13, v7, vcc
	v_mov_b32_e32 v7, s64
	v_cndmask_b32_e64 v112, 0, 1, vcc
	v_cndmask_b32_e32 v72, v12, v7, vcc
	v_cmp_gt_u32_e32 vcc, s70, v6
	v_mov_b32_e32 v99, 0
	v_pk_mov_b32 v[42:43], 0, 0
                                        ; implicit-def: $sgpr68_sgpr69
                                        ; implicit-def: $vgpr76_vgpr77
	s_and_saveexec_b64 s[42:43], vcc
	s_cbranch_execz .LBB356_101
; %bb.98:
	ds_read2_b64 v[6:9], v80 offset0:17 offset1:18
	v_cmp_ne_u64_e32 vcc, v[2:3], v[4:5]
	v_mov_b32_e32 v2, s65
	v_add_u32_e32 v10, 18, v81
	v_cndmask_b32_e64 v99, 0, 1, vcc
	s_waitcnt lgkmcnt(0)
	v_cndmask_b32_e32 v43, v7, v2, vcc
	v_mov_b32_e32 v2, s64
	v_cndmask_b32_e32 v42, v6, v2, vcc
	v_cmp_gt_u32_e32 vcc, s70, v10
                                        ; implicit-def: $sgpr68_sgpr69
                                        ; implicit-def: $vgpr76_vgpr77
	s_and_saveexec_b64 s[70:71], vcc
	s_xor_b64 s[70:71], exec, s[70:71]
; %bb.99:
	v_mov_b32_e32 v2, s65
	v_cmp_ne_u64_e32 vcc, v[4:5], v[78:79]
	v_cndmask_b32_e32 v77, v9, v2, vcc
	v_mov_b32_e32 v2, s64
	s_mov_b64 s[60:61], exec
	v_cndmask_b32_e32 v76, v8, v2, vcc
	s_and_b64 s[68:69], vcc, exec
; %bb.100:
	s_or_b64 exec, exec, s[70:71]
	s_and_b64 s[68:69], s[68:69], exec
	s_and_b64 s[60:61], s[60:61], exec
.LBB356_101:
	s_or_b64 exec, exec, s[42:43]
	s_and_b64 s[68:69], s[68:69], exec
	s_and_b64 s[42:43], s[60:61], exec
.LBB356_102:
	s_or_b64 exec, exec, s[40:41]
	s_and_b64 s[60:61], s[68:69], exec
	s_and_b64 s[40:41], s[42:43], exec
.LBB356_103:
	s_or_b64 exec, exec, s[38:39]
	s_and_b64 s[42:43], s[60:61], exec
	s_and_b64 s[38:39], s[40:41], exec
.LBB356_104:
	s_or_b64 exec, exec, s[36:37]
	s_and_b64 s[40:41], s[42:43], exec
	s_and_b64 s[36:37], s[38:39], exec
.LBB356_105:
	s_or_b64 exec, exec, s[34:35]
	s_and_b64 s[38:39], s[40:41], exec
	s_and_b64 s[34:35], s[36:37], exec
.LBB356_106:
	s_or_b64 exec, exec, s[30:31]
	s_and_b64 s[36:37], s[38:39], exec
	s_and_b64 s[30:31], s[34:35], exec
.LBB356_107:
	s_or_b64 exec, exec, s[28:29]
	s_and_b64 s[34:35], s[36:37], exec
	s_and_b64 s[28:29], s[30:31], exec
.LBB356_108:
	s_or_b64 exec, exec, s[26:27]
	s_and_b64 s[30:31], s[34:35], exec
	s_and_b64 s[26:27], s[28:29], exec
.LBB356_109:
	s_or_b64 exec, exec, s[24:25]
	s_and_b64 s[28:29], s[30:31], exec
	s_and_b64 s[24:25], s[26:27], exec
.LBB356_110:
	s_or_b64 exec, exec, s[22:23]
	s_and_b64 s[26:27], s[28:29], exec
	s_and_b64 s[22:23], s[24:25], exec
.LBB356_111:
	s_or_b64 exec, exec, s[20:21]
	s_and_b64 s[24:25], s[26:27], exec
	s_and_b64 s[20:21], s[22:23], exec
.LBB356_112:
	s_or_b64 exec, exec, s[18:19]
	s_and_b64 s[22:23], s[24:25], exec
	s_and_b64 s[18:19], s[20:21], exec
.LBB356_113:
	s_or_b64 exec, exec, s[16:17]
	s_and_b64 s[20:21], s[22:23], exec
	s_and_b64 s[16:17], s[18:19], exec
.LBB356_114:
	s_or_b64 exec, exec, s[14:15]
	s_and_b64 s[18:19], s[20:21], exec
	s_and_b64 s[14:15], s[16:17], exec
.LBB356_115:
	s_or_b64 exec, exec, s[12:13]
	s_and_b64 s[16:17], s[18:19], exec
	s_and_b64 s[12:13], s[14:15], exec
.LBB356_116:
	s_or_b64 exec, exec, s[10:11]
	s_and_b64 s[14:15], s[16:17], exec
	s_and_b64 s[10:11], s[12:13], exec
.LBB356_117:
	s_or_b64 exec, exec, s[8:9]
	s_and_b64 s[8:9], s[14:15], exec
	s_and_b64 s[10:11], s[10:11], exec
.LBB356_118:
	s_or_b64 exec, exec, s[4:5]
	s_mov_b64 s[4:5], 0
	s_and_b64 vcc, exec, s[2:3]
	v_lshlrev_b32_e32 v113, 3, v0
	s_cbranch_vccz .LBB356_124
.LBB356_119:
	v_mov_b32_e32 v1, s57
	v_add_co_u32_e32 v2, vcc, s56, v113
	v_addc_co_u32_e32 v3, vcc, 0, v1, vcc
	v_add_co_u32_e32 v20, vcc, 0x1000, v2
	v_addc_co_u32_e32 v21, vcc, 0, v3, vcc
	flat_load_dwordx2 v[4:5], v[2:3]
	flat_load_dwordx2 v[6:7], v[2:3] offset:512
	flat_load_dwordx2 v[8:9], v[2:3] offset:1024
	;; [unrolled: 1-line block ×7, first 2 shown]
	v_add_co_u32_e32 v2, vcc, 0x2000, v2
	v_addc_co_u32_e32 v3, vcc, 0, v3, vcc
	flat_load_dwordx2 v[22:23], v[20:21]
	flat_load_dwordx2 v[24:25], v[20:21] offset:512
	flat_load_dwordx2 v[26:27], v[20:21] offset:1024
	;; [unrolled: 1-line block ×7, first 2 shown]
	s_nop 0
	flat_load_dwordx2 v[20:21], v[2:3]
	flat_load_dwordx2 v[38:39], v[2:3] offset:512
	flat_load_dwordx2 v[40:41], v[2:3] offset:1024
	v_mov_b32_e32 v1, s56
	v_mov_b32_e32 v3, s57
	v_add_co_u32_e32 v2, vcc, 0x2000, v1
	v_addc_co_u32_e32 v3, vcc, 0, v3, vcc
	s_movk_i32 s2, 0x90
	v_mad_u32_u24 v1, v0, s2, v113
	s_movk_i32 s2, 0xff70
	s_movk_i32 s5, 0x1000
	;; [unrolled: 1-line block ×3, first 2 shown]
	v_cmp_ne_u32_e32 vcc, 63, v0
	s_waitcnt vmcnt(0) lgkmcnt(0)
	ds_write2st64_b64 v113, v[4:5], v[6:7] offset1:1
	ds_write2st64_b64 v113, v[8:9], v[10:11] offset0:2 offset1:3
	ds_write2st64_b64 v113, v[12:13], v[14:15] offset0:4 offset1:5
	;; [unrolled: 1-line block ×8, first 2 shown]
	ds_write_b64 v113, v[40:41] offset:9216
	s_waitcnt lgkmcnt(0)
	; wave barrier
	s_waitcnt lgkmcnt(0)
	flat_load_dwordx2 v[76:77], v[2:3] offset:1536
	v_mad_i32_i24 v6, v0, s2, v1
	ds_read_b64 v[74:75], v1
	ds_read2_b64 v[70:73], v1 offset0:1 offset1:2
	ds_read2_b64 v[62:65], v1 offset0:3 offset1:4
	;; [unrolled: 1-line block ×9, first 2 shown]
	s_waitcnt lgkmcnt(0)
	ds_write_b64 v6, v[74:75] offset:10240
	s_waitcnt lgkmcnt(0)
	; wave barrier
	s_waitcnt lgkmcnt(0)
	s_and_saveexec_b64 s[2:3], vcc
	s_cbranch_execz .LBB356_121
; %bb.120:
	s_waitcnt vmcnt(0)
	ds_read_b64 v[76:77], v113 offset:10248
.LBB356_121:
	s_or_b64 exec, exec, s[2:3]
	v_mov_b32_e32 v7, s51
	v_add_co_u32_e32 v6, vcc, s7, v113
	v_addc_co_u32_e32 v7, vcc, 0, v7, vcc
	v_add_co_u32_e32 v36, vcc, s5, v6
	v_addc_co_u32_e32 v37, vcc, 0, v7, vcc
	s_waitcnt lgkmcnt(0)
	; wave barrier
	s_waitcnt lgkmcnt(0)
	flat_load_dwordx2 v[8:9], v[6:7]
	flat_load_dwordx2 v[14:15], v[6:7] offset:512
	flat_load_dwordx2 v[16:17], v[6:7] offset:1024
	flat_load_dwordx2 v[22:23], v[6:7] offset:1536
	flat_load_dwordx2 v[24:25], v[6:7] offset:2048
	flat_load_dwordx2 v[30:31], v[6:7] offset:2560
	flat_load_dwordx2 v[32:33], v[6:7] offset:3072
	flat_load_dwordx2 v[34:35], v[6:7] offset:3584
	v_add_co_u32_e32 v6, vcc, s4, v6
	v_addc_co_u32_e32 v7, vcc, 0, v7, vcc
	flat_load_dwordx2 v[42:43], v[36:37]
	flat_load_dwordx2 v[44:45], v[36:37] offset:512
	flat_load_dwordx2 v[50:51], v[36:37] offset:1024
	;; [unrolled: 1-line block ×7, first 2 shown]
	s_nop 0
	flat_load_dwordx2 v[36:37], v[6:7]
	flat_load_dwordx2 v[78:79], v[6:7] offset:512
	flat_load_dwordx2 v[80:81], v[6:7] offset:1024
	v_cmp_ne_u64_e32 vcc, v[74:75], v[70:71]
	v_cmp_eq_u64_e64 s[2:3], v[74:75], v[70:71]
	v_pk_mov_b32 v[74:75], s[64:65], s[64:65] op_sel:[0,1]
	s_waitcnt vmcnt(0) lgkmcnt(0)
	ds_write2st64_b64 v113, v[8:9], v[14:15] offset1:1
	ds_write2st64_b64 v113, v[16:17], v[22:23] offset0:2 offset1:3
	ds_write2st64_b64 v113, v[24:25], v[30:31] offset0:4 offset1:5
	;; [unrolled: 1-line block ×8, first 2 shown]
	ds_write_b64 v113, v[80:81] offset:9216
	s_waitcnt lgkmcnt(0)
	; wave barrier
	s_waitcnt lgkmcnt(0)
	ds_read2_b64 v[66:69], v1 offset0:1 offset1:2
	ds_read2_b64 v[58:61], v1 offset0:3 offset1:4
	;; [unrolled: 1-line block ×9, first 2 shown]
	s_and_saveexec_b64 s[4:5], s[2:3]
	s_cbranch_execz .LBB356_123
; %bb.122:
	ds_read_b64 v[74:75], v1
.LBB356_123:
	s_or_b64 exec, exec, s[4:5]
	v_cmp_ne_u64_e64 s[8:9], v[64:65], v[54:55]
	v_cmp_ne_u64_e64 s[34:35], v[12:13], v[2:3]
	;; [unrolled: 1-line block ×3, first 2 shown]
	v_mov_b32_e32 v2, s65
	v_mov_b32_e32 v3, s64
	v_cndmask_b32_e64 v1, 0, 1, vcc
	v_cmp_ne_u64_e32 vcc, v[70:71], v[72:73]
	v_cmp_ne_u64_e64 s[2:3], v[72:73], v[62:63]
	v_cmp_ne_u64_e64 s[4:5], v[62:63], v[64:65]
	v_cndmask_b32_e64 v100, 0, 1, s[8:9]
	v_cmp_ne_u64_e64 s[10:11], v[54:55], v[56:57]
	v_cmp_ne_u64_e64 s[12:13], v[56:57], v[46:47]
	;; [unrolled: 1-line block ×11, first 2 shown]
	s_waitcnt lgkmcnt(7)
	v_cndmask_b32_e64 v55, v61, v2, s[8:9]
	v_cndmask_b32_e64 v54, v60, v3, s[8:9]
	v_cmp_ne_u64_e64 s[8:9], v[4:5], v[76:77]
	v_cndmask_b32_e64 v96, 0, 1, vcc
	v_cndmask_b32_e64 v97, 0, 1, s[2:3]
	v_cndmask_b32_e64 v98, 0, 1, s[4:5]
	;; [unrolled: 1-line block ×15, first 2 shown]
	v_cndmask_b32_e32 v39, v67, v2, vcc
	v_cndmask_b32_e32 v38, v66, v3, vcc
	v_cndmask_b32_e64 v47, v69, v2, s[2:3]
	v_cndmask_b32_e64 v46, v68, v3, s[2:3]
	v_cndmask_b32_e64 v49, v59, v2, s[4:5]
	v_cndmask_b32_e64 v48, v58, v3, s[4:5]
	s_waitcnt lgkmcnt(6)
	v_cndmask_b32_e64 v51, v51, v2, s[10:11]
	v_cndmask_b32_e64 v50, v50, v3, s[10:11]
	v_cndmask_b32_e64 v53, v53, v2, s[12:13]
	v_cndmask_b32_e64 v52, v52, v3, s[12:13]
	s_waitcnt lgkmcnt(5)
	;; [unrolled: 5-line block ×7, first 2 shown]
	v_cndmask_b32_e64 v43, v7, v2, s[36:37]
	v_cndmask_b32_e64 v42, v6, v3, s[36:37]
	;; [unrolled: 1-line block ×4, first 2 shown]
	s_mov_b64 s[10:11], -1
                                        ; implicit-def: $sgpr72
                                        ; implicit-def: $sgpr4_sgpr5
.LBB356_124:
	v_pk_mov_b32 v[40:41], s[4:5], s[4:5] op_sel:[0,1]
	v_mov_b32_e32 v114, s72
	s_and_saveexec_b64 s[2:3], s[10:11]
; %bb.125:
	v_cndmask_b32_e64 v114, 0, 1, s[8:9]
	v_pk_mov_b32 v[40:41], v[76:77], v[76:77] op_sel:[0,1]
; %bb.126:
	s_or_b64 exec, exec, s[2:3]
	v_or_b32_e32 v2, v114, v99
	s_cmp_lg_u32 s6, 0
	v_or_b32_e32 v116, v2, v112
	v_mbcnt_lo_u32_b32 v115, -1, 0
	s_waitcnt lgkmcnt(0)
	; wave barrier
	s_waitcnt lgkmcnt(0)
	s_cbranch_scc0 .LBB356_185
; %bb.127:
	v_mov_b32_e32 v2, 0
	v_cmp_eq_u16_sdwa s[36:37], v96, v2 src0_sel:BYTE_0 src1_sel:DWORD
	v_cndmask_b32_e64 v4, 0, v74, s[36:37]
	v_cndmask_b32_e64 v3, 0, v75, s[36:37]
	v_add_co_u32_e32 v4, vcc, v4, v38
	v_cmp_eq_u16_sdwa s[34:35], v97, v2 src0_sel:BYTE_0 src1_sel:DWORD
	v_addc_co_u32_e32 v3, vcc, v3, v39, vcc
	v_cndmask_b32_e64 v4, 0, v4, s[34:35]
	v_cndmask_b32_e64 v3, 0, v3, s[34:35]
	v_add_co_u32_e32 v4, vcc, v4, v46
	v_cmp_eq_u16_sdwa s[30:31], v98, v2 src0_sel:BYTE_0 src1_sel:DWORD
	v_addc_co_u32_e32 v3, vcc, v3, v47, vcc
	;; [unrolled: 5-line block ×16, first 2 shown]
	v_cndmask_b32_e64 v4, 0, v4, s[2:3]
	v_cndmask_b32_e64 v3, 0, v3, s[2:3]
	v_add_co_u32_e32 v4, vcc, v4, v42
	v_addc_co_u32_e32 v3, vcc, v3, v43, vcc
	v_cmp_eq_u16_sdwa vcc, v114, v2 src0_sel:BYTE_0 src1_sel:DWORD
	v_cndmask_b32_e32 v2, 0, v4, vcc
	v_or_b32_e32 v4, v116, v111
	v_or_b32_e32 v4, v4, v110
	;; [unrolled: 1-line block ×15, first 2 shown]
	v_cndmask_b32_e32 v3, 0, v3, vcc
	v_add_co_u32_e32 v2, vcc, v2, v40
	v_or_b32_e32 v4, v4, v1
	v_mbcnt_hi_u32_b32 v5, -1, v115
	v_addc_co_u32_e32 v3, vcc, v3, v41, vcc
	v_and_b32_e32 v4, 1, v4
	v_and_b32_e32 v7, 15, v5
	v_cmp_eq_u32_e32 vcc, 1, v4
	v_mov_b32_dpp v9, v2 row_shr:1 row_mask:0xf bank_mask:0xf
	v_mov_b32_dpp v10, v3 row_shr:1 row_mask:0xf bank_mask:0xf
	v_mov_b32_dpp v8, v4 row_shr:1 row_mask:0xf bank_mask:0xf
	v_cmp_ne_u32_e64 s[38:39], 0, v7
	v_mov_b32_e32 v6, v4
	s_and_saveexec_b64 s[42:43], s[38:39]
; %bb.128:
	v_cndmask_b32_e64 v9, v9, 0, vcc
	v_cndmask_b32_e64 v6, v10, 0, vcc
	v_add_co_u32_e32 v2, vcc, v9, v2
	v_addc_co_u32_e32 v3, vcc, v6, v3, vcc
	v_and_b32_e32 v6, 1, v8
	v_or_b32_e32 v4, v6, v4
	v_and_b32_e32 v6, 0xffff, v4
; %bb.129:
	s_or_b64 exec, exec, s[42:43]
	v_mov_b32_dpp v9, v2 row_shr:2 row_mask:0xf bank_mask:0xf
	v_mov_b32_dpp v10, v3 row_shr:2 row_mask:0xf bank_mask:0xf
	v_mov_b32_dpp v8, v6 row_shr:2 row_mask:0xf bank_mask:0xf
	v_cmp_lt_u32_e32 vcc, 1, v7
	s_and_saveexec_b64 s[42:43], vcc
	s_cbranch_execz .LBB356_131
; %bb.130:
	v_cmp_eq_u16_e32 vcc, 0, v4
	v_cndmask_b32_e32 v9, 0, v9, vcc
	v_cndmask_b32_e32 v6, 0, v10, vcc
	v_add_co_u32_e32 v2, vcc, v9, v2
	v_addc_co_u32_e32 v3, vcc, v6, v3, vcc
	v_and_b32_e32 v4, 1, v4
	v_cmp_eq_u32_e32 vcc, 1, v4
	v_and_b32_e32 v4, 1, v8
	v_cmp_eq_u32_e64 s[38:39], 1, v4
	s_or_b64 s[38:39], vcc, s[38:39]
	v_cndmask_b32_e64 v4, 0, 1, s[38:39]
	v_cndmask_b32_e64 v6, 0, 1, s[38:39]
.LBB356_131:
	s_or_b64 exec, exec, s[42:43]
	v_mov_b32_dpp v9, v2 row_shr:4 row_mask:0xf bank_mask:0xf
	v_mov_b32_dpp v10, v3 row_shr:4 row_mask:0xf bank_mask:0xf
	v_mov_b32_dpp v8, v6 row_shr:4 row_mask:0xf bank_mask:0xf
	v_cmp_lt_u32_e32 vcc, 3, v7
	s_and_saveexec_b64 s[42:43], vcc
	s_cbranch_execz .LBB356_133
; %bb.132:
	v_cmp_eq_u16_e32 vcc, 0, v4
	v_cndmask_b32_e32 v9, 0, v9, vcc
	v_cndmask_b32_e32 v6, 0, v10, vcc
	v_add_co_u32_e32 v2, vcc, v9, v2
	v_addc_co_u32_e32 v3, vcc, v6, v3, vcc
	v_and_b32_e32 v4, 1, v4
	v_cmp_eq_u32_e32 vcc, 1, v4
	v_and_b32_e32 v4, 1, v8
	v_cmp_eq_u32_e64 s[38:39], 1, v4
	s_or_b64 s[38:39], vcc, s[38:39]
	v_cndmask_b32_e64 v4, 0, 1, s[38:39]
	v_cndmask_b32_e64 v6, 0, 1, s[38:39]
.LBB356_133:
	;; [unrolled: 21-line block ×3, first 2 shown]
	s_or_b64 exec, exec, s[42:43]
	v_and_b32_e32 v10, 16, v5
	v_mov_b32_dpp v8, v2 row_bcast:15 row_mask:0xf bank_mask:0xf
	v_mov_b32_dpp v9, v3 row_bcast:15 row_mask:0xf bank_mask:0xf
	;; [unrolled: 1-line block ×3, first 2 shown]
	v_cmp_ne_u32_e32 vcc, 0, v10
	s_and_saveexec_b64 s[42:43], vcc
	s_cbranch_execz .LBB356_137
; %bb.136:
	v_cmp_eq_u16_e32 vcc, 0, v4
	v_cndmask_b32_e32 v8, 0, v8, vcc
	v_cndmask_b32_e32 v6, 0, v9, vcc
	v_add_co_u32_e32 v2, vcc, v8, v2
	v_addc_co_u32_e32 v3, vcc, v6, v3, vcc
	v_and_b32_e32 v4, 1, v4
	v_cmp_eq_u32_e32 vcc, 1, v4
	v_and_b32_e32 v4, 1, v7
	v_cmp_eq_u32_e64 s[38:39], 1, v4
	s_or_b64 s[38:39], vcc, s[38:39]
	v_cndmask_b32_e64 v4, 0, 1, s[38:39]
	v_cndmask_b32_e64 v6, 0, 1, s[38:39]
.LBB356_137:
	s_or_b64 exec, exec, s[42:43]
	v_mov_b32_dpp v7, v2 row_bcast:31 row_mask:0xf bank_mask:0xf
	v_mov_b32_dpp v8, v3 row_bcast:31 row_mask:0xf bank_mask:0xf
	v_mov_b32_dpp v6, v6 row_bcast:31 row_mask:0xf bank_mask:0xf
	v_cmp_lt_u32_e32 vcc, 31, v5
	s_and_saveexec_b64 s[42:43], vcc
; %bb.138:
	v_cmp_eq_u16_e32 vcc, 0, v4
	v_cndmask_b32_e32 v7, 0, v7, vcc
	v_cndmask_b32_e32 v8, 0, v8, vcc
	v_add_co_u32_e32 v2, vcc, v7, v2
	v_addc_co_u32_e32 v3, vcc, v8, v3, vcc
	v_and_b32_e32 v4, 1, v4
	v_cmp_eq_u32_e32 vcc, 1, v4
	v_and_b32_e32 v4, 1, v6
	v_cmp_eq_u32_e64 s[38:39], 1, v4
	s_or_b64 s[38:39], vcc, s[38:39]
	v_cndmask_b32_e64 v4, 0, 1, s[38:39]
; %bb.139:
	s_or_b64 exec, exec, s[42:43]
	v_cmp_eq_u32_e32 vcc, 63, v0
	s_and_saveexec_b64 s[38:39], vcc
	s_cbranch_execz .LBB356_141
; %bb.140:
	v_mov_b32_e32 v6, 0
	ds_write_b64 v6, v[2:3]
	ds_write_b8 v6, v4 offset:8
.LBB356_141:
	s_or_b64 exec, exec, s[38:39]
	v_add_u32_e32 v6, -1, v5
	v_and_b32_e32 v7, 64, v5
	v_cmp_lt_i32_e32 vcc, v6, v7
	v_cndmask_b32_e32 v6, v6, v5, vcc
	v_lshlrev_b32_e32 v6, 2, v6
	ds_bpermute_b32 v12, v6, v2
	v_and_b32_e32 v2, 0xffff, v4
	ds_bpermute_b32 v13, v6, v3
	ds_bpermute_b32 v14, v6, v2
	v_cmp_gt_u32_e32 vcc, 64, v0
	s_waitcnt lgkmcnt(0)
	; wave barrier
	s_waitcnt lgkmcnt(0)
	s_and_saveexec_b64 s[56:57], vcc
	s_cbranch_execz .LBB356_184
; %bb.142:
	v_mov_b32_e32 v7, 0
	ds_read_b64 v[2:3], v7
	ds_read_u8 v15, v7 offset:8
	s_mov_b32 s61, 0
	v_cmp_eq_u32_e64 s[38:39], 0, v5
	s_and_saveexec_b64 s[42:43], s[38:39]
	s_cbranch_execz .LBB356_144
; %bb.143:
	s_add_i32 s60, s6, 64
	s_lshl_b64 s[68:69], s[60:61], 4
	s_add_u32 s68, s44, s68
	s_addc_u32 s69, s45, s69
	v_mov_b32_e32 v4, s60
	v_mov_b32_e32 v6, 1
	s_waitcnt lgkmcnt(1)
	global_store_dwordx2 v7, v[2:3], s[68:69]
	s_waitcnt lgkmcnt(0)
	global_store_byte v7, v15, s[68:69] offset:8
	s_waitcnt vmcnt(0)
	buffer_wbinvl1_vol
	global_store_byte v4, v6, s[48:49]
.LBB356_144:
	s_or_b64 exec, exec, s[42:43]
	v_xad_u32 v4, v5, -1, s6
	v_add_u32_e32 v6, 64, v4
	global_load_ubyte v16, v6, s[48:49] glc
	s_waitcnt vmcnt(0)
	v_cmp_eq_u16_e32 vcc, 0, v16
	s_and_saveexec_b64 s[42:43], vcc
	s_cbranch_execz .LBB356_148
; %bb.145:
	v_mov_b32_e32 v9, s49
	v_add_co_u32_e32 v8, vcc, s48, v6
	v_addc_co_u32_e32 v9, vcc, 0, v9, vcc
	s_mov_b64 s[60:61], 0
.LBB356_146:                            ; =>This Inner Loop Header: Depth=1
	global_load_ubyte v16, v[8:9], off glc
	s_waitcnt vmcnt(0)
	v_cmp_ne_u16_e32 vcc, 0, v16
	s_or_b64 s[60:61], vcc, s[60:61]
	s_andn2_b64 exec, exec, s[60:61]
	s_cbranch_execnz .LBB356_146
; %bb.147:
	s_or_b64 exec, exec, s[60:61]
.LBB356_148:
	s_or_b64 exec, exec, s[42:43]
	v_mov_b32_e32 v8, s47
	v_mov_b32_e32 v9, s45
	v_cmp_eq_u16_e32 vcc, 1, v16
	v_cndmask_b32_e32 v8, v8, v9, vcc
	v_mov_b32_e32 v9, s46
	v_mov_b32_e32 v10, s44
	v_cndmask_b32_e32 v9, v9, v10, vcc
	v_lshlrev_b64 v[6:7], 4, v[6:7]
	v_add_co_u32_e32 v6, vcc, v9, v6
	v_addc_co_u32_e32 v7, vcc, v8, v7, vcc
	s_waitcnt lgkmcnt(0)
	buffer_wbinvl1_vol
	global_load_dwordx2 v[10:11], v[6:7], off
	global_load_ubyte v31, v[6:7], off offset:8
	v_cmp_eq_u16_e32 vcc, 2, v16
	v_lshlrev_b64 v[6:7], v5, -1
	v_and_b32_e32 v17, 63, v5
	v_and_b32_e32 v8, vcc_hi, v7
	v_and_b32_e32 v22, vcc_lo, v6
	v_cmp_ne_u32_e32 vcc, 63, v17
	v_addc_co_u32_e32 v9, vcc, 0, v5, vcc
	v_lshlrev_b32_e32 v18, 2, v9
	v_or_b32_e32 v8, 0x80000000, v8
	v_ffbl_b32_e32 v8, v8
	v_add_u32_e32 v8, 32, v8
	v_ffbl_b32_e32 v22, v22
	v_min_u32_e32 v8, v22, v8
	v_cmp_lt_u32_e32 vcc, v17, v8
	s_waitcnt vmcnt(1)
	ds_bpermute_b32 v20, v18, v10
	s_waitcnt vmcnt(0)
	v_and_b32_e32 v9, 1, v31
	ds_bpermute_b32 v21, v18, v11
	ds_bpermute_b32 v19, v18, v9
	s_and_saveexec_b64 s[42:43], vcc
	s_cbranch_execz .LBB356_150
; %bb.149:
	v_mov_b32_e32 v9, 0
	v_cmp_eq_u16_sdwa vcc, v31, v9 src0_sel:BYTE_0 src1_sel:DWORD
	s_waitcnt lgkmcnt(2)
	v_cndmask_b32_e32 v20, 0, v20, vcc
	s_waitcnt lgkmcnt(1)
	v_cndmask_b32_e32 v9, 0, v21, vcc
	v_add_co_u32_e32 v10, vcc, v20, v10
	v_addc_co_u32_e32 v11, vcc, v9, v11, vcc
	s_waitcnt lgkmcnt(0)
	v_and_b32_e32 v9, 1, v19
	v_or_b32_e32 v31, v9, v31
	v_and_b32_e32 v9, 0xff, v31
.LBB356_150:
	s_or_b64 exec, exec, s[42:43]
	v_cmp_gt_u32_e32 vcc, 62, v17
	s_waitcnt lgkmcnt(0)
	v_cndmask_b32_e64 v19, 0, 1, vcc
	v_lshlrev_b32_e32 v19, 1, v19
	v_add_lshl_u32 v19, v19, v5, 2
	ds_bpermute_b32 v22, v19, v10
	ds_bpermute_b32 v23, v19, v11
	ds_bpermute_b32 v21, v19, v9
	v_add_u32_e32 v20, 2, v17
	v_cmp_le_u32_e32 vcc, v20, v8
	s_and_saveexec_b64 s[60:61], vcc
	s_cbranch_execz .LBB356_152
; %bb.151:
	v_mov_b32_e32 v9, 0
	v_cmp_eq_u16_sdwa vcc, v31, v9 src0_sel:BYTE_0 src1_sel:DWORD
	s_waitcnt lgkmcnt(2)
	v_cndmask_b32_e32 v22, 0, v22, vcc
	s_waitcnt lgkmcnt(1)
	v_cndmask_b32_e32 v9, 0, v23, vcc
	v_add_co_u32_e32 v10, vcc, v22, v10
	v_addc_co_u32_e32 v11, vcc, v9, v11, vcc
	v_and_b32_e32 v9, 1, v31
	v_cmp_eq_u32_e32 vcc, 1, v9
	s_waitcnt lgkmcnt(0)
	v_and_b32_e32 v9, 1, v21
	v_cmp_eq_u32_e64 s[42:43], 1, v9
	s_or_b64 s[42:43], vcc, s[42:43]
	v_cndmask_b32_e64 v31, 0, 1, s[42:43]
	v_cndmask_b32_e64 v9, 0, 1, s[42:43]
.LBB356_152:
	s_or_b64 exec, exec, s[60:61]
	v_cmp_gt_u32_e32 vcc, 60, v17
	s_waitcnt lgkmcnt(0)
	v_cndmask_b32_e64 v21, 0, 1, vcc
	v_lshlrev_b32_e32 v21, 2, v21
	v_add_lshl_u32 v21, v21, v5, 2
	ds_bpermute_b32 v24, v21, v10
	ds_bpermute_b32 v25, v21, v11
	ds_bpermute_b32 v23, v21, v9
	v_add_u32_e32 v22, 4, v17
	v_cmp_le_u32_e32 vcc, v22, v8
	s_and_saveexec_b64 s[60:61], vcc
	s_cbranch_execz .LBB356_154
; %bb.153:
	v_mov_b32_e32 v9, 0
	v_cmp_eq_u16_sdwa vcc, v31, v9 src0_sel:BYTE_0 src1_sel:DWORD
	s_waitcnt lgkmcnt(2)
	v_cndmask_b32_e32 v24, 0, v24, vcc
	s_waitcnt lgkmcnt(1)
	v_cndmask_b32_e32 v9, 0, v25, vcc
	v_add_co_u32_e32 v10, vcc, v24, v10
	v_addc_co_u32_e32 v11, vcc, v9, v11, vcc
	v_and_b32_e32 v9, 1, v31
	v_cmp_eq_u32_e32 vcc, 1, v9
	s_waitcnt lgkmcnt(0)
	v_and_b32_e32 v9, 1, v23
	v_cmp_eq_u32_e64 s[42:43], 1, v9
	s_or_b64 s[42:43], vcc, s[42:43]
	v_cndmask_b32_e64 v31, 0, 1, s[42:43]
	v_cndmask_b32_e64 v9, 0, 1, s[42:43]
.LBB356_154:
	;; [unrolled: 31-line block ×4, first 2 shown]
	s_or_b64 exec, exec, s[60:61]
	v_cmp_gt_u32_e32 vcc, 32, v17
	s_waitcnt lgkmcnt(0)
	v_cndmask_b32_e64 v27, 0, 1, vcc
	v_lshlrev_b32_e32 v27, 5, v27
	v_add_lshl_u32 v28, v27, v5, 2
	ds_bpermute_b32 v27, v28, v10
	ds_bpermute_b32 v30, v28, v11
	;; [unrolled: 1-line block ×3, first 2 shown]
	v_add_u32_e32 v29, 32, v17
	v_cmp_le_u32_e32 vcc, v29, v8
	s_and_saveexec_b64 s[60:61], vcc
	s_cbranch_execz .LBB356_160
; %bb.159:
	v_mov_b32_e32 v8, 0
	v_cmp_eq_u16_sdwa vcc, v31, v8 src0_sel:BYTE_0 src1_sel:DWORD
	s_waitcnt lgkmcnt(2)
	v_cndmask_b32_e32 v9, 0, v27, vcc
	s_waitcnt lgkmcnt(1)
	v_cndmask_b32_e32 v8, 0, v30, vcc
	v_add_co_u32_e32 v10, vcc, v9, v10
	v_addc_co_u32_e32 v11, vcc, v8, v11, vcc
	v_and_b32_e32 v8, 1, v31
	s_waitcnt lgkmcnt(0)
	v_and_b32_e32 v5, 1, v5
	v_cmp_eq_u32_e32 vcc, 1, v8
	v_cmp_eq_u32_e64 s[42:43], 1, v5
	s_or_b64 s[42:43], vcc, s[42:43]
	v_cndmask_b32_e64 v31, 0, 1, s[42:43]
.LBB356_160:
	s_or_b64 exec, exec, s[60:61]
	s_waitcnt lgkmcnt(0)
	v_mov_b32_e32 v5, 0
	v_mov_b32_e32 v30, 2
	s_branch .LBB356_162
.LBB356_161:                            ;   in Loop: Header=BB356_162 Depth=1
	s_or_b64 exec, exec, s[68:69]
	v_cmp_eq_u16_sdwa vcc, v27, v5 src0_sel:BYTE_0 src1_sel:DWORD
	v_cndmask_b32_e32 v10, 0, v10, vcc
	v_cndmask_b32_e32 v11, 0, v11, vcc
	v_add_co_u32_e32 v10, vcc, v10, v8
	v_addc_co_u32_e32 v11, vcc, v11, v9, vcc
	v_and_b32_e32 v31, 1, v27
	v_cmp_eq_u32_e32 vcc, 1, v31
	s_or_b64 s[42:43], vcc, s[60:61]
	v_subrev_u32_e32 v4, 64, v4
	v_cndmask_b32_e64 v31, 0, 1, s[42:43]
.LBB356_162:                            ; =>This Loop Header: Depth=1
                                        ;     Child Loop BB356_165 Depth 2
	v_cmp_ne_u16_sdwa s[42:43], v16, v30 src0_sel:BYTE_0 src1_sel:DWORD
	v_cndmask_b32_e64 v8, 0, 1, s[42:43]
	;;#ASMSTART
	;;#ASMEND
	v_cmp_ne_u32_e32 vcc, 0, v8
	v_mov_b32_e32 v27, v31
	s_cmp_lg_u64 vcc, exec
	v_pk_mov_b32 v[8:9], v[10:11], v[10:11] op_sel:[0,1]
	s_cbranch_scc1 .LBB356_179
; %bb.163:                              ;   in Loop: Header=BB356_162 Depth=1
	global_load_ubyte v16, v4, s[48:49] glc
	s_waitcnt vmcnt(0)
	v_cmp_eq_u16_e32 vcc, 0, v16
	s_and_saveexec_b64 s[42:43], vcc
	s_cbranch_execz .LBB356_167
; %bb.164:                              ;   in Loop: Header=BB356_162 Depth=1
	v_mov_b32_e32 v11, s49
	v_add_co_u32_e32 v10, vcc, s48, v4
	v_addc_co_u32_e32 v11, vcc, 0, v11, vcc
	s_mov_b64 s[60:61], 0
.LBB356_165:                            ;   Parent Loop BB356_162 Depth=1
                                        ; =>  This Inner Loop Header: Depth=2
	global_load_ubyte v16, v[10:11], off glc
	s_waitcnt vmcnt(0)
	v_cmp_ne_u16_e32 vcc, 0, v16
	s_or_b64 s[60:61], vcc, s[60:61]
	s_andn2_b64 exec, exec, s[60:61]
	s_cbranch_execnz .LBB356_165
; %bb.166:                              ;   in Loop: Header=BB356_162 Depth=1
	s_or_b64 exec, exec, s[60:61]
.LBB356_167:                            ;   in Loop: Header=BB356_162 Depth=1
	s_or_b64 exec, exec, s[42:43]
	v_mov_b32_e32 v10, s47
	v_mov_b32_e32 v11, s45
	v_cmp_eq_u16_e32 vcc, 1, v16
	v_cndmask_b32_e32 v31, v10, v11, vcc
	v_mov_b32_e32 v10, s46
	v_mov_b32_e32 v11, s44
	v_cndmask_b32_e32 v32, v10, v11, vcc
	v_lshlrev_b64 v[10:11], 4, v[4:5]
	v_add_co_u32_e32 v32, vcc, v32, v10
	s_waitcnt lgkmcnt(0)
	v_addc_co_u32_e32 v33, vcc, v31, v11, vcc
	buffer_wbinvl1_vol
	global_load_dwordx2 v[10:11], v[32:33], off
	global_load_ubyte v31, v[32:33], off offset:8
	v_cmp_eq_u16_e32 vcc, 2, v16
	v_and_b32_e32 v32, vcc_hi, v7
	v_or_b32_e32 v32, 0x80000000, v32
	v_and_b32_e32 v37, vcc_lo, v6
	v_ffbl_b32_e32 v32, v32
	v_add_u32_e32 v32, 32, v32
	v_ffbl_b32_e32 v37, v37
	v_min_u32_e32 v32, v37, v32
	v_cmp_lt_u32_e32 vcc, v17, v32
	s_waitcnt vmcnt(1)
	ds_bpermute_b32 v35, v18, v10
	s_waitcnt vmcnt(0)
	v_and_b32_e32 v33, 1, v31
	ds_bpermute_b32 v36, v18, v11
	ds_bpermute_b32 v34, v18, v33
	s_and_saveexec_b64 s[42:43], vcc
	s_cbranch_execz .LBB356_169
; %bb.168:                              ;   in Loop: Header=BB356_162 Depth=1
	v_cmp_eq_u16_sdwa vcc, v31, v5 src0_sel:BYTE_0 src1_sel:DWORD
	s_waitcnt lgkmcnt(2)
	v_cndmask_b32_e32 v35, 0, v35, vcc
	s_waitcnt lgkmcnt(1)
	v_cndmask_b32_e32 v33, 0, v36, vcc
	v_add_co_u32_e32 v10, vcc, v35, v10
	v_addc_co_u32_e32 v11, vcc, v33, v11, vcc
	s_waitcnt lgkmcnt(0)
	v_and_b32_e32 v33, 1, v34
	v_or_b32_e32 v31, v33, v31
	v_and_b32_e32 v33, 0xff, v31
.LBB356_169:                            ;   in Loop: Header=BB356_162 Depth=1
	s_or_b64 exec, exec, s[42:43]
	s_waitcnt lgkmcnt(2)
	ds_bpermute_b32 v35, v19, v10
	s_waitcnt lgkmcnt(2)
	ds_bpermute_b32 v36, v19, v11
	;; [unrolled: 2-line block ×3, first 2 shown]
	v_and_b32_e32 v37, 1, v31
	v_cmp_le_u32_e32 vcc, v20, v32
	v_cmp_eq_u32_e64 s[60:61], 1, v37
	s_and_saveexec_b64 s[42:43], vcc
	s_cbranch_execz .LBB356_171
; %bb.170:                              ;   in Loop: Header=BB356_162 Depth=1
	v_cmp_eq_u16_sdwa vcc, v31, v5 src0_sel:BYTE_0 src1_sel:DWORD
	s_waitcnt lgkmcnt(2)
	v_cndmask_b32_e32 v33, 0, v35, vcc
	s_waitcnt lgkmcnt(1)
	v_cndmask_b32_e32 v31, 0, v36, vcc
	v_add_co_u32_e32 v10, vcc, v33, v10
	v_addc_co_u32_e32 v11, vcc, v31, v11, vcc
	s_waitcnt lgkmcnt(0)
	v_and_b32_e32 v31, 1, v34
	v_cmp_eq_u32_e32 vcc, 1, v31
	s_or_b64 s[68:69], s[60:61], vcc
	v_cndmask_b32_e64 v31, 0, 1, s[68:69]
	v_cndmask_b32_e64 v33, 0, 1, s[68:69]
	s_andn2_b64 s[60:61], s[60:61], exec
	s_and_b64 s[68:69], s[68:69], exec
	s_or_b64 s[60:61], s[60:61], s[68:69]
.LBB356_171:                            ;   in Loop: Header=BB356_162 Depth=1
	s_or_b64 exec, exec, s[42:43]
	s_waitcnt lgkmcnt(2)
	ds_bpermute_b32 v35, v21, v10
	s_waitcnt lgkmcnt(2)
	ds_bpermute_b32 v36, v21, v11
	s_waitcnt lgkmcnt(2)
	ds_bpermute_b32 v34, v21, v33
	v_cmp_le_u32_e32 vcc, v22, v32
	s_and_saveexec_b64 s[68:69], vcc
	s_cbranch_execz .LBB356_173
; %bb.172:                              ;   in Loop: Header=BB356_162 Depth=1
	v_cmp_eq_u16_sdwa vcc, v31, v5 src0_sel:BYTE_0 src1_sel:DWORD
	s_waitcnt lgkmcnt(2)
	v_cndmask_b32_e32 v35, 0, v35, vcc
	s_waitcnt lgkmcnt(1)
	v_cndmask_b32_e32 v33, 0, v36, vcc
	v_add_co_u32_e32 v10, vcc, v35, v10
	v_addc_co_u32_e32 v11, vcc, v33, v11, vcc
	v_and_b32_e32 v31, 1, v31
	v_cmp_eq_u32_e32 vcc, 1, v31
	s_waitcnt lgkmcnt(0)
	v_and_b32_e32 v31, 1, v34
	v_cmp_eq_u32_e64 s[42:43], 1, v31
	s_or_b64 s[42:43], vcc, s[42:43]
	v_cndmask_b32_e64 v31, 0, 1, s[42:43]
	v_cndmask_b32_e64 v33, 0, 1, s[42:43]
	s_andn2_b64 s[60:61], s[60:61], exec
	s_and_b64 s[42:43], s[42:43], exec
	s_or_b64 s[60:61], s[60:61], s[42:43]
.LBB356_173:                            ;   in Loop: Header=BB356_162 Depth=1
	s_or_b64 exec, exec, s[68:69]
	s_waitcnt lgkmcnt(2)
	ds_bpermute_b32 v35, v23, v10
	s_waitcnt lgkmcnt(2)
	ds_bpermute_b32 v36, v23, v11
	s_waitcnt lgkmcnt(2)
	ds_bpermute_b32 v34, v23, v33
	v_cmp_le_u32_e32 vcc, v24, v32
	s_and_saveexec_b64 s[68:69], vcc
	s_cbranch_execz .LBB356_175
; %bb.174:                              ;   in Loop: Header=BB356_162 Depth=1
	v_cmp_eq_u16_sdwa vcc, v31, v5 src0_sel:BYTE_0 src1_sel:DWORD
	s_waitcnt lgkmcnt(2)
	v_cndmask_b32_e32 v35, 0, v35, vcc
	s_waitcnt lgkmcnt(1)
	v_cndmask_b32_e32 v33, 0, v36, vcc
	v_add_co_u32_e32 v10, vcc, v35, v10
	v_addc_co_u32_e32 v11, vcc, v33, v11, vcc
	v_and_b32_e32 v31, 1, v31
	v_cmp_eq_u32_e32 vcc, 1, v31
	s_waitcnt lgkmcnt(0)
	v_and_b32_e32 v31, 1, v34
	v_cmp_eq_u32_e64 s[42:43], 1, v31
	s_or_b64 s[42:43], vcc, s[42:43]
	v_cndmask_b32_e64 v31, 0, 1, s[42:43]
	v_cndmask_b32_e64 v33, 0, 1, s[42:43]
	s_andn2_b64 s[60:61], s[60:61], exec
	s_and_b64 s[42:43], s[42:43], exec
	s_or_b64 s[60:61], s[60:61], s[42:43]
.LBB356_175:                            ;   in Loop: Header=BB356_162 Depth=1
	;; [unrolled: 30-line block ×3, first 2 shown]
	s_or_b64 exec, exec, s[68:69]
	s_waitcnt lgkmcnt(0)
	ds_bpermute_b32 v34, v28, v10
	ds_bpermute_b32 v35, v28, v11
	;; [unrolled: 1-line block ×3, first 2 shown]
	v_cmp_le_u32_e32 vcc, v29, v32
	s_and_saveexec_b64 s[68:69], vcc
	s_cbranch_execz .LBB356_161
; %bb.178:                              ;   in Loop: Header=BB356_162 Depth=1
	v_cmp_eq_u16_sdwa vcc, v31, v5 src0_sel:BYTE_0 src1_sel:DWORD
	s_waitcnt lgkmcnt(2)
	v_cndmask_b32_e32 v34, 0, v34, vcc
	s_waitcnt lgkmcnt(1)
	v_cndmask_b32_e32 v32, 0, v35, vcc
	v_add_co_u32_e32 v10, vcc, v34, v10
	v_addc_co_u32_e32 v11, vcc, v32, v11, vcc
	v_and_b32_e32 v31, 1, v31
	v_cmp_eq_u32_e32 vcc, 1, v31
	s_waitcnt lgkmcnt(0)
	v_and_b32_e32 v31, 1, v33
	v_cmp_eq_u32_e64 s[42:43], 1, v31
	s_or_b64 s[42:43], vcc, s[42:43]
	s_andn2_b64 s[60:61], s[60:61], exec
	s_and_b64 s[42:43], s[42:43], exec
	s_or_b64 s[60:61], s[60:61], s[42:43]
	s_branch .LBB356_161
.LBB356_179:                            ;   in Loop: Header=BB356_162 Depth=1
                                        ; implicit-def: $vgpr31
                                        ; implicit-def: $vgpr10_vgpr11
                                        ; implicit-def: $vgpr16
	s_cbranch_execz .LBB356_162
; %bb.180:
	s_and_saveexec_b64 s[42:43], s[38:39]
	s_cbranch_execz .LBB356_182
; %bb.181:
	v_mov_b32_e32 v4, 0
	s_mov_b32 s7, 0
	v_cmp_eq_u16_sdwa vcc, v15, v4 src0_sel:BYTE_0 src1_sel:DWORD
	s_add_i32 s6, s6, 64
	v_cndmask_b32_e32 v6, 0, v8, vcc
	s_lshl_b64 s[38:39], s[6:7], 4
	v_cndmask_b32_e32 v5, 0, v9, vcc
	v_add_co_u32_e32 v2, vcc, v6, v2
	s_add_u32 s38, s46, s38
	v_addc_co_u32_e32 v3, vcc, v5, v3, vcc
	v_or_b32_e32 v5, v15, v27
	s_addc_u32 s39, s47, s39
	v_and_b32_e32 v5, 1, v5
	global_store_dwordx2 v4, v[2:3], s[38:39]
	global_store_byte v4, v5, s[38:39] offset:8
	v_mov_b32_e32 v2, s6
	v_mov_b32_e32 v3, 2
	s_waitcnt vmcnt(0) lgkmcnt(0)
	buffer_wbinvl1_vol
	global_store_byte v2, v3, s[48:49]
.LBB356_182:
	s_or_b64 exec, exec, s[42:43]
	v_cmp_eq_u32_e32 vcc, 0, v0
	s_and_b64 exec, exec, vcc
	s_cbranch_execz .LBB356_184
; %bb.183:
	v_mov_b32_e32 v2, 0
	ds_write_b64 v2, v[8:9]
	ds_write_b8 v2, v27 offset:8
.LBB356_184:
	s_or_b64 exec, exec, s[56:57]
	v_mov_b32_e32 v4, 0
	s_waitcnt lgkmcnt(0)
	; wave barrier
	s_waitcnt lgkmcnt(0)
	ds_read_b64 v[2:3], v4
	v_cmp_eq_u32_sdwa vcc, v14, v4 src0_sel:BYTE_0 src1_sel:DWORD
	s_waitcnt lgkmcnt(0)
	v_cndmask_b32_e32 v6, 0, v2, vcc
	v_cndmask_b32_e32 v5, 0, v3, vcc
	v_add_co_u32_e32 v6, vcc, v12, v6
	v_addc_co_u32_e32 v5, vcc, v13, v5, vcc
	v_cmp_eq_u32_e32 vcc, 0, v0
	v_cndmask_b32_e32 v77, v5, v3, vcc
	v_cndmask_b32_e32 v76, v6, v2, vcc
	v_cmp_eq_u16_sdwa vcc, v1, v4 src0_sel:BYTE_0 src1_sel:DWORD
	v_cndmask_b32_e32 v3, 0, v76, vcc
	v_cndmask_b32_e32 v2, 0, v77, vcc
	v_add_co_u32_e32 v4, vcc, v3, v74
	v_addc_co_u32_e32 v5, vcc, v2, v75, vcc
	v_cndmask_b32_e64 v3, 0, v4, s[36:37]
	v_cndmask_b32_e64 v2, 0, v5, s[36:37]
	v_add_co_u32_e32 v6, vcc, v3, v38
	v_addc_co_u32_e32 v7, vcc, v2, v39, vcc
	v_cndmask_b32_e64 v3, 0, v6, s[34:35]
	v_cndmask_b32_e64 v2, 0, v7, s[34:35]
	v_add_co_u32_e32 v78, vcc, v3, v46
	v_addc_co_u32_e32 v79, vcc, v2, v47, vcc
	v_cndmask_b32_e64 v3, 0, v78, s[30:31]
	v_cndmask_b32_e64 v2, 0, v79, s[30:31]
	v_add_co_u32_e32 v10, vcc, v3, v48
	v_addc_co_u32_e32 v11, vcc, v2, v49, vcc
	v_cndmask_b32_e64 v3, 0, v10, s[28:29]
	v_cndmask_b32_e64 v2, 0, v11, s[28:29]
	v_add_co_u32_e32 v80, vcc, v3, v54
	v_addc_co_u32_e32 v81, vcc, v2, v55, vcc
	v_cndmask_b32_e64 v3, 0, v80, s[26:27]
	v_cndmask_b32_e64 v2, 0, v81, s[26:27]
	v_add_co_u32_e32 v14, vcc, v3, v50
	v_addc_co_u32_e32 v15, vcc, v2, v51, vcc
	v_cndmask_b32_e64 v3, 0, v14, s[24:25]
	v_cndmask_b32_e64 v2, 0, v15, s[24:25]
	v_add_co_u32_e32 v82, vcc, v3, v52
	v_addc_co_u32_e32 v83, vcc, v2, v53, vcc
	v_cndmask_b32_e64 v3, 0, v82, s[22:23]
	v_cndmask_b32_e64 v2, 0, v83, s[22:23]
	v_add_co_u32_e32 v18, vcc, v3, v56
	v_addc_co_u32_e32 v19, vcc, v2, v57, vcc
	v_cndmask_b32_e64 v3, 0, v18, s[20:21]
	v_cndmask_b32_e64 v2, 0, v19, s[20:21]
	v_add_co_u32_e32 v84, vcc, v3, v44
	v_addc_co_u32_e32 v85, vcc, v2, v45, vcc
	v_cndmask_b32_e64 v3, 0, v84, s[18:19]
	v_cndmask_b32_e64 v2, 0, v85, s[18:19]
	v_add_co_u32_e32 v22, vcc, v3, v58
	v_addc_co_u32_e32 v23, vcc, v2, v59, vcc
	v_cndmask_b32_e64 v3, 0, v22, s[16:17]
	v_cndmask_b32_e64 v2, 0, v23, s[16:17]
	v_add_co_u32_e32 v86, vcc, v3, v60
	v_addc_co_u32_e32 v87, vcc, v2, v61, vcc
	v_cndmask_b32_e64 v3, 0, v86, s[14:15]
	v_cndmask_b32_e64 v2, 0, v87, s[14:15]
	v_add_co_u32_e32 v26, vcc, v3, v62
	v_addc_co_u32_e32 v27, vcc, v2, v63, vcc
	v_cndmask_b32_e64 v3, 0, v26, s[12:13]
	v_cndmask_b32_e64 v2, 0, v27, s[12:13]
	v_add_co_u32_e32 v88, vcc, v3, v64
	v_addc_co_u32_e32 v89, vcc, v2, v65, vcc
	v_cndmask_b32_e64 v3, 0, v88, s[10:11]
	v_cndmask_b32_e64 v2, 0, v89, s[10:11]
	v_add_co_u32_e32 v30, vcc, v3, v66
	v_addc_co_u32_e32 v31, vcc, v2, v67, vcc
	v_cndmask_b32_e64 v3, 0, v30, s[8:9]
	v_cndmask_b32_e64 v2, 0, v31, s[8:9]
	v_add_co_u32_e32 v90, vcc, v3, v68
	v_addc_co_u32_e32 v91, vcc, v2, v69, vcc
	v_cndmask_b32_e64 v3, 0, v90, s[40:41]
	v_cndmask_b32_e64 v2, 0, v91, s[40:41]
	v_add_co_u32_e32 v34, vcc, v3, v70
	v_addc_co_u32_e32 v35, vcc, v2, v71, vcc
	v_cndmask_b32_e64 v3, 0, v34, s[4:5]
	v_cndmask_b32_e64 v2, 0, v35, s[4:5]
	v_add_co_u32_e32 v92, vcc, v3, v72
	v_addc_co_u32_e32 v93, vcc, v2, v73, vcc
	v_cndmask_b32_e64 v95, 0, v93, s[2:3]
	v_cndmask_b32_e64 v94, 0, v92, s[2:3]
	s_branch .LBB356_205
.LBB356_185:
                                        ; implicit-def: $vgpr76_vgpr77
                                        ; implicit-def: $vgpr94_vgpr95
                                        ; implicit-def: $vgpr92_vgpr93
                                        ; implicit-def: $vgpr90_vgpr91
                                        ; implicit-def: $vgpr88_vgpr89
                                        ; implicit-def: $vgpr86_vgpr87
                                        ; implicit-def: $vgpr84_vgpr85
                                        ; implicit-def: $vgpr82_vgpr83
                                        ; implicit-def: $vgpr80_vgpr81
                                        ; implicit-def: $vgpr78_vgpr79
                                        ; implicit-def: $vgpr34_vgpr35_vgpr36_vgpr37
                                        ; implicit-def: $vgpr30_vgpr31_vgpr32_vgpr33
                                        ; implicit-def: $vgpr26_vgpr27_vgpr28_vgpr29
                                        ; implicit-def: $vgpr22_vgpr23_vgpr24_vgpr25
                                        ; implicit-def: $vgpr18_vgpr19_vgpr20_vgpr21
                                        ; implicit-def: $vgpr14_vgpr15_vgpr16_vgpr17
                                        ; implicit-def: $vgpr10_vgpr11_vgpr12_vgpr13
                                        ; implicit-def: $vgpr6_vgpr7_vgpr8_vgpr9
                                        ; implicit-def: $vgpr2_vgpr3_vgpr4_vgpr5
	s_cbranch_execz .LBB356_205
; %bb.186:
	s_cmp_lg_u64 s[66:67], 0
	s_cselect_b32 s3, s63, 0
	s_cselect_b32 s2, s62, 0
	s_cmp_eq_u64 s[2:3], 0
	v_pk_mov_b32 v[2:3], s[64:65], s[64:65] op_sel:[0,1]
	s_cbranch_scc1 .LBB356_188
; %bb.187:
	v_mov_b32_e32 v2, 0
	global_load_dwordx2 v[2:3], v2, s[2:3]
.LBB356_188:
	v_mov_b32_e32 v4, 0
	v_cmp_eq_u16_sdwa s[34:35], v96, v4 src0_sel:BYTE_0 src1_sel:DWORD
	v_cndmask_b32_e64 v6, 0, v74, s[34:35]
	v_cndmask_b32_e64 v5, 0, v75, s[34:35]
	v_add_co_u32_e32 v6, vcc, v6, v38
	v_cmp_eq_u16_sdwa s[30:31], v97, v4 src0_sel:BYTE_0 src1_sel:DWORD
	v_addc_co_u32_e32 v5, vcc, v5, v39, vcc
	v_cndmask_b32_e64 v6, 0, v6, s[30:31]
	v_cndmask_b32_e64 v5, 0, v5, s[30:31]
	v_add_co_u32_e32 v6, vcc, v6, v46
	v_cmp_eq_u16_sdwa s[28:29], v98, v4 src0_sel:BYTE_0 src1_sel:DWORD
	v_addc_co_u32_e32 v5, vcc, v5, v47, vcc
	;; [unrolled: 5-line block ×15, first 2 shown]
	v_cndmask_b32_e64 v6, 0, v6, s[2:3]
	v_cndmask_b32_e64 v5, 0, v5, s[2:3]
	v_add_co_u32_e32 v6, vcc, v6, v72
	v_addc_co_u32_e32 v5, vcc, v5, v73, vcc
	v_cmp_eq_u16_sdwa vcc, v99, v4 src0_sel:BYTE_0 src1_sel:DWORD
	v_cndmask_b32_e32 v6, 0, v6, vcc
	v_cndmask_b32_e32 v5, 0, v5, vcc
	v_add_co_u32_e64 v6, s[36:37], v6, v42
	v_addc_co_u32_e64 v5, s[36:37], v5, v43, s[36:37]
	v_cmp_eq_u16_sdwa s[36:37], v114, v4 src0_sel:BYTE_0 src1_sel:DWORD
	v_cndmask_b32_e64 v4, 0, v6, s[36:37]
	v_or_b32_e32 v6, v116, v111
	v_or_b32_e32 v6, v6, v110
	;; [unrolled: 1-line block ×16, first 2 shown]
	v_cndmask_b32_e64 v5, 0, v5, s[36:37]
	v_add_co_u32_e64 v4, s[36:37], v4, v40
	v_and_b32_e32 v7, 1, v6
	v_mbcnt_hi_u32_b32 v6, -1, v115
	v_addc_co_u32_e64 v5, s[36:37], v5, v41, s[36:37]
	v_and_b32_e32 v9, 15, v6
	v_cmp_eq_u32_e64 s[36:37], 1, v7
	v_mov_b32_dpp v11, v4 row_shr:1 row_mask:0xf bank_mask:0xf
	v_mov_b32_dpp v12, v5 row_shr:1 row_mask:0xf bank_mask:0xf
	;; [unrolled: 1-line block ×3, first 2 shown]
	v_cmp_ne_u32_e64 s[38:39], 0, v9
	v_mov_b32_e32 v8, v7
	s_and_saveexec_b64 s[40:41], s[38:39]
; %bb.189:
	v_cndmask_b32_e64 v11, v11, 0, s[36:37]
	v_cndmask_b32_e64 v8, v12, 0, s[36:37]
	v_add_co_u32_e64 v4, s[36:37], v11, v4
	v_addc_co_u32_e64 v5, s[36:37], v8, v5, s[36:37]
	v_and_b32_e32 v8, 1, v10
	v_or_b32_e32 v7, v8, v7
	v_and_b32_e32 v8, 0xffff, v7
; %bb.190:
	s_or_b64 exec, exec, s[40:41]
	v_mov_b32_dpp v11, v4 row_shr:2 row_mask:0xf bank_mask:0xf
	v_mov_b32_dpp v12, v5 row_shr:2 row_mask:0xf bank_mask:0xf
	v_mov_b32_dpp v10, v8 row_shr:2 row_mask:0xf bank_mask:0xf
	v_cmp_lt_u32_e64 s[36:37], 1, v9
	s_and_saveexec_b64 s[40:41], s[36:37]
	s_cbranch_execz .LBB356_192
; %bb.191:
	v_cmp_eq_u16_e64 s[36:37], 0, v7
	v_cndmask_b32_e64 v11, 0, v11, s[36:37]
	v_cndmask_b32_e64 v8, 0, v12, s[36:37]
	v_add_co_u32_e64 v4, s[36:37], v11, v4
	v_addc_co_u32_e64 v5, s[36:37], v8, v5, s[36:37]
	v_and_b32_e32 v7, 1, v7
	v_cmp_eq_u32_e64 s[36:37], 1, v7
	v_and_b32_e32 v7, 1, v10
	v_cmp_eq_u32_e64 s[38:39], 1, v7
	s_or_b64 s[36:37], s[36:37], s[38:39]
	v_cndmask_b32_e64 v7, 0, 1, s[36:37]
	v_cndmask_b32_e64 v8, 0, 1, s[36:37]
.LBB356_192:
	s_or_b64 exec, exec, s[40:41]
	v_mov_b32_dpp v11, v4 row_shr:4 row_mask:0xf bank_mask:0xf
	v_mov_b32_dpp v12, v5 row_shr:4 row_mask:0xf bank_mask:0xf
	v_mov_b32_dpp v10, v8 row_shr:4 row_mask:0xf bank_mask:0xf
	v_cmp_lt_u32_e64 s[36:37], 3, v9
	s_and_saveexec_b64 s[40:41], s[36:37]
	s_cbranch_execz .LBB356_194
; %bb.193:
	v_cmp_eq_u16_e64 s[36:37], 0, v7
	v_cndmask_b32_e64 v11, 0, v11, s[36:37]
	v_cndmask_b32_e64 v8, 0, v12, s[36:37]
	v_add_co_u32_e64 v4, s[36:37], v11, v4
	v_addc_co_u32_e64 v5, s[36:37], v8, v5, s[36:37]
	v_and_b32_e32 v7, 1, v7
	v_cmp_eq_u32_e64 s[36:37], 1, v7
	v_and_b32_e32 v7, 1, v10
	v_cmp_eq_u32_e64 s[38:39], 1, v7
	s_or_b64 s[36:37], s[36:37], s[38:39]
	v_cndmask_b32_e64 v7, 0, 1, s[36:37]
	v_cndmask_b32_e64 v8, 0, 1, s[36:37]
.LBB356_194:
	;; [unrolled: 21-line block ×3, first 2 shown]
	s_or_b64 exec, exec, s[40:41]
	v_and_b32_e32 v12, 16, v6
	v_mov_b32_dpp v10, v4 row_bcast:15 row_mask:0xf bank_mask:0xf
	v_mov_b32_dpp v11, v5 row_bcast:15 row_mask:0xf bank_mask:0xf
	;; [unrolled: 1-line block ×3, first 2 shown]
	v_cmp_ne_u32_e64 s[36:37], 0, v12
	s_and_saveexec_b64 s[40:41], s[36:37]
	s_cbranch_execz .LBB356_198
; %bb.197:
	v_cmp_eq_u16_e64 s[36:37], 0, v7
	v_cndmask_b32_e64 v10, 0, v10, s[36:37]
	v_cndmask_b32_e64 v8, 0, v11, s[36:37]
	v_add_co_u32_e64 v4, s[36:37], v10, v4
	v_addc_co_u32_e64 v5, s[36:37], v8, v5, s[36:37]
	v_and_b32_e32 v7, 1, v7
	v_cmp_eq_u32_e64 s[36:37], 1, v7
	v_and_b32_e32 v7, 1, v9
	v_cmp_eq_u32_e64 s[38:39], 1, v7
	s_or_b64 s[36:37], s[36:37], s[38:39]
	v_cndmask_b32_e64 v7, 0, 1, s[36:37]
	v_cndmask_b32_e64 v8, 0, 1, s[36:37]
.LBB356_198:
	s_or_b64 exec, exec, s[40:41]
	v_mov_b32_dpp v9, v4 row_bcast:31 row_mask:0xf bank_mask:0xf
	v_mov_b32_dpp v10, v5 row_bcast:31 row_mask:0xf bank_mask:0xf
	;; [unrolled: 1-line block ×3, first 2 shown]
	v_cmp_lt_u32_e64 s[36:37], 31, v6
	s_and_saveexec_b64 s[40:41], s[36:37]
; %bb.199:
	v_cmp_eq_u16_e64 s[36:37], 0, v7
	v_cndmask_b32_e64 v9, 0, v9, s[36:37]
	v_cndmask_b32_e64 v10, 0, v10, s[36:37]
	v_add_co_u32_e64 v4, s[36:37], v9, v4
	v_addc_co_u32_e64 v5, s[36:37], v10, v5, s[36:37]
	v_and_b32_e32 v7, 1, v7
	v_cmp_eq_u32_e64 s[36:37], 1, v7
	v_and_b32_e32 v7, 1, v8
	v_cmp_eq_u32_e64 s[38:39], 1, v7
	s_or_b64 s[36:37], s[36:37], s[38:39]
	v_cndmask_b32_e64 v7, 0, 1, s[36:37]
; %bb.200:
	s_or_b64 exec, exec, s[40:41]
	v_cmp_eq_u32_e64 s[36:37], 63, v0
	s_and_saveexec_b64 s[38:39], s[36:37]
	s_cbranch_execz .LBB356_202
; %bb.201:
	v_mov_b32_e32 v8, 0
	ds_write_b64 v8, v[4:5]
	ds_write_b8 v8, v7 offset:8
.LBB356_202:
	s_or_b64 exec, exec, s[38:39]
	v_cmp_eq_u16_e64 s[36:37], 0, v7
	s_waitcnt vmcnt(0)
	v_cndmask_b32_e64 v8, 0, v2, s[36:37]
	v_cndmask_b32_e64 v7, 0, v3, s[36:37]
	v_add_co_u32_e64 v4, s[36:37], v8, v4
	v_addc_co_u32_e64 v5, s[36:37], v7, v5, s[36:37]
	v_add_u32_e32 v7, -1, v6
	v_and_b32_e32 v8, 64, v6
	v_cmp_lt_i32_e64 s[36:37], v7, v8
	v_cndmask_b32_e64 v7, v7, v6, s[36:37]
	v_lshlrev_b32_e32 v7, 2, v7
	ds_bpermute_b32 v5, v7, v5
	ds_bpermute_b32 v4, v7, v4
	v_cmp_eq_u32_e64 s[38:39], 0, v6
	v_cmp_eq_u32_e64 s[36:37], 0, v0
	s_or_b64 s[38:39], s[36:37], s[38:39]
	v_mov_b32_e32 v8, 0
	s_waitcnt lgkmcnt(1)
	v_cndmask_b32_e64 v77, v5, v3, s[38:39]
	s_waitcnt lgkmcnt(0)
	v_cndmask_b32_e64 v76, v4, v2, s[38:39]
	v_cmp_eq_u16_sdwa s[38:39], v1, v8 src0_sel:BYTE_0 src1_sel:DWORD
	v_cndmask_b32_e64 v4, 0, v76, s[38:39]
	v_cndmask_b32_e64 v1, 0, v77, s[38:39]
	v_add_co_u32_e64 v4, s[38:39], v4, v74
	v_addc_co_u32_e64 v5, s[38:39], v1, v75, s[38:39]
	v_cndmask_b32_e64 v6, 0, v4, s[34:35]
	v_cndmask_b32_e64 v1, 0, v5, s[34:35]
	v_add_co_u32_e64 v6, s[34:35], v6, v38
	v_addc_co_u32_e64 v7, s[34:35], v1, v39, s[34:35]
	;; [unrolled: 4-line block ×17, first 2 shown]
	v_cndmask_b32_e32 v95, 0, v93, vcc
	v_cndmask_b32_e32 v94, 0, v92, vcc
	s_waitcnt lgkmcnt(0)
	; wave barrier
	s_and_saveexec_b64 s[2:3], s[36:37]
	s_cbranch_execz .LBB356_204
; %bb.203:
	ds_read_u8 v1, v8 offset:8
	ds_read_b64 v[12:13], v8
	v_pk_mov_b32 v[76:77], v[2:3], v[2:3] op_sel:[0,1]
	s_waitcnt lgkmcnt(1)
	v_cmp_eq_u16_e32 vcc, 0, v1
	v_cndmask_b32_e32 v16, 0, v2, vcc
	v_cndmask_b32_e32 v9, 0, v3, vcc
	s_waitcnt lgkmcnt(0)
	v_add_co_u32_e32 v12, vcc, v16, v12
	v_addc_co_u32_e32 v13, vcc, v9, v13, vcc
	global_store_dwordx2 v8, v[12:13], s[46:47] offset:1024
	global_store_byte v8, v1, s[46:47] offset:1032
	v_mov_b32_e32 v1, 2
	s_waitcnt vmcnt(0)
	buffer_wbinvl1_vol
	global_store_byte v8, v1, s[48:49] offset:64
.LBB356_204:
	s_or_b64 exec, exec, s[2:3]
.LBB356_205:
	s_add_u32 s2, s58, s54
	s_addc_u32 s3, s59, s55
	v_add_co_u32_e32 v2, vcc, v94, v42
	v_addc_co_u32_e32 v3, vcc, v95, v43, vcc
	s_add_u32 s4, s2, s52
	s_addc_u32 s5, s3, s53
	s_and_b64 vcc, exec, s[0:1]
	s_cbranch_vccz .LBB356_243
; %bb.206:
	s_movk_i32 s0, 0x98
	v_mul_i32_i24_e32 v13, 0xffffff70, v0
	v_mul_u32_u24_e32 v12, 0x98, v0
	v_mad_u32_u24 v8, v0, s0, v13
	s_waitcnt lgkmcnt(0)
	; wave barrier
	ds_write2_b64 v12, v[76:77], v[4:5] offset1:1
	ds_write2_b64 v12, v[6:7], v[78:79] offset0:2 offset1:3
	ds_write2_b64 v12, v[10:11], v[80:81] offset0:4 offset1:5
	;; [unrolled: 1-line block ×8, first 2 shown]
	ds_write_b64 v12, v[2:3] offset:144
	s_waitcnt lgkmcnt(0)
	; wave barrier
	s_waitcnt lgkmcnt(0)
	ds_read2st64_b64 v[68:71], v8 offset0:1 offset1:2
	ds_read2st64_b64 v[64:67], v8 offset0:3 offset1:4
	;; [unrolled: 1-line block ×9, first 2 shown]
	v_mov_b32_e32 v9, s5
	v_add_co_u32_e32 v8, vcc, s4, v113
	s_add_i32 s33, s33, s50
	v_addc_co_u32_e32 v9, vcc, 0, v9, vcc
	v_mov_b32_e32 v1, 0
	v_cmp_gt_u32_e32 vcc, s33, v0
	s_and_saveexec_b64 s[0:1], vcc
	s_cbranch_execz .LBB356_208
; %bb.207:
	v_add_u32_e32 v12, v12, v13
	ds_read_b64 v[12:13], v12
	s_waitcnt lgkmcnt(0)
	flat_store_dwordx2 v[8:9], v[12:13]
.LBB356_208:
	s_or_b64 exec, exec, s[0:1]
	v_or_b32_e32 v12, 64, v0
	v_cmp_gt_u32_e32 vcc, s33, v12
	s_and_saveexec_b64 s[0:1], vcc
	s_cbranch_execz .LBB356_210
; %bb.209:
	s_waitcnt lgkmcnt(0)
	flat_store_dwordx2 v[8:9], v[68:69] offset:512
.LBB356_210:
	s_or_b64 exec, exec, s[0:1]
	v_or_b32_e32 v12, 0x80, v0
	v_cmp_gt_u32_e32 vcc, s33, v12
	s_and_saveexec_b64 s[0:1], vcc
	s_cbranch_execz .LBB356_212
; %bb.211:
	s_waitcnt lgkmcnt(0)
	flat_store_dwordx2 v[8:9], v[70:71] offset:1024
.LBB356_212:
	s_or_b64 exec, exec, s[0:1]
	v_or_b32_e32 v12, 0xc0, v0
	v_cmp_gt_u32_e32 vcc, s33, v12
	s_and_saveexec_b64 s[0:1], vcc
	s_cbranch_execz .LBB356_214
; %bb.213:
	s_waitcnt lgkmcnt(0)
	flat_store_dwordx2 v[8:9], v[64:65] offset:1536
.LBB356_214:
	s_or_b64 exec, exec, s[0:1]
	v_or_b32_e32 v12, 0x100, v0
	v_cmp_gt_u32_e32 vcc, s33, v12
	s_and_saveexec_b64 s[0:1], vcc
	s_cbranch_execz .LBB356_216
; %bb.215:
	s_waitcnt lgkmcnt(0)
	flat_store_dwordx2 v[8:9], v[66:67] offset:2048
.LBB356_216:
	s_or_b64 exec, exec, s[0:1]
	v_or_b32_e32 v12, 0x140, v0
	v_cmp_gt_u32_e32 vcc, s33, v12
	s_and_saveexec_b64 s[0:1], vcc
	s_cbranch_execz .LBB356_218
; %bb.217:
	s_waitcnt lgkmcnt(0)
	flat_store_dwordx2 v[8:9], v[60:61] offset:2560
.LBB356_218:
	s_or_b64 exec, exec, s[0:1]
	v_or_b32_e32 v12, 0x180, v0
	v_cmp_gt_u32_e32 vcc, s33, v12
	s_and_saveexec_b64 s[0:1], vcc
	s_cbranch_execz .LBB356_220
; %bb.219:
	s_waitcnt lgkmcnt(0)
	flat_store_dwordx2 v[8:9], v[62:63] offset:3072
.LBB356_220:
	s_or_b64 exec, exec, s[0:1]
	v_or_b32_e32 v12, 0x1c0, v0
	v_cmp_gt_u32_e32 vcc, s33, v12
	s_and_saveexec_b64 s[0:1], vcc
	s_cbranch_execz .LBB356_222
; %bb.221:
	s_waitcnt lgkmcnt(0)
	flat_store_dwordx2 v[8:9], v[56:57] offset:3584
.LBB356_222:
	s_or_b64 exec, exec, s[0:1]
	v_or_b32_e32 v12, 0x200, v0
	v_cmp_gt_u32_e32 vcc, s33, v12
	s_and_saveexec_b64 s[0:1], vcc
	s_cbranch_execz .LBB356_224
; %bb.223:
	v_add_co_u32_e32 v12, vcc, 0x1000, v8
	v_addc_co_u32_e32 v13, vcc, 0, v9, vcc
	s_waitcnt lgkmcnt(0)
	flat_store_dwordx2 v[12:13], v[58:59]
.LBB356_224:
	s_or_b64 exec, exec, s[0:1]
	v_or_b32_e32 v12, 0x240, v0
	v_cmp_gt_u32_e32 vcc, s33, v12
	s_and_saveexec_b64 s[0:1], vcc
	s_cbranch_execz .LBB356_226
; %bb.225:
	v_add_co_u32_e32 v12, vcc, 0x1000, v8
	v_addc_co_u32_e32 v13, vcc, 0, v9, vcc
	s_waitcnt lgkmcnt(0)
	flat_store_dwordx2 v[12:13], v[52:53] offset:512
.LBB356_226:
	s_or_b64 exec, exec, s[0:1]
	v_or_b32_e32 v12, 0x280, v0
	v_cmp_gt_u32_e32 vcc, s33, v12
	s_and_saveexec_b64 s[0:1], vcc
	s_cbranch_execz .LBB356_228
; %bb.227:
	v_add_co_u32_e32 v12, vcc, 0x1000, v8
	v_addc_co_u32_e32 v13, vcc, 0, v9, vcc
	s_waitcnt lgkmcnt(0)
	flat_store_dwordx2 v[12:13], v[54:55] offset:1024
.LBB356_228:
	;; [unrolled: 11-line block ×7, first 2 shown]
	s_or_b64 exec, exec, s[0:1]
	v_or_b32_e32 v12, 0x400, v0
	v_cmp_gt_u32_e32 vcc, s33, v12
	s_and_saveexec_b64 s[0:1], vcc
	s_cbranch_execz .LBB356_240
; %bb.239:
	v_add_co_u32_e32 v12, vcc, 0x2000, v8
	v_addc_co_u32_e32 v13, vcc, 0, v9, vcc
	s_waitcnt lgkmcnt(0)
	flat_store_dwordx2 v[12:13], v[42:43]
.LBB356_240:
	s_or_b64 exec, exec, s[0:1]
	v_or_b32_e32 v12, 0x440, v0
	v_cmp_gt_u32_e32 vcc, s33, v12
	s_and_saveexec_b64 s[0:1], vcc
	s_cbranch_execz .LBB356_242
; %bb.241:
	v_add_co_u32_e32 v8, vcc, 0x2000, v8
	v_addc_co_u32_e32 v9, vcc, 0, v9, vcc
	s_waitcnt lgkmcnt(0)
	flat_store_dwordx2 v[8:9], v[36:37] offset:512
.LBB356_242:
	s_or_b64 exec, exec, s[0:1]
	v_or_b32_e32 v8, 0x480, v0
	v_cmp_gt_u32_e64 s[0:1], s33, v8
	s_branch .LBB356_245
.LBB356_243:
	s_mov_b64 s[0:1], 0
                                        ; implicit-def: $vgpr38_vgpr39
	s_cbranch_execz .LBB356_245
; %bb.244:
	v_mul_u32_u24_e32 v1, 0x98, v0
	s_waitcnt lgkmcnt(0)
	; wave barrier
	s_waitcnt lgkmcnt(0)
	s_movk_i32 s2, 0x98
	ds_write2_b64 v1, v[76:77], v[4:5] offset1:1
	ds_write2_b64 v1, v[6:7], v[78:79] offset0:2 offset1:3
	ds_write2_b64 v1, v[10:11], v[80:81] offset0:4 offset1:5
	;; [unrolled: 1-line block ×8, first 2 shown]
	ds_write_b64 v1, v[2:3] offset:144
	v_mul_i32_i24_e32 v2, 0xffffff70, v0
	v_mad_u32_u24 v38, v0, s2, v2
	v_mov_b32_e32 v41, s5
	v_add_co_u32_e32 v40, vcc, s4, v113
	s_waitcnt lgkmcnt(0)
	; wave barrier
	s_waitcnt lgkmcnt(0)
	ds_read2st64_b64 v[2:5], v38 offset1:1
	ds_read2st64_b64 v[6:9], v38 offset0:2 offset1:3
	ds_read2st64_b64 v[10:13], v38 offset0:4 offset1:5
	;; [unrolled: 1-line block ×8, first 2 shown]
	ds_read_b64 v[38:39], v38 offset:9216
	v_addc_co_u32_e32 v41, vcc, 0, v41, vcc
	s_movk_i32 s2, 0x1000
	s_waitcnt lgkmcnt(0)
	flat_store_dwordx2 v[40:41], v[2:3]
	flat_store_dwordx2 v[40:41], v[4:5] offset:512
	flat_store_dwordx2 v[40:41], v[6:7] offset:1024
	;; [unrolled: 1-line block ×7, first 2 shown]
	v_add_co_u32_e32 v2, vcc, s2, v40
	v_addc_co_u32_e32 v3, vcc, 0, v41, vcc
	flat_store_dwordx2 v[2:3], v[18:19]
	flat_store_dwordx2 v[2:3], v[20:21] offset:512
	flat_store_dwordx2 v[2:3], v[22:23] offset:1024
	;; [unrolled: 1-line block ×7, first 2 shown]
	v_add_co_u32_e32 v2, vcc, 0x2000, v40
	v_mov_b32_e32 v1, 0
	v_addc_co_u32_e32 v3, vcc, 0, v41, vcc
	s_or_b64 s[0:1], s[0:1], exec
	flat_store_dwordx2 v[2:3], v[34:35]
	flat_store_dwordx2 v[2:3], v[36:37] offset:512
.LBB356_245:
	s_and_saveexec_b64 s[2:3], s[0:1]
	s_cbranch_execz .LBB356_247
; %bb.246:
	v_lshlrev_b64 v[0:1], 3, v[0:1]
	v_mov_b32_e32 v2, s5
	v_add_co_u32_e32 v0, vcc, s4, v0
	v_addc_co_u32_e32 v1, vcc, v2, v1, vcc
	v_add_co_u32_e32 v0, vcc, 0x2000, v0
	v_addc_co_u32_e32 v1, vcc, 0, v1, vcc
	s_waitcnt lgkmcnt(0)
	flat_store_dwordx2 v[0:1], v[38:39] offset:1024
	s_endpgm
.LBB356_247:
	s_endpgm
	.section	.rodata,"a",@progbits
	.p2align	6, 0x0
	.amdhsa_kernel _ZN7rocprim17ROCPRIM_400000_NS6detail17trampoline_kernelINS0_14default_configENS1_27scan_by_key_config_selectorIxxEEZZNS1_16scan_by_key_implILNS1_25lookback_scan_determinismE0ELb1ES3_N6thrust23THRUST_200600_302600_NS6detail15normal_iteratorINS9_10device_ptrIxEEEESE_SE_xNS9_4plusIvEENS9_8equal_toIvEExEE10hipError_tPvRmT2_T3_T4_T5_mT6_T7_P12ihipStream_tbENKUlT_T0_E_clISt17integral_constantIbLb0EESZ_EEDaSU_SV_EUlSU_E_NS1_11comp_targetILNS1_3genE4ELNS1_11target_archE910ELNS1_3gpuE8ELNS1_3repE0EEENS1_30default_config_static_selectorELNS0_4arch9wavefront6targetE1EEEvT1_
		.amdhsa_group_segment_fixed_size 10752
		.amdhsa_private_segment_fixed_size 0
		.amdhsa_kernarg_size 136
		.amdhsa_user_sgpr_count 6
		.amdhsa_user_sgpr_private_segment_buffer 1
		.amdhsa_user_sgpr_dispatch_ptr 0
		.amdhsa_user_sgpr_queue_ptr 0
		.amdhsa_user_sgpr_kernarg_segment_ptr 1
		.amdhsa_user_sgpr_dispatch_id 0
		.amdhsa_user_sgpr_flat_scratch_init 0
		.amdhsa_user_sgpr_kernarg_preload_length 0
		.amdhsa_user_sgpr_kernarg_preload_offset 0
		.amdhsa_user_sgpr_private_segment_size 0
		.amdhsa_uses_dynamic_stack 0
		.amdhsa_system_sgpr_private_segment_wavefront_offset 0
		.amdhsa_system_sgpr_workgroup_id_x 1
		.amdhsa_system_sgpr_workgroup_id_y 0
		.amdhsa_system_sgpr_workgroup_id_z 0
		.amdhsa_system_sgpr_workgroup_info 0
		.amdhsa_system_vgpr_workitem_id 0
		.amdhsa_next_free_vgpr 117
		.amdhsa_next_free_sgpr 73
		.amdhsa_accum_offset 120
		.amdhsa_reserve_vcc 1
		.amdhsa_reserve_flat_scratch 0
		.amdhsa_float_round_mode_32 0
		.amdhsa_float_round_mode_16_64 0
		.amdhsa_float_denorm_mode_32 3
		.amdhsa_float_denorm_mode_16_64 3
		.amdhsa_dx10_clamp 1
		.amdhsa_ieee_mode 1
		.amdhsa_fp16_overflow 0
		.amdhsa_tg_split 0
		.amdhsa_exception_fp_ieee_invalid_op 0
		.amdhsa_exception_fp_denorm_src 0
		.amdhsa_exception_fp_ieee_div_zero 0
		.amdhsa_exception_fp_ieee_overflow 0
		.amdhsa_exception_fp_ieee_underflow 0
		.amdhsa_exception_fp_ieee_inexact 0
		.amdhsa_exception_int_div_zero 0
	.end_amdhsa_kernel
	.section	.text._ZN7rocprim17ROCPRIM_400000_NS6detail17trampoline_kernelINS0_14default_configENS1_27scan_by_key_config_selectorIxxEEZZNS1_16scan_by_key_implILNS1_25lookback_scan_determinismE0ELb1ES3_N6thrust23THRUST_200600_302600_NS6detail15normal_iteratorINS9_10device_ptrIxEEEESE_SE_xNS9_4plusIvEENS9_8equal_toIvEExEE10hipError_tPvRmT2_T3_T4_T5_mT6_T7_P12ihipStream_tbENKUlT_T0_E_clISt17integral_constantIbLb0EESZ_EEDaSU_SV_EUlSU_E_NS1_11comp_targetILNS1_3genE4ELNS1_11target_archE910ELNS1_3gpuE8ELNS1_3repE0EEENS1_30default_config_static_selectorELNS0_4arch9wavefront6targetE1EEEvT1_,"axG",@progbits,_ZN7rocprim17ROCPRIM_400000_NS6detail17trampoline_kernelINS0_14default_configENS1_27scan_by_key_config_selectorIxxEEZZNS1_16scan_by_key_implILNS1_25lookback_scan_determinismE0ELb1ES3_N6thrust23THRUST_200600_302600_NS6detail15normal_iteratorINS9_10device_ptrIxEEEESE_SE_xNS9_4plusIvEENS9_8equal_toIvEExEE10hipError_tPvRmT2_T3_T4_T5_mT6_T7_P12ihipStream_tbENKUlT_T0_E_clISt17integral_constantIbLb0EESZ_EEDaSU_SV_EUlSU_E_NS1_11comp_targetILNS1_3genE4ELNS1_11target_archE910ELNS1_3gpuE8ELNS1_3repE0EEENS1_30default_config_static_selectorELNS0_4arch9wavefront6targetE1EEEvT1_,comdat
.Lfunc_end356:
	.size	_ZN7rocprim17ROCPRIM_400000_NS6detail17trampoline_kernelINS0_14default_configENS1_27scan_by_key_config_selectorIxxEEZZNS1_16scan_by_key_implILNS1_25lookback_scan_determinismE0ELb1ES3_N6thrust23THRUST_200600_302600_NS6detail15normal_iteratorINS9_10device_ptrIxEEEESE_SE_xNS9_4plusIvEENS9_8equal_toIvEExEE10hipError_tPvRmT2_T3_T4_T5_mT6_T7_P12ihipStream_tbENKUlT_T0_E_clISt17integral_constantIbLb0EESZ_EEDaSU_SV_EUlSU_E_NS1_11comp_targetILNS1_3genE4ELNS1_11target_archE910ELNS1_3gpuE8ELNS1_3repE0EEENS1_30default_config_static_selectorELNS0_4arch9wavefront6targetE1EEEvT1_, .Lfunc_end356-_ZN7rocprim17ROCPRIM_400000_NS6detail17trampoline_kernelINS0_14default_configENS1_27scan_by_key_config_selectorIxxEEZZNS1_16scan_by_key_implILNS1_25lookback_scan_determinismE0ELb1ES3_N6thrust23THRUST_200600_302600_NS6detail15normal_iteratorINS9_10device_ptrIxEEEESE_SE_xNS9_4plusIvEENS9_8equal_toIvEExEE10hipError_tPvRmT2_T3_T4_T5_mT6_T7_P12ihipStream_tbENKUlT_T0_E_clISt17integral_constantIbLb0EESZ_EEDaSU_SV_EUlSU_E_NS1_11comp_targetILNS1_3genE4ELNS1_11target_archE910ELNS1_3gpuE8ELNS1_3repE0EEENS1_30default_config_static_selectorELNS0_4arch9wavefront6targetE1EEEvT1_
                                        ; -- End function
	.section	.AMDGPU.csdata,"",@progbits
; Kernel info:
; codeLenInByte = 15564
; NumSgprs: 77
; NumVgprs: 117
; NumAgprs: 0
; TotalNumVgprs: 117
; ScratchSize: 0
; MemoryBound: 0
; FloatMode: 240
; IeeeMode: 1
; LDSByteSize: 10752 bytes/workgroup (compile time only)
; SGPRBlocks: 9
; VGPRBlocks: 14
; NumSGPRsForWavesPerEU: 77
; NumVGPRsForWavesPerEU: 117
; AccumOffset: 120
; Occupancy: 2
; WaveLimiterHint : 1
; COMPUTE_PGM_RSRC2:SCRATCH_EN: 0
; COMPUTE_PGM_RSRC2:USER_SGPR: 6
; COMPUTE_PGM_RSRC2:TRAP_HANDLER: 0
; COMPUTE_PGM_RSRC2:TGID_X_EN: 1
; COMPUTE_PGM_RSRC2:TGID_Y_EN: 0
; COMPUTE_PGM_RSRC2:TGID_Z_EN: 0
; COMPUTE_PGM_RSRC2:TIDIG_COMP_CNT: 0
; COMPUTE_PGM_RSRC3_GFX90A:ACCUM_OFFSET: 29
; COMPUTE_PGM_RSRC3_GFX90A:TG_SPLIT: 0
	.section	.text._ZN7rocprim17ROCPRIM_400000_NS6detail17trampoline_kernelINS0_14default_configENS1_27scan_by_key_config_selectorIxxEEZZNS1_16scan_by_key_implILNS1_25lookback_scan_determinismE0ELb1ES3_N6thrust23THRUST_200600_302600_NS6detail15normal_iteratorINS9_10device_ptrIxEEEESE_SE_xNS9_4plusIvEENS9_8equal_toIvEExEE10hipError_tPvRmT2_T3_T4_T5_mT6_T7_P12ihipStream_tbENKUlT_T0_E_clISt17integral_constantIbLb0EESZ_EEDaSU_SV_EUlSU_E_NS1_11comp_targetILNS1_3genE3ELNS1_11target_archE908ELNS1_3gpuE7ELNS1_3repE0EEENS1_30default_config_static_selectorELNS0_4arch9wavefront6targetE1EEEvT1_,"axG",@progbits,_ZN7rocprim17ROCPRIM_400000_NS6detail17trampoline_kernelINS0_14default_configENS1_27scan_by_key_config_selectorIxxEEZZNS1_16scan_by_key_implILNS1_25lookback_scan_determinismE0ELb1ES3_N6thrust23THRUST_200600_302600_NS6detail15normal_iteratorINS9_10device_ptrIxEEEESE_SE_xNS9_4plusIvEENS9_8equal_toIvEExEE10hipError_tPvRmT2_T3_T4_T5_mT6_T7_P12ihipStream_tbENKUlT_T0_E_clISt17integral_constantIbLb0EESZ_EEDaSU_SV_EUlSU_E_NS1_11comp_targetILNS1_3genE3ELNS1_11target_archE908ELNS1_3gpuE7ELNS1_3repE0EEENS1_30default_config_static_selectorELNS0_4arch9wavefront6targetE1EEEvT1_,comdat
	.protected	_ZN7rocprim17ROCPRIM_400000_NS6detail17trampoline_kernelINS0_14default_configENS1_27scan_by_key_config_selectorIxxEEZZNS1_16scan_by_key_implILNS1_25lookback_scan_determinismE0ELb1ES3_N6thrust23THRUST_200600_302600_NS6detail15normal_iteratorINS9_10device_ptrIxEEEESE_SE_xNS9_4plusIvEENS9_8equal_toIvEExEE10hipError_tPvRmT2_T3_T4_T5_mT6_T7_P12ihipStream_tbENKUlT_T0_E_clISt17integral_constantIbLb0EESZ_EEDaSU_SV_EUlSU_E_NS1_11comp_targetILNS1_3genE3ELNS1_11target_archE908ELNS1_3gpuE7ELNS1_3repE0EEENS1_30default_config_static_selectorELNS0_4arch9wavefront6targetE1EEEvT1_ ; -- Begin function _ZN7rocprim17ROCPRIM_400000_NS6detail17trampoline_kernelINS0_14default_configENS1_27scan_by_key_config_selectorIxxEEZZNS1_16scan_by_key_implILNS1_25lookback_scan_determinismE0ELb1ES3_N6thrust23THRUST_200600_302600_NS6detail15normal_iteratorINS9_10device_ptrIxEEEESE_SE_xNS9_4plusIvEENS9_8equal_toIvEExEE10hipError_tPvRmT2_T3_T4_T5_mT6_T7_P12ihipStream_tbENKUlT_T0_E_clISt17integral_constantIbLb0EESZ_EEDaSU_SV_EUlSU_E_NS1_11comp_targetILNS1_3genE3ELNS1_11target_archE908ELNS1_3gpuE7ELNS1_3repE0EEENS1_30default_config_static_selectorELNS0_4arch9wavefront6targetE1EEEvT1_
	.globl	_ZN7rocprim17ROCPRIM_400000_NS6detail17trampoline_kernelINS0_14default_configENS1_27scan_by_key_config_selectorIxxEEZZNS1_16scan_by_key_implILNS1_25lookback_scan_determinismE0ELb1ES3_N6thrust23THRUST_200600_302600_NS6detail15normal_iteratorINS9_10device_ptrIxEEEESE_SE_xNS9_4plusIvEENS9_8equal_toIvEExEE10hipError_tPvRmT2_T3_T4_T5_mT6_T7_P12ihipStream_tbENKUlT_T0_E_clISt17integral_constantIbLb0EESZ_EEDaSU_SV_EUlSU_E_NS1_11comp_targetILNS1_3genE3ELNS1_11target_archE908ELNS1_3gpuE7ELNS1_3repE0EEENS1_30default_config_static_selectorELNS0_4arch9wavefront6targetE1EEEvT1_
	.p2align	8
	.type	_ZN7rocprim17ROCPRIM_400000_NS6detail17trampoline_kernelINS0_14default_configENS1_27scan_by_key_config_selectorIxxEEZZNS1_16scan_by_key_implILNS1_25lookback_scan_determinismE0ELb1ES3_N6thrust23THRUST_200600_302600_NS6detail15normal_iteratorINS9_10device_ptrIxEEEESE_SE_xNS9_4plusIvEENS9_8equal_toIvEExEE10hipError_tPvRmT2_T3_T4_T5_mT6_T7_P12ihipStream_tbENKUlT_T0_E_clISt17integral_constantIbLb0EESZ_EEDaSU_SV_EUlSU_E_NS1_11comp_targetILNS1_3genE3ELNS1_11target_archE908ELNS1_3gpuE7ELNS1_3repE0EEENS1_30default_config_static_selectorELNS0_4arch9wavefront6targetE1EEEvT1_,@function
_ZN7rocprim17ROCPRIM_400000_NS6detail17trampoline_kernelINS0_14default_configENS1_27scan_by_key_config_selectorIxxEEZZNS1_16scan_by_key_implILNS1_25lookback_scan_determinismE0ELb1ES3_N6thrust23THRUST_200600_302600_NS6detail15normal_iteratorINS9_10device_ptrIxEEEESE_SE_xNS9_4plusIvEENS9_8equal_toIvEExEE10hipError_tPvRmT2_T3_T4_T5_mT6_T7_P12ihipStream_tbENKUlT_T0_E_clISt17integral_constantIbLb0EESZ_EEDaSU_SV_EUlSU_E_NS1_11comp_targetILNS1_3genE3ELNS1_11target_archE908ELNS1_3gpuE7ELNS1_3repE0EEENS1_30default_config_static_selectorELNS0_4arch9wavefront6targetE1EEEvT1_: ; @_ZN7rocprim17ROCPRIM_400000_NS6detail17trampoline_kernelINS0_14default_configENS1_27scan_by_key_config_selectorIxxEEZZNS1_16scan_by_key_implILNS1_25lookback_scan_determinismE0ELb1ES3_N6thrust23THRUST_200600_302600_NS6detail15normal_iteratorINS9_10device_ptrIxEEEESE_SE_xNS9_4plusIvEENS9_8equal_toIvEExEE10hipError_tPvRmT2_T3_T4_T5_mT6_T7_P12ihipStream_tbENKUlT_T0_E_clISt17integral_constantIbLb0EESZ_EEDaSU_SV_EUlSU_E_NS1_11comp_targetILNS1_3genE3ELNS1_11target_archE908ELNS1_3gpuE7ELNS1_3repE0EEENS1_30default_config_static_selectorELNS0_4arch9wavefront6targetE1EEEvT1_
; %bb.0:
	.section	.rodata,"a",@progbits
	.p2align	6, 0x0
	.amdhsa_kernel _ZN7rocprim17ROCPRIM_400000_NS6detail17trampoline_kernelINS0_14default_configENS1_27scan_by_key_config_selectorIxxEEZZNS1_16scan_by_key_implILNS1_25lookback_scan_determinismE0ELb1ES3_N6thrust23THRUST_200600_302600_NS6detail15normal_iteratorINS9_10device_ptrIxEEEESE_SE_xNS9_4plusIvEENS9_8equal_toIvEExEE10hipError_tPvRmT2_T3_T4_T5_mT6_T7_P12ihipStream_tbENKUlT_T0_E_clISt17integral_constantIbLb0EESZ_EEDaSU_SV_EUlSU_E_NS1_11comp_targetILNS1_3genE3ELNS1_11target_archE908ELNS1_3gpuE7ELNS1_3repE0EEENS1_30default_config_static_selectorELNS0_4arch9wavefront6targetE1EEEvT1_
		.amdhsa_group_segment_fixed_size 0
		.amdhsa_private_segment_fixed_size 0
		.amdhsa_kernarg_size 136
		.amdhsa_user_sgpr_count 6
		.amdhsa_user_sgpr_private_segment_buffer 1
		.amdhsa_user_sgpr_dispatch_ptr 0
		.amdhsa_user_sgpr_queue_ptr 0
		.amdhsa_user_sgpr_kernarg_segment_ptr 1
		.amdhsa_user_sgpr_dispatch_id 0
		.amdhsa_user_sgpr_flat_scratch_init 0
		.amdhsa_user_sgpr_kernarg_preload_length 0
		.amdhsa_user_sgpr_kernarg_preload_offset 0
		.amdhsa_user_sgpr_private_segment_size 0
		.amdhsa_uses_dynamic_stack 0
		.amdhsa_system_sgpr_private_segment_wavefront_offset 0
		.amdhsa_system_sgpr_workgroup_id_x 1
		.amdhsa_system_sgpr_workgroup_id_y 0
		.amdhsa_system_sgpr_workgroup_id_z 0
		.amdhsa_system_sgpr_workgroup_info 0
		.amdhsa_system_vgpr_workitem_id 0
		.amdhsa_next_free_vgpr 1
		.amdhsa_next_free_sgpr 0
		.amdhsa_accum_offset 4
		.amdhsa_reserve_vcc 0
		.amdhsa_reserve_flat_scratch 0
		.amdhsa_float_round_mode_32 0
		.amdhsa_float_round_mode_16_64 0
		.amdhsa_float_denorm_mode_32 3
		.amdhsa_float_denorm_mode_16_64 3
		.amdhsa_dx10_clamp 1
		.amdhsa_ieee_mode 1
		.amdhsa_fp16_overflow 0
		.amdhsa_tg_split 0
		.amdhsa_exception_fp_ieee_invalid_op 0
		.amdhsa_exception_fp_denorm_src 0
		.amdhsa_exception_fp_ieee_div_zero 0
		.amdhsa_exception_fp_ieee_overflow 0
		.amdhsa_exception_fp_ieee_underflow 0
		.amdhsa_exception_fp_ieee_inexact 0
		.amdhsa_exception_int_div_zero 0
	.end_amdhsa_kernel
	.section	.text._ZN7rocprim17ROCPRIM_400000_NS6detail17trampoline_kernelINS0_14default_configENS1_27scan_by_key_config_selectorIxxEEZZNS1_16scan_by_key_implILNS1_25lookback_scan_determinismE0ELb1ES3_N6thrust23THRUST_200600_302600_NS6detail15normal_iteratorINS9_10device_ptrIxEEEESE_SE_xNS9_4plusIvEENS9_8equal_toIvEExEE10hipError_tPvRmT2_T3_T4_T5_mT6_T7_P12ihipStream_tbENKUlT_T0_E_clISt17integral_constantIbLb0EESZ_EEDaSU_SV_EUlSU_E_NS1_11comp_targetILNS1_3genE3ELNS1_11target_archE908ELNS1_3gpuE7ELNS1_3repE0EEENS1_30default_config_static_selectorELNS0_4arch9wavefront6targetE1EEEvT1_,"axG",@progbits,_ZN7rocprim17ROCPRIM_400000_NS6detail17trampoline_kernelINS0_14default_configENS1_27scan_by_key_config_selectorIxxEEZZNS1_16scan_by_key_implILNS1_25lookback_scan_determinismE0ELb1ES3_N6thrust23THRUST_200600_302600_NS6detail15normal_iteratorINS9_10device_ptrIxEEEESE_SE_xNS9_4plusIvEENS9_8equal_toIvEExEE10hipError_tPvRmT2_T3_T4_T5_mT6_T7_P12ihipStream_tbENKUlT_T0_E_clISt17integral_constantIbLb0EESZ_EEDaSU_SV_EUlSU_E_NS1_11comp_targetILNS1_3genE3ELNS1_11target_archE908ELNS1_3gpuE7ELNS1_3repE0EEENS1_30default_config_static_selectorELNS0_4arch9wavefront6targetE1EEEvT1_,comdat
.Lfunc_end357:
	.size	_ZN7rocprim17ROCPRIM_400000_NS6detail17trampoline_kernelINS0_14default_configENS1_27scan_by_key_config_selectorIxxEEZZNS1_16scan_by_key_implILNS1_25lookback_scan_determinismE0ELb1ES3_N6thrust23THRUST_200600_302600_NS6detail15normal_iteratorINS9_10device_ptrIxEEEESE_SE_xNS9_4plusIvEENS9_8equal_toIvEExEE10hipError_tPvRmT2_T3_T4_T5_mT6_T7_P12ihipStream_tbENKUlT_T0_E_clISt17integral_constantIbLb0EESZ_EEDaSU_SV_EUlSU_E_NS1_11comp_targetILNS1_3genE3ELNS1_11target_archE908ELNS1_3gpuE7ELNS1_3repE0EEENS1_30default_config_static_selectorELNS0_4arch9wavefront6targetE1EEEvT1_, .Lfunc_end357-_ZN7rocprim17ROCPRIM_400000_NS6detail17trampoline_kernelINS0_14default_configENS1_27scan_by_key_config_selectorIxxEEZZNS1_16scan_by_key_implILNS1_25lookback_scan_determinismE0ELb1ES3_N6thrust23THRUST_200600_302600_NS6detail15normal_iteratorINS9_10device_ptrIxEEEESE_SE_xNS9_4plusIvEENS9_8equal_toIvEExEE10hipError_tPvRmT2_T3_T4_T5_mT6_T7_P12ihipStream_tbENKUlT_T0_E_clISt17integral_constantIbLb0EESZ_EEDaSU_SV_EUlSU_E_NS1_11comp_targetILNS1_3genE3ELNS1_11target_archE908ELNS1_3gpuE7ELNS1_3repE0EEENS1_30default_config_static_selectorELNS0_4arch9wavefront6targetE1EEEvT1_
                                        ; -- End function
	.section	.AMDGPU.csdata,"",@progbits
; Kernel info:
; codeLenInByte = 0
; NumSgprs: 4
; NumVgprs: 0
; NumAgprs: 0
; TotalNumVgprs: 0
; ScratchSize: 0
; MemoryBound: 0
; FloatMode: 240
; IeeeMode: 1
; LDSByteSize: 0 bytes/workgroup (compile time only)
; SGPRBlocks: 0
; VGPRBlocks: 0
; NumSGPRsForWavesPerEU: 4
; NumVGPRsForWavesPerEU: 1
; AccumOffset: 4
; Occupancy: 8
; WaveLimiterHint : 0
; COMPUTE_PGM_RSRC2:SCRATCH_EN: 0
; COMPUTE_PGM_RSRC2:USER_SGPR: 6
; COMPUTE_PGM_RSRC2:TRAP_HANDLER: 0
; COMPUTE_PGM_RSRC2:TGID_X_EN: 1
; COMPUTE_PGM_RSRC2:TGID_Y_EN: 0
; COMPUTE_PGM_RSRC2:TGID_Z_EN: 0
; COMPUTE_PGM_RSRC2:TIDIG_COMP_CNT: 0
; COMPUTE_PGM_RSRC3_GFX90A:ACCUM_OFFSET: 0
; COMPUTE_PGM_RSRC3_GFX90A:TG_SPLIT: 0
	.section	.text._ZN7rocprim17ROCPRIM_400000_NS6detail17trampoline_kernelINS0_14default_configENS1_27scan_by_key_config_selectorIxxEEZZNS1_16scan_by_key_implILNS1_25lookback_scan_determinismE0ELb1ES3_N6thrust23THRUST_200600_302600_NS6detail15normal_iteratorINS9_10device_ptrIxEEEESE_SE_xNS9_4plusIvEENS9_8equal_toIvEExEE10hipError_tPvRmT2_T3_T4_T5_mT6_T7_P12ihipStream_tbENKUlT_T0_E_clISt17integral_constantIbLb0EESZ_EEDaSU_SV_EUlSU_E_NS1_11comp_targetILNS1_3genE2ELNS1_11target_archE906ELNS1_3gpuE6ELNS1_3repE0EEENS1_30default_config_static_selectorELNS0_4arch9wavefront6targetE1EEEvT1_,"axG",@progbits,_ZN7rocprim17ROCPRIM_400000_NS6detail17trampoline_kernelINS0_14default_configENS1_27scan_by_key_config_selectorIxxEEZZNS1_16scan_by_key_implILNS1_25lookback_scan_determinismE0ELb1ES3_N6thrust23THRUST_200600_302600_NS6detail15normal_iteratorINS9_10device_ptrIxEEEESE_SE_xNS9_4plusIvEENS9_8equal_toIvEExEE10hipError_tPvRmT2_T3_T4_T5_mT6_T7_P12ihipStream_tbENKUlT_T0_E_clISt17integral_constantIbLb0EESZ_EEDaSU_SV_EUlSU_E_NS1_11comp_targetILNS1_3genE2ELNS1_11target_archE906ELNS1_3gpuE6ELNS1_3repE0EEENS1_30default_config_static_selectorELNS0_4arch9wavefront6targetE1EEEvT1_,comdat
	.protected	_ZN7rocprim17ROCPRIM_400000_NS6detail17trampoline_kernelINS0_14default_configENS1_27scan_by_key_config_selectorIxxEEZZNS1_16scan_by_key_implILNS1_25lookback_scan_determinismE0ELb1ES3_N6thrust23THRUST_200600_302600_NS6detail15normal_iteratorINS9_10device_ptrIxEEEESE_SE_xNS9_4plusIvEENS9_8equal_toIvEExEE10hipError_tPvRmT2_T3_T4_T5_mT6_T7_P12ihipStream_tbENKUlT_T0_E_clISt17integral_constantIbLb0EESZ_EEDaSU_SV_EUlSU_E_NS1_11comp_targetILNS1_3genE2ELNS1_11target_archE906ELNS1_3gpuE6ELNS1_3repE0EEENS1_30default_config_static_selectorELNS0_4arch9wavefront6targetE1EEEvT1_ ; -- Begin function _ZN7rocprim17ROCPRIM_400000_NS6detail17trampoline_kernelINS0_14default_configENS1_27scan_by_key_config_selectorIxxEEZZNS1_16scan_by_key_implILNS1_25lookback_scan_determinismE0ELb1ES3_N6thrust23THRUST_200600_302600_NS6detail15normal_iteratorINS9_10device_ptrIxEEEESE_SE_xNS9_4plusIvEENS9_8equal_toIvEExEE10hipError_tPvRmT2_T3_T4_T5_mT6_T7_P12ihipStream_tbENKUlT_T0_E_clISt17integral_constantIbLb0EESZ_EEDaSU_SV_EUlSU_E_NS1_11comp_targetILNS1_3genE2ELNS1_11target_archE906ELNS1_3gpuE6ELNS1_3repE0EEENS1_30default_config_static_selectorELNS0_4arch9wavefront6targetE1EEEvT1_
	.globl	_ZN7rocprim17ROCPRIM_400000_NS6detail17trampoline_kernelINS0_14default_configENS1_27scan_by_key_config_selectorIxxEEZZNS1_16scan_by_key_implILNS1_25lookback_scan_determinismE0ELb1ES3_N6thrust23THRUST_200600_302600_NS6detail15normal_iteratorINS9_10device_ptrIxEEEESE_SE_xNS9_4plusIvEENS9_8equal_toIvEExEE10hipError_tPvRmT2_T3_T4_T5_mT6_T7_P12ihipStream_tbENKUlT_T0_E_clISt17integral_constantIbLb0EESZ_EEDaSU_SV_EUlSU_E_NS1_11comp_targetILNS1_3genE2ELNS1_11target_archE906ELNS1_3gpuE6ELNS1_3repE0EEENS1_30default_config_static_selectorELNS0_4arch9wavefront6targetE1EEEvT1_
	.p2align	8
	.type	_ZN7rocprim17ROCPRIM_400000_NS6detail17trampoline_kernelINS0_14default_configENS1_27scan_by_key_config_selectorIxxEEZZNS1_16scan_by_key_implILNS1_25lookback_scan_determinismE0ELb1ES3_N6thrust23THRUST_200600_302600_NS6detail15normal_iteratorINS9_10device_ptrIxEEEESE_SE_xNS9_4plusIvEENS9_8equal_toIvEExEE10hipError_tPvRmT2_T3_T4_T5_mT6_T7_P12ihipStream_tbENKUlT_T0_E_clISt17integral_constantIbLb0EESZ_EEDaSU_SV_EUlSU_E_NS1_11comp_targetILNS1_3genE2ELNS1_11target_archE906ELNS1_3gpuE6ELNS1_3repE0EEENS1_30default_config_static_selectorELNS0_4arch9wavefront6targetE1EEEvT1_,@function
_ZN7rocprim17ROCPRIM_400000_NS6detail17trampoline_kernelINS0_14default_configENS1_27scan_by_key_config_selectorIxxEEZZNS1_16scan_by_key_implILNS1_25lookback_scan_determinismE0ELb1ES3_N6thrust23THRUST_200600_302600_NS6detail15normal_iteratorINS9_10device_ptrIxEEEESE_SE_xNS9_4plusIvEENS9_8equal_toIvEExEE10hipError_tPvRmT2_T3_T4_T5_mT6_T7_P12ihipStream_tbENKUlT_T0_E_clISt17integral_constantIbLb0EESZ_EEDaSU_SV_EUlSU_E_NS1_11comp_targetILNS1_3genE2ELNS1_11target_archE906ELNS1_3gpuE6ELNS1_3repE0EEENS1_30default_config_static_selectorELNS0_4arch9wavefront6targetE1EEEvT1_: ; @_ZN7rocprim17ROCPRIM_400000_NS6detail17trampoline_kernelINS0_14default_configENS1_27scan_by_key_config_selectorIxxEEZZNS1_16scan_by_key_implILNS1_25lookback_scan_determinismE0ELb1ES3_N6thrust23THRUST_200600_302600_NS6detail15normal_iteratorINS9_10device_ptrIxEEEESE_SE_xNS9_4plusIvEENS9_8equal_toIvEExEE10hipError_tPvRmT2_T3_T4_T5_mT6_T7_P12ihipStream_tbENKUlT_T0_E_clISt17integral_constantIbLb0EESZ_EEDaSU_SV_EUlSU_E_NS1_11comp_targetILNS1_3genE2ELNS1_11target_archE906ELNS1_3gpuE6ELNS1_3repE0EEENS1_30default_config_static_selectorELNS0_4arch9wavefront6targetE1EEEvT1_
; %bb.0:
	.section	.rodata,"a",@progbits
	.p2align	6, 0x0
	.amdhsa_kernel _ZN7rocprim17ROCPRIM_400000_NS6detail17trampoline_kernelINS0_14default_configENS1_27scan_by_key_config_selectorIxxEEZZNS1_16scan_by_key_implILNS1_25lookback_scan_determinismE0ELb1ES3_N6thrust23THRUST_200600_302600_NS6detail15normal_iteratorINS9_10device_ptrIxEEEESE_SE_xNS9_4plusIvEENS9_8equal_toIvEExEE10hipError_tPvRmT2_T3_T4_T5_mT6_T7_P12ihipStream_tbENKUlT_T0_E_clISt17integral_constantIbLb0EESZ_EEDaSU_SV_EUlSU_E_NS1_11comp_targetILNS1_3genE2ELNS1_11target_archE906ELNS1_3gpuE6ELNS1_3repE0EEENS1_30default_config_static_selectorELNS0_4arch9wavefront6targetE1EEEvT1_
		.amdhsa_group_segment_fixed_size 0
		.amdhsa_private_segment_fixed_size 0
		.amdhsa_kernarg_size 136
		.amdhsa_user_sgpr_count 6
		.amdhsa_user_sgpr_private_segment_buffer 1
		.amdhsa_user_sgpr_dispatch_ptr 0
		.amdhsa_user_sgpr_queue_ptr 0
		.amdhsa_user_sgpr_kernarg_segment_ptr 1
		.amdhsa_user_sgpr_dispatch_id 0
		.amdhsa_user_sgpr_flat_scratch_init 0
		.amdhsa_user_sgpr_kernarg_preload_length 0
		.amdhsa_user_sgpr_kernarg_preload_offset 0
		.amdhsa_user_sgpr_private_segment_size 0
		.amdhsa_uses_dynamic_stack 0
		.amdhsa_system_sgpr_private_segment_wavefront_offset 0
		.amdhsa_system_sgpr_workgroup_id_x 1
		.amdhsa_system_sgpr_workgroup_id_y 0
		.amdhsa_system_sgpr_workgroup_id_z 0
		.amdhsa_system_sgpr_workgroup_info 0
		.amdhsa_system_vgpr_workitem_id 0
		.amdhsa_next_free_vgpr 1
		.amdhsa_next_free_sgpr 0
		.amdhsa_accum_offset 4
		.amdhsa_reserve_vcc 0
		.amdhsa_reserve_flat_scratch 0
		.amdhsa_float_round_mode_32 0
		.amdhsa_float_round_mode_16_64 0
		.amdhsa_float_denorm_mode_32 3
		.amdhsa_float_denorm_mode_16_64 3
		.amdhsa_dx10_clamp 1
		.amdhsa_ieee_mode 1
		.amdhsa_fp16_overflow 0
		.amdhsa_tg_split 0
		.amdhsa_exception_fp_ieee_invalid_op 0
		.amdhsa_exception_fp_denorm_src 0
		.amdhsa_exception_fp_ieee_div_zero 0
		.amdhsa_exception_fp_ieee_overflow 0
		.amdhsa_exception_fp_ieee_underflow 0
		.amdhsa_exception_fp_ieee_inexact 0
		.amdhsa_exception_int_div_zero 0
	.end_amdhsa_kernel
	.section	.text._ZN7rocprim17ROCPRIM_400000_NS6detail17trampoline_kernelINS0_14default_configENS1_27scan_by_key_config_selectorIxxEEZZNS1_16scan_by_key_implILNS1_25lookback_scan_determinismE0ELb1ES3_N6thrust23THRUST_200600_302600_NS6detail15normal_iteratorINS9_10device_ptrIxEEEESE_SE_xNS9_4plusIvEENS9_8equal_toIvEExEE10hipError_tPvRmT2_T3_T4_T5_mT6_T7_P12ihipStream_tbENKUlT_T0_E_clISt17integral_constantIbLb0EESZ_EEDaSU_SV_EUlSU_E_NS1_11comp_targetILNS1_3genE2ELNS1_11target_archE906ELNS1_3gpuE6ELNS1_3repE0EEENS1_30default_config_static_selectorELNS0_4arch9wavefront6targetE1EEEvT1_,"axG",@progbits,_ZN7rocprim17ROCPRIM_400000_NS6detail17trampoline_kernelINS0_14default_configENS1_27scan_by_key_config_selectorIxxEEZZNS1_16scan_by_key_implILNS1_25lookback_scan_determinismE0ELb1ES3_N6thrust23THRUST_200600_302600_NS6detail15normal_iteratorINS9_10device_ptrIxEEEESE_SE_xNS9_4plusIvEENS9_8equal_toIvEExEE10hipError_tPvRmT2_T3_T4_T5_mT6_T7_P12ihipStream_tbENKUlT_T0_E_clISt17integral_constantIbLb0EESZ_EEDaSU_SV_EUlSU_E_NS1_11comp_targetILNS1_3genE2ELNS1_11target_archE906ELNS1_3gpuE6ELNS1_3repE0EEENS1_30default_config_static_selectorELNS0_4arch9wavefront6targetE1EEEvT1_,comdat
.Lfunc_end358:
	.size	_ZN7rocprim17ROCPRIM_400000_NS6detail17trampoline_kernelINS0_14default_configENS1_27scan_by_key_config_selectorIxxEEZZNS1_16scan_by_key_implILNS1_25lookback_scan_determinismE0ELb1ES3_N6thrust23THRUST_200600_302600_NS6detail15normal_iteratorINS9_10device_ptrIxEEEESE_SE_xNS9_4plusIvEENS9_8equal_toIvEExEE10hipError_tPvRmT2_T3_T4_T5_mT6_T7_P12ihipStream_tbENKUlT_T0_E_clISt17integral_constantIbLb0EESZ_EEDaSU_SV_EUlSU_E_NS1_11comp_targetILNS1_3genE2ELNS1_11target_archE906ELNS1_3gpuE6ELNS1_3repE0EEENS1_30default_config_static_selectorELNS0_4arch9wavefront6targetE1EEEvT1_, .Lfunc_end358-_ZN7rocprim17ROCPRIM_400000_NS6detail17trampoline_kernelINS0_14default_configENS1_27scan_by_key_config_selectorIxxEEZZNS1_16scan_by_key_implILNS1_25lookback_scan_determinismE0ELb1ES3_N6thrust23THRUST_200600_302600_NS6detail15normal_iteratorINS9_10device_ptrIxEEEESE_SE_xNS9_4plusIvEENS9_8equal_toIvEExEE10hipError_tPvRmT2_T3_T4_T5_mT6_T7_P12ihipStream_tbENKUlT_T0_E_clISt17integral_constantIbLb0EESZ_EEDaSU_SV_EUlSU_E_NS1_11comp_targetILNS1_3genE2ELNS1_11target_archE906ELNS1_3gpuE6ELNS1_3repE0EEENS1_30default_config_static_selectorELNS0_4arch9wavefront6targetE1EEEvT1_
                                        ; -- End function
	.section	.AMDGPU.csdata,"",@progbits
; Kernel info:
; codeLenInByte = 0
; NumSgprs: 4
; NumVgprs: 0
; NumAgprs: 0
; TotalNumVgprs: 0
; ScratchSize: 0
; MemoryBound: 0
; FloatMode: 240
; IeeeMode: 1
; LDSByteSize: 0 bytes/workgroup (compile time only)
; SGPRBlocks: 0
; VGPRBlocks: 0
; NumSGPRsForWavesPerEU: 4
; NumVGPRsForWavesPerEU: 1
; AccumOffset: 4
; Occupancy: 8
; WaveLimiterHint : 0
; COMPUTE_PGM_RSRC2:SCRATCH_EN: 0
; COMPUTE_PGM_RSRC2:USER_SGPR: 6
; COMPUTE_PGM_RSRC2:TRAP_HANDLER: 0
; COMPUTE_PGM_RSRC2:TGID_X_EN: 1
; COMPUTE_PGM_RSRC2:TGID_Y_EN: 0
; COMPUTE_PGM_RSRC2:TGID_Z_EN: 0
; COMPUTE_PGM_RSRC2:TIDIG_COMP_CNT: 0
; COMPUTE_PGM_RSRC3_GFX90A:ACCUM_OFFSET: 0
; COMPUTE_PGM_RSRC3_GFX90A:TG_SPLIT: 0
	.section	.text._ZN7rocprim17ROCPRIM_400000_NS6detail17trampoline_kernelINS0_14default_configENS1_27scan_by_key_config_selectorIxxEEZZNS1_16scan_by_key_implILNS1_25lookback_scan_determinismE0ELb1ES3_N6thrust23THRUST_200600_302600_NS6detail15normal_iteratorINS9_10device_ptrIxEEEESE_SE_xNS9_4plusIvEENS9_8equal_toIvEExEE10hipError_tPvRmT2_T3_T4_T5_mT6_T7_P12ihipStream_tbENKUlT_T0_E_clISt17integral_constantIbLb0EESZ_EEDaSU_SV_EUlSU_E_NS1_11comp_targetILNS1_3genE10ELNS1_11target_archE1200ELNS1_3gpuE4ELNS1_3repE0EEENS1_30default_config_static_selectorELNS0_4arch9wavefront6targetE1EEEvT1_,"axG",@progbits,_ZN7rocprim17ROCPRIM_400000_NS6detail17trampoline_kernelINS0_14default_configENS1_27scan_by_key_config_selectorIxxEEZZNS1_16scan_by_key_implILNS1_25lookback_scan_determinismE0ELb1ES3_N6thrust23THRUST_200600_302600_NS6detail15normal_iteratorINS9_10device_ptrIxEEEESE_SE_xNS9_4plusIvEENS9_8equal_toIvEExEE10hipError_tPvRmT2_T3_T4_T5_mT6_T7_P12ihipStream_tbENKUlT_T0_E_clISt17integral_constantIbLb0EESZ_EEDaSU_SV_EUlSU_E_NS1_11comp_targetILNS1_3genE10ELNS1_11target_archE1200ELNS1_3gpuE4ELNS1_3repE0EEENS1_30default_config_static_selectorELNS0_4arch9wavefront6targetE1EEEvT1_,comdat
	.protected	_ZN7rocprim17ROCPRIM_400000_NS6detail17trampoline_kernelINS0_14default_configENS1_27scan_by_key_config_selectorIxxEEZZNS1_16scan_by_key_implILNS1_25lookback_scan_determinismE0ELb1ES3_N6thrust23THRUST_200600_302600_NS6detail15normal_iteratorINS9_10device_ptrIxEEEESE_SE_xNS9_4plusIvEENS9_8equal_toIvEExEE10hipError_tPvRmT2_T3_T4_T5_mT6_T7_P12ihipStream_tbENKUlT_T0_E_clISt17integral_constantIbLb0EESZ_EEDaSU_SV_EUlSU_E_NS1_11comp_targetILNS1_3genE10ELNS1_11target_archE1200ELNS1_3gpuE4ELNS1_3repE0EEENS1_30default_config_static_selectorELNS0_4arch9wavefront6targetE1EEEvT1_ ; -- Begin function _ZN7rocprim17ROCPRIM_400000_NS6detail17trampoline_kernelINS0_14default_configENS1_27scan_by_key_config_selectorIxxEEZZNS1_16scan_by_key_implILNS1_25lookback_scan_determinismE0ELb1ES3_N6thrust23THRUST_200600_302600_NS6detail15normal_iteratorINS9_10device_ptrIxEEEESE_SE_xNS9_4plusIvEENS9_8equal_toIvEExEE10hipError_tPvRmT2_T3_T4_T5_mT6_T7_P12ihipStream_tbENKUlT_T0_E_clISt17integral_constantIbLb0EESZ_EEDaSU_SV_EUlSU_E_NS1_11comp_targetILNS1_3genE10ELNS1_11target_archE1200ELNS1_3gpuE4ELNS1_3repE0EEENS1_30default_config_static_selectorELNS0_4arch9wavefront6targetE1EEEvT1_
	.globl	_ZN7rocprim17ROCPRIM_400000_NS6detail17trampoline_kernelINS0_14default_configENS1_27scan_by_key_config_selectorIxxEEZZNS1_16scan_by_key_implILNS1_25lookback_scan_determinismE0ELb1ES3_N6thrust23THRUST_200600_302600_NS6detail15normal_iteratorINS9_10device_ptrIxEEEESE_SE_xNS9_4plusIvEENS9_8equal_toIvEExEE10hipError_tPvRmT2_T3_T4_T5_mT6_T7_P12ihipStream_tbENKUlT_T0_E_clISt17integral_constantIbLb0EESZ_EEDaSU_SV_EUlSU_E_NS1_11comp_targetILNS1_3genE10ELNS1_11target_archE1200ELNS1_3gpuE4ELNS1_3repE0EEENS1_30default_config_static_selectorELNS0_4arch9wavefront6targetE1EEEvT1_
	.p2align	8
	.type	_ZN7rocprim17ROCPRIM_400000_NS6detail17trampoline_kernelINS0_14default_configENS1_27scan_by_key_config_selectorIxxEEZZNS1_16scan_by_key_implILNS1_25lookback_scan_determinismE0ELb1ES3_N6thrust23THRUST_200600_302600_NS6detail15normal_iteratorINS9_10device_ptrIxEEEESE_SE_xNS9_4plusIvEENS9_8equal_toIvEExEE10hipError_tPvRmT2_T3_T4_T5_mT6_T7_P12ihipStream_tbENKUlT_T0_E_clISt17integral_constantIbLb0EESZ_EEDaSU_SV_EUlSU_E_NS1_11comp_targetILNS1_3genE10ELNS1_11target_archE1200ELNS1_3gpuE4ELNS1_3repE0EEENS1_30default_config_static_selectorELNS0_4arch9wavefront6targetE1EEEvT1_,@function
_ZN7rocprim17ROCPRIM_400000_NS6detail17trampoline_kernelINS0_14default_configENS1_27scan_by_key_config_selectorIxxEEZZNS1_16scan_by_key_implILNS1_25lookback_scan_determinismE0ELb1ES3_N6thrust23THRUST_200600_302600_NS6detail15normal_iteratorINS9_10device_ptrIxEEEESE_SE_xNS9_4plusIvEENS9_8equal_toIvEExEE10hipError_tPvRmT2_T3_T4_T5_mT6_T7_P12ihipStream_tbENKUlT_T0_E_clISt17integral_constantIbLb0EESZ_EEDaSU_SV_EUlSU_E_NS1_11comp_targetILNS1_3genE10ELNS1_11target_archE1200ELNS1_3gpuE4ELNS1_3repE0EEENS1_30default_config_static_selectorELNS0_4arch9wavefront6targetE1EEEvT1_: ; @_ZN7rocprim17ROCPRIM_400000_NS6detail17trampoline_kernelINS0_14default_configENS1_27scan_by_key_config_selectorIxxEEZZNS1_16scan_by_key_implILNS1_25lookback_scan_determinismE0ELb1ES3_N6thrust23THRUST_200600_302600_NS6detail15normal_iteratorINS9_10device_ptrIxEEEESE_SE_xNS9_4plusIvEENS9_8equal_toIvEExEE10hipError_tPvRmT2_T3_T4_T5_mT6_T7_P12ihipStream_tbENKUlT_T0_E_clISt17integral_constantIbLb0EESZ_EEDaSU_SV_EUlSU_E_NS1_11comp_targetILNS1_3genE10ELNS1_11target_archE1200ELNS1_3gpuE4ELNS1_3repE0EEENS1_30default_config_static_selectorELNS0_4arch9wavefront6targetE1EEEvT1_
; %bb.0:
	.section	.rodata,"a",@progbits
	.p2align	6, 0x0
	.amdhsa_kernel _ZN7rocprim17ROCPRIM_400000_NS6detail17trampoline_kernelINS0_14default_configENS1_27scan_by_key_config_selectorIxxEEZZNS1_16scan_by_key_implILNS1_25lookback_scan_determinismE0ELb1ES3_N6thrust23THRUST_200600_302600_NS6detail15normal_iteratorINS9_10device_ptrIxEEEESE_SE_xNS9_4plusIvEENS9_8equal_toIvEExEE10hipError_tPvRmT2_T3_T4_T5_mT6_T7_P12ihipStream_tbENKUlT_T0_E_clISt17integral_constantIbLb0EESZ_EEDaSU_SV_EUlSU_E_NS1_11comp_targetILNS1_3genE10ELNS1_11target_archE1200ELNS1_3gpuE4ELNS1_3repE0EEENS1_30default_config_static_selectorELNS0_4arch9wavefront6targetE1EEEvT1_
		.amdhsa_group_segment_fixed_size 0
		.amdhsa_private_segment_fixed_size 0
		.amdhsa_kernarg_size 136
		.amdhsa_user_sgpr_count 6
		.amdhsa_user_sgpr_private_segment_buffer 1
		.amdhsa_user_sgpr_dispatch_ptr 0
		.amdhsa_user_sgpr_queue_ptr 0
		.amdhsa_user_sgpr_kernarg_segment_ptr 1
		.amdhsa_user_sgpr_dispatch_id 0
		.amdhsa_user_sgpr_flat_scratch_init 0
		.amdhsa_user_sgpr_kernarg_preload_length 0
		.amdhsa_user_sgpr_kernarg_preload_offset 0
		.amdhsa_user_sgpr_private_segment_size 0
		.amdhsa_uses_dynamic_stack 0
		.amdhsa_system_sgpr_private_segment_wavefront_offset 0
		.amdhsa_system_sgpr_workgroup_id_x 1
		.amdhsa_system_sgpr_workgroup_id_y 0
		.amdhsa_system_sgpr_workgroup_id_z 0
		.amdhsa_system_sgpr_workgroup_info 0
		.amdhsa_system_vgpr_workitem_id 0
		.amdhsa_next_free_vgpr 1
		.amdhsa_next_free_sgpr 0
		.amdhsa_accum_offset 4
		.amdhsa_reserve_vcc 0
		.amdhsa_reserve_flat_scratch 0
		.amdhsa_float_round_mode_32 0
		.amdhsa_float_round_mode_16_64 0
		.amdhsa_float_denorm_mode_32 3
		.amdhsa_float_denorm_mode_16_64 3
		.amdhsa_dx10_clamp 1
		.amdhsa_ieee_mode 1
		.amdhsa_fp16_overflow 0
		.amdhsa_tg_split 0
		.amdhsa_exception_fp_ieee_invalid_op 0
		.amdhsa_exception_fp_denorm_src 0
		.amdhsa_exception_fp_ieee_div_zero 0
		.amdhsa_exception_fp_ieee_overflow 0
		.amdhsa_exception_fp_ieee_underflow 0
		.amdhsa_exception_fp_ieee_inexact 0
		.amdhsa_exception_int_div_zero 0
	.end_amdhsa_kernel
	.section	.text._ZN7rocprim17ROCPRIM_400000_NS6detail17trampoline_kernelINS0_14default_configENS1_27scan_by_key_config_selectorIxxEEZZNS1_16scan_by_key_implILNS1_25lookback_scan_determinismE0ELb1ES3_N6thrust23THRUST_200600_302600_NS6detail15normal_iteratorINS9_10device_ptrIxEEEESE_SE_xNS9_4plusIvEENS9_8equal_toIvEExEE10hipError_tPvRmT2_T3_T4_T5_mT6_T7_P12ihipStream_tbENKUlT_T0_E_clISt17integral_constantIbLb0EESZ_EEDaSU_SV_EUlSU_E_NS1_11comp_targetILNS1_3genE10ELNS1_11target_archE1200ELNS1_3gpuE4ELNS1_3repE0EEENS1_30default_config_static_selectorELNS0_4arch9wavefront6targetE1EEEvT1_,"axG",@progbits,_ZN7rocprim17ROCPRIM_400000_NS6detail17trampoline_kernelINS0_14default_configENS1_27scan_by_key_config_selectorIxxEEZZNS1_16scan_by_key_implILNS1_25lookback_scan_determinismE0ELb1ES3_N6thrust23THRUST_200600_302600_NS6detail15normal_iteratorINS9_10device_ptrIxEEEESE_SE_xNS9_4plusIvEENS9_8equal_toIvEExEE10hipError_tPvRmT2_T3_T4_T5_mT6_T7_P12ihipStream_tbENKUlT_T0_E_clISt17integral_constantIbLb0EESZ_EEDaSU_SV_EUlSU_E_NS1_11comp_targetILNS1_3genE10ELNS1_11target_archE1200ELNS1_3gpuE4ELNS1_3repE0EEENS1_30default_config_static_selectorELNS0_4arch9wavefront6targetE1EEEvT1_,comdat
.Lfunc_end359:
	.size	_ZN7rocprim17ROCPRIM_400000_NS6detail17trampoline_kernelINS0_14default_configENS1_27scan_by_key_config_selectorIxxEEZZNS1_16scan_by_key_implILNS1_25lookback_scan_determinismE0ELb1ES3_N6thrust23THRUST_200600_302600_NS6detail15normal_iteratorINS9_10device_ptrIxEEEESE_SE_xNS9_4plusIvEENS9_8equal_toIvEExEE10hipError_tPvRmT2_T3_T4_T5_mT6_T7_P12ihipStream_tbENKUlT_T0_E_clISt17integral_constantIbLb0EESZ_EEDaSU_SV_EUlSU_E_NS1_11comp_targetILNS1_3genE10ELNS1_11target_archE1200ELNS1_3gpuE4ELNS1_3repE0EEENS1_30default_config_static_selectorELNS0_4arch9wavefront6targetE1EEEvT1_, .Lfunc_end359-_ZN7rocprim17ROCPRIM_400000_NS6detail17trampoline_kernelINS0_14default_configENS1_27scan_by_key_config_selectorIxxEEZZNS1_16scan_by_key_implILNS1_25lookback_scan_determinismE0ELb1ES3_N6thrust23THRUST_200600_302600_NS6detail15normal_iteratorINS9_10device_ptrIxEEEESE_SE_xNS9_4plusIvEENS9_8equal_toIvEExEE10hipError_tPvRmT2_T3_T4_T5_mT6_T7_P12ihipStream_tbENKUlT_T0_E_clISt17integral_constantIbLb0EESZ_EEDaSU_SV_EUlSU_E_NS1_11comp_targetILNS1_3genE10ELNS1_11target_archE1200ELNS1_3gpuE4ELNS1_3repE0EEENS1_30default_config_static_selectorELNS0_4arch9wavefront6targetE1EEEvT1_
                                        ; -- End function
	.section	.AMDGPU.csdata,"",@progbits
; Kernel info:
; codeLenInByte = 0
; NumSgprs: 4
; NumVgprs: 0
; NumAgprs: 0
; TotalNumVgprs: 0
; ScratchSize: 0
; MemoryBound: 0
; FloatMode: 240
; IeeeMode: 1
; LDSByteSize: 0 bytes/workgroup (compile time only)
; SGPRBlocks: 0
; VGPRBlocks: 0
; NumSGPRsForWavesPerEU: 4
; NumVGPRsForWavesPerEU: 1
; AccumOffset: 4
; Occupancy: 8
; WaveLimiterHint : 0
; COMPUTE_PGM_RSRC2:SCRATCH_EN: 0
; COMPUTE_PGM_RSRC2:USER_SGPR: 6
; COMPUTE_PGM_RSRC2:TRAP_HANDLER: 0
; COMPUTE_PGM_RSRC2:TGID_X_EN: 1
; COMPUTE_PGM_RSRC2:TGID_Y_EN: 0
; COMPUTE_PGM_RSRC2:TGID_Z_EN: 0
; COMPUTE_PGM_RSRC2:TIDIG_COMP_CNT: 0
; COMPUTE_PGM_RSRC3_GFX90A:ACCUM_OFFSET: 0
; COMPUTE_PGM_RSRC3_GFX90A:TG_SPLIT: 0
	.section	.text._ZN7rocprim17ROCPRIM_400000_NS6detail17trampoline_kernelINS0_14default_configENS1_27scan_by_key_config_selectorIxxEEZZNS1_16scan_by_key_implILNS1_25lookback_scan_determinismE0ELb1ES3_N6thrust23THRUST_200600_302600_NS6detail15normal_iteratorINS9_10device_ptrIxEEEESE_SE_xNS9_4plusIvEENS9_8equal_toIvEExEE10hipError_tPvRmT2_T3_T4_T5_mT6_T7_P12ihipStream_tbENKUlT_T0_E_clISt17integral_constantIbLb0EESZ_EEDaSU_SV_EUlSU_E_NS1_11comp_targetILNS1_3genE9ELNS1_11target_archE1100ELNS1_3gpuE3ELNS1_3repE0EEENS1_30default_config_static_selectorELNS0_4arch9wavefront6targetE1EEEvT1_,"axG",@progbits,_ZN7rocprim17ROCPRIM_400000_NS6detail17trampoline_kernelINS0_14default_configENS1_27scan_by_key_config_selectorIxxEEZZNS1_16scan_by_key_implILNS1_25lookback_scan_determinismE0ELb1ES3_N6thrust23THRUST_200600_302600_NS6detail15normal_iteratorINS9_10device_ptrIxEEEESE_SE_xNS9_4plusIvEENS9_8equal_toIvEExEE10hipError_tPvRmT2_T3_T4_T5_mT6_T7_P12ihipStream_tbENKUlT_T0_E_clISt17integral_constantIbLb0EESZ_EEDaSU_SV_EUlSU_E_NS1_11comp_targetILNS1_3genE9ELNS1_11target_archE1100ELNS1_3gpuE3ELNS1_3repE0EEENS1_30default_config_static_selectorELNS0_4arch9wavefront6targetE1EEEvT1_,comdat
	.protected	_ZN7rocprim17ROCPRIM_400000_NS6detail17trampoline_kernelINS0_14default_configENS1_27scan_by_key_config_selectorIxxEEZZNS1_16scan_by_key_implILNS1_25lookback_scan_determinismE0ELb1ES3_N6thrust23THRUST_200600_302600_NS6detail15normal_iteratorINS9_10device_ptrIxEEEESE_SE_xNS9_4plusIvEENS9_8equal_toIvEExEE10hipError_tPvRmT2_T3_T4_T5_mT6_T7_P12ihipStream_tbENKUlT_T0_E_clISt17integral_constantIbLb0EESZ_EEDaSU_SV_EUlSU_E_NS1_11comp_targetILNS1_3genE9ELNS1_11target_archE1100ELNS1_3gpuE3ELNS1_3repE0EEENS1_30default_config_static_selectorELNS0_4arch9wavefront6targetE1EEEvT1_ ; -- Begin function _ZN7rocprim17ROCPRIM_400000_NS6detail17trampoline_kernelINS0_14default_configENS1_27scan_by_key_config_selectorIxxEEZZNS1_16scan_by_key_implILNS1_25lookback_scan_determinismE0ELb1ES3_N6thrust23THRUST_200600_302600_NS6detail15normal_iteratorINS9_10device_ptrIxEEEESE_SE_xNS9_4plusIvEENS9_8equal_toIvEExEE10hipError_tPvRmT2_T3_T4_T5_mT6_T7_P12ihipStream_tbENKUlT_T0_E_clISt17integral_constantIbLb0EESZ_EEDaSU_SV_EUlSU_E_NS1_11comp_targetILNS1_3genE9ELNS1_11target_archE1100ELNS1_3gpuE3ELNS1_3repE0EEENS1_30default_config_static_selectorELNS0_4arch9wavefront6targetE1EEEvT1_
	.globl	_ZN7rocprim17ROCPRIM_400000_NS6detail17trampoline_kernelINS0_14default_configENS1_27scan_by_key_config_selectorIxxEEZZNS1_16scan_by_key_implILNS1_25lookback_scan_determinismE0ELb1ES3_N6thrust23THRUST_200600_302600_NS6detail15normal_iteratorINS9_10device_ptrIxEEEESE_SE_xNS9_4plusIvEENS9_8equal_toIvEExEE10hipError_tPvRmT2_T3_T4_T5_mT6_T7_P12ihipStream_tbENKUlT_T0_E_clISt17integral_constantIbLb0EESZ_EEDaSU_SV_EUlSU_E_NS1_11comp_targetILNS1_3genE9ELNS1_11target_archE1100ELNS1_3gpuE3ELNS1_3repE0EEENS1_30default_config_static_selectorELNS0_4arch9wavefront6targetE1EEEvT1_
	.p2align	8
	.type	_ZN7rocprim17ROCPRIM_400000_NS6detail17trampoline_kernelINS0_14default_configENS1_27scan_by_key_config_selectorIxxEEZZNS1_16scan_by_key_implILNS1_25lookback_scan_determinismE0ELb1ES3_N6thrust23THRUST_200600_302600_NS6detail15normal_iteratorINS9_10device_ptrIxEEEESE_SE_xNS9_4plusIvEENS9_8equal_toIvEExEE10hipError_tPvRmT2_T3_T4_T5_mT6_T7_P12ihipStream_tbENKUlT_T0_E_clISt17integral_constantIbLb0EESZ_EEDaSU_SV_EUlSU_E_NS1_11comp_targetILNS1_3genE9ELNS1_11target_archE1100ELNS1_3gpuE3ELNS1_3repE0EEENS1_30default_config_static_selectorELNS0_4arch9wavefront6targetE1EEEvT1_,@function
_ZN7rocprim17ROCPRIM_400000_NS6detail17trampoline_kernelINS0_14default_configENS1_27scan_by_key_config_selectorIxxEEZZNS1_16scan_by_key_implILNS1_25lookback_scan_determinismE0ELb1ES3_N6thrust23THRUST_200600_302600_NS6detail15normal_iteratorINS9_10device_ptrIxEEEESE_SE_xNS9_4plusIvEENS9_8equal_toIvEExEE10hipError_tPvRmT2_T3_T4_T5_mT6_T7_P12ihipStream_tbENKUlT_T0_E_clISt17integral_constantIbLb0EESZ_EEDaSU_SV_EUlSU_E_NS1_11comp_targetILNS1_3genE9ELNS1_11target_archE1100ELNS1_3gpuE3ELNS1_3repE0EEENS1_30default_config_static_selectorELNS0_4arch9wavefront6targetE1EEEvT1_: ; @_ZN7rocprim17ROCPRIM_400000_NS6detail17trampoline_kernelINS0_14default_configENS1_27scan_by_key_config_selectorIxxEEZZNS1_16scan_by_key_implILNS1_25lookback_scan_determinismE0ELb1ES3_N6thrust23THRUST_200600_302600_NS6detail15normal_iteratorINS9_10device_ptrIxEEEESE_SE_xNS9_4plusIvEENS9_8equal_toIvEExEE10hipError_tPvRmT2_T3_T4_T5_mT6_T7_P12ihipStream_tbENKUlT_T0_E_clISt17integral_constantIbLb0EESZ_EEDaSU_SV_EUlSU_E_NS1_11comp_targetILNS1_3genE9ELNS1_11target_archE1100ELNS1_3gpuE3ELNS1_3repE0EEENS1_30default_config_static_selectorELNS0_4arch9wavefront6targetE1EEEvT1_
; %bb.0:
	.section	.rodata,"a",@progbits
	.p2align	6, 0x0
	.amdhsa_kernel _ZN7rocprim17ROCPRIM_400000_NS6detail17trampoline_kernelINS0_14default_configENS1_27scan_by_key_config_selectorIxxEEZZNS1_16scan_by_key_implILNS1_25lookback_scan_determinismE0ELb1ES3_N6thrust23THRUST_200600_302600_NS6detail15normal_iteratorINS9_10device_ptrIxEEEESE_SE_xNS9_4plusIvEENS9_8equal_toIvEExEE10hipError_tPvRmT2_T3_T4_T5_mT6_T7_P12ihipStream_tbENKUlT_T0_E_clISt17integral_constantIbLb0EESZ_EEDaSU_SV_EUlSU_E_NS1_11comp_targetILNS1_3genE9ELNS1_11target_archE1100ELNS1_3gpuE3ELNS1_3repE0EEENS1_30default_config_static_selectorELNS0_4arch9wavefront6targetE1EEEvT1_
		.amdhsa_group_segment_fixed_size 0
		.amdhsa_private_segment_fixed_size 0
		.amdhsa_kernarg_size 136
		.amdhsa_user_sgpr_count 6
		.amdhsa_user_sgpr_private_segment_buffer 1
		.amdhsa_user_sgpr_dispatch_ptr 0
		.amdhsa_user_sgpr_queue_ptr 0
		.amdhsa_user_sgpr_kernarg_segment_ptr 1
		.amdhsa_user_sgpr_dispatch_id 0
		.amdhsa_user_sgpr_flat_scratch_init 0
		.amdhsa_user_sgpr_kernarg_preload_length 0
		.amdhsa_user_sgpr_kernarg_preload_offset 0
		.amdhsa_user_sgpr_private_segment_size 0
		.amdhsa_uses_dynamic_stack 0
		.amdhsa_system_sgpr_private_segment_wavefront_offset 0
		.amdhsa_system_sgpr_workgroup_id_x 1
		.amdhsa_system_sgpr_workgroup_id_y 0
		.amdhsa_system_sgpr_workgroup_id_z 0
		.amdhsa_system_sgpr_workgroup_info 0
		.amdhsa_system_vgpr_workitem_id 0
		.amdhsa_next_free_vgpr 1
		.amdhsa_next_free_sgpr 0
		.amdhsa_accum_offset 4
		.amdhsa_reserve_vcc 0
		.amdhsa_reserve_flat_scratch 0
		.amdhsa_float_round_mode_32 0
		.amdhsa_float_round_mode_16_64 0
		.amdhsa_float_denorm_mode_32 3
		.amdhsa_float_denorm_mode_16_64 3
		.amdhsa_dx10_clamp 1
		.amdhsa_ieee_mode 1
		.amdhsa_fp16_overflow 0
		.amdhsa_tg_split 0
		.amdhsa_exception_fp_ieee_invalid_op 0
		.amdhsa_exception_fp_denorm_src 0
		.amdhsa_exception_fp_ieee_div_zero 0
		.amdhsa_exception_fp_ieee_overflow 0
		.amdhsa_exception_fp_ieee_underflow 0
		.amdhsa_exception_fp_ieee_inexact 0
		.amdhsa_exception_int_div_zero 0
	.end_amdhsa_kernel
	.section	.text._ZN7rocprim17ROCPRIM_400000_NS6detail17trampoline_kernelINS0_14default_configENS1_27scan_by_key_config_selectorIxxEEZZNS1_16scan_by_key_implILNS1_25lookback_scan_determinismE0ELb1ES3_N6thrust23THRUST_200600_302600_NS6detail15normal_iteratorINS9_10device_ptrIxEEEESE_SE_xNS9_4plusIvEENS9_8equal_toIvEExEE10hipError_tPvRmT2_T3_T4_T5_mT6_T7_P12ihipStream_tbENKUlT_T0_E_clISt17integral_constantIbLb0EESZ_EEDaSU_SV_EUlSU_E_NS1_11comp_targetILNS1_3genE9ELNS1_11target_archE1100ELNS1_3gpuE3ELNS1_3repE0EEENS1_30default_config_static_selectorELNS0_4arch9wavefront6targetE1EEEvT1_,"axG",@progbits,_ZN7rocprim17ROCPRIM_400000_NS6detail17trampoline_kernelINS0_14default_configENS1_27scan_by_key_config_selectorIxxEEZZNS1_16scan_by_key_implILNS1_25lookback_scan_determinismE0ELb1ES3_N6thrust23THRUST_200600_302600_NS6detail15normal_iteratorINS9_10device_ptrIxEEEESE_SE_xNS9_4plusIvEENS9_8equal_toIvEExEE10hipError_tPvRmT2_T3_T4_T5_mT6_T7_P12ihipStream_tbENKUlT_T0_E_clISt17integral_constantIbLb0EESZ_EEDaSU_SV_EUlSU_E_NS1_11comp_targetILNS1_3genE9ELNS1_11target_archE1100ELNS1_3gpuE3ELNS1_3repE0EEENS1_30default_config_static_selectorELNS0_4arch9wavefront6targetE1EEEvT1_,comdat
.Lfunc_end360:
	.size	_ZN7rocprim17ROCPRIM_400000_NS6detail17trampoline_kernelINS0_14default_configENS1_27scan_by_key_config_selectorIxxEEZZNS1_16scan_by_key_implILNS1_25lookback_scan_determinismE0ELb1ES3_N6thrust23THRUST_200600_302600_NS6detail15normal_iteratorINS9_10device_ptrIxEEEESE_SE_xNS9_4plusIvEENS9_8equal_toIvEExEE10hipError_tPvRmT2_T3_T4_T5_mT6_T7_P12ihipStream_tbENKUlT_T0_E_clISt17integral_constantIbLb0EESZ_EEDaSU_SV_EUlSU_E_NS1_11comp_targetILNS1_3genE9ELNS1_11target_archE1100ELNS1_3gpuE3ELNS1_3repE0EEENS1_30default_config_static_selectorELNS0_4arch9wavefront6targetE1EEEvT1_, .Lfunc_end360-_ZN7rocprim17ROCPRIM_400000_NS6detail17trampoline_kernelINS0_14default_configENS1_27scan_by_key_config_selectorIxxEEZZNS1_16scan_by_key_implILNS1_25lookback_scan_determinismE0ELb1ES3_N6thrust23THRUST_200600_302600_NS6detail15normal_iteratorINS9_10device_ptrIxEEEESE_SE_xNS9_4plusIvEENS9_8equal_toIvEExEE10hipError_tPvRmT2_T3_T4_T5_mT6_T7_P12ihipStream_tbENKUlT_T0_E_clISt17integral_constantIbLb0EESZ_EEDaSU_SV_EUlSU_E_NS1_11comp_targetILNS1_3genE9ELNS1_11target_archE1100ELNS1_3gpuE3ELNS1_3repE0EEENS1_30default_config_static_selectorELNS0_4arch9wavefront6targetE1EEEvT1_
                                        ; -- End function
	.section	.AMDGPU.csdata,"",@progbits
; Kernel info:
; codeLenInByte = 0
; NumSgprs: 4
; NumVgprs: 0
; NumAgprs: 0
; TotalNumVgprs: 0
; ScratchSize: 0
; MemoryBound: 0
; FloatMode: 240
; IeeeMode: 1
; LDSByteSize: 0 bytes/workgroup (compile time only)
; SGPRBlocks: 0
; VGPRBlocks: 0
; NumSGPRsForWavesPerEU: 4
; NumVGPRsForWavesPerEU: 1
; AccumOffset: 4
; Occupancy: 8
; WaveLimiterHint : 0
; COMPUTE_PGM_RSRC2:SCRATCH_EN: 0
; COMPUTE_PGM_RSRC2:USER_SGPR: 6
; COMPUTE_PGM_RSRC2:TRAP_HANDLER: 0
; COMPUTE_PGM_RSRC2:TGID_X_EN: 1
; COMPUTE_PGM_RSRC2:TGID_Y_EN: 0
; COMPUTE_PGM_RSRC2:TGID_Z_EN: 0
; COMPUTE_PGM_RSRC2:TIDIG_COMP_CNT: 0
; COMPUTE_PGM_RSRC3_GFX90A:ACCUM_OFFSET: 0
; COMPUTE_PGM_RSRC3_GFX90A:TG_SPLIT: 0
	.section	.text._ZN7rocprim17ROCPRIM_400000_NS6detail17trampoline_kernelINS0_14default_configENS1_27scan_by_key_config_selectorIxxEEZZNS1_16scan_by_key_implILNS1_25lookback_scan_determinismE0ELb1ES3_N6thrust23THRUST_200600_302600_NS6detail15normal_iteratorINS9_10device_ptrIxEEEESE_SE_xNS9_4plusIvEENS9_8equal_toIvEExEE10hipError_tPvRmT2_T3_T4_T5_mT6_T7_P12ihipStream_tbENKUlT_T0_E_clISt17integral_constantIbLb0EESZ_EEDaSU_SV_EUlSU_E_NS1_11comp_targetILNS1_3genE8ELNS1_11target_archE1030ELNS1_3gpuE2ELNS1_3repE0EEENS1_30default_config_static_selectorELNS0_4arch9wavefront6targetE1EEEvT1_,"axG",@progbits,_ZN7rocprim17ROCPRIM_400000_NS6detail17trampoline_kernelINS0_14default_configENS1_27scan_by_key_config_selectorIxxEEZZNS1_16scan_by_key_implILNS1_25lookback_scan_determinismE0ELb1ES3_N6thrust23THRUST_200600_302600_NS6detail15normal_iteratorINS9_10device_ptrIxEEEESE_SE_xNS9_4plusIvEENS9_8equal_toIvEExEE10hipError_tPvRmT2_T3_T4_T5_mT6_T7_P12ihipStream_tbENKUlT_T0_E_clISt17integral_constantIbLb0EESZ_EEDaSU_SV_EUlSU_E_NS1_11comp_targetILNS1_3genE8ELNS1_11target_archE1030ELNS1_3gpuE2ELNS1_3repE0EEENS1_30default_config_static_selectorELNS0_4arch9wavefront6targetE1EEEvT1_,comdat
	.protected	_ZN7rocprim17ROCPRIM_400000_NS6detail17trampoline_kernelINS0_14default_configENS1_27scan_by_key_config_selectorIxxEEZZNS1_16scan_by_key_implILNS1_25lookback_scan_determinismE0ELb1ES3_N6thrust23THRUST_200600_302600_NS6detail15normal_iteratorINS9_10device_ptrIxEEEESE_SE_xNS9_4plusIvEENS9_8equal_toIvEExEE10hipError_tPvRmT2_T3_T4_T5_mT6_T7_P12ihipStream_tbENKUlT_T0_E_clISt17integral_constantIbLb0EESZ_EEDaSU_SV_EUlSU_E_NS1_11comp_targetILNS1_3genE8ELNS1_11target_archE1030ELNS1_3gpuE2ELNS1_3repE0EEENS1_30default_config_static_selectorELNS0_4arch9wavefront6targetE1EEEvT1_ ; -- Begin function _ZN7rocprim17ROCPRIM_400000_NS6detail17trampoline_kernelINS0_14default_configENS1_27scan_by_key_config_selectorIxxEEZZNS1_16scan_by_key_implILNS1_25lookback_scan_determinismE0ELb1ES3_N6thrust23THRUST_200600_302600_NS6detail15normal_iteratorINS9_10device_ptrIxEEEESE_SE_xNS9_4plusIvEENS9_8equal_toIvEExEE10hipError_tPvRmT2_T3_T4_T5_mT6_T7_P12ihipStream_tbENKUlT_T0_E_clISt17integral_constantIbLb0EESZ_EEDaSU_SV_EUlSU_E_NS1_11comp_targetILNS1_3genE8ELNS1_11target_archE1030ELNS1_3gpuE2ELNS1_3repE0EEENS1_30default_config_static_selectorELNS0_4arch9wavefront6targetE1EEEvT1_
	.globl	_ZN7rocprim17ROCPRIM_400000_NS6detail17trampoline_kernelINS0_14default_configENS1_27scan_by_key_config_selectorIxxEEZZNS1_16scan_by_key_implILNS1_25lookback_scan_determinismE0ELb1ES3_N6thrust23THRUST_200600_302600_NS6detail15normal_iteratorINS9_10device_ptrIxEEEESE_SE_xNS9_4plusIvEENS9_8equal_toIvEExEE10hipError_tPvRmT2_T3_T4_T5_mT6_T7_P12ihipStream_tbENKUlT_T0_E_clISt17integral_constantIbLb0EESZ_EEDaSU_SV_EUlSU_E_NS1_11comp_targetILNS1_3genE8ELNS1_11target_archE1030ELNS1_3gpuE2ELNS1_3repE0EEENS1_30default_config_static_selectorELNS0_4arch9wavefront6targetE1EEEvT1_
	.p2align	8
	.type	_ZN7rocprim17ROCPRIM_400000_NS6detail17trampoline_kernelINS0_14default_configENS1_27scan_by_key_config_selectorIxxEEZZNS1_16scan_by_key_implILNS1_25lookback_scan_determinismE0ELb1ES3_N6thrust23THRUST_200600_302600_NS6detail15normal_iteratorINS9_10device_ptrIxEEEESE_SE_xNS9_4plusIvEENS9_8equal_toIvEExEE10hipError_tPvRmT2_T3_T4_T5_mT6_T7_P12ihipStream_tbENKUlT_T0_E_clISt17integral_constantIbLb0EESZ_EEDaSU_SV_EUlSU_E_NS1_11comp_targetILNS1_3genE8ELNS1_11target_archE1030ELNS1_3gpuE2ELNS1_3repE0EEENS1_30default_config_static_selectorELNS0_4arch9wavefront6targetE1EEEvT1_,@function
_ZN7rocprim17ROCPRIM_400000_NS6detail17trampoline_kernelINS0_14default_configENS1_27scan_by_key_config_selectorIxxEEZZNS1_16scan_by_key_implILNS1_25lookback_scan_determinismE0ELb1ES3_N6thrust23THRUST_200600_302600_NS6detail15normal_iteratorINS9_10device_ptrIxEEEESE_SE_xNS9_4plusIvEENS9_8equal_toIvEExEE10hipError_tPvRmT2_T3_T4_T5_mT6_T7_P12ihipStream_tbENKUlT_T0_E_clISt17integral_constantIbLb0EESZ_EEDaSU_SV_EUlSU_E_NS1_11comp_targetILNS1_3genE8ELNS1_11target_archE1030ELNS1_3gpuE2ELNS1_3repE0EEENS1_30default_config_static_selectorELNS0_4arch9wavefront6targetE1EEEvT1_: ; @_ZN7rocprim17ROCPRIM_400000_NS6detail17trampoline_kernelINS0_14default_configENS1_27scan_by_key_config_selectorIxxEEZZNS1_16scan_by_key_implILNS1_25lookback_scan_determinismE0ELb1ES3_N6thrust23THRUST_200600_302600_NS6detail15normal_iteratorINS9_10device_ptrIxEEEESE_SE_xNS9_4plusIvEENS9_8equal_toIvEExEE10hipError_tPvRmT2_T3_T4_T5_mT6_T7_P12ihipStream_tbENKUlT_T0_E_clISt17integral_constantIbLb0EESZ_EEDaSU_SV_EUlSU_E_NS1_11comp_targetILNS1_3genE8ELNS1_11target_archE1030ELNS1_3gpuE2ELNS1_3repE0EEENS1_30default_config_static_selectorELNS0_4arch9wavefront6targetE1EEEvT1_
; %bb.0:
	.section	.rodata,"a",@progbits
	.p2align	6, 0x0
	.amdhsa_kernel _ZN7rocprim17ROCPRIM_400000_NS6detail17trampoline_kernelINS0_14default_configENS1_27scan_by_key_config_selectorIxxEEZZNS1_16scan_by_key_implILNS1_25lookback_scan_determinismE0ELb1ES3_N6thrust23THRUST_200600_302600_NS6detail15normal_iteratorINS9_10device_ptrIxEEEESE_SE_xNS9_4plusIvEENS9_8equal_toIvEExEE10hipError_tPvRmT2_T3_T4_T5_mT6_T7_P12ihipStream_tbENKUlT_T0_E_clISt17integral_constantIbLb0EESZ_EEDaSU_SV_EUlSU_E_NS1_11comp_targetILNS1_3genE8ELNS1_11target_archE1030ELNS1_3gpuE2ELNS1_3repE0EEENS1_30default_config_static_selectorELNS0_4arch9wavefront6targetE1EEEvT1_
		.amdhsa_group_segment_fixed_size 0
		.amdhsa_private_segment_fixed_size 0
		.amdhsa_kernarg_size 136
		.amdhsa_user_sgpr_count 6
		.amdhsa_user_sgpr_private_segment_buffer 1
		.amdhsa_user_sgpr_dispatch_ptr 0
		.amdhsa_user_sgpr_queue_ptr 0
		.amdhsa_user_sgpr_kernarg_segment_ptr 1
		.amdhsa_user_sgpr_dispatch_id 0
		.amdhsa_user_sgpr_flat_scratch_init 0
		.amdhsa_user_sgpr_kernarg_preload_length 0
		.amdhsa_user_sgpr_kernarg_preload_offset 0
		.amdhsa_user_sgpr_private_segment_size 0
		.amdhsa_uses_dynamic_stack 0
		.amdhsa_system_sgpr_private_segment_wavefront_offset 0
		.amdhsa_system_sgpr_workgroup_id_x 1
		.amdhsa_system_sgpr_workgroup_id_y 0
		.amdhsa_system_sgpr_workgroup_id_z 0
		.amdhsa_system_sgpr_workgroup_info 0
		.amdhsa_system_vgpr_workitem_id 0
		.amdhsa_next_free_vgpr 1
		.amdhsa_next_free_sgpr 0
		.amdhsa_accum_offset 4
		.amdhsa_reserve_vcc 0
		.amdhsa_reserve_flat_scratch 0
		.amdhsa_float_round_mode_32 0
		.amdhsa_float_round_mode_16_64 0
		.amdhsa_float_denorm_mode_32 3
		.amdhsa_float_denorm_mode_16_64 3
		.amdhsa_dx10_clamp 1
		.amdhsa_ieee_mode 1
		.amdhsa_fp16_overflow 0
		.amdhsa_tg_split 0
		.amdhsa_exception_fp_ieee_invalid_op 0
		.amdhsa_exception_fp_denorm_src 0
		.amdhsa_exception_fp_ieee_div_zero 0
		.amdhsa_exception_fp_ieee_overflow 0
		.amdhsa_exception_fp_ieee_underflow 0
		.amdhsa_exception_fp_ieee_inexact 0
		.amdhsa_exception_int_div_zero 0
	.end_amdhsa_kernel
	.section	.text._ZN7rocprim17ROCPRIM_400000_NS6detail17trampoline_kernelINS0_14default_configENS1_27scan_by_key_config_selectorIxxEEZZNS1_16scan_by_key_implILNS1_25lookback_scan_determinismE0ELb1ES3_N6thrust23THRUST_200600_302600_NS6detail15normal_iteratorINS9_10device_ptrIxEEEESE_SE_xNS9_4plusIvEENS9_8equal_toIvEExEE10hipError_tPvRmT2_T3_T4_T5_mT6_T7_P12ihipStream_tbENKUlT_T0_E_clISt17integral_constantIbLb0EESZ_EEDaSU_SV_EUlSU_E_NS1_11comp_targetILNS1_3genE8ELNS1_11target_archE1030ELNS1_3gpuE2ELNS1_3repE0EEENS1_30default_config_static_selectorELNS0_4arch9wavefront6targetE1EEEvT1_,"axG",@progbits,_ZN7rocprim17ROCPRIM_400000_NS6detail17trampoline_kernelINS0_14default_configENS1_27scan_by_key_config_selectorIxxEEZZNS1_16scan_by_key_implILNS1_25lookback_scan_determinismE0ELb1ES3_N6thrust23THRUST_200600_302600_NS6detail15normal_iteratorINS9_10device_ptrIxEEEESE_SE_xNS9_4plusIvEENS9_8equal_toIvEExEE10hipError_tPvRmT2_T3_T4_T5_mT6_T7_P12ihipStream_tbENKUlT_T0_E_clISt17integral_constantIbLb0EESZ_EEDaSU_SV_EUlSU_E_NS1_11comp_targetILNS1_3genE8ELNS1_11target_archE1030ELNS1_3gpuE2ELNS1_3repE0EEENS1_30default_config_static_selectorELNS0_4arch9wavefront6targetE1EEEvT1_,comdat
.Lfunc_end361:
	.size	_ZN7rocprim17ROCPRIM_400000_NS6detail17trampoline_kernelINS0_14default_configENS1_27scan_by_key_config_selectorIxxEEZZNS1_16scan_by_key_implILNS1_25lookback_scan_determinismE0ELb1ES3_N6thrust23THRUST_200600_302600_NS6detail15normal_iteratorINS9_10device_ptrIxEEEESE_SE_xNS9_4plusIvEENS9_8equal_toIvEExEE10hipError_tPvRmT2_T3_T4_T5_mT6_T7_P12ihipStream_tbENKUlT_T0_E_clISt17integral_constantIbLb0EESZ_EEDaSU_SV_EUlSU_E_NS1_11comp_targetILNS1_3genE8ELNS1_11target_archE1030ELNS1_3gpuE2ELNS1_3repE0EEENS1_30default_config_static_selectorELNS0_4arch9wavefront6targetE1EEEvT1_, .Lfunc_end361-_ZN7rocprim17ROCPRIM_400000_NS6detail17trampoline_kernelINS0_14default_configENS1_27scan_by_key_config_selectorIxxEEZZNS1_16scan_by_key_implILNS1_25lookback_scan_determinismE0ELb1ES3_N6thrust23THRUST_200600_302600_NS6detail15normal_iteratorINS9_10device_ptrIxEEEESE_SE_xNS9_4plusIvEENS9_8equal_toIvEExEE10hipError_tPvRmT2_T3_T4_T5_mT6_T7_P12ihipStream_tbENKUlT_T0_E_clISt17integral_constantIbLb0EESZ_EEDaSU_SV_EUlSU_E_NS1_11comp_targetILNS1_3genE8ELNS1_11target_archE1030ELNS1_3gpuE2ELNS1_3repE0EEENS1_30default_config_static_selectorELNS0_4arch9wavefront6targetE1EEEvT1_
                                        ; -- End function
	.section	.AMDGPU.csdata,"",@progbits
; Kernel info:
; codeLenInByte = 0
; NumSgprs: 4
; NumVgprs: 0
; NumAgprs: 0
; TotalNumVgprs: 0
; ScratchSize: 0
; MemoryBound: 0
; FloatMode: 240
; IeeeMode: 1
; LDSByteSize: 0 bytes/workgroup (compile time only)
; SGPRBlocks: 0
; VGPRBlocks: 0
; NumSGPRsForWavesPerEU: 4
; NumVGPRsForWavesPerEU: 1
; AccumOffset: 4
; Occupancy: 8
; WaveLimiterHint : 0
; COMPUTE_PGM_RSRC2:SCRATCH_EN: 0
; COMPUTE_PGM_RSRC2:USER_SGPR: 6
; COMPUTE_PGM_RSRC2:TRAP_HANDLER: 0
; COMPUTE_PGM_RSRC2:TGID_X_EN: 1
; COMPUTE_PGM_RSRC2:TGID_Y_EN: 0
; COMPUTE_PGM_RSRC2:TGID_Z_EN: 0
; COMPUTE_PGM_RSRC2:TIDIG_COMP_CNT: 0
; COMPUTE_PGM_RSRC3_GFX90A:ACCUM_OFFSET: 0
; COMPUTE_PGM_RSRC3_GFX90A:TG_SPLIT: 0
	.section	.text._ZN7rocprim17ROCPRIM_400000_NS6detail17trampoline_kernelINS0_14default_configENS1_27scan_by_key_config_selectorIxxEEZZNS1_16scan_by_key_implILNS1_25lookback_scan_determinismE0ELb1ES3_N6thrust23THRUST_200600_302600_NS6detail15normal_iteratorINS9_10device_ptrIxEEEESE_SE_xNS9_4plusIvEENS9_8equal_toIvEExEE10hipError_tPvRmT2_T3_T4_T5_mT6_T7_P12ihipStream_tbENKUlT_T0_E_clISt17integral_constantIbLb1EESZ_EEDaSU_SV_EUlSU_E_NS1_11comp_targetILNS1_3genE0ELNS1_11target_archE4294967295ELNS1_3gpuE0ELNS1_3repE0EEENS1_30default_config_static_selectorELNS0_4arch9wavefront6targetE1EEEvT1_,"axG",@progbits,_ZN7rocprim17ROCPRIM_400000_NS6detail17trampoline_kernelINS0_14default_configENS1_27scan_by_key_config_selectorIxxEEZZNS1_16scan_by_key_implILNS1_25lookback_scan_determinismE0ELb1ES3_N6thrust23THRUST_200600_302600_NS6detail15normal_iteratorINS9_10device_ptrIxEEEESE_SE_xNS9_4plusIvEENS9_8equal_toIvEExEE10hipError_tPvRmT2_T3_T4_T5_mT6_T7_P12ihipStream_tbENKUlT_T0_E_clISt17integral_constantIbLb1EESZ_EEDaSU_SV_EUlSU_E_NS1_11comp_targetILNS1_3genE0ELNS1_11target_archE4294967295ELNS1_3gpuE0ELNS1_3repE0EEENS1_30default_config_static_selectorELNS0_4arch9wavefront6targetE1EEEvT1_,comdat
	.protected	_ZN7rocprim17ROCPRIM_400000_NS6detail17trampoline_kernelINS0_14default_configENS1_27scan_by_key_config_selectorIxxEEZZNS1_16scan_by_key_implILNS1_25lookback_scan_determinismE0ELb1ES3_N6thrust23THRUST_200600_302600_NS6detail15normal_iteratorINS9_10device_ptrIxEEEESE_SE_xNS9_4plusIvEENS9_8equal_toIvEExEE10hipError_tPvRmT2_T3_T4_T5_mT6_T7_P12ihipStream_tbENKUlT_T0_E_clISt17integral_constantIbLb1EESZ_EEDaSU_SV_EUlSU_E_NS1_11comp_targetILNS1_3genE0ELNS1_11target_archE4294967295ELNS1_3gpuE0ELNS1_3repE0EEENS1_30default_config_static_selectorELNS0_4arch9wavefront6targetE1EEEvT1_ ; -- Begin function _ZN7rocprim17ROCPRIM_400000_NS6detail17trampoline_kernelINS0_14default_configENS1_27scan_by_key_config_selectorIxxEEZZNS1_16scan_by_key_implILNS1_25lookback_scan_determinismE0ELb1ES3_N6thrust23THRUST_200600_302600_NS6detail15normal_iteratorINS9_10device_ptrIxEEEESE_SE_xNS9_4plusIvEENS9_8equal_toIvEExEE10hipError_tPvRmT2_T3_T4_T5_mT6_T7_P12ihipStream_tbENKUlT_T0_E_clISt17integral_constantIbLb1EESZ_EEDaSU_SV_EUlSU_E_NS1_11comp_targetILNS1_3genE0ELNS1_11target_archE4294967295ELNS1_3gpuE0ELNS1_3repE0EEENS1_30default_config_static_selectorELNS0_4arch9wavefront6targetE1EEEvT1_
	.globl	_ZN7rocprim17ROCPRIM_400000_NS6detail17trampoline_kernelINS0_14default_configENS1_27scan_by_key_config_selectorIxxEEZZNS1_16scan_by_key_implILNS1_25lookback_scan_determinismE0ELb1ES3_N6thrust23THRUST_200600_302600_NS6detail15normal_iteratorINS9_10device_ptrIxEEEESE_SE_xNS9_4plusIvEENS9_8equal_toIvEExEE10hipError_tPvRmT2_T3_T4_T5_mT6_T7_P12ihipStream_tbENKUlT_T0_E_clISt17integral_constantIbLb1EESZ_EEDaSU_SV_EUlSU_E_NS1_11comp_targetILNS1_3genE0ELNS1_11target_archE4294967295ELNS1_3gpuE0ELNS1_3repE0EEENS1_30default_config_static_selectorELNS0_4arch9wavefront6targetE1EEEvT1_
	.p2align	8
	.type	_ZN7rocprim17ROCPRIM_400000_NS6detail17trampoline_kernelINS0_14default_configENS1_27scan_by_key_config_selectorIxxEEZZNS1_16scan_by_key_implILNS1_25lookback_scan_determinismE0ELb1ES3_N6thrust23THRUST_200600_302600_NS6detail15normal_iteratorINS9_10device_ptrIxEEEESE_SE_xNS9_4plusIvEENS9_8equal_toIvEExEE10hipError_tPvRmT2_T3_T4_T5_mT6_T7_P12ihipStream_tbENKUlT_T0_E_clISt17integral_constantIbLb1EESZ_EEDaSU_SV_EUlSU_E_NS1_11comp_targetILNS1_3genE0ELNS1_11target_archE4294967295ELNS1_3gpuE0ELNS1_3repE0EEENS1_30default_config_static_selectorELNS0_4arch9wavefront6targetE1EEEvT1_,@function
_ZN7rocprim17ROCPRIM_400000_NS6detail17trampoline_kernelINS0_14default_configENS1_27scan_by_key_config_selectorIxxEEZZNS1_16scan_by_key_implILNS1_25lookback_scan_determinismE0ELb1ES3_N6thrust23THRUST_200600_302600_NS6detail15normal_iteratorINS9_10device_ptrIxEEEESE_SE_xNS9_4plusIvEENS9_8equal_toIvEExEE10hipError_tPvRmT2_T3_T4_T5_mT6_T7_P12ihipStream_tbENKUlT_T0_E_clISt17integral_constantIbLb1EESZ_EEDaSU_SV_EUlSU_E_NS1_11comp_targetILNS1_3genE0ELNS1_11target_archE4294967295ELNS1_3gpuE0ELNS1_3repE0EEENS1_30default_config_static_selectorELNS0_4arch9wavefront6targetE1EEEvT1_: ; @_ZN7rocprim17ROCPRIM_400000_NS6detail17trampoline_kernelINS0_14default_configENS1_27scan_by_key_config_selectorIxxEEZZNS1_16scan_by_key_implILNS1_25lookback_scan_determinismE0ELb1ES3_N6thrust23THRUST_200600_302600_NS6detail15normal_iteratorINS9_10device_ptrIxEEEESE_SE_xNS9_4plusIvEENS9_8equal_toIvEExEE10hipError_tPvRmT2_T3_T4_T5_mT6_T7_P12ihipStream_tbENKUlT_T0_E_clISt17integral_constantIbLb1EESZ_EEDaSU_SV_EUlSU_E_NS1_11comp_targetILNS1_3genE0ELNS1_11target_archE4294967295ELNS1_3gpuE0ELNS1_3repE0EEENS1_30default_config_static_selectorELNS0_4arch9wavefront6targetE1EEEvT1_
; %bb.0:
	.section	.rodata,"a",@progbits
	.p2align	6, 0x0
	.amdhsa_kernel _ZN7rocprim17ROCPRIM_400000_NS6detail17trampoline_kernelINS0_14default_configENS1_27scan_by_key_config_selectorIxxEEZZNS1_16scan_by_key_implILNS1_25lookback_scan_determinismE0ELb1ES3_N6thrust23THRUST_200600_302600_NS6detail15normal_iteratorINS9_10device_ptrIxEEEESE_SE_xNS9_4plusIvEENS9_8equal_toIvEExEE10hipError_tPvRmT2_T3_T4_T5_mT6_T7_P12ihipStream_tbENKUlT_T0_E_clISt17integral_constantIbLb1EESZ_EEDaSU_SV_EUlSU_E_NS1_11comp_targetILNS1_3genE0ELNS1_11target_archE4294967295ELNS1_3gpuE0ELNS1_3repE0EEENS1_30default_config_static_selectorELNS0_4arch9wavefront6targetE1EEEvT1_
		.amdhsa_group_segment_fixed_size 0
		.amdhsa_private_segment_fixed_size 0
		.amdhsa_kernarg_size 136
		.amdhsa_user_sgpr_count 6
		.amdhsa_user_sgpr_private_segment_buffer 1
		.amdhsa_user_sgpr_dispatch_ptr 0
		.amdhsa_user_sgpr_queue_ptr 0
		.amdhsa_user_sgpr_kernarg_segment_ptr 1
		.amdhsa_user_sgpr_dispatch_id 0
		.amdhsa_user_sgpr_flat_scratch_init 0
		.amdhsa_user_sgpr_kernarg_preload_length 0
		.amdhsa_user_sgpr_kernarg_preload_offset 0
		.amdhsa_user_sgpr_private_segment_size 0
		.amdhsa_uses_dynamic_stack 0
		.amdhsa_system_sgpr_private_segment_wavefront_offset 0
		.amdhsa_system_sgpr_workgroup_id_x 1
		.amdhsa_system_sgpr_workgroup_id_y 0
		.amdhsa_system_sgpr_workgroup_id_z 0
		.amdhsa_system_sgpr_workgroup_info 0
		.amdhsa_system_vgpr_workitem_id 0
		.amdhsa_next_free_vgpr 1
		.amdhsa_next_free_sgpr 0
		.amdhsa_accum_offset 4
		.amdhsa_reserve_vcc 0
		.amdhsa_reserve_flat_scratch 0
		.amdhsa_float_round_mode_32 0
		.amdhsa_float_round_mode_16_64 0
		.amdhsa_float_denorm_mode_32 3
		.amdhsa_float_denorm_mode_16_64 3
		.amdhsa_dx10_clamp 1
		.amdhsa_ieee_mode 1
		.amdhsa_fp16_overflow 0
		.amdhsa_tg_split 0
		.amdhsa_exception_fp_ieee_invalid_op 0
		.amdhsa_exception_fp_denorm_src 0
		.amdhsa_exception_fp_ieee_div_zero 0
		.amdhsa_exception_fp_ieee_overflow 0
		.amdhsa_exception_fp_ieee_underflow 0
		.amdhsa_exception_fp_ieee_inexact 0
		.amdhsa_exception_int_div_zero 0
	.end_amdhsa_kernel
	.section	.text._ZN7rocprim17ROCPRIM_400000_NS6detail17trampoline_kernelINS0_14default_configENS1_27scan_by_key_config_selectorIxxEEZZNS1_16scan_by_key_implILNS1_25lookback_scan_determinismE0ELb1ES3_N6thrust23THRUST_200600_302600_NS6detail15normal_iteratorINS9_10device_ptrIxEEEESE_SE_xNS9_4plusIvEENS9_8equal_toIvEExEE10hipError_tPvRmT2_T3_T4_T5_mT6_T7_P12ihipStream_tbENKUlT_T0_E_clISt17integral_constantIbLb1EESZ_EEDaSU_SV_EUlSU_E_NS1_11comp_targetILNS1_3genE0ELNS1_11target_archE4294967295ELNS1_3gpuE0ELNS1_3repE0EEENS1_30default_config_static_selectorELNS0_4arch9wavefront6targetE1EEEvT1_,"axG",@progbits,_ZN7rocprim17ROCPRIM_400000_NS6detail17trampoline_kernelINS0_14default_configENS1_27scan_by_key_config_selectorIxxEEZZNS1_16scan_by_key_implILNS1_25lookback_scan_determinismE0ELb1ES3_N6thrust23THRUST_200600_302600_NS6detail15normal_iteratorINS9_10device_ptrIxEEEESE_SE_xNS9_4plusIvEENS9_8equal_toIvEExEE10hipError_tPvRmT2_T3_T4_T5_mT6_T7_P12ihipStream_tbENKUlT_T0_E_clISt17integral_constantIbLb1EESZ_EEDaSU_SV_EUlSU_E_NS1_11comp_targetILNS1_3genE0ELNS1_11target_archE4294967295ELNS1_3gpuE0ELNS1_3repE0EEENS1_30default_config_static_selectorELNS0_4arch9wavefront6targetE1EEEvT1_,comdat
.Lfunc_end362:
	.size	_ZN7rocprim17ROCPRIM_400000_NS6detail17trampoline_kernelINS0_14default_configENS1_27scan_by_key_config_selectorIxxEEZZNS1_16scan_by_key_implILNS1_25lookback_scan_determinismE0ELb1ES3_N6thrust23THRUST_200600_302600_NS6detail15normal_iteratorINS9_10device_ptrIxEEEESE_SE_xNS9_4plusIvEENS9_8equal_toIvEExEE10hipError_tPvRmT2_T3_T4_T5_mT6_T7_P12ihipStream_tbENKUlT_T0_E_clISt17integral_constantIbLb1EESZ_EEDaSU_SV_EUlSU_E_NS1_11comp_targetILNS1_3genE0ELNS1_11target_archE4294967295ELNS1_3gpuE0ELNS1_3repE0EEENS1_30default_config_static_selectorELNS0_4arch9wavefront6targetE1EEEvT1_, .Lfunc_end362-_ZN7rocprim17ROCPRIM_400000_NS6detail17trampoline_kernelINS0_14default_configENS1_27scan_by_key_config_selectorIxxEEZZNS1_16scan_by_key_implILNS1_25lookback_scan_determinismE0ELb1ES3_N6thrust23THRUST_200600_302600_NS6detail15normal_iteratorINS9_10device_ptrIxEEEESE_SE_xNS9_4plusIvEENS9_8equal_toIvEExEE10hipError_tPvRmT2_T3_T4_T5_mT6_T7_P12ihipStream_tbENKUlT_T0_E_clISt17integral_constantIbLb1EESZ_EEDaSU_SV_EUlSU_E_NS1_11comp_targetILNS1_3genE0ELNS1_11target_archE4294967295ELNS1_3gpuE0ELNS1_3repE0EEENS1_30default_config_static_selectorELNS0_4arch9wavefront6targetE1EEEvT1_
                                        ; -- End function
	.section	.AMDGPU.csdata,"",@progbits
; Kernel info:
; codeLenInByte = 0
; NumSgprs: 4
; NumVgprs: 0
; NumAgprs: 0
; TotalNumVgprs: 0
; ScratchSize: 0
; MemoryBound: 0
; FloatMode: 240
; IeeeMode: 1
; LDSByteSize: 0 bytes/workgroup (compile time only)
; SGPRBlocks: 0
; VGPRBlocks: 0
; NumSGPRsForWavesPerEU: 4
; NumVGPRsForWavesPerEU: 1
; AccumOffset: 4
; Occupancy: 8
; WaveLimiterHint : 0
; COMPUTE_PGM_RSRC2:SCRATCH_EN: 0
; COMPUTE_PGM_RSRC2:USER_SGPR: 6
; COMPUTE_PGM_RSRC2:TRAP_HANDLER: 0
; COMPUTE_PGM_RSRC2:TGID_X_EN: 1
; COMPUTE_PGM_RSRC2:TGID_Y_EN: 0
; COMPUTE_PGM_RSRC2:TGID_Z_EN: 0
; COMPUTE_PGM_RSRC2:TIDIG_COMP_CNT: 0
; COMPUTE_PGM_RSRC3_GFX90A:ACCUM_OFFSET: 0
; COMPUTE_PGM_RSRC3_GFX90A:TG_SPLIT: 0
	.section	.text._ZN7rocprim17ROCPRIM_400000_NS6detail17trampoline_kernelINS0_14default_configENS1_27scan_by_key_config_selectorIxxEEZZNS1_16scan_by_key_implILNS1_25lookback_scan_determinismE0ELb1ES3_N6thrust23THRUST_200600_302600_NS6detail15normal_iteratorINS9_10device_ptrIxEEEESE_SE_xNS9_4plusIvEENS9_8equal_toIvEExEE10hipError_tPvRmT2_T3_T4_T5_mT6_T7_P12ihipStream_tbENKUlT_T0_E_clISt17integral_constantIbLb1EESZ_EEDaSU_SV_EUlSU_E_NS1_11comp_targetILNS1_3genE10ELNS1_11target_archE1201ELNS1_3gpuE5ELNS1_3repE0EEENS1_30default_config_static_selectorELNS0_4arch9wavefront6targetE1EEEvT1_,"axG",@progbits,_ZN7rocprim17ROCPRIM_400000_NS6detail17trampoline_kernelINS0_14default_configENS1_27scan_by_key_config_selectorIxxEEZZNS1_16scan_by_key_implILNS1_25lookback_scan_determinismE0ELb1ES3_N6thrust23THRUST_200600_302600_NS6detail15normal_iteratorINS9_10device_ptrIxEEEESE_SE_xNS9_4plusIvEENS9_8equal_toIvEExEE10hipError_tPvRmT2_T3_T4_T5_mT6_T7_P12ihipStream_tbENKUlT_T0_E_clISt17integral_constantIbLb1EESZ_EEDaSU_SV_EUlSU_E_NS1_11comp_targetILNS1_3genE10ELNS1_11target_archE1201ELNS1_3gpuE5ELNS1_3repE0EEENS1_30default_config_static_selectorELNS0_4arch9wavefront6targetE1EEEvT1_,comdat
	.protected	_ZN7rocprim17ROCPRIM_400000_NS6detail17trampoline_kernelINS0_14default_configENS1_27scan_by_key_config_selectorIxxEEZZNS1_16scan_by_key_implILNS1_25lookback_scan_determinismE0ELb1ES3_N6thrust23THRUST_200600_302600_NS6detail15normal_iteratorINS9_10device_ptrIxEEEESE_SE_xNS9_4plusIvEENS9_8equal_toIvEExEE10hipError_tPvRmT2_T3_T4_T5_mT6_T7_P12ihipStream_tbENKUlT_T0_E_clISt17integral_constantIbLb1EESZ_EEDaSU_SV_EUlSU_E_NS1_11comp_targetILNS1_3genE10ELNS1_11target_archE1201ELNS1_3gpuE5ELNS1_3repE0EEENS1_30default_config_static_selectorELNS0_4arch9wavefront6targetE1EEEvT1_ ; -- Begin function _ZN7rocprim17ROCPRIM_400000_NS6detail17trampoline_kernelINS0_14default_configENS1_27scan_by_key_config_selectorIxxEEZZNS1_16scan_by_key_implILNS1_25lookback_scan_determinismE0ELb1ES3_N6thrust23THRUST_200600_302600_NS6detail15normal_iteratorINS9_10device_ptrIxEEEESE_SE_xNS9_4plusIvEENS9_8equal_toIvEExEE10hipError_tPvRmT2_T3_T4_T5_mT6_T7_P12ihipStream_tbENKUlT_T0_E_clISt17integral_constantIbLb1EESZ_EEDaSU_SV_EUlSU_E_NS1_11comp_targetILNS1_3genE10ELNS1_11target_archE1201ELNS1_3gpuE5ELNS1_3repE0EEENS1_30default_config_static_selectorELNS0_4arch9wavefront6targetE1EEEvT1_
	.globl	_ZN7rocprim17ROCPRIM_400000_NS6detail17trampoline_kernelINS0_14default_configENS1_27scan_by_key_config_selectorIxxEEZZNS1_16scan_by_key_implILNS1_25lookback_scan_determinismE0ELb1ES3_N6thrust23THRUST_200600_302600_NS6detail15normal_iteratorINS9_10device_ptrIxEEEESE_SE_xNS9_4plusIvEENS9_8equal_toIvEExEE10hipError_tPvRmT2_T3_T4_T5_mT6_T7_P12ihipStream_tbENKUlT_T0_E_clISt17integral_constantIbLb1EESZ_EEDaSU_SV_EUlSU_E_NS1_11comp_targetILNS1_3genE10ELNS1_11target_archE1201ELNS1_3gpuE5ELNS1_3repE0EEENS1_30default_config_static_selectorELNS0_4arch9wavefront6targetE1EEEvT1_
	.p2align	8
	.type	_ZN7rocprim17ROCPRIM_400000_NS6detail17trampoline_kernelINS0_14default_configENS1_27scan_by_key_config_selectorIxxEEZZNS1_16scan_by_key_implILNS1_25lookback_scan_determinismE0ELb1ES3_N6thrust23THRUST_200600_302600_NS6detail15normal_iteratorINS9_10device_ptrIxEEEESE_SE_xNS9_4plusIvEENS9_8equal_toIvEExEE10hipError_tPvRmT2_T3_T4_T5_mT6_T7_P12ihipStream_tbENKUlT_T0_E_clISt17integral_constantIbLb1EESZ_EEDaSU_SV_EUlSU_E_NS1_11comp_targetILNS1_3genE10ELNS1_11target_archE1201ELNS1_3gpuE5ELNS1_3repE0EEENS1_30default_config_static_selectorELNS0_4arch9wavefront6targetE1EEEvT1_,@function
_ZN7rocprim17ROCPRIM_400000_NS6detail17trampoline_kernelINS0_14default_configENS1_27scan_by_key_config_selectorIxxEEZZNS1_16scan_by_key_implILNS1_25lookback_scan_determinismE0ELb1ES3_N6thrust23THRUST_200600_302600_NS6detail15normal_iteratorINS9_10device_ptrIxEEEESE_SE_xNS9_4plusIvEENS9_8equal_toIvEExEE10hipError_tPvRmT2_T3_T4_T5_mT6_T7_P12ihipStream_tbENKUlT_T0_E_clISt17integral_constantIbLb1EESZ_EEDaSU_SV_EUlSU_E_NS1_11comp_targetILNS1_3genE10ELNS1_11target_archE1201ELNS1_3gpuE5ELNS1_3repE0EEENS1_30default_config_static_selectorELNS0_4arch9wavefront6targetE1EEEvT1_: ; @_ZN7rocprim17ROCPRIM_400000_NS6detail17trampoline_kernelINS0_14default_configENS1_27scan_by_key_config_selectorIxxEEZZNS1_16scan_by_key_implILNS1_25lookback_scan_determinismE0ELb1ES3_N6thrust23THRUST_200600_302600_NS6detail15normal_iteratorINS9_10device_ptrIxEEEESE_SE_xNS9_4plusIvEENS9_8equal_toIvEExEE10hipError_tPvRmT2_T3_T4_T5_mT6_T7_P12ihipStream_tbENKUlT_T0_E_clISt17integral_constantIbLb1EESZ_EEDaSU_SV_EUlSU_E_NS1_11comp_targetILNS1_3genE10ELNS1_11target_archE1201ELNS1_3gpuE5ELNS1_3repE0EEENS1_30default_config_static_selectorELNS0_4arch9wavefront6targetE1EEEvT1_
; %bb.0:
	.section	.rodata,"a",@progbits
	.p2align	6, 0x0
	.amdhsa_kernel _ZN7rocprim17ROCPRIM_400000_NS6detail17trampoline_kernelINS0_14default_configENS1_27scan_by_key_config_selectorIxxEEZZNS1_16scan_by_key_implILNS1_25lookback_scan_determinismE0ELb1ES3_N6thrust23THRUST_200600_302600_NS6detail15normal_iteratorINS9_10device_ptrIxEEEESE_SE_xNS9_4plusIvEENS9_8equal_toIvEExEE10hipError_tPvRmT2_T3_T4_T5_mT6_T7_P12ihipStream_tbENKUlT_T0_E_clISt17integral_constantIbLb1EESZ_EEDaSU_SV_EUlSU_E_NS1_11comp_targetILNS1_3genE10ELNS1_11target_archE1201ELNS1_3gpuE5ELNS1_3repE0EEENS1_30default_config_static_selectorELNS0_4arch9wavefront6targetE1EEEvT1_
		.amdhsa_group_segment_fixed_size 0
		.amdhsa_private_segment_fixed_size 0
		.amdhsa_kernarg_size 136
		.amdhsa_user_sgpr_count 6
		.amdhsa_user_sgpr_private_segment_buffer 1
		.amdhsa_user_sgpr_dispatch_ptr 0
		.amdhsa_user_sgpr_queue_ptr 0
		.amdhsa_user_sgpr_kernarg_segment_ptr 1
		.amdhsa_user_sgpr_dispatch_id 0
		.amdhsa_user_sgpr_flat_scratch_init 0
		.amdhsa_user_sgpr_kernarg_preload_length 0
		.amdhsa_user_sgpr_kernarg_preload_offset 0
		.amdhsa_user_sgpr_private_segment_size 0
		.amdhsa_uses_dynamic_stack 0
		.amdhsa_system_sgpr_private_segment_wavefront_offset 0
		.amdhsa_system_sgpr_workgroup_id_x 1
		.amdhsa_system_sgpr_workgroup_id_y 0
		.amdhsa_system_sgpr_workgroup_id_z 0
		.amdhsa_system_sgpr_workgroup_info 0
		.amdhsa_system_vgpr_workitem_id 0
		.amdhsa_next_free_vgpr 1
		.amdhsa_next_free_sgpr 0
		.amdhsa_accum_offset 4
		.amdhsa_reserve_vcc 0
		.amdhsa_reserve_flat_scratch 0
		.amdhsa_float_round_mode_32 0
		.amdhsa_float_round_mode_16_64 0
		.amdhsa_float_denorm_mode_32 3
		.amdhsa_float_denorm_mode_16_64 3
		.amdhsa_dx10_clamp 1
		.amdhsa_ieee_mode 1
		.amdhsa_fp16_overflow 0
		.amdhsa_tg_split 0
		.amdhsa_exception_fp_ieee_invalid_op 0
		.amdhsa_exception_fp_denorm_src 0
		.amdhsa_exception_fp_ieee_div_zero 0
		.amdhsa_exception_fp_ieee_overflow 0
		.amdhsa_exception_fp_ieee_underflow 0
		.amdhsa_exception_fp_ieee_inexact 0
		.amdhsa_exception_int_div_zero 0
	.end_amdhsa_kernel
	.section	.text._ZN7rocprim17ROCPRIM_400000_NS6detail17trampoline_kernelINS0_14default_configENS1_27scan_by_key_config_selectorIxxEEZZNS1_16scan_by_key_implILNS1_25lookback_scan_determinismE0ELb1ES3_N6thrust23THRUST_200600_302600_NS6detail15normal_iteratorINS9_10device_ptrIxEEEESE_SE_xNS9_4plusIvEENS9_8equal_toIvEExEE10hipError_tPvRmT2_T3_T4_T5_mT6_T7_P12ihipStream_tbENKUlT_T0_E_clISt17integral_constantIbLb1EESZ_EEDaSU_SV_EUlSU_E_NS1_11comp_targetILNS1_3genE10ELNS1_11target_archE1201ELNS1_3gpuE5ELNS1_3repE0EEENS1_30default_config_static_selectorELNS0_4arch9wavefront6targetE1EEEvT1_,"axG",@progbits,_ZN7rocprim17ROCPRIM_400000_NS6detail17trampoline_kernelINS0_14default_configENS1_27scan_by_key_config_selectorIxxEEZZNS1_16scan_by_key_implILNS1_25lookback_scan_determinismE0ELb1ES3_N6thrust23THRUST_200600_302600_NS6detail15normal_iteratorINS9_10device_ptrIxEEEESE_SE_xNS9_4plusIvEENS9_8equal_toIvEExEE10hipError_tPvRmT2_T3_T4_T5_mT6_T7_P12ihipStream_tbENKUlT_T0_E_clISt17integral_constantIbLb1EESZ_EEDaSU_SV_EUlSU_E_NS1_11comp_targetILNS1_3genE10ELNS1_11target_archE1201ELNS1_3gpuE5ELNS1_3repE0EEENS1_30default_config_static_selectorELNS0_4arch9wavefront6targetE1EEEvT1_,comdat
.Lfunc_end363:
	.size	_ZN7rocprim17ROCPRIM_400000_NS6detail17trampoline_kernelINS0_14default_configENS1_27scan_by_key_config_selectorIxxEEZZNS1_16scan_by_key_implILNS1_25lookback_scan_determinismE0ELb1ES3_N6thrust23THRUST_200600_302600_NS6detail15normal_iteratorINS9_10device_ptrIxEEEESE_SE_xNS9_4plusIvEENS9_8equal_toIvEExEE10hipError_tPvRmT2_T3_T4_T5_mT6_T7_P12ihipStream_tbENKUlT_T0_E_clISt17integral_constantIbLb1EESZ_EEDaSU_SV_EUlSU_E_NS1_11comp_targetILNS1_3genE10ELNS1_11target_archE1201ELNS1_3gpuE5ELNS1_3repE0EEENS1_30default_config_static_selectorELNS0_4arch9wavefront6targetE1EEEvT1_, .Lfunc_end363-_ZN7rocprim17ROCPRIM_400000_NS6detail17trampoline_kernelINS0_14default_configENS1_27scan_by_key_config_selectorIxxEEZZNS1_16scan_by_key_implILNS1_25lookback_scan_determinismE0ELb1ES3_N6thrust23THRUST_200600_302600_NS6detail15normal_iteratorINS9_10device_ptrIxEEEESE_SE_xNS9_4plusIvEENS9_8equal_toIvEExEE10hipError_tPvRmT2_T3_T4_T5_mT6_T7_P12ihipStream_tbENKUlT_T0_E_clISt17integral_constantIbLb1EESZ_EEDaSU_SV_EUlSU_E_NS1_11comp_targetILNS1_3genE10ELNS1_11target_archE1201ELNS1_3gpuE5ELNS1_3repE0EEENS1_30default_config_static_selectorELNS0_4arch9wavefront6targetE1EEEvT1_
                                        ; -- End function
	.section	.AMDGPU.csdata,"",@progbits
; Kernel info:
; codeLenInByte = 0
; NumSgprs: 4
; NumVgprs: 0
; NumAgprs: 0
; TotalNumVgprs: 0
; ScratchSize: 0
; MemoryBound: 0
; FloatMode: 240
; IeeeMode: 1
; LDSByteSize: 0 bytes/workgroup (compile time only)
; SGPRBlocks: 0
; VGPRBlocks: 0
; NumSGPRsForWavesPerEU: 4
; NumVGPRsForWavesPerEU: 1
; AccumOffset: 4
; Occupancy: 8
; WaveLimiterHint : 0
; COMPUTE_PGM_RSRC2:SCRATCH_EN: 0
; COMPUTE_PGM_RSRC2:USER_SGPR: 6
; COMPUTE_PGM_RSRC2:TRAP_HANDLER: 0
; COMPUTE_PGM_RSRC2:TGID_X_EN: 1
; COMPUTE_PGM_RSRC2:TGID_Y_EN: 0
; COMPUTE_PGM_RSRC2:TGID_Z_EN: 0
; COMPUTE_PGM_RSRC2:TIDIG_COMP_CNT: 0
; COMPUTE_PGM_RSRC3_GFX90A:ACCUM_OFFSET: 0
; COMPUTE_PGM_RSRC3_GFX90A:TG_SPLIT: 0
	.section	.text._ZN7rocprim17ROCPRIM_400000_NS6detail17trampoline_kernelINS0_14default_configENS1_27scan_by_key_config_selectorIxxEEZZNS1_16scan_by_key_implILNS1_25lookback_scan_determinismE0ELb1ES3_N6thrust23THRUST_200600_302600_NS6detail15normal_iteratorINS9_10device_ptrIxEEEESE_SE_xNS9_4plusIvEENS9_8equal_toIvEExEE10hipError_tPvRmT2_T3_T4_T5_mT6_T7_P12ihipStream_tbENKUlT_T0_E_clISt17integral_constantIbLb1EESZ_EEDaSU_SV_EUlSU_E_NS1_11comp_targetILNS1_3genE5ELNS1_11target_archE942ELNS1_3gpuE9ELNS1_3repE0EEENS1_30default_config_static_selectorELNS0_4arch9wavefront6targetE1EEEvT1_,"axG",@progbits,_ZN7rocprim17ROCPRIM_400000_NS6detail17trampoline_kernelINS0_14default_configENS1_27scan_by_key_config_selectorIxxEEZZNS1_16scan_by_key_implILNS1_25lookback_scan_determinismE0ELb1ES3_N6thrust23THRUST_200600_302600_NS6detail15normal_iteratorINS9_10device_ptrIxEEEESE_SE_xNS9_4plusIvEENS9_8equal_toIvEExEE10hipError_tPvRmT2_T3_T4_T5_mT6_T7_P12ihipStream_tbENKUlT_T0_E_clISt17integral_constantIbLb1EESZ_EEDaSU_SV_EUlSU_E_NS1_11comp_targetILNS1_3genE5ELNS1_11target_archE942ELNS1_3gpuE9ELNS1_3repE0EEENS1_30default_config_static_selectorELNS0_4arch9wavefront6targetE1EEEvT1_,comdat
	.protected	_ZN7rocprim17ROCPRIM_400000_NS6detail17trampoline_kernelINS0_14default_configENS1_27scan_by_key_config_selectorIxxEEZZNS1_16scan_by_key_implILNS1_25lookback_scan_determinismE0ELb1ES3_N6thrust23THRUST_200600_302600_NS6detail15normal_iteratorINS9_10device_ptrIxEEEESE_SE_xNS9_4plusIvEENS9_8equal_toIvEExEE10hipError_tPvRmT2_T3_T4_T5_mT6_T7_P12ihipStream_tbENKUlT_T0_E_clISt17integral_constantIbLb1EESZ_EEDaSU_SV_EUlSU_E_NS1_11comp_targetILNS1_3genE5ELNS1_11target_archE942ELNS1_3gpuE9ELNS1_3repE0EEENS1_30default_config_static_selectorELNS0_4arch9wavefront6targetE1EEEvT1_ ; -- Begin function _ZN7rocprim17ROCPRIM_400000_NS6detail17trampoline_kernelINS0_14default_configENS1_27scan_by_key_config_selectorIxxEEZZNS1_16scan_by_key_implILNS1_25lookback_scan_determinismE0ELb1ES3_N6thrust23THRUST_200600_302600_NS6detail15normal_iteratorINS9_10device_ptrIxEEEESE_SE_xNS9_4plusIvEENS9_8equal_toIvEExEE10hipError_tPvRmT2_T3_T4_T5_mT6_T7_P12ihipStream_tbENKUlT_T0_E_clISt17integral_constantIbLb1EESZ_EEDaSU_SV_EUlSU_E_NS1_11comp_targetILNS1_3genE5ELNS1_11target_archE942ELNS1_3gpuE9ELNS1_3repE0EEENS1_30default_config_static_selectorELNS0_4arch9wavefront6targetE1EEEvT1_
	.globl	_ZN7rocprim17ROCPRIM_400000_NS6detail17trampoline_kernelINS0_14default_configENS1_27scan_by_key_config_selectorIxxEEZZNS1_16scan_by_key_implILNS1_25lookback_scan_determinismE0ELb1ES3_N6thrust23THRUST_200600_302600_NS6detail15normal_iteratorINS9_10device_ptrIxEEEESE_SE_xNS9_4plusIvEENS9_8equal_toIvEExEE10hipError_tPvRmT2_T3_T4_T5_mT6_T7_P12ihipStream_tbENKUlT_T0_E_clISt17integral_constantIbLb1EESZ_EEDaSU_SV_EUlSU_E_NS1_11comp_targetILNS1_3genE5ELNS1_11target_archE942ELNS1_3gpuE9ELNS1_3repE0EEENS1_30default_config_static_selectorELNS0_4arch9wavefront6targetE1EEEvT1_
	.p2align	8
	.type	_ZN7rocprim17ROCPRIM_400000_NS6detail17trampoline_kernelINS0_14default_configENS1_27scan_by_key_config_selectorIxxEEZZNS1_16scan_by_key_implILNS1_25lookback_scan_determinismE0ELb1ES3_N6thrust23THRUST_200600_302600_NS6detail15normal_iteratorINS9_10device_ptrIxEEEESE_SE_xNS9_4plusIvEENS9_8equal_toIvEExEE10hipError_tPvRmT2_T3_T4_T5_mT6_T7_P12ihipStream_tbENKUlT_T0_E_clISt17integral_constantIbLb1EESZ_EEDaSU_SV_EUlSU_E_NS1_11comp_targetILNS1_3genE5ELNS1_11target_archE942ELNS1_3gpuE9ELNS1_3repE0EEENS1_30default_config_static_selectorELNS0_4arch9wavefront6targetE1EEEvT1_,@function
_ZN7rocprim17ROCPRIM_400000_NS6detail17trampoline_kernelINS0_14default_configENS1_27scan_by_key_config_selectorIxxEEZZNS1_16scan_by_key_implILNS1_25lookback_scan_determinismE0ELb1ES3_N6thrust23THRUST_200600_302600_NS6detail15normal_iteratorINS9_10device_ptrIxEEEESE_SE_xNS9_4plusIvEENS9_8equal_toIvEExEE10hipError_tPvRmT2_T3_T4_T5_mT6_T7_P12ihipStream_tbENKUlT_T0_E_clISt17integral_constantIbLb1EESZ_EEDaSU_SV_EUlSU_E_NS1_11comp_targetILNS1_3genE5ELNS1_11target_archE942ELNS1_3gpuE9ELNS1_3repE0EEENS1_30default_config_static_selectorELNS0_4arch9wavefront6targetE1EEEvT1_: ; @_ZN7rocprim17ROCPRIM_400000_NS6detail17trampoline_kernelINS0_14default_configENS1_27scan_by_key_config_selectorIxxEEZZNS1_16scan_by_key_implILNS1_25lookback_scan_determinismE0ELb1ES3_N6thrust23THRUST_200600_302600_NS6detail15normal_iteratorINS9_10device_ptrIxEEEESE_SE_xNS9_4plusIvEENS9_8equal_toIvEExEE10hipError_tPvRmT2_T3_T4_T5_mT6_T7_P12ihipStream_tbENKUlT_T0_E_clISt17integral_constantIbLb1EESZ_EEDaSU_SV_EUlSU_E_NS1_11comp_targetILNS1_3genE5ELNS1_11target_archE942ELNS1_3gpuE9ELNS1_3repE0EEENS1_30default_config_static_selectorELNS0_4arch9wavefront6targetE1EEEvT1_
; %bb.0:
	.section	.rodata,"a",@progbits
	.p2align	6, 0x0
	.amdhsa_kernel _ZN7rocprim17ROCPRIM_400000_NS6detail17trampoline_kernelINS0_14default_configENS1_27scan_by_key_config_selectorIxxEEZZNS1_16scan_by_key_implILNS1_25lookback_scan_determinismE0ELb1ES3_N6thrust23THRUST_200600_302600_NS6detail15normal_iteratorINS9_10device_ptrIxEEEESE_SE_xNS9_4plusIvEENS9_8equal_toIvEExEE10hipError_tPvRmT2_T3_T4_T5_mT6_T7_P12ihipStream_tbENKUlT_T0_E_clISt17integral_constantIbLb1EESZ_EEDaSU_SV_EUlSU_E_NS1_11comp_targetILNS1_3genE5ELNS1_11target_archE942ELNS1_3gpuE9ELNS1_3repE0EEENS1_30default_config_static_selectorELNS0_4arch9wavefront6targetE1EEEvT1_
		.amdhsa_group_segment_fixed_size 0
		.amdhsa_private_segment_fixed_size 0
		.amdhsa_kernarg_size 136
		.amdhsa_user_sgpr_count 6
		.amdhsa_user_sgpr_private_segment_buffer 1
		.amdhsa_user_sgpr_dispatch_ptr 0
		.amdhsa_user_sgpr_queue_ptr 0
		.amdhsa_user_sgpr_kernarg_segment_ptr 1
		.amdhsa_user_sgpr_dispatch_id 0
		.amdhsa_user_sgpr_flat_scratch_init 0
		.amdhsa_user_sgpr_kernarg_preload_length 0
		.amdhsa_user_sgpr_kernarg_preload_offset 0
		.amdhsa_user_sgpr_private_segment_size 0
		.amdhsa_uses_dynamic_stack 0
		.amdhsa_system_sgpr_private_segment_wavefront_offset 0
		.amdhsa_system_sgpr_workgroup_id_x 1
		.amdhsa_system_sgpr_workgroup_id_y 0
		.amdhsa_system_sgpr_workgroup_id_z 0
		.amdhsa_system_sgpr_workgroup_info 0
		.amdhsa_system_vgpr_workitem_id 0
		.amdhsa_next_free_vgpr 1
		.amdhsa_next_free_sgpr 0
		.amdhsa_accum_offset 4
		.amdhsa_reserve_vcc 0
		.amdhsa_reserve_flat_scratch 0
		.amdhsa_float_round_mode_32 0
		.amdhsa_float_round_mode_16_64 0
		.amdhsa_float_denorm_mode_32 3
		.amdhsa_float_denorm_mode_16_64 3
		.amdhsa_dx10_clamp 1
		.amdhsa_ieee_mode 1
		.amdhsa_fp16_overflow 0
		.amdhsa_tg_split 0
		.amdhsa_exception_fp_ieee_invalid_op 0
		.amdhsa_exception_fp_denorm_src 0
		.amdhsa_exception_fp_ieee_div_zero 0
		.amdhsa_exception_fp_ieee_overflow 0
		.amdhsa_exception_fp_ieee_underflow 0
		.amdhsa_exception_fp_ieee_inexact 0
		.amdhsa_exception_int_div_zero 0
	.end_amdhsa_kernel
	.section	.text._ZN7rocprim17ROCPRIM_400000_NS6detail17trampoline_kernelINS0_14default_configENS1_27scan_by_key_config_selectorIxxEEZZNS1_16scan_by_key_implILNS1_25lookback_scan_determinismE0ELb1ES3_N6thrust23THRUST_200600_302600_NS6detail15normal_iteratorINS9_10device_ptrIxEEEESE_SE_xNS9_4plusIvEENS9_8equal_toIvEExEE10hipError_tPvRmT2_T3_T4_T5_mT6_T7_P12ihipStream_tbENKUlT_T0_E_clISt17integral_constantIbLb1EESZ_EEDaSU_SV_EUlSU_E_NS1_11comp_targetILNS1_3genE5ELNS1_11target_archE942ELNS1_3gpuE9ELNS1_3repE0EEENS1_30default_config_static_selectorELNS0_4arch9wavefront6targetE1EEEvT1_,"axG",@progbits,_ZN7rocprim17ROCPRIM_400000_NS6detail17trampoline_kernelINS0_14default_configENS1_27scan_by_key_config_selectorIxxEEZZNS1_16scan_by_key_implILNS1_25lookback_scan_determinismE0ELb1ES3_N6thrust23THRUST_200600_302600_NS6detail15normal_iteratorINS9_10device_ptrIxEEEESE_SE_xNS9_4plusIvEENS9_8equal_toIvEExEE10hipError_tPvRmT2_T3_T4_T5_mT6_T7_P12ihipStream_tbENKUlT_T0_E_clISt17integral_constantIbLb1EESZ_EEDaSU_SV_EUlSU_E_NS1_11comp_targetILNS1_3genE5ELNS1_11target_archE942ELNS1_3gpuE9ELNS1_3repE0EEENS1_30default_config_static_selectorELNS0_4arch9wavefront6targetE1EEEvT1_,comdat
.Lfunc_end364:
	.size	_ZN7rocprim17ROCPRIM_400000_NS6detail17trampoline_kernelINS0_14default_configENS1_27scan_by_key_config_selectorIxxEEZZNS1_16scan_by_key_implILNS1_25lookback_scan_determinismE0ELb1ES3_N6thrust23THRUST_200600_302600_NS6detail15normal_iteratorINS9_10device_ptrIxEEEESE_SE_xNS9_4plusIvEENS9_8equal_toIvEExEE10hipError_tPvRmT2_T3_T4_T5_mT6_T7_P12ihipStream_tbENKUlT_T0_E_clISt17integral_constantIbLb1EESZ_EEDaSU_SV_EUlSU_E_NS1_11comp_targetILNS1_3genE5ELNS1_11target_archE942ELNS1_3gpuE9ELNS1_3repE0EEENS1_30default_config_static_selectorELNS0_4arch9wavefront6targetE1EEEvT1_, .Lfunc_end364-_ZN7rocprim17ROCPRIM_400000_NS6detail17trampoline_kernelINS0_14default_configENS1_27scan_by_key_config_selectorIxxEEZZNS1_16scan_by_key_implILNS1_25lookback_scan_determinismE0ELb1ES3_N6thrust23THRUST_200600_302600_NS6detail15normal_iteratorINS9_10device_ptrIxEEEESE_SE_xNS9_4plusIvEENS9_8equal_toIvEExEE10hipError_tPvRmT2_T3_T4_T5_mT6_T7_P12ihipStream_tbENKUlT_T0_E_clISt17integral_constantIbLb1EESZ_EEDaSU_SV_EUlSU_E_NS1_11comp_targetILNS1_3genE5ELNS1_11target_archE942ELNS1_3gpuE9ELNS1_3repE0EEENS1_30default_config_static_selectorELNS0_4arch9wavefront6targetE1EEEvT1_
                                        ; -- End function
	.section	.AMDGPU.csdata,"",@progbits
; Kernel info:
; codeLenInByte = 0
; NumSgprs: 4
; NumVgprs: 0
; NumAgprs: 0
; TotalNumVgprs: 0
; ScratchSize: 0
; MemoryBound: 0
; FloatMode: 240
; IeeeMode: 1
; LDSByteSize: 0 bytes/workgroup (compile time only)
; SGPRBlocks: 0
; VGPRBlocks: 0
; NumSGPRsForWavesPerEU: 4
; NumVGPRsForWavesPerEU: 1
; AccumOffset: 4
; Occupancy: 8
; WaveLimiterHint : 0
; COMPUTE_PGM_RSRC2:SCRATCH_EN: 0
; COMPUTE_PGM_RSRC2:USER_SGPR: 6
; COMPUTE_PGM_RSRC2:TRAP_HANDLER: 0
; COMPUTE_PGM_RSRC2:TGID_X_EN: 1
; COMPUTE_PGM_RSRC2:TGID_Y_EN: 0
; COMPUTE_PGM_RSRC2:TGID_Z_EN: 0
; COMPUTE_PGM_RSRC2:TIDIG_COMP_CNT: 0
; COMPUTE_PGM_RSRC3_GFX90A:ACCUM_OFFSET: 0
; COMPUTE_PGM_RSRC3_GFX90A:TG_SPLIT: 0
	.section	.text._ZN7rocprim17ROCPRIM_400000_NS6detail17trampoline_kernelINS0_14default_configENS1_27scan_by_key_config_selectorIxxEEZZNS1_16scan_by_key_implILNS1_25lookback_scan_determinismE0ELb1ES3_N6thrust23THRUST_200600_302600_NS6detail15normal_iteratorINS9_10device_ptrIxEEEESE_SE_xNS9_4plusIvEENS9_8equal_toIvEExEE10hipError_tPvRmT2_T3_T4_T5_mT6_T7_P12ihipStream_tbENKUlT_T0_E_clISt17integral_constantIbLb1EESZ_EEDaSU_SV_EUlSU_E_NS1_11comp_targetILNS1_3genE4ELNS1_11target_archE910ELNS1_3gpuE8ELNS1_3repE0EEENS1_30default_config_static_selectorELNS0_4arch9wavefront6targetE1EEEvT1_,"axG",@progbits,_ZN7rocprim17ROCPRIM_400000_NS6detail17trampoline_kernelINS0_14default_configENS1_27scan_by_key_config_selectorIxxEEZZNS1_16scan_by_key_implILNS1_25lookback_scan_determinismE0ELb1ES3_N6thrust23THRUST_200600_302600_NS6detail15normal_iteratorINS9_10device_ptrIxEEEESE_SE_xNS9_4plusIvEENS9_8equal_toIvEExEE10hipError_tPvRmT2_T3_T4_T5_mT6_T7_P12ihipStream_tbENKUlT_T0_E_clISt17integral_constantIbLb1EESZ_EEDaSU_SV_EUlSU_E_NS1_11comp_targetILNS1_3genE4ELNS1_11target_archE910ELNS1_3gpuE8ELNS1_3repE0EEENS1_30default_config_static_selectorELNS0_4arch9wavefront6targetE1EEEvT1_,comdat
	.protected	_ZN7rocprim17ROCPRIM_400000_NS6detail17trampoline_kernelINS0_14default_configENS1_27scan_by_key_config_selectorIxxEEZZNS1_16scan_by_key_implILNS1_25lookback_scan_determinismE0ELb1ES3_N6thrust23THRUST_200600_302600_NS6detail15normal_iteratorINS9_10device_ptrIxEEEESE_SE_xNS9_4plusIvEENS9_8equal_toIvEExEE10hipError_tPvRmT2_T3_T4_T5_mT6_T7_P12ihipStream_tbENKUlT_T0_E_clISt17integral_constantIbLb1EESZ_EEDaSU_SV_EUlSU_E_NS1_11comp_targetILNS1_3genE4ELNS1_11target_archE910ELNS1_3gpuE8ELNS1_3repE0EEENS1_30default_config_static_selectorELNS0_4arch9wavefront6targetE1EEEvT1_ ; -- Begin function _ZN7rocprim17ROCPRIM_400000_NS6detail17trampoline_kernelINS0_14default_configENS1_27scan_by_key_config_selectorIxxEEZZNS1_16scan_by_key_implILNS1_25lookback_scan_determinismE0ELb1ES3_N6thrust23THRUST_200600_302600_NS6detail15normal_iteratorINS9_10device_ptrIxEEEESE_SE_xNS9_4plusIvEENS9_8equal_toIvEExEE10hipError_tPvRmT2_T3_T4_T5_mT6_T7_P12ihipStream_tbENKUlT_T0_E_clISt17integral_constantIbLb1EESZ_EEDaSU_SV_EUlSU_E_NS1_11comp_targetILNS1_3genE4ELNS1_11target_archE910ELNS1_3gpuE8ELNS1_3repE0EEENS1_30default_config_static_selectorELNS0_4arch9wavefront6targetE1EEEvT1_
	.globl	_ZN7rocprim17ROCPRIM_400000_NS6detail17trampoline_kernelINS0_14default_configENS1_27scan_by_key_config_selectorIxxEEZZNS1_16scan_by_key_implILNS1_25lookback_scan_determinismE0ELb1ES3_N6thrust23THRUST_200600_302600_NS6detail15normal_iteratorINS9_10device_ptrIxEEEESE_SE_xNS9_4plusIvEENS9_8equal_toIvEExEE10hipError_tPvRmT2_T3_T4_T5_mT6_T7_P12ihipStream_tbENKUlT_T0_E_clISt17integral_constantIbLb1EESZ_EEDaSU_SV_EUlSU_E_NS1_11comp_targetILNS1_3genE4ELNS1_11target_archE910ELNS1_3gpuE8ELNS1_3repE0EEENS1_30default_config_static_selectorELNS0_4arch9wavefront6targetE1EEEvT1_
	.p2align	8
	.type	_ZN7rocprim17ROCPRIM_400000_NS6detail17trampoline_kernelINS0_14default_configENS1_27scan_by_key_config_selectorIxxEEZZNS1_16scan_by_key_implILNS1_25lookback_scan_determinismE0ELb1ES3_N6thrust23THRUST_200600_302600_NS6detail15normal_iteratorINS9_10device_ptrIxEEEESE_SE_xNS9_4plusIvEENS9_8equal_toIvEExEE10hipError_tPvRmT2_T3_T4_T5_mT6_T7_P12ihipStream_tbENKUlT_T0_E_clISt17integral_constantIbLb1EESZ_EEDaSU_SV_EUlSU_E_NS1_11comp_targetILNS1_3genE4ELNS1_11target_archE910ELNS1_3gpuE8ELNS1_3repE0EEENS1_30default_config_static_selectorELNS0_4arch9wavefront6targetE1EEEvT1_,@function
_ZN7rocprim17ROCPRIM_400000_NS6detail17trampoline_kernelINS0_14default_configENS1_27scan_by_key_config_selectorIxxEEZZNS1_16scan_by_key_implILNS1_25lookback_scan_determinismE0ELb1ES3_N6thrust23THRUST_200600_302600_NS6detail15normal_iteratorINS9_10device_ptrIxEEEESE_SE_xNS9_4plusIvEENS9_8equal_toIvEExEE10hipError_tPvRmT2_T3_T4_T5_mT6_T7_P12ihipStream_tbENKUlT_T0_E_clISt17integral_constantIbLb1EESZ_EEDaSU_SV_EUlSU_E_NS1_11comp_targetILNS1_3genE4ELNS1_11target_archE910ELNS1_3gpuE8ELNS1_3repE0EEENS1_30default_config_static_selectorELNS0_4arch9wavefront6targetE1EEEvT1_: ; @_ZN7rocprim17ROCPRIM_400000_NS6detail17trampoline_kernelINS0_14default_configENS1_27scan_by_key_config_selectorIxxEEZZNS1_16scan_by_key_implILNS1_25lookback_scan_determinismE0ELb1ES3_N6thrust23THRUST_200600_302600_NS6detail15normal_iteratorINS9_10device_ptrIxEEEESE_SE_xNS9_4plusIvEENS9_8equal_toIvEExEE10hipError_tPvRmT2_T3_T4_T5_mT6_T7_P12ihipStream_tbENKUlT_T0_E_clISt17integral_constantIbLb1EESZ_EEDaSU_SV_EUlSU_E_NS1_11comp_targetILNS1_3genE4ELNS1_11target_archE910ELNS1_3gpuE8ELNS1_3repE0EEENS1_30default_config_static_selectorELNS0_4arch9wavefront6targetE1EEEvT1_
; %bb.0:
	s_load_dwordx8 s[52:59], s[4:5], 0x0
	s_load_dwordx2 s[64:65], s[4:5], 0x20
	s_load_dwordx8 s[44:51], s[4:5], 0x30
	s_load_dwordx2 s[66:67], s[4:5], 0x50
	v_cmp_eq_u32_e64 s[0:1], 0, v0
	s_and_saveexec_b64 s[2:3], s[0:1]
	s_cbranch_execz .LBB365_4
; %bb.1:
	s_mov_b64 s[8:9], exec
	v_mbcnt_lo_u32_b32 v1, s8, 0
	v_mbcnt_hi_u32_b32 v1, s9, v1
	v_cmp_eq_u32_e32 vcc, 0, v1
                                        ; implicit-def: $vgpr2
	s_and_saveexec_b64 s[6:7], vcc
	s_cbranch_execz .LBB365_3
; %bb.2:
	s_load_dwordx2 s[10:11], s[4:5], 0x80
	s_bcnt1_i32_b64 s8, s[8:9]
	v_mov_b32_e32 v2, 0
	v_mov_b32_e32 v3, s8
	s_waitcnt lgkmcnt(0)
	global_atomic_add v2, v2, v3, s[10:11] glc
.LBB365_3:
	s_or_b64 exec, exec, s[6:7]
	s_waitcnt vmcnt(0)
	v_readfirstlane_b32 s6, v2
	v_add_u32_e32 v1, s6, v1
	v_mov_b32_e32 v2, 0
	ds_write_b32 v2, v1
.LBB365_4:
	s_or_b64 exec, exec, s[2:3]
	s_load_dword s2, s[4:5], 0x58
	s_load_dwordx4 s[60:63], s[4:5], 0x60
	v_mov_b32_e32 v3, 0
	s_waitcnt lgkmcnt(0)
	s_lshl_b64 s[54:55], s[54:55], 3
	s_waitcnt lgkmcnt(0)
	; wave barrier
	ds_read_b32 v1, v3
	s_add_u32 s3, s52, s54
	s_addc_u32 s4, s53, s55
	s_add_u32 s5, s56, s54
	s_mul_i32 s7, s67, s2
	s_mul_hi_u32 s8, s66, s2
	s_addc_u32 s6, s57, s55
	s_add_i32 s7, s8, s7
	s_movk_i32 s8, 0x4c0
	s_waitcnt lgkmcnt(0)
	v_mul_lo_u32 v2, v1, s8
	v_lshlrev_b64 v[74:75], 3, v[2:3]
	v_mov_b32_e32 v2, s4
	v_add_co_u32_e32 v78, vcc, s3, v74
	v_addc_co_u32_e32 v79, vcc, v2, v75, vcc
	v_mov_b32_e32 v2, s6
	v_add_co_u32_e32 v84, vcc, s5, v74
	s_mul_i32 s2, s66, s2
	v_addc_co_u32_e32 v85, vcc, v2, v75, vcc
	v_mov_b32_e32 v3, s7
	v_add_co_u32_e32 v2, vcc, s2, v1
	s_add_u32 s6, s60, -1
	v_addc_co_u32_e32 v3, vcc, 0, v3, vcc
	s_addc_u32 s7, s61, -1
	v_cmp_le_u64_e64 s[2:3], s[6:7], v[2:3]
	v_readfirstlane_b32 s51, v1
	s_mov_b64 s[4:5], -1
	s_and_b64 vcc, exec, s[2:3]
	s_mul_i32 s33, s6, 0xfffffb40
	s_waitcnt lgkmcnt(0)
	; wave barrier
	s_waitcnt lgkmcnt(0)
	s_waitcnt lgkmcnt(0)
	; wave barrier
	s_cbranch_vccz .LBB365_63
; %bb.5:
	flat_load_dwordx2 v[2:3], v[78:79]
	s_add_i32 s60, s33, s50
	v_cmp_gt_u32_e32 vcc, s60, v0
	s_waitcnt vmcnt(0) lgkmcnt(0)
	v_pk_mov_b32 v[4:5], v[2:3], v[2:3] op_sel:[0,1]
	s_and_saveexec_b64 s[6:7], vcc
	s_cbranch_execz .LBB365_7
; %bb.6:
	v_lshlrev_b32_e32 v1, 3, v0
	v_add_co_u32_e64 v4, s[4:5], v78, v1
	v_addc_co_u32_e64 v5, s[4:5], 0, v79, s[4:5]
	flat_load_dwordx2 v[4:5], v[4:5]
.LBB365_7:
	s_or_b64 exec, exec, s[6:7]
	v_or_b32_e32 v1, 64, v0
	v_cmp_gt_u32_e64 s[4:5], s60, v1
	v_pk_mov_b32 v[6:7], v[2:3], v[2:3] op_sel:[0,1]
	s_and_saveexec_b64 s[8:9], s[4:5]
	s_cbranch_execz .LBB365_9
; %bb.8:
	v_lshlrev_b32_e32 v1, 3, v0
	v_add_co_u32_e64 v6, s[6:7], v78, v1
	v_addc_co_u32_e64 v7, s[6:7], 0, v79, s[6:7]
	flat_load_dwordx2 v[6:7], v[6:7] offset:512
.LBB365_9:
	s_or_b64 exec, exec, s[8:9]
	v_or_b32_e32 v1, 0x80, v0
	v_cmp_gt_u32_e64 s[6:7], s60, v1
	v_pk_mov_b32 v[8:9], v[2:3], v[2:3] op_sel:[0,1]
	s_and_saveexec_b64 s[10:11], s[6:7]
	s_cbranch_execz .LBB365_11
; %bb.10:
	v_lshlrev_b32_e32 v1, 3, v0
	v_add_co_u32_e64 v8, s[8:9], v78, v1
	v_addc_co_u32_e64 v9, s[8:9], 0, v79, s[8:9]
	flat_load_dwordx2 v[8:9], v[8:9] offset:1024
.LBB365_11:
	;; [unrolled: 12-line block ×7, first 2 shown]
	s_or_b64 exec, exec, s[20:21]
	v_or_b32_e32 v1, 0x200, v0
	v_cmp_gt_u32_e64 s[18:19], s60, v1
	v_pk_mov_b32 v[20:21], v[2:3], v[2:3] op_sel:[0,1]
	s_and_saveexec_b64 s[22:23], s[18:19]
	s_cbranch_execz .LBB365_23
; %bb.22:
	v_lshlrev_b32_e32 v20, 3, v1
	v_add_co_u32_e64 v20, s[20:21], v78, v20
	v_addc_co_u32_e64 v21, s[20:21], 0, v79, s[20:21]
	flat_load_dwordx2 v[20:21], v[20:21]
.LBB365_23:
	s_or_b64 exec, exec, s[22:23]
	v_or_b32_e32 v60, 0x240, v0
	v_cmp_gt_u32_e64 s[20:21], s60, v60
	v_pk_mov_b32 v[22:23], v[2:3], v[2:3] op_sel:[0,1]
	s_and_saveexec_b64 s[24:25], s[20:21]
	s_cbranch_execz .LBB365_25
; %bb.24:
	v_lshlrev_b32_e32 v22, 3, v60
	v_add_co_u32_e64 v22, s[22:23], v78, v22
	v_addc_co_u32_e64 v23, s[22:23], 0, v79, s[22:23]
	flat_load_dwordx2 v[22:23], v[22:23]
.LBB365_25:
	s_or_b64 exec, exec, s[24:25]
	v_or_b32_e32 v62, 0x280, v0
	v_cmp_gt_u32_e64 s[22:23], s60, v62
	v_pk_mov_b32 v[24:25], v[2:3], v[2:3] op_sel:[0,1]
	s_and_saveexec_b64 s[26:27], s[22:23]
	s_cbranch_execz .LBB365_27
; %bb.26:
	v_lshlrev_b32_e32 v24, 3, v62
	v_add_co_u32_e64 v24, s[24:25], v78, v24
	v_addc_co_u32_e64 v25, s[24:25], 0, v79, s[24:25]
	flat_load_dwordx2 v[24:25], v[24:25]
.LBB365_27:
	s_or_b64 exec, exec, s[26:27]
	v_or_b32_e32 v64, 0x2c0, v0
	v_cmp_gt_u32_e64 s[24:25], s60, v64
	v_pk_mov_b32 v[26:27], v[2:3], v[2:3] op_sel:[0,1]
	s_and_saveexec_b64 s[28:29], s[24:25]
	s_cbranch_execz .LBB365_29
; %bb.28:
	v_lshlrev_b32_e32 v26, 3, v64
	v_add_co_u32_e64 v26, s[26:27], v78, v26
	v_addc_co_u32_e64 v27, s[26:27], 0, v79, s[26:27]
	flat_load_dwordx2 v[26:27], v[26:27]
.LBB365_29:
	s_or_b64 exec, exec, s[28:29]
	v_or_b32_e32 v66, 0x300, v0
	v_cmp_gt_u32_e64 s[26:27], s60, v66
	v_pk_mov_b32 v[28:29], v[2:3], v[2:3] op_sel:[0,1]
	s_and_saveexec_b64 s[30:31], s[26:27]
	s_cbranch_execz .LBB365_31
; %bb.30:
	v_lshlrev_b32_e32 v28, 3, v66
	v_add_co_u32_e64 v28, s[28:29], v78, v28
	v_addc_co_u32_e64 v29, s[28:29], 0, v79, s[28:29]
	flat_load_dwordx2 v[28:29], v[28:29]
.LBB365_31:
	s_or_b64 exec, exec, s[30:31]
	v_or_b32_e32 v68, 0x340, v0
	v_cmp_gt_u32_e64 s[28:29], s60, v68
	v_pk_mov_b32 v[30:31], v[2:3], v[2:3] op_sel:[0,1]
	s_and_saveexec_b64 s[34:35], s[28:29]
	s_cbranch_execz .LBB365_33
; %bb.32:
	v_lshlrev_b32_e32 v30, 3, v68
	v_add_co_u32_e64 v30, s[30:31], v78, v30
	v_addc_co_u32_e64 v31, s[30:31], 0, v79, s[30:31]
	flat_load_dwordx2 v[30:31], v[30:31]
.LBB365_33:
	s_or_b64 exec, exec, s[34:35]
	v_or_b32_e32 v70, 0x380, v0
	v_cmp_gt_u32_e64 s[30:31], s60, v70
	v_pk_mov_b32 v[32:33], v[2:3], v[2:3] op_sel:[0,1]
	s_and_saveexec_b64 s[36:37], s[30:31]
	s_cbranch_execz .LBB365_35
; %bb.34:
	v_lshlrev_b32_e32 v32, 3, v70
	v_add_co_u32_e64 v32, s[34:35], v78, v32
	v_addc_co_u32_e64 v33, s[34:35], 0, v79, s[34:35]
	flat_load_dwordx2 v[32:33], v[32:33]
.LBB365_35:
	s_or_b64 exec, exec, s[36:37]
	v_or_b32_e32 v72, 0x3c0, v0
	v_cmp_gt_u32_e64 s[34:35], s60, v72
	v_pk_mov_b32 v[34:35], v[2:3], v[2:3] op_sel:[0,1]
	s_and_saveexec_b64 s[38:39], s[34:35]
	s_cbranch_execz .LBB365_37
; %bb.36:
	v_lshlrev_b32_e32 v34, 3, v72
	v_add_co_u32_e64 v34, s[36:37], v78, v34
	v_addc_co_u32_e64 v35, s[36:37], 0, v79, s[36:37]
	flat_load_dwordx2 v[34:35], v[34:35]
.LBB365_37:
	s_or_b64 exec, exec, s[38:39]
	v_or_b32_e32 v76, 0x400, v0
	v_cmp_gt_u32_e64 s[36:37], s60, v76
	v_pk_mov_b32 v[36:37], v[2:3], v[2:3] op_sel:[0,1]
	s_and_saveexec_b64 s[40:41], s[36:37]
	s_cbranch_execz .LBB365_39
; %bb.38:
	v_lshlrev_b32_e32 v36, 3, v76
	v_add_co_u32_e64 v36, s[38:39], v78, v36
	v_addc_co_u32_e64 v37, s[38:39], 0, v79, s[38:39]
	flat_load_dwordx2 v[36:37], v[36:37]
.LBB365_39:
	s_or_b64 exec, exec, s[40:41]
	v_or_b32_e32 v80, 0x440, v0
	v_cmp_gt_u32_e64 s[38:39], s60, v80
	v_pk_mov_b32 v[38:39], v[2:3], v[2:3] op_sel:[0,1]
	s_and_saveexec_b64 s[42:43], s[38:39]
	s_cbranch_execz .LBB365_41
; %bb.40:
	v_lshlrev_b32_e32 v38, 3, v80
	v_add_co_u32_e64 v38, s[40:41], v78, v38
	v_addc_co_u32_e64 v39, s[40:41], 0, v79, s[40:41]
	flat_load_dwordx2 v[38:39], v[38:39]
.LBB365_41:
	s_or_b64 exec, exec, s[42:43]
	v_or_b32_e32 v88, 0x480, v0
	v_cmp_gt_u32_e64 s[40:41], s60, v88
	s_and_saveexec_b64 s[52:53], s[40:41]
	s_cbranch_execz .LBB365_43
; %bb.42:
	v_lshlrev_b32_e32 v2, 3, v88
	v_add_co_u32_e64 v2, s[42:43], v78, v2
	v_addc_co_u32_e64 v3, s[42:43], 0, v79, s[42:43]
	flat_load_dwordx2 v[2:3], v[2:3]
.LBB365_43:
	s_or_b64 exec, exec, s[52:53]
	v_lshlrev_b32_e32 v89, 3, v0
	s_waitcnt vmcnt(0) lgkmcnt(0)
	ds_write2st64_b64 v89, v[4:5], v[6:7] offset1:1
	ds_write2st64_b64 v89, v[8:9], v[10:11] offset0:2 offset1:3
	ds_write2st64_b64 v89, v[12:13], v[14:15] offset0:4 offset1:5
	ds_write2st64_b64 v89, v[16:17], v[18:19] offset0:6 offset1:7
	ds_write2st64_b64 v89, v[20:21], v[22:23] offset0:8 offset1:9
	ds_write2st64_b64 v89, v[24:25], v[26:27] offset0:10 offset1:11
	ds_write2st64_b64 v89, v[28:29], v[30:31] offset0:12 offset1:13
	ds_write2st64_b64 v89, v[32:33], v[34:35] offset0:14 offset1:15
	ds_write2st64_b64 v89, v[36:37], v[38:39] offset0:16 offset1:17
	ds_write_b64 v89, v[2:3] offset:9216
	s_waitcnt lgkmcnt(0)
	; wave barrier
	s_waitcnt lgkmcnt(0)
	flat_load_dwordx2 v[82:83], v[78:79]
	s_movk_i32 s42, 0x90
	v_mad_u32_u24 v86, v0, s42, v89
	s_movk_i32 s42, 0xff70
	v_mad_i32_i24 v38, v0, s42, v86
	v_cmp_ne_u32_e64 s[42:43], 63, v0
	ds_read_b64 v[40:41], v86
	ds_read2_b64 v[34:37], v86 offset0:1 offset1:2
	ds_read2_b64 v[30:33], v86 offset0:3 offset1:4
	;; [unrolled: 1-line block ×9, first 2 shown]
	s_waitcnt lgkmcnt(0)
	ds_write_b64 v38, v[40:41] offset:10240
	s_waitcnt lgkmcnt(0)
	; wave barrier
	s_waitcnt lgkmcnt(0)
	s_and_saveexec_b64 s[52:53], s[42:43]
	s_cbranch_execz .LBB365_45
; %bb.44:
	s_waitcnt vmcnt(0)
	ds_read_b64 v[82:83], v89 offset:10248
.LBB365_45:
	s_or_b64 exec, exec, s[52:53]
	s_waitcnt lgkmcnt(0)
	; wave barrier
	s_waitcnt lgkmcnt(0)
                                        ; implicit-def: $vgpr38_vgpr39
	s_and_saveexec_b64 s[42:43], vcc
	s_cbranch_execz .LBB365_64
; %bb.46:
	v_add_co_u32_e32 v38, vcc, v84, v89
	v_addc_co_u32_e32 v39, vcc, 0, v85, vcc
	flat_load_dwordx2 v[38:39], v[38:39]
	s_or_b64 exec, exec, s[42:43]
                                        ; implicit-def: $vgpr42_vgpr43
	s_and_saveexec_b64 s[42:43], s[4:5]
	s_cbranch_execnz .LBB365_65
.LBB365_47:
	s_or_b64 exec, exec, s[42:43]
                                        ; implicit-def: $vgpr44_vgpr45
	s_and_saveexec_b64 s[4:5], s[6:7]
	s_cbranch_execz .LBB365_66
.LBB365_48:
	v_add_co_u32_e32 v44, vcc, v84, v89
	v_addc_co_u32_e32 v45, vcc, 0, v85, vcc
	flat_load_dwordx2 v[44:45], v[44:45] offset:1024
	s_or_b64 exec, exec, s[4:5]
                                        ; implicit-def: $vgpr46_vgpr47
	s_and_saveexec_b64 s[4:5], s[8:9]
	s_cbranch_execnz .LBB365_67
.LBB365_49:
	s_or_b64 exec, exec, s[4:5]
                                        ; implicit-def: $vgpr48_vgpr49
	s_and_saveexec_b64 s[4:5], s[10:11]
	s_cbranch_execz .LBB365_68
.LBB365_50:
	v_add_co_u32_e32 v48, vcc, v84, v89
	v_addc_co_u32_e32 v49, vcc, 0, v85, vcc
	flat_load_dwordx2 v[48:49], v[48:49] offset:2048
	s_or_b64 exec, exec, s[4:5]
                                        ; implicit-def: $vgpr50_vgpr51
	s_and_saveexec_b64 s[4:5], s[12:13]
	s_cbranch_execnz .LBB365_69
.LBB365_51:
	s_or_b64 exec, exec, s[4:5]
                                        ; implicit-def: $vgpr52_vgpr53
	s_and_saveexec_b64 s[4:5], s[14:15]
	s_cbranch_execz .LBB365_70
.LBB365_52:
	v_add_co_u32_e32 v52, vcc, v84, v89
	v_addc_co_u32_e32 v53, vcc, 0, v85, vcc
	flat_load_dwordx2 v[52:53], v[52:53] offset:3072
	s_or_b64 exec, exec, s[4:5]
                                        ; implicit-def: $vgpr54_vgpr55
	s_and_saveexec_b64 s[4:5], s[16:17]
	s_cbranch_execnz .LBB365_71
.LBB365_53:
	s_or_b64 exec, exec, s[4:5]
                                        ; implicit-def: $vgpr56_vgpr57
	s_and_saveexec_b64 s[4:5], s[18:19]
	s_cbranch_execz .LBB365_72
.LBB365_54:
	v_lshlrev_b32_e32 v1, 3, v1
	v_add_co_u32_e32 v56, vcc, v84, v1
	v_addc_co_u32_e32 v57, vcc, 0, v85, vcc
	flat_load_dwordx2 v[56:57], v[56:57]
	s_or_b64 exec, exec, s[4:5]
                                        ; implicit-def: $vgpr58_vgpr59
	s_and_saveexec_b64 s[4:5], s[20:21]
	s_cbranch_execnz .LBB365_73
.LBB365_55:
	s_or_b64 exec, exec, s[4:5]
                                        ; implicit-def: $vgpr60_vgpr61
	s_and_saveexec_b64 s[4:5], s[22:23]
	s_cbranch_execz .LBB365_74
.LBB365_56:
	v_lshlrev_b32_e32 v1, 3, v62
	v_add_co_u32_e32 v60, vcc, v84, v1
	v_addc_co_u32_e32 v61, vcc, 0, v85, vcc
	flat_load_dwordx2 v[60:61], v[60:61]
	s_or_b64 exec, exec, s[4:5]
                                        ; implicit-def: $vgpr62_vgpr63
	s_and_saveexec_b64 s[4:5], s[24:25]
	s_cbranch_execnz .LBB365_75
.LBB365_57:
	s_or_b64 exec, exec, s[4:5]
                                        ; implicit-def: $vgpr64_vgpr65
	s_and_saveexec_b64 s[4:5], s[26:27]
	s_cbranch_execz .LBB365_76
.LBB365_58:
	v_lshlrev_b32_e32 v1, 3, v66
	v_add_co_u32_e32 v64, vcc, v84, v1
	v_addc_co_u32_e32 v65, vcc, 0, v85, vcc
	flat_load_dwordx2 v[64:65], v[64:65]
	s_or_b64 exec, exec, s[4:5]
                                        ; implicit-def: $vgpr66_vgpr67
	s_and_saveexec_b64 s[4:5], s[28:29]
	s_cbranch_execnz .LBB365_77
.LBB365_59:
	s_or_b64 exec, exec, s[4:5]
                                        ; implicit-def: $vgpr68_vgpr69
	s_and_saveexec_b64 s[4:5], s[30:31]
	s_cbranch_execz .LBB365_78
.LBB365_60:
	v_lshlrev_b32_e32 v1, 3, v70
	v_add_co_u32_e32 v68, vcc, v84, v1
	v_addc_co_u32_e32 v69, vcc, 0, v85, vcc
	flat_load_dwordx2 v[68:69], v[68:69]
	s_or_b64 exec, exec, s[4:5]
                                        ; implicit-def: $vgpr70_vgpr71
	s_and_saveexec_b64 s[4:5], s[34:35]
	s_cbranch_execnz .LBB365_79
.LBB365_61:
	s_or_b64 exec, exec, s[4:5]
                                        ; implicit-def: $vgpr72_vgpr73
	s_and_saveexec_b64 s[4:5], s[36:37]
	s_cbranch_execz .LBB365_80
.LBB365_62:
	v_lshlrev_b32_e32 v1, 3, v76
	v_add_co_u32_e32 v72, vcc, v84, v1
	v_addc_co_u32_e32 v73, vcc, 0, v85, vcc
	flat_load_dwordx2 v[72:73], v[72:73]
	s_or_b64 exec, exec, s[4:5]
                                        ; implicit-def: $vgpr76_vgpr77
	s_and_saveexec_b64 s[4:5], s[38:39]
	s_cbranch_execz .LBB365_82
	s_branch .LBB365_81
.LBB365_63:
	s_mov_b64 s[10:11], 0
                                        ; implicit-def: $sgpr8_sgpr9
                                        ; implicit-def: $vgpr80_vgpr81
                                        ; implicit-def: $vgpr76_vgpr77
                                        ; implicit-def: $vgpr101
                                        ; implicit-def: $vgpr42_vgpr43
                                        ; implicit-def: $vgpr114
                                        ; implicit-def: $vgpr72_vgpr73
                                        ; implicit-def: $vgpr113
                                        ; implicit-def: $vgpr70_vgpr71
                                        ; implicit-def: $vgpr112
                                        ; implicit-def: $vgpr68_vgpr69
                                        ; implicit-def: $vgpr111
                                        ; implicit-def: $vgpr66_vgpr67
                                        ; implicit-def: $vgpr110
                                        ; implicit-def: $vgpr64_vgpr65
                                        ; implicit-def: $vgpr109
                                        ; implicit-def: $vgpr62_vgpr63
                                        ; implicit-def: $vgpr108
                                        ; implicit-def: $vgpr60_vgpr61
                                        ; implicit-def: $vgpr107
                                        ; implicit-def: $vgpr58_vgpr59
                                        ; implicit-def: $vgpr106
                                        ; implicit-def: $vgpr44_vgpr45
                                        ; implicit-def: $vgpr105
                                        ; implicit-def: $vgpr56_vgpr57
                                        ; implicit-def: $vgpr104
                                        ; implicit-def: $vgpr52_vgpr53
                                        ; implicit-def: $vgpr103
                                        ; implicit-def: $vgpr50_vgpr51
                                        ; implicit-def: $vgpr102
                                        ; implicit-def: $vgpr54_vgpr55
                                        ; implicit-def: $vgpr100
                                        ; implicit-def: $vgpr48_vgpr49
                                        ; implicit-def: $vgpr99
                                        ; implicit-def: $vgpr46_vgpr47
                                        ; implicit-def: $vgpr98
                                        ; implicit-def: $vgpr38_vgpr39
                                        ; implicit-def: $vgpr1
                                        ; implicit-def: $sgpr68
                                        ; implicit-def: $sgpr6_sgpr7
	s_and_b64 vcc, exec, s[4:5]
	v_lshlrev_b32_e32 v115, 3, v0
	s_cbranch_vccz .LBB365_128
	s_branch .LBB365_123
.LBB365_64:
	s_or_b64 exec, exec, s[42:43]
                                        ; implicit-def: $vgpr42_vgpr43
	s_and_saveexec_b64 s[42:43], s[4:5]
	s_cbranch_execz .LBB365_47
.LBB365_65:
	v_add_co_u32_e32 v42, vcc, v84, v89
	v_addc_co_u32_e32 v43, vcc, 0, v85, vcc
	flat_load_dwordx2 v[42:43], v[42:43] offset:512
	s_or_b64 exec, exec, s[42:43]
                                        ; implicit-def: $vgpr44_vgpr45
	s_and_saveexec_b64 s[4:5], s[6:7]
	s_cbranch_execnz .LBB365_48
.LBB365_66:
	s_or_b64 exec, exec, s[4:5]
                                        ; implicit-def: $vgpr46_vgpr47
	s_and_saveexec_b64 s[4:5], s[8:9]
	s_cbranch_execz .LBB365_49
.LBB365_67:
	v_add_co_u32_e32 v46, vcc, v84, v89
	v_addc_co_u32_e32 v47, vcc, 0, v85, vcc
	flat_load_dwordx2 v[46:47], v[46:47] offset:1536
	s_or_b64 exec, exec, s[4:5]
                                        ; implicit-def: $vgpr48_vgpr49
	s_and_saveexec_b64 s[4:5], s[10:11]
	s_cbranch_execnz .LBB365_50
.LBB365_68:
	s_or_b64 exec, exec, s[4:5]
                                        ; implicit-def: $vgpr50_vgpr51
	s_and_saveexec_b64 s[4:5], s[12:13]
	s_cbranch_execz .LBB365_51
.LBB365_69:
	v_add_co_u32_e32 v50, vcc, v84, v89
	v_addc_co_u32_e32 v51, vcc, 0, v85, vcc
	flat_load_dwordx2 v[50:51], v[50:51] offset:2560
	s_or_b64 exec, exec, s[4:5]
                                        ; implicit-def: $vgpr52_vgpr53
	s_and_saveexec_b64 s[4:5], s[14:15]
	s_cbranch_execnz .LBB365_52
.LBB365_70:
	s_or_b64 exec, exec, s[4:5]
                                        ; implicit-def: $vgpr54_vgpr55
	s_and_saveexec_b64 s[4:5], s[16:17]
	s_cbranch_execz .LBB365_53
.LBB365_71:
	v_add_co_u32_e32 v54, vcc, v84, v89
	v_addc_co_u32_e32 v55, vcc, 0, v85, vcc
	flat_load_dwordx2 v[54:55], v[54:55] offset:3584
	s_or_b64 exec, exec, s[4:5]
                                        ; implicit-def: $vgpr56_vgpr57
	s_and_saveexec_b64 s[4:5], s[18:19]
	s_cbranch_execnz .LBB365_54
.LBB365_72:
	s_or_b64 exec, exec, s[4:5]
                                        ; implicit-def: $vgpr58_vgpr59
	s_and_saveexec_b64 s[4:5], s[20:21]
	s_cbranch_execz .LBB365_55
.LBB365_73:
	v_lshlrev_b32_e32 v1, 3, v60
	v_add_co_u32_e32 v58, vcc, v84, v1
	v_addc_co_u32_e32 v59, vcc, 0, v85, vcc
	flat_load_dwordx2 v[58:59], v[58:59]
	s_or_b64 exec, exec, s[4:5]
                                        ; implicit-def: $vgpr60_vgpr61
	s_and_saveexec_b64 s[4:5], s[22:23]
	s_cbranch_execnz .LBB365_56
.LBB365_74:
	s_or_b64 exec, exec, s[4:5]
                                        ; implicit-def: $vgpr62_vgpr63
	s_and_saveexec_b64 s[4:5], s[24:25]
	s_cbranch_execz .LBB365_57
.LBB365_75:
	v_lshlrev_b32_e32 v1, 3, v64
	v_add_co_u32_e32 v62, vcc, v84, v1
	v_addc_co_u32_e32 v63, vcc, 0, v85, vcc
	flat_load_dwordx2 v[62:63], v[62:63]
	s_or_b64 exec, exec, s[4:5]
                                        ; implicit-def: $vgpr64_vgpr65
	s_and_saveexec_b64 s[4:5], s[26:27]
	s_cbranch_execnz .LBB365_58
.LBB365_76:
	s_or_b64 exec, exec, s[4:5]
                                        ; implicit-def: $vgpr66_vgpr67
	s_and_saveexec_b64 s[4:5], s[28:29]
	s_cbranch_execz .LBB365_59
.LBB365_77:
	v_lshlrev_b32_e32 v1, 3, v68
	v_add_co_u32_e32 v66, vcc, v84, v1
	v_addc_co_u32_e32 v67, vcc, 0, v85, vcc
	flat_load_dwordx2 v[66:67], v[66:67]
	s_or_b64 exec, exec, s[4:5]
                                        ; implicit-def: $vgpr68_vgpr69
	s_and_saveexec_b64 s[4:5], s[30:31]
	s_cbranch_execnz .LBB365_60
.LBB365_78:
	s_or_b64 exec, exec, s[4:5]
                                        ; implicit-def: $vgpr70_vgpr71
	s_and_saveexec_b64 s[4:5], s[34:35]
	s_cbranch_execz .LBB365_61
.LBB365_79:
	v_lshlrev_b32_e32 v1, 3, v72
	v_add_co_u32_e32 v70, vcc, v84, v1
	v_addc_co_u32_e32 v71, vcc, 0, v85, vcc
	flat_load_dwordx2 v[70:71], v[70:71]
	s_or_b64 exec, exec, s[4:5]
                                        ; implicit-def: $vgpr72_vgpr73
	s_and_saveexec_b64 s[4:5], s[36:37]
	s_cbranch_execnz .LBB365_62
.LBB365_80:
	s_or_b64 exec, exec, s[4:5]
                                        ; implicit-def: $vgpr76_vgpr77
	s_and_saveexec_b64 s[4:5], s[38:39]
	s_cbranch_execz .LBB365_82
.LBB365_81:
	v_lshlrev_b32_e32 v1, 3, v80
	v_add_co_u32_e32 v76, vcc, v84, v1
	v_addc_co_u32_e32 v77, vcc, 0, v85, vcc
	flat_load_dwordx2 v[76:77], v[76:77]
.LBB365_82:
	s_or_b64 exec, exec, s[4:5]
	v_mul_u32_u24_e32 v87, 19, v0
                                        ; implicit-def: $vgpr80_vgpr81
	s_and_saveexec_b64 s[4:5], s[40:41]
	s_cbranch_execz .LBB365_84
; %bb.83:
	v_lshlrev_b32_e32 v1, 3, v88
	v_add_co_u32_e32 v80, vcc, v84, v1
	v_addc_co_u32_e32 v81, vcc, 0, v85, vcc
	flat_load_dwordx2 v[80:81], v[80:81]
.LBB365_84:
	s_or_b64 exec, exec, s[4:5]
	s_waitcnt vmcnt(0) lgkmcnt(0)
	ds_write2st64_b64 v89, v[38:39], v[42:43] offset1:1
	ds_write2st64_b64 v89, v[44:45], v[46:47] offset0:2 offset1:3
	ds_write2st64_b64 v89, v[48:49], v[50:51] offset0:4 offset1:5
	;; [unrolled: 1-line block ×8, first 2 shown]
	ds_write_b64 v89, v[80:81] offset:9216
	v_pk_mov_b32 v[76:77], 0, 0
	v_cmp_gt_u32_e32 vcc, s60, v87
	s_mov_b64 s[10:11], 0
	s_mov_b32 s68, 0
	s_mov_b64 s[4:5], 0
	v_mov_b32_e32 v101, 0
	v_pk_mov_b32 v[42:43], v[76:77], v[76:77] op_sel:[0,1]
	v_mov_b32_e32 v114, 0
	v_pk_mov_b32 v[72:73], v[76:77], v[76:77] op_sel:[0,1]
	;; [unrolled: 2-line block ×17, first 2 shown]
	v_mov_b32_e32 v1, 0
	s_waitcnt lgkmcnt(0)
	; wave barrier
	s_waitcnt lgkmcnt(0)
                                        ; implicit-def: $sgpr8_sgpr9
                                        ; implicit-def: $vgpr80_vgpr81
	s_and_saveexec_b64 s[6:7], vcc
	s_cbranch_execz .LBB365_122
; %bb.85:
	ds_read_b64 v[38:39], v86
	v_cmp_ne_u64_e32 vcc, v[40:41], v[34:35]
	v_mov_b32_e32 v40, s65
	v_add_u32_e32 v42, 1, v87
	v_cndmask_b32_e64 v1, 0, 1, vcc
	s_waitcnt lgkmcnt(0)
	v_cndmask_b32_e32 v77, v39, v40, vcc
	v_mov_b32_e32 v39, s64
	v_cndmask_b32_e32 v76, v38, v39, vcc
	v_cmp_gt_u32_e32 vcc, s60, v42
	v_pk_mov_b32 v[42:43], 0, 0
	s_mov_b64 s[12:13], 0
	v_mov_b32_e32 v101, 0
	v_mov_b32_e32 v114, 0
	v_pk_mov_b32 v[72:73], v[42:43], v[42:43] op_sel:[0,1]
	v_mov_b32_e32 v113, 0
	v_pk_mov_b32 v[70:71], v[42:43], v[42:43] op_sel:[0,1]
	;; [unrolled: 2-line block ×16, first 2 shown]
                                        ; implicit-def: $sgpr14_sgpr15
                                        ; implicit-def: $vgpr80_vgpr81
	s_and_saveexec_b64 s[8:9], vcc
	s_cbranch_execz .LBB365_121
; %bb.86:
	ds_read2_b64 v[38:41], v86 offset0:1 offset1:2
	v_cmp_ne_u64_e32 vcc, v[34:35], v[36:37]
	v_mov_b32_e32 v34, s65
	v_add_u32_e32 v42, 2, v87
	v_cndmask_b32_e64 v98, 0, 1, vcc
	s_waitcnt lgkmcnt(0)
	v_cndmask_b32_e32 v39, v39, v34, vcc
	v_mov_b32_e32 v34, s64
	v_cndmask_b32_e32 v38, v38, v34, vcc
	v_cmp_gt_u32_e32 vcc, s60, v42
	v_pk_mov_b32 v[42:43], 0, 0
	s_mov_b64 s[14:15], 0
	v_mov_b32_e32 v101, 0
	v_mov_b32_e32 v114, 0
	v_pk_mov_b32 v[72:73], v[42:43], v[42:43] op_sel:[0,1]
	v_mov_b32_e32 v113, 0
	v_pk_mov_b32 v[70:71], v[42:43], v[42:43] op_sel:[0,1]
	v_mov_b32_e32 v112, 0
	v_pk_mov_b32 v[68:69], v[42:43], v[42:43] op_sel:[0,1]
	v_mov_b32_e32 v111, 0
	v_pk_mov_b32 v[66:67], v[42:43], v[42:43] op_sel:[0,1]
	v_mov_b32_e32 v110, 0
	v_pk_mov_b32 v[64:65], v[42:43], v[42:43] op_sel:[0,1]
	v_mov_b32_e32 v109, 0
	v_pk_mov_b32 v[62:63], v[42:43], v[42:43] op_sel:[0,1]
	v_mov_b32_e32 v108, 0
	v_pk_mov_b32 v[60:61], v[42:43], v[42:43] op_sel:[0,1]
	v_mov_b32_e32 v107, 0
	v_pk_mov_b32 v[58:59], v[42:43], v[42:43] op_sel:[0,1]
	v_mov_b32_e32 v106, 0
	v_pk_mov_b32 v[44:45], v[42:43], v[42:43] op_sel:[0,1]
	v_mov_b32_e32 v105, 0
	v_pk_mov_b32 v[56:57], v[42:43], v[42:43] op_sel:[0,1]
	v_mov_b32_e32 v104, 0
	v_pk_mov_b32 v[52:53], v[42:43], v[42:43] op_sel:[0,1]
	v_mov_b32_e32 v103, 0
	v_pk_mov_b32 v[50:51], v[42:43], v[42:43] op_sel:[0,1]
	v_mov_b32_e32 v102, 0
	v_pk_mov_b32 v[54:55], v[42:43], v[42:43] op_sel:[0,1]
	v_mov_b32_e32 v100, 0
	v_pk_mov_b32 v[48:49], v[42:43], v[42:43] op_sel:[0,1]
	v_mov_b32_e32 v99, 0
	v_pk_mov_b32 v[46:47], v[42:43], v[42:43] op_sel:[0,1]
                                        ; implicit-def: $sgpr16_sgpr17
                                        ; implicit-def: $vgpr80_vgpr81
	s_and_saveexec_b64 s[10:11], vcc
	s_cbranch_execz .LBB365_120
; %bb.87:
	v_cmp_ne_u64_e32 vcc, v[36:37], v[30:31]
	v_mov_b32_e32 v35, s65
	v_add_u32_e32 v34, 3, v87
	v_cndmask_b32_e32 v47, v41, v35, vcc
	v_mov_b32_e32 v35, s64
	v_pk_mov_b32 v[42:43], 0, 0
	v_cndmask_b32_e64 v99, 0, 1, vcc
	v_cndmask_b32_e32 v46, v40, v35, vcc
	v_cmp_gt_u32_e32 vcc, s60, v34
	s_mov_b64 s[16:17], 0
	v_mov_b32_e32 v101, 0
	v_mov_b32_e32 v114, 0
	v_pk_mov_b32 v[72:73], v[42:43], v[42:43] op_sel:[0,1]
	v_mov_b32_e32 v113, 0
	v_pk_mov_b32 v[70:71], v[42:43], v[42:43] op_sel:[0,1]
	;; [unrolled: 2-line block ×14, first 2 shown]
                                        ; implicit-def: $sgpr18_sgpr19
                                        ; implicit-def: $vgpr80_vgpr81
	s_and_saveexec_b64 s[12:13], vcc
	s_cbranch_execz .LBB365_119
; %bb.88:
	ds_read2_b64 v[34:37], v86 offset0:3 offset1:4
	v_cmp_ne_u64_e32 vcc, v[30:31], v[32:33]
	v_mov_b32_e32 v30, s65
	v_add_u32_e32 v40, 4, v87
	v_pk_mov_b32 v[42:43], 0, 0
	s_waitcnt lgkmcnt(0)
	v_cndmask_b32_e32 v49, v35, v30, vcc
	v_mov_b32_e32 v30, s64
	v_cndmask_b32_e64 v100, 0, 1, vcc
	v_cndmask_b32_e32 v48, v34, v30, vcc
	v_cmp_gt_u32_e32 vcc, s60, v40
	s_mov_b64 s[18:19], 0
	v_mov_b32_e32 v101, 0
	v_mov_b32_e32 v114, 0
	v_pk_mov_b32 v[72:73], v[42:43], v[42:43] op_sel:[0,1]
	v_mov_b32_e32 v113, 0
	v_pk_mov_b32 v[70:71], v[42:43], v[42:43] op_sel:[0,1]
	v_mov_b32_e32 v112, 0
	v_pk_mov_b32 v[68:69], v[42:43], v[42:43] op_sel:[0,1]
	v_mov_b32_e32 v111, 0
	v_pk_mov_b32 v[66:67], v[42:43], v[42:43] op_sel:[0,1]
	v_mov_b32_e32 v110, 0
	v_pk_mov_b32 v[64:65], v[42:43], v[42:43] op_sel:[0,1]
	v_mov_b32_e32 v109, 0
	v_pk_mov_b32 v[62:63], v[42:43], v[42:43] op_sel:[0,1]
	v_mov_b32_e32 v108, 0
	v_pk_mov_b32 v[60:61], v[42:43], v[42:43] op_sel:[0,1]
	v_mov_b32_e32 v107, 0
	v_pk_mov_b32 v[58:59], v[42:43], v[42:43] op_sel:[0,1]
	v_mov_b32_e32 v106, 0
	v_pk_mov_b32 v[44:45], v[42:43], v[42:43] op_sel:[0,1]
	v_mov_b32_e32 v105, 0
	v_pk_mov_b32 v[56:57], v[42:43], v[42:43] op_sel:[0,1]
	v_mov_b32_e32 v104, 0
	v_pk_mov_b32 v[52:53], v[42:43], v[42:43] op_sel:[0,1]
	v_mov_b32_e32 v103, 0
	v_pk_mov_b32 v[50:51], v[42:43], v[42:43] op_sel:[0,1]
	v_mov_b32_e32 v102, 0
	v_pk_mov_b32 v[54:55], v[42:43], v[42:43] op_sel:[0,1]
                                        ; implicit-def: $sgpr20_sgpr21
                                        ; implicit-def: $vgpr80_vgpr81
	s_and_saveexec_b64 s[14:15], vcc
	s_cbranch_execz .LBB365_118
; %bb.89:
	v_cmp_ne_u64_e32 vcc, v[32:33], v[26:27]
	v_mov_b32_e32 v31, s65
	v_add_u32_e32 v30, 5, v87
	v_cndmask_b32_e32 v55, v37, v31, vcc
	v_mov_b32_e32 v31, s64
	v_pk_mov_b32 v[42:43], 0, 0
	v_cndmask_b32_e64 v102, 0, 1, vcc
	v_cndmask_b32_e32 v54, v36, v31, vcc
	v_cmp_gt_u32_e32 vcc, s60, v30
	s_mov_b64 s[20:21], 0
	v_mov_b32_e32 v101, 0
	v_mov_b32_e32 v114, 0
	v_pk_mov_b32 v[72:73], v[42:43], v[42:43] op_sel:[0,1]
	v_mov_b32_e32 v113, 0
	v_pk_mov_b32 v[70:71], v[42:43], v[42:43] op_sel:[0,1]
	;; [unrolled: 2-line block ×12, first 2 shown]
                                        ; implicit-def: $sgpr22_sgpr23
                                        ; implicit-def: $vgpr80_vgpr81
	s_and_saveexec_b64 s[16:17], vcc
	s_cbranch_execz .LBB365_117
; %bb.90:
	ds_read2_b64 v[30:33], v86 offset0:5 offset1:6
	v_cmp_ne_u64_e32 vcc, v[26:27], v[28:29]
	v_mov_b32_e32 v26, s65
	v_add_u32_e32 v34, 6, v87
	v_pk_mov_b32 v[42:43], 0, 0
	s_waitcnt lgkmcnt(0)
	v_cndmask_b32_e32 v51, v31, v26, vcc
	v_mov_b32_e32 v26, s64
	v_cndmask_b32_e64 v103, 0, 1, vcc
	v_cndmask_b32_e32 v50, v30, v26, vcc
	v_cmp_gt_u32_e32 vcc, s60, v34
	s_mov_b64 s[22:23], 0
	v_mov_b32_e32 v101, 0
	v_mov_b32_e32 v114, 0
	v_pk_mov_b32 v[72:73], v[42:43], v[42:43] op_sel:[0,1]
	v_mov_b32_e32 v113, 0
	v_pk_mov_b32 v[70:71], v[42:43], v[42:43] op_sel:[0,1]
	;; [unrolled: 2-line block ×11, first 2 shown]
                                        ; implicit-def: $sgpr24_sgpr25
                                        ; implicit-def: $vgpr80_vgpr81
	s_and_saveexec_b64 s[18:19], vcc
	s_cbranch_execz .LBB365_116
; %bb.91:
	v_cmp_ne_u64_e32 vcc, v[28:29], v[22:23]
	v_mov_b32_e32 v27, s65
	v_add_u32_e32 v26, 7, v87
	v_cndmask_b32_e32 v53, v33, v27, vcc
	v_mov_b32_e32 v27, s64
	v_pk_mov_b32 v[42:43], 0, 0
	v_cndmask_b32_e64 v104, 0, 1, vcc
	v_cndmask_b32_e32 v52, v32, v27, vcc
	v_cmp_gt_u32_e32 vcc, s60, v26
	s_mov_b64 s[24:25], 0
	v_mov_b32_e32 v101, 0
	v_mov_b32_e32 v114, 0
	v_pk_mov_b32 v[72:73], v[42:43], v[42:43] op_sel:[0,1]
	v_mov_b32_e32 v113, 0
	v_pk_mov_b32 v[70:71], v[42:43], v[42:43] op_sel:[0,1]
	;; [unrolled: 2-line block ×10, first 2 shown]
                                        ; implicit-def: $sgpr26_sgpr27
                                        ; implicit-def: $vgpr80_vgpr81
	s_and_saveexec_b64 s[20:21], vcc
	s_cbranch_execz .LBB365_115
; %bb.92:
	ds_read2_b64 v[26:29], v86 offset0:7 offset1:8
	v_cmp_ne_u64_e32 vcc, v[22:23], v[24:25]
	v_mov_b32_e32 v22, s65
	v_add_u32_e32 v30, 8, v87
	v_pk_mov_b32 v[42:43], 0, 0
	s_waitcnt lgkmcnt(0)
	v_cndmask_b32_e32 v57, v27, v22, vcc
	v_mov_b32_e32 v22, s64
	v_cndmask_b32_e64 v105, 0, 1, vcc
	v_cndmask_b32_e32 v56, v26, v22, vcc
	v_cmp_gt_u32_e32 vcc, s60, v30
	s_mov_b64 s[26:27], 0
	v_mov_b32_e32 v101, 0
	v_mov_b32_e32 v114, 0
	v_pk_mov_b32 v[72:73], v[42:43], v[42:43] op_sel:[0,1]
	v_mov_b32_e32 v113, 0
	v_pk_mov_b32 v[70:71], v[42:43], v[42:43] op_sel:[0,1]
	;; [unrolled: 2-line block ×9, first 2 shown]
                                        ; implicit-def: $sgpr28_sgpr29
                                        ; implicit-def: $vgpr80_vgpr81
	s_and_saveexec_b64 s[22:23], vcc
	s_cbranch_execz .LBB365_114
; %bb.93:
	v_cmp_ne_u64_e32 vcc, v[24:25], v[18:19]
	v_mov_b32_e32 v23, s65
	v_add_u32_e32 v22, 9, v87
	v_cndmask_b32_e32 v45, v29, v23, vcc
	v_mov_b32_e32 v23, s64
	v_pk_mov_b32 v[42:43], 0, 0
	v_cndmask_b32_e64 v106, 0, 1, vcc
	v_cndmask_b32_e32 v44, v28, v23, vcc
	v_cmp_gt_u32_e32 vcc, s60, v22
	s_mov_b64 s[28:29], 0
	v_mov_b32_e32 v101, 0
	v_mov_b32_e32 v114, 0
	v_pk_mov_b32 v[72:73], v[42:43], v[42:43] op_sel:[0,1]
	v_mov_b32_e32 v113, 0
	v_pk_mov_b32 v[70:71], v[42:43], v[42:43] op_sel:[0,1]
	;; [unrolled: 2-line block ×8, first 2 shown]
                                        ; implicit-def: $sgpr30_sgpr31
                                        ; implicit-def: $vgpr80_vgpr81
	s_and_saveexec_b64 s[24:25], vcc
	s_cbranch_execz .LBB365_113
; %bb.94:
	ds_read2_b64 v[22:25], v86 offset0:9 offset1:10
	v_cmp_ne_u64_e32 vcc, v[18:19], v[20:21]
	v_mov_b32_e32 v18, s65
	v_add_u32_e32 v26, 10, v87
	v_pk_mov_b32 v[42:43], 0, 0
	s_waitcnt lgkmcnt(0)
	v_cndmask_b32_e32 v59, v23, v18, vcc
	v_mov_b32_e32 v18, s64
	v_cndmask_b32_e64 v107, 0, 1, vcc
	v_cndmask_b32_e32 v58, v22, v18, vcc
	v_cmp_gt_u32_e32 vcc, s60, v26
	s_mov_b64 s[30:31], 0
	v_mov_b32_e32 v101, 0
	v_mov_b32_e32 v114, 0
	v_pk_mov_b32 v[72:73], v[42:43], v[42:43] op_sel:[0,1]
	v_mov_b32_e32 v113, 0
	v_pk_mov_b32 v[70:71], v[42:43], v[42:43] op_sel:[0,1]
	;; [unrolled: 2-line block ×7, first 2 shown]
                                        ; implicit-def: $sgpr34_sgpr35
                                        ; implicit-def: $vgpr80_vgpr81
	s_and_saveexec_b64 s[26:27], vcc
	s_cbranch_execz .LBB365_112
; %bb.95:
	v_cmp_ne_u64_e32 vcc, v[20:21], v[14:15]
	v_mov_b32_e32 v19, s65
	v_add_u32_e32 v18, 11, v87
	v_cndmask_b32_e32 v61, v25, v19, vcc
	v_mov_b32_e32 v19, s64
	v_pk_mov_b32 v[42:43], 0, 0
	v_cndmask_b32_e64 v108, 0, 1, vcc
	v_cndmask_b32_e32 v60, v24, v19, vcc
	v_cmp_gt_u32_e32 vcc, s60, v18
	s_mov_b64 s[34:35], 0
	v_mov_b32_e32 v101, 0
	v_mov_b32_e32 v114, 0
	v_pk_mov_b32 v[72:73], v[42:43], v[42:43] op_sel:[0,1]
	v_mov_b32_e32 v113, 0
	v_pk_mov_b32 v[70:71], v[42:43], v[42:43] op_sel:[0,1]
	;; [unrolled: 2-line block ×6, first 2 shown]
                                        ; implicit-def: $sgpr36_sgpr37
                                        ; implicit-def: $vgpr80_vgpr81
	s_and_saveexec_b64 s[28:29], vcc
	s_cbranch_execz .LBB365_111
; %bb.96:
	ds_read2_b64 v[18:21], v86 offset0:11 offset1:12
	v_cmp_ne_u64_e32 vcc, v[14:15], v[16:17]
	v_mov_b32_e32 v14, s65
	v_add_u32_e32 v22, 12, v87
	v_pk_mov_b32 v[42:43], 0, 0
	s_waitcnt lgkmcnt(0)
	v_cndmask_b32_e32 v63, v19, v14, vcc
	v_mov_b32_e32 v14, s64
	v_cndmask_b32_e64 v109, 0, 1, vcc
	v_cndmask_b32_e32 v62, v18, v14, vcc
	v_cmp_gt_u32_e32 vcc, s60, v22
	s_mov_b64 s[36:37], 0
	v_mov_b32_e32 v101, 0
	v_mov_b32_e32 v114, 0
	v_pk_mov_b32 v[72:73], v[42:43], v[42:43] op_sel:[0,1]
	v_mov_b32_e32 v113, 0
	v_pk_mov_b32 v[70:71], v[42:43], v[42:43] op_sel:[0,1]
	;; [unrolled: 2-line block ×5, first 2 shown]
                                        ; implicit-def: $sgpr38_sgpr39
                                        ; implicit-def: $vgpr80_vgpr81
	s_and_saveexec_b64 s[30:31], vcc
	s_cbranch_execz .LBB365_110
; %bb.97:
	v_cmp_ne_u64_e32 vcc, v[16:17], v[10:11]
	v_mov_b32_e32 v15, s65
	v_add_u32_e32 v14, 13, v87
	v_cndmask_b32_e32 v65, v21, v15, vcc
	v_mov_b32_e32 v15, s64
	v_pk_mov_b32 v[42:43], 0, 0
	v_cndmask_b32_e64 v110, 0, 1, vcc
	v_cndmask_b32_e32 v64, v20, v15, vcc
	v_cmp_gt_u32_e32 vcc, s60, v14
	s_mov_b64 s[38:39], 0
	v_mov_b32_e32 v101, 0
	v_mov_b32_e32 v114, 0
	v_pk_mov_b32 v[72:73], v[42:43], v[42:43] op_sel:[0,1]
	v_mov_b32_e32 v113, 0
	v_pk_mov_b32 v[70:71], v[42:43], v[42:43] op_sel:[0,1]
	v_mov_b32_e32 v112, 0
	v_pk_mov_b32 v[68:69], v[42:43], v[42:43] op_sel:[0,1]
	v_mov_b32_e32 v111, 0
	v_pk_mov_b32 v[66:67], v[42:43], v[42:43] op_sel:[0,1]
                                        ; implicit-def: $sgpr40_sgpr41
                                        ; implicit-def: $vgpr80_vgpr81
	s_and_saveexec_b64 s[34:35], vcc
	s_cbranch_execz .LBB365_109
; %bb.98:
	ds_read2_b64 v[14:17], v86 offset0:13 offset1:14
	v_cmp_ne_u64_e32 vcc, v[10:11], v[12:13]
	v_mov_b32_e32 v10, s65
	v_add_u32_e32 v18, 14, v87
	v_pk_mov_b32 v[42:43], 0, 0
	s_waitcnt lgkmcnt(0)
	v_cndmask_b32_e32 v67, v15, v10, vcc
	v_mov_b32_e32 v10, s64
	v_cndmask_b32_e64 v111, 0, 1, vcc
	v_cndmask_b32_e32 v66, v14, v10, vcc
	v_cmp_gt_u32_e32 vcc, s60, v18
	s_mov_b64 s[40:41], 0
	v_mov_b32_e32 v101, 0
	v_mov_b32_e32 v114, 0
	v_pk_mov_b32 v[72:73], v[42:43], v[42:43] op_sel:[0,1]
	v_mov_b32_e32 v113, 0
	v_pk_mov_b32 v[70:71], v[42:43], v[42:43] op_sel:[0,1]
	;; [unrolled: 2-line block ×3, first 2 shown]
                                        ; implicit-def: $sgpr42_sgpr43
                                        ; implicit-def: $vgpr80_vgpr81
	s_and_saveexec_b64 s[36:37], vcc
	s_cbranch_execz .LBB365_108
; %bb.99:
	v_cmp_ne_u64_e32 vcc, v[12:13], v[6:7]
	v_mov_b32_e32 v11, s65
	v_add_u32_e32 v10, 15, v87
	v_cndmask_b32_e32 v69, v17, v11, vcc
	v_mov_b32_e32 v11, s64
	v_pk_mov_b32 v[42:43], 0, 0
	v_cndmask_b32_e64 v112, 0, 1, vcc
	v_cndmask_b32_e32 v68, v16, v11, vcc
	v_cmp_gt_u32_e32 vcc, s60, v10
	s_mov_b64 s[42:43], 0
	v_mov_b32_e32 v101, 0
	v_mov_b32_e32 v114, 0
	v_pk_mov_b32 v[72:73], v[42:43], v[42:43] op_sel:[0,1]
	v_mov_b32_e32 v113, 0
	v_pk_mov_b32 v[70:71], v[42:43], v[42:43] op_sel:[0,1]
                                        ; implicit-def: $sgpr52_sgpr53
                                        ; implicit-def: $vgpr80_vgpr81
	s_and_saveexec_b64 s[38:39], vcc
	s_cbranch_execz .LBB365_107
; %bb.100:
	ds_read2_b64 v[10:13], v86 offset0:15 offset1:16
	v_cmp_ne_u64_e32 vcc, v[6:7], v[8:9]
	v_mov_b32_e32 v6, s65
	v_add_u32_e32 v14, 16, v87
	v_pk_mov_b32 v[42:43], 0, 0
	s_waitcnt lgkmcnt(0)
	v_cndmask_b32_e32 v71, v11, v6, vcc
	v_mov_b32_e32 v6, s64
	v_cndmask_b32_e64 v113, 0, 1, vcc
	v_cndmask_b32_e32 v70, v10, v6, vcc
	v_cmp_gt_u32_e32 vcc, s60, v14
	s_mov_b64 s[52:53], 0
	v_mov_b32_e32 v101, 0
	v_mov_b32_e32 v114, 0
	v_pk_mov_b32 v[72:73], v[42:43], v[42:43] op_sel:[0,1]
                                        ; implicit-def: $sgpr56_sgpr57
                                        ; implicit-def: $vgpr80_vgpr81
	s_and_saveexec_b64 s[40:41], vcc
	s_cbranch_execz .LBB365_106
; %bb.101:
	v_cmp_ne_u64_e32 vcc, v[8:9], v[2:3]
	v_mov_b32_e32 v7, s65
	v_add_u32_e32 v6, 17, v87
	v_cndmask_b32_e32 v73, v13, v7, vcc
	v_mov_b32_e32 v7, s64
	v_cndmask_b32_e64 v114, 0, 1, vcc
	v_cndmask_b32_e32 v72, v12, v7, vcc
	v_cmp_gt_u32_e32 vcc, s60, v6
	v_mov_b32_e32 v101, 0
	v_pk_mov_b32 v[42:43], 0, 0
                                        ; implicit-def: $sgpr56_sgpr57
                                        ; implicit-def: $vgpr80_vgpr81
	s_and_saveexec_b64 s[42:43], vcc
	s_cbranch_execz .LBB365_105
; %bb.102:
	ds_read2_b64 v[6:9], v86 offset0:17 offset1:18
	v_cmp_ne_u64_e32 vcc, v[2:3], v[4:5]
	v_mov_b32_e32 v2, s65
	v_add_u32_e32 v10, 18, v87
	v_cndmask_b32_e64 v101, 0, 1, vcc
	s_waitcnt lgkmcnt(0)
	v_cndmask_b32_e32 v43, v7, v2, vcc
	v_mov_b32_e32 v2, s64
	v_cndmask_b32_e32 v42, v6, v2, vcc
	v_cmp_gt_u32_e32 vcc, s60, v10
                                        ; implicit-def: $sgpr56_sgpr57
                                        ; implicit-def: $vgpr80_vgpr81
	s_and_saveexec_b64 s[60:61], vcc
	s_xor_b64 s[60:61], exec, s[60:61]
; %bb.103:
	v_mov_b32_e32 v2, s65
	v_cmp_ne_u64_e32 vcc, v[4:5], v[82:83]
	v_cndmask_b32_e32 v81, v9, v2, vcc
	v_mov_b32_e32 v2, s64
	s_mov_b64 s[52:53], exec
	v_cndmask_b32_e32 v80, v8, v2, vcc
	s_and_b64 s[56:57], vcc, exec
; %bb.104:
	s_or_b64 exec, exec, s[60:61]
	s_and_b64 s[56:57], s[56:57], exec
	s_and_b64 s[52:53], s[52:53], exec
.LBB365_105:
	s_or_b64 exec, exec, s[42:43]
	s_and_b64 s[56:57], s[56:57], exec
	s_and_b64 s[42:43], s[52:53], exec
.LBB365_106:
	s_or_b64 exec, exec, s[40:41]
	s_and_b64 s[52:53], s[56:57], exec
	s_and_b64 s[40:41], s[42:43], exec
.LBB365_107:
	s_or_b64 exec, exec, s[38:39]
	s_and_b64 s[42:43], s[52:53], exec
	s_and_b64 s[38:39], s[40:41], exec
.LBB365_108:
	s_or_b64 exec, exec, s[36:37]
	s_and_b64 s[40:41], s[42:43], exec
	s_and_b64 s[36:37], s[38:39], exec
.LBB365_109:
	s_or_b64 exec, exec, s[34:35]
	s_and_b64 s[38:39], s[40:41], exec
	s_and_b64 s[34:35], s[36:37], exec
.LBB365_110:
	s_or_b64 exec, exec, s[30:31]
	s_and_b64 s[36:37], s[38:39], exec
	s_and_b64 s[30:31], s[34:35], exec
.LBB365_111:
	s_or_b64 exec, exec, s[28:29]
	s_and_b64 s[34:35], s[36:37], exec
	s_and_b64 s[28:29], s[30:31], exec
.LBB365_112:
	s_or_b64 exec, exec, s[26:27]
	s_and_b64 s[30:31], s[34:35], exec
	s_and_b64 s[26:27], s[28:29], exec
.LBB365_113:
	s_or_b64 exec, exec, s[24:25]
	s_and_b64 s[28:29], s[30:31], exec
	s_and_b64 s[24:25], s[26:27], exec
.LBB365_114:
	s_or_b64 exec, exec, s[22:23]
	s_and_b64 s[26:27], s[28:29], exec
	s_and_b64 s[22:23], s[24:25], exec
.LBB365_115:
	s_or_b64 exec, exec, s[20:21]
	s_and_b64 s[24:25], s[26:27], exec
	s_and_b64 s[20:21], s[22:23], exec
.LBB365_116:
	s_or_b64 exec, exec, s[18:19]
	s_and_b64 s[22:23], s[24:25], exec
	s_and_b64 s[18:19], s[20:21], exec
.LBB365_117:
	s_or_b64 exec, exec, s[16:17]
	s_and_b64 s[20:21], s[22:23], exec
	s_and_b64 s[16:17], s[18:19], exec
.LBB365_118:
	s_or_b64 exec, exec, s[14:15]
	s_and_b64 s[18:19], s[20:21], exec
	s_and_b64 s[14:15], s[16:17], exec
.LBB365_119:
	s_or_b64 exec, exec, s[12:13]
	s_and_b64 s[16:17], s[18:19], exec
	s_and_b64 s[12:13], s[14:15], exec
.LBB365_120:
	s_or_b64 exec, exec, s[10:11]
	s_and_b64 s[14:15], s[16:17], exec
	s_and_b64 s[10:11], s[12:13], exec
.LBB365_121:
	s_or_b64 exec, exec, s[8:9]
	s_and_b64 s[8:9], s[14:15], exec
	s_and_b64 s[10:11], s[10:11], exec
.LBB365_122:
	s_or_b64 exec, exec, s[6:7]
	s_mov_b64 s[6:7], 0
	s_and_b64 vcc, exec, s[4:5]
	v_lshlrev_b32_e32 v115, 3, v0
	s_cbranch_vccz .LBB365_128
.LBB365_123:
	v_add_co_u32_e32 v2, vcc, v78, v115
	v_addc_co_u32_e32 v3, vcc, 0, v79, vcc
	v_add_co_u32_e32 v20, vcc, 0x1000, v2
	v_addc_co_u32_e32 v21, vcc, 0, v3, vcc
	flat_load_dwordx2 v[4:5], v[2:3]
	flat_load_dwordx2 v[6:7], v[2:3] offset:512
	flat_load_dwordx2 v[8:9], v[2:3] offset:1024
	;; [unrolled: 1-line block ×7, first 2 shown]
	v_add_co_u32_e32 v2, vcc, 0x2000, v2
	v_addc_co_u32_e32 v3, vcc, 0, v3, vcc
	flat_load_dwordx2 v[22:23], v[20:21]
	flat_load_dwordx2 v[24:25], v[20:21] offset:512
	flat_load_dwordx2 v[26:27], v[20:21] offset:1024
	;; [unrolled: 1-line block ×7, first 2 shown]
	s_nop 0
	flat_load_dwordx2 v[20:21], v[2:3]
	flat_load_dwordx2 v[38:39], v[2:3] offset:512
	flat_load_dwordx2 v[40:41], v[2:3] offset:1024
	v_add_co_u32_e32 v2, vcc, 0x2000, v78
	v_addc_co_u32_e32 v3, vcc, 0, v79, vcc
	s_movk_i32 s4, 0x90
	v_mad_u32_u24 v1, v0, s4, v115
	s_movk_i32 s4, 0xff70
	s_movk_i32 s7, 0x1000
	;; [unrolled: 1-line block ×3, first 2 shown]
	v_cmp_ne_u32_e32 vcc, 63, v0
	s_waitcnt vmcnt(0) lgkmcnt(0)
	ds_write2st64_b64 v115, v[4:5], v[6:7] offset1:1
	ds_write2st64_b64 v115, v[8:9], v[10:11] offset0:2 offset1:3
	ds_write2st64_b64 v115, v[12:13], v[14:15] offset0:4 offset1:5
	;; [unrolled: 1-line block ×8, first 2 shown]
	ds_write_b64 v115, v[40:41] offset:9216
	s_waitcnt lgkmcnt(0)
	; wave barrier
	s_waitcnt lgkmcnt(0)
	flat_load_dwordx2 v[78:79], v[2:3] offset:1536
	v_mad_i32_i24 v6, v0, s4, v1
	ds_read_b64 v[76:77], v1
	ds_read2_b64 v[70:73], v1 offset0:1 offset1:2
	ds_read2_b64 v[66:69], v1 offset0:3 offset1:4
	;; [unrolled: 1-line block ×9, first 2 shown]
	s_waitcnt lgkmcnt(0)
	ds_write_b64 v6, v[76:77] offset:10240
	s_waitcnt lgkmcnt(0)
	; wave barrier
	s_waitcnt lgkmcnt(0)
	s_and_saveexec_b64 s[4:5], vcc
	s_cbranch_execz .LBB365_125
; %bb.124:
	s_waitcnt vmcnt(0)
	ds_read_b64 v[78:79], v115 offset:10248
.LBB365_125:
	s_or_b64 exec, exec, s[4:5]
	v_add_co_u32_e32 v6, vcc, v84, v115
	v_addc_co_u32_e32 v7, vcc, 0, v85, vcc
	v_add_co_u32_e32 v36, vcc, s7, v6
	v_addc_co_u32_e32 v37, vcc, 0, v7, vcc
	s_waitcnt lgkmcnt(0)
	; wave barrier
	s_waitcnt lgkmcnt(0)
	flat_load_dwordx2 v[8:9], v[6:7]
	flat_load_dwordx2 v[14:15], v[6:7] offset:512
	flat_load_dwordx2 v[16:17], v[6:7] offset:1024
	;; [unrolled: 1-line block ×7, first 2 shown]
	v_add_co_u32_e32 v6, vcc, s6, v6
	v_addc_co_u32_e32 v7, vcc, 0, v7, vcc
	flat_load_dwordx2 v[42:43], v[36:37]
	flat_load_dwordx2 v[44:45], v[36:37] offset:512
	flat_load_dwordx2 v[50:51], v[36:37] offset:1024
	;; [unrolled: 1-line block ×7, first 2 shown]
	s_nop 0
	flat_load_dwordx2 v[36:37], v[6:7]
	flat_load_dwordx2 v[80:81], v[6:7] offset:512
	flat_load_dwordx2 v[82:83], v[6:7] offset:1024
	v_cmp_ne_u64_e32 vcc, v[76:77], v[70:71]
	v_cmp_eq_u64_e64 s[4:5], v[76:77], v[70:71]
	v_pk_mov_b32 v[76:77], s[64:65], s[64:65] op_sel:[0,1]
	s_waitcnt vmcnt(0) lgkmcnt(0)
	ds_write2st64_b64 v115, v[8:9], v[14:15] offset1:1
	ds_write2st64_b64 v115, v[16:17], v[22:23] offset0:2 offset1:3
	ds_write2st64_b64 v115, v[24:25], v[26:27] offset0:4 offset1:5
	;; [unrolled: 1-line block ×8, first 2 shown]
	ds_write_b64 v115, v[82:83] offset:9216
	s_waitcnt lgkmcnt(0)
	; wave barrier
	s_waitcnt lgkmcnt(0)
	ds_read2_b64 v[62:65], v1 offset0:1 offset1:2
	ds_read2_b64 v[58:61], v1 offset0:3 offset1:4
	;; [unrolled: 1-line block ×9, first 2 shown]
	s_and_saveexec_b64 s[6:7], s[4:5]
	s_cbranch_execz .LBB365_127
; %bb.126:
	ds_read_b64 v[76:77], v1
.LBB365_127:
	s_or_b64 exec, exec, s[6:7]
	v_cmp_ne_u64_e64 s[8:9], v[68:69], v[54:55]
	v_cmp_ne_u64_e64 s[34:35], v[12:13], v[2:3]
	;; [unrolled: 1-line block ×3, first 2 shown]
	v_mov_b32_e32 v2, s65
	v_mov_b32_e32 v3, s64
	v_cndmask_b32_e64 v1, 0, 1, vcc
	v_cmp_ne_u64_e32 vcc, v[70:71], v[72:73]
	v_cmp_ne_u64_e64 s[4:5], v[72:73], v[66:67]
	v_cmp_ne_u64_e64 s[6:7], v[66:67], v[68:69]
	v_cndmask_b32_e64 v102, 0, 1, s[8:9]
	v_cmp_ne_u64_e64 s[10:11], v[54:55], v[56:57]
	v_cmp_ne_u64_e64 s[12:13], v[56:57], v[46:47]
	;; [unrolled: 1-line block ×11, first 2 shown]
	s_waitcnt lgkmcnt(7)
	v_cndmask_b32_e64 v55, v61, v2, s[8:9]
	v_cndmask_b32_e64 v54, v60, v3, s[8:9]
	v_cmp_ne_u64_e64 s[8:9], v[4:5], v[78:79]
	v_cndmask_b32_e64 v98, 0, 1, vcc
	v_cndmask_b32_e64 v99, 0, 1, s[4:5]
	v_cndmask_b32_e64 v100, 0, 1, s[6:7]
	;; [unrolled: 1-line block ×15, first 2 shown]
	v_cndmask_b32_e32 v39, v63, v2, vcc
	v_cndmask_b32_e32 v38, v62, v3, vcc
	v_cndmask_b32_e64 v47, v65, v2, s[4:5]
	v_cndmask_b32_e64 v46, v64, v3, s[4:5]
	v_cndmask_b32_e64 v49, v59, v2, s[6:7]
	v_cndmask_b32_e64 v48, v58, v3, s[6:7]
	s_waitcnt lgkmcnt(6)
	v_cndmask_b32_e64 v51, v51, v2, s[10:11]
	v_cndmask_b32_e64 v50, v50, v3, s[10:11]
	v_cndmask_b32_e64 v53, v53, v2, s[12:13]
	v_cndmask_b32_e64 v52, v52, v3, s[12:13]
	s_waitcnt lgkmcnt(5)
	v_cndmask_b32_e64 v57, v43, v2, s[14:15]
	v_cndmask_b32_e64 v56, v42, v3, s[14:15]
	v_cndmask_b32_e64 v45, v45, v2, s[16:17]
	v_cndmask_b32_e64 v44, v44, v3, s[16:17]
	s_waitcnt lgkmcnt(4)
	v_cndmask_b32_e64 v59, v35, v2, s[18:19]
	v_cndmask_b32_e64 v58, v34, v3, s[18:19]
	v_cndmask_b32_e64 v61, v37, v2, s[20:21]
	v_cndmask_b32_e64 v60, v36, v3, s[20:21]
	s_waitcnt lgkmcnt(3)
	v_cndmask_b32_e64 v63, v27, v2, s[22:23]
	v_cndmask_b32_e64 v62, v26, v3, s[22:23]
	v_cndmask_b32_e64 v65, v29, v2, s[24:25]
	v_cndmask_b32_e64 v64, v28, v3, s[24:25]
	s_waitcnt lgkmcnt(2)
	v_cndmask_b32_e64 v67, v23, v2, s[26:27]
	v_cndmask_b32_e64 v66, v22, v3, s[26:27]
	v_cndmask_b32_e64 v69, v25, v2, s[28:29]
	v_cndmask_b32_e64 v68, v24, v3, s[28:29]
	s_waitcnt lgkmcnt(1)
	v_cndmask_b32_e64 v71, v15, v2, s[30:31]
	v_cndmask_b32_e64 v70, v14, v3, s[30:31]
	v_cndmask_b32_e64 v73, v17, v2, s[34:35]
	v_cndmask_b32_e64 v72, v16, v3, s[34:35]
	s_waitcnt lgkmcnt(0)
	v_cndmask_b32_e64 v43, v7, v2, s[36:37]
	v_cndmask_b32_e64 v42, v6, v3, s[36:37]
	;; [unrolled: 1-line block ×4, first 2 shown]
	s_mov_b64 s[10:11], -1
                                        ; implicit-def: $sgpr68
                                        ; implicit-def: $sgpr6_sgpr7
.LBB365_128:
	v_pk_mov_b32 v[40:41], s[6:7], s[6:7] op_sel:[0,1]
	v_mov_b32_e32 v116, s68
	s_and_saveexec_b64 s[4:5], s[10:11]
; %bb.129:
	v_cndmask_b32_e64 v116, 0, 1, s[8:9]
	v_pk_mov_b32 v[40:41], v[80:81], v[80:81] op_sel:[0,1]
; %bb.130:
	s_or_b64 exec, exec, s[4:5]
	v_or_b32_e32 v2, v116, v101
	s_cmp_lg_u32 s51, 0
	v_or_b32_e32 v118, v2, v114
	v_mbcnt_lo_u32_b32 v117, -1, 0
	s_waitcnt lgkmcnt(0)
	; wave barrier
	s_waitcnt lgkmcnt(0)
	s_cbranch_scc0 .LBB365_193
; %bb.131:
	v_mov_b32_e32 v2, 0
	v_cmp_eq_u16_sdwa s[38:39], v98, v2 src0_sel:BYTE_0 src1_sel:DWORD
	v_cndmask_b32_e64 v4, 0, v76, s[38:39]
	v_cndmask_b32_e64 v3, 0, v77, s[38:39]
	v_add_co_u32_e32 v4, vcc, v4, v38
	v_cmp_eq_u16_sdwa s[36:37], v99, v2 src0_sel:BYTE_0 src1_sel:DWORD
	v_addc_co_u32_e32 v3, vcc, v3, v39, vcc
	v_cndmask_b32_e64 v4, 0, v4, s[36:37]
	v_cndmask_b32_e64 v3, 0, v3, s[36:37]
	v_add_co_u32_e32 v4, vcc, v4, v46
	v_cmp_eq_u16_sdwa s[34:35], v100, v2 src0_sel:BYTE_0 src1_sel:DWORD
	v_addc_co_u32_e32 v3, vcc, v3, v47, vcc
	;; [unrolled: 5-line block ×16, first 2 shown]
	v_cndmask_b32_e64 v4, 0, v4, s[4:5]
	v_cndmask_b32_e64 v3, 0, v3, s[4:5]
	v_add_co_u32_e32 v4, vcc, v4, v42
	v_addc_co_u32_e32 v3, vcc, v3, v43, vcc
	v_cmp_eq_u16_sdwa vcc, v116, v2 src0_sel:BYTE_0 src1_sel:DWORD
	v_cndmask_b32_e32 v2, 0, v4, vcc
	v_or_b32_e32 v4, v118, v113
	v_or_b32_e32 v4, v4, v112
	;; [unrolled: 1-line block ×15, first 2 shown]
	v_cndmask_b32_e32 v3, 0, v3, vcc
	v_add_co_u32_e32 v2, vcc, v2, v40
	v_or_b32_e32 v4, v4, v1
	v_mbcnt_hi_u32_b32 v5, -1, v117
	v_addc_co_u32_e32 v3, vcc, v3, v41, vcc
	v_and_b32_e32 v4, 1, v4
	v_and_b32_e32 v7, 15, v5
	v_cmp_eq_u32_e32 vcc, 1, v4
	v_mov_b32_dpp v9, v2 row_shr:1 row_mask:0xf bank_mask:0xf
	v_mov_b32_dpp v10, v3 row_shr:1 row_mask:0xf bank_mask:0xf
	v_mov_b32_dpp v8, v4 row_shr:1 row_mask:0xf bank_mask:0xf
	v_cmp_ne_u32_e64 s[40:41], 0, v7
	v_mov_b32_e32 v6, v4
	s_and_saveexec_b64 s[42:43], s[40:41]
; %bb.132:
	v_cndmask_b32_e64 v9, v9, 0, vcc
	v_cndmask_b32_e64 v6, v10, 0, vcc
	v_add_co_u32_e32 v2, vcc, v9, v2
	v_addc_co_u32_e32 v3, vcc, v6, v3, vcc
	v_and_b32_e32 v6, 1, v8
	v_or_b32_e32 v4, v6, v4
	v_and_b32_e32 v6, 0xffff, v4
; %bb.133:
	s_or_b64 exec, exec, s[42:43]
	v_mov_b32_dpp v9, v2 row_shr:2 row_mask:0xf bank_mask:0xf
	v_mov_b32_dpp v10, v3 row_shr:2 row_mask:0xf bank_mask:0xf
	v_mov_b32_dpp v8, v6 row_shr:2 row_mask:0xf bank_mask:0xf
	v_cmp_lt_u32_e32 vcc, 1, v7
	s_and_saveexec_b64 s[42:43], vcc
	s_cbranch_execz .LBB365_135
; %bb.134:
	v_cmp_eq_u16_e32 vcc, 0, v4
	v_cndmask_b32_e32 v9, 0, v9, vcc
	v_cndmask_b32_e32 v6, 0, v10, vcc
	v_add_co_u32_e32 v2, vcc, v9, v2
	v_addc_co_u32_e32 v3, vcc, v6, v3, vcc
	v_and_b32_e32 v4, 1, v4
	v_cmp_eq_u32_e32 vcc, 1, v4
	v_and_b32_e32 v4, 1, v8
	v_cmp_eq_u32_e64 s[40:41], 1, v4
	s_or_b64 s[40:41], vcc, s[40:41]
	v_cndmask_b32_e64 v4, 0, 1, s[40:41]
	v_cndmask_b32_e64 v6, 0, 1, s[40:41]
.LBB365_135:
	s_or_b64 exec, exec, s[42:43]
	v_mov_b32_dpp v9, v2 row_shr:4 row_mask:0xf bank_mask:0xf
	v_mov_b32_dpp v10, v3 row_shr:4 row_mask:0xf bank_mask:0xf
	v_mov_b32_dpp v8, v6 row_shr:4 row_mask:0xf bank_mask:0xf
	v_cmp_lt_u32_e32 vcc, 3, v7
	s_and_saveexec_b64 s[42:43], vcc
	s_cbranch_execz .LBB365_137
; %bb.136:
	v_cmp_eq_u16_e32 vcc, 0, v4
	v_cndmask_b32_e32 v9, 0, v9, vcc
	v_cndmask_b32_e32 v6, 0, v10, vcc
	v_add_co_u32_e32 v2, vcc, v9, v2
	v_addc_co_u32_e32 v3, vcc, v6, v3, vcc
	v_and_b32_e32 v4, 1, v4
	v_cmp_eq_u32_e32 vcc, 1, v4
	v_and_b32_e32 v4, 1, v8
	v_cmp_eq_u32_e64 s[40:41], 1, v4
	s_or_b64 s[40:41], vcc, s[40:41]
	v_cndmask_b32_e64 v4, 0, 1, s[40:41]
	v_cndmask_b32_e64 v6, 0, 1, s[40:41]
.LBB365_137:
	;; [unrolled: 21-line block ×3, first 2 shown]
	s_or_b64 exec, exec, s[42:43]
	v_and_b32_e32 v10, 16, v5
	v_mov_b32_dpp v8, v2 row_bcast:15 row_mask:0xf bank_mask:0xf
	v_mov_b32_dpp v9, v3 row_bcast:15 row_mask:0xf bank_mask:0xf
	;; [unrolled: 1-line block ×3, first 2 shown]
	v_cmp_ne_u32_e32 vcc, 0, v10
	s_and_saveexec_b64 s[42:43], vcc
	s_cbranch_execz .LBB365_141
; %bb.140:
	v_cmp_eq_u16_e32 vcc, 0, v4
	v_cndmask_b32_e32 v8, 0, v8, vcc
	v_cndmask_b32_e32 v6, 0, v9, vcc
	v_add_co_u32_e32 v2, vcc, v8, v2
	v_addc_co_u32_e32 v3, vcc, v6, v3, vcc
	v_and_b32_e32 v4, 1, v4
	v_cmp_eq_u32_e32 vcc, 1, v4
	v_and_b32_e32 v4, 1, v7
	v_cmp_eq_u32_e64 s[40:41], 1, v4
	s_or_b64 s[40:41], vcc, s[40:41]
	v_cndmask_b32_e64 v4, 0, 1, s[40:41]
	v_cndmask_b32_e64 v6, 0, 1, s[40:41]
.LBB365_141:
	s_or_b64 exec, exec, s[42:43]
	v_mov_b32_dpp v7, v2 row_bcast:31 row_mask:0xf bank_mask:0xf
	v_mov_b32_dpp v8, v3 row_bcast:31 row_mask:0xf bank_mask:0xf
	;; [unrolled: 1-line block ×3, first 2 shown]
	v_cmp_lt_u32_e32 vcc, 31, v5
	s_and_saveexec_b64 s[42:43], vcc
; %bb.142:
	v_cmp_eq_u16_e32 vcc, 0, v4
	v_cndmask_b32_e32 v7, 0, v7, vcc
	v_cndmask_b32_e32 v8, 0, v8, vcc
	v_add_co_u32_e32 v2, vcc, v7, v2
	v_addc_co_u32_e32 v3, vcc, v8, v3, vcc
	v_and_b32_e32 v4, 1, v4
	v_cmp_eq_u32_e32 vcc, 1, v4
	v_and_b32_e32 v4, 1, v6
	v_cmp_eq_u32_e64 s[40:41], 1, v4
	s_or_b64 s[40:41], vcc, s[40:41]
	v_cndmask_b32_e64 v4, 0, 1, s[40:41]
; %bb.143:
	s_or_b64 exec, exec, s[42:43]
	v_cmp_eq_u32_e32 vcc, 63, v0
	s_and_saveexec_b64 s[40:41], vcc
	s_cbranch_execz .LBB365_145
; %bb.144:
	v_mov_b32_e32 v6, 0
	ds_write_b64 v6, v[2:3]
	ds_write_b8 v6, v4 offset:8
.LBB365_145:
	s_or_b64 exec, exec, s[40:41]
	v_add_u32_e32 v6, -1, v5
	v_and_b32_e32 v7, 64, v5
	v_cmp_lt_i32_e32 vcc, v6, v7
	v_cndmask_b32_e32 v6, v6, v5, vcc
	v_lshlrev_b32_e32 v6, 2, v6
	ds_bpermute_b32 v12, v6, v2
	v_and_b32_e32 v2, 0xffff, v4
	ds_bpermute_b32 v13, v6, v3
	ds_bpermute_b32 v14, v6, v2
	v_cmp_gt_u32_e32 vcc, 64, v0
	s_waitcnt lgkmcnt(0)
	; wave barrier
	s_waitcnt lgkmcnt(0)
	s_and_saveexec_b64 s[52:53], vcc
	s_cbranch_execz .LBB365_192
; %bb.146:
	v_mov_b32_e32 v7, 0
	ds_read_b64 v[2:3], v7
	ds_read_u8 v15, v7 offset:8
	s_mov_b32 s57, 0
	v_cmp_eq_u32_e64 s[40:41], 0, v5
	s_and_saveexec_b64 s[42:43], s[40:41]
	s_cbranch_execz .LBB365_148
; %bb.147:
	s_add_i32 s56, s51, 64
	s_lshl_b64 s[60:61], s[56:57], 4
	s_add_u32 s60, s44, s60
	s_addc_u32 s61, s45, s61
	v_mov_b32_e32 v4, s56
	v_mov_b32_e32 v6, 1
	s_waitcnt lgkmcnt(1)
	global_store_dwordx2 v7, v[2:3], s[60:61]
	s_waitcnt lgkmcnt(0)
	global_store_byte v7, v15, s[60:61] offset:8
	s_waitcnt vmcnt(0)
	buffer_wbinvl1_vol
	global_store_byte v4, v6, s[48:49]
.LBB365_148:
	s_or_b64 exec, exec, s[42:43]
	v_xad_u32 v4, v5, -1, s51
	v_add_u32_e32 v6, 64, v4
	global_load_ubyte v16, v6, s[48:49] glc
	s_waitcnt vmcnt(0)
	v_cmp_eq_u16_e32 vcc, 0, v16
	s_and_saveexec_b64 s[42:43], vcc
	s_cbranch_execz .LBB365_154
; %bb.149:
	v_mov_b32_e32 v9, s49
	v_add_co_u32_e32 v8, vcc, s48, v6
	v_addc_co_u32_e32 v9, vcc, 0, v9, vcc
	s_mov_b32 s60, 1
	s_mov_b64 s[56:57], 0
.LBB365_150:                            ; =>This Loop Header: Depth=1
                                        ;     Child Loop BB365_151 Depth 2
	s_max_u32 s61, s60, 1
.LBB365_151:                            ;   Parent Loop BB365_150 Depth=1
                                        ; =>  This Inner Loop Header: Depth=2
	s_add_i32 s61, s61, -1
	s_cmp_eq_u32 s61, 0
	s_sleep 1
	s_cbranch_scc0 .LBB365_151
; %bb.152:                              ;   in Loop: Header=BB365_150 Depth=1
	global_load_ubyte v16, v[8:9], off glc
	s_cmp_lt_u32 s60, 32
	s_cselect_b64 s[68:69], -1, 0
	s_cmp_lg_u64 s[68:69], 0
	s_addc_u32 s60, s60, 0
	s_waitcnt vmcnt(0)
	v_cmp_ne_u16_e32 vcc, 0, v16
	s_or_b64 s[56:57], vcc, s[56:57]
	s_andn2_b64 exec, exec, s[56:57]
	s_cbranch_execnz .LBB365_150
; %bb.153:
	s_or_b64 exec, exec, s[56:57]
.LBB365_154:
	s_or_b64 exec, exec, s[42:43]
	v_mov_b32_e32 v8, s47
	v_mov_b32_e32 v9, s45
	v_cmp_eq_u16_e32 vcc, 1, v16
	v_cndmask_b32_e32 v8, v8, v9, vcc
	v_mov_b32_e32 v9, s46
	v_mov_b32_e32 v10, s44
	v_cndmask_b32_e32 v9, v9, v10, vcc
	v_lshlrev_b64 v[6:7], 4, v[6:7]
	v_add_co_u32_e32 v6, vcc, v9, v6
	v_addc_co_u32_e32 v7, vcc, v8, v7, vcc
	s_waitcnt lgkmcnt(0)
	buffer_wbinvl1_vol
	global_load_dwordx2 v[10:11], v[6:7], off
	global_load_ubyte v31, v[6:7], off offset:8
	v_cmp_eq_u16_e32 vcc, 2, v16
	v_lshlrev_b64 v[6:7], v5, -1
	v_and_b32_e32 v17, 63, v5
	v_and_b32_e32 v8, vcc_hi, v7
	v_and_b32_e32 v22, vcc_lo, v6
	v_cmp_ne_u32_e32 vcc, 63, v17
	v_addc_co_u32_e32 v9, vcc, 0, v5, vcc
	v_lshlrev_b32_e32 v18, 2, v9
	v_or_b32_e32 v8, 0x80000000, v8
	v_ffbl_b32_e32 v8, v8
	v_add_u32_e32 v8, 32, v8
	v_ffbl_b32_e32 v22, v22
	v_min_u32_e32 v8, v22, v8
	v_cmp_lt_u32_e32 vcc, v17, v8
	s_waitcnt vmcnt(1)
	ds_bpermute_b32 v20, v18, v10
	s_waitcnt vmcnt(0)
	v_and_b32_e32 v9, 1, v31
	ds_bpermute_b32 v21, v18, v11
	ds_bpermute_b32 v19, v18, v9
	s_and_saveexec_b64 s[42:43], vcc
	s_cbranch_execz .LBB365_156
; %bb.155:
	v_mov_b32_e32 v9, 0
	v_cmp_eq_u16_sdwa vcc, v31, v9 src0_sel:BYTE_0 src1_sel:DWORD
	s_waitcnt lgkmcnt(2)
	v_cndmask_b32_e32 v20, 0, v20, vcc
	s_waitcnt lgkmcnt(1)
	v_cndmask_b32_e32 v9, 0, v21, vcc
	v_add_co_u32_e32 v10, vcc, v20, v10
	v_addc_co_u32_e32 v11, vcc, v9, v11, vcc
	s_waitcnt lgkmcnt(0)
	v_and_b32_e32 v9, 1, v19
	v_or_b32_e32 v31, v9, v31
	v_and_b32_e32 v9, 0xff, v31
.LBB365_156:
	s_or_b64 exec, exec, s[42:43]
	v_cmp_gt_u32_e32 vcc, 62, v17
	s_waitcnt lgkmcnt(0)
	v_cndmask_b32_e64 v19, 0, 1, vcc
	v_lshlrev_b32_e32 v19, 1, v19
	v_add_lshl_u32 v19, v19, v5, 2
	ds_bpermute_b32 v22, v19, v10
	ds_bpermute_b32 v23, v19, v11
	ds_bpermute_b32 v21, v19, v9
	v_add_u32_e32 v20, 2, v17
	v_cmp_le_u32_e32 vcc, v20, v8
	s_and_saveexec_b64 s[56:57], vcc
	s_cbranch_execz .LBB365_158
; %bb.157:
	v_mov_b32_e32 v9, 0
	v_cmp_eq_u16_sdwa vcc, v31, v9 src0_sel:BYTE_0 src1_sel:DWORD
	s_waitcnt lgkmcnt(2)
	v_cndmask_b32_e32 v22, 0, v22, vcc
	s_waitcnt lgkmcnt(1)
	v_cndmask_b32_e32 v9, 0, v23, vcc
	v_add_co_u32_e32 v10, vcc, v22, v10
	v_addc_co_u32_e32 v11, vcc, v9, v11, vcc
	v_and_b32_e32 v9, 1, v31
	v_cmp_eq_u32_e32 vcc, 1, v9
	s_waitcnt lgkmcnt(0)
	v_and_b32_e32 v9, 1, v21
	v_cmp_eq_u32_e64 s[42:43], 1, v9
	s_or_b64 s[42:43], vcc, s[42:43]
	v_cndmask_b32_e64 v31, 0, 1, s[42:43]
	v_cndmask_b32_e64 v9, 0, 1, s[42:43]
.LBB365_158:
	s_or_b64 exec, exec, s[56:57]
	v_cmp_gt_u32_e32 vcc, 60, v17
	s_waitcnt lgkmcnt(0)
	v_cndmask_b32_e64 v21, 0, 1, vcc
	v_lshlrev_b32_e32 v21, 2, v21
	v_add_lshl_u32 v21, v21, v5, 2
	ds_bpermute_b32 v24, v21, v10
	ds_bpermute_b32 v25, v21, v11
	ds_bpermute_b32 v23, v21, v9
	v_add_u32_e32 v22, 4, v17
	v_cmp_le_u32_e32 vcc, v22, v8
	s_and_saveexec_b64 s[56:57], vcc
	s_cbranch_execz .LBB365_160
; %bb.159:
	v_mov_b32_e32 v9, 0
	v_cmp_eq_u16_sdwa vcc, v31, v9 src0_sel:BYTE_0 src1_sel:DWORD
	s_waitcnt lgkmcnt(2)
	v_cndmask_b32_e32 v24, 0, v24, vcc
	s_waitcnt lgkmcnt(1)
	v_cndmask_b32_e32 v9, 0, v25, vcc
	v_add_co_u32_e32 v10, vcc, v24, v10
	v_addc_co_u32_e32 v11, vcc, v9, v11, vcc
	v_and_b32_e32 v9, 1, v31
	v_cmp_eq_u32_e32 vcc, 1, v9
	s_waitcnt lgkmcnt(0)
	v_and_b32_e32 v9, 1, v23
	v_cmp_eq_u32_e64 s[42:43], 1, v9
	s_or_b64 s[42:43], vcc, s[42:43]
	v_cndmask_b32_e64 v31, 0, 1, s[42:43]
	v_cndmask_b32_e64 v9, 0, 1, s[42:43]
.LBB365_160:
	s_or_b64 exec, exec, s[56:57]
	v_cmp_gt_u32_e32 vcc, 56, v17
	s_waitcnt lgkmcnt(0)
	v_cndmask_b32_e64 v23, 0, 1, vcc
	v_lshlrev_b32_e32 v23, 3, v23
	v_add_lshl_u32 v23, v23, v5, 2
	ds_bpermute_b32 v26, v23, v10
	ds_bpermute_b32 v27, v23, v11
	ds_bpermute_b32 v25, v23, v9
	v_add_u32_e32 v24, 8, v17
	v_cmp_le_u32_e32 vcc, v24, v8
	s_and_saveexec_b64 s[56:57], vcc
	s_cbranch_execz .LBB365_162
; %bb.161:
	v_mov_b32_e32 v9, 0
	v_cmp_eq_u16_sdwa vcc, v31, v9 src0_sel:BYTE_0 src1_sel:DWORD
	s_waitcnt lgkmcnt(2)
	v_cndmask_b32_e32 v26, 0, v26, vcc
	s_waitcnt lgkmcnt(1)
	v_cndmask_b32_e32 v9, 0, v27, vcc
	v_add_co_u32_e32 v10, vcc, v26, v10
	v_addc_co_u32_e32 v11, vcc, v9, v11, vcc
	v_and_b32_e32 v9, 1, v31
	v_cmp_eq_u32_e32 vcc, 1, v9
	s_waitcnt lgkmcnt(0)
	v_and_b32_e32 v9, 1, v25
	v_cmp_eq_u32_e64 s[42:43], 1, v9
	s_or_b64 s[42:43], vcc, s[42:43]
	v_cndmask_b32_e64 v31, 0, 1, s[42:43]
	v_cndmask_b32_e64 v9, 0, 1, s[42:43]
.LBB365_162:
	s_or_b64 exec, exec, s[56:57]
	v_cmp_gt_u32_e32 vcc, 48, v17
	s_waitcnt lgkmcnt(0)
	v_cndmask_b32_e64 v25, 0, 1, vcc
	v_lshlrev_b32_e32 v25, 4, v25
	v_add_lshl_u32 v25, v25, v5, 2
	ds_bpermute_b32 v28, v25, v10
	ds_bpermute_b32 v29, v25, v11
	ds_bpermute_b32 v27, v25, v9
	v_add_u32_e32 v26, 16, v17
	v_cmp_le_u32_e32 vcc, v26, v8
	s_and_saveexec_b64 s[56:57], vcc
	s_cbranch_execz .LBB365_164
; %bb.163:
	v_mov_b32_e32 v9, 0
	v_cmp_eq_u16_sdwa vcc, v31, v9 src0_sel:BYTE_0 src1_sel:DWORD
	s_waitcnt lgkmcnt(2)
	v_cndmask_b32_e32 v28, 0, v28, vcc
	s_waitcnt lgkmcnt(1)
	v_cndmask_b32_e32 v9, 0, v29, vcc
	v_add_co_u32_e32 v10, vcc, v28, v10
	v_addc_co_u32_e32 v11, vcc, v9, v11, vcc
	v_and_b32_e32 v9, 1, v31
	v_cmp_eq_u32_e32 vcc, 1, v9
	s_waitcnt lgkmcnt(0)
	v_and_b32_e32 v9, 1, v27
	v_cmp_eq_u32_e64 s[42:43], 1, v9
	s_or_b64 s[42:43], vcc, s[42:43]
	v_cndmask_b32_e64 v31, 0, 1, s[42:43]
	v_cndmask_b32_e64 v9, 0, 1, s[42:43]
.LBB365_164:
	s_or_b64 exec, exec, s[56:57]
	v_cmp_gt_u32_e32 vcc, 32, v17
	s_waitcnt lgkmcnt(0)
	v_cndmask_b32_e64 v27, 0, 1, vcc
	v_lshlrev_b32_e32 v27, 5, v27
	v_add_lshl_u32 v28, v27, v5, 2
	ds_bpermute_b32 v27, v28, v10
	ds_bpermute_b32 v30, v28, v11
	;; [unrolled: 1-line block ×3, first 2 shown]
	v_add_u32_e32 v29, 32, v17
	v_cmp_le_u32_e32 vcc, v29, v8
	s_and_saveexec_b64 s[56:57], vcc
	s_cbranch_execz .LBB365_166
; %bb.165:
	v_mov_b32_e32 v8, 0
	v_cmp_eq_u16_sdwa vcc, v31, v8 src0_sel:BYTE_0 src1_sel:DWORD
	s_waitcnt lgkmcnt(2)
	v_cndmask_b32_e32 v9, 0, v27, vcc
	s_waitcnt lgkmcnt(1)
	v_cndmask_b32_e32 v8, 0, v30, vcc
	v_add_co_u32_e32 v10, vcc, v9, v10
	v_addc_co_u32_e32 v11, vcc, v8, v11, vcc
	v_and_b32_e32 v8, 1, v31
	s_waitcnt lgkmcnt(0)
	v_and_b32_e32 v5, 1, v5
	v_cmp_eq_u32_e32 vcc, 1, v8
	v_cmp_eq_u32_e64 s[42:43], 1, v5
	s_or_b64 s[42:43], vcc, s[42:43]
	v_cndmask_b32_e64 v31, 0, 1, s[42:43]
.LBB365_166:
	s_or_b64 exec, exec, s[56:57]
	s_waitcnt lgkmcnt(0)
	v_mov_b32_e32 v5, 0
	v_mov_b32_e32 v30, 2
	s_branch .LBB365_168
.LBB365_167:                            ;   in Loop: Header=BB365_168 Depth=1
	s_or_b64 exec, exec, s[60:61]
	v_cmp_eq_u16_sdwa vcc, v27, v5 src0_sel:BYTE_0 src1_sel:DWORD
	v_cndmask_b32_e32 v10, 0, v10, vcc
	v_cndmask_b32_e32 v11, 0, v11, vcc
	v_add_co_u32_e32 v10, vcc, v10, v8
	v_addc_co_u32_e32 v11, vcc, v11, v9, vcc
	v_and_b32_e32 v31, 1, v27
	v_cmp_eq_u32_e32 vcc, 1, v31
	s_or_b64 s[42:43], vcc, s[56:57]
	v_subrev_u32_e32 v4, 64, v4
	v_cndmask_b32_e64 v31, 0, 1, s[42:43]
.LBB365_168:                            ; =>This Loop Header: Depth=1
                                        ;     Child Loop BB365_171 Depth 2
                                        ;       Child Loop BB365_172 Depth 3
	v_cmp_ne_u16_sdwa s[42:43], v16, v30 src0_sel:BYTE_0 src1_sel:DWORD
	v_cndmask_b32_e64 v8, 0, 1, s[42:43]
	;;#ASMSTART
	;;#ASMEND
	v_cmp_ne_u32_e32 vcc, 0, v8
	v_mov_b32_e32 v27, v31
	s_cmp_lg_u64 vcc, exec
	v_pk_mov_b32 v[8:9], v[10:11], v[10:11] op_sel:[0,1]
	s_cbranch_scc1 .LBB365_187
; %bb.169:                              ;   in Loop: Header=BB365_168 Depth=1
	global_load_ubyte v16, v4, s[48:49] glc
	s_waitcnt vmcnt(0)
	v_cmp_eq_u16_e32 vcc, 0, v16
	s_and_saveexec_b64 s[42:43], vcc
	s_cbranch_execz .LBB365_175
; %bb.170:                              ;   in Loop: Header=BB365_168 Depth=1
	v_mov_b32_e32 v11, s49
	v_add_co_u32_e32 v10, vcc, s48, v4
	v_addc_co_u32_e32 v11, vcc, 0, v11, vcc
	s_mov_b32 s60, 1
	s_mov_b64 s[56:57], 0
.LBB365_171:                            ;   Parent Loop BB365_168 Depth=1
                                        ; =>  This Loop Header: Depth=2
                                        ;       Child Loop BB365_172 Depth 3
	s_max_u32 s61, s60, 1
.LBB365_172:                            ;   Parent Loop BB365_168 Depth=1
                                        ;     Parent Loop BB365_171 Depth=2
                                        ; =>    This Inner Loop Header: Depth=3
	s_add_i32 s61, s61, -1
	s_cmp_eq_u32 s61, 0
	s_sleep 1
	s_cbranch_scc0 .LBB365_172
; %bb.173:                              ;   in Loop: Header=BB365_171 Depth=2
	global_load_ubyte v16, v[10:11], off glc
	s_cmp_lt_u32 s60, 32
	s_cselect_b64 s[68:69], -1, 0
	s_cmp_lg_u64 s[68:69], 0
	s_addc_u32 s60, s60, 0
	s_waitcnt vmcnt(0)
	v_cmp_ne_u16_e32 vcc, 0, v16
	s_or_b64 s[56:57], vcc, s[56:57]
	s_andn2_b64 exec, exec, s[56:57]
	s_cbranch_execnz .LBB365_171
; %bb.174:                              ;   in Loop: Header=BB365_168 Depth=1
	s_or_b64 exec, exec, s[56:57]
.LBB365_175:                            ;   in Loop: Header=BB365_168 Depth=1
	s_or_b64 exec, exec, s[42:43]
	v_mov_b32_e32 v10, s47
	v_mov_b32_e32 v11, s45
	v_cmp_eq_u16_e32 vcc, 1, v16
	v_cndmask_b32_e32 v31, v10, v11, vcc
	v_mov_b32_e32 v10, s46
	v_mov_b32_e32 v11, s44
	v_cndmask_b32_e32 v32, v10, v11, vcc
	v_lshlrev_b64 v[10:11], 4, v[4:5]
	v_add_co_u32_e32 v32, vcc, v32, v10
	s_waitcnt lgkmcnt(0)
	v_addc_co_u32_e32 v33, vcc, v31, v11, vcc
	buffer_wbinvl1_vol
	global_load_dwordx2 v[10:11], v[32:33], off
	global_load_ubyte v31, v[32:33], off offset:8
	v_cmp_eq_u16_e32 vcc, 2, v16
	v_and_b32_e32 v32, vcc_hi, v7
	v_or_b32_e32 v32, 0x80000000, v32
	v_and_b32_e32 v37, vcc_lo, v6
	v_ffbl_b32_e32 v32, v32
	v_add_u32_e32 v32, 32, v32
	v_ffbl_b32_e32 v37, v37
	v_min_u32_e32 v32, v37, v32
	v_cmp_lt_u32_e32 vcc, v17, v32
	s_waitcnt vmcnt(1)
	ds_bpermute_b32 v35, v18, v10
	s_waitcnt vmcnt(0)
	v_and_b32_e32 v33, 1, v31
	ds_bpermute_b32 v36, v18, v11
	ds_bpermute_b32 v34, v18, v33
	s_and_saveexec_b64 s[42:43], vcc
	s_cbranch_execz .LBB365_177
; %bb.176:                              ;   in Loop: Header=BB365_168 Depth=1
	v_cmp_eq_u16_sdwa vcc, v31, v5 src0_sel:BYTE_0 src1_sel:DWORD
	s_waitcnt lgkmcnt(2)
	v_cndmask_b32_e32 v35, 0, v35, vcc
	s_waitcnt lgkmcnt(1)
	v_cndmask_b32_e32 v33, 0, v36, vcc
	v_add_co_u32_e32 v10, vcc, v35, v10
	v_addc_co_u32_e32 v11, vcc, v33, v11, vcc
	s_waitcnt lgkmcnt(0)
	v_and_b32_e32 v33, 1, v34
	v_or_b32_e32 v31, v33, v31
	v_and_b32_e32 v33, 0xff, v31
.LBB365_177:                            ;   in Loop: Header=BB365_168 Depth=1
	s_or_b64 exec, exec, s[42:43]
	s_waitcnt lgkmcnt(2)
	ds_bpermute_b32 v35, v19, v10
	s_waitcnt lgkmcnt(2)
	ds_bpermute_b32 v36, v19, v11
	;; [unrolled: 2-line block ×3, first 2 shown]
	v_and_b32_e32 v37, 1, v31
	v_cmp_le_u32_e32 vcc, v20, v32
	v_cmp_eq_u32_e64 s[56:57], 1, v37
	s_and_saveexec_b64 s[42:43], vcc
	s_cbranch_execz .LBB365_179
; %bb.178:                              ;   in Loop: Header=BB365_168 Depth=1
	v_cmp_eq_u16_sdwa vcc, v31, v5 src0_sel:BYTE_0 src1_sel:DWORD
	s_waitcnt lgkmcnt(2)
	v_cndmask_b32_e32 v33, 0, v35, vcc
	s_waitcnt lgkmcnt(1)
	v_cndmask_b32_e32 v31, 0, v36, vcc
	v_add_co_u32_e32 v10, vcc, v33, v10
	v_addc_co_u32_e32 v11, vcc, v31, v11, vcc
	s_waitcnt lgkmcnt(0)
	v_and_b32_e32 v31, 1, v34
	v_cmp_eq_u32_e32 vcc, 1, v31
	s_or_b64 s[60:61], s[56:57], vcc
	v_cndmask_b32_e64 v31, 0, 1, s[60:61]
	v_cndmask_b32_e64 v33, 0, 1, s[60:61]
	s_andn2_b64 s[56:57], s[56:57], exec
	s_and_b64 s[60:61], s[60:61], exec
	s_or_b64 s[56:57], s[56:57], s[60:61]
.LBB365_179:                            ;   in Loop: Header=BB365_168 Depth=1
	s_or_b64 exec, exec, s[42:43]
	s_waitcnt lgkmcnt(2)
	ds_bpermute_b32 v35, v21, v10
	s_waitcnt lgkmcnt(2)
	ds_bpermute_b32 v36, v21, v11
	s_waitcnt lgkmcnt(2)
	ds_bpermute_b32 v34, v21, v33
	v_cmp_le_u32_e32 vcc, v22, v32
	s_and_saveexec_b64 s[60:61], vcc
	s_cbranch_execz .LBB365_181
; %bb.180:                              ;   in Loop: Header=BB365_168 Depth=1
	v_cmp_eq_u16_sdwa vcc, v31, v5 src0_sel:BYTE_0 src1_sel:DWORD
	s_waitcnt lgkmcnt(2)
	v_cndmask_b32_e32 v35, 0, v35, vcc
	s_waitcnt lgkmcnt(1)
	v_cndmask_b32_e32 v33, 0, v36, vcc
	v_add_co_u32_e32 v10, vcc, v35, v10
	v_addc_co_u32_e32 v11, vcc, v33, v11, vcc
	v_and_b32_e32 v31, 1, v31
	v_cmp_eq_u32_e32 vcc, 1, v31
	s_waitcnt lgkmcnt(0)
	v_and_b32_e32 v31, 1, v34
	v_cmp_eq_u32_e64 s[42:43], 1, v31
	s_or_b64 s[42:43], vcc, s[42:43]
	v_cndmask_b32_e64 v31, 0, 1, s[42:43]
	v_cndmask_b32_e64 v33, 0, 1, s[42:43]
	s_andn2_b64 s[56:57], s[56:57], exec
	s_and_b64 s[42:43], s[42:43], exec
	s_or_b64 s[56:57], s[56:57], s[42:43]
.LBB365_181:                            ;   in Loop: Header=BB365_168 Depth=1
	s_or_b64 exec, exec, s[60:61]
	s_waitcnt lgkmcnt(2)
	ds_bpermute_b32 v35, v23, v10
	s_waitcnt lgkmcnt(2)
	ds_bpermute_b32 v36, v23, v11
	s_waitcnt lgkmcnt(2)
	ds_bpermute_b32 v34, v23, v33
	v_cmp_le_u32_e32 vcc, v24, v32
	s_and_saveexec_b64 s[60:61], vcc
	s_cbranch_execz .LBB365_183
; %bb.182:                              ;   in Loop: Header=BB365_168 Depth=1
	v_cmp_eq_u16_sdwa vcc, v31, v5 src0_sel:BYTE_0 src1_sel:DWORD
	s_waitcnt lgkmcnt(2)
	v_cndmask_b32_e32 v35, 0, v35, vcc
	s_waitcnt lgkmcnt(1)
	v_cndmask_b32_e32 v33, 0, v36, vcc
	v_add_co_u32_e32 v10, vcc, v35, v10
	v_addc_co_u32_e32 v11, vcc, v33, v11, vcc
	v_and_b32_e32 v31, 1, v31
	v_cmp_eq_u32_e32 vcc, 1, v31
	s_waitcnt lgkmcnt(0)
	v_and_b32_e32 v31, 1, v34
	v_cmp_eq_u32_e64 s[42:43], 1, v31
	s_or_b64 s[42:43], vcc, s[42:43]
	v_cndmask_b32_e64 v31, 0, 1, s[42:43]
	v_cndmask_b32_e64 v33, 0, 1, s[42:43]
	s_andn2_b64 s[56:57], s[56:57], exec
	s_and_b64 s[42:43], s[42:43], exec
	s_or_b64 s[56:57], s[56:57], s[42:43]
.LBB365_183:                            ;   in Loop: Header=BB365_168 Depth=1
	s_or_b64 exec, exec, s[60:61]
	s_waitcnt lgkmcnt(2)
	ds_bpermute_b32 v35, v25, v10
	s_waitcnt lgkmcnt(2)
	ds_bpermute_b32 v36, v25, v11
	s_waitcnt lgkmcnt(2)
	ds_bpermute_b32 v34, v25, v33
	v_cmp_le_u32_e32 vcc, v26, v32
	s_and_saveexec_b64 s[60:61], vcc
	s_cbranch_execz .LBB365_185
; %bb.184:                              ;   in Loop: Header=BB365_168 Depth=1
	v_cmp_eq_u16_sdwa vcc, v31, v5 src0_sel:BYTE_0 src1_sel:DWORD
	s_waitcnt lgkmcnt(2)
	v_cndmask_b32_e32 v35, 0, v35, vcc
	s_waitcnt lgkmcnt(1)
	v_cndmask_b32_e32 v33, 0, v36, vcc
	v_add_co_u32_e32 v10, vcc, v35, v10
	v_addc_co_u32_e32 v11, vcc, v33, v11, vcc
	v_and_b32_e32 v31, 1, v31
	v_cmp_eq_u32_e32 vcc, 1, v31
	s_waitcnt lgkmcnt(0)
	v_and_b32_e32 v31, 1, v34
	v_cmp_eq_u32_e64 s[42:43], 1, v31
	s_or_b64 s[42:43], vcc, s[42:43]
	v_cndmask_b32_e64 v31, 0, 1, s[42:43]
	v_cndmask_b32_e64 v33, 0, 1, s[42:43]
	s_andn2_b64 s[56:57], s[56:57], exec
	s_and_b64 s[42:43], s[42:43], exec
	s_or_b64 s[56:57], s[56:57], s[42:43]
.LBB365_185:                            ;   in Loop: Header=BB365_168 Depth=1
	s_or_b64 exec, exec, s[60:61]
	s_waitcnt lgkmcnt(0)
	ds_bpermute_b32 v34, v28, v10
	ds_bpermute_b32 v35, v28, v11
	;; [unrolled: 1-line block ×3, first 2 shown]
	v_cmp_le_u32_e32 vcc, v29, v32
	s_and_saveexec_b64 s[60:61], vcc
	s_cbranch_execz .LBB365_167
; %bb.186:                              ;   in Loop: Header=BB365_168 Depth=1
	v_cmp_eq_u16_sdwa vcc, v31, v5 src0_sel:BYTE_0 src1_sel:DWORD
	s_waitcnt lgkmcnt(2)
	v_cndmask_b32_e32 v34, 0, v34, vcc
	s_waitcnt lgkmcnt(1)
	v_cndmask_b32_e32 v32, 0, v35, vcc
	v_add_co_u32_e32 v10, vcc, v34, v10
	v_addc_co_u32_e32 v11, vcc, v32, v11, vcc
	v_and_b32_e32 v31, 1, v31
	v_cmp_eq_u32_e32 vcc, 1, v31
	s_waitcnt lgkmcnt(0)
	v_and_b32_e32 v31, 1, v33
	v_cmp_eq_u32_e64 s[42:43], 1, v31
	s_or_b64 s[42:43], vcc, s[42:43]
	s_andn2_b64 s[56:57], s[56:57], exec
	s_and_b64 s[42:43], s[42:43], exec
	s_or_b64 s[56:57], s[56:57], s[42:43]
	s_branch .LBB365_167
.LBB365_187:                            ;   in Loop: Header=BB365_168 Depth=1
                                        ; implicit-def: $vgpr31
                                        ; implicit-def: $vgpr10_vgpr11
                                        ; implicit-def: $vgpr16
	s_cbranch_execz .LBB365_168
; %bb.188:
	s_and_saveexec_b64 s[42:43], s[40:41]
	s_cbranch_execz .LBB365_190
; %bb.189:
	v_mov_b32_e32 v4, 0
	s_mov_b32 s41, 0
	v_cmp_eq_u16_sdwa vcc, v15, v4 src0_sel:BYTE_0 src1_sel:DWORD
	s_add_i32 s40, s51, 64
	v_cndmask_b32_e32 v6, 0, v8, vcc
	s_lshl_b64 s[44:45], s[40:41], 4
	v_cndmask_b32_e32 v5, 0, v9, vcc
	v_add_co_u32_e32 v2, vcc, v6, v2
	s_add_u32 s44, s46, s44
	v_addc_co_u32_e32 v3, vcc, v5, v3, vcc
	v_or_b32_e32 v5, v15, v27
	s_addc_u32 s45, s47, s45
	v_and_b32_e32 v5, 1, v5
	global_store_dwordx2 v4, v[2:3], s[44:45]
	global_store_byte v4, v5, s[44:45] offset:8
	v_mov_b32_e32 v2, s40
	v_mov_b32_e32 v3, 2
	s_waitcnt vmcnt(0) lgkmcnt(0)
	buffer_wbinvl1_vol
	global_store_byte v2, v3, s[48:49]
.LBB365_190:
	s_or_b64 exec, exec, s[42:43]
	s_and_b64 exec, exec, s[0:1]
	s_cbranch_execz .LBB365_192
; %bb.191:
	v_mov_b32_e32 v2, 0
	ds_write_b64 v2, v[8:9]
	ds_write_b8 v2, v27 offset:8
.LBB365_192:
	s_or_b64 exec, exec, s[52:53]
	v_mov_b32_e32 v4, 0
	s_waitcnt lgkmcnt(0)
	; wave barrier
	s_waitcnt lgkmcnt(0)
	ds_read_b64 v[2:3], v4
	v_cmp_eq_u32_sdwa vcc, v14, v4 src0_sel:BYTE_0 src1_sel:DWORD
	s_waitcnt lgkmcnt(0)
	v_cndmask_b32_e32 v6, 0, v2, vcc
	v_cndmask_b32_e32 v5, 0, v3, vcc
	v_add_co_u32_e32 v6, vcc, v12, v6
	v_addc_co_u32_e32 v5, vcc, v13, v5, vcc
	v_cndmask_b32_e64 v78, v6, v2, s[0:1]
	v_cmp_eq_u16_sdwa vcc, v1, v4 src0_sel:BYTE_0 src1_sel:DWORD
	v_cndmask_b32_e64 v79, v5, v3, s[0:1]
	v_cndmask_b32_e32 v3, 0, v78, vcc
	v_cndmask_b32_e32 v2, 0, v79, vcc
	v_add_co_u32_e32 v4, vcc, v3, v76
	v_addc_co_u32_e32 v5, vcc, v2, v77, vcc
	v_cndmask_b32_e64 v3, 0, v4, s[38:39]
	v_cndmask_b32_e64 v2, 0, v5, s[38:39]
	v_add_co_u32_e32 v6, vcc, v3, v38
	v_addc_co_u32_e32 v7, vcc, v2, v39, vcc
	v_cndmask_b32_e64 v3, 0, v6, s[36:37]
	v_cndmask_b32_e64 v2, 0, v7, s[36:37]
	;; [unrolled: 4-line block ×17, first 2 shown]
	s_branch .LBB365_213
.LBB365_193:
                                        ; implicit-def: $vgpr78_vgpr79
                                        ; implicit-def: $vgpr96_vgpr97
                                        ; implicit-def: $vgpr94_vgpr95
                                        ; implicit-def: $vgpr92_vgpr93
                                        ; implicit-def: $vgpr90_vgpr91
                                        ; implicit-def: $vgpr88_vgpr89
                                        ; implicit-def: $vgpr86_vgpr87
                                        ; implicit-def: $vgpr84_vgpr85
                                        ; implicit-def: $vgpr82_vgpr83
                                        ; implicit-def: $vgpr80_vgpr81
                                        ; implicit-def: $vgpr34_vgpr35_vgpr36_vgpr37
                                        ; implicit-def: $vgpr30_vgpr31_vgpr32_vgpr33
                                        ; implicit-def: $vgpr26_vgpr27_vgpr28_vgpr29
                                        ; implicit-def: $vgpr22_vgpr23_vgpr24_vgpr25
                                        ; implicit-def: $vgpr18_vgpr19_vgpr20_vgpr21
                                        ; implicit-def: $vgpr14_vgpr15_vgpr16_vgpr17
                                        ; implicit-def: $vgpr10_vgpr11_vgpr12_vgpr13
                                        ; implicit-def: $vgpr6_vgpr7_vgpr8_vgpr9
                                        ; implicit-def: $vgpr2_vgpr3_vgpr4_vgpr5
	s_cbranch_execz .LBB365_213
; %bb.194:
	s_cmp_lg_u64 s[66:67], 0
	s_cselect_b32 s5, s63, 0
	s_cselect_b32 s4, s62, 0
	s_cmp_eq_u64 s[4:5], 0
	v_pk_mov_b32 v[2:3], s[64:65], s[64:65] op_sel:[0,1]
	s_cbranch_scc1 .LBB365_196
; %bb.195:
	v_mov_b32_e32 v2, 0
	global_load_dwordx2 v[2:3], v2, s[4:5]
.LBB365_196:
	v_mov_b32_e32 v4, 0
	v_cmp_eq_u16_sdwa s[36:37], v98, v4 src0_sel:BYTE_0 src1_sel:DWORD
	v_cndmask_b32_e64 v6, 0, v76, s[36:37]
	v_cndmask_b32_e64 v5, 0, v77, s[36:37]
	v_add_co_u32_e32 v6, vcc, v6, v38
	v_cmp_eq_u16_sdwa s[34:35], v99, v4 src0_sel:BYTE_0 src1_sel:DWORD
	v_addc_co_u32_e32 v5, vcc, v5, v39, vcc
	v_cndmask_b32_e64 v6, 0, v6, s[34:35]
	v_cndmask_b32_e64 v5, 0, v5, s[34:35]
	v_add_co_u32_e32 v6, vcc, v6, v46
	v_cmp_eq_u16_sdwa s[30:31], v100, v4 src0_sel:BYTE_0 src1_sel:DWORD
	v_addc_co_u32_e32 v5, vcc, v5, v47, vcc
	;; [unrolled: 5-line block ×15, first 2 shown]
	v_cndmask_b32_e64 v6, 0, v6, s[4:5]
	v_cndmask_b32_e64 v5, 0, v5, s[4:5]
	v_add_co_u32_e32 v6, vcc, v6, v72
	v_addc_co_u32_e32 v5, vcc, v5, v73, vcc
	v_cmp_eq_u16_sdwa vcc, v101, v4 src0_sel:BYTE_0 src1_sel:DWORD
	v_cndmask_b32_e32 v6, 0, v6, vcc
	v_cndmask_b32_e32 v5, 0, v5, vcc
	v_add_co_u32_e64 v6, s[38:39], v6, v42
	v_addc_co_u32_e64 v5, s[38:39], v5, v43, s[38:39]
	v_cmp_eq_u16_sdwa s[38:39], v116, v4 src0_sel:BYTE_0 src1_sel:DWORD
	v_cndmask_b32_e64 v4, 0, v6, s[38:39]
	v_or_b32_e32 v6, v118, v113
	v_or_b32_e32 v6, v6, v112
	v_or_b32_e32 v6, v6, v111
	v_or_b32_e32 v6, v6, v110
	v_or_b32_e32 v6, v6, v109
	v_or_b32_e32 v6, v6, v108
	v_or_b32_e32 v6, v6, v107
	v_or_b32_e32 v6, v6, v106
	v_or_b32_e32 v6, v6, v105
	v_or_b32_e32 v6, v6, v104
	v_or_b32_e32 v6, v6, v103
	v_or_b32_e32 v6, v6, v102
	v_or_b32_e32 v6, v6, v100
	v_or_b32_e32 v6, v6, v99
	v_or_b32_e32 v6, v6, v98
	v_or_b32_e32 v6, v6, v1
	v_cndmask_b32_e64 v5, 0, v5, s[38:39]
	v_add_co_u32_e64 v4, s[38:39], v4, v40
	v_and_b32_e32 v7, 1, v6
	v_mbcnt_hi_u32_b32 v6, -1, v117
	v_addc_co_u32_e64 v5, s[38:39], v5, v41, s[38:39]
	v_and_b32_e32 v9, 15, v6
	v_cmp_eq_u32_e64 s[38:39], 1, v7
	v_mov_b32_dpp v11, v4 row_shr:1 row_mask:0xf bank_mask:0xf
	v_mov_b32_dpp v12, v5 row_shr:1 row_mask:0xf bank_mask:0xf
	v_mov_b32_dpp v10, v7 row_shr:1 row_mask:0xf bank_mask:0xf
	v_cmp_ne_u32_e64 s[40:41], 0, v9
	v_mov_b32_e32 v8, v7
	s_and_saveexec_b64 s[42:43], s[40:41]
; %bb.197:
	v_cndmask_b32_e64 v11, v11, 0, s[38:39]
	v_cndmask_b32_e64 v8, v12, 0, s[38:39]
	v_add_co_u32_e64 v4, s[38:39], v11, v4
	v_addc_co_u32_e64 v5, s[38:39], v8, v5, s[38:39]
	v_and_b32_e32 v8, 1, v10
	v_or_b32_e32 v7, v8, v7
	v_and_b32_e32 v8, 0xffff, v7
; %bb.198:
	s_or_b64 exec, exec, s[42:43]
	v_mov_b32_dpp v11, v4 row_shr:2 row_mask:0xf bank_mask:0xf
	v_mov_b32_dpp v12, v5 row_shr:2 row_mask:0xf bank_mask:0xf
	v_mov_b32_dpp v10, v8 row_shr:2 row_mask:0xf bank_mask:0xf
	v_cmp_lt_u32_e64 s[38:39], 1, v9
	s_and_saveexec_b64 s[42:43], s[38:39]
	s_cbranch_execz .LBB365_200
; %bb.199:
	v_cmp_eq_u16_e64 s[38:39], 0, v7
	v_cndmask_b32_e64 v11, 0, v11, s[38:39]
	v_cndmask_b32_e64 v8, 0, v12, s[38:39]
	v_add_co_u32_e64 v4, s[38:39], v11, v4
	v_addc_co_u32_e64 v5, s[38:39], v8, v5, s[38:39]
	v_and_b32_e32 v7, 1, v7
	v_cmp_eq_u32_e64 s[38:39], 1, v7
	v_and_b32_e32 v7, 1, v10
	v_cmp_eq_u32_e64 s[40:41], 1, v7
	s_or_b64 s[38:39], s[38:39], s[40:41]
	v_cndmask_b32_e64 v7, 0, 1, s[38:39]
	v_cndmask_b32_e64 v8, 0, 1, s[38:39]
.LBB365_200:
	s_or_b64 exec, exec, s[42:43]
	v_mov_b32_dpp v11, v4 row_shr:4 row_mask:0xf bank_mask:0xf
	v_mov_b32_dpp v12, v5 row_shr:4 row_mask:0xf bank_mask:0xf
	v_mov_b32_dpp v10, v8 row_shr:4 row_mask:0xf bank_mask:0xf
	v_cmp_lt_u32_e64 s[38:39], 3, v9
	s_and_saveexec_b64 s[42:43], s[38:39]
	s_cbranch_execz .LBB365_202
; %bb.201:
	v_cmp_eq_u16_e64 s[38:39], 0, v7
	v_cndmask_b32_e64 v11, 0, v11, s[38:39]
	v_cndmask_b32_e64 v8, 0, v12, s[38:39]
	v_add_co_u32_e64 v4, s[38:39], v11, v4
	v_addc_co_u32_e64 v5, s[38:39], v8, v5, s[38:39]
	v_and_b32_e32 v7, 1, v7
	v_cmp_eq_u32_e64 s[38:39], 1, v7
	v_and_b32_e32 v7, 1, v10
	v_cmp_eq_u32_e64 s[40:41], 1, v7
	s_or_b64 s[38:39], s[38:39], s[40:41]
	v_cndmask_b32_e64 v7, 0, 1, s[38:39]
	v_cndmask_b32_e64 v8, 0, 1, s[38:39]
.LBB365_202:
	;; [unrolled: 21-line block ×3, first 2 shown]
	s_or_b64 exec, exec, s[42:43]
	v_and_b32_e32 v12, 16, v6
	v_mov_b32_dpp v10, v4 row_bcast:15 row_mask:0xf bank_mask:0xf
	v_mov_b32_dpp v11, v5 row_bcast:15 row_mask:0xf bank_mask:0xf
	;; [unrolled: 1-line block ×3, first 2 shown]
	v_cmp_ne_u32_e64 s[38:39], 0, v12
	s_and_saveexec_b64 s[42:43], s[38:39]
	s_cbranch_execz .LBB365_206
; %bb.205:
	v_cmp_eq_u16_e64 s[38:39], 0, v7
	v_cndmask_b32_e64 v10, 0, v10, s[38:39]
	v_cndmask_b32_e64 v8, 0, v11, s[38:39]
	v_add_co_u32_e64 v4, s[38:39], v10, v4
	v_addc_co_u32_e64 v5, s[38:39], v8, v5, s[38:39]
	v_and_b32_e32 v7, 1, v7
	v_cmp_eq_u32_e64 s[38:39], 1, v7
	v_and_b32_e32 v7, 1, v9
	v_cmp_eq_u32_e64 s[40:41], 1, v7
	s_or_b64 s[38:39], s[38:39], s[40:41]
	v_cndmask_b32_e64 v7, 0, 1, s[38:39]
	v_cndmask_b32_e64 v8, 0, 1, s[38:39]
.LBB365_206:
	s_or_b64 exec, exec, s[42:43]
	v_mov_b32_dpp v9, v4 row_bcast:31 row_mask:0xf bank_mask:0xf
	v_mov_b32_dpp v10, v5 row_bcast:31 row_mask:0xf bank_mask:0xf
	;; [unrolled: 1-line block ×3, first 2 shown]
	v_cmp_lt_u32_e64 s[38:39], 31, v6
	s_and_saveexec_b64 s[42:43], s[38:39]
; %bb.207:
	v_cmp_eq_u16_e64 s[38:39], 0, v7
	v_cndmask_b32_e64 v9, 0, v9, s[38:39]
	v_cndmask_b32_e64 v10, 0, v10, s[38:39]
	v_add_co_u32_e64 v4, s[38:39], v9, v4
	v_addc_co_u32_e64 v5, s[38:39], v10, v5, s[38:39]
	v_and_b32_e32 v7, 1, v7
	v_cmp_eq_u32_e64 s[38:39], 1, v7
	v_and_b32_e32 v7, 1, v8
	v_cmp_eq_u32_e64 s[40:41], 1, v7
	s_or_b64 s[38:39], s[38:39], s[40:41]
	v_cndmask_b32_e64 v7, 0, 1, s[38:39]
; %bb.208:
	s_or_b64 exec, exec, s[42:43]
	v_cmp_eq_u32_e64 s[38:39], 63, v0
	s_and_saveexec_b64 s[40:41], s[38:39]
	s_cbranch_execz .LBB365_210
; %bb.209:
	v_mov_b32_e32 v8, 0
	ds_write_b64 v8, v[4:5]
	ds_write_b8 v8, v7 offset:8
.LBB365_210:
	s_or_b64 exec, exec, s[40:41]
	v_cmp_eq_u16_e64 s[38:39], 0, v7
	s_waitcnt vmcnt(0)
	v_cndmask_b32_e64 v8, 0, v2, s[38:39]
	v_cndmask_b32_e64 v7, 0, v3, s[38:39]
	v_add_co_u32_e64 v4, s[38:39], v8, v4
	v_addc_co_u32_e64 v5, s[38:39], v7, v5, s[38:39]
	v_add_u32_e32 v7, -1, v6
	v_and_b32_e32 v8, 64, v6
	v_cmp_lt_i32_e64 s[38:39], v7, v8
	v_cndmask_b32_e64 v7, v7, v6, s[38:39]
	v_lshlrev_b32_e32 v7, 2, v7
	ds_bpermute_b32 v5, v7, v5
	ds_bpermute_b32 v4, v7, v4
	v_cmp_eq_u32_e64 s[38:39], 0, v6
	s_or_b64 s[38:39], s[0:1], s[38:39]
	v_mov_b32_e32 v8, 0
	s_waitcnt lgkmcnt(1)
	v_cndmask_b32_e64 v79, v5, v3, s[38:39]
	s_waitcnt lgkmcnt(0)
	v_cndmask_b32_e64 v78, v4, v2, s[38:39]
	v_cmp_eq_u16_sdwa s[38:39], v1, v8 src0_sel:BYTE_0 src1_sel:DWORD
	v_cndmask_b32_e64 v4, 0, v78, s[38:39]
	v_cndmask_b32_e64 v1, 0, v79, s[38:39]
	v_add_co_u32_e64 v4, s[38:39], v4, v76
	v_addc_co_u32_e64 v5, s[38:39], v1, v77, s[38:39]
	v_cndmask_b32_e64 v6, 0, v4, s[36:37]
	v_cndmask_b32_e64 v1, 0, v5, s[36:37]
	v_add_co_u32_e64 v6, s[36:37], v6, v38
	v_addc_co_u32_e64 v7, s[36:37], v1, v39, s[36:37]
	;; [unrolled: 4-line block ×17, first 2 shown]
	v_cndmask_b32_e32 v97, 0, v95, vcc
	v_cndmask_b32_e32 v96, 0, v94, vcc
	s_waitcnt lgkmcnt(0)
	; wave barrier
	s_and_saveexec_b64 s[4:5], s[0:1]
	s_cbranch_execz .LBB365_212
; %bb.211:
	ds_read_u8 v1, v8 offset:8
	ds_read_b64 v[12:13], v8
	v_pk_mov_b32 v[78:79], v[2:3], v[2:3] op_sel:[0,1]
	s_waitcnt lgkmcnt(1)
	v_cmp_eq_u16_e32 vcc, 0, v1
	v_cndmask_b32_e32 v16, 0, v2, vcc
	v_cndmask_b32_e32 v9, 0, v3, vcc
	s_waitcnt lgkmcnt(0)
	v_add_co_u32_e32 v12, vcc, v16, v12
	v_addc_co_u32_e32 v13, vcc, v9, v13, vcc
	global_store_dwordx2 v8, v[12:13], s[46:47] offset:1024
	global_store_byte v8, v1, s[46:47] offset:1032
	v_mov_b32_e32 v1, 2
	s_waitcnt vmcnt(0)
	buffer_wbinvl1_vol
	global_store_byte v8, v1, s[48:49] offset:64
.LBB365_212:
	s_or_b64 exec, exec, s[4:5]
.LBB365_213:
	s_add_u32 s0, s58, s54
	v_add_co_u32_e32 v2, vcc, v96, v42
	s_addc_u32 s1, s59, s55
	v_addc_co_u32_e32 v3, vcc, v97, v43, vcc
	v_mov_b32_e32 v1, s1
	v_add_co_u32_e32 v12, vcc, s0, v74
	v_addc_co_u32_e32 v13, vcc, v1, v75, vcc
	s_and_b64 vcc, exec, s[2:3]
	s_cbranch_vccz .LBB365_251
; %bb.214:
	s_movk_i32 s0, 0x98
	v_mul_i32_i24_e32 v17, 0xffffff70, v0
	v_mul_u32_u24_e32 v16, 0x98, v0
	v_mad_u32_u24 v8, v0, s0, v17
	s_waitcnt lgkmcnt(0)
	; wave barrier
	ds_write2_b64 v16, v[78:79], v[4:5] offset1:1
	ds_write2_b64 v16, v[6:7], v[80:81] offset0:2 offset1:3
	ds_write2_b64 v16, v[10:11], v[82:83] offset0:4 offset1:5
	;; [unrolled: 1-line block ×8, first 2 shown]
	ds_write_b64 v16, v[2:3] offset:144
	s_waitcnt lgkmcnt(0)
	; wave barrier
	s_waitcnt lgkmcnt(0)
	ds_read2st64_b64 v[68:71], v8 offset0:1 offset1:2
	ds_read2st64_b64 v[64:67], v8 offset0:3 offset1:4
	;; [unrolled: 1-line block ×9, first 2 shown]
	v_add_co_u32_e32 v8, vcc, v12, v115
	s_add_i32 s33, s33, s50
	v_addc_co_u32_e32 v9, vcc, 0, v13, vcc
	v_mov_b32_e32 v1, 0
	v_cmp_gt_u32_e32 vcc, s33, v0
	s_and_saveexec_b64 s[0:1], vcc
	s_cbranch_execz .LBB365_216
; %bb.215:
	v_add_u32_e32 v16, v16, v17
	ds_read_b64 v[16:17], v16
	s_waitcnt lgkmcnt(0)
	flat_store_dwordx2 v[8:9], v[16:17]
.LBB365_216:
	s_or_b64 exec, exec, s[0:1]
	v_or_b32_e32 v16, 64, v0
	v_cmp_gt_u32_e32 vcc, s33, v16
	s_and_saveexec_b64 s[0:1], vcc
	s_cbranch_execz .LBB365_218
; %bb.217:
	s_waitcnt lgkmcnt(0)
	flat_store_dwordx2 v[8:9], v[68:69] offset:512
.LBB365_218:
	s_or_b64 exec, exec, s[0:1]
	v_or_b32_e32 v16, 0x80, v0
	v_cmp_gt_u32_e32 vcc, s33, v16
	s_and_saveexec_b64 s[0:1], vcc
	s_cbranch_execz .LBB365_220
; %bb.219:
	s_waitcnt lgkmcnt(0)
	flat_store_dwordx2 v[8:9], v[70:71] offset:1024
.LBB365_220:
	;; [unrolled: 9-line block ×7, first 2 shown]
	s_or_b64 exec, exec, s[0:1]
	v_or_b32_e32 v16, 0x200, v0
	v_cmp_gt_u32_e32 vcc, s33, v16
	s_and_saveexec_b64 s[0:1], vcc
	s_cbranch_execz .LBB365_232
; %bb.231:
	v_add_co_u32_e32 v16, vcc, 0x1000, v8
	v_addc_co_u32_e32 v17, vcc, 0, v9, vcc
	s_waitcnt lgkmcnt(0)
	flat_store_dwordx2 v[16:17], v[58:59]
.LBB365_232:
	s_or_b64 exec, exec, s[0:1]
	v_or_b32_e32 v16, 0x240, v0
	v_cmp_gt_u32_e32 vcc, s33, v16
	s_and_saveexec_b64 s[0:1], vcc
	s_cbranch_execz .LBB365_234
; %bb.233:
	v_add_co_u32_e32 v16, vcc, 0x1000, v8
	v_addc_co_u32_e32 v17, vcc, 0, v9, vcc
	s_waitcnt lgkmcnt(0)
	flat_store_dwordx2 v[16:17], v[52:53] offset:512
.LBB365_234:
	s_or_b64 exec, exec, s[0:1]
	v_or_b32_e32 v16, 0x280, v0
	v_cmp_gt_u32_e32 vcc, s33, v16
	s_and_saveexec_b64 s[0:1], vcc
	s_cbranch_execz .LBB365_236
; %bb.235:
	v_add_co_u32_e32 v16, vcc, 0x1000, v8
	v_addc_co_u32_e32 v17, vcc, 0, v9, vcc
	s_waitcnt lgkmcnt(0)
	flat_store_dwordx2 v[16:17], v[54:55] offset:1024
.LBB365_236:
	;; [unrolled: 11-line block ×7, first 2 shown]
	s_or_b64 exec, exec, s[0:1]
	v_or_b32_e32 v16, 0x400, v0
	v_cmp_gt_u32_e32 vcc, s33, v16
	s_and_saveexec_b64 s[0:1], vcc
	s_cbranch_execz .LBB365_248
; %bb.247:
	v_add_co_u32_e32 v16, vcc, 0x2000, v8
	v_addc_co_u32_e32 v17, vcc, 0, v9, vcc
	s_waitcnt lgkmcnt(0)
	flat_store_dwordx2 v[16:17], v[42:43]
.LBB365_248:
	s_or_b64 exec, exec, s[0:1]
	v_or_b32_e32 v16, 0x440, v0
	v_cmp_gt_u32_e32 vcc, s33, v16
	s_and_saveexec_b64 s[0:1], vcc
	s_cbranch_execz .LBB365_250
; %bb.249:
	v_add_co_u32_e32 v8, vcc, 0x2000, v8
	v_addc_co_u32_e32 v9, vcc, 0, v9, vcc
	s_waitcnt lgkmcnt(0)
	flat_store_dwordx2 v[8:9], v[36:37] offset:512
.LBB365_250:
	s_or_b64 exec, exec, s[0:1]
	v_or_b32_e32 v8, 0x480, v0
	v_cmp_gt_u32_e64 s[0:1], s33, v8
	s_branch .LBB365_253
.LBB365_251:
	s_mov_b64 s[0:1], 0
                                        ; implicit-def: $vgpr38_vgpr39
	s_cbranch_execz .LBB365_253
; %bb.252:
	v_mul_u32_u24_e32 v1, 0x98, v0
	s_waitcnt lgkmcnt(0)
	; wave barrier
	s_waitcnt lgkmcnt(0)
	s_movk_i32 s2, 0x98
	ds_write2_b64 v1, v[78:79], v[4:5] offset1:1
	ds_write2_b64 v1, v[6:7], v[80:81] offset0:2 offset1:3
	ds_write2_b64 v1, v[10:11], v[82:83] offset0:4 offset1:5
	;; [unrolled: 1-line block ×8, first 2 shown]
	ds_write_b64 v1, v[2:3] offset:144
	v_mul_i32_i24_e32 v2, 0xffffff70, v0
	v_mad_u32_u24 v10, v0, s2, v2
	s_waitcnt lgkmcnt(0)
	; wave barrier
	s_waitcnt lgkmcnt(0)
	ds_read2st64_b64 v[2:5], v10 offset1:1
	ds_read2st64_b64 v[6:9], v10 offset0:2 offset1:3
	ds_read2st64_b64 v[14:17], v10 offset0:4 offset1:5
	;; [unrolled: 1-line block ×8, first 2 shown]
	ds_read_b64 v[38:39], v10 offset:9216
	v_add_co_u32_e32 v10, vcc, v12, v115
	v_addc_co_u32_e32 v11, vcc, 0, v13, vcc
	s_movk_i32 s2, 0x1000
	s_waitcnt lgkmcnt(0)
	flat_store_dwordx2 v[10:11], v[2:3]
	flat_store_dwordx2 v[10:11], v[4:5] offset:512
	flat_store_dwordx2 v[10:11], v[6:7] offset:1024
	;; [unrolled: 1-line block ×7, first 2 shown]
	v_add_co_u32_e32 v2, vcc, s2, v10
	v_addc_co_u32_e32 v3, vcc, 0, v11, vcc
	flat_store_dwordx2 v[2:3], v[22:23]
	flat_store_dwordx2 v[2:3], v[24:25] offset:512
	flat_store_dwordx2 v[2:3], v[26:27] offset:1024
	;; [unrolled: 1-line block ×7, first 2 shown]
	v_add_co_u32_e32 v2, vcc, 0x2000, v10
	v_mov_b32_e32 v1, 0
	v_addc_co_u32_e32 v3, vcc, 0, v11, vcc
	s_or_b64 s[0:1], s[0:1], exec
	flat_store_dwordx2 v[2:3], v[40:41]
	flat_store_dwordx2 v[2:3], v[42:43] offset:512
.LBB365_253:
	s_and_saveexec_b64 s[2:3], s[0:1]
	s_cbranch_execz .LBB365_255
; %bb.254:
	v_lshlrev_b64 v[0:1], 3, v[0:1]
	v_add_co_u32_e32 v0, vcc, v12, v0
	v_addc_co_u32_e32 v1, vcc, v13, v1, vcc
	v_add_co_u32_e32 v0, vcc, 0x2000, v0
	v_addc_co_u32_e32 v1, vcc, 0, v1, vcc
	s_waitcnt lgkmcnt(0)
	flat_store_dwordx2 v[0:1], v[38:39] offset:1024
	s_endpgm
.LBB365_255:
	s_endpgm
	.section	.rodata,"a",@progbits
	.p2align	6, 0x0
	.amdhsa_kernel _ZN7rocprim17ROCPRIM_400000_NS6detail17trampoline_kernelINS0_14default_configENS1_27scan_by_key_config_selectorIxxEEZZNS1_16scan_by_key_implILNS1_25lookback_scan_determinismE0ELb1ES3_N6thrust23THRUST_200600_302600_NS6detail15normal_iteratorINS9_10device_ptrIxEEEESE_SE_xNS9_4plusIvEENS9_8equal_toIvEExEE10hipError_tPvRmT2_T3_T4_T5_mT6_T7_P12ihipStream_tbENKUlT_T0_E_clISt17integral_constantIbLb1EESZ_EEDaSU_SV_EUlSU_E_NS1_11comp_targetILNS1_3genE4ELNS1_11target_archE910ELNS1_3gpuE8ELNS1_3repE0EEENS1_30default_config_static_selectorELNS0_4arch9wavefront6targetE1EEEvT1_
		.amdhsa_group_segment_fixed_size 10752
		.amdhsa_private_segment_fixed_size 0
		.amdhsa_kernarg_size 136
		.amdhsa_user_sgpr_count 6
		.amdhsa_user_sgpr_private_segment_buffer 1
		.amdhsa_user_sgpr_dispatch_ptr 0
		.amdhsa_user_sgpr_queue_ptr 0
		.amdhsa_user_sgpr_kernarg_segment_ptr 1
		.amdhsa_user_sgpr_dispatch_id 0
		.amdhsa_user_sgpr_flat_scratch_init 0
		.amdhsa_user_sgpr_kernarg_preload_length 0
		.amdhsa_user_sgpr_kernarg_preload_offset 0
		.amdhsa_user_sgpr_private_segment_size 0
		.amdhsa_uses_dynamic_stack 0
		.amdhsa_system_sgpr_private_segment_wavefront_offset 0
		.amdhsa_system_sgpr_workgroup_id_x 1
		.amdhsa_system_sgpr_workgroup_id_y 0
		.amdhsa_system_sgpr_workgroup_id_z 0
		.amdhsa_system_sgpr_workgroup_info 0
		.amdhsa_system_vgpr_workitem_id 0
		.amdhsa_next_free_vgpr 119
		.amdhsa_next_free_sgpr 70
		.amdhsa_accum_offset 120
		.amdhsa_reserve_vcc 1
		.amdhsa_reserve_flat_scratch 0
		.amdhsa_float_round_mode_32 0
		.amdhsa_float_round_mode_16_64 0
		.amdhsa_float_denorm_mode_32 3
		.amdhsa_float_denorm_mode_16_64 3
		.amdhsa_dx10_clamp 1
		.amdhsa_ieee_mode 1
		.amdhsa_fp16_overflow 0
		.amdhsa_tg_split 0
		.amdhsa_exception_fp_ieee_invalid_op 0
		.amdhsa_exception_fp_denorm_src 0
		.amdhsa_exception_fp_ieee_div_zero 0
		.amdhsa_exception_fp_ieee_overflow 0
		.amdhsa_exception_fp_ieee_underflow 0
		.amdhsa_exception_fp_ieee_inexact 0
		.amdhsa_exception_int_div_zero 0
	.end_amdhsa_kernel
	.section	.text._ZN7rocprim17ROCPRIM_400000_NS6detail17trampoline_kernelINS0_14default_configENS1_27scan_by_key_config_selectorIxxEEZZNS1_16scan_by_key_implILNS1_25lookback_scan_determinismE0ELb1ES3_N6thrust23THRUST_200600_302600_NS6detail15normal_iteratorINS9_10device_ptrIxEEEESE_SE_xNS9_4plusIvEENS9_8equal_toIvEExEE10hipError_tPvRmT2_T3_T4_T5_mT6_T7_P12ihipStream_tbENKUlT_T0_E_clISt17integral_constantIbLb1EESZ_EEDaSU_SV_EUlSU_E_NS1_11comp_targetILNS1_3genE4ELNS1_11target_archE910ELNS1_3gpuE8ELNS1_3repE0EEENS1_30default_config_static_selectorELNS0_4arch9wavefront6targetE1EEEvT1_,"axG",@progbits,_ZN7rocprim17ROCPRIM_400000_NS6detail17trampoline_kernelINS0_14default_configENS1_27scan_by_key_config_selectorIxxEEZZNS1_16scan_by_key_implILNS1_25lookback_scan_determinismE0ELb1ES3_N6thrust23THRUST_200600_302600_NS6detail15normal_iteratorINS9_10device_ptrIxEEEESE_SE_xNS9_4plusIvEENS9_8equal_toIvEExEE10hipError_tPvRmT2_T3_T4_T5_mT6_T7_P12ihipStream_tbENKUlT_T0_E_clISt17integral_constantIbLb1EESZ_EEDaSU_SV_EUlSU_E_NS1_11comp_targetILNS1_3genE4ELNS1_11target_archE910ELNS1_3gpuE8ELNS1_3repE0EEENS1_30default_config_static_selectorELNS0_4arch9wavefront6targetE1EEEvT1_,comdat
.Lfunc_end365:
	.size	_ZN7rocprim17ROCPRIM_400000_NS6detail17trampoline_kernelINS0_14default_configENS1_27scan_by_key_config_selectorIxxEEZZNS1_16scan_by_key_implILNS1_25lookback_scan_determinismE0ELb1ES3_N6thrust23THRUST_200600_302600_NS6detail15normal_iteratorINS9_10device_ptrIxEEEESE_SE_xNS9_4plusIvEENS9_8equal_toIvEExEE10hipError_tPvRmT2_T3_T4_T5_mT6_T7_P12ihipStream_tbENKUlT_T0_E_clISt17integral_constantIbLb1EESZ_EEDaSU_SV_EUlSU_E_NS1_11comp_targetILNS1_3genE4ELNS1_11target_archE910ELNS1_3gpuE8ELNS1_3repE0EEENS1_30default_config_static_selectorELNS0_4arch9wavefront6targetE1EEEvT1_, .Lfunc_end365-_ZN7rocprim17ROCPRIM_400000_NS6detail17trampoline_kernelINS0_14default_configENS1_27scan_by_key_config_selectorIxxEEZZNS1_16scan_by_key_implILNS1_25lookback_scan_determinismE0ELb1ES3_N6thrust23THRUST_200600_302600_NS6detail15normal_iteratorINS9_10device_ptrIxEEEESE_SE_xNS9_4plusIvEENS9_8equal_toIvEExEE10hipError_tPvRmT2_T3_T4_T5_mT6_T7_P12ihipStream_tbENKUlT_T0_E_clISt17integral_constantIbLb1EESZ_EEDaSU_SV_EUlSU_E_NS1_11comp_targetILNS1_3genE4ELNS1_11target_archE910ELNS1_3gpuE8ELNS1_3repE0EEENS1_30default_config_static_selectorELNS0_4arch9wavefront6targetE1EEEvT1_
                                        ; -- End function
	.section	.AMDGPU.csdata,"",@progbits
; Kernel info:
; codeLenInByte = 15640
; NumSgprs: 74
; NumVgprs: 119
; NumAgprs: 0
; TotalNumVgprs: 119
; ScratchSize: 0
; MemoryBound: 0
; FloatMode: 240
; IeeeMode: 1
; LDSByteSize: 10752 bytes/workgroup (compile time only)
; SGPRBlocks: 9
; VGPRBlocks: 14
; NumSGPRsForWavesPerEU: 74
; NumVGPRsForWavesPerEU: 119
; AccumOffset: 120
; Occupancy: 2
; WaveLimiterHint : 1
; COMPUTE_PGM_RSRC2:SCRATCH_EN: 0
; COMPUTE_PGM_RSRC2:USER_SGPR: 6
; COMPUTE_PGM_RSRC2:TRAP_HANDLER: 0
; COMPUTE_PGM_RSRC2:TGID_X_EN: 1
; COMPUTE_PGM_RSRC2:TGID_Y_EN: 0
; COMPUTE_PGM_RSRC2:TGID_Z_EN: 0
; COMPUTE_PGM_RSRC2:TIDIG_COMP_CNT: 0
; COMPUTE_PGM_RSRC3_GFX90A:ACCUM_OFFSET: 29
; COMPUTE_PGM_RSRC3_GFX90A:TG_SPLIT: 0
	.section	.text._ZN7rocprim17ROCPRIM_400000_NS6detail17trampoline_kernelINS0_14default_configENS1_27scan_by_key_config_selectorIxxEEZZNS1_16scan_by_key_implILNS1_25lookback_scan_determinismE0ELb1ES3_N6thrust23THRUST_200600_302600_NS6detail15normal_iteratorINS9_10device_ptrIxEEEESE_SE_xNS9_4plusIvEENS9_8equal_toIvEExEE10hipError_tPvRmT2_T3_T4_T5_mT6_T7_P12ihipStream_tbENKUlT_T0_E_clISt17integral_constantIbLb1EESZ_EEDaSU_SV_EUlSU_E_NS1_11comp_targetILNS1_3genE3ELNS1_11target_archE908ELNS1_3gpuE7ELNS1_3repE0EEENS1_30default_config_static_selectorELNS0_4arch9wavefront6targetE1EEEvT1_,"axG",@progbits,_ZN7rocprim17ROCPRIM_400000_NS6detail17trampoline_kernelINS0_14default_configENS1_27scan_by_key_config_selectorIxxEEZZNS1_16scan_by_key_implILNS1_25lookback_scan_determinismE0ELb1ES3_N6thrust23THRUST_200600_302600_NS6detail15normal_iteratorINS9_10device_ptrIxEEEESE_SE_xNS9_4plusIvEENS9_8equal_toIvEExEE10hipError_tPvRmT2_T3_T4_T5_mT6_T7_P12ihipStream_tbENKUlT_T0_E_clISt17integral_constantIbLb1EESZ_EEDaSU_SV_EUlSU_E_NS1_11comp_targetILNS1_3genE3ELNS1_11target_archE908ELNS1_3gpuE7ELNS1_3repE0EEENS1_30default_config_static_selectorELNS0_4arch9wavefront6targetE1EEEvT1_,comdat
	.protected	_ZN7rocprim17ROCPRIM_400000_NS6detail17trampoline_kernelINS0_14default_configENS1_27scan_by_key_config_selectorIxxEEZZNS1_16scan_by_key_implILNS1_25lookback_scan_determinismE0ELb1ES3_N6thrust23THRUST_200600_302600_NS6detail15normal_iteratorINS9_10device_ptrIxEEEESE_SE_xNS9_4plusIvEENS9_8equal_toIvEExEE10hipError_tPvRmT2_T3_T4_T5_mT6_T7_P12ihipStream_tbENKUlT_T0_E_clISt17integral_constantIbLb1EESZ_EEDaSU_SV_EUlSU_E_NS1_11comp_targetILNS1_3genE3ELNS1_11target_archE908ELNS1_3gpuE7ELNS1_3repE0EEENS1_30default_config_static_selectorELNS0_4arch9wavefront6targetE1EEEvT1_ ; -- Begin function _ZN7rocprim17ROCPRIM_400000_NS6detail17trampoline_kernelINS0_14default_configENS1_27scan_by_key_config_selectorIxxEEZZNS1_16scan_by_key_implILNS1_25lookback_scan_determinismE0ELb1ES3_N6thrust23THRUST_200600_302600_NS6detail15normal_iteratorINS9_10device_ptrIxEEEESE_SE_xNS9_4plusIvEENS9_8equal_toIvEExEE10hipError_tPvRmT2_T3_T4_T5_mT6_T7_P12ihipStream_tbENKUlT_T0_E_clISt17integral_constantIbLb1EESZ_EEDaSU_SV_EUlSU_E_NS1_11comp_targetILNS1_3genE3ELNS1_11target_archE908ELNS1_3gpuE7ELNS1_3repE0EEENS1_30default_config_static_selectorELNS0_4arch9wavefront6targetE1EEEvT1_
	.globl	_ZN7rocprim17ROCPRIM_400000_NS6detail17trampoline_kernelINS0_14default_configENS1_27scan_by_key_config_selectorIxxEEZZNS1_16scan_by_key_implILNS1_25lookback_scan_determinismE0ELb1ES3_N6thrust23THRUST_200600_302600_NS6detail15normal_iteratorINS9_10device_ptrIxEEEESE_SE_xNS9_4plusIvEENS9_8equal_toIvEExEE10hipError_tPvRmT2_T3_T4_T5_mT6_T7_P12ihipStream_tbENKUlT_T0_E_clISt17integral_constantIbLb1EESZ_EEDaSU_SV_EUlSU_E_NS1_11comp_targetILNS1_3genE3ELNS1_11target_archE908ELNS1_3gpuE7ELNS1_3repE0EEENS1_30default_config_static_selectorELNS0_4arch9wavefront6targetE1EEEvT1_
	.p2align	8
	.type	_ZN7rocprim17ROCPRIM_400000_NS6detail17trampoline_kernelINS0_14default_configENS1_27scan_by_key_config_selectorIxxEEZZNS1_16scan_by_key_implILNS1_25lookback_scan_determinismE0ELb1ES3_N6thrust23THRUST_200600_302600_NS6detail15normal_iteratorINS9_10device_ptrIxEEEESE_SE_xNS9_4plusIvEENS9_8equal_toIvEExEE10hipError_tPvRmT2_T3_T4_T5_mT6_T7_P12ihipStream_tbENKUlT_T0_E_clISt17integral_constantIbLb1EESZ_EEDaSU_SV_EUlSU_E_NS1_11comp_targetILNS1_3genE3ELNS1_11target_archE908ELNS1_3gpuE7ELNS1_3repE0EEENS1_30default_config_static_selectorELNS0_4arch9wavefront6targetE1EEEvT1_,@function
_ZN7rocprim17ROCPRIM_400000_NS6detail17trampoline_kernelINS0_14default_configENS1_27scan_by_key_config_selectorIxxEEZZNS1_16scan_by_key_implILNS1_25lookback_scan_determinismE0ELb1ES3_N6thrust23THRUST_200600_302600_NS6detail15normal_iteratorINS9_10device_ptrIxEEEESE_SE_xNS9_4plusIvEENS9_8equal_toIvEExEE10hipError_tPvRmT2_T3_T4_T5_mT6_T7_P12ihipStream_tbENKUlT_T0_E_clISt17integral_constantIbLb1EESZ_EEDaSU_SV_EUlSU_E_NS1_11comp_targetILNS1_3genE3ELNS1_11target_archE908ELNS1_3gpuE7ELNS1_3repE0EEENS1_30default_config_static_selectorELNS0_4arch9wavefront6targetE1EEEvT1_: ; @_ZN7rocprim17ROCPRIM_400000_NS6detail17trampoline_kernelINS0_14default_configENS1_27scan_by_key_config_selectorIxxEEZZNS1_16scan_by_key_implILNS1_25lookback_scan_determinismE0ELb1ES3_N6thrust23THRUST_200600_302600_NS6detail15normal_iteratorINS9_10device_ptrIxEEEESE_SE_xNS9_4plusIvEENS9_8equal_toIvEExEE10hipError_tPvRmT2_T3_T4_T5_mT6_T7_P12ihipStream_tbENKUlT_T0_E_clISt17integral_constantIbLb1EESZ_EEDaSU_SV_EUlSU_E_NS1_11comp_targetILNS1_3genE3ELNS1_11target_archE908ELNS1_3gpuE7ELNS1_3repE0EEENS1_30default_config_static_selectorELNS0_4arch9wavefront6targetE1EEEvT1_
; %bb.0:
	.section	.rodata,"a",@progbits
	.p2align	6, 0x0
	.amdhsa_kernel _ZN7rocprim17ROCPRIM_400000_NS6detail17trampoline_kernelINS0_14default_configENS1_27scan_by_key_config_selectorIxxEEZZNS1_16scan_by_key_implILNS1_25lookback_scan_determinismE0ELb1ES3_N6thrust23THRUST_200600_302600_NS6detail15normal_iteratorINS9_10device_ptrIxEEEESE_SE_xNS9_4plusIvEENS9_8equal_toIvEExEE10hipError_tPvRmT2_T3_T4_T5_mT6_T7_P12ihipStream_tbENKUlT_T0_E_clISt17integral_constantIbLb1EESZ_EEDaSU_SV_EUlSU_E_NS1_11comp_targetILNS1_3genE3ELNS1_11target_archE908ELNS1_3gpuE7ELNS1_3repE0EEENS1_30default_config_static_selectorELNS0_4arch9wavefront6targetE1EEEvT1_
		.amdhsa_group_segment_fixed_size 0
		.amdhsa_private_segment_fixed_size 0
		.amdhsa_kernarg_size 136
		.amdhsa_user_sgpr_count 6
		.amdhsa_user_sgpr_private_segment_buffer 1
		.amdhsa_user_sgpr_dispatch_ptr 0
		.amdhsa_user_sgpr_queue_ptr 0
		.amdhsa_user_sgpr_kernarg_segment_ptr 1
		.amdhsa_user_sgpr_dispatch_id 0
		.amdhsa_user_sgpr_flat_scratch_init 0
		.amdhsa_user_sgpr_kernarg_preload_length 0
		.amdhsa_user_sgpr_kernarg_preload_offset 0
		.amdhsa_user_sgpr_private_segment_size 0
		.amdhsa_uses_dynamic_stack 0
		.amdhsa_system_sgpr_private_segment_wavefront_offset 0
		.amdhsa_system_sgpr_workgroup_id_x 1
		.amdhsa_system_sgpr_workgroup_id_y 0
		.amdhsa_system_sgpr_workgroup_id_z 0
		.amdhsa_system_sgpr_workgroup_info 0
		.amdhsa_system_vgpr_workitem_id 0
		.amdhsa_next_free_vgpr 1
		.amdhsa_next_free_sgpr 0
		.amdhsa_accum_offset 4
		.amdhsa_reserve_vcc 0
		.amdhsa_reserve_flat_scratch 0
		.amdhsa_float_round_mode_32 0
		.amdhsa_float_round_mode_16_64 0
		.amdhsa_float_denorm_mode_32 3
		.amdhsa_float_denorm_mode_16_64 3
		.amdhsa_dx10_clamp 1
		.amdhsa_ieee_mode 1
		.amdhsa_fp16_overflow 0
		.amdhsa_tg_split 0
		.amdhsa_exception_fp_ieee_invalid_op 0
		.amdhsa_exception_fp_denorm_src 0
		.amdhsa_exception_fp_ieee_div_zero 0
		.amdhsa_exception_fp_ieee_overflow 0
		.amdhsa_exception_fp_ieee_underflow 0
		.amdhsa_exception_fp_ieee_inexact 0
		.amdhsa_exception_int_div_zero 0
	.end_amdhsa_kernel
	.section	.text._ZN7rocprim17ROCPRIM_400000_NS6detail17trampoline_kernelINS0_14default_configENS1_27scan_by_key_config_selectorIxxEEZZNS1_16scan_by_key_implILNS1_25lookback_scan_determinismE0ELb1ES3_N6thrust23THRUST_200600_302600_NS6detail15normal_iteratorINS9_10device_ptrIxEEEESE_SE_xNS9_4plusIvEENS9_8equal_toIvEExEE10hipError_tPvRmT2_T3_T4_T5_mT6_T7_P12ihipStream_tbENKUlT_T0_E_clISt17integral_constantIbLb1EESZ_EEDaSU_SV_EUlSU_E_NS1_11comp_targetILNS1_3genE3ELNS1_11target_archE908ELNS1_3gpuE7ELNS1_3repE0EEENS1_30default_config_static_selectorELNS0_4arch9wavefront6targetE1EEEvT1_,"axG",@progbits,_ZN7rocprim17ROCPRIM_400000_NS6detail17trampoline_kernelINS0_14default_configENS1_27scan_by_key_config_selectorIxxEEZZNS1_16scan_by_key_implILNS1_25lookback_scan_determinismE0ELb1ES3_N6thrust23THRUST_200600_302600_NS6detail15normal_iteratorINS9_10device_ptrIxEEEESE_SE_xNS9_4plusIvEENS9_8equal_toIvEExEE10hipError_tPvRmT2_T3_T4_T5_mT6_T7_P12ihipStream_tbENKUlT_T0_E_clISt17integral_constantIbLb1EESZ_EEDaSU_SV_EUlSU_E_NS1_11comp_targetILNS1_3genE3ELNS1_11target_archE908ELNS1_3gpuE7ELNS1_3repE0EEENS1_30default_config_static_selectorELNS0_4arch9wavefront6targetE1EEEvT1_,comdat
.Lfunc_end366:
	.size	_ZN7rocprim17ROCPRIM_400000_NS6detail17trampoline_kernelINS0_14default_configENS1_27scan_by_key_config_selectorIxxEEZZNS1_16scan_by_key_implILNS1_25lookback_scan_determinismE0ELb1ES3_N6thrust23THRUST_200600_302600_NS6detail15normal_iteratorINS9_10device_ptrIxEEEESE_SE_xNS9_4plusIvEENS9_8equal_toIvEExEE10hipError_tPvRmT2_T3_T4_T5_mT6_T7_P12ihipStream_tbENKUlT_T0_E_clISt17integral_constantIbLb1EESZ_EEDaSU_SV_EUlSU_E_NS1_11comp_targetILNS1_3genE3ELNS1_11target_archE908ELNS1_3gpuE7ELNS1_3repE0EEENS1_30default_config_static_selectorELNS0_4arch9wavefront6targetE1EEEvT1_, .Lfunc_end366-_ZN7rocprim17ROCPRIM_400000_NS6detail17trampoline_kernelINS0_14default_configENS1_27scan_by_key_config_selectorIxxEEZZNS1_16scan_by_key_implILNS1_25lookback_scan_determinismE0ELb1ES3_N6thrust23THRUST_200600_302600_NS6detail15normal_iteratorINS9_10device_ptrIxEEEESE_SE_xNS9_4plusIvEENS9_8equal_toIvEExEE10hipError_tPvRmT2_T3_T4_T5_mT6_T7_P12ihipStream_tbENKUlT_T0_E_clISt17integral_constantIbLb1EESZ_EEDaSU_SV_EUlSU_E_NS1_11comp_targetILNS1_3genE3ELNS1_11target_archE908ELNS1_3gpuE7ELNS1_3repE0EEENS1_30default_config_static_selectorELNS0_4arch9wavefront6targetE1EEEvT1_
                                        ; -- End function
	.section	.AMDGPU.csdata,"",@progbits
; Kernel info:
; codeLenInByte = 0
; NumSgprs: 4
; NumVgprs: 0
; NumAgprs: 0
; TotalNumVgprs: 0
; ScratchSize: 0
; MemoryBound: 0
; FloatMode: 240
; IeeeMode: 1
; LDSByteSize: 0 bytes/workgroup (compile time only)
; SGPRBlocks: 0
; VGPRBlocks: 0
; NumSGPRsForWavesPerEU: 4
; NumVGPRsForWavesPerEU: 1
; AccumOffset: 4
; Occupancy: 8
; WaveLimiterHint : 0
; COMPUTE_PGM_RSRC2:SCRATCH_EN: 0
; COMPUTE_PGM_RSRC2:USER_SGPR: 6
; COMPUTE_PGM_RSRC2:TRAP_HANDLER: 0
; COMPUTE_PGM_RSRC2:TGID_X_EN: 1
; COMPUTE_PGM_RSRC2:TGID_Y_EN: 0
; COMPUTE_PGM_RSRC2:TGID_Z_EN: 0
; COMPUTE_PGM_RSRC2:TIDIG_COMP_CNT: 0
; COMPUTE_PGM_RSRC3_GFX90A:ACCUM_OFFSET: 0
; COMPUTE_PGM_RSRC3_GFX90A:TG_SPLIT: 0
	.section	.text._ZN7rocprim17ROCPRIM_400000_NS6detail17trampoline_kernelINS0_14default_configENS1_27scan_by_key_config_selectorIxxEEZZNS1_16scan_by_key_implILNS1_25lookback_scan_determinismE0ELb1ES3_N6thrust23THRUST_200600_302600_NS6detail15normal_iteratorINS9_10device_ptrIxEEEESE_SE_xNS9_4plusIvEENS9_8equal_toIvEExEE10hipError_tPvRmT2_T3_T4_T5_mT6_T7_P12ihipStream_tbENKUlT_T0_E_clISt17integral_constantIbLb1EESZ_EEDaSU_SV_EUlSU_E_NS1_11comp_targetILNS1_3genE2ELNS1_11target_archE906ELNS1_3gpuE6ELNS1_3repE0EEENS1_30default_config_static_selectorELNS0_4arch9wavefront6targetE1EEEvT1_,"axG",@progbits,_ZN7rocprim17ROCPRIM_400000_NS6detail17trampoline_kernelINS0_14default_configENS1_27scan_by_key_config_selectorIxxEEZZNS1_16scan_by_key_implILNS1_25lookback_scan_determinismE0ELb1ES3_N6thrust23THRUST_200600_302600_NS6detail15normal_iteratorINS9_10device_ptrIxEEEESE_SE_xNS9_4plusIvEENS9_8equal_toIvEExEE10hipError_tPvRmT2_T3_T4_T5_mT6_T7_P12ihipStream_tbENKUlT_T0_E_clISt17integral_constantIbLb1EESZ_EEDaSU_SV_EUlSU_E_NS1_11comp_targetILNS1_3genE2ELNS1_11target_archE906ELNS1_3gpuE6ELNS1_3repE0EEENS1_30default_config_static_selectorELNS0_4arch9wavefront6targetE1EEEvT1_,comdat
	.protected	_ZN7rocprim17ROCPRIM_400000_NS6detail17trampoline_kernelINS0_14default_configENS1_27scan_by_key_config_selectorIxxEEZZNS1_16scan_by_key_implILNS1_25lookback_scan_determinismE0ELb1ES3_N6thrust23THRUST_200600_302600_NS6detail15normal_iteratorINS9_10device_ptrIxEEEESE_SE_xNS9_4plusIvEENS9_8equal_toIvEExEE10hipError_tPvRmT2_T3_T4_T5_mT6_T7_P12ihipStream_tbENKUlT_T0_E_clISt17integral_constantIbLb1EESZ_EEDaSU_SV_EUlSU_E_NS1_11comp_targetILNS1_3genE2ELNS1_11target_archE906ELNS1_3gpuE6ELNS1_3repE0EEENS1_30default_config_static_selectorELNS0_4arch9wavefront6targetE1EEEvT1_ ; -- Begin function _ZN7rocprim17ROCPRIM_400000_NS6detail17trampoline_kernelINS0_14default_configENS1_27scan_by_key_config_selectorIxxEEZZNS1_16scan_by_key_implILNS1_25lookback_scan_determinismE0ELb1ES3_N6thrust23THRUST_200600_302600_NS6detail15normal_iteratorINS9_10device_ptrIxEEEESE_SE_xNS9_4plusIvEENS9_8equal_toIvEExEE10hipError_tPvRmT2_T3_T4_T5_mT6_T7_P12ihipStream_tbENKUlT_T0_E_clISt17integral_constantIbLb1EESZ_EEDaSU_SV_EUlSU_E_NS1_11comp_targetILNS1_3genE2ELNS1_11target_archE906ELNS1_3gpuE6ELNS1_3repE0EEENS1_30default_config_static_selectorELNS0_4arch9wavefront6targetE1EEEvT1_
	.globl	_ZN7rocprim17ROCPRIM_400000_NS6detail17trampoline_kernelINS0_14default_configENS1_27scan_by_key_config_selectorIxxEEZZNS1_16scan_by_key_implILNS1_25lookback_scan_determinismE0ELb1ES3_N6thrust23THRUST_200600_302600_NS6detail15normal_iteratorINS9_10device_ptrIxEEEESE_SE_xNS9_4plusIvEENS9_8equal_toIvEExEE10hipError_tPvRmT2_T3_T4_T5_mT6_T7_P12ihipStream_tbENKUlT_T0_E_clISt17integral_constantIbLb1EESZ_EEDaSU_SV_EUlSU_E_NS1_11comp_targetILNS1_3genE2ELNS1_11target_archE906ELNS1_3gpuE6ELNS1_3repE0EEENS1_30default_config_static_selectorELNS0_4arch9wavefront6targetE1EEEvT1_
	.p2align	8
	.type	_ZN7rocprim17ROCPRIM_400000_NS6detail17trampoline_kernelINS0_14default_configENS1_27scan_by_key_config_selectorIxxEEZZNS1_16scan_by_key_implILNS1_25lookback_scan_determinismE0ELb1ES3_N6thrust23THRUST_200600_302600_NS6detail15normal_iteratorINS9_10device_ptrIxEEEESE_SE_xNS9_4plusIvEENS9_8equal_toIvEExEE10hipError_tPvRmT2_T3_T4_T5_mT6_T7_P12ihipStream_tbENKUlT_T0_E_clISt17integral_constantIbLb1EESZ_EEDaSU_SV_EUlSU_E_NS1_11comp_targetILNS1_3genE2ELNS1_11target_archE906ELNS1_3gpuE6ELNS1_3repE0EEENS1_30default_config_static_selectorELNS0_4arch9wavefront6targetE1EEEvT1_,@function
_ZN7rocprim17ROCPRIM_400000_NS6detail17trampoline_kernelINS0_14default_configENS1_27scan_by_key_config_selectorIxxEEZZNS1_16scan_by_key_implILNS1_25lookback_scan_determinismE0ELb1ES3_N6thrust23THRUST_200600_302600_NS6detail15normal_iteratorINS9_10device_ptrIxEEEESE_SE_xNS9_4plusIvEENS9_8equal_toIvEExEE10hipError_tPvRmT2_T3_T4_T5_mT6_T7_P12ihipStream_tbENKUlT_T0_E_clISt17integral_constantIbLb1EESZ_EEDaSU_SV_EUlSU_E_NS1_11comp_targetILNS1_3genE2ELNS1_11target_archE906ELNS1_3gpuE6ELNS1_3repE0EEENS1_30default_config_static_selectorELNS0_4arch9wavefront6targetE1EEEvT1_: ; @_ZN7rocprim17ROCPRIM_400000_NS6detail17trampoline_kernelINS0_14default_configENS1_27scan_by_key_config_selectorIxxEEZZNS1_16scan_by_key_implILNS1_25lookback_scan_determinismE0ELb1ES3_N6thrust23THRUST_200600_302600_NS6detail15normal_iteratorINS9_10device_ptrIxEEEESE_SE_xNS9_4plusIvEENS9_8equal_toIvEExEE10hipError_tPvRmT2_T3_T4_T5_mT6_T7_P12ihipStream_tbENKUlT_T0_E_clISt17integral_constantIbLb1EESZ_EEDaSU_SV_EUlSU_E_NS1_11comp_targetILNS1_3genE2ELNS1_11target_archE906ELNS1_3gpuE6ELNS1_3repE0EEENS1_30default_config_static_selectorELNS0_4arch9wavefront6targetE1EEEvT1_
; %bb.0:
	.section	.rodata,"a",@progbits
	.p2align	6, 0x0
	.amdhsa_kernel _ZN7rocprim17ROCPRIM_400000_NS6detail17trampoline_kernelINS0_14default_configENS1_27scan_by_key_config_selectorIxxEEZZNS1_16scan_by_key_implILNS1_25lookback_scan_determinismE0ELb1ES3_N6thrust23THRUST_200600_302600_NS6detail15normal_iteratorINS9_10device_ptrIxEEEESE_SE_xNS9_4plusIvEENS9_8equal_toIvEExEE10hipError_tPvRmT2_T3_T4_T5_mT6_T7_P12ihipStream_tbENKUlT_T0_E_clISt17integral_constantIbLb1EESZ_EEDaSU_SV_EUlSU_E_NS1_11comp_targetILNS1_3genE2ELNS1_11target_archE906ELNS1_3gpuE6ELNS1_3repE0EEENS1_30default_config_static_selectorELNS0_4arch9wavefront6targetE1EEEvT1_
		.amdhsa_group_segment_fixed_size 0
		.amdhsa_private_segment_fixed_size 0
		.amdhsa_kernarg_size 136
		.amdhsa_user_sgpr_count 6
		.amdhsa_user_sgpr_private_segment_buffer 1
		.amdhsa_user_sgpr_dispatch_ptr 0
		.amdhsa_user_sgpr_queue_ptr 0
		.amdhsa_user_sgpr_kernarg_segment_ptr 1
		.amdhsa_user_sgpr_dispatch_id 0
		.amdhsa_user_sgpr_flat_scratch_init 0
		.amdhsa_user_sgpr_kernarg_preload_length 0
		.amdhsa_user_sgpr_kernarg_preload_offset 0
		.amdhsa_user_sgpr_private_segment_size 0
		.amdhsa_uses_dynamic_stack 0
		.amdhsa_system_sgpr_private_segment_wavefront_offset 0
		.amdhsa_system_sgpr_workgroup_id_x 1
		.amdhsa_system_sgpr_workgroup_id_y 0
		.amdhsa_system_sgpr_workgroup_id_z 0
		.amdhsa_system_sgpr_workgroup_info 0
		.amdhsa_system_vgpr_workitem_id 0
		.amdhsa_next_free_vgpr 1
		.amdhsa_next_free_sgpr 0
		.amdhsa_accum_offset 4
		.amdhsa_reserve_vcc 0
		.amdhsa_reserve_flat_scratch 0
		.amdhsa_float_round_mode_32 0
		.amdhsa_float_round_mode_16_64 0
		.amdhsa_float_denorm_mode_32 3
		.amdhsa_float_denorm_mode_16_64 3
		.amdhsa_dx10_clamp 1
		.amdhsa_ieee_mode 1
		.amdhsa_fp16_overflow 0
		.amdhsa_tg_split 0
		.amdhsa_exception_fp_ieee_invalid_op 0
		.amdhsa_exception_fp_denorm_src 0
		.amdhsa_exception_fp_ieee_div_zero 0
		.amdhsa_exception_fp_ieee_overflow 0
		.amdhsa_exception_fp_ieee_underflow 0
		.amdhsa_exception_fp_ieee_inexact 0
		.amdhsa_exception_int_div_zero 0
	.end_amdhsa_kernel
	.section	.text._ZN7rocprim17ROCPRIM_400000_NS6detail17trampoline_kernelINS0_14default_configENS1_27scan_by_key_config_selectorIxxEEZZNS1_16scan_by_key_implILNS1_25lookback_scan_determinismE0ELb1ES3_N6thrust23THRUST_200600_302600_NS6detail15normal_iteratorINS9_10device_ptrIxEEEESE_SE_xNS9_4plusIvEENS9_8equal_toIvEExEE10hipError_tPvRmT2_T3_T4_T5_mT6_T7_P12ihipStream_tbENKUlT_T0_E_clISt17integral_constantIbLb1EESZ_EEDaSU_SV_EUlSU_E_NS1_11comp_targetILNS1_3genE2ELNS1_11target_archE906ELNS1_3gpuE6ELNS1_3repE0EEENS1_30default_config_static_selectorELNS0_4arch9wavefront6targetE1EEEvT1_,"axG",@progbits,_ZN7rocprim17ROCPRIM_400000_NS6detail17trampoline_kernelINS0_14default_configENS1_27scan_by_key_config_selectorIxxEEZZNS1_16scan_by_key_implILNS1_25lookback_scan_determinismE0ELb1ES3_N6thrust23THRUST_200600_302600_NS6detail15normal_iteratorINS9_10device_ptrIxEEEESE_SE_xNS9_4plusIvEENS9_8equal_toIvEExEE10hipError_tPvRmT2_T3_T4_T5_mT6_T7_P12ihipStream_tbENKUlT_T0_E_clISt17integral_constantIbLb1EESZ_EEDaSU_SV_EUlSU_E_NS1_11comp_targetILNS1_3genE2ELNS1_11target_archE906ELNS1_3gpuE6ELNS1_3repE0EEENS1_30default_config_static_selectorELNS0_4arch9wavefront6targetE1EEEvT1_,comdat
.Lfunc_end367:
	.size	_ZN7rocprim17ROCPRIM_400000_NS6detail17trampoline_kernelINS0_14default_configENS1_27scan_by_key_config_selectorIxxEEZZNS1_16scan_by_key_implILNS1_25lookback_scan_determinismE0ELb1ES3_N6thrust23THRUST_200600_302600_NS6detail15normal_iteratorINS9_10device_ptrIxEEEESE_SE_xNS9_4plusIvEENS9_8equal_toIvEExEE10hipError_tPvRmT2_T3_T4_T5_mT6_T7_P12ihipStream_tbENKUlT_T0_E_clISt17integral_constantIbLb1EESZ_EEDaSU_SV_EUlSU_E_NS1_11comp_targetILNS1_3genE2ELNS1_11target_archE906ELNS1_3gpuE6ELNS1_3repE0EEENS1_30default_config_static_selectorELNS0_4arch9wavefront6targetE1EEEvT1_, .Lfunc_end367-_ZN7rocprim17ROCPRIM_400000_NS6detail17trampoline_kernelINS0_14default_configENS1_27scan_by_key_config_selectorIxxEEZZNS1_16scan_by_key_implILNS1_25lookback_scan_determinismE0ELb1ES3_N6thrust23THRUST_200600_302600_NS6detail15normal_iteratorINS9_10device_ptrIxEEEESE_SE_xNS9_4plusIvEENS9_8equal_toIvEExEE10hipError_tPvRmT2_T3_T4_T5_mT6_T7_P12ihipStream_tbENKUlT_T0_E_clISt17integral_constantIbLb1EESZ_EEDaSU_SV_EUlSU_E_NS1_11comp_targetILNS1_3genE2ELNS1_11target_archE906ELNS1_3gpuE6ELNS1_3repE0EEENS1_30default_config_static_selectorELNS0_4arch9wavefront6targetE1EEEvT1_
                                        ; -- End function
	.section	.AMDGPU.csdata,"",@progbits
; Kernel info:
; codeLenInByte = 0
; NumSgprs: 4
; NumVgprs: 0
; NumAgprs: 0
; TotalNumVgprs: 0
; ScratchSize: 0
; MemoryBound: 0
; FloatMode: 240
; IeeeMode: 1
; LDSByteSize: 0 bytes/workgroup (compile time only)
; SGPRBlocks: 0
; VGPRBlocks: 0
; NumSGPRsForWavesPerEU: 4
; NumVGPRsForWavesPerEU: 1
; AccumOffset: 4
; Occupancy: 8
; WaveLimiterHint : 0
; COMPUTE_PGM_RSRC2:SCRATCH_EN: 0
; COMPUTE_PGM_RSRC2:USER_SGPR: 6
; COMPUTE_PGM_RSRC2:TRAP_HANDLER: 0
; COMPUTE_PGM_RSRC2:TGID_X_EN: 1
; COMPUTE_PGM_RSRC2:TGID_Y_EN: 0
; COMPUTE_PGM_RSRC2:TGID_Z_EN: 0
; COMPUTE_PGM_RSRC2:TIDIG_COMP_CNT: 0
; COMPUTE_PGM_RSRC3_GFX90A:ACCUM_OFFSET: 0
; COMPUTE_PGM_RSRC3_GFX90A:TG_SPLIT: 0
	.section	.text._ZN7rocprim17ROCPRIM_400000_NS6detail17trampoline_kernelINS0_14default_configENS1_27scan_by_key_config_selectorIxxEEZZNS1_16scan_by_key_implILNS1_25lookback_scan_determinismE0ELb1ES3_N6thrust23THRUST_200600_302600_NS6detail15normal_iteratorINS9_10device_ptrIxEEEESE_SE_xNS9_4plusIvEENS9_8equal_toIvEExEE10hipError_tPvRmT2_T3_T4_T5_mT6_T7_P12ihipStream_tbENKUlT_T0_E_clISt17integral_constantIbLb1EESZ_EEDaSU_SV_EUlSU_E_NS1_11comp_targetILNS1_3genE10ELNS1_11target_archE1200ELNS1_3gpuE4ELNS1_3repE0EEENS1_30default_config_static_selectorELNS0_4arch9wavefront6targetE1EEEvT1_,"axG",@progbits,_ZN7rocprim17ROCPRIM_400000_NS6detail17trampoline_kernelINS0_14default_configENS1_27scan_by_key_config_selectorIxxEEZZNS1_16scan_by_key_implILNS1_25lookback_scan_determinismE0ELb1ES3_N6thrust23THRUST_200600_302600_NS6detail15normal_iteratorINS9_10device_ptrIxEEEESE_SE_xNS9_4plusIvEENS9_8equal_toIvEExEE10hipError_tPvRmT2_T3_T4_T5_mT6_T7_P12ihipStream_tbENKUlT_T0_E_clISt17integral_constantIbLb1EESZ_EEDaSU_SV_EUlSU_E_NS1_11comp_targetILNS1_3genE10ELNS1_11target_archE1200ELNS1_3gpuE4ELNS1_3repE0EEENS1_30default_config_static_selectorELNS0_4arch9wavefront6targetE1EEEvT1_,comdat
	.protected	_ZN7rocprim17ROCPRIM_400000_NS6detail17trampoline_kernelINS0_14default_configENS1_27scan_by_key_config_selectorIxxEEZZNS1_16scan_by_key_implILNS1_25lookback_scan_determinismE0ELb1ES3_N6thrust23THRUST_200600_302600_NS6detail15normal_iteratorINS9_10device_ptrIxEEEESE_SE_xNS9_4plusIvEENS9_8equal_toIvEExEE10hipError_tPvRmT2_T3_T4_T5_mT6_T7_P12ihipStream_tbENKUlT_T0_E_clISt17integral_constantIbLb1EESZ_EEDaSU_SV_EUlSU_E_NS1_11comp_targetILNS1_3genE10ELNS1_11target_archE1200ELNS1_3gpuE4ELNS1_3repE0EEENS1_30default_config_static_selectorELNS0_4arch9wavefront6targetE1EEEvT1_ ; -- Begin function _ZN7rocprim17ROCPRIM_400000_NS6detail17trampoline_kernelINS0_14default_configENS1_27scan_by_key_config_selectorIxxEEZZNS1_16scan_by_key_implILNS1_25lookback_scan_determinismE0ELb1ES3_N6thrust23THRUST_200600_302600_NS6detail15normal_iteratorINS9_10device_ptrIxEEEESE_SE_xNS9_4plusIvEENS9_8equal_toIvEExEE10hipError_tPvRmT2_T3_T4_T5_mT6_T7_P12ihipStream_tbENKUlT_T0_E_clISt17integral_constantIbLb1EESZ_EEDaSU_SV_EUlSU_E_NS1_11comp_targetILNS1_3genE10ELNS1_11target_archE1200ELNS1_3gpuE4ELNS1_3repE0EEENS1_30default_config_static_selectorELNS0_4arch9wavefront6targetE1EEEvT1_
	.globl	_ZN7rocprim17ROCPRIM_400000_NS6detail17trampoline_kernelINS0_14default_configENS1_27scan_by_key_config_selectorIxxEEZZNS1_16scan_by_key_implILNS1_25lookback_scan_determinismE0ELb1ES3_N6thrust23THRUST_200600_302600_NS6detail15normal_iteratorINS9_10device_ptrIxEEEESE_SE_xNS9_4plusIvEENS9_8equal_toIvEExEE10hipError_tPvRmT2_T3_T4_T5_mT6_T7_P12ihipStream_tbENKUlT_T0_E_clISt17integral_constantIbLb1EESZ_EEDaSU_SV_EUlSU_E_NS1_11comp_targetILNS1_3genE10ELNS1_11target_archE1200ELNS1_3gpuE4ELNS1_3repE0EEENS1_30default_config_static_selectorELNS0_4arch9wavefront6targetE1EEEvT1_
	.p2align	8
	.type	_ZN7rocprim17ROCPRIM_400000_NS6detail17trampoline_kernelINS0_14default_configENS1_27scan_by_key_config_selectorIxxEEZZNS1_16scan_by_key_implILNS1_25lookback_scan_determinismE0ELb1ES3_N6thrust23THRUST_200600_302600_NS6detail15normal_iteratorINS9_10device_ptrIxEEEESE_SE_xNS9_4plusIvEENS9_8equal_toIvEExEE10hipError_tPvRmT2_T3_T4_T5_mT6_T7_P12ihipStream_tbENKUlT_T0_E_clISt17integral_constantIbLb1EESZ_EEDaSU_SV_EUlSU_E_NS1_11comp_targetILNS1_3genE10ELNS1_11target_archE1200ELNS1_3gpuE4ELNS1_3repE0EEENS1_30default_config_static_selectorELNS0_4arch9wavefront6targetE1EEEvT1_,@function
_ZN7rocprim17ROCPRIM_400000_NS6detail17trampoline_kernelINS0_14default_configENS1_27scan_by_key_config_selectorIxxEEZZNS1_16scan_by_key_implILNS1_25lookback_scan_determinismE0ELb1ES3_N6thrust23THRUST_200600_302600_NS6detail15normal_iteratorINS9_10device_ptrIxEEEESE_SE_xNS9_4plusIvEENS9_8equal_toIvEExEE10hipError_tPvRmT2_T3_T4_T5_mT6_T7_P12ihipStream_tbENKUlT_T0_E_clISt17integral_constantIbLb1EESZ_EEDaSU_SV_EUlSU_E_NS1_11comp_targetILNS1_3genE10ELNS1_11target_archE1200ELNS1_3gpuE4ELNS1_3repE0EEENS1_30default_config_static_selectorELNS0_4arch9wavefront6targetE1EEEvT1_: ; @_ZN7rocprim17ROCPRIM_400000_NS6detail17trampoline_kernelINS0_14default_configENS1_27scan_by_key_config_selectorIxxEEZZNS1_16scan_by_key_implILNS1_25lookback_scan_determinismE0ELb1ES3_N6thrust23THRUST_200600_302600_NS6detail15normal_iteratorINS9_10device_ptrIxEEEESE_SE_xNS9_4plusIvEENS9_8equal_toIvEExEE10hipError_tPvRmT2_T3_T4_T5_mT6_T7_P12ihipStream_tbENKUlT_T0_E_clISt17integral_constantIbLb1EESZ_EEDaSU_SV_EUlSU_E_NS1_11comp_targetILNS1_3genE10ELNS1_11target_archE1200ELNS1_3gpuE4ELNS1_3repE0EEENS1_30default_config_static_selectorELNS0_4arch9wavefront6targetE1EEEvT1_
; %bb.0:
	.section	.rodata,"a",@progbits
	.p2align	6, 0x0
	.amdhsa_kernel _ZN7rocprim17ROCPRIM_400000_NS6detail17trampoline_kernelINS0_14default_configENS1_27scan_by_key_config_selectorIxxEEZZNS1_16scan_by_key_implILNS1_25lookback_scan_determinismE0ELb1ES3_N6thrust23THRUST_200600_302600_NS6detail15normal_iteratorINS9_10device_ptrIxEEEESE_SE_xNS9_4plusIvEENS9_8equal_toIvEExEE10hipError_tPvRmT2_T3_T4_T5_mT6_T7_P12ihipStream_tbENKUlT_T0_E_clISt17integral_constantIbLb1EESZ_EEDaSU_SV_EUlSU_E_NS1_11comp_targetILNS1_3genE10ELNS1_11target_archE1200ELNS1_3gpuE4ELNS1_3repE0EEENS1_30default_config_static_selectorELNS0_4arch9wavefront6targetE1EEEvT1_
		.amdhsa_group_segment_fixed_size 0
		.amdhsa_private_segment_fixed_size 0
		.amdhsa_kernarg_size 136
		.amdhsa_user_sgpr_count 6
		.amdhsa_user_sgpr_private_segment_buffer 1
		.amdhsa_user_sgpr_dispatch_ptr 0
		.amdhsa_user_sgpr_queue_ptr 0
		.amdhsa_user_sgpr_kernarg_segment_ptr 1
		.amdhsa_user_sgpr_dispatch_id 0
		.amdhsa_user_sgpr_flat_scratch_init 0
		.amdhsa_user_sgpr_kernarg_preload_length 0
		.amdhsa_user_sgpr_kernarg_preload_offset 0
		.amdhsa_user_sgpr_private_segment_size 0
		.amdhsa_uses_dynamic_stack 0
		.amdhsa_system_sgpr_private_segment_wavefront_offset 0
		.amdhsa_system_sgpr_workgroup_id_x 1
		.amdhsa_system_sgpr_workgroup_id_y 0
		.amdhsa_system_sgpr_workgroup_id_z 0
		.amdhsa_system_sgpr_workgroup_info 0
		.amdhsa_system_vgpr_workitem_id 0
		.amdhsa_next_free_vgpr 1
		.amdhsa_next_free_sgpr 0
		.amdhsa_accum_offset 4
		.amdhsa_reserve_vcc 0
		.amdhsa_reserve_flat_scratch 0
		.amdhsa_float_round_mode_32 0
		.amdhsa_float_round_mode_16_64 0
		.amdhsa_float_denorm_mode_32 3
		.amdhsa_float_denorm_mode_16_64 3
		.amdhsa_dx10_clamp 1
		.amdhsa_ieee_mode 1
		.amdhsa_fp16_overflow 0
		.amdhsa_tg_split 0
		.amdhsa_exception_fp_ieee_invalid_op 0
		.amdhsa_exception_fp_denorm_src 0
		.amdhsa_exception_fp_ieee_div_zero 0
		.amdhsa_exception_fp_ieee_overflow 0
		.amdhsa_exception_fp_ieee_underflow 0
		.amdhsa_exception_fp_ieee_inexact 0
		.amdhsa_exception_int_div_zero 0
	.end_amdhsa_kernel
	.section	.text._ZN7rocprim17ROCPRIM_400000_NS6detail17trampoline_kernelINS0_14default_configENS1_27scan_by_key_config_selectorIxxEEZZNS1_16scan_by_key_implILNS1_25lookback_scan_determinismE0ELb1ES3_N6thrust23THRUST_200600_302600_NS6detail15normal_iteratorINS9_10device_ptrIxEEEESE_SE_xNS9_4plusIvEENS9_8equal_toIvEExEE10hipError_tPvRmT2_T3_T4_T5_mT6_T7_P12ihipStream_tbENKUlT_T0_E_clISt17integral_constantIbLb1EESZ_EEDaSU_SV_EUlSU_E_NS1_11comp_targetILNS1_3genE10ELNS1_11target_archE1200ELNS1_3gpuE4ELNS1_3repE0EEENS1_30default_config_static_selectorELNS0_4arch9wavefront6targetE1EEEvT1_,"axG",@progbits,_ZN7rocprim17ROCPRIM_400000_NS6detail17trampoline_kernelINS0_14default_configENS1_27scan_by_key_config_selectorIxxEEZZNS1_16scan_by_key_implILNS1_25lookback_scan_determinismE0ELb1ES3_N6thrust23THRUST_200600_302600_NS6detail15normal_iteratorINS9_10device_ptrIxEEEESE_SE_xNS9_4plusIvEENS9_8equal_toIvEExEE10hipError_tPvRmT2_T3_T4_T5_mT6_T7_P12ihipStream_tbENKUlT_T0_E_clISt17integral_constantIbLb1EESZ_EEDaSU_SV_EUlSU_E_NS1_11comp_targetILNS1_3genE10ELNS1_11target_archE1200ELNS1_3gpuE4ELNS1_3repE0EEENS1_30default_config_static_selectorELNS0_4arch9wavefront6targetE1EEEvT1_,comdat
.Lfunc_end368:
	.size	_ZN7rocprim17ROCPRIM_400000_NS6detail17trampoline_kernelINS0_14default_configENS1_27scan_by_key_config_selectorIxxEEZZNS1_16scan_by_key_implILNS1_25lookback_scan_determinismE0ELb1ES3_N6thrust23THRUST_200600_302600_NS6detail15normal_iteratorINS9_10device_ptrIxEEEESE_SE_xNS9_4plusIvEENS9_8equal_toIvEExEE10hipError_tPvRmT2_T3_T4_T5_mT6_T7_P12ihipStream_tbENKUlT_T0_E_clISt17integral_constantIbLb1EESZ_EEDaSU_SV_EUlSU_E_NS1_11comp_targetILNS1_3genE10ELNS1_11target_archE1200ELNS1_3gpuE4ELNS1_3repE0EEENS1_30default_config_static_selectorELNS0_4arch9wavefront6targetE1EEEvT1_, .Lfunc_end368-_ZN7rocprim17ROCPRIM_400000_NS6detail17trampoline_kernelINS0_14default_configENS1_27scan_by_key_config_selectorIxxEEZZNS1_16scan_by_key_implILNS1_25lookback_scan_determinismE0ELb1ES3_N6thrust23THRUST_200600_302600_NS6detail15normal_iteratorINS9_10device_ptrIxEEEESE_SE_xNS9_4plusIvEENS9_8equal_toIvEExEE10hipError_tPvRmT2_T3_T4_T5_mT6_T7_P12ihipStream_tbENKUlT_T0_E_clISt17integral_constantIbLb1EESZ_EEDaSU_SV_EUlSU_E_NS1_11comp_targetILNS1_3genE10ELNS1_11target_archE1200ELNS1_3gpuE4ELNS1_3repE0EEENS1_30default_config_static_selectorELNS0_4arch9wavefront6targetE1EEEvT1_
                                        ; -- End function
	.section	.AMDGPU.csdata,"",@progbits
; Kernel info:
; codeLenInByte = 0
; NumSgprs: 4
; NumVgprs: 0
; NumAgprs: 0
; TotalNumVgprs: 0
; ScratchSize: 0
; MemoryBound: 0
; FloatMode: 240
; IeeeMode: 1
; LDSByteSize: 0 bytes/workgroup (compile time only)
; SGPRBlocks: 0
; VGPRBlocks: 0
; NumSGPRsForWavesPerEU: 4
; NumVGPRsForWavesPerEU: 1
; AccumOffset: 4
; Occupancy: 8
; WaveLimiterHint : 0
; COMPUTE_PGM_RSRC2:SCRATCH_EN: 0
; COMPUTE_PGM_RSRC2:USER_SGPR: 6
; COMPUTE_PGM_RSRC2:TRAP_HANDLER: 0
; COMPUTE_PGM_RSRC2:TGID_X_EN: 1
; COMPUTE_PGM_RSRC2:TGID_Y_EN: 0
; COMPUTE_PGM_RSRC2:TGID_Z_EN: 0
; COMPUTE_PGM_RSRC2:TIDIG_COMP_CNT: 0
; COMPUTE_PGM_RSRC3_GFX90A:ACCUM_OFFSET: 0
; COMPUTE_PGM_RSRC3_GFX90A:TG_SPLIT: 0
	.section	.text._ZN7rocprim17ROCPRIM_400000_NS6detail17trampoline_kernelINS0_14default_configENS1_27scan_by_key_config_selectorIxxEEZZNS1_16scan_by_key_implILNS1_25lookback_scan_determinismE0ELb1ES3_N6thrust23THRUST_200600_302600_NS6detail15normal_iteratorINS9_10device_ptrIxEEEESE_SE_xNS9_4plusIvEENS9_8equal_toIvEExEE10hipError_tPvRmT2_T3_T4_T5_mT6_T7_P12ihipStream_tbENKUlT_T0_E_clISt17integral_constantIbLb1EESZ_EEDaSU_SV_EUlSU_E_NS1_11comp_targetILNS1_3genE9ELNS1_11target_archE1100ELNS1_3gpuE3ELNS1_3repE0EEENS1_30default_config_static_selectorELNS0_4arch9wavefront6targetE1EEEvT1_,"axG",@progbits,_ZN7rocprim17ROCPRIM_400000_NS6detail17trampoline_kernelINS0_14default_configENS1_27scan_by_key_config_selectorIxxEEZZNS1_16scan_by_key_implILNS1_25lookback_scan_determinismE0ELb1ES3_N6thrust23THRUST_200600_302600_NS6detail15normal_iteratorINS9_10device_ptrIxEEEESE_SE_xNS9_4plusIvEENS9_8equal_toIvEExEE10hipError_tPvRmT2_T3_T4_T5_mT6_T7_P12ihipStream_tbENKUlT_T0_E_clISt17integral_constantIbLb1EESZ_EEDaSU_SV_EUlSU_E_NS1_11comp_targetILNS1_3genE9ELNS1_11target_archE1100ELNS1_3gpuE3ELNS1_3repE0EEENS1_30default_config_static_selectorELNS0_4arch9wavefront6targetE1EEEvT1_,comdat
	.protected	_ZN7rocprim17ROCPRIM_400000_NS6detail17trampoline_kernelINS0_14default_configENS1_27scan_by_key_config_selectorIxxEEZZNS1_16scan_by_key_implILNS1_25lookback_scan_determinismE0ELb1ES3_N6thrust23THRUST_200600_302600_NS6detail15normal_iteratorINS9_10device_ptrIxEEEESE_SE_xNS9_4plusIvEENS9_8equal_toIvEExEE10hipError_tPvRmT2_T3_T4_T5_mT6_T7_P12ihipStream_tbENKUlT_T0_E_clISt17integral_constantIbLb1EESZ_EEDaSU_SV_EUlSU_E_NS1_11comp_targetILNS1_3genE9ELNS1_11target_archE1100ELNS1_3gpuE3ELNS1_3repE0EEENS1_30default_config_static_selectorELNS0_4arch9wavefront6targetE1EEEvT1_ ; -- Begin function _ZN7rocprim17ROCPRIM_400000_NS6detail17trampoline_kernelINS0_14default_configENS1_27scan_by_key_config_selectorIxxEEZZNS1_16scan_by_key_implILNS1_25lookback_scan_determinismE0ELb1ES3_N6thrust23THRUST_200600_302600_NS6detail15normal_iteratorINS9_10device_ptrIxEEEESE_SE_xNS9_4plusIvEENS9_8equal_toIvEExEE10hipError_tPvRmT2_T3_T4_T5_mT6_T7_P12ihipStream_tbENKUlT_T0_E_clISt17integral_constantIbLb1EESZ_EEDaSU_SV_EUlSU_E_NS1_11comp_targetILNS1_3genE9ELNS1_11target_archE1100ELNS1_3gpuE3ELNS1_3repE0EEENS1_30default_config_static_selectorELNS0_4arch9wavefront6targetE1EEEvT1_
	.globl	_ZN7rocprim17ROCPRIM_400000_NS6detail17trampoline_kernelINS0_14default_configENS1_27scan_by_key_config_selectorIxxEEZZNS1_16scan_by_key_implILNS1_25lookback_scan_determinismE0ELb1ES3_N6thrust23THRUST_200600_302600_NS6detail15normal_iteratorINS9_10device_ptrIxEEEESE_SE_xNS9_4plusIvEENS9_8equal_toIvEExEE10hipError_tPvRmT2_T3_T4_T5_mT6_T7_P12ihipStream_tbENKUlT_T0_E_clISt17integral_constantIbLb1EESZ_EEDaSU_SV_EUlSU_E_NS1_11comp_targetILNS1_3genE9ELNS1_11target_archE1100ELNS1_3gpuE3ELNS1_3repE0EEENS1_30default_config_static_selectorELNS0_4arch9wavefront6targetE1EEEvT1_
	.p2align	8
	.type	_ZN7rocprim17ROCPRIM_400000_NS6detail17trampoline_kernelINS0_14default_configENS1_27scan_by_key_config_selectorIxxEEZZNS1_16scan_by_key_implILNS1_25lookback_scan_determinismE0ELb1ES3_N6thrust23THRUST_200600_302600_NS6detail15normal_iteratorINS9_10device_ptrIxEEEESE_SE_xNS9_4plusIvEENS9_8equal_toIvEExEE10hipError_tPvRmT2_T3_T4_T5_mT6_T7_P12ihipStream_tbENKUlT_T0_E_clISt17integral_constantIbLb1EESZ_EEDaSU_SV_EUlSU_E_NS1_11comp_targetILNS1_3genE9ELNS1_11target_archE1100ELNS1_3gpuE3ELNS1_3repE0EEENS1_30default_config_static_selectorELNS0_4arch9wavefront6targetE1EEEvT1_,@function
_ZN7rocprim17ROCPRIM_400000_NS6detail17trampoline_kernelINS0_14default_configENS1_27scan_by_key_config_selectorIxxEEZZNS1_16scan_by_key_implILNS1_25lookback_scan_determinismE0ELb1ES3_N6thrust23THRUST_200600_302600_NS6detail15normal_iteratorINS9_10device_ptrIxEEEESE_SE_xNS9_4plusIvEENS9_8equal_toIvEExEE10hipError_tPvRmT2_T3_T4_T5_mT6_T7_P12ihipStream_tbENKUlT_T0_E_clISt17integral_constantIbLb1EESZ_EEDaSU_SV_EUlSU_E_NS1_11comp_targetILNS1_3genE9ELNS1_11target_archE1100ELNS1_3gpuE3ELNS1_3repE0EEENS1_30default_config_static_selectorELNS0_4arch9wavefront6targetE1EEEvT1_: ; @_ZN7rocprim17ROCPRIM_400000_NS6detail17trampoline_kernelINS0_14default_configENS1_27scan_by_key_config_selectorIxxEEZZNS1_16scan_by_key_implILNS1_25lookback_scan_determinismE0ELb1ES3_N6thrust23THRUST_200600_302600_NS6detail15normal_iteratorINS9_10device_ptrIxEEEESE_SE_xNS9_4plusIvEENS9_8equal_toIvEExEE10hipError_tPvRmT2_T3_T4_T5_mT6_T7_P12ihipStream_tbENKUlT_T0_E_clISt17integral_constantIbLb1EESZ_EEDaSU_SV_EUlSU_E_NS1_11comp_targetILNS1_3genE9ELNS1_11target_archE1100ELNS1_3gpuE3ELNS1_3repE0EEENS1_30default_config_static_selectorELNS0_4arch9wavefront6targetE1EEEvT1_
; %bb.0:
	.section	.rodata,"a",@progbits
	.p2align	6, 0x0
	.amdhsa_kernel _ZN7rocprim17ROCPRIM_400000_NS6detail17trampoline_kernelINS0_14default_configENS1_27scan_by_key_config_selectorIxxEEZZNS1_16scan_by_key_implILNS1_25lookback_scan_determinismE0ELb1ES3_N6thrust23THRUST_200600_302600_NS6detail15normal_iteratorINS9_10device_ptrIxEEEESE_SE_xNS9_4plusIvEENS9_8equal_toIvEExEE10hipError_tPvRmT2_T3_T4_T5_mT6_T7_P12ihipStream_tbENKUlT_T0_E_clISt17integral_constantIbLb1EESZ_EEDaSU_SV_EUlSU_E_NS1_11comp_targetILNS1_3genE9ELNS1_11target_archE1100ELNS1_3gpuE3ELNS1_3repE0EEENS1_30default_config_static_selectorELNS0_4arch9wavefront6targetE1EEEvT1_
		.amdhsa_group_segment_fixed_size 0
		.amdhsa_private_segment_fixed_size 0
		.amdhsa_kernarg_size 136
		.amdhsa_user_sgpr_count 6
		.amdhsa_user_sgpr_private_segment_buffer 1
		.amdhsa_user_sgpr_dispatch_ptr 0
		.amdhsa_user_sgpr_queue_ptr 0
		.amdhsa_user_sgpr_kernarg_segment_ptr 1
		.amdhsa_user_sgpr_dispatch_id 0
		.amdhsa_user_sgpr_flat_scratch_init 0
		.amdhsa_user_sgpr_kernarg_preload_length 0
		.amdhsa_user_sgpr_kernarg_preload_offset 0
		.amdhsa_user_sgpr_private_segment_size 0
		.amdhsa_uses_dynamic_stack 0
		.amdhsa_system_sgpr_private_segment_wavefront_offset 0
		.amdhsa_system_sgpr_workgroup_id_x 1
		.amdhsa_system_sgpr_workgroup_id_y 0
		.amdhsa_system_sgpr_workgroup_id_z 0
		.amdhsa_system_sgpr_workgroup_info 0
		.amdhsa_system_vgpr_workitem_id 0
		.amdhsa_next_free_vgpr 1
		.amdhsa_next_free_sgpr 0
		.amdhsa_accum_offset 4
		.amdhsa_reserve_vcc 0
		.amdhsa_reserve_flat_scratch 0
		.amdhsa_float_round_mode_32 0
		.amdhsa_float_round_mode_16_64 0
		.amdhsa_float_denorm_mode_32 3
		.amdhsa_float_denorm_mode_16_64 3
		.amdhsa_dx10_clamp 1
		.amdhsa_ieee_mode 1
		.amdhsa_fp16_overflow 0
		.amdhsa_tg_split 0
		.amdhsa_exception_fp_ieee_invalid_op 0
		.amdhsa_exception_fp_denorm_src 0
		.amdhsa_exception_fp_ieee_div_zero 0
		.amdhsa_exception_fp_ieee_overflow 0
		.amdhsa_exception_fp_ieee_underflow 0
		.amdhsa_exception_fp_ieee_inexact 0
		.amdhsa_exception_int_div_zero 0
	.end_amdhsa_kernel
	.section	.text._ZN7rocprim17ROCPRIM_400000_NS6detail17trampoline_kernelINS0_14default_configENS1_27scan_by_key_config_selectorIxxEEZZNS1_16scan_by_key_implILNS1_25lookback_scan_determinismE0ELb1ES3_N6thrust23THRUST_200600_302600_NS6detail15normal_iteratorINS9_10device_ptrIxEEEESE_SE_xNS9_4plusIvEENS9_8equal_toIvEExEE10hipError_tPvRmT2_T3_T4_T5_mT6_T7_P12ihipStream_tbENKUlT_T0_E_clISt17integral_constantIbLb1EESZ_EEDaSU_SV_EUlSU_E_NS1_11comp_targetILNS1_3genE9ELNS1_11target_archE1100ELNS1_3gpuE3ELNS1_3repE0EEENS1_30default_config_static_selectorELNS0_4arch9wavefront6targetE1EEEvT1_,"axG",@progbits,_ZN7rocprim17ROCPRIM_400000_NS6detail17trampoline_kernelINS0_14default_configENS1_27scan_by_key_config_selectorIxxEEZZNS1_16scan_by_key_implILNS1_25lookback_scan_determinismE0ELb1ES3_N6thrust23THRUST_200600_302600_NS6detail15normal_iteratorINS9_10device_ptrIxEEEESE_SE_xNS9_4plusIvEENS9_8equal_toIvEExEE10hipError_tPvRmT2_T3_T4_T5_mT6_T7_P12ihipStream_tbENKUlT_T0_E_clISt17integral_constantIbLb1EESZ_EEDaSU_SV_EUlSU_E_NS1_11comp_targetILNS1_3genE9ELNS1_11target_archE1100ELNS1_3gpuE3ELNS1_3repE0EEENS1_30default_config_static_selectorELNS0_4arch9wavefront6targetE1EEEvT1_,comdat
.Lfunc_end369:
	.size	_ZN7rocprim17ROCPRIM_400000_NS6detail17trampoline_kernelINS0_14default_configENS1_27scan_by_key_config_selectorIxxEEZZNS1_16scan_by_key_implILNS1_25lookback_scan_determinismE0ELb1ES3_N6thrust23THRUST_200600_302600_NS6detail15normal_iteratorINS9_10device_ptrIxEEEESE_SE_xNS9_4plusIvEENS9_8equal_toIvEExEE10hipError_tPvRmT2_T3_T4_T5_mT6_T7_P12ihipStream_tbENKUlT_T0_E_clISt17integral_constantIbLb1EESZ_EEDaSU_SV_EUlSU_E_NS1_11comp_targetILNS1_3genE9ELNS1_11target_archE1100ELNS1_3gpuE3ELNS1_3repE0EEENS1_30default_config_static_selectorELNS0_4arch9wavefront6targetE1EEEvT1_, .Lfunc_end369-_ZN7rocprim17ROCPRIM_400000_NS6detail17trampoline_kernelINS0_14default_configENS1_27scan_by_key_config_selectorIxxEEZZNS1_16scan_by_key_implILNS1_25lookback_scan_determinismE0ELb1ES3_N6thrust23THRUST_200600_302600_NS6detail15normal_iteratorINS9_10device_ptrIxEEEESE_SE_xNS9_4plusIvEENS9_8equal_toIvEExEE10hipError_tPvRmT2_T3_T4_T5_mT6_T7_P12ihipStream_tbENKUlT_T0_E_clISt17integral_constantIbLb1EESZ_EEDaSU_SV_EUlSU_E_NS1_11comp_targetILNS1_3genE9ELNS1_11target_archE1100ELNS1_3gpuE3ELNS1_3repE0EEENS1_30default_config_static_selectorELNS0_4arch9wavefront6targetE1EEEvT1_
                                        ; -- End function
	.section	.AMDGPU.csdata,"",@progbits
; Kernel info:
; codeLenInByte = 0
; NumSgprs: 4
; NumVgprs: 0
; NumAgprs: 0
; TotalNumVgprs: 0
; ScratchSize: 0
; MemoryBound: 0
; FloatMode: 240
; IeeeMode: 1
; LDSByteSize: 0 bytes/workgroup (compile time only)
; SGPRBlocks: 0
; VGPRBlocks: 0
; NumSGPRsForWavesPerEU: 4
; NumVGPRsForWavesPerEU: 1
; AccumOffset: 4
; Occupancy: 8
; WaveLimiterHint : 0
; COMPUTE_PGM_RSRC2:SCRATCH_EN: 0
; COMPUTE_PGM_RSRC2:USER_SGPR: 6
; COMPUTE_PGM_RSRC2:TRAP_HANDLER: 0
; COMPUTE_PGM_RSRC2:TGID_X_EN: 1
; COMPUTE_PGM_RSRC2:TGID_Y_EN: 0
; COMPUTE_PGM_RSRC2:TGID_Z_EN: 0
; COMPUTE_PGM_RSRC2:TIDIG_COMP_CNT: 0
; COMPUTE_PGM_RSRC3_GFX90A:ACCUM_OFFSET: 0
; COMPUTE_PGM_RSRC3_GFX90A:TG_SPLIT: 0
	.section	.text._ZN7rocprim17ROCPRIM_400000_NS6detail17trampoline_kernelINS0_14default_configENS1_27scan_by_key_config_selectorIxxEEZZNS1_16scan_by_key_implILNS1_25lookback_scan_determinismE0ELb1ES3_N6thrust23THRUST_200600_302600_NS6detail15normal_iteratorINS9_10device_ptrIxEEEESE_SE_xNS9_4plusIvEENS9_8equal_toIvEExEE10hipError_tPvRmT2_T3_T4_T5_mT6_T7_P12ihipStream_tbENKUlT_T0_E_clISt17integral_constantIbLb1EESZ_EEDaSU_SV_EUlSU_E_NS1_11comp_targetILNS1_3genE8ELNS1_11target_archE1030ELNS1_3gpuE2ELNS1_3repE0EEENS1_30default_config_static_selectorELNS0_4arch9wavefront6targetE1EEEvT1_,"axG",@progbits,_ZN7rocprim17ROCPRIM_400000_NS6detail17trampoline_kernelINS0_14default_configENS1_27scan_by_key_config_selectorIxxEEZZNS1_16scan_by_key_implILNS1_25lookback_scan_determinismE0ELb1ES3_N6thrust23THRUST_200600_302600_NS6detail15normal_iteratorINS9_10device_ptrIxEEEESE_SE_xNS9_4plusIvEENS9_8equal_toIvEExEE10hipError_tPvRmT2_T3_T4_T5_mT6_T7_P12ihipStream_tbENKUlT_T0_E_clISt17integral_constantIbLb1EESZ_EEDaSU_SV_EUlSU_E_NS1_11comp_targetILNS1_3genE8ELNS1_11target_archE1030ELNS1_3gpuE2ELNS1_3repE0EEENS1_30default_config_static_selectorELNS0_4arch9wavefront6targetE1EEEvT1_,comdat
	.protected	_ZN7rocprim17ROCPRIM_400000_NS6detail17trampoline_kernelINS0_14default_configENS1_27scan_by_key_config_selectorIxxEEZZNS1_16scan_by_key_implILNS1_25lookback_scan_determinismE0ELb1ES3_N6thrust23THRUST_200600_302600_NS6detail15normal_iteratorINS9_10device_ptrIxEEEESE_SE_xNS9_4plusIvEENS9_8equal_toIvEExEE10hipError_tPvRmT2_T3_T4_T5_mT6_T7_P12ihipStream_tbENKUlT_T0_E_clISt17integral_constantIbLb1EESZ_EEDaSU_SV_EUlSU_E_NS1_11comp_targetILNS1_3genE8ELNS1_11target_archE1030ELNS1_3gpuE2ELNS1_3repE0EEENS1_30default_config_static_selectorELNS0_4arch9wavefront6targetE1EEEvT1_ ; -- Begin function _ZN7rocprim17ROCPRIM_400000_NS6detail17trampoline_kernelINS0_14default_configENS1_27scan_by_key_config_selectorIxxEEZZNS1_16scan_by_key_implILNS1_25lookback_scan_determinismE0ELb1ES3_N6thrust23THRUST_200600_302600_NS6detail15normal_iteratorINS9_10device_ptrIxEEEESE_SE_xNS9_4plusIvEENS9_8equal_toIvEExEE10hipError_tPvRmT2_T3_T4_T5_mT6_T7_P12ihipStream_tbENKUlT_T0_E_clISt17integral_constantIbLb1EESZ_EEDaSU_SV_EUlSU_E_NS1_11comp_targetILNS1_3genE8ELNS1_11target_archE1030ELNS1_3gpuE2ELNS1_3repE0EEENS1_30default_config_static_selectorELNS0_4arch9wavefront6targetE1EEEvT1_
	.globl	_ZN7rocprim17ROCPRIM_400000_NS6detail17trampoline_kernelINS0_14default_configENS1_27scan_by_key_config_selectorIxxEEZZNS1_16scan_by_key_implILNS1_25lookback_scan_determinismE0ELb1ES3_N6thrust23THRUST_200600_302600_NS6detail15normal_iteratorINS9_10device_ptrIxEEEESE_SE_xNS9_4plusIvEENS9_8equal_toIvEExEE10hipError_tPvRmT2_T3_T4_T5_mT6_T7_P12ihipStream_tbENKUlT_T0_E_clISt17integral_constantIbLb1EESZ_EEDaSU_SV_EUlSU_E_NS1_11comp_targetILNS1_3genE8ELNS1_11target_archE1030ELNS1_3gpuE2ELNS1_3repE0EEENS1_30default_config_static_selectorELNS0_4arch9wavefront6targetE1EEEvT1_
	.p2align	8
	.type	_ZN7rocprim17ROCPRIM_400000_NS6detail17trampoline_kernelINS0_14default_configENS1_27scan_by_key_config_selectorIxxEEZZNS1_16scan_by_key_implILNS1_25lookback_scan_determinismE0ELb1ES3_N6thrust23THRUST_200600_302600_NS6detail15normal_iteratorINS9_10device_ptrIxEEEESE_SE_xNS9_4plusIvEENS9_8equal_toIvEExEE10hipError_tPvRmT2_T3_T4_T5_mT6_T7_P12ihipStream_tbENKUlT_T0_E_clISt17integral_constantIbLb1EESZ_EEDaSU_SV_EUlSU_E_NS1_11comp_targetILNS1_3genE8ELNS1_11target_archE1030ELNS1_3gpuE2ELNS1_3repE0EEENS1_30default_config_static_selectorELNS0_4arch9wavefront6targetE1EEEvT1_,@function
_ZN7rocprim17ROCPRIM_400000_NS6detail17trampoline_kernelINS0_14default_configENS1_27scan_by_key_config_selectorIxxEEZZNS1_16scan_by_key_implILNS1_25lookback_scan_determinismE0ELb1ES3_N6thrust23THRUST_200600_302600_NS6detail15normal_iteratorINS9_10device_ptrIxEEEESE_SE_xNS9_4plusIvEENS9_8equal_toIvEExEE10hipError_tPvRmT2_T3_T4_T5_mT6_T7_P12ihipStream_tbENKUlT_T0_E_clISt17integral_constantIbLb1EESZ_EEDaSU_SV_EUlSU_E_NS1_11comp_targetILNS1_3genE8ELNS1_11target_archE1030ELNS1_3gpuE2ELNS1_3repE0EEENS1_30default_config_static_selectorELNS0_4arch9wavefront6targetE1EEEvT1_: ; @_ZN7rocprim17ROCPRIM_400000_NS6detail17trampoline_kernelINS0_14default_configENS1_27scan_by_key_config_selectorIxxEEZZNS1_16scan_by_key_implILNS1_25lookback_scan_determinismE0ELb1ES3_N6thrust23THRUST_200600_302600_NS6detail15normal_iteratorINS9_10device_ptrIxEEEESE_SE_xNS9_4plusIvEENS9_8equal_toIvEExEE10hipError_tPvRmT2_T3_T4_T5_mT6_T7_P12ihipStream_tbENKUlT_T0_E_clISt17integral_constantIbLb1EESZ_EEDaSU_SV_EUlSU_E_NS1_11comp_targetILNS1_3genE8ELNS1_11target_archE1030ELNS1_3gpuE2ELNS1_3repE0EEENS1_30default_config_static_selectorELNS0_4arch9wavefront6targetE1EEEvT1_
; %bb.0:
	.section	.rodata,"a",@progbits
	.p2align	6, 0x0
	.amdhsa_kernel _ZN7rocprim17ROCPRIM_400000_NS6detail17trampoline_kernelINS0_14default_configENS1_27scan_by_key_config_selectorIxxEEZZNS1_16scan_by_key_implILNS1_25lookback_scan_determinismE0ELb1ES3_N6thrust23THRUST_200600_302600_NS6detail15normal_iteratorINS9_10device_ptrIxEEEESE_SE_xNS9_4plusIvEENS9_8equal_toIvEExEE10hipError_tPvRmT2_T3_T4_T5_mT6_T7_P12ihipStream_tbENKUlT_T0_E_clISt17integral_constantIbLb1EESZ_EEDaSU_SV_EUlSU_E_NS1_11comp_targetILNS1_3genE8ELNS1_11target_archE1030ELNS1_3gpuE2ELNS1_3repE0EEENS1_30default_config_static_selectorELNS0_4arch9wavefront6targetE1EEEvT1_
		.amdhsa_group_segment_fixed_size 0
		.amdhsa_private_segment_fixed_size 0
		.amdhsa_kernarg_size 136
		.amdhsa_user_sgpr_count 6
		.amdhsa_user_sgpr_private_segment_buffer 1
		.amdhsa_user_sgpr_dispatch_ptr 0
		.amdhsa_user_sgpr_queue_ptr 0
		.amdhsa_user_sgpr_kernarg_segment_ptr 1
		.amdhsa_user_sgpr_dispatch_id 0
		.amdhsa_user_sgpr_flat_scratch_init 0
		.amdhsa_user_sgpr_kernarg_preload_length 0
		.amdhsa_user_sgpr_kernarg_preload_offset 0
		.amdhsa_user_sgpr_private_segment_size 0
		.amdhsa_uses_dynamic_stack 0
		.amdhsa_system_sgpr_private_segment_wavefront_offset 0
		.amdhsa_system_sgpr_workgroup_id_x 1
		.amdhsa_system_sgpr_workgroup_id_y 0
		.amdhsa_system_sgpr_workgroup_id_z 0
		.amdhsa_system_sgpr_workgroup_info 0
		.amdhsa_system_vgpr_workitem_id 0
		.amdhsa_next_free_vgpr 1
		.amdhsa_next_free_sgpr 0
		.amdhsa_accum_offset 4
		.amdhsa_reserve_vcc 0
		.amdhsa_reserve_flat_scratch 0
		.amdhsa_float_round_mode_32 0
		.amdhsa_float_round_mode_16_64 0
		.amdhsa_float_denorm_mode_32 3
		.amdhsa_float_denorm_mode_16_64 3
		.amdhsa_dx10_clamp 1
		.amdhsa_ieee_mode 1
		.amdhsa_fp16_overflow 0
		.amdhsa_tg_split 0
		.amdhsa_exception_fp_ieee_invalid_op 0
		.amdhsa_exception_fp_denorm_src 0
		.amdhsa_exception_fp_ieee_div_zero 0
		.amdhsa_exception_fp_ieee_overflow 0
		.amdhsa_exception_fp_ieee_underflow 0
		.amdhsa_exception_fp_ieee_inexact 0
		.amdhsa_exception_int_div_zero 0
	.end_amdhsa_kernel
	.section	.text._ZN7rocprim17ROCPRIM_400000_NS6detail17trampoline_kernelINS0_14default_configENS1_27scan_by_key_config_selectorIxxEEZZNS1_16scan_by_key_implILNS1_25lookback_scan_determinismE0ELb1ES3_N6thrust23THRUST_200600_302600_NS6detail15normal_iteratorINS9_10device_ptrIxEEEESE_SE_xNS9_4plusIvEENS9_8equal_toIvEExEE10hipError_tPvRmT2_T3_T4_T5_mT6_T7_P12ihipStream_tbENKUlT_T0_E_clISt17integral_constantIbLb1EESZ_EEDaSU_SV_EUlSU_E_NS1_11comp_targetILNS1_3genE8ELNS1_11target_archE1030ELNS1_3gpuE2ELNS1_3repE0EEENS1_30default_config_static_selectorELNS0_4arch9wavefront6targetE1EEEvT1_,"axG",@progbits,_ZN7rocprim17ROCPRIM_400000_NS6detail17trampoline_kernelINS0_14default_configENS1_27scan_by_key_config_selectorIxxEEZZNS1_16scan_by_key_implILNS1_25lookback_scan_determinismE0ELb1ES3_N6thrust23THRUST_200600_302600_NS6detail15normal_iteratorINS9_10device_ptrIxEEEESE_SE_xNS9_4plusIvEENS9_8equal_toIvEExEE10hipError_tPvRmT2_T3_T4_T5_mT6_T7_P12ihipStream_tbENKUlT_T0_E_clISt17integral_constantIbLb1EESZ_EEDaSU_SV_EUlSU_E_NS1_11comp_targetILNS1_3genE8ELNS1_11target_archE1030ELNS1_3gpuE2ELNS1_3repE0EEENS1_30default_config_static_selectorELNS0_4arch9wavefront6targetE1EEEvT1_,comdat
.Lfunc_end370:
	.size	_ZN7rocprim17ROCPRIM_400000_NS6detail17trampoline_kernelINS0_14default_configENS1_27scan_by_key_config_selectorIxxEEZZNS1_16scan_by_key_implILNS1_25lookback_scan_determinismE0ELb1ES3_N6thrust23THRUST_200600_302600_NS6detail15normal_iteratorINS9_10device_ptrIxEEEESE_SE_xNS9_4plusIvEENS9_8equal_toIvEExEE10hipError_tPvRmT2_T3_T4_T5_mT6_T7_P12ihipStream_tbENKUlT_T0_E_clISt17integral_constantIbLb1EESZ_EEDaSU_SV_EUlSU_E_NS1_11comp_targetILNS1_3genE8ELNS1_11target_archE1030ELNS1_3gpuE2ELNS1_3repE0EEENS1_30default_config_static_selectorELNS0_4arch9wavefront6targetE1EEEvT1_, .Lfunc_end370-_ZN7rocprim17ROCPRIM_400000_NS6detail17trampoline_kernelINS0_14default_configENS1_27scan_by_key_config_selectorIxxEEZZNS1_16scan_by_key_implILNS1_25lookback_scan_determinismE0ELb1ES3_N6thrust23THRUST_200600_302600_NS6detail15normal_iteratorINS9_10device_ptrIxEEEESE_SE_xNS9_4plusIvEENS9_8equal_toIvEExEE10hipError_tPvRmT2_T3_T4_T5_mT6_T7_P12ihipStream_tbENKUlT_T0_E_clISt17integral_constantIbLb1EESZ_EEDaSU_SV_EUlSU_E_NS1_11comp_targetILNS1_3genE8ELNS1_11target_archE1030ELNS1_3gpuE2ELNS1_3repE0EEENS1_30default_config_static_selectorELNS0_4arch9wavefront6targetE1EEEvT1_
                                        ; -- End function
	.section	.AMDGPU.csdata,"",@progbits
; Kernel info:
; codeLenInByte = 0
; NumSgprs: 4
; NumVgprs: 0
; NumAgprs: 0
; TotalNumVgprs: 0
; ScratchSize: 0
; MemoryBound: 0
; FloatMode: 240
; IeeeMode: 1
; LDSByteSize: 0 bytes/workgroup (compile time only)
; SGPRBlocks: 0
; VGPRBlocks: 0
; NumSGPRsForWavesPerEU: 4
; NumVGPRsForWavesPerEU: 1
; AccumOffset: 4
; Occupancy: 8
; WaveLimiterHint : 0
; COMPUTE_PGM_RSRC2:SCRATCH_EN: 0
; COMPUTE_PGM_RSRC2:USER_SGPR: 6
; COMPUTE_PGM_RSRC2:TRAP_HANDLER: 0
; COMPUTE_PGM_RSRC2:TGID_X_EN: 1
; COMPUTE_PGM_RSRC2:TGID_Y_EN: 0
; COMPUTE_PGM_RSRC2:TGID_Z_EN: 0
; COMPUTE_PGM_RSRC2:TIDIG_COMP_CNT: 0
; COMPUTE_PGM_RSRC3_GFX90A:ACCUM_OFFSET: 0
; COMPUTE_PGM_RSRC3_GFX90A:TG_SPLIT: 0
	.section	.text._ZN7rocprim17ROCPRIM_400000_NS6detail17trampoline_kernelINS0_14default_configENS1_27scan_by_key_config_selectorIxxEEZZNS1_16scan_by_key_implILNS1_25lookback_scan_determinismE0ELb1ES3_N6thrust23THRUST_200600_302600_NS6detail15normal_iteratorINS9_10device_ptrIxEEEESE_SE_xNS9_4plusIvEENS9_8equal_toIvEExEE10hipError_tPvRmT2_T3_T4_T5_mT6_T7_P12ihipStream_tbENKUlT_T0_E_clISt17integral_constantIbLb1EESY_IbLb0EEEEDaSU_SV_EUlSU_E_NS1_11comp_targetILNS1_3genE0ELNS1_11target_archE4294967295ELNS1_3gpuE0ELNS1_3repE0EEENS1_30default_config_static_selectorELNS0_4arch9wavefront6targetE1EEEvT1_,"axG",@progbits,_ZN7rocprim17ROCPRIM_400000_NS6detail17trampoline_kernelINS0_14default_configENS1_27scan_by_key_config_selectorIxxEEZZNS1_16scan_by_key_implILNS1_25lookback_scan_determinismE0ELb1ES3_N6thrust23THRUST_200600_302600_NS6detail15normal_iteratorINS9_10device_ptrIxEEEESE_SE_xNS9_4plusIvEENS9_8equal_toIvEExEE10hipError_tPvRmT2_T3_T4_T5_mT6_T7_P12ihipStream_tbENKUlT_T0_E_clISt17integral_constantIbLb1EESY_IbLb0EEEEDaSU_SV_EUlSU_E_NS1_11comp_targetILNS1_3genE0ELNS1_11target_archE4294967295ELNS1_3gpuE0ELNS1_3repE0EEENS1_30default_config_static_selectorELNS0_4arch9wavefront6targetE1EEEvT1_,comdat
	.protected	_ZN7rocprim17ROCPRIM_400000_NS6detail17trampoline_kernelINS0_14default_configENS1_27scan_by_key_config_selectorIxxEEZZNS1_16scan_by_key_implILNS1_25lookback_scan_determinismE0ELb1ES3_N6thrust23THRUST_200600_302600_NS6detail15normal_iteratorINS9_10device_ptrIxEEEESE_SE_xNS9_4plusIvEENS9_8equal_toIvEExEE10hipError_tPvRmT2_T3_T4_T5_mT6_T7_P12ihipStream_tbENKUlT_T0_E_clISt17integral_constantIbLb1EESY_IbLb0EEEEDaSU_SV_EUlSU_E_NS1_11comp_targetILNS1_3genE0ELNS1_11target_archE4294967295ELNS1_3gpuE0ELNS1_3repE0EEENS1_30default_config_static_selectorELNS0_4arch9wavefront6targetE1EEEvT1_ ; -- Begin function _ZN7rocprim17ROCPRIM_400000_NS6detail17trampoline_kernelINS0_14default_configENS1_27scan_by_key_config_selectorIxxEEZZNS1_16scan_by_key_implILNS1_25lookback_scan_determinismE0ELb1ES3_N6thrust23THRUST_200600_302600_NS6detail15normal_iteratorINS9_10device_ptrIxEEEESE_SE_xNS9_4plusIvEENS9_8equal_toIvEExEE10hipError_tPvRmT2_T3_T4_T5_mT6_T7_P12ihipStream_tbENKUlT_T0_E_clISt17integral_constantIbLb1EESY_IbLb0EEEEDaSU_SV_EUlSU_E_NS1_11comp_targetILNS1_3genE0ELNS1_11target_archE4294967295ELNS1_3gpuE0ELNS1_3repE0EEENS1_30default_config_static_selectorELNS0_4arch9wavefront6targetE1EEEvT1_
	.globl	_ZN7rocprim17ROCPRIM_400000_NS6detail17trampoline_kernelINS0_14default_configENS1_27scan_by_key_config_selectorIxxEEZZNS1_16scan_by_key_implILNS1_25lookback_scan_determinismE0ELb1ES3_N6thrust23THRUST_200600_302600_NS6detail15normal_iteratorINS9_10device_ptrIxEEEESE_SE_xNS9_4plusIvEENS9_8equal_toIvEExEE10hipError_tPvRmT2_T3_T4_T5_mT6_T7_P12ihipStream_tbENKUlT_T0_E_clISt17integral_constantIbLb1EESY_IbLb0EEEEDaSU_SV_EUlSU_E_NS1_11comp_targetILNS1_3genE0ELNS1_11target_archE4294967295ELNS1_3gpuE0ELNS1_3repE0EEENS1_30default_config_static_selectorELNS0_4arch9wavefront6targetE1EEEvT1_
	.p2align	8
	.type	_ZN7rocprim17ROCPRIM_400000_NS6detail17trampoline_kernelINS0_14default_configENS1_27scan_by_key_config_selectorIxxEEZZNS1_16scan_by_key_implILNS1_25lookback_scan_determinismE0ELb1ES3_N6thrust23THRUST_200600_302600_NS6detail15normal_iteratorINS9_10device_ptrIxEEEESE_SE_xNS9_4plusIvEENS9_8equal_toIvEExEE10hipError_tPvRmT2_T3_T4_T5_mT6_T7_P12ihipStream_tbENKUlT_T0_E_clISt17integral_constantIbLb1EESY_IbLb0EEEEDaSU_SV_EUlSU_E_NS1_11comp_targetILNS1_3genE0ELNS1_11target_archE4294967295ELNS1_3gpuE0ELNS1_3repE0EEENS1_30default_config_static_selectorELNS0_4arch9wavefront6targetE1EEEvT1_,@function
_ZN7rocprim17ROCPRIM_400000_NS6detail17trampoline_kernelINS0_14default_configENS1_27scan_by_key_config_selectorIxxEEZZNS1_16scan_by_key_implILNS1_25lookback_scan_determinismE0ELb1ES3_N6thrust23THRUST_200600_302600_NS6detail15normal_iteratorINS9_10device_ptrIxEEEESE_SE_xNS9_4plusIvEENS9_8equal_toIvEExEE10hipError_tPvRmT2_T3_T4_T5_mT6_T7_P12ihipStream_tbENKUlT_T0_E_clISt17integral_constantIbLb1EESY_IbLb0EEEEDaSU_SV_EUlSU_E_NS1_11comp_targetILNS1_3genE0ELNS1_11target_archE4294967295ELNS1_3gpuE0ELNS1_3repE0EEENS1_30default_config_static_selectorELNS0_4arch9wavefront6targetE1EEEvT1_: ; @_ZN7rocprim17ROCPRIM_400000_NS6detail17trampoline_kernelINS0_14default_configENS1_27scan_by_key_config_selectorIxxEEZZNS1_16scan_by_key_implILNS1_25lookback_scan_determinismE0ELb1ES3_N6thrust23THRUST_200600_302600_NS6detail15normal_iteratorINS9_10device_ptrIxEEEESE_SE_xNS9_4plusIvEENS9_8equal_toIvEExEE10hipError_tPvRmT2_T3_T4_T5_mT6_T7_P12ihipStream_tbENKUlT_T0_E_clISt17integral_constantIbLb1EESY_IbLb0EEEEDaSU_SV_EUlSU_E_NS1_11comp_targetILNS1_3genE0ELNS1_11target_archE4294967295ELNS1_3gpuE0ELNS1_3repE0EEENS1_30default_config_static_selectorELNS0_4arch9wavefront6targetE1EEEvT1_
; %bb.0:
	.section	.rodata,"a",@progbits
	.p2align	6, 0x0
	.amdhsa_kernel _ZN7rocprim17ROCPRIM_400000_NS6detail17trampoline_kernelINS0_14default_configENS1_27scan_by_key_config_selectorIxxEEZZNS1_16scan_by_key_implILNS1_25lookback_scan_determinismE0ELb1ES3_N6thrust23THRUST_200600_302600_NS6detail15normal_iteratorINS9_10device_ptrIxEEEESE_SE_xNS9_4plusIvEENS9_8equal_toIvEExEE10hipError_tPvRmT2_T3_T4_T5_mT6_T7_P12ihipStream_tbENKUlT_T0_E_clISt17integral_constantIbLb1EESY_IbLb0EEEEDaSU_SV_EUlSU_E_NS1_11comp_targetILNS1_3genE0ELNS1_11target_archE4294967295ELNS1_3gpuE0ELNS1_3repE0EEENS1_30default_config_static_selectorELNS0_4arch9wavefront6targetE1EEEvT1_
		.amdhsa_group_segment_fixed_size 0
		.amdhsa_private_segment_fixed_size 0
		.amdhsa_kernarg_size 136
		.amdhsa_user_sgpr_count 6
		.amdhsa_user_sgpr_private_segment_buffer 1
		.amdhsa_user_sgpr_dispatch_ptr 0
		.amdhsa_user_sgpr_queue_ptr 0
		.amdhsa_user_sgpr_kernarg_segment_ptr 1
		.amdhsa_user_sgpr_dispatch_id 0
		.amdhsa_user_sgpr_flat_scratch_init 0
		.amdhsa_user_sgpr_kernarg_preload_length 0
		.amdhsa_user_sgpr_kernarg_preload_offset 0
		.amdhsa_user_sgpr_private_segment_size 0
		.amdhsa_uses_dynamic_stack 0
		.amdhsa_system_sgpr_private_segment_wavefront_offset 0
		.amdhsa_system_sgpr_workgroup_id_x 1
		.amdhsa_system_sgpr_workgroup_id_y 0
		.amdhsa_system_sgpr_workgroup_id_z 0
		.amdhsa_system_sgpr_workgroup_info 0
		.amdhsa_system_vgpr_workitem_id 0
		.amdhsa_next_free_vgpr 1
		.amdhsa_next_free_sgpr 0
		.amdhsa_accum_offset 4
		.amdhsa_reserve_vcc 0
		.amdhsa_reserve_flat_scratch 0
		.amdhsa_float_round_mode_32 0
		.amdhsa_float_round_mode_16_64 0
		.amdhsa_float_denorm_mode_32 3
		.amdhsa_float_denorm_mode_16_64 3
		.amdhsa_dx10_clamp 1
		.amdhsa_ieee_mode 1
		.amdhsa_fp16_overflow 0
		.amdhsa_tg_split 0
		.amdhsa_exception_fp_ieee_invalid_op 0
		.amdhsa_exception_fp_denorm_src 0
		.amdhsa_exception_fp_ieee_div_zero 0
		.amdhsa_exception_fp_ieee_overflow 0
		.amdhsa_exception_fp_ieee_underflow 0
		.amdhsa_exception_fp_ieee_inexact 0
		.amdhsa_exception_int_div_zero 0
	.end_amdhsa_kernel
	.section	.text._ZN7rocprim17ROCPRIM_400000_NS6detail17trampoline_kernelINS0_14default_configENS1_27scan_by_key_config_selectorIxxEEZZNS1_16scan_by_key_implILNS1_25lookback_scan_determinismE0ELb1ES3_N6thrust23THRUST_200600_302600_NS6detail15normal_iteratorINS9_10device_ptrIxEEEESE_SE_xNS9_4plusIvEENS9_8equal_toIvEExEE10hipError_tPvRmT2_T3_T4_T5_mT6_T7_P12ihipStream_tbENKUlT_T0_E_clISt17integral_constantIbLb1EESY_IbLb0EEEEDaSU_SV_EUlSU_E_NS1_11comp_targetILNS1_3genE0ELNS1_11target_archE4294967295ELNS1_3gpuE0ELNS1_3repE0EEENS1_30default_config_static_selectorELNS0_4arch9wavefront6targetE1EEEvT1_,"axG",@progbits,_ZN7rocprim17ROCPRIM_400000_NS6detail17trampoline_kernelINS0_14default_configENS1_27scan_by_key_config_selectorIxxEEZZNS1_16scan_by_key_implILNS1_25lookback_scan_determinismE0ELb1ES3_N6thrust23THRUST_200600_302600_NS6detail15normal_iteratorINS9_10device_ptrIxEEEESE_SE_xNS9_4plusIvEENS9_8equal_toIvEExEE10hipError_tPvRmT2_T3_T4_T5_mT6_T7_P12ihipStream_tbENKUlT_T0_E_clISt17integral_constantIbLb1EESY_IbLb0EEEEDaSU_SV_EUlSU_E_NS1_11comp_targetILNS1_3genE0ELNS1_11target_archE4294967295ELNS1_3gpuE0ELNS1_3repE0EEENS1_30default_config_static_selectorELNS0_4arch9wavefront6targetE1EEEvT1_,comdat
.Lfunc_end371:
	.size	_ZN7rocprim17ROCPRIM_400000_NS6detail17trampoline_kernelINS0_14default_configENS1_27scan_by_key_config_selectorIxxEEZZNS1_16scan_by_key_implILNS1_25lookback_scan_determinismE0ELb1ES3_N6thrust23THRUST_200600_302600_NS6detail15normal_iteratorINS9_10device_ptrIxEEEESE_SE_xNS9_4plusIvEENS9_8equal_toIvEExEE10hipError_tPvRmT2_T3_T4_T5_mT6_T7_P12ihipStream_tbENKUlT_T0_E_clISt17integral_constantIbLb1EESY_IbLb0EEEEDaSU_SV_EUlSU_E_NS1_11comp_targetILNS1_3genE0ELNS1_11target_archE4294967295ELNS1_3gpuE0ELNS1_3repE0EEENS1_30default_config_static_selectorELNS0_4arch9wavefront6targetE1EEEvT1_, .Lfunc_end371-_ZN7rocprim17ROCPRIM_400000_NS6detail17trampoline_kernelINS0_14default_configENS1_27scan_by_key_config_selectorIxxEEZZNS1_16scan_by_key_implILNS1_25lookback_scan_determinismE0ELb1ES3_N6thrust23THRUST_200600_302600_NS6detail15normal_iteratorINS9_10device_ptrIxEEEESE_SE_xNS9_4plusIvEENS9_8equal_toIvEExEE10hipError_tPvRmT2_T3_T4_T5_mT6_T7_P12ihipStream_tbENKUlT_T0_E_clISt17integral_constantIbLb1EESY_IbLb0EEEEDaSU_SV_EUlSU_E_NS1_11comp_targetILNS1_3genE0ELNS1_11target_archE4294967295ELNS1_3gpuE0ELNS1_3repE0EEENS1_30default_config_static_selectorELNS0_4arch9wavefront6targetE1EEEvT1_
                                        ; -- End function
	.section	.AMDGPU.csdata,"",@progbits
; Kernel info:
; codeLenInByte = 0
; NumSgprs: 4
; NumVgprs: 0
; NumAgprs: 0
; TotalNumVgprs: 0
; ScratchSize: 0
; MemoryBound: 0
; FloatMode: 240
; IeeeMode: 1
; LDSByteSize: 0 bytes/workgroup (compile time only)
; SGPRBlocks: 0
; VGPRBlocks: 0
; NumSGPRsForWavesPerEU: 4
; NumVGPRsForWavesPerEU: 1
; AccumOffset: 4
; Occupancy: 8
; WaveLimiterHint : 0
; COMPUTE_PGM_RSRC2:SCRATCH_EN: 0
; COMPUTE_PGM_RSRC2:USER_SGPR: 6
; COMPUTE_PGM_RSRC2:TRAP_HANDLER: 0
; COMPUTE_PGM_RSRC2:TGID_X_EN: 1
; COMPUTE_PGM_RSRC2:TGID_Y_EN: 0
; COMPUTE_PGM_RSRC2:TGID_Z_EN: 0
; COMPUTE_PGM_RSRC2:TIDIG_COMP_CNT: 0
; COMPUTE_PGM_RSRC3_GFX90A:ACCUM_OFFSET: 0
; COMPUTE_PGM_RSRC3_GFX90A:TG_SPLIT: 0
	.section	.text._ZN7rocprim17ROCPRIM_400000_NS6detail17trampoline_kernelINS0_14default_configENS1_27scan_by_key_config_selectorIxxEEZZNS1_16scan_by_key_implILNS1_25lookback_scan_determinismE0ELb1ES3_N6thrust23THRUST_200600_302600_NS6detail15normal_iteratorINS9_10device_ptrIxEEEESE_SE_xNS9_4plusIvEENS9_8equal_toIvEExEE10hipError_tPvRmT2_T3_T4_T5_mT6_T7_P12ihipStream_tbENKUlT_T0_E_clISt17integral_constantIbLb1EESY_IbLb0EEEEDaSU_SV_EUlSU_E_NS1_11comp_targetILNS1_3genE10ELNS1_11target_archE1201ELNS1_3gpuE5ELNS1_3repE0EEENS1_30default_config_static_selectorELNS0_4arch9wavefront6targetE1EEEvT1_,"axG",@progbits,_ZN7rocprim17ROCPRIM_400000_NS6detail17trampoline_kernelINS0_14default_configENS1_27scan_by_key_config_selectorIxxEEZZNS1_16scan_by_key_implILNS1_25lookback_scan_determinismE0ELb1ES3_N6thrust23THRUST_200600_302600_NS6detail15normal_iteratorINS9_10device_ptrIxEEEESE_SE_xNS9_4plusIvEENS9_8equal_toIvEExEE10hipError_tPvRmT2_T3_T4_T5_mT6_T7_P12ihipStream_tbENKUlT_T0_E_clISt17integral_constantIbLb1EESY_IbLb0EEEEDaSU_SV_EUlSU_E_NS1_11comp_targetILNS1_3genE10ELNS1_11target_archE1201ELNS1_3gpuE5ELNS1_3repE0EEENS1_30default_config_static_selectorELNS0_4arch9wavefront6targetE1EEEvT1_,comdat
	.protected	_ZN7rocprim17ROCPRIM_400000_NS6detail17trampoline_kernelINS0_14default_configENS1_27scan_by_key_config_selectorIxxEEZZNS1_16scan_by_key_implILNS1_25lookback_scan_determinismE0ELb1ES3_N6thrust23THRUST_200600_302600_NS6detail15normal_iteratorINS9_10device_ptrIxEEEESE_SE_xNS9_4plusIvEENS9_8equal_toIvEExEE10hipError_tPvRmT2_T3_T4_T5_mT6_T7_P12ihipStream_tbENKUlT_T0_E_clISt17integral_constantIbLb1EESY_IbLb0EEEEDaSU_SV_EUlSU_E_NS1_11comp_targetILNS1_3genE10ELNS1_11target_archE1201ELNS1_3gpuE5ELNS1_3repE0EEENS1_30default_config_static_selectorELNS0_4arch9wavefront6targetE1EEEvT1_ ; -- Begin function _ZN7rocprim17ROCPRIM_400000_NS6detail17trampoline_kernelINS0_14default_configENS1_27scan_by_key_config_selectorIxxEEZZNS1_16scan_by_key_implILNS1_25lookback_scan_determinismE0ELb1ES3_N6thrust23THRUST_200600_302600_NS6detail15normal_iteratorINS9_10device_ptrIxEEEESE_SE_xNS9_4plusIvEENS9_8equal_toIvEExEE10hipError_tPvRmT2_T3_T4_T5_mT6_T7_P12ihipStream_tbENKUlT_T0_E_clISt17integral_constantIbLb1EESY_IbLb0EEEEDaSU_SV_EUlSU_E_NS1_11comp_targetILNS1_3genE10ELNS1_11target_archE1201ELNS1_3gpuE5ELNS1_3repE0EEENS1_30default_config_static_selectorELNS0_4arch9wavefront6targetE1EEEvT1_
	.globl	_ZN7rocprim17ROCPRIM_400000_NS6detail17trampoline_kernelINS0_14default_configENS1_27scan_by_key_config_selectorIxxEEZZNS1_16scan_by_key_implILNS1_25lookback_scan_determinismE0ELb1ES3_N6thrust23THRUST_200600_302600_NS6detail15normal_iteratorINS9_10device_ptrIxEEEESE_SE_xNS9_4plusIvEENS9_8equal_toIvEExEE10hipError_tPvRmT2_T3_T4_T5_mT6_T7_P12ihipStream_tbENKUlT_T0_E_clISt17integral_constantIbLb1EESY_IbLb0EEEEDaSU_SV_EUlSU_E_NS1_11comp_targetILNS1_3genE10ELNS1_11target_archE1201ELNS1_3gpuE5ELNS1_3repE0EEENS1_30default_config_static_selectorELNS0_4arch9wavefront6targetE1EEEvT1_
	.p2align	8
	.type	_ZN7rocprim17ROCPRIM_400000_NS6detail17trampoline_kernelINS0_14default_configENS1_27scan_by_key_config_selectorIxxEEZZNS1_16scan_by_key_implILNS1_25lookback_scan_determinismE0ELb1ES3_N6thrust23THRUST_200600_302600_NS6detail15normal_iteratorINS9_10device_ptrIxEEEESE_SE_xNS9_4plusIvEENS9_8equal_toIvEExEE10hipError_tPvRmT2_T3_T4_T5_mT6_T7_P12ihipStream_tbENKUlT_T0_E_clISt17integral_constantIbLb1EESY_IbLb0EEEEDaSU_SV_EUlSU_E_NS1_11comp_targetILNS1_3genE10ELNS1_11target_archE1201ELNS1_3gpuE5ELNS1_3repE0EEENS1_30default_config_static_selectorELNS0_4arch9wavefront6targetE1EEEvT1_,@function
_ZN7rocprim17ROCPRIM_400000_NS6detail17trampoline_kernelINS0_14default_configENS1_27scan_by_key_config_selectorIxxEEZZNS1_16scan_by_key_implILNS1_25lookback_scan_determinismE0ELb1ES3_N6thrust23THRUST_200600_302600_NS6detail15normal_iteratorINS9_10device_ptrIxEEEESE_SE_xNS9_4plusIvEENS9_8equal_toIvEExEE10hipError_tPvRmT2_T3_T4_T5_mT6_T7_P12ihipStream_tbENKUlT_T0_E_clISt17integral_constantIbLb1EESY_IbLb0EEEEDaSU_SV_EUlSU_E_NS1_11comp_targetILNS1_3genE10ELNS1_11target_archE1201ELNS1_3gpuE5ELNS1_3repE0EEENS1_30default_config_static_selectorELNS0_4arch9wavefront6targetE1EEEvT1_: ; @_ZN7rocprim17ROCPRIM_400000_NS6detail17trampoline_kernelINS0_14default_configENS1_27scan_by_key_config_selectorIxxEEZZNS1_16scan_by_key_implILNS1_25lookback_scan_determinismE0ELb1ES3_N6thrust23THRUST_200600_302600_NS6detail15normal_iteratorINS9_10device_ptrIxEEEESE_SE_xNS9_4plusIvEENS9_8equal_toIvEExEE10hipError_tPvRmT2_T3_T4_T5_mT6_T7_P12ihipStream_tbENKUlT_T0_E_clISt17integral_constantIbLb1EESY_IbLb0EEEEDaSU_SV_EUlSU_E_NS1_11comp_targetILNS1_3genE10ELNS1_11target_archE1201ELNS1_3gpuE5ELNS1_3repE0EEENS1_30default_config_static_selectorELNS0_4arch9wavefront6targetE1EEEvT1_
; %bb.0:
	.section	.rodata,"a",@progbits
	.p2align	6, 0x0
	.amdhsa_kernel _ZN7rocprim17ROCPRIM_400000_NS6detail17trampoline_kernelINS0_14default_configENS1_27scan_by_key_config_selectorIxxEEZZNS1_16scan_by_key_implILNS1_25lookback_scan_determinismE0ELb1ES3_N6thrust23THRUST_200600_302600_NS6detail15normal_iteratorINS9_10device_ptrIxEEEESE_SE_xNS9_4plusIvEENS9_8equal_toIvEExEE10hipError_tPvRmT2_T3_T4_T5_mT6_T7_P12ihipStream_tbENKUlT_T0_E_clISt17integral_constantIbLb1EESY_IbLb0EEEEDaSU_SV_EUlSU_E_NS1_11comp_targetILNS1_3genE10ELNS1_11target_archE1201ELNS1_3gpuE5ELNS1_3repE0EEENS1_30default_config_static_selectorELNS0_4arch9wavefront6targetE1EEEvT1_
		.amdhsa_group_segment_fixed_size 0
		.amdhsa_private_segment_fixed_size 0
		.amdhsa_kernarg_size 136
		.amdhsa_user_sgpr_count 6
		.amdhsa_user_sgpr_private_segment_buffer 1
		.amdhsa_user_sgpr_dispatch_ptr 0
		.amdhsa_user_sgpr_queue_ptr 0
		.amdhsa_user_sgpr_kernarg_segment_ptr 1
		.amdhsa_user_sgpr_dispatch_id 0
		.amdhsa_user_sgpr_flat_scratch_init 0
		.amdhsa_user_sgpr_kernarg_preload_length 0
		.amdhsa_user_sgpr_kernarg_preload_offset 0
		.amdhsa_user_sgpr_private_segment_size 0
		.amdhsa_uses_dynamic_stack 0
		.amdhsa_system_sgpr_private_segment_wavefront_offset 0
		.amdhsa_system_sgpr_workgroup_id_x 1
		.amdhsa_system_sgpr_workgroup_id_y 0
		.amdhsa_system_sgpr_workgroup_id_z 0
		.amdhsa_system_sgpr_workgroup_info 0
		.amdhsa_system_vgpr_workitem_id 0
		.amdhsa_next_free_vgpr 1
		.amdhsa_next_free_sgpr 0
		.amdhsa_accum_offset 4
		.amdhsa_reserve_vcc 0
		.amdhsa_reserve_flat_scratch 0
		.amdhsa_float_round_mode_32 0
		.amdhsa_float_round_mode_16_64 0
		.amdhsa_float_denorm_mode_32 3
		.amdhsa_float_denorm_mode_16_64 3
		.amdhsa_dx10_clamp 1
		.amdhsa_ieee_mode 1
		.amdhsa_fp16_overflow 0
		.amdhsa_tg_split 0
		.amdhsa_exception_fp_ieee_invalid_op 0
		.amdhsa_exception_fp_denorm_src 0
		.amdhsa_exception_fp_ieee_div_zero 0
		.amdhsa_exception_fp_ieee_overflow 0
		.amdhsa_exception_fp_ieee_underflow 0
		.amdhsa_exception_fp_ieee_inexact 0
		.amdhsa_exception_int_div_zero 0
	.end_amdhsa_kernel
	.section	.text._ZN7rocprim17ROCPRIM_400000_NS6detail17trampoline_kernelINS0_14default_configENS1_27scan_by_key_config_selectorIxxEEZZNS1_16scan_by_key_implILNS1_25lookback_scan_determinismE0ELb1ES3_N6thrust23THRUST_200600_302600_NS6detail15normal_iteratorINS9_10device_ptrIxEEEESE_SE_xNS9_4plusIvEENS9_8equal_toIvEExEE10hipError_tPvRmT2_T3_T4_T5_mT6_T7_P12ihipStream_tbENKUlT_T0_E_clISt17integral_constantIbLb1EESY_IbLb0EEEEDaSU_SV_EUlSU_E_NS1_11comp_targetILNS1_3genE10ELNS1_11target_archE1201ELNS1_3gpuE5ELNS1_3repE0EEENS1_30default_config_static_selectorELNS0_4arch9wavefront6targetE1EEEvT1_,"axG",@progbits,_ZN7rocprim17ROCPRIM_400000_NS6detail17trampoline_kernelINS0_14default_configENS1_27scan_by_key_config_selectorIxxEEZZNS1_16scan_by_key_implILNS1_25lookback_scan_determinismE0ELb1ES3_N6thrust23THRUST_200600_302600_NS6detail15normal_iteratorINS9_10device_ptrIxEEEESE_SE_xNS9_4plusIvEENS9_8equal_toIvEExEE10hipError_tPvRmT2_T3_T4_T5_mT6_T7_P12ihipStream_tbENKUlT_T0_E_clISt17integral_constantIbLb1EESY_IbLb0EEEEDaSU_SV_EUlSU_E_NS1_11comp_targetILNS1_3genE10ELNS1_11target_archE1201ELNS1_3gpuE5ELNS1_3repE0EEENS1_30default_config_static_selectorELNS0_4arch9wavefront6targetE1EEEvT1_,comdat
.Lfunc_end372:
	.size	_ZN7rocprim17ROCPRIM_400000_NS6detail17trampoline_kernelINS0_14default_configENS1_27scan_by_key_config_selectorIxxEEZZNS1_16scan_by_key_implILNS1_25lookback_scan_determinismE0ELb1ES3_N6thrust23THRUST_200600_302600_NS6detail15normal_iteratorINS9_10device_ptrIxEEEESE_SE_xNS9_4plusIvEENS9_8equal_toIvEExEE10hipError_tPvRmT2_T3_T4_T5_mT6_T7_P12ihipStream_tbENKUlT_T0_E_clISt17integral_constantIbLb1EESY_IbLb0EEEEDaSU_SV_EUlSU_E_NS1_11comp_targetILNS1_3genE10ELNS1_11target_archE1201ELNS1_3gpuE5ELNS1_3repE0EEENS1_30default_config_static_selectorELNS0_4arch9wavefront6targetE1EEEvT1_, .Lfunc_end372-_ZN7rocprim17ROCPRIM_400000_NS6detail17trampoline_kernelINS0_14default_configENS1_27scan_by_key_config_selectorIxxEEZZNS1_16scan_by_key_implILNS1_25lookback_scan_determinismE0ELb1ES3_N6thrust23THRUST_200600_302600_NS6detail15normal_iteratorINS9_10device_ptrIxEEEESE_SE_xNS9_4plusIvEENS9_8equal_toIvEExEE10hipError_tPvRmT2_T3_T4_T5_mT6_T7_P12ihipStream_tbENKUlT_T0_E_clISt17integral_constantIbLb1EESY_IbLb0EEEEDaSU_SV_EUlSU_E_NS1_11comp_targetILNS1_3genE10ELNS1_11target_archE1201ELNS1_3gpuE5ELNS1_3repE0EEENS1_30default_config_static_selectorELNS0_4arch9wavefront6targetE1EEEvT1_
                                        ; -- End function
	.section	.AMDGPU.csdata,"",@progbits
; Kernel info:
; codeLenInByte = 0
; NumSgprs: 4
; NumVgprs: 0
; NumAgprs: 0
; TotalNumVgprs: 0
; ScratchSize: 0
; MemoryBound: 0
; FloatMode: 240
; IeeeMode: 1
; LDSByteSize: 0 bytes/workgroup (compile time only)
; SGPRBlocks: 0
; VGPRBlocks: 0
; NumSGPRsForWavesPerEU: 4
; NumVGPRsForWavesPerEU: 1
; AccumOffset: 4
; Occupancy: 8
; WaveLimiterHint : 0
; COMPUTE_PGM_RSRC2:SCRATCH_EN: 0
; COMPUTE_PGM_RSRC2:USER_SGPR: 6
; COMPUTE_PGM_RSRC2:TRAP_HANDLER: 0
; COMPUTE_PGM_RSRC2:TGID_X_EN: 1
; COMPUTE_PGM_RSRC2:TGID_Y_EN: 0
; COMPUTE_PGM_RSRC2:TGID_Z_EN: 0
; COMPUTE_PGM_RSRC2:TIDIG_COMP_CNT: 0
; COMPUTE_PGM_RSRC3_GFX90A:ACCUM_OFFSET: 0
; COMPUTE_PGM_RSRC3_GFX90A:TG_SPLIT: 0
	.section	.text._ZN7rocprim17ROCPRIM_400000_NS6detail17trampoline_kernelINS0_14default_configENS1_27scan_by_key_config_selectorIxxEEZZNS1_16scan_by_key_implILNS1_25lookback_scan_determinismE0ELb1ES3_N6thrust23THRUST_200600_302600_NS6detail15normal_iteratorINS9_10device_ptrIxEEEESE_SE_xNS9_4plusIvEENS9_8equal_toIvEExEE10hipError_tPvRmT2_T3_T4_T5_mT6_T7_P12ihipStream_tbENKUlT_T0_E_clISt17integral_constantIbLb1EESY_IbLb0EEEEDaSU_SV_EUlSU_E_NS1_11comp_targetILNS1_3genE5ELNS1_11target_archE942ELNS1_3gpuE9ELNS1_3repE0EEENS1_30default_config_static_selectorELNS0_4arch9wavefront6targetE1EEEvT1_,"axG",@progbits,_ZN7rocprim17ROCPRIM_400000_NS6detail17trampoline_kernelINS0_14default_configENS1_27scan_by_key_config_selectorIxxEEZZNS1_16scan_by_key_implILNS1_25lookback_scan_determinismE0ELb1ES3_N6thrust23THRUST_200600_302600_NS6detail15normal_iteratorINS9_10device_ptrIxEEEESE_SE_xNS9_4plusIvEENS9_8equal_toIvEExEE10hipError_tPvRmT2_T3_T4_T5_mT6_T7_P12ihipStream_tbENKUlT_T0_E_clISt17integral_constantIbLb1EESY_IbLb0EEEEDaSU_SV_EUlSU_E_NS1_11comp_targetILNS1_3genE5ELNS1_11target_archE942ELNS1_3gpuE9ELNS1_3repE0EEENS1_30default_config_static_selectorELNS0_4arch9wavefront6targetE1EEEvT1_,comdat
	.protected	_ZN7rocprim17ROCPRIM_400000_NS6detail17trampoline_kernelINS0_14default_configENS1_27scan_by_key_config_selectorIxxEEZZNS1_16scan_by_key_implILNS1_25lookback_scan_determinismE0ELb1ES3_N6thrust23THRUST_200600_302600_NS6detail15normal_iteratorINS9_10device_ptrIxEEEESE_SE_xNS9_4plusIvEENS9_8equal_toIvEExEE10hipError_tPvRmT2_T3_T4_T5_mT6_T7_P12ihipStream_tbENKUlT_T0_E_clISt17integral_constantIbLb1EESY_IbLb0EEEEDaSU_SV_EUlSU_E_NS1_11comp_targetILNS1_3genE5ELNS1_11target_archE942ELNS1_3gpuE9ELNS1_3repE0EEENS1_30default_config_static_selectorELNS0_4arch9wavefront6targetE1EEEvT1_ ; -- Begin function _ZN7rocprim17ROCPRIM_400000_NS6detail17trampoline_kernelINS0_14default_configENS1_27scan_by_key_config_selectorIxxEEZZNS1_16scan_by_key_implILNS1_25lookback_scan_determinismE0ELb1ES3_N6thrust23THRUST_200600_302600_NS6detail15normal_iteratorINS9_10device_ptrIxEEEESE_SE_xNS9_4plusIvEENS9_8equal_toIvEExEE10hipError_tPvRmT2_T3_T4_T5_mT6_T7_P12ihipStream_tbENKUlT_T0_E_clISt17integral_constantIbLb1EESY_IbLb0EEEEDaSU_SV_EUlSU_E_NS1_11comp_targetILNS1_3genE5ELNS1_11target_archE942ELNS1_3gpuE9ELNS1_3repE0EEENS1_30default_config_static_selectorELNS0_4arch9wavefront6targetE1EEEvT1_
	.globl	_ZN7rocprim17ROCPRIM_400000_NS6detail17trampoline_kernelINS0_14default_configENS1_27scan_by_key_config_selectorIxxEEZZNS1_16scan_by_key_implILNS1_25lookback_scan_determinismE0ELb1ES3_N6thrust23THRUST_200600_302600_NS6detail15normal_iteratorINS9_10device_ptrIxEEEESE_SE_xNS9_4plusIvEENS9_8equal_toIvEExEE10hipError_tPvRmT2_T3_T4_T5_mT6_T7_P12ihipStream_tbENKUlT_T0_E_clISt17integral_constantIbLb1EESY_IbLb0EEEEDaSU_SV_EUlSU_E_NS1_11comp_targetILNS1_3genE5ELNS1_11target_archE942ELNS1_3gpuE9ELNS1_3repE0EEENS1_30default_config_static_selectorELNS0_4arch9wavefront6targetE1EEEvT1_
	.p2align	8
	.type	_ZN7rocprim17ROCPRIM_400000_NS6detail17trampoline_kernelINS0_14default_configENS1_27scan_by_key_config_selectorIxxEEZZNS1_16scan_by_key_implILNS1_25lookback_scan_determinismE0ELb1ES3_N6thrust23THRUST_200600_302600_NS6detail15normal_iteratorINS9_10device_ptrIxEEEESE_SE_xNS9_4plusIvEENS9_8equal_toIvEExEE10hipError_tPvRmT2_T3_T4_T5_mT6_T7_P12ihipStream_tbENKUlT_T0_E_clISt17integral_constantIbLb1EESY_IbLb0EEEEDaSU_SV_EUlSU_E_NS1_11comp_targetILNS1_3genE5ELNS1_11target_archE942ELNS1_3gpuE9ELNS1_3repE0EEENS1_30default_config_static_selectorELNS0_4arch9wavefront6targetE1EEEvT1_,@function
_ZN7rocprim17ROCPRIM_400000_NS6detail17trampoline_kernelINS0_14default_configENS1_27scan_by_key_config_selectorIxxEEZZNS1_16scan_by_key_implILNS1_25lookback_scan_determinismE0ELb1ES3_N6thrust23THRUST_200600_302600_NS6detail15normal_iteratorINS9_10device_ptrIxEEEESE_SE_xNS9_4plusIvEENS9_8equal_toIvEExEE10hipError_tPvRmT2_T3_T4_T5_mT6_T7_P12ihipStream_tbENKUlT_T0_E_clISt17integral_constantIbLb1EESY_IbLb0EEEEDaSU_SV_EUlSU_E_NS1_11comp_targetILNS1_3genE5ELNS1_11target_archE942ELNS1_3gpuE9ELNS1_3repE0EEENS1_30default_config_static_selectorELNS0_4arch9wavefront6targetE1EEEvT1_: ; @_ZN7rocprim17ROCPRIM_400000_NS6detail17trampoline_kernelINS0_14default_configENS1_27scan_by_key_config_selectorIxxEEZZNS1_16scan_by_key_implILNS1_25lookback_scan_determinismE0ELb1ES3_N6thrust23THRUST_200600_302600_NS6detail15normal_iteratorINS9_10device_ptrIxEEEESE_SE_xNS9_4plusIvEENS9_8equal_toIvEExEE10hipError_tPvRmT2_T3_T4_T5_mT6_T7_P12ihipStream_tbENKUlT_T0_E_clISt17integral_constantIbLb1EESY_IbLb0EEEEDaSU_SV_EUlSU_E_NS1_11comp_targetILNS1_3genE5ELNS1_11target_archE942ELNS1_3gpuE9ELNS1_3repE0EEENS1_30default_config_static_selectorELNS0_4arch9wavefront6targetE1EEEvT1_
; %bb.0:
	.section	.rodata,"a",@progbits
	.p2align	6, 0x0
	.amdhsa_kernel _ZN7rocprim17ROCPRIM_400000_NS6detail17trampoline_kernelINS0_14default_configENS1_27scan_by_key_config_selectorIxxEEZZNS1_16scan_by_key_implILNS1_25lookback_scan_determinismE0ELb1ES3_N6thrust23THRUST_200600_302600_NS6detail15normal_iteratorINS9_10device_ptrIxEEEESE_SE_xNS9_4plusIvEENS9_8equal_toIvEExEE10hipError_tPvRmT2_T3_T4_T5_mT6_T7_P12ihipStream_tbENKUlT_T0_E_clISt17integral_constantIbLb1EESY_IbLb0EEEEDaSU_SV_EUlSU_E_NS1_11comp_targetILNS1_3genE5ELNS1_11target_archE942ELNS1_3gpuE9ELNS1_3repE0EEENS1_30default_config_static_selectorELNS0_4arch9wavefront6targetE1EEEvT1_
		.amdhsa_group_segment_fixed_size 0
		.amdhsa_private_segment_fixed_size 0
		.amdhsa_kernarg_size 136
		.amdhsa_user_sgpr_count 6
		.amdhsa_user_sgpr_private_segment_buffer 1
		.amdhsa_user_sgpr_dispatch_ptr 0
		.amdhsa_user_sgpr_queue_ptr 0
		.amdhsa_user_sgpr_kernarg_segment_ptr 1
		.amdhsa_user_sgpr_dispatch_id 0
		.amdhsa_user_sgpr_flat_scratch_init 0
		.amdhsa_user_sgpr_kernarg_preload_length 0
		.amdhsa_user_sgpr_kernarg_preload_offset 0
		.amdhsa_user_sgpr_private_segment_size 0
		.amdhsa_uses_dynamic_stack 0
		.amdhsa_system_sgpr_private_segment_wavefront_offset 0
		.amdhsa_system_sgpr_workgroup_id_x 1
		.amdhsa_system_sgpr_workgroup_id_y 0
		.amdhsa_system_sgpr_workgroup_id_z 0
		.amdhsa_system_sgpr_workgroup_info 0
		.amdhsa_system_vgpr_workitem_id 0
		.amdhsa_next_free_vgpr 1
		.amdhsa_next_free_sgpr 0
		.amdhsa_accum_offset 4
		.amdhsa_reserve_vcc 0
		.amdhsa_reserve_flat_scratch 0
		.amdhsa_float_round_mode_32 0
		.amdhsa_float_round_mode_16_64 0
		.amdhsa_float_denorm_mode_32 3
		.amdhsa_float_denorm_mode_16_64 3
		.amdhsa_dx10_clamp 1
		.amdhsa_ieee_mode 1
		.amdhsa_fp16_overflow 0
		.amdhsa_tg_split 0
		.amdhsa_exception_fp_ieee_invalid_op 0
		.amdhsa_exception_fp_denorm_src 0
		.amdhsa_exception_fp_ieee_div_zero 0
		.amdhsa_exception_fp_ieee_overflow 0
		.amdhsa_exception_fp_ieee_underflow 0
		.amdhsa_exception_fp_ieee_inexact 0
		.amdhsa_exception_int_div_zero 0
	.end_amdhsa_kernel
	.section	.text._ZN7rocprim17ROCPRIM_400000_NS6detail17trampoline_kernelINS0_14default_configENS1_27scan_by_key_config_selectorIxxEEZZNS1_16scan_by_key_implILNS1_25lookback_scan_determinismE0ELb1ES3_N6thrust23THRUST_200600_302600_NS6detail15normal_iteratorINS9_10device_ptrIxEEEESE_SE_xNS9_4plusIvEENS9_8equal_toIvEExEE10hipError_tPvRmT2_T3_T4_T5_mT6_T7_P12ihipStream_tbENKUlT_T0_E_clISt17integral_constantIbLb1EESY_IbLb0EEEEDaSU_SV_EUlSU_E_NS1_11comp_targetILNS1_3genE5ELNS1_11target_archE942ELNS1_3gpuE9ELNS1_3repE0EEENS1_30default_config_static_selectorELNS0_4arch9wavefront6targetE1EEEvT1_,"axG",@progbits,_ZN7rocprim17ROCPRIM_400000_NS6detail17trampoline_kernelINS0_14default_configENS1_27scan_by_key_config_selectorIxxEEZZNS1_16scan_by_key_implILNS1_25lookback_scan_determinismE0ELb1ES3_N6thrust23THRUST_200600_302600_NS6detail15normal_iteratorINS9_10device_ptrIxEEEESE_SE_xNS9_4plusIvEENS9_8equal_toIvEExEE10hipError_tPvRmT2_T3_T4_T5_mT6_T7_P12ihipStream_tbENKUlT_T0_E_clISt17integral_constantIbLb1EESY_IbLb0EEEEDaSU_SV_EUlSU_E_NS1_11comp_targetILNS1_3genE5ELNS1_11target_archE942ELNS1_3gpuE9ELNS1_3repE0EEENS1_30default_config_static_selectorELNS0_4arch9wavefront6targetE1EEEvT1_,comdat
.Lfunc_end373:
	.size	_ZN7rocprim17ROCPRIM_400000_NS6detail17trampoline_kernelINS0_14default_configENS1_27scan_by_key_config_selectorIxxEEZZNS1_16scan_by_key_implILNS1_25lookback_scan_determinismE0ELb1ES3_N6thrust23THRUST_200600_302600_NS6detail15normal_iteratorINS9_10device_ptrIxEEEESE_SE_xNS9_4plusIvEENS9_8equal_toIvEExEE10hipError_tPvRmT2_T3_T4_T5_mT6_T7_P12ihipStream_tbENKUlT_T0_E_clISt17integral_constantIbLb1EESY_IbLb0EEEEDaSU_SV_EUlSU_E_NS1_11comp_targetILNS1_3genE5ELNS1_11target_archE942ELNS1_3gpuE9ELNS1_3repE0EEENS1_30default_config_static_selectorELNS0_4arch9wavefront6targetE1EEEvT1_, .Lfunc_end373-_ZN7rocprim17ROCPRIM_400000_NS6detail17trampoline_kernelINS0_14default_configENS1_27scan_by_key_config_selectorIxxEEZZNS1_16scan_by_key_implILNS1_25lookback_scan_determinismE0ELb1ES3_N6thrust23THRUST_200600_302600_NS6detail15normal_iteratorINS9_10device_ptrIxEEEESE_SE_xNS9_4plusIvEENS9_8equal_toIvEExEE10hipError_tPvRmT2_T3_T4_T5_mT6_T7_P12ihipStream_tbENKUlT_T0_E_clISt17integral_constantIbLb1EESY_IbLb0EEEEDaSU_SV_EUlSU_E_NS1_11comp_targetILNS1_3genE5ELNS1_11target_archE942ELNS1_3gpuE9ELNS1_3repE0EEENS1_30default_config_static_selectorELNS0_4arch9wavefront6targetE1EEEvT1_
                                        ; -- End function
	.section	.AMDGPU.csdata,"",@progbits
; Kernel info:
; codeLenInByte = 0
; NumSgprs: 4
; NumVgprs: 0
; NumAgprs: 0
; TotalNumVgprs: 0
; ScratchSize: 0
; MemoryBound: 0
; FloatMode: 240
; IeeeMode: 1
; LDSByteSize: 0 bytes/workgroup (compile time only)
; SGPRBlocks: 0
; VGPRBlocks: 0
; NumSGPRsForWavesPerEU: 4
; NumVGPRsForWavesPerEU: 1
; AccumOffset: 4
; Occupancy: 8
; WaveLimiterHint : 0
; COMPUTE_PGM_RSRC2:SCRATCH_EN: 0
; COMPUTE_PGM_RSRC2:USER_SGPR: 6
; COMPUTE_PGM_RSRC2:TRAP_HANDLER: 0
; COMPUTE_PGM_RSRC2:TGID_X_EN: 1
; COMPUTE_PGM_RSRC2:TGID_Y_EN: 0
; COMPUTE_PGM_RSRC2:TGID_Z_EN: 0
; COMPUTE_PGM_RSRC2:TIDIG_COMP_CNT: 0
; COMPUTE_PGM_RSRC3_GFX90A:ACCUM_OFFSET: 0
; COMPUTE_PGM_RSRC3_GFX90A:TG_SPLIT: 0
	.section	.text._ZN7rocprim17ROCPRIM_400000_NS6detail17trampoline_kernelINS0_14default_configENS1_27scan_by_key_config_selectorIxxEEZZNS1_16scan_by_key_implILNS1_25lookback_scan_determinismE0ELb1ES3_N6thrust23THRUST_200600_302600_NS6detail15normal_iteratorINS9_10device_ptrIxEEEESE_SE_xNS9_4plusIvEENS9_8equal_toIvEExEE10hipError_tPvRmT2_T3_T4_T5_mT6_T7_P12ihipStream_tbENKUlT_T0_E_clISt17integral_constantIbLb1EESY_IbLb0EEEEDaSU_SV_EUlSU_E_NS1_11comp_targetILNS1_3genE4ELNS1_11target_archE910ELNS1_3gpuE8ELNS1_3repE0EEENS1_30default_config_static_selectorELNS0_4arch9wavefront6targetE1EEEvT1_,"axG",@progbits,_ZN7rocprim17ROCPRIM_400000_NS6detail17trampoline_kernelINS0_14default_configENS1_27scan_by_key_config_selectorIxxEEZZNS1_16scan_by_key_implILNS1_25lookback_scan_determinismE0ELb1ES3_N6thrust23THRUST_200600_302600_NS6detail15normal_iteratorINS9_10device_ptrIxEEEESE_SE_xNS9_4plusIvEENS9_8equal_toIvEExEE10hipError_tPvRmT2_T3_T4_T5_mT6_T7_P12ihipStream_tbENKUlT_T0_E_clISt17integral_constantIbLb1EESY_IbLb0EEEEDaSU_SV_EUlSU_E_NS1_11comp_targetILNS1_3genE4ELNS1_11target_archE910ELNS1_3gpuE8ELNS1_3repE0EEENS1_30default_config_static_selectorELNS0_4arch9wavefront6targetE1EEEvT1_,comdat
	.protected	_ZN7rocprim17ROCPRIM_400000_NS6detail17trampoline_kernelINS0_14default_configENS1_27scan_by_key_config_selectorIxxEEZZNS1_16scan_by_key_implILNS1_25lookback_scan_determinismE0ELb1ES3_N6thrust23THRUST_200600_302600_NS6detail15normal_iteratorINS9_10device_ptrIxEEEESE_SE_xNS9_4plusIvEENS9_8equal_toIvEExEE10hipError_tPvRmT2_T3_T4_T5_mT6_T7_P12ihipStream_tbENKUlT_T0_E_clISt17integral_constantIbLb1EESY_IbLb0EEEEDaSU_SV_EUlSU_E_NS1_11comp_targetILNS1_3genE4ELNS1_11target_archE910ELNS1_3gpuE8ELNS1_3repE0EEENS1_30default_config_static_selectorELNS0_4arch9wavefront6targetE1EEEvT1_ ; -- Begin function _ZN7rocprim17ROCPRIM_400000_NS6detail17trampoline_kernelINS0_14default_configENS1_27scan_by_key_config_selectorIxxEEZZNS1_16scan_by_key_implILNS1_25lookback_scan_determinismE0ELb1ES3_N6thrust23THRUST_200600_302600_NS6detail15normal_iteratorINS9_10device_ptrIxEEEESE_SE_xNS9_4plusIvEENS9_8equal_toIvEExEE10hipError_tPvRmT2_T3_T4_T5_mT6_T7_P12ihipStream_tbENKUlT_T0_E_clISt17integral_constantIbLb1EESY_IbLb0EEEEDaSU_SV_EUlSU_E_NS1_11comp_targetILNS1_3genE4ELNS1_11target_archE910ELNS1_3gpuE8ELNS1_3repE0EEENS1_30default_config_static_selectorELNS0_4arch9wavefront6targetE1EEEvT1_
	.globl	_ZN7rocprim17ROCPRIM_400000_NS6detail17trampoline_kernelINS0_14default_configENS1_27scan_by_key_config_selectorIxxEEZZNS1_16scan_by_key_implILNS1_25lookback_scan_determinismE0ELb1ES3_N6thrust23THRUST_200600_302600_NS6detail15normal_iteratorINS9_10device_ptrIxEEEESE_SE_xNS9_4plusIvEENS9_8equal_toIvEExEE10hipError_tPvRmT2_T3_T4_T5_mT6_T7_P12ihipStream_tbENKUlT_T0_E_clISt17integral_constantIbLb1EESY_IbLb0EEEEDaSU_SV_EUlSU_E_NS1_11comp_targetILNS1_3genE4ELNS1_11target_archE910ELNS1_3gpuE8ELNS1_3repE0EEENS1_30default_config_static_selectorELNS0_4arch9wavefront6targetE1EEEvT1_
	.p2align	8
	.type	_ZN7rocprim17ROCPRIM_400000_NS6detail17trampoline_kernelINS0_14default_configENS1_27scan_by_key_config_selectorIxxEEZZNS1_16scan_by_key_implILNS1_25lookback_scan_determinismE0ELb1ES3_N6thrust23THRUST_200600_302600_NS6detail15normal_iteratorINS9_10device_ptrIxEEEESE_SE_xNS9_4plusIvEENS9_8equal_toIvEExEE10hipError_tPvRmT2_T3_T4_T5_mT6_T7_P12ihipStream_tbENKUlT_T0_E_clISt17integral_constantIbLb1EESY_IbLb0EEEEDaSU_SV_EUlSU_E_NS1_11comp_targetILNS1_3genE4ELNS1_11target_archE910ELNS1_3gpuE8ELNS1_3repE0EEENS1_30default_config_static_selectorELNS0_4arch9wavefront6targetE1EEEvT1_,@function
_ZN7rocprim17ROCPRIM_400000_NS6detail17trampoline_kernelINS0_14default_configENS1_27scan_by_key_config_selectorIxxEEZZNS1_16scan_by_key_implILNS1_25lookback_scan_determinismE0ELb1ES3_N6thrust23THRUST_200600_302600_NS6detail15normal_iteratorINS9_10device_ptrIxEEEESE_SE_xNS9_4plusIvEENS9_8equal_toIvEExEE10hipError_tPvRmT2_T3_T4_T5_mT6_T7_P12ihipStream_tbENKUlT_T0_E_clISt17integral_constantIbLb1EESY_IbLb0EEEEDaSU_SV_EUlSU_E_NS1_11comp_targetILNS1_3genE4ELNS1_11target_archE910ELNS1_3gpuE8ELNS1_3repE0EEENS1_30default_config_static_selectorELNS0_4arch9wavefront6targetE1EEEvT1_: ; @_ZN7rocprim17ROCPRIM_400000_NS6detail17trampoline_kernelINS0_14default_configENS1_27scan_by_key_config_selectorIxxEEZZNS1_16scan_by_key_implILNS1_25lookback_scan_determinismE0ELb1ES3_N6thrust23THRUST_200600_302600_NS6detail15normal_iteratorINS9_10device_ptrIxEEEESE_SE_xNS9_4plusIvEENS9_8equal_toIvEExEE10hipError_tPvRmT2_T3_T4_T5_mT6_T7_P12ihipStream_tbENKUlT_T0_E_clISt17integral_constantIbLb1EESY_IbLb0EEEEDaSU_SV_EUlSU_E_NS1_11comp_targetILNS1_3genE4ELNS1_11target_archE910ELNS1_3gpuE8ELNS1_3repE0EEENS1_30default_config_static_selectorELNS0_4arch9wavefront6targetE1EEEvT1_
; %bb.0:
	s_load_dwordx8 s[52:59], s[4:5], 0x0
	s_load_dwordx2 s[64:65], s[4:5], 0x20
	s_load_dwordx8 s[44:51], s[4:5], 0x30
	s_load_dwordx2 s[66:67], s[4:5], 0x50
	s_load_dword s0, s[4:5], 0x58
	s_load_dwordx4 s[60:63], s[4:5], 0x60
	s_waitcnt lgkmcnt(0)
	s_lshl_b64 s[54:55], s[54:55], 3
	s_add_u32 s2, s52, s54
	s_addc_u32 s3, s53, s55
	s_add_u32 s4, s56, s54
	s_mul_i32 s1, s67, s0
	s_mul_hi_u32 s7, s66, s0
	s_addc_u32 s5, s57, s55
	s_add_i32 s8, s7, s1
	s_mul_i32 s9, s66, s0
	s_mul_i32 s0, s6, 0x4c0
	s_mov_b32 s1, 0
	s_lshl_b64 s[52:53], s[0:1], 3
	s_add_u32 s56, s2, s52
	s_addc_u32 s57, s3, s53
	s_add_u32 s7, s4, s52
	s_addc_u32 s51, s5, s53
	;; [unrolled: 2-line block ×3, first 2 shown]
	s_add_u32 s4, s60, -1
	s_addc_u32 s5, s61, -1
	v_pk_mov_b32 v[2:3], s[4:5], s[4:5] op_sel:[0,1]
	v_cmp_ge_u64_e64 s[0:1], s[0:1], v[2:3]
	s_mov_b64 s[2:3], -1
	s_and_b64 vcc, exec, s[0:1]
	s_mul_i32 s33, s4, 0xfffffb40
	s_waitcnt lgkmcnt(0)
	; wave barrier
	s_cbranch_vccz .LBB374_59
; %bb.1:
	v_pk_mov_b32 v[2:3], s[56:57], s[56:57] op_sel:[0,1]
	flat_load_dwordx2 v[2:3], v[2:3]
	s_add_i32 s70, s33, s50
	v_cmp_gt_u32_e32 vcc, s70, v0
	s_waitcnt vmcnt(0) lgkmcnt(0)
	v_pk_mov_b32 v[4:5], v[2:3], v[2:3] op_sel:[0,1]
	s_and_saveexec_b64 s[4:5], vcc
	s_cbranch_execz .LBB374_3
; %bb.2:
	v_lshlrev_b32_e32 v1, 3, v0
	v_mov_b32_e32 v5, s57
	v_add_co_u32_e64 v4, s[2:3], s56, v1
	v_addc_co_u32_e64 v5, s[2:3], 0, v5, s[2:3]
	flat_load_dwordx2 v[4:5], v[4:5]
.LBB374_3:
	s_or_b64 exec, exec, s[4:5]
	v_or_b32_e32 v1, 64, v0
	v_cmp_gt_u32_e64 s[2:3], s70, v1
	v_pk_mov_b32 v[6:7], v[2:3], v[2:3] op_sel:[0,1]
	s_and_saveexec_b64 s[8:9], s[2:3]
	s_cbranch_execz .LBB374_5
; %bb.4:
	v_lshlrev_b32_e32 v1, 3, v0
	v_mov_b32_e32 v7, s57
	v_add_co_u32_e64 v6, s[4:5], s56, v1
	v_addc_co_u32_e64 v7, s[4:5], 0, v7, s[4:5]
	flat_load_dwordx2 v[6:7], v[6:7] offset:512
.LBB374_5:
	s_or_b64 exec, exec, s[8:9]
	v_or_b32_e32 v1, 0x80, v0
	v_cmp_gt_u32_e64 s[4:5], s70, v1
	v_pk_mov_b32 v[8:9], v[2:3], v[2:3] op_sel:[0,1]
	s_and_saveexec_b64 s[10:11], s[4:5]
	s_cbranch_execz .LBB374_7
; %bb.6:
	v_lshlrev_b32_e32 v1, 3, v0
	v_mov_b32_e32 v9, s57
	v_add_co_u32_e64 v8, s[8:9], s56, v1
	v_addc_co_u32_e64 v9, s[8:9], 0, v9, s[8:9]
	flat_load_dwordx2 v[8:9], v[8:9] offset:1024
.LBB374_7:
	;; [unrolled: 13-line block ×7, first 2 shown]
	s_or_b64 exec, exec, s[18:19]
	v_or_b32_e32 v1, 0x200, v0
	v_cmp_gt_u32_e64 s[16:17], s70, v1
	v_pk_mov_b32 v[20:21], v[2:3], v[2:3] op_sel:[0,1]
	s_and_saveexec_b64 s[20:21], s[16:17]
	s_cbranch_execz .LBB374_19
; %bb.18:
	v_lshlrev_b32_e32 v20, 3, v1
	v_mov_b32_e32 v21, s57
	v_add_co_u32_e64 v20, s[18:19], s56, v20
	v_addc_co_u32_e64 v21, s[18:19], 0, v21, s[18:19]
	flat_load_dwordx2 v[20:21], v[20:21]
.LBB374_19:
	s_or_b64 exec, exec, s[20:21]
	v_or_b32_e32 v60, 0x240, v0
	v_cmp_gt_u32_e64 s[18:19], s70, v60
	v_pk_mov_b32 v[22:23], v[2:3], v[2:3] op_sel:[0,1]
	s_and_saveexec_b64 s[22:23], s[18:19]
	s_cbranch_execz .LBB374_21
; %bb.20:
	v_lshlrev_b32_e32 v22, 3, v60
	v_mov_b32_e32 v23, s57
	v_add_co_u32_e64 v22, s[20:21], s56, v22
	v_addc_co_u32_e64 v23, s[20:21], 0, v23, s[20:21]
	flat_load_dwordx2 v[22:23], v[22:23]
.LBB374_21:
	;; [unrolled: 13-line block ×10, first 2 shown]
	s_or_b64 exec, exec, s[42:43]
	v_or_b32_e32 v82, 0x480, v0
	v_cmp_gt_u32_e64 s[38:39], s70, v82
	s_and_saveexec_b64 s[60:61], s[38:39]
	s_cbranch_execz .LBB374_39
; %bb.38:
	v_lshlrev_b32_e32 v2, 3, v82
	v_mov_b32_e32 v3, s57
	v_add_co_u32_e64 v2, s[42:43], s56, v2
	v_addc_co_u32_e64 v3, s[42:43], 0, v3, s[42:43]
	flat_load_dwordx2 v[2:3], v[2:3]
.LBB374_39:
	s_or_b64 exec, exec, s[60:61]
	v_lshlrev_b32_e32 v83, 3, v0
	s_waitcnt vmcnt(0) lgkmcnt(0)
	ds_write2st64_b64 v83, v[4:5], v[6:7] offset1:1
	ds_write2st64_b64 v83, v[8:9], v[10:11] offset0:2 offset1:3
	ds_write2st64_b64 v83, v[12:13], v[14:15] offset0:4 offset1:5
	;; [unrolled: 1-line block ×8, first 2 shown]
	ds_write_b64 v83, v[2:3] offset:9216
	v_pk_mov_b32 v[2:3], s[56:57], s[56:57] op_sel:[0,1]
	s_waitcnt lgkmcnt(0)
	; wave barrier
	s_waitcnt lgkmcnt(0)
	flat_load_dwordx2 v[78:79], v[2:3]
	s_movk_i32 s42, 0x90
	v_mad_u32_u24 v80, v0, s42, v83
	s_movk_i32 s42, 0xff70
	v_mad_i32_i24 v38, v0, s42, v80
	v_cmp_ne_u32_e64 s[42:43], 63, v0
	ds_read_b64 v[40:41], v80
	ds_read2_b64 v[34:37], v80 offset0:1 offset1:2
	ds_read2_b64 v[30:33], v80 offset0:3 offset1:4
	;; [unrolled: 1-line block ×9, first 2 shown]
	s_waitcnt lgkmcnt(0)
	ds_write_b64 v38, v[40:41] offset:10240
	s_waitcnt lgkmcnt(0)
	; wave barrier
	s_waitcnt lgkmcnt(0)
	s_and_saveexec_b64 s[60:61], s[42:43]
	s_cbranch_execz .LBB374_41
; %bb.40:
	s_waitcnt vmcnt(0)
	ds_read_b64 v[78:79], v83 offset:10248
.LBB374_41:
	s_or_b64 exec, exec, s[60:61]
	s_waitcnt lgkmcnt(0)
	; wave barrier
	s_waitcnt lgkmcnt(0)
                                        ; implicit-def: $vgpr38_vgpr39
	s_and_saveexec_b64 s[42:43], vcc
	s_cbranch_execz .LBB374_60
; %bb.42:
	v_mov_b32_e32 v39, s51
	v_add_co_u32_e32 v38, vcc, s7, v83
	v_addc_co_u32_e32 v39, vcc, 0, v39, vcc
	flat_load_dwordx2 v[38:39], v[38:39]
	s_or_b64 exec, exec, s[42:43]
                                        ; implicit-def: $vgpr42_vgpr43
	s_and_saveexec_b64 s[42:43], s[2:3]
	s_cbranch_execnz .LBB374_61
.LBB374_43:
	s_or_b64 exec, exec, s[42:43]
                                        ; implicit-def: $vgpr44_vgpr45
	s_and_saveexec_b64 s[2:3], s[4:5]
	s_cbranch_execz .LBB374_62
.LBB374_44:
	v_mov_b32_e32 v45, s51
	v_add_co_u32_e32 v44, vcc, s7, v83
	v_addc_co_u32_e32 v45, vcc, 0, v45, vcc
	flat_load_dwordx2 v[44:45], v[44:45] offset:1024
	s_or_b64 exec, exec, s[2:3]
                                        ; implicit-def: $vgpr46_vgpr47
	s_and_saveexec_b64 s[2:3], s[40:41]
	s_cbranch_execnz .LBB374_63
.LBB374_45:
	s_or_b64 exec, exec, s[2:3]
                                        ; implicit-def: $vgpr48_vgpr49
	s_and_saveexec_b64 s[2:3], s[8:9]
	s_cbranch_execz .LBB374_64
.LBB374_46:
	v_mov_b32_e32 v49, s51
	v_add_co_u32_e32 v48, vcc, s7, v83
	v_addc_co_u32_e32 v49, vcc, 0, v49, vcc
	flat_load_dwordx2 v[48:49], v[48:49] offset:2048
	s_or_b64 exec, exec, s[2:3]
                                        ; implicit-def: $vgpr50_vgpr51
	s_and_saveexec_b64 s[2:3], s[10:11]
	s_cbranch_execnz .LBB374_65
.LBB374_47:
	s_or_b64 exec, exec, s[2:3]
                                        ; implicit-def: $vgpr52_vgpr53
	s_and_saveexec_b64 s[2:3], s[12:13]
	s_cbranch_execz .LBB374_66
.LBB374_48:
	v_mov_b32_e32 v53, s51
	v_add_co_u32_e32 v52, vcc, s7, v83
	v_addc_co_u32_e32 v53, vcc, 0, v53, vcc
	flat_load_dwordx2 v[52:53], v[52:53] offset:3072
	s_or_b64 exec, exec, s[2:3]
                                        ; implicit-def: $vgpr54_vgpr55
	s_and_saveexec_b64 s[2:3], s[14:15]
	s_cbranch_execnz .LBB374_67
.LBB374_49:
	s_or_b64 exec, exec, s[2:3]
                                        ; implicit-def: $vgpr56_vgpr57
	s_and_saveexec_b64 s[2:3], s[16:17]
	s_cbranch_execz .LBB374_68
.LBB374_50:
	v_lshlrev_b32_e32 v1, 3, v1
	v_mov_b32_e32 v57, s51
	v_add_co_u32_e32 v56, vcc, s7, v1
	v_addc_co_u32_e32 v57, vcc, 0, v57, vcc
	flat_load_dwordx2 v[56:57], v[56:57]
	s_or_b64 exec, exec, s[2:3]
                                        ; implicit-def: $vgpr58_vgpr59
	s_and_saveexec_b64 s[2:3], s[18:19]
	s_cbranch_execnz .LBB374_69
.LBB374_51:
	s_or_b64 exec, exec, s[2:3]
                                        ; implicit-def: $vgpr60_vgpr61
	s_and_saveexec_b64 s[2:3], s[20:21]
	s_cbranch_execz .LBB374_70
.LBB374_52:
	v_lshlrev_b32_e32 v1, 3, v62
	v_mov_b32_e32 v61, s51
	v_add_co_u32_e32 v60, vcc, s7, v1
	v_addc_co_u32_e32 v61, vcc, 0, v61, vcc
	flat_load_dwordx2 v[60:61], v[60:61]
	s_or_b64 exec, exec, s[2:3]
                                        ; implicit-def: $vgpr62_vgpr63
	s_and_saveexec_b64 s[2:3], s[22:23]
	s_cbranch_execnz .LBB374_71
.LBB374_53:
	s_or_b64 exec, exec, s[2:3]
                                        ; implicit-def: $vgpr64_vgpr65
	s_and_saveexec_b64 s[2:3], s[24:25]
	s_cbranch_execz .LBB374_72
.LBB374_54:
	v_lshlrev_b32_e32 v1, 3, v66
	v_mov_b32_e32 v65, s51
	v_add_co_u32_e32 v64, vcc, s7, v1
	v_addc_co_u32_e32 v65, vcc, 0, v65, vcc
	flat_load_dwordx2 v[64:65], v[64:65]
	s_or_b64 exec, exec, s[2:3]
                                        ; implicit-def: $vgpr66_vgpr67
	s_and_saveexec_b64 s[2:3], s[26:27]
	s_cbranch_execnz .LBB374_73
.LBB374_55:
	s_or_b64 exec, exec, s[2:3]
                                        ; implicit-def: $vgpr68_vgpr69
	s_and_saveexec_b64 s[2:3], s[28:29]
	s_cbranch_execz .LBB374_74
.LBB374_56:
	v_lshlrev_b32_e32 v1, 3, v70
	v_mov_b32_e32 v69, s51
	v_add_co_u32_e32 v68, vcc, s7, v1
	v_addc_co_u32_e32 v69, vcc, 0, v69, vcc
	flat_load_dwordx2 v[68:69], v[68:69]
	s_or_b64 exec, exec, s[2:3]
                                        ; implicit-def: $vgpr70_vgpr71
	s_and_saveexec_b64 s[2:3], s[30:31]
	s_cbranch_execnz .LBB374_75
.LBB374_57:
	s_or_b64 exec, exec, s[2:3]
                                        ; implicit-def: $vgpr72_vgpr73
	s_and_saveexec_b64 s[2:3], s[34:35]
	s_cbranch_execz .LBB374_76
.LBB374_58:
	v_lshlrev_b32_e32 v1, 3, v74
	v_mov_b32_e32 v73, s51
	v_add_co_u32_e32 v72, vcc, s7, v1
	v_addc_co_u32_e32 v73, vcc, 0, v73, vcc
	flat_load_dwordx2 v[72:73], v[72:73]
	s_or_b64 exec, exec, s[2:3]
                                        ; implicit-def: $vgpr74_vgpr75
	s_and_saveexec_b64 s[2:3], s[36:37]
	s_cbranch_execz .LBB374_78
	s_branch .LBB374_77
.LBB374_59:
	s_mov_b64 s[10:11], 0
                                        ; implicit-def: $sgpr8_sgpr9
                                        ; implicit-def: $vgpr76_vgpr77
                                        ; implicit-def: $vgpr74_vgpr75
                                        ; implicit-def: $vgpr99
                                        ; implicit-def: $vgpr42_vgpr43
                                        ; implicit-def: $vgpr112
                                        ; implicit-def: $vgpr72_vgpr73
                                        ; implicit-def: $vgpr111
                                        ; implicit-def: $vgpr70_vgpr71
                                        ; implicit-def: $vgpr110
                                        ; implicit-def: $vgpr68_vgpr69
                                        ; implicit-def: $vgpr109
                                        ; implicit-def: $vgpr66_vgpr67
                                        ; implicit-def: $vgpr108
                                        ; implicit-def: $vgpr64_vgpr65
                                        ; implicit-def: $vgpr107
                                        ; implicit-def: $vgpr62_vgpr63
                                        ; implicit-def: $vgpr106
                                        ; implicit-def: $vgpr60_vgpr61
                                        ; implicit-def: $vgpr105
                                        ; implicit-def: $vgpr58_vgpr59
                                        ; implicit-def: $vgpr104
                                        ; implicit-def: $vgpr44_vgpr45
                                        ; implicit-def: $vgpr103
                                        ; implicit-def: $vgpr56_vgpr57
                                        ; implicit-def: $vgpr102
                                        ; implicit-def: $vgpr52_vgpr53
                                        ; implicit-def: $vgpr101
                                        ; implicit-def: $vgpr50_vgpr51
                                        ; implicit-def: $vgpr100
                                        ; implicit-def: $vgpr54_vgpr55
                                        ; implicit-def: $vgpr98
                                        ; implicit-def: $vgpr48_vgpr49
                                        ; implicit-def: $vgpr97
                                        ; implicit-def: $vgpr46_vgpr47
                                        ; implicit-def: $vgpr96
                                        ; implicit-def: $vgpr38_vgpr39
                                        ; implicit-def: $vgpr1
                                        ; implicit-def: $sgpr72
                                        ; implicit-def: $sgpr4_sgpr5
	s_and_b64 vcc, exec, s[2:3]
	v_lshlrev_b32_e32 v113, 3, v0
	s_cbranch_vccz .LBB374_124
	s_branch .LBB374_119
.LBB374_60:
	s_or_b64 exec, exec, s[42:43]
                                        ; implicit-def: $vgpr42_vgpr43
	s_and_saveexec_b64 s[42:43], s[2:3]
	s_cbranch_execz .LBB374_43
.LBB374_61:
	v_mov_b32_e32 v43, s51
	v_add_co_u32_e32 v42, vcc, s7, v83
	v_addc_co_u32_e32 v43, vcc, 0, v43, vcc
	flat_load_dwordx2 v[42:43], v[42:43] offset:512
	s_or_b64 exec, exec, s[42:43]
                                        ; implicit-def: $vgpr44_vgpr45
	s_and_saveexec_b64 s[2:3], s[4:5]
	s_cbranch_execnz .LBB374_44
.LBB374_62:
	s_or_b64 exec, exec, s[2:3]
                                        ; implicit-def: $vgpr46_vgpr47
	s_and_saveexec_b64 s[2:3], s[40:41]
	s_cbranch_execz .LBB374_45
.LBB374_63:
	v_mov_b32_e32 v47, s51
	v_add_co_u32_e32 v46, vcc, s7, v83
	v_addc_co_u32_e32 v47, vcc, 0, v47, vcc
	flat_load_dwordx2 v[46:47], v[46:47] offset:1536
	s_or_b64 exec, exec, s[2:3]
                                        ; implicit-def: $vgpr48_vgpr49
	s_and_saveexec_b64 s[2:3], s[8:9]
	s_cbranch_execnz .LBB374_46
.LBB374_64:
	s_or_b64 exec, exec, s[2:3]
                                        ; implicit-def: $vgpr50_vgpr51
	s_and_saveexec_b64 s[2:3], s[10:11]
	s_cbranch_execz .LBB374_47
.LBB374_65:
	v_mov_b32_e32 v51, s51
	v_add_co_u32_e32 v50, vcc, s7, v83
	v_addc_co_u32_e32 v51, vcc, 0, v51, vcc
	flat_load_dwordx2 v[50:51], v[50:51] offset:2560
	s_or_b64 exec, exec, s[2:3]
                                        ; implicit-def: $vgpr52_vgpr53
	s_and_saveexec_b64 s[2:3], s[12:13]
	s_cbranch_execnz .LBB374_48
.LBB374_66:
	s_or_b64 exec, exec, s[2:3]
                                        ; implicit-def: $vgpr54_vgpr55
	s_and_saveexec_b64 s[2:3], s[14:15]
	s_cbranch_execz .LBB374_49
.LBB374_67:
	v_mov_b32_e32 v55, s51
	v_add_co_u32_e32 v54, vcc, s7, v83
	v_addc_co_u32_e32 v55, vcc, 0, v55, vcc
	flat_load_dwordx2 v[54:55], v[54:55] offset:3584
	s_or_b64 exec, exec, s[2:3]
                                        ; implicit-def: $vgpr56_vgpr57
	s_and_saveexec_b64 s[2:3], s[16:17]
	s_cbranch_execnz .LBB374_50
.LBB374_68:
	s_or_b64 exec, exec, s[2:3]
                                        ; implicit-def: $vgpr58_vgpr59
	s_and_saveexec_b64 s[2:3], s[18:19]
	s_cbranch_execz .LBB374_51
.LBB374_69:
	v_lshlrev_b32_e32 v1, 3, v60
	v_mov_b32_e32 v59, s51
	v_add_co_u32_e32 v58, vcc, s7, v1
	v_addc_co_u32_e32 v59, vcc, 0, v59, vcc
	flat_load_dwordx2 v[58:59], v[58:59]
	s_or_b64 exec, exec, s[2:3]
                                        ; implicit-def: $vgpr60_vgpr61
	s_and_saveexec_b64 s[2:3], s[20:21]
	s_cbranch_execnz .LBB374_52
.LBB374_70:
	s_or_b64 exec, exec, s[2:3]
                                        ; implicit-def: $vgpr62_vgpr63
	s_and_saveexec_b64 s[2:3], s[22:23]
	s_cbranch_execz .LBB374_53
.LBB374_71:
	v_lshlrev_b32_e32 v1, 3, v64
	v_mov_b32_e32 v63, s51
	v_add_co_u32_e32 v62, vcc, s7, v1
	v_addc_co_u32_e32 v63, vcc, 0, v63, vcc
	flat_load_dwordx2 v[62:63], v[62:63]
	s_or_b64 exec, exec, s[2:3]
                                        ; implicit-def: $vgpr64_vgpr65
	s_and_saveexec_b64 s[2:3], s[24:25]
	s_cbranch_execnz .LBB374_54
.LBB374_72:
	s_or_b64 exec, exec, s[2:3]
                                        ; implicit-def: $vgpr66_vgpr67
	s_and_saveexec_b64 s[2:3], s[26:27]
	s_cbranch_execz .LBB374_55
.LBB374_73:
	v_lshlrev_b32_e32 v1, 3, v68
	v_mov_b32_e32 v67, s51
	v_add_co_u32_e32 v66, vcc, s7, v1
	v_addc_co_u32_e32 v67, vcc, 0, v67, vcc
	flat_load_dwordx2 v[66:67], v[66:67]
	s_or_b64 exec, exec, s[2:3]
                                        ; implicit-def: $vgpr68_vgpr69
	s_and_saveexec_b64 s[2:3], s[28:29]
	s_cbranch_execnz .LBB374_56
.LBB374_74:
	s_or_b64 exec, exec, s[2:3]
                                        ; implicit-def: $vgpr70_vgpr71
	s_and_saveexec_b64 s[2:3], s[30:31]
	s_cbranch_execz .LBB374_57
.LBB374_75:
	v_lshlrev_b32_e32 v1, 3, v72
	v_mov_b32_e32 v71, s51
	v_add_co_u32_e32 v70, vcc, s7, v1
	v_addc_co_u32_e32 v71, vcc, 0, v71, vcc
	flat_load_dwordx2 v[70:71], v[70:71]
	s_or_b64 exec, exec, s[2:3]
                                        ; implicit-def: $vgpr72_vgpr73
	s_and_saveexec_b64 s[2:3], s[34:35]
	s_cbranch_execnz .LBB374_58
.LBB374_76:
	s_or_b64 exec, exec, s[2:3]
                                        ; implicit-def: $vgpr74_vgpr75
	s_and_saveexec_b64 s[2:3], s[36:37]
	s_cbranch_execz .LBB374_78
.LBB374_77:
	v_lshlrev_b32_e32 v1, 3, v76
	v_mov_b32_e32 v75, s51
	v_add_co_u32_e32 v74, vcc, s7, v1
	v_addc_co_u32_e32 v75, vcc, 0, v75, vcc
	flat_load_dwordx2 v[74:75], v[74:75]
.LBB374_78:
	s_or_b64 exec, exec, s[2:3]
	v_mul_u32_u24_e32 v81, 19, v0
                                        ; implicit-def: $vgpr76_vgpr77
	s_and_saveexec_b64 s[2:3], s[38:39]
	s_cbranch_execz .LBB374_80
; %bb.79:
	v_lshlrev_b32_e32 v1, 3, v82
	v_mov_b32_e32 v77, s51
	v_add_co_u32_e32 v76, vcc, s7, v1
	v_addc_co_u32_e32 v77, vcc, 0, v77, vcc
	flat_load_dwordx2 v[76:77], v[76:77]
.LBB374_80:
	s_or_b64 exec, exec, s[2:3]
	s_waitcnt vmcnt(0) lgkmcnt(0)
	ds_write2st64_b64 v83, v[38:39], v[42:43] offset1:1
	ds_write2st64_b64 v83, v[44:45], v[46:47] offset0:2 offset1:3
	ds_write2st64_b64 v83, v[48:49], v[50:51] offset0:4 offset1:5
	;; [unrolled: 1-line block ×8, first 2 shown]
	ds_write_b64 v83, v[76:77] offset:9216
	v_pk_mov_b32 v[74:75], 0, 0
	v_cmp_gt_u32_e32 vcc, s70, v81
	s_mov_b64 s[10:11], 0
	s_mov_b32 s72, 0
	s_mov_b64 s[2:3], 0
	v_mov_b32_e32 v99, 0
	v_pk_mov_b32 v[42:43], v[74:75], v[74:75] op_sel:[0,1]
	v_mov_b32_e32 v112, 0
	v_pk_mov_b32 v[72:73], v[74:75], v[74:75] op_sel:[0,1]
	;; [unrolled: 2-line block ×17, first 2 shown]
	v_mov_b32_e32 v1, 0
	s_waitcnt lgkmcnt(0)
	; wave barrier
	s_waitcnt lgkmcnt(0)
                                        ; implicit-def: $sgpr8_sgpr9
                                        ; implicit-def: $vgpr76_vgpr77
	s_and_saveexec_b64 s[4:5], vcc
	s_cbranch_execz .LBB374_118
; %bb.81:
	ds_read_b64 v[38:39], v80
	v_cmp_ne_u64_e32 vcc, v[40:41], v[34:35]
	v_mov_b32_e32 v40, s65
	v_add_u32_e32 v42, 1, v81
	v_cndmask_b32_e64 v1, 0, 1, vcc
	s_waitcnt lgkmcnt(0)
	v_cndmask_b32_e32 v75, v39, v40, vcc
	v_mov_b32_e32 v39, s64
	v_cndmask_b32_e32 v74, v38, v39, vcc
	v_cmp_gt_u32_e32 vcc, s70, v42
	v_pk_mov_b32 v[42:43], 0, 0
	s_mov_b64 s[12:13], 0
	v_mov_b32_e32 v99, 0
	v_mov_b32_e32 v112, 0
	v_pk_mov_b32 v[72:73], v[42:43], v[42:43] op_sel:[0,1]
	v_mov_b32_e32 v111, 0
	v_pk_mov_b32 v[70:71], v[42:43], v[42:43] op_sel:[0,1]
	v_mov_b32_e32 v110, 0
	v_pk_mov_b32 v[68:69], v[42:43], v[42:43] op_sel:[0,1]
	v_mov_b32_e32 v109, 0
	v_pk_mov_b32 v[66:67], v[42:43], v[42:43] op_sel:[0,1]
	v_mov_b32_e32 v108, 0
	v_pk_mov_b32 v[64:65], v[42:43], v[42:43] op_sel:[0,1]
	v_mov_b32_e32 v107, 0
	v_pk_mov_b32 v[62:63], v[42:43], v[42:43] op_sel:[0,1]
	v_mov_b32_e32 v106, 0
	v_pk_mov_b32 v[60:61], v[42:43], v[42:43] op_sel:[0,1]
	v_mov_b32_e32 v105, 0
	v_pk_mov_b32 v[58:59], v[42:43], v[42:43] op_sel:[0,1]
	v_mov_b32_e32 v104, 0
	v_pk_mov_b32 v[44:45], v[42:43], v[42:43] op_sel:[0,1]
	v_mov_b32_e32 v103, 0
	v_pk_mov_b32 v[56:57], v[42:43], v[42:43] op_sel:[0,1]
	v_mov_b32_e32 v102, 0
	v_pk_mov_b32 v[52:53], v[42:43], v[42:43] op_sel:[0,1]
	v_mov_b32_e32 v101, 0
	v_pk_mov_b32 v[50:51], v[42:43], v[42:43] op_sel:[0,1]
	v_mov_b32_e32 v100, 0
	v_pk_mov_b32 v[54:55], v[42:43], v[42:43] op_sel:[0,1]
	v_mov_b32_e32 v98, 0
	v_pk_mov_b32 v[48:49], v[42:43], v[42:43] op_sel:[0,1]
	v_mov_b32_e32 v97, 0
	v_pk_mov_b32 v[46:47], v[42:43], v[42:43] op_sel:[0,1]
	v_mov_b32_e32 v96, 0
	v_pk_mov_b32 v[38:39], v[42:43], v[42:43] op_sel:[0,1]
                                        ; implicit-def: $sgpr14_sgpr15
                                        ; implicit-def: $vgpr76_vgpr77
	s_and_saveexec_b64 s[8:9], vcc
	s_cbranch_execz .LBB374_117
; %bb.82:
	ds_read2_b64 v[38:41], v80 offset0:1 offset1:2
	v_cmp_ne_u64_e32 vcc, v[34:35], v[36:37]
	v_mov_b32_e32 v34, s65
	v_add_u32_e32 v42, 2, v81
	v_cndmask_b32_e64 v96, 0, 1, vcc
	s_waitcnt lgkmcnt(0)
	v_cndmask_b32_e32 v39, v39, v34, vcc
	v_mov_b32_e32 v34, s64
	v_cndmask_b32_e32 v38, v38, v34, vcc
	v_cmp_gt_u32_e32 vcc, s70, v42
	v_pk_mov_b32 v[42:43], 0, 0
	s_mov_b64 s[14:15], 0
	v_mov_b32_e32 v99, 0
	v_mov_b32_e32 v112, 0
	v_pk_mov_b32 v[72:73], v[42:43], v[42:43] op_sel:[0,1]
	v_mov_b32_e32 v111, 0
	v_pk_mov_b32 v[70:71], v[42:43], v[42:43] op_sel:[0,1]
	v_mov_b32_e32 v110, 0
	v_pk_mov_b32 v[68:69], v[42:43], v[42:43] op_sel:[0,1]
	v_mov_b32_e32 v109, 0
	v_pk_mov_b32 v[66:67], v[42:43], v[42:43] op_sel:[0,1]
	v_mov_b32_e32 v108, 0
	v_pk_mov_b32 v[64:65], v[42:43], v[42:43] op_sel:[0,1]
	v_mov_b32_e32 v107, 0
	v_pk_mov_b32 v[62:63], v[42:43], v[42:43] op_sel:[0,1]
	v_mov_b32_e32 v106, 0
	v_pk_mov_b32 v[60:61], v[42:43], v[42:43] op_sel:[0,1]
	v_mov_b32_e32 v105, 0
	v_pk_mov_b32 v[58:59], v[42:43], v[42:43] op_sel:[0,1]
	v_mov_b32_e32 v104, 0
	v_pk_mov_b32 v[44:45], v[42:43], v[42:43] op_sel:[0,1]
	v_mov_b32_e32 v103, 0
	v_pk_mov_b32 v[56:57], v[42:43], v[42:43] op_sel:[0,1]
	v_mov_b32_e32 v102, 0
	v_pk_mov_b32 v[52:53], v[42:43], v[42:43] op_sel:[0,1]
	v_mov_b32_e32 v101, 0
	v_pk_mov_b32 v[50:51], v[42:43], v[42:43] op_sel:[0,1]
	v_mov_b32_e32 v100, 0
	v_pk_mov_b32 v[54:55], v[42:43], v[42:43] op_sel:[0,1]
	v_mov_b32_e32 v98, 0
	v_pk_mov_b32 v[48:49], v[42:43], v[42:43] op_sel:[0,1]
	v_mov_b32_e32 v97, 0
	v_pk_mov_b32 v[46:47], v[42:43], v[42:43] op_sel:[0,1]
                                        ; implicit-def: $sgpr16_sgpr17
                                        ; implicit-def: $vgpr76_vgpr77
	s_and_saveexec_b64 s[10:11], vcc
	s_cbranch_execz .LBB374_116
; %bb.83:
	v_cmp_ne_u64_e32 vcc, v[36:37], v[30:31]
	v_mov_b32_e32 v35, s65
	v_add_u32_e32 v34, 3, v81
	v_cndmask_b32_e32 v47, v41, v35, vcc
	v_mov_b32_e32 v35, s64
	v_pk_mov_b32 v[42:43], 0, 0
	v_cndmask_b32_e64 v97, 0, 1, vcc
	v_cndmask_b32_e32 v46, v40, v35, vcc
	v_cmp_gt_u32_e32 vcc, s70, v34
	s_mov_b64 s[16:17], 0
	v_mov_b32_e32 v99, 0
	v_mov_b32_e32 v112, 0
	v_pk_mov_b32 v[72:73], v[42:43], v[42:43] op_sel:[0,1]
	v_mov_b32_e32 v111, 0
	v_pk_mov_b32 v[70:71], v[42:43], v[42:43] op_sel:[0,1]
	;; [unrolled: 2-line block ×14, first 2 shown]
                                        ; implicit-def: $sgpr18_sgpr19
                                        ; implicit-def: $vgpr76_vgpr77
	s_and_saveexec_b64 s[12:13], vcc
	s_cbranch_execz .LBB374_115
; %bb.84:
	ds_read2_b64 v[34:37], v80 offset0:3 offset1:4
	v_cmp_ne_u64_e32 vcc, v[30:31], v[32:33]
	v_mov_b32_e32 v30, s65
	v_add_u32_e32 v40, 4, v81
	v_pk_mov_b32 v[42:43], 0, 0
	s_waitcnt lgkmcnt(0)
	v_cndmask_b32_e32 v49, v35, v30, vcc
	v_mov_b32_e32 v30, s64
	v_cndmask_b32_e64 v98, 0, 1, vcc
	v_cndmask_b32_e32 v48, v34, v30, vcc
	v_cmp_gt_u32_e32 vcc, s70, v40
	s_mov_b64 s[18:19], 0
	v_mov_b32_e32 v99, 0
	v_mov_b32_e32 v112, 0
	v_pk_mov_b32 v[72:73], v[42:43], v[42:43] op_sel:[0,1]
	v_mov_b32_e32 v111, 0
	v_pk_mov_b32 v[70:71], v[42:43], v[42:43] op_sel:[0,1]
	v_mov_b32_e32 v110, 0
	v_pk_mov_b32 v[68:69], v[42:43], v[42:43] op_sel:[0,1]
	v_mov_b32_e32 v109, 0
	v_pk_mov_b32 v[66:67], v[42:43], v[42:43] op_sel:[0,1]
	v_mov_b32_e32 v108, 0
	v_pk_mov_b32 v[64:65], v[42:43], v[42:43] op_sel:[0,1]
	v_mov_b32_e32 v107, 0
	v_pk_mov_b32 v[62:63], v[42:43], v[42:43] op_sel:[0,1]
	v_mov_b32_e32 v106, 0
	v_pk_mov_b32 v[60:61], v[42:43], v[42:43] op_sel:[0,1]
	v_mov_b32_e32 v105, 0
	v_pk_mov_b32 v[58:59], v[42:43], v[42:43] op_sel:[0,1]
	v_mov_b32_e32 v104, 0
	v_pk_mov_b32 v[44:45], v[42:43], v[42:43] op_sel:[0,1]
	v_mov_b32_e32 v103, 0
	v_pk_mov_b32 v[56:57], v[42:43], v[42:43] op_sel:[0,1]
	v_mov_b32_e32 v102, 0
	v_pk_mov_b32 v[52:53], v[42:43], v[42:43] op_sel:[0,1]
	v_mov_b32_e32 v101, 0
	v_pk_mov_b32 v[50:51], v[42:43], v[42:43] op_sel:[0,1]
	v_mov_b32_e32 v100, 0
	v_pk_mov_b32 v[54:55], v[42:43], v[42:43] op_sel:[0,1]
                                        ; implicit-def: $sgpr20_sgpr21
                                        ; implicit-def: $vgpr76_vgpr77
	s_and_saveexec_b64 s[14:15], vcc
	s_cbranch_execz .LBB374_114
; %bb.85:
	v_cmp_ne_u64_e32 vcc, v[32:33], v[26:27]
	v_mov_b32_e32 v31, s65
	v_add_u32_e32 v30, 5, v81
	v_cndmask_b32_e32 v55, v37, v31, vcc
	v_mov_b32_e32 v31, s64
	v_pk_mov_b32 v[42:43], 0, 0
	v_cndmask_b32_e64 v100, 0, 1, vcc
	v_cndmask_b32_e32 v54, v36, v31, vcc
	v_cmp_gt_u32_e32 vcc, s70, v30
	s_mov_b64 s[20:21], 0
	v_mov_b32_e32 v99, 0
	v_mov_b32_e32 v112, 0
	v_pk_mov_b32 v[72:73], v[42:43], v[42:43] op_sel:[0,1]
	v_mov_b32_e32 v111, 0
	v_pk_mov_b32 v[70:71], v[42:43], v[42:43] op_sel:[0,1]
	;; [unrolled: 2-line block ×12, first 2 shown]
                                        ; implicit-def: $sgpr22_sgpr23
                                        ; implicit-def: $vgpr76_vgpr77
	s_and_saveexec_b64 s[16:17], vcc
	s_cbranch_execz .LBB374_113
; %bb.86:
	ds_read2_b64 v[30:33], v80 offset0:5 offset1:6
	v_cmp_ne_u64_e32 vcc, v[26:27], v[28:29]
	v_mov_b32_e32 v26, s65
	v_add_u32_e32 v34, 6, v81
	v_pk_mov_b32 v[42:43], 0, 0
	s_waitcnt lgkmcnt(0)
	v_cndmask_b32_e32 v51, v31, v26, vcc
	v_mov_b32_e32 v26, s64
	v_cndmask_b32_e64 v101, 0, 1, vcc
	v_cndmask_b32_e32 v50, v30, v26, vcc
	v_cmp_gt_u32_e32 vcc, s70, v34
	s_mov_b64 s[22:23], 0
	v_mov_b32_e32 v99, 0
	v_mov_b32_e32 v112, 0
	v_pk_mov_b32 v[72:73], v[42:43], v[42:43] op_sel:[0,1]
	v_mov_b32_e32 v111, 0
	v_pk_mov_b32 v[70:71], v[42:43], v[42:43] op_sel:[0,1]
	;; [unrolled: 2-line block ×11, first 2 shown]
                                        ; implicit-def: $sgpr24_sgpr25
                                        ; implicit-def: $vgpr76_vgpr77
	s_and_saveexec_b64 s[18:19], vcc
	s_cbranch_execz .LBB374_112
; %bb.87:
	v_cmp_ne_u64_e32 vcc, v[28:29], v[22:23]
	v_mov_b32_e32 v27, s65
	v_add_u32_e32 v26, 7, v81
	v_cndmask_b32_e32 v53, v33, v27, vcc
	v_mov_b32_e32 v27, s64
	v_pk_mov_b32 v[42:43], 0, 0
	v_cndmask_b32_e64 v102, 0, 1, vcc
	v_cndmask_b32_e32 v52, v32, v27, vcc
	v_cmp_gt_u32_e32 vcc, s70, v26
	s_mov_b64 s[24:25], 0
	v_mov_b32_e32 v99, 0
	v_mov_b32_e32 v112, 0
	v_pk_mov_b32 v[72:73], v[42:43], v[42:43] op_sel:[0,1]
	v_mov_b32_e32 v111, 0
	v_pk_mov_b32 v[70:71], v[42:43], v[42:43] op_sel:[0,1]
	;; [unrolled: 2-line block ×10, first 2 shown]
                                        ; implicit-def: $sgpr26_sgpr27
                                        ; implicit-def: $vgpr76_vgpr77
	s_and_saveexec_b64 s[20:21], vcc
	s_cbranch_execz .LBB374_111
; %bb.88:
	ds_read2_b64 v[26:29], v80 offset0:7 offset1:8
	v_cmp_ne_u64_e32 vcc, v[22:23], v[24:25]
	v_mov_b32_e32 v22, s65
	v_add_u32_e32 v30, 8, v81
	v_pk_mov_b32 v[42:43], 0, 0
	s_waitcnt lgkmcnt(0)
	v_cndmask_b32_e32 v57, v27, v22, vcc
	v_mov_b32_e32 v22, s64
	v_cndmask_b32_e64 v103, 0, 1, vcc
	v_cndmask_b32_e32 v56, v26, v22, vcc
	v_cmp_gt_u32_e32 vcc, s70, v30
	s_mov_b64 s[26:27], 0
	v_mov_b32_e32 v99, 0
	v_mov_b32_e32 v112, 0
	v_pk_mov_b32 v[72:73], v[42:43], v[42:43] op_sel:[0,1]
	v_mov_b32_e32 v111, 0
	v_pk_mov_b32 v[70:71], v[42:43], v[42:43] op_sel:[0,1]
	;; [unrolled: 2-line block ×9, first 2 shown]
                                        ; implicit-def: $sgpr28_sgpr29
                                        ; implicit-def: $vgpr76_vgpr77
	s_and_saveexec_b64 s[22:23], vcc
	s_cbranch_execz .LBB374_110
; %bb.89:
	v_cmp_ne_u64_e32 vcc, v[24:25], v[18:19]
	v_mov_b32_e32 v23, s65
	v_add_u32_e32 v22, 9, v81
	v_cndmask_b32_e32 v45, v29, v23, vcc
	v_mov_b32_e32 v23, s64
	v_pk_mov_b32 v[42:43], 0, 0
	v_cndmask_b32_e64 v104, 0, 1, vcc
	v_cndmask_b32_e32 v44, v28, v23, vcc
	v_cmp_gt_u32_e32 vcc, s70, v22
	s_mov_b64 s[28:29], 0
	v_mov_b32_e32 v99, 0
	v_mov_b32_e32 v112, 0
	v_pk_mov_b32 v[72:73], v[42:43], v[42:43] op_sel:[0,1]
	v_mov_b32_e32 v111, 0
	v_pk_mov_b32 v[70:71], v[42:43], v[42:43] op_sel:[0,1]
	;; [unrolled: 2-line block ×8, first 2 shown]
                                        ; implicit-def: $sgpr30_sgpr31
                                        ; implicit-def: $vgpr76_vgpr77
	s_and_saveexec_b64 s[24:25], vcc
	s_cbranch_execz .LBB374_109
; %bb.90:
	ds_read2_b64 v[22:25], v80 offset0:9 offset1:10
	v_cmp_ne_u64_e32 vcc, v[18:19], v[20:21]
	v_mov_b32_e32 v18, s65
	v_add_u32_e32 v26, 10, v81
	v_pk_mov_b32 v[42:43], 0, 0
	s_waitcnt lgkmcnt(0)
	v_cndmask_b32_e32 v59, v23, v18, vcc
	v_mov_b32_e32 v18, s64
	v_cndmask_b32_e64 v105, 0, 1, vcc
	v_cndmask_b32_e32 v58, v22, v18, vcc
	v_cmp_gt_u32_e32 vcc, s70, v26
	s_mov_b64 s[30:31], 0
	v_mov_b32_e32 v99, 0
	v_mov_b32_e32 v112, 0
	v_pk_mov_b32 v[72:73], v[42:43], v[42:43] op_sel:[0,1]
	v_mov_b32_e32 v111, 0
	v_pk_mov_b32 v[70:71], v[42:43], v[42:43] op_sel:[0,1]
	;; [unrolled: 2-line block ×7, first 2 shown]
                                        ; implicit-def: $sgpr34_sgpr35
                                        ; implicit-def: $vgpr76_vgpr77
	s_and_saveexec_b64 s[26:27], vcc
	s_cbranch_execz .LBB374_108
; %bb.91:
	v_cmp_ne_u64_e32 vcc, v[20:21], v[14:15]
	v_mov_b32_e32 v19, s65
	v_add_u32_e32 v18, 11, v81
	v_cndmask_b32_e32 v61, v25, v19, vcc
	v_mov_b32_e32 v19, s64
	v_pk_mov_b32 v[42:43], 0, 0
	v_cndmask_b32_e64 v106, 0, 1, vcc
	v_cndmask_b32_e32 v60, v24, v19, vcc
	v_cmp_gt_u32_e32 vcc, s70, v18
	s_mov_b64 s[34:35], 0
	v_mov_b32_e32 v99, 0
	v_mov_b32_e32 v112, 0
	v_pk_mov_b32 v[72:73], v[42:43], v[42:43] op_sel:[0,1]
	v_mov_b32_e32 v111, 0
	v_pk_mov_b32 v[70:71], v[42:43], v[42:43] op_sel:[0,1]
	;; [unrolled: 2-line block ×6, first 2 shown]
                                        ; implicit-def: $sgpr36_sgpr37
                                        ; implicit-def: $vgpr76_vgpr77
	s_and_saveexec_b64 s[28:29], vcc
	s_cbranch_execz .LBB374_107
; %bb.92:
	ds_read2_b64 v[18:21], v80 offset0:11 offset1:12
	v_cmp_ne_u64_e32 vcc, v[14:15], v[16:17]
	v_mov_b32_e32 v14, s65
	v_add_u32_e32 v22, 12, v81
	v_pk_mov_b32 v[42:43], 0, 0
	s_waitcnt lgkmcnt(0)
	v_cndmask_b32_e32 v63, v19, v14, vcc
	v_mov_b32_e32 v14, s64
	v_cndmask_b32_e64 v107, 0, 1, vcc
	v_cndmask_b32_e32 v62, v18, v14, vcc
	v_cmp_gt_u32_e32 vcc, s70, v22
	s_mov_b64 s[36:37], 0
	v_mov_b32_e32 v99, 0
	v_mov_b32_e32 v112, 0
	v_pk_mov_b32 v[72:73], v[42:43], v[42:43] op_sel:[0,1]
	v_mov_b32_e32 v111, 0
	v_pk_mov_b32 v[70:71], v[42:43], v[42:43] op_sel:[0,1]
	;; [unrolled: 2-line block ×5, first 2 shown]
                                        ; implicit-def: $sgpr38_sgpr39
                                        ; implicit-def: $vgpr76_vgpr77
	s_and_saveexec_b64 s[30:31], vcc
	s_cbranch_execz .LBB374_106
; %bb.93:
	v_cmp_ne_u64_e32 vcc, v[16:17], v[10:11]
	v_mov_b32_e32 v15, s65
	v_add_u32_e32 v14, 13, v81
	v_cndmask_b32_e32 v65, v21, v15, vcc
	v_mov_b32_e32 v15, s64
	v_pk_mov_b32 v[42:43], 0, 0
	v_cndmask_b32_e64 v108, 0, 1, vcc
	v_cndmask_b32_e32 v64, v20, v15, vcc
	v_cmp_gt_u32_e32 vcc, s70, v14
	s_mov_b64 s[38:39], 0
	v_mov_b32_e32 v99, 0
	v_mov_b32_e32 v112, 0
	v_pk_mov_b32 v[72:73], v[42:43], v[42:43] op_sel:[0,1]
	v_mov_b32_e32 v111, 0
	v_pk_mov_b32 v[70:71], v[42:43], v[42:43] op_sel:[0,1]
	;; [unrolled: 2-line block ×4, first 2 shown]
                                        ; implicit-def: $sgpr40_sgpr41
                                        ; implicit-def: $vgpr76_vgpr77
	s_and_saveexec_b64 s[34:35], vcc
	s_cbranch_execz .LBB374_105
; %bb.94:
	ds_read2_b64 v[14:17], v80 offset0:13 offset1:14
	v_cmp_ne_u64_e32 vcc, v[10:11], v[12:13]
	v_mov_b32_e32 v10, s65
	v_add_u32_e32 v18, 14, v81
	v_pk_mov_b32 v[42:43], 0, 0
	s_waitcnt lgkmcnt(0)
	v_cndmask_b32_e32 v67, v15, v10, vcc
	v_mov_b32_e32 v10, s64
	v_cndmask_b32_e64 v109, 0, 1, vcc
	v_cndmask_b32_e32 v66, v14, v10, vcc
	v_cmp_gt_u32_e32 vcc, s70, v18
	s_mov_b64 s[40:41], 0
	v_mov_b32_e32 v99, 0
	v_mov_b32_e32 v112, 0
	v_pk_mov_b32 v[72:73], v[42:43], v[42:43] op_sel:[0,1]
	v_mov_b32_e32 v111, 0
	v_pk_mov_b32 v[70:71], v[42:43], v[42:43] op_sel:[0,1]
	;; [unrolled: 2-line block ×3, first 2 shown]
                                        ; implicit-def: $sgpr42_sgpr43
                                        ; implicit-def: $vgpr76_vgpr77
	s_and_saveexec_b64 s[36:37], vcc
	s_cbranch_execz .LBB374_104
; %bb.95:
	v_cmp_ne_u64_e32 vcc, v[12:13], v[6:7]
	v_mov_b32_e32 v11, s65
	v_add_u32_e32 v10, 15, v81
	v_cndmask_b32_e32 v69, v17, v11, vcc
	v_mov_b32_e32 v11, s64
	v_pk_mov_b32 v[42:43], 0, 0
	v_cndmask_b32_e64 v110, 0, 1, vcc
	v_cndmask_b32_e32 v68, v16, v11, vcc
	v_cmp_gt_u32_e32 vcc, s70, v10
	s_mov_b64 s[42:43], 0
	v_mov_b32_e32 v99, 0
	v_mov_b32_e32 v112, 0
	v_pk_mov_b32 v[72:73], v[42:43], v[42:43] op_sel:[0,1]
	v_mov_b32_e32 v111, 0
	v_pk_mov_b32 v[70:71], v[42:43], v[42:43] op_sel:[0,1]
                                        ; implicit-def: $sgpr60_sgpr61
                                        ; implicit-def: $vgpr76_vgpr77
	s_and_saveexec_b64 s[38:39], vcc
	s_cbranch_execz .LBB374_103
; %bb.96:
	ds_read2_b64 v[10:13], v80 offset0:15 offset1:16
	v_cmp_ne_u64_e32 vcc, v[6:7], v[8:9]
	v_mov_b32_e32 v6, s65
	v_add_u32_e32 v14, 16, v81
	v_pk_mov_b32 v[42:43], 0, 0
	s_waitcnt lgkmcnt(0)
	v_cndmask_b32_e32 v71, v11, v6, vcc
	v_mov_b32_e32 v6, s64
	v_cndmask_b32_e64 v111, 0, 1, vcc
	v_cndmask_b32_e32 v70, v10, v6, vcc
	v_cmp_gt_u32_e32 vcc, s70, v14
	s_mov_b64 s[60:61], 0
	v_mov_b32_e32 v99, 0
	v_mov_b32_e32 v112, 0
	v_pk_mov_b32 v[72:73], v[42:43], v[42:43] op_sel:[0,1]
                                        ; implicit-def: $sgpr68_sgpr69
                                        ; implicit-def: $vgpr76_vgpr77
	s_and_saveexec_b64 s[40:41], vcc
	s_cbranch_execz .LBB374_102
; %bb.97:
	v_cmp_ne_u64_e32 vcc, v[8:9], v[2:3]
	v_mov_b32_e32 v7, s65
	v_add_u32_e32 v6, 17, v81
	v_cndmask_b32_e32 v73, v13, v7, vcc
	v_mov_b32_e32 v7, s64
	v_cndmask_b32_e64 v112, 0, 1, vcc
	v_cndmask_b32_e32 v72, v12, v7, vcc
	v_cmp_gt_u32_e32 vcc, s70, v6
	v_mov_b32_e32 v99, 0
	v_pk_mov_b32 v[42:43], 0, 0
                                        ; implicit-def: $sgpr68_sgpr69
                                        ; implicit-def: $vgpr76_vgpr77
	s_and_saveexec_b64 s[42:43], vcc
	s_cbranch_execz .LBB374_101
; %bb.98:
	ds_read2_b64 v[6:9], v80 offset0:17 offset1:18
	v_cmp_ne_u64_e32 vcc, v[2:3], v[4:5]
	v_mov_b32_e32 v2, s65
	v_add_u32_e32 v10, 18, v81
	v_cndmask_b32_e64 v99, 0, 1, vcc
	s_waitcnt lgkmcnt(0)
	v_cndmask_b32_e32 v43, v7, v2, vcc
	v_mov_b32_e32 v2, s64
	v_cndmask_b32_e32 v42, v6, v2, vcc
	v_cmp_gt_u32_e32 vcc, s70, v10
                                        ; implicit-def: $sgpr68_sgpr69
                                        ; implicit-def: $vgpr76_vgpr77
	s_and_saveexec_b64 s[70:71], vcc
	s_xor_b64 s[70:71], exec, s[70:71]
; %bb.99:
	v_mov_b32_e32 v2, s65
	v_cmp_ne_u64_e32 vcc, v[4:5], v[78:79]
	v_cndmask_b32_e32 v77, v9, v2, vcc
	v_mov_b32_e32 v2, s64
	s_mov_b64 s[60:61], exec
	v_cndmask_b32_e32 v76, v8, v2, vcc
	s_and_b64 s[68:69], vcc, exec
; %bb.100:
	s_or_b64 exec, exec, s[70:71]
	s_and_b64 s[68:69], s[68:69], exec
	s_and_b64 s[60:61], s[60:61], exec
.LBB374_101:
	s_or_b64 exec, exec, s[42:43]
	s_and_b64 s[68:69], s[68:69], exec
	s_and_b64 s[42:43], s[60:61], exec
.LBB374_102:
	s_or_b64 exec, exec, s[40:41]
	s_and_b64 s[60:61], s[68:69], exec
	s_and_b64 s[40:41], s[42:43], exec
.LBB374_103:
	s_or_b64 exec, exec, s[38:39]
	s_and_b64 s[42:43], s[60:61], exec
	s_and_b64 s[38:39], s[40:41], exec
.LBB374_104:
	s_or_b64 exec, exec, s[36:37]
	s_and_b64 s[40:41], s[42:43], exec
	s_and_b64 s[36:37], s[38:39], exec
.LBB374_105:
	s_or_b64 exec, exec, s[34:35]
	s_and_b64 s[38:39], s[40:41], exec
	s_and_b64 s[34:35], s[36:37], exec
.LBB374_106:
	s_or_b64 exec, exec, s[30:31]
	s_and_b64 s[36:37], s[38:39], exec
	s_and_b64 s[30:31], s[34:35], exec
.LBB374_107:
	s_or_b64 exec, exec, s[28:29]
	s_and_b64 s[34:35], s[36:37], exec
	s_and_b64 s[28:29], s[30:31], exec
.LBB374_108:
	s_or_b64 exec, exec, s[26:27]
	s_and_b64 s[30:31], s[34:35], exec
	s_and_b64 s[26:27], s[28:29], exec
.LBB374_109:
	s_or_b64 exec, exec, s[24:25]
	s_and_b64 s[28:29], s[30:31], exec
	s_and_b64 s[24:25], s[26:27], exec
.LBB374_110:
	s_or_b64 exec, exec, s[22:23]
	s_and_b64 s[26:27], s[28:29], exec
	s_and_b64 s[22:23], s[24:25], exec
.LBB374_111:
	s_or_b64 exec, exec, s[20:21]
	s_and_b64 s[24:25], s[26:27], exec
	s_and_b64 s[20:21], s[22:23], exec
.LBB374_112:
	s_or_b64 exec, exec, s[18:19]
	s_and_b64 s[22:23], s[24:25], exec
	s_and_b64 s[18:19], s[20:21], exec
.LBB374_113:
	s_or_b64 exec, exec, s[16:17]
	s_and_b64 s[20:21], s[22:23], exec
	s_and_b64 s[16:17], s[18:19], exec
.LBB374_114:
	s_or_b64 exec, exec, s[14:15]
	s_and_b64 s[18:19], s[20:21], exec
	s_and_b64 s[14:15], s[16:17], exec
.LBB374_115:
	s_or_b64 exec, exec, s[12:13]
	s_and_b64 s[16:17], s[18:19], exec
	s_and_b64 s[12:13], s[14:15], exec
.LBB374_116:
	s_or_b64 exec, exec, s[10:11]
	s_and_b64 s[14:15], s[16:17], exec
	s_and_b64 s[10:11], s[12:13], exec
.LBB374_117:
	s_or_b64 exec, exec, s[8:9]
	s_and_b64 s[8:9], s[14:15], exec
	s_and_b64 s[10:11], s[10:11], exec
.LBB374_118:
	s_or_b64 exec, exec, s[4:5]
	s_mov_b64 s[4:5], 0
	s_and_b64 vcc, exec, s[2:3]
	v_lshlrev_b32_e32 v113, 3, v0
	s_cbranch_vccz .LBB374_124
.LBB374_119:
	v_mov_b32_e32 v1, s57
	v_add_co_u32_e32 v2, vcc, s56, v113
	v_addc_co_u32_e32 v3, vcc, 0, v1, vcc
	v_add_co_u32_e32 v20, vcc, 0x1000, v2
	v_addc_co_u32_e32 v21, vcc, 0, v3, vcc
	flat_load_dwordx2 v[4:5], v[2:3]
	flat_load_dwordx2 v[6:7], v[2:3] offset:512
	flat_load_dwordx2 v[8:9], v[2:3] offset:1024
	;; [unrolled: 1-line block ×7, first 2 shown]
	v_add_co_u32_e32 v2, vcc, 0x2000, v2
	v_addc_co_u32_e32 v3, vcc, 0, v3, vcc
	flat_load_dwordx2 v[22:23], v[20:21]
	flat_load_dwordx2 v[24:25], v[20:21] offset:512
	flat_load_dwordx2 v[26:27], v[20:21] offset:1024
	;; [unrolled: 1-line block ×7, first 2 shown]
	s_nop 0
	flat_load_dwordx2 v[20:21], v[2:3]
	flat_load_dwordx2 v[38:39], v[2:3] offset:512
	flat_load_dwordx2 v[40:41], v[2:3] offset:1024
	v_mov_b32_e32 v1, s56
	v_mov_b32_e32 v3, s57
	v_add_co_u32_e32 v2, vcc, 0x2000, v1
	v_addc_co_u32_e32 v3, vcc, 0, v3, vcc
	s_movk_i32 s2, 0x90
	v_mad_u32_u24 v1, v0, s2, v113
	s_movk_i32 s2, 0xff70
	s_movk_i32 s5, 0x1000
	;; [unrolled: 1-line block ×3, first 2 shown]
	v_cmp_ne_u32_e32 vcc, 63, v0
	s_waitcnt vmcnt(0) lgkmcnt(0)
	ds_write2st64_b64 v113, v[4:5], v[6:7] offset1:1
	ds_write2st64_b64 v113, v[8:9], v[10:11] offset0:2 offset1:3
	ds_write2st64_b64 v113, v[12:13], v[14:15] offset0:4 offset1:5
	;; [unrolled: 1-line block ×8, first 2 shown]
	ds_write_b64 v113, v[40:41] offset:9216
	s_waitcnt lgkmcnt(0)
	; wave barrier
	s_waitcnt lgkmcnt(0)
	flat_load_dwordx2 v[76:77], v[2:3] offset:1536
	v_mad_i32_i24 v6, v0, s2, v1
	ds_read_b64 v[74:75], v1
	ds_read2_b64 v[70:73], v1 offset0:1 offset1:2
	ds_read2_b64 v[62:65], v1 offset0:3 offset1:4
	;; [unrolled: 1-line block ×9, first 2 shown]
	s_waitcnt lgkmcnt(0)
	ds_write_b64 v6, v[74:75] offset:10240
	s_waitcnt lgkmcnt(0)
	; wave barrier
	s_waitcnt lgkmcnt(0)
	s_and_saveexec_b64 s[2:3], vcc
	s_cbranch_execz .LBB374_121
; %bb.120:
	s_waitcnt vmcnt(0)
	ds_read_b64 v[76:77], v113 offset:10248
.LBB374_121:
	s_or_b64 exec, exec, s[2:3]
	v_mov_b32_e32 v7, s51
	v_add_co_u32_e32 v6, vcc, s7, v113
	v_addc_co_u32_e32 v7, vcc, 0, v7, vcc
	v_add_co_u32_e32 v36, vcc, s5, v6
	v_addc_co_u32_e32 v37, vcc, 0, v7, vcc
	s_waitcnt lgkmcnt(0)
	; wave barrier
	s_waitcnt lgkmcnt(0)
	flat_load_dwordx2 v[8:9], v[6:7]
	flat_load_dwordx2 v[14:15], v[6:7] offset:512
	flat_load_dwordx2 v[16:17], v[6:7] offset:1024
	flat_load_dwordx2 v[22:23], v[6:7] offset:1536
	flat_load_dwordx2 v[24:25], v[6:7] offset:2048
	flat_load_dwordx2 v[30:31], v[6:7] offset:2560
	flat_load_dwordx2 v[32:33], v[6:7] offset:3072
	flat_load_dwordx2 v[34:35], v[6:7] offset:3584
	v_add_co_u32_e32 v6, vcc, s4, v6
	v_addc_co_u32_e32 v7, vcc, 0, v7, vcc
	flat_load_dwordx2 v[42:43], v[36:37]
	flat_load_dwordx2 v[44:45], v[36:37] offset:512
	flat_load_dwordx2 v[50:51], v[36:37] offset:1024
	;; [unrolled: 1-line block ×7, first 2 shown]
	s_nop 0
	flat_load_dwordx2 v[36:37], v[6:7]
	flat_load_dwordx2 v[78:79], v[6:7] offset:512
	flat_load_dwordx2 v[80:81], v[6:7] offset:1024
	v_cmp_ne_u64_e32 vcc, v[74:75], v[70:71]
	v_cmp_eq_u64_e64 s[2:3], v[74:75], v[70:71]
	v_pk_mov_b32 v[74:75], s[64:65], s[64:65] op_sel:[0,1]
	s_waitcnt vmcnt(0) lgkmcnt(0)
	ds_write2st64_b64 v113, v[8:9], v[14:15] offset1:1
	ds_write2st64_b64 v113, v[16:17], v[22:23] offset0:2 offset1:3
	ds_write2st64_b64 v113, v[24:25], v[30:31] offset0:4 offset1:5
	;; [unrolled: 1-line block ×8, first 2 shown]
	ds_write_b64 v113, v[80:81] offset:9216
	s_waitcnt lgkmcnt(0)
	; wave barrier
	s_waitcnt lgkmcnt(0)
	ds_read2_b64 v[66:69], v1 offset0:1 offset1:2
	ds_read2_b64 v[58:61], v1 offset0:3 offset1:4
	;; [unrolled: 1-line block ×9, first 2 shown]
	s_and_saveexec_b64 s[4:5], s[2:3]
	s_cbranch_execz .LBB374_123
; %bb.122:
	ds_read_b64 v[74:75], v1
.LBB374_123:
	s_or_b64 exec, exec, s[4:5]
	v_cmp_ne_u64_e64 s[8:9], v[64:65], v[54:55]
	v_cmp_ne_u64_e64 s[34:35], v[12:13], v[2:3]
	;; [unrolled: 1-line block ×3, first 2 shown]
	v_mov_b32_e32 v2, s65
	v_mov_b32_e32 v3, s64
	v_cndmask_b32_e64 v1, 0, 1, vcc
	v_cmp_ne_u64_e32 vcc, v[70:71], v[72:73]
	v_cmp_ne_u64_e64 s[2:3], v[72:73], v[62:63]
	v_cmp_ne_u64_e64 s[4:5], v[62:63], v[64:65]
	v_cndmask_b32_e64 v100, 0, 1, s[8:9]
	v_cmp_ne_u64_e64 s[10:11], v[54:55], v[56:57]
	v_cmp_ne_u64_e64 s[12:13], v[56:57], v[46:47]
	;; [unrolled: 1-line block ×11, first 2 shown]
	s_waitcnt lgkmcnt(7)
	v_cndmask_b32_e64 v55, v61, v2, s[8:9]
	v_cndmask_b32_e64 v54, v60, v3, s[8:9]
	v_cmp_ne_u64_e64 s[8:9], v[4:5], v[76:77]
	v_cndmask_b32_e64 v96, 0, 1, vcc
	v_cndmask_b32_e64 v97, 0, 1, s[2:3]
	v_cndmask_b32_e64 v98, 0, 1, s[4:5]
	;; [unrolled: 1-line block ×15, first 2 shown]
	v_cndmask_b32_e32 v39, v67, v2, vcc
	v_cndmask_b32_e32 v38, v66, v3, vcc
	v_cndmask_b32_e64 v47, v69, v2, s[2:3]
	v_cndmask_b32_e64 v46, v68, v3, s[2:3]
	v_cndmask_b32_e64 v49, v59, v2, s[4:5]
	v_cndmask_b32_e64 v48, v58, v3, s[4:5]
	s_waitcnt lgkmcnt(6)
	v_cndmask_b32_e64 v51, v51, v2, s[10:11]
	v_cndmask_b32_e64 v50, v50, v3, s[10:11]
	v_cndmask_b32_e64 v53, v53, v2, s[12:13]
	v_cndmask_b32_e64 v52, v52, v3, s[12:13]
	s_waitcnt lgkmcnt(5)
	;; [unrolled: 5-line block ×7, first 2 shown]
	v_cndmask_b32_e64 v43, v7, v2, s[36:37]
	v_cndmask_b32_e64 v42, v6, v3, s[36:37]
	;; [unrolled: 1-line block ×4, first 2 shown]
	s_mov_b64 s[10:11], -1
                                        ; implicit-def: $sgpr72
                                        ; implicit-def: $sgpr4_sgpr5
.LBB374_124:
	v_pk_mov_b32 v[40:41], s[4:5], s[4:5] op_sel:[0,1]
	v_mov_b32_e32 v114, s72
	s_and_saveexec_b64 s[2:3], s[10:11]
; %bb.125:
	v_cndmask_b32_e64 v114, 0, 1, s[8:9]
	v_pk_mov_b32 v[40:41], v[76:77], v[76:77] op_sel:[0,1]
; %bb.126:
	s_or_b64 exec, exec, s[2:3]
	v_or_b32_e32 v2, v114, v99
	s_cmp_lg_u32 s6, 0
	v_or_b32_e32 v116, v2, v112
	v_mbcnt_lo_u32_b32 v115, -1, 0
	s_waitcnt lgkmcnt(0)
	; wave barrier
	s_waitcnt lgkmcnt(0)
	s_cbranch_scc0 .LBB374_189
; %bb.127:
	v_mov_b32_e32 v2, 0
	v_cmp_eq_u16_sdwa s[36:37], v96, v2 src0_sel:BYTE_0 src1_sel:DWORD
	v_cndmask_b32_e64 v4, 0, v74, s[36:37]
	v_cndmask_b32_e64 v3, 0, v75, s[36:37]
	v_add_co_u32_e32 v4, vcc, v4, v38
	v_cmp_eq_u16_sdwa s[34:35], v97, v2 src0_sel:BYTE_0 src1_sel:DWORD
	v_addc_co_u32_e32 v3, vcc, v3, v39, vcc
	v_cndmask_b32_e64 v4, 0, v4, s[34:35]
	v_cndmask_b32_e64 v3, 0, v3, s[34:35]
	v_add_co_u32_e32 v4, vcc, v4, v46
	v_cmp_eq_u16_sdwa s[30:31], v98, v2 src0_sel:BYTE_0 src1_sel:DWORD
	v_addc_co_u32_e32 v3, vcc, v3, v47, vcc
	;; [unrolled: 5-line block ×16, first 2 shown]
	v_cndmask_b32_e64 v4, 0, v4, s[2:3]
	v_cndmask_b32_e64 v3, 0, v3, s[2:3]
	v_add_co_u32_e32 v4, vcc, v4, v42
	v_addc_co_u32_e32 v3, vcc, v3, v43, vcc
	v_cmp_eq_u16_sdwa vcc, v114, v2 src0_sel:BYTE_0 src1_sel:DWORD
	v_cndmask_b32_e32 v2, 0, v4, vcc
	v_or_b32_e32 v4, v116, v111
	v_or_b32_e32 v4, v4, v110
	;; [unrolled: 1-line block ×15, first 2 shown]
	v_cndmask_b32_e32 v3, 0, v3, vcc
	v_add_co_u32_e32 v2, vcc, v2, v40
	v_or_b32_e32 v4, v4, v1
	v_mbcnt_hi_u32_b32 v5, -1, v115
	v_addc_co_u32_e32 v3, vcc, v3, v41, vcc
	v_and_b32_e32 v4, 1, v4
	v_and_b32_e32 v7, 15, v5
	v_cmp_eq_u32_e32 vcc, 1, v4
	v_mov_b32_dpp v9, v2 row_shr:1 row_mask:0xf bank_mask:0xf
	v_mov_b32_dpp v10, v3 row_shr:1 row_mask:0xf bank_mask:0xf
	;; [unrolled: 1-line block ×3, first 2 shown]
	v_cmp_ne_u32_e64 s[38:39], 0, v7
	v_mov_b32_e32 v6, v4
	s_and_saveexec_b64 s[42:43], s[38:39]
; %bb.128:
	v_cndmask_b32_e64 v9, v9, 0, vcc
	v_cndmask_b32_e64 v6, v10, 0, vcc
	v_add_co_u32_e32 v2, vcc, v9, v2
	v_addc_co_u32_e32 v3, vcc, v6, v3, vcc
	v_and_b32_e32 v6, 1, v8
	v_or_b32_e32 v4, v6, v4
	v_and_b32_e32 v6, 0xffff, v4
; %bb.129:
	s_or_b64 exec, exec, s[42:43]
	v_mov_b32_dpp v9, v2 row_shr:2 row_mask:0xf bank_mask:0xf
	v_mov_b32_dpp v10, v3 row_shr:2 row_mask:0xf bank_mask:0xf
	v_mov_b32_dpp v8, v6 row_shr:2 row_mask:0xf bank_mask:0xf
	v_cmp_lt_u32_e32 vcc, 1, v7
	s_and_saveexec_b64 s[42:43], vcc
	s_cbranch_execz .LBB374_131
; %bb.130:
	v_cmp_eq_u16_e32 vcc, 0, v4
	v_cndmask_b32_e32 v9, 0, v9, vcc
	v_cndmask_b32_e32 v6, 0, v10, vcc
	v_add_co_u32_e32 v2, vcc, v9, v2
	v_addc_co_u32_e32 v3, vcc, v6, v3, vcc
	v_and_b32_e32 v4, 1, v4
	v_cmp_eq_u32_e32 vcc, 1, v4
	v_and_b32_e32 v4, 1, v8
	v_cmp_eq_u32_e64 s[38:39], 1, v4
	s_or_b64 s[38:39], vcc, s[38:39]
	v_cndmask_b32_e64 v4, 0, 1, s[38:39]
	v_cndmask_b32_e64 v6, 0, 1, s[38:39]
.LBB374_131:
	s_or_b64 exec, exec, s[42:43]
	v_mov_b32_dpp v9, v2 row_shr:4 row_mask:0xf bank_mask:0xf
	v_mov_b32_dpp v10, v3 row_shr:4 row_mask:0xf bank_mask:0xf
	v_mov_b32_dpp v8, v6 row_shr:4 row_mask:0xf bank_mask:0xf
	v_cmp_lt_u32_e32 vcc, 3, v7
	s_and_saveexec_b64 s[42:43], vcc
	s_cbranch_execz .LBB374_133
; %bb.132:
	v_cmp_eq_u16_e32 vcc, 0, v4
	v_cndmask_b32_e32 v9, 0, v9, vcc
	v_cndmask_b32_e32 v6, 0, v10, vcc
	v_add_co_u32_e32 v2, vcc, v9, v2
	v_addc_co_u32_e32 v3, vcc, v6, v3, vcc
	v_and_b32_e32 v4, 1, v4
	v_cmp_eq_u32_e32 vcc, 1, v4
	v_and_b32_e32 v4, 1, v8
	v_cmp_eq_u32_e64 s[38:39], 1, v4
	s_or_b64 s[38:39], vcc, s[38:39]
	v_cndmask_b32_e64 v4, 0, 1, s[38:39]
	v_cndmask_b32_e64 v6, 0, 1, s[38:39]
.LBB374_133:
	;; [unrolled: 21-line block ×3, first 2 shown]
	s_or_b64 exec, exec, s[42:43]
	v_and_b32_e32 v10, 16, v5
	v_mov_b32_dpp v8, v2 row_bcast:15 row_mask:0xf bank_mask:0xf
	v_mov_b32_dpp v9, v3 row_bcast:15 row_mask:0xf bank_mask:0xf
	;; [unrolled: 1-line block ×3, first 2 shown]
	v_cmp_ne_u32_e32 vcc, 0, v10
	s_and_saveexec_b64 s[42:43], vcc
	s_cbranch_execz .LBB374_137
; %bb.136:
	v_cmp_eq_u16_e32 vcc, 0, v4
	v_cndmask_b32_e32 v8, 0, v8, vcc
	v_cndmask_b32_e32 v6, 0, v9, vcc
	v_add_co_u32_e32 v2, vcc, v8, v2
	v_addc_co_u32_e32 v3, vcc, v6, v3, vcc
	v_and_b32_e32 v4, 1, v4
	v_cmp_eq_u32_e32 vcc, 1, v4
	v_and_b32_e32 v4, 1, v7
	v_cmp_eq_u32_e64 s[38:39], 1, v4
	s_or_b64 s[38:39], vcc, s[38:39]
	v_cndmask_b32_e64 v4, 0, 1, s[38:39]
	v_cndmask_b32_e64 v6, 0, 1, s[38:39]
.LBB374_137:
	s_or_b64 exec, exec, s[42:43]
	v_mov_b32_dpp v7, v2 row_bcast:31 row_mask:0xf bank_mask:0xf
	v_mov_b32_dpp v8, v3 row_bcast:31 row_mask:0xf bank_mask:0xf
	;; [unrolled: 1-line block ×3, first 2 shown]
	v_cmp_lt_u32_e32 vcc, 31, v5
	s_and_saveexec_b64 s[42:43], vcc
; %bb.138:
	v_cmp_eq_u16_e32 vcc, 0, v4
	v_cndmask_b32_e32 v7, 0, v7, vcc
	v_cndmask_b32_e32 v8, 0, v8, vcc
	v_add_co_u32_e32 v2, vcc, v7, v2
	v_addc_co_u32_e32 v3, vcc, v8, v3, vcc
	v_and_b32_e32 v4, 1, v4
	v_cmp_eq_u32_e32 vcc, 1, v4
	v_and_b32_e32 v4, 1, v6
	v_cmp_eq_u32_e64 s[38:39], 1, v4
	s_or_b64 s[38:39], vcc, s[38:39]
	v_cndmask_b32_e64 v4, 0, 1, s[38:39]
; %bb.139:
	s_or_b64 exec, exec, s[42:43]
	v_cmp_eq_u32_e32 vcc, 63, v0
	s_and_saveexec_b64 s[38:39], vcc
	s_cbranch_execz .LBB374_141
; %bb.140:
	v_mov_b32_e32 v6, 0
	ds_write_b64 v6, v[2:3]
	ds_write_b8 v6, v4 offset:8
.LBB374_141:
	s_or_b64 exec, exec, s[38:39]
	v_add_u32_e32 v6, -1, v5
	v_and_b32_e32 v7, 64, v5
	v_cmp_lt_i32_e32 vcc, v6, v7
	v_cndmask_b32_e32 v6, v6, v5, vcc
	v_lshlrev_b32_e32 v6, 2, v6
	ds_bpermute_b32 v12, v6, v2
	v_and_b32_e32 v2, 0xffff, v4
	ds_bpermute_b32 v13, v6, v3
	ds_bpermute_b32 v14, v6, v2
	v_cmp_gt_u32_e32 vcc, 64, v0
	s_waitcnt lgkmcnt(0)
	; wave barrier
	s_waitcnt lgkmcnt(0)
	s_and_saveexec_b64 s[56:57], vcc
	s_cbranch_execz .LBB374_188
; %bb.142:
	v_mov_b32_e32 v7, 0
	ds_read_b64 v[2:3], v7
	ds_read_u8 v15, v7 offset:8
	s_mov_b32 s61, 0
	v_cmp_eq_u32_e64 s[38:39], 0, v5
	s_and_saveexec_b64 s[42:43], s[38:39]
	s_cbranch_execz .LBB374_144
; %bb.143:
	s_add_i32 s60, s6, 64
	s_lshl_b64 s[68:69], s[60:61], 4
	s_add_u32 s68, s44, s68
	s_addc_u32 s69, s45, s69
	v_mov_b32_e32 v4, s60
	v_mov_b32_e32 v6, 1
	s_waitcnt lgkmcnt(1)
	global_store_dwordx2 v7, v[2:3], s[68:69]
	s_waitcnt lgkmcnt(0)
	global_store_byte v7, v15, s[68:69] offset:8
	s_waitcnt vmcnt(0)
	buffer_wbinvl1_vol
	global_store_byte v4, v6, s[48:49]
.LBB374_144:
	s_or_b64 exec, exec, s[42:43]
	v_xad_u32 v4, v5, -1, s6
	v_add_u32_e32 v6, 64, v4
	global_load_ubyte v16, v6, s[48:49] glc
	s_waitcnt vmcnt(0)
	v_cmp_eq_u16_e32 vcc, 0, v16
	s_and_saveexec_b64 s[42:43], vcc
	s_cbranch_execz .LBB374_150
; %bb.145:
	v_mov_b32_e32 v9, s49
	v_add_co_u32_e32 v8, vcc, s48, v6
	v_addc_co_u32_e32 v9, vcc, 0, v9, vcc
	s_mov_b32 s7, 1
	s_mov_b64 s[60:61], 0
.LBB374_146:                            ; =>This Loop Header: Depth=1
                                        ;     Child Loop BB374_147 Depth 2
	s_max_u32 s51, s7, 1
.LBB374_147:                            ;   Parent Loop BB374_146 Depth=1
                                        ; =>  This Inner Loop Header: Depth=2
	s_add_i32 s51, s51, -1
	s_cmp_eq_u32 s51, 0
	s_sleep 1
	s_cbranch_scc0 .LBB374_147
; %bb.148:                              ;   in Loop: Header=BB374_146 Depth=1
	global_load_ubyte v16, v[8:9], off glc
	s_cmp_lt_u32 s7, 32
	s_cselect_b64 s[68:69], -1, 0
	s_cmp_lg_u64 s[68:69], 0
	s_addc_u32 s7, s7, 0
	s_waitcnt vmcnt(0)
	v_cmp_ne_u16_e32 vcc, 0, v16
	s_or_b64 s[60:61], vcc, s[60:61]
	s_andn2_b64 exec, exec, s[60:61]
	s_cbranch_execnz .LBB374_146
; %bb.149:
	s_or_b64 exec, exec, s[60:61]
.LBB374_150:
	s_or_b64 exec, exec, s[42:43]
	v_mov_b32_e32 v8, s47
	v_mov_b32_e32 v9, s45
	v_cmp_eq_u16_e32 vcc, 1, v16
	v_cndmask_b32_e32 v8, v8, v9, vcc
	v_mov_b32_e32 v9, s46
	v_mov_b32_e32 v10, s44
	v_cndmask_b32_e32 v9, v9, v10, vcc
	v_lshlrev_b64 v[6:7], 4, v[6:7]
	v_add_co_u32_e32 v6, vcc, v9, v6
	v_addc_co_u32_e32 v7, vcc, v8, v7, vcc
	s_waitcnt lgkmcnt(0)
	buffer_wbinvl1_vol
	global_load_dwordx2 v[10:11], v[6:7], off
	global_load_ubyte v31, v[6:7], off offset:8
	v_cmp_eq_u16_e32 vcc, 2, v16
	v_lshlrev_b64 v[6:7], v5, -1
	v_and_b32_e32 v17, 63, v5
	v_and_b32_e32 v8, vcc_hi, v7
	v_and_b32_e32 v22, vcc_lo, v6
	v_cmp_ne_u32_e32 vcc, 63, v17
	v_addc_co_u32_e32 v9, vcc, 0, v5, vcc
	v_lshlrev_b32_e32 v18, 2, v9
	v_or_b32_e32 v8, 0x80000000, v8
	v_ffbl_b32_e32 v8, v8
	v_add_u32_e32 v8, 32, v8
	v_ffbl_b32_e32 v22, v22
	v_min_u32_e32 v8, v22, v8
	v_cmp_lt_u32_e32 vcc, v17, v8
	s_waitcnt vmcnt(1)
	ds_bpermute_b32 v20, v18, v10
	s_waitcnt vmcnt(0)
	v_and_b32_e32 v9, 1, v31
	ds_bpermute_b32 v21, v18, v11
	ds_bpermute_b32 v19, v18, v9
	s_and_saveexec_b64 s[42:43], vcc
	s_cbranch_execz .LBB374_152
; %bb.151:
	v_mov_b32_e32 v9, 0
	v_cmp_eq_u16_sdwa vcc, v31, v9 src0_sel:BYTE_0 src1_sel:DWORD
	s_waitcnt lgkmcnt(2)
	v_cndmask_b32_e32 v20, 0, v20, vcc
	s_waitcnt lgkmcnt(1)
	v_cndmask_b32_e32 v9, 0, v21, vcc
	v_add_co_u32_e32 v10, vcc, v20, v10
	v_addc_co_u32_e32 v11, vcc, v9, v11, vcc
	s_waitcnt lgkmcnt(0)
	v_and_b32_e32 v9, 1, v19
	v_or_b32_e32 v31, v9, v31
	v_and_b32_e32 v9, 0xff, v31
.LBB374_152:
	s_or_b64 exec, exec, s[42:43]
	v_cmp_gt_u32_e32 vcc, 62, v17
	s_waitcnt lgkmcnt(0)
	v_cndmask_b32_e64 v19, 0, 1, vcc
	v_lshlrev_b32_e32 v19, 1, v19
	v_add_lshl_u32 v19, v19, v5, 2
	ds_bpermute_b32 v22, v19, v10
	ds_bpermute_b32 v23, v19, v11
	ds_bpermute_b32 v21, v19, v9
	v_add_u32_e32 v20, 2, v17
	v_cmp_le_u32_e32 vcc, v20, v8
	s_and_saveexec_b64 s[60:61], vcc
	s_cbranch_execz .LBB374_154
; %bb.153:
	v_mov_b32_e32 v9, 0
	v_cmp_eq_u16_sdwa vcc, v31, v9 src0_sel:BYTE_0 src1_sel:DWORD
	s_waitcnt lgkmcnt(2)
	v_cndmask_b32_e32 v22, 0, v22, vcc
	s_waitcnt lgkmcnt(1)
	v_cndmask_b32_e32 v9, 0, v23, vcc
	v_add_co_u32_e32 v10, vcc, v22, v10
	v_addc_co_u32_e32 v11, vcc, v9, v11, vcc
	v_and_b32_e32 v9, 1, v31
	v_cmp_eq_u32_e32 vcc, 1, v9
	s_waitcnt lgkmcnt(0)
	v_and_b32_e32 v9, 1, v21
	v_cmp_eq_u32_e64 s[42:43], 1, v9
	s_or_b64 s[42:43], vcc, s[42:43]
	v_cndmask_b32_e64 v31, 0, 1, s[42:43]
	v_cndmask_b32_e64 v9, 0, 1, s[42:43]
.LBB374_154:
	s_or_b64 exec, exec, s[60:61]
	v_cmp_gt_u32_e32 vcc, 60, v17
	s_waitcnt lgkmcnt(0)
	v_cndmask_b32_e64 v21, 0, 1, vcc
	v_lshlrev_b32_e32 v21, 2, v21
	v_add_lshl_u32 v21, v21, v5, 2
	ds_bpermute_b32 v24, v21, v10
	ds_bpermute_b32 v25, v21, v11
	ds_bpermute_b32 v23, v21, v9
	v_add_u32_e32 v22, 4, v17
	v_cmp_le_u32_e32 vcc, v22, v8
	s_and_saveexec_b64 s[60:61], vcc
	s_cbranch_execz .LBB374_156
; %bb.155:
	v_mov_b32_e32 v9, 0
	v_cmp_eq_u16_sdwa vcc, v31, v9 src0_sel:BYTE_0 src1_sel:DWORD
	s_waitcnt lgkmcnt(2)
	v_cndmask_b32_e32 v24, 0, v24, vcc
	s_waitcnt lgkmcnt(1)
	v_cndmask_b32_e32 v9, 0, v25, vcc
	v_add_co_u32_e32 v10, vcc, v24, v10
	v_addc_co_u32_e32 v11, vcc, v9, v11, vcc
	v_and_b32_e32 v9, 1, v31
	v_cmp_eq_u32_e32 vcc, 1, v9
	s_waitcnt lgkmcnt(0)
	v_and_b32_e32 v9, 1, v23
	v_cmp_eq_u32_e64 s[42:43], 1, v9
	s_or_b64 s[42:43], vcc, s[42:43]
	v_cndmask_b32_e64 v31, 0, 1, s[42:43]
	v_cndmask_b32_e64 v9, 0, 1, s[42:43]
.LBB374_156:
	;; [unrolled: 31-line block ×4, first 2 shown]
	s_or_b64 exec, exec, s[60:61]
	v_cmp_gt_u32_e32 vcc, 32, v17
	s_waitcnt lgkmcnt(0)
	v_cndmask_b32_e64 v27, 0, 1, vcc
	v_lshlrev_b32_e32 v27, 5, v27
	v_add_lshl_u32 v28, v27, v5, 2
	ds_bpermute_b32 v27, v28, v10
	ds_bpermute_b32 v30, v28, v11
	;; [unrolled: 1-line block ×3, first 2 shown]
	v_add_u32_e32 v29, 32, v17
	v_cmp_le_u32_e32 vcc, v29, v8
	s_and_saveexec_b64 s[60:61], vcc
	s_cbranch_execz .LBB374_162
; %bb.161:
	v_mov_b32_e32 v8, 0
	v_cmp_eq_u16_sdwa vcc, v31, v8 src0_sel:BYTE_0 src1_sel:DWORD
	s_waitcnt lgkmcnt(2)
	v_cndmask_b32_e32 v9, 0, v27, vcc
	s_waitcnt lgkmcnt(1)
	v_cndmask_b32_e32 v8, 0, v30, vcc
	v_add_co_u32_e32 v10, vcc, v9, v10
	v_addc_co_u32_e32 v11, vcc, v8, v11, vcc
	v_and_b32_e32 v8, 1, v31
	s_waitcnt lgkmcnt(0)
	v_and_b32_e32 v5, 1, v5
	v_cmp_eq_u32_e32 vcc, 1, v8
	v_cmp_eq_u32_e64 s[42:43], 1, v5
	s_or_b64 s[42:43], vcc, s[42:43]
	v_cndmask_b32_e64 v31, 0, 1, s[42:43]
.LBB374_162:
	s_or_b64 exec, exec, s[60:61]
	s_waitcnt lgkmcnt(0)
	v_mov_b32_e32 v5, 0
	v_mov_b32_e32 v30, 2
	s_branch .LBB374_164
.LBB374_163:                            ;   in Loop: Header=BB374_164 Depth=1
	s_or_b64 exec, exec, s[68:69]
	v_cmp_eq_u16_sdwa vcc, v27, v5 src0_sel:BYTE_0 src1_sel:DWORD
	v_cndmask_b32_e32 v10, 0, v10, vcc
	v_cndmask_b32_e32 v11, 0, v11, vcc
	v_add_co_u32_e32 v10, vcc, v10, v8
	v_addc_co_u32_e32 v11, vcc, v11, v9, vcc
	v_and_b32_e32 v31, 1, v27
	v_cmp_eq_u32_e32 vcc, 1, v31
	s_or_b64 s[42:43], vcc, s[60:61]
	v_subrev_u32_e32 v4, 64, v4
	v_cndmask_b32_e64 v31, 0, 1, s[42:43]
.LBB374_164:                            ; =>This Loop Header: Depth=1
                                        ;     Child Loop BB374_167 Depth 2
                                        ;       Child Loop BB374_168 Depth 3
	v_cmp_ne_u16_sdwa s[42:43], v16, v30 src0_sel:BYTE_0 src1_sel:DWORD
	v_cndmask_b32_e64 v8, 0, 1, s[42:43]
	;;#ASMSTART
	;;#ASMEND
	v_cmp_ne_u32_e32 vcc, 0, v8
	v_mov_b32_e32 v27, v31
	s_cmp_lg_u64 vcc, exec
	v_pk_mov_b32 v[8:9], v[10:11], v[10:11] op_sel:[0,1]
	s_cbranch_scc1 .LBB374_183
; %bb.165:                              ;   in Loop: Header=BB374_164 Depth=1
	global_load_ubyte v16, v4, s[48:49] glc
	s_waitcnt vmcnt(0)
	v_cmp_eq_u16_e32 vcc, 0, v16
	s_and_saveexec_b64 s[42:43], vcc
	s_cbranch_execz .LBB374_171
; %bb.166:                              ;   in Loop: Header=BB374_164 Depth=1
	v_mov_b32_e32 v11, s49
	v_add_co_u32_e32 v10, vcc, s48, v4
	v_addc_co_u32_e32 v11, vcc, 0, v11, vcc
	s_mov_b32 s7, 1
	s_mov_b64 s[60:61], 0
.LBB374_167:                            ;   Parent Loop BB374_164 Depth=1
                                        ; =>  This Loop Header: Depth=2
                                        ;       Child Loop BB374_168 Depth 3
	s_max_u32 s51, s7, 1
.LBB374_168:                            ;   Parent Loop BB374_164 Depth=1
                                        ;     Parent Loop BB374_167 Depth=2
                                        ; =>    This Inner Loop Header: Depth=3
	s_add_i32 s51, s51, -1
	s_cmp_eq_u32 s51, 0
	s_sleep 1
	s_cbranch_scc0 .LBB374_168
; %bb.169:                              ;   in Loop: Header=BB374_167 Depth=2
	global_load_ubyte v16, v[10:11], off glc
	s_cmp_lt_u32 s7, 32
	s_cselect_b64 s[68:69], -1, 0
	s_cmp_lg_u64 s[68:69], 0
	s_addc_u32 s7, s7, 0
	s_waitcnt vmcnt(0)
	v_cmp_ne_u16_e32 vcc, 0, v16
	s_or_b64 s[60:61], vcc, s[60:61]
	s_andn2_b64 exec, exec, s[60:61]
	s_cbranch_execnz .LBB374_167
; %bb.170:                              ;   in Loop: Header=BB374_164 Depth=1
	s_or_b64 exec, exec, s[60:61]
.LBB374_171:                            ;   in Loop: Header=BB374_164 Depth=1
	s_or_b64 exec, exec, s[42:43]
	v_mov_b32_e32 v10, s47
	v_mov_b32_e32 v11, s45
	v_cmp_eq_u16_e32 vcc, 1, v16
	v_cndmask_b32_e32 v31, v10, v11, vcc
	v_mov_b32_e32 v10, s46
	v_mov_b32_e32 v11, s44
	v_cndmask_b32_e32 v32, v10, v11, vcc
	v_lshlrev_b64 v[10:11], 4, v[4:5]
	v_add_co_u32_e32 v32, vcc, v32, v10
	s_waitcnt lgkmcnt(0)
	v_addc_co_u32_e32 v33, vcc, v31, v11, vcc
	buffer_wbinvl1_vol
	global_load_dwordx2 v[10:11], v[32:33], off
	global_load_ubyte v31, v[32:33], off offset:8
	v_cmp_eq_u16_e32 vcc, 2, v16
	v_and_b32_e32 v32, vcc_hi, v7
	v_or_b32_e32 v32, 0x80000000, v32
	v_and_b32_e32 v37, vcc_lo, v6
	v_ffbl_b32_e32 v32, v32
	v_add_u32_e32 v32, 32, v32
	v_ffbl_b32_e32 v37, v37
	v_min_u32_e32 v32, v37, v32
	v_cmp_lt_u32_e32 vcc, v17, v32
	s_waitcnt vmcnt(1)
	ds_bpermute_b32 v35, v18, v10
	s_waitcnt vmcnt(0)
	v_and_b32_e32 v33, 1, v31
	ds_bpermute_b32 v36, v18, v11
	ds_bpermute_b32 v34, v18, v33
	s_and_saveexec_b64 s[42:43], vcc
	s_cbranch_execz .LBB374_173
; %bb.172:                              ;   in Loop: Header=BB374_164 Depth=1
	v_cmp_eq_u16_sdwa vcc, v31, v5 src0_sel:BYTE_0 src1_sel:DWORD
	s_waitcnt lgkmcnt(2)
	v_cndmask_b32_e32 v35, 0, v35, vcc
	s_waitcnt lgkmcnt(1)
	v_cndmask_b32_e32 v33, 0, v36, vcc
	v_add_co_u32_e32 v10, vcc, v35, v10
	v_addc_co_u32_e32 v11, vcc, v33, v11, vcc
	s_waitcnt lgkmcnt(0)
	v_and_b32_e32 v33, 1, v34
	v_or_b32_e32 v31, v33, v31
	v_and_b32_e32 v33, 0xff, v31
.LBB374_173:                            ;   in Loop: Header=BB374_164 Depth=1
	s_or_b64 exec, exec, s[42:43]
	s_waitcnt lgkmcnt(2)
	ds_bpermute_b32 v35, v19, v10
	s_waitcnt lgkmcnt(2)
	ds_bpermute_b32 v36, v19, v11
	;; [unrolled: 2-line block ×3, first 2 shown]
	v_and_b32_e32 v37, 1, v31
	v_cmp_le_u32_e32 vcc, v20, v32
	v_cmp_eq_u32_e64 s[60:61], 1, v37
	s_and_saveexec_b64 s[42:43], vcc
	s_cbranch_execz .LBB374_175
; %bb.174:                              ;   in Loop: Header=BB374_164 Depth=1
	v_cmp_eq_u16_sdwa vcc, v31, v5 src0_sel:BYTE_0 src1_sel:DWORD
	s_waitcnt lgkmcnt(2)
	v_cndmask_b32_e32 v33, 0, v35, vcc
	s_waitcnt lgkmcnt(1)
	v_cndmask_b32_e32 v31, 0, v36, vcc
	v_add_co_u32_e32 v10, vcc, v33, v10
	v_addc_co_u32_e32 v11, vcc, v31, v11, vcc
	s_waitcnt lgkmcnt(0)
	v_and_b32_e32 v31, 1, v34
	v_cmp_eq_u32_e32 vcc, 1, v31
	s_or_b64 s[68:69], s[60:61], vcc
	v_cndmask_b32_e64 v31, 0, 1, s[68:69]
	v_cndmask_b32_e64 v33, 0, 1, s[68:69]
	s_andn2_b64 s[60:61], s[60:61], exec
	s_and_b64 s[68:69], s[68:69], exec
	s_or_b64 s[60:61], s[60:61], s[68:69]
.LBB374_175:                            ;   in Loop: Header=BB374_164 Depth=1
	s_or_b64 exec, exec, s[42:43]
	s_waitcnt lgkmcnt(2)
	ds_bpermute_b32 v35, v21, v10
	s_waitcnt lgkmcnt(2)
	ds_bpermute_b32 v36, v21, v11
	s_waitcnt lgkmcnt(2)
	ds_bpermute_b32 v34, v21, v33
	v_cmp_le_u32_e32 vcc, v22, v32
	s_and_saveexec_b64 s[68:69], vcc
	s_cbranch_execz .LBB374_177
; %bb.176:                              ;   in Loop: Header=BB374_164 Depth=1
	v_cmp_eq_u16_sdwa vcc, v31, v5 src0_sel:BYTE_0 src1_sel:DWORD
	s_waitcnt lgkmcnt(2)
	v_cndmask_b32_e32 v35, 0, v35, vcc
	s_waitcnt lgkmcnt(1)
	v_cndmask_b32_e32 v33, 0, v36, vcc
	v_add_co_u32_e32 v10, vcc, v35, v10
	v_addc_co_u32_e32 v11, vcc, v33, v11, vcc
	v_and_b32_e32 v31, 1, v31
	v_cmp_eq_u32_e32 vcc, 1, v31
	s_waitcnt lgkmcnt(0)
	v_and_b32_e32 v31, 1, v34
	v_cmp_eq_u32_e64 s[42:43], 1, v31
	s_or_b64 s[42:43], vcc, s[42:43]
	v_cndmask_b32_e64 v31, 0, 1, s[42:43]
	v_cndmask_b32_e64 v33, 0, 1, s[42:43]
	s_andn2_b64 s[60:61], s[60:61], exec
	s_and_b64 s[42:43], s[42:43], exec
	s_or_b64 s[60:61], s[60:61], s[42:43]
.LBB374_177:                            ;   in Loop: Header=BB374_164 Depth=1
	s_or_b64 exec, exec, s[68:69]
	s_waitcnt lgkmcnt(2)
	ds_bpermute_b32 v35, v23, v10
	s_waitcnt lgkmcnt(2)
	ds_bpermute_b32 v36, v23, v11
	s_waitcnt lgkmcnt(2)
	ds_bpermute_b32 v34, v23, v33
	v_cmp_le_u32_e32 vcc, v24, v32
	s_and_saveexec_b64 s[68:69], vcc
	s_cbranch_execz .LBB374_179
; %bb.178:                              ;   in Loop: Header=BB374_164 Depth=1
	v_cmp_eq_u16_sdwa vcc, v31, v5 src0_sel:BYTE_0 src1_sel:DWORD
	s_waitcnt lgkmcnt(2)
	v_cndmask_b32_e32 v35, 0, v35, vcc
	s_waitcnt lgkmcnt(1)
	v_cndmask_b32_e32 v33, 0, v36, vcc
	v_add_co_u32_e32 v10, vcc, v35, v10
	v_addc_co_u32_e32 v11, vcc, v33, v11, vcc
	v_and_b32_e32 v31, 1, v31
	v_cmp_eq_u32_e32 vcc, 1, v31
	s_waitcnt lgkmcnt(0)
	v_and_b32_e32 v31, 1, v34
	v_cmp_eq_u32_e64 s[42:43], 1, v31
	s_or_b64 s[42:43], vcc, s[42:43]
	v_cndmask_b32_e64 v31, 0, 1, s[42:43]
	v_cndmask_b32_e64 v33, 0, 1, s[42:43]
	s_andn2_b64 s[60:61], s[60:61], exec
	s_and_b64 s[42:43], s[42:43], exec
	s_or_b64 s[60:61], s[60:61], s[42:43]
.LBB374_179:                            ;   in Loop: Header=BB374_164 Depth=1
	;; [unrolled: 30-line block ×3, first 2 shown]
	s_or_b64 exec, exec, s[68:69]
	s_waitcnt lgkmcnt(0)
	ds_bpermute_b32 v34, v28, v10
	ds_bpermute_b32 v35, v28, v11
	;; [unrolled: 1-line block ×3, first 2 shown]
	v_cmp_le_u32_e32 vcc, v29, v32
	s_and_saveexec_b64 s[68:69], vcc
	s_cbranch_execz .LBB374_163
; %bb.182:                              ;   in Loop: Header=BB374_164 Depth=1
	v_cmp_eq_u16_sdwa vcc, v31, v5 src0_sel:BYTE_0 src1_sel:DWORD
	s_waitcnt lgkmcnt(2)
	v_cndmask_b32_e32 v34, 0, v34, vcc
	s_waitcnt lgkmcnt(1)
	v_cndmask_b32_e32 v32, 0, v35, vcc
	v_add_co_u32_e32 v10, vcc, v34, v10
	v_addc_co_u32_e32 v11, vcc, v32, v11, vcc
	v_and_b32_e32 v31, 1, v31
	v_cmp_eq_u32_e32 vcc, 1, v31
	s_waitcnt lgkmcnt(0)
	v_and_b32_e32 v31, 1, v33
	v_cmp_eq_u32_e64 s[42:43], 1, v31
	s_or_b64 s[42:43], vcc, s[42:43]
	s_andn2_b64 s[60:61], s[60:61], exec
	s_and_b64 s[42:43], s[42:43], exec
	s_or_b64 s[60:61], s[60:61], s[42:43]
	s_branch .LBB374_163
.LBB374_183:                            ;   in Loop: Header=BB374_164 Depth=1
                                        ; implicit-def: $vgpr31
                                        ; implicit-def: $vgpr10_vgpr11
                                        ; implicit-def: $vgpr16
	s_cbranch_execz .LBB374_164
; %bb.184:
	s_and_saveexec_b64 s[42:43], s[38:39]
	s_cbranch_execz .LBB374_186
; %bb.185:
	v_mov_b32_e32 v4, 0
	s_mov_b32 s7, 0
	v_cmp_eq_u16_sdwa vcc, v15, v4 src0_sel:BYTE_0 src1_sel:DWORD
	s_add_i32 s6, s6, 64
	v_cndmask_b32_e32 v6, 0, v8, vcc
	s_lshl_b64 s[38:39], s[6:7], 4
	v_cndmask_b32_e32 v5, 0, v9, vcc
	v_add_co_u32_e32 v2, vcc, v6, v2
	s_add_u32 s38, s46, s38
	v_addc_co_u32_e32 v3, vcc, v5, v3, vcc
	v_or_b32_e32 v5, v15, v27
	s_addc_u32 s39, s47, s39
	v_and_b32_e32 v5, 1, v5
	global_store_dwordx2 v4, v[2:3], s[38:39]
	global_store_byte v4, v5, s[38:39] offset:8
	v_mov_b32_e32 v2, s6
	v_mov_b32_e32 v3, 2
	s_waitcnt vmcnt(0) lgkmcnt(0)
	buffer_wbinvl1_vol
	global_store_byte v2, v3, s[48:49]
.LBB374_186:
	s_or_b64 exec, exec, s[42:43]
	v_cmp_eq_u32_e32 vcc, 0, v0
	s_and_b64 exec, exec, vcc
	s_cbranch_execz .LBB374_188
; %bb.187:
	v_mov_b32_e32 v2, 0
	ds_write_b64 v2, v[8:9]
	ds_write_b8 v2, v27 offset:8
.LBB374_188:
	s_or_b64 exec, exec, s[56:57]
	v_mov_b32_e32 v4, 0
	s_waitcnt lgkmcnt(0)
	; wave barrier
	s_waitcnt lgkmcnt(0)
	ds_read_b64 v[2:3], v4
	v_cmp_eq_u32_sdwa vcc, v14, v4 src0_sel:BYTE_0 src1_sel:DWORD
	s_waitcnt lgkmcnt(0)
	v_cndmask_b32_e32 v6, 0, v2, vcc
	v_cndmask_b32_e32 v5, 0, v3, vcc
	v_add_co_u32_e32 v6, vcc, v12, v6
	v_addc_co_u32_e32 v5, vcc, v13, v5, vcc
	v_cmp_eq_u32_e32 vcc, 0, v0
	v_cndmask_b32_e32 v77, v5, v3, vcc
	v_cndmask_b32_e32 v76, v6, v2, vcc
	v_cmp_eq_u16_sdwa vcc, v1, v4 src0_sel:BYTE_0 src1_sel:DWORD
	v_cndmask_b32_e32 v3, 0, v76, vcc
	v_cndmask_b32_e32 v2, 0, v77, vcc
	v_add_co_u32_e32 v4, vcc, v3, v74
	v_addc_co_u32_e32 v5, vcc, v2, v75, vcc
	v_cndmask_b32_e64 v3, 0, v4, s[36:37]
	v_cndmask_b32_e64 v2, 0, v5, s[36:37]
	v_add_co_u32_e32 v6, vcc, v3, v38
	v_addc_co_u32_e32 v7, vcc, v2, v39, vcc
	v_cndmask_b32_e64 v3, 0, v6, s[34:35]
	v_cndmask_b32_e64 v2, 0, v7, s[34:35]
	;; [unrolled: 4-line block ×17, first 2 shown]
	s_branch .LBB374_209
.LBB374_189:
                                        ; implicit-def: $vgpr76_vgpr77
                                        ; implicit-def: $vgpr94_vgpr95
                                        ; implicit-def: $vgpr92_vgpr93
                                        ; implicit-def: $vgpr90_vgpr91
                                        ; implicit-def: $vgpr88_vgpr89
                                        ; implicit-def: $vgpr86_vgpr87
                                        ; implicit-def: $vgpr84_vgpr85
                                        ; implicit-def: $vgpr82_vgpr83
                                        ; implicit-def: $vgpr80_vgpr81
                                        ; implicit-def: $vgpr78_vgpr79
                                        ; implicit-def: $vgpr34_vgpr35_vgpr36_vgpr37
                                        ; implicit-def: $vgpr30_vgpr31_vgpr32_vgpr33
                                        ; implicit-def: $vgpr26_vgpr27_vgpr28_vgpr29
                                        ; implicit-def: $vgpr22_vgpr23_vgpr24_vgpr25
                                        ; implicit-def: $vgpr18_vgpr19_vgpr20_vgpr21
                                        ; implicit-def: $vgpr14_vgpr15_vgpr16_vgpr17
                                        ; implicit-def: $vgpr10_vgpr11_vgpr12_vgpr13
                                        ; implicit-def: $vgpr6_vgpr7_vgpr8_vgpr9
                                        ; implicit-def: $vgpr2_vgpr3_vgpr4_vgpr5
	s_cbranch_execz .LBB374_209
; %bb.190:
	s_cmp_lg_u64 s[66:67], 0
	s_cselect_b32 s3, s63, 0
	s_cselect_b32 s2, s62, 0
	s_cmp_eq_u64 s[2:3], 0
	v_pk_mov_b32 v[2:3], s[64:65], s[64:65] op_sel:[0,1]
	s_cbranch_scc1 .LBB374_192
; %bb.191:
	v_mov_b32_e32 v2, 0
	global_load_dwordx2 v[2:3], v2, s[2:3]
.LBB374_192:
	v_mov_b32_e32 v4, 0
	v_cmp_eq_u16_sdwa s[34:35], v96, v4 src0_sel:BYTE_0 src1_sel:DWORD
	v_cndmask_b32_e64 v6, 0, v74, s[34:35]
	v_cndmask_b32_e64 v5, 0, v75, s[34:35]
	v_add_co_u32_e32 v6, vcc, v6, v38
	v_cmp_eq_u16_sdwa s[30:31], v97, v4 src0_sel:BYTE_0 src1_sel:DWORD
	v_addc_co_u32_e32 v5, vcc, v5, v39, vcc
	v_cndmask_b32_e64 v6, 0, v6, s[30:31]
	v_cndmask_b32_e64 v5, 0, v5, s[30:31]
	v_add_co_u32_e32 v6, vcc, v6, v46
	v_cmp_eq_u16_sdwa s[28:29], v98, v4 src0_sel:BYTE_0 src1_sel:DWORD
	v_addc_co_u32_e32 v5, vcc, v5, v47, vcc
	;; [unrolled: 5-line block ×15, first 2 shown]
	v_cndmask_b32_e64 v6, 0, v6, s[2:3]
	v_cndmask_b32_e64 v5, 0, v5, s[2:3]
	v_add_co_u32_e32 v6, vcc, v6, v72
	v_addc_co_u32_e32 v5, vcc, v5, v73, vcc
	v_cmp_eq_u16_sdwa vcc, v99, v4 src0_sel:BYTE_0 src1_sel:DWORD
	v_cndmask_b32_e32 v6, 0, v6, vcc
	v_cndmask_b32_e32 v5, 0, v5, vcc
	v_add_co_u32_e64 v6, s[36:37], v6, v42
	v_addc_co_u32_e64 v5, s[36:37], v5, v43, s[36:37]
	v_cmp_eq_u16_sdwa s[36:37], v114, v4 src0_sel:BYTE_0 src1_sel:DWORD
	v_cndmask_b32_e64 v4, 0, v6, s[36:37]
	v_or_b32_e32 v6, v116, v111
	v_or_b32_e32 v6, v6, v110
	;; [unrolled: 1-line block ×16, first 2 shown]
	v_cndmask_b32_e64 v5, 0, v5, s[36:37]
	v_add_co_u32_e64 v4, s[36:37], v4, v40
	v_and_b32_e32 v7, 1, v6
	v_mbcnt_hi_u32_b32 v6, -1, v115
	v_addc_co_u32_e64 v5, s[36:37], v5, v41, s[36:37]
	v_and_b32_e32 v9, 15, v6
	v_cmp_eq_u32_e64 s[36:37], 1, v7
	v_mov_b32_dpp v11, v4 row_shr:1 row_mask:0xf bank_mask:0xf
	v_mov_b32_dpp v12, v5 row_shr:1 row_mask:0xf bank_mask:0xf
	;; [unrolled: 1-line block ×3, first 2 shown]
	v_cmp_ne_u32_e64 s[38:39], 0, v9
	v_mov_b32_e32 v8, v7
	s_and_saveexec_b64 s[40:41], s[38:39]
; %bb.193:
	v_cndmask_b32_e64 v11, v11, 0, s[36:37]
	v_cndmask_b32_e64 v8, v12, 0, s[36:37]
	v_add_co_u32_e64 v4, s[36:37], v11, v4
	v_addc_co_u32_e64 v5, s[36:37], v8, v5, s[36:37]
	v_and_b32_e32 v8, 1, v10
	v_or_b32_e32 v7, v8, v7
	v_and_b32_e32 v8, 0xffff, v7
; %bb.194:
	s_or_b64 exec, exec, s[40:41]
	v_mov_b32_dpp v11, v4 row_shr:2 row_mask:0xf bank_mask:0xf
	v_mov_b32_dpp v12, v5 row_shr:2 row_mask:0xf bank_mask:0xf
	v_mov_b32_dpp v10, v8 row_shr:2 row_mask:0xf bank_mask:0xf
	v_cmp_lt_u32_e64 s[36:37], 1, v9
	s_and_saveexec_b64 s[40:41], s[36:37]
	s_cbranch_execz .LBB374_196
; %bb.195:
	v_cmp_eq_u16_e64 s[36:37], 0, v7
	v_cndmask_b32_e64 v11, 0, v11, s[36:37]
	v_cndmask_b32_e64 v8, 0, v12, s[36:37]
	v_add_co_u32_e64 v4, s[36:37], v11, v4
	v_addc_co_u32_e64 v5, s[36:37], v8, v5, s[36:37]
	v_and_b32_e32 v7, 1, v7
	v_cmp_eq_u32_e64 s[36:37], 1, v7
	v_and_b32_e32 v7, 1, v10
	v_cmp_eq_u32_e64 s[38:39], 1, v7
	s_or_b64 s[36:37], s[36:37], s[38:39]
	v_cndmask_b32_e64 v7, 0, 1, s[36:37]
	v_cndmask_b32_e64 v8, 0, 1, s[36:37]
.LBB374_196:
	s_or_b64 exec, exec, s[40:41]
	v_mov_b32_dpp v11, v4 row_shr:4 row_mask:0xf bank_mask:0xf
	v_mov_b32_dpp v12, v5 row_shr:4 row_mask:0xf bank_mask:0xf
	v_mov_b32_dpp v10, v8 row_shr:4 row_mask:0xf bank_mask:0xf
	v_cmp_lt_u32_e64 s[36:37], 3, v9
	s_and_saveexec_b64 s[40:41], s[36:37]
	s_cbranch_execz .LBB374_198
; %bb.197:
	v_cmp_eq_u16_e64 s[36:37], 0, v7
	v_cndmask_b32_e64 v11, 0, v11, s[36:37]
	v_cndmask_b32_e64 v8, 0, v12, s[36:37]
	v_add_co_u32_e64 v4, s[36:37], v11, v4
	v_addc_co_u32_e64 v5, s[36:37], v8, v5, s[36:37]
	v_and_b32_e32 v7, 1, v7
	v_cmp_eq_u32_e64 s[36:37], 1, v7
	v_and_b32_e32 v7, 1, v10
	v_cmp_eq_u32_e64 s[38:39], 1, v7
	s_or_b64 s[36:37], s[36:37], s[38:39]
	v_cndmask_b32_e64 v7, 0, 1, s[36:37]
	v_cndmask_b32_e64 v8, 0, 1, s[36:37]
.LBB374_198:
	s_or_b64 exec, exec, s[40:41]
	v_mov_b32_dpp v11, v4 row_shr:8 row_mask:0xf bank_mask:0xf
	v_mov_b32_dpp v12, v5 row_shr:8 row_mask:0xf bank_mask:0xf
	v_mov_b32_dpp v10, v8 row_shr:8 row_mask:0xf bank_mask:0xf
	v_cmp_lt_u32_e64 s[36:37], 7, v9
	s_and_saveexec_b64 s[40:41], s[36:37]
	s_cbranch_execz .LBB374_200
; %bb.199:
	v_cmp_eq_u16_e64 s[36:37], 0, v7
	v_cndmask_b32_e64 v9, 0, v11, s[36:37]
	v_cndmask_b32_e64 v8, 0, v12, s[36:37]
	v_add_co_u32_e64 v4, s[36:37], v9, v4
	v_addc_co_u32_e64 v5, s[36:37], v8, v5, s[36:37]
	v_and_b32_e32 v7, 1, v7
	v_cmp_eq_u32_e64 s[36:37], 1, v7
	v_and_b32_e32 v7, 1, v10
	v_cmp_eq_u32_e64 s[38:39], 1, v7
	s_or_b64 s[36:37], s[36:37], s[38:39]
	v_cndmask_b32_e64 v7, 0, 1, s[36:37]
	v_cndmask_b32_e64 v8, 0, 1, s[36:37]
.LBB374_200:
	s_or_b64 exec, exec, s[40:41]
	v_and_b32_e32 v12, 16, v6
	v_mov_b32_dpp v10, v4 row_bcast:15 row_mask:0xf bank_mask:0xf
	v_mov_b32_dpp v11, v5 row_bcast:15 row_mask:0xf bank_mask:0xf
	;; [unrolled: 1-line block ×3, first 2 shown]
	v_cmp_ne_u32_e64 s[36:37], 0, v12
	s_and_saveexec_b64 s[40:41], s[36:37]
	s_cbranch_execz .LBB374_202
; %bb.201:
	v_cmp_eq_u16_e64 s[36:37], 0, v7
	v_cndmask_b32_e64 v10, 0, v10, s[36:37]
	v_cndmask_b32_e64 v8, 0, v11, s[36:37]
	v_add_co_u32_e64 v4, s[36:37], v10, v4
	v_addc_co_u32_e64 v5, s[36:37], v8, v5, s[36:37]
	v_and_b32_e32 v7, 1, v7
	v_cmp_eq_u32_e64 s[36:37], 1, v7
	v_and_b32_e32 v7, 1, v9
	v_cmp_eq_u32_e64 s[38:39], 1, v7
	s_or_b64 s[36:37], s[36:37], s[38:39]
	v_cndmask_b32_e64 v7, 0, 1, s[36:37]
	v_cndmask_b32_e64 v8, 0, 1, s[36:37]
.LBB374_202:
	s_or_b64 exec, exec, s[40:41]
	v_mov_b32_dpp v9, v4 row_bcast:31 row_mask:0xf bank_mask:0xf
	v_mov_b32_dpp v10, v5 row_bcast:31 row_mask:0xf bank_mask:0xf
	;; [unrolled: 1-line block ×3, first 2 shown]
	v_cmp_lt_u32_e64 s[36:37], 31, v6
	s_and_saveexec_b64 s[40:41], s[36:37]
; %bb.203:
	v_cmp_eq_u16_e64 s[36:37], 0, v7
	v_cndmask_b32_e64 v9, 0, v9, s[36:37]
	v_cndmask_b32_e64 v10, 0, v10, s[36:37]
	v_add_co_u32_e64 v4, s[36:37], v9, v4
	v_addc_co_u32_e64 v5, s[36:37], v10, v5, s[36:37]
	v_and_b32_e32 v7, 1, v7
	v_cmp_eq_u32_e64 s[36:37], 1, v7
	v_and_b32_e32 v7, 1, v8
	v_cmp_eq_u32_e64 s[38:39], 1, v7
	s_or_b64 s[36:37], s[36:37], s[38:39]
	v_cndmask_b32_e64 v7, 0, 1, s[36:37]
; %bb.204:
	s_or_b64 exec, exec, s[40:41]
	v_cmp_eq_u32_e64 s[36:37], 63, v0
	s_and_saveexec_b64 s[38:39], s[36:37]
	s_cbranch_execz .LBB374_206
; %bb.205:
	v_mov_b32_e32 v8, 0
	ds_write_b64 v8, v[4:5]
	ds_write_b8 v8, v7 offset:8
.LBB374_206:
	s_or_b64 exec, exec, s[38:39]
	v_cmp_eq_u16_e64 s[36:37], 0, v7
	s_waitcnt vmcnt(0)
	v_cndmask_b32_e64 v8, 0, v2, s[36:37]
	v_cndmask_b32_e64 v7, 0, v3, s[36:37]
	v_add_co_u32_e64 v4, s[36:37], v8, v4
	v_addc_co_u32_e64 v5, s[36:37], v7, v5, s[36:37]
	v_add_u32_e32 v7, -1, v6
	v_and_b32_e32 v8, 64, v6
	v_cmp_lt_i32_e64 s[36:37], v7, v8
	v_cndmask_b32_e64 v7, v7, v6, s[36:37]
	v_lshlrev_b32_e32 v7, 2, v7
	ds_bpermute_b32 v5, v7, v5
	ds_bpermute_b32 v4, v7, v4
	v_cmp_eq_u32_e64 s[38:39], 0, v6
	v_cmp_eq_u32_e64 s[36:37], 0, v0
	s_or_b64 s[38:39], s[36:37], s[38:39]
	v_mov_b32_e32 v8, 0
	s_waitcnt lgkmcnt(1)
	v_cndmask_b32_e64 v77, v5, v3, s[38:39]
	s_waitcnt lgkmcnt(0)
	v_cndmask_b32_e64 v76, v4, v2, s[38:39]
	v_cmp_eq_u16_sdwa s[38:39], v1, v8 src0_sel:BYTE_0 src1_sel:DWORD
	v_cndmask_b32_e64 v4, 0, v76, s[38:39]
	v_cndmask_b32_e64 v1, 0, v77, s[38:39]
	v_add_co_u32_e64 v4, s[38:39], v4, v74
	v_addc_co_u32_e64 v5, s[38:39], v1, v75, s[38:39]
	v_cndmask_b32_e64 v6, 0, v4, s[34:35]
	v_cndmask_b32_e64 v1, 0, v5, s[34:35]
	v_add_co_u32_e64 v6, s[34:35], v6, v38
	v_addc_co_u32_e64 v7, s[34:35], v1, v39, s[34:35]
	;; [unrolled: 4-line block ×17, first 2 shown]
	v_cndmask_b32_e32 v95, 0, v93, vcc
	v_cndmask_b32_e32 v94, 0, v92, vcc
	s_waitcnt lgkmcnt(0)
	; wave barrier
	s_and_saveexec_b64 s[2:3], s[36:37]
	s_cbranch_execz .LBB374_208
; %bb.207:
	ds_read_u8 v1, v8 offset:8
	ds_read_b64 v[12:13], v8
	v_pk_mov_b32 v[76:77], v[2:3], v[2:3] op_sel:[0,1]
	s_waitcnt lgkmcnt(1)
	v_cmp_eq_u16_e32 vcc, 0, v1
	v_cndmask_b32_e32 v16, 0, v2, vcc
	v_cndmask_b32_e32 v9, 0, v3, vcc
	s_waitcnt lgkmcnt(0)
	v_add_co_u32_e32 v12, vcc, v16, v12
	v_addc_co_u32_e32 v13, vcc, v9, v13, vcc
	global_store_dwordx2 v8, v[12:13], s[46:47] offset:1024
	global_store_byte v8, v1, s[46:47] offset:1032
	v_mov_b32_e32 v1, 2
	s_waitcnt vmcnt(0)
	buffer_wbinvl1_vol
	global_store_byte v8, v1, s[48:49] offset:64
.LBB374_208:
	s_or_b64 exec, exec, s[2:3]
.LBB374_209:
	s_add_u32 s2, s58, s54
	s_addc_u32 s3, s59, s55
	v_add_co_u32_e32 v2, vcc, v94, v42
	v_addc_co_u32_e32 v3, vcc, v95, v43, vcc
	s_add_u32 s4, s2, s52
	s_addc_u32 s5, s3, s53
	s_and_b64 vcc, exec, s[0:1]
	s_cbranch_vccz .LBB374_247
; %bb.210:
	s_movk_i32 s0, 0x98
	v_mul_i32_i24_e32 v13, 0xffffff70, v0
	v_mul_u32_u24_e32 v12, 0x98, v0
	v_mad_u32_u24 v8, v0, s0, v13
	s_waitcnt lgkmcnt(0)
	; wave barrier
	ds_write2_b64 v12, v[76:77], v[4:5] offset1:1
	ds_write2_b64 v12, v[6:7], v[78:79] offset0:2 offset1:3
	ds_write2_b64 v12, v[10:11], v[80:81] offset0:4 offset1:5
	;; [unrolled: 1-line block ×8, first 2 shown]
	ds_write_b64 v12, v[2:3] offset:144
	s_waitcnt lgkmcnt(0)
	; wave barrier
	s_waitcnt lgkmcnt(0)
	ds_read2st64_b64 v[68:71], v8 offset0:1 offset1:2
	ds_read2st64_b64 v[64:67], v8 offset0:3 offset1:4
	;; [unrolled: 1-line block ×9, first 2 shown]
	v_mov_b32_e32 v9, s5
	v_add_co_u32_e32 v8, vcc, s4, v113
	s_add_i32 s33, s33, s50
	v_addc_co_u32_e32 v9, vcc, 0, v9, vcc
	v_mov_b32_e32 v1, 0
	v_cmp_gt_u32_e32 vcc, s33, v0
	s_and_saveexec_b64 s[0:1], vcc
	s_cbranch_execz .LBB374_212
; %bb.211:
	v_add_u32_e32 v12, v12, v13
	ds_read_b64 v[12:13], v12
	s_waitcnt lgkmcnt(0)
	flat_store_dwordx2 v[8:9], v[12:13]
.LBB374_212:
	s_or_b64 exec, exec, s[0:1]
	v_or_b32_e32 v12, 64, v0
	v_cmp_gt_u32_e32 vcc, s33, v12
	s_and_saveexec_b64 s[0:1], vcc
	s_cbranch_execz .LBB374_214
; %bb.213:
	s_waitcnt lgkmcnt(0)
	flat_store_dwordx2 v[8:9], v[68:69] offset:512
.LBB374_214:
	s_or_b64 exec, exec, s[0:1]
	v_or_b32_e32 v12, 0x80, v0
	v_cmp_gt_u32_e32 vcc, s33, v12
	s_and_saveexec_b64 s[0:1], vcc
	s_cbranch_execz .LBB374_216
; %bb.215:
	s_waitcnt lgkmcnt(0)
	flat_store_dwordx2 v[8:9], v[70:71] offset:1024
.LBB374_216:
	;; [unrolled: 9-line block ×7, first 2 shown]
	s_or_b64 exec, exec, s[0:1]
	v_or_b32_e32 v12, 0x200, v0
	v_cmp_gt_u32_e32 vcc, s33, v12
	s_and_saveexec_b64 s[0:1], vcc
	s_cbranch_execz .LBB374_228
; %bb.227:
	v_add_co_u32_e32 v12, vcc, 0x1000, v8
	v_addc_co_u32_e32 v13, vcc, 0, v9, vcc
	s_waitcnt lgkmcnt(0)
	flat_store_dwordx2 v[12:13], v[58:59]
.LBB374_228:
	s_or_b64 exec, exec, s[0:1]
	v_or_b32_e32 v12, 0x240, v0
	v_cmp_gt_u32_e32 vcc, s33, v12
	s_and_saveexec_b64 s[0:1], vcc
	s_cbranch_execz .LBB374_230
; %bb.229:
	v_add_co_u32_e32 v12, vcc, 0x1000, v8
	v_addc_co_u32_e32 v13, vcc, 0, v9, vcc
	s_waitcnt lgkmcnt(0)
	flat_store_dwordx2 v[12:13], v[52:53] offset:512
.LBB374_230:
	s_or_b64 exec, exec, s[0:1]
	v_or_b32_e32 v12, 0x280, v0
	v_cmp_gt_u32_e32 vcc, s33, v12
	s_and_saveexec_b64 s[0:1], vcc
	s_cbranch_execz .LBB374_232
; %bb.231:
	v_add_co_u32_e32 v12, vcc, 0x1000, v8
	v_addc_co_u32_e32 v13, vcc, 0, v9, vcc
	s_waitcnt lgkmcnt(0)
	flat_store_dwordx2 v[12:13], v[54:55] offset:1024
.LBB374_232:
	;; [unrolled: 11-line block ×7, first 2 shown]
	s_or_b64 exec, exec, s[0:1]
	v_or_b32_e32 v12, 0x400, v0
	v_cmp_gt_u32_e32 vcc, s33, v12
	s_and_saveexec_b64 s[0:1], vcc
	s_cbranch_execz .LBB374_244
; %bb.243:
	v_add_co_u32_e32 v12, vcc, 0x2000, v8
	v_addc_co_u32_e32 v13, vcc, 0, v9, vcc
	s_waitcnt lgkmcnt(0)
	flat_store_dwordx2 v[12:13], v[42:43]
.LBB374_244:
	s_or_b64 exec, exec, s[0:1]
	v_or_b32_e32 v12, 0x440, v0
	v_cmp_gt_u32_e32 vcc, s33, v12
	s_and_saveexec_b64 s[0:1], vcc
	s_cbranch_execz .LBB374_246
; %bb.245:
	v_add_co_u32_e32 v8, vcc, 0x2000, v8
	v_addc_co_u32_e32 v9, vcc, 0, v9, vcc
	s_waitcnt lgkmcnt(0)
	flat_store_dwordx2 v[8:9], v[36:37] offset:512
.LBB374_246:
	s_or_b64 exec, exec, s[0:1]
	v_or_b32_e32 v8, 0x480, v0
	v_cmp_gt_u32_e64 s[0:1], s33, v8
	s_branch .LBB374_249
.LBB374_247:
	s_mov_b64 s[0:1], 0
                                        ; implicit-def: $vgpr38_vgpr39
	s_cbranch_execz .LBB374_249
; %bb.248:
	v_mul_u32_u24_e32 v1, 0x98, v0
	s_waitcnt lgkmcnt(0)
	; wave barrier
	s_waitcnt lgkmcnt(0)
	s_movk_i32 s2, 0x98
	ds_write2_b64 v1, v[76:77], v[4:5] offset1:1
	ds_write2_b64 v1, v[6:7], v[78:79] offset0:2 offset1:3
	ds_write2_b64 v1, v[10:11], v[80:81] offset0:4 offset1:5
	;; [unrolled: 1-line block ×8, first 2 shown]
	ds_write_b64 v1, v[2:3] offset:144
	v_mul_i32_i24_e32 v2, 0xffffff70, v0
	v_mad_u32_u24 v38, v0, s2, v2
	v_mov_b32_e32 v41, s5
	v_add_co_u32_e32 v40, vcc, s4, v113
	s_waitcnt lgkmcnt(0)
	; wave barrier
	s_waitcnt lgkmcnt(0)
	ds_read2st64_b64 v[2:5], v38 offset1:1
	ds_read2st64_b64 v[6:9], v38 offset0:2 offset1:3
	ds_read2st64_b64 v[10:13], v38 offset0:4 offset1:5
	;; [unrolled: 1-line block ×8, first 2 shown]
	ds_read_b64 v[38:39], v38 offset:9216
	v_addc_co_u32_e32 v41, vcc, 0, v41, vcc
	s_movk_i32 s2, 0x1000
	s_waitcnt lgkmcnt(0)
	flat_store_dwordx2 v[40:41], v[2:3]
	flat_store_dwordx2 v[40:41], v[4:5] offset:512
	flat_store_dwordx2 v[40:41], v[6:7] offset:1024
	;; [unrolled: 1-line block ×7, first 2 shown]
	v_add_co_u32_e32 v2, vcc, s2, v40
	v_addc_co_u32_e32 v3, vcc, 0, v41, vcc
	flat_store_dwordx2 v[2:3], v[18:19]
	flat_store_dwordx2 v[2:3], v[20:21] offset:512
	flat_store_dwordx2 v[2:3], v[22:23] offset:1024
	;; [unrolled: 1-line block ×7, first 2 shown]
	v_add_co_u32_e32 v2, vcc, 0x2000, v40
	v_mov_b32_e32 v1, 0
	v_addc_co_u32_e32 v3, vcc, 0, v41, vcc
	s_or_b64 s[0:1], s[0:1], exec
	flat_store_dwordx2 v[2:3], v[34:35]
	flat_store_dwordx2 v[2:3], v[36:37] offset:512
.LBB374_249:
	s_and_saveexec_b64 s[2:3], s[0:1]
	s_cbranch_execz .LBB374_251
; %bb.250:
	v_lshlrev_b64 v[0:1], 3, v[0:1]
	v_mov_b32_e32 v2, s5
	v_add_co_u32_e32 v0, vcc, s4, v0
	v_addc_co_u32_e32 v1, vcc, v2, v1, vcc
	v_add_co_u32_e32 v0, vcc, 0x2000, v0
	v_addc_co_u32_e32 v1, vcc, 0, v1, vcc
	s_waitcnt lgkmcnt(0)
	flat_store_dwordx2 v[0:1], v[38:39] offset:1024
	s_endpgm
.LBB374_251:
	s_endpgm
	.section	.rodata,"a",@progbits
	.p2align	6, 0x0
	.amdhsa_kernel _ZN7rocprim17ROCPRIM_400000_NS6detail17trampoline_kernelINS0_14default_configENS1_27scan_by_key_config_selectorIxxEEZZNS1_16scan_by_key_implILNS1_25lookback_scan_determinismE0ELb1ES3_N6thrust23THRUST_200600_302600_NS6detail15normal_iteratorINS9_10device_ptrIxEEEESE_SE_xNS9_4plusIvEENS9_8equal_toIvEExEE10hipError_tPvRmT2_T3_T4_T5_mT6_T7_P12ihipStream_tbENKUlT_T0_E_clISt17integral_constantIbLb1EESY_IbLb0EEEEDaSU_SV_EUlSU_E_NS1_11comp_targetILNS1_3genE4ELNS1_11target_archE910ELNS1_3gpuE8ELNS1_3repE0EEENS1_30default_config_static_selectorELNS0_4arch9wavefront6targetE1EEEvT1_
		.amdhsa_group_segment_fixed_size 10752
		.amdhsa_private_segment_fixed_size 0
		.amdhsa_kernarg_size 136
		.amdhsa_user_sgpr_count 6
		.amdhsa_user_sgpr_private_segment_buffer 1
		.amdhsa_user_sgpr_dispatch_ptr 0
		.amdhsa_user_sgpr_queue_ptr 0
		.amdhsa_user_sgpr_kernarg_segment_ptr 1
		.amdhsa_user_sgpr_dispatch_id 0
		.amdhsa_user_sgpr_flat_scratch_init 0
		.amdhsa_user_sgpr_kernarg_preload_length 0
		.amdhsa_user_sgpr_kernarg_preload_offset 0
		.amdhsa_user_sgpr_private_segment_size 0
		.amdhsa_uses_dynamic_stack 0
		.amdhsa_system_sgpr_private_segment_wavefront_offset 0
		.amdhsa_system_sgpr_workgroup_id_x 1
		.amdhsa_system_sgpr_workgroup_id_y 0
		.amdhsa_system_sgpr_workgroup_id_z 0
		.amdhsa_system_sgpr_workgroup_info 0
		.amdhsa_system_vgpr_workitem_id 0
		.amdhsa_next_free_vgpr 117
		.amdhsa_next_free_sgpr 73
		.amdhsa_accum_offset 120
		.amdhsa_reserve_vcc 1
		.amdhsa_reserve_flat_scratch 0
		.amdhsa_float_round_mode_32 0
		.amdhsa_float_round_mode_16_64 0
		.amdhsa_float_denorm_mode_32 3
		.amdhsa_float_denorm_mode_16_64 3
		.amdhsa_dx10_clamp 1
		.amdhsa_ieee_mode 1
		.amdhsa_fp16_overflow 0
		.amdhsa_tg_split 0
		.amdhsa_exception_fp_ieee_invalid_op 0
		.amdhsa_exception_fp_denorm_src 0
		.amdhsa_exception_fp_ieee_div_zero 0
		.amdhsa_exception_fp_ieee_overflow 0
		.amdhsa_exception_fp_ieee_underflow 0
		.amdhsa_exception_fp_ieee_inexact 0
		.amdhsa_exception_int_div_zero 0
	.end_amdhsa_kernel
	.section	.text._ZN7rocprim17ROCPRIM_400000_NS6detail17trampoline_kernelINS0_14default_configENS1_27scan_by_key_config_selectorIxxEEZZNS1_16scan_by_key_implILNS1_25lookback_scan_determinismE0ELb1ES3_N6thrust23THRUST_200600_302600_NS6detail15normal_iteratorINS9_10device_ptrIxEEEESE_SE_xNS9_4plusIvEENS9_8equal_toIvEExEE10hipError_tPvRmT2_T3_T4_T5_mT6_T7_P12ihipStream_tbENKUlT_T0_E_clISt17integral_constantIbLb1EESY_IbLb0EEEEDaSU_SV_EUlSU_E_NS1_11comp_targetILNS1_3genE4ELNS1_11target_archE910ELNS1_3gpuE8ELNS1_3repE0EEENS1_30default_config_static_selectorELNS0_4arch9wavefront6targetE1EEEvT1_,"axG",@progbits,_ZN7rocprim17ROCPRIM_400000_NS6detail17trampoline_kernelINS0_14default_configENS1_27scan_by_key_config_selectorIxxEEZZNS1_16scan_by_key_implILNS1_25lookback_scan_determinismE0ELb1ES3_N6thrust23THRUST_200600_302600_NS6detail15normal_iteratorINS9_10device_ptrIxEEEESE_SE_xNS9_4plusIvEENS9_8equal_toIvEExEE10hipError_tPvRmT2_T3_T4_T5_mT6_T7_P12ihipStream_tbENKUlT_T0_E_clISt17integral_constantIbLb1EESY_IbLb0EEEEDaSU_SV_EUlSU_E_NS1_11comp_targetILNS1_3genE4ELNS1_11target_archE910ELNS1_3gpuE8ELNS1_3repE0EEENS1_30default_config_static_selectorELNS0_4arch9wavefront6targetE1EEEvT1_,comdat
.Lfunc_end374:
	.size	_ZN7rocprim17ROCPRIM_400000_NS6detail17trampoline_kernelINS0_14default_configENS1_27scan_by_key_config_selectorIxxEEZZNS1_16scan_by_key_implILNS1_25lookback_scan_determinismE0ELb1ES3_N6thrust23THRUST_200600_302600_NS6detail15normal_iteratorINS9_10device_ptrIxEEEESE_SE_xNS9_4plusIvEENS9_8equal_toIvEExEE10hipError_tPvRmT2_T3_T4_T5_mT6_T7_P12ihipStream_tbENKUlT_T0_E_clISt17integral_constantIbLb1EESY_IbLb0EEEEDaSU_SV_EUlSU_E_NS1_11comp_targetILNS1_3genE4ELNS1_11target_archE910ELNS1_3gpuE8ELNS1_3repE0EEENS1_30default_config_static_selectorELNS0_4arch9wavefront6targetE1EEEvT1_, .Lfunc_end374-_ZN7rocprim17ROCPRIM_400000_NS6detail17trampoline_kernelINS0_14default_configENS1_27scan_by_key_config_selectorIxxEEZZNS1_16scan_by_key_implILNS1_25lookback_scan_determinismE0ELb1ES3_N6thrust23THRUST_200600_302600_NS6detail15normal_iteratorINS9_10device_ptrIxEEEESE_SE_xNS9_4plusIvEENS9_8equal_toIvEExEE10hipError_tPvRmT2_T3_T4_T5_mT6_T7_P12ihipStream_tbENKUlT_T0_E_clISt17integral_constantIbLb1EESY_IbLb0EEEEDaSU_SV_EUlSU_E_NS1_11comp_targetILNS1_3genE4ELNS1_11target_archE910ELNS1_3gpuE8ELNS1_3repE0EEENS1_30default_config_static_selectorELNS0_4arch9wavefront6targetE1EEEvT1_
                                        ; -- End function
	.section	.AMDGPU.csdata,"",@progbits
; Kernel info:
; codeLenInByte = 15688
; NumSgprs: 77
; NumVgprs: 117
; NumAgprs: 0
; TotalNumVgprs: 117
; ScratchSize: 0
; MemoryBound: 0
; FloatMode: 240
; IeeeMode: 1
; LDSByteSize: 10752 bytes/workgroup (compile time only)
; SGPRBlocks: 9
; VGPRBlocks: 14
; NumSGPRsForWavesPerEU: 77
; NumVGPRsForWavesPerEU: 117
; AccumOffset: 120
; Occupancy: 2
; WaveLimiterHint : 1
; COMPUTE_PGM_RSRC2:SCRATCH_EN: 0
; COMPUTE_PGM_RSRC2:USER_SGPR: 6
; COMPUTE_PGM_RSRC2:TRAP_HANDLER: 0
; COMPUTE_PGM_RSRC2:TGID_X_EN: 1
; COMPUTE_PGM_RSRC2:TGID_Y_EN: 0
; COMPUTE_PGM_RSRC2:TGID_Z_EN: 0
; COMPUTE_PGM_RSRC2:TIDIG_COMP_CNT: 0
; COMPUTE_PGM_RSRC3_GFX90A:ACCUM_OFFSET: 29
; COMPUTE_PGM_RSRC3_GFX90A:TG_SPLIT: 0
	.section	.text._ZN7rocprim17ROCPRIM_400000_NS6detail17trampoline_kernelINS0_14default_configENS1_27scan_by_key_config_selectorIxxEEZZNS1_16scan_by_key_implILNS1_25lookback_scan_determinismE0ELb1ES3_N6thrust23THRUST_200600_302600_NS6detail15normal_iteratorINS9_10device_ptrIxEEEESE_SE_xNS9_4plusIvEENS9_8equal_toIvEExEE10hipError_tPvRmT2_T3_T4_T5_mT6_T7_P12ihipStream_tbENKUlT_T0_E_clISt17integral_constantIbLb1EESY_IbLb0EEEEDaSU_SV_EUlSU_E_NS1_11comp_targetILNS1_3genE3ELNS1_11target_archE908ELNS1_3gpuE7ELNS1_3repE0EEENS1_30default_config_static_selectorELNS0_4arch9wavefront6targetE1EEEvT1_,"axG",@progbits,_ZN7rocprim17ROCPRIM_400000_NS6detail17trampoline_kernelINS0_14default_configENS1_27scan_by_key_config_selectorIxxEEZZNS1_16scan_by_key_implILNS1_25lookback_scan_determinismE0ELb1ES3_N6thrust23THRUST_200600_302600_NS6detail15normal_iteratorINS9_10device_ptrIxEEEESE_SE_xNS9_4plusIvEENS9_8equal_toIvEExEE10hipError_tPvRmT2_T3_T4_T5_mT6_T7_P12ihipStream_tbENKUlT_T0_E_clISt17integral_constantIbLb1EESY_IbLb0EEEEDaSU_SV_EUlSU_E_NS1_11comp_targetILNS1_3genE3ELNS1_11target_archE908ELNS1_3gpuE7ELNS1_3repE0EEENS1_30default_config_static_selectorELNS0_4arch9wavefront6targetE1EEEvT1_,comdat
	.protected	_ZN7rocprim17ROCPRIM_400000_NS6detail17trampoline_kernelINS0_14default_configENS1_27scan_by_key_config_selectorIxxEEZZNS1_16scan_by_key_implILNS1_25lookback_scan_determinismE0ELb1ES3_N6thrust23THRUST_200600_302600_NS6detail15normal_iteratorINS9_10device_ptrIxEEEESE_SE_xNS9_4plusIvEENS9_8equal_toIvEExEE10hipError_tPvRmT2_T3_T4_T5_mT6_T7_P12ihipStream_tbENKUlT_T0_E_clISt17integral_constantIbLb1EESY_IbLb0EEEEDaSU_SV_EUlSU_E_NS1_11comp_targetILNS1_3genE3ELNS1_11target_archE908ELNS1_3gpuE7ELNS1_3repE0EEENS1_30default_config_static_selectorELNS0_4arch9wavefront6targetE1EEEvT1_ ; -- Begin function _ZN7rocprim17ROCPRIM_400000_NS6detail17trampoline_kernelINS0_14default_configENS1_27scan_by_key_config_selectorIxxEEZZNS1_16scan_by_key_implILNS1_25lookback_scan_determinismE0ELb1ES3_N6thrust23THRUST_200600_302600_NS6detail15normal_iteratorINS9_10device_ptrIxEEEESE_SE_xNS9_4plusIvEENS9_8equal_toIvEExEE10hipError_tPvRmT2_T3_T4_T5_mT6_T7_P12ihipStream_tbENKUlT_T0_E_clISt17integral_constantIbLb1EESY_IbLb0EEEEDaSU_SV_EUlSU_E_NS1_11comp_targetILNS1_3genE3ELNS1_11target_archE908ELNS1_3gpuE7ELNS1_3repE0EEENS1_30default_config_static_selectorELNS0_4arch9wavefront6targetE1EEEvT1_
	.globl	_ZN7rocprim17ROCPRIM_400000_NS6detail17trampoline_kernelINS0_14default_configENS1_27scan_by_key_config_selectorIxxEEZZNS1_16scan_by_key_implILNS1_25lookback_scan_determinismE0ELb1ES3_N6thrust23THRUST_200600_302600_NS6detail15normal_iteratorINS9_10device_ptrIxEEEESE_SE_xNS9_4plusIvEENS9_8equal_toIvEExEE10hipError_tPvRmT2_T3_T4_T5_mT6_T7_P12ihipStream_tbENKUlT_T0_E_clISt17integral_constantIbLb1EESY_IbLb0EEEEDaSU_SV_EUlSU_E_NS1_11comp_targetILNS1_3genE3ELNS1_11target_archE908ELNS1_3gpuE7ELNS1_3repE0EEENS1_30default_config_static_selectorELNS0_4arch9wavefront6targetE1EEEvT1_
	.p2align	8
	.type	_ZN7rocprim17ROCPRIM_400000_NS6detail17trampoline_kernelINS0_14default_configENS1_27scan_by_key_config_selectorIxxEEZZNS1_16scan_by_key_implILNS1_25lookback_scan_determinismE0ELb1ES3_N6thrust23THRUST_200600_302600_NS6detail15normal_iteratorINS9_10device_ptrIxEEEESE_SE_xNS9_4plusIvEENS9_8equal_toIvEExEE10hipError_tPvRmT2_T3_T4_T5_mT6_T7_P12ihipStream_tbENKUlT_T0_E_clISt17integral_constantIbLb1EESY_IbLb0EEEEDaSU_SV_EUlSU_E_NS1_11comp_targetILNS1_3genE3ELNS1_11target_archE908ELNS1_3gpuE7ELNS1_3repE0EEENS1_30default_config_static_selectorELNS0_4arch9wavefront6targetE1EEEvT1_,@function
_ZN7rocprim17ROCPRIM_400000_NS6detail17trampoline_kernelINS0_14default_configENS1_27scan_by_key_config_selectorIxxEEZZNS1_16scan_by_key_implILNS1_25lookback_scan_determinismE0ELb1ES3_N6thrust23THRUST_200600_302600_NS6detail15normal_iteratorINS9_10device_ptrIxEEEESE_SE_xNS9_4plusIvEENS9_8equal_toIvEExEE10hipError_tPvRmT2_T3_T4_T5_mT6_T7_P12ihipStream_tbENKUlT_T0_E_clISt17integral_constantIbLb1EESY_IbLb0EEEEDaSU_SV_EUlSU_E_NS1_11comp_targetILNS1_3genE3ELNS1_11target_archE908ELNS1_3gpuE7ELNS1_3repE0EEENS1_30default_config_static_selectorELNS0_4arch9wavefront6targetE1EEEvT1_: ; @_ZN7rocprim17ROCPRIM_400000_NS6detail17trampoline_kernelINS0_14default_configENS1_27scan_by_key_config_selectorIxxEEZZNS1_16scan_by_key_implILNS1_25lookback_scan_determinismE0ELb1ES3_N6thrust23THRUST_200600_302600_NS6detail15normal_iteratorINS9_10device_ptrIxEEEESE_SE_xNS9_4plusIvEENS9_8equal_toIvEExEE10hipError_tPvRmT2_T3_T4_T5_mT6_T7_P12ihipStream_tbENKUlT_T0_E_clISt17integral_constantIbLb1EESY_IbLb0EEEEDaSU_SV_EUlSU_E_NS1_11comp_targetILNS1_3genE3ELNS1_11target_archE908ELNS1_3gpuE7ELNS1_3repE0EEENS1_30default_config_static_selectorELNS0_4arch9wavefront6targetE1EEEvT1_
; %bb.0:
	.section	.rodata,"a",@progbits
	.p2align	6, 0x0
	.amdhsa_kernel _ZN7rocprim17ROCPRIM_400000_NS6detail17trampoline_kernelINS0_14default_configENS1_27scan_by_key_config_selectorIxxEEZZNS1_16scan_by_key_implILNS1_25lookback_scan_determinismE0ELb1ES3_N6thrust23THRUST_200600_302600_NS6detail15normal_iteratorINS9_10device_ptrIxEEEESE_SE_xNS9_4plusIvEENS9_8equal_toIvEExEE10hipError_tPvRmT2_T3_T4_T5_mT6_T7_P12ihipStream_tbENKUlT_T0_E_clISt17integral_constantIbLb1EESY_IbLb0EEEEDaSU_SV_EUlSU_E_NS1_11comp_targetILNS1_3genE3ELNS1_11target_archE908ELNS1_3gpuE7ELNS1_3repE0EEENS1_30default_config_static_selectorELNS0_4arch9wavefront6targetE1EEEvT1_
		.amdhsa_group_segment_fixed_size 0
		.amdhsa_private_segment_fixed_size 0
		.amdhsa_kernarg_size 136
		.amdhsa_user_sgpr_count 6
		.amdhsa_user_sgpr_private_segment_buffer 1
		.amdhsa_user_sgpr_dispatch_ptr 0
		.amdhsa_user_sgpr_queue_ptr 0
		.amdhsa_user_sgpr_kernarg_segment_ptr 1
		.amdhsa_user_sgpr_dispatch_id 0
		.amdhsa_user_sgpr_flat_scratch_init 0
		.amdhsa_user_sgpr_kernarg_preload_length 0
		.amdhsa_user_sgpr_kernarg_preload_offset 0
		.amdhsa_user_sgpr_private_segment_size 0
		.amdhsa_uses_dynamic_stack 0
		.amdhsa_system_sgpr_private_segment_wavefront_offset 0
		.amdhsa_system_sgpr_workgroup_id_x 1
		.amdhsa_system_sgpr_workgroup_id_y 0
		.amdhsa_system_sgpr_workgroup_id_z 0
		.amdhsa_system_sgpr_workgroup_info 0
		.amdhsa_system_vgpr_workitem_id 0
		.amdhsa_next_free_vgpr 1
		.amdhsa_next_free_sgpr 0
		.amdhsa_accum_offset 4
		.amdhsa_reserve_vcc 0
		.amdhsa_reserve_flat_scratch 0
		.amdhsa_float_round_mode_32 0
		.amdhsa_float_round_mode_16_64 0
		.amdhsa_float_denorm_mode_32 3
		.amdhsa_float_denorm_mode_16_64 3
		.amdhsa_dx10_clamp 1
		.amdhsa_ieee_mode 1
		.amdhsa_fp16_overflow 0
		.amdhsa_tg_split 0
		.amdhsa_exception_fp_ieee_invalid_op 0
		.amdhsa_exception_fp_denorm_src 0
		.amdhsa_exception_fp_ieee_div_zero 0
		.amdhsa_exception_fp_ieee_overflow 0
		.amdhsa_exception_fp_ieee_underflow 0
		.amdhsa_exception_fp_ieee_inexact 0
		.amdhsa_exception_int_div_zero 0
	.end_amdhsa_kernel
	.section	.text._ZN7rocprim17ROCPRIM_400000_NS6detail17trampoline_kernelINS0_14default_configENS1_27scan_by_key_config_selectorIxxEEZZNS1_16scan_by_key_implILNS1_25lookback_scan_determinismE0ELb1ES3_N6thrust23THRUST_200600_302600_NS6detail15normal_iteratorINS9_10device_ptrIxEEEESE_SE_xNS9_4plusIvEENS9_8equal_toIvEExEE10hipError_tPvRmT2_T3_T4_T5_mT6_T7_P12ihipStream_tbENKUlT_T0_E_clISt17integral_constantIbLb1EESY_IbLb0EEEEDaSU_SV_EUlSU_E_NS1_11comp_targetILNS1_3genE3ELNS1_11target_archE908ELNS1_3gpuE7ELNS1_3repE0EEENS1_30default_config_static_selectorELNS0_4arch9wavefront6targetE1EEEvT1_,"axG",@progbits,_ZN7rocprim17ROCPRIM_400000_NS6detail17trampoline_kernelINS0_14default_configENS1_27scan_by_key_config_selectorIxxEEZZNS1_16scan_by_key_implILNS1_25lookback_scan_determinismE0ELb1ES3_N6thrust23THRUST_200600_302600_NS6detail15normal_iteratorINS9_10device_ptrIxEEEESE_SE_xNS9_4plusIvEENS9_8equal_toIvEExEE10hipError_tPvRmT2_T3_T4_T5_mT6_T7_P12ihipStream_tbENKUlT_T0_E_clISt17integral_constantIbLb1EESY_IbLb0EEEEDaSU_SV_EUlSU_E_NS1_11comp_targetILNS1_3genE3ELNS1_11target_archE908ELNS1_3gpuE7ELNS1_3repE0EEENS1_30default_config_static_selectorELNS0_4arch9wavefront6targetE1EEEvT1_,comdat
.Lfunc_end375:
	.size	_ZN7rocprim17ROCPRIM_400000_NS6detail17trampoline_kernelINS0_14default_configENS1_27scan_by_key_config_selectorIxxEEZZNS1_16scan_by_key_implILNS1_25lookback_scan_determinismE0ELb1ES3_N6thrust23THRUST_200600_302600_NS6detail15normal_iteratorINS9_10device_ptrIxEEEESE_SE_xNS9_4plusIvEENS9_8equal_toIvEExEE10hipError_tPvRmT2_T3_T4_T5_mT6_T7_P12ihipStream_tbENKUlT_T0_E_clISt17integral_constantIbLb1EESY_IbLb0EEEEDaSU_SV_EUlSU_E_NS1_11comp_targetILNS1_3genE3ELNS1_11target_archE908ELNS1_3gpuE7ELNS1_3repE0EEENS1_30default_config_static_selectorELNS0_4arch9wavefront6targetE1EEEvT1_, .Lfunc_end375-_ZN7rocprim17ROCPRIM_400000_NS6detail17trampoline_kernelINS0_14default_configENS1_27scan_by_key_config_selectorIxxEEZZNS1_16scan_by_key_implILNS1_25lookback_scan_determinismE0ELb1ES3_N6thrust23THRUST_200600_302600_NS6detail15normal_iteratorINS9_10device_ptrIxEEEESE_SE_xNS9_4plusIvEENS9_8equal_toIvEExEE10hipError_tPvRmT2_T3_T4_T5_mT6_T7_P12ihipStream_tbENKUlT_T0_E_clISt17integral_constantIbLb1EESY_IbLb0EEEEDaSU_SV_EUlSU_E_NS1_11comp_targetILNS1_3genE3ELNS1_11target_archE908ELNS1_3gpuE7ELNS1_3repE0EEENS1_30default_config_static_selectorELNS0_4arch9wavefront6targetE1EEEvT1_
                                        ; -- End function
	.section	.AMDGPU.csdata,"",@progbits
; Kernel info:
; codeLenInByte = 0
; NumSgprs: 4
; NumVgprs: 0
; NumAgprs: 0
; TotalNumVgprs: 0
; ScratchSize: 0
; MemoryBound: 0
; FloatMode: 240
; IeeeMode: 1
; LDSByteSize: 0 bytes/workgroup (compile time only)
; SGPRBlocks: 0
; VGPRBlocks: 0
; NumSGPRsForWavesPerEU: 4
; NumVGPRsForWavesPerEU: 1
; AccumOffset: 4
; Occupancy: 8
; WaveLimiterHint : 0
; COMPUTE_PGM_RSRC2:SCRATCH_EN: 0
; COMPUTE_PGM_RSRC2:USER_SGPR: 6
; COMPUTE_PGM_RSRC2:TRAP_HANDLER: 0
; COMPUTE_PGM_RSRC2:TGID_X_EN: 1
; COMPUTE_PGM_RSRC2:TGID_Y_EN: 0
; COMPUTE_PGM_RSRC2:TGID_Z_EN: 0
; COMPUTE_PGM_RSRC2:TIDIG_COMP_CNT: 0
; COMPUTE_PGM_RSRC3_GFX90A:ACCUM_OFFSET: 0
; COMPUTE_PGM_RSRC3_GFX90A:TG_SPLIT: 0
	.section	.text._ZN7rocprim17ROCPRIM_400000_NS6detail17trampoline_kernelINS0_14default_configENS1_27scan_by_key_config_selectorIxxEEZZNS1_16scan_by_key_implILNS1_25lookback_scan_determinismE0ELb1ES3_N6thrust23THRUST_200600_302600_NS6detail15normal_iteratorINS9_10device_ptrIxEEEESE_SE_xNS9_4plusIvEENS9_8equal_toIvEExEE10hipError_tPvRmT2_T3_T4_T5_mT6_T7_P12ihipStream_tbENKUlT_T0_E_clISt17integral_constantIbLb1EESY_IbLb0EEEEDaSU_SV_EUlSU_E_NS1_11comp_targetILNS1_3genE2ELNS1_11target_archE906ELNS1_3gpuE6ELNS1_3repE0EEENS1_30default_config_static_selectorELNS0_4arch9wavefront6targetE1EEEvT1_,"axG",@progbits,_ZN7rocprim17ROCPRIM_400000_NS6detail17trampoline_kernelINS0_14default_configENS1_27scan_by_key_config_selectorIxxEEZZNS1_16scan_by_key_implILNS1_25lookback_scan_determinismE0ELb1ES3_N6thrust23THRUST_200600_302600_NS6detail15normal_iteratorINS9_10device_ptrIxEEEESE_SE_xNS9_4plusIvEENS9_8equal_toIvEExEE10hipError_tPvRmT2_T3_T4_T5_mT6_T7_P12ihipStream_tbENKUlT_T0_E_clISt17integral_constantIbLb1EESY_IbLb0EEEEDaSU_SV_EUlSU_E_NS1_11comp_targetILNS1_3genE2ELNS1_11target_archE906ELNS1_3gpuE6ELNS1_3repE0EEENS1_30default_config_static_selectorELNS0_4arch9wavefront6targetE1EEEvT1_,comdat
	.protected	_ZN7rocprim17ROCPRIM_400000_NS6detail17trampoline_kernelINS0_14default_configENS1_27scan_by_key_config_selectorIxxEEZZNS1_16scan_by_key_implILNS1_25lookback_scan_determinismE0ELb1ES3_N6thrust23THRUST_200600_302600_NS6detail15normal_iteratorINS9_10device_ptrIxEEEESE_SE_xNS9_4plusIvEENS9_8equal_toIvEExEE10hipError_tPvRmT2_T3_T4_T5_mT6_T7_P12ihipStream_tbENKUlT_T0_E_clISt17integral_constantIbLb1EESY_IbLb0EEEEDaSU_SV_EUlSU_E_NS1_11comp_targetILNS1_3genE2ELNS1_11target_archE906ELNS1_3gpuE6ELNS1_3repE0EEENS1_30default_config_static_selectorELNS0_4arch9wavefront6targetE1EEEvT1_ ; -- Begin function _ZN7rocprim17ROCPRIM_400000_NS6detail17trampoline_kernelINS0_14default_configENS1_27scan_by_key_config_selectorIxxEEZZNS1_16scan_by_key_implILNS1_25lookback_scan_determinismE0ELb1ES3_N6thrust23THRUST_200600_302600_NS6detail15normal_iteratorINS9_10device_ptrIxEEEESE_SE_xNS9_4plusIvEENS9_8equal_toIvEExEE10hipError_tPvRmT2_T3_T4_T5_mT6_T7_P12ihipStream_tbENKUlT_T0_E_clISt17integral_constantIbLb1EESY_IbLb0EEEEDaSU_SV_EUlSU_E_NS1_11comp_targetILNS1_3genE2ELNS1_11target_archE906ELNS1_3gpuE6ELNS1_3repE0EEENS1_30default_config_static_selectorELNS0_4arch9wavefront6targetE1EEEvT1_
	.globl	_ZN7rocprim17ROCPRIM_400000_NS6detail17trampoline_kernelINS0_14default_configENS1_27scan_by_key_config_selectorIxxEEZZNS1_16scan_by_key_implILNS1_25lookback_scan_determinismE0ELb1ES3_N6thrust23THRUST_200600_302600_NS6detail15normal_iteratorINS9_10device_ptrIxEEEESE_SE_xNS9_4plusIvEENS9_8equal_toIvEExEE10hipError_tPvRmT2_T3_T4_T5_mT6_T7_P12ihipStream_tbENKUlT_T0_E_clISt17integral_constantIbLb1EESY_IbLb0EEEEDaSU_SV_EUlSU_E_NS1_11comp_targetILNS1_3genE2ELNS1_11target_archE906ELNS1_3gpuE6ELNS1_3repE0EEENS1_30default_config_static_selectorELNS0_4arch9wavefront6targetE1EEEvT1_
	.p2align	8
	.type	_ZN7rocprim17ROCPRIM_400000_NS6detail17trampoline_kernelINS0_14default_configENS1_27scan_by_key_config_selectorIxxEEZZNS1_16scan_by_key_implILNS1_25lookback_scan_determinismE0ELb1ES3_N6thrust23THRUST_200600_302600_NS6detail15normal_iteratorINS9_10device_ptrIxEEEESE_SE_xNS9_4plusIvEENS9_8equal_toIvEExEE10hipError_tPvRmT2_T3_T4_T5_mT6_T7_P12ihipStream_tbENKUlT_T0_E_clISt17integral_constantIbLb1EESY_IbLb0EEEEDaSU_SV_EUlSU_E_NS1_11comp_targetILNS1_3genE2ELNS1_11target_archE906ELNS1_3gpuE6ELNS1_3repE0EEENS1_30default_config_static_selectorELNS0_4arch9wavefront6targetE1EEEvT1_,@function
_ZN7rocprim17ROCPRIM_400000_NS6detail17trampoline_kernelINS0_14default_configENS1_27scan_by_key_config_selectorIxxEEZZNS1_16scan_by_key_implILNS1_25lookback_scan_determinismE0ELb1ES3_N6thrust23THRUST_200600_302600_NS6detail15normal_iteratorINS9_10device_ptrIxEEEESE_SE_xNS9_4plusIvEENS9_8equal_toIvEExEE10hipError_tPvRmT2_T3_T4_T5_mT6_T7_P12ihipStream_tbENKUlT_T0_E_clISt17integral_constantIbLb1EESY_IbLb0EEEEDaSU_SV_EUlSU_E_NS1_11comp_targetILNS1_3genE2ELNS1_11target_archE906ELNS1_3gpuE6ELNS1_3repE0EEENS1_30default_config_static_selectorELNS0_4arch9wavefront6targetE1EEEvT1_: ; @_ZN7rocprim17ROCPRIM_400000_NS6detail17trampoline_kernelINS0_14default_configENS1_27scan_by_key_config_selectorIxxEEZZNS1_16scan_by_key_implILNS1_25lookback_scan_determinismE0ELb1ES3_N6thrust23THRUST_200600_302600_NS6detail15normal_iteratorINS9_10device_ptrIxEEEESE_SE_xNS9_4plusIvEENS9_8equal_toIvEExEE10hipError_tPvRmT2_T3_T4_T5_mT6_T7_P12ihipStream_tbENKUlT_T0_E_clISt17integral_constantIbLb1EESY_IbLb0EEEEDaSU_SV_EUlSU_E_NS1_11comp_targetILNS1_3genE2ELNS1_11target_archE906ELNS1_3gpuE6ELNS1_3repE0EEENS1_30default_config_static_selectorELNS0_4arch9wavefront6targetE1EEEvT1_
; %bb.0:
	.section	.rodata,"a",@progbits
	.p2align	6, 0x0
	.amdhsa_kernel _ZN7rocprim17ROCPRIM_400000_NS6detail17trampoline_kernelINS0_14default_configENS1_27scan_by_key_config_selectorIxxEEZZNS1_16scan_by_key_implILNS1_25lookback_scan_determinismE0ELb1ES3_N6thrust23THRUST_200600_302600_NS6detail15normal_iteratorINS9_10device_ptrIxEEEESE_SE_xNS9_4plusIvEENS9_8equal_toIvEExEE10hipError_tPvRmT2_T3_T4_T5_mT6_T7_P12ihipStream_tbENKUlT_T0_E_clISt17integral_constantIbLb1EESY_IbLb0EEEEDaSU_SV_EUlSU_E_NS1_11comp_targetILNS1_3genE2ELNS1_11target_archE906ELNS1_3gpuE6ELNS1_3repE0EEENS1_30default_config_static_selectorELNS0_4arch9wavefront6targetE1EEEvT1_
		.amdhsa_group_segment_fixed_size 0
		.amdhsa_private_segment_fixed_size 0
		.amdhsa_kernarg_size 136
		.amdhsa_user_sgpr_count 6
		.amdhsa_user_sgpr_private_segment_buffer 1
		.amdhsa_user_sgpr_dispatch_ptr 0
		.amdhsa_user_sgpr_queue_ptr 0
		.amdhsa_user_sgpr_kernarg_segment_ptr 1
		.amdhsa_user_sgpr_dispatch_id 0
		.amdhsa_user_sgpr_flat_scratch_init 0
		.amdhsa_user_sgpr_kernarg_preload_length 0
		.amdhsa_user_sgpr_kernarg_preload_offset 0
		.amdhsa_user_sgpr_private_segment_size 0
		.amdhsa_uses_dynamic_stack 0
		.amdhsa_system_sgpr_private_segment_wavefront_offset 0
		.amdhsa_system_sgpr_workgroup_id_x 1
		.amdhsa_system_sgpr_workgroup_id_y 0
		.amdhsa_system_sgpr_workgroup_id_z 0
		.amdhsa_system_sgpr_workgroup_info 0
		.amdhsa_system_vgpr_workitem_id 0
		.amdhsa_next_free_vgpr 1
		.amdhsa_next_free_sgpr 0
		.amdhsa_accum_offset 4
		.amdhsa_reserve_vcc 0
		.amdhsa_reserve_flat_scratch 0
		.amdhsa_float_round_mode_32 0
		.amdhsa_float_round_mode_16_64 0
		.amdhsa_float_denorm_mode_32 3
		.amdhsa_float_denorm_mode_16_64 3
		.amdhsa_dx10_clamp 1
		.amdhsa_ieee_mode 1
		.amdhsa_fp16_overflow 0
		.amdhsa_tg_split 0
		.amdhsa_exception_fp_ieee_invalid_op 0
		.amdhsa_exception_fp_denorm_src 0
		.amdhsa_exception_fp_ieee_div_zero 0
		.amdhsa_exception_fp_ieee_overflow 0
		.amdhsa_exception_fp_ieee_underflow 0
		.amdhsa_exception_fp_ieee_inexact 0
		.amdhsa_exception_int_div_zero 0
	.end_amdhsa_kernel
	.section	.text._ZN7rocprim17ROCPRIM_400000_NS6detail17trampoline_kernelINS0_14default_configENS1_27scan_by_key_config_selectorIxxEEZZNS1_16scan_by_key_implILNS1_25lookback_scan_determinismE0ELb1ES3_N6thrust23THRUST_200600_302600_NS6detail15normal_iteratorINS9_10device_ptrIxEEEESE_SE_xNS9_4plusIvEENS9_8equal_toIvEExEE10hipError_tPvRmT2_T3_T4_T5_mT6_T7_P12ihipStream_tbENKUlT_T0_E_clISt17integral_constantIbLb1EESY_IbLb0EEEEDaSU_SV_EUlSU_E_NS1_11comp_targetILNS1_3genE2ELNS1_11target_archE906ELNS1_3gpuE6ELNS1_3repE0EEENS1_30default_config_static_selectorELNS0_4arch9wavefront6targetE1EEEvT1_,"axG",@progbits,_ZN7rocprim17ROCPRIM_400000_NS6detail17trampoline_kernelINS0_14default_configENS1_27scan_by_key_config_selectorIxxEEZZNS1_16scan_by_key_implILNS1_25lookback_scan_determinismE0ELb1ES3_N6thrust23THRUST_200600_302600_NS6detail15normal_iteratorINS9_10device_ptrIxEEEESE_SE_xNS9_4plusIvEENS9_8equal_toIvEExEE10hipError_tPvRmT2_T3_T4_T5_mT6_T7_P12ihipStream_tbENKUlT_T0_E_clISt17integral_constantIbLb1EESY_IbLb0EEEEDaSU_SV_EUlSU_E_NS1_11comp_targetILNS1_3genE2ELNS1_11target_archE906ELNS1_3gpuE6ELNS1_3repE0EEENS1_30default_config_static_selectorELNS0_4arch9wavefront6targetE1EEEvT1_,comdat
.Lfunc_end376:
	.size	_ZN7rocprim17ROCPRIM_400000_NS6detail17trampoline_kernelINS0_14default_configENS1_27scan_by_key_config_selectorIxxEEZZNS1_16scan_by_key_implILNS1_25lookback_scan_determinismE0ELb1ES3_N6thrust23THRUST_200600_302600_NS6detail15normal_iteratorINS9_10device_ptrIxEEEESE_SE_xNS9_4plusIvEENS9_8equal_toIvEExEE10hipError_tPvRmT2_T3_T4_T5_mT6_T7_P12ihipStream_tbENKUlT_T0_E_clISt17integral_constantIbLb1EESY_IbLb0EEEEDaSU_SV_EUlSU_E_NS1_11comp_targetILNS1_3genE2ELNS1_11target_archE906ELNS1_3gpuE6ELNS1_3repE0EEENS1_30default_config_static_selectorELNS0_4arch9wavefront6targetE1EEEvT1_, .Lfunc_end376-_ZN7rocprim17ROCPRIM_400000_NS6detail17trampoline_kernelINS0_14default_configENS1_27scan_by_key_config_selectorIxxEEZZNS1_16scan_by_key_implILNS1_25lookback_scan_determinismE0ELb1ES3_N6thrust23THRUST_200600_302600_NS6detail15normal_iteratorINS9_10device_ptrIxEEEESE_SE_xNS9_4plusIvEENS9_8equal_toIvEExEE10hipError_tPvRmT2_T3_T4_T5_mT6_T7_P12ihipStream_tbENKUlT_T0_E_clISt17integral_constantIbLb1EESY_IbLb0EEEEDaSU_SV_EUlSU_E_NS1_11comp_targetILNS1_3genE2ELNS1_11target_archE906ELNS1_3gpuE6ELNS1_3repE0EEENS1_30default_config_static_selectorELNS0_4arch9wavefront6targetE1EEEvT1_
                                        ; -- End function
	.section	.AMDGPU.csdata,"",@progbits
; Kernel info:
; codeLenInByte = 0
; NumSgprs: 4
; NumVgprs: 0
; NumAgprs: 0
; TotalNumVgprs: 0
; ScratchSize: 0
; MemoryBound: 0
; FloatMode: 240
; IeeeMode: 1
; LDSByteSize: 0 bytes/workgroup (compile time only)
; SGPRBlocks: 0
; VGPRBlocks: 0
; NumSGPRsForWavesPerEU: 4
; NumVGPRsForWavesPerEU: 1
; AccumOffset: 4
; Occupancy: 8
; WaveLimiterHint : 0
; COMPUTE_PGM_RSRC2:SCRATCH_EN: 0
; COMPUTE_PGM_RSRC2:USER_SGPR: 6
; COMPUTE_PGM_RSRC2:TRAP_HANDLER: 0
; COMPUTE_PGM_RSRC2:TGID_X_EN: 1
; COMPUTE_PGM_RSRC2:TGID_Y_EN: 0
; COMPUTE_PGM_RSRC2:TGID_Z_EN: 0
; COMPUTE_PGM_RSRC2:TIDIG_COMP_CNT: 0
; COMPUTE_PGM_RSRC3_GFX90A:ACCUM_OFFSET: 0
; COMPUTE_PGM_RSRC3_GFX90A:TG_SPLIT: 0
	.section	.text._ZN7rocprim17ROCPRIM_400000_NS6detail17trampoline_kernelINS0_14default_configENS1_27scan_by_key_config_selectorIxxEEZZNS1_16scan_by_key_implILNS1_25lookback_scan_determinismE0ELb1ES3_N6thrust23THRUST_200600_302600_NS6detail15normal_iteratorINS9_10device_ptrIxEEEESE_SE_xNS9_4plusIvEENS9_8equal_toIvEExEE10hipError_tPvRmT2_T3_T4_T5_mT6_T7_P12ihipStream_tbENKUlT_T0_E_clISt17integral_constantIbLb1EESY_IbLb0EEEEDaSU_SV_EUlSU_E_NS1_11comp_targetILNS1_3genE10ELNS1_11target_archE1200ELNS1_3gpuE4ELNS1_3repE0EEENS1_30default_config_static_selectorELNS0_4arch9wavefront6targetE1EEEvT1_,"axG",@progbits,_ZN7rocprim17ROCPRIM_400000_NS6detail17trampoline_kernelINS0_14default_configENS1_27scan_by_key_config_selectorIxxEEZZNS1_16scan_by_key_implILNS1_25lookback_scan_determinismE0ELb1ES3_N6thrust23THRUST_200600_302600_NS6detail15normal_iteratorINS9_10device_ptrIxEEEESE_SE_xNS9_4plusIvEENS9_8equal_toIvEExEE10hipError_tPvRmT2_T3_T4_T5_mT6_T7_P12ihipStream_tbENKUlT_T0_E_clISt17integral_constantIbLb1EESY_IbLb0EEEEDaSU_SV_EUlSU_E_NS1_11comp_targetILNS1_3genE10ELNS1_11target_archE1200ELNS1_3gpuE4ELNS1_3repE0EEENS1_30default_config_static_selectorELNS0_4arch9wavefront6targetE1EEEvT1_,comdat
	.protected	_ZN7rocprim17ROCPRIM_400000_NS6detail17trampoline_kernelINS0_14default_configENS1_27scan_by_key_config_selectorIxxEEZZNS1_16scan_by_key_implILNS1_25lookback_scan_determinismE0ELb1ES3_N6thrust23THRUST_200600_302600_NS6detail15normal_iteratorINS9_10device_ptrIxEEEESE_SE_xNS9_4plusIvEENS9_8equal_toIvEExEE10hipError_tPvRmT2_T3_T4_T5_mT6_T7_P12ihipStream_tbENKUlT_T0_E_clISt17integral_constantIbLb1EESY_IbLb0EEEEDaSU_SV_EUlSU_E_NS1_11comp_targetILNS1_3genE10ELNS1_11target_archE1200ELNS1_3gpuE4ELNS1_3repE0EEENS1_30default_config_static_selectorELNS0_4arch9wavefront6targetE1EEEvT1_ ; -- Begin function _ZN7rocprim17ROCPRIM_400000_NS6detail17trampoline_kernelINS0_14default_configENS1_27scan_by_key_config_selectorIxxEEZZNS1_16scan_by_key_implILNS1_25lookback_scan_determinismE0ELb1ES3_N6thrust23THRUST_200600_302600_NS6detail15normal_iteratorINS9_10device_ptrIxEEEESE_SE_xNS9_4plusIvEENS9_8equal_toIvEExEE10hipError_tPvRmT2_T3_T4_T5_mT6_T7_P12ihipStream_tbENKUlT_T0_E_clISt17integral_constantIbLb1EESY_IbLb0EEEEDaSU_SV_EUlSU_E_NS1_11comp_targetILNS1_3genE10ELNS1_11target_archE1200ELNS1_3gpuE4ELNS1_3repE0EEENS1_30default_config_static_selectorELNS0_4arch9wavefront6targetE1EEEvT1_
	.globl	_ZN7rocprim17ROCPRIM_400000_NS6detail17trampoline_kernelINS0_14default_configENS1_27scan_by_key_config_selectorIxxEEZZNS1_16scan_by_key_implILNS1_25lookback_scan_determinismE0ELb1ES3_N6thrust23THRUST_200600_302600_NS6detail15normal_iteratorINS9_10device_ptrIxEEEESE_SE_xNS9_4plusIvEENS9_8equal_toIvEExEE10hipError_tPvRmT2_T3_T4_T5_mT6_T7_P12ihipStream_tbENKUlT_T0_E_clISt17integral_constantIbLb1EESY_IbLb0EEEEDaSU_SV_EUlSU_E_NS1_11comp_targetILNS1_3genE10ELNS1_11target_archE1200ELNS1_3gpuE4ELNS1_3repE0EEENS1_30default_config_static_selectorELNS0_4arch9wavefront6targetE1EEEvT1_
	.p2align	8
	.type	_ZN7rocprim17ROCPRIM_400000_NS6detail17trampoline_kernelINS0_14default_configENS1_27scan_by_key_config_selectorIxxEEZZNS1_16scan_by_key_implILNS1_25lookback_scan_determinismE0ELb1ES3_N6thrust23THRUST_200600_302600_NS6detail15normal_iteratorINS9_10device_ptrIxEEEESE_SE_xNS9_4plusIvEENS9_8equal_toIvEExEE10hipError_tPvRmT2_T3_T4_T5_mT6_T7_P12ihipStream_tbENKUlT_T0_E_clISt17integral_constantIbLb1EESY_IbLb0EEEEDaSU_SV_EUlSU_E_NS1_11comp_targetILNS1_3genE10ELNS1_11target_archE1200ELNS1_3gpuE4ELNS1_3repE0EEENS1_30default_config_static_selectorELNS0_4arch9wavefront6targetE1EEEvT1_,@function
_ZN7rocprim17ROCPRIM_400000_NS6detail17trampoline_kernelINS0_14default_configENS1_27scan_by_key_config_selectorIxxEEZZNS1_16scan_by_key_implILNS1_25lookback_scan_determinismE0ELb1ES3_N6thrust23THRUST_200600_302600_NS6detail15normal_iteratorINS9_10device_ptrIxEEEESE_SE_xNS9_4plusIvEENS9_8equal_toIvEExEE10hipError_tPvRmT2_T3_T4_T5_mT6_T7_P12ihipStream_tbENKUlT_T0_E_clISt17integral_constantIbLb1EESY_IbLb0EEEEDaSU_SV_EUlSU_E_NS1_11comp_targetILNS1_3genE10ELNS1_11target_archE1200ELNS1_3gpuE4ELNS1_3repE0EEENS1_30default_config_static_selectorELNS0_4arch9wavefront6targetE1EEEvT1_: ; @_ZN7rocprim17ROCPRIM_400000_NS6detail17trampoline_kernelINS0_14default_configENS1_27scan_by_key_config_selectorIxxEEZZNS1_16scan_by_key_implILNS1_25lookback_scan_determinismE0ELb1ES3_N6thrust23THRUST_200600_302600_NS6detail15normal_iteratorINS9_10device_ptrIxEEEESE_SE_xNS9_4plusIvEENS9_8equal_toIvEExEE10hipError_tPvRmT2_T3_T4_T5_mT6_T7_P12ihipStream_tbENKUlT_T0_E_clISt17integral_constantIbLb1EESY_IbLb0EEEEDaSU_SV_EUlSU_E_NS1_11comp_targetILNS1_3genE10ELNS1_11target_archE1200ELNS1_3gpuE4ELNS1_3repE0EEENS1_30default_config_static_selectorELNS0_4arch9wavefront6targetE1EEEvT1_
; %bb.0:
	.section	.rodata,"a",@progbits
	.p2align	6, 0x0
	.amdhsa_kernel _ZN7rocprim17ROCPRIM_400000_NS6detail17trampoline_kernelINS0_14default_configENS1_27scan_by_key_config_selectorIxxEEZZNS1_16scan_by_key_implILNS1_25lookback_scan_determinismE0ELb1ES3_N6thrust23THRUST_200600_302600_NS6detail15normal_iteratorINS9_10device_ptrIxEEEESE_SE_xNS9_4plusIvEENS9_8equal_toIvEExEE10hipError_tPvRmT2_T3_T4_T5_mT6_T7_P12ihipStream_tbENKUlT_T0_E_clISt17integral_constantIbLb1EESY_IbLb0EEEEDaSU_SV_EUlSU_E_NS1_11comp_targetILNS1_3genE10ELNS1_11target_archE1200ELNS1_3gpuE4ELNS1_3repE0EEENS1_30default_config_static_selectorELNS0_4arch9wavefront6targetE1EEEvT1_
		.amdhsa_group_segment_fixed_size 0
		.amdhsa_private_segment_fixed_size 0
		.amdhsa_kernarg_size 136
		.amdhsa_user_sgpr_count 6
		.amdhsa_user_sgpr_private_segment_buffer 1
		.amdhsa_user_sgpr_dispatch_ptr 0
		.amdhsa_user_sgpr_queue_ptr 0
		.amdhsa_user_sgpr_kernarg_segment_ptr 1
		.amdhsa_user_sgpr_dispatch_id 0
		.amdhsa_user_sgpr_flat_scratch_init 0
		.amdhsa_user_sgpr_kernarg_preload_length 0
		.amdhsa_user_sgpr_kernarg_preload_offset 0
		.amdhsa_user_sgpr_private_segment_size 0
		.amdhsa_uses_dynamic_stack 0
		.amdhsa_system_sgpr_private_segment_wavefront_offset 0
		.amdhsa_system_sgpr_workgroup_id_x 1
		.amdhsa_system_sgpr_workgroup_id_y 0
		.amdhsa_system_sgpr_workgroup_id_z 0
		.amdhsa_system_sgpr_workgroup_info 0
		.amdhsa_system_vgpr_workitem_id 0
		.amdhsa_next_free_vgpr 1
		.amdhsa_next_free_sgpr 0
		.amdhsa_accum_offset 4
		.amdhsa_reserve_vcc 0
		.amdhsa_reserve_flat_scratch 0
		.amdhsa_float_round_mode_32 0
		.amdhsa_float_round_mode_16_64 0
		.amdhsa_float_denorm_mode_32 3
		.amdhsa_float_denorm_mode_16_64 3
		.amdhsa_dx10_clamp 1
		.amdhsa_ieee_mode 1
		.amdhsa_fp16_overflow 0
		.amdhsa_tg_split 0
		.amdhsa_exception_fp_ieee_invalid_op 0
		.amdhsa_exception_fp_denorm_src 0
		.amdhsa_exception_fp_ieee_div_zero 0
		.amdhsa_exception_fp_ieee_overflow 0
		.amdhsa_exception_fp_ieee_underflow 0
		.amdhsa_exception_fp_ieee_inexact 0
		.amdhsa_exception_int_div_zero 0
	.end_amdhsa_kernel
	.section	.text._ZN7rocprim17ROCPRIM_400000_NS6detail17trampoline_kernelINS0_14default_configENS1_27scan_by_key_config_selectorIxxEEZZNS1_16scan_by_key_implILNS1_25lookback_scan_determinismE0ELb1ES3_N6thrust23THRUST_200600_302600_NS6detail15normal_iteratorINS9_10device_ptrIxEEEESE_SE_xNS9_4plusIvEENS9_8equal_toIvEExEE10hipError_tPvRmT2_T3_T4_T5_mT6_T7_P12ihipStream_tbENKUlT_T0_E_clISt17integral_constantIbLb1EESY_IbLb0EEEEDaSU_SV_EUlSU_E_NS1_11comp_targetILNS1_3genE10ELNS1_11target_archE1200ELNS1_3gpuE4ELNS1_3repE0EEENS1_30default_config_static_selectorELNS0_4arch9wavefront6targetE1EEEvT1_,"axG",@progbits,_ZN7rocprim17ROCPRIM_400000_NS6detail17trampoline_kernelINS0_14default_configENS1_27scan_by_key_config_selectorIxxEEZZNS1_16scan_by_key_implILNS1_25lookback_scan_determinismE0ELb1ES3_N6thrust23THRUST_200600_302600_NS6detail15normal_iteratorINS9_10device_ptrIxEEEESE_SE_xNS9_4plusIvEENS9_8equal_toIvEExEE10hipError_tPvRmT2_T3_T4_T5_mT6_T7_P12ihipStream_tbENKUlT_T0_E_clISt17integral_constantIbLb1EESY_IbLb0EEEEDaSU_SV_EUlSU_E_NS1_11comp_targetILNS1_3genE10ELNS1_11target_archE1200ELNS1_3gpuE4ELNS1_3repE0EEENS1_30default_config_static_selectorELNS0_4arch9wavefront6targetE1EEEvT1_,comdat
.Lfunc_end377:
	.size	_ZN7rocprim17ROCPRIM_400000_NS6detail17trampoline_kernelINS0_14default_configENS1_27scan_by_key_config_selectorIxxEEZZNS1_16scan_by_key_implILNS1_25lookback_scan_determinismE0ELb1ES3_N6thrust23THRUST_200600_302600_NS6detail15normal_iteratorINS9_10device_ptrIxEEEESE_SE_xNS9_4plusIvEENS9_8equal_toIvEExEE10hipError_tPvRmT2_T3_T4_T5_mT6_T7_P12ihipStream_tbENKUlT_T0_E_clISt17integral_constantIbLb1EESY_IbLb0EEEEDaSU_SV_EUlSU_E_NS1_11comp_targetILNS1_3genE10ELNS1_11target_archE1200ELNS1_3gpuE4ELNS1_3repE0EEENS1_30default_config_static_selectorELNS0_4arch9wavefront6targetE1EEEvT1_, .Lfunc_end377-_ZN7rocprim17ROCPRIM_400000_NS6detail17trampoline_kernelINS0_14default_configENS1_27scan_by_key_config_selectorIxxEEZZNS1_16scan_by_key_implILNS1_25lookback_scan_determinismE0ELb1ES3_N6thrust23THRUST_200600_302600_NS6detail15normal_iteratorINS9_10device_ptrIxEEEESE_SE_xNS9_4plusIvEENS9_8equal_toIvEExEE10hipError_tPvRmT2_T3_T4_T5_mT6_T7_P12ihipStream_tbENKUlT_T0_E_clISt17integral_constantIbLb1EESY_IbLb0EEEEDaSU_SV_EUlSU_E_NS1_11comp_targetILNS1_3genE10ELNS1_11target_archE1200ELNS1_3gpuE4ELNS1_3repE0EEENS1_30default_config_static_selectorELNS0_4arch9wavefront6targetE1EEEvT1_
                                        ; -- End function
	.section	.AMDGPU.csdata,"",@progbits
; Kernel info:
; codeLenInByte = 0
; NumSgprs: 4
; NumVgprs: 0
; NumAgprs: 0
; TotalNumVgprs: 0
; ScratchSize: 0
; MemoryBound: 0
; FloatMode: 240
; IeeeMode: 1
; LDSByteSize: 0 bytes/workgroup (compile time only)
; SGPRBlocks: 0
; VGPRBlocks: 0
; NumSGPRsForWavesPerEU: 4
; NumVGPRsForWavesPerEU: 1
; AccumOffset: 4
; Occupancy: 8
; WaveLimiterHint : 0
; COMPUTE_PGM_RSRC2:SCRATCH_EN: 0
; COMPUTE_PGM_RSRC2:USER_SGPR: 6
; COMPUTE_PGM_RSRC2:TRAP_HANDLER: 0
; COMPUTE_PGM_RSRC2:TGID_X_EN: 1
; COMPUTE_PGM_RSRC2:TGID_Y_EN: 0
; COMPUTE_PGM_RSRC2:TGID_Z_EN: 0
; COMPUTE_PGM_RSRC2:TIDIG_COMP_CNT: 0
; COMPUTE_PGM_RSRC3_GFX90A:ACCUM_OFFSET: 0
; COMPUTE_PGM_RSRC3_GFX90A:TG_SPLIT: 0
	.section	.text._ZN7rocprim17ROCPRIM_400000_NS6detail17trampoline_kernelINS0_14default_configENS1_27scan_by_key_config_selectorIxxEEZZNS1_16scan_by_key_implILNS1_25lookback_scan_determinismE0ELb1ES3_N6thrust23THRUST_200600_302600_NS6detail15normal_iteratorINS9_10device_ptrIxEEEESE_SE_xNS9_4plusIvEENS9_8equal_toIvEExEE10hipError_tPvRmT2_T3_T4_T5_mT6_T7_P12ihipStream_tbENKUlT_T0_E_clISt17integral_constantIbLb1EESY_IbLb0EEEEDaSU_SV_EUlSU_E_NS1_11comp_targetILNS1_3genE9ELNS1_11target_archE1100ELNS1_3gpuE3ELNS1_3repE0EEENS1_30default_config_static_selectorELNS0_4arch9wavefront6targetE1EEEvT1_,"axG",@progbits,_ZN7rocprim17ROCPRIM_400000_NS6detail17trampoline_kernelINS0_14default_configENS1_27scan_by_key_config_selectorIxxEEZZNS1_16scan_by_key_implILNS1_25lookback_scan_determinismE0ELb1ES3_N6thrust23THRUST_200600_302600_NS6detail15normal_iteratorINS9_10device_ptrIxEEEESE_SE_xNS9_4plusIvEENS9_8equal_toIvEExEE10hipError_tPvRmT2_T3_T4_T5_mT6_T7_P12ihipStream_tbENKUlT_T0_E_clISt17integral_constantIbLb1EESY_IbLb0EEEEDaSU_SV_EUlSU_E_NS1_11comp_targetILNS1_3genE9ELNS1_11target_archE1100ELNS1_3gpuE3ELNS1_3repE0EEENS1_30default_config_static_selectorELNS0_4arch9wavefront6targetE1EEEvT1_,comdat
	.protected	_ZN7rocprim17ROCPRIM_400000_NS6detail17trampoline_kernelINS0_14default_configENS1_27scan_by_key_config_selectorIxxEEZZNS1_16scan_by_key_implILNS1_25lookback_scan_determinismE0ELb1ES3_N6thrust23THRUST_200600_302600_NS6detail15normal_iteratorINS9_10device_ptrIxEEEESE_SE_xNS9_4plusIvEENS9_8equal_toIvEExEE10hipError_tPvRmT2_T3_T4_T5_mT6_T7_P12ihipStream_tbENKUlT_T0_E_clISt17integral_constantIbLb1EESY_IbLb0EEEEDaSU_SV_EUlSU_E_NS1_11comp_targetILNS1_3genE9ELNS1_11target_archE1100ELNS1_3gpuE3ELNS1_3repE0EEENS1_30default_config_static_selectorELNS0_4arch9wavefront6targetE1EEEvT1_ ; -- Begin function _ZN7rocprim17ROCPRIM_400000_NS6detail17trampoline_kernelINS0_14default_configENS1_27scan_by_key_config_selectorIxxEEZZNS1_16scan_by_key_implILNS1_25lookback_scan_determinismE0ELb1ES3_N6thrust23THRUST_200600_302600_NS6detail15normal_iteratorINS9_10device_ptrIxEEEESE_SE_xNS9_4plusIvEENS9_8equal_toIvEExEE10hipError_tPvRmT2_T3_T4_T5_mT6_T7_P12ihipStream_tbENKUlT_T0_E_clISt17integral_constantIbLb1EESY_IbLb0EEEEDaSU_SV_EUlSU_E_NS1_11comp_targetILNS1_3genE9ELNS1_11target_archE1100ELNS1_3gpuE3ELNS1_3repE0EEENS1_30default_config_static_selectorELNS0_4arch9wavefront6targetE1EEEvT1_
	.globl	_ZN7rocprim17ROCPRIM_400000_NS6detail17trampoline_kernelINS0_14default_configENS1_27scan_by_key_config_selectorIxxEEZZNS1_16scan_by_key_implILNS1_25lookback_scan_determinismE0ELb1ES3_N6thrust23THRUST_200600_302600_NS6detail15normal_iteratorINS9_10device_ptrIxEEEESE_SE_xNS9_4plusIvEENS9_8equal_toIvEExEE10hipError_tPvRmT2_T3_T4_T5_mT6_T7_P12ihipStream_tbENKUlT_T0_E_clISt17integral_constantIbLb1EESY_IbLb0EEEEDaSU_SV_EUlSU_E_NS1_11comp_targetILNS1_3genE9ELNS1_11target_archE1100ELNS1_3gpuE3ELNS1_3repE0EEENS1_30default_config_static_selectorELNS0_4arch9wavefront6targetE1EEEvT1_
	.p2align	8
	.type	_ZN7rocprim17ROCPRIM_400000_NS6detail17trampoline_kernelINS0_14default_configENS1_27scan_by_key_config_selectorIxxEEZZNS1_16scan_by_key_implILNS1_25lookback_scan_determinismE0ELb1ES3_N6thrust23THRUST_200600_302600_NS6detail15normal_iteratorINS9_10device_ptrIxEEEESE_SE_xNS9_4plusIvEENS9_8equal_toIvEExEE10hipError_tPvRmT2_T3_T4_T5_mT6_T7_P12ihipStream_tbENKUlT_T0_E_clISt17integral_constantIbLb1EESY_IbLb0EEEEDaSU_SV_EUlSU_E_NS1_11comp_targetILNS1_3genE9ELNS1_11target_archE1100ELNS1_3gpuE3ELNS1_3repE0EEENS1_30default_config_static_selectorELNS0_4arch9wavefront6targetE1EEEvT1_,@function
_ZN7rocprim17ROCPRIM_400000_NS6detail17trampoline_kernelINS0_14default_configENS1_27scan_by_key_config_selectorIxxEEZZNS1_16scan_by_key_implILNS1_25lookback_scan_determinismE0ELb1ES3_N6thrust23THRUST_200600_302600_NS6detail15normal_iteratorINS9_10device_ptrIxEEEESE_SE_xNS9_4plusIvEENS9_8equal_toIvEExEE10hipError_tPvRmT2_T3_T4_T5_mT6_T7_P12ihipStream_tbENKUlT_T0_E_clISt17integral_constantIbLb1EESY_IbLb0EEEEDaSU_SV_EUlSU_E_NS1_11comp_targetILNS1_3genE9ELNS1_11target_archE1100ELNS1_3gpuE3ELNS1_3repE0EEENS1_30default_config_static_selectorELNS0_4arch9wavefront6targetE1EEEvT1_: ; @_ZN7rocprim17ROCPRIM_400000_NS6detail17trampoline_kernelINS0_14default_configENS1_27scan_by_key_config_selectorIxxEEZZNS1_16scan_by_key_implILNS1_25lookback_scan_determinismE0ELb1ES3_N6thrust23THRUST_200600_302600_NS6detail15normal_iteratorINS9_10device_ptrIxEEEESE_SE_xNS9_4plusIvEENS9_8equal_toIvEExEE10hipError_tPvRmT2_T3_T4_T5_mT6_T7_P12ihipStream_tbENKUlT_T0_E_clISt17integral_constantIbLb1EESY_IbLb0EEEEDaSU_SV_EUlSU_E_NS1_11comp_targetILNS1_3genE9ELNS1_11target_archE1100ELNS1_3gpuE3ELNS1_3repE0EEENS1_30default_config_static_selectorELNS0_4arch9wavefront6targetE1EEEvT1_
; %bb.0:
	.section	.rodata,"a",@progbits
	.p2align	6, 0x0
	.amdhsa_kernel _ZN7rocprim17ROCPRIM_400000_NS6detail17trampoline_kernelINS0_14default_configENS1_27scan_by_key_config_selectorIxxEEZZNS1_16scan_by_key_implILNS1_25lookback_scan_determinismE0ELb1ES3_N6thrust23THRUST_200600_302600_NS6detail15normal_iteratorINS9_10device_ptrIxEEEESE_SE_xNS9_4plusIvEENS9_8equal_toIvEExEE10hipError_tPvRmT2_T3_T4_T5_mT6_T7_P12ihipStream_tbENKUlT_T0_E_clISt17integral_constantIbLb1EESY_IbLb0EEEEDaSU_SV_EUlSU_E_NS1_11comp_targetILNS1_3genE9ELNS1_11target_archE1100ELNS1_3gpuE3ELNS1_3repE0EEENS1_30default_config_static_selectorELNS0_4arch9wavefront6targetE1EEEvT1_
		.amdhsa_group_segment_fixed_size 0
		.amdhsa_private_segment_fixed_size 0
		.amdhsa_kernarg_size 136
		.amdhsa_user_sgpr_count 6
		.amdhsa_user_sgpr_private_segment_buffer 1
		.amdhsa_user_sgpr_dispatch_ptr 0
		.amdhsa_user_sgpr_queue_ptr 0
		.amdhsa_user_sgpr_kernarg_segment_ptr 1
		.amdhsa_user_sgpr_dispatch_id 0
		.amdhsa_user_sgpr_flat_scratch_init 0
		.amdhsa_user_sgpr_kernarg_preload_length 0
		.amdhsa_user_sgpr_kernarg_preload_offset 0
		.amdhsa_user_sgpr_private_segment_size 0
		.amdhsa_uses_dynamic_stack 0
		.amdhsa_system_sgpr_private_segment_wavefront_offset 0
		.amdhsa_system_sgpr_workgroup_id_x 1
		.amdhsa_system_sgpr_workgroup_id_y 0
		.amdhsa_system_sgpr_workgroup_id_z 0
		.amdhsa_system_sgpr_workgroup_info 0
		.amdhsa_system_vgpr_workitem_id 0
		.amdhsa_next_free_vgpr 1
		.amdhsa_next_free_sgpr 0
		.amdhsa_accum_offset 4
		.amdhsa_reserve_vcc 0
		.amdhsa_reserve_flat_scratch 0
		.amdhsa_float_round_mode_32 0
		.amdhsa_float_round_mode_16_64 0
		.amdhsa_float_denorm_mode_32 3
		.amdhsa_float_denorm_mode_16_64 3
		.amdhsa_dx10_clamp 1
		.amdhsa_ieee_mode 1
		.amdhsa_fp16_overflow 0
		.amdhsa_tg_split 0
		.amdhsa_exception_fp_ieee_invalid_op 0
		.amdhsa_exception_fp_denorm_src 0
		.amdhsa_exception_fp_ieee_div_zero 0
		.amdhsa_exception_fp_ieee_overflow 0
		.amdhsa_exception_fp_ieee_underflow 0
		.amdhsa_exception_fp_ieee_inexact 0
		.amdhsa_exception_int_div_zero 0
	.end_amdhsa_kernel
	.section	.text._ZN7rocprim17ROCPRIM_400000_NS6detail17trampoline_kernelINS0_14default_configENS1_27scan_by_key_config_selectorIxxEEZZNS1_16scan_by_key_implILNS1_25lookback_scan_determinismE0ELb1ES3_N6thrust23THRUST_200600_302600_NS6detail15normal_iteratorINS9_10device_ptrIxEEEESE_SE_xNS9_4plusIvEENS9_8equal_toIvEExEE10hipError_tPvRmT2_T3_T4_T5_mT6_T7_P12ihipStream_tbENKUlT_T0_E_clISt17integral_constantIbLb1EESY_IbLb0EEEEDaSU_SV_EUlSU_E_NS1_11comp_targetILNS1_3genE9ELNS1_11target_archE1100ELNS1_3gpuE3ELNS1_3repE0EEENS1_30default_config_static_selectorELNS0_4arch9wavefront6targetE1EEEvT1_,"axG",@progbits,_ZN7rocprim17ROCPRIM_400000_NS6detail17trampoline_kernelINS0_14default_configENS1_27scan_by_key_config_selectorIxxEEZZNS1_16scan_by_key_implILNS1_25lookback_scan_determinismE0ELb1ES3_N6thrust23THRUST_200600_302600_NS6detail15normal_iteratorINS9_10device_ptrIxEEEESE_SE_xNS9_4plusIvEENS9_8equal_toIvEExEE10hipError_tPvRmT2_T3_T4_T5_mT6_T7_P12ihipStream_tbENKUlT_T0_E_clISt17integral_constantIbLb1EESY_IbLb0EEEEDaSU_SV_EUlSU_E_NS1_11comp_targetILNS1_3genE9ELNS1_11target_archE1100ELNS1_3gpuE3ELNS1_3repE0EEENS1_30default_config_static_selectorELNS0_4arch9wavefront6targetE1EEEvT1_,comdat
.Lfunc_end378:
	.size	_ZN7rocprim17ROCPRIM_400000_NS6detail17trampoline_kernelINS0_14default_configENS1_27scan_by_key_config_selectorIxxEEZZNS1_16scan_by_key_implILNS1_25lookback_scan_determinismE0ELb1ES3_N6thrust23THRUST_200600_302600_NS6detail15normal_iteratorINS9_10device_ptrIxEEEESE_SE_xNS9_4plusIvEENS9_8equal_toIvEExEE10hipError_tPvRmT2_T3_T4_T5_mT6_T7_P12ihipStream_tbENKUlT_T0_E_clISt17integral_constantIbLb1EESY_IbLb0EEEEDaSU_SV_EUlSU_E_NS1_11comp_targetILNS1_3genE9ELNS1_11target_archE1100ELNS1_3gpuE3ELNS1_3repE0EEENS1_30default_config_static_selectorELNS0_4arch9wavefront6targetE1EEEvT1_, .Lfunc_end378-_ZN7rocprim17ROCPRIM_400000_NS6detail17trampoline_kernelINS0_14default_configENS1_27scan_by_key_config_selectorIxxEEZZNS1_16scan_by_key_implILNS1_25lookback_scan_determinismE0ELb1ES3_N6thrust23THRUST_200600_302600_NS6detail15normal_iteratorINS9_10device_ptrIxEEEESE_SE_xNS9_4plusIvEENS9_8equal_toIvEExEE10hipError_tPvRmT2_T3_T4_T5_mT6_T7_P12ihipStream_tbENKUlT_T0_E_clISt17integral_constantIbLb1EESY_IbLb0EEEEDaSU_SV_EUlSU_E_NS1_11comp_targetILNS1_3genE9ELNS1_11target_archE1100ELNS1_3gpuE3ELNS1_3repE0EEENS1_30default_config_static_selectorELNS0_4arch9wavefront6targetE1EEEvT1_
                                        ; -- End function
	.section	.AMDGPU.csdata,"",@progbits
; Kernel info:
; codeLenInByte = 0
; NumSgprs: 4
; NumVgprs: 0
; NumAgprs: 0
; TotalNumVgprs: 0
; ScratchSize: 0
; MemoryBound: 0
; FloatMode: 240
; IeeeMode: 1
; LDSByteSize: 0 bytes/workgroup (compile time only)
; SGPRBlocks: 0
; VGPRBlocks: 0
; NumSGPRsForWavesPerEU: 4
; NumVGPRsForWavesPerEU: 1
; AccumOffset: 4
; Occupancy: 8
; WaveLimiterHint : 0
; COMPUTE_PGM_RSRC2:SCRATCH_EN: 0
; COMPUTE_PGM_RSRC2:USER_SGPR: 6
; COMPUTE_PGM_RSRC2:TRAP_HANDLER: 0
; COMPUTE_PGM_RSRC2:TGID_X_EN: 1
; COMPUTE_PGM_RSRC2:TGID_Y_EN: 0
; COMPUTE_PGM_RSRC2:TGID_Z_EN: 0
; COMPUTE_PGM_RSRC2:TIDIG_COMP_CNT: 0
; COMPUTE_PGM_RSRC3_GFX90A:ACCUM_OFFSET: 0
; COMPUTE_PGM_RSRC3_GFX90A:TG_SPLIT: 0
	.section	.text._ZN7rocprim17ROCPRIM_400000_NS6detail17trampoline_kernelINS0_14default_configENS1_27scan_by_key_config_selectorIxxEEZZNS1_16scan_by_key_implILNS1_25lookback_scan_determinismE0ELb1ES3_N6thrust23THRUST_200600_302600_NS6detail15normal_iteratorINS9_10device_ptrIxEEEESE_SE_xNS9_4plusIvEENS9_8equal_toIvEExEE10hipError_tPvRmT2_T3_T4_T5_mT6_T7_P12ihipStream_tbENKUlT_T0_E_clISt17integral_constantIbLb1EESY_IbLb0EEEEDaSU_SV_EUlSU_E_NS1_11comp_targetILNS1_3genE8ELNS1_11target_archE1030ELNS1_3gpuE2ELNS1_3repE0EEENS1_30default_config_static_selectorELNS0_4arch9wavefront6targetE1EEEvT1_,"axG",@progbits,_ZN7rocprim17ROCPRIM_400000_NS6detail17trampoline_kernelINS0_14default_configENS1_27scan_by_key_config_selectorIxxEEZZNS1_16scan_by_key_implILNS1_25lookback_scan_determinismE0ELb1ES3_N6thrust23THRUST_200600_302600_NS6detail15normal_iteratorINS9_10device_ptrIxEEEESE_SE_xNS9_4plusIvEENS9_8equal_toIvEExEE10hipError_tPvRmT2_T3_T4_T5_mT6_T7_P12ihipStream_tbENKUlT_T0_E_clISt17integral_constantIbLb1EESY_IbLb0EEEEDaSU_SV_EUlSU_E_NS1_11comp_targetILNS1_3genE8ELNS1_11target_archE1030ELNS1_3gpuE2ELNS1_3repE0EEENS1_30default_config_static_selectorELNS0_4arch9wavefront6targetE1EEEvT1_,comdat
	.protected	_ZN7rocprim17ROCPRIM_400000_NS6detail17trampoline_kernelINS0_14default_configENS1_27scan_by_key_config_selectorIxxEEZZNS1_16scan_by_key_implILNS1_25lookback_scan_determinismE0ELb1ES3_N6thrust23THRUST_200600_302600_NS6detail15normal_iteratorINS9_10device_ptrIxEEEESE_SE_xNS9_4plusIvEENS9_8equal_toIvEExEE10hipError_tPvRmT2_T3_T4_T5_mT6_T7_P12ihipStream_tbENKUlT_T0_E_clISt17integral_constantIbLb1EESY_IbLb0EEEEDaSU_SV_EUlSU_E_NS1_11comp_targetILNS1_3genE8ELNS1_11target_archE1030ELNS1_3gpuE2ELNS1_3repE0EEENS1_30default_config_static_selectorELNS0_4arch9wavefront6targetE1EEEvT1_ ; -- Begin function _ZN7rocprim17ROCPRIM_400000_NS6detail17trampoline_kernelINS0_14default_configENS1_27scan_by_key_config_selectorIxxEEZZNS1_16scan_by_key_implILNS1_25lookback_scan_determinismE0ELb1ES3_N6thrust23THRUST_200600_302600_NS6detail15normal_iteratorINS9_10device_ptrIxEEEESE_SE_xNS9_4plusIvEENS9_8equal_toIvEExEE10hipError_tPvRmT2_T3_T4_T5_mT6_T7_P12ihipStream_tbENKUlT_T0_E_clISt17integral_constantIbLb1EESY_IbLb0EEEEDaSU_SV_EUlSU_E_NS1_11comp_targetILNS1_3genE8ELNS1_11target_archE1030ELNS1_3gpuE2ELNS1_3repE0EEENS1_30default_config_static_selectorELNS0_4arch9wavefront6targetE1EEEvT1_
	.globl	_ZN7rocprim17ROCPRIM_400000_NS6detail17trampoline_kernelINS0_14default_configENS1_27scan_by_key_config_selectorIxxEEZZNS1_16scan_by_key_implILNS1_25lookback_scan_determinismE0ELb1ES3_N6thrust23THRUST_200600_302600_NS6detail15normal_iteratorINS9_10device_ptrIxEEEESE_SE_xNS9_4plusIvEENS9_8equal_toIvEExEE10hipError_tPvRmT2_T3_T4_T5_mT6_T7_P12ihipStream_tbENKUlT_T0_E_clISt17integral_constantIbLb1EESY_IbLb0EEEEDaSU_SV_EUlSU_E_NS1_11comp_targetILNS1_3genE8ELNS1_11target_archE1030ELNS1_3gpuE2ELNS1_3repE0EEENS1_30default_config_static_selectorELNS0_4arch9wavefront6targetE1EEEvT1_
	.p2align	8
	.type	_ZN7rocprim17ROCPRIM_400000_NS6detail17trampoline_kernelINS0_14default_configENS1_27scan_by_key_config_selectorIxxEEZZNS1_16scan_by_key_implILNS1_25lookback_scan_determinismE0ELb1ES3_N6thrust23THRUST_200600_302600_NS6detail15normal_iteratorINS9_10device_ptrIxEEEESE_SE_xNS9_4plusIvEENS9_8equal_toIvEExEE10hipError_tPvRmT2_T3_T4_T5_mT6_T7_P12ihipStream_tbENKUlT_T0_E_clISt17integral_constantIbLb1EESY_IbLb0EEEEDaSU_SV_EUlSU_E_NS1_11comp_targetILNS1_3genE8ELNS1_11target_archE1030ELNS1_3gpuE2ELNS1_3repE0EEENS1_30default_config_static_selectorELNS0_4arch9wavefront6targetE1EEEvT1_,@function
_ZN7rocprim17ROCPRIM_400000_NS6detail17trampoline_kernelINS0_14default_configENS1_27scan_by_key_config_selectorIxxEEZZNS1_16scan_by_key_implILNS1_25lookback_scan_determinismE0ELb1ES3_N6thrust23THRUST_200600_302600_NS6detail15normal_iteratorINS9_10device_ptrIxEEEESE_SE_xNS9_4plusIvEENS9_8equal_toIvEExEE10hipError_tPvRmT2_T3_T4_T5_mT6_T7_P12ihipStream_tbENKUlT_T0_E_clISt17integral_constantIbLb1EESY_IbLb0EEEEDaSU_SV_EUlSU_E_NS1_11comp_targetILNS1_3genE8ELNS1_11target_archE1030ELNS1_3gpuE2ELNS1_3repE0EEENS1_30default_config_static_selectorELNS0_4arch9wavefront6targetE1EEEvT1_: ; @_ZN7rocprim17ROCPRIM_400000_NS6detail17trampoline_kernelINS0_14default_configENS1_27scan_by_key_config_selectorIxxEEZZNS1_16scan_by_key_implILNS1_25lookback_scan_determinismE0ELb1ES3_N6thrust23THRUST_200600_302600_NS6detail15normal_iteratorINS9_10device_ptrIxEEEESE_SE_xNS9_4plusIvEENS9_8equal_toIvEExEE10hipError_tPvRmT2_T3_T4_T5_mT6_T7_P12ihipStream_tbENKUlT_T0_E_clISt17integral_constantIbLb1EESY_IbLb0EEEEDaSU_SV_EUlSU_E_NS1_11comp_targetILNS1_3genE8ELNS1_11target_archE1030ELNS1_3gpuE2ELNS1_3repE0EEENS1_30default_config_static_selectorELNS0_4arch9wavefront6targetE1EEEvT1_
; %bb.0:
	.section	.rodata,"a",@progbits
	.p2align	6, 0x0
	.amdhsa_kernel _ZN7rocprim17ROCPRIM_400000_NS6detail17trampoline_kernelINS0_14default_configENS1_27scan_by_key_config_selectorIxxEEZZNS1_16scan_by_key_implILNS1_25lookback_scan_determinismE0ELb1ES3_N6thrust23THRUST_200600_302600_NS6detail15normal_iteratorINS9_10device_ptrIxEEEESE_SE_xNS9_4plusIvEENS9_8equal_toIvEExEE10hipError_tPvRmT2_T3_T4_T5_mT6_T7_P12ihipStream_tbENKUlT_T0_E_clISt17integral_constantIbLb1EESY_IbLb0EEEEDaSU_SV_EUlSU_E_NS1_11comp_targetILNS1_3genE8ELNS1_11target_archE1030ELNS1_3gpuE2ELNS1_3repE0EEENS1_30default_config_static_selectorELNS0_4arch9wavefront6targetE1EEEvT1_
		.amdhsa_group_segment_fixed_size 0
		.amdhsa_private_segment_fixed_size 0
		.amdhsa_kernarg_size 136
		.amdhsa_user_sgpr_count 6
		.amdhsa_user_sgpr_private_segment_buffer 1
		.amdhsa_user_sgpr_dispatch_ptr 0
		.amdhsa_user_sgpr_queue_ptr 0
		.amdhsa_user_sgpr_kernarg_segment_ptr 1
		.amdhsa_user_sgpr_dispatch_id 0
		.amdhsa_user_sgpr_flat_scratch_init 0
		.amdhsa_user_sgpr_kernarg_preload_length 0
		.amdhsa_user_sgpr_kernarg_preload_offset 0
		.amdhsa_user_sgpr_private_segment_size 0
		.amdhsa_uses_dynamic_stack 0
		.amdhsa_system_sgpr_private_segment_wavefront_offset 0
		.amdhsa_system_sgpr_workgroup_id_x 1
		.amdhsa_system_sgpr_workgroup_id_y 0
		.amdhsa_system_sgpr_workgroup_id_z 0
		.amdhsa_system_sgpr_workgroup_info 0
		.amdhsa_system_vgpr_workitem_id 0
		.amdhsa_next_free_vgpr 1
		.amdhsa_next_free_sgpr 0
		.amdhsa_accum_offset 4
		.amdhsa_reserve_vcc 0
		.amdhsa_reserve_flat_scratch 0
		.amdhsa_float_round_mode_32 0
		.amdhsa_float_round_mode_16_64 0
		.amdhsa_float_denorm_mode_32 3
		.amdhsa_float_denorm_mode_16_64 3
		.amdhsa_dx10_clamp 1
		.amdhsa_ieee_mode 1
		.amdhsa_fp16_overflow 0
		.amdhsa_tg_split 0
		.amdhsa_exception_fp_ieee_invalid_op 0
		.amdhsa_exception_fp_denorm_src 0
		.amdhsa_exception_fp_ieee_div_zero 0
		.amdhsa_exception_fp_ieee_overflow 0
		.amdhsa_exception_fp_ieee_underflow 0
		.amdhsa_exception_fp_ieee_inexact 0
		.amdhsa_exception_int_div_zero 0
	.end_amdhsa_kernel
	.section	.text._ZN7rocprim17ROCPRIM_400000_NS6detail17trampoline_kernelINS0_14default_configENS1_27scan_by_key_config_selectorIxxEEZZNS1_16scan_by_key_implILNS1_25lookback_scan_determinismE0ELb1ES3_N6thrust23THRUST_200600_302600_NS6detail15normal_iteratorINS9_10device_ptrIxEEEESE_SE_xNS9_4plusIvEENS9_8equal_toIvEExEE10hipError_tPvRmT2_T3_T4_T5_mT6_T7_P12ihipStream_tbENKUlT_T0_E_clISt17integral_constantIbLb1EESY_IbLb0EEEEDaSU_SV_EUlSU_E_NS1_11comp_targetILNS1_3genE8ELNS1_11target_archE1030ELNS1_3gpuE2ELNS1_3repE0EEENS1_30default_config_static_selectorELNS0_4arch9wavefront6targetE1EEEvT1_,"axG",@progbits,_ZN7rocprim17ROCPRIM_400000_NS6detail17trampoline_kernelINS0_14default_configENS1_27scan_by_key_config_selectorIxxEEZZNS1_16scan_by_key_implILNS1_25lookback_scan_determinismE0ELb1ES3_N6thrust23THRUST_200600_302600_NS6detail15normal_iteratorINS9_10device_ptrIxEEEESE_SE_xNS9_4plusIvEENS9_8equal_toIvEExEE10hipError_tPvRmT2_T3_T4_T5_mT6_T7_P12ihipStream_tbENKUlT_T0_E_clISt17integral_constantIbLb1EESY_IbLb0EEEEDaSU_SV_EUlSU_E_NS1_11comp_targetILNS1_3genE8ELNS1_11target_archE1030ELNS1_3gpuE2ELNS1_3repE0EEENS1_30default_config_static_selectorELNS0_4arch9wavefront6targetE1EEEvT1_,comdat
.Lfunc_end379:
	.size	_ZN7rocprim17ROCPRIM_400000_NS6detail17trampoline_kernelINS0_14default_configENS1_27scan_by_key_config_selectorIxxEEZZNS1_16scan_by_key_implILNS1_25lookback_scan_determinismE0ELb1ES3_N6thrust23THRUST_200600_302600_NS6detail15normal_iteratorINS9_10device_ptrIxEEEESE_SE_xNS9_4plusIvEENS9_8equal_toIvEExEE10hipError_tPvRmT2_T3_T4_T5_mT6_T7_P12ihipStream_tbENKUlT_T0_E_clISt17integral_constantIbLb1EESY_IbLb0EEEEDaSU_SV_EUlSU_E_NS1_11comp_targetILNS1_3genE8ELNS1_11target_archE1030ELNS1_3gpuE2ELNS1_3repE0EEENS1_30default_config_static_selectorELNS0_4arch9wavefront6targetE1EEEvT1_, .Lfunc_end379-_ZN7rocprim17ROCPRIM_400000_NS6detail17trampoline_kernelINS0_14default_configENS1_27scan_by_key_config_selectorIxxEEZZNS1_16scan_by_key_implILNS1_25lookback_scan_determinismE0ELb1ES3_N6thrust23THRUST_200600_302600_NS6detail15normal_iteratorINS9_10device_ptrIxEEEESE_SE_xNS9_4plusIvEENS9_8equal_toIvEExEE10hipError_tPvRmT2_T3_T4_T5_mT6_T7_P12ihipStream_tbENKUlT_T0_E_clISt17integral_constantIbLb1EESY_IbLb0EEEEDaSU_SV_EUlSU_E_NS1_11comp_targetILNS1_3genE8ELNS1_11target_archE1030ELNS1_3gpuE2ELNS1_3repE0EEENS1_30default_config_static_selectorELNS0_4arch9wavefront6targetE1EEEvT1_
                                        ; -- End function
	.section	.AMDGPU.csdata,"",@progbits
; Kernel info:
; codeLenInByte = 0
; NumSgprs: 4
; NumVgprs: 0
; NumAgprs: 0
; TotalNumVgprs: 0
; ScratchSize: 0
; MemoryBound: 0
; FloatMode: 240
; IeeeMode: 1
; LDSByteSize: 0 bytes/workgroup (compile time only)
; SGPRBlocks: 0
; VGPRBlocks: 0
; NumSGPRsForWavesPerEU: 4
; NumVGPRsForWavesPerEU: 1
; AccumOffset: 4
; Occupancy: 8
; WaveLimiterHint : 0
; COMPUTE_PGM_RSRC2:SCRATCH_EN: 0
; COMPUTE_PGM_RSRC2:USER_SGPR: 6
; COMPUTE_PGM_RSRC2:TRAP_HANDLER: 0
; COMPUTE_PGM_RSRC2:TGID_X_EN: 1
; COMPUTE_PGM_RSRC2:TGID_Y_EN: 0
; COMPUTE_PGM_RSRC2:TGID_Z_EN: 0
; COMPUTE_PGM_RSRC2:TIDIG_COMP_CNT: 0
; COMPUTE_PGM_RSRC3_GFX90A:ACCUM_OFFSET: 0
; COMPUTE_PGM_RSRC3_GFX90A:TG_SPLIT: 0
	.section	.text._ZN7rocprim17ROCPRIM_400000_NS6detail17trampoline_kernelINS0_14default_configENS1_27scan_by_key_config_selectorIxxEEZZNS1_16scan_by_key_implILNS1_25lookback_scan_determinismE0ELb1ES3_N6thrust23THRUST_200600_302600_NS6detail15normal_iteratorINS9_10device_ptrIxEEEESE_SE_xNS9_4plusIvEENS9_8equal_toIvEExEE10hipError_tPvRmT2_T3_T4_T5_mT6_T7_P12ihipStream_tbENKUlT_T0_E_clISt17integral_constantIbLb0EESY_IbLb1EEEEDaSU_SV_EUlSU_E_NS1_11comp_targetILNS1_3genE0ELNS1_11target_archE4294967295ELNS1_3gpuE0ELNS1_3repE0EEENS1_30default_config_static_selectorELNS0_4arch9wavefront6targetE1EEEvT1_,"axG",@progbits,_ZN7rocprim17ROCPRIM_400000_NS6detail17trampoline_kernelINS0_14default_configENS1_27scan_by_key_config_selectorIxxEEZZNS1_16scan_by_key_implILNS1_25lookback_scan_determinismE0ELb1ES3_N6thrust23THRUST_200600_302600_NS6detail15normal_iteratorINS9_10device_ptrIxEEEESE_SE_xNS9_4plusIvEENS9_8equal_toIvEExEE10hipError_tPvRmT2_T3_T4_T5_mT6_T7_P12ihipStream_tbENKUlT_T0_E_clISt17integral_constantIbLb0EESY_IbLb1EEEEDaSU_SV_EUlSU_E_NS1_11comp_targetILNS1_3genE0ELNS1_11target_archE4294967295ELNS1_3gpuE0ELNS1_3repE0EEENS1_30default_config_static_selectorELNS0_4arch9wavefront6targetE1EEEvT1_,comdat
	.protected	_ZN7rocprim17ROCPRIM_400000_NS6detail17trampoline_kernelINS0_14default_configENS1_27scan_by_key_config_selectorIxxEEZZNS1_16scan_by_key_implILNS1_25lookback_scan_determinismE0ELb1ES3_N6thrust23THRUST_200600_302600_NS6detail15normal_iteratorINS9_10device_ptrIxEEEESE_SE_xNS9_4plusIvEENS9_8equal_toIvEExEE10hipError_tPvRmT2_T3_T4_T5_mT6_T7_P12ihipStream_tbENKUlT_T0_E_clISt17integral_constantIbLb0EESY_IbLb1EEEEDaSU_SV_EUlSU_E_NS1_11comp_targetILNS1_3genE0ELNS1_11target_archE4294967295ELNS1_3gpuE0ELNS1_3repE0EEENS1_30default_config_static_selectorELNS0_4arch9wavefront6targetE1EEEvT1_ ; -- Begin function _ZN7rocprim17ROCPRIM_400000_NS6detail17trampoline_kernelINS0_14default_configENS1_27scan_by_key_config_selectorIxxEEZZNS1_16scan_by_key_implILNS1_25lookback_scan_determinismE0ELb1ES3_N6thrust23THRUST_200600_302600_NS6detail15normal_iteratorINS9_10device_ptrIxEEEESE_SE_xNS9_4plusIvEENS9_8equal_toIvEExEE10hipError_tPvRmT2_T3_T4_T5_mT6_T7_P12ihipStream_tbENKUlT_T0_E_clISt17integral_constantIbLb0EESY_IbLb1EEEEDaSU_SV_EUlSU_E_NS1_11comp_targetILNS1_3genE0ELNS1_11target_archE4294967295ELNS1_3gpuE0ELNS1_3repE0EEENS1_30default_config_static_selectorELNS0_4arch9wavefront6targetE1EEEvT1_
	.globl	_ZN7rocprim17ROCPRIM_400000_NS6detail17trampoline_kernelINS0_14default_configENS1_27scan_by_key_config_selectorIxxEEZZNS1_16scan_by_key_implILNS1_25lookback_scan_determinismE0ELb1ES3_N6thrust23THRUST_200600_302600_NS6detail15normal_iteratorINS9_10device_ptrIxEEEESE_SE_xNS9_4plusIvEENS9_8equal_toIvEExEE10hipError_tPvRmT2_T3_T4_T5_mT6_T7_P12ihipStream_tbENKUlT_T0_E_clISt17integral_constantIbLb0EESY_IbLb1EEEEDaSU_SV_EUlSU_E_NS1_11comp_targetILNS1_3genE0ELNS1_11target_archE4294967295ELNS1_3gpuE0ELNS1_3repE0EEENS1_30default_config_static_selectorELNS0_4arch9wavefront6targetE1EEEvT1_
	.p2align	8
	.type	_ZN7rocprim17ROCPRIM_400000_NS6detail17trampoline_kernelINS0_14default_configENS1_27scan_by_key_config_selectorIxxEEZZNS1_16scan_by_key_implILNS1_25lookback_scan_determinismE0ELb1ES3_N6thrust23THRUST_200600_302600_NS6detail15normal_iteratorINS9_10device_ptrIxEEEESE_SE_xNS9_4plusIvEENS9_8equal_toIvEExEE10hipError_tPvRmT2_T3_T4_T5_mT6_T7_P12ihipStream_tbENKUlT_T0_E_clISt17integral_constantIbLb0EESY_IbLb1EEEEDaSU_SV_EUlSU_E_NS1_11comp_targetILNS1_3genE0ELNS1_11target_archE4294967295ELNS1_3gpuE0ELNS1_3repE0EEENS1_30default_config_static_selectorELNS0_4arch9wavefront6targetE1EEEvT1_,@function
_ZN7rocprim17ROCPRIM_400000_NS6detail17trampoline_kernelINS0_14default_configENS1_27scan_by_key_config_selectorIxxEEZZNS1_16scan_by_key_implILNS1_25lookback_scan_determinismE0ELb1ES3_N6thrust23THRUST_200600_302600_NS6detail15normal_iteratorINS9_10device_ptrIxEEEESE_SE_xNS9_4plusIvEENS9_8equal_toIvEExEE10hipError_tPvRmT2_T3_T4_T5_mT6_T7_P12ihipStream_tbENKUlT_T0_E_clISt17integral_constantIbLb0EESY_IbLb1EEEEDaSU_SV_EUlSU_E_NS1_11comp_targetILNS1_3genE0ELNS1_11target_archE4294967295ELNS1_3gpuE0ELNS1_3repE0EEENS1_30default_config_static_selectorELNS0_4arch9wavefront6targetE1EEEvT1_: ; @_ZN7rocprim17ROCPRIM_400000_NS6detail17trampoline_kernelINS0_14default_configENS1_27scan_by_key_config_selectorIxxEEZZNS1_16scan_by_key_implILNS1_25lookback_scan_determinismE0ELb1ES3_N6thrust23THRUST_200600_302600_NS6detail15normal_iteratorINS9_10device_ptrIxEEEESE_SE_xNS9_4plusIvEENS9_8equal_toIvEExEE10hipError_tPvRmT2_T3_T4_T5_mT6_T7_P12ihipStream_tbENKUlT_T0_E_clISt17integral_constantIbLb0EESY_IbLb1EEEEDaSU_SV_EUlSU_E_NS1_11comp_targetILNS1_3genE0ELNS1_11target_archE4294967295ELNS1_3gpuE0ELNS1_3repE0EEENS1_30default_config_static_selectorELNS0_4arch9wavefront6targetE1EEEvT1_
; %bb.0:
	.section	.rodata,"a",@progbits
	.p2align	6, 0x0
	.amdhsa_kernel _ZN7rocprim17ROCPRIM_400000_NS6detail17trampoline_kernelINS0_14default_configENS1_27scan_by_key_config_selectorIxxEEZZNS1_16scan_by_key_implILNS1_25lookback_scan_determinismE0ELb1ES3_N6thrust23THRUST_200600_302600_NS6detail15normal_iteratorINS9_10device_ptrIxEEEESE_SE_xNS9_4plusIvEENS9_8equal_toIvEExEE10hipError_tPvRmT2_T3_T4_T5_mT6_T7_P12ihipStream_tbENKUlT_T0_E_clISt17integral_constantIbLb0EESY_IbLb1EEEEDaSU_SV_EUlSU_E_NS1_11comp_targetILNS1_3genE0ELNS1_11target_archE4294967295ELNS1_3gpuE0ELNS1_3repE0EEENS1_30default_config_static_selectorELNS0_4arch9wavefront6targetE1EEEvT1_
		.amdhsa_group_segment_fixed_size 0
		.amdhsa_private_segment_fixed_size 0
		.amdhsa_kernarg_size 136
		.amdhsa_user_sgpr_count 6
		.amdhsa_user_sgpr_private_segment_buffer 1
		.amdhsa_user_sgpr_dispatch_ptr 0
		.amdhsa_user_sgpr_queue_ptr 0
		.amdhsa_user_sgpr_kernarg_segment_ptr 1
		.amdhsa_user_sgpr_dispatch_id 0
		.amdhsa_user_sgpr_flat_scratch_init 0
		.amdhsa_user_sgpr_kernarg_preload_length 0
		.amdhsa_user_sgpr_kernarg_preload_offset 0
		.amdhsa_user_sgpr_private_segment_size 0
		.amdhsa_uses_dynamic_stack 0
		.amdhsa_system_sgpr_private_segment_wavefront_offset 0
		.amdhsa_system_sgpr_workgroup_id_x 1
		.amdhsa_system_sgpr_workgroup_id_y 0
		.amdhsa_system_sgpr_workgroup_id_z 0
		.amdhsa_system_sgpr_workgroup_info 0
		.amdhsa_system_vgpr_workitem_id 0
		.amdhsa_next_free_vgpr 1
		.amdhsa_next_free_sgpr 0
		.amdhsa_accum_offset 4
		.amdhsa_reserve_vcc 0
		.amdhsa_reserve_flat_scratch 0
		.amdhsa_float_round_mode_32 0
		.amdhsa_float_round_mode_16_64 0
		.amdhsa_float_denorm_mode_32 3
		.amdhsa_float_denorm_mode_16_64 3
		.amdhsa_dx10_clamp 1
		.amdhsa_ieee_mode 1
		.amdhsa_fp16_overflow 0
		.amdhsa_tg_split 0
		.amdhsa_exception_fp_ieee_invalid_op 0
		.amdhsa_exception_fp_denorm_src 0
		.amdhsa_exception_fp_ieee_div_zero 0
		.amdhsa_exception_fp_ieee_overflow 0
		.amdhsa_exception_fp_ieee_underflow 0
		.amdhsa_exception_fp_ieee_inexact 0
		.amdhsa_exception_int_div_zero 0
	.end_amdhsa_kernel
	.section	.text._ZN7rocprim17ROCPRIM_400000_NS6detail17trampoline_kernelINS0_14default_configENS1_27scan_by_key_config_selectorIxxEEZZNS1_16scan_by_key_implILNS1_25lookback_scan_determinismE0ELb1ES3_N6thrust23THRUST_200600_302600_NS6detail15normal_iteratorINS9_10device_ptrIxEEEESE_SE_xNS9_4plusIvEENS9_8equal_toIvEExEE10hipError_tPvRmT2_T3_T4_T5_mT6_T7_P12ihipStream_tbENKUlT_T0_E_clISt17integral_constantIbLb0EESY_IbLb1EEEEDaSU_SV_EUlSU_E_NS1_11comp_targetILNS1_3genE0ELNS1_11target_archE4294967295ELNS1_3gpuE0ELNS1_3repE0EEENS1_30default_config_static_selectorELNS0_4arch9wavefront6targetE1EEEvT1_,"axG",@progbits,_ZN7rocprim17ROCPRIM_400000_NS6detail17trampoline_kernelINS0_14default_configENS1_27scan_by_key_config_selectorIxxEEZZNS1_16scan_by_key_implILNS1_25lookback_scan_determinismE0ELb1ES3_N6thrust23THRUST_200600_302600_NS6detail15normal_iteratorINS9_10device_ptrIxEEEESE_SE_xNS9_4plusIvEENS9_8equal_toIvEExEE10hipError_tPvRmT2_T3_T4_T5_mT6_T7_P12ihipStream_tbENKUlT_T0_E_clISt17integral_constantIbLb0EESY_IbLb1EEEEDaSU_SV_EUlSU_E_NS1_11comp_targetILNS1_3genE0ELNS1_11target_archE4294967295ELNS1_3gpuE0ELNS1_3repE0EEENS1_30default_config_static_selectorELNS0_4arch9wavefront6targetE1EEEvT1_,comdat
.Lfunc_end380:
	.size	_ZN7rocprim17ROCPRIM_400000_NS6detail17trampoline_kernelINS0_14default_configENS1_27scan_by_key_config_selectorIxxEEZZNS1_16scan_by_key_implILNS1_25lookback_scan_determinismE0ELb1ES3_N6thrust23THRUST_200600_302600_NS6detail15normal_iteratorINS9_10device_ptrIxEEEESE_SE_xNS9_4plusIvEENS9_8equal_toIvEExEE10hipError_tPvRmT2_T3_T4_T5_mT6_T7_P12ihipStream_tbENKUlT_T0_E_clISt17integral_constantIbLb0EESY_IbLb1EEEEDaSU_SV_EUlSU_E_NS1_11comp_targetILNS1_3genE0ELNS1_11target_archE4294967295ELNS1_3gpuE0ELNS1_3repE0EEENS1_30default_config_static_selectorELNS0_4arch9wavefront6targetE1EEEvT1_, .Lfunc_end380-_ZN7rocprim17ROCPRIM_400000_NS6detail17trampoline_kernelINS0_14default_configENS1_27scan_by_key_config_selectorIxxEEZZNS1_16scan_by_key_implILNS1_25lookback_scan_determinismE0ELb1ES3_N6thrust23THRUST_200600_302600_NS6detail15normal_iteratorINS9_10device_ptrIxEEEESE_SE_xNS9_4plusIvEENS9_8equal_toIvEExEE10hipError_tPvRmT2_T3_T4_T5_mT6_T7_P12ihipStream_tbENKUlT_T0_E_clISt17integral_constantIbLb0EESY_IbLb1EEEEDaSU_SV_EUlSU_E_NS1_11comp_targetILNS1_3genE0ELNS1_11target_archE4294967295ELNS1_3gpuE0ELNS1_3repE0EEENS1_30default_config_static_selectorELNS0_4arch9wavefront6targetE1EEEvT1_
                                        ; -- End function
	.section	.AMDGPU.csdata,"",@progbits
; Kernel info:
; codeLenInByte = 0
; NumSgprs: 4
; NumVgprs: 0
; NumAgprs: 0
; TotalNumVgprs: 0
; ScratchSize: 0
; MemoryBound: 0
; FloatMode: 240
; IeeeMode: 1
; LDSByteSize: 0 bytes/workgroup (compile time only)
; SGPRBlocks: 0
; VGPRBlocks: 0
; NumSGPRsForWavesPerEU: 4
; NumVGPRsForWavesPerEU: 1
; AccumOffset: 4
; Occupancy: 8
; WaveLimiterHint : 0
; COMPUTE_PGM_RSRC2:SCRATCH_EN: 0
; COMPUTE_PGM_RSRC2:USER_SGPR: 6
; COMPUTE_PGM_RSRC2:TRAP_HANDLER: 0
; COMPUTE_PGM_RSRC2:TGID_X_EN: 1
; COMPUTE_PGM_RSRC2:TGID_Y_EN: 0
; COMPUTE_PGM_RSRC2:TGID_Z_EN: 0
; COMPUTE_PGM_RSRC2:TIDIG_COMP_CNT: 0
; COMPUTE_PGM_RSRC3_GFX90A:ACCUM_OFFSET: 0
; COMPUTE_PGM_RSRC3_GFX90A:TG_SPLIT: 0
	.section	.text._ZN7rocprim17ROCPRIM_400000_NS6detail17trampoline_kernelINS0_14default_configENS1_27scan_by_key_config_selectorIxxEEZZNS1_16scan_by_key_implILNS1_25lookback_scan_determinismE0ELb1ES3_N6thrust23THRUST_200600_302600_NS6detail15normal_iteratorINS9_10device_ptrIxEEEESE_SE_xNS9_4plusIvEENS9_8equal_toIvEExEE10hipError_tPvRmT2_T3_T4_T5_mT6_T7_P12ihipStream_tbENKUlT_T0_E_clISt17integral_constantIbLb0EESY_IbLb1EEEEDaSU_SV_EUlSU_E_NS1_11comp_targetILNS1_3genE10ELNS1_11target_archE1201ELNS1_3gpuE5ELNS1_3repE0EEENS1_30default_config_static_selectorELNS0_4arch9wavefront6targetE1EEEvT1_,"axG",@progbits,_ZN7rocprim17ROCPRIM_400000_NS6detail17trampoline_kernelINS0_14default_configENS1_27scan_by_key_config_selectorIxxEEZZNS1_16scan_by_key_implILNS1_25lookback_scan_determinismE0ELb1ES3_N6thrust23THRUST_200600_302600_NS6detail15normal_iteratorINS9_10device_ptrIxEEEESE_SE_xNS9_4plusIvEENS9_8equal_toIvEExEE10hipError_tPvRmT2_T3_T4_T5_mT6_T7_P12ihipStream_tbENKUlT_T0_E_clISt17integral_constantIbLb0EESY_IbLb1EEEEDaSU_SV_EUlSU_E_NS1_11comp_targetILNS1_3genE10ELNS1_11target_archE1201ELNS1_3gpuE5ELNS1_3repE0EEENS1_30default_config_static_selectorELNS0_4arch9wavefront6targetE1EEEvT1_,comdat
	.protected	_ZN7rocprim17ROCPRIM_400000_NS6detail17trampoline_kernelINS0_14default_configENS1_27scan_by_key_config_selectorIxxEEZZNS1_16scan_by_key_implILNS1_25lookback_scan_determinismE0ELb1ES3_N6thrust23THRUST_200600_302600_NS6detail15normal_iteratorINS9_10device_ptrIxEEEESE_SE_xNS9_4plusIvEENS9_8equal_toIvEExEE10hipError_tPvRmT2_T3_T4_T5_mT6_T7_P12ihipStream_tbENKUlT_T0_E_clISt17integral_constantIbLb0EESY_IbLb1EEEEDaSU_SV_EUlSU_E_NS1_11comp_targetILNS1_3genE10ELNS1_11target_archE1201ELNS1_3gpuE5ELNS1_3repE0EEENS1_30default_config_static_selectorELNS0_4arch9wavefront6targetE1EEEvT1_ ; -- Begin function _ZN7rocprim17ROCPRIM_400000_NS6detail17trampoline_kernelINS0_14default_configENS1_27scan_by_key_config_selectorIxxEEZZNS1_16scan_by_key_implILNS1_25lookback_scan_determinismE0ELb1ES3_N6thrust23THRUST_200600_302600_NS6detail15normal_iteratorINS9_10device_ptrIxEEEESE_SE_xNS9_4plusIvEENS9_8equal_toIvEExEE10hipError_tPvRmT2_T3_T4_T5_mT6_T7_P12ihipStream_tbENKUlT_T0_E_clISt17integral_constantIbLb0EESY_IbLb1EEEEDaSU_SV_EUlSU_E_NS1_11comp_targetILNS1_3genE10ELNS1_11target_archE1201ELNS1_3gpuE5ELNS1_3repE0EEENS1_30default_config_static_selectorELNS0_4arch9wavefront6targetE1EEEvT1_
	.globl	_ZN7rocprim17ROCPRIM_400000_NS6detail17trampoline_kernelINS0_14default_configENS1_27scan_by_key_config_selectorIxxEEZZNS1_16scan_by_key_implILNS1_25lookback_scan_determinismE0ELb1ES3_N6thrust23THRUST_200600_302600_NS6detail15normal_iteratorINS9_10device_ptrIxEEEESE_SE_xNS9_4plusIvEENS9_8equal_toIvEExEE10hipError_tPvRmT2_T3_T4_T5_mT6_T7_P12ihipStream_tbENKUlT_T0_E_clISt17integral_constantIbLb0EESY_IbLb1EEEEDaSU_SV_EUlSU_E_NS1_11comp_targetILNS1_3genE10ELNS1_11target_archE1201ELNS1_3gpuE5ELNS1_3repE0EEENS1_30default_config_static_selectorELNS0_4arch9wavefront6targetE1EEEvT1_
	.p2align	8
	.type	_ZN7rocprim17ROCPRIM_400000_NS6detail17trampoline_kernelINS0_14default_configENS1_27scan_by_key_config_selectorIxxEEZZNS1_16scan_by_key_implILNS1_25lookback_scan_determinismE0ELb1ES3_N6thrust23THRUST_200600_302600_NS6detail15normal_iteratorINS9_10device_ptrIxEEEESE_SE_xNS9_4plusIvEENS9_8equal_toIvEExEE10hipError_tPvRmT2_T3_T4_T5_mT6_T7_P12ihipStream_tbENKUlT_T0_E_clISt17integral_constantIbLb0EESY_IbLb1EEEEDaSU_SV_EUlSU_E_NS1_11comp_targetILNS1_3genE10ELNS1_11target_archE1201ELNS1_3gpuE5ELNS1_3repE0EEENS1_30default_config_static_selectorELNS0_4arch9wavefront6targetE1EEEvT1_,@function
_ZN7rocprim17ROCPRIM_400000_NS6detail17trampoline_kernelINS0_14default_configENS1_27scan_by_key_config_selectorIxxEEZZNS1_16scan_by_key_implILNS1_25lookback_scan_determinismE0ELb1ES3_N6thrust23THRUST_200600_302600_NS6detail15normal_iteratorINS9_10device_ptrIxEEEESE_SE_xNS9_4plusIvEENS9_8equal_toIvEExEE10hipError_tPvRmT2_T3_T4_T5_mT6_T7_P12ihipStream_tbENKUlT_T0_E_clISt17integral_constantIbLb0EESY_IbLb1EEEEDaSU_SV_EUlSU_E_NS1_11comp_targetILNS1_3genE10ELNS1_11target_archE1201ELNS1_3gpuE5ELNS1_3repE0EEENS1_30default_config_static_selectorELNS0_4arch9wavefront6targetE1EEEvT1_: ; @_ZN7rocprim17ROCPRIM_400000_NS6detail17trampoline_kernelINS0_14default_configENS1_27scan_by_key_config_selectorIxxEEZZNS1_16scan_by_key_implILNS1_25lookback_scan_determinismE0ELb1ES3_N6thrust23THRUST_200600_302600_NS6detail15normal_iteratorINS9_10device_ptrIxEEEESE_SE_xNS9_4plusIvEENS9_8equal_toIvEExEE10hipError_tPvRmT2_T3_T4_T5_mT6_T7_P12ihipStream_tbENKUlT_T0_E_clISt17integral_constantIbLb0EESY_IbLb1EEEEDaSU_SV_EUlSU_E_NS1_11comp_targetILNS1_3genE10ELNS1_11target_archE1201ELNS1_3gpuE5ELNS1_3repE0EEENS1_30default_config_static_selectorELNS0_4arch9wavefront6targetE1EEEvT1_
; %bb.0:
	.section	.rodata,"a",@progbits
	.p2align	6, 0x0
	.amdhsa_kernel _ZN7rocprim17ROCPRIM_400000_NS6detail17trampoline_kernelINS0_14default_configENS1_27scan_by_key_config_selectorIxxEEZZNS1_16scan_by_key_implILNS1_25lookback_scan_determinismE0ELb1ES3_N6thrust23THRUST_200600_302600_NS6detail15normal_iteratorINS9_10device_ptrIxEEEESE_SE_xNS9_4plusIvEENS9_8equal_toIvEExEE10hipError_tPvRmT2_T3_T4_T5_mT6_T7_P12ihipStream_tbENKUlT_T0_E_clISt17integral_constantIbLb0EESY_IbLb1EEEEDaSU_SV_EUlSU_E_NS1_11comp_targetILNS1_3genE10ELNS1_11target_archE1201ELNS1_3gpuE5ELNS1_3repE0EEENS1_30default_config_static_selectorELNS0_4arch9wavefront6targetE1EEEvT1_
		.amdhsa_group_segment_fixed_size 0
		.amdhsa_private_segment_fixed_size 0
		.amdhsa_kernarg_size 136
		.amdhsa_user_sgpr_count 6
		.amdhsa_user_sgpr_private_segment_buffer 1
		.amdhsa_user_sgpr_dispatch_ptr 0
		.amdhsa_user_sgpr_queue_ptr 0
		.amdhsa_user_sgpr_kernarg_segment_ptr 1
		.amdhsa_user_sgpr_dispatch_id 0
		.amdhsa_user_sgpr_flat_scratch_init 0
		.amdhsa_user_sgpr_kernarg_preload_length 0
		.amdhsa_user_sgpr_kernarg_preload_offset 0
		.amdhsa_user_sgpr_private_segment_size 0
		.amdhsa_uses_dynamic_stack 0
		.amdhsa_system_sgpr_private_segment_wavefront_offset 0
		.amdhsa_system_sgpr_workgroup_id_x 1
		.amdhsa_system_sgpr_workgroup_id_y 0
		.amdhsa_system_sgpr_workgroup_id_z 0
		.amdhsa_system_sgpr_workgroup_info 0
		.amdhsa_system_vgpr_workitem_id 0
		.amdhsa_next_free_vgpr 1
		.amdhsa_next_free_sgpr 0
		.amdhsa_accum_offset 4
		.amdhsa_reserve_vcc 0
		.amdhsa_reserve_flat_scratch 0
		.amdhsa_float_round_mode_32 0
		.amdhsa_float_round_mode_16_64 0
		.amdhsa_float_denorm_mode_32 3
		.amdhsa_float_denorm_mode_16_64 3
		.amdhsa_dx10_clamp 1
		.amdhsa_ieee_mode 1
		.amdhsa_fp16_overflow 0
		.amdhsa_tg_split 0
		.amdhsa_exception_fp_ieee_invalid_op 0
		.amdhsa_exception_fp_denorm_src 0
		.amdhsa_exception_fp_ieee_div_zero 0
		.amdhsa_exception_fp_ieee_overflow 0
		.amdhsa_exception_fp_ieee_underflow 0
		.amdhsa_exception_fp_ieee_inexact 0
		.amdhsa_exception_int_div_zero 0
	.end_amdhsa_kernel
	.section	.text._ZN7rocprim17ROCPRIM_400000_NS6detail17trampoline_kernelINS0_14default_configENS1_27scan_by_key_config_selectorIxxEEZZNS1_16scan_by_key_implILNS1_25lookback_scan_determinismE0ELb1ES3_N6thrust23THRUST_200600_302600_NS6detail15normal_iteratorINS9_10device_ptrIxEEEESE_SE_xNS9_4plusIvEENS9_8equal_toIvEExEE10hipError_tPvRmT2_T3_T4_T5_mT6_T7_P12ihipStream_tbENKUlT_T0_E_clISt17integral_constantIbLb0EESY_IbLb1EEEEDaSU_SV_EUlSU_E_NS1_11comp_targetILNS1_3genE10ELNS1_11target_archE1201ELNS1_3gpuE5ELNS1_3repE0EEENS1_30default_config_static_selectorELNS0_4arch9wavefront6targetE1EEEvT1_,"axG",@progbits,_ZN7rocprim17ROCPRIM_400000_NS6detail17trampoline_kernelINS0_14default_configENS1_27scan_by_key_config_selectorIxxEEZZNS1_16scan_by_key_implILNS1_25lookback_scan_determinismE0ELb1ES3_N6thrust23THRUST_200600_302600_NS6detail15normal_iteratorINS9_10device_ptrIxEEEESE_SE_xNS9_4plusIvEENS9_8equal_toIvEExEE10hipError_tPvRmT2_T3_T4_T5_mT6_T7_P12ihipStream_tbENKUlT_T0_E_clISt17integral_constantIbLb0EESY_IbLb1EEEEDaSU_SV_EUlSU_E_NS1_11comp_targetILNS1_3genE10ELNS1_11target_archE1201ELNS1_3gpuE5ELNS1_3repE0EEENS1_30default_config_static_selectorELNS0_4arch9wavefront6targetE1EEEvT1_,comdat
.Lfunc_end381:
	.size	_ZN7rocprim17ROCPRIM_400000_NS6detail17trampoline_kernelINS0_14default_configENS1_27scan_by_key_config_selectorIxxEEZZNS1_16scan_by_key_implILNS1_25lookback_scan_determinismE0ELb1ES3_N6thrust23THRUST_200600_302600_NS6detail15normal_iteratorINS9_10device_ptrIxEEEESE_SE_xNS9_4plusIvEENS9_8equal_toIvEExEE10hipError_tPvRmT2_T3_T4_T5_mT6_T7_P12ihipStream_tbENKUlT_T0_E_clISt17integral_constantIbLb0EESY_IbLb1EEEEDaSU_SV_EUlSU_E_NS1_11comp_targetILNS1_3genE10ELNS1_11target_archE1201ELNS1_3gpuE5ELNS1_3repE0EEENS1_30default_config_static_selectorELNS0_4arch9wavefront6targetE1EEEvT1_, .Lfunc_end381-_ZN7rocprim17ROCPRIM_400000_NS6detail17trampoline_kernelINS0_14default_configENS1_27scan_by_key_config_selectorIxxEEZZNS1_16scan_by_key_implILNS1_25lookback_scan_determinismE0ELb1ES3_N6thrust23THRUST_200600_302600_NS6detail15normal_iteratorINS9_10device_ptrIxEEEESE_SE_xNS9_4plusIvEENS9_8equal_toIvEExEE10hipError_tPvRmT2_T3_T4_T5_mT6_T7_P12ihipStream_tbENKUlT_T0_E_clISt17integral_constantIbLb0EESY_IbLb1EEEEDaSU_SV_EUlSU_E_NS1_11comp_targetILNS1_3genE10ELNS1_11target_archE1201ELNS1_3gpuE5ELNS1_3repE0EEENS1_30default_config_static_selectorELNS0_4arch9wavefront6targetE1EEEvT1_
                                        ; -- End function
	.section	.AMDGPU.csdata,"",@progbits
; Kernel info:
; codeLenInByte = 0
; NumSgprs: 4
; NumVgprs: 0
; NumAgprs: 0
; TotalNumVgprs: 0
; ScratchSize: 0
; MemoryBound: 0
; FloatMode: 240
; IeeeMode: 1
; LDSByteSize: 0 bytes/workgroup (compile time only)
; SGPRBlocks: 0
; VGPRBlocks: 0
; NumSGPRsForWavesPerEU: 4
; NumVGPRsForWavesPerEU: 1
; AccumOffset: 4
; Occupancy: 8
; WaveLimiterHint : 0
; COMPUTE_PGM_RSRC2:SCRATCH_EN: 0
; COMPUTE_PGM_RSRC2:USER_SGPR: 6
; COMPUTE_PGM_RSRC2:TRAP_HANDLER: 0
; COMPUTE_PGM_RSRC2:TGID_X_EN: 1
; COMPUTE_PGM_RSRC2:TGID_Y_EN: 0
; COMPUTE_PGM_RSRC2:TGID_Z_EN: 0
; COMPUTE_PGM_RSRC2:TIDIG_COMP_CNT: 0
; COMPUTE_PGM_RSRC3_GFX90A:ACCUM_OFFSET: 0
; COMPUTE_PGM_RSRC3_GFX90A:TG_SPLIT: 0
	.section	.text._ZN7rocprim17ROCPRIM_400000_NS6detail17trampoline_kernelINS0_14default_configENS1_27scan_by_key_config_selectorIxxEEZZNS1_16scan_by_key_implILNS1_25lookback_scan_determinismE0ELb1ES3_N6thrust23THRUST_200600_302600_NS6detail15normal_iteratorINS9_10device_ptrIxEEEESE_SE_xNS9_4plusIvEENS9_8equal_toIvEExEE10hipError_tPvRmT2_T3_T4_T5_mT6_T7_P12ihipStream_tbENKUlT_T0_E_clISt17integral_constantIbLb0EESY_IbLb1EEEEDaSU_SV_EUlSU_E_NS1_11comp_targetILNS1_3genE5ELNS1_11target_archE942ELNS1_3gpuE9ELNS1_3repE0EEENS1_30default_config_static_selectorELNS0_4arch9wavefront6targetE1EEEvT1_,"axG",@progbits,_ZN7rocprim17ROCPRIM_400000_NS6detail17trampoline_kernelINS0_14default_configENS1_27scan_by_key_config_selectorIxxEEZZNS1_16scan_by_key_implILNS1_25lookback_scan_determinismE0ELb1ES3_N6thrust23THRUST_200600_302600_NS6detail15normal_iteratorINS9_10device_ptrIxEEEESE_SE_xNS9_4plusIvEENS9_8equal_toIvEExEE10hipError_tPvRmT2_T3_T4_T5_mT6_T7_P12ihipStream_tbENKUlT_T0_E_clISt17integral_constantIbLb0EESY_IbLb1EEEEDaSU_SV_EUlSU_E_NS1_11comp_targetILNS1_3genE5ELNS1_11target_archE942ELNS1_3gpuE9ELNS1_3repE0EEENS1_30default_config_static_selectorELNS0_4arch9wavefront6targetE1EEEvT1_,comdat
	.protected	_ZN7rocprim17ROCPRIM_400000_NS6detail17trampoline_kernelINS0_14default_configENS1_27scan_by_key_config_selectorIxxEEZZNS1_16scan_by_key_implILNS1_25lookback_scan_determinismE0ELb1ES3_N6thrust23THRUST_200600_302600_NS6detail15normal_iteratorINS9_10device_ptrIxEEEESE_SE_xNS9_4plusIvEENS9_8equal_toIvEExEE10hipError_tPvRmT2_T3_T4_T5_mT6_T7_P12ihipStream_tbENKUlT_T0_E_clISt17integral_constantIbLb0EESY_IbLb1EEEEDaSU_SV_EUlSU_E_NS1_11comp_targetILNS1_3genE5ELNS1_11target_archE942ELNS1_3gpuE9ELNS1_3repE0EEENS1_30default_config_static_selectorELNS0_4arch9wavefront6targetE1EEEvT1_ ; -- Begin function _ZN7rocprim17ROCPRIM_400000_NS6detail17trampoline_kernelINS0_14default_configENS1_27scan_by_key_config_selectorIxxEEZZNS1_16scan_by_key_implILNS1_25lookback_scan_determinismE0ELb1ES3_N6thrust23THRUST_200600_302600_NS6detail15normal_iteratorINS9_10device_ptrIxEEEESE_SE_xNS9_4plusIvEENS9_8equal_toIvEExEE10hipError_tPvRmT2_T3_T4_T5_mT6_T7_P12ihipStream_tbENKUlT_T0_E_clISt17integral_constantIbLb0EESY_IbLb1EEEEDaSU_SV_EUlSU_E_NS1_11comp_targetILNS1_3genE5ELNS1_11target_archE942ELNS1_3gpuE9ELNS1_3repE0EEENS1_30default_config_static_selectorELNS0_4arch9wavefront6targetE1EEEvT1_
	.globl	_ZN7rocprim17ROCPRIM_400000_NS6detail17trampoline_kernelINS0_14default_configENS1_27scan_by_key_config_selectorIxxEEZZNS1_16scan_by_key_implILNS1_25lookback_scan_determinismE0ELb1ES3_N6thrust23THRUST_200600_302600_NS6detail15normal_iteratorINS9_10device_ptrIxEEEESE_SE_xNS9_4plusIvEENS9_8equal_toIvEExEE10hipError_tPvRmT2_T3_T4_T5_mT6_T7_P12ihipStream_tbENKUlT_T0_E_clISt17integral_constantIbLb0EESY_IbLb1EEEEDaSU_SV_EUlSU_E_NS1_11comp_targetILNS1_3genE5ELNS1_11target_archE942ELNS1_3gpuE9ELNS1_3repE0EEENS1_30default_config_static_selectorELNS0_4arch9wavefront6targetE1EEEvT1_
	.p2align	8
	.type	_ZN7rocprim17ROCPRIM_400000_NS6detail17trampoline_kernelINS0_14default_configENS1_27scan_by_key_config_selectorIxxEEZZNS1_16scan_by_key_implILNS1_25lookback_scan_determinismE0ELb1ES3_N6thrust23THRUST_200600_302600_NS6detail15normal_iteratorINS9_10device_ptrIxEEEESE_SE_xNS9_4plusIvEENS9_8equal_toIvEExEE10hipError_tPvRmT2_T3_T4_T5_mT6_T7_P12ihipStream_tbENKUlT_T0_E_clISt17integral_constantIbLb0EESY_IbLb1EEEEDaSU_SV_EUlSU_E_NS1_11comp_targetILNS1_3genE5ELNS1_11target_archE942ELNS1_3gpuE9ELNS1_3repE0EEENS1_30default_config_static_selectorELNS0_4arch9wavefront6targetE1EEEvT1_,@function
_ZN7rocprim17ROCPRIM_400000_NS6detail17trampoline_kernelINS0_14default_configENS1_27scan_by_key_config_selectorIxxEEZZNS1_16scan_by_key_implILNS1_25lookback_scan_determinismE0ELb1ES3_N6thrust23THRUST_200600_302600_NS6detail15normal_iteratorINS9_10device_ptrIxEEEESE_SE_xNS9_4plusIvEENS9_8equal_toIvEExEE10hipError_tPvRmT2_T3_T4_T5_mT6_T7_P12ihipStream_tbENKUlT_T0_E_clISt17integral_constantIbLb0EESY_IbLb1EEEEDaSU_SV_EUlSU_E_NS1_11comp_targetILNS1_3genE5ELNS1_11target_archE942ELNS1_3gpuE9ELNS1_3repE0EEENS1_30default_config_static_selectorELNS0_4arch9wavefront6targetE1EEEvT1_: ; @_ZN7rocprim17ROCPRIM_400000_NS6detail17trampoline_kernelINS0_14default_configENS1_27scan_by_key_config_selectorIxxEEZZNS1_16scan_by_key_implILNS1_25lookback_scan_determinismE0ELb1ES3_N6thrust23THRUST_200600_302600_NS6detail15normal_iteratorINS9_10device_ptrIxEEEESE_SE_xNS9_4plusIvEENS9_8equal_toIvEExEE10hipError_tPvRmT2_T3_T4_T5_mT6_T7_P12ihipStream_tbENKUlT_T0_E_clISt17integral_constantIbLb0EESY_IbLb1EEEEDaSU_SV_EUlSU_E_NS1_11comp_targetILNS1_3genE5ELNS1_11target_archE942ELNS1_3gpuE9ELNS1_3repE0EEENS1_30default_config_static_selectorELNS0_4arch9wavefront6targetE1EEEvT1_
; %bb.0:
	.section	.rodata,"a",@progbits
	.p2align	6, 0x0
	.amdhsa_kernel _ZN7rocprim17ROCPRIM_400000_NS6detail17trampoline_kernelINS0_14default_configENS1_27scan_by_key_config_selectorIxxEEZZNS1_16scan_by_key_implILNS1_25lookback_scan_determinismE0ELb1ES3_N6thrust23THRUST_200600_302600_NS6detail15normal_iteratorINS9_10device_ptrIxEEEESE_SE_xNS9_4plusIvEENS9_8equal_toIvEExEE10hipError_tPvRmT2_T3_T4_T5_mT6_T7_P12ihipStream_tbENKUlT_T0_E_clISt17integral_constantIbLb0EESY_IbLb1EEEEDaSU_SV_EUlSU_E_NS1_11comp_targetILNS1_3genE5ELNS1_11target_archE942ELNS1_3gpuE9ELNS1_3repE0EEENS1_30default_config_static_selectorELNS0_4arch9wavefront6targetE1EEEvT1_
		.amdhsa_group_segment_fixed_size 0
		.amdhsa_private_segment_fixed_size 0
		.amdhsa_kernarg_size 136
		.amdhsa_user_sgpr_count 6
		.amdhsa_user_sgpr_private_segment_buffer 1
		.amdhsa_user_sgpr_dispatch_ptr 0
		.amdhsa_user_sgpr_queue_ptr 0
		.amdhsa_user_sgpr_kernarg_segment_ptr 1
		.amdhsa_user_sgpr_dispatch_id 0
		.amdhsa_user_sgpr_flat_scratch_init 0
		.amdhsa_user_sgpr_kernarg_preload_length 0
		.amdhsa_user_sgpr_kernarg_preload_offset 0
		.amdhsa_user_sgpr_private_segment_size 0
		.amdhsa_uses_dynamic_stack 0
		.amdhsa_system_sgpr_private_segment_wavefront_offset 0
		.amdhsa_system_sgpr_workgroup_id_x 1
		.amdhsa_system_sgpr_workgroup_id_y 0
		.amdhsa_system_sgpr_workgroup_id_z 0
		.amdhsa_system_sgpr_workgroup_info 0
		.amdhsa_system_vgpr_workitem_id 0
		.amdhsa_next_free_vgpr 1
		.amdhsa_next_free_sgpr 0
		.amdhsa_accum_offset 4
		.amdhsa_reserve_vcc 0
		.amdhsa_reserve_flat_scratch 0
		.amdhsa_float_round_mode_32 0
		.amdhsa_float_round_mode_16_64 0
		.amdhsa_float_denorm_mode_32 3
		.amdhsa_float_denorm_mode_16_64 3
		.amdhsa_dx10_clamp 1
		.amdhsa_ieee_mode 1
		.amdhsa_fp16_overflow 0
		.amdhsa_tg_split 0
		.amdhsa_exception_fp_ieee_invalid_op 0
		.amdhsa_exception_fp_denorm_src 0
		.amdhsa_exception_fp_ieee_div_zero 0
		.amdhsa_exception_fp_ieee_overflow 0
		.amdhsa_exception_fp_ieee_underflow 0
		.amdhsa_exception_fp_ieee_inexact 0
		.amdhsa_exception_int_div_zero 0
	.end_amdhsa_kernel
	.section	.text._ZN7rocprim17ROCPRIM_400000_NS6detail17trampoline_kernelINS0_14default_configENS1_27scan_by_key_config_selectorIxxEEZZNS1_16scan_by_key_implILNS1_25lookback_scan_determinismE0ELb1ES3_N6thrust23THRUST_200600_302600_NS6detail15normal_iteratorINS9_10device_ptrIxEEEESE_SE_xNS9_4plusIvEENS9_8equal_toIvEExEE10hipError_tPvRmT2_T3_T4_T5_mT6_T7_P12ihipStream_tbENKUlT_T0_E_clISt17integral_constantIbLb0EESY_IbLb1EEEEDaSU_SV_EUlSU_E_NS1_11comp_targetILNS1_3genE5ELNS1_11target_archE942ELNS1_3gpuE9ELNS1_3repE0EEENS1_30default_config_static_selectorELNS0_4arch9wavefront6targetE1EEEvT1_,"axG",@progbits,_ZN7rocprim17ROCPRIM_400000_NS6detail17trampoline_kernelINS0_14default_configENS1_27scan_by_key_config_selectorIxxEEZZNS1_16scan_by_key_implILNS1_25lookback_scan_determinismE0ELb1ES3_N6thrust23THRUST_200600_302600_NS6detail15normal_iteratorINS9_10device_ptrIxEEEESE_SE_xNS9_4plusIvEENS9_8equal_toIvEExEE10hipError_tPvRmT2_T3_T4_T5_mT6_T7_P12ihipStream_tbENKUlT_T0_E_clISt17integral_constantIbLb0EESY_IbLb1EEEEDaSU_SV_EUlSU_E_NS1_11comp_targetILNS1_3genE5ELNS1_11target_archE942ELNS1_3gpuE9ELNS1_3repE0EEENS1_30default_config_static_selectorELNS0_4arch9wavefront6targetE1EEEvT1_,comdat
.Lfunc_end382:
	.size	_ZN7rocprim17ROCPRIM_400000_NS6detail17trampoline_kernelINS0_14default_configENS1_27scan_by_key_config_selectorIxxEEZZNS1_16scan_by_key_implILNS1_25lookback_scan_determinismE0ELb1ES3_N6thrust23THRUST_200600_302600_NS6detail15normal_iteratorINS9_10device_ptrIxEEEESE_SE_xNS9_4plusIvEENS9_8equal_toIvEExEE10hipError_tPvRmT2_T3_T4_T5_mT6_T7_P12ihipStream_tbENKUlT_T0_E_clISt17integral_constantIbLb0EESY_IbLb1EEEEDaSU_SV_EUlSU_E_NS1_11comp_targetILNS1_3genE5ELNS1_11target_archE942ELNS1_3gpuE9ELNS1_3repE0EEENS1_30default_config_static_selectorELNS0_4arch9wavefront6targetE1EEEvT1_, .Lfunc_end382-_ZN7rocprim17ROCPRIM_400000_NS6detail17trampoline_kernelINS0_14default_configENS1_27scan_by_key_config_selectorIxxEEZZNS1_16scan_by_key_implILNS1_25lookback_scan_determinismE0ELb1ES3_N6thrust23THRUST_200600_302600_NS6detail15normal_iteratorINS9_10device_ptrIxEEEESE_SE_xNS9_4plusIvEENS9_8equal_toIvEExEE10hipError_tPvRmT2_T3_T4_T5_mT6_T7_P12ihipStream_tbENKUlT_T0_E_clISt17integral_constantIbLb0EESY_IbLb1EEEEDaSU_SV_EUlSU_E_NS1_11comp_targetILNS1_3genE5ELNS1_11target_archE942ELNS1_3gpuE9ELNS1_3repE0EEENS1_30default_config_static_selectorELNS0_4arch9wavefront6targetE1EEEvT1_
                                        ; -- End function
	.section	.AMDGPU.csdata,"",@progbits
; Kernel info:
; codeLenInByte = 0
; NumSgprs: 4
; NumVgprs: 0
; NumAgprs: 0
; TotalNumVgprs: 0
; ScratchSize: 0
; MemoryBound: 0
; FloatMode: 240
; IeeeMode: 1
; LDSByteSize: 0 bytes/workgroup (compile time only)
; SGPRBlocks: 0
; VGPRBlocks: 0
; NumSGPRsForWavesPerEU: 4
; NumVGPRsForWavesPerEU: 1
; AccumOffset: 4
; Occupancy: 8
; WaveLimiterHint : 0
; COMPUTE_PGM_RSRC2:SCRATCH_EN: 0
; COMPUTE_PGM_RSRC2:USER_SGPR: 6
; COMPUTE_PGM_RSRC2:TRAP_HANDLER: 0
; COMPUTE_PGM_RSRC2:TGID_X_EN: 1
; COMPUTE_PGM_RSRC2:TGID_Y_EN: 0
; COMPUTE_PGM_RSRC2:TGID_Z_EN: 0
; COMPUTE_PGM_RSRC2:TIDIG_COMP_CNT: 0
; COMPUTE_PGM_RSRC3_GFX90A:ACCUM_OFFSET: 0
; COMPUTE_PGM_RSRC3_GFX90A:TG_SPLIT: 0
	.section	.text._ZN7rocprim17ROCPRIM_400000_NS6detail17trampoline_kernelINS0_14default_configENS1_27scan_by_key_config_selectorIxxEEZZNS1_16scan_by_key_implILNS1_25lookback_scan_determinismE0ELb1ES3_N6thrust23THRUST_200600_302600_NS6detail15normal_iteratorINS9_10device_ptrIxEEEESE_SE_xNS9_4plusIvEENS9_8equal_toIvEExEE10hipError_tPvRmT2_T3_T4_T5_mT6_T7_P12ihipStream_tbENKUlT_T0_E_clISt17integral_constantIbLb0EESY_IbLb1EEEEDaSU_SV_EUlSU_E_NS1_11comp_targetILNS1_3genE4ELNS1_11target_archE910ELNS1_3gpuE8ELNS1_3repE0EEENS1_30default_config_static_selectorELNS0_4arch9wavefront6targetE1EEEvT1_,"axG",@progbits,_ZN7rocprim17ROCPRIM_400000_NS6detail17trampoline_kernelINS0_14default_configENS1_27scan_by_key_config_selectorIxxEEZZNS1_16scan_by_key_implILNS1_25lookback_scan_determinismE0ELb1ES3_N6thrust23THRUST_200600_302600_NS6detail15normal_iteratorINS9_10device_ptrIxEEEESE_SE_xNS9_4plusIvEENS9_8equal_toIvEExEE10hipError_tPvRmT2_T3_T4_T5_mT6_T7_P12ihipStream_tbENKUlT_T0_E_clISt17integral_constantIbLb0EESY_IbLb1EEEEDaSU_SV_EUlSU_E_NS1_11comp_targetILNS1_3genE4ELNS1_11target_archE910ELNS1_3gpuE8ELNS1_3repE0EEENS1_30default_config_static_selectorELNS0_4arch9wavefront6targetE1EEEvT1_,comdat
	.protected	_ZN7rocprim17ROCPRIM_400000_NS6detail17trampoline_kernelINS0_14default_configENS1_27scan_by_key_config_selectorIxxEEZZNS1_16scan_by_key_implILNS1_25lookback_scan_determinismE0ELb1ES3_N6thrust23THRUST_200600_302600_NS6detail15normal_iteratorINS9_10device_ptrIxEEEESE_SE_xNS9_4plusIvEENS9_8equal_toIvEExEE10hipError_tPvRmT2_T3_T4_T5_mT6_T7_P12ihipStream_tbENKUlT_T0_E_clISt17integral_constantIbLb0EESY_IbLb1EEEEDaSU_SV_EUlSU_E_NS1_11comp_targetILNS1_3genE4ELNS1_11target_archE910ELNS1_3gpuE8ELNS1_3repE0EEENS1_30default_config_static_selectorELNS0_4arch9wavefront6targetE1EEEvT1_ ; -- Begin function _ZN7rocprim17ROCPRIM_400000_NS6detail17trampoline_kernelINS0_14default_configENS1_27scan_by_key_config_selectorIxxEEZZNS1_16scan_by_key_implILNS1_25lookback_scan_determinismE0ELb1ES3_N6thrust23THRUST_200600_302600_NS6detail15normal_iteratorINS9_10device_ptrIxEEEESE_SE_xNS9_4plusIvEENS9_8equal_toIvEExEE10hipError_tPvRmT2_T3_T4_T5_mT6_T7_P12ihipStream_tbENKUlT_T0_E_clISt17integral_constantIbLb0EESY_IbLb1EEEEDaSU_SV_EUlSU_E_NS1_11comp_targetILNS1_3genE4ELNS1_11target_archE910ELNS1_3gpuE8ELNS1_3repE0EEENS1_30default_config_static_selectorELNS0_4arch9wavefront6targetE1EEEvT1_
	.globl	_ZN7rocprim17ROCPRIM_400000_NS6detail17trampoline_kernelINS0_14default_configENS1_27scan_by_key_config_selectorIxxEEZZNS1_16scan_by_key_implILNS1_25lookback_scan_determinismE0ELb1ES3_N6thrust23THRUST_200600_302600_NS6detail15normal_iteratorINS9_10device_ptrIxEEEESE_SE_xNS9_4plusIvEENS9_8equal_toIvEExEE10hipError_tPvRmT2_T3_T4_T5_mT6_T7_P12ihipStream_tbENKUlT_T0_E_clISt17integral_constantIbLb0EESY_IbLb1EEEEDaSU_SV_EUlSU_E_NS1_11comp_targetILNS1_3genE4ELNS1_11target_archE910ELNS1_3gpuE8ELNS1_3repE0EEENS1_30default_config_static_selectorELNS0_4arch9wavefront6targetE1EEEvT1_
	.p2align	8
	.type	_ZN7rocprim17ROCPRIM_400000_NS6detail17trampoline_kernelINS0_14default_configENS1_27scan_by_key_config_selectorIxxEEZZNS1_16scan_by_key_implILNS1_25lookback_scan_determinismE0ELb1ES3_N6thrust23THRUST_200600_302600_NS6detail15normal_iteratorINS9_10device_ptrIxEEEESE_SE_xNS9_4plusIvEENS9_8equal_toIvEExEE10hipError_tPvRmT2_T3_T4_T5_mT6_T7_P12ihipStream_tbENKUlT_T0_E_clISt17integral_constantIbLb0EESY_IbLb1EEEEDaSU_SV_EUlSU_E_NS1_11comp_targetILNS1_3genE4ELNS1_11target_archE910ELNS1_3gpuE8ELNS1_3repE0EEENS1_30default_config_static_selectorELNS0_4arch9wavefront6targetE1EEEvT1_,@function
_ZN7rocprim17ROCPRIM_400000_NS6detail17trampoline_kernelINS0_14default_configENS1_27scan_by_key_config_selectorIxxEEZZNS1_16scan_by_key_implILNS1_25lookback_scan_determinismE0ELb1ES3_N6thrust23THRUST_200600_302600_NS6detail15normal_iteratorINS9_10device_ptrIxEEEESE_SE_xNS9_4plusIvEENS9_8equal_toIvEExEE10hipError_tPvRmT2_T3_T4_T5_mT6_T7_P12ihipStream_tbENKUlT_T0_E_clISt17integral_constantIbLb0EESY_IbLb1EEEEDaSU_SV_EUlSU_E_NS1_11comp_targetILNS1_3genE4ELNS1_11target_archE910ELNS1_3gpuE8ELNS1_3repE0EEENS1_30default_config_static_selectorELNS0_4arch9wavefront6targetE1EEEvT1_: ; @_ZN7rocprim17ROCPRIM_400000_NS6detail17trampoline_kernelINS0_14default_configENS1_27scan_by_key_config_selectorIxxEEZZNS1_16scan_by_key_implILNS1_25lookback_scan_determinismE0ELb1ES3_N6thrust23THRUST_200600_302600_NS6detail15normal_iteratorINS9_10device_ptrIxEEEESE_SE_xNS9_4plusIvEENS9_8equal_toIvEExEE10hipError_tPvRmT2_T3_T4_T5_mT6_T7_P12ihipStream_tbENKUlT_T0_E_clISt17integral_constantIbLb0EESY_IbLb1EEEEDaSU_SV_EUlSU_E_NS1_11comp_targetILNS1_3genE4ELNS1_11target_archE910ELNS1_3gpuE8ELNS1_3repE0EEENS1_30default_config_static_selectorELNS0_4arch9wavefront6targetE1EEEvT1_
; %bb.0:
	s_load_dwordx8 s[52:59], s[4:5], 0x0
	s_load_dwordx2 s[64:65], s[4:5], 0x20
	s_load_dwordx8 s[44:51], s[4:5], 0x30
	s_load_dwordx2 s[66:67], s[4:5], 0x50
	v_cmp_eq_u32_e64 s[0:1], 0, v0
	s_and_saveexec_b64 s[2:3], s[0:1]
	s_cbranch_execz .LBB383_4
; %bb.1:
	s_mov_b64 s[8:9], exec
	v_mbcnt_lo_u32_b32 v1, s8, 0
	v_mbcnt_hi_u32_b32 v1, s9, v1
	v_cmp_eq_u32_e32 vcc, 0, v1
                                        ; implicit-def: $vgpr2
	s_and_saveexec_b64 s[6:7], vcc
	s_cbranch_execz .LBB383_3
; %bb.2:
	s_load_dwordx2 s[10:11], s[4:5], 0x80
	s_bcnt1_i32_b64 s8, s[8:9]
	v_mov_b32_e32 v2, 0
	v_mov_b32_e32 v3, s8
	s_waitcnt lgkmcnt(0)
	global_atomic_add v2, v2, v3, s[10:11] glc
.LBB383_3:
	s_or_b64 exec, exec, s[6:7]
	s_waitcnt vmcnt(0)
	v_readfirstlane_b32 s6, v2
	v_add_u32_e32 v1, s6, v1
	v_mov_b32_e32 v2, 0
	ds_write_b32 v2, v1
.LBB383_4:
	s_or_b64 exec, exec, s[2:3]
	s_load_dword s2, s[4:5], 0x58
	s_load_dwordx4 s[60:63], s[4:5], 0x60
	v_mov_b32_e32 v3, 0
	s_waitcnt lgkmcnt(0)
	s_lshl_b64 s[54:55], s[54:55], 3
	s_waitcnt lgkmcnt(0)
	; wave barrier
	ds_read_b32 v1, v3
	s_add_u32 s3, s52, s54
	s_addc_u32 s4, s53, s55
	s_add_u32 s5, s56, s54
	s_mul_i32 s7, s67, s2
	s_mul_hi_u32 s8, s66, s2
	s_addc_u32 s6, s57, s55
	s_add_i32 s7, s8, s7
	s_movk_i32 s8, 0x4c0
	s_waitcnt lgkmcnt(0)
	v_mul_lo_u32 v2, v1, s8
	v_lshlrev_b64 v[74:75], 3, v[2:3]
	v_mov_b32_e32 v2, s4
	v_add_co_u32_e32 v78, vcc, s3, v74
	v_addc_co_u32_e32 v79, vcc, v2, v75, vcc
	v_mov_b32_e32 v2, s6
	v_add_co_u32_e32 v84, vcc, s5, v74
	s_mul_i32 s2, s66, s2
	v_addc_co_u32_e32 v85, vcc, v2, v75, vcc
	v_mov_b32_e32 v3, s7
	v_add_co_u32_e32 v2, vcc, s2, v1
	s_add_u32 s6, s60, -1
	v_addc_co_u32_e32 v3, vcc, 0, v3, vcc
	s_addc_u32 s7, s61, -1
	v_cmp_le_u64_e64 s[2:3], s[6:7], v[2:3]
	v_readfirstlane_b32 s51, v1
	s_mov_b64 s[4:5], -1
	s_and_b64 vcc, exec, s[2:3]
	s_mul_i32 s33, s6, 0xfffffb40
	s_waitcnt lgkmcnt(0)
	; wave barrier
	s_waitcnt lgkmcnt(0)
	s_waitcnt lgkmcnt(0)
	; wave barrier
	s_cbranch_vccz .LBB383_63
; %bb.5:
	flat_load_dwordx2 v[2:3], v[78:79]
	s_add_i32 s60, s33, s50
	v_cmp_gt_u32_e32 vcc, s60, v0
	s_waitcnt vmcnt(0) lgkmcnt(0)
	v_pk_mov_b32 v[4:5], v[2:3], v[2:3] op_sel:[0,1]
	s_and_saveexec_b64 s[6:7], vcc
	s_cbranch_execz .LBB383_7
; %bb.6:
	v_lshlrev_b32_e32 v1, 3, v0
	v_add_co_u32_e64 v4, s[4:5], v78, v1
	v_addc_co_u32_e64 v5, s[4:5], 0, v79, s[4:5]
	flat_load_dwordx2 v[4:5], v[4:5]
.LBB383_7:
	s_or_b64 exec, exec, s[6:7]
	v_or_b32_e32 v1, 64, v0
	v_cmp_gt_u32_e64 s[4:5], s60, v1
	v_pk_mov_b32 v[6:7], v[2:3], v[2:3] op_sel:[0,1]
	s_and_saveexec_b64 s[8:9], s[4:5]
	s_cbranch_execz .LBB383_9
; %bb.8:
	v_lshlrev_b32_e32 v1, 3, v0
	v_add_co_u32_e64 v6, s[6:7], v78, v1
	v_addc_co_u32_e64 v7, s[6:7], 0, v79, s[6:7]
	flat_load_dwordx2 v[6:7], v[6:7] offset:512
.LBB383_9:
	s_or_b64 exec, exec, s[8:9]
	v_or_b32_e32 v1, 0x80, v0
	v_cmp_gt_u32_e64 s[6:7], s60, v1
	v_pk_mov_b32 v[8:9], v[2:3], v[2:3] op_sel:[0,1]
	s_and_saveexec_b64 s[10:11], s[6:7]
	s_cbranch_execz .LBB383_11
; %bb.10:
	v_lshlrev_b32_e32 v1, 3, v0
	v_add_co_u32_e64 v8, s[8:9], v78, v1
	v_addc_co_u32_e64 v9, s[8:9], 0, v79, s[8:9]
	flat_load_dwordx2 v[8:9], v[8:9] offset:1024
.LBB383_11:
	;; [unrolled: 12-line block ×7, first 2 shown]
	s_or_b64 exec, exec, s[20:21]
	v_or_b32_e32 v1, 0x200, v0
	v_cmp_gt_u32_e64 s[18:19], s60, v1
	v_lshlrev_b32_e32 v1, 3, v1
	v_pk_mov_b32 v[20:21], v[2:3], v[2:3] op_sel:[0,1]
	s_and_saveexec_b64 s[22:23], s[18:19]
	s_cbranch_execz .LBB383_23
; %bb.22:
	v_add_co_u32_e64 v20, s[20:21], v78, v1
	v_addc_co_u32_e64 v21, s[20:21], 0, v79, s[20:21]
	flat_load_dwordx2 v[20:21], v[20:21]
.LBB383_23:
	s_or_b64 exec, exec, s[22:23]
	v_or_b32_e32 v22, 0x240, v0
	v_cmp_gt_u32_e64 s[20:21], s60, v22
	v_lshlrev_b32_e32 v60, 3, v22
	v_pk_mov_b32 v[22:23], v[2:3], v[2:3] op_sel:[0,1]
	s_and_saveexec_b64 s[24:25], s[20:21]
	s_cbranch_execz .LBB383_25
; %bb.24:
	v_add_co_u32_e64 v22, s[22:23], v78, v60
	v_addc_co_u32_e64 v23, s[22:23], 0, v79, s[22:23]
	flat_load_dwordx2 v[22:23], v[22:23]
.LBB383_25:
	;; [unrolled: 12-line block ×10, first 2 shown]
	s_or_b64 exec, exec, s[42:43]
	v_or_b32_e32 v40, 0x480, v0
	v_cmp_gt_u32_e64 s[40:41], s60, v40
	v_lshlrev_b32_e32 v89, 3, v40
	s_and_saveexec_b64 s[52:53], s[40:41]
	s_cbranch_execz .LBB383_43
; %bb.42:
	v_add_co_u32_e64 v2, s[42:43], v78, v89
	v_addc_co_u32_e64 v3, s[42:43], 0, v79, s[42:43]
	flat_load_dwordx2 v[2:3], v[2:3]
.LBB383_43:
	s_or_b64 exec, exec, s[52:53]
	v_lshlrev_b32_e32 v88, 3, v0
	s_waitcnt vmcnt(0) lgkmcnt(0)
	ds_write2st64_b64 v88, v[4:5], v[6:7] offset1:1
	ds_write2st64_b64 v88, v[8:9], v[10:11] offset0:2 offset1:3
	ds_write2st64_b64 v88, v[12:13], v[14:15] offset0:4 offset1:5
	;; [unrolled: 1-line block ×8, first 2 shown]
	ds_write_b64 v88, v[2:3] offset:9216
	s_waitcnt lgkmcnt(0)
	; wave barrier
	s_waitcnt lgkmcnt(0)
	flat_load_dwordx2 v[82:83], v[78:79]
	s_movk_i32 s42, 0x90
	v_mad_u32_u24 v86, v0, s42, v88
	s_movk_i32 s42, 0xff70
	v_mad_i32_i24 v38, v0, s42, v86
	v_cmp_ne_u32_e64 s[42:43], 63, v0
	ds_read_b64 v[40:41], v86
	ds_read2_b64 v[34:37], v86 offset0:1 offset1:2
	ds_read2_b64 v[30:33], v86 offset0:3 offset1:4
	;; [unrolled: 1-line block ×9, first 2 shown]
	s_waitcnt lgkmcnt(0)
	ds_write_b64 v38, v[40:41] offset:10240
	s_waitcnt lgkmcnt(0)
	; wave barrier
	s_waitcnt lgkmcnt(0)
	s_and_saveexec_b64 s[52:53], s[42:43]
	s_cbranch_execz .LBB383_45
; %bb.44:
	s_waitcnt vmcnt(0)
	ds_read_b64 v[82:83], v88 offset:10248
.LBB383_45:
	s_or_b64 exec, exec, s[52:53]
	s_waitcnt lgkmcnt(0)
	; wave barrier
	s_waitcnt lgkmcnt(0)
                                        ; implicit-def: $vgpr38_vgpr39
	s_and_saveexec_b64 s[42:43], vcc
	s_cbranch_execz .LBB383_64
; %bb.46:
	v_add_co_u32_e32 v38, vcc, v84, v88
	v_addc_co_u32_e32 v39, vcc, 0, v85, vcc
	flat_load_dwordx2 v[38:39], v[38:39]
	s_or_b64 exec, exec, s[42:43]
                                        ; implicit-def: $vgpr42_vgpr43
	s_and_saveexec_b64 s[42:43], s[4:5]
	s_cbranch_execnz .LBB383_65
.LBB383_47:
	s_or_b64 exec, exec, s[42:43]
                                        ; implicit-def: $vgpr44_vgpr45
	s_and_saveexec_b64 s[4:5], s[6:7]
	s_cbranch_execz .LBB383_66
.LBB383_48:
	v_add_co_u32_e32 v44, vcc, v84, v88
	v_addc_co_u32_e32 v45, vcc, 0, v85, vcc
	flat_load_dwordx2 v[44:45], v[44:45] offset:1024
	s_or_b64 exec, exec, s[4:5]
                                        ; implicit-def: $vgpr46_vgpr47
	s_and_saveexec_b64 s[4:5], s[8:9]
	s_cbranch_execnz .LBB383_67
.LBB383_49:
	s_or_b64 exec, exec, s[4:5]
                                        ; implicit-def: $vgpr48_vgpr49
	s_and_saveexec_b64 s[4:5], s[10:11]
	s_cbranch_execz .LBB383_68
.LBB383_50:
	v_add_co_u32_e32 v48, vcc, v84, v88
	v_addc_co_u32_e32 v49, vcc, 0, v85, vcc
	flat_load_dwordx2 v[48:49], v[48:49] offset:2048
	s_or_b64 exec, exec, s[4:5]
                                        ; implicit-def: $vgpr50_vgpr51
	s_and_saveexec_b64 s[4:5], s[12:13]
	s_cbranch_execnz .LBB383_69
.LBB383_51:
	s_or_b64 exec, exec, s[4:5]
                                        ; implicit-def: $vgpr52_vgpr53
	s_and_saveexec_b64 s[4:5], s[14:15]
	s_cbranch_execz .LBB383_70
.LBB383_52:
	v_add_co_u32_e32 v52, vcc, v84, v88
	v_addc_co_u32_e32 v53, vcc, 0, v85, vcc
	flat_load_dwordx2 v[52:53], v[52:53] offset:3072
	s_or_b64 exec, exec, s[4:5]
                                        ; implicit-def: $vgpr54_vgpr55
	s_and_saveexec_b64 s[4:5], s[16:17]
	s_cbranch_execnz .LBB383_71
.LBB383_53:
	s_or_b64 exec, exec, s[4:5]
                                        ; implicit-def: $vgpr56_vgpr57
	s_and_saveexec_b64 s[4:5], s[18:19]
	s_cbranch_execz .LBB383_72
.LBB383_54:
	v_add_co_u32_e32 v56, vcc, v84, v1
	v_addc_co_u32_e32 v57, vcc, 0, v85, vcc
	flat_load_dwordx2 v[56:57], v[56:57]
	s_or_b64 exec, exec, s[4:5]
                                        ; implicit-def: $vgpr58_vgpr59
	s_and_saveexec_b64 s[4:5], s[20:21]
	s_cbranch_execnz .LBB383_73
.LBB383_55:
	s_or_b64 exec, exec, s[4:5]
                                        ; implicit-def: $vgpr60_vgpr61
	s_and_saveexec_b64 s[4:5], s[22:23]
	s_cbranch_execz .LBB383_74
.LBB383_56:
	v_add_co_u32_e32 v60, vcc, v84, v62
	v_addc_co_u32_e32 v61, vcc, 0, v85, vcc
	flat_load_dwordx2 v[60:61], v[60:61]
	s_or_b64 exec, exec, s[4:5]
                                        ; implicit-def: $vgpr62_vgpr63
	s_and_saveexec_b64 s[4:5], s[24:25]
	s_cbranch_execnz .LBB383_75
.LBB383_57:
	s_or_b64 exec, exec, s[4:5]
                                        ; implicit-def: $vgpr64_vgpr65
	s_and_saveexec_b64 s[4:5], s[26:27]
	s_cbranch_execz .LBB383_76
.LBB383_58:
	v_add_co_u32_e32 v64, vcc, v84, v66
	v_addc_co_u32_e32 v65, vcc, 0, v85, vcc
	flat_load_dwordx2 v[64:65], v[64:65]
	s_or_b64 exec, exec, s[4:5]
                                        ; implicit-def: $vgpr66_vgpr67
	s_and_saveexec_b64 s[4:5], s[28:29]
	s_cbranch_execnz .LBB383_77
.LBB383_59:
	s_or_b64 exec, exec, s[4:5]
                                        ; implicit-def: $vgpr68_vgpr69
	s_and_saveexec_b64 s[4:5], s[30:31]
	s_cbranch_execz .LBB383_78
.LBB383_60:
	v_add_co_u32_e32 v68, vcc, v84, v70
	v_addc_co_u32_e32 v69, vcc, 0, v85, vcc
	flat_load_dwordx2 v[68:69], v[68:69]
	s_or_b64 exec, exec, s[4:5]
                                        ; implicit-def: $vgpr70_vgpr71
	s_and_saveexec_b64 s[4:5], s[34:35]
	s_cbranch_execnz .LBB383_79
.LBB383_61:
	s_or_b64 exec, exec, s[4:5]
                                        ; implicit-def: $vgpr72_vgpr73
	s_and_saveexec_b64 s[4:5], s[36:37]
	s_cbranch_execz .LBB383_80
.LBB383_62:
	v_add_co_u32_e32 v72, vcc, v84, v76
	v_addc_co_u32_e32 v73, vcc, 0, v85, vcc
	flat_load_dwordx2 v[72:73], v[72:73]
	s_or_b64 exec, exec, s[4:5]
                                        ; implicit-def: $vgpr76_vgpr77
	s_and_saveexec_b64 s[4:5], s[38:39]
	s_cbranch_execz .LBB383_82
	s_branch .LBB383_81
.LBB383_63:
	s_mov_b64 s[10:11], 0
                                        ; implicit-def: $sgpr8_sgpr9
                                        ; implicit-def: $vgpr80_vgpr81
                                        ; implicit-def: $vgpr76_vgpr77
                                        ; implicit-def: $vgpr101
                                        ; implicit-def: $vgpr42_vgpr43
                                        ; implicit-def: $vgpr114
                                        ; implicit-def: $vgpr72_vgpr73
                                        ; implicit-def: $vgpr113
                                        ; implicit-def: $vgpr70_vgpr71
                                        ; implicit-def: $vgpr112
                                        ; implicit-def: $vgpr68_vgpr69
                                        ; implicit-def: $vgpr111
                                        ; implicit-def: $vgpr66_vgpr67
                                        ; implicit-def: $vgpr110
                                        ; implicit-def: $vgpr64_vgpr65
                                        ; implicit-def: $vgpr109
                                        ; implicit-def: $vgpr62_vgpr63
                                        ; implicit-def: $vgpr108
                                        ; implicit-def: $vgpr60_vgpr61
                                        ; implicit-def: $vgpr107
                                        ; implicit-def: $vgpr58_vgpr59
                                        ; implicit-def: $vgpr106
                                        ; implicit-def: $vgpr44_vgpr45
                                        ; implicit-def: $vgpr105
                                        ; implicit-def: $vgpr56_vgpr57
                                        ; implicit-def: $vgpr104
                                        ; implicit-def: $vgpr52_vgpr53
                                        ; implicit-def: $vgpr103
                                        ; implicit-def: $vgpr50_vgpr51
                                        ; implicit-def: $vgpr102
                                        ; implicit-def: $vgpr54_vgpr55
                                        ; implicit-def: $vgpr100
                                        ; implicit-def: $vgpr48_vgpr49
                                        ; implicit-def: $vgpr99
                                        ; implicit-def: $vgpr46_vgpr47
                                        ; implicit-def: $vgpr98
                                        ; implicit-def: $vgpr38_vgpr39
                                        ; implicit-def: $vgpr1
                                        ; implicit-def: $sgpr68
                                        ; implicit-def: $sgpr6_sgpr7
	s_and_b64 vcc, exec, s[4:5]
	v_lshlrev_b32_e32 v115, 3, v0
	s_cbranch_vccz .LBB383_128
	s_branch .LBB383_123
.LBB383_64:
	s_or_b64 exec, exec, s[42:43]
                                        ; implicit-def: $vgpr42_vgpr43
	s_and_saveexec_b64 s[42:43], s[4:5]
	s_cbranch_execz .LBB383_47
.LBB383_65:
	v_add_co_u32_e32 v42, vcc, v84, v88
	v_addc_co_u32_e32 v43, vcc, 0, v85, vcc
	flat_load_dwordx2 v[42:43], v[42:43] offset:512
	s_or_b64 exec, exec, s[42:43]
                                        ; implicit-def: $vgpr44_vgpr45
	s_and_saveexec_b64 s[4:5], s[6:7]
	s_cbranch_execnz .LBB383_48
.LBB383_66:
	s_or_b64 exec, exec, s[4:5]
                                        ; implicit-def: $vgpr46_vgpr47
	s_and_saveexec_b64 s[4:5], s[8:9]
	s_cbranch_execz .LBB383_49
.LBB383_67:
	v_add_co_u32_e32 v46, vcc, v84, v88
	v_addc_co_u32_e32 v47, vcc, 0, v85, vcc
	flat_load_dwordx2 v[46:47], v[46:47] offset:1536
	s_or_b64 exec, exec, s[4:5]
                                        ; implicit-def: $vgpr48_vgpr49
	s_and_saveexec_b64 s[4:5], s[10:11]
	s_cbranch_execnz .LBB383_50
.LBB383_68:
	s_or_b64 exec, exec, s[4:5]
                                        ; implicit-def: $vgpr50_vgpr51
	s_and_saveexec_b64 s[4:5], s[12:13]
	s_cbranch_execz .LBB383_51
.LBB383_69:
	v_add_co_u32_e32 v50, vcc, v84, v88
	v_addc_co_u32_e32 v51, vcc, 0, v85, vcc
	flat_load_dwordx2 v[50:51], v[50:51] offset:2560
	s_or_b64 exec, exec, s[4:5]
                                        ; implicit-def: $vgpr52_vgpr53
	s_and_saveexec_b64 s[4:5], s[14:15]
	s_cbranch_execnz .LBB383_52
.LBB383_70:
	s_or_b64 exec, exec, s[4:5]
                                        ; implicit-def: $vgpr54_vgpr55
	s_and_saveexec_b64 s[4:5], s[16:17]
	s_cbranch_execz .LBB383_53
.LBB383_71:
	v_add_co_u32_e32 v54, vcc, v84, v88
	v_addc_co_u32_e32 v55, vcc, 0, v85, vcc
	flat_load_dwordx2 v[54:55], v[54:55] offset:3584
	s_or_b64 exec, exec, s[4:5]
                                        ; implicit-def: $vgpr56_vgpr57
	s_and_saveexec_b64 s[4:5], s[18:19]
	s_cbranch_execnz .LBB383_54
.LBB383_72:
	s_or_b64 exec, exec, s[4:5]
                                        ; implicit-def: $vgpr58_vgpr59
	s_and_saveexec_b64 s[4:5], s[20:21]
	s_cbranch_execz .LBB383_55
.LBB383_73:
	v_add_co_u32_e32 v58, vcc, v84, v60
	v_addc_co_u32_e32 v59, vcc, 0, v85, vcc
	flat_load_dwordx2 v[58:59], v[58:59]
	s_or_b64 exec, exec, s[4:5]
                                        ; implicit-def: $vgpr60_vgpr61
	s_and_saveexec_b64 s[4:5], s[22:23]
	s_cbranch_execnz .LBB383_56
.LBB383_74:
	s_or_b64 exec, exec, s[4:5]
                                        ; implicit-def: $vgpr62_vgpr63
	s_and_saveexec_b64 s[4:5], s[24:25]
	s_cbranch_execz .LBB383_57
.LBB383_75:
	v_add_co_u32_e32 v62, vcc, v84, v64
	v_addc_co_u32_e32 v63, vcc, 0, v85, vcc
	flat_load_dwordx2 v[62:63], v[62:63]
	s_or_b64 exec, exec, s[4:5]
                                        ; implicit-def: $vgpr64_vgpr65
	s_and_saveexec_b64 s[4:5], s[26:27]
	s_cbranch_execnz .LBB383_58
.LBB383_76:
	s_or_b64 exec, exec, s[4:5]
                                        ; implicit-def: $vgpr66_vgpr67
	s_and_saveexec_b64 s[4:5], s[28:29]
	s_cbranch_execz .LBB383_59
.LBB383_77:
	v_add_co_u32_e32 v66, vcc, v84, v68
	v_addc_co_u32_e32 v67, vcc, 0, v85, vcc
	flat_load_dwordx2 v[66:67], v[66:67]
	s_or_b64 exec, exec, s[4:5]
                                        ; implicit-def: $vgpr68_vgpr69
	s_and_saveexec_b64 s[4:5], s[30:31]
	s_cbranch_execnz .LBB383_60
.LBB383_78:
	s_or_b64 exec, exec, s[4:5]
                                        ; implicit-def: $vgpr70_vgpr71
	s_and_saveexec_b64 s[4:5], s[34:35]
	s_cbranch_execz .LBB383_61
.LBB383_79:
	v_add_co_u32_e32 v70, vcc, v84, v72
	v_addc_co_u32_e32 v71, vcc, 0, v85, vcc
	flat_load_dwordx2 v[70:71], v[70:71]
	s_or_b64 exec, exec, s[4:5]
                                        ; implicit-def: $vgpr72_vgpr73
	s_and_saveexec_b64 s[4:5], s[36:37]
	s_cbranch_execnz .LBB383_62
.LBB383_80:
	s_or_b64 exec, exec, s[4:5]
                                        ; implicit-def: $vgpr76_vgpr77
	s_and_saveexec_b64 s[4:5], s[38:39]
	s_cbranch_execz .LBB383_82
.LBB383_81:
	v_add_co_u32_e32 v76, vcc, v84, v80
	v_addc_co_u32_e32 v77, vcc, 0, v85, vcc
	flat_load_dwordx2 v[76:77], v[76:77]
.LBB383_82:
	s_or_b64 exec, exec, s[4:5]
	v_mul_u32_u24_e32 v87, 19, v0
                                        ; implicit-def: $vgpr80_vgpr81
	s_and_saveexec_b64 s[4:5], s[40:41]
	s_cbranch_execz .LBB383_84
; %bb.83:
	v_add_co_u32_e32 v80, vcc, v84, v89
	v_addc_co_u32_e32 v81, vcc, 0, v85, vcc
	flat_load_dwordx2 v[80:81], v[80:81]
.LBB383_84:
	s_or_b64 exec, exec, s[4:5]
	s_waitcnt vmcnt(0) lgkmcnt(0)
	ds_write2st64_b64 v88, v[38:39], v[42:43] offset1:1
	ds_write2st64_b64 v88, v[44:45], v[46:47] offset0:2 offset1:3
	ds_write2st64_b64 v88, v[48:49], v[50:51] offset0:4 offset1:5
	;; [unrolled: 1-line block ×8, first 2 shown]
	ds_write_b64 v88, v[80:81] offset:9216
	v_pk_mov_b32 v[76:77], 0, 0
	v_cmp_gt_u32_e32 vcc, s60, v87
	s_mov_b64 s[10:11], 0
	s_mov_b32 s68, 0
	s_mov_b64 s[4:5], 0
	v_mov_b32_e32 v101, 0
	v_pk_mov_b32 v[42:43], v[76:77], v[76:77] op_sel:[0,1]
	v_mov_b32_e32 v114, 0
	v_pk_mov_b32 v[72:73], v[76:77], v[76:77] op_sel:[0,1]
	;; [unrolled: 2-line block ×17, first 2 shown]
	v_mov_b32_e32 v1, 0
	s_waitcnt lgkmcnt(0)
	; wave barrier
	s_waitcnt lgkmcnt(0)
                                        ; implicit-def: $sgpr8_sgpr9
                                        ; implicit-def: $vgpr80_vgpr81
	s_and_saveexec_b64 s[6:7], vcc
	s_cbranch_execz .LBB383_122
; %bb.85:
	ds_read_b64 v[38:39], v86
	v_cmp_ne_u64_e32 vcc, v[40:41], v[34:35]
	v_mov_b32_e32 v40, s65
	v_add_u32_e32 v42, 1, v87
	v_cndmask_b32_e64 v1, 0, 1, vcc
	s_waitcnt lgkmcnt(0)
	v_cndmask_b32_e32 v77, v39, v40, vcc
	v_mov_b32_e32 v39, s64
	v_cndmask_b32_e32 v76, v38, v39, vcc
	v_cmp_gt_u32_e32 vcc, s60, v42
	v_pk_mov_b32 v[42:43], 0, 0
	s_mov_b64 s[12:13], 0
	v_mov_b32_e32 v101, 0
	v_mov_b32_e32 v114, 0
	v_pk_mov_b32 v[72:73], v[42:43], v[42:43] op_sel:[0,1]
	v_mov_b32_e32 v113, 0
	v_pk_mov_b32 v[70:71], v[42:43], v[42:43] op_sel:[0,1]
	;; [unrolled: 2-line block ×16, first 2 shown]
                                        ; implicit-def: $sgpr14_sgpr15
                                        ; implicit-def: $vgpr80_vgpr81
	s_and_saveexec_b64 s[8:9], vcc
	s_cbranch_execz .LBB383_121
; %bb.86:
	ds_read2_b64 v[38:41], v86 offset0:1 offset1:2
	v_cmp_ne_u64_e32 vcc, v[34:35], v[36:37]
	v_mov_b32_e32 v34, s65
	v_add_u32_e32 v42, 2, v87
	v_cndmask_b32_e64 v98, 0, 1, vcc
	s_waitcnt lgkmcnt(0)
	v_cndmask_b32_e32 v39, v39, v34, vcc
	v_mov_b32_e32 v34, s64
	v_cndmask_b32_e32 v38, v38, v34, vcc
	v_cmp_gt_u32_e32 vcc, s60, v42
	v_pk_mov_b32 v[42:43], 0, 0
	s_mov_b64 s[14:15], 0
	v_mov_b32_e32 v101, 0
	v_mov_b32_e32 v114, 0
	v_pk_mov_b32 v[72:73], v[42:43], v[42:43] op_sel:[0,1]
	v_mov_b32_e32 v113, 0
	v_pk_mov_b32 v[70:71], v[42:43], v[42:43] op_sel:[0,1]
	;; [unrolled: 2-line block ×15, first 2 shown]
                                        ; implicit-def: $sgpr16_sgpr17
                                        ; implicit-def: $vgpr80_vgpr81
	s_and_saveexec_b64 s[10:11], vcc
	s_cbranch_execz .LBB383_120
; %bb.87:
	v_cmp_ne_u64_e32 vcc, v[36:37], v[30:31]
	v_mov_b32_e32 v35, s65
	v_add_u32_e32 v34, 3, v87
	v_cndmask_b32_e32 v47, v41, v35, vcc
	v_mov_b32_e32 v35, s64
	v_pk_mov_b32 v[42:43], 0, 0
	v_cndmask_b32_e64 v99, 0, 1, vcc
	v_cndmask_b32_e32 v46, v40, v35, vcc
	v_cmp_gt_u32_e32 vcc, s60, v34
	s_mov_b64 s[16:17], 0
	v_mov_b32_e32 v101, 0
	v_mov_b32_e32 v114, 0
	v_pk_mov_b32 v[72:73], v[42:43], v[42:43] op_sel:[0,1]
	v_mov_b32_e32 v113, 0
	v_pk_mov_b32 v[70:71], v[42:43], v[42:43] op_sel:[0,1]
	;; [unrolled: 2-line block ×14, first 2 shown]
                                        ; implicit-def: $sgpr18_sgpr19
                                        ; implicit-def: $vgpr80_vgpr81
	s_and_saveexec_b64 s[12:13], vcc
	s_cbranch_execz .LBB383_119
; %bb.88:
	ds_read2_b64 v[34:37], v86 offset0:3 offset1:4
	v_cmp_ne_u64_e32 vcc, v[30:31], v[32:33]
	v_mov_b32_e32 v30, s65
	v_add_u32_e32 v40, 4, v87
	v_pk_mov_b32 v[42:43], 0, 0
	s_waitcnt lgkmcnt(0)
	v_cndmask_b32_e32 v49, v35, v30, vcc
	v_mov_b32_e32 v30, s64
	v_cndmask_b32_e64 v100, 0, 1, vcc
	v_cndmask_b32_e32 v48, v34, v30, vcc
	v_cmp_gt_u32_e32 vcc, s60, v40
	s_mov_b64 s[18:19], 0
	v_mov_b32_e32 v101, 0
	v_mov_b32_e32 v114, 0
	v_pk_mov_b32 v[72:73], v[42:43], v[42:43] op_sel:[0,1]
	v_mov_b32_e32 v113, 0
	v_pk_mov_b32 v[70:71], v[42:43], v[42:43] op_sel:[0,1]
	v_mov_b32_e32 v112, 0
	v_pk_mov_b32 v[68:69], v[42:43], v[42:43] op_sel:[0,1]
	v_mov_b32_e32 v111, 0
	v_pk_mov_b32 v[66:67], v[42:43], v[42:43] op_sel:[0,1]
	v_mov_b32_e32 v110, 0
	v_pk_mov_b32 v[64:65], v[42:43], v[42:43] op_sel:[0,1]
	v_mov_b32_e32 v109, 0
	v_pk_mov_b32 v[62:63], v[42:43], v[42:43] op_sel:[0,1]
	v_mov_b32_e32 v108, 0
	v_pk_mov_b32 v[60:61], v[42:43], v[42:43] op_sel:[0,1]
	v_mov_b32_e32 v107, 0
	v_pk_mov_b32 v[58:59], v[42:43], v[42:43] op_sel:[0,1]
	v_mov_b32_e32 v106, 0
	v_pk_mov_b32 v[44:45], v[42:43], v[42:43] op_sel:[0,1]
	v_mov_b32_e32 v105, 0
	v_pk_mov_b32 v[56:57], v[42:43], v[42:43] op_sel:[0,1]
	v_mov_b32_e32 v104, 0
	v_pk_mov_b32 v[52:53], v[42:43], v[42:43] op_sel:[0,1]
	v_mov_b32_e32 v103, 0
	v_pk_mov_b32 v[50:51], v[42:43], v[42:43] op_sel:[0,1]
	v_mov_b32_e32 v102, 0
	v_pk_mov_b32 v[54:55], v[42:43], v[42:43] op_sel:[0,1]
                                        ; implicit-def: $sgpr20_sgpr21
                                        ; implicit-def: $vgpr80_vgpr81
	s_and_saveexec_b64 s[14:15], vcc
	s_cbranch_execz .LBB383_118
; %bb.89:
	v_cmp_ne_u64_e32 vcc, v[32:33], v[26:27]
	v_mov_b32_e32 v31, s65
	v_add_u32_e32 v30, 5, v87
	v_cndmask_b32_e32 v55, v37, v31, vcc
	v_mov_b32_e32 v31, s64
	v_pk_mov_b32 v[42:43], 0, 0
	v_cndmask_b32_e64 v102, 0, 1, vcc
	v_cndmask_b32_e32 v54, v36, v31, vcc
	v_cmp_gt_u32_e32 vcc, s60, v30
	s_mov_b64 s[20:21], 0
	v_mov_b32_e32 v101, 0
	v_mov_b32_e32 v114, 0
	v_pk_mov_b32 v[72:73], v[42:43], v[42:43] op_sel:[0,1]
	v_mov_b32_e32 v113, 0
	v_pk_mov_b32 v[70:71], v[42:43], v[42:43] op_sel:[0,1]
	;; [unrolled: 2-line block ×12, first 2 shown]
                                        ; implicit-def: $sgpr22_sgpr23
                                        ; implicit-def: $vgpr80_vgpr81
	s_and_saveexec_b64 s[16:17], vcc
	s_cbranch_execz .LBB383_117
; %bb.90:
	ds_read2_b64 v[30:33], v86 offset0:5 offset1:6
	v_cmp_ne_u64_e32 vcc, v[26:27], v[28:29]
	v_mov_b32_e32 v26, s65
	v_add_u32_e32 v34, 6, v87
	v_pk_mov_b32 v[42:43], 0, 0
	s_waitcnt lgkmcnt(0)
	v_cndmask_b32_e32 v51, v31, v26, vcc
	v_mov_b32_e32 v26, s64
	v_cndmask_b32_e64 v103, 0, 1, vcc
	v_cndmask_b32_e32 v50, v30, v26, vcc
	v_cmp_gt_u32_e32 vcc, s60, v34
	s_mov_b64 s[22:23], 0
	v_mov_b32_e32 v101, 0
	v_mov_b32_e32 v114, 0
	v_pk_mov_b32 v[72:73], v[42:43], v[42:43] op_sel:[0,1]
	v_mov_b32_e32 v113, 0
	v_pk_mov_b32 v[70:71], v[42:43], v[42:43] op_sel:[0,1]
	;; [unrolled: 2-line block ×11, first 2 shown]
                                        ; implicit-def: $sgpr24_sgpr25
                                        ; implicit-def: $vgpr80_vgpr81
	s_and_saveexec_b64 s[18:19], vcc
	s_cbranch_execz .LBB383_116
; %bb.91:
	v_cmp_ne_u64_e32 vcc, v[28:29], v[22:23]
	v_mov_b32_e32 v27, s65
	v_add_u32_e32 v26, 7, v87
	v_cndmask_b32_e32 v53, v33, v27, vcc
	v_mov_b32_e32 v27, s64
	v_pk_mov_b32 v[42:43], 0, 0
	v_cndmask_b32_e64 v104, 0, 1, vcc
	v_cndmask_b32_e32 v52, v32, v27, vcc
	v_cmp_gt_u32_e32 vcc, s60, v26
	s_mov_b64 s[24:25], 0
	v_mov_b32_e32 v101, 0
	v_mov_b32_e32 v114, 0
	v_pk_mov_b32 v[72:73], v[42:43], v[42:43] op_sel:[0,1]
	v_mov_b32_e32 v113, 0
	v_pk_mov_b32 v[70:71], v[42:43], v[42:43] op_sel:[0,1]
	;; [unrolled: 2-line block ×10, first 2 shown]
                                        ; implicit-def: $sgpr26_sgpr27
                                        ; implicit-def: $vgpr80_vgpr81
	s_and_saveexec_b64 s[20:21], vcc
	s_cbranch_execz .LBB383_115
; %bb.92:
	ds_read2_b64 v[26:29], v86 offset0:7 offset1:8
	v_cmp_ne_u64_e32 vcc, v[22:23], v[24:25]
	v_mov_b32_e32 v22, s65
	v_add_u32_e32 v30, 8, v87
	v_pk_mov_b32 v[42:43], 0, 0
	s_waitcnt lgkmcnt(0)
	v_cndmask_b32_e32 v57, v27, v22, vcc
	v_mov_b32_e32 v22, s64
	v_cndmask_b32_e64 v105, 0, 1, vcc
	v_cndmask_b32_e32 v56, v26, v22, vcc
	v_cmp_gt_u32_e32 vcc, s60, v30
	s_mov_b64 s[26:27], 0
	v_mov_b32_e32 v101, 0
	v_mov_b32_e32 v114, 0
	v_pk_mov_b32 v[72:73], v[42:43], v[42:43] op_sel:[0,1]
	v_mov_b32_e32 v113, 0
	v_pk_mov_b32 v[70:71], v[42:43], v[42:43] op_sel:[0,1]
	;; [unrolled: 2-line block ×9, first 2 shown]
                                        ; implicit-def: $sgpr28_sgpr29
                                        ; implicit-def: $vgpr80_vgpr81
	s_and_saveexec_b64 s[22:23], vcc
	s_cbranch_execz .LBB383_114
; %bb.93:
	v_cmp_ne_u64_e32 vcc, v[24:25], v[18:19]
	v_mov_b32_e32 v23, s65
	v_add_u32_e32 v22, 9, v87
	v_cndmask_b32_e32 v45, v29, v23, vcc
	v_mov_b32_e32 v23, s64
	v_pk_mov_b32 v[42:43], 0, 0
	v_cndmask_b32_e64 v106, 0, 1, vcc
	v_cndmask_b32_e32 v44, v28, v23, vcc
	v_cmp_gt_u32_e32 vcc, s60, v22
	s_mov_b64 s[28:29], 0
	v_mov_b32_e32 v101, 0
	v_mov_b32_e32 v114, 0
	v_pk_mov_b32 v[72:73], v[42:43], v[42:43] op_sel:[0,1]
	v_mov_b32_e32 v113, 0
	v_pk_mov_b32 v[70:71], v[42:43], v[42:43] op_sel:[0,1]
	v_mov_b32_e32 v112, 0
	v_pk_mov_b32 v[68:69], v[42:43], v[42:43] op_sel:[0,1]
	v_mov_b32_e32 v111, 0
	v_pk_mov_b32 v[66:67], v[42:43], v[42:43] op_sel:[0,1]
	v_mov_b32_e32 v110, 0
	v_pk_mov_b32 v[64:65], v[42:43], v[42:43] op_sel:[0,1]
	v_mov_b32_e32 v109, 0
	v_pk_mov_b32 v[62:63], v[42:43], v[42:43] op_sel:[0,1]
	v_mov_b32_e32 v108, 0
	v_pk_mov_b32 v[60:61], v[42:43], v[42:43] op_sel:[0,1]
	v_mov_b32_e32 v107, 0
	v_pk_mov_b32 v[58:59], v[42:43], v[42:43] op_sel:[0,1]
                                        ; implicit-def: $sgpr30_sgpr31
                                        ; implicit-def: $vgpr80_vgpr81
	s_and_saveexec_b64 s[24:25], vcc
	s_cbranch_execz .LBB383_113
; %bb.94:
	ds_read2_b64 v[22:25], v86 offset0:9 offset1:10
	v_cmp_ne_u64_e32 vcc, v[18:19], v[20:21]
	v_mov_b32_e32 v18, s65
	v_add_u32_e32 v26, 10, v87
	v_pk_mov_b32 v[42:43], 0, 0
	s_waitcnt lgkmcnt(0)
	v_cndmask_b32_e32 v59, v23, v18, vcc
	v_mov_b32_e32 v18, s64
	v_cndmask_b32_e64 v107, 0, 1, vcc
	v_cndmask_b32_e32 v58, v22, v18, vcc
	v_cmp_gt_u32_e32 vcc, s60, v26
	s_mov_b64 s[30:31], 0
	v_mov_b32_e32 v101, 0
	v_mov_b32_e32 v114, 0
	v_pk_mov_b32 v[72:73], v[42:43], v[42:43] op_sel:[0,1]
	v_mov_b32_e32 v113, 0
	v_pk_mov_b32 v[70:71], v[42:43], v[42:43] op_sel:[0,1]
	;; [unrolled: 2-line block ×7, first 2 shown]
                                        ; implicit-def: $sgpr34_sgpr35
                                        ; implicit-def: $vgpr80_vgpr81
	s_and_saveexec_b64 s[26:27], vcc
	s_cbranch_execz .LBB383_112
; %bb.95:
	v_cmp_ne_u64_e32 vcc, v[20:21], v[14:15]
	v_mov_b32_e32 v19, s65
	v_add_u32_e32 v18, 11, v87
	v_cndmask_b32_e32 v61, v25, v19, vcc
	v_mov_b32_e32 v19, s64
	v_pk_mov_b32 v[42:43], 0, 0
	v_cndmask_b32_e64 v108, 0, 1, vcc
	v_cndmask_b32_e32 v60, v24, v19, vcc
	v_cmp_gt_u32_e32 vcc, s60, v18
	s_mov_b64 s[34:35], 0
	v_mov_b32_e32 v101, 0
	v_mov_b32_e32 v114, 0
	v_pk_mov_b32 v[72:73], v[42:43], v[42:43] op_sel:[0,1]
	v_mov_b32_e32 v113, 0
	v_pk_mov_b32 v[70:71], v[42:43], v[42:43] op_sel:[0,1]
	;; [unrolled: 2-line block ×6, first 2 shown]
                                        ; implicit-def: $sgpr36_sgpr37
                                        ; implicit-def: $vgpr80_vgpr81
	s_and_saveexec_b64 s[28:29], vcc
	s_cbranch_execz .LBB383_111
; %bb.96:
	ds_read2_b64 v[18:21], v86 offset0:11 offset1:12
	v_cmp_ne_u64_e32 vcc, v[14:15], v[16:17]
	v_mov_b32_e32 v14, s65
	v_add_u32_e32 v22, 12, v87
	v_pk_mov_b32 v[42:43], 0, 0
	s_waitcnt lgkmcnt(0)
	v_cndmask_b32_e32 v63, v19, v14, vcc
	v_mov_b32_e32 v14, s64
	v_cndmask_b32_e64 v109, 0, 1, vcc
	v_cndmask_b32_e32 v62, v18, v14, vcc
	v_cmp_gt_u32_e32 vcc, s60, v22
	s_mov_b64 s[36:37], 0
	v_mov_b32_e32 v101, 0
	v_mov_b32_e32 v114, 0
	v_pk_mov_b32 v[72:73], v[42:43], v[42:43] op_sel:[0,1]
	v_mov_b32_e32 v113, 0
	v_pk_mov_b32 v[70:71], v[42:43], v[42:43] op_sel:[0,1]
	;; [unrolled: 2-line block ×5, first 2 shown]
                                        ; implicit-def: $sgpr38_sgpr39
                                        ; implicit-def: $vgpr80_vgpr81
	s_and_saveexec_b64 s[30:31], vcc
	s_cbranch_execz .LBB383_110
; %bb.97:
	v_cmp_ne_u64_e32 vcc, v[16:17], v[10:11]
	v_mov_b32_e32 v15, s65
	v_add_u32_e32 v14, 13, v87
	v_cndmask_b32_e32 v65, v21, v15, vcc
	v_mov_b32_e32 v15, s64
	v_pk_mov_b32 v[42:43], 0, 0
	v_cndmask_b32_e64 v110, 0, 1, vcc
	v_cndmask_b32_e32 v64, v20, v15, vcc
	v_cmp_gt_u32_e32 vcc, s60, v14
	s_mov_b64 s[38:39], 0
	v_mov_b32_e32 v101, 0
	v_mov_b32_e32 v114, 0
	v_pk_mov_b32 v[72:73], v[42:43], v[42:43] op_sel:[0,1]
	v_mov_b32_e32 v113, 0
	v_pk_mov_b32 v[70:71], v[42:43], v[42:43] op_sel:[0,1]
	;; [unrolled: 2-line block ×4, first 2 shown]
                                        ; implicit-def: $sgpr40_sgpr41
                                        ; implicit-def: $vgpr80_vgpr81
	s_and_saveexec_b64 s[34:35], vcc
	s_cbranch_execz .LBB383_109
; %bb.98:
	ds_read2_b64 v[14:17], v86 offset0:13 offset1:14
	v_cmp_ne_u64_e32 vcc, v[10:11], v[12:13]
	v_mov_b32_e32 v10, s65
	v_add_u32_e32 v18, 14, v87
	v_pk_mov_b32 v[42:43], 0, 0
	s_waitcnt lgkmcnt(0)
	v_cndmask_b32_e32 v67, v15, v10, vcc
	v_mov_b32_e32 v10, s64
	v_cndmask_b32_e64 v111, 0, 1, vcc
	v_cndmask_b32_e32 v66, v14, v10, vcc
	v_cmp_gt_u32_e32 vcc, s60, v18
	s_mov_b64 s[40:41], 0
	v_mov_b32_e32 v101, 0
	v_mov_b32_e32 v114, 0
	v_pk_mov_b32 v[72:73], v[42:43], v[42:43] op_sel:[0,1]
	v_mov_b32_e32 v113, 0
	v_pk_mov_b32 v[70:71], v[42:43], v[42:43] op_sel:[0,1]
	;; [unrolled: 2-line block ×3, first 2 shown]
                                        ; implicit-def: $sgpr42_sgpr43
                                        ; implicit-def: $vgpr80_vgpr81
	s_and_saveexec_b64 s[36:37], vcc
	s_cbranch_execz .LBB383_108
; %bb.99:
	v_cmp_ne_u64_e32 vcc, v[12:13], v[6:7]
	v_mov_b32_e32 v11, s65
	v_add_u32_e32 v10, 15, v87
	v_cndmask_b32_e32 v69, v17, v11, vcc
	v_mov_b32_e32 v11, s64
	v_pk_mov_b32 v[42:43], 0, 0
	v_cndmask_b32_e64 v112, 0, 1, vcc
	v_cndmask_b32_e32 v68, v16, v11, vcc
	v_cmp_gt_u32_e32 vcc, s60, v10
	s_mov_b64 s[42:43], 0
	v_mov_b32_e32 v101, 0
	v_mov_b32_e32 v114, 0
	v_pk_mov_b32 v[72:73], v[42:43], v[42:43] op_sel:[0,1]
	v_mov_b32_e32 v113, 0
	v_pk_mov_b32 v[70:71], v[42:43], v[42:43] op_sel:[0,1]
                                        ; implicit-def: $sgpr52_sgpr53
                                        ; implicit-def: $vgpr80_vgpr81
	s_and_saveexec_b64 s[38:39], vcc
	s_cbranch_execz .LBB383_107
; %bb.100:
	ds_read2_b64 v[10:13], v86 offset0:15 offset1:16
	v_cmp_ne_u64_e32 vcc, v[6:7], v[8:9]
	v_mov_b32_e32 v6, s65
	v_add_u32_e32 v14, 16, v87
	v_pk_mov_b32 v[42:43], 0, 0
	s_waitcnt lgkmcnt(0)
	v_cndmask_b32_e32 v71, v11, v6, vcc
	v_mov_b32_e32 v6, s64
	v_cndmask_b32_e64 v113, 0, 1, vcc
	v_cndmask_b32_e32 v70, v10, v6, vcc
	v_cmp_gt_u32_e32 vcc, s60, v14
	s_mov_b64 s[52:53], 0
	v_mov_b32_e32 v101, 0
	v_mov_b32_e32 v114, 0
	v_pk_mov_b32 v[72:73], v[42:43], v[42:43] op_sel:[0,1]
                                        ; implicit-def: $sgpr56_sgpr57
                                        ; implicit-def: $vgpr80_vgpr81
	s_and_saveexec_b64 s[40:41], vcc
	s_cbranch_execz .LBB383_106
; %bb.101:
	v_cmp_ne_u64_e32 vcc, v[8:9], v[2:3]
	v_mov_b32_e32 v7, s65
	v_add_u32_e32 v6, 17, v87
	v_cndmask_b32_e32 v73, v13, v7, vcc
	v_mov_b32_e32 v7, s64
	v_cndmask_b32_e64 v114, 0, 1, vcc
	v_cndmask_b32_e32 v72, v12, v7, vcc
	v_cmp_gt_u32_e32 vcc, s60, v6
	v_mov_b32_e32 v101, 0
	v_pk_mov_b32 v[42:43], 0, 0
                                        ; implicit-def: $sgpr56_sgpr57
                                        ; implicit-def: $vgpr80_vgpr81
	s_and_saveexec_b64 s[42:43], vcc
	s_cbranch_execz .LBB383_105
; %bb.102:
	ds_read2_b64 v[6:9], v86 offset0:17 offset1:18
	v_cmp_ne_u64_e32 vcc, v[2:3], v[4:5]
	v_mov_b32_e32 v2, s65
	v_add_u32_e32 v10, 18, v87
	v_cndmask_b32_e64 v101, 0, 1, vcc
	s_waitcnt lgkmcnt(0)
	v_cndmask_b32_e32 v43, v7, v2, vcc
	v_mov_b32_e32 v2, s64
	v_cndmask_b32_e32 v42, v6, v2, vcc
	v_cmp_gt_u32_e32 vcc, s60, v10
                                        ; implicit-def: $sgpr56_sgpr57
                                        ; implicit-def: $vgpr80_vgpr81
	s_and_saveexec_b64 s[60:61], vcc
	s_xor_b64 s[60:61], exec, s[60:61]
; %bb.103:
	v_mov_b32_e32 v2, s65
	v_cmp_ne_u64_e32 vcc, v[4:5], v[82:83]
	v_cndmask_b32_e32 v81, v9, v2, vcc
	v_mov_b32_e32 v2, s64
	s_mov_b64 s[52:53], exec
	v_cndmask_b32_e32 v80, v8, v2, vcc
	s_and_b64 s[56:57], vcc, exec
; %bb.104:
	s_or_b64 exec, exec, s[60:61]
	s_and_b64 s[56:57], s[56:57], exec
	s_and_b64 s[52:53], s[52:53], exec
.LBB383_105:
	s_or_b64 exec, exec, s[42:43]
	s_and_b64 s[56:57], s[56:57], exec
	s_and_b64 s[42:43], s[52:53], exec
.LBB383_106:
	s_or_b64 exec, exec, s[40:41]
	s_and_b64 s[52:53], s[56:57], exec
	s_and_b64 s[40:41], s[42:43], exec
.LBB383_107:
	s_or_b64 exec, exec, s[38:39]
	s_and_b64 s[42:43], s[52:53], exec
	s_and_b64 s[38:39], s[40:41], exec
.LBB383_108:
	s_or_b64 exec, exec, s[36:37]
	s_and_b64 s[40:41], s[42:43], exec
	s_and_b64 s[36:37], s[38:39], exec
.LBB383_109:
	s_or_b64 exec, exec, s[34:35]
	s_and_b64 s[38:39], s[40:41], exec
	s_and_b64 s[34:35], s[36:37], exec
.LBB383_110:
	s_or_b64 exec, exec, s[30:31]
	s_and_b64 s[36:37], s[38:39], exec
	s_and_b64 s[30:31], s[34:35], exec
.LBB383_111:
	s_or_b64 exec, exec, s[28:29]
	s_and_b64 s[34:35], s[36:37], exec
	s_and_b64 s[28:29], s[30:31], exec
.LBB383_112:
	s_or_b64 exec, exec, s[26:27]
	s_and_b64 s[30:31], s[34:35], exec
	s_and_b64 s[26:27], s[28:29], exec
.LBB383_113:
	s_or_b64 exec, exec, s[24:25]
	s_and_b64 s[28:29], s[30:31], exec
	s_and_b64 s[24:25], s[26:27], exec
.LBB383_114:
	s_or_b64 exec, exec, s[22:23]
	s_and_b64 s[26:27], s[28:29], exec
	s_and_b64 s[22:23], s[24:25], exec
.LBB383_115:
	s_or_b64 exec, exec, s[20:21]
	s_and_b64 s[24:25], s[26:27], exec
	s_and_b64 s[20:21], s[22:23], exec
.LBB383_116:
	s_or_b64 exec, exec, s[18:19]
	s_and_b64 s[22:23], s[24:25], exec
	s_and_b64 s[18:19], s[20:21], exec
.LBB383_117:
	s_or_b64 exec, exec, s[16:17]
	s_and_b64 s[20:21], s[22:23], exec
	s_and_b64 s[16:17], s[18:19], exec
.LBB383_118:
	s_or_b64 exec, exec, s[14:15]
	s_and_b64 s[18:19], s[20:21], exec
	s_and_b64 s[14:15], s[16:17], exec
.LBB383_119:
	s_or_b64 exec, exec, s[12:13]
	s_and_b64 s[16:17], s[18:19], exec
	s_and_b64 s[12:13], s[14:15], exec
.LBB383_120:
	s_or_b64 exec, exec, s[10:11]
	s_and_b64 s[14:15], s[16:17], exec
	s_and_b64 s[10:11], s[12:13], exec
.LBB383_121:
	s_or_b64 exec, exec, s[8:9]
	s_and_b64 s[8:9], s[14:15], exec
	s_and_b64 s[10:11], s[10:11], exec
.LBB383_122:
	s_or_b64 exec, exec, s[6:7]
	s_mov_b64 s[6:7], 0
	s_and_b64 vcc, exec, s[4:5]
	v_lshlrev_b32_e32 v115, 3, v0
	s_cbranch_vccz .LBB383_128
.LBB383_123:
	v_add_co_u32_e32 v2, vcc, v78, v115
	v_addc_co_u32_e32 v3, vcc, 0, v79, vcc
	v_add_co_u32_e32 v20, vcc, 0x1000, v2
	v_addc_co_u32_e32 v21, vcc, 0, v3, vcc
	flat_load_dwordx2 v[4:5], v[2:3]
	flat_load_dwordx2 v[6:7], v[2:3] offset:512
	flat_load_dwordx2 v[8:9], v[2:3] offset:1024
	;; [unrolled: 1-line block ×7, first 2 shown]
	v_add_co_u32_e32 v2, vcc, 0x2000, v2
	v_addc_co_u32_e32 v3, vcc, 0, v3, vcc
	flat_load_dwordx2 v[22:23], v[20:21]
	flat_load_dwordx2 v[24:25], v[20:21] offset:512
	flat_load_dwordx2 v[26:27], v[20:21] offset:1024
	;; [unrolled: 1-line block ×7, first 2 shown]
	s_nop 0
	flat_load_dwordx2 v[20:21], v[2:3]
	flat_load_dwordx2 v[38:39], v[2:3] offset:512
	flat_load_dwordx2 v[40:41], v[2:3] offset:1024
	v_add_co_u32_e32 v2, vcc, 0x2000, v78
	v_addc_co_u32_e32 v3, vcc, 0, v79, vcc
	s_movk_i32 s4, 0x90
	v_mad_u32_u24 v1, v0, s4, v115
	s_movk_i32 s4, 0xff70
	s_movk_i32 s7, 0x1000
	;; [unrolled: 1-line block ×3, first 2 shown]
	v_cmp_ne_u32_e32 vcc, 63, v0
	s_waitcnt vmcnt(0) lgkmcnt(0)
	ds_write2st64_b64 v115, v[4:5], v[6:7] offset1:1
	ds_write2st64_b64 v115, v[8:9], v[10:11] offset0:2 offset1:3
	ds_write2st64_b64 v115, v[12:13], v[14:15] offset0:4 offset1:5
	;; [unrolled: 1-line block ×8, first 2 shown]
	ds_write_b64 v115, v[40:41] offset:9216
	s_waitcnt lgkmcnt(0)
	; wave barrier
	s_waitcnt lgkmcnt(0)
	flat_load_dwordx2 v[78:79], v[2:3] offset:1536
	v_mad_i32_i24 v6, v0, s4, v1
	ds_read_b64 v[76:77], v1
	ds_read2_b64 v[70:73], v1 offset0:1 offset1:2
	ds_read2_b64 v[66:69], v1 offset0:3 offset1:4
	;; [unrolled: 1-line block ×9, first 2 shown]
	s_waitcnt lgkmcnt(0)
	ds_write_b64 v6, v[76:77] offset:10240
	s_waitcnt lgkmcnt(0)
	; wave barrier
	s_waitcnt lgkmcnt(0)
	s_and_saveexec_b64 s[4:5], vcc
	s_cbranch_execz .LBB383_125
; %bb.124:
	s_waitcnt vmcnt(0)
	ds_read_b64 v[78:79], v115 offset:10248
.LBB383_125:
	s_or_b64 exec, exec, s[4:5]
	v_add_co_u32_e32 v6, vcc, v84, v115
	v_addc_co_u32_e32 v7, vcc, 0, v85, vcc
	v_add_co_u32_e32 v36, vcc, s7, v6
	v_addc_co_u32_e32 v37, vcc, 0, v7, vcc
	s_waitcnt lgkmcnt(0)
	; wave barrier
	s_waitcnt lgkmcnt(0)
	flat_load_dwordx2 v[8:9], v[6:7]
	flat_load_dwordx2 v[14:15], v[6:7] offset:512
	flat_load_dwordx2 v[16:17], v[6:7] offset:1024
	;; [unrolled: 1-line block ×7, first 2 shown]
	v_add_co_u32_e32 v6, vcc, s6, v6
	v_addc_co_u32_e32 v7, vcc, 0, v7, vcc
	flat_load_dwordx2 v[42:43], v[36:37]
	flat_load_dwordx2 v[44:45], v[36:37] offset:512
	flat_load_dwordx2 v[50:51], v[36:37] offset:1024
	;; [unrolled: 1-line block ×7, first 2 shown]
	s_nop 0
	flat_load_dwordx2 v[36:37], v[6:7]
	flat_load_dwordx2 v[80:81], v[6:7] offset:512
	flat_load_dwordx2 v[82:83], v[6:7] offset:1024
	v_cmp_ne_u64_e32 vcc, v[76:77], v[70:71]
	v_cmp_eq_u64_e64 s[4:5], v[76:77], v[70:71]
	v_pk_mov_b32 v[76:77], s[64:65], s[64:65] op_sel:[0,1]
	s_waitcnt vmcnt(0) lgkmcnt(0)
	ds_write2st64_b64 v115, v[8:9], v[14:15] offset1:1
	ds_write2st64_b64 v115, v[16:17], v[22:23] offset0:2 offset1:3
	ds_write2st64_b64 v115, v[24:25], v[26:27] offset0:4 offset1:5
	;; [unrolled: 1-line block ×8, first 2 shown]
	ds_write_b64 v115, v[82:83] offset:9216
	s_waitcnt lgkmcnt(0)
	; wave barrier
	s_waitcnt lgkmcnt(0)
	ds_read2_b64 v[62:65], v1 offset0:1 offset1:2
	ds_read2_b64 v[58:61], v1 offset0:3 offset1:4
	;; [unrolled: 1-line block ×9, first 2 shown]
	s_and_saveexec_b64 s[6:7], s[4:5]
	s_cbranch_execz .LBB383_127
; %bb.126:
	ds_read_b64 v[76:77], v1
.LBB383_127:
	s_or_b64 exec, exec, s[6:7]
	v_cmp_ne_u64_e64 s[8:9], v[68:69], v[54:55]
	v_cmp_ne_u64_e64 s[34:35], v[12:13], v[2:3]
	;; [unrolled: 1-line block ×3, first 2 shown]
	v_mov_b32_e32 v2, s65
	v_mov_b32_e32 v3, s64
	v_cndmask_b32_e64 v1, 0, 1, vcc
	v_cmp_ne_u64_e32 vcc, v[70:71], v[72:73]
	v_cmp_ne_u64_e64 s[4:5], v[72:73], v[66:67]
	v_cmp_ne_u64_e64 s[6:7], v[66:67], v[68:69]
	v_cndmask_b32_e64 v102, 0, 1, s[8:9]
	v_cmp_ne_u64_e64 s[10:11], v[54:55], v[56:57]
	v_cmp_ne_u64_e64 s[12:13], v[56:57], v[46:47]
	;; [unrolled: 1-line block ×11, first 2 shown]
	s_waitcnt lgkmcnt(7)
	v_cndmask_b32_e64 v55, v61, v2, s[8:9]
	v_cndmask_b32_e64 v54, v60, v3, s[8:9]
	v_cmp_ne_u64_e64 s[8:9], v[4:5], v[78:79]
	v_cndmask_b32_e64 v98, 0, 1, vcc
	v_cndmask_b32_e64 v99, 0, 1, s[4:5]
	v_cndmask_b32_e64 v100, 0, 1, s[6:7]
	;; [unrolled: 1-line block ×15, first 2 shown]
	v_cndmask_b32_e32 v39, v63, v2, vcc
	v_cndmask_b32_e32 v38, v62, v3, vcc
	v_cndmask_b32_e64 v47, v65, v2, s[4:5]
	v_cndmask_b32_e64 v46, v64, v3, s[4:5]
	v_cndmask_b32_e64 v49, v59, v2, s[6:7]
	v_cndmask_b32_e64 v48, v58, v3, s[6:7]
	s_waitcnt lgkmcnt(6)
	v_cndmask_b32_e64 v51, v51, v2, s[10:11]
	v_cndmask_b32_e64 v50, v50, v3, s[10:11]
	v_cndmask_b32_e64 v53, v53, v2, s[12:13]
	v_cndmask_b32_e64 v52, v52, v3, s[12:13]
	s_waitcnt lgkmcnt(5)
	;; [unrolled: 5-line block ×7, first 2 shown]
	v_cndmask_b32_e64 v43, v7, v2, s[36:37]
	v_cndmask_b32_e64 v42, v6, v3, s[36:37]
	;; [unrolled: 1-line block ×4, first 2 shown]
	s_mov_b64 s[10:11], -1
                                        ; implicit-def: $sgpr68
                                        ; implicit-def: $sgpr6_sgpr7
.LBB383_128:
	v_pk_mov_b32 v[40:41], s[6:7], s[6:7] op_sel:[0,1]
	v_mov_b32_e32 v116, s68
	s_and_saveexec_b64 s[4:5], s[10:11]
; %bb.129:
	v_cndmask_b32_e64 v116, 0, 1, s[8:9]
	v_pk_mov_b32 v[40:41], v[80:81], v[80:81] op_sel:[0,1]
; %bb.130:
	s_or_b64 exec, exec, s[4:5]
	v_or_b32_e32 v2, v116, v101
	s_cmp_lg_u32 s51, 0
	v_or_b32_e32 v118, v2, v114
	v_mbcnt_lo_u32_b32 v117, -1, 0
	s_waitcnt lgkmcnt(0)
	; wave barrier
	s_waitcnt lgkmcnt(0)
	s_cbranch_scc0 .LBB383_189
; %bb.131:
	v_mov_b32_e32 v2, 0
	v_cmp_eq_u16_sdwa s[38:39], v98, v2 src0_sel:BYTE_0 src1_sel:DWORD
	v_cndmask_b32_e64 v4, 0, v76, s[38:39]
	v_cndmask_b32_e64 v3, 0, v77, s[38:39]
	v_add_co_u32_e32 v4, vcc, v4, v38
	v_cmp_eq_u16_sdwa s[36:37], v99, v2 src0_sel:BYTE_0 src1_sel:DWORD
	v_addc_co_u32_e32 v3, vcc, v3, v39, vcc
	v_cndmask_b32_e64 v4, 0, v4, s[36:37]
	v_cndmask_b32_e64 v3, 0, v3, s[36:37]
	v_add_co_u32_e32 v4, vcc, v4, v46
	v_cmp_eq_u16_sdwa s[34:35], v100, v2 src0_sel:BYTE_0 src1_sel:DWORD
	v_addc_co_u32_e32 v3, vcc, v3, v47, vcc
	v_cndmask_b32_e64 v4, 0, v4, s[34:35]
	v_cndmask_b32_e64 v3, 0, v3, s[34:35]
	v_add_co_u32_e32 v4, vcc, v4, v48
	v_cmp_eq_u16_sdwa s[30:31], v102, v2 src0_sel:BYTE_0 src1_sel:DWORD
	v_addc_co_u32_e32 v3, vcc, v3, v49, vcc
	v_cndmask_b32_e64 v4, 0, v4, s[30:31]
	v_cndmask_b32_e64 v3, 0, v3, s[30:31]
	v_add_co_u32_e32 v4, vcc, v4, v54
	v_cmp_eq_u16_sdwa s[28:29], v103, v2 src0_sel:BYTE_0 src1_sel:DWORD
	v_addc_co_u32_e32 v3, vcc, v3, v55, vcc
	v_cndmask_b32_e64 v4, 0, v4, s[28:29]
	v_cndmask_b32_e64 v3, 0, v3, s[28:29]
	v_add_co_u32_e32 v4, vcc, v4, v50
	v_cmp_eq_u16_sdwa s[26:27], v104, v2 src0_sel:BYTE_0 src1_sel:DWORD
	v_addc_co_u32_e32 v3, vcc, v3, v51, vcc
	v_cndmask_b32_e64 v4, 0, v4, s[26:27]
	v_cndmask_b32_e64 v3, 0, v3, s[26:27]
	v_add_co_u32_e32 v4, vcc, v4, v52
	v_cmp_eq_u16_sdwa s[24:25], v105, v2 src0_sel:BYTE_0 src1_sel:DWORD
	v_addc_co_u32_e32 v3, vcc, v3, v53, vcc
	v_cndmask_b32_e64 v4, 0, v4, s[24:25]
	v_cndmask_b32_e64 v3, 0, v3, s[24:25]
	v_add_co_u32_e32 v4, vcc, v4, v56
	v_cmp_eq_u16_sdwa s[22:23], v106, v2 src0_sel:BYTE_0 src1_sel:DWORD
	v_addc_co_u32_e32 v3, vcc, v3, v57, vcc
	v_cndmask_b32_e64 v4, 0, v4, s[22:23]
	v_cndmask_b32_e64 v3, 0, v3, s[22:23]
	v_add_co_u32_e32 v4, vcc, v4, v44
	v_cmp_eq_u16_sdwa s[20:21], v107, v2 src0_sel:BYTE_0 src1_sel:DWORD
	v_addc_co_u32_e32 v3, vcc, v3, v45, vcc
	v_cndmask_b32_e64 v4, 0, v4, s[20:21]
	v_cndmask_b32_e64 v3, 0, v3, s[20:21]
	v_add_co_u32_e32 v4, vcc, v4, v58
	v_cmp_eq_u16_sdwa s[18:19], v108, v2 src0_sel:BYTE_0 src1_sel:DWORD
	v_addc_co_u32_e32 v3, vcc, v3, v59, vcc
	v_cndmask_b32_e64 v4, 0, v4, s[18:19]
	v_cndmask_b32_e64 v3, 0, v3, s[18:19]
	v_add_co_u32_e32 v4, vcc, v4, v60
	v_cmp_eq_u16_sdwa s[16:17], v109, v2 src0_sel:BYTE_0 src1_sel:DWORD
	v_addc_co_u32_e32 v3, vcc, v3, v61, vcc
	v_cndmask_b32_e64 v4, 0, v4, s[16:17]
	v_cndmask_b32_e64 v3, 0, v3, s[16:17]
	v_add_co_u32_e32 v4, vcc, v4, v62
	v_cmp_eq_u16_sdwa s[14:15], v110, v2 src0_sel:BYTE_0 src1_sel:DWORD
	v_addc_co_u32_e32 v3, vcc, v3, v63, vcc
	v_cndmask_b32_e64 v4, 0, v4, s[14:15]
	v_cndmask_b32_e64 v3, 0, v3, s[14:15]
	v_add_co_u32_e32 v4, vcc, v4, v64
	v_cmp_eq_u16_sdwa s[12:13], v111, v2 src0_sel:BYTE_0 src1_sel:DWORD
	v_addc_co_u32_e32 v3, vcc, v3, v65, vcc
	v_cndmask_b32_e64 v4, 0, v4, s[12:13]
	v_cndmask_b32_e64 v3, 0, v3, s[12:13]
	v_add_co_u32_e32 v4, vcc, v4, v66
	v_cmp_eq_u16_sdwa s[10:11], v112, v2 src0_sel:BYTE_0 src1_sel:DWORD
	v_addc_co_u32_e32 v3, vcc, v3, v67, vcc
	v_cndmask_b32_e64 v4, 0, v4, s[10:11]
	v_cndmask_b32_e64 v3, 0, v3, s[10:11]
	v_add_co_u32_e32 v4, vcc, v4, v68
	v_cmp_eq_u16_sdwa s[8:9], v113, v2 src0_sel:BYTE_0 src1_sel:DWORD
	v_addc_co_u32_e32 v3, vcc, v3, v69, vcc
	v_cndmask_b32_e64 v4, 0, v4, s[8:9]
	v_cndmask_b32_e64 v3, 0, v3, s[8:9]
	v_add_co_u32_e32 v4, vcc, v4, v70
	v_cmp_eq_u16_sdwa s[6:7], v114, v2 src0_sel:BYTE_0 src1_sel:DWORD
	v_addc_co_u32_e32 v3, vcc, v3, v71, vcc
	v_cndmask_b32_e64 v4, 0, v4, s[6:7]
	v_cndmask_b32_e64 v3, 0, v3, s[6:7]
	v_add_co_u32_e32 v4, vcc, v4, v72
	v_cmp_eq_u16_sdwa s[4:5], v101, v2 src0_sel:BYTE_0 src1_sel:DWORD
	v_addc_co_u32_e32 v3, vcc, v3, v73, vcc
	v_cndmask_b32_e64 v4, 0, v4, s[4:5]
	v_cndmask_b32_e64 v3, 0, v3, s[4:5]
	v_add_co_u32_e32 v4, vcc, v4, v42
	v_addc_co_u32_e32 v3, vcc, v3, v43, vcc
	v_cmp_eq_u16_sdwa vcc, v116, v2 src0_sel:BYTE_0 src1_sel:DWORD
	v_cndmask_b32_e32 v2, 0, v4, vcc
	v_or_b32_e32 v4, v118, v113
	v_or_b32_e32 v4, v4, v112
	;; [unrolled: 1-line block ×15, first 2 shown]
	v_cndmask_b32_e32 v3, 0, v3, vcc
	v_add_co_u32_e32 v2, vcc, v2, v40
	v_or_b32_e32 v4, v4, v1
	v_mbcnt_hi_u32_b32 v5, -1, v117
	v_addc_co_u32_e32 v3, vcc, v3, v41, vcc
	v_and_b32_e32 v4, 1, v4
	v_and_b32_e32 v7, 15, v5
	v_cmp_eq_u32_e32 vcc, 1, v4
	v_mov_b32_dpp v9, v2 row_shr:1 row_mask:0xf bank_mask:0xf
	v_mov_b32_dpp v10, v3 row_shr:1 row_mask:0xf bank_mask:0xf
	;; [unrolled: 1-line block ×3, first 2 shown]
	v_cmp_ne_u32_e64 s[40:41], 0, v7
	v_mov_b32_e32 v6, v4
	s_and_saveexec_b64 s[42:43], s[40:41]
; %bb.132:
	v_cndmask_b32_e64 v9, v9, 0, vcc
	v_cndmask_b32_e64 v6, v10, 0, vcc
	v_add_co_u32_e32 v2, vcc, v9, v2
	v_addc_co_u32_e32 v3, vcc, v6, v3, vcc
	v_and_b32_e32 v6, 1, v8
	v_or_b32_e32 v4, v6, v4
	v_and_b32_e32 v6, 0xffff, v4
; %bb.133:
	s_or_b64 exec, exec, s[42:43]
	v_mov_b32_dpp v9, v2 row_shr:2 row_mask:0xf bank_mask:0xf
	v_mov_b32_dpp v10, v3 row_shr:2 row_mask:0xf bank_mask:0xf
	v_mov_b32_dpp v8, v6 row_shr:2 row_mask:0xf bank_mask:0xf
	v_cmp_lt_u32_e32 vcc, 1, v7
	s_and_saveexec_b64 s[42:43], vcc
	s_cbranch_execz .LBB383_135
; %bb.134:
	v_cmp_eq_u16_e32 vcc, 0, v4
	v_cndmask_b32_e32 v9, 0, v9, vcc
	v_cndmask_b32_e32 v6, 0, v10, vcc
	v_add_co_u32_e32 v2, vcc, v9, v2
	v_addc_co_u32_e32 v3, vcc, v6, v3, vcc
	v_and_b32_e32 v4, 1, v4
	v_cmp_eq_u32_e32 vcc, 1, v4
	v_and_b32_e32 v4, 1, v8
	v_cmp_eq_u32_e64 s[40:41], 1, v4
	s_or_b64 s[40:41], vcc, s[40:41]
	v_cndmask_b32_e64 v4, 0, 1, s[40:41]
	v_cndmask_b32_e64 v6, 0, 1, s[40:41]
.LBB383_135:
	s_or_b64 exec, exec, s[42:43]
	v_mov_b32_dpp v9, v2 row_shr:4 row_mask:0xf bank_mask:0xf
	v_mov_b32_dpp v10, v3 row_shr:4 row_mask:0xf bank_mask:0xf
	v_mov_b32_dpp v8, v6 row_shr:4 row_mask:0xf bank_mask:0xf
	v_cmp_lt_u32_e32 vcc, 3, v7
	s_and_saveexec_b64 s[42:43], vcc
	s_cbranch_execz .LBB383_137
; %bb.136:
	v_cmp_eq_u16_e32 vcc, 0, v4
	v_cndmask_b32_e32 v9, 0, v9, vcc
	v_cndmask_b32_e32 v6, 0, v10, vcc
	v_add_co_u32_e32 v2, vcc, v9, v2
	v_addc_co_u32_e32 v3, vcc, v6, v3, vcc
	v_and_b32_e32 v4, 1, v4
	v_cmp_eq_u32_e32 vcc, 1, v4
	v_and_b32_e32 v4, 1, v8
	v_cmp_eq_u32_e64 s[40:41], 1, v4
	s_or_b64 s[40:41], vcc, s[40:41]
	v_cndmask_b32_e64 v4, 0, 1, s[40:41]
	v_cndmask_b32_e64 v6, 0, 1, s[40:41]
.LBB383_137:
	s_or_b64 exec, exec, s[42:43]
	v_mov_b32_dpp v9, v2 row_shr:8 row_mask:0xf bank_mask:0xf
	v_mov_b32_dpp v10, v3 row_shr:8 row_mask:0xf bank_mask:0xf
	v_mov_b32_dpp v8, v6 row_shr:8 row_mask:0xf bank_mask:0xf
	v_cmp_lt_u32_e32 vcc, 7, v7
	s_and_saveexec_b64 s[42:43], vcc
	s_cbranch_execz .LBB383_139
; %bb.138:
	v_cmp_eq_u16_e32 vcc, 0, v4
	v_cndmask_b32_e32 v7, 0, v9, vcc
	v_cndmask_b32_e32 v6, 0, v10, vcc
	v_add_co_u32_e32 v2, vcc, v7, v2
	v_addc_co_u32_e32 v3, vcc, v6, v3, vcc
	v_and_b32_e32 v4, 1, v4
	v_cmp_eq_u32_e32 vcc, 1, v4
	v_and_b32_e32 v4, 1, v8
	v_cmp_eq_u32_e64 s[40:41], 1, v4
	s_or_b64 s[40:41], vcc, s[40:41]
	v_cndmask_b32_e64 v4, 0, 1, s[40:41]
	v_cndmask_b32_e64 v6, 0, 1, s[40:41]
.LBB383_139:
	s_or_b64 exec, exec, s[42:43]
	v_and_b32_e32 v10, 16, v5
	v_mov_b32_dpp v8, v2 row_bcast:15 row_mask:0xf bank_mask:0xf
	v_mov_b32_dpp v9, v3 row_bcast:15 row_mask:0xf bank_mask:0xf
	;; [unrolled: 1-line block ×3, first 2 shown]
	v_cmp_ne_u32_e32 vcc, 0, v10
	s_and_saveexec_b64 s[42:43], vcc
	s_cbranch_execz .LBB383_141
; %bb.140:
	v_cmp_eq_u16_e32 vcc, 0, v4
	v_cndmask_b32_e32 v8, 0, v8, vcc
	v_cndmask_b32_e32 v6, 0, v9, vcc
	v_add_co_u32_e32 v2, vcc, v8, v2
	v_addc_co_u32_e32 v3, vcc, v6, v3, vcc
	v_and_b32_e32 v4, 1, v4
	v_cmp_eq_u32_e32 vcc, 1, v4
	v_and_b32_e32 v4, 1, v7
	v_cmp_eq_u32_e64 s[40:41], 1, v4
	s_or_b64 s[40:41], vcc, s[40:41]
	v_cndmask_b32_e64 v4, 0, 1, s[40:41]
	v_cndmask_b32_e64 v6, 0, 1, s[40:41]
.LBB383_141:
	s_or_b64 exec, exec, s[42:43]
	v_mov_b32_dpp v7, v2 row_bcast:31 row_mask:0xf bank_mask:0xf
	v_mov_b32_dpp v8, v3 row_bcast:31 row_mask:0xf bank_mask:0xf
	;; [unrolled: 1-line block ×3, first 2 shown]
	v_cmp_lt_u32_e32 vcc, 31, v5
	s_and_saveexec_b64 s[42:43], vcc
; %bb.142:
	v_cmp_eq_u16_e32 vcc, 0, v4
	v_cndmask_b32_e32 v7, 0, v7, vcc
	v_cndmask_b32_e32 v8, 0, v8, vcc
	v_add_co_u32_e32 v2, vcc, v7, v2
	v_addc_co_u32_e32 v3, vcc, v8, v3, vcc
	v_and_b32_e32 v4, 1, v4
	v_cmp_eq_u32_e32 vcc, 1, v4
	v_and_b32_e32 v4, 1, v6
	v_cmp_eq_u32_e64 s[40:41], 1, v4
	s_or_b64 s[40:41], vcc, s[40:41]
	v_cndmask_b32_e64 v4, 0, 1, s[40:41]
; %bb.143:
	s_or_b64 exec, exec, s[42:43]
	v_cmp_eq_u32_e32 vcc, 63, v0
	s_and_saveexec_b64 s[40:41], vcc
	s_cbranch_execz .LBB383_145
; %bb.144:
	v_mov_b32_e32 v6, 0
	ds_write_b64 v6, v[2:3]
	ds_write_b8 v6, v4 offset:8
.LBB383_145:
	s_or_b64 exec, exec, s[40:41]
	v_add_u32_e32 v6, -1, v5
	v_and_b32_e32 v7, 64, v5
	v_cmp_lt_i32_e32 vcc, v6, v7
	v_cndmask_b32_e32 v6, v6, v5, vcc
	v_lshlrev_b32_e32 v6, 2, v6
	ds_bpermute_b32 v12, v6, v2
	v_and_b32_e32 v2, 0xffff, v4
	ds_bpermute_b32 v13, v6, v3
	ds_bpermute_b32 v14, v6, v2
	v_cmp_gt_u32_e32 vcc, 64, v0
	s_waitcnt lgkmcnt(0)
	; wave barrier
	s_waitcnt lgkmcnt(0)
	s_and_saveexec_b64 s[52:53], vcc
	s_cbranch_execz .LBB383_188
; %bb.146:
	v_mov_b32_e32 v7, 0
	ds_read_b64 v[2:3], v7
	ds_read_u8 v15, v7 offset:8
	s_mov_b32 s57, 0
	v_cmp_eq_u32_e64 s[40:41], 0, v5
	s_and_saveexec_b64 s[42:43], s[40:41]
	s_cbranch_execz .LBB383_148
; %bb.147:
	s_add_i32 s56, s51, 64
	s_lshl_b64 s[60:61], s[56:57], 4
	s_add_u32 s60, s44, s60
	s_addc_u32 s61, s45, s61
	v_mov_b32_e32 v4, s56
	v_mov_b32_e32 v6, 1
	s_waitcnt lgkmcnt(1)
	global_store_dwordx2 v7, v[2:3], s[60:61]
	s_waitcnt lgkmcnt(0)
	global_store_byte v7, v15, s[60:61] offset:8
	s_waitcnt vmcnt(0)
	buffer_wbinvl1_vol
	global_store_byte v4, v6, s[48:49]
.LBB383_148:
	s_or_b64 exec, exec, s[42:43]
	v_xad_u32 v4, v5, -1, s51
	v_add_u32_e32 v6, 64, v4
	global_load_ubyte v16, v6, s[48:49] glc
	s_waitcnt vmcnt(0)
	v_cmp_eq_u16_e32 vcc, 0, v16
	s_and_saveexec_b64 s[42:43], vcc
	s_cbranch_execz .LBB383_152
; %bb.149:
	v_mov_b32_e32 v9, s49
	v_add_co_u32_e32 v8, vcc, s48, v6
	v_addc_co_u32_e32 v9, vcc, 0, v9, vcc
	s_mov_b64 s[56:57], 0
.LBB383_150:                            ; =>This Inner Loop Header: Depth=1
	global_load_ubyte v16, v[8:9], off glc
	s_waitcnt vmcnt(0)
	v_cmp_ne_u16_e32 vcc, 0, v16
	s_or_b64 s[56:57], vcc, s[56:57]
	s_andn2_b64 exec, exec, s[56:57]
	s_cbranch_execnz .LBB383_150
; %bb.151:
	s_or_b64 exec, exec, s[56:57]
.LBB383_152:
	s_or_b64 exec, exec, s[42:43]
	v_mov_b32_e32 v8, s47
	v_mov_b32_e32 v9, s45
	v_cmp_eq_u16_e32 vcc, 1, v16
	v_cndmask_b32_e32 v8, v8, v9, vcc
	v_mov_b32_e32 v9, s46
	v_mov_b32_e32 v10, s44
	v_cndmask_b32_e32 v9, v9, v10, vcc
	v_lshlrev_b64 v[6:7], 4, v[6:7]
	v_add_co_u32_e32 v6, vcc, v9, v6
	v_addc_co_u32_e32 v7, vcc, v8, v7, vcc
	s_waitcnt lgkmcnt(0)
	buffer_wbinvl1_vol
	global_load_dwordx2 v[10:11], v[6:7], off
	global_load_ubyte v31, v[6:7], off offset:8
	v_cmp_eq_u16_e32 vcc, 2, v16
	v_lshlrev_b64 v[6:7], v5, -1
	v_and_b32_e32 v17, 63, v5
	v_and_b32_e32 v8, vcc_hi, v7
	v_and_b32_e32 v22, vcc_lo, v6
	v_cmp_ne_u32_e32 vcc, 63, v17
	v_addc_co_u32_e32 v9, vcc, 0, v5, vcc
	v_lshlrev_b32_e32 v18, 2, v9
	v_or_b32_e32 v8, 0x80000000, v8
	v_ffbl_b32_e32 v8, v8
	v_add_u32_e32 v8, 32, v8
	v_ffbl_b32_e32 v22, v22
	v_min_u32_e32 v8, v22, v8
	v_cmp_lt_u32_e32 vcc, v17, v8
	s_waitcnt vmcnt(1)
	ds_bpermute_b32 v20, v18, v10
	s_waitcnt vmcnt(0)
	v_and_b32_e32 v9, 1, v31
	ds_bpermute_b32 v21, v18, v11
	ds_bpermute_b32 v19, v18, v9
	s_and_saveexec_b64 s[42:43], vcc
	s_cbranch_execz .LBB383_154
; %bb.153:
	v_mov_b32_e32 v9, 0
	v_cmp_eq_u16_sdwa vcc, v31, v9 src0_sel:BYTE_0 src1_sel:DWORD
	s_waitcnt lgkmcnt(2)
	v_cndmask_b32_e32 v20, 0, v20, vcc
	s_waitcnt lgkmcnt(1)
	v_cndmask_b32_e32 v9, 0, v21, vcc
	v_add_co_u32_e32 v10, vcc, v20, v10
	v_addc_co_u32_e32 v11, vcc, v9, v11, vcc
	s_waitcnt lgkmcnt(0)
	v_and_b32_e32 v9, 1, v19
	v_or_b32_e32 v31, v9, v31
	v_and_b32_e32 v9, 0xff, v31
.LBB383_154:
	s_or_b64 exec, exec, s[42:43]
	v_cmp_gt_u32_e32 vcc, 62, v17
	s_waitcnt lgkmcnt(0)
	v_cndmask_b32_e64 v19, 0, 1, vcc
	v_lshlrev_b32_e32 v19, 1, v19
	v_add_lshl_u32 v19, v19, v5, 2
	ds_bpermute_b32 v22, v19, v10
	ds_bpermute_b32 v23, v19, v11
	ds_bpermute_b32 v21, v19, v9
	v_add_u32_e32 v20, 2, v17
	v_cmp_le_u32_e32 vcc, v20, v8
	s_and_saveexec_b64 s[56:57], vcc
	s_cbranch_execz .LBB383_156
; %bb.155:
	v_mov_b32_e32 v9, 0
	v_cmp_eq_u16_sdwa vcc, v31, v9 src0_sel:BYTE_0 src1_sel:DWORD
	s_waitcnt lgkmcnt(2)
	v_cndmask_b32_e32 v22, 0, v22, vcc
	s_waitcnt lgkmcnt(1)
	v_cndmask_b32_e32 v9, 0, v23, vcc
	v_add_co_u32_e32 v10, vcc, v22, v10
	v_addc_co_u32_e32 v11, vcc, v9, v11, vcc
	v_and_b32_e32 v9, 1, v31
	v_cmp_eq_u32_e32 vcc, 1, v9
	s_waitcnt lgkmcnt(0)
	v_and_b32_e32 v9, 1, v21
	v_cmp_eq_u32_e64 s[42:43], 1, v9
	s_or_b64 s[42:43], vcc, s[42:43]
	v_cndmask_b32_e64 v31, 0, 1, s[42:43]
	v_cndmask_b32_e64 v9, 0, 1, s[42:43]
.LBB383_156:
	s_or_b64 exec, exec, s[56:57]
	v_cmp_gt_u32_e32 vcc, 60, v17
	s_waitcnt lgkmcnt(0)
	v_cndmask_b32_e64 v21, 0, 1, vcc
	v_lshlrev_b32_e32 v21, 2, v21
	v_add_lshl_u32 v21, v21, v5, 2
	ds_bpermute_b32 v24, v21, v10
	ds_bpermute_b32 v25, v21, v11
	ds_bpermute_b32 v23, v21, v9
	v_add_u32_e32 v22, 4, v17
	v_cmp_le_u32_e32 vcc, v22, v8
	s_and_saveexec_b64 s[56:57], vcc
	s_cbranch_execz .LBB383_158
; %bb.157:
	v_mov_b32_e32 v9, 0
	v_cmp_eq_u16_sdwa vcc, v31, v9 src0_sel:BYTE_0 src1_sel:DWORD
	s_waitcnt lgkmcnt(2)
	v_cndmask_b32_e32 v24, 0, v24, vcc
	s_waitcnt lgkmcnt(1)
	v_cndmask_b32_e32 v9, 0, v25, vcc
	v_add_co_u32_e32 v10, vcc, v24, v10
	v_addc_co_u32_e32 v11, vcc, v9, v11, vcc
	v_and_b32_e32 v9, 1, v31
	v_cmp_eq_u32_e32 vcc, 1, v9
	s_waitcnt lgkmcnt(0)
	v_and_b32_e32 v9, 1, v23
	v_cmp_eq_u32_e64 s[42:43], 1, v9
	s_or_b64 s[42:43], vcc, s[42:43]
	v_cndmask_b32_e64 v31, 0, 1, s[42:43]
	v_cndmask_b32_e64 v9, 0, 1, s[42:43]
.LBB383_158:
	;; [unrolled: 31-line block ×4, first 2 shown]
	s_or_b64 exec, exec, s[56:57]
	v_cmp_gt_u32_e32 vcc, 32, v17
	s_waitcnt lgkmcnt(0)
	v_cndmask_b32_e64 v27, 0, 1, vcc
	v_lshlrev_b32_e32 v27, 5, v27
	v_add_lshl_u32 v28, v27, v5, 2
	ds_bpermute_b32 v27, v28, v10
	ds_bpermute_b32 v30, v28, v11
	ds_bpermute_b32 v5, v28, v9
	v_add_u32_e32 v29, 32, v17
	v_cmp_le_u32_e32 vcc, v29, v8
	s_and_saveexec_b64 s[56:57], vcc
	s_cbranch_execz .LBB383_164
; %bb.163:
	v_mov_b32_e32 v8, 0
	v_cmp_eq_u16_sdwa vcc, v31, v8 src0_sel:BYTE_0 src1_sel:DWORD
	s_waitcnt lgkmcnt(2)
	v_cndmask_b32_e32 v9, 0, v27, vcc
	s_waitcnt lgkmcnt(1)
	v_cndmask_b32_e32 v8, 0, v30, vcc
	v_add_co_u32_e32 v10, vcc, v9, v10
	v_addc_co_u32_e32 v11, vcc, v8, v11, vcc
	v_and_b32_e32 v8, 1, v31
	s_waitcnt lgkmcnt(0)
	v_and_b32_e32 v5, 1, v5
	v_cmp_eq_u32_e32 vcc, 1, v8
	v_cmp_eq_u32_e64 s[42:43], 1, v5
	s_or_b64 s[42:43], vcc, s[42:43]
	v_cndmask_b32_e64 v31, 0, 1, s[42:43]
.LBB383_164:
	s_or_b64 exec, exec, s[56:57]
	s_waitcnt lgkmcnt(0)
	v_mov_b32_e32 v5, 0
	v_mov_b32_e32 v30, 2
	s_branch .LBB383_166
.LBB383_165:                            ;   in Loop: Header=BB383_166 Depth=1
	s_or_b64 exec, exec, s[60:61]
	v_cmp_eq_u16_sdwa vcc, v27, v5 src0_sel:BYTE_0 src1_sel:DWORD
	v_cndmask_b32_e32 v10, 0, v10, vcc
	v_cndmask_b32_e32 v11, 0, v11, vcc
	v_add_co_u32_e32 v10, vcc, v10, v8
	v_addc_co_u32_e32 v11, vcc, v11, v9, vcc
	v_and_b32_e32 v31, 1, v27
	v_cmp_eq_u32_e32 vcc, 1, v31
	s_or_b64 s[42:43], vcc, s[56:57]
	v_subrev_u32_e32 v4, 64, v4
	v_cndmask_b32_e64 v31, 0, 1, s[42:43]
.LBB383_166:                            ; =>This Loop Header: Depth=1
                                        ;     Child Loop BB383_169 Depth 2
	v_cmp_ne_u16_sdwa s[42:43], v16, v30 src0_sel:BYTE_0 src1_sel:DWORD
	v_cndmask_b32_e64 v8, 0, 1, s[42:43]
	;;#ASMSTART
	;;#ASMEND
	v_cmp_ne_u32_e32 vcc, 0, v8
	v_mov_b32_e32 v27, v31
	s_cmp_lg_u64 vcc, exec
	v_pk_mov_b32 v[8:9], v[10:11], v[10:11] op_sel:[0,1]
	s_cbranch_scc1 .LBB383_183
; %bb.167:                              ;   in Loop: Header=BB383_166 Depth=1
	global_load_ubyte v16, v4, s[48:49] glc
	s_waitcnt vmcnt(0)
	v_cmp_eq_u16_e32 vcc, 0, v16
	s_and_saveexec_b64 s[42:43], vcc
	s_cbranch_execz .LBB383_171
; %bb.168:                              ;   in Loop: Header=BB383_166 Depth=1
	v_mov_b32_e32 v11, s49
	v_add_co_u32_e32 v10, vcc, s48, v4
	v_addc_co_u32_e32 v11, vcc, 0, v11, vcc
	s_mov_b64 s[56:57], 0
.LBB383_169:                            ;   Parent Loop BB383_166 Depth=1
                                        ; =>  This Inner Loop Header: Depth=2
	global_load_ubyte v16, v[10:11], off glc
	s_waitcnt vmcnt(0)
	v_cmp_ne_u16_e32 vcc, 0, v16
	s_or_b64 s[56:57], vcc, s[56:57]
	s_andn2_b64 exec, exec, s[56:57]
	s_cbranch_execnz .LBB383_169
; %bb.170:                              ;   in Loop: Header=BB383_166 Depth=1
	s_or_b64 exec, exec, s[56:57]
.LBB383_171:                            ;   in Loop: Header=BB383_166 Depth=1
	s_or_b64 exec, exec, s[42:43]
	v_mov_b32_e32 v10, s47
	v_mov_b32_e32 v11, s45
	v_cmp_eq_u16_e32 vcc, 1, v16
	v_cndmask_b32_e32 v31, v10, v11, vcc
	v_mov_b32_e32 v10, s46
	v_mov_b32_e32 v11, s44
	v_cndmask_b32_e32 v32, v10, v11, vcc
	v_lshlrev_b64 v[10:11], 4, v[4:5]
	v_add_co_u32_e32 v32, vcc, v32, v10
	s_waitcnt lgkmcnt(0)
	v_addc_co_u32_e32 v33, vcc, v31, v11, vcc
	buffer_wbinvl1_vol
	global_load_dwordx2 v[10:11], v[32:33], off
	global_load_ubyte v31, v[32:33], off offset:8
	v_cmp_eq_u16_e32 vcc, 2, v16
	v_and_b32_e32 v32, vcc_hi, v7
	v_or_b32_e32 v32, 0x80000000, v32
	v_and_b32_e32 v37, vcc_lo, v6
	v_ffbl_b32_e32 v32, v32
	v_add_u32_e32 v32, 32, v32
	v_ffbl_b32_e32 v37, v37
	v_min_u32_e32 v32, v37, v32
	v_cmp_lt_u32_e32 vcc, v17, v32
	s_waitcnt vmcnt(1)
	ds_bpermute_b32 v35, v18, v10
	s_waitcnt vmcnt(0)
	v_and_b32_e32 v33, 1, v31
	ds_bpermute_b32 v36, v18, v11
	ds_bpermute_b32 v34, v18, v33
	s_and_saveexec_b64 s[42:43], vcc
	s_cbranch_execz .LBB383_173
; %bb.172:                              ;   in Loop: Header=BB383_166 Depth=1
	v_cmp_eq_u16_sdwa vcc, v31, v5 src0_sel:BYTE_0 src1_sel:DWORD
	s_waitcnt lgkmcnt(2)
	v_cndmask_b32_e32 v35, 0, v35, vcc
	s_waitcnt lgkmcnt(1)
	v_cndmask_b32_e32 v33, 0, v36, vcc
	v_add_co_u32_e32 v10, vcc, v35, v10
	v_addc_co_u32_e32 v11, vcc, v33, v11, vcc
	s_waitcnt lgkmcnt(0)
	v_and_b32_e32 v33, 1, v34
	v_or_b32_e32 v31, v33, v31
	v_and_b32_e32 v33, 0xff, v31
.LBB383_173:                            ;   in Loop: Header=BB383_166 Depth=1
	s_or_b64 exec, exec, s[42:43]
	s_waitcnt lgkmcnt(2)
	ds_bpermute_b32 v35, v19, v10
	s_waitcnt lgkmcnt(2)
	ds_bpermute_b32 v36, v19, v11
	;; [unrolled: 2-line block ×3, first 2 shown]
	v_and_b32_e32 v37, 1, v31
	v_cmp_le_u32_e32 vcc, v20, v32
	v_cmp_eq_u32_e64 s[56:57], 1, v37
	s_and_saveexec_b64 s[42:43], vcc
	s_cbranch_execz .LBB383_175
; %bb.174:                              ;   in Loop: Header=BB383_166 Depth=1
	v_cmp_eq_u16_sdwa vcc, v31, v5 src0_sel:BYTE_0 src1_sel:DWORD
	s_waitcnt lgkmcnt(2)
	v_cndmask_b32_e32 v33, 0, v35, vcc
	s_waitcnt lgkmcnt(1)
	v_cndmask_b32_e32 v31, 0, v36, vcc
	v_add_co_u32_e32 v10, vcc, v33, v10
	v_addc_co_u32_e32 v11, vcc, v31, v11, vcc
	s_waitcnt lgkmcnt(0)
	v_and_b32_e32 v31, 1, v34
	v_cmp_eq_u32_e32 vcc, 1, v31
	s_or_b64 s[60:61], s[56:57], vcc
	v_cndmask_b32_e64 v31, 0, 1, s[60:61]
	v_cndmask_b32_e64 v33, 0, 1, s[60:61]
	s_andn2_b64 s[56:57], s[56:57], exec
	s_and_b64 s[60:61], s[60:61], exec
	s_or_b64 s[56:57], s[56:57], s[60:61]
.LBB383_175:                            ;   in Loop: Header=BB383_166 Depth=1
	s_or_b64 exec, exec, s[42:43]
	s_waitcnt lgkmcnt(2)
	ds_bpermute_b32 v35, v21, v10
	s_waitcnt lgkmcnt(2)
	ds_bpermute_b32 v36, v21, v11
	s_waitcnt lgkmcnt(2)
	ds_bpermute_b32 v34, v21, v33
	v_cmp_le_u32_e32 vcc, v22, v32
	s_and_saveexec_b64 s[60:61], vcc
	s_cbranch_execz .LBB383_177
; %bb.176:                              ;   in Loop: Header=BB383_166 Depth=1
	v_cmp_eq_u16_sdwa vcc, v31, v5 src0_sel:BYTE_0 src1_sel:DWORD
	s_waitcnt lgkmcnt(2)
	v_cndmask_b32_e32 v35, 0, v35, vcc
	s_waitcnt lgkmcnt(1)
	v_cndmask_b32_e32 v33, 0, v36, vcc
	v_add_co_u32_e32 v10, vcc, v35, v10
	v_addc_co_u32_e32 v11, vcc, v33, v11, vcc
	v_and_b32_e32 v31, 1, v31
	v_cmp_eq_u32_e32 vcc, 1, v31
	s_waitcnt lgkmcnt(0)
	v_and_b32_e32 v31, 1, v34
	v_cmp_eq_u32_e64 s[42:43], 1, v31
	s_or_b64 s[42:43], vcc, s[42:43]
	v_cndmask_b32_e64 v31, 0, 1, s[42:43]
	v_cndmask_b32_e64 v33, 0, 1, s[42:43]
	s_andn2_b64 s[56:57], s[56:57], exec
	s_and_b64 s[42:43], s[42:43], exec
	s_or_b64 s[56:57], s[56:57], s[42:43]
.LBB383_177:                            ;   in Loop: Header=BB383_166 Depth=1
	s_or_b64 exec, exec, s[60:61]
	s_waitcnt lgkmcnt(2)
	ds_bpermute_b32 v35, v23, v10
	s_waitcnt lgkmcnt(2)
	ds_bpermute_b32 v36, v23, v11
	s_waitcnt lgkmcnt(2)
	ds_bpermute_b32 v34, v23, v33
	v_cmp_le_u32_e32 vcc, v24, v32
	s_and_saveexec_b64 s[60:61], vcc
	s_cbranch_execz .LBB383_179
; %bb.178:                              ;   in Loop: Header=BB383_166 Depth=1
	v_cmp_eq_u16_sdwa vcc, v31, v5 src0_sel:BYTE_0 src1_sel:DWORD
	s_waitcnt lgkmcnt(2)
	v_cndmask_b32_e32 v35, 0, v35, vcc
	s_waitcnt lgkmcnt(1)
	v_cndmask_b32_e32 v33, 0, v36, vcc
	v_add_co_u32_e32 v10, vcc, v35, v10
	v_addc_co_u32_e32 v11, vcc, v33, v11, vcc
	v_and_b32_e32 v31, 1, v31
	v_cmp_eq_u32_e32 vcc, 1, v31
	s_waitcnt lgkmcnt(0)
	v_and_b32_e32 v31, 1, v34
	v_cmp_eq_u32_e64 s[42:43], 1, v31
	s_or_b64 s[42:43], vcc, s[42:43]
	v_cndmask_b32_e64 v31, 0, 1, s[42:43]
	v_cndmask_b32_e64 v33, 0, 1, s[42:43]
	s_andn2_b64 s[56:57], s[56:57], exec
	s_and_b64 s[42:43], s[42:43], exec
	s_or_b64 s[56:57], s[56:57], s[42:43]
.LBB383_179:                            ;   in Loop: Header=BB383_166 Depth=1
	s_or_b64 exec, exec, s[60:61]
	s_waitcnt lgkmcnt(2)
	ds_bpermute_b32 v35, v25, v10
	s_waitcnt lgkmcnt(2)
	ds_bpermute_b32 v36, v25, v11
	s_waitcnt lgkmcnt(2)
	ds_bpermute_b32 v34, v25, v33
	v_cmp_le_u32_e32 vcc, v26, v32
	s_and_saveexec_b64 s[60:61], vcc
	s_cbranch_execz .LBB383_181
; %bb.180:                              ;   in Loop: Header=BB383_166 Depth=1
	v_cmp_eq_u16_sdwa vcc, v31, v5 src0_sel:BYTE_0 src1_sel:DWORD
	s_waitcnt lgkmcnt(2)
	v_cndmask_b32_e32 v35, 0, v35, vcc
	s_waitcnt lgkmcnt(1)
	v_cndmask_b32_e32 v33, 0, v36, vcc
	v_add_co_u32_e32 v10, vcc, v35, v10
	v_addc_co_u32_e32 v11, vcc, v33, v11, vcc
	v_and_b32_e32 v31, 1, v31
	v_cmp_eq_u32_e32 vcc, 1, v31
	s_waitcnt lgkmcnt(0)
	v_and_b32_e32 v31, 1, v34
	v_cmp_eq_u32_e64 s[42:43], 1, v31
	s_or_b64 s[42:43], vcc, s[42:43]
	v_cndmask_b32_e64 v31, 0, 1, s[42:43]
	v_cndmask_b32_e64 v33, 0, 1, s[42:43]
	s_andn2_b64 s[56:57], s[56:57], exec
	s_and_b64 s[42:43], s[42:43], exec
	s_or_b64 s[56:57], s[56:57], s[42:43]
.LBB383_181:                            ;   in Loop: Header=BB383_166 Depth=1
	s_or_b64 exec, exec, s[60:61]
	s_waitcnt lgkmcnt(0)
	ds_bpermute_b32 v34, v28, v10
	ds_bpermute_b32 v35, v28, v11
	;; [unrolled: 1-line block ×3, first 2 shown]
	v_cmp_le_u32_e32 vcc, v29, v32
	s_and_saveexec_b64 s[60:61], vcc
	s_cbranch_execz .LBB383_165
; %bb.182:                              ;   in Loop: Header=BB383_166 Depth=1
	v_cmp_eq_u16_sdwa vcc, v31, v5 src0_sel:BYTE_0 src1_sel:DWORD
	s_waitcnt lgkmcnt(2)
	v_cndmask_b32_e32 v34, 0, v34, vcc
	s_waitcnt lgkmcnt(1)
	v_cndmask_b32_e32 v32, 0, v35, vcc
	v_add_co_u32_e32 v10, vcc, v34, v10
	v_addc_co_u32_e32 v11, vcc, v32, v11, vcc
	v_and_b32_e32 v31, 1, v31
	v_cmp_eq_u32_e32 vcc, 1, v31
	s_waitcnt lgkmcnt(0)
	v_and_b32_e32 v31, 1, v33
	v_cmp_eq_u32_e64 s[42:43], 1, v31
	s_or_b64 s[42:43], vcc, s[42:43]
	s_andn2_b64 s[56:57], s[56:57], exec
	s_and_b64 s[42:43], s[42:43], exec
	s_or_b64 s[56:57], s[56:57], s[42:43]
	s_branch .LBB383_165
.LBB383_183:                            ;   in Loop: Header=BB383_166 Depth=1
                                        ; implicit-def: $vgpr31
                                        ; implicit-def: $vgpr10_vgpr11
                                        ; implicit-def: $vgpr16
	s_cbranch_execz .LBB383_166
; %bb.184:
	s_and_saveexec_b64 s[42:43], s[40:41]
	s_cbranch_execz .LBB383_186
; %bb.185:
	v_mov_b32_e32 v4, 0
	s_mov_b32 s41, 0
	v_cmp_eq_u16_sdwa vcc, v15, v4 src0_sel:BYTE_0 src1_sel:DWORD
	s_add_i32 s40, s51, 64
	v_cndmask_b32_e32 v6, 0, v8, vcc
	s_lshl_b64 s[44:45], s[40:41], 4
	v_cndmask_b32_e32 v5, 0, v9, vcc
	v_add_co_u32_e32 v2, vcc, v6, v2
	s_add_u32 s44, s46, s44
	v_addc_co_u32_e32 v3, vcc, v5, v3, vcc
	v_or_b32_e32 v5, v15, v27
	s_addc_u32 s45, s47, s45
	v_and_b32_e32 v5, 1, v5
	global_store_dwordx2 v4, v[2:3], s[44:45]
	global_store_byte v4, v5, s[44:45] offset:8
	v_mov_b32_e32 v2, s40
	v_mov_b32_e32 v3, 2
	s_waitcnt vmcnt(0) lgkmcnt(0)
	buffer_wbinvl1_vol
	global_store_byte v2, v3, s[48:49]
.LBB383_186:
	s_or_b64 exec, exec, s[42:43]
	s_and_b64 exec, exec, s[0:1]
	s_cbranch_execz .LBB383_188
; %bb.187:
	v_mov_b32_e32 v2, 0
	ds_write_b64 v2, v[8:9]
	ds_write_b8 v2, v27 offset:8
.LBB383_188:
	s_or_b64 exec, exec, s[52:53]
	v_mov_b32_e32 v4, 0
	s_waitcnt lgkmcnt(0)
	; wave barrier
	s_waitcnt lgkmcnt(0)
	ds_read_b64 v[2:3], v4
	v_cmp_eq_u32_sdwa vcc, v14, v4 src0_sel:BYTE_0 src1_sel:DWORD
	s_waitcnt lgkmcnt(0)
	v_cndmask_b32_e32 v6, 0, v2, vcc
	v_cndmask_b32_e32 v5, 0, v3, vcc
	v_add_co_u32_e32 v6, vcc, v12, v6
	v_addc_co_u32_e32 v5, vcc, v13, v5, vcc
	v_cndmask_b32_e64 v78, v6, v2, s[0:1]
	v_cmp_eq_u16_sdwa vcc, v1, v4 src0_sel:BYTE_0 src1_sel:DWORD
	v_cndmask_b32_e64 v79, v5, v3, s[0:1]
	v_cndmask_b32_e32 v3, 0, v78, vcc
	v_cndmask_b32_e32 v2, 0, v79, vcc
	v_add_co_u32_e32 v4, vcc, v3, v76
	v_addc_co_u32_e32 v5, vcc, v2, v77, vcc
	v_cndmask_b32_e64 v3, 0, v4, s[38:39]
	v_cndmask_b32_e64 v2, 0, v5, s[38:39]
	v_add_co_u32_e32 v6, vcc, v3, v38
	v_addc_co_u32_e32 v7, vcc, v2, v39, vcc
	v_cndmask_b32_e64 v3, 0, v6, s[36:37]
	v_cndmask_b32_e64 v2, 0, v7, s[36:37]
	;; [unrolled: 4-line block ×17, first 2 shown]
	s_branch .LBB383_209
.LBB383_189:
                                        ; implicit-def: $vgpr78_vgpr79
                                        ; implicit-def: $vgpr96_vgpr97
                                        ; implicit-def: $vgpr94_vgpr95
                                        ; implicit-def: $vgpr92_vgpr93
                                        ; implicit-def: $vgpr90_vgpr91
                                        ; implicit-def: $vgpr88_vgpr89
                                        ; implicit-def: $vgpr86_vgpr87
                                        ; implicit-def: $vgpr84_vgpr85
                                        ; implicit-def: $vgpr82_vgpr83
                                        ; implicit-def: $vgpr80_vgpr81
                                        ; implicit-def: $vgpr34_vgpr35_vgpr36_vgpr37
                                        ; implicit-def: $vgpr30_vgpr31_vgpr32_vgpr33
                                        ; implicit-def: $vgpr26_vgpr27_vgpr28_vgpr29
                                        ; implicit-def: $vgpr22_vgpr23_vgpr24_vgpr25
                                        ; implicit-def: $vgpr18_vgpr19_vgpr20_vgpr21
                                        ; implicit-def: $vgpr14_vgpr15_vgpr16_vgpr17
                                        ; implicit-def: $vgpr10_vgpr11_vgpr12_vgpr13
                                        ; implicit-def: $vgpr6_vgpr7_vgpr8_vgpr9
                                        ; implicit-def: $vgpr2_vgpr3_vgpr4_vgpr5
	s_cbranch_execz .LBB383_209
; %bb.190:
	s_cmp_lg_u64 s[66:67], 0
	s_cselect_b32 s5, s63, 0
	s_cselect_b32 s4, s62, 0
	s_cmp_eq_u64 s[4:5], 0
	v_pk_mov_b32 v[2:3], s[64:65], s[64:65] op_sel:[0,1]
	s_cbranch_scc1 .LBB383_192
; %bb.191:
	v_mov_b32_e32 v2, 0
	global_load_dwordx2 v[2:3], v2, s[4:5]
.LBB383_192:
	v_mov_b32_e32 v4, 0
	v_cmp_eq_u16_sdwa s[36:37], v98, v4 src0_sel:BYTE_0 src1_sel:DWORD
	v_cndmask_b32_e64 v6, 0, v76, s[36:37]
	v_cndmask_b32_e64 v5, 0, v77, s[36:37]
	v_add_co_u32_e32 v6, vcc, v6, v38
	v_cmp_eq_u16_sdwa s[34:35], v99, v4 src0_sel:BYTE_0 src1_sel:DWORD
	v_addc_co_u32_e32 v5, vcc, v5, v39, vcc
	v_cndmask_b32_e64 v6, 0, v6, s[34:35]
	v_cndmask_b32_e64 v5, 0, v5, s[34:35]
	v_add_co_u32_e32 v6, vcc, v6, v46
	v_cmp_eq_u16_sdwa s[30:31], v100, v4 src0_sel:BYTE_0 src1_sel:DWORD
	v_addc_co_u32_e32 v5, vcc, v5, v47, vcc
	;; [unrolled: 5-line block ×15, first 2 shown]
	v_cndmask_b32_e64 v6, 0, v6, s[4:5]
	v_cndmask_b32_e64 v5, 0, v5, s[4:5]
	v_add_co_u32_e32 v6, vcc, v6, v72
	v_addc_co_u32_e32 v5, vcc, v5, v73, vcc
	v_cmp_eq_u16_sdwa vcc, v101, v4 src0_sel:BYTE_0 src1_sel:DWORD
	v_cndmask_b32_e32 v6, 0, v6, vcc
	v_cndmask_b32_e32 v5, 0, v5, vcc
	v_add_co_u32_e64 v6, s[38:39], v6, v42
	v_addc_co_u32_e64 v5, s[38:39], v5, v43, s[38:39]
	v_cmp_eq_u16_sdwa s[38:39], v116, v4 src0_sel:BYTE_0 src1_sel:DWORD
	v_cndmask_b32_e64 v4, 0, v6, s[38:39]
	v_or_b32_e32 v6, v118, v113
	v_or_b32_e32 v6, v6, v112
	;; [unrolled: 1-line block ×16, first 2 shown]
	v_cndmask_b32_e64 v5, 0, v5, s[38:39]
	v_add_co_u32_e64 v4, s[38:39], v4, v40
	v_and_b32_e32 v7, 1, v6
	v_mbcnt_hi_u32_b32 v6, -1, v117
	v_addc_co_u32_e64 v5, s[38:39], v5, v41, s[38:39]
	v_and_b32_e32 v9, 15, v6
	v_cmp_eq_u32_e64 s[38:39], 1, v7
	v_mov_b32_dpp v11, v4 row_shr:1 row_mask:0xf bank_mask:0xf
	v_mov_b32_dpp v12, v5 row_shr:1 row_mask:0xf bank_mask:0xf
	v_mov_b32_dpp v10, v7 row_shr:1 row_mask:0xf bank_mask:0xf
	v_cmp_ne_u32_e64 s[40:41], 0, v9
	v_mov_b32_e32 v8, v7
	s_and_saveexec_b64 s[42:43], s[40:41]
; %bb.193:
	v_cndmask_b32_e64 v11, v11, 0, s[38:39]
	v_cndmask_b32_e64 v8, v12, 0, s[38:39]
	v_add_co_u32_e64 v4, s[38:39], v11, v4
	v_addc_co_u32_e64 v5, s[38:39], v8, v5, s[38:39]
	v_and_b32_e32 v8, 1, v10
	v_or_b32_e32 v7, v8, v7
	v_and_b32_e32 v8, 0xffff, v7
; %bb.194:
	s_or_b64 exec, exec, s[42:43]
	v_mov_b32_dpp v11, v4 row_shr:2 row_mask:0xf bank_mask:0xf
	v_mov_b32_dpp v12, v5 row_shr:2 row_mask:0xf bank_mask:0xf
	v_mov_b32_dpp v10, v8 row_shr:2 row_mask:0xf bank_mask:0xf
	v_cmp_lt_u32_e64 s[38:39], 1, v9
	s_and_saveexec_b64 s[42:43], s[38:39]
	s_cbranch_execz .LBB383_196
; %bb.195:
	v_cmp_eq_u16_e64 s[38:39], 0, v7
	v_cndmask_b32_e64 v11, 0, v11, s[38:39]
	v_cndmask_b32_e64 v8, 0, v12, s[38:39]
	v_add_co_u32_e64 v4, s[38:39], v11, v4
	v_addc_co_u32_e64 v5, s[38:39], v8, v5, s[38:39]
	v_and_b32_e32 v7, 1, v7
	v_cmp_eq_u32_e64 s[38:39], 1, v7
	v_and_b32_e32 v7, 1, v10
	v_cmp_eq_u32_e64 s[40:41], 1, v7
	s_or_b64 s[38:39], s[38:39], s[40:41]
	v_cndmask_b32_e64 v7, 0, 1, s[38:39]
	v_cndmask_b32_e64 v8, 0, 1, s[38:39]
.LBB383_196:
	s_or_b64 exec, exec, s[42:43]
	v_mov_b32_dpp v11, v4 row_shr:4 row_mask:0xf bank_mask:0xf
	v_mov_b32_dpp v12, v5 row_shr:4 row_mask:0xf bank_mask:0xf
	v_mov_b32_dpp v10, v8 row_shr:4 row_mask:0xf bank_mask:0xf
	v_cmp_lt_u32_e64 s[38:39], 3, v9
	s_and_saveexec_b64 s[42:43], s[38:39]
	s_cbranch_execz .LBB383_198
; %bb.197:
	v_cmp_eq_u16_e64 s[38:39], 0, v7
	v_cndmask_b32_e64 v11, 0, v11, s[38:39]
	v_cndmask_b32_e64 v8, 0, v12, s[38:39]
	v_add_co_u32_e64 v4, s[38:39], v11, v4
	v_addc_co_u32_e64 v5, s[38:39], v8, v5, s[38:39]
	v_and_b32_e32 v7, 1, v7
	v_cmp_eq_u32_e64 s[38:39], 1, v7
	v_and_b32_e32 v7, 1, v10
	v_cmp_eq_u32_e64 s[40:41], 1, v7
	s_or_b64 s[38:39], s[38:39], s[40:41]
	v_cndmask_b32_e64 v7, 0, 1, s[38:39]
	v_cndmask_b32_e64 v8, 0, 1, s[38:39]
.LBB383_198:
	;; [unrolled: 21-line block ×3, first 2 shown]
	s_or_b64 exec, exec, s[42:43]
	v_and_b32_e32 v12, 16, v6
	v_mov_b32_dpp v10, v4 row_bcast:15 row_mask:0xf bank_mask:0xf
	v_mov_b32_dpp v11, v5 row_bcast:15 row_mask:0xf bank_mask:0xf
	;; [unrolled: 1-line block ×3, first 2 shown]
	v_cmp_ne_u32_e64 s[38:39], 0, v12
	s_and_saveexec_b64 s[42:43], s[38:39]
	s_cbranch_execz .LBB383_202
; %bb.201:
	v_cmp_eq_u16_e64 s[38:39], 0, v7
	v_cndmask_b32_e64 v10, 0, v10, s[38:39]
	v_cndmask_b32_e64 v8, 0, v11, s[38:39]
	v_add_co_u32_e64 v4, s[38:39], v10, v4
	v_addc_co_u32_e64 v5, s[38:39], v8, v5, s[38:39]
	v_and_b32_e32 v7, 1, v7
	v_cmp_eq_u32_e64 s[38:39], 1, v7
	v_and_b32_e32 v7, 1, v9
	v_cmp_eq_u32_e64 s[40:41], 1, v7
	s_or_b64 s[38:39], s[38:39], s[40:41]
	v_cndmask_b32_e64 v7, 0, 1, s[38:39]
	v_cndmask_b32_e64 v8, 0, 1, s[38:39]
.LBB383_202:
	s_or_b64 exec, exec, s[42:43]
	v_mov_b32_dpp v9, v4 row_bcast:31 row_mask:0xf bank_mask:0xf
	v_mov_b32_dpp v10, v5 row_bcast:31 row_mask:0xf bank_mask:0xf
	;; [unrolled: 1-line block ×3, first 2 shown]
	v_cmp_lt_u32_e64 s[38:39], 31, v6
	s_and_saveexec_b64 s[42:43], s[38:39]
; %bb.203:
	v_cmp_eq_u16_e64 s[38:39], 0, v7
	v_cndmask_b32_e64 v9, 0, v9, s[38:39]
	v_cndmask_b32_e64 v10, 0, v10, s[38:39]
	v_add_co_u32_e64 v4, s[38:39], v9, v4
	v_addc_co_u32_e64 v5, s[38:39], v10, v5, s[38:39]
	v_and_b32_e32 v7, 1, v7
	v_cmp_eq_u32_e64 s[38:39], 1, v7
	v_and_b32_e32 v7, 1, v8
	v_cmp_eq_u32_e64 s[40:41], 1, v7
	s_or_b64 s[38:39], s[38:39], s[40:41]
	v_cndmask_b32_e64 v7, 0, 1, s[38:39]
; %bb.204:
	s_or_b64 exec, exec, s[42:43]
	v_cmp_eq_u32_e64 s[38:39], 63, v0
	s_and_saveexec_b64 s[40:41], s[38:39]
	s_cbranch_execz .LBB383_206
; %bb.205:
	v_mov_b32_e32 v8, 0
	ds_write_b64 v8, v[4:5]
	ds_write_b8 v8, v7 offset:8
.LBB383_206:
	s_or_b64 exec, exec, s[40:41]
	v_cmp_eq_u16_e64 s[38:39], 0, v7
	s_waitcnt vmcnt(0)
	v_cndmask_b32_e64 v8, 0, v2, s[38:39]
	v_cndmask_b32_e64 v7, 0, v3, s[38:39]
	v_add_co_u32_e64 v4, s[38:39], v8, v4
	v_addc_co_u32_e64 v5, s[38:39], v7, v5, s[38:39]
	v_add_u32_e32 v7, -1, v6
	v_and_b32_e32 v8, 64, v6
	v_cmp_lt_i32_e64 s[38:39], v7, v8
	v_cndmask_b32_e64 v7, v7, v6, s[38:39]
	v_lshlrev_b32_e32 v7, 2, v7
	ds_bpermute_b32 v5, v7, v5
	ds_bpermute_b32 v4, v7, v4
	v_cmp_eq_u32_e64 s[38:39], 0, v6
	s_or_b64 s[38:39], s[0:1], s[38:39]
	v_mov_b32_e32 v8, 0
	s_waitcnt lgkmcnt(1)
	v_cndmask_b32_e64 v79, v5, v3, s[38:39]
	s_waitcnt lgkmcnt(0)
	v_cndmask_b32_e64 v78, v4, v2, s[38:39]
	v_cmp_eq_u16_sdwa s[38:39], v1, v8 src0_sel:BYTE_0 src1_sel:DWORD
	v_cndmask_b32_e64 v4, 0, v78, s[38:39]
	v_cndmask_b32_e64 v1, 0, v79, s[38:39]
	v_add_co_u32_e64 v4, s[38:39], v4, v76
	v_addc_co_u32_e64 v5, s[38:39], v1, v77, s[38:39]
	v_cndmask_b32_e64 v6, 0, v4, s[36:37]
	v_cndmask_b32_e64 v1, 0, v5, s[36:37]
	v_add_co_u32_e64 v6, s[36:37], v6, v38
	v_addc_co_u32_e64 v7, s[36:37], v1, v39, s[36:37]
	;; [unrolled: 4-line block ×17, first 2 shown]
	v_cndmask_b32_e32 v97, 0, v95, vcc
	v_cndmask_b32_e32 v96, 0, v94, vcc
	s_waitcnt lgkmcnt(0)
	; wave barrier
	s_and_saveexec_b64 s[4:5], s[0:1]
	s_cbranch_execz .LBB383_208
; %bb.207:
	ds_read_u8 v1, v8 offset:8
	ds_read_b64 v[12:13], v8
	v_pk_mov_b32 v[78:79], v[2:3], v[2:3] op_sel:[0,1]
	s_waitcnt lgkmcnt(1)
	v_cmp_eq_u16_e32 vcc, 0, v1
	v_cndmask_b32_e32 v16, 0, v2, vcc
	v_cndmask_b32_e32 v9, 0, v3, vcc
	s_waitcnt lgkmcnt(0)
	v_add_co_u32_e32 v12, vcc, v16, v12
	v_addc_co_u32_e32 v13, vcc, v9, v13, vcc
	global_store_dwordx2 v8, v[12:13], s[46:47] offset:1024
	global_store_byte v8, v1, s[46:47] offset:1032
	v_mov_b32_e32 v1, 2
	s_waitcnt vmcnt(0)
	buffer_wbinvl1_vol
	global_store_byte v8, v1, s[48:49] offset:64
.LBB383_208:
	s_or_b64 exec, exec, s[4:5]
.LBB383_209:
	s_add_u32 s0, s58, s54
	v_add_co_u32_e32 v2, vcc, v96, v42
	s_addc_u32 s1, s59, s55
	v_addc_co_u32_e32 v3, vcc, v97, v43, vcc
	v_mov_b32_e32 v1, s1
	v_add_co_u32_e32 v12, vcc, s0, v74
	v_addc_co_u32_e32 v13, vcc, v1, v75, vcc
	s_and_b64 vcc, exec, s[2:3]
	s_cbranch_vccz .LBB383_247
; %bb.210:
	s_movk_i32 s0, 0x98
	v_mul_i32_i24_e32 v17, 0xffffff70, v0
	v_mul_u32_u24_e32 v16, 0x98, v0
	v_mad_u32_u24 v8, v0, s0, v17
	s_waitcnt lgkmcnt(0)
	; wave barrier
	ds_write2_b64 v16, v[78:79], v[4:5] offset1:1
	ds_write2_b64 v16, v[6:7], v[80:81] offset0:2 offset1:3
	ds_write2_b64 v16, v[10:11], v[82:83] offset0:4 offset1:5
	;; [unrolled: 1-line block ×8, first 2 shown]
	ds_write_b64 v16, v[2:3] offset:144
	s_waitcnt lgkmcnt(0)
	; wave barrier
	s_waitcnt lgkmcnt(0)
	ds_read2st64_b64 v[68:71], v8 offset0:1 offset1:2
	ds_read2st64_b64 v[64:67], v8 offset0:3 offset1:4
	;; [unrolled: 1-line block ×9, first 2 shown]
	v_add_co_u32_e32 v8, vcc, v12, v115
	s_add_i32 s33, s33, s50
	v_addc_co_u32_e32 v9, vcc, 0, v13, vcc
	v_mov_b32_e32 v1, 0
	v_cmp_gt_u32_e32 vcc, s33, v0
	s_and_saveexec_b64 s[0:1], vcc
	s_cbranch_execz .LBB383_212
; %bb.211:
	v_add_u32_e32 v16, v16, v17
	ds_read_b64 v[16:17], v16
	s_waitcnt lgkmcnt(0)
	flat_store_dwordx2 v[8:9], v[16:17]
.LBB383_212:
	s_or_b64 exec, exec, s[0:1]
	v_or_b32_e32 v16, 64, v0
	v_cmp_gt_u32_e32 vcc, s33, v16
	s_and_saveexec_b64 s[0:1], vcc
	s_cbranch_execz .LBB383_214
; %bb.213:
	s_waitcnt lgkmcnt(0)
	flat_store_dwordx2 v[8:9], v[68:69] offset:512
.LBB383_214:
	s_or_b64 exec, exec, s[0:1]
	v_or_b32_e32 v16, 0x80, v0
	v_cmp_gt_u32_e32 vcc, s33, v16
	s_and_saveexec_b64 s[0:1], vcc
	s_cbranch_execz .LBB383_216
; %bb.215:
	s_waitcnt lgkmcnt(0)
	flat_store_dwordx2 v[8:9], v[70:71] offset:1024
.LBB383_216:
	;; [unrolled: 9-line block ×7, first 2 shown]
	s_or_b64 exec, exec, s[0:1]
	v_or_b32_e32 v16, 0x200, v0
	v_cmp_gt_u32_e32 vcc, s33, v16
	s_and_saveexec_b64 s[0:1], vcc
	s_cbranch_execz .LBB383_228
; %bb.227:
	v_add_co_u32_e32 v16, vcc, 0x1000, v8
	v_addc_co_u32_e32 v17, vcc, 0, v9, vcc
	s_waitcnt lgkmcnt(0)
	flat_store_dwordx2 v[16:17], v[58:59]
.LBB383_228:
	s_or_b64 exec, exec, s[0:1]
	v_or_b32_e32 v16, 0x240, v0
	v_cmp_gt_u32_e32 vcc, s33, v16
	s_and_saveexec_b64 s[0:1], vcc
	s_cbranch_execz .LBB383_230
; %bb.229:
	v_add_co_u32_e32 v16, vcc, 0x1000, v8
	v_addc_co_u32_e32 v17, vcc, 0, v9, vcc
	s_waitcnt lgkmcnt(0)
	flat_store_dwordx2 v[16:17], v[52:53] offset:512
.LBB383_230:
	s_or_b64 exec, exec, s[0:1]
	v_or_b32_e32 v16, 0x280, v0
	v_cmp_gt_u32_e32 vcc, s33, v16
	s_and_saveexec_b64 s[0:1], vcc
	s_cbranch_execz .LBB383_232
; %bb.231:
	v_add_co_u32_e32 v16, vcc, 0x1000, v8
	v_addc_co_u32_e32 v17, vcc, 0, v9, vcc
	s_waitcnt lgkmcnt(0)
	flat_store_dwordx2 v[16:17], v[54:55] offset:1024
.LBB383_232:
	s_or_b64 exec, exec, s[0:1]
	v_or_b32_e32 v16, 0x2c0, v0
	v_cmp_gt_u32_e32 vcc, s33, v16
	s_and_saveexec_b64 s[0:1], vcc
	s_cbranch_execz .LBB383_234
; %bb.233:
	v_add_co_u32_e32 v16, vcc, 0x1000, v8
	v_addc_co_u32_e32 v17, vcc, 0, v9, vcc
	s_waitcnt lgkmcnt(0)
	flat_store_dwordx2 v[16:17], v[48:49] offset:1536
.LBB383_234:
	s_or_b64 exec, exec, s[0:1]
	v_or_b32_e32 v16, 0x300, v0
	v_cmp_gt_u32_e32 vcc, s33, v16
	s_and_saveexec_b64 s[0:1], vcc
	s_cbranch_execz .LBB383_236
; %bb.235:
	v_add_co_u32_e32 v16, vcc, 0x1000, v8
	v_addc_co_u32_e32 v17, vcc, 0, v9, vcc
	s_waitcnt lgkmcnt(0)
	flat_store_dwordx2 v[16:17], v[50:51] offset:2048
.LBB383_236:
	s_or_b64 exec, exec, s[0:1]
	v_or_b32_e32 v16, 0x340, v0
	v_cmp_gt_u32_e32 vcc, s33, v16
	s_and_saveexec_b64 s[0:1], vcc
	s_cbranch_execz .LBB383_238
; %bb.237:
	v_add_co_u32_e32 v16, vcc, 0x1000, v8
	v_addc_co_u32_e32 v17, vcc, 0, v9, vcc
	s_waitcnt lgkmcnt(0)
	flat_store_dwordx2 v[16:17], v[44:45] offset:2560
.LBB383_238:
	s_or_b64 exec, exec, s[0:1]
	v_or_b32_e32 v16, 0x380, v0
	v_cmp_gt_u32_e32 vcc, s33, v16
	s_and_saveexec_b64 s[0:1], vcc
	s_cbranch_execz .LBB383_240
; %bb.239:
	v_add_co_u32_e32 v16, vcc, 0x1000, v8
	v_addc_co_u32_e32 v17, vcc, 0, v9, vcc
	s_waitcnt lgkmcnt(0)
	flat_store_dwordx2 v[16:17], v[46:47] offset:3072
.LBB383_240:
	s_or_b64 exec, exec, s[0:1]
	v_or_b32_e32 v16, 0x3c0, v0
	v_cmp_gt_u32_e32 vcc, s33, v16
	s_and_saveexec_b64 s[0:1], vcc
	s_cbranch_execz .LBB383_242
; %bb.241:
	v_add_co_u32_e32 v16, vcc, 0x1000, v8
	v_addc_co_u32_e32 v17, vcc, 0, v9, vcc
	s_waitcnt lgkmcnt(0)
	flat_store_dwordx2 v[16:17], v[40:41] offset:3584
.LBB383_242:
	s_or_b64 exec, exec, s[0:1]
	v_or_b32_e32 v16, 0x400, v0
	v_cmp_gt_u32_e32 vcc, s33, v16
	s_and_saveexec_b64 s[0:1], vcc
	s_cbranch_execz .LBB383_244
; %bb.243:
	v_add_co_u32_e32 v16, vcc, 0x2000, v8
	v_addc_co_u32_e32 v17, vcc, 0, v9, vcc
	s_waitcnt lgkmcnt(0)
	flat_store_dwordx2 v[16:17], v[42:43]
.LBB383_244:
	s_or_b64 exec, exec, s[0:1]
	v_or_b32_e32 v16, 0x440, v0
	v_cmp_gt_u32_e32 vcc, s33, v16
	s_and_saveexec_b64 s[0:1], vcc
	s_cbranch_execz .LBB383_246
; %bb.245:
	v_add_co_u32_e32 v8, vcc, 0x2000, v8
	v_addc_co_u32_e32 v9, vcc, 0, v9, vcc
	s_waitcnt lgkmcnt(0)
	flat_store_dwordx2 v[8:9], v[36:37] offset:512
.LBB383_246:
	s_or_b64 exec, exec, s[0:1]
	v_or_b32_e32 v8, 0x480, v0
	v_cmp_gt_u32_e64 s[0:1], s33, v8
	s_branch .LBB383_249
.LBB383_247:
	s_mov_b64 s[0:1], 0
                                        ; implicit-def: $vgpr38_vgpr39
	s_cbranch_execz .LBB383_249
; %bb.248:
	v_mul_u32_u24_e32 v1, 0x98, v0
	s_waitcnt lgkmcnt(0)
	; wave barrier
	s_waitcnt lgkmcnt(0)
	s_movk_i32 s2, 0x98
	ds_write2_b64 v1, v[78:79], v[4:5] offset1:1
	ds_write2_b64 v1, v[6:7], v[80:81] offset0:2 offset1:3
	ds_write2_b64 v1, v[10:11], v[82:83] offset0:4 offset1:5
	;; [unrolled: 1-line block ×8, first 2 shown]
	ds_write_b64 v1, v[2:3] offset:144
	v_mul_i32_i24_e32 v2, 0xffffff70, v0
	v_mad_u32_u24 v10, v0, s2, v2
	s_waitcnt lgkmcnt(0)
	; wave barrier
	s_waitcnt lgkmcnt(0)
	ds_read2st64_b64 v[2:5], v10 offset1:1
	ds_read2st64_b64 v[6:9], v10 offset0:2 offset1:3
	ds_read2st64_b64 v[14:17], v10 offset0:4 offset1:5
	;; [unrolled: 1-line block ×8, first 2 shown]
	ds_read_b64 v[38:39], v10 offset:9216
	v_add_co_u32_e32 v10, vcc, v12, v115
	v_addc_co_u32_e32 v11, vcc, 0, v13, vcc
	s_movk_i32 s2, 0x1000
	s_waitcnt lgkmcnt(0)
	flat_store_dwordx2 v[10:11], v[2:3]
	flat_store_dwordx2 v[10:11], v[4:5] offset:512
	flat_store_dwordx2 v[10:11], v[6:7] offset:1024
	;; [unrolled: 1-line block ×7, first 2 shown]
	v_add_co_u32_e32 v2, vcc, s2, v10
	v_addc_co_u32_e32 v3, vcc, 0, v11, vcc
	flat_store_dwordx2 v[2:3], v[22:23]
	flat_store_dwordx2 v[2:3], v[24:25] offset:512
	flat_store_dwordx2 v[2:3], v[26:27] offset:1024
	flat_store_dwordx2 v[2:3], v[28:29] offset:1536
	flat_store_dwordx2 v[2:3], v[30:31] offset:2048
	flat_store_dwordx2 v[2:3], v[32:33] offset:2560
	flat_store_dwordx2 v[2:3], v[34:35] offset:3072
	flat_store_dwordx2 v[2:3], v[36:37] offset:3584
	v_add_co_u32_e32 v2, vcc, 0x2000, v10
	v_mov_b32_e32 v1, 0
	v_addc_co_u32_e32 v3, vcc, 0, v11, vcc
	s_or_b64 s[0:1], s[0:1], exec
	flat_store_dwordx2 v[2:3], v[40:41]
	flat_store_dwordx2 v[2:3], v[42:43] offset:512
.LBB383_249:
	s_and_saveexec_b64 s[2:3], s[0:1]
	s_cbranch_execz .LBB383_251
; %bb.250:
	v_lshlrev_b64 v[0:1], 3, v[0:1]
	v_add_co_u32_e32 v0, vcc, v12, v0
	v_addc_co_u32_e32 v1, vcc, v13, v1, vcc
	v_add_co_u32_e32 v0, vcc, 0x2000, v0
	v_addc_co_u32_e32 v1, vcc, 0, v1, vcc
	s_waitcnt lgkmcnt(0)
	flat_store_dwordx2 v[0:1], v[38:39] offset:1024
	s_endpgm
.LBB383_251:
	s_endpgm
	.section	.rodata,"a",@progbits
	.p2align	6, 0x0
	.amdhsa_kernel _ZN7rocprim17ROCPRIM_400000_NS6detail17trampoline_kernelINS0_14default_configENS1_27scan_by_key_config_selectorIxxEEZZNS1_16scan_by_key_implILNS1_25lookback_scan_determinismE0ELb1ES3_N6thrust23THRUST_200600_302600_NS6detail15normal_iteratorINS9_10device_ptrIxEEEESE_SE_xNS9_4plusIvEENS9_8equal_toIvEExEE10hipError_tPvRmT2_T3_T4_T5_mT6_T7_P12ihipStream_tbENKUlT_T0_E_clISt17integral_constantIbLb0EESY_IbLb1EEEEDaSU_SV_EUlSU_E_NS1_11comp_targetILNS1_3genE4ELNS1_11target_archE910ELNS1_3gpuE8ELNS1_3repE0EEENS1_30default_config_static_selectorELNS0_4arch9wavefront6targetE1EEEvT1_
		.amdhsa_group_segment_fixed_size 10752
		.amdhsa_private_segment_fixed_size 0
		.amdhsa_kernarg_size 136
		.amdhsa_user_sgpr_count 6
		.amdhsa_user_sgpr_private_segment_buffer 1
		.amdhsa_user_sgpr_dispatch_ptr 0
		.amdhsa_user_sgpr_queue_ptr 0
		.amdhsa_user_sgpr_kernarg_segment_ptr 1
		.amdhsa_user_sgpr_dispatch_id 0
		.amdhsa_user_sgpr_flat_scratch_init 0
		.amdhsa_user_sgpr_kernarg_preload_length 0
		.amdhsa_user_sgpr_kernarg_preload_offset 0
		.amdhsa_user_sgpr_private_segment_size 0
		.amdhsa_uses_dynamic_stack 0
		.amdhsa_system_sgpr_private_segment_wavefront_offset 0
		.amdhsa_system_sgpr_workgroup_id_x 1
		.amdhsa_system_sgpr_workgroup_id_y 0
		.amdhsa_system_sgpr_workgroup_id_z 0
		.amdhsa_system_sgpr_workgroup_info 0
		.amdhsa_system_vgpr_workitem_id 0
		.amdhsa_next_free_vgpr 119
		.amdhsa_next_free_sgpr 69
		.amdhsa_accum_offset 120
		.amdhsa_reserve_vcc 1
		.amdhsa_reserve_flat_scratch 0
		.amdhsa_float_round_mode_32 0
		.amdhsa_float_round_mode_16_64 0
		.amdhsa_float_denorm_mode_32 3
		.amdhsa_float_denorm_mode_16_64 3
		.amdhsa_dx10_clamp 1
		.amdhsa_ieee_mode 1
		.amdhsa_fp16_overflow 0
		.amdhsa_tg_split 0
		.amdhsa_exception_fp_ieee_invalid_op 0
		.amdhsa_exception_fp_denorm_src 0
		.amdhsa_exception_fp_ieee_div_zero 0
		.amdhsa_exception_fp_ieee_overflow 0
		.amdhsa_exception_fp_ieee_underflow 0
		.amdhsa_exception_fp_ieee_inexact 0
		.amdhsa_exception_int_div_zero 0
	.end_amdhsa_kernel
	.section	.text._ZN7rocprim17ROCPRIM_400000_NS6detail17trampoline_kernelINS0_14default_configENS1_27scan_by_key_config_selectorIxxEEZZNS1_16scan_by_key_implILNS1_25lookback_scan_determinismE0ELb1ES3_N6thrust23THRUST_200600_302600_NS6detail15normal_iteratorINS9_10device_ptrIxEEEESE_SE_xNS9_4plusIvEENS9_8equal_toIvEExEE10hipError_tPvRmT2_T3_T4_T5_mT6_T7_P12ihipStream_tbENKUlT_T0_E_clISt17integral_constantIbLb0EESY_IbLb1EEEEDaSU_SV_EUlSU_E_NS1_11comp_targetILNS1_3genE4ELNS1_11target_archE910ELNS1_3gpuE8ELNS1_3repE0EEENS1_30default_config_static_selectorELNS0_4arch9wavefront6targetE1EEEvT1_,"axG",@progbits,_ZN7rocprim17ROCPRIM_400000_NS6detail17trampoline_kernelINS0_14default_configENS1_27scan_by_key_config_selectorIxxEEZZNS1_16scan_by_key_implILNS1_25lookback_scan_determinismE0ELb1ES3_N6thrust23THRUST_200600_302600_NS6detail15normal_iteratorINS9_10device_ptrIxEEEESE_SE_xNS9_4plusIvEENS9_8equal_toIvEExEE10hipError_tPvRmT2_T3_T4_T5_mT6_T7_P12ihipStream_tbENKUlT_T0_E_clISt17integral_constantIbLb0EESY_IbLb1EEEEDaSU_SV_EUlSU_E_NS1_11comp_targetILNS1_3genE4ELNS1_11target_archE910ELNS1_3gpuE8ELNS1_3repE0EEENS1_30default_config_static_selectorELNS0_4arch9wavefront6targetE1EEEvT1_,comdat
.Lfunc_end383:
	.size	_ZN7rocprim17ROCPRIM_400000_NS6detail17trampoline_kernelINS0_14default_configENS1_27scan_by_key_config_selectorIxxEEZZNS1_16scan_by_key_implILNS1_25lookback_scan_determinismE0ELb1ES3_N6thrust23THRUST_200600_302600_NS6detail15normal_iteratorINS9_10device_ptrIxEEEESE_SE_xNS9_4plusIvEENS9_8equal_toIvEExEE10hipError_tPvRmT2_T3_T4_T5_mT6_T7_P12ihipStream_tbENKUlT_T0_E_clISt17integral_constantIbLb0EESY_IbLb1EEEEDaSU_SV_EUlSU_E_NS1_11comp_targetILNS1_3genE4ELNS1_11target_archE910ELNS1_3gpuE8ELNS1_3repE0EEENS1_30default_config_static_selectorELNS0_4arch9wavefront6targetE1EEEvT1_, .Lfunc_end383-_ZN7rocprim17ROCPRIM_400000_NS6detail17trampoline_kernelINS0_14default_configENS1_27scan_by_key_config_selectorIxxEEZZNS1_16scan_by_key_implILNS1_25lookback_scan_determinismE0ELb1ES3_N6thrust23THRUST_200600_302600_NS6detail15normal_iteratorINS9_10device_ptrIxEEEESE_SE_xNS9_4plusIvEENS9_8equal_toIvEExEE10hipError_tPvRmT2_T3_T4_T5_mT6_T7_P12ihipStream_tbENKUlT_T0_E_clISt17integral_constantIbLb0EESY_IbLb1EEEEDaSU_SV_EUlSU_E_NS1_11comp_targetILNS1_3genE4ELNS1_11target_archE910ELNS1_3gpuE8ELNS1_3repE0EEENS1_30default_config_static_selectorELNS0_4arch9wavefront6targetE1EEEvT1_
                                        ; -- End function
	.section	.AMDGPU.csdata,"",@progbits
; Kernel info:
; codeLenInByte = 15516
; NumSgprs: 73
; NumVgprs: 119
; NumAgprs: 0
; TotalNumVgprs: 119
; ScratchSize: 0
; MemoryBound: 0
; FloatMode: 240
; IeeeMode: 1
; LDSByteSize: 10752 bytes/workgroup (compile time only)
; SGPRBlocks: 9
; VGPRBlocks: 14
; NumSGPRsForWavesPerEU: 73
; NumVGPRsForWavesPerEU: 119
; AccumOffset: 120
; Occupancy: 2
; WaveLimiterHint : 1
; COMPUTE_PGM_RSRC2:SCRATCH_EN: 0
; COMPUTE_PGM_RSRC2:USER_SGPR: 6
; COMPUTE_PGM_RSRC2:TRAP_HANDLER: 0
; COMPUTE_PGM_RSRC2:TGID_X_EN: 1
; COMPUTE_PGM_RSRC2:TGID_Y_EN: 0
; COMPUTE_PGM_RSRC2:TGID_Z_EN: 0
; COMPUTE_PGM_RSRC2:TIDIG_COMP_CNT: 0
; COMPUTE_PGM_RSRC3_GFX90A:ACCUM_OFFSET: 29
; COMPUTE_PGM_RSRC3_GFX90A:TG_SPLIT: 0
	.section	.text._ZN7rocprim17ROCPRIM_400000_NS6detail17trampoline_kernelINS0_14default_configENS1_27scan_by_key_config_selectorIxxEEZZNS1_16scan_by_key_implILNS1_25lookback_scan_determinismE0ELb1ES3_N6thrust23THRUST_200600_302600_NS6detail15normal_iteratorINS9_10device_ptrIxEEEESE_SE_xNS9_4plusIvEENS9_8equal_toIvEExEE10hipError_tPvRmT2_T3_T4_T5_mT6_T7_P12ihipStream_tbENKUlT_T0_E_clISt17integral_constantIbLb0EESY_IbLb1EEEEDaSU_SV_EUlSU_E_NS1_11comp_targetILNS1_3genE3ELNS1_11target_archE908ELNS1_3gpuE7ELNS1_3repE0EEENS1_30default_config_static_selectorELNS0_4arch9wavefront6targetE1EEEvT1_,"axG",@progbits,_ZN7rocprim17ROCPRIM_400000_NS6detail17trampoline_kernelINS0_14default_configENS1_27scan_by_key_config_selectorIxxEEZZNS1_16scan_by_key_implILNS1_25lookback_scan_determinismE0ELb1ES3_N6thrust23THRUST_200600_302600_NS6detail15normal_iteratorINS9_10device_ptrIxEEEESE_SE_xNS9_4plusIvEENS9_8equal_toIvEExEE10hipError_tPvRmT2_T3_T4_T5_mT6_T7_P12ihipStream_tbENKUlT_T0_E_clISt17integral_constantIbLb0EESY_IbLb1EEEEDaSU_SV_EUlSU_E_NS1_11comp_targetILNS1_3genE3ELNS1_11target_archE908ELNS1_3gpuE7ELNS1_3repE0EEENS1_30default_config_static_selectorELNS0_4arch9wavefront6targetE1EEEvT1_,comdat
	.protected	_ZN7rocprim17ROCPRIM_400000_NS6detail17trampoline_kernelINS0_14default_configENS1_27scan_by_key_config_selectorIxxEEZZNS1_16scan_by_key_implILNS1_25lookback_scan_determinismE0ELb1ES3_N6thrust23THRUST_200600_302600_NS6detail15normal_iteratorINS9_10device_ptrIxEEEESE_SE_xNS9_4plusIvEENS9_8equal_toIvEExEE10hipError_tPvRmT2_T3_T4_T5_mT6_T7_P12ihipStream_tbENKUlT_T0_E_clISt17integral_constantIbLb0EESY_IbLb1EEEEDaSU_SV_EUlSU_E_NS1_11comp_targetILNS1_3genE3ELNS1_11target_archE908ELNS1_3gpuE7ELNS1_3repE0EEENS1_30default_config_static_selectorELNS0_4arch9wavefront6targetE1EEEvT1_ ; -- Begin function _ZN7rocprim17ROCPRIM_400000_NS6detail17trampoline_kernelINS0_14default_configENS1_27scan_by_key_config_selectorIxxEEZZNS1_16scan_by_key_implILNS1_25lookback_scan_determinismE0ELb1ES3_N6thrust23THRUST_200600_302600_NS6detail15normal_iteratorINS9_10device_ptrIxEEEESE_SE_xNS9_4plusIvEENS9_8equal_toIvEExEE10hipError_tPvRmT2_T3_T4_T5_mT6_T7_P12ihipStream_tbENKUlT_T0_E_clISt17integral_constantIbLb0EESY_IbLb1EEEEDaSU_SV_EUlSU_E_NS1_11comp_targetILNS1_3genE3ELNS1_11target_archE908ELNS1_3gpuE7ELNS1_3repE0EEENS1_30default_config_static_selectorELNS0_4arch9wavefront6targetE1EEEvT1_
	.globl	_ZN7rocprim17ROCPRIM_400000_NS6detail17trampoline_kernelINS0_14default_configENS1_27scan_by_key_config_selectorIxxEEZZNS1_16scan_by_key_implILNS1_25lookback_scan_determinismE0ELb1ES3_N6thrust23THRUST_200600_302600_NS6detail15normal_iteratorINS9_10device_ptrIxEEEESE_SE_xNS9_4plusIvEENS9_8equal_toIvEExEE10hipError_tPvRmT2_T3_T4_T5_mT6_T7_P12ihipStream_tbENKUlT_T0_E_clISt17integral_constantIbLb0EESY_IbLb1EEEEDaSU_SV_EUlSU_E_NS1_11comp_targetILNS1_3genE3ELNS1_11target_archE908ELNS1_3gpuE7ELNS1_3repE0EEENS1_30default_config_static_selectorELNS0_4arch9wavefront6targetE1EEEvT1_
	.p2align	8
	.type	_ZN7rocprim17ROCPRIM_400000_NS6detail17trampoline_kernelINS0_14default_configENS1_27scan_by_key_config_selectorIxxEEZZNS1_16scan_by_key_implILNS1_25lookback_scan_determinismE0ELb1ES3_N6thrust23THRUST_200600_302600_NS6detail15normal_iteratorINS9_10device_ptrIxEEEESE_SE_xNS9_4plusIvEENS9_8equal_toIvEExEE10hipError_tPvRmT2_T3_T4_T5_mT6_T7_P12ihipStream_tbENKUlT_T0_E_clISt17integral_constantIbLb0EESY_IbLb1EEEEDaSU_SV_EUlSU_E_NS1_11comp_targetILNS1_3genE3ELNS1_11target_archE908ELNS1_3gpuE7ELNS1_3repE0EEENS1_30default_config_static_selectorELNS0_4arch9wavefront6targetE1EEEvT1_,@function
_ZN7rocprim17ROCPRIM_400000_NS6detail17trampoline_kernelINS0_14default_configENS1_27scan_by_key_config_selectorIxxEEZZNS1_16scan_by_key_implILNS1_25lookback_scan_determinismE0ELb1ES3_N6thrust23THRUST_200600_302600_NS6detail15normal_iteratorINS9_10device_ptrIxEEEESE_SE_xNS9_4plusIvEENS9_8equal_toIvEExEE10hipError_tPvRmT2_T3_T4_T5_mT6_T7_P12ihipStream_tbENKUlT_T0_E_clISt17integral_constantIbLb0EESY_IbLb1EEEEDaSU_SV_EUlSU_E_NS1_11comp_targetILNS1_3genE3ELNS1_11target_archE908ELNS1_3gpuE7ELNS1_3repE0EEENS1_30default_config_static_selectorELNS0_4arch9wavefront6targetE1EEEvT1_: ; @_ZN7rocprim17ROCPRIM_400000_NS6detail17trampoline_kernelINS0_14default_configENS1_27scan_by_key_config_selectorIxxEEZZNS1_16scan_by_key_implILNS1_25lookback_scan_determinismE0ELb1ES3_N6thrust23THRUST_200600_302600_NS6detail15normal_iteratorINS9_10device_ptrIxEEEESE_SE_xNS9_4plusIvEENS9_8equal_toIvEExEE10hipError_tPvRmT2_T3_T4_T5_mT6_T7_P12ihipStream_tbENKUlT_T0_E_clISt17integral_constantIbLb0EESY_IbLb1EEEEDaSU_SV_EUlSU_E_NS1_11comp_targetILNS1_3genE3ELNS1_11target_archE908ELNS1_3gpuE7ELNS1_3repE0EEENS1_30default_config_static_selectorELNS0_4arch9wavefront6targetE1EEEvT1_
; %bb.0:
	.section	.rodata,"a",@progbits
	.p2align	6, 0x0
	.amdhsa_kernel _ZN7rocprim17ROCPRIM_400000_NS6detail17trampoline_kernelINS0_14default_configENS1_27scan_by_key_config_selectorIxxEEZZNS1_16scan_by_key_implILNS1_25lookback_scan_determinismE0ELb1ES3_N6thrust23THRUST_200600_302600_NS6detail15normal_iteratorINS9_10device_ptrIxEEEESE_SE_xNS9_4plusIvEENS9_8equal_toIvEExEE10hipError_tPvRmT2_T3_T4_T5_mT6_T7_P12ihipStream_tbENKUlT_T0_E_clISt17integral_constantIbLb0EESY_IbLb1EEEEDaSU_SV_EUlSU_E_NS1_11comp_targetILNS1_3genE3ELNS1_11target_archE908ELNS1_3gpuE7ELNS1_3repE0EEENS1_30default_config_static_selectorELNS0_4arch9wavefront6targetE1EEEvT1_
		.amdhsa_group_segment_fixed_size 0
		.amdhsa_private_segment_fixed_size 0
		.amdhsa_kernarg_size 136
		.amdhsa_user_sgpr_count 6
		.amdhsa_user_sgpr_private_segment_buffer 1
		.amdhsa_user_sgpr_dispatch_ptr 0
		.amdhsa_user_sgpr_queue_ptr 0
		.amdhsa_user_sgpr_kernarg_segment_ptr 1
		.amdhsa_user_sgpr_dispatch_id 0
		.amdhsa_user_sgpr_flat_scratch_init 0
		.amdhsa_user_sgpr_kernarg_preload_length 0
		.amdhsa_user_sgpr_kernarg_preload_offset 0
		.amdhsa_user_sgpr_private_segment_size 0
		.amdhsa_uses_dynamic_stack 0
		.amdhsa_system_sgpr_private_segment_wavefront_offset 0
		.amdhsa_system_sgpr_workgroup_id_x 1
		.amdhsa_system_sgpr_workgroup_id_y 0
		.amdhsa_system_sgpr_workgroup_id_z 0
		.amdhsa_system_sgpr_workgroup_info 0
		.amdhsa_system_vgpr_workitem_id 0
		.amdhsa_next_free_vgpr 1
		.amdhsa_next_free_sgpr 0
		.amdhsa_accum_offset 4
		.amdhsa_reserve_vcc 0
		.amdhsa_reserve_flat_scratch 0
		.amdhsa_float_round_mode_32 0
		.amdhsa_float_round_mode_16_64 0
		.amdhsa_float_denorm_mode_32 3
		.amdhsa_float_denorm_mode_16_64 3
		.amdhsa_dx10_clamp 1
		.amdhsa_ieee_mode 1
		.amdhsa_fp16_overflow 0
		.amdhsa_tg_split 0
		.amdhsa_exception_fp_ieee_invalid_op 0
		.amdhsa_exception_fp_denorm_src 0
		.amdhsa_exception_fp_ieee_div_zero 0
		.amdhsa_exception_fp_ieee_overflow 0
		.amdhsa_exception_fp_ieee_underflow 0
		.amdhsa_exception_fp_ieee_inexact 0
		.amdhsa_exception_int_div_zero 0
	.end_amdhsa_kernel
	.section	.text._ZN7rocprim17ROCPRIM_400000_NS6detail17trampoline_kernelINS0_14default_configENS1_27scan_by_key_config_selectorIxxEEZZNS1_16scan_by_key_implILNS1_25lookback_scan_determinismE0ELb1ES3_N6thrust23THRUST_200600_302600_NS6detail15normal_iteratorINS9_10device_ptrIxEEEESE_SE_xNS9_4plusIvEENS9_8equal_toIvEExEE10hipError_tPvRmT2_T3_T4_T5_mT6_T7_P12ihipStream_tbENKUlT_T0_E_clISt17integral_constantIbLb0EESY_IbLb1EEEEDaSU_SV_EUlSU_E_NS1_11comp_targetILNS1_3genE3ELNS1_11target_archE908ELNS1_3gpuE7ELNS1_3repE0EEENS1_30default_config_static_selectorELNS0_4arch9wavefront6targetE1EEEvT1_,"axG",@progbits,_ZN7rocprim17ROCPRIM_400000_NS6detail17trampoline_kernelINS0_14default_configENS1_27scan_by_key_config_selectorIxxEEZZNS1_16scan_by_key_implILNS1_25lookback_scan_determinismE0ELb1ES3_N6thrust23THRUST_200600_302600_NS6detail15normal_iteratorINS9_10device_ptrIxEEEESE_SE_xNS9_4plusIvEENS9_8equal_toIvEExEE10hipError_tPvRmT2_T3_T4_T5_mT6_T7_P12ihipStream_tbENKUlT_T0_E_clISt17integral_constantIbLb0EESY_IbLb1EEEEDaSU_SV_EUlSU_E_NS1_11comp_targetILNS1_3genE3ELNS1_11target_archE908ELNS1_3gpuE7ELNS1_3repE0EEENS1_30default_config_static_selectorELNS0_4arch9wavefront6targetE1EEEvT1_,comdat
.Lfunc_end384:
	.size	_ZN7rocprim17ROCPRIM_400000_NS6detail17trampoline_kernelINS0_14default_configENS1_27scan_by_key_config_selectorIxxEEZZNS1_16scan_by_key_implILNS1_25lookback_scan_determinismE0ELb1ES3_N6thrust23THRUST_200600_302600_NS6detail15normal_iteratorINS9_10device_ptrIxEEEESE_SE_xNS9_4plusIvEENS9_8equal_toIvEExEE10hipError_tPvRmT2_T3_T4_T5_mT6_T7_P12ihipStream_tbENKUlT_T0_E_clISt17integral_constantIbLb0EESY_IbLb1EEEEDaSU_SV_EUlSU_E_NS1_11comp_targetILNS1_3genE3ELNS1_11target_archE908ELNS1_3gpuE7ELNS1_3repE0EEENS1_30default_config_static_selectorELNS0_4arch9wavefront6targetE1EEEvT1_, .Lfunc_end384-_ZN7rocprim17ROCPRIM_400000_NS6detail17trampoline_kernelINS0_14default_configENS1_27scan_by_key_config_selectorIxxEEZZNS1_16scan_by_key_implILNS1_25lookback_scan_determinismE0ELb1ES3_N6thrust23THRUST_200600_302600_NS6detail15normal_iteratorINS9_10device_ptrIxEEEESE_SE_xNS9_4plusIvEENS9_8equal_toIvEExEE10hipError_tPvRmT2_T3_T4_T5_mT6_T7_P12ihipStream_tbENKUlT_T0_E_clISt17integral_constantIbLb0EESY_IbLb1EEEEDaSU_SV_EUlSU_E_NS1_11comp_targetILNS1_3genE3ELNS1_11target_archE908ELNS1_3gpuE7ELNS1_3repE0EEENS1_30default_config_static_selectorELNS0_4arch9wavefront6targetE1EEEvT1_
                                        ; -- End function
	.section	.AMDGPU.csdata,"",@progbits
; Kernel info:
; codeLenInByte = 0
; NumSgprs: 4
; NumVgprs: 0
; NumAgprs: 0
; TotalNumVgprs: 0
; ScratchSize: 0
; MemoryBound: 0
; FloatMode: 240
; IeeeMode: 1
; LDSByteSize: 0 bytes/workgroup (compile time only)
; SGPRBlocks: 0
; VGPRBlocks: 0
; NumSGPRsForWavesPerEU: 4
; NumVGPRsForWavesPerEU: 1
; AccumOffset: 4
; Occupancy: 8
; WaveLimiterHint : 0
; COMPUTE_PGM_RSRC2:SCRATCH_EN: 0
; COMPUTE_PGM_RSRC2:USER_SGPR: 6
; COMPUTE_PGM_RSRC2:TRAP_HANDLER: 0
; COMPUTE_PGM_RSRC2:TGID_X_EN: 1
; COMPUTE_PGM_RSRC2:TGID_Y_EN: 0
; COMPUTE_PGM_RSRC2:TGID_Z_EN: 0
; COMPUTE_PGM_RSRC2:TIDIG_COMP_CNT: 0
; COMPUTE_PGM_RSRC3_GFX90A:ACCUM_OFFSET: 0
; COMPUTE_PGM_RSRC3_GFX90A:TG_SPLIT: 0
	.section	.text._ZN7rocprim17ROCPRIM_400000_NS6detail17trampoline_kernelINS0_14default_configENS1_27scan_by_key_config_selectorIxxEEZZNS1_16scan_by_key_implILNS1_25lookback_scan_determinismE0ELb1ES3_N6thrust23THRUST_200600_302600_NS6detail15normal_iteratorINS9_10device_ptrIxEEEESE_SE_xNS9_4plusIvEENS9_8equal_toIvEExEE10hipError_tPvRmT2_T3_T4_T5_mT6_T7_P12ihipStream_tbENKUlT_T0_E_clISt17integral_constantIbLb0EESY_IbLb1EEEEDaSU_SV_EUlSU_E_NS1_11comp_targetILNS1_3genE2ELNS1_11target_archE906ELNS1_3gpuE6ELNS1_3repE0EEENS1_30default_config_static_selectorELNS0_4arch9wavefront6targetE1EEEvT1_,"axG",@progbits,_ZN7rocprim17ROCPRIM_400000_NS6detail17trampoline_kernelINS0_14default_configENS1_27scan_by_key_config_selectorIxxEEZZNS1_16scan_by_key_implILNS1_25lookback_scan_determinismE0ELb1ES3_N6thrust23THRUST_200600_302600_NS6detail15normal_iteratorINS9_10device_ptrIxEEEESE_SE_xNS9_4plusIvEENS9_8equal_toIvEExEE10hipError_tPvRmT2_T3_T4_T5_mT6_T7_P12ihipStream_tbENKUlT_T0_E_clISt17integral_constantIbLb0EESY_IbLb1EEEEDaSU_SV_EUlSU_E_NS1_11comp_targetILNS1_3genE2ELNS1_11target_archE906ELNS1_3gpuE6ELNS1_3repE0EEENS1_30default_config_static_selectorELNS0_4arch9wavefront6targetE1EEEvT1_,comdat
	.protected	_ZN7rocprim17ROCPRIM_400000_NS6detail17trampoline_kernelINS0_14default_configENS1_27scan_by_key_config_selectorIxxEEZZNS1_16scan_by_key_implILNS1_25lookback_scan_determinismE0ELb1ES3_N6thrust23THRUST_200600_302600_NS6detail15normal_iteratorINS9_10device_ptrIxEEEESE_SE_xNS9_4plusIvEENS9_8equal_toIvEExEE10hipError_tPvRmT2_T3_T4_T5_mT6_T7_P12ihipStream_tbENKUlT_T0_E_clISt17integral_constantIbLb0EESY_IbLb1EEEEDaSU_SV_EUlSU_E_NS1_11comp_targetILNS1_3genE2ELNS1_11target_archE906ELNS1_3gpuE6ELNS1_3repE0EEENS1_30default_config_static_selectorELNS0_4arch9wavefront6targetE1EEEvT1_ ; -- Begin function _ZN7rocprim17ROCPRIM_400000_NS6detail17trampoline_kernelINS0_14default_configENS1_27scan_by_key_config_selectorIxxEEZZNS1_16scan_by_key_implILNS1_25lookback_scan_determinismE0ELb1ES3_N6thrust23THRUST_200600_302600_NS6detail15normal_iteratorINS9_10device_ptrIxEEEESE_SE_xNS9_4plusIvEENS9_8equal_toIvEExEE10hipError_tPvRmT2_T3_T4_T5_mT6_T7_P12ihipStream_tbENKUlT_T0_E_clISt17integral_constantIbLb0EESY_IbLb1EEEEDaSU_SV_EUlSU_E_NS1_11comp_targetILNS1_3genE2ELNS1_11target_archE906ELNS1_3gpuE6ELNS1_3repE0EEENS1_30default_config_static_selectorELNS0_4arch9wavefront6targetE1EEEvT1_
	.globl	_ZN7rocprim17ROCPRIM_400000_NS6detail17trampoline_kernelINS0_14default_configENS1_27scan_by_key_config_selectorIxxEEZZNS1_16scan_by_key_implILNS1_25lookback_scan_determinismE0ELb1ES3_N6thrust23THRUST_200600_302600_NS6detail15normal_iteratorINS9_10device_ptrIxEEEESE_SE_xNS9_4plusIvEENS9_8equal_toIvEExEE10hipError_tPvRmT2_T3_T4_T5_mT6_T7_P12ihipStream_tbENKUlT_T0_E_clISt17integral_constantIbLb0EESY_IbLb1EEEEDaSU_SV_EUlSU_E_NS1_11comp_targetILNS1_3genE2ELNS1_11target_archE906ELNS1_3gpuE6ELNS1_3repE0EEENS1_30default_config_static_selectorELNS0_4arch9wavefront6targetE1EEEvT1_
	.p2align	8
	.type	_ZN7rocprim17ROCPRIM_400000_NS6detail17trampoline_kernelINS0_14default_configENS1_27scan_by_key_config_selectorIxxEEZZNS1_16scan_by_key_implILNS1_25lookback_scan_determinismE0ELb1ES3_N6thrust23THRUST_200600_302600_NS6detail15normal_iteratorINS9_10device_ptrIxEEEESE_SE_xNS9_4plusIvEENS9_8equal_toIvEExEE10hipError_tPvRmT2_T3_T4_T5_mT6_T7_P12ihipStream_tbENKUlT_T0_E_clISt17integral_constantIbLb0EESY_IbLb1EEEEDaSU_SV_EUlSU_E_NS1_11comp_targetILNS1_3genE2ELNS1_11target_archE906ELNS1_3gpuE6ELNS1_3repE0EEENS1_30default_config_static_selectorELNS0_4arch9wavefront6targetE1EEEvT1_,@function
_ZN7rocprim17ROCPRIM_400000_NS6detail17trampoline_kernelINS0_14default_configENS1_27scan_by_key_config_selectorIxxEEZZNS1_16scan_by_key_implILNS1_25lookback_scan_determinismE0ELb1ES3_N6thrust23THRUST_200600_302600_NS6detail15normal_iteratorINS9_10device_ptrIxEEEESE_SE_xNS9_4plusIvEENS9_8equal_toIvEExEE10hipError_tPvRmT2_T3_T4_T5_mT6_T7_P12ihipStream_tbENKUlT_T0_E_clISt17integral_constantIbLb0EESY_IbLb1EEEEDaSU_SV_EUlSU_E_NS1_11comp_targetILNS1_3genE2ELNS1_11target_archE906ELNS1_3gpuE6ELNS1_3repE0EEENS1_30default_config_static_selectorELNS0_4arch9wavefront6targetE1EEEvT1_: ; @_ZN7rocprim17ROCPRIM_400000_NS6detail17trampoline_kernelINS0_14default_configENS1_27scan_by_key_config_selectorIxxEEZZNS1_16scan_by_key_implILNS1_25lookback_scan_determinismE0ELb1ES3_N6thrust23THRUST_200600_302600_NS6detail15normal_iteratorINS9_10device_ptrIxEEEESE_SE_xNS9_4plusIvEENS9_8equal_toIvEExEE10hipError_tPvRmT2_T3_T4_T5_mT6_T7_P12ihipStream_tbENKUlT_T0_E_clISt17integral_constantIbLb0EESY_IbLb1EEEEDaSU_SV_EUlSU_E_NS1_11comp_targetILNS1_3genE2ELNS1_11target_archE906ELNS1_3gpuE6ELNS1_3repE0EEENS1_30default_config_static_selectorELNS0_4arch9wavefront6targetE1EEEvT1_
; %bb.0:
	.section	.rodata,"a",@progbits
	.p2align	6, 0x0
	.amdhsa_kernel _ZN7rocprim17ROCPRIM_400000_NS6detail17trampoline_kernelINS0_14default_configENS1_27scan_by_key_config_selectorIxxEEZZNS1_16scan_by_key_implILNS1_25lookback_scan_determinismE0ELb1ES3_N6thrust23THRUST_200600_302600_NS6detail15normal_iteratorINS9_10device_ptrIxEEEESE_SE_xNS9_4plusIvEENS9_8equal_toIvEExEE10hipError_tPvRmT2_T3_T4_T5_mT6_T7_P12ihipStream_tbENKUlT_T0_E_clISt17integral_constantIbLb0EESY_IbLb1EEEEDaSU_SV_EUlSU_E_NS1_11comp_targetILNS1_3genE2ELNS1_11target_archE906ELNS1_3gpuE6ELNS1_3repE0EEENS1_30default_config_static_selectorELNS0_4arch9wavefront6targetE1EEEvT1_
		.amdhsa_group_segment_fixed_size 0
		.amdhsa_private_segment_fixed_size 0
		.amdhsa_kernarg_size 136
		.amdhsa_user_sgpr_count 6
		.amdhsa_user_sgpr_private_segment_buffer 1
		.amdhsa_user_sgpr_dispatch_ptr 0
		.amdhsa_user_sgpr_queue_ptr 0
		.amdhsa_user_sgpr_kernarg_segment_ptr 1
		.amdhsa_user_sgpr_dispatch_id 0
		.amdhsa_user_sgpr_flat_scratch_init 0
		.amdhsa_user_sgpr_kernarg_preload_length 0
		.amdhsa_user_sgpr_kernarg_preload_offset 0
		.amdhsa_user_sgpr_private_segment_size 0
		.amdhsa_uses_dynamic_stack 0
		.amdhsa_system_sgpr_private_segment_wavefront_offset 0
		.amdhsa_system_sgpr_workgroup_id_x 1
		.amdhsa_system_sgpr_workgroup_id_y 0
		.amdhsa_system_sgpr_workgroup_id_z 0
		.amdhsa_system_sgpr_workgroup_info 0
		.amdhsa_system_vgpr_workitem_id 0
		.amdhsa_next_free_vgpr 1
		.amdhsa_next_free_sgpr 0
		.amdhsa_accum_offset 4
		.amdhsa_reserve_vcc 0
		.amdhsa_reserve_flat_scratch 0
		.amdhsa_float_round_mode_32 0
		.amdhsa_float_round_mode_16_64 0
		.amdhsa_float_denorm_mode_32 3
		.amdhsa_float_denorm_mode_16_64 3
		.amdhsa_dx10_clamp 1
		.amdhsa_ieee_mode 1
		.amdhsa_fp16_overflow 0
		.amdhsa_tg_split 0
		.amdhsa_exception_fp_ieee_invalid_op 0
		.amdhsa_exception_fp_denorm_src 0
		.amdhsa_exception_fp_ieee_div_zero 0
		.amdhsa_exception_fp_ieee_overflow 0
		.amdhsa_exception_fp_ieee_underflow 0
		.amdhsa_exception_fp_ieee_inexact 0
		.amdhsa_exception_int_div_zero 0
	.end_amdhsa_kernel
	.section	.text._ZN7rocprim17ROCPRIM_400000_NS6detail17trampoline_kernelINS0_14default_configENS1_27scan_by_key_config_selectorIxxEEZZNS1_16scan_by_key_implILNS1_25lookback_scan_determinismE0ELb1ES3_N6thrust23THRUST_200600_302600_NS6detail15normal_iteratorINS9_10device_ptrIxEEEESE_SE_xNS9_4plusIvEENS9_8equal_toIvEExEE10hipError_tPvRmT2_T3_T4_T5_mT6_T7_P12ihipStream_tbENKUlT_T0_E_clISt17integral_constantIbLb0EESY_IbLb1EEEEDaSU_SV_EUlSU_E_NS1_11comp_targetILNS1_3genE2ELNS1_11target_archE906ELNS1_3gpuE6ELNS1_3repE0EEENS1_30default_config_static_selectorELNS0_4arch9wavefront6targetE1EEEvT1_,"axG",@progbits,_ZN7rocprim17ROCPRIM_400000_NS6detail17trampoline_kernelINS0_14default_configENS1_27scan_by_key_config_selectorIxxEEZZNS1_16scan_by_key_implILNS1_25lookback_scan_determinismE0ELb1ES3_N6thrust23THRUST_200600_302600_NS6detail15normal_iteratorINS9_10device_ptrIxEEEESE_SE_xNS9_4plusIvEENS9_8equal_toIvEExEE10hipError_tPvRmT2_T3_T4_T5_mT6_T7_P12ihipStream_tbENKUlT_T0_E_clISt17integral_constantIbLb0EESY_IbLb1EEEEDaSU_SV_EUlSU_E_NS1_11comp_targetILNS1_3genE2ELNS1_11target_archE906ELNS1_3gpuE6ELNS1_3repE0EEENS1_30default_config_static_selectorELNS0_4arch9wavefront6targetE1EEEvT1_,comdat
.Lfunc_end385:
	.size	_ZN7rocprim17ROCPRIM_400000_NS6detail17trampoline_kernelINS0_14default_configENS1_27scan_by_key_config_selectorIxxEEZZNS1_16scan_by_key_implILNS1_25lookback_scan_determinismE0ELb1ES3_N6thrust23THRUST_200600_302600_NS6detail15normal_iteratorINS9_10device_ptrIxEEEESE_SE_xNS9_4plusIvEENS9_8equal_toIvEExEE10hipError_tPvRmT2_T3_T4_T5_mT6_T7_P12ihipStream_tbENKUlT_T0_E_clISt17integral_constantIbLb0EESY_IbLb1EEEEDaSU_SV_EUlSU_E_NS1_11comp_targetILNS1_3genE2ELNS1_11target_archE906ELNS1_3gpuE6ELNS1_3repE0EEENS1_30default_config_static_selectorELNS0_4arch9wavefront6targetE1EEEvT1_, .Lfunc_end385-_ZN7rocprim17ROCPRIM_400000_NS6detail17trampoline_kernelINS0_14default_configENS1_27scan_by_key_config_selectorIxxEEZZNS1_16scan_by_key_implILNS1_25lookback_scan_determinismE0ELb1ES3_N6thrust23THRUST_200600_302600_NS6detail15normal_iteratorINS9_10device_ptrIxEEEESE_SE_xNS9_4plusIvEENS9_8equal_toIvEExEE10hipError_tPvRmT2_T3_T4_T5_mT6_T7_P12ihipStream_tbENKUlT_T0_E_clISt17integral_constantIbLb0EESY_IbLb1EEEEDaSU_SV_EUlSU_E_NS1_11comp_targetILNS1_3genE2ELNS1_11target_archE906ELNS1_3gpuE6ELNS1_3repE0EEENS1_30default_config_static_selectorELNS0_4arch9wavefront6targetE1EEEvT1_
                                        ; -- End function
	.section	.AMDGPU.csdata,"",@progbits
; Kernel info:
; codeLenInByte = 0
; NumSgprs: 4
; NumVgprs: 0
; NumAgprs: 0
; TotalNumVgprs: 0
; ScratchSize: 0
; MemoryBound: 0
; FloatMode: 240
; IeeeMode: 1
; LDSByteSize: 0 bytes/workgroup (compile time only)
; SGPRBlocks: 0
; VGPRBlocks: 0
; NumSGPRsForWavesPerEU: 4
; NumVGPRsForWavesPerEU: 1
; AccumOffset: 4
; Occupancy: 8
; WaveLimiterHint : 0
; COMPUTE_PGM_RSRC2:SCRATCH_EN: 0
; COMPUTE_PGM_RSRC2:USER_SGPR: 6
; COMPUTE_PGM_RSRC2:TRAP_HANDLER: 0
; COMPUTE_PGM_RSRC2:TGID_X_EN: 1
; COMPUTE_PGM_RSRC2:TGID_Y_EN: 0
; COMPUTE_PGM_RSRC2:TGID_Z_EN: 0
; COMPUTE_PGM_RSRC2:TIDIG_COMP_CNT: 0
; COMPUTE_PGM_RSRC3_GFX90A:ACCUM_OFFSET: 0
; COMPUTE_PGM_RSRC3_GFX90A:TG_SPLIT: 0
	.section	.text._ZN7rocprim17ROCPRIM_400000_NS6detail17trampoline_kernelINS0_14default_configENS1_27scan_by_key_config_selectorIxxEEZZNS1_16scan_by_key_implILNS1_25lookback_scan_determinismE0ELb1ES3_N6thrust23THRUST_200600_302600_NS6detail15normal_iteratorINS9_10device_ptrIxEEEESE_SE_xNS9_4plusIvEENS9_8equal_toIvEExEE10hipError_tPvRmT2_T3_T4_T5_mT6_T7_P12ihipStream_tbENKUlT_T0_E_clISt17integral_constantIbLb0EESY_IbLb1EEEEDaSU_SV_EUlSU_E_NS1_11comp_targetILNS1_3genE10ELNS1_11target_archE1200ELNS1_3gpuE4ELNS1_3repE0EEENS1_30default_config_static_selectorELNS0_4arch9wavefront6targetE1EEEvT1_,"axG",@progbits,_ZN7rocprim17ROCPRIM_400000_NS6detail17trampoline_kernelINS0_14default_configENS1_27scan_by_key_config_selectorIxxEEZZNS1_16scan_by_key_implILNS1_25lookback_scan_determinismE0ELb1ES3_N6thrust23THRUST_200600_302600_NS6detail15normal_iteratorINS9_10device_ptrIxEEEESE_SE_xNS9_4plusIvEENS9_8equal_toIvEExEE10hipError_tPvRmT2_T3_T4_T5_mT6_T7_P12ihipStream_tbENKUlT_T0_E_clISt17integral_constantIbLb0EESY_IbLb1EEEEDaSU_SV_EUlSU_E_NS1_11comp_targetILNS1_3genE10ELNS1_11target_archE1200ELNS1_3gpuE4ELNS1_3repE0EEENS1_30default_config_static_selectorELNS0_4arch9wavefront6targetE1EEEvT1_,comdat
	.protected	_ZN7rocprim17ROCPRIM_400000_NS6detail17trampoline_kernelINS0_14default_configENS1_27scan_by_key_config_selectorIxxEEZZNS1_16scan_by_key_implILNS1_25lookback_scan_determinismE0ELb1ES3_N6thrust23THRUST_200600_302600_NS6detail15normal_iteratorINS9_10device_ptrIxEEEESE_SE_xNS9_4plusIvEENS9_8equal_toIvEExEE10hipError_tPvRmT2_T3_T4_T5_mT6_T7_P12ihipStream_tbENKUlT_T0_E_clISt17integral_constantIbLb0EESY_IbLb1EEEEDaSU_SV_EUlSU_E_NS1_11comp_targetILNS1_3genE10ELNS1_11target_archE1200ELNS1_3gpuE4ELNS1_3repE0EEENS1_30default_config_static_selectorELNS0_4arch9wavefront6targetE1EEEvT1_ ; -- Begin function _ZN7rocprim17ROCPRIM_400000_NS6detail17trampoline_kernelINS0_14default_configENS1_27scan_by_key_config_selectorIxxEEZZNS1_16scan_by_key_implILNS1_25lookback_scan_determinismE0ELb1ES3_N6thrust23THRUST_200600_302600_NS6detail15normal_iteratorINS9_10device_ptrIxEEEESE_SE_xNS9_4plusIvEENS9_8equal_toIvEExEE10hipError_tPvRmT2_T3_T4_T5_mT6_T7_P12ihipStream_tbENKUlT_T0_E_clISt17integral_constantIbLb0EESY_IbLb1EEEEDaSU_SV_EUlSU_E_NS1_11comp_targetILNS1_3genE10ELNS1_11target_archE1200ELNS1_3gpuE4ELNS1_3repE0EEENS1_30default_config_static_selectorELNS0_4arch9wavefront6targetE1EEEvT1_
	.globl	_ZN7rocprim17ROCPRIM_400000_NS6detail17trampoline_kernelINS0_14default_configENS1_27scan_by_key_config_selectorIxxEEZZNS1_16scan_by_key_implILNS1_25lookback_scan_determinismE0ELb1ES3_N6thrust23THRUST_200600_302600_NS6detail15normal_iteratorINS9_10device_ptrIxEEEESE_SE_xNS9_4plusIvEENS9_8equal_toIvEExEE10hipError_tPvRmT2_T3_T4_T5_mT6_T7_P12ihipStream_tbENKUlT_T0_E_clISt17integral_constantIbLb0EESY_IbLb1EEEEDaSU_SV_EUlSU_E_NS1_11comp_targetILNS1_3genE10ELNS1_11target_archE1200ELNS1_3gpuE4ELNS1_3repE0EEENS1_30default_config_static_selectorELNS0_4arch9wavefront6targetE1EEEvT1_
	.p2align	8
	.type	_ZN7rocprim17ROCPRIM_400000_NS6detail17trampoline_kernelINS0_14default_configENS1_27scan_by_key_config_selectorIxxEEZZNS1_16scan_by_key_implILNS1_25lookback_scan_determinismE0ELb1ES3_N6thrust23THRUST_200600_302600_NS6detail15normal_iteratorINS9_10device_ptrIxEEEESE_SE_xNS9_4plusIvEENS9_8equal_toIvEExEE10hipError_tPvRmT2_T3_T4_T5_mT6_T7_P12ihipStream_tbENKUlT_T0_E_clISt17integral_constantIbLb0EESY_IbLb1EEEEDaSU_SV_EUlSU_E_NS1_11comp_targetILNS1_3genE10ELNS1_11target_archE1200ELNS1_3gpuE4ELNS1_3repE0EEENS1_30default_config_static_selectorELNS0_4arch9wavefront6targetE1EEEvT1_,@function
_ZN7rocprim17ROCPRIM_400000_NS6detail17trampoline_kernelINS0_14default_configENS1_27scan_by_key_config_selectorIxxEEZZNS1_16scan_by_key_implILNS1_25lookback_scan_determinismE0ELb1ES3_N6thrust23THRUST_200600_302600_NS6detail15normal_iteratorINS9_10device_ptrIxEEEESE_SE_xNS9_4plusIvEENS9_8equal_toIvEExEE10hipError_tPvRmT2_T3_T4_T5_mT6_T7_P12ihipStream_tbENKUlT_T0_E_clISt17integral_constantIbLb0EESY_IbLb1EEEEDaSU_SV_EUlSU_E_NS1_11comp_targetILNS1_3genE10ELNS1_11target_archE1200ELNS1_3gpuE4ELNS1_3repE0EEENS1_30default_config_static_selectorELNS0_4arch9wavefront6targetE1EEEvT1_: ; @_ZN7rocprim17ROCPRIM_400000_NS6detail17trampoline_kernelINS0_14default_configENS1_27scan_by_key_config_selectorIxxEEZZNS1_16scan_by_key_implILNS1_25lookback_scan_determinismE0ELb1ES3_N6thrust23THRUST_200600_302600_NS6detail15normal_iteratorINS9_10device_ptrIxEEEESE_SE_xNS9_4plusIvEENS9_8equal_toIvEExEE10hipError_tPvRmT2_T3_T4_T5_mT6_T7_P12ihipStream_tbENKUlT_T0_E_clISt17integral_constantIbLb0EESY_IbLb1EEEEDaSU_SV_EUlSU_E_NS1_11comp_targetILNS1_3genE10ELNS1_11target_archE1200ELNS1_3gpuE4ELNS1_3repE0EEENS1_30default_config_static_selectorELNS0_4arch9wavefront6targetE1EEEvT1_
; %bb.0:
	.section	.rodata,"a",@progbits
	.p2align	6, 0x0
	.amdhsa_kernel _ZN7rocprim17ROCPRIM_400000_NS6detail17trampoline_kernelINS0_14default_configENS1_27scan_by_key_config_selectorIxxEEZZNS1_16scan_by_key_implILNS1_25lookback_scan_determinismE0ELb1ES3_N6thrust23THRUST_200600_302600_NS6detail15normal_iteratorINS9_10device_ptrIxEEEESE_SE_xNS9_4plusIvEENS9_8equal_toIvEExEE10hipError_tPvRmT2_T3_T4_T5_mT6_T7_P12ihipStream_tbENKUlT_T0_E_clISt17integral_constantIbLb0EESY_IbLb1EEEEDaSU_SV_EUlSU_E_NS1_11comp_targetILNS1_3genE10ELNS1_11target_archE1200ELNS1_3gpuE4ELNS1_3repE0EEENS1_30default_config_static_selectorELNS0_4arch9wavefront6targetE1EEEvT1_
		.amdhsa_group_segment_fixed_size 0
		.amdhsa_private_segment_fixed_size 0
		.amdhsa_kernarg_size 136
		.amdhsa_user_sgpr_count 6
		.amdhsa_user_sgpr_private_segment_buffer 1
		.amdhsa_user_sgpr_dispatch_ptr 0
		.amdhsa_user_sgpr_queue_ptr 0
		.amdhsa_user_sgpr_kernarg_segment_ptr 1
		.amdhsa_user_sgpr_dispatch_id 0
		.amdhsa_user_sgpr_flat_scratch_init 0
		.amdhsa_user_sgpr_kernarg_preload_length 0
		.amdhsa_user_sgpr_kernarg_preload_offset 0
		.amdhsa_user_sgpr_private_segment_size 0
		.amdhsa_uses_dynamic_stack 0
		.amdhsa_system_sgpr_private_segment_wavefront_offset 0
		.amdhsa_system_sgpr_workgroup_id_x 1
		.amdhsa_system_sgpr_workgroup_id_y 0
		.amdhsa_system_sgpr_workgroup_id_z 0
		.amdhsa_system_sgpr_workgroup_info 0
		.amdhsa_system_vgpr_workitem_id 0
		.amdhsa_next_free_vgpr 1
		.amdhsa_next_free_sgpr 0
		.amdhsa_accum_offset 4
		.amdhsa_reserve_vcc 0
		.amdhsa_reserve_flat_scratch 0
		.amdhsa_float_round_mode_32 0
		.amdhsa_float_round_mode_16_64 0
		.amdhsa_float_denorm_mode_32 3
		.amdhsa_float_denorm_mode_16_64 3
		.amdhsa_dx10_clamp 1
		.amdhsa_ieee_mode 1
		.amdhsa_fp16_overflow 0
		.amdhsa_tg_split 0
		.amdhsa_exception_fp_ieee_invalid_op 0
		.amdhsa_exception_fp_denorm_src 0
		.amdhsa_exception_fp_ieee_div_zero 0
		.amdhsa_exception_fp_ieee_overflow 0
		.amdhsa_exception_fp_ieee_underflow 0
		.amdhsa_exception_fp_ieee_inexact 0
		.amdhsa_exception_int_div_zero 0
	.end_amdhsa_kernel
	.section	.text._ZN7rocprim17ROCPRIM_400000_NS6detail17trampoline_kernelINS0_14default_configENS1_27scan_by_key_config_selectorIxxEEZZNS1_16scan_by_key_implILNS1_25lookback_scan_determinismE0ELb1ES3_N6thrust23THRUST_200600_302600_NS6detail15normal_iteratorINS9_10device_ptrIxEEEESE_SE_xNS9_4plusIvEENS9_8equal_toIvEExEE10hipError_tPvRmT2_T3_T4_T5_mT6_T7_P12ihipStream_tbENKUlT_T0_E_clISt17integral_constantIbLb0EESY_IbLb1EEEEDaSU_SV_EUlSU_E_NS1_11comp_targetILNS1_3genE10ELNS1_11target_archE1200ELNS1_3gpuE4ELNS1_3repE0EEENS1_30default_config_static_selectorELNS0_4arch9wavefront6targetE1EEEvT1_,"axG",@progbits,_ZN7rocprim17ROCPRIM_400000_NS6detail17trampoline_kernelINS0_14default_configENS1_27scan_by_key_config_selectorIxxEEZZNS1_16scan_by_key_implILNS1_25lookback_scan_determinismE0ELb1ES3_N6thrust23THRUST_200600_302600_NS6detail15normal_iteratorINS9_10device_ptrIxEEEESE_SE_xNS9_4plusIvEENS9_8equal_toIvEExEE10hipError_tPvRmT2_T3_T4_T5_mT6_T7_P12ihipStream_tbENKUlT_T0_E_clISt17integral_constantIbLb0EESY_IbLb1EEEEDaSU_SV_EUlSU_E_NS1_11comp_targetILNS1_3genE10ELNS1_11target_archE1200ELNS1_3gpuE4ELNS1_3repE0EEENS1_30default_config_static_selectorELNS0_4arch9wavefront6targetE1EEEvT1_,comdat
.Lfunc_end386:
	.size	_ZN7rocprim17ROCPRIM_400000_NS6detail17trampoline_kernelINS0_14default_configENS1_27scan_by_key_config_selectorIxxEEZZNS1_16scan_by_key_implILNS1_25lookback_scan_determinismE0ELb1ES3_N6thrust23THRUST_200600_302600_NS6detail15normal_iteratorINS9_10device_ptrIxEEEESE_SE_xNS9_4plusIvEENS9_8equal_toIvEExEE10hipError_tPvRmT2_T3_T4_T5_mT6_T7_P12ihipStream_tbENKUlT_T0_E_clISt17integral_constantIbLb0EESY_IbLb1EEEEDaSU_SV_EUlSU_E_NS1_11comp_targetILNS1_3genE10ELNS1_11target_archE1200ELNS1_3gpuE4ELNS1_3repE0EEENS1_30default_config_static_selectorELNS0_4arch9wavefront6targetE1EEEvT1_, .Lfunc_end386-_ZN7rocprim17ROCPRIM_400000_NS6detail17trampoline_kernelINS0_14default_configENS1_27scan_by_key_config_selectorIxxEEZZNS1_16scan_by_key_implILNS1_25lookback_scan_determinismE0ELb1ES3_N6thrust23THRUST_200600_302600_NS6detail15normal_iteratorINS9_10device_ptrIxEEEESE_SE_xNS9_4plusIvEENS9_8equal_toIvEExEE10hipError_tPvRmT2_T3_T4_T5_mT6_T7_P12ihipStream_tbENKUlT_T0_E_clISt17integral_constantIbLb0EESY_IbLb1EEEEDaSU_SV_EUlSU_E_NS1_11comp_targetILNS1_3genE10ELNS1_11target_archE1200ELNS1_3gpuE4ELNS1_3repE0EEENS1_30default_config_static_selectorELNS0_4arch9wavefront6targetE1EEEvT1_
                                        ; -- End function
	.section	.AMDGPU.csdata,"",@progbits
; Kernel info:
; codeLenInByte = 0
; NumSgprs: 4
; NumVgprs: 0
; NumAgprs: 0
; TotalNumVgprs: 0
; ScratchSize: 0
; MemoryBound: 0
; FloatMode: 240
; IeeeMode: 1
; LDSByteSize: 0 bytes/workgroup (compile time only)
; SGPRBlocks: 0
; VGPRBlocks: 0
; NumSGPRsForWavesPerEU: 4
; NumVGPRsForWavesPerEU: 1
; AccumOffset: 4
; Occupancy: 8
; WaveLimiterHint : 0
; COMPUTE_PGM_RSRC2:SCRATCH_EN: 0
; COMPUTE_PGM_RSRC2:USER_SGPR: 6
; COMPUTE_PGM_RSRC2:TRAP_HANDLER: 0
; COMPUTE_PGM_RSRC2:TGID_X_EN: 1
; COMPUTE_PGM_RSRC2:TGID_Y_EN: 0
; COMPUTE_PGM_RSRC2:TGID_Z_EN: 0
; COMPUTE_PGM_RSRC2:TIDIG_COMP_CNT: 0
; COMPUTE_PGM_RSRC3_GFX90A:ACCUM_OFFSET: 0
; COMPUTE_PGM_RSRC3_GFX90A:TG_SPLIT: 0
	.section	.text._ZN7rocprim17ROCPRIM_400000_NS6detail17trampoline_kernelINS0_14default_configENS1_27scan_by_key_config_selectorIxxEEZZNS1_16scan_by_key_implILNS1_25lookback_scan_determinismE0ELb1ES3_N6thrust23THRUST_200600_302600_NS6detail15normal_iteratorINS9_10device_ptrIxEEEESE_SE_xNS9_4plusIvEENS9_8equal_toIvEExEE10hipError_tPvRmT2_T3_T4_T5_mT6_T7_P12ihipStream_tbENKUlT_T0_E_clISt17integral_constantIbLb0EESY_IbLb1EEEEDaSU_SV_EUlSU_E_NS1_11comp_targetILNS1_3genE9ELNS1_11target_archE1100ELNS1_3gpuE3ELNS1_3repE0EEENS1_30default_config_static_selectorELNS0_4arch9wavefront6targetE1EEEvT1_,"axG",@progbits,_ZN7rocprim17ROCPRIM_400000_NS6detail17trampoline_kernelINS0_14default_configENS1_27scan_by_key_config_selectorIxxEEZZNS1_16scan_by_key_implILNS1_25lookback_scan_determinismE0ELb1ES3_N6thrust23THRUST_200600_302600_NS6detail15normal_iteratorINS9_10device_ptrIxEEEESE_SE_xNS9_4plusIvEENS9_8equal_toIvEExEE10hipError_tPvRmT2_T3_T4_T5_mT6_T7_P12ihipStream_tbENKUlT_T0_E_clISt17integral_constantIbLb0EESY_IbLb1EEEEDaSU_SV_EUlSU_E_NS1_11comp_targetILNS1_3genE9ELNS1_11target_archE1100ELNS1_3gpuE3ELNS1_3repE0EEENS1_30default_config_static_selectorELNS0_4arch9wavefront6targetE1EEEvT1_,comdat
	.protected	_ZN7rocprim17ROCPRIM_400000_NS6detail17trampoline_kernelINS0_14default_configENS1_27scan_by_key_config_selectorIxxEEZZNS1_16scan_by_key_implILNS1_25lookback_scan_determinismE0ELb1ES3_N6thrust23THRUST_200600_302600_NS6detail15normal_iteratorINS9_10device_ptrIxEEEESE_SE_xNS9_4plusIvEENS9_8equal_toIvEExEE10hipError_tPvRmT2_T3_T4_T5_mT6_T7_P12ihipStream_tbENKUlT_T0_E_clISt17integral_constantIbLb0EESY_IbLb1EEEEDaSU_SV_EUlSU_E_NS1_11comp_targetILNS1_3genE9ELNS1_11target_archE1100ELNS1_3gpuE3ELNS1_3repE0EEENS1_30default_config_static_selectorELNS0_4arch9wavefront6targetE1EEEvT1_ ; -- Begin function _ZN7rocprim17ROCPRIM_400000_NS6detail17trampoline_kernelINS0_14default_configENS1_27scan_by_key_config_selectorIxxEEZZNS1_16scan_by_key_implILNS1_25lookback_scan_determinismE0ELb1ES3_N6thrust23THRUST_200600_302600_NS6detail15normal_iteratorINS9_10device_ptrIxEEEESE_SE_xNS9_4plusIvEENS9_8equal_toIvEExEE10hipError_tPvRmT2_T3_T4_T5_mT6_T7_P12ihipStream_tbENKUlT_T0_E_clISt17integral_constantIbLb0EESY_IbLb1EEEEDaSU_SV_EUlSU_E_NS1_11comp_targetILNS1_3genE9ELNS1_11target_archE1100ELNS1_3gpuE3ELNS1_3repE0EEENS1_30default_config_static_selectorELNS0_4arch9wavefront6targetE1EEEvT1_
	.globl	_ZN7rocprim17ROCPRIM_400000_NS6detail17trampoline_kernelINS0_14default_configENS1_27scan_by_key_config_selectorIxxEEZZNS1_16scan_by_key_implILNS1_25lookback_scan_determinismE0ELb1ES3_N6thrust23THRUST_200600_302600_NS6detail15normal_iteratorINS9_10device_ptrIxEEEESE_SE_xNS9_4plusIvEENS9_8equal_toIvEExEE10hipError_tPvRmT2_T3_T4_T5_mT6_T7_P12ihipStream_tbENKUlT_T0_E_clISt17integral_constantIbLb0EESY_IbLb1EEEEDaSU_SV_EUlSU_E_NS1_11comp_targetILNS1_3genE9ELNS1_11target_archE1100ELNS1_3gpuE3ELNS1_3repE0EEENS1_30default_config_static_selectorELNS0_4arch9wavefront6targetE1EEEvT1_
	.p2align	8
	.type	_ZN7rocprim17ROCPRIM_400000_NS6detail17trampoline_kernelINS0_14default_configENS1_27scan_by_key_config_selectorIxxEEZZNS1_16scan_by_key_implILNS1_25lookback_scan_determinismE0ELb1ES3_N6thrust23THRUST_200600_302600_NS6detail15normal_iteratorINS9_10device_ptrIxEEEESE_SE_xNS9_4plusIvEENS9_8equal_toIvEExEE10hipError_tPvRmT2_T3_T4_T5_mT6_T7_P12ihipStream_tbENKUlT_T0_E_clISt17integral_constantIbLb0EESY_IbLb1EEEEDaSU_SV_EUlSU_E_NS1_11comp_targetILNS1_3genE9ELNS1_11target_archE1100ELNS1_3gpuE3ELNS1_3repE0EEENS1_30default_config_static_selectorELNS0_4arch9wavefront6targetE1EEEvT1_,@function
_ZN7rocprim17ROCPRIM_400000_NS6detail17trampoline_kernelINS0_14default_configENS1_27scan_by_key_config_selectorIxxEEZZNS1_16scan_by_key_implILNS1_25lookback_scan_determinismE0ELb1ES3_N6thrust23THRUST_200600_302600_NS6detail15normal_iteratorINS9_10device_ptrIxEEEESE_SE_xNS9_4plusIvEENS9_8equal_toIvEExEE10hipError_tPvRmT2_T3_T4_T5_mT6_T7_P12ihipStream_tbENKUlT_T0_E_clISt17integral_constantIbLb0EESY_IbLb1EEEEDaSU_SV_EUlSU_E_NS1_11comp_targetILNS1_3genE9ELNS1_11target_archE1100ELNS1_3gpuE3ELNS1_3repE0EEENS1_30default_config_static_selectorELNS0_4arch9wavefront6targetE1EEEvT1_: ; @_ZN7rocprim17ROCPRIM_400000_NS6detail17trampoline_kernelINS0_14default_configENS1_27scan_by_key_config_selectorIxxEEZZNS1_16scan_by_key_implILNS1_25lookback_scan_determinismE0ELb1ES3_N6thrust23THRUST_200600_302600_NS6detail15normal_iteratorINS9_10device_ptrIxEEEESE_SE_xNS9_4plusIvEENS9_8equal_toIvEExEE10hipError_tPvRmT2_T3_T4_T5_mT6_T7_P12ihipStream_tbENKUlT_T0_E_clISt17integral_constantIbLb0EESY_IbLb1EEEEDaSU_SV_EUlSU_E_NS1_11comp_targetILNS1_3genE9ELNS1_11target_archE1100ELNS1_3gpuE3ELNS1_3repE0EEENS1_30default_config_static_selectorELNS0_4arch9wavefront6targetE1EEEvT1_
; %bb.0:
	.section	.rodata,"a",@progbits
	.p2align	6, 0x0
	.amdhsa_kernel _ZN7rocprim17ROCPRIM_400000_NS6detail17trampoline_kernelINS0_14default_configENS1_27scan_by_key_config_selectorIxxEEZZNS1_16scan_by_key_implILNS1_25lookback_scan_determinismE0ELb1ES3_N6thrust23THRUST_200600_302600_NS6detail15normal_iteratorINS9_10device_ptrIxEEEESE_SE_xNS9_4plusIvEENS9_8equal_toIvEExEE10hipError_tPvRmT2_T3_T4_T5_mT6_T7_P12ihipStream_tbENKUlT_T0_E_clISt17integral_constantIbLb0EESY_IbLb1EEEEDaSU_SV_EUlSU_E_NS1_11comp_targetILNS1_3genE9ELNS1_11target_archE1100ELNS1_3gpuE3ELNS1_3repE0EEENS1_30default_config_static_selectorELNS0_4arch9wavefront6targetE1EEEvT1_
		.amdhsa_group_segment_fixed_size 0
		.amdhsa_private_segment_fixed_size 0
		.amdhsa_kernarg_size 136
		.amdhsa_user_sgpr_count 6
		.amdhsa_user_sgpr_private_segment_buffer 1
		.amdhsa_user_sgpr_dispatch_ptr 0
		.amdhsa_user_sgpr_queue_ptr 0
		.amdhsa_user_sgpr_kernarg_segment_ptr 1
		.amdhsa_user_sgpr_dispatch_id 0
		.amdhsa_user_sgpr_flat_scratch_init 0
		.amdhsa_user_sgpr_kernarg_preload_length 0
		.amdhsa_user_sgpr_kernarg_preload_offset 0
		.amdhsa_user_sgpr_private_segment_size 0
		.amdhsa_uses_dynamic_stack 0
		.amdhsa_system_sgpr_private_segment_wavefront_offset 0
		.amdhsa_system_sgpr_workgroup_id_x 1
		.amdhsa_system_sgpr_workgroup_id_y 0
		.amdhsa_system_sgpr_workgroup_id_z 0
		.amdhsa_system_sgpr_workgroup_info 0
		.amdhsa_system_vgpr_workitem_id 0
		.amdhsa_next_free_vgpr 1
		.amdhsa_next_free_sgpr 0
		.amdhsa_accum_offset 4
		.amdhsa_reserve_vcc 0
		.amdhsa_reserve_flat_scratch 0
		.amdhsa_float_round_mode_32 0
		.amdhsa_float_round_mode_16_64 0
		.amdhsa_float_denorm_mode_32 3
		.amdhsa_float_denorm_mode_16_64 3
		.amdhsa_dx10_clamp 1
		.amdhsa_ieee_mode 1
		.amdhsa_fp16_overflow 0
		.amdhsa_tg_split 0
		.amdhsa_exception_fp_ieee_invalid_op 0
		.amdhsa_exception_fp_denorm_src 0
		.amdhsa_exception_fp_ieee_div_zero 0
		.amdhsa_exception_fp_ieee_overflow 0
		.amdhsa_exception_fp_ieee_underflow 0
		.amdhsa_exception_fp_ieee_inexact 0
		.amdhsa_exception_int_div_zero 0
	.end_amdhsa_kernel
	.section	.text._ZN7rocprim17ROCPRIM_400000_NS6detail17trampoline_kernelINS0_14default_configENS1_27scan_by_key_config_selectorIxxEEZZNS1_16scan_by_key_implILNS1_25lookback_scan_determinismE0ELb1ES3_N6thrust23THRUST_200600_302600_NS6detail15normal_iteratorINS9_10device_ptrIxEEEESE_SE_xNS9_4plusIvEENS9_8equal_toIvEExEE10hipError_tPvRmT2_T3_T4_T5_mT6_T7_P12ihipStream_tbENKUlT_T0_E_clISt17integral_constantIbLb0EESY_IbLb1EEEEDaSU_SV_EUlSU_E_NS1_11comp_targetILNS1_3genE9ELNS1_11target_archE1100ELNS1_3gpuE3ELNS1_3repE0EEENS1_30default_config_static_selectorELNS0_4arch9wavefront6targetE1EEEvT1_,"axG",@progbits,_ZN7rocprim17ROCPRIM_400000_NS6detail17trampoline_kernelINS0_14default_configENS1_27scan_by_key_config_selectorIxxEEZZNS1_16scan_by_key_implILNS1_25lookback_scan_determinismE0ELb1ES3_N6thrust23THRUST_200600_302600_NS6detail15normal_iteratorINS9_10device_ptrIxEEEESE_SE_xNS9_4plusIvEENS9_8equal_toIvEExEE10hipError_tPvRmT2_T3_T4_T5_mT6_T7_P12ihipStream_tbENKUlT_T0_E_clISt17integral_constantIbLb0EESY_IbLb1EEEEDaSU_SV_EUlSU_E_NS1_11comp_targetILNS1_3genE9ELNS1_11target_archE1100ELNS1_3gpuE3ELNS1_3repE0EEENS1_30default_config_static_selectorELNS0_4arch9wavefront6targetE1EEEvT1_,comdat
.Lfunc_end387:
	.size	_ZN7rocprim17ROCPRIM_400000_NS6detail17trampoline_kernelINS0_14default_configENS1_27scan_by_key_config_selectorIxxEEZZNS1_16scan_by_key_implILNS1_25lookback_scan_determinismE0ELb1ES3_N6thrust23THRUST_200600_302600_NS6detail15normal_iteratorINS9_10device_ptrIxEEEESE_SE_xNS9_4plusIvEENS9_8equal_toIvEExEE10hipError_tPvRmT2_T3_T4_T5_mT6_T7_P12ihipStream_tbENKUlT_T0_E_clISt17integral_constantIbLb0EESY_IbLb1EEEEDaSU_SV_EUlSU_E_NS1_11comp_targetILNS1_3genE9ELNS1_11target_archE1100ELNS1_3gpuE3ELNS1_3repE0EEENS1_30default_config_static_selectorELNS0_4arch9wavefront6targetE1EEEvT1_, .Lfunc_end387-_ZN7rocprim17ROCPRIM_400000_NS6detail17trampoline_kernelINS0_14default_configENS1_27scan_by_key_config_selectorIxxEEZZNS1_16scan_by_key_implILNS1_25lookback_scan_determinismE0ELb1ES3_N6thrust23THRUST_200600_302600_NS6detail15normal_iteratorINS9_10device_ptrIxEEEESE_SE_xNS9_4plusIvEENS9_8equal_toIvEExEE10hipError_tPvRmT2_T3_T4_T5_mT6_T7_P12ihipStream_tbENKUlT_T0_E_clISt17integral_constantIbLb0EESY_IbLb1EEEEDaSU_SV_EUlSU_E_NS1_11comp_targetILNS1_3genE9ELNS1_11target_archE1100ELNS1_3gpuE3ELNS1_3repE0EEENS1_30default_config_static_selectorELNS0_4arch9wavefront6targetE1EEEvT1_
                                        ; -- End function
	.section	.AMDGPU.csdata,"",@progbits
; Kernel info:
; codeLenInByte = 0
; NumSgprs: 4
; NumVgprs: 0
; NumAgprs: 0
; TotalNumVgprs: 0
; ScratchSize: 0
; MemoryBound: 0
; FloatMode: 240
; IeeeMode: 1
; LDSByteSize: 0 bytes/workgroup (compile time only)
; SGPRBlocks: 0
; VGPRBlocks: 0
; NumSGPRsForWavesPerEU: 4
; NumVGPRsForWavesPerEU: 1
; AccumOffset: 4
; Occupancy: 8
; WaveLimiterHint : 0
; COMPUTE_PGM_RSRC2:SCRATCH_EN: 0
; COMPUTE_PGM_RSRC2:USER_SGPR: 6
; COMPUTE_PGM_RSRC2:TRAP_HANDLER: 0
; COMPUTE_PGM_RSRC2:TGID_X_EN: 1
; COMPUTE_PGM_RSRC2:TGID_Y_EN: 0
; COMPUTE_PGM_RSRC2:TGID_Z_EN: 0
; COMPUTE_PGM_RSRC2:TIDIG_COMP_CNT: 0
; COMPUTE_PGM_RSRC3_GFX90A:ACCUM_OFFSET: 0
; COMPUTE_PGM_RSRC3_GFX90A:TG_SPLIT: 0
	.section	.text._ZN7rocprim17ROCPRIM_400000_NS6detail17trampoline_kernelINS0_14default_configENS1_27scan_by_key_config_selectorIxxEEZZNS1_16scan_by_key_implILNS1_25lookback_scan_determinismE0ELb1ES3_N6thrust23THRUST_200600_302600_NS6detail15normal_iteratorINS9_10device_ptrIxEEEESE_SE_xNS9_4plusIvEENS9_8equal_toIvEExEE10hipError_tPvRmT2_T3_T4_T5_mT6_T7_P12ihipStream_tbENKUlT_T0_E_clISt17integral_constantIbLb0EESY_IbLb1EEEEDaSU_SV_EUlSU_E_NS1_11comp_targetILNS1_3genE8ELNS1_11target_archE1030ELNS1_3gpuE2ELNS1_3repE0EEENS1_30default_config_static_selectorELNS0_4arch9wavefront6targetE1EEEvT1_,"axG",@progbits,_ZN7rocprim17ROCPRIM_400000_NS6detail17trampoline_kernelINS0_14default_configENS1_27scan_by_key_config_selectorIxxEEZZNS1_16scan_by_key_implILNS1_25lookback_scan_determinismE0ELb1ES3_N6thrust23THRUST_200600_302600_NS6detail15normal_iteratorINS9_10device_ptrIxEEEESE_SE_xNS9_4plusIvEENS9_8equal_toIvEExEE10hipError_tPvRmT2_T3_T4_T5_mT6_T7_P12ihipStream_tbENKUlT_T0_E_clISt17integral_constantIbLb0EESY_IbLb1EEEEDaSU_SV_EUlSU_E_NS1_11comp_targetILNS1_3genE8ELNS1_11target_archE1030ELNS1_3gpuE2ELNS1_3repE0EEENS1_30default_config_static_selectorELNS0_4arch9wavefront6targetE1EEEvT1_,comdat
	.protected	_ZN7rocprim17ROCPRIM_400000_NS6detail17trampoline_kernelINS0_14default_configENS1_27scan_by_key_config_selectorIxxEEZZNS1_16scan_by_key_implILNS1_25lookback_scan_determinismE0ELb1ES3_N6thrust23THRUST_200600_302600_NS6detail15normal_iteratorINS9_10device_ptrIxEEEESE_SE_xNS9_4plusIvEENS9_8equal_toIvEExEE10hipError_tPvRmT2_T3_T4_T5_mT6_T7_P12ihipStream_tbENKUlT_T0_E_clISt17integral_constantIbLb0EESY_IbLb1EEEEDaSU_SV_EUlSU_E_NS1_11comp_targetILNS1_3genE8ELNS1_11target_archE1030ELNS1_3gpuE2ELNS1_3repE0EEENS1_30default_config_static_selectorELNS0_4arch9wavefront6targetE1EEEvT1_ ; -- Begin function _ZN7rocprim17ROCPRIM_400000_NS6detail17trampoline_kernelINS0_14default_configENS1_27scan_by_key_config_selectorIxxEEZZNS1_16scan_by_key_implILNS1_25lookback_scan_determinismE0ELb1ES3_N6thrust23THRUST_200600_302600_NS6detail15normal_iteratorINS9_10device_ptrIxEEEESE_SE_xNS9_4plusIvEENS9_8equal_toIvEExEE10hipError_tPvRmT2_T3_T4_T5_mT6_T7_P12ihipStream_tbENKUlT_T0_E_clISt17integral_constantIbLb0EESY_IbLb1EEEEDaSU_SV_EUlSU_E_NS1_11comp_targetILNS1_3genE8ELNS1_11target_archE1030ELNS1_3gpuE2ELNS1_3repE0EEENS1_30default_config_static_selectorELNS0_4arch9wavefront6targetE1EEEvT1_
	.globl	_ZN7rocprim17ROCPRIM_400000_NS6detail17trampoline_kernelINS0_14default_configENS1_27scan_by_key_config_selectorIxxEEZZNS1_16scan_by_key_implILNS1_25lookback_scan_determinismE0ELb1ES3_N6thrust23THRUST_200600_302600_NS6detail15normal_iteratorINS9_10device_ptrIxEEEESE_SE_xNS9_4plusIvEENS9_8equal_toIvEExEE10hipError_tPvRmT2_T3_T4_T5_mT6_T7_P12ihipStream_tbENKUlT_T0_E_clISt17integral_constantIbLb0EESY_IbLb1EEEEDaSU_SV_EUlSU_E_NS1_11comp_targetILNS1_3genE8ELNS1_11target_archE1030ELNS1_3gpuE2ELNS1_3repE0EEENS1_30default_config_static_selectorELNS0_4arch9wavefront6targetE1EEEvT1_
	.p2align	8
	.type	_ZN7rocprim17ROCPRIM_400000_NS6detail17trampoline_kernelINS0_14default_configENS1_27scan_by_key_config_selectorIxxEEZZNS1_16scan_by_key_implILNS1_25lookback_scan_determinismE0ELb1ES3_N6thrust23THRUST_200600_302600_NS6detail15normal_iteratorINS9_10device_ptrIxEEEESE_SE_xNS9_4plusIvEENS9_8equal_toIvEExEE10hipError_tPvRmT2_T3_T4_T5_mT6_T7_P12ihipStream_tbENKUlT_T0_E_clISt17integral_constantIbLb0EESY_IbLb1EEEEDaSU_SV_EUlSU_E_NS1_11comp_targetILNS1_3genE8ELNS1_11target_archE1030ELNS1_3gpuE2ELNS1_3repE0EEENS1_30default_config_static_selectorELNS0_4arch9wavefront6targetE1EEEvT1_,@function
_ZN7rocprim17ROCPRIM_400000_NS6detail17trampoline_kernelINS0_14default_configENS1_27scan_by_key_config_selectorIxxEEZZNS1_16scan_by_key_implILNS1_25lookback_scan_determinismE0ELb1ES3_N6thrust23THRUST_200600_302600_NS6detail15normal_iteratorINS9_10device_ptrIxEEEESE_SE_xNS9_4plusIvEENS9_8equal_toIvEExEE10hipError_tPvRmT2_T3_T4_T5_mT6_T7_P12ihipStream_tbENKUlT_T0_E_clISt17integral_constantIbLb0EESY_IbLb1EEEEDaSU_SV_EUlSU_E_NS1_11comp_targetILNS1_3genE8ELNS1_11target_archE1030ELNS1_3gpuE2ELNS1_3repE0EEENS1_30default_config_static_selectorELNS0_4arch9wavefront6targetE1EEEvT1_: ; @_ZN7rocprim17ROCPRIM_400000_NS6detail17trampoline_kernelINS0_14default_configENS1_27scan_by_key_config_selectorIxxEEZZNS1_16scan_by_key_implILNS1_25lookback_scan_determinismE0ELb1ES3_N6thrust23THRUST_200600_302600_NS6detail15normal_iteratorINS9_10device_ptrIxEEEESE_SE_xNS9_4plusIvEENS9_8equal_toIvEExEE10hipError_tPvRmT2_T3_T4_T5_mT6_T7_P12ihipStream_tbENKUlT_T0_E_clISt17integral_constantIbLb0EESY_IbLb1EEEEDaSU_SV_EUlSU_E_NS1_11comp_targetILNS1_3genE8ELNS1_11target_archE1030ELNS1_3gpuE2ELNS1_3repE0EEENS1_30default_config_static_selectorELNS0_4arch9wavefront6targetE1EEEvT1_
; %bb.0:
	.section	.rodata,"a",@progbits
	.p2align	6, 0x0
	.amdhsa_kernel _ZN7rocprim17ROCPRIM_400000_NS6detail17trampoline_kernelINS0_14default_configENS1_27scan_by_key_config_selectorIxxEEZZNS1_16scan_by_key_implILNS1_25lookback_scan_determinismE0ELb1ES3_N6thrust23THRUST_200600_302600_NS6detail15normal_iteratorINS9_10device_ptrIxEEEESE_SE_xNS9_4plusIvEENS9_8equal_toIvEExEE10hipError_tPvRmT2_T3_T4_T5_mT6_T7_P12ihipStream_tbENKUlT_T0_E_clISt17integral_constantIbLb0EESY_IbLb1EEEEDaSU_SV_EUlSU_E_NS1_11comp_targetILNS1_3genE8ELNS1_11target_archE1030ELNS1_3gpuE2ELNS1_3repE0EEENS1_30default_config_static_selectorELNS0_4arch9wavefront6targetE1EEEvT1_
		.amdhsa_group_segment_fixed_size 0
		.amdhsa_private_segment_fixed_size 0
		.amdhsa_kernarg_size 136
		.amdhsa_user_sgpr_count 6
		.amdhsa_user_sgpr_private_segment_buffer 1
		.amdhsa_user_sgpr_dispatch_ptr 0
		.amdhsa_user_sgpr_queue_ptr 0
		.amdhsa_user_sgpr_kernarg_segment_ptr 1
		.amdhsa_user_sgpr_dispatch_id 0
		.amdhsa_user_sgpr_flat_scratch_init 0
		.amdhsa_user_sgpr_kernarg_preload_length 0
		.amdhsa_user_sgpr_kernarg_preload_offset 0
		.amdhsa_user_sgpr_private_segment_size 0
		.amdhsa_uses_dynamic_stack 0
		.amdhsa_system_sgpr_private_segment_wavefront_offset 0
		.amdhsa_system_sgpr_workgroup_id_x 1
		.amdhsa_system_sgpr_workgroup_id_y 0
		.amdhsa_system_sgpr_workgroup_id_z 0
		.amdhsa_system_sgpr_workgroup_info 0
		.amdhsa_system_vgpr_workitem_id 0
		.amdhsa_next_free_vgpr 1
		.amdhsa_next_free_sgpr 0
		.amdhsa_accum_offset 4
		.amdhsa_reserve_vcc 0
		.amdhsa_reserve_flat_scratch 0
		.amdhsa_float_round_mode_32 0
		.amdhsa_float_round_mode_16_64 0
		.amdhsa_float_denorm_mode_32 3
		.amdhsa_float_denorm_mode_16_64 3
		.amdhsa_dx10_clamp 1
		.amdhsa_ieee_mode 1
		.amdhsa_fp16_overflow 0
		.amdhsa_tg_split 0
		.amdhsa_exception_fp_ieee_invalid_op 0
		.amdhsa_exception_fp_denorm_src 0
		.amdhsa_exception_fp_ieee_div_zero 0
		.amdhsa_exception_fp_ieee_overflow 0
		.amdhsa_exception_fp_ieee_underflow 0
		.amdhsa_exception_fp_ieee_inexact 0
		.amdhsa_exception_int_div_zero 0
	.end_amdhsa_kernel
	.section	.text._ZN7rocprim17ROCPRIM_400000_NS6detail17trampoline_kernelINS0_14default_configENS1_27scan_by_key_config_selectorIxxEEZZNS1_16scan_by_key_implILNS1_25lookback_scan_determinismE0ELb1ES3_N6thrust23THRUST_200600_302600_NS6detail15normal_iteratorINS9_10device_ptrIxEEEESE_SE_xNS9_4plusIvEENS9_8equal_toIvEExEE10hipError_tPvRmT2_T3_T4_T5_mT6_T7_P12ihipStream_tbENKUlT_T0_E_clISt17integral_constantIbLb0EESY_IbLb1EEEEDaSU_SV_EUlSU_E_NS1_11comp_targetILNS1_3genE8ELNS1_11target_archE1030ELNS1_3gpuE2ELNS1_3repE0EEENS1_30default_config_static_selectorELNS0_4arch9wavefront6targetE1EEEvT1_,"axG",@progbits,_ZN7rocprim17ROCPRIM_400000_NS6detail17trampoline_kernelINS0_14default_configENS1_27scan_by_key_config_selectorIxxEEZZNS1_16scan_by_key_implILNS1_25lookback_scan_determinismE0ELb1ES3_N6thrust23THRUST_200600_302600_NS6detail15normal_iteratorINS9_10device_ptrIxEEEESE_SE_xNS9_4plusIvEENS9_8equal_toIvEExEE10hipError_tPvRmT2_T3_T4_T5_mT6_T7_P12ihipStream_tbENKUlT_T0_E_clISt17integral_constantIbLb0EESY_IbLb1EEEEDaSU_SV_EUlSU_E_NS1_11comp_targetILNS1_3genE8ELNS1_11target_archE1030ELNS1_3gpuE2ELNS1_3repE0EEENS1_30default_config_static_selectorELNS0_4arch9wavefront6targetE1EEEvT1_,comdat
.Lfunc_end388:
	.size	_ZN7rocprim17ROCPRIM_400000_NS6detail17trampoline_kernelINS0_14default_configENS1_27scan_by_key_config_selectorIxxEEZZNS1_16scan_by_key_implILNS1_25lookback_scan_determinismE0ELb1ES3_N6thrust23THRUST_200600_302600_NS6detail15normal_iteratorINS9_10device_ptrIxEEEESE_SE_xNS9_4plusIvEENS9_8equal_toIvEExEE10hipError_tPvRmT2_T3_T4_T5_mT6_T7_P12ihipStream_tbENKUlT_T0_E_clISt17integral_constantIbLb0EESY_IbLb1EEEEDaSU_SV_EUlSU_E_NS1_11comp_targetILNS1_3genE8ELNS1_11target_archE1030ELNS1_3gpuE2ELNS1_3repE0EEENS1_30default_config_static_selectorELNS0_4arch9wavefront6targetE1EEEvT1_, .Lfunc_end388-_ZN7rocprim17ROCPRIM_400000_NS6detail17trampoline_kernelINS0_14default_configENS1_27scan_by_key_config_selectorIxxEEZZNS1_16scan_by_key_implILNS1_25lookback_scan_determinismE0ELb1ES3_N6thrust23THRUST_200600_302600_NS6detail15normal_iteratorINS9_10device_ptrIxEEEESE_SE_xNS9_4plusIvEENS9_8equal_toIvEExEE10hipError_tPvRmT2_T3_T4_T5_mT6_T7_P12ihipStream_tbENKUlT_T0_E_clISt17integral_constantIbLb0EESY_IbLb1EEEEDaSU_SV_EUlSU_E_NS1_11comp_targetILNS1_3genE8ELNS1_11target_archE1030ELNS1_3gpuE2ELNS1_3repE0EEENS1_30default_config_static_selectorELNS0_4arch9wavefront6targetE1EEEvT1_
                                        ; -- End function
	.section	.AMDGPU.csdata,"",@progbits
; Kernel info:
; codeLenInByte = 0
; NumSgprs: 4
; NumVgprs: 0
; NumAgprs: 0
; TotalNumVgprs: 0
; ScratchSize: 0
; MemoryBound: 0
; FloatMode: 240
; IeeeMode: 1
; LDSByteSize: 0 bytes/workgroup (compile time only)
; SGPRBlocks: 0
; VGPRBlocks: 0
; NumSGPRsForWavesPerEU: 4
; NumVGPRsForWavesPerEU: 1
; AccumOffset: 4
; Occupancy: 8
; WaveLimiterHint : 0
; COMPUTE_PGM_RSRC2:SCRATCH_EN: 0
; COMPUTE_PGM_RSRC2:USER_SGPR: 6
; COMPUTE_PGM_RSRC2:TRAP_HANDLER: 0
; COMPUTE_PGM_RSRC2:TGID_X_EN: 1
; COMPUTE_PGM_RSRC2:TGID_Y_EN: 0
; COMPUTE_PGM_RSRC2:TGID_Z_EN: 0
; COMPUTE_PGM_RSRC2:TIDIG_COMP_CNT: 0
; COMPUTE_PGM_RSRC3_GFX90A:ACCUM_OFFSET: 0
; COMPUTE_PGM_RSRC3_GFX90A:TG_SPLIT: 0
	.section	.text._ZN7rocprim17ROCPRIM_400000_NS6detail17trampoline_kernelINS0_14default_configENS1_27scan_by_key_config_selectorIxxEEZZNS1_16scan_by_key_implILNS1_25lookback_scan_determinismE0ELb1ES3_N6thrust23THRUST_200600_302600_NS6detail15normal_iteratorINS9_10device_ptrIxEEEESE_SE_xNS9_10multipliesIxEENS9_8equal_toIxEExEE10hipError_tPvRmT2_T3_T4_T5_mT6_T7_P12ihipStream_tbENKUlT_T0_E_clISt17integral_constantIbLb0EESZ_EEDaSU_SV_EUlSU_E_NS1_11comp_targetILNS1_3genE0ELNS1_11target_archE4294967295ELNS1_3gpuE0ELNS1_3repE0EEENS1_30default_config_static_selectorELNS0_4arch9wavefront6targetE1EEEvT1_,"axG",@progbits,_ZN7rocprim17ROCPRIM_400000_NS6detail17trampoline_kernelINS0_14default_configENS1_27scan_by_key_config_selectorIxxEEZZNS1_16scan_by_key_implILNS1_25lookback_scan_determinismE0ELb1ES3_N6thrust23THRUST_200600_302600_NS6detail15normal_iteratorINS9_10device_ptrIxEEEESE_SE_xNS9_10multipliesIxEENS9_8equal_toIxEExEE10hipError_tPvRmT2_T3_T4_T5_mT6_T7_P12ihipStream_tbENKUlT_T0_E_clISt17integral_constantIbLb0EESZ_EEDaSU_SV_EUlSU_E_NS1_11comp_targetILNS1_3genE0ELNS1_11target_archE4294967295ELNS1_3gpuE0ELNS1_3repE0EEENS1_30default_config_static_selectorELNS0_4arch9wavefront6targetE1EEEvT1_,comdat
	.protected	_ZN7rocprim17ROCPRIM_400000_NS6detail17trampoline_kernelINS0_14default_configENS1_27scan_by_key_config_selectorIxxEEZZNS1_16scan_by_key_implILNS1_25lookback_scan_determinismE0ELb1ES3_N6thrust23THRUST_200600_302600_NS6detail15normal_iteratorINS9_10device_ptrIxEEEESE_SE_xNS9_10multipliesIxEENS9_8equal_toIxEExEE10hipError_tPvRmT2_T3_T4_T5_mT6_T7_P12ihipStream_tbENKUlT_T0_E_clISt17integral_constantIbLb0EESZ_EEDaSU_SV_EUlSU_E_NS1_11comp_targetILNS1_3genE0ELNS1_11target_archE4294967295ELNS1_3gpuE0ELNS1_3repE0EEENS1_30default_config_static_selectorELNS0_4arch9wavefront6targetE1EEEvT1_ ; -- Begin function _ZN7rocprim17ROCPRIM_400000_NS6detail17trampoline_kernelINS0_14default_configENS1_27scan_by_key_config_selectorIxxEEZZNS1_16scan_by_key_implILNS1_25lookback_scan_determinismE0ELb1ES3_N6thrust23THRUST_200600_302600_NS6detail15normal_iteratorINS9_10device_ptrIxEEEESE_SE_xNS9_10multipliesIxEENS9_8equal_toIxEExEE10hipError_tPvRmT2_T3_T4_T5_mT6_T7_P12ihipStream_tbENKUlT_T0_E_clISt17integral_constantIbLb0EESZ_EEDaSU_SV_EUlSU_E_NS1_11comp_targetILNS1_3genE0ELNS1_11target_archE4294967295ELNS1_3gpuE0ELNS1_3repE0EEENS1_30default_config_static_selectorELNS0_4arch9wavefront6targetE1EEEvT1_
	.globl	_ZN7rocprim17ROCPRIM_400000_NS6detail17trampoline_kernelINS0_14default_configENS1_27scan_by_key_config_selectorIxxEEZZNS1_16scan_by_key_implILNS1_25lookback_scan_determinismE0ELb1ES3_N6thrust23THRUST_200600_302600_NS6detail15normal_iteratorINS9_10device_ptrIxEEEESE_SE_xNS9_10multipliesIxEENS9_8equal_toIxEExEE10hipError_tPvRmT2_T3_T4_T5_mT6_T7_P12ihipStream_tbENKUlT_T0_E_clISt17integral_constantIbLb0EESZ_EEDaSU_SV_EUlSU_E_NS1_11comp_targetILNS1_3genE0ELNS1_11target_archE4294967295ELNS1_3gpuE0ELNS1_3repE0EEENS1_30default_config_static_selectorELNS0_4arch9wavefront6targetE1EEEvT1_
	.p2align	8
	.type	_ZN7rocprim17ROCPRIM_400000_NS6detail17trampoline_kernelINS0_14default_configENS1_27scan_by_key_config_selectorIxxEEZZNS1_16scan_by_key_implILNS1_25lookback_scan_determinismE0ELb1ES3_N6thrust23THRUST_200600_302600_NS6detail15normal_iteratorINS9_10device_ptrIxEEEESE_SE_xNS9_10multipliesIxEENS9_8equal_toIxEExEE10hipError_tPvRmT2_T3_T4_T5_mT6_T7_P12ihipStream_tbENKUlT_T0_E_clISt17integral_constantIbLb0EESZ_EEDaSU_SV_EUlSU_E_NS1_11comp_targetILNS1_3genE0ELNS1_11target_archE4294967295ELNS1_3gpuE0ELNS1_3repE0EEENS1_30default_config_static_selectorELNS0_4arch9wavefront6targetE1EEEvT1_,@function
_ZN7rocprim17ROCPRIM_400000_NS6detail17trampoline_kernelINS0_14default_configENS1_27scan_by_key_config_selectorIxxEEZZNS1_16scan_by_key_implILNS1_25lookback_scan_determinismE0ELb1ES3_N6thrust23THRUST_200600_302600_NS6detail15normal_iteratorINS9_10device_ptrIxEEEESE_SE_xNS9_10multipliesIxEENS9_8equal_toIxEExEE10hipError_tPvRmT2_T3_T4_T5_mT6_T7_P12ihipStream_tbENKUlT_T0_E_clISt17integral_constantIbLb0EESZ_EEDaSU_SV_EUlSU_E_NS1_11comp_targetILNS1_3genE0ELNS1_11target_archE4294967295ELNS1_3gpuE0ELNS1_3repE0EEENS1_30default_config_static_selectorELNS0_4arch9wavefront6targetE1EEEvT1_: ; @_ZN7rocprim17ROCPRIM_400000_NS6detail17trampoline_kernelINS0_14default_configENS1_27scan_by_key_config_selectorIxxEEZZNS1_16scan_by_key_implILNS1_25lookback_scan_determinismE0ELb1ES3_N6thrust23THRUST_200600_302600_NS6detail15normal_iteratorINS9_10device_ptrIxEEEESE_SE_xNS9_10multipliesIxEENS9_8equal_toIxEExEE10hipError_tPvRmT2_T3_T4_T5_mT6_T7_P12ihipStream_tbENKUlT_T0_E_clISt17integral_constantIbLb0EESZ_EEDaSU_SV_EUlSU_E_NS1_11comp_targetILNS1_3genE0ELNS1_11target_archE4294967295ELNS1_3gpuE0ELNS1_3repE0EEENS1_30default_config_static_selectorELNS0_4arch9wavefront6targetE1EEEvT1_
; %bb.0:
	.section	.rodata,"a",@progbits
	.p2align	6, 0x0
	.amdhsa_kernel _ZN7rocprim17ROCPRIM_400000_NS6detail17trampoline_kernelINS0_14default_configENS1_27scan_by_key_config_selectorIxxEEZZNS1_16scan_by_key_implILNS1_25lookback_scan_determinismE0ELb1ES3_N6thrust23THRUST_200600_302600_NS6detail15normal_iteratorINS9_10device_ptrIxEEEESE_SE_xNS9_10multipliesIxEENS9_8equal_toIxEExEE10hipError_tPvRmT2_T3_T4_T5_mT6_T7_P12ihipStream_tbENKUlT_T0_E_clISt17integral_constantIbLb0EESZ_EEDaSU_SV_EUlSU_E_NS1_11comp_targetILNS1_3genE0ELNS1_11target_archE4294967295ELNS1_3gpuE0ELNS1_3repE0EEENS1_30default_config_static_selectorELNS0_4arch9wavefront6targetE1EEEvT1_
		.amdhsa_group_segment_fixed_size 0
		.amdhsa_private_segment_fixed_size 0
		.amdhsa_kernarg_size 136
		.amdhsa_user_sgpr_count 6
		.amdhsa_user_sgpr_private_segment_buffer 1
		.amdhsa_user_sgpr_dispatch_ptr 0
		.amdhsa_user_sgpr_queue_ptr 0
		.amdhsa_user_sgpr_kernarg_segment_ptr 1
		.amdhsa_user_sgpr_dispatch_id 0
		.amdhsa_user_sgpr_flat_scratch_init 0
		.amdhsa_user_sgpr_kernarg_preload_length 0
		.amdhsa_user_sgpr_kernarg_preload_offset 0
		.amdhsa_user_sgpr_private_segment_size 0
		.amdhsa_uses_dynamic_stack 0
		.amdhsa_system_sgpr_private_segment_wavefront_offset 0
		.amdhsa_system_sgpr_workgroup_id_x 1
		.amdhsa_system_sgpr_workgroup_id_y 0
		.amdhsa_system_sgpr_workgroup_id_z 0
		.amdhsa_system_sgpr_workgroup_info 0
		.amdhsa_system_vgpr_workitem_id 0
		.amdhsa_next_free_vgpr 1
		.amdhsa_next_free_sgpr 0
		.amdhsa_accum_offset 4
		.amdhsa_reserve_vcc 0
		.amdhsa_reserve_flat_scratch 0
		.amdhsa_float_round_mode_32 0
		.amdhsa_float_round_mode_16_64 0
		.amdhsa_float_denorm_mode_32 3
		.amdhsa_float_denorm_mode_16_64 3
		.amdhsa_dx10_clamp 1
		.amdhsa_ieee_mode 1
		.amdhsa_fp16_overflow 0
		.amdhsa_tg_split 0
		.amdhsa_exception_fp_ieee_invalid_op 0
		.amdhsa_exception_fp_denorm_src 0
		.amdhsa_exception_fp_ieee_div_zero 0
		.amdhsa_exception_fp_ieee_overflow 0
		.amdhsa_exception_fp_ieee_underflow 0
		.amdhsa_exception_fp_ieee_inexact 0
		.amdhsa_exception_int_div_zero 0
	.end_amdhsa_kernel
	.section	.text._ZN7rocprim17ROCPRIM_400000_NS6detail17trampoline_kernelINS0_14default_configENS1_27scan_by_key_config_selectorIxxEEZZNS1_16scan_by_key_implILNS1_25lookback_scan_determinismE0ELb1ES3_N6thrust23THRUST_200600_302600_NS6detail15normal_iteratorINS9_10device_ptrIxEEEESE_SE_xNS9_10multipliesIxEENS9_8equal_toIxEExEE10hipError_tPvRmT2_T3_T4_T5_mT6_T7_P12ihipStream_tbENKUlT_T0_E_clISt17integral_constantIbLb0EESZ_EEDaSU_SV_EUlSU_E_NS1_11comp_targetILNS1_3genE0ELNS1_11target_archE4294967295ELNS1_3gpuE0ELNS1_3repE0EEENS1_30default_config_static_selectorELNS0_4arch9wavefront6targetE1EEEvT1_,"axG",@progbits,_ZN7rocprim17ROCPRIM_400000_NS6detail17trampoline_kernelINS0_14default_configENS1_27scan_by_key_config_selectorIxxEEZZNS1_16scan_by_key_implILNS1_25lookback_scan_determinismE0ELb1ES3_N6thrust23THRUST_200600_302600_NS6detail15normal_iteratorINS9_10device_ptrIxEEEESE_SE_xNS9_10multipliesIxEENS9_8equal_toIxEExEE10hipError_tPvRmT2_T3_T4_T5_mT6_T7_P12ihipStream_tbENKUlT_T0_E_clISt17integral_constantIbLb0EESZ_EEDaSU_SV_EUlSU_E_NS1_11comp_targetILNS1_3genE0ELNS1_11target_archE4294967295ELNS1_3gpuE0ELNS1_3repE0EEENS1_30default_config_static_selectorELNS0_4arch9wavefront6targetE1EEEvT1_,comdat
.Lfunc_end389:
	.size	_ZN7rocprim17ROCPRIM_400000_NS6detail17trampoline_kernelINS0_14default_configENS1_27scan_by_key_config_selectorIxxEEZZNS1_16scan_by_key_implILNS1_25lookback_scan_determinismE0ELb1ES3_N6thrust23THRUST_200600_302600_NS6detail15normal_iteratorINS9_10device_ptrIxEEEESE_SE_xNS9_10multipliesIxEENS9_8equal_toIxEExEE10hipError_tPvRmT2_T3_T4_T5_mT6_T7_P12ihipStream_tbENKUlT_T0_E_clISt17integral_constantIbLb0EESZ_EEDaSU_SV_EUlSU_E_NS1_11comp_targetILNS1_3genE0ELNS1_11target_archE4294967295ELNS1_3gpuE0ELNS1_3repE0EEENS1_30default_config_static_selectorELNS0_4arch9wavefront6targetE1EEEvT1_, .Lfunc_end389-_ZN7rocprim17ROCPRIM_400000_NS6detail17trampoline_kernelINS0_14default_configENS1_27scan_by_key_config_selectorIxxEEZZNS1_16scan_by_key_implILNS1_25lookback_scan_determinismE0ELb1ES3_N6thrust23THRUST_200600_302600_NS6detail15normal_iteratorINS9_10device_ptrIxEEEESE_SE_xNS9_10multipliesIxEENS9_8equal_toIxEExEE10hipError_tPvRmT2_T3_T4_T5_mT6_T7_P12ihipStream_tbENKUlT_T0_E_clISt17integral_constantIbLb0EESZ_EEDaSU_SV_EUlSU_E_NS1_11comp_targetILNS1_3genE0ELNS1_11target_archE4294967295ELNS1_3gpuE0ELNS1_3repE0EEENS1_30default_config_static_selectorELNS0_4arch9wavefront6targetE1EEEvT1_
                                        ; -- End function
	.section	.AMDGPU.csdata,"",@progbits
; Kernel info:
; codeLenInByte = 0
; NumSgprs: 4
; NumVgprs: 0
; NumAgprs: 0
; TotalNumVgprs: 0
; ScratchSize: 0
; MemoryBound: 0
; FloatMode: 240
; IeeeMode: 1
; LDSByteSize: 0 bytes/workgroup (compile time only)
; SGPRBlocks: 0
; VGPRBlocks: 0
; NumSGPRsForWavesPerEU: 4
; NumVGPRsForWavesPerEU: 1
; AccumOffset: 4
; Occupancy: 8
; WaveLimiterHint : 0
; COMPUTE_PGM_RSRC2:SCRATCH_EN: 0
; COMPUTE_PGM_RSRC2:USER_SGPR: 6
; COMPUTE_PGM_RSRC2:TRAP_HANDLER: 0
; COMPUTE_PGM_RSRC2:TGID_X_EN: 1
; COMPUTE_PGM_RSRC2:TGID_Y_EN: 0
; COMPUTE_PGM_RSRC2:TGID_Z_EN: 0
; COMPUTE_PGM_RSRC2:TIDIG_COMP_CNT: 0
; COMPUTE_PGM_RSRC3_GFX90A:ACCUM_OFFSET: 0
; COMPUTE_PGM_RSRC3_GFX90A:TG_SPLIT: 0
	.section	.text._ZN7rocprim17ROCPRIM_400000_NS6detail17trampoline_kernelINS0_14default_configENS1_27scan_by_key_config_selectorIxxEEZZNS1_16scan_by_key_implILNS1_25lookback_scan_determinismE0ELb1ES3_N6thrust23THRUST_200600_302600_NS6detail15normal_iteratorINS9_10device_ptrIxEEEESE_SE_xNS9_10multipliesIxEENS9_8equal_toIxEExEE10hipError_tPvRmT2_T3_T4_T5_mT6_T7_P12ihipStream_tbENKUlT_T0_E_clISt17integral_constantIbLb0EESZ_EEDaSU_SV_EUlSU_E_NS1_11comp_targetILNS1_3genE10ELNS1_11target_archE1201ELNS1_3gpuE5ELNS1_3repE0EEENS1_30default_config_static_selectorELNS0_4arch9wavefront6targetE1EEEvT1_,"axG",@progbits,_ZN7rocprim17ROCPRIM_400000_NS6detail17trampoline_kernelINS0_14default_configENS1_27scan_by_key_config_selectorIxxEEZZNS1_16scan_by_key_implILNS1_25lookback_scan_determinismE0ELb1ES3_N6thrust23THRUST_200600_302600_NS6detail15normal_iteratorINS9_10device_ptrIxEEEESE_SE_xNS9_10multipliesIxEENS9_8equal_toIxEExEE10hipError_tPvRmT2_T3_T4_T5_mT6_T7_P12ihipStream_tbENKUlT_T0_E_clISt17integral_constantIbLb0EESZ_EEDaSU_SV_EUlSU_E_NS1_11comp_targetILNS1_3genE10ELNS1_11target_archE1201ELNS1_3gpuE5ELNS1_3repE0EEENS1_30default_config_static_selectorELNS0_4arch9wavefront6targetE1EEEvT1_,comdat
	.protected	_ZN7rocprim17ROCPRIM_400000_NS6detail17trampoline_kernelINS0_14default_configENS1_27scan_by_key_config_selectorIxxEEZZNS1_16scan_by_key_implILNS1_25lookback_scan_determinismE0ELb1ES3_N6thrust23THRUST_200600_302600_NS6detail15normal_iteratorINS9_10device_ptrIxEEEESE_SE_xNS9_10multipliesIxEENS9_8equal_toIxEExEE10hipError_tPvRmT2_T3_T4_T5_mT6_T7_P12ihipStream_tbENKUlT_T0_E_clISt17integral_constantIbLb0EESZ_EEDaSU_SV_EUlSU_E_NS1_11comp_targetILNS1_3genE10ELNS1_11target_archE1201ELNS1_3gpuE5ELNS1_3repE0EEENS1_30default_config_static_selectorELNS0_4arch9wavefront6targetE1EEEvT1_ ; -- Begin function _ZN7rocprim17ROCPRIM_400000_NS6detail17trampoline_kernelINS0_14default_configENS1_27scan_by_key_config_selectorIxxEEZZNS1_16scan_by_key_implILNS1_25lookback_scan_determinismE0ELb1ES3_N6thrust23THRUST_200600_302600_NS6detail15normal_iteratorINS9_10device_ptrIxEEEESE_SE_xNS9_10multipliesIxEENS9_8equal_toIxEExEE10hipError_tPvRmT2_T3_T4_T5_mT6_T7_P12ihipStream_tbENKUlT_T0_E_clISt17integral_constantIbLb0EESZ_EEDaSU_SV_EUlSU_E_NS1_11comp_targetILNS1_3genE10ELNS1_11target_archE1201ELNS1_3gpuE5ELNS1_3repE0EEENS1_30default_config_static_selectorELNS0_4arch9wavefront6targetE1EEEvT1_
	.globl	_ZN7rocprim17ROCPRIM_400000_NS6detail17trampoline_kernelINS0_14default_configENS1_27scan_by_key_config_selectorIxxEEZZNS1_16scan_by_key_implILNS1_25lookback_scan_determinismE0ELb1ES3_N6thrust23THRUST_200600_302600_NS6detail15normal_iteratorINS9_10device_ptrIxEEEESE_SE_xNS9_10multipliesIxEENS9_8equal_toIxEExEE10hipError_tPvRmT2_T3_T4_T5_mT6_T7_P12ihipStream_tbENKUlT_T0_E_clISt17integral_constantIbLb0EESZ_EEDaSU_SV_EUlSU_E_NS1_11comp_targetILNS1_3genE10ELNS1_11target_archE1201ELNS1_3gpuE5ELNS1_3repE0EEENS1_30default_config_static_selectorELNS0_4arch9wavefront6targetE1EEEvT1_
	.p2align	8
	.type	_ZN7rocprim17ROCPRIM_400000_NS6detail17trampoline_kernelINS0_14default_configENS1_27scan_by_key_config_selectorIxxEEZZNS1_16scan_by_key_implILNS1_25lookback_scan_determinismE0ELb1ES3_N6thrust23THRUST_200600_302600_NS6detail15normal_iteratorINS9_10device_ptrIxEEEESE_SE_xNS9_10multipliesIxEENS9_8equal_toIxEExEE10hipError_tPvRmT2_T3_T4_T5_mT6_T7_P12ihipStream_tbENKUlT_T0_E_clISt17integral_constantIbLb0EESZ_EEDaSU_SV_EUlSU_E_NS1_11comp_targetILNS1_3genE10ELNS1_11target_archE1201ELNS1_3gpuE5ELNS1_3repE0EEENS1_30default_config_static_selectorELNS0_4arch9wavefront6targetE1EEEvT1_,@function
_ZN7rocprim17ROCPRIM_400000_NS6detail17trampoline_kernelINS0_14default_configENS1_27scan_by_key_config_selectorIxxEEZZNS1_16scan_by_key_implILNS1_25lookback_scan_determinismE0ELb1ES3_N6thrust23THRUST_200600_302600_NS6detail15normal_iteratorINS9_10device_ptrIxEEEESE_SE_xNS9_10multipliesIxEENS9_8equal_toIxEExEE10hipError_tPvRmT2_T3_T4_T5_mT6_T7_P12ihipStream_tbENKUlT_T0_E_clISt17integral_constantIbLb0EESZ_EEDaSU_SV_EUlSU_E_NS1_11comp_targetILNS1_3genE10ELNS1_11target_archE1201ELNS1_3gpuE5ELNS1_3repE0EEENS1_30default_config_static_selectorELNS0_4arch9wavefront6targetE1EEEvT1_: ; @_ZN7rocprim17ROCPRIM_400000_NS6detail17trampoline_kernelINS0_14default_configENS1_27scan_by_key_config_selectorIxxEEZZNS1_16scan_by_key_implILNS1_25lookback_scan_determinismE0ELb1ES3_N6thrust23THRUST_200600_302600_NS6detail15normal_iteratorINS9_10device_ptrIxEEEESE_SE_xNS9_10multipliesIxEENS9_8equal_toIxEExEE10hipError_tPvRmT2_T3_T4_T5_mT6_T7_P12ihipStream_tbENKUlT_T0_E_clISt17integral_constantIbLb0EESZ_EEDaSU_SV_EUlSU_E_NS1_11comp_targetILNS1_3genE10ELNS1_11target_archE1201ELNS1_3gpuE5ELNS1_3repE0EEENS1_30default_config_static_selectorELNS0_4arch9wavefront6targetE1EEEvT1_
; %bb.0:
	.section	.rodata,"a",@progbits
	.p2align	6, 0x0
	.amdhsa_kernel _ZN7rocprim17ROCPRIM_400000_NS6detail17trampoline_kernelINS0_14default_configENS1_27scan_by_key_config_selectorIxxEEZZNS1_16scan_by_key_implILNS1_25lookback_scan_determinismE0ELb1ES3_N6thrust23THRUST_200600_302600_NS6detail15normal_iteratorINS9_10device_ptrIxEEEESE_SE_xNS9_10multipliesIxEENS9_8equal_toIxEExEE10hipError_tPvRmT2_T3_T4_T5_mT6_T7_P12ihipStream_tbENKUlT_T0_E_clISt17integral_constantIbLb0EESZ_EEDaSU_SV_EUlSU_E_NS1_11comp_targetILNS1_3genE10ELNS1_11target_archE1201ELNS1_3gpuE5ELNS1_3repE0EEENS1_30default_config_static_selectorELNS0_4arch9wavefront6targetE1EEEvT1_
		.amdhsa_group_segment_fixed_size 0
		.amdhsa_private_segment_fixed_size 0
		.amdhsa_kernarg_size 136
		.amdhsa_user_sgpr_count 6
		.amdhsa_user_sgpr_private_segment_buffer 1
		.amdhsa_user_sgpr_dispatch_ptr 0
		.amdhsa_user_sgpr_queue_ptr 0
		.amdhsa_user_sgpr_kernarg_segment_ptr 1
		.amdhsa_user_sgpr_dispatch_id 0
		.amdhsa_user_sgpr_flat_scratch_init 0
		.amdhsa_user_sgpr_kernarg_preload_length 0
		.amdhsa_user_sgpr_kernarg_preload_offset 0
		.amdhsa_user_sgpr_private_segment_size 0
		.amdhsa_uses_dynamic_stack 0
		.amdhsa_system_sgpr_private_segment_wavefront_offset 0
		.amdhsa_system_sgpr_workgroup_id_x 1
		.amdhsa_system_sgpr_workgroup_id_y 0
		.amdhsa_system_sgpr_workgroup_id_z 0
		.amdhsa_system_sgpr_workgroup_info 0
		.amdhsa_system_vgpr_workitem_id 0
		.amdhsa_next_free_vgpr 1
		.amdhsa_next_free_sgpr 0
		.amdhsa_accum_offset 4
		.amdhsa_reserve_vcc 0
		.amdhsa_reserve_flat_scratch 0
		.amdhsa_float_round_mode_32 0
		.amdhsa_float_round_mode_16_64 0
		.amdhsa_float_denorm_mode_32 3
		.amdhsa_float_denorm_mode_16_64 3
		.amdhsa_dx10_clamp 1
		.amdhsa_ieee_mode 1
		.amdhsa_fp16_overflow 0
		.amdhsa_tg_split 0
		.amdhsa_exception_fp_ieee_invalid_op 0
		.amdhsa_exception_fp_denorm_src 0
		.amdhsa_exception_fp_ieee_div_zero 0
		.amdhsa_exception_fp_ieee_overflow 0
		.amdhsa_exception_fp_ieee_underflow 0
		.amdhsa_exception_fp_ieee_inexact 0
		.amdhsa_exception_int_div_zero 0
	.end_amdhsa_kernel
	.section	.text._ZN7rocprim17ROCPRIM_400000_NS6detail17trampoline_kernelINS0_14default_configENS1_27scan_by_key_config_selectorIxxEEZZNS1_16scan_by_key_implILNS1_25lookback_scan_determinismE0ELb1ES3_N6thrust23THRUST_200600_302600_NS6detail15normal_iteratorINS9_10device_ptrIxEEEESE_SE_xNS9_10multipliesIxEENS9_8equal_toIxEExEE10hipError_tPvRmT2_T3_T4_T5_mT6_T7_P12ihipStream_tbENKUlT_T0_E_clISt17integral_constantIbLb0EESZ_EEDaSU_SV_EUlSU_E_NS1_11comp_targetILNS1_3genE10ELNS1_11target_archE1201ELNS1_3gpuE5ELNS1_3repE0EEENS1_30default_config_static_selectorELNS0_4arch9wavefront6targetE1EEEvT1_,"axG",@progbits,_ZN7rocprim17ROCPRIM_400000_NS6detail17trampoline_kernelINS0_14default_configENS1_27scan_by_key_config_selectorIxxEEZZNS1_16scan_by_key_implILNS1_25lookback_scan_determinismE0ELb1ES3_N6thrust23THRUST_200600_302600_NS6detail15normal_iteratorINS9_10device_ptrIxEEEESE_SE_xNS9_10multipliesIxEENS9_8equal_toIxEExEE10hipError_tPvRmT2_T3_T4_T5_mT6_T7_P12ihipStream_tbENKUlT_T0_E_clISt17integral_constantIbLb0EESZ_EEDaSU_SV_EUlSU_E_NS1_11comp_targetILNS1_3genE10ELNS1_11target_archE1201ELNS1_3gpuE5ELNS1_3repE0EEENS1_30default_config_static_selectorELNS0_4arch9wavefront6targetE1EEEvT1_,comdat
.Lfunc_end390:
	.size	_ZN7rocprim17ROCPRIM_400000_NS6detail17trampoline_kernelINS0_14default_configENS1_27scan_by_key_config_selectorIxxEEZZNS1_16scan_by_key_implILNS1_25lookback_scan_determinismE0ELb1ES3_N6thrust23THRUST_200600_302600_NS6detail15normal_iteratorINS9_10device_ptrIxEEEESE_SE_xNS9_10multipliesIxEENS9_8equal_toIxEExEE10hipError_tPvRmT2_T3_T4_T5_mT6_T7_P12ihipStream_tbENKUlT_T0_E_clISt17integral_constantIbLb0EESZ_EEDaSU_SV_EUlSU_E_NS1_11comp_targetILNS1_3genE10ELNS1_11target_archE1201ELNS1_3gpuE5ELNS1_3repE0EEENS1_30default_config_static_selectorELNS0_4arch9wavefront6targetE1EEEvT1_, .Lfunc_end390-_ZN7rocprim17ROCPRIM_400000_NS6detail17trampoline_kernelINS0_14default_configENS1_27scan_by_key_config_selectorIxxEEZZNS1_16scan_by_key_implILNS1_25lookback_scan_determinismE0ELb1ES3_N6thrust23THRUST_200600_302600_NS6detail15normal_iteratorINS9_10device_ptrIxEEEESE_SE_xNS9_10multipliesIxEENS9_8equal_toIxEExEE10hipError_tPvRmT2_T3_T4_T5_mT6_T7_P12ihipStream_tbENKUlT_T0_E_clISt17integral_constantIbLb0EESZ_EEDaSU_SV_EUlSU_E_NS1_11comp_targetILNS1_3genE10ELNS1_11target_archE1201ELNS1_3gpuE5ELNS1_3repE0EEENS1_30default_config_static_selectorELNS0_4arch9wavefront6targetE1EEEvT1_
                                        ; -- End function
	.section	.AMDGPU.csdata,"",@progbits
; Kernel info:
; codeLenInByte = 0
; NumSgprs: 4
; NumVgprs: 0
; NumAgprs: 0
; TotalNumVgprs: 0
; ScratchSize: 0
; MemoryBound: 0
; FloatMode: 240
; IeeeMode: 1
; LDSByteSize: 0 bytes/workgroup (compile time only)
; SGPRBlocks: 0
; VGPRBlocks: 0
; NumSGPRsForWavesPerEU: 4
; NumVGPRsForWavesPerEU: 1
; AccumOffset: 4
; Occupancy: 8
; WaveLimiterHint : 0
; COMPUTE_PGM_RSRC2:SCRATCH_EN: 0
; COMPUTE_PGM_RSRC2:USER_SGPR: 6
; COMPUTE_PGM_RSRC2:TRAP_HANDLER: 0
; COMPUTE_PGM_RSRC2:TGID_X_EN: 1
; COMPUTE_PGM_RSRC2:TGID_Y_EN: 0
; COMPUTE_PGM_RSRC2:TGID_Z_EN: 0
; COMPUTE_PGM_RSRC2:TIDIG_COMP_CNT: 0
; COMPUTE_PGM_RSRC3_GFX90A:ACCUM_OFFSET: 0
; COMPUTE_PGM_RSRC3_GFX90A:TG_SPLIT: 0
	.section	.text._ZN7rocprim17ROCPRIM_400000_NS6detail17trampoline_kernelINS0_14default_configENS1_27scan_by_key_config_selectorIxxEEZZNS1_16scan_by_key_implILNS1_25lookback_scan_determinismE0ELb1ES3_N6thrust23THRUST_200600_302600_NS6detail15normal_iteratorINS9_10device_ptrIxEEEESE_SE_xNS9_10multipliesIxEENS9_8equal_toIxEExEE10hipError_tPvRmT2_T3_T4_T5_mT6_T7_P12ihipStream_tbENKUlT_T0_E_clISt17integral_constantIbLb0EESZ_EEDaSU_SV_EUlSU_E_NS1_11comp_targetILNS1_3genE5ELNS1_11target_archE942ELNS1_3gpuE9ELNS1_3repE0EEENS1_30default_config_static_selectorELNS0_4arch9wavefront6targetE1EEEvT1_,"axG",@progbits,_ZN7rocprim17ROCPRIM_400000_NS6detail17trampoline_kernelINS0_14default_configENS1_27scan_by_key_config_selectorIxxEEZZNS1_16scan_by_key_implILNS1_25lookback_scan_determinismE0ELb1ES3_N6thrust23THRUST_200600_302600_NS6detail15normal_iteratorINS9_10device_ptrIxEEEESE_SE_xNS9_10multipliesIxEENS9_8equal_toIxEExEE10hipError_tPvRmT2_T3_T4_T5_mT6_T7_P12ihipStream_tbENKUlT_T0_E_clISt17integral_constantIbLb0EESZ_EEDaSU_SV_EUlSU_E_NS1_11comp_targetILNS1_3genE5ELNS1_11target_archE942ELNS1_3gpuE9ELNS1_3repE0EEENS1_30default_config_static_selectorELNS0_4arch9wavefront6targetE1EEEvT1_,comdat
	.protected	_ZN7rocprim17ROCPRIM_400000_NS6detail17trampoline_kernelINS0_14default_configENS1_27scan_by_key_config_selectorIxxEEZZNS1_16scan_by_key_implILNS1_25lookback_scan_determinismE0ELb1ES3_N6thrust23THRUST_200600_302600_NS6detail15normal_iteratorINS9_10device_ptrIxEEEESE_SE_xNS9_10multipliesIxEENS9_8equal_toIxEExEE10hipError_tPvRmT2_T3_T4_T5_mT6_T7_P12ihipStream_tbENKUlT_T0_E_clISt17integral_constantIbLb0EESZ_EEDaSU_SV_EUlSU_E_NS1_11comp_targetILNS1_3genE5ELNS1_11target_archE942ELNS1_3gpuE9ELNS1_3repE0EEENS1_30default_config_static_selectorELNS0_4arch9wavefront6targetE1EEEvT1_ ; -- Begin function _ZN7rocprim17ROCPRIM_400000_NS6detail17trampoline_kernelINS0_14default_configENS1_27scan_by_key_config_selectorIxxEEZZNS1_16scan_by_key_implILNS1_25lookback_scan_determinismE0ELb1ES3_N6thrust23THRUST_200600_302600_NS6detail15normal_iteratorINS9_10device_ptrIxEEEESE_SE_xNS9_10multipliesIxEENS9_8equal_toIxEExEE10hipError_tPvRmT2_T3_T4_T5_mT6_T7_P12ihipStream_tbENKUlT_T0_E_clISt17integral_constantIbLb0EESZ_EEDaSU_SV_EUlSU_E_NS1_11comp_targetILNS1_3genE5ELNS1_11target_archE942ELNS1_3gpuE9ELNS1_3repE0EEENS1_30default_config_static_selectorELNS0_4arch9wavefront6targetE1EEEvT1_
	.globl	_ZN7rocprim17ROCPRIM_400000_NS6detail17trampoline_kernelINS0_14default_configENS1_27scan_by_key_config_selectorIxxEEZZNS1_16scan_by_key_implILNS1_25lookback_scan_determinismE0ELb1ES3_N6thrust23THRUST_200600_302600_NS6detail15normal_iteratorINS9_10device_ptrIxEEEESE_SE_xNS9_10multipliesIxEENS9_8equal_toIxEExEE10hipError_tPvRmT2_T3_T4_T5_mT6_T7_P12ihipStream_tbENKUlT_T0_E_clISt17integral_constantIbLb0EESZ_EEDaSU_SV_EUlSU_E_NS1_11comp_targetILNS1_3genE5ELNS1_11target_archE942ELNS1_3gpuE9ELNS1_3repE0EEENS1_30default_config_static_selectorELNS0_4arch9wavefront6targetE1EEEvT1_
	.p2align	8
	.type	_ZN7rocprim17ROCPRIM_400000_NS6detail17trampoline_kernelINS0_14default_configENS1_27scan_by_key_config_selectorIxxEEZZNS1_16scan_by_key_implILNS1_25lookback_scan_determinismE0ELb1ES3_N6thrust23THRUST_200600_302600_NS6detail15normal_iteratorINS9_10device_ptrIxEEEESE_SE_xNS9_10multipliesIxEENS9_8equal_toIxEExEE10hipError_tPvRmT2_T3_T4_T5_mT6_T7_P12ihipStream_tbENKUlT_T0_E_clISt17integral_constantIbLb0EESZ_EEDaSU_SV_EUlSU_E_NS1_11comp_targetILNS1_3genE5ELNS1_11target_archE942ELNS1_3gpuE9ELNS1_3repE0EEENS1_30default_config_static_selectorELNS0_4arch9wavefront6targetE1EEEvT1_,@function
_ZN7rocprim17ROCPRIM_400000_NS6detail17trampoline_kernelINS0_14default_configENS1_27scan_by_key_config_selectorIxxEEZZNS1_16scan_by_key_implILNS1_25lookback_scan_determinismE0ELb1ES3_N6thrust23THRUST_200600_302600_NS6detail15normal_iteratorINS9_10device_ptrIxEEEESE_SE_xNS9_10multipliesIxEENS9_8equal_toIxEExEE10hipError_tPvRmT2_T3_T4_T5_mT6_T7_P12ihipStream_tbENKUlT_T0_E_clISt17integral_constantIbLb0EESZ_EEDaSU_SV_EUlSU_E_NS1_11comp_targetILNS1_3genE5ELNS1_11target_archE942ELNS1_3gpuE9ELNS1_3repE0EEENS1_30default_config_static_selectorELNS0_4arch9wavefront6targetE1EEEvT1_: ; @_ZN7rocprim17ROCPRIM_400000_NS6detail17trampoline_kernelINS0_14default_configENS1_27scan_by_key_config_selectorIxxEEZZNS1_16scan_by_key_implILNS1_25lookback_scan_determinismE0ELb1ES3_N6thrust23THRUST_200600_302600_NS6detail15normal_iteratorINS9_10device_ptrIxEEEESE_SE_xNS9_10multipliesIxEENS9_8equal_toIxEExEE10hipError_tPvRmT2_T3_T4_T5_mT6_T7_P12ihipStream_tbENKUlT_T0_E_clISt17integral_constantIbLb0EESZ_EEDaSU_SV_EUlSU_E_NS1_11comp_targetILNS1_3genE5ELNS1_11target_archE942ELNS1_3gpuE9ELNS1_3repE0EEENS1_30default_config_static_selectorELNS0_4arch9wavefront6targetE1EEEvT1_
; %bb.0:
	.section	.rodata,"a",@progbits
	.p2align	6, 0x0
	.amdhsa_kernel _ZN7rocprim17ROCPRIM_400000_NS6detail17trampoline_kernelINS0_14default_configENS1_27scan_by_key_config_selectorIxxEEZZNS1_16scan_by_key_implILNS1_25lookback_scan_determinismE0ELb1ES3_N6thrust23THRUST_200600_302600_NS6detail15normal_iteratorINS9_10device_ptrIxEEEESE_SE_xNS9_10multipliesIxEENS9_8equal_toIxEExEE10hipError_tPvRmT2_T3_T4_T5_mT6_T7_P12ihipStream_tbENKUlT_T0_E_clISt17integral_constantIbLb0EESZ_EEDaSU_SV_EUlSU_E_NS1_11comp_targetILNS1_3genE5ELNS1_11target_archE942ELNS1_3gpuE9ELNS1_3repE0EEENS1_30default_config_static_selectorELNS0_4arch9wavefront6targetE1EEEvT1_
		.amdhsa_group_segment_fixed_size 0
		.amdhsa_private_segment_fixed_size 0
		.amdhsa_kernarg_size 136
		.amdhsa_user_sgpr_count 6
		.amdhsa_user_sgpr_private_segment_buffer 1
		.amdhsa_user_sgpr_dispatch_ptr 0
		.amdhsa_user_sgpr_queue_ptr 0
		.amdhsa_user_sgpr_kernarg_segment_ptr 1
		.amdhsa_user_sgpr_dispatch_id 0
		.amdhsa_user_sgpr_flat_scratch_init 0
		.amdhsa_user_sgpr_kernarg_preload_length 0
		.amdhsa_user_sgpr_kernarg_preload_offset 0
		.amdhsa_user_sgpr_private_segment_size 0
		.amdhsa_uses_dynamic_stack 0
		.amdhsa_system_sgpr_private_segment_wavefront_offset 0
		.amdhsa_system_sgpr_workgroup_id_x 1
		.amdhsa_system_sgpr_workgroup_id_y 0
		.amdhsa_system_sgpr_workgroup_id_z 0
		.amdhsa_system_sgpr_workgroup_info 0
		.amdhsa_system_vgpr_workitem_id 0
		.amdhsa_next_free_vgpr 1
		.amdhsa_next_free_sgpr 0
		.amdhsa_accum_offset 4
		.amdhsa_reserve_vcc 0
		.amdhsa_reserve_flat_scratch 0
		.amdhsa_float_round_mode_32 0
		.amdhsa_float_round_mode_16_64 0
		.amdhsa_float_denorm_mode_32 3
		.amdhsa_float_denorm_mode_16_64 3
		.amdhsa_dx10_clamp 1
		.amdhsa_ieee_mode 1
		.amdhsa_fp16_overflow 0
		.amdhsa_tg_split 0
		.amdhsa_exception_fp_ieee_invalid_op 0
		.amdhsa_exception_fp_denorm_src 0
		.amdhsa_exception_fp_ieee_div_zero 0
		.amdhsa_exception_fp_ieee_overflow 0
		.amdhsa_exception_fp_ieee_underflow 0
		.amdhsa_exception_fp_ieee_inexact 0
		.amdhsa_exception_int_div_zero 0
	.end_amdhsa_kernel
	.section	.text._ZN7rocprim17ROCPRIM_400000_NS6detail17trampoline_kernelINS0_14default_configENS1_27scan_by_key_config_selectorIxxEEZZNS1_16scan_by_key_implILNS1_25lookback_scan_determinismE0ELb1ES3_N6thrust23THRUST_200600_302600_NS6detail15normal_iteratorINS9_10device_ptrIxEEEESE_SE_xNS9_10multipliesIxEENS9_8equal_toIxEExEE10hipError_tPvRmT2_T3_T4_T5_mT6_T7_P12ihipStream_tbENKUlT_T0_E_clISt17integral_constantIbLb0EESZ_EEDaSU_SV_EUlSU_E_NS1_11comp_targetILNS1_3genE5ELNS1_11target_archE942ELNS1_3gpuE9ELNS1_3repE0EEENS1_30default_config_static_selectorELNS0_4arch9wavefront6targetE1EEEvT1_,"axG",@progbits,_ZN7rocprim17ROCPRIM_400000_NS6detail17trampoline_kernelINS0_14default_configENS1_27scan_by_key_config_selectorIxxEEZZNS1_16scan_by_key_implILNS1_25lookback_scan_determinismE0ELb1ES3_N6thrust23THRUST_200600_302600_NS6detail15normal_iteratorINS9_10device_ptrIxEEEESE_SE_xNS9_10multipliesIxEENS9_8equal_toIxEExEE10hipError_tPvRmT2_T3_T4_T5_mT6_T7_P12ihipStream_tbENKUlT_T0_E_clISt17integral_constantIbLb0EESZ_EEDaSU_SV_EUlSU_E_NS1_11comp_targetILNS1_3genE5ELNS1_11target_archE942ELNS1_3gpuE9ELNS1_3repE0EEENS1_30default_config_static_selectorELNS0_4arch9wavefront6targetE1EEEvT1_,comdat
.Lfunc_end391:
	.size	_ZN7rocprim17ROCPRIM_400000_NS6detail17trampoline_kernelINS0_14default_configENS1_27scan_by_key_config_selectorIxxEEZZNS1_16scan_by_key_implILNS1_25lookback_scan_determinismE0ELb1ES3_N6thrust23THRUST_200600_302600_NS6detail15normal_iteratorINS9_10device_ptrIxEEEESE_SE_xNS9_10multipliesIxEENS9_8equal_toIxEExEE10hipError_tPvRmT2_T3_T4_T5_mT6_T7_P12ihipStream_tbENKUlT_T0_E_clISt17integral_constantIbLb0EESZ_EEDaSU_SV_EUlSU_E_NS1_11comp_targetILNS1_3genE5ELNS1_11target_archE942ELNS1_3gpuE9ELNS1_3repE0EEENS1_30default_config_static_selectorELNS0_4arch9wavefront6targetE1EEEvT1_, .Lfunc_end391-_ZN7rocprim17ROCPRIM_400000_NS6detail17trampoline_kernelINS0_14default_configENS1_27scan_by_key_config_selectorIxxEEZZNS1_16scan_by_key_implILNS1_25lookback_scan_determinismE0ELb1ES3_N6thrust23THRUST_200600_302600_NS6detail15normal_iteratorINS9_10device_ptrIxEEEESE_SE_xNS9_10multipliesIxEENS9_8equal_toIxEExEE10hipError_tPvRmT2_T3_T4_T5_mT6_T7_P12ihipStream_tbENKUlT_T0_E_clISt17integral_constantIbLb0EESZ_EEDaSU_SV_EUlSU_E_NS1_11comp_targetILNS1_3genE5ELNS1_11target_archE942ELNS1_3gpuE9ELNS1_3repE0EEENS1_30default_config_static_selectorELNS0_4arch9wavefront6targetE1EEEvT1_
                                        ; -- End function
	.section	.AMDGPU.csdata,"",@progbits
; Kernel info:
; codeLenInByte = 0
; NumSgprs: 4
; NumVgprs: 0
; NumAgprs: 0
; TotalNumVgprs: 0
; ScratchSize: 0
; MemoryBound: 0
; FloatMode: 240
; IeeeMode: 1
; LDSByteSize: 0 bytes/workgroup (compile time only)
; SGPRBlocks: 0
; VGPRBlocks: 0
; NumSGPRsForWavesPerEU: 4
; NumVGPRsForWavesPerEU: 1
; AccumOffset: 4
; Occupancy: 8
; WaveLimiterHint : 0
; COMPUTE_PGM_RSRC2:SCRATCH_EN: 0
; COMPUTE_PGM_RSRC2:USER_SGPR: 6
; COMPUTE_PGM_RSRC2:TRAP_HANDLER: 0
; COMPUTE_PGM_RSRC2:TGID_X_EN: 1
; COMPUTE_PGM_RSRC2:TGID_Y_EN: 0
; COMPUTE_PGM_RSRC2:TGID_Z_EN: 0
; COMPUTE_PGM_RSRC2:TIDIG_COMP_CNT: 0
; COMPUTE_PGM_RSRC3_GFX90A:ACCUM_OFFSET: 0
; COMPUTE_PGM_RSRC3_GFX90A:TG_SPLIT: 0
	.section	.text._ZN7rocprim17ROCPRIM_400000_NS6detail17trampoline_kernelINS0_14default_configENS1_27scan_by_key_config_selectorIxxEEZZNS1_16scan_by_key_implILNS1_25lookback_scan_determinismE0ELb1ES3_N6thrust23THRUST_200600_302600_NS6detail15normal_iteratorINS9_10device_ptrIxEEEESE_SE_xNS9_10multipliesIxEENS9_8equal_toIxEExEE10hipError_tPvRmT2_T3_T4_T5_mT6_T7_P12ihipStream_tbENKUlT_T0_E_clISt17integral_constantIbLb0EESZ_EEDaSU_SV_EUlSU_E_NS1_11comp_targetILNS1_3genE4ELNS1_11target_archE910ELNS1_3gpuE8ELNS1_3repE0EEENS1_30default_config_static_selectorELNS0_4arch9wavefront6targetE1EEEvT1_,"axG",@progbits,_ZN7rocprim17ROCPRIM_400000_NS6detail17trampoline_kernelINS0_14default_configENS1_27scan_by_key_config_selectorIxxEEZZNS1_16scan_by_key_implILNS1_25lookback_scan_determinismE0ELb1ES3_N6thrust23THRUST_200600_302600_NS6detail15normal_iteratorINS9_10device_ptrIxEEEESE_SE_xNS9_10multipliesIxEENS9_8equal_toIxEExEE10hipError_tPvRmT2_T3_T4_T5_mT6_T7_P12ihipStream_tbENKUlT_T0_E_clISt17integral_constantIbLb0EESZ_EEDaSU_SV_EUlSU_E_NS1_11comp_targetILNS1_3genE4ELNS1_11target_archE910ELNS1_3gpuE8ELNS1_3repE0EEENS1_30default_config_static_selectorELNS0_4arch9wavefront6targetE1EEEvT1_,comdat
	.protected	_ZN7rocprim17ROCPRIM_400000_NS6detail17trampoline_kernelINS0_14default_configENS1_27scan_by_key_config_selectorIxxEEZZNS1_16scan_by_key_implILNS1_25lookback_scan_determinismE0ELb1ES3_N6thrust23THRUST_200600_302600_NS6detail15normal_iteratorINS9_10device_ptrIxEEEESE_SE_xNS9_10multipliesIxEENS9_8equal_toIxEExEE10hipError_tPvRmT2_T3_T4_T5_mT6_T7_P12ihipStream_tbENKUlT_T0_E_clISt17integral_constantIbLb0EESZ_EEDaSU_SV_EUlSU_E_NS1_11comp_targetILNS1_3genE4ELNS1_11target_archE910ELNS1_3gpuE8ELNS1_3repE0EEENS1_30default_config_static_selectorELNS0_4arch9wavefront6targetE1EEEvT1_ ; -- Begin function _ZN7rocprim17ROCPRIM_400000_NS6detail17trampoline_kernelINS0_14default_configENS1_27scan_by_key_config_selectorIxxEEZZNS1_16scan_by_key_implILNS1_25lookback_scan_determinismE0ELb1ES3_N6thrust23THRUST_200600_302600_NS6detail15normal_iteratorINS9_10device_ptrIxEEEESE_SE_xNS9_10multipliesIxEENS9_8equal_toIxEExEE10hipError_tPvRmT2_T3_T4_T5_mT6_T7_P12ihipStream_tbENKUlT_T0_E_clISt17integral_constantIbLb0EESZ_EEDaSU_SV_EUlSU_E_NS1_11comp_targetILNS1_3genE4ELNS1_11target_archE910ELNS1_3gpuE8ELNS1_3repE0EEENS1_30default_config_static_selectorELNS0_4arch9wavefront6targetE1EEEvT1_
	.globl	_ZN7rocprim17ROCPRIM_400000_NS6detail17trampoline_kernelINS0_14default_configENS1_27scan_by_key_config_selectorIxxEEZZNS1_16scan_by_key_implILNS1_25lookback_scan_determinismE0ELb1ES3_N6thrust23THRUST_200600_302600_NS6detail15normal_iteratorINS9_10device_ptrIxEEEESE_SE_xNS9_10multipliesIxEENS9_8equal_toIxEExEE10hipError_tPvRmT2_T3_T4_T5_mT6_T7_P12ihipStream_tbENKUlT_T0_E_clISt17integral_constantIbLb0EESZ_EEDaSU_SV_EUlSU_E_NS1_11comp_targetILNS1_3genE4ELNS1_11target_archE910ELNS1_3gpuE8ELNS1_3repE0EEENS1_30default_config_static_selectorELNS0_4arch9wavefront6targetE1EEEvT1_
	.p2align	8
	.type	_ZN7rocprim17ROCPRIM_400000_NS6detail17trampoline_kernelINS0_14default_configENS1_27scan_by_key_config_selectorIxxEEZZNS1_16scan_by_key_implILNS1_25lookback_scan_determinismE0ELb1ES3_N6thrust23THRUST_200600_302600_NS6detail15normal_iteratorINS9_10device_ptrIxEEEESE_SE_xNS9_10multipliesIxEENS9_8equal_toIxEExEE10hipError_tPvRmT2_T3_T4_T5_mT6_T7_P12ihipStream_tbENKUlT_T0_E_clISt17integral_constantIbLb0EESZ_EEDaSU_SV_EUlSU_E_NS1_11comp_targetILNS1_3genE4ELNS1_11target_archE910ELNS1_3gpuE8ELNS1_3repE0EEENS1_30default_config_static_selectorELNS0_4arch9wavefront6targetE1EEEvT1_,@function
_ZN7rocprim17ROCPRIM_400000_NS6detail17trampoline_kernelINS0_14default_configENS1_27scan_by_key_config_selectorIxxEEZZNS1_16scan_by_key_implILNS1_25lookback_scan_determinismE0ELb1ES3_N6thrust23THRUST_200600_302600_NS6detail15normal_iteratorINS9_10device_ptrIxEEEESE_SE_xNS9_10multipliesIxEENS9_8equal_toIxEExEE10hipError_tPvRmT2_T3_T4_T5_mT6_T7_P12ihipStream_tbENKUlT_T0_E_clISt17integral_constantIbLb0EESZ_EEDaSU_SV_EUlSU_E_NS1_11comp_targetILNS1_3genE4ELNS1_11target_archE910ELNS1_3gpuE8ELNS1_3repE0EEENS1_30default_config_static_selectorELNS0_4arch9wavefront6targetE1EEEvT1_: ; @_ZN7rocprim17ROCPRIM_400000_NS6detail17trampoline_kernelINS0_14default_configENS1_27scan_by_key_config_selectorIxxEEZZNS1_16scan_by_key_implILNS1_25lookback_scan_determinismE0ELb1ES3_N6thrust23THRUST_200600_302600_NS6detail15normal_iteratorINS9_10device_ptrIxEEEESE_SE_xNS9_10multipliesIxEENS9_8equal_toIxEExEE10hipError_tPvRmT2_T3_T4_T5_mT6_T7_P12ihipStream_tbENKUlT_T0_E_clISt17integral_constantIbLb0EESZ_EEDaSU_SV_EUlSU_E_NS1_11comp_targetILNS1_3genE4ELNS1_11target_archE910ELNS1_3gpuE8ELNS1_3repE0EEENS1_30default_config_static_selectorELNS0_4arch9wavefront6targetE1EEEvT1_
; %bb.0:
	s_load_dwordx8 s[52:59], s[4:5], 0x0
	s_load_dwordx2 s[64:65], s[4:5], 0x20
	s_load_dwordx8 s[44:51], s[4:5], 0x30
	s_load_dwordx2 s[66:67], s[4:5], 0x50
	s_load_dword s0, s[4:5], 0x58
	s_load_dwordx4 s[60:63], s[4:5], 0x60
	s_waitcnt lgkmcnt(0)
	s_lshl_b64 s[54:55], s[54:55], 3
	s_add_u32 s2, s52, s54
	s_addc_u32 s3, s53, s55
	s_add_u32 s4, s56, s54
	s_mul_i32 s1, s67, s0
	s_mul_hi_u32 s7, s66, s0
	s_addc_u32 s5, s57, s55
	s_add_i32 s8, s7, s1
	s_mul_i32 s9, s66, s0
	s_mul_i32 s0, s6, 0x4c0
	s_mov_b32 s1, 0
	s_lshl_b64 s[52:53], s[0:1], 3
	s_add_u32 s56, s2, s52
	s_addc_u32 s57, s3, s53
	s_add_u32 s7, s4, s52
	s_addc_u32 s51, s5, s53
	;; [unrolled: 2-line block ×3, first 2 shown]
	s_add_u32 s4, s60, -1
	s_addc_u32 s5, s61, -1
	v_pk_mov_b32 v[2:3], s[4:5], s[4:5] op_sel:[0,1]
	v_cmp_ge_u64_e64 s[0:1], s[0:1], v[2:3]
	s_mov_b64 s[2:3], -1
	s_and_b64 vcc, exec, s[0:1]
	s_mul_i32 s33, s4, 0xfffffb40
	s_waitcnt lgkmcnt(0)
	; wave barrier
	s_cbranch_vccz .LBB392_59
; %bb.1:
	v_pk_mov_b32 v[2:3], s[56:57], s[56:57] op_sel:[0,1]
	flat_load_dwordx2 v[2:3], v[2:3]
	s_add_i32 s70, s33, s50
	v_cmp_gt_u32_e32 vcc, s70, v0
	s_waitcnt vmcnt(0) lgkmcnt(0)
	v_pk_mov_b32 v[4:5], v[2:3], v[2:3] op_sel:[0,1]
	s_and_saveexec_b64 s[4:5], vcc
	s_cbranch_execz .LBB392_3
; %bb.2:
	v_lshlrev_b32_e32 v1, 3, v0
	v_mov_b32_e32 v5, s57
	v_add_co_u32_e64 v4, s[2:3], s56, v1
	v_addc_co_u32_e64 v5, s[2:3], 0, v5, s[2:3]
	flat_load_dwordx2 v[4:5], v[4:5]
.LBB392_3:
	s_or_b64 exec, exec, s[4:5]
	v_or_b32_e32 v1, 64, v0
	v_cmp_gt_u32_e64 s[2:3], s70, v1
	v_pk_mov_b32 v[6:7], v[2:3], v[2:3] op_sel:[0,1]
	s_and_saveexec_b64 s[8:9], s[2:3]
	s_cbranch_execz .LBB392_5
; %bb.4:
	v_lshlrev_b32_e32 v1, 3, v0
	v_mov_b32_e32 v7, s57
	v_add_co_u32_e64 v6, s[4:5], s56, v1
	v_addc_co_u32_e64 v7, s[4:5], 0, v7, s[4:5]
	flat_load_dwordx2 v[6:7], v[6:7] offset:512
.LBB392_5:
	s_or_b64 exec, exec, s[8:9]
	v_or_b32_e32 v1, 0x80, v0
	v_cmp_gt_u32_e64 s[4:5], s70, v1
	v_pk_mov_b32 v[8:9], v[2:3], v[2:3] op_sel:[0,1]
	s_and_saveexec_b64 s[10:11], s[4:5]
	s_cbranch_execz .LBB392_7
; %bb.6:
	v_lshlrev_b32_e32 v1, 3, v0
	v_mov_b32_e32 v9, s57
	v_add_co_u32_e64 v8, s[8:9], s56, v1
	v_addc_co_u32_e64 v9, s[8:9], 0, v9, s[8:9]
	flat_load_dwordx2 v[8:9], v[8:9] offset:1024
.LBB392_7:
	;; [unrolled: 13-line block ×7, first 2 shown]
	s_or_b64 exec, exec, s[18:19]
	v_or_b32_e32 v1, 0x200, v0
	v_cmp_gt_u32_e64 s[16:17], s70, v1
	v_lshlrev_b32_e32 v1, 3, v1
	v_pk_mov_b32 v[20:21], v[2:3], v[2:3] op_sel:[0,1]
	s_and_saveexec_b64 s[20:21], s[16:17]
	s_cbranch_execz .LBB392_19
; %bb.18:
	v_mov_b32_e32 v21, s57
	v_add_co_u32_e64 v20, s[18:19], s56, v1
	v_addc_co_u32_e64 v21, s[18:19], 0, v21, s[18:19]
	flat_load_dwordx2 v[20:21], v[20:21]
.LBB392_19:
	s_or_b64 exec, exec, s[20:21]
	v_or_b32_e32 v22, 0x240, v0
	v_cmp_gt_u32_e64 s[18:19], s70, v22
	v_lshlrev_b32_e32 v60, 3, v22
	v_pk_mov_b32 v[22:23], v[2:3], v[2:3] op_sel:[0,1]
	s_and_saveexec_b64 s[22:23], s[18:19]
	s_cbranch_execz .LBB392_21
; %bb.20:
	v_mov_b32_e32 v23, s57
	v_add_co_u32_e64 v22, s[20:21], s56, v60
	v_addc_co_u32_e64 v23, s[20:21], 0, v23, s[20:21]
	flat_load_dwordx2 v[22:23], v[22:23]
.LBB392_21:
	;; [unrolled: 13-line block ×10, first 2 shown]
	s_or_b64 exec, exec, s[42:43]
	v_or_b32_e32 v40, 0x480, v0
	v_cmp_gt_u32_e64 s[38:39], s70, v40
	v_lshlrev_b32_e32 v82, 3, v40
	s_and_saveexec_b64 s[60:61], s[38:39]
	s_cbranch_execz .LBB392_39
; %bb.38:
	v_mov_b32_e32 v3, s57
	v_add_co_u32_e64 v2, s[42:43], s56, v82
	v_addc_co_u32_e64 v3, s[42:43], 0, v3, s[42:43]
	flat_load_dwordx2 v[2:3], v[2:3]
.LBB392_39:
	s_or_b64 exec, exec, s[60:61]
	v_lshlrev_b32_e32 v83, 3, v0
	s_waitcnt vmcnt(0) lgkmcnt(0)
	ds_write2st64_b64 v83, v[4:5], v[6:7] offset1:1
	ds_write2st64_b64 v83, v[8:9], v[10:11] offset0:2 offset1:3
	ds_write2st64_b64 v83, v[12:13], v[14:15] offset0:4 offset1:5
	;; [unrolled: 1-line block ×8, first 2 shown]
	ds_write_b64 v83, v[2:3] offset:9216
	v_pk_mov_b32 v[2:3], s[56:57], s[56:57] op_sel:[0,1]
	s_waitcnt lgkmcnt(0)
	; wave barrier
	s_waitcnt lgkmcnt(0)
	flat_load_dwordx2 v[78:79], v[2:3]
	s_movk_i32 s42, 0x90
	v_mad_u32_u24 v80, v0, s42, v83
	s_movk_i32 s42, 0xff70
	v_mad_i32_i24 v38, v0, s42, v80
	v_cmp_ne_u32_e64 s[42:43], 63, v0
	ds_read_b64 v[40:41], v80
	ds_read2_b64 v[34:37], v80 offset0:1 offset1:2
	ds_read2_b64 v[30:33], v80 offset0:3 offset1:4
	;; [unrolled: 1-line block ×9, first 2 shown]
	s_waitcnt lgkmcnt(0)
	ds_write_b64 v38, v[40:41] offset:10240
	s_waitcnt lgkmcnt(0)
	; wave barrier
	s_waitcnt lgkmcnt(0)
	s_and_saveexec_b64 s[60:61], s[42:43]
	s_cbranch_execz .LBB392_41
; %bb.40:
	s_waitcnt vmcnt(0)
	ds_read_b64 v[78:79], v83 offset:10248
.LBB392_41:
	s_or_b64 exec, exec, s[60:61]
	s_waitcnt lgkmcnt(0)
	; wave barrier
	s_waitcnt lgkmcnt(0)
                                        ; implicit-def: $vgpr38_vgpr39
	s_and_saveexec_b64 s[42:43], vcc
	s_cbranch_execz .LBB392_60
; %bb.42:
	v_mov_b32_e32 v39, s51
	v_add_co_u32_e32 v38, vcc, s7, v83
	v_addc_co_u32_e32 v39, vcc, 0, v39, vcc
	flat_load_dwordx2 v[38:39], v[38:39]
	s_or_b64 exec, exec, s[42:43]
                                        ; implicit-def: $vgpr42_vgpr43
	s_and_saveexec_b64 s[42:43], s[2:3]
	s_cbranch_execnz .LBB392_61
.LBB392_43:
	s_or_b64 exec, exec, s[42:43]
                                        ; implicit-def: $vgpr44_vgpr45
	s_and_saveexec_b64 s[2:3], s[4:5]
	s_cbranch_execz .LBB392_62
.LBB392_44:
	v_mov_b32_e32 v45, s51
	v_add_co_u32_e32 v44, vcc, s7, v83
	v_addc_co_u32_e32 v45, vcc, 0, v45, vcc
	flat_load_dwordx2 v[44:45], v[44:45] offset:1024
	s_or_b64 exec, exec, s[2:3]
                                        ; implicit-def: $vgpr46_vgpr47
	s_and_saveexec_b64 s[2:3], s[40:41]
	s_cbranch_execnz .LBB392_63
.LBB392_45:
	s_or_b64 exec, exec, s[2:3]
                                        ; implicit-def: $vgpr48_vgpr49
	s_and_saveexec_b64 s[2:3], s[8:9]
	s_cbranch_execz .LBB392_64
.LBB392_46:
	v_mov_b32_e32 v49, s51
	v_add_co_u32_e32 v48, vcc, s7, v83
	v_addc_co_u32_e32 v49, vcc, 0, v49, vcc
	flat_load_dwordx2 v[48:49], v[48:49] offset:2048
	s_or_b64 exec, exec, s[2:3]
                                        ; implicit-def: $vgpr50_vgpr51
	s_and_saveexec_b64 s[2:3], s[10:11]
	s_cbranch_execnz .LBB392_65
.LBB392_47:
	s_or_b64 exec, exec, s[2:3]
                                        ; implicit-def: $vgpr52_vgpr53
	s_and_saveexec_b64 s[2:3], s[12:13]
	s_cbranch_execz .LBB392_66
.LBB392_48:
	v_mov_b32_e32 v53, s51
	v_add_co_u32_e32 v52, vcc, s7, v83
	v_addc_co_u32_e32 v53, vcc, 0, v53, vcc
	flat_load_dwordx2 v[52:53], v[52:53] offset:3072
	s_or_b64 exec, exec, s[2:3]
                                        ; implicit-def: $vgpr54_vgpr55
	s_and_saveexec_b64 s[2:3], s[14:15]
	s_cbranch_execnz .LBB392_67
.LBB392_49:
	s_or_b64 exec, exec, s[2:3]
                                        ; implicit-def: $vgpr56_vgpr57
	s_and_saveexec_b64 s[2:3], s[16:17]
	s_cbranch_execz .LBB392_68
.LBB392_50:
	v_mov_b32_e32 v57, s51
	v_add_co_u32_e32 v56, vcc, s7, v1
	v_addc_co_u32_e32 v57, vcc, 0, v57, vcc
	flat_load_dwordx2 v[56:57], v[56:57]
	s_or_b64 exec, exec, s[2:3]
                                        ; implicit-def: $vgpr58_vgpr59
	s_and_saveexec_b64 s[2:3], s[18:19]
	s_cbranch_execnz .LBB392_69
.LBB392_51:
	s_or_b64 exec, exec, s[2:3]
                                        ; implicit-def: $vgpr60_vgpr61
	s_and_saveexec_b64 s[2:3], s[20:21]
	s_cbranch_execz .LBB392_70
.LBB392_52:
	v_mov_b32_e32 v1, s51
	v_add_co_u32_e32 v60, vcc, s7, v62
	v_addc_co_u32_e32 v61, vcc, 0, v1, vcc
	flat_load_dwordx2 v[60:61], v[60:61]
	s_or_b64 exec, exec, s[2:3]
                                        ; implicit-def: $vgpr62_vgpr63
	s_and_saveexec_b64 s[2:3], s[22:23]
	s_cbranch_execnz .LBB392_71
.LBB392_53:
	s_or_b64 exec, exec, s[2:3]
                                        ; implicit-def: $vgpr64_vgpr65
	s_and_saveexec_b64 s[2:3], s[24:25]
	s_cbranch_execz .LBB392_72
.LBB392_54:
	v_mov_b32_e32 v1, s51
	v_add_co_u32_e32 v64, vcc, s7, v66
	v_addc_co_u32_e32 v65, vcc, 0, v1, vcc
	flat_load_dwordx2 v[64:65], v[64:65]
	s_or_b64 exec, exec, s[2:3]
                                        ; implicit-def: $vgpr66_vgpr67
	s_and_saveexec_b64 s[2:3], s[26:27]
	s_cbranch_execnz .LBB392_73
.LBB392_55:
	s_or_b64 exec, exec, s[2:3]
                                        ; implicit-def: $vgpr68_vgpr69
	s_and_saveexec_b64 s[2:3], s[28:29]
	s_cbranch_execz .LBB392_74
.LBB392_56:
	v_mov_b32_e32 v1, s51
	v_add_co_u32_e32 v68, vcc, s7, v70
	v_addc_co_u32_e32 v69, vcc, 0, v1, vcc
	flat_load_dwordx2 v[68:69], v[68:69]
	s_or_b64 exec, exec, s[2:3]
                                        ; implicit-def: $vgpr70_vgpr71
	s_and_saveexec_b64 s[2:3], s[30:31]
	s_cbranch_execnz .LBB392_75
.LBB392_57:
	s_or_b64 exec, exec, s[2:3]
                                        ; implicit-def: $vgpr72_vgpr73
	s_and_saveexec_b64 s[2:3], s[34:35]
	s_cbranch_execz .LBB392_76
.LBB392_58:
	v_mov_b32_e32 v1, s51
	v_add_co_u32_e32 v72, vcc, s7, v74
	v_addc_co_u32_e32 v73, vcc, 0, v1, vcc
	flat_load_dwordx2 v[72:73], v[72:73]
	s_or_b64 exec, exec, s[2:3]
                                        ; implicit-def: $vgpr74_vgpr75
	s_and_saveexec_b64 s[2:3], s[36:37]
	s_cbranch_execz .LBB392_78
	s_branch .LBB392_77
.LBB392_59:
	s_mov_b64 s[10:11], 0
                                        ; implicit-def: $sgpr8_sgpr9
                                        ; implicit-def: $vgpr76_vgpr77
                                        ; implicit-def: $vgpr74_vgpr75
                                        ; implicit-def: $vgpr99
                                        ; implicit-def: $vgpr42_vgpr43
                                        ; implicit-def: $vgpr112
                                        ; implicit-def: $vgpr72_vgpr73
                                        ; implicit-def: $vgpr111
                                        ; implicit-def: $vgpr70_vgpr71
                                        ; implicit-def: $vgpr110
                                        ; implicit-def: $vgpr68_vgpr69
                                        ; implicit-def: $vgpr109
                                        ; implicit-def: $vgpr66_vgpr67
                                        ; implicit-def: $vgpr108
                                        ; implicit-def: $vgpr64_vgpr65
                                        ; implicit-def: $vgpr107
                                        ; implicit-def: $vgpr62_vgpr63
                                        ; implicit-def: $vgpr106
                                        ; implicit-def: $vgpr60_vgpr61
                                        ; implicit-def: $vgpr105
                                        ; implicit-def: $vgpr58_vgpr59
                                        ; implicit-def: $vgpr104
                                        ; implicit-def: $vgpr44_vgpr45
                                        ; implicit-def: $vgpr103
                                        ; implicit-def: $vgpr56_vgpr57
                                        ; implicit-def: $vgpr102
                                        ; implicit-def: $vgpr52_vgpr53
                                        ; implicit-def: $vgpr101
                                        ; implicit-def: $vgpr50_vgpr51
                                        ; implicit-def: $vgpr100
                                        ; implicit-def: $vgpr54_vgpr55
                                        ; implicit-def: $vgpr98
                                        ; implicit-def: $vgpr48_vgpr49
                                        ; implicit-def: $vgpr97
                                        ; implicit-def: $vgpr46_vgpr47
                                        ; implicit-def: $vgpr96
                                        ; implicit-def: $vgpr38_vgpr39
                                        ; implicit-def: $vgpr1
                                        ; implicit-def: $sgpr72
                                        ; implicit-def: $sgpr4_sgpr5
	s_and_b64 vcc, exec, s[2:3]
	v_lshlrev_b32_e32 v113, 3, v0
	s_cbranch_vccz .LBB392_124
	s_branch .LBB392_119
.LBB392_60:
	s_or_b64 exec, exec, s[42:43]
                                        ; implicit-def: $vgpr42_vgpr43
	s_and_saveexec_b64 s[42:43], s[2:3]
	s_cbranch_execz .LBB392_43
.LBB392_61:
	v_mov_b32_e32 v43, s51
	v_add_co_u32_e32 v42, vcc, s7, v83
	v_addc_co_u32_e32 v43, vcc, 0, v43, vcc
	flat_load_dwordx2 v[42:43], v[42:43] offset:512
	s_or_b64 exec, exec, s[42:43]
                                        ; implicit-def: $vgpr44_vgpr45
	s_and_saveexec_b64 s[2:3], s[4:5]
	s_cbranch_execnz .LBB392_44
.LBB392_62:
	s_or_b64 exec, exec, s[2:3]
                                        ; implicit-def: $vgpr46_vgpr47
	s_and_saveexec_b64 s[2:3], s[40:41]
	s_cbranch_execz .LBB392_45
.LBB392_63:
	v_mov_b32_e32 v47, s51
	v_add_co_u32_e32 v46, vcc, s7, v83
	v_addc_co_u32_e32 v47, vcc, 0, v47, vcc
	flat_load_dwordx2 v[46:47], v[46:47] offset:1536
	s_or_b64 exec, exec, s[2:3]
                                        ; implicit-def: $vgpr48_vgpr49
	s_and_saveexec_b64 s[2:3], s[8:9]
	s_cbranch_execnz .LBB392_46
.LBB392_64:
	s_or_b64 exec, exec, s[2:3]
                                        ; implicit-def: $vgpr50_vgpr51
	s_and_saveexec_b64 s[2:3], s[10:11]
	s_cbranch_execz .LBB392_47
.LBB392_65:
	v_mov_b32_e32 v51, s51
	v_add_co_u32_e32 v50, vcc, s7, v83
	v_addc_co_u32_e32 v51, vcc, 0, v51, vcc
	flat_load_dwordx2 v[50:51], v[50:51] offset:2560
	s_or_b64 exec, exec, s[2:3]
                                        ; implicit-def: $vgpr52_vgpr53
	s_and_saveexec_b64 s[2:3], s[12:13]
	s_cbranch_execnz .LBB392_48
.LBB392_66:
	s_or_b64 exec, exec, s[2:3]
                                        ; implicit-def: $vgpr54_vgpr55
	s_and_saveexec_b64 s[2:3], s[14:15]
	s_cbranch_execz .LBB392_49
.LBB392_67:
	v_mov_b32_e32 v55, s51
	v_add_co_u32_e32 v54, vcc, s7, v83
	v_addc_co_u32_e32 v55, vcc, 0, v55, vcc
	flat_load_dwordx2 v[54:55], v[54:55] offset:3584
	s_or_b64 exec, exec, s[2:3]
                                        ; implicit-def: $vgpr56_vgpr57
	s_and_saveexec_b64 s[2:3], s[16:17]
	s_cbranch_execnz .LBB392_50
.LBB392_68:
	s_or_b64 exec, exec, s[2:3]
                                        ; implicit-def: $vgpr58_vgpr59
	s_and_saveexec_b64 s[2:3], s[18:19]
	s_cbranch_execz .LBB392_51
.LBB392_69:
	v_mov_b32_e32 v1, s51
	v_add_co_u32_e32 v58, vcc, s7, v60
	v_addc_co_u32_e32 v59, vcc, 0, v1, vcc
	flat_load_dwordx2 v[58:59], v[58:59]
	s_or_b64 exec, exec, s[2:3]
                                        ; implicit-def: $vgpr60_vgpr61
	s_and_saveexec_b64 s[2:3], s[20:21]
	s_cbranch_execnz .LBB392_52
.LBB392_70:
	s_or_b64 exec, exec, s[2:3]
                                        ; implicit-def: $vgpr62_vgpr63
	s_and_saveexec_b64 s[2:3], s[22:23]
	s_cbranch_execz .LBB392_53
.LBB392_71:
	v_mov_b32_e32 v1, s51
	v_add_co_u32_e32 v62, vcc, s7, v64
	v_addc_co_u32_e32 v63, vcc, 0, v1, vcc
	flat_load_dwordx2 v[62:63], v[62:63]
	s_or_b64 exec, exec, s[2:3]
                                        ; implicit-def: $vgpr64_vgpr65
	s_and_saveexec_b64 s[2:3], s[24:25]
	s_cbranch_execnz .LBB392_54
.LBB392_72:
	s_or_b64 exec, exec, s[2:3]
                                        ; implicit-def: $vgpr66_vgpr67
	s_and_saveexec_b64 s[2:3], s[26:27]
	s_cbranch_execz .LBB392_55
.LBB392_73:
	v_mov_b32_e32 v1, s51
	v_add_co_u32_e32 v66, vcc, s7, v68
	v_addc_co_u32_e32 v67, vcc, 0, v1, vcc
	flat_load_dwordx2 v[66:67], v[66:67]
	s_or_b64 exec, exec, s[2:3]
                                        ; implicit-def: $vgpr68_vgpr69
	s_and_saveexec_b64 s[2:3], s[28:29]
	s_cbranch_execnz .LBB392_56
.LBB392_74:
	s_or_b64 exec, exec, s[2:3]
                                        ; implicit-def: $vgpr70_vgpr71
	s_and_saveexec_b64 s[2:3], s[30:31]
	s_cbranch_execz .LBB392_57
.LBB392_75:
	v_mov_b32_e32 v1, s51
	v_add_co_u32_e32 v70, vcc, s7, v72
	v_addc_co_u32_e32 v71, vcc, 0, v1, vcc
	flat_load_dwordx2 v[70:71], v[70:71]
	s_or_b64 exec, exec, s[2:3]
                                        ; implicit-def: $vgpr72_vgpr73
	s_and_saveexec_b64 s[2:3], s[34:35]
	s_cbranch_execnz .LBB392_58
.LBB392_76:
	s_or_b64 exec, exec, s[2:3]
                                        ; implicit-def: $vgpr74_vgpr75
	s_and_saveexec_b64 s[2:3], s[36:37]
	s_cbranch_execz .LBB392_78
.LBB392_77:
	v_mov_b32_e32 v1, s51
	v_add_co_u32_e32 v74, vcc, s7, v76
	v_addc_co_u32_e32 v75, vcc, 0, v1, vcc
	flat_load_dwordx2 v[74:75], v[74:75]
.LBB392_78:
	s_or_b64 exec, exec, s[2:3]
	v_mul_u32_u24_e32 v81, 19, v0
                                        ; implicit-def: $vgpr76_vgpr77
	s_and_saveexec_b64 s[2:3], s[38:39]
	s_cbranch_execz .LBB392_80
; %bb.79:
	v_mov_b32_e32 v1, s51
	v_add_co_u32_e32 v76, vcc, s7, v82
	v_addc_co_u32_e32 v77, vcc, 0, v1, vcc
	flat_load_dwordx2 v[76:77], v[76:77]
.LBB392_80:
	s_or_b64 exec, exec, s[2:3]
	s_waitcnt vmcnt(0) lgkmcnt(0)
	ds_write2st64_b64 v83, v[38:39], v[42:43] offset1:1
	ds_write2st64_b64 v83, v[44:45], v[46:47] offset0:2 offset1:3
	ds_write2st64_b64 v83, v[48:49], v[50:51] offset0:4 offset1:5
	;; [unrolled: 1-line block ×8, first 2 shown]
	ds_write_b64 v83, v[76:77] offset:9216
	v_pk_mov_b32 v[74:75], 0, 0
	v_cmp_gt_u32_e32 vcc, s70, v81
	s_mov_b64 s[10:11], 0
	s_mov_b32 s72, 0
	s_mov_b64 s[2:3], 0
	v_mov_b32_e32 v99, 0
	v_pk_mov_b32 v[42:43], v[74:75], v[74:75] op_sel:[0,1]
	v_mov_b32_e32 v112, 0
	v_pk_mov_b32 v[72:73], v[74:75], v[74:75] op_sel:[0,1]
	;; [unrolled: 2-line block ×17, first 2 shown]
	v_mov_b32_e32 v1, 0
	s_waitcnt lgkmcnt(0)
	; wave barrier
	s_waitcnt lgkmcnt(0)
                                        ; implicit-def: $sgpr8_sgpr9
                                        ; implicit-def: $vgpr76_vgpr77
	s_and_saveexec_b64 s[4:5], vcc
	s_cbranch_execz .LBB392_118
; %bb.81:
	ds_read_b64 v[38:39], v80
	v_cmp_ne_u64_e32 vcc, v[40:41], v[34:35]
	v_mov_b32_e32 v40, s65
	v_add_u32_e32 v42, 1, v81
	v_cndmask_b32_e64 v1, 0, 1, vcc
	s_waitcnt lgkmcnt(0)
	v_cndmask_b32_e32 v75, v39, v40, vcc
	v_mov_b32_e32 v39, s64
	v_cndmask_b32_e32 v74, v38, v39, vcc
	v_cmp_gt_u32_e32 vcc, s70, v42
	v_pk_mov_b32 v[42:43], 0, 0
	s_mov_b64 s[12:13], 0
	v_mov_b32_e32 v99, 0
	v_mov_b32_e32 v112, 0
	v_pk_mov_b32 v[72:73], v[42:43], v[42:43] op_sel:[0,1]
	v_mov_b32_e32 v111, 0
	v_pk_mov_b32 v[70:71], v[42:43], v[42:43] op_sel:[0,1]
	;; [unrolled: 2-line block ×16, first 2 shown]
                                        ; implicit-def: $sgpr14_sgpr15
                                        ; implicit-def: $vgpr76_vgpr77
	s_and_saveexec_b64 s[8:9], vcc
	s_cbranch_execz .LBB392_117
; %bb.82:
	ds_read2_b64 v[38:41], v80 offset0:1 offset1:2
	v_cmp_ne_u64_e32 vcc, v[34:35], v[36:37]
	v_mov_b32_e32 v34, s65
	v_add_u32_e32 v42, 2, v81
	v_cndmask_b32_e64 v96, 0, 1, vcc
	s_waitcnt lgkmcnt(0)
	v_cndmask_b32_e32 v39, v39, v34, vcc
	v_mov_b32_e32 v34, s64
	v_cndmask_b32_e32 v38, v38, v34, vcc
	v_cmp_gt_u32_e32 vcc, s70, v42
	v_pk_mov_b32 v[42:43], 0, 0
	s_mov_b64 s[14:15], 0
	v_mov_b32_e32 v99, 0
	v_mov_b32_e32 v112, 0
	v_pk_mov_b32 v[72:73], v[42:43], v[42:43] op_sel:[0,1]
	v_mov_b32_e32 v111, 0
	v_pk_mov_b32 v[70:71], v[42:43], v[42:43] op_sel:[0,1]
	;; [unrolled: 2-line block ×15, first 2 shown]
                                        ; implicit-def: $sgpr16_sgpr17
                                        ; implicit-def: $vgpr76_vgpr77
	s_and_saveexec_b64 s[10:11], vcc
	s_cbranch_execz .LBB392_116
; %bb.83:
	v_cmp_ne_u64_e32 vcc, v[36:37], v[30:31]
	v_mov_b32_e32 v35, s65
	v_add_u32_e32 v34, 3, v81
	v_cndmask_b32_e32 v47, v41, v35, vcc
	v_mov_b32_e32 v35, s64
	v_pk_mov_b32 v[42:43], 0, 0
	v_cndmask_b32_e64 v97, 0, 1, vcc
	v_cndmask_b32_e32 v46, v40, v35, vcc
	v_cmp_gt_u32_e32 vcc, s70, v34
	s_mov_b64 s[16:17], 0
	v_mov_b32_e32 v99, 0
	v_mov_b32_e32 v112, 0
	v_pk_mov_b32 v[72:73], v[42:43], v[42:43] op_sel:[0,1]
	v_mov_b32_e32 v111, 0
	v_pk_mov_b32 v[70:71], v[42:43], v[42:43] op_sel:[0,1]
	;; [unrolled: 2-line block ×14, first 2 shown]
                                        ; implicit-def: $sgpr18_sgpr19
                                        ; implicit-def: $vgpr76_vgpr77
	s_and_saveexec_b64 s[12:13], vcc
	s_cbranch_execz .LBB392_115
; %bb.84:
	ds_read2_b64 v[34:37], v80 offset0:3 offset1:4
	v_cmp_ne_u64_e32 vcc, v[30:31], v[32:33]
	v_mov_b32_e32 v30, s65
	v_add_u32_e32 v40, 4, v81
	v_pk_mov_b32 v[42:43], 0, 0
	s_waitcnt lgkmcnt(0)
	v_cndmask_b32_e32 v49, v35, v30, vcc
	v_mov_b32_e32 v30, s64
	v_cndmask_b32_e64 v98, 0, 1, vcc
	v_cndmask_b32_e32 v48, v34, v30, vcc
	v_cmp_gt_u32_e32 vcc, s70, v40
	s_mov_b64 s[18:19], 0
	v_mov_b32_e32 v99, 0
	v_mov_b32_e32 v112, 0
	v_pk_mov_b32 v[72:73], v[42:43], v[42:43] op_sel:[0,1]
	v_mov_b32_e32 v111, 0
	v_pk_mov_b32 v[70:71], v[42:43], v[42:43] op_sel:[0,1]
	;; [unrolled: 2-line block ×13, first 2 shown]
                                        ; implicit-def: $sgpr20_sgpr21
                                        ; implicit-def: $vgpr76_vgpr77
	s_and_saveexec_b64 s[14:15], vcc
	s_cbranch_execz .LBB392_114
; %bb.85:
	v_cmp_ne_u64_e32 vcc, v[32:33], v[26:27]
	v_mov_b32_e32 v31, s65
	v_add_u32_e32 v30, 5, v81
	v_cndmask_b32_e32 v55, v37, v31, vcc
	v_mov_b32_e32 v31, s64
	v_pk_mov_b32 v[42:43], 0, 0
	v_cndmask_b32_e64 v100, 0, 1, vcc
	v_cndmask_b32_e32 v54, v36, v31, vcc
	v_cmp_gt_u32_e32 vcc, s70, v30
	s_mov_b64 s[20:21], 0
	v_mov_b32_e32 v99, 0
	v_mov_b32_e32 v112, 0
	v_pk_mov_b32 v[72:73], v[42:43], v[42:43] op_sel:[0,1]
	v_mov_b32_e32 v111, 0
	v_pk_mov_b32 v[70:71], v[42:43], v[42:43] op_sel:[0,1]
	;; [unrolled: 2-line block ×12, first 2 shown]
                                        ; implicit-def: $sgpr22_sgpr23
                                        ; implicit-def: $vgpr76_vgpr77
	s_and_saveexec_b64 s[16:17], vcc
	s_cbranch_execz .LBB392_113
; %bb.86:
	ds_read2_b64 v[30:33], v80 offset0:5 offset1:6
	v_cmp_ne_u64_e32 vcc, v[26:27], v[28:29]
	v_mov_b32_e32 v26, s65
	v_add_u32_e32 v34, 6, v81
	v_pk_mov_b32 v[42:43], 0, 0
	s_waitcnt lgkmcnt(0)
	v_cndmask_b32_e32 v51, v31, v26, vcc
	v_mov_b32_e32 v26, s64
	v_cndmask_b32_e64 v101, 0, 1, vcc
	v_cndmask_b32_e32 v50, v30, v26, vcc
	v_cmp_gt_u32_e32 vcc, s70, v34
	s_mov_b64 s[22:23], 0
	v_mov_b32_e32 v99, 0
	v_mov_b32_e32 v112, 0
	v_pk_mov_b32 v[72:73], v[42:43], v[42:43] op_sel:[0,1]
	v_mov_b32_e32 v111, 0
	v_pk_mov_b32 v[70:71], v[42:43], v[42:43] op_sel:[0,1]
	;; [unrolled: 2-line block ×11, first 2 shown]
                                        ; implicit-def: $sgpr24_sgpr25
                                        ; implicit-def: $vgpr76_vgpr77
	s_and_saveexec_b64 s[18:19], vcc
	s_cbranch_execz .LBB392_112
; %bb.87:
	v_cmp_ne_u64_e32 vcc, v[28:29], v[22:23]
	v_mov_b32_e32 v27, s65
	v_add_u32_e32 v26, 7, v81
	v_cndmask_b32_e32 v53, v33, v27, vcc
	v_mov_b32_e32 v27, s64
	v_pk_mov_b32 v[42:43], 0, 0
	v_cndmask_b32_e64 v102, 0, 1, vcc
	v_cndmask_b32_e32 v52, v32, v27, vcc
	v_cmp_gt_u32_e32 vcc, s70, v26
	s_mov_b64 s[24:25], 0
	v_mov_b32_e32 v99, 0
	v_mov_b32_e32 v112, 0
	v_pk_mov_b32 v[72:73], v[42:43], v[42:43] op_sel:[0,1]
	v_mov_b32_e32 v111, 0
	v_pk_mov_b32 v[70:71], v[42:43], v[42:43] op_sel:[0,1]
	;; [unrolled: 2-line block ×10, first 2 shown]
                                        ; implicit-def: $sgpr26_sgpr27
                                        ; implicit-def: $vgpr76_vgpr77
	s_and_saveexec_b64 s[20:21], vcc
	s_cbranch_execz .LBB392_111
; %bb.88:
	ds_read2_b64 v[26:29], v80 offset0:7 offset1:8
	v_cmp_ne_u64_e32 vcc, v[22:23], v[24:25]
	v_mov_b32_e32 v22, s65
	v_add_u32_e32 v30, 8, v81
	v_pk_mov_b32 v[42:43], 0, 0
	s_waitcnt lgkmcnt(0)
	v_cndmask_b32_e32 v57, v27, v22, vcc
	v_mov_b32_e32 v22, s64
	v_cndmask_b32_e64 v103, 0, 1, vcc
	v_cndmask_b32_e32 v56, v26, v22, vcc
	v_cmp_gt_u32_e32 vcc, s70, v30
	s_mov_b64 s[26:27], 0
	v_mov_b32_e32 v99, 0
	v_mov_b32_e32 v112, 0
	v_pk_mov_b32 v[72:73], v[42:43], v[42:43] op_sel:[0,1]
	v_mov_b32_e32 v111, 0
	v_pk_mov_b32 v[70:71], v[42:43], v[42:43] op_sel:[0,1]
	;; [unrolled: 2-line block ×9, first 2 shown]
                                        ; implicit-def: $sgpr28_sgpr29
                                        ; implicit-def: $vgpr76_vgpr77
	s_and_saveexec_b64 s[22:23], vcc
	s_cbranch_execz .LBB392_110
; %bb.89:
	v_cmp_ne_u64_e32 vcc, v[24:25], v[18:19]
	v_mov_b32_e32 v23, s65
	v_add_u32_e32 v22, 9, v81
	v_cndmask_b32_e32 v45, v29, v23, vcc
	v_mov_b32_e32 v23, s64
	v_pk_mov_b32 v[42:43], 0, 0
	v_cndmask_b32_e64 v104, 0, 1, vcc
	v_cndmask_b32_e32 v44, v28, v23, vcc
	v_cmp_gt_u32_e32 vcc, s70, v22
	s_mov_b64 s[28:29], 0
	v_mov_b32_e32 v99, 0
	v_mov_b32_e32 v112, 0
	v_pk_mov_b32 v[72:73], v[42:43], v[42:43] op_sel:[0,1]
	v_mov_b32_e32 v111, 0
	v_pk_mov_b32 v[70:71], v[42:43], v[42:43] op_sel:[0,1]
	;; [unrolled: 2-line block ×8, first 2 shown]
                                        ; implicit-def: $sgpr30_sgpr31
                                        ; implicit-def: $vgpr76_vgpr77
	s_and_saveexec_b64 s[24:25], vcc
	s_cbranch_execz .LBB392_109
; %bb.90:
	ds_read2_b64 v[22:25], v80 offset0:9 offset1:10
	v_cmp_ne_u64_e32 vcc, v[18:19], v[20:21]
	v_mov_b32_e32 v18, s65
	v_add_u32_e32 v26, 10, v81
	v_pk_mov_b32 v[42:43], 0, 0
	s_waitcnt lgkmcnt(0)
	v_cndmask_b32_e32 v59, v23, v18, vcc
	v_mov_b32_e32 v18, s64
	v_cndmask_b32_e64 v105, 0, 1, vcc
	v_cndmask_b32_e32 v58, v22, v18, vcc
	v_cmp_gt_u32_e32 vcc, s70, v26
	s_mov_b64 s[30:31], 0
	v_mov_b32_e32 v99, 0
	v_mov_b32_e32 v112, 0
	v_pk_mov_b32 v[72:73], v[42:43], v[42:43] op_sel:[0,1]
	v_mov_b32_e32 v111, 0
	v_pk_mov_b32 v[70:71], v[42:43], v[42:43] op_sel:[0,1]
	;; [unrolled: 2-line block ×7, first 2 shown]
                                        ; implicit-def: $sgpr34_sgpr35
                                        ; implicit-def: $vgpr76_vgpr77
	s_and_saveexec_b64 s[26:27], vcc
	s_cbranch_execz .LBB392_108
; %bb.91:
	v_cmp_ne_u64_e32 vcc, v[20:21], v[14:15]
	v_mov_b32_e32 v19, s65
	v_add_u32_e32 v18, 11, v81
	v_cndmask_b32_e32 v61, v25, v19, vcc
	v_mov_b32_e32 v19, s64
	v_pk_mov_b32 v[42:43], 0, 0
	v_cndmask_b32_e64 v106, 0, 1, vcc
	v_cndmask_b32_e32 v60, v24, v19, vcc
	v_cmp_gt_u32_e32 vcc, s70, v18
	s_mov_b64 s[34:35], 0
	v_mov_b32_e32 v99, 0
	v_mov_b32_e32 v112, 0
	v_pk_mov_b32 v[72:73], v[42:43], v[42:43] op_sel:[0,1]
	v_mov_b32_e32 v111, 0
	v_pk_mov_b32 v[70:71], v[42:43], v[42:43] op_sel:[0,1]
	;; [unrolled: 2-line block ×6, first 2 shown]
                                        ; implicit-def: $sgpr36_sgpr37
                                        ; implicit-def: $vgpr76_vgpr77
	s_and_saveexec_b64 s[28:29], vcc
	s_cbranch_execz .LBB392_107
; %bb.92:
	ds_read2_b64 v[18:21], v80 offset0:11 offset1:12
	v_cmp_ne_u64_e32 vcc, v[14:15], v[16:17]
	v_mov_b32_e32 v14, s65
	v_add_u32_e32 v22, 12, v81
	v_pk_mov_b32 v[42:43], 0, 0
	s_waitcnt lgkmcnt(0)
	v_cndmask_b32_e32 v63, v19, v14, vcc
	v_mov_b32_e32 v14, s64
	v_cndmask_b32_e64 v107, 0, 1, vcc
	v_cndmask_b32_e32 v62, v18, v14, vcc
	v_cmp_gt_u32_e32 vcc, s70, v22
	s_mov_b64 s[36:37], 0
	v_mov_b32_e32 v99, 0
	v_mov_b32_e32 v112, 0
	v_pk_mov_b32 v[72:73], v[42:43], v[42:43] op_sel:[0,1]
	v_mov_b32_e32 v111, 0
	v_pk_mov_b32 v[70:71], v[42:43], v[42:43] op_sel:[0,1]
	;; [unrolled: 2-line block ×5, first 2 shown]
                                        ; implicit-def: $sgpr38_sgpr39
                                        ; implicit-def: $vgpr76_vgpr77
	s_and_saveexec_b64 s[30:31], vcc
	s_cbranch_execz .LBB392_106
; %bb.93:
	v_cmp_ne_u64_e32 vcc, v[16:17], v[10:11]
	v_mov_b32_e32 v15, s65
	v_add_u32_e32 v14, 13, v81
	v_cndmask_b32_e32 v65, v21, v15, vcc
	v_mov_b32_e32 v15, s64
	v_pk_mov_b32 v[42:43], 0, 0
	v_cndmask_b32_e64 v108, 0, 1, vcc
	v_cndmask_b32_e32 v64, v20, v15, vcc
	v_cmp_gt_u32_e32 vcc, s70, v14
	s_mov_b64 s[38:39], 0
	v_mov_b32_e32 v99, 0
	v_mov_b32_e32 v112, 0
	v_pk_mov_b32 v[72:73], v[42:43], v[42:43] op_sel:[0,1]
	v_mov_b32_e32 v111, 0
	v_pk_mov_b32 v[70:71], v[42:43], v[42:43] op_sel:[0,1]
	;; [unrolled: 2-line block ×4, first 2 shown]
                                        ; implicit-def: $sgpr40_sgpr41
                                        ; implicit-def: $vgpr76_vgpr77
	s_and_saveexec_b64 s[34:35], vcc
	s_cbranch_execz .LBB392_105
; %bb.94:
	ds_read2_b64 v[14:17], v80 offset0:13 offset1:14
	v_cmp_ne_u64_e32 vcc, v[10:11], v[12:13]
	v_mov_b32_e32 v10, s65
	v_add_u32_e32 v18, 14, v81
	v_pk_mov_b32 v[42:43], 0, 0
	s_waitcnt lgkmcnt(0)
	v_cndmask_b32_e32 v67, v15, v10, vcc
	v_mov_b32_e32 v10, s64
	v_cndmask_b32_e64 v109, 0, 1, vcc
	v_cndmask_b32_e32 v66, v14, v10, vcc
	v_cmp_gt_u32_e32 vcc, s70, v18
	s_mov_b64 s[40:41], 0
	v_mov_b32_e32 v99, 0
	v_mov_b32_e32 v112, 0
	v_pk_mov_b32 v[72:73], v[42:43], v[42:43] op_sel:[0,1]
	v_mov_b32_e32 v111, 0
	v_pk_mov_b32 v[70:71], v[42:43], v[42:43] op_sel:[0,1]
	;; [unrolled: 2-line block ×3, first 2 shown]
                                        ; implicit-def: $sgpr42_sgpr43
                                        ; implicit-def: $vgpr76_vgpr77
	s_and_saveexec_b64 s[36:37], vcc
	s_cbranch_execz .LBB392_104
; %bb.95:
	v_cmp_ne_u64_e32 vcc, v[12:13], v[6:7]
	v_mov_b32_e32 v11, s65
	v_add_u32_e32 v10, 15, v81
	v_cndmask_b32_e32 v69, v17, v11, vcc
	v_mov_b32_e32 v11, s64
	v_pk_mov_b32 v[42:43], 0, 0
	v_cndmask_b32_e64 v110, 0, 1, vcc
	v_cndmask_b32_e32 v68, v16, v11, vcc
	v_cmp_gt_u32_e32 vcc, s70, v10
	s_mov_b64 s[42:43], 0
	v_mov_b32_e32 v99, 0
	v_mov_b32_e32 v112, 0
	v_pk_mov_b32 v[72:73], v[42:43], v[42:43] op_sel:[0,1]
	v_mov_b32_e32 v111, 0
	v_pk_mov_b32 v[70:71], v[42:43], v[42:43] op_sel:[0,1]
                                        ; implicit-def: $sgpr60_sgpr61
                                        ; implicit-def: $vgpr76_vgpr77
	s_and_saveexec_b64 s[38:39], vcc
	s_cbranch_execz .LBB392_103
; %bb.96:
	ds_read2_b64 v[10:13], v80 offset0:15 offset1:16
	v_cmp_ne_u64_e32 vcc, v[6:7], v[8:9]
	v_mov_b32_e32 v6, s65
	v_add_u32_e32 v14, 16, v81
	v_pk_mov_b32 v[42:43], 0, 0
	s_waitcnt lgkmcnt(0)
	v_cndmask_b32_e32 v71, v11, v6, vcc
	v_mov_b32_e32 v6, s64
	v_cndmask_b32_e64 v111, 0, 1, vcc
	v_cndmask_b32_e32 v70, v10, v6, vcc
	v_cmp_gt_u32_e32 vcc, s70, v14
	s_mov_b64 s[60:61], 0
	v_mov_b32_e32 v99, 0
	v_mov_b32_e32 v112, 0
	v_pk_mov_b32 v[72:73], v[42:43], v[42:43] op_sel:[0,1]
                                        ; implicit-def: $sgpr68_sgpr69
                                        ; implicit-def: $vgpr76_vgpr77
	s_and_saveexec_b64 s[40:41], vcc
	s_cbranch_execz .LBB392_102
; %bb.97:
	v_cmp_ne_u64_e32 vcc, v[8:9], v[2:3]
	v_mov_b32_e32 v7, s65
	v_add_u32_e32 v6, 17, v81
	v_cndmask_b32_e32 v73, v13, v7, vcc
	v_mov_b32_e32 v7, s64
	v_cndmask_b32_e64 v112, 0, 1, vcc
	v_cndmask_b32_e32 v72, v12, v7, vcc
	v_cmp_gt_u32_e32 vcc, s70, v6
	v_mov_b32_e32 v99, 0
	v_pk_mov_b32 v[42:43], 0, 0
                                        ; implicit-def: $sgpr68_sgpr69
                                        ; implicit-def: $vgpr76_vgpr77
	s_and_saveexec_b64 s[42:43], vcc
	s_cbranch_execz .LBB392_101
; %bb.98:
	ds_read2_b64 v[6:9], v80 offset0:17 offset1:18
	v_cmp_ne_u64_e32 vcc, v[2:3], v[4:5]
	v_mov_b32_e32 v2, s65
	v_add_u32_e32 v10, 18, v81
	v_cndmask_b32_e64 v99, 0, 1, vcc
	s_waitcnt lgkmcnt(0)
	v_cndmask_b32_e32 v43, v7, v2, vcc
	v_mov_b32_e32 v2, s64
	v_cndmask_b32_e32 v42, v6, v2, vcc
	v_cmp_gt_u32_e32 vcc, s70, v10
                                        ; implicit-def: $sgpr68_sgpr69
                                        ; implicit-def: $vgpr76_vgpr77
	s_and_saveexec_b64 s[70:71], vcc
	s_xor_b64 s[70:71], exec, s[70:71]
; %bb.99:
	v_mov_b32_e32 v2, s65
	v_cmp_ne_u64_e32 vcc, v[4:5], v[78:79]
	v_cndmask_b32_e32 v77, v9, v2, vcc
	v_mov_b32_e32 v2, s64
	s_mov_b64 s[60:61], exec
	v_cndmask_b32_e32 v76, v8, v2, vcc
	s_and_b64 s[68:69], vcc, exec
; %bb.100:
	s_or_b64 exec, exec, s[70:71]
	s_and_b64 s[68:69], s[68:69], exec
	s_and_b64 s[60:61], s[60:61], exec
.LBB392_101:
	s_or_b64 exec, exec, s[42:43]
	s_and_b64 s[68:69], s[68:69], exec
	s_and_b64 s[42:43], s[60:61], exec
.LBB392_102:
	s_or_b64 exec, exec, s[40:41]
	s_and_b64 s[60:61], s[68:69], exec
	s_and_b64 s[40:41], s[42:43], exec
.LBB392_103:
	s_or_b64 exec, exec, s[38:39]
	s_and_b64 s[42:43], s[60:61], exec
	s_and_b64 s[38:39], s[40:41], exec
.LBB392_104:
	s_or_b64 exec, exec, s[36:37]
	s_and_b64 s[40:41], s[42:43], exec
	s_and_b64 s[36:37], s[38:39], exec
.LBB392_105:
	s_or_b64 exec, exec, s[34:35]
	s_and_b64 s[38:39], s[40:41], exec
	s_and_b64 s[34:35], s[36:37], exec
.LBB392_106:
	s_or_b64 exec, exec, s[30:31]
	s_and_b64 s[36:37], s[38:39], exec
	s_and_b64 s[30:31], s[34:35], exec
.LBB392_107:
	s_or_b64 exec, exec, s[28:29]
	s_and_b64 s[34:35], s[36:37], exec
	s_and_b64 s[28:29], s[30:31], exec
.LBB392_108:
	s_or_b64 exec, exec, s[26:27]
	s_and_b64 s[30:31], s[34:35], exec
	s_and_b64 s[26:27], s[28:29], exec
.LBB392_109:
	s_or_b64 exec, exec, s[24:25]
	s_and_b64 s[28:29], s[30:31], exec
	s_and_b64 s[24:25], s[26:27], exec
.LBB392_110:
	s_or_b64 exec, exec, s[22:23]
	s_and_b64 s[26:27], s[28:29], exec
	s_and_b64 s[22:23], s[24:25], exec
.LBB392_111:
	s_or_b64 exec, exec, s[20:21]
	s_and_b64 s[24:25], s[26:27], exec
	s_and_b64 s[20:21], s[22:23], exec
.LBB392_112:
	s_or_b64 exec, exec, s[18:19]
	s_and_b64 s[22:23], s[24:25], exec
	s_and_b64 s[18:19], s[20:21], exec
.LBB392_113:
	s_or_b64 exec, exec, s[16:17]
	s_and_b64 s[20:21], s[22:23], exec
	s_and_b64 s[16:17], s[18:19], exec
.LBB392_114:
	s_or_b64 exec, exec, s[14:15]
	s_and_b64 s[18:19], s[20:21], exec
	s_and_b64 s[14:15], s[16:17], exec
.LBB392_115:
	s_or_b64 exec, exec, s[12:13]
	s_and_b64 s[16:17], s[18:19], exec
	s_and_b64 s[12:13], s[14:15], exec
.LBB392_116:
	s_or_b64 exec, exec, s[10:11]
	s_and_b64 s[14:15], s[16:17], exec
	s_and_b64 s[10:11], s[12:13], exec
.LBB392_117:
	s_or_b64 exec, exec, s[8:9]
	s_and_b64 s[8:9], s[14:15], exec
	s_and_b64 s[10:11], s[10:11], exec
.LBB392_118:
	s_or_b64 exec, exec, s[4:5]
	s_mov_b64 s[4:5], 0
	s_and_b64 vcc, exec, s[2:3]
	v_lshlrev_b32_e32 v113, 3, v0
	s_cbranch_vccz .LBB392_124
.LBB392_119:
	v_mov_b32_e32 v1, s57
	v_add_co_u32_e32 v2, vcc, s56, v113
	v_addc_co_u32_e32 v3, vcc, 0, v1, vcc
	v_add_co_u32_e32 v20, vcc, 0x1000, v2
	v_addc_co_u32_e32 v21, vcc, 0, v3, vcc
	flat_load_dwordx2 v[4:5], v[2:3]
	flat_load_dwordx2 v[6:7], v[2:3] offset:512
	flat_load_dwordx2 v[8:9], v[2:3] offset:1024
	;; [unrolled: 1-line block ×7, first 2 shown]
	v_add_co_u32_e32 v2, vcc, 0x2000, v2
	v_addc_co_u32_e32 v3, vcc, 0, v3, vcc
	flat_load_dwordx2 v[22:23], v[20:21]
	flat_load_dwordx2 v[24:25], v[20:21] offset:512
	flat_load_dwordx2 v[26:27], v[20:21] offset:1024
	;; [unrolled: 1-line block ×7, first 2 shown]
	s_nop 0
	flat_load_dwordx2 v[20:21], v[2:3]
	flat_load_dwordx2 v[38:39], v[2:3] offset:512
	flat_load_dwordx2 v[40:41], v[2:3] offset:1024
	v_mov_b32_e32 v1, s56
	v_mov_b32_e32 v3, s57
	v_add_co_u32_e32 v2, vcc, 0x2000, v1
	v_addc_co_u32_e32 v3, vcc, 0, v3, vcc
	s_movk_i32 s2, 0x90
	v_mad_u32_u24 v1, v0, s2, v113
	s_movk_i32 s2, 0xff70
	s_movk_i32 s5, 0x1000
	;; [unrolled: 1-line block ×3, first 2 shown]
	v_cmp_ne_u32_e32 vcc, 63, v0
	s_waitcnt vmcnt(0) lgkmcnt(0)
	ds_write2st64_b64 v113, v[4:5], v[6:7] offset1:1
	ds_write2st64_b64 v113, v[8:9], v[10:11] offset0:2 offset1:3
	ds_write2st64_b64 v113, v[12:13], v[14:15] offset0:4 offset1:5
	;; [unrolled: 1-line block ×8, first 2 shown]
	ds_write_b64 v113, v[40:41] offset:9216
	s_waitcnt lgkmcnt(0)
	; wave barrier
	s_waitcnt lgkmcnt(0)
	flat_load_dwordx2 v[76:77], v[2:3] offset:1536
	v_mad_i32_i24 v6, v0, s2, v1
	ds_read_b64 v[74:75], v1
	ds_read2_b64 v[70:73], v1 offset0:1 offset1:2
	ds_read2_b64 v[62:65], v1 offset0:3 offset1:4
	;; [unrolled: 1-line block ×9, first 2 shown]
	s_waitcnt lgkmcnt(0)
	ds_write_b64 v6, v[74:75] offset:10240
	s_waitcnt lgkmcnt(0)
	; wave barrier
	s_waitcnt lgkmcnt(0)
	s_and_saveexec_b64 s[2:3], vcc
	s_cbranch_execz .LBB392_121
; %bb.120:
	s_waitcnt vmcnt(0)
	ds_read_b64 v[76:77], v113 offset:10248
.LBB392_121:
	s_or_b64 exec, exec, s[2:3]
	v_mov_b32_e32 v7, s51
	v_add_co_u32_e32 v6, vcc, s7, v113
	v_addc_co_u32_e32 v7, vcc, 0, v7, vcc
	v_add_co_u32_e32 v36, vcc, s5, v6
	v_addc_co_u32_e32 v37, vcc, 0, v7, vcc
	s_waitcnt lgkmcnt(0)
	; wave barrier
	s_waitcnt lgkmcnt(0)
	flat_load_dwordx2 v[8:9], v[6:7]
	flat_load_dwordx2 v[14:15], v[6:7] offset:512
	flat_load_dwordx2 v[16:17], v[6:7] offset:1024
	;; [unrolled: 1-line block ×7, first 2 shown]
	v_add_co_u32_e32 v6, vcc, s4, v6
	v_addc_co_u32_e32 v7, vcc, 0, v7, vcc
	flat_load_dwordx2 v[42:43], v[36:37]
	flat_load_dwordx2 v[44:45], v[36:37] offset:512
	flat_load_dwordx2 v[50:51], v[36:37] offset:1024
	;; [unrolled: 1-line block ×7, first 2 shown]
	s_nop 0
	flat_load_dwordx2 v[36:37], v[6:7]
	flat_load_dwordx2 v[78:79], v[6:7] offset:512
	flat_load_dwordx2 v[80:81], v[6:7] offset:1024
	v_cmp_ne_u64_e32 vcc, v[74:75], v[70:71]
	v_cmp_eq_u64_e64 s[2:3], v[74:75], v[70:71]
	v_pk_mov_b32 v[74:75], s[64:65], s[64:65] op_sel:[0,1]
	s_waitcnt vmcnt(0) lgkmcnt(0)
	ds_write2st64_b64 v113, v[8:9], v[14:15] offset1:1
	ds_write2st64_b64 v113, v[16:17], v[22:23] offset0:2 offset1:3
	ds_write2st64_b64 v113, v[24:25], v[30:31] offset0:4 offset1:5
	;; [unrolled: 1-line block ×8, first 2 shown]
	ds_write_b64 v113, v[80:81] offset:9216
	s_waitcnt lgkmcnt(0)
	; wave barrier
	s_waitcnt lgkmcnt(0)
	ds_read2_b64 v[66:69], v1 offset0:1 offset1:2
	ds_read2_b64 v[58:61], v1 offset0:3 offset1:4
	;; [unrolled: 1-line block ×9, first 2 shown]
	s_and_saveexec_b64 s[4:5], s[2:3]
	s_cbranch_execz .LBB392_123
; %bb.122:
	ds_read_b64 v[74:75], v1
.LBB392_123:
	s_or_b64 exec, exec, s[4:5]
	v_cmp_ne_u64_e64 s[8:9], v[64:65], v[54:55]
	v_cmp_ne_u64_e64 s[34:35], v[12:13], v[2:3]
	;; [unrolled: 1-line block ×3, first 2 shown]
	v_mov_b32_e32 v2, s65
	v_mov_b32_e32 v3, s64
	v_cndmask_b32_e64 v1, 0, 1, vcc
	v_cmp_ne_u64_e32 vcc, v[70:71], v[72:73]
	v_cmp_ne_u64_e64 s[2:3], v[72:73], v[62:63]
	v_cmp_ne_u64_e64 s[4:5], v[62:63], v[64:65]
	v_cndmask_b32_e64 v100, 0, 1, s[8:9]
	v_cmp_ne_u64_e64 s[10:11], v[54:55], v[56:57]
	v_cmp_ne_u64_e64 s[12:13], v[56:57], v[46:47]
	;; [unrolled: 1-line block ×11, first 2 shown]
	s_waitcnt lgkmcnt(7)
	v_cndmask_b32_e64 v55, v61, v2, s[8:9]
	v_cndmask_b32_e64 v54, v60, v3, s[8:9]
	v_cmp_ne_u64_e64 s[8:9], v[4:5], v[76:77]
	v_cndmask_b32_e64 v96, 0, 1, vcc
	v_cndmask_b32_e64 v97, 0, 1, s[2:3]
	v_cndmask_b32_e64 v98, 0, 1, s[4:5]
	;; [unrolled: 1-line block ×15, first 2 shown]
	v_cndmask_b32_e32 v39, v67, v2, vcc
	v_cndmask_b32_e32 v38, v66, v3, vcc
	v_cndmask_b32_e64 v47, v69, v2, s[2:3]
	v_cndmask_b32_e64 v46, v68, v3, s[2:3]
	v_cndmask_b32_e64 v49, v59, v2, s[4:5]
	v_cndmask_b32_e64 v48, v58, v3, s[4:5]
	s_waitcnt lgkmcnt(6)
	v_cndmask_b32_e64 v51, v51, v2, s[10:11]
	v_cndmask_b32_e64 v50, v50, v3, s[10:11]
	v_cndmask_b32_e64 v53, v53, v2, s[12:13]
	v_cndmask_b32_e64 v52, v52, v3, s[12:13]
	s_waitcnt lgkmcnt(5)
	;; [unrolled: 5-line block ×7, first 2 shown]
	v_cndmask_b32_e64 v43, v7, v2, s[36:37]
	v_cndmask_b32_e64 v42, v6, v3, s[36:37]
	v_cndmask_b32_e64 v77, v9, v2, s[8:9]
	v_cndmask_b32_e64 v76, v8, v3, s[8:9]
	s_mov_b64 s[10:11], -1
                                        ; implicit-def: $sgpr72
                                        ; implicit-def: $sgpr4_sgpr5
.LBB392_124:
	v_pk_mov_b32 v[40:41], s[4:5], s[4:5] op_sel:[0,1]
	v_mov_b32_e32 v114, s72
	s_and_saveexec_b64 s[2:3], s[10:11]
; %bb.125:
	v_cndmask_b32_e64 v114, 0, 1, s[8:9]
	v_pk_mov_b32 v[40:41], v[76:77], v[76:77] op_sel:[0,1]
; %bb.126:
	s_or_b64 exec, exec, s[2:3]
	v_or_b32_e32 v2, v114, v99
	s_cmp_lg_u32 s6, 0
	v_or_b32_e32 v116, v2, v112
	v_mbcnt_lo_u32_b32 v115, -1, 0
	s_waitcnt lgkmcnt(0)
	; wave barrier
	s_waitcnt lgkmcnt(0)
	s_cbranch_scc0 .LBB392_187
; %bb.127:
	v_mov_b32_e32 v4, 0
	v_cmp_eq_u16_sdwa s[36:37], v96, v4 src0_sel:BYTE_0 src1_sel:DWORD
	v_cndmask_b32_e64 v2, 1, v74, s[36:37]
	v_cndmask_b32_e64 v3, 0, v75, s[36:37]
	v_mul_lo_u32 v5, v3, v38
	v_mul_lo_u32 v6, v2, v39
	v_mad_u64_u32 v[2:3], s[2:3], v2, v38, 0
	v_add3_u32 v3, v3, v6, v5
	v_cmp_eq_u16_sdwa s[34:35], v97, v4 src0_sel:BYTE_0 src1_sel:DWORD
	v_cndmask_b32_e64 v3, 0, v3, s[34:35]
	v_cndmask_b32_e64 v2, 1, v2, s[34:35]
	v_mul_lo_u32 v5, v3, v46
	v_mul_lo_u32 v6, v2, v47
	v_mad_u64_u32 v[2:3], s[2:3], v2, v46, 0
	v_add3_u32 v3, v3, v6, v5
	;; [unrolled: 7-line block ×17, first 2 shown]
	v_cmp_eq_u16_sdwa vcc, v114, v4 src0_sel:BYTE_0 src1_sel:DWORD
	v_cndmask_b32_e32 v3, 0, v3, vcc
	v_cndmask_b32_e32 v2, 1, v2, vcc
	v_mul_lo_u32 v4, v3, v40
	v_mul_lo_u32 v5, v2, v41
	v_mad_u64_u32 v[2:3], s[38:39], v2, v40, 0
	v_add3_u32 v3, v3, v5, v4
	v_or_b32_e32 v4, v116, v111
	v_or_b32_e32 v4, v4, v110
	;; [unrolled: 1-line block ×16, first 2 shown]
	v_mbcnt_hi_u32_b32 v12, -1, v115
	v_and_b32_e32 v6, 1, v4
	v_and_b32_e32 v7, 15, v12
	v_cmp_eq_u32_e32 vcc, 1, v6
	v_mov_b32_dpp v10, v2 row_shr:1 row_mask:0xf bank_mask:0xf
	v_mov_b32_dpp v11, v3 row_shr:1 row_mask:0xf bank_mask:0xf
	;; [unrolled: 1-line block ×3, first 2 shown]
	v_cmp_ne_u32_e64 s[38:39], 0, v7
	v_pk_mov_b32 v[4:5], v[2:3], v[2:3] op_sel:[0,1]
	v_mov_b32_e32 v8, v6
	s_and_saveexec_b64 s[42:43], s[38:39]
; %bb.128:
	v_cndmask_b32_e64 v4, v11, 0, vcc
	v_cndmask_b32_e64 v5, v10, 1, vcc
	v_mul_lo_u32 v4, v4, v2
	v_mul_lo_u32 v8, v5, v3
	v_mad_u64_u32 v[2:3], s[38:39], v5, v2, 0
	v_add3_u32 v3, v3, v8, v4
	v_and_b32_e32 v4, 1, v9
	v_or_b32_e32 v6, v4, v6
	v_and_b32_e32 v8, 0xffff, v6
	v_pk_mov_b32 v[4:5], v[2:3], v[2:3] op_sel:[0,1]
; %bb.129:
	s_or_b64 exec, exec, s[42:43]
	v_mov_b32_dpp v10, v2 row_shr:2 row_mask:0xf bank_mask:0xf
	v_mov_b32_dpp v11, v3 row_shr:2 row_mask:0xf bank_mask:0xf
	v_mov_b32_dpp v9, v8 row_shr:2 row_mask:0xf bank_mask:0xf
	v_cmp_lt_u32_e32 vcc, 1, v7
	s_and_saveexec_b64 s[42:43], vcc
	s_cbranch_execz .LBB392_131
; %bb.130:
	v_cmp_eq_u16_e32 vcc, 0, v6
	v_cndmask_b32_e32 v2, 1, v10, vcc
	v_cndmask_b32_e32 v8, 0, v11, vcc
	v_mul_lo_u32 v5, v2, v5
	v_mad_u64_u32 v[2:3], s[38:39], v2, v4, 0
	v_mul_lo_u32 v4, v8, v4
	v_add3_u32 v3, v3, v5, v4
	v_and_b32_e32 v4, 1, v6
	v_cmp_eq_u32_e32 vcc, 1, v4
	v_and_b32_e32 v4, 1, v9
	v_cmp_eq_u32_e64 s[38:39], 1, v4
	s_or_b64 s[38:39], vcc, s[38:39]
	v_cndmask_b32_e64 v6, 0, 1, s[38:39]
	v_cndmask_b32_e64 v8, 0, 1, s[38:39]
	v_pk_mov_b32 v[4:5], v[2:3], v[2:3] op_sel:[0,1]
.LBB392_131:
	s_or_b64 exec, exec, s[42:43]
	v_mov_b32_dpp v10, v2 row_shr:4 row_mask:0xf bank_mask:0xf
	v_mov_b32_dpp v11, v3 row_shr:4 row_mask:0xf bank_mask:0xf
	v_mov_b32_dpp v9, v8 row_shr:4 row_mask:0xf bank_mask:0xf
	v_cmp_lt_u32_e32 vcc, 3, v7
	s_and_saveexec_b64 s[42:43], vcc
	s_cbranch_execz .LBB392_133
; %bb.132:
	v_cmp_eq_u16_e32 vcc, 0, v6
	v_cndmask_b32_e32 v2, 1, v10, vcc
	v_cndmask_b32_e32 v8, 0, v11, vcc
	v_mul_lo_u32 v5, v2, v5
	v_mad_u64_u32 v[2:3], s[38:39], v2, v4, 0
	v_mul_lo_u32 v4, v8, v4
	v_add3_u32 v3, v3, v5, v4
	v_and_b32_e32 v4, 1, v6
	v_cmp_eq_u32_e32 vcc, 1, v4
	v_and_b32_e32 v4, 1, v9
	v_cmp_eq_u32_e64 s[38:39], 1, v4
	s_or_b64 s[38:39], vcc, s[38:39]
	v_cndmask_b32_e64 v6, 0, 1, s[38:39]
	v_cndmask_b32_e64 v8, 0, 1, s[38:39]
	v_pk_mov_b32 v[4:5], v[2:3], v[2:3] op_sel:[0,1]
.LBB392_133:
	s_or_b64 exec, exec, s[42:43]
	v_mov_b32_dpp v10, v2 row_shr:8 row_mask:0xf bank_mask:0xf
	v_mov_b32_dpp v11, v3 row_shr:8 row_mask:0xf bank_mask:0xf
	v_mov_b32_dpp v9, v8 row_shr:8 row_mask:0xf bank_mask:0xf
	v_cmp_lt_u32_e32 vcc, 7, v7
	s_and_saveexec_b64 s[42:43], vcc
	s_cbranch_execz .LBB392_135
; %bb.134:
	v_cmp_eq_u16_e32 vcc, 0, v6
	v_cndmask_b32_e32 v2, 1, v10, vcc
	v_cndmask_b32_e32 v7, 0, v11, vcc
	v_mul_lo_u32 v5, v2, v5
	v_mad_u64_u32 v[2:3], s[38:39], v2, v4, 0
	v_mul_lo_u32 v4, v7, v4
	v_add3_u32 v3, v3, v5, v4
	v_and_b32_e32 v4, 1, v6
	v_cmp_eq_u32_e32 vcc, 1, v4
	v_and_b32_e32 v4, 1, v9
	v_cmp_eq_u32_e64 s[38:39], 1, v4
	s_or_b64 s[38:39], vcc, s[38:39]
	v_cndmask_b32_e64 v6, 0, 1, s[38:39]
	v_cndmask_b32_e64 v8, 0, 1, s[38:39]
	v_pk_mov_b32 v[4:5], v[2:3], v[2:3] op_sel:[0,1]
.LBB392_135:
	s_or_b64 exec, exec, s[42:43]
	v_and_b32_e32 v11, 16, v12
	v_mov_b32_dpp v9, v2 row_bcast:15 row_mask:0xf bank_mask:0xf
	v_mov_b32_dpp v10, v3 row_bcast:15 row_mask:0xf bank_mask:0xf
	;; [unrolled: 1-line block ×3, first 2 shown]
	v_cmp_ne_u32_e32 vcc, 0, v11
	s_and_saveexec_b64 s[42:43], vcc
	s_cbranch_execz .LBB392_137
; %bb.136:
	v_cmp_eq_u16_e32 vcc, 0, v6
	v_cndmask_b32_e32 v2, 1, v9, vcc
	v_cndmask_b32_e32 v8, 0, v10, vcc
	v_mul_lo_u32 v5, v2, v5
	v_mad_u64_u32 v[2:3], s[38:39], v2, v4, 0
	v_mul_lo_u32 v4, v8, v4
	v_add3_u32 v3, v3, v5, v4
	v_and_b32_e32 v4, 1, v6
	v_cmp_eq_u32_e32 vcc, 1, v4
	v_and_b32_e32 v4, 1, v7
	v_cmp_eq_u32_e64 s[38:39], 1, v4
	s_or_b64 s[38:39], vcc, s[38:39]
	v_cndmask_b32_e64 v6, 0, 1, s[38:39]
	v_cndmask_b32_e64 v8, 0, 1, s[38:39]
	v_pk_mov_b32 v[4:5], v[2:3], v[2:3] op_sel:[0,1]
.LBB392_137:
	s_or_b64 exec, exec, s[42:43]
	v_mov_b32_dpp v9, v2 row_bcast:31 row_mask:0xf bank_mask:0xf
	v_mov_b32_dpp v10, v3 row_bcast:31 row_mask:0xf bank_mask:0xf
	v_mov_b32_dpp v7, v8 row_bcast:31 row_mask:0xf bank_mask:0xf
	v_cmp_lt_u32_e32 vcc, 31, v12
	s_and_saveexec_b64 s[42:43], vcc
	s_cbranch_execz .LBB392_139
; %bb.138:
	v_cmp_eq_u16_e32 vcc, 0, v6
	v_cndmask_b32_e32 v2, 1, v9, vcc
	v_cndmask_b32_e32 v8, 0, v10, vcc
	v_mul_lo_u32 v5, v2, v5
	v_mad_u64_u32 v[2:3], s[38:39], v2, v4, 0
	v_mul_lo_u32 v4, v8, v4
	v_add3_u32 v3, v3, v5, v4
	v_and_b32_e32 v4, 1, v6
	v_cmp_eq_u32_e32 vcc, 1, v4
	v_and_b32_e32 v4, 1, v7
	v_cmp_eq_u32_e64 s[38:39], 1, v4
	s_or_b64 s[38:39], vcc, s[38:39]
	v_cndmask_b32_e64 v6, 0, 1, s[38:39]
	v_pk_mov_b32 v[4:5], v[2:3], v[2:3] op_sel:[0,1]
.LBB392_139:
	s_or_b64 exec, exec, s[42:43]
	v_cmp_eq_u32_e32 vcc, 63, v0
	s_and_saveexec_b64 s[38:39], vcc
	s_cbranch_execz .LBB392_141
; %bb.140:
	v_mov_b32_e32 v7, 0
	ds_write_b64 v7, v[4:5]
	ds_write_b8 v7, v6 offset:8
.LBB392_141:
	s_or_b64 exec, exec, s[38:39]
	v_add_u32_e32 v4, -1, v12
	v_and_b32_e32 v5, 64, v12
	v_cmp_lt_i32_e32 vcc, v4, v5
	v_cndmask_b32_e32 v4, v4, v12, vcc
	v_lshlrev_b32_e32 v4, 2, v4
	ds_bpermute_b32 v14, v4, v2
	v_and_b32_e32 v2, 0xffff, v6
	ds_bpermute_b32 v15, v4, v3
	ds_bpermute_b32 v16, v4, v2
	v_cmp_gt_u32_e32 vcc, 64, v0
	s_waitcnt lgkmcnt(0)
	; wave barrier
	s_waitcnt lgkmcnt(0)
	s_and_saveexec_b64 s[56:57], vcc
	s_cbranch_execz .LBB392_184
; %bb.142:
	v_mov_b32_e32 v7, 0
	ds_read_b64 v[2:3], v7
	ds_read_u8 v17, v7 offset:8
	s_mov_b32 s61, 0
	v_cmp_eq_u32_e64 s[38:39], 0, v12
	s_and_saveexec_b64 s[42:43], s[38:39]
	s_cbranch_execz .LBB392_144
; %bb.143:
	s_add_i32 s60, s6, 64
	s_lshl_b64 s[68:69], s[60:61], 4
	s_add_u32 s68, s44, s68
	s_addc_u32 s69, s45, s69
	v_mov_b32_e32 v4, s60
	v_mov_b32_e32 v5, 1
	s_waitcnt lgkmcnt(1)
	global_store_dwordx2 v7, v[2:3], s[68:69]
	s_waitcnt lgkmcnt(0)
	global_store_byte v7, v17, s[68:69] offset:8
	s_waitcnt vmcnt(0)
	buffer_wbinvl1_vol
	global_store_byte v4, v5, s[48:49]
.LBB392_144:
	s_or_b64 exec, exec, s[42:43]
	v_xad_u32 v4, v12, -1, s6
	v_add_u32_e32 v6, 64, v4
	global_load_ubyte v18, v6, s[48:49] glc
	s_waitcnt vmcnt(0)
	v_cmp_eq_u16_e32 vcc, 0, v18
	s_and_saveexec_b64 s[42:43], vcc
	s_cbranch_execz .LBB392_148
; %bb.145:
	v_mov_b32_e32 v5, s49
	v_add_co_u32_e32 v8, vcc, s48, v6
	v_addc_co_u32_e32 v9, vcc, 0, v5, vcc
	s_mov_b64 s[60:61], 0
.LBB392_146:                            ; =>This Inner Loop Header: Depth=1
	global_load_ubyte v18, v[8:9], off glc
	s_waitcnt vmcnt(0)
	v_cmp_ne_u16_e32 vcc, 0, v18
	s_or_b64 s[60:61], vcc, s[60:61]
	s_andn2_b64 exec, exec, s[60:61]
	s_cbranch_execnz .LBB392_146
; %bb.147:
	s_or_b64 exec, exec, s[60:61]
.LBB392_148:
	s_or_b64 exec, exec, s[42:43]
	v_mov_b32_e32 v5, s47
	v_mov_b32_e32 v8, s45
	v_cmp_eq_u16_e32 vcc, 1, v18
	v_cndmask_b32_e32 v5, v5, v8, vcc
	v_mov_b32_e32 v8, s46
	v_mov_b32_e32 v9, s44
	v_cndmask_b32_e32 v8, v8, v9, vcc
	v_lshlrev_b64 v[6:7], 4, v[6:7]
	v_add_co_u32_e32 v6, vcc, v8, v6
	v_addc_co_u32_e32 v7, vcc, v5, v7, vcc
	s_waitcnt lgkmcnt(0)
	buffer_wbinvl1_vol
	global_load_dwordx2 v[10:11], v[6:7], off
	global_load_ubyte v13, v[6:7], off offset:8
	v_cmp_eq_u16_e32 vcc, 2, v18
	v_lshlrev_b64 v[6:7], v12, -1
	v_and_b32_e32 v19, 63, v12
	v_and_b32_e32 v5, vcc_hi, v7
	v_and_b32_e32 v8, vcc_lo, v6
	v_cmp_ne_u32_e32 vcc, 63, v19
	v_addc_co_u32_e32 v9, vcc, 0, v12, vcc
	v_lshlrev_b32_e32 v20, 2, v9
	v_or_b32_e32 v5, 0x80000000, v5
	v_ffbl_b32_e32 v5, v5
	v_ffbl_b32_e32 v8, v8
	v_add_u32_e32 v5, 32, v5
	v_min_u32_e32 v5, v8, v5
	v_cmp_lt_u32_e32 vcc, v19, v5
	s_waitcnt vmcnt(1)
	ds_bpermute_b32 v22, v20, v10
	s_waitcnt vmcnt(0)
	v_and_b32_e32 v29, 1, v13
	ds_bpermute_b32 v23, v20, v11
	ds_bpermute_b32 v21, v20, v29
	v_mov_b32_e32 v9, v11
	v_mov_b32_e32 v8, v10
	s_and_saveexec_b64 s[42:43], vcc
	s_cbranch_execz .LBB392_150
; %bb.149:
	v_mov_b32_e32 v8, 0
	v_cmp_eq_u16_sdwa vcc, v13, v8 src0_sel:BYTE_0 src1_sel:DWORD
	s_waitcnt lgkmcnt(2)
	v_cndmask_b32_e32 v8, 1, v22, vcc
	s_waitcnt lgkmcnt(1)
	v_cndmask_b32_e32 v22, 0, v23, vcc
	v_mul_lo_u32 v11, v8, v11
	v_mad_u64_u32 v[8:9], s[60:61], v8, v10, 0
	v_mul_lo_u32 v10, v22, v10
	v_add3_u32 v9, v9, v11, v10
	s_waitcnt lgkmcnt(0)
	v_and_b32_e32 v10, 1, v21
	v_or_b32_e32 v13, v10, v13
	v_and_b32_e32 v29, 0xff, v13
	v_pk_mov_b32 v[10:11], v[8:9], v[8:9] op_sel:[0,1]
.LBB392_150:
	s_or_b64 exec, exec, s[42:43]
	v_cmp_gt_u32_e32 vcc, 62, v19
	s_waitcnt lgkmcnt(0)
	v_cndmask_b32_e64 v21, 0, 1, vcc
	v_lshlrev_b32_e32 v21, 1, v21
	v_add_lshl_u32 v21, v21, v12, 2
	ds_bpermute_b32 v24, v21, v8
	ds_bpermute_b32 v25, v21, v9
	ds_bpermute_b32 v23, v21, v29
	v_add_u32_e32 v22, 2, v19
	v_cmp_le_u32_e32 vcc, v22, v5
	s_and_saveexec_b64 s[60:61], vcc
	s_cbranch_execz .LBB392_152
; %bb.151:
	v_mov_b32_e32 v8, 0
	v_cmp_eq_u16_sdwa vcc, v13, v8 src0_sel:BYTE_0 src1_sel:DWORD
	s_waitcnt lgkmcnt(2)
	v_cndmask_b32_e32 v8, 1, v24, vcc
	s_waitcnt lgkmcnt(1)
	v_cndmask_b32_e32 v24, 0, v25, vcc
	v_mul_lo_u32 v11, v8, v11
	v_mad_u64_u32 v[8:9], s[42:43], v8, v10, 0
	v_mul_lo_u32 v10, v24, v10
	v_add3_u32 v9, v9, v11, v10
	v_and_b32_e32 v10, 1, v13
	v_cmp_eq_u32_e32 vcc, 1, v10
	s_waitcnt lgkmcnt(0)
	v_and_b32_e32 v10, 1, v23
	v_cmp_eq_u32_e64 s[42:43], 1, v10
	s_or_b64 s[42:43], vcc, s[42:43]
	v_cndmask_b32_e64 v13, 0, 1, s[42:43]
	v_cndmask_b32_e64 v29, 0, 1, s[42:43]
	v_pk_mov_b32 v[10:11], v[8:9], v[8:9] op_sel:[0,1]
.LBB392_152:
	s_or_b64 exec, exec, s[60:61]
	v_cmp_gt_u32_e32 vcc, 60, v19
	s_waitcnt lgkmcnt(0)
	v_cndmask_b32_e64 v23, 0, 1, vcc
	v_lshlrev_b32_e32 v23, 2, v23
	v_add_lshl_u32 v23, v23, v12, 2
	ds_bpermute_b32 v26, v23, v8
	ds_bpermute_b32 v27, v23, v9
	ds_bpermute_b32 v25, v23, v29
	v_add_u32_e32 v24, 4, v19
	v_cmp_le_u32_e32 vcc, v24, v5
	s_and_saveexec_b64 s[60:61], vcc
	s_cbranch_execz .LBB392_154
; %bb.153:
	v_mov_b32_e32 v8, 0
	v_cmp_eq_u16_sdwa vcc, v13, v8 src0_sel:BYTE_0 src1_sel:DWORD
	s_waitcnt lgkmcnt(2)
	v_cndmask_b32_e32 v8, 1, v26, vcc
	s_waitcnt lgkmcnt(1)
	v_cndmask_b32_e32 v26, 0, v27, vcc
	v_mul_lo_u32 v11, v8, v11
	v_mad_u64_u32 v[8:9], s[42:43], v8, v10, 0
	v_mul_lo_u32 v10, v26, v10
	v_add3_u32 v9, v9, v11, v10
	v_and_b32_e32 v10, 1, v13
	v_cmp_eq_u32_e32 vcc, 1, v10
	s_waitcnt lgkmcnt(0)
	v_and_b32_e32 v10, 1, v25
	v_cmp_eq_u32_e64 s[42:43], 1, v10
	s_or_b64 s[42:43], vcc, s[42:43]
	v_cndmask_b32_e64 v13, 0, 1, s[42:43]
	v_cndmask_b32_e64 v29, 0, 1, s[42:43]
	v_pk_mov_b32 v[10:11], v[8:9], v[8:9] op_sel:[0,1]
.LBB392_154:
	;; [unrolled: 34-line block ×4, first 2 shown]
	s_or_b64 exec, exec, s[60:61]
	v_cmp_gt_u32_e32 vcc, 32, v19
	s_waitcnt lgkmcnt(0)
	v_cndmask_b32_e64 v30, 0, 1, vcc
	v_lshlrev_b32_e32 v30, 5, v30
	v_add_lshl_u32 v30, v30, v12, 2
	ds_bpermute_b32 v12, v30, v8
	ds_bpermute_b32 v9, v30, v9
	;; [unrolled: 1-line block ×3, first 2 shown]
	v_add_u32_e32 v31, 32, v19
	v_cmp_le_u32_e32 vcc, v31, v5
	s_and_saveexec_b64 s[60:61], vcc
	s_cbranch_execz .LBB392_160
; %bb.159:
	v_mov_b32_e32 v5, 0
	v_cmp_eq_u16_sdwa vcc, v13, v5 src0_sel:BYTE_0 src1_sel:DWORD
	s_waitcnt lgkmcnt(2)
	v_cndmask_b32_e32 v5, 1, v12, vcc
	s_waitcnt lgkmcnt(1)
	v_cndmask_b32_e32 v9, 0, v9, vcc
	v_mul_lo_u32 v11, v5, v11
	v_mad_u64_u32 v[32:33], s[42:43], v5, v10, 0
	v_mul_lo_u32 v5, v9, v10
	v_add3_u32 v33, v33, v11, v5
	v_and_b32_e32 v5, 1, v13
	v_cmp_eq_u32_e32 vcc, 1, v5
	s_waitcnt lgkmcnt(0)
	v_and_b32_e32 v5, 1, v8
	v_cmp_eq_u32_e64 s[42:43], 1, v5
	s_or_b64 s[42:43], vcc, s[42:43]
	v_cndmask_b32_e64 v13, 0, 1, s[42:43]
	v_pk_mov_b32 v[10:11], v[32:33], v[32:33] op_sel:[0,1]
.LBB392_160:
	s_or_b64 exec, exec, s[60:61]
	v_mov_b32_e32 v5, 0
	v_mov_b32_e32 v32, 2
	s_branch .LBB392_162
.LBB392_161:                            ;   in Loop: Header=BB392_162 Depth=1
	s_or_b64 exec, exec, s[68:69]
	v_cmp_eq_u16_sdwa vcc, v29, v5 src0_sel:BYTE_0 src1_sel:DWORD
	s_waitcnt lgkmcnt(0)
	v_cndmask_b32_e32 v10, 1, v12, vcc
	v_cndmask_b32_e32 v11, 0, v13, vcc
	v_mul_lo_u32 v12, v11, v8
	v_mul_lo_u32 v13, v10, v9
	v_mad_u64_u32 v[10:11], s[42:43], v10, v8, 0
	v_add3_u32 v11, v11, v13, v12
	v_and_b32_e32 v12, 1, v29
	v_cmp_eq_u32_e32 vcc, 1, v12
	s_or_b64 s[42:43], vcc, s[60:61]
	v_subrev_u32_e32 v4, 64, v4
	v_cndmask_b32_e64 v13, 0, 1, s[42:43]
.LBB392_162:                            ; =>This Loop Header: Depth=1
                                        ;     Child Loop BB392_165 Depth 2
	v_cmp_ne_u16_sdwa s[42:43], v18, v32 src0_sel:BYTE_0 src1_sel:DWORD
	s_waitcnt lgkmcnt(0)
	v_cndmask_b32_e64 v8, 0, 1, s[42:43]
	;;#ASMSTART
	;;#ASMEND
	v_cmp_ne_u32_e32 vcc, 0, v8
	v_mov_b32_e32 v29, v13
	s_cmp_lg_u64 vcc, exec
	v_pk_mov_b32 v[8:9], v[10:11], v[10:11] op_sel:[0,1]
	s_cbranch_scc1 .LBB392_179
; %bb.163:                              ;   in Loop: Header=BB392_162 Depth=1
	global_load_ubyte v18, v4, s[48:49] glc
	s_waitcnt vmcnt(0)
	v_cmp_eq_u16_e32 vcc, 0, v18
	s_and_saveexec_b64 s[42:43], vcc
	s_cbranch_execz .LBB392_167
; %bb.164:                              ;   in Loop: Header=BB392_162 Depth=1
	v_mov_b32_e32 v11, s49
	v_add_co_u32_e32 v10, vcc, s48, v4
	v_addc_co_u32_e32 v11, vcc, 0, v11, vcc
	s_mov_b64 s[60:61], 0
.LBB392_165:                            ;   Parent Loop BB392_162 Depth=1
                                        ; =>  This Inner Loop Header: Depth=2
	global_load_ubyte v18, v[10:11], off glc
	s_waitcnt vmcnt(0)
	v_cmp_ne_u16_e32 vcc, 0, v18
	s_or_b64 s[60:61], vcc, s[60:61]
	s_andn2_b64 exec, exec, s[60:61]
	s_cbranch_execnz .LBB392_165
; %bb.166:                              ;   in Loop: Header=BB392_162 Depth=1
	s_or_b64 exec, exec, s[60:61]
.LBB392_167:                            ;   in Loop: Header=BB392_162 Depth=1
	s_or_b64 exec, exec, s[42:43]
	v_mov_b32_e32 v10, s47
	v_mov_b32_e32 v11, s45
	v_cmp_eq_u16_e32 vcc, 1, v18
	v_cndmask_b32_e32 v12, v10, v11, vcc
	v_mov_b32_e32 v10, s46
	v_mov_b32_e32 v11, s44
	v_cndmask_b32_e32 v13, v10, v11, vcc
	v_lshlrev_b64 v[10:11], 4, v[4:5]
	v_add_co_u32_e32 v10, vcc, v13, v10
	v_addc_co_u32_e32 v11, vcc, v12, v11, vcc
	buffer_wbinvl1_vol
	global_load_dwordx2 v[12:13], v[10:11], off
	global_load_ubyte v33, v[10:11], off offset:8
	v_cmp_eq_u16_e32 vcc, 2, v18
	v_and_b32_e32 v10, vcc_hi, v7
	v_or_b32_e32 v10, 0x80000000, v10
	v_and_b32_e32 v11, vcc_lo, v6
	v_ffbl_b32_e32 v10, v10
	v_ffbl_b32_e32 v11, v11
	v_add_u32_e32 v10, 32, v10
	v_min_u32_e32 v34, v11, v10
	v_cmp_lt_u32_e32 vcc, v19, v34
	s_waitcnt vmcnt(1)
	ds_bpermute_b32 v37, v20, v12
	s_waitcnt vmcnt(0)
	v_and_b32_e32 v35, 1, v33
	ds_bpermute_b32 v76, v20, v13
	ds_bpermute_b32 v36, v20, v35
	v_mov_b32_e32 v11, v13
	v_mov_b32_e32 v10, v12
	s_and_saveexec_b64 s[42:43], vcc
	s_cbranch_execz .LBB392_169
; %bb.168:                              ;   in Loop: Header=BB392_162 Depth=1
	v_cmp_eq_u16_sdwa vcc, v33, v5 src0_sel:BYTE_0 src1_sel:DWORD
	s_waitcnt lgkmcnt(2)
	v_cndmask_b32_e32 v10, 1, v37, vcc
	s_waitcnt lgkmcnt(1)
	v_cndmask_b32_e32 v35, 0, v76, vcc
	v_mul_lo_u32 v13, v10, v13
	v_mad_u64_u32 v[10:11], s[60:61], v10, v12, 0
	v_mul_lo_u32 v12, v35, v12
	v_add3_u32 v11, v11, v13, v12
	s_waitcnt lgkmcnt(0)
	v_and_b32_e32 v12, 1, v36
	v_or_b32_e32 v33, v12, v33
	v_and_b32_e32 v35, 0xff, v33
	v_pk_mov_b32 v[12:13], v[10:11], v[10:11] op_sel:[0,1]
.LBB392_169:                            ;   in Loop: Header=BB392_162 Depth=1
	s_or_b64 exec, exec, s[42:43]
	s_waitcnt lgkmcnt(2)
	ds_bpermute_b32 v37, v21, v10
	s_waitcnt lgkmcnt(2)
	ds_bpermute_b32 v76, v21, v11
	;; [unrolled: 2-line block ×3, first 2 shown]
	v_and_b32_e32 v77, 1, v33
	v_cmp_le_u32_e32 vcc, v22, v34
	v_cmp_eq_u32_e64 s[60:61], 1, v77
	s_and_saveexec_b64 s[42:43], vcc
	s_cbranch_execz .LBB392_171
; %bb.170:                              ;   in Loop: Header=BB392_162 Depth=1
	v_cmp_eq_u16_sdwa vcc, v33, v5 src0_sel:BYTE_0 src1_sel:DWORD
	s_waitcnt lgkmcnt(2)
	v_cndmask_b32_e32 v10, 1, v37, vcc
	s_waitcnt lgkmcnt(1)
	v_cndmask_b32_e32 v33, 0, v76, vcc
	v_mul_lo_u32 v13, v10, v13
	v_mad_u64_u32 v[10:11], s[68:69], v10, v12, 0
	v_mul_lo_u32 v12, v33, v12
	v_add3_u32 v11, v11, v13, v12
	s_waitcnt lgkmcnt(0)
	v_and_b32_e32 v12, 1, v36
	v_cmp_eq_u32_e32 vcc, 1, v12
	s_or_b64 s[68:69], s[60:61], vcc
	v_cndmask_b32_e64 v33, 0, 1, s[68:69]
	v_cndmask_b32_e64 v35, 0, 1, s[68:69]
	s_andn2_b64 s[60:61], s[60:61], exec
	s_and_b64 s[68:69], s[68:69], exec
	s_or_b64 s[60:61], s[60:61], s[68:69]
	v_pk_mov_b32 v[12:13], v[10:11], v[10:11] op_sel:[0,1]
.LBB392_171:                            ;   in Loop: Header=BB392_162 Depth=1
	s_or_b64 exec, exec, s[42:43]
	s_waitcnt lgkmcnt(2)
	ds_bpermute_b32 v37, v23, v10
	s_waitcnt lgkmcnt(2)
	ds_bpermute_b32 v76, v23, v11
	s_waitcnt lgkmcnt(2)
	ds_bpermute_b32 v36, v23, v35
	v_cmp_le_u32_e32 vcc, v24, v34
	s_and_saveexec_b64 s[68:69], vcc
	s_cbranch_execz .LBB392_173
; %bb.172:                              ;   in Loop: Header=BB392_162 Depth=1
	v_cmp_eq_u16_sdwa vcc, v33, v5 src0_sel:BYTE_0 src1_sel:DWORD
	s_waitcnt lgkmcnt(2)
	v_cndmask_b32_e32 v10, 1, v37, vcc
	s_waitcnt lgkmcnt(1)
	v_cndmask_b32_e32 v35, 0, v76, vcc
	v_mul_lo_u32 v13, v10, v13
	v_mad_u64_u32 v[10:11], s[42:43], v10, v12, 0
	v_mul_lo_u32 v12, v35, v12
	v_add3_u32 v11, v11, v13, v12
	v_and_b32_e32 v12, 1, v33
	v_cmp_eq_u32_e32 vcc, 1, v12
	s_waitcnt lgkmcnt(0)
	v_and_b32_e32 v12, 1, v36
	v_cmp_eq_u32_e64 s[42:43], 1, v12
	s_or_b64 s[42:43], vcc, s[42:43]
	v_cndmask_b32_e64 v33, 0, 1, s[42:43]
	v_cndmask_b32_e64 v35, 0, 1, s[42:43]
	s_andn2_b64 s[60:61], s[60:61], exec
	s_and_b64 s[42:43], s[42:43], exec
	s_or_b64 s[60:61], s[60:61], s[42:43]
	v_pk_mov_b32 v[12:13], v[10:11], v[10:11] op_sel:[0,1]
.LBB392_173:                            ;   in Loop: Header=BB392_162 Depth=1
	s_or_b64 exec, exec, s[68:69]
	s_waitcnt lgkmcnt(2)
	ds_bpermute_b32 v37, v25, v10
	s_waitcnt lgkmcnt(2)
	ds_bpermute_b32 v76, v25, v11
	s_waitcnt lgkmcnt(2)
	ds_bpermute_b32 v36, v25, v35
	v_cmp_le_u32_e32 vcc, v26, v34
	s_and_saveexec_b64 s[68:69], vcc
	s_cbranch_execz .LBB392_175
; %bb.174:                              ;   in Loop: Header=BB392_162 Depth=1
	v_cmp_eq_u16_sdwa vcc, v33, v5 src0_sel:BYTE_0 src1_sel:DWORD
	s_waitcnt lgkmcnt(2)
	v_cndmask_b32_e32 v10, 1, v37, vcc
	s_waitcnt lgkmcnt(1)
	v_cndmask_b32_e32 v35, 0, v76, vcc
	v_mul_lo_u32 v13, v10, v13
	v_mad_u64_u32 v[10:11], s[42:43], v10, v12, 0
	v_mul_lo_u32 v12, v35, v12
	v_add3_u32 v11, v11, v13, v12
	v_and_b32_e32 v12, 1, v33
	v_cmp_eq_u32_e32 vcc, 1, v12
	s_waitcnt lgkmcnt(0)
	v_and_b32_e32 v12, 1, v36
	v_cmp_eq_u32_e64 s[42:43], 1, v12
	s_or_b64 s[42:43], vcc, s[42:43]
	v_cndmask_b32_e64 v33, 0, 1, s[42:43]
	v_cndmask_b32_e64 v35, 0, 1, s[42:43]
	s_andn2_b64 s[60:61], s[60:61], exec
	s_and_b64 s[42:43], s[42:43], exec
	s_or_b64 s[60:61], s[60:61], s[42:43]
	v_pk_mov_b32 v[12:13], v[10:11], v[10:11] op_sel:[0,1]
.LBB392_175:                            ;   in Loop: Header=BB392_162 Depth=1
	;; [unrolled: 33-line block ×3, first 2 shown]
	s_or_b64 exec, exec, s[68:69]
	s_waitcnt lgkmcnt(0)
	ds_bpermute_b32 v36, v30, v10
	ds_bpermute_b32 v11, v30, v11
	;; [unrolled: 1-line block ×3, first 2 shown]
	v_cmp_le_u32_e32 vcc, v31, v34
	s_and_saveexec_b64 s[68:69], vcc
	s_cbranch_execz .LBB392_161
; %bb.178:                              ;   in Loop: Header=BB392_162 Depth=1
	v_cmp_eq_u16_sdwa vcc, v33, v5 src0_sel:BYTE_0 src1_sel:DWORD
	s_waitcnt lgkmcnt(2)
	v_cndmask_b32_e32 v34, 1, v36, vcc
	s_waitcnt lgkmcnt(1)
	v_cndmask_b32_e32 v11, 0, v11, vcc
	v_mul_lo_u32 v13, v34, v13
	v_mad_u64_u32 v[34:35], s[42:43], v34, v12, 0
	v_mul_lo_u32 v11, v11, v12
	v_add3_u32 v35, v35, v13, v11
	v_and_b32_e32 v11, 1, v33
	s_waitcnt lgkmcnt(0)
	v_and_b32_e32 v10, 1, v10
	v_cmp_eq_u32_e32 vcc, 1, v11
	v_cmp_eq_u32_e64 s[42:43], 1, v10
	s_or_b64 s[42:43], vcc, s[42:43]
	s_andn2_b64 s[60:61], s[60:61], exec
	s_and_b64 s[42:43], s[42:43], exec
	s_or_b64 s[60:61], s[60:61], s[42:43]
	v_pk_mov_b32 v[12:13], v[34:35], v[34:35] op_sel:[0,1]
	s_branch .LBB392_161
.LBB392_179:                            ;   in Loop: Header=BB392_162 Depth=1
                                        ; implicit-def: $vgpr13
                                        ; implicit-def: $vgpr10_vgpr11
                                        ; implicit-def: $vgpr18
	s_cbranch_execz .LBB392_162
; %bb.180:
	s_and_saveexec_b64 s[42:43], s[38:39]
	s_cbranch_execz .LBB392_182
; %bb.181:
	v_mov_b32_e32 v4, 0
	v_cmp_eq_u16_sdwa vcc, v17, v4 src0_sel:BYTE_0 src1_sel:DWORD
	v_cndmask_b32_e32 v5, 1, v8, vcc
	v_cndmask_b32_e32 v6, 0, v9, vcc
	s_mov_b32 s7, 0
	v_mul_lo_u32 v6, v6, v2
	v_mul_lo_u32 v7, v5, v3
	v_mad_u64_u32 v[2:3], s[38:39], v5, v2, 0
	s_add_i32 s6, s6, 64
	s_lshl_b64 s[38:39], s[6:7], 4
	s_add_u32 s38, s46, s38
	v_add3_u32 v3, v3, v7, v6
	v_or_b32_e32 v5, v17, v29
	s_addc_u32 s39, s47, s39
	v_and_b32_e32 v5, 1, v5
	global_store_dwordx2 v4, v[2:3], s[38:39]
	global_store_byte v4, v5, s[38:39] offset:8
	v_mov_b32_e32 v2, s6
	v_mov_b32_e32 v3, 2
	s_waitcnt vmcnt(0)
	buffer_wbinvl1_vol
	global_store_byte v2, v3, s[48:49]
.LBB392_182:
	s_or_b64 exec, exec, s[42:43]
	v_cmp_eq_u32_e32 vcc, 0, v0
	s_and_b64 exec, exec, vcc
	s_cbranch_execz .LBB392_184
; %bb.183:
	v_mov_b32_e32 v2, 0
	ds_write_b64 v2, v[8:9]
	ds_write_b8 v2, v29 offset:8
.LBB392_184:
	s_or_b64 exec, exec, s[56:57]
	v_mov_b32_e32 v2, 0
	s_waitcnt lgkmcnt(0)
	; wave barrier
	s_waitcnt lgkmcnt(0)
	ds_read_b64 v[76:77], v2
	v_cmp_ne_u32_e32 vcc, 0, v0
	s_and_saveexec_b64 s[6:7], vcc
	s_cbranch_execz .LBB392_186
; %bb.185:
	v_cmp_eq_u32_sdwa vcc, v16, v2 src0_sel:BYTE_0 src1_sel:DWORD
	s_waitcnt lgkmcnt(0)
	v_cndmask_b32_e32 v3, 1, v76, vcc
	v_cndmask_b32_e32 v4, 0, v77, vcc
	v_mul_lo_u32 v4, v4, v14
	v_mul_lo_u32 v5, v3, v15
	v_mad_u64_u32 v[76:77], s[38:39], v3, v14, 0
	v_add3_u32 v77, v77, v5, v4
.LBB392_186:
	s_or_b64 exec, exec, s[6:7]
	v_cmp_eq_u16_sdwa vcc, v1, v2 src0_sel:BYTE_0 src1_sel:DWORD
	s_waitcnt lgkmcnt(0)
	v_cndmask_b32_e32 v2, 1, v76, vcc
	v_cndmask_b32_e32 v3, 0, v77, vcc
	v_mul_lo_u32 v3, v3, v74
	v_mul_lo_u32 v6, v2, v75
	v_mad_u64_u32 v[4:5], s[6:7], v2, v74, 0
	v_add3_u32 v5, v5, v6, v3
	v_cndmask_b32_e64 v2, 0, v5, s[36:37]
	v_cndmask_b32_e64 v3, 1, v4, s[36:37]
	v_mul_lo_u32 v2, v2, v38
	v_mul_lo_u32 v8, v3, v39
	v_mad_u64_u32 v[6:7], s[6:7], v3, v38, 0
	v_add3_u32 v7, v7, v8, v2
	v_cndmask_b32_e64 v2, 0, v7, s[34:35]
	v_cndmask_b32_e64 v3, 1, v6, s[34:35]
	;; [unrolled: 6-line block ×17, first 2 shown]
	s_branch .LBB392_207
.LBB392_187:
                                        ; implicit-def: $vgpr76_vgpr77
                                        ; implicit-def: $vgpr94_vgpr95
                                        ; implicit-def: $vgpr92_vgpr93
                                        ; implicit-def: $vgpr90_vgpr91
                                        ; implicit-def: $vgpr88_vgpr89
                                        ; implicit-def: $vgpr86_vgpr87
                                        ; implicit-def: $vgpr84_vgpr85
                                        ; implicit-def: $vgpr82_vgpr83
                                        ; implicit-def: $vgpr80_vgpr81
                                        ; implicit-def: $vgpr78_vgpr79
                                        ; implicit-def: $vgpr34_vgpr35_vgpr36_vgpr37
                                        ; implicit-def: $vgpr30_vgpr31_vgpr32_vgpr33
                                        ; implicit-def: $vgpr26_vgpr27_vgpr28_vgpr29
                                        ; implicit-def: $vgpr22_vgpr23_vgpr24_vgpr25
                                        ; implicit-def: $vgpr18_vgpr19_vgpr20_vgpr21
                                        ; implicit-def: $vgpr14_vgpr15_vgpr16_vgpr17
                                        ; implicit-def: $vgpr10_vgpr11_vgpr12_vgpr13
                                        ; implicit-def: $vgpr6_vgpr7_vgpr8_vgpr9
                                        ; implicit-def: $vgpr2_vgpr3_vgpr4_vgpr5
	s_cbranch_execz .LBB392_207
; %bb.188:
	s_cmp_lg_u64 s[66:67], 0
	s_cselect_b32 s3, s63, 0
	s_cselect_b32 s2, s62, 0
	s_cmp_eq_u64 s[2:3], 0
	v_pk_mov_b32 v[2:3], s[64:65], s[64:65] op_sel:[0,1]
	s_cbranch_scc1 .LBB392_190
; %bb.189:
	v_mov_b32_e32 v2, 0
	global_load_dwordx2 v[2:3], v2, s[2:3]
.LBB392_190:
	v_mov_b32_e32 v6, 0
	v_cmp_eq_u16_sdwa vcc, v96, v6 src0_sel:BYTE_0 src1_sel:DWORD
	v_cndmask_b32_e32 v4, 1, v74, vcc
	v_cndmask_b32_e32 v5, 0, v75, vcc
	v_mul_lo_u32 v7, v5, v38
	v_mul_lo_u32 v8, v4, v39
	v_mad_u64_u32 v[4:5], s[2:3], v4, v38, 0
	v_add3_u32 v5, v5, v8, v7
	v_cmp_eq_u16_sdwa s[2:3], v97, v6 src0_sel:BYTE_0 src1_sel:DWORD
	v_cndmask_b32_e64 v5, 0, v5, s[2:3]
	v_cndmask_b32_e64 v4, 1, v4, s[2:3]
	v_mul_lo_u32 v7, v5, v46
	v_mul_lo_u32 v8, v4, v47
	v_mad_u64_u32 v[4:5], s[4:5], v4, v46, 0
	v_add3_u32 v5, v5, v8, v7
	v_cmp_eq_u16_sdwa s[4:5], v98, v6 src0_sel:BYTE_0 src1_sel:DWORD
	v_cndmask_b32_e64 v5, 0, v5, s[4:5]
	v_cndmask_b32_e64 v4, 1, v4, s[4:5]
	;; [unrolled: 7-line block ×17, first 2 shown]
	v_mul_lo_u32 v6, v5, v40
	v_mul_lo_u32 v7, v4, v41
	v_mad_u64_u32 v[4:5], s[36:37], v4, v40, 0
	v_add3_u32 v5, v5, v7, v6
	v_or_b32_e32 v6, v116, v111
	v_or_b32_e32 v6, v6, v110
	;; [unrolled: 1-line block ×16, first 2 shown]
	v_mbcnt_hi_u32_b32 v8, -1, v115
	v_and_b32_e32 v9, 1, v6
	v_and_b32_e32 v10, 15, v8
	v_cmp_eq_u32_e64 s[36:37], 1, v9
	v_mov_b32_dpp v13, v4 row_shr:1 row_mask:0xf bank_mask:0xf
	v_mov_b32_dpp v14, v5 row_shr:1 row_mask:0xf bank_mask:0xf
	;; [unrolled: 1-line block ×3, first 2 shown]
	v_cmp_ne_u32_e64 s[38:39], 0, v10
	v_mov_b32_e32 v7, v5
	v_mov_b32_e32 v6, v4
	;; [unrolled: 1-line block ×3, first 2 shown]
	s_and_saveexec_b64 s[40:41], s[38:39]
; %bb.191:
	v_cndmask_b32_e64 v6, v14, 0, s[36:37]
	v_cndmask_b32_e64 v7, v13, 1, s[36:37]
	v_mul_lo_u32 v6, v6, v4
	v_mul_lo_u32 v11, v7, v5
	v_mad_u64_u32 v[4:5], s[36:37], v7, v4, 0
	v_add3_u32 v5, v5, v11, v6
	v_and_b32_e32 v6, 1, v12
	v_or_b32_e32 v9, v6, v9
	v_and_b32_e32 v11, 0xffff, v9
	v_mov_b32_e32 v7, v5
	v_mov_b32_e32 v6, v4
; %bb.192:
	s_or_b64 exec, exec, s[40:41]
	s_nop 0
	v_mov_b32_dpp v13, v6 row_shr:2 row_mask:0xf bank_mask:0xf
	v_mov_b32_dpp v14, v7 row_shr:2 row_mask:0xf bank_mask:0xf
	v_mov_b32_dpp v12, v11 row_shr:2 row_mask:0xf bank_mask:0xf
	v_cmp_lt_u32_e64 s[36:37], 1, v10
	s_and_saveexec_b64 s[40:41], s[36:37]
	s_cbranch_execz .LBB392_194
; %bb.193:
	v_cmp_eq_u16_e64 s[36:37], 0, v9
	v_cndmask_b32_e64 v6, 1, v13, s[36:37]
	v_cndmask_b32_e64 v11, 0, v14, s[36:37]
	v_mul_lo_u32 v5, v6, v5
	v_mad_u64_u32 v[6:7], s[36:37], v6, v4, 0
	v_mul_lo_u32 v4, v11, v4
	v_add3_u32 v7, v7, v5, v4
	v_and_b32_e32 v4, 1, v9
	v_cmp_eq_u32_e64 s[36:37], 1, v4
	v_and_b32_e32 v4, 1, v12
	v_cmp_eq_u32_e64 s[38:39], 1, v4
	s_or_b64 s[36:37], s[36:37], s[38:39]
	v_cndmask_b32_e64 v9, 0, 1, s[36:37]
	v_cndmask_b32_e64 v11, 0, 1, s[36:37]
	v_pk_mov_b32 v[4:5], v[6:7], v[6:7] op_sel:[0,1]
.LBB392_194:
	s_or_b64 exec, exec, s[40:41]
	v_mov_b32_dpp v13, v6 row_shr:4 row_mask:0xf bank_mask:0xf
	v_mov_b32_dpp v14, v7 row_shr:4 row_mask:0xf bank_mask:0xf
	v_mov_b32_dpp v12, v11 row_shr:4 row_mask:0xf bank_mask:0xf
	v_cmp_lt_u32_e64 s[36:37], 3, v10
	s_and_saveexec_b64 s[40:41], s[36:37]
	s_cbranch_execz .LBB392_196
; %bb.195:
	v_cmp_eq_u16_e64 s[36:37], 0, v9
	v_cndmask_b32_e64 v6, 1, v13, s[36:37]
	v_cndmask_b32_e64 v11, 0, v14, s[36:37]
	v_mul_lo_u32 v5, v6, v5
	v_mad_u64_u32 v[6:7], s[36:37], v6, v4, 0
	v_mul_lo_u32 v4, v11, v4
	v_add3_u32 v7, v7, v5, v4
	v_and_b32_e32 v4, 1, v9
	v_cmp_eq_u32_e64 s[36:37], 1, v4
	v_and_b32_e32 v4, 1, v12
	v_cmp_eq_u32_e64 s[38:39], 1, v4
	s_or_b64 s[36:37], s[36:37], s[38:39]
	v_cndmask_b32_e64 v9, 0, 1, s[36:37]
	v_cndmask_b32_e64 v11, 0, 1, s[36:37]
	v_pk_mov_b32 v[4:5], v[6:7], v[6:7] op_sel:[0,1]
.LBB392_196:
	s_or_b64 exec, exec, s[40:41]
	;; [unrolled: 24-line block ×3, first 2 shown]
	v_and_b32_e32 v14, 16, v8
	v_mov_b32_dpp v12, v6 row_bcast:15 row_mask:0xf bank_mask:0xf
	v_mov_b32_dpp v13, v7 row_bcast:15 row_mask:0xf bank_mask:0xf
	;; [unrolled: 1-line block ×3, first 2 shown]
	v_cmp_ne_u32_e64 s[36:37], 0, v14
	s_and_saveexec_b64 s[40:41], s[36:37]
	s_cbranch_execz .LBB392_200
; %bb.199:
	v_cmp_eq_u16_e64 s[36:37], 0, v9
	v_cndmask_b32_e64 v6, 1, v12, s[36:37]
	v_cndmask_b32_e64 v11, 0, v13, s[36:37]
	v_mul_lo_u32 v5, v6, v5
	v_mad_u64_u32 v[6:7], s[36:37], v6, v4, 0
	v_mul_lo_u32 v4, v11, v4
	v_add3_u32 v7, v7, v5, v4
	v_and_b32_e32 v4, 1, v9
	v_cmp_eq_u32_e64 s[36:37], 1, v4
	v_and_b32_e32 v4, 1, v10
	v_cmp_eq_u32_e64 s[38:39], 1, v4
	s_or_b64 s[36:37], s[36:37], s[38:39]
	v_cndmask_b32_e64 v9, 0, 1, s[36:37]
	v_cndmask_b32_e64 v11, 0, 1, s[36:37]
	v_pk_mov_b32 v[4:5], v[6:7], v[6:7] op_sel:[0,1]
.LBB392_200:
	s_or_b64 exec, exec, s[40:41]
	v_mov_b32_dpp v10, v6 row_bcast:31 row_mask:0xf bank_mask:0xf
	v_mov_b32_dpp v7, v7 row_bcast:31 row_mask:0xf bank_mask:0xf
	;; [unrolled: 1-line block ×3, first 2 shown]
	v_cmp_lt_u32_e64 s[36:37], 31, v8
	s_and_saveexec_b64 s[40:41], s[36:37]
	s_cbranch_execz .LBB392_202
; %bb.201:
	v_cmp_eq_u16_e64 s[36:37], 0, v9
	v_cndmask_b32_e64 v10, 1, v10, s[36:37]
	v_cndmask_b32_e64 v7, 0, v7, s[36:37]
	v_mul_lo_u32 v5, v10, v5
	v_mad_u64_u32 v[10:11], s[36:37], v10, v4, 0
	v_mul_lo_u32 v4, v7, v4
	v_add3_u32 v11, v11, v5, v4
	v_and_b32_e32 v4, 1, v9
	v_cmp_eq_u32_e64 s[36:37], 1, v4
	v_and_b32_e32 v4, 1, v6
	v_cmp_eq_u32_e64 s[38:39], 1, v4
	s_or_b64 s[36:37], s[36:37], s[38:39]
	v_cndmask_b32_e64 v9, 0, 1, s[36:37]
	v_pk_mov_b32 v[4:5], v[10:11], v[10:11] op_sel:[0,1]
.LBB392_202:
	s_or_b64 exec, exec, s[40:41]
	v_cmp_eq_u32_e64 s[36:37], 63, v0
	s_and_saveexec_b64 s[38:39], s[36:37]
	s_cbranch_execz .LBB392_204
; %bb.203:
	v_mov_b32_e32 v6, 0
	ds_write_b64 v6, v[4:5]
	ds_write_b8 v6, v9 offset:8
.LBB392_204:
	s_or_b64 exec, exec, s[38:39]
	v_cmp_eq_u16_e64 s[36:37], 0, v9
	s_waitcnt vmcnt(0)
	v_cndmask_b32_e64 v6, 1, v2, s[36:37]
	v_cndmask_b32_e64 v7, 0, v3, s[36:37]
	v_mul_lo_u32 v7, v7, v4
	v_mul_lo_u32 v9, v6, v5
	v_mad_u64_u32 v[4:5], s[36:37], v6, v4, 0
	v_add3_u32 v5, v5, v9, v7
	v_add_u32_e32 v6, -1, v8
	v_and_b32_e32 v7, 64, v8
	v_cmp_lt_i32_e64 s[36:37], v6, v7
	v_cndmask_b32_e64 v6, v6, v8, s[36:37]
	v_lshlrev_b32_e32 v6, 2, v6
	ds_bpermute_b32 v4, v6, v4
	ds_bpermute_b32 v5, v6, v5
	v_cmp_eq_u32_e64 s[38:39], 0, v8
	v_cmp_eq_u32_e64 s[36:37], 0, v0
	s_or_b64 s[38:39], s[36:37], s[38:39]
	v_mov_b32_e32 v8, 0
	s_waitcnt lgkmcnt(1)
	v_cndmask_b32_e64 v76, v4, v2, s[38:39]
	s_waitcnt lgkmcnt(0)
	v_cndmask_b32_e64 v77, v5, v3, s[38:39]
	v_cmp_eq_u16_sdwa s[38:39], v1, v8 src0_sel:BYTE_0 src1_sel:DWORD
	v_cndmask_b32_e64 v1, 0, v77, s[38:39]
	v_cndmask_b32_e64 v4, 1, v76, s[38:39]
	v_mul_lo_u32 v6, v4, v75
	v_mul_lo_u32 v1, v1, v74
	v_mad_u64_u32 v[4:5], s[38:39], v4, v74, 0
	v_add3_u32 v5, v5, v6, v1
	v_cndmask_b32_e32 v1, 0, v5, vcc
	v_cndmask_b32_e32 v6, 1, v4, vcc
	v_mul_lo_u32 v1, v1, v38
	v_mul_lo_u32 v9, v6, v39
	v_mad_u64_u32 v[6:7], s[38:39], v6, v38, 0
	v_add3_u32 v7, v7, v9, v1
	v_cndmask_b32_e64 v1, 0, v7, s[2:3]
	v_cndmask_b32_e64 v9, 1, v6, s[2:3]
	v_mul_lo_u32 v1, v1, v46
	v_mul_lo_u32 v10, v9, v47
	v_mad_u64_u32 v[78:79], s[2:3], v9, v46, 0
	v_add3_u32 v79, v79, v10, v1
	v_cndmask_b32_e64 v1, 0, v79, s[4:5]
	v_cndmask_b32_e64 v9, 1, v78, s[4:5]
	;; [unrolled: 6-line block ×16, first 2 shown]
	s_waitcnt lgkmcnt(0)
	; wave barrier
	s_and_saveexec_b64 s[2:3], s[36:37]
	s_cbranch_execz .LBB392_206
; %bb.205:
	ds_read_u8 v1, v8 offset:8
	ds_read_b64 v[12:13], v8
	v_pk_mov_b32 v[76:77], v[2:3], v[2:3] op_sel:[0,1]
	s_waitcnt lgkmcnt(1)
	v_cmp_eq_u16_e32 vcc, 0, v1
	v_cndmask_b32_e32 v16, 1, v2, vcc
	v_cndmask_b32_e32 v9, 0, v3, vcc
	s_waitcnt lgkmcnt(0)
	v_mul_lo_u32 v13, v16, v13
	v_mul_hi_u32 v17, v16, v12
	v_mul_lo_u32 v9, v9, v12
	v_add_u32_e32 v13, v17, v13
	v_add_u32_e32 v13, v13, v9
	v_mul_lo_u32 v12, v16, v12
	global_store_dwordx2 v8, v[12:13], s[46:47] offset:1024
	global_store_byte v8, v1, s[46:47] offset:1032
	v_mov_b32_e32 v1, 2
	s_waitcnt vmcnt(0)
	buffer_wbinvl1_vol
	global_store_byte v8, v1, s[48:49] offset:64
.LBB392_206:
	s_or_b64 exec, exec, s[2:3]
.LBB392_207:
	s_add_u32 s4, s58, s54
	s_addc_u32 s5, s59, s55
	v_mul_lo_u32 v1, v95, v42
	v_mul_lo_u32 v8, v94, v43
	v_mad_u64_u32 v[2:3], s[2:3], v94, v42, 0
	s_add_u32 s4, s4, s52
	v_add3_u32 v3, v3, v8, v1
	s_addc_u32 s5, s5, s53
	s_and_b64 vcc, exec, s[0:1]
	s_cbranch_vccz .LBB392_245
; %bb.208:
	s_movk_i32 s0, 0x98
	v_mul_i32_i24_e32 v13, 0xffffff70, v0
	v_mul_u32_u24_e32 v12, 0x98, v0
	v_mad_u32_u24 v8, v0, s0, v13
	s_waitcnt lgkmcnt(0)
	; wave barrier
	ds_write2_b64 v12, v[76:77], v[4:5] offset1:1
	ds_write2_b64 v12, v[6:7], v[78:79] offset0:2 offset1:3
	ds_write2_b64 v12, v[10:11], v[80:81] offset0:4 offset1:5
	;; [unrolled: 1-line block ×8, first 2 shown]
	ds_write_b64 v12, v[2:3] offset:144
	s_waitcnt lgkmcnt(0)
	; wave barrier
	s_waitcnt lgkmcnt(0)
	ds_read2st64_b64 v[68:71], v8 offset0:1 offset1:2
	ds_read2st64_b64 v[64:67], v8 offset0:3 offset1:4
	;; [unrolled: 1-line block ×9, first 2 shown]
	v_mov_b32_e32 v9, s5
	v_add_co_u32_e32 v8, vcc, s4, v113
	s_add_i32 s33, s33, s50
	v_addc_co_u32_e32 v9, vcc, 0, v9, vcc
	v_mov_b32_e32 v1, 0
	v_cmp_gt_u32_e32 vcc, s33, v0
	s_and_saveexec_b64 s[0:1], vcc
	s_cbranch_execz .LBB392_210
; %bb.209:
	v_add_u32_e32 v12, v12, v13
	ds_read_b64 v[12:13], v12
	s_waitcnt lgkmcnt(0)
	flat_store_dwordx2 v[8:9], v[12:13]
.LBB392_210:
	s_or_b64 exec, exec, s[0:1]
	v_or_b32_e32 v12, 64, v0
	v_cmp_gt_u32_e32 vcc, s33, v12
	s_and_saveexec_b64 s[0:1], vcc
	s_cbranch_execz .LBB392_212
; %bb.211:
	s_waitcnt lgkmcnt(0)
	flat_store_dwordx2 v[8:9], v[68:69] offset:512
.LBB392_212:
	s_or_b64 exec, exec, s[0:1]
	v_or_b32_e32 v12, 0x80, v0
	v_cmp_gt_u32_e32 vcc, s33, v12
	s_and_saveexec_b64 s[0:1], vcc
	s_cbranch_execz .LBB392_214
; %bb.213:
	s_waitcnt lgkmcnt(0)
	flat_store_dwordx2 v[8:9], v[70:71] offset:1024
.LBB392_214:
	;; [unrolled: 9-line block ×7, first 2 shown]
	s_or_b64 exec, exec, s[0:1]
	v_or_b32_e32 v12, 0x200, v0
	v_cmp_gt_u32_e32 vcc, s33, v12
	s_and_saveexec_b64 s[0:1], vcc
	s_cbranch_execz .LBB392_226
; %bb.225:
	v_add_co_u32_e32 v12, vcc, 0x1000, v8
	v_addc_co_u32_e32 v13, vcc, 0, v9, vcc
	s_waitcnt lgkmcnt(0)
	flat_store_dwordx2 v[12:13], v[58:59]
.LBB392_226:
	s_or_b64 exec, exec, s[0:1]
	v_or_b32_e32 v12, 0x240, v0
	v_cmp_gt_u32_e32 vcc, s33, v12
	s_and_saveexec_b64 s[0:1], vcc
	s_cbranch_execz .LBB392_228
; %bb.227:
	v_add_co_u32_e32 v12, vcc, 0x1000, v8
	v_addc_co_u32_e32 v13, vcc, 0, v9, vcc
	s_waitcnt lgkmcnt(0)
	flat_store_dwordx2 v[12:13], v[52:53] offset:512
.LBB392_228:
	s_or_b64 exec, exec, s[0:1]
	v_or_b32_e32 v12, 0x280, v0
	v_cmp_gt_u32_e32 vcc, s33, v12
	s_and_saveexec_b64 s[0:1], vcc
	s_cbranch_execz .LBB392_230
; %bb.229:
	v_add_co_u32_e32 v12, vcc, 0x1000, v8
	v_addc_co_u32_e32 v13, vcc, 0, v9, vcc
	s_waitcnt lgkmcnt(0)
	flat_store_dwordx2 v[12:13], v[54:55] offset:1024
.LBB392_230:
	;; [unrolled: 11-line block ×7, first 2 shown]
	s_or_b64 exec, exec, s[0:1]
	v_or_b32_e32 v12, 0x400, v0
	v_cmp_gt_u32_e32 vcc, s33, v12
	s_and_saveexec_b64 s[0:1], vcc
	s_cbranch_execz .LBB392_242
; %bb.241:
	v_add_co_u32_e32 v12, vcc, 0x2000, v8
	v_addc_co_u32_e32 v13, vcc, 0, v9, vcc
	s_waitcnt lgkmcnt(0)
	flat_store_dwordx2 v[12:13], v[42:43]
.LBB392_242:
	s_or_b64 exec, exec, s[0:1]
	v_or_b32_e32 v12, 0x440, v0
	v_cmp_gt_u32_e32 vcc, s33, v12
	s_and_saveexec_b64 s[0:1], vcc
	s_cbranch_execz .LBB392_244
; %bb.243:
	v_add_co_u32_e32 v8, vcc, 0x2000, v8
	v_addc_co_u32_e32 v9, vcc, 0, v9, vcc
	s_waitcnt lgkmcnt(0)
	flat_store_dwordx2 v[8:9], v[36:37] offset:512
.LBB392_244:
	s_or_b64 exec, exec, s[0:1]
	v_or_b32_e32 v8, 0x480, v0
	v_cmp_gt_u32_e64 s[0:1], s33, v8
	s_branch .LBB392_247
.LBB392_245:
	s_mov_b64 s[0:1], 0
                                        ; implicit-def: $vgpr38_vgpr39
	s_cbranch_execz .LBB392_247
; %bb.246:
	v_mul_u32_u24_e32 v1, 0x98, v0
	s_waitcnt lgkmcnt(0)
	; wave barrier
	s_waitcnt lgkmcnt(0)
	s_movk_i32 s2, 0x98
	ds_write2_b64 v1, v[76:77], v[4:5] offset1:1
	ds_write2_b64 v1, v[6:7], v[78:79] offset0:2 offset1:3
	ds_write2_b64 v1, v[10:11], v[80:81] offset0:4 offset1:5
	;; [unrolled: 1-line block ×8, first 2 shown]
	ds_write_b64 v1, v[2:3] offset:144
	v_mul_i32_i24_e32 v2, 0xffffff70, v0
	v_mad_u32_u24 v38, v0, s2, v2
	v_mov_b32_e32 v41, s5
	v_add_co_u32_e32 v40, vcc, s4, v113
	s_waitcnt lgkmcnt(0)
	; wave barrier
	s_waitcnt lgkmcnt(0)
	ds_read2st64_b64 v[2:5], v38 offset1:1
	ds_read2st64_b64 v[6:9], v38 offset0:2 offset1:3
	ds_read2st64_b64 v[10:13], v38 offset0:4 offset1:5
	;; [unrolled: 1-line block ×8, first 2 shown]
	ds_read_b64 v[38:39], v38 offset:9216
	v_addc_co_u32_e32 v41, vcc, 0, v41, vcc
	s_movk_i32 s2, 0x1000
	s_waitcnt lgkmcnt(0)
	flat_store_dwordx2 v[40:41], v[2:3]
	flat_store_dwordx2 v[40:41], v[4:5] offset:512
	flat_store_dwordx2 v[40:41], v[6:7] offset:1024
	;; [unrolled: 1-line block ×7, first 2 shown]
	v_add_co_u32_e32 v2, vcc, s2, v40
	v_addc_co_u32_e32 v3, vcc, 0, v41, vcc
	flat_store_dwordx2 v[2:3], v[18:19]
	flat_store_dwordx2 v[2:3], v[20:21] offset:512
	flat_store_dwordx2 v[2:3], v[22:23] offset:1024
	;; [unrolled: 1-line block ×7, first 2 shown]
	v_add_co_u32_e32 v2, vcc, 0x2000, v40
	v_mov_b32_e32 v1, 0
	v_addc_co_u32_e32 v3, vcc, 0, v41, vcc
	s_or_b64 s[0:1], s[0:1], exec
	flat_store_dwordx2 v[2:3], v[34:35]
	flat_store_dwordx2 v[2:3], v[36:37] offset:512
.LBB392_247:
	s_and_saveexec_b64 s[2:3], s[0:1]
	s_cbranch_execz .LBB392_249
; %bb.248:
	v_lshlrev_b64 v[0:1], 3, v[0:1]
	v_mov_b32_e32 v2, s5
	v_add_co_u32_e32 v0, vcc, s4, v0
	v_addc_co_u32_e32 v1, vcc, v2, v1, vcc
	v_add_co_u32_e32 v0, vcc, 0x2000, v0
	v_addc_co_u32_e32 v1, vcc, 0, v1, vcc
	s_waitcnt lgkmcnt(0)
	flat_store_dwordx2 v[0:1], v[38:39] offset:1024
	s_endpgm
.LBB392_249:
	s_endpgm
	.section	.rodata,"a",@progbits
	.p2align	6, 0x0
	.amdhsa_kernel _ZN7rocprim17ROCPRIM_400000_NS6detail17trampoline_kernelINS0_14default_configENS1_27scan_by_key_config_selectorIxxEEZZNS1_16scan_by_key_implILNS1_25lookback_scan_determinismE0ELb1ES3_N6thrust23THRUST_200600_302600_NS6detail15normal_iteratorINS9_10device_ptrIxEEEESE_SE_xNS9_10multipliesIxEENS9_8equal_toIxEExEE10hipError_tPvRmT2_T3_T4_T5_mT6_T7_P12ihipStream_tbENKUlT_T0_E_clISt17integral_constantIbLb0EESZ_EEDaSU_SV_EUlSU_E_NS1_11comp_targetILNS1_3genE4ELNS1_11target_archE910ELNS1_3gpuE8ELNS1_3repE0EEENS1_30default_config_static_selectorELNS0_4arch9wavefront6targetE1EEEvT1_
		.amdhsa_group_segment_fixed_size 10752
		.amdhsa_private_segment_fixed_size 0
		.amdhsa_kernarg_size 136
		.amdhsa_user_sgpr_count 6
		.amdhsa_user_sgpr_private_segment_buffer 1
		.amdhsa_user_sgpr_dispatch_ptr 0
		.amdhsa_user_sgpr_queue_ptr 0
		.amdhsa_user_sgpr_kernarg_segment_ptr 1
		.amdhsa_user_sgpr_dispatch_id 0
		.amdhsa_user_sgpr_flat_scratch_init 0
		.amdhsa_user_sgpr_kernarg_preload_length 0
		.amdhsa_user_sgpr_kernarg_preload_offset 0
		.amdhsa_user_sgpr_private_segment_size 0
		.amdhsa_uses_dynamic_stack 0
		.amdhsa_system_sgpr_private_segment_wavefront_offset 0
		.amdhsa_system_sgpr_workgroup_id_x 1
		.amdhsa_system_sgpr_workgroup_id_y 0
		.amdhsa_system_sgpr_workgroup_id_z 0
		.amdhsa_system_sgpr_workgroup_info 0
		.amdhsa_system_vgpr_workitem_id 0
		.amdhsa_next_free_vgpr 117
		.amdhsa_next_free_sgpr 73
		.amdhsa_accum_offset 120
		.amdhsa_reserve_vcc 1
		.amdhsa_reserve_flat_scratch 0
		.amdhsa_float_round_mode_32 0
		.amdhsa_float_round_mode_16_64 0
		.amdhsa_float_denorm_mode_32 3
		.amdhsa_float_denorm_mode_16_64 3
		.amdhsa_dx10_clamp 1
		.amdhsa_ieee_mode 1
		.amdhsa_fp16_overflow 0
		.amdhsa_tg_split 0
		.amdhsa_exception_fp_ieee_invalid_op 0
		.amdhsa_exception_fp_denorm_src 0
		.amdhsa_exception_fp_ieee_div_zero 0
		.amdhsa_exception_fp_ieee_overflow 0
		.amdhsa_exception_fp_ieee_underflow 0
		.amdhsa_exception_fp_ieee_inexact 0
		.amdhsa_exception_int_div_zero 0
	.end_amdhsa_kernel
	.section	.text._ZN7rocprim17ROCPRIM_400000_NS6detail17trampoline_kernelINS0_14default_configENS1_27scan_by_key_config_selectorIxxEEZZNS1_16scan_by_key_implILNS1_25lookback_scan_determinismE0ELb1ES3_N6thrust23THRUST_200600_302600_NS6detail15normal_iteratorINS9_10device_ptrIxEEEESE_SE_xNS9_10multipliesIxEENS9_8equal_toIxEExEE10hipError_tPvRmT2_T3_T4_T5_mT6_T7_P12ihipStream_tbENKUlT_T0_E_clISt17integral_constantIbLb0EESZ_EEDaSU_SV_EUlSU_E_NS1_11comp_targetILNS1_3genE4ELNS1_11target_archE910ELNS1_3gpuE8ELNS1_3repE0EEENS1_30default_config_static_selectorELNS0_4arch9wavefront6targetE1EEEvT1_,"axG",@progbits,_ZN7rocprim17ROCPRIM_400000_NS6detail17trampoline_kernelINS0_14default_configENS1_27scan_by_key_config_selectorIxxEEZZNS1_16scan_by_key_implILNS1_25lookback_scan_determinismE0ELb1ES3_N6thrust23THRUST_200600_302600_NS6detail15normal_iteratorINS9_10device_ptrIxEEEESE_SE_xNS9_10multipliesIxEENS9_8equal_toIxEExEE10hipError_tPvRmT2_T3_T4_T5_mT6_T7_P12ihipStream_tbENKUlT_T0_E_clISt17integral_constantIbLb0EESZ_EEDaSU_SV_EUlSU_E_NS1_11comp_targetILNS1_3genE4ELNS1_11target_archE910ELNS1_3gpuE8ELNS1_3repE0EEENS1_30default_config_static_selectorELNS0_4arch9wavefront6targetE1EEEvT1_,comdat
.Lfunc_end392:
	.size	_ZN7rocprim17ROCPRIM_400000_NS6detail17trampoline_kernelINS0_14default_configENS1_27scan_by_key_config_selectorIxxEEZZNS1_16scan_by_key_implILNS1_25lookback_scan_determinismE0ELb1ES3_N6thrust23THRUST_200600_302600_NS6detail15normal_iteratorINS9_10device_ptrIxEEEESE_SE_xNS9_10multipliesIxEENS9_8equal_toIxEExEE10hipError_tPvRmT2_T3_T4_T5_mT6_T7_P12ihipStream_tbENKUlT_T0_E_clISt17integral_constantIbLb0EESZ_EEDaSU_SV_EUlSU_E_NS1_11comp_targetILNS1_3genE4ELNS1_11target_archE910ELNS1_3gpuE8ELNS1_3repE0EEENS1_30default_config_static_selectorELNS0_4arch9wavefront6targetE1EEEvT1_, .Lfunc_end392-_ZN7rocprim17ROCPRIM_400000_NS6detail17trampoline_kernelINS0_14default_configENS1_27scan_by_key_config_selectorIxxEEZZNS1_16scan_by_key_implILNS1_25lookback_scan_determinismE0ELb1ES3_N6thrust23THRUST_200600_302600_NS6detail15normal_iteratorINS9_10device_ptrIxEEEESE_SE_xNS9_10multipliesIxEENS9_8equal_toIxEExEE10hipError_tPvRmT2_T3_T4_T5_mT6_T7_P12ihipStream_tbENKUlT_T0_E_clISt17integral_constantIbLb0EESZ_EEDaSU_SV_EUlSU_E_NS1_11comp_targetILNS1_3genE4ELNS1_11target_archE910ELNS1_3gpuE8ELNS1_3repE0EEENS1_30default_config_static_selectorELNS0_4arch9wavefront6targetE1EEEvT1_
                                        ; -- End function
	.section	.AMDGPU.csdata,"",@progbits
; Kernel info:
; codeLenInByte = 18008
; NumSgprs: 77
; NumVgprs: 117
; NumAgprs: 0
; TotalNumVgprs: 117
; ScratchSize: 0
; MemoryBound: 0
; FloatMode: 240
; IeeeMode: 1
; LDSByteSize: 10752 bytes/workgroup (compile time only)
; SGPRBlocks: 9
; VGPRBlocks: 14
; NumSGPRsForWavesPerEU: 77
; NumVGPRsForWavesPerEU: 117
; AccumOffset: 120
; Occupancy: 2
; WaveLimiterHint : 1
; COMPUTE_PGM_RSRC2:SCRATCH_EN: 0
; COMPUTE_PGM_RSRC2:USER_SGPR: 6
; COMPUTE_PGM_RSRC2:TRAP_HANDLER: 0
; COMPUTE_PGM_RSRC2:TGID_X_EN: 1
; COMPUTE_PGM_RSRC2:TGID_Y_EN: 0
; COMPUTE_PGM_RSRC2:TGID_Z_EN: 0
; COMPUTE_PGM_RSRC2:TIDIG_COMP_CNT: 0
; COMPUTE_PGM_RSRC3_GFX90A:ACCUM_OFFSET: 29
; COMPUTE_PGM_RSRC3_GFX90A:TG_SPLIT: 0
	.section	.text._ZN7rocprim17ROCPRIM_400000_NS6detail17trampoline_kernelINS0_14default_configENS1_27scan_by_key_config_selectorIxxEEZZNS1_16scan_by_key_implILNS1_25lookback_scan_determinismE0ELb1ES3_N6thrust23THRUST_200600_302600_NS6detail15normal_iteratorINS9_10device_ptrIxEEEESE_SE_xNS9_10multipliesIxEENS9_8equal_toIxEExEE10hipError_tPvRmT2_T3_T4_T5_mT6_T7_P12ihipStream_tbENKUlT_T0_E_clISt17integral_constantIbLb0EESZ_EEDaSU_SV_EUlSU_E_NS1_11comp_targetILNS1_3genE3ELNS1_11target_archE908ELNS1_3gpuE7ELNS1_3repE0EEENS1_30default_config_static_selectorELNS0_4arch9wavefront6targetE1EEEvT1_,"axG",@progbits,_ZN7rocprim17ROCPRIM_400000_NS6detail17trampoline_kernelINS0_14default_configENS1_27scan_by_key_config_selectorIxxEEZZNS1_16scan_by_key_implILNS1_25lookback_scan_determinismE0ELb1ES3_N6thrust23THRUST_200600_302600_NS6detail15normal_iteratorINS9_10device_ptrIxEEEESE_SE_xNS9_10multipliesIxEENS9_8equal_toIxEExEE10hipError_tPvRmT2_T3_T4_T5_mT6_T7_P12ihipStream_tbENKUlT_T0_E_clISt17integral_constantIbLb0EESZ_EEDaSU_SV_EUlSU_E_NS1_11comp_targetILNS1_3genE3ELNS1_11target_archE908ELNS1_3gpuE7ELNS1_3repE0EEENS1_30default_config_static_selectorELNS0_4arch9wavefront6targetE1EEEvT1_,comdat
	.protected	_ZN7rocprim17ROCPRIM_400000_NS6detail17trampoline_kernelINS0_14default_configENS1_27scan_by_key_config_selectorIxxEEZZNS1_16scan_by_key_implILNS1_25lookback_scan_determinismE0ELb1ES3_N6thrust23THRUST_200600_302600_NS6detail15normal_iteratorINS9_10device_ptrIxEEEESE_SE_xNS9_10multipliesIxEENS9_8equal_toIxEExEE10hipError_tPvRmT2_T3_T4_T5_mT6_T7_P12ihipStream_tbENKUlT_T0_E_clISt17integral_constantIbLb0EESZ_EEDaSU_SV_EUlSU_E_NS1_11comp_targetILNS1_3genE3ELNS1_11target_archE908ELNS1_3gpuE7ELNS1_3repE0EEENS1_30default_config_static_selectorELNS0_4arch9wavefront6targetE1EEEvT1_ ; -- Begin function _ZN7rocprim17ROCPRIM_400000_NS6detail17trampoline_kernelINS0_14default_configENS1_27scan_by_key_config_selectorIxxEEZZNS1_16scan_by_key_implILNS1_25lookback_scan_determinismE0ELb1ES3_N6thrust23THRUST_200600_302600_NS6detail15normal_iteratorINS9_10device_ptrIxEEEESE_SE_xNS9_10multipliesIxEENS9_8equal_toIxEExEE10hipError_tPvRmT2_T3_T4_T5_mT6_T7_P12ihipStream_tbENKUlT_T0_E_clISt17integral_constantIbLb0EESZ_EEDaSU_SV_EUlSU_E_NS1_11comp_targetILNS1_3genE3ELNS1_11target_archE908ELNS1_3gpuE7ELNS1_3repE0EEENS1_30default_config_static_selectorELNS0_4arch9wavefront6targetE1EEEvT1_
	.globl	_ZN7rocprim17ROCPRIM_400000_NS6detail17trampoline_kernelINS0_14default_configENS1_27scan_by_key_config_selectorIxxEEZZNS1_16scan_by_key_implILNS1_25lookback_scan_determinismE0ELb1ES3_N6thrust23THRUST_200600_302600_NS6detail15normal_iteratorINS9_10device_ptrIxEEEESE_SE_xNS9_10multipliesIxEENS9_8equal_toIxEExEE10hipError_tPvRmT2_T3_T4_T5_mT6_T7_P12ihipStream_tbENKUlT_T0_E_clISt17integral_constantIbLb0EESZ_EEDaSU_SV_EUlSU_E_NS1_11comp_targetILNS1_3genE3ELNS1_11target_archE908ELNS1_3gpuE7ELNS1_3repE0EEENS1_30default_config_static_selectorELNS0_4arch9wavefront6targetE1EEEvT1_
	.p2align	8
	.type	_ZN7rocprim17ROCPRIM_400000_NS6detail17trampoline_kernelINS0_14default_configENS1_27scan_by_key_config_selectorIxxEEZZNS1_16scan_by_key_implILNS1_25lookback_scan_determinismE0ELb1ES3_N6thrust23THRUST_200600_302600_NS6detail15normal_iteratorINS9_10device_ptrIxEEEESE_SE_xNS9_10multipliesIxEENS9_8equal_toIxEExEE10hipError_tPvRmT2_T3_T4_T5_mT6_T7_P12ihipStream_tbENKUlT_T0_E_clISt17integral_constantIbLb0EESZ_EEDaSU_SV_EUlSU_E_NS1_11comp_targetILNS1_3genE3ELNS1_11target_archE908ELNS1_3gpuE7ELNS1_3repE0EEENS1_30default_config_static_selectorELNS0_4arch9wavefront6targetE1EEEvT1_,@function
_ZN7rocprim17ROCPRIM_400000_NS6detail17trampoline_kernelINS0_14default_configENS1_27scan_by_key_config_selectorIxxEEZZNS1_16scan_by_key_implILNS1_25lookback_scan_determinismE0ELb1ES3_N6thrust23THRUST_200600_302600_NS6detail15normal_iteratorINS9_10device_ptrIxEEEESE_SE_xNS9_10multipliesIxEENS9_8equal_toIxEExEE10hipError_tPvRmT2_T3_T4_T5_mT6_T7_P12ihipStream_tbENKUlT_T0_E_clISt17integral_constantIbLb0EESZ_EEDaSU_SV_EUlSU_E_NS1_11comp_targetILNS1_3genE3ELNS1_11target_archE908ELNS1_3gpuE7ELNS1_3repE0EEENS1_30default_config_static_selectorELNS0_4arch9wavefront6targetE1EEEvT1_: ; @_ZN7rocprim17ROCPRIM_400000_NS6detail17trampoline_kernelINS0_14default_configENS1_27scan_by_key_config_selectorIxxEEZZNS1_16scan_by_key_implILNS1_25lookback_scan_determinismE0ELb1ES3_N6thrust23THRUST_200600_302600_NS6detail15normal_iteratorINS9_10device_ptrIxEEEESE_SE_xNS9_10multipliesIxEENS9_8equal_toIxEExEE10hipError_tPvRmT2_T3_T4_T5_mT6_T7_P12ihipStream_tbENKUlT_T0_E_clISt17integral_constantIbLb0EESZ_EEDaSU_SV_EUlSU_E_NS1_11comp_targetILNS1_3genE3ELNS1_11target_archE908ELNS1_3gpuE7ELNS1_3repE0EEENS1_30default_config_static_selectorELNS0_4arch9wavefront6targetE1EEEvT1_
; %bb.0:
	.section	.rodata,"a",@progbits
	.p2align	6, 0x0
	.amdhsa_kernel _ZN7rocprim17ROCPRIM_400000_NS6detail17trampoline_kernelINS0_14default_configENS1_27scan_by_key_config_selectorIxxEEZZNS1_16scan_by_key_implILNS1_25lookback_scan_determinismE0ELb1ES3_N6thrust23THRUST_200600_302600_NS6detail15normal_iteratorINS9_10device_ptrIxEEEESE_SE_xNS9_10multipliesIxEENS9_8equal_toIxEExEE10hipError_tPvRmT2_T3_T4_T5_mT6_T7_P12ihipStream_tbENKUlT_T0_E_clISt17integral_constantIbLb0EESZ_EEDaSU_SV_EUlSU_E_NS1_11comp_targetILNS1_3genE3ELNS1_11target_archE908ELNS1_3gpuE7ELNS1_3repE0EEENS1_30default_config_static_selectorELNS0_4arch9wavefront6targetE1EEEvT1_
		.amdhsa_group_segment_fixed_size 0
		.amdhsa_private_segment_fixed_size 0
		.amdhsa_kernarg_size 136
		.amdhsa_user_sgpr_count 6
		.amdhsa_user_sgpr_private_segment_buffer 1
		.amdhsa_user_sgpr_dispatch_ptr 0
		.amdhsa_user_sgpr_queue_ptr 0
		.amdhsa_user_sgpr_kernarg_segment_ptr 1
		.amdhsa_user_sgpr_dispatch_id 0
		.amdhsa_user_sgpr_flat_scratch_init 0
		.amdhsa_user_sgpr_kernarg_preload_length 0
		.amdhsa_user_sgpr_kernarg_preload_offset 0
		.amdhsa_user_sgpr_private_segment_size 0
		.amdhsa_uses_dynamic_stack 0
		.amdhsa_system_sgpr_private_segment_wavefront_offset 0
		.amdhsa_system_sgpr_workgroup_id_x 1
		.amdhsa_system_sgpr_workgroup_id_y 0
		.amdhsa_system_sgpr_workgroup_id_z 0
		.amdhsa_system_sgpr_workgroup_info 0
		.amdhsa_system_vgpr_workitem_id 0
		.amdhsa_next_free_vgpr 1
		.amdhsa_next_free_sgpr 0
		.amdhsa_accum_offset 4
		.amdhsa_reserve_vcc 0
		.amdhsa_reserve_flat_scratch 0
		.amdhsa_float_round_mode_32 0
		.amdhsa_float_round_mode_16_64 0
		.amdhsa_float_denorm_mode_32 3
		.amdhsa_float_denorm_mode_16_64 3
		.amdhsa_dx10_clamp 1
		.amdhsa_ieee_mode 1
		.amdhsa_fp16_overflow 0
		.amdhsa_tg_split 0
		.amdhsa_exception_fp_ieee_invalid_op 0
		.amdhsa_exception_fp_denorm_src 0
		.amdhsa_exception_fp_ieee_div_zero 0
		.amdhsa_exception_fp_ieee_overflow 0
		.amdhsa_exception_fp_ieee_underflow 0
		.amdhsa_exception_fp_ieee_inexact 0
		.amdhsa_exception_int_div_zero 0
	.end_amdhsa_kernel
	.section	.text._ZN7rocprim17ROCPRIM_400000_NS6detail17trampoline_kernelINS0_14default_configENS1_27scan_by_key_config_selectorIxxEEZZNS1_16scan_by_key_implILNS1_25lookback_scan_determinismE0ELb1ES3_N6thrust23THRUST_200600_302600_NS6detail15normal_iteratorINS9_10device_ptrIxEEEESE_SE_xNS9_10multipliesIxEENS9_8equal_toIxEExEE10hipError_tPvRmT2_T3_T4_T5_mT6_T7_P12ihipStream_tbENKUlT_T0_E_clISt17integral_constantIbLb0EESZ_EEDaSU_SV_EUlSU_E_NS1_11comp_targetILNS1_3genE3ELNS1_11target_archE908ELNS1_3gpuE7ELNS1_3repE0EEENS1_30default_config_static_selectorELNS0_4arch9wavefront6targetE1EEEvT1_,"axG",@progbits,_ZN7rocprim17ROCPRIM_400000_NS6detail17trampoline_kernelINS0_14default_configENS1_27scan_by_key_config_selectorIxxEEZZNS1_16scan_by_key_implILNS1_25lookback_scan_determinismE0ELb1ES3_N6thrust23THRUST_200600_302600_NS6detail15normal_iteratorINS9_10device_ptrIxEEEESE_SE_xNS9_10multipliesIxEENS9_8equal_toIxEExEE10hipError_tPvRmT2_T3_T4_T5_mT6_T7_P12ihipStream_tbENKUlT_T0_E_clISt17integral_constantIbLb0EESZ_EEDaSU_SV_EUlSU_E_NS1_11comp_targetILNS1_3genE3ELNS1_11target_archE908ELNS1_3gpuE7ELNS1_3repE0EEENS1_30default_config_static_selectorELNS0_4arch9wavefront6targetE1EEEvT1_,comdat
.Lfunc_end393:
	.size	_ZN7rocprim17ROCPRIM_400000_NS6detail17trampoline_kernelINS0_14default_configENS1_27scan_by_key_config_selectorIxxEEZZNS1_16scan_by_key_implILNS1_25lookback_scan_determinismE0ELb1ES3_N6thrust23THRUST_200600_302600_NS6detail15normal_iteratorINS9_10device_ptrIxEEEESE_SE_xNS9_10multipliesIxEENS9_8equal_toIxEExEE10hipError_tPvRmT2_T3_T4_T5_mT6_T7_P12ihipStream_tbENKUlT_T0_E_clISt17integral_constantIbLb0EESZ_EEDaSU_SV_EUlSU_E_NS1_11comp_targetILNS1_3genE3ELNS1_11target_archE908ELNS1_3gpuE7ELNS1_3repE0EEENS1_30default_config_static_selectorELNS0_4arch9wavefront6targetE1EEEvT1_, .Lfunc_end393-_ZN7rocprim17ROCPRIM_400000_NS6detail17trampoline_kernelINS0_14default_configENS1_27scan_by_key_config_selectorIxxEEZZNS1_16scan_by_key_implILNS1_25lookback_scan_determinismE0ELb1ES3_N6thrust23THRUST_200600_302600_NS6detail15normal_iteratorINS9_10device_ptrIxEEEESE_SE_xNS9_10multipliesIxEENS9_8equal_toIxEExEE10hipError_tPvRmT2_T3_T4_T5_mT6_T7_P12ihipStream_tbENKUlT_T0_E_clISt17integral_constantIbLb0EESZ_EEDaSU_SV_EUlSU_E_NS1_11comp_targetILNS1_3genE3ELNS1_11target_archE908ELNS1_3gpuE7ELNS1_3repE0EEENS1_30default_config_static_selectorELNS0_4arch9wavefront6targetE1EEEvT1_
                                        ; -- End function
	.section	.AMDGPU.csdata,"",@progbits
; Kernel info:
; codeLenInByte = 0
; NumSgprs: 4
; NumVgprs: 0
; NumAgprs: 0
; TotalNumVgprs: 0
; ScratchSize: 0
; MemoryBound: 0
; FloatMode: 240
; IeeeMode: 1
; LDSByteSize: 0 bytes/workgroup (compile time only)
; SGPRBlocks: 0
; VGPRBlocks: 0
; NumSGPRsForWavesPerEU: 4
; NumVGPRsForWavesPerEU: 1
; AccumOffset: 4
; Occupancy: 8
; WaveLimiterHint : 0
; COMPUTE_PGM_RSRC2:SCRATCH_EN: 0
; COMPUTE_PGM_RSRC2:USER_SGPR: 6
; COMPUTE_PGM_RSRC2:TRAP_HANDLER: 0
; COMPUTE_PGM_RSRC2:TGID_X_EN: 1
; COMPUTE_PGM_RSRC2:TGID_Y_EN: 0
; COMPUTE_PGM_RSRC2:TGID_Z_EN: 0
; COMPUTE_PGM_RSRC2:TIDIG_COMP_CNT: 0
; COMPUTE_PGM_RSRC3_GFX90A:ACCUM_OFFSET: 0
; COMPUTE_PGM_RSRC3_GFX90A:TG_SPLIT: 0
	.section	.text._ZN7rocprim17ROCPRIM_400000_NS6detail17trampoline_kernelINS0_14default_configENS1_27scan_by_key_config_selectorIxxEEZZNS1_16scan_by_key_implILNS1_25lookback_scan_determinismE0ELb1ES3_N6thrust23THRUST_200600_302600_NS6detail15normal_iteratorINS9_10device_ptrIxEEEESE_SE_xNS9_10multipliesIxEENS9_8equal_toIxEExEE10hipError_tPvRmT2_T3_T4_T5_mT6_T7_P12ihipStream_tbENKUlT_T0_E_clISt17integral_constantIbLb0EESZ_EEDaSU_SV_EUlSU_E_NS1_11comp_targetILNS1_3genE2ELNS1_11target_archE906ELNS1_3gpuE6ELNS1_3repE0EEENS1_30default_config_static_selectorELNS0_4arch9wavefront6targetE1EEEvT1_,"axG",@progbits,_ZN7rocprim17ROCPRIM_400000_NS6detail17trampoline_kernelINS0_14default_configENS1_27scan_by_key_config_selectorIxxEEZZNS1_16scan_by_key_implILNS1_25lookback_scan_determinismE0ELb1ES3_N6thrust23THRUST_200600_302600_NS6detail15normal_iteratorINS9_10device_ptrIxEEEESE_SE_xNS9_10multipliesIxEENS9_8equal_toIxEExEE10hipError_tPvRmT2_T3_T4_T5_mT6_T7_P12ihipStream_tbENKUlT_T0_E_clISt17integral_constantIbLb0EESZ_EEDaSU_SV_EUlSU_E_NS1_11comp_targetILNS1_3genE2ELNS1_11target_archE906ELNS1_3gpuE6ELNS1_3repE0EEENS1_30default_config_static_selectorELNS0_4arch9wavefront6targetE1EEEvT1_,comdat
	.protected	_ZN7rocprim17ROCPRIM_400000_NS6detail17trampoline_kernelINS0_14default_configENS1_27scan_by_key_config_selectorIxxEEZZNS1_16scan_by_key_implILNS1_25lookback_scan_determinismE0ELb1ES3_N6thrust23THRUST_200600_302600_NS6detail15normal_iteratorINS9_10device_ptrIxEEEESE_SE_xNS9_10multipliesIxEENS9_8equal_toIxEExEE10hipError_tPvRmT2_T3_T4_T5_mT6_T7_P12ihipStream_tbENKUlT_T0_E_clISt17integral_constantIbLb0EESZ_EEDaSU_SV_EUlSU_E_NS1_11comp_targetILNS1_3genE2ELNS1_11target_archE906ELNS1_3gpuE6ELNS1_3repE0EEENS1_30default_config_static_selectorELNS0_4arch9wavefront6targetE1EEEvT1_ ; -- Begin function _ZN7rocprim17ROCPRIM_400000_NS6detail17trampoline_kernelINS0_14default_configENS1_27scan_by_key_config_selectorIxxEEZZNS1_16scan_by_key_implILNS1_25lookback_scan_determinismE0ELb1ES3_N6thrust23THRUST_200600_302600_NS6detail15normal_iteratorINS9_10device_ptrIxEEEESE_SE_xNS9_10multipliesIxEENS9_8equal_toIxEExEE10hipError_tPvRmT2_T3_T4_T5_mT6_T7_P12ihipStream_tbENKUlT_T0_E_clISt17integral_constantIbLb0EESZ_EEDaSU_SV_EUlSU_E_NS1_11comp_targetILNS1_3genE2ELNS1_11target_archE906ELNS1_3gpuE6ELNS1_3repE0EEENS1_30default_config_static_selectorELNS0_4arch9wavefront6targetE1EEEvT1_
	.globl	_ZN7rocprim17ROCPRIM_400000_NS6detail17trampoline_kernelINS0_14default_configENS1_27scan_by_key_config_selectorIxxEEZZNS1_16scan_by_key_implILNS1_25lookback_scan_determinismE0ELb1ES3_N6thrust23THRUST_200600_302600_NS6detail15normal_iteratorINS9_10device_ptrIxEEEESE_SE_xNS9_10multipliesIxEENS9_8equal_toIxEExEE10hipError_tPvRmT2_T3_T4_T5_mT6_T7_P12ihipStream_tbENKUlT_T0_E_clISt17integral_constantIbLb0EESZ_EEDaSU_SV_EUlSU_E_NS1_11comp_targetILNS1_3genE2ELNS1_11target_archE906ELNS1_3gpuE6ELNS1_3repE0EEENS1_30default_config_static_selectorELNS0_4arch9wavefront6targetE1EEEvT1_
	.p2align	8
	.type	_ZN7rocprim17ROCPRIM_400000_NS6detail17trampoline_kernelINS0_14default_configENS1_27scan_by_key_config_selectorIxxEEZZNS1_16scan_by_key_implILNS1_25lookback_scan_determinismE0ELb1ES3_N6thrust23THRUST_200600_302600_NS6detail15normal_iteratorINS9_10device_ptrIxEEEESE_SE_xNS9_10multipliesIxEENS9_8equal_toIxEExEE10hipError_tPvRmT2_T3_T4_T5_mT6_T7_P12ihipStream_tbENKUlT_T0_E_clISt17integral_constantIbLb0EESZ_EEDaSU_SV_EUlSU_E_NS1_11comp_targetILNS1_3genE2ELNS1_11target_archE906ELNS1_3gpuE6ELNS1_3repE0EEENS1_30default_config_static_selectorELNS0_4arch9wavefront6targetE1EEEvT1_,@function
_ZN7rocprim17ROCPRIM_400000_NS6detail17trampoline_kernelINS0_14default_configENS1_27scan_by_key_config_selectorIxxEEZZNS1_16scan_by_key_implILNS1_25lookback_scan_determinismE0ELb1ES3_N6thrust23THRUST_200600_302600_NS6detail15normal_iteratorINS9_10device_ptrIxEEEESE_SE_xNS9_10multipliesIxEENS9_8equal_toIxEExEE10hipError_tPvRmT2_T3_T4_T5_mT6_T7_P12ihipStream_tbENKUlT_T0_E_clISt17integral_constantIbLb0EESZ_EEDaSU_SV_EUlSU_E_NS1_11comp_targetILNS1_3genE2ELNS1_11target_archE906ELNS1_3gpuE6ELNS1_3repE0EEENS1_30default_config_static_selectorELNS0_4arch9wavefront6targetE1EEEvT1_: ; @_ZN7rocprim17ROCPRIM_400000_NS6detail17trampoline_kernelINS0_14default_configENS1_27scan_by_key_config_selectorIxxEEZZNS1_16scan_by_key_implILNS1_25lookback_scan_determinismE0ELb1ES3_N6thrust23THRUST_200600_302600_NS6detail15normal_iteratorINS9_10device_ptrIxEEEESE_SE_xNS9_10multipliesIxEENS9_8equal_toIxEExEE10hipError_tPvRmT2_T3_T4_T5_mT6_T7_P12ihipStream_tbENKUlT_T0_E_clISt17integral_constantIbLb0EESZ_EEDaSU_SV_EUlSU_E_NS1_11comp_targetILNS1_3genE2ELNS1_11target_archE906ELNS1_3gpuE6ELNS1_3repE0EEENS1_30default_config_static_selectorELNS0_4arch9wavefront6targetE1EEEvT1_
; %bb.0:
	.section	.rodata,"a",@progbits
	.p2align	6, 0x0
	.amdhsa_kernel _ZN7rocprim17ROCPRIM_400000_NS6detail17trampoline_kernelINS0_14default_configENS1_27scan_by_key_config_selectorIxxEEZZNS1_16scan_by_key_implILNS1_25lookback_scan_determinismE0ELb1ES3_N6thrust23THRUST_200600_302600_NS6detail15normal_iteratorINS9_10device_ptrIxEEEESE_SE_xNS9_10multipliesIxEENS9_8equal_toIxEExEE10hipError_tPvRmT2_T3_T4_T5_mT6_T7_P12ihipStream_tbENKUlT_T0_E_clISt17integral_constantIbLb0EESZ_EEDaSU_SV_EUlSU_E_NS1_11comp_targetILNS1_3genE2ELNS1_11target_archE906ELNS1_3gpuE6ELNS1_3repE0EEENS1_30default_config_static_selectorELNS0_4arch9wavefront6targetE1EEEvT1_
		.amdhsa_group_segment_fixed_size 0
		.amdhsa_private_segment_fixed_size 0
		.amdhsa_kernarg_size 136
		.amdhsa_user_sgpr_count 6
		.amdhsa_user_sgpr_private_segment_buffer 1
		.amdhsa_user_sgpr_dispatch_ptr 0
		.amdhsa_user_sgpr_queue_ptr 0
		.amdhsa_user_sgpr_kernarg_segment_ptr 1
		.amdhsa_user_sgpr_dispatch_id 0
		.amdhsa_user_sgpr_flat_scratch_init 0
		.amdhsa_user_sgpr_kernarg_preload_length 0
		.amdhsa_user_sgpr_kernarg_preload_offset 0
		.amdhsa_user_sgpr_private_segment_size 0
		.amdhsa_uses_dynamic_stack 0
		.amdhsa_system_sgpr_private_segment_wavefront_offset 0
		.amdhsa_system_sgpr_workgroup_id_x 1
		.amdhsa_system_sgpr_workgroup_id_y 0
		.amdhsa_system_sgpr_workgroup_id_z 0
		.amdhsa_system_sgpr_workgroup_info 0
		.amdhsa_system_vgpr_workitem_id 0
		.amdhsa_next_free_vgpr 1
		.amdhsa_next_free_sgpr 0
		.amdhsa_accum_offset 4
		.amdhsa_reserve_vcc 0
		.amdhsa_reserve_flat_scratch 0
		.amdhsa_float_round_mode_32 0
		.amdhsa_float_round_mode_16_64 0
		.amdhsa_float_denorm_mode_32 3
		.amdhsa_float_denorm_mode_16_64 3
		.amdhsa_dx10_clamp 1
		.amdhsa_ieee_mode 1
		.amdhsa_fp16_overflow 0
		.amdhsa_tg_split 0
		.amdhsa_exception_fp_ieee_invalid_op 0
		.amdhsa_exception_fp_denorm_src 0
		.amdhsa_exception_fp_ieee_div_zero 0
		.amdhsa_exception_fp_ieee_overflow 0
		.amdhsa_exception_fp_ieee_underflow 0
		.amdhsa_exception_fp_ieee_inexact 0
		.amdhsa_exception_int_div_zero 0
	.end_amdhsa_kernel
	.section	.text._ZN7rocprim17ROCPRIM_400000_NS6detail17trampoline_kernelINS0_14default_configENS1_27scan_by_key_config_selectorIxxEEZZNS1_16scan_by_key_implILNS1_25lookback_scan_determinismE0ELb1ES3_N6thrust23THRUST_200600_302600_NS6detail15normal_iteratorINS9_10device_ptrIxEEEESE_SE_xNS9_10multipliesIxEENS9_8equal_toIxEExEE10hipError_tPvRmT2_T3_T4_T5_mT6_T7_P12ihipStream_tbENKUlT_T0_E_clISt17integral_constantIbLb0EESZ_EEDaSU_SV_EUlSU_E_NS1_11comp_targetILNS1_3genE2ELNS1_11target_archE906ELNS1_3gpuE6ELNS1_3repE0EEENS1_30default_config_static_selectorELNS0_4arch9wavefront6targetE1EEEvT1_,"axG",@progbits,_ZN7rocprim17ROCPRIM_400000_NS6detail17trampoline_kernelINS0_14default_configENS1_27scan_by_key_config_selectorIxxEEZZNS1_16scan_by_key_implILNS1_25lookback_scan_determinismE0ELb1ES3_N6thrust23THRUST_200600_302600_NS6detail15normal_iteratorINS9_10device_ptrIxEEEESE_SE_xNS9_10multipliesIxEENS9_8equal_toIxEExEE10hipError_tPvRmT2_T3_T4_T5_mT6_T7_P12ihipStream_tbENKUlT_T0_E_clISt17integral_constantIbLb0EESZ_EEDaSU_SV_EUlSU_E_NS1_11comp_targetILNS1_3genE2ELNS1_11target_archE906ELNS1_3gpuE6ELNS1_3repE0EEENS1_30default_config_static_selectorELNS0_4arch9wavefront6targetE1EEEvT1_,comdat
.Lfunc_end394:
	.size	_ZN7rocprim17ROCPRIM_400000_NS6detail17trampoline_kernelINS0_14default_configENS1_27scan_by_key_config_selectorIxxEEZZNS1_16scan_by_key_implILNS1_25lookback_scan_determinismE0ELb1ES3_N6thrust23THRUST_200600_302600_NS6detail15normal_iteratorINS9_10device_ptrIxEEEESE_SE_xNS9_10multipliesIxEENS9_8equal_toIxEExEE10hipError_tPvRmT2_T3_T4_T5_mT6_T7_P12ihipStream_tbENKUlT_T0_E_clISt17integral_constantIbLb0EESZ_EEDaSU_SV_EUlSU_E_NS1_11comp_targetILNS1_3genE2ELNS1_11target_archE906ELNS1_3gpuE6ELNS1_3repE0EEENS1_30default_config_static_selectorELNS0_4arch9wavefront6targetE1EEEvT1_, .Lfunc_end394-_ZN7rocprim17ROCPRIM_400000_NS6detail17trampoline_kernelINS0_14default_configENS1_27scan_by_key_config_selectorIxxEEZZNS1_16scan_by_key_implILNS1_25lookback_scan_determinismE0ELb1ES3_N6thrust23THRUST_200600_302600_NS6detail15normal_iteratorINS9_10device_ptrIxEEEESE_SE_xNS9_10multipliesIxEENS9_8equal_toIxEExEE10hipError_tPvRmT2_T3_T4_T5_mT6_T7_P12ihipStream_tbENKUlT_T0_E_clISt17integral_constantIbLb0EESZ_EEDaSU_SV_EUlSU_E_NS1_11comp_targetILNS1_3genE2ELNS1_11target_archE906ELNS1_3gpuE6ELNS1_3repE0EEENS1_30default_config_static_selectorELNS0_4arch9wavefront6targetE1EEEvT1_
                                        ; -- End function
	.section	.AMDGPU.csdata,"",@progbits
; Kernel info:
; codeLenInByte = 0
; NumSgprs: 4
; NumVgprs: 0
; NumAgprs: 0
; TotalNumVgprs: 0
; ScratchSize: 0
; MemoryBound: 0
; FloatMode: 240
; IeeeMode: 1
; LDSByteSize: 0 bytes/workgroup (compile time only)
; SGPRBlocks: 0
; VGPRBlocks: 0
; NumSGPRsForWavesPerEU: 4
; NumVGPRsForWavesPerEU: 1
; AccumOffset: 4
; Occupancy: 8
; WaveLimiterHint : 0
; COMPUTE_PGM_RSRC2:SCRATCH_EN: 0
; COMPUTE_PGM_RSRC2:USER_SGPR: 6
; COMPUTE_PGM_RSRC2:TRAP_HANDLER: 0
; COMPUTE_PGM_RSRC2:TGID_X_EN: 1
; COMPUTE_PGM_RSRC2:TGID_Y_EN: 0
; COMPUTE_PGM_RSRC2:TGID_Z_EN: 0
; COMPUTE_PGM_RSRC2:TIDIG_COMP_CNT: 0
; COMPUTE_PGM_RSRC3_GFX90A:ACCUM_OFFSET: 0
; COMPUTE_PGM_RSRC3_GFX90A:TG_SPLIT: 0
	.section	.text._ZN7rocprim17ROCPRIM_400000_NS6detail17trampoline_kernelINS0_14default_configENS1_27scan_by_key_config_selectorIxxEEZZNS1_16scan_by_key_implILNS1_25lookback_scan_determinismE0ELb1ES3_N6thrust23THRUST_200600_302600_NS6detail15normal_iteratorINS9_10device_ptrIxEEEESE_SE_xNS9_10multipliesIxEENS9_8equal_toIxEExEE10hipError_tPvRmT2_T3_T4_T5_mT6_T7_P12ihipStream_tbENKUlT_T0_E_clISt17integral_constantIbLb0EESZ_EEDaSU_SV_EUlSU_E_NS1_11comp_targetILNS1_3genE10ELNS1_11target_archE1200ELNS1_3gpuE4ELNS1_3repE0EEENS1_30default_config_static_selectorELNS0_4arch9wavefront6targetE1EEEvT1_,"axG",@progbits,_ZN7rocprim17ROCPRIM_400000_NS6detail17trampoline_kernelINS0_14default_configENS1_27scan_by_key_config_selectorIxxEEZZNS1_16scan_by_key_implILNS1_25lookback_scan_determinismE0ELb1ES3_N6thrust23THRUST_200600_302600_NS6detail15normal_iteratorINS9_10device_ptrIxEEEESE_SE_xNS9_10multipliesIxEENS9_8equal_toIxEExEE10hipError_tPvRmT2_T3_T4_T5_mT6_T7_P12ihipStream_tbENKUlT_T0_E_clISt17integral_constantIbLb0EESZ_EEDaSU_SV_EUlSU_E_NS1_11comp_targetILNS1_3genE10ELNS1_11target_archE1200ELNS1_3gpuE4ELNS1_3repE0EEENS1_30default_config_static_selectorELNS0_4arch9wavefront6targetE1EEEvT1_,comdat
	.protected	_ZN7rocprim17ROCPRIM_400000_NS6detail17trampoline_kernelINS0_14default_configENS1_27scan_by_key_config_selectorIxxEEZZNS1_16scan_by_key_implILNS1_25lookback_scan_determinismE0ELb1ES3_N6thrust23THRUST_200600_302600_NS6detail15normal_iteratorINS9_10device_ptrIxEEEESE_SE_xNS9_10multipliesIxEENS9_8equal_toIxEExEE10hipError_tPvRmT2_T3_T4_T5_mT6_T7_P12ihipStream_tbENKUlT_T0_E_clISt17integral_constantIbLb0EESZ_EEDaSU_SV_EUlSU_E_NS1_11comp_targetILNS1_3genE10ELNS1_11target_archE1200ELNS1_3gpuE4ELNS1_3repE0EEENS1_30default_config_static_selectorELNS0_4arch9wavefront6targetE1EEEvT1_ ; -- Begin function _ZN7rocprim17ROCPRIM_400000_NS6detail17trampoline_kernelINS0_14default_configENS1_27scan_by_key_config_selectorIxxEEZZNS1_16scan_by_key_implILNS1_25lookback_scan_determinismE0ELb1ES3_N6thrust23THRUST_200600_302600_NS6detail15normal_iteratorINS9_10device_ptrIxEEEESE_SE_xNS9_10multipliesIxEENS9_8equal_toIxEExEE10hipError_tPvRmT2_T3_T4_T5_mT6_T7_P12ihipStream_tbENKUlT_T0_E_clISt17integral_constantIbLb0EESZ_EEDaSU_SV_EUlSU_E_NS1_11comp_targetILNS1_3genE10ELNS1_11target_archE1200ELNS1_3gpuE4ELNS1_3repE0EEENS1_30default_config_static_selectorELNS0_4arch9wavefront6targetE1EEEvT1_
	.globl	_ZN7rocprim17ROCPRIM_400000_NS6detail17trampoline_kernelINS0_14default_configENS1_27scan_by_key_config_selectorIxxEEZZNS1_16scan_by_key_implILNS1_25lookback_scan_determinismE0ELb1ES3_N6thrust23THRUST_200600_302600_NS6detail15normal_iteratorINS9_10device_ptrIxEEEESE_SE_xNS9_10multipliesIxEENS9_8equal_toIxEExEE10hipError_tPvRmT2_T3_T4_T5_mT6_T7_P12ihipStream_tbENKUlT_T0_E_clISt17integral_constantIbLb0EESZ_EEDaSU_SV_EUlSU_E_NS1_11comp_targetILNS1_3genE10ELNS1_11target_archE1200ELNS1_3gpuE4ELNS1_3repE0EEENS1_30default_config_static_selectorELNS0_4arch9wavefront6targetE1EEEvT1_
	.p2align	8
	.type	_ZN7rocprim17ROCPRIM_400000_NS6detail17trampoline_kernelINS0_14default_configENS1_27scan_by_key_config_selectorIxxEEZZNS1_16scan_by_key_implILNS1_25lookback_scan_determinismE0ELb1ES3_N6thrust23THRUST_200600_302600_NS6detail15normal_iteratorINS9_10device_ptrIxEEEESE_SE_xNS9_10multipliesIxEENS9_8equal_toIxEExEE10hipError_tPvRmT2_T3_T4_T5_mT6_T7_P12ihipStream_tbENKUlT_T0_E_clISt17integral_constantIbLb0EESZ_EEDaSU_SV_EUlSU_E_NS1_11comp_targetILNS1_3genE10ELNS1_11target_archE1200ELNS1_3gpuE4ELNS1_3repE0EEENS1_30default_config_static_selectorELNS0_4arch9wavefront6targetE1EEEvT1_,@function
_ZN7rocprim17ROCPRIM_400000_NS6detail17trampoline_kernelINS0_14default_configENS1_27scan_by_key_config_selectorIxxEEZZNS1_16scan_by_key_implILNS1_25lookback_scan_determinismE0ELb1ES3_N6thrust23THRUST_200600_302600_NS6detail15normal_iteratorINS9_10device_ptrIxEEEESE_SE_xNS9_10multipliesIxEENS9_8equal_toIxEExEE10hipError_tPvRmT2_T3_T4_T5_mT6_T7_P12ihipStream_tbENKUlT_T0_E_clISt17integral_constantIbLb0EESZ_EEDaSU_SV_EUlSU_E_NS1_11comp_targetILNS1_3genE10ELNS1_11target_archE1200ELNS1_3gpuE4ELNS1_3repE0EEENS1_30default_config_static_selectorELNS0_4arch9wavefront6targetE1EEEvT1_: ; @_ZN7rocprim17ROCPRIM_400000_NS6detail17trampoline_kernelINS0_14default_configENS1_27scan_by_key_config_selectorIxxEEZZNS1_16scan_by_key_implILNS1_25lookback_scan_determinismE0ELb1ES3_N6thrust23THRUST_200600_302600_NS6detail15normal_iteratorINS9_10device_ptrIxEEEESE_SE_xNS9_10multipliesIxEENS9_8equal_toIxEExEE10hipError_tPvRmT2_T3_T4_T5_mT6_T7_P12ihipStream_tbENKUlT_T0_E_clISt17integral_constantIbLb0EESZ_EEDaSU_SV_EUlSU_E_NS1_11comp_targetILNS1_3genE10ELNS1_11target_archE1200ELNS1_3gpuE4ELNS1_3repE0EEENS1_30default_config_static_selectorELNS0_4arch9wavefront6targetE1EEEvT1_
; %bb.0:
	.section	.rodata,"a",@progbits
	.p2align	6, 0x0
	.amdhsa_kernel _ZN7rocprim17ROCPRIM_400000_NS6detail17trampoline_kernelINS0_14default_configENS1_27scan_by_key_config_selectorIxxEEZZNS1_16scan_by_key_implILNS1_25lookback_scan_determinismE0ELb1ES3_N6thrust23THRUST_200600_302600_NS6detail15normal_iteratorINS9_10device_ptrIxEEEESE_SE_xNS9_10multipliesIxEENS9_8equal_toIxEExEE10hipError_tPvRmT2_T3_T4_T5_mT6_T7_P12ihipStream_tbENKUlT_T0_E_clISt17integral_constantIbLb0EESZ_EEDaSU_SV_EUlSU_E_NS1_11comp_targetILNS1_3genE10ELNS1_11target_archE1200ELNS1_3gpuE4ELNS1_3repE0EEENS1_30default_config_static_selectorELNS0_4arch9wavefront6targetE1EEEvT1_
		.amdhsa_group_segment_fixed_size 0
		.amdhsa_private_segment_fixed_size 0
		.amdhsa_kernarg_size 136
		.amdhsa_user_sgpr_count 6
		.amdhsa_user_sgpr_private_segment_buffer 1
		.amdhsa_user_sgpr_dispatch_ptr 0
		.amdhsa_user_sgpr_queue_ptr 0
		.amdhsa_user_sgpr_kernarg_segment_ptr 1
		.amdhsa_user_sgpr_dispatch_id 0
		.amdhsa_user_sgpr_flat_scratch_init 0
		.amdhsa_user_sgpr_kernarg_preload_length 0
		.amdhsa_user_sgpr_kernarg_preload_offset 0
		.amdhsa_user_sgpr_private_segment_size 0
		.amdhsa_uses_dynamic_stack 0
		.amdhsa_system_sgpr_private_segment_wavefront_offset 0
		.amdhsa_system_sgpr_workgroup_id_x 1
		.amdhsa_system_sgpr_workgroup_id_y 0
		.amdhsa_system_sgpr_workgroup_id_z 0
		.amdhsa_system_sgpr_workgroup_info 0
		.amdhsa_system_vgpr_workitem_id 0
		.amdhsa_next_free_vgpr 1
		.amdhsa_next_free_sgpr 0
		.amdhsa_accum_offset 4
		.amdhsa_reserve_vcc 0
		.amdhsa_reserve_flat_scratch 0
		.amdhsa_float_round_mode_32 0
		.amdhsa_float_round_mode_16_64 0
		.amdhsa_float_denorm_mode_32 3
		.amdhsa_float_denorm_mode_16_64 3
		.amdhsa_dx10_clamp 1
		.amdhsa_ieee_mode 1
		.amdhsa_fp16_overflow 0
		.amdhsa_tg_split 0
		.amdhsa_exception_fp_ieee_invalid_op 0
		.amdhsa_exception_fp_denorm_src 0
		.amdhsa_exception_fp_ieee_div_zero 0
		.amdhsa_exception_fp_ieee_overflow 0
		.amdhsa_exception_fp_ieee_underflow 0
		.amdhsa_exception_fp_ieee_inexact 0
		.amdhsa_exception_int_div_zero 0
	.end_amdhsa_kernel
	.section	.text._ZN7rocprim17ROCPRIM_400000_NS6detail17trampoline_kernelINS0_14default_configENS1_27scan_by_key_config_selectorIxxEEZZNS1_16scan_by_key_implILNS1_25lookback_scan_determinismE0ELb1ES3_N6thrust23THRUST_200600_302600_NS6detail15normal_iteratorINS9_10device_ptrIxEEEESE_SE_xNS9_10multipliesIxEENS9_8equal_toIxEExEE10hipError_tPvRmT2_T3_T4_T5_mT6_T7_P12ihipStream_tbENKUlT_T0_E_clISt17integral_constantIbLb0EESZ_EEDaSU_SV_EUlSU_E_NS1_11comp_targetILNS1_3genE10ELNS1_11target_archE1200ELNS1_3gpuE4ELNS1_3repE0EEENS1_30default_config_static_selectorELNS0_4arch9wavefront6targetE1EEEvT1_,"axG",@progbits,_ZN7rocprim17ROCPRIM_400000_NS6detail17trampoline_kernelINS0_14default_configENS1_27scan_by_key_config_selectorIxxEEZZNS1_16scan_by_key_implILNS1_25lookback_scan_determinismE0ELb1ES3_N6thrust23THRUST_200600_302600_NS6detail15normal_iteratorINS9_10device_ptrIxEEEESE_SE_xNS9_10multipliesIxEENS9_8equal_toIxEExEE10hipError_tPvRmT2_T3_T4_T5_mT6_T7_P12ihipStream_tbENKUlT_T0_E_clISt17integral_constantIbLb0EESZ_EEDaSU_SV_EUlSU_E_NS1_11comp_targetILNS1_3genE10ELNS1_11target_archE1200ELNS1_3gpuE4ELNS1_3repE0EEENS1_30default_config_static_selectorELNS0_4arch9wavefront6targetE1EEEvT1_,comdat
.Lfunc_end395:
	.size	_ZN7rocprim17ROCPRIM_400000_NS6detail17trampoline_kernelINS0_14default_configENS1_27scan_by_key_config_selectorIxxEEZZNS1_16scan_by_key_implILNS1_25lookback_scan_determinismE0ELb1ES3_N6thrust23THRUST_200600_302600_NS6detail15normal_iteratorINS9_10device_ptrIxEEEESE_SE_xNS9_10multipliesIxEENS9_8equal_toIxEExEE10hipError_tPvRmT2_T3_T4_T5_mT6_T7_P12ihipStream_tbENKUlT_T0_E_clISt17integral_constantIbLb0EESZ_EEDaSU_SV_EUlSU_E_NS1_11comp_targetILNS1_3genE10ELNS1_11target_archE1200ELNS1_3gpuE4ELNS1_3repE0EEENS1_30default_config_static_selectorELNS0_4arch9wavefront6targetE1EEEvT1_, .Lfunc_end395-_ZN7rocprim17ROCPRIM_400000_NS6detail17trampoline_kernelINS0_14default_configENS1_27scan_by_key_config_selectorIxxEEZZNS1_16scan_by_key_implILNS1_25lookback_scan_determinismE0ELb1ES3_N6thrust23THRUST_200600_302600_NS6detail15normal_iteratorINS9_10device_ptrIxEEEESE_SE_xNS9_10multipliesIxEENS9_8equal_toIxEExEE10hipError_tPvRmT2_T3_T4_T5_mT6_T7_P12ihipStream_tbENKUlT_T0_E_clISt17integral_constantIbLb0EESZ_EEDaSU_SV_EUlSU_E_NS1_11comp_targetILNS1_3genE10ELNS1_11target_archE1200ELNS1_3gpuE4ELNS1_3repE0EEENS1_30default_config_static_selectorELNS0_4arch9wavefront6targetE1EEEvT1_
                                        ; -- End function
	.section	.AMDGPU.csdata,"",@progbits
; Kernel info:
; codeLenInByte = 0
; NumSgprs: 4
; NumVgprs: 0
; NumAgprs: 0
; TotalNumVgprs: 0
; ScratchSize: 0
; MemoryBound: 0
; FloatMode: 240
; IeeeMode: 1
; LDSByteSize: 0 bytes/workgroup (compile time only)
; SGPRBlocks: 0
; VGPRBlocks: 0
; NumSGPRsForWavesPerEU: 4
; NumVGPRsForWavesPerEU: 1
; AccumOffset: 4
; Occupancy: 8
; WaveLimiterHint : 0
; COMPUTE_PGM_RSRC2:SCRATCH_EN: 0
; COMPUTE_PGM_RSRC2:USER_SGPR: 6
; COMPUTE_PGM_RSRC2:TRAP_HANDLER: 0
; COMPUTE_PGM_RSRC2:TGID_X_EN: 1
; COMPUTE_PGM_RSRC2:TGID_Y_EN: 0
; COMPUTE_PGM_RSRC2:TGID_Z_EN: 0
; COMPUTE_PGM_RSRC2:TIDIG_COMP_CNT: 0
; COMPUTE_PGM_RSRC3_GFX90A:ACCUM_OFFSET: 0
; COMPUTE_PGM_RSRC3_GFX90A:TG_SPLIT: 0
	.section	.text._ZN7rocprim17ROCPRIM_400000_NS6detail17trampoline_kernelINS0_14default_configENS1_27scan_by_key_config_selectorIxxEEZZNS1_16scan_by_key_implILNS1_25lookback_scan_determinismE0ELb1ES3_N6thrust23THRUST_200600_302600_NS6detail15normal_iteratorINS9_10device_ptrIxEEEESE_SE_xNS9_10multipliesIxEENS9_8equal_toIxEExEE10hipError_tPvRmT2_T3_T4_T5_mT6_T7_P12ihipStream_tbENKUlT_T0_E_clISt17integral_constantIbLb0EESZ_EEDaSU_SV_EUlSU_E_NS1_11comp_targetILNS1_3genE9ELNS1_11target_archE1100ELNS1_3gpuE3ELNS1_3repE0EEENS1_30default_config_static_selectorELNS0_4arch9wavefront6targetE1EEEvT1_,"axG",@progbits,_ZN7rocprim17ROCPRIM_400000_NS6detail17trampoline_kernelINS0_14default_configENS1_27scan_by_key_config_selectorIxxEEZZNS1_16scan_by_key_implILNS1_25lookback_scan_determinismE0ELb1ES3_N6thrust23THRUST_200600_302600_NS6detail15normal_iteratorINS9_10device_ptrIxEEEESE_SE_xNS9_10multipliesIxEENS9_8equal_toIxEExEE10hipError_tPvRmT2_T3_T4_T5_mT6_T7_P12ihipStream_tbENKUlT_T0_E_clISt17integral_constantIbLb0EESZ_EEDaSU_SV_EUlSU_E_NS1_11comp_targetILNS1_3genE9ELNS1_11target_archE1100ELNS1_3gpuE3ELNS1_3repE0EEENS1_30default_config_static_selectorELNS0_4arch9wavefront6targetE1EEEvT1_,comdat
	.protected	_ZN7rocprim17ROCPRIM_400000_NS6detail17trampoline_kernelINS0_14default_configENS1_27scan_by_key_config_selectorIxxEEZZNS1_16scan_by_key_implILNS1_25lookback_scan_determinismE0ELb1ES3_N6thrust23THRUST_200600_302600_NS6detail15normal_iteratorINS9_10device_ptrIxEEEESE_SE_xNS9_10multipliesIxEENS9_8equal_toIxEExEE10hipError_tPvRmT2_T3_T4_T5_mT6_T7_P12ihipStream_tbENKUlT_T0_E_clISt17integral_constantIbLb0EESZ_EEDaSU_SV_EUlSU_E_NS1_11comp_targetILNS1_3genE9ELNS1_11target_archE1100ELNS1_3gpuE3ELNS1_3repE0EEENS1_30default_config_static_selectorELNS0_4arch9wavefront6targetE1EEEvT1_ ; -- Begin function _ZN7rocprim17ROCPRIM_400000_NS6detail17trampoline_kernelINS0_14default_configENS1_27scan_by_key_config_selectorIxxEEZZNS1_16scan_by_key_implILNS1_25lookback_scan_determinismE0ELb1ES3_N6thrust23THRUST_200600_302600_NS6detail15normal_iteratorINS9_10device_ptrIxEEEESE_SE_xNS9_10multipliesIxEENS9_8equal_toIxEExEE10hipError_tPvRmT2_T3_T4_T5_mT6_T7_P12ihipStream_tbENKUlT_T0_E_clISt17integral_constantIbLb0EESZ_EEDaSU_SV_EUlSU_E_NS1_11comp_targetILNS1_3genE9ELNS1_11target_archE1100ELNS1_3gpuE3ELNS1_3repE0EEENS1_30default_config_static_selectorELNS0_4arch9wavefront6targetE1EEEvT1_
	.globl	_ZN7rocprim17ROCPRIM_400000_NS6detail17trampoline_kernelINS0_14default_configENS1_27scan_by_key_config_selectorIxxEEZZNS1_16scan_by_key_implILNS1_25lookback_scan_determinismE0ELb1ES3_N6thrust23THRUST_200600_302600_NS6detail15normal_iteratorINS9_10device_ptrIxEEEESE_SE_xNS9_10multipliesIxEENS9_8equal_toIxEExEE10hipError_tPvRmT2_T3_T4_T5_mT6_T7_P12ihipStream_tbENKUlT_T0_E_clISt17integral_constantIbLb0EESZ_EEDaSU_SV_EUlSU_E_NS1_11comp_targetILNS1_3genE9ELNS1_11target_archE1100ELNS1_3gpuE3ELNS1_3repE0EEENS1_30default_config_static_selectorELNS0_4arch9wavefront6targetE1EEEvT1_
	.p2align	8
	.type	_ZN7rocprim17ROCPRIM_400000_NS6detail17trampoline_kernelINS0_14default_configENS1_27scan_by_key_config_selectorIxxEEZZNS1_16scan_by_key_implILNS1_25lookback_scan_determinismE0ELb1ES3_N6thrust23THRUST_200600_302600_NS6detail15normal_iteratorINS9_10device_ptrIxEEEESE_SE_xNS9_10multipliesIxEENS9_8equal_toIxEExEE10hipError_tPvRmT2_T3_T4_T5_mT6_T7_P12ihipStream_tbENKUlT_T0_E_clISt17integral_constantIbLb0EESZ_EEDaSU_SV_EUlSU_E_NS1_11comp_targetILNS1_3genE9ELNS1_11target_archE1100ELNS1_3gpuE3ELNS1_3repE0EEENS1_30default_config_static_selectorELNS0_4arch9wavefront6targetE1EEEvT1_,@function
_ZN7rocprim17ROCPRIM_400000_NS6detail17trampoline_kernelINS0_14default_configENS1_27scan_by_key_config_selectorIxxEEZZNS1_16scan_by_key_implILNS1_25lookback_scan_determinismE0ELb1ES3_N6thrust23THRUST_200600_302600_NS6detail15normal_iteratorINS9_10device_ptrIxEEEESE_SE_xNS9_10multipliesIxEENS9_8equal_toIxEExEE10hipError_tPvRmT2_T3_T4_T5_mT6_T7_P12ihipStream_tbENKUlT_T0_E_clISt17integral_constantIbLb0EESZ_EEDaSU_SV_EUlSU_E_NS1_11comp_targetILNS1_3genE9ELNS1_11target_archE1100ELNS1_3gpuE3ELNS1_3repE0EEENS1_30default_config_static_selectorELNS0_4arch9wavefront6targetE1EEEvT1_: ; @_ZN7rocprim17ROCPRIM_400000_NS6detail17trampoline_kernelINS0_14default_configENS1_27scan_by_key_config_selectorIxxEEZZNS1_16scan_by_key_implILNS1_25lookback_scan_determinismE0ELb1ES3_N6thrust23THRUST_200600_302600_NS6detail15normal_iteratorINS9_10device_ptrIxEEEESE_SE_xNS9_10multipliesIxEENS9_8equal_toIxEExEE10hipError_tPvRmT2_T3_T4_T5_mT6_T7_P12ihipStream_tbENKUlT_T0_E_clISt17integral_constantIbLb0EESZ_EEDaSU_SV_EUlSU_E_NS1_11comp_targetILNS1_3genE9ELNS1_11target_archE1100ELNS1_3gpuE3ELNS1_3repE0EEENS1_30default_config_static_selectorELNS0_4arch9wavefront6targetE1EEEvT1_
; %bb.0:
	.section	.rodata,"a",@progbits
	.p2align	6, 0x0
	.amdhsa_kernel _ZN7rocprim17ROCPRIM_400000_NS6detail17trampoline_kernelINS0_14default_configENS1_27scan_by_key_config_selectorIxxEEZZNS1_16scan_by_key_implILNS1_25lookback_scan_determinismE0ELb1ES3_N6thrust23THRUST_200600_302600_NS6detail15normal_iteratorINS9_10device_ptrIxEEEESE_SE_xNS9_10multipliesIxEENS9_8equal_toIxEExEE10hipError_tPvRmT2_T3_T4_T5_mT6_T7_P12ihipStream_tbENKUlT_T0_E_clISt17integral_constantIbLb0EESZ_EEDaSU_SV_EUlSU_E_NS1_11comp_targetILNS1_3genE9ELNS1_11target_archE1100ELNS1_3gpuE3ELNS1_3repE0EEENS1_30default_config_static_selectorELNS0_4arch9wavefront6targetE1EEEvT1_
		.amdhsa_group_segment_fixed_size 0
		.amdhsa_private_segment_fixed_size 0
		.amdhsa_kernarg_size 136
		.amdhsa_user_sgpr_count 6
		.amdhsa_user_sgpr_private_segment_buffer 1
		.amdhsa_user_sgpr_dispatch_ptr 0
		.amdhsa_user_sgpr_queue_ptr 0
		.amdhsa_user_sgpr_kernarg_segment_ptr 1
		.amdhsa_user_sgpr_dispatch_id 0
		.amdhsa_user_sgpr_flat_scratch_init 0
		.amdhsa_user_sgpr_kernarg_preload_length 0
		.amdhsa_user_sgpr_kernarg_preload_offset 0
		.amdhsa_user_sgpr_private_segment_size 0
		.amdhsa_uses_dynamic_stack 0
		.amdhsa_system_sgpr_private_segment_wavefront_offset 0
		.amdhsa_system_sgpr_workgroup_id_x 1
		.amdhsa_system_sgpr_workgroup_id_y 0
		.amdhsa_system_sgpr_workgroup_id_z 0
		.amdhsa_system_sgpr_workgroup_info 0
		.amdhsa_system_vgpr_workitem_id 0
		.amdhsa_next_free_vgpr 1
		.amdhsa_next_free_sgpr 0
		.amdhsa_accum_offset 4
		.amdhsa_reserve_vcc 0
		.amdhsa_reserve_flat_scratch 0
		.amdhsa_float_round_mode_32 0
		.amdhsa_float_round_mode_16_64 0
		.amdhsa_float_denorm_mode_32 3
		.amdhsa_float_denorm_mode_16_64 3
		.amdhsa_dx10_clamp 1
		.amdhsa_ieee_mode 1
		.amdhsa_fp16_overflow 0
		.amdhsa_tg_split 0
		.amdhsa_exception_fp_ieee_invalid_op 0
		.amdhsa_exception_fp_denorm_src 0
		.amdhsa_exception_fp_ieee_div_zero 0
		.amdhsa_exception_fp_ieee_overflow 0
		.amdhsa_exception_fp_ieee_underflow 0
		.amdhsa_exception_fp_ieee_inexact 0
		.amdhsa_exception_int_div_zero 0
	.end_amdhsa_kernel
	.section	.text._ZN7rocprim17ROCPRIM_400000_NS6detail17trampoline_kernelINS0_14default_configENS1_27scan_by_key_config_selectorIxxEEZZNS1_16scan_by_key_implILNS1_25lookback_scan_determinismE0ELb1ES3_N6thrust23THRUST_200600_302600_NS6detail15normal_iteratorINS9_10device_ptrIxEEEESE_SE_xNS9_10multipliesIxEENS9_8equal_toIxEExEE10hipError_tPvRmT2_T3_T4_T5_mT6_T7_P12ihipStream_tbENKUlT_T0_E_clISt17integral_constantIbLb0EESZ_EEDaSU_SV_EUlSU_E_NS1_11comp_targetILNS1_3genE9ELNS1_11target_archE1100ELNS1_3gpuE3ELNS1_3repE0EEENS1_30default_config_static_selectorELNS0_4arch9wavefront6targetE1EEEvT1_,"axG",@progbits,_ZN7rocprim17ROCPRIM_400000_NS6detail17trampoline_kernelINS0_14default_configENS1_27scan_by_key_config_selectorIxxEEZZNS1_16scan_by_key_implILNS1_25lookback_scan_determinismE0ELb1ES3_N6thrust23THRUST_200600_302600_NS6detail15normal_iteratorINS9_10device_ptrIxEEEESE_SE_xNS9_10multipliesIxEENS9_8equal_toIxEExEE10hipError_tPvRmT2_T3_T4_T5_mT6_T7_P12ihipStream_tbENKUlT_T0_E_clISt17integral_constantIbLb0EESZ_EEDaSU_SV_EUlSU_E_NS1_11comp_targetILNS1_3genE9ELNS1_11target_archE1100ELNS1_3gpuE3ELNS1_3repE0EEENS1_30default_config_static_selectorELNS0_4arch9wavefront6targetE1EEEvT1_,comdat
.Lfunc_end396:
	.size	_ZN7rocprim17ROCPRIM_400000_NS6detail17trampoline_kernelINS0_14default_configENS1_27scan_by_key_config_selectorIxxEEZZNS1_16scan_by_key_implILNS1_25lookback_scan_determinismE0ELb1ES3_N6thrust23THRUST_200600_302600_NS6detail15normal_iteratorINS9_10device_ptrIxEEEESE_SE_xNS9_10multipliesIxEENS9_8equal_toIxEExEE10hipError_tPvRmT2_T3_T4_T5_mT6_T7_P12ihipStream_tbENKUlT_T0_E_clISt17integral_constantIbLb0EESZ_EEDaSU_SV_EUlSU_E_NS1_11comp_targetILNS1_3genE9ELNS1_11target_archE1100ELNS1_3gpuE3ELNS1_3repE0EEENS1_30default_config_static_selectorELNS0_4arch9wavefront6targetE1EEEvT1_, .Lfunc_end396-_ZN7rocprim17ROCPRIM_400000_NS6detail17trampoline_kernelINS0_14default_configENS1_27scan_by_key_config_selectorIxxEEZZNS1_16scan_by_key_implILNS1_25lookback_scan_determinismE0ELb1ES3_N6thrust23THRUST_200600_302600_NS6detail15normal_iteratorINS9_10device_ptrIxEEEESE_SE_xNS9_10multipliesIxEENS9_8equal_toIxEExEE10hipError_tPvRmT2_T3_T4_T5_mT6_T7_P12ihipStream_tbENKUlT_T0_E_clISt17integral_constantIbLb0EESZ_EEDaSU_SV_EUlSU_E_NS1_11comp_targetILNS1_3genE9ELNS1_11target_archE1100ELNS1_3gpuE3ELNS1_3repE0EEENS1_30default_config_static_selectorELNS0_4arch9wavefront6targetE1EEEvT1_
                                        ; -- End function
	.section	.AMDGPU.csdata,"",@progbits
; Kernel info:
; codeLenInByte = 0
; NumSgprs: 4
; NumVgprs: 0
; NumAgprs: 0
; TotalNumVgprs: 0
; ScratchSize: 0
; MemoryBound: 0
; FloatMode: 240
; IeeeMode: 1
; LDSByteSize: 0 bytes/workgroup (compile time only)
; SGPRBlocks: 0
; VGPRBlocks: 0
; NumSGPRsForWavesPerEU: 4
; NumVGPRsForWavesPerEU: 1
; AccumOffset: 4
; Occupancy: 8
; WaveLimiterHint : 0
; COMPUTE_PGM_RSRC2:SCRATCH_EN: 0
; COMPUTE_PGM_RSRC2:USER_SGPR: 6
; COMPUTE_PGM_RSRC2:TRAP_HANDLER: 0
; COMPUTE_PGM_RSRC2:TGID_X_EN: 1
; COMPUTE_PGM_RSRC2:TGID_Y_EN: 0
; COMPUTE_PGM_RSRC2:TGID_Z_EN: 0
; COMPUTE_PGM_RSRC2:TIDIG_COMP_CNT: 0
; COMPUTE_PGM_RSRC3_GFX90A:ACCUM_OFFSET: 0
; COMPUTE_PGM_RSRC3_GFX90A:TG_SPLIT: 0
	.section	.text._ZN7rocprim17ROCPRIM_400000_NS6detail17trampoline_kernelINS0_14default_configENS1_27scan_by_key_config_selectorIxxEEZZNS1_16scan_by_key_implILNS1_25lookback_scan_determinismE0ELb1ES3_N6thrust23THRUST_200600_302600_NS6detail15normal_iteratorINS9_10device_ptrIxEEEESE_SE_xNS9_10multipliesIxEENS9_8equal_toIxEExEE10hipError_tPvRmT2_T3_T4_T5_mT6_T7_P12ihipStream_tbENKUlT_T0_E_clISt17integral_constantIbLb0EESZ_EEDaSU_SV_EUlSU_E_NS1_11comp_targetILNS1_3genE8ELNS1_11target_archE1030ELNS1_3gpuE2ELNS1_3repE0EEENS1_30default_config_static_selectorELNS0_4arch9wavefront6targetE1EEEvT1_,"axG",@progbits,_ZN7rocprim17ROCPRIM_400000_NS6detail17trampoline_kernelINS0_14default_configENS1_27scan_by_key_config_selectorIxxEEZZNS1_16scan_by_key_implILNS1_25lookback_scan_determinismE0ELb1ES3_N6thrust23THRUST_200600_302600_NS6detail15normal_iteratorINS9_10device_ptrIxEEEESE_SE_xNS9_10multipliesIxEENS9_8equal_toIxEExEE10hipError_tPvRmT2_T3_T4_T5_mT6_T7_P12ihipStream_tbENKUlT_T0_E_clISt17integral_constantIbLb0EESZ_EEDaSU_SV_EUlSU_E_NS1_11comp_targetILNS1_3genE8ELNS1_11target_archE1030ELNS1_3gpuE2ELNS1_3repE0EEENS1_30default_config_static_selectorELNS0_4arch9wavefront6targetE1EEEvT1_,comdat
	.protected	_ZN7rocprim17ROCPRIM_400000_NS6detail17trampoline_kernelINS0_14default_configENS1_27scan_by_key_config_selectorIxxEEZZNS1_16scan_by_key_implILNS1_25lookback_scan_determinismE0ELb1ES3_N6thrust23THRUST_200600_302600_NS6detail15normal_iteratorINS9_10device_ptrIxEEEESE_SE_xNS9_10multipliesIxEENS9_8equal_toIxEExEE10hipError_tPvRmT2_T3_T4_T5_mT6_T7_P12ihipStream_tbENKUlT_T0_E_clISt17integral_constantIbLb0EESZ_EEDaSU_SV_EUlSU_E_NS1_11comp_targetILNS1_3genE8ELNS1_11target_archE1030ELNS1_3gpuE2ELNS1_3repE0EEENS1_30default_config_static_selectorELNS0_4arch9wavefront6targetE1EEEvT1_ ; -- Begin function _ZN7rocprim17ROCPRIM_400000_NS6detail17trampoline_kernelINS0_14default_configENS1_27scan_by_key_config_selectorIxxEEZZNS1_16scan_by_key_implILNS1_25lookback_scan_determinismE0ELb1ES3_N6thrust23THRUST_200600_302600_NS6detail15normal_iteratorINS9_10device_ptrIxEEEESE_SE_xNS9_10multipliesIxEENS9_8equal_toIxEExEE10hipError_tPvRmT2_T3_T4_T5_mT6_T7_P12ihipStream_tbENKUlT_T0_E_clISt17integral_constantIbLb0EESZ_EEDaSU_SV_EUlSU_E_NS1_11comp_targetILNS1_3genE8ELNS1_11target_archE1030ELNS1_3gpuE2ELNS1_3repE0EEENS1_30default_config_static_selectorELNS0_4arch9wavefront6targetE1EEEvT1_
	.globl	_ZN7rocprim17ROCPRIM_400000_NS6detail17trampoline_kernelINS0_14default_configENS1_27scan_by_key_config_selectorIxxEEZZNS1_16scan_by_key_implILNS1_25lookback_scan_determinismE0ELb1ES3_N6thrust23THRUST_200600_302600_NS6detail15normal_iteratorINS9_10device_ptrIxEEEESE_SE_xNS9_10multipliesIxEENS9_8equal_toIxEExEE10hipError_tPvRmT2_T3_T4_T5_mT6_T7_P12ihipStream_tbENKUlT_T0_E_clISt17integral_constantIbLb0EESZ_EEDaSU_SV_EUlSU_E_NS1_11comp_targetILNS1_3genE8ELNS1_11target_archE1030ELNS1_3gpuE2ELNS1_3repE0EEENS1_30default_config_static_selectorELNS0_4arch9wavefront6targetE1EEEvT1_
	.p2align	8
	.type	_ZN7rocprim17ROCPRIM_400000_NS6detail17trampoline_kernelINS0_14default_configENS1_27scan_by_key_config_selectorIxxEEZZNS1_16scan_by_key_implILNS1_25lookback_scan_determinismE0ELb1ES3_N6thrust23THRUST_200600_302600_NS6detail15normal_iteratorINS9_10device_ptrIxEEEESE_SE_xNS9_10multipliesIxEENS9_8equal_toIxEExEE10hipError_tPvRmT2_T3_T4_T5_mT6_T7_P12ihipStream_tbENKUlT_T0_E_clISt17integral_constantIbLb0EESZ_EEDaSU_SV_EUlSU_E_NS1_11comp_targetILNS1_3genE8ELNS1_11target_archE1030ELNS1_3gpuE2ELNS1_3repE0EEENS1_30default_config_static_selectorELNS0_4arch9wavefront6targetE1EEEvT1_,@function
_ZN7rocprim17ROCPRIM_400000_NS6detail17trampoline_kernelINS0_14default_configENS1_27scan_by_key_config_selectorIxxEEZZNS1_16scan_by_key_implILNS1_25lookback_scan_determinismE0ELb1ES3_N6thrust23THRUST_200600_302600_NS6detail15normal_iteratorINS9_10device_ptrIxEEEESE_SE_xNS9_10multipliesIxEENS9_8equal_toIxEExEE10hipError_tPvRmT2_T3_T4_T5_mT6_T7_P12ihipStream_tbENKUlT_T0_E_clISt17integral_constantIbLb0EESZ_EEDaSU_SV_EUlSU_E_NS1_11comp_targetILNS1_3genE8ELNS1_11target_archE1030ELNS1_3gpuE2ELNS1_3repE0EEENS1_30default_config_static_selectorELNS0_4arch9wavefront6targetE1EEEvT1_: ; @_ZN7rocprim17ROCPRIM_400000_NS6detail17trampoline_kernelINS0_14default_configENS1_27scan_by_key_config_selectorIxxEEZZNS1_16scan_by_key_implILNS1_25lookback_scan_determinismE0ELb1ES3_N6thrust23THRUST_200600_302600_NS6detail15normal_iteratorINS9_10device_ptrIxEEEESE_SE_xNS9_10multipliesIxEENS9_8equal_toIxEExEE10hipError_tPvRmT2_T3_T4_T5_mT6_T7_P12ihipStream_tbENKUlT_T0_E_clISt17integral_constantIbLb0EESZ_EEDaSU_SV_EUlSU_E_NS1_11comp_targetILNS1_3genE8ELNS1_11target_archE1030ELNS1_3gpuE2ELNS1_3repE0EEENS1_30default_config_static_selectorELNS0_4arch9wavefront6targetE1EEEvT1_
; %bb.0:
	.section	.rodata,"a",@progbits
	.p2align	6, 0x0
	.amdhsa_kernel _ZN7rocprim17ROCPRIM_400000_NS6detail17trampoline_kernelINS0_14default_configENS1_27scan_by_key_config_selectorIxxEEZZNS1_16scan_by_key_implILNS1_25lookback_scan_determinismE0ELb1ES3_N6thrust23THRUST_200600_302600_NS6detail15normal_iteratorINS9_10device_ptrIxEEEESE_SE_xNS9_10multipliesIxEENS9_8equal_toIxEExEE10hipError_tPvRmT2_T3_T4_T5_mT6_T7_P12ihipStream_tbENKUlT_T0_E_clISt17integral_constantIbLb0EESZ_EEDaSU_SV_EUlSU_E_NS1_11comp_targetILNS1_3genE8ELNS1_11target_archE1030ELNS1_3gpuE2ELNS1_3repE0EEENS1_30default_config_static_selectorELNS0_4arch9wavefront6targetE1EEEvT1_
		.amdhsa_group_segment_fixed_size 0
		.amdhsa_private_segment_fixed_size 0
		.amdhsa_kernarg_size 136
		.amdhsa_user_sgpr_count 6
		.amdhsa_user_sgpr_private_segment_buffer 1
		.amdhsa_user_sgpr_dispatch_ptr 0
		.amdhsa_user_sgpr_queue_ptr 0
		.amdhsa_user_sgpr_kernarg_segment_ptr 1
		.amdhsa_user_sgpr_dispatch_id 0
		.amdhsa_user_sgpr_flat_scratch_init 0
		.amdhsa_user_sgpr_kernarg_preload_length 0
		.amdhsa_user_sgpr_kernarg_preload_offset 0
		.amdhsa_user_sgpr_private_segment_size 0
		.amdhsa_uses_dynamic_stack 0
		.amdhsa_system_sgpr_private_segment_wavefront_offset 0
		.amdhsa_system_sgpr_workgroup_id_x 1
		.amdhsa_system_sgpr_workgroup_id_y 0
		.amdhsa_system_sgpr_workgroup_id_z 0
		.amdhsa_system_sgpr_workgroup_info 0
		.amdhsa_system_vgpr_workitem_id 0
		.amdhsa_next_free_vgpr 1
		.amdhsa_next_free_sgpr 0
		.amdhsa_accum_offset 4
		.amdhsa_reserve_vcc 0
		.amdhsa_reserve_flat_scratch 0
		.amdhsa_float_round_mode_32 0
		.amdhsa_float_round_mode_16_64 0
		.amdhsa_float_denorm_mode_32 3
		.amdhsa_float_denorm_mode_16_64 3
		.amdhsa_dx10_clamp 1
		.amdhsa_ieee_mode 1
		.amdhsa_fp16_overflow 0
		.amdhsa_tg_split 0
		.amdhsa_exception_fp_ieee_invalid_op 0
		.amdhsa_exception_fp_denorm_src 0
		.amdhsa_exception_fp_ieee_div_zero 0
		.amdhsa_exception_fp_ieee_overflow 0
		.amdhsa_exception_fp_ieee_underflow 0
		.amdhsa_exception_fp_ieee_inexact 0
		.amdhsa_exception_int_div_zero 0
	.end_amdhsa_kernel
	.section	.text._ZN7rocprim17ROCPRIM_400000_NS6detail17trampoline_kernelINS0_14default_configENS1_27scan_by_key_config_selectorIxxEEZZNS1_16scan_by_key_implILNS1_25lookback_scan_determinismE0ELb1ES3_N6thrust23THRUST_200600_302600_NS6detail15normal_iteratorINS9_10device_ptrIxEEEESE_SE_xNS9_10multipliesIxEENS9_8equal_toIxEExEE10hipError_tPvRmT2_T3_T4_T5_mT6_T7_P12ihipStream_tbENKUlT_T0_E_clISt17integral_constantIbLb0EESZ_EEDaSU_SV_EUlSU_E_NS1_11comp_targetILNS1_3genE8ELNS1_11target_archE1030ELNS1_3gpuE2ELNS1_3repE0EEENS1_30default_config_static_selectorELNS0_4arch9wavefront6targetE1EEEvT1_,"axG",@progbits,_ZN7rocprim17ROCPRIM_400000_NS6detail17trampoline_kernelINS0_14default_configENS1_27scan_by_key_config_selectorIxxEEZZNS1_16scan_by_key_implILNS1_25lookback_scan_determinismE0ELb1ES3_N6thrust23THRUST_200600_302600_NS6detail15normal_iteratorINS9_10device_ptrIxEEEESE_SE_xNS9_10multipliesIxEENS9_8equal_toIxEExEE10hipError_tPvRmT2_T3_T4_T5_mT6_T7_P12ihipStream_tbENKUlT_T0_E_clISt17integral_constantIbLb0EESZ_EEDaSU_SV_EUlSU_E_NS1_11comp_targetILNS1_3genE8ELNS1_11target_archE1030ELNS1_3gpuE2ELNS1_3repE0EEENS1_30default_config_static_selectorELNS0_4arch9wavefront6targetE1EEEvT1_,comdat
.Lfunc_end397:
	.size	_ZN7rocprim17ROCPRIM_400000_NS6detail17trampoline_kernelINS0_14default_configENS1_27scan_by_key_config_selectorIxxEEZZNS1_16scan_by_key_implILNS1_25lookback_scan_determinismE0ELb1ES3_N6thrust23THRUST_200600_302600_NS6detail15normal_iteratorINS9_10device_ptrIxEEEESE_SE_xNS9_10multipliesIxEENS9_8equal_toIxEExEE10hipError_tPvRmT2_T3_T4_T5_mT6_T7_P12ihipStream_tbENKUlT_T0_E_clISt17integral_constantIbLb0EESZ_EEDaSU_SV_EUlSU_E_NS1_11comp_targetILNS1_3genE8ELNS1_11target_archE1030ELNS1_3gpuE2ELNS1_3repE0EEENS1_30default_config_static_selectorELNS0_4arch9wavefront6targetE1EEEvT1_, .Lfunc_end397-_ZN7rocprim17ROCPRIM_400000_NS6detail17trampoline_kernelINS0_14default_configENS1_27scan_by_key_config_selectorIxxEEZZNS1_16scan_by_key_implILNS1_25lookback_scan_determinismE0ELb1ES3_N6thrust23THRUST_200600_302600_NS6detail15normal_iteratorINS9_10device_ptrIxEEEESE_SE_xNS9_10multipliesIxEENS9_8equal_toIxEExEE10hipError_tPvRmT2_T3_T4_T5_mT6_T7_P12ihipStream_tbENKUlT_T0_E_clISt17integral_constantIbLb0EESZ_EEDaSU_SV_EUlSU_E_NS1_11comp_targetILNS1_3genE8ELNS1_11target_archE1030ELNS1_3gpuE2ELNS1_3repE0EEENS1_30default_config_static_selectorELNS0_4arch9wavefront6targetE1EEEvT1_
                                        ; -- End function
	.section	.AMDGPU.csdata,"",@progbits
; Kernel info:
; codeLenInByte = 0
; NumSgprs: 4
; NumVgprs: 0
; NumAgprs: 0
; TotalNumVgprs: 0
; ScratchSize: 0
; MemoryBound: 0
; FloatMode: 240
; IeeeMode: 1
; LDSByteSize: 0 bytes/workgroup (compile time only)
; SGPRBlocks: 0
; VGPRBlocks: 0
; NumSGPRsForWavesPerEU: 4
; NumVGPRsForWavesPerEU: 1
; AccumOffset: 4
; Occupancy: 8
; WaveLimiterHint : 0
; COMPUTE_PGM_RSRC2:SCRATCH_EN: 0
; COMPUTE_PGM_RSRC2:USER_SGPR: 6
; COMPUTE_PGM_RSRC2:TRAP_HANDLER: 0
; COMPUTE_PGM_RSRC2:TGID_X_EN: 1
; COMPUTE_PGM_RSRC2:TGID_Y_EN: 0
; COMPUTE_PGM_RSRC2:TGID_Z_EN: 0
; COMPUTE_PGM_RSRC2:TIDIG_COMP_CNT: 0
; COMPUTE_PGM_RSRC3_GFX90A:ACCUM_OFFSET: 0
; COMPUTE_PGM_RSRC3_GFX90A:TG_SPLIT: 0
	.section	.text._ZN7rocprim17ROCPRIM_400000_NS6detail17trampoline_kernelINS0_14default_configENS1_27scan_by_key_config_selectorIxxEEZZNS1_16scan_by_key_implILNS1_25lookback_scan_determinismE0ELb1ES3_N6thrust23THRUST_200600_302600_NS6detail15normal_iteratorINS9_10device_ptrIxEEEESE_SE_xNS9_10multipliesIxEENS9_8equal_toIxEExEE10hipError_tPvRmT2_T3_T4_T5_mT6_T7_P12ihipStream_tbENKUlT_T0_E_clISt17integral_constantIbLb1EESZ_EEDaSU_SV_EUlSU_E_NS1_11comp_targetILNS1_3genE0ELNS1_11target_archE4294967295ELNS1_3gpuE0ELNS1_3repE0EEENS1_30default_config_static_selectorELNS0_4arch9wavefront6targetE1EEEvT1_,"axG",@progbits,_ZN7rocprim17ROCPRIM_400000_NS6detail17trampoline_kernelINS0_14default_configENS1_27scan_by_key_config_selectorIxxEEZZNS1_16scan_by_key_implILNS1_25lookback_scan_determinismE0ELb1ES3_N6thrust23THRUST_200600_302600_NS6detail15normal_iteratorINS9_10device_ptrIxEEEESE_SE_xNS9_10multipliesIxEENS9_8equal_toIxEExEE10hipError_tPvRmT2_T3_T4_T5_mT6_T7_P12ihipStream_tbENKUlT_T0_E_clISt17integral_constantIbLb1EESZ_EEDaSU_SV_EUlSU_E_NS1_11comp_targetILNS1_3genE0ELNS1_11target_archE4294967295ELNS1_3gpuE0ELNS1_3repE0EEENS1_30default_config_static_selectorELNS0_4arch9wavefront6targetE1EEEvT1_,comdat
	.protected	_ZN7rocprim17ROCPRIM_400000_NS6detail17trampoline_kernelINS0_14default_configENS1_27scan_by_key_config_selectorIxxEEZZNS1_16scan_by_key_implILNS1_25lookback_scan_determinismE0ELb1ES3_N6thrust23THRUST_200600_302600_NS6detail15normal_iteratorINS9_10device_ptrIxEEEESE_SE_xNS9_10multipliesIxEENS9_8equal_toIxEExEE10hipError_tPvRmT2_T3_T4_T5_mT6_T7_P12ihipStream_tbENKUlT_T0_E_clISt17integral_constantIbLb1EESZ_EEDaSU_SV_EUlSU_E_NS1_11comp_targetILNS1_3genE0ELNS1_11target_archE4294967295ELNS1_3gpuE0ELNS1_3repE0EEENS1_30default_config_static_selectorELNS0_4arch9wavefront6targetE1EEEvT1_ ; -- Begin function _ZN7rocprim17ROCPRIM_400000_NS6detail17trampoline_kernelINS0_14default_configENS1_27scan_by_key_config_selectorIxxEEZZNS1_16scan_by_key_implILNS1_25lookback_scan_determinismE0ELb1ES3_N6thrust23THRUST_200600_302600_NS6detail15normal_iteratorINS9_10device_ptrIxEEEESE_SE_xNS9_10multipliesIxEENS9_8equal_toIxEExEE10hipError_tPvRmT2_T3_T4_T5_mT6_T7_P12ihipStream_tbENKUlT_T0_E_clISt17integral_constantIbLb1EESZ_EEDaSU_SV_EUlSU_E_NS1_11comp_targetILNS1_3genE0ELNS1_11target_archE4294967295ELNS1_3gpuE0ELNS1_3repE0EEENS1_30default_config_static_selectorELNS0_4arch9wavefront6targetE1EEEvT1_
	.globl	_ZN7rocprim17ROCPRIM_400000_NS6detail17trampoline_kernelINS0_14default_configENS1_27scan_by_key_config_selectorIxxEEZZNS1_16scan_by_key_implILNS1_25lookback_scan_determinismE0ELb1ES3_N6thrust23THRUST_200600_302600_NS6detail15normal_iteratorINS9_10device_ptrIxEEEESE_SE_xNS9_10multipliesIxEENS9_8equal_toIxEExEE10hipError_tPvRmT2_T3_T4_T5_mT6_T7_P12ihipStream_tbENKUlT_T0_E_clISt17integral_constantIbLb1EESZ_EEDaSU_SV_EUlSU_E_NS1_11comp_targetILNS1_3genE0ELNS1_11target_archE4294967295ELNS1_3gpuE0ELNS1_3repE0EEENS1_30default_config_static_selectorELNS0_4arch9wavefront6targetE1EEEvT1_
	.p2align	8
	.type	_ZN7rocprim17ROCPRIM_400000_NS6detail17trampoline_kernelINS0_14default_configENS1_27scan_by_key_config_selectorIxxEEZZNS1_16scan_by_key_implILNS1_25lookback_scan_determinismE0ELb1ES3_N6thrust23THRUST_200600_302600_NS6detail15normal_iteratorINS9_10device_ptrIxEEEESE_SE_xNS9_10multipliesIxEENS9_8equal_toIxEExEE10hipError_tPvRmT2_T3_T4_T5_mT6_T7_P12ihipStream_tbENKUlT_T0_E_clISt17integral_constantIbLb1EESZ_EEDaSU_SV_EUlSU_E_NS1_11comp_targetILNS1_3genE0ELNS1_11target_archE4294967295ELNS1_3gpuE0ELNS1_3repE0EEENS1_30default_config_static_selectorELNS0_4arch9wavefront6targetE1EEEvT1_,@function
_ZN7rocprim17ROCPRIM_400000_NS6detail17trampoline_kernelINS0_14default_configENS1_27scan_by_key_config_selectorIxxEEZZNS1_16scan_by_key_implILNS1_25lookback_scan_determinismE0ELb1ES3_N6thrust23THRUST_200600_302600_NS6detail15normal_iteratorINS9_10device_ptrIxEEEESE_SE_xNS9_10multipliesIxEENS9_8equal_toIxEExEE10hipError_tPvRmT2_T3_T4_T5_mT6_T7_P12ihipStream_tbENKUlT_T0_E_clISt17integral_constantIbLb1EESZ_EEDaSU_SV_EUlSU_E_NS1_11comp_targetILNS1_3genE0ELNS1_11target_archE4294967295ELNS1_3gpuE0ELNS1_3repE0EEENS1_30default_config_static_selectorELNS0_4arch9wavefront6targetE1EEEvT1_: ; @_ZN7rocprim17ROCPRIM_400000_NS6detail17trampoline_kernelINS0_14default_configENS1_27scan_by_key_config_selectorIxxEEZZNS1_16scan_by_key_implILNS1_25lookback_scan_determinismE0ELb1ES3_N6thrust23THRUST_200600_302600_NS6detail15normal_iteratorINS9_10device_ptrIxEEEESE_SE_xNS9_10multipliesIxEENS9_8equal_toIxEExEE10hipError_tPvRmT2_T3_T4_T5_mT6_T7_P12ihipStream_tbENKUlT_T0_E_clISt17integral_constantIbLb1EESZ_EEDaSU_SV_EUlSU_E_NS1_11comp_targetILNS1_3genE0ELNS1_11target_archE4294967295ELNS1_3gpuE0ELNS1_3repE0EEENS1_30default_config_static_selectorELNS0_4arch9wavefront6targetE1EEEvT1_
; %bb.0:
	.section	.rodata,"a",@progbits
	.p2align	6, 0x0
	.amdhsa_kernel _ZN7rocprim17ROCPRIM_400000_NS6detail17trampoline_kernelINS0_14default_configENS1_27scan_by_key_config_selectorIxxEEZZNS1_16scan_by_key_implILNS1_25lookback_scan_determinismE0ELb1ES3_N6thrust23THRUST_200600_302600_NS6detail15normal_iteratorINS9_10device_ptrIxEEEESE_SE_xNS9_10multipliesIxEENS9_8equal_toIxEExEE10hipError_tPvRmT2_T3_T4_T5_mT6_T7_P12ihipStream_tbENKUlT_T0_E_clISt17integral_constantIbLb1EESZ_EEDaSU_SV_EUlSU_E_NS1_11comp_targetILNS1_3genE0ELNS1_11target_archE4294967295ELNS1_3gpuE0ELNS1_3repE0EEENS1_30default_config_static_selectorELNS0_4arch9wavefront6targetE1EEEvT1_
		.amdhsa_group_segment_fixed_size 0
		.amdhsa_private_segment_fixed_size 0
		.amdhsa_kernarg_size 136
		.amdhsa_user_sgpr_count 6
		.amdhsa_user_sgpr_private_segment_buffer 1
		.amdhsa_user_sgpr_dispatch_ptr 0
		.amdhsa_user_sgpr_queue_ptr 0
		.amdhsa_user_sgpr_kernarg_segment_ptr 1
		.amdhsa_user_sgpr_dispatch_id 0
		.amdhsa_user_sgpr_flat_scratch_init 0
		.amdhsa_user_sgpr_kernarg_preload_length 0
		.amdhsa_user_sgpr_kernarg_preload_offset 0
		.amdhsa_user_sgpr_private_segment_size 0
		.amdhsa_uses_dynamic_stack 0
		.amdhsa_system_sgpr_private_segment_wavefront_offset 0
		.amdhsa_system_sgpr_workgroup_id_x 1
		.amdhsa_system_sgpr_workgroup_id_y 0
		.amdhsa_system_sgpr_workgroup_id_z 0
		.amdhsa_system_sgpr_workgroup_info 0
		.amdhsa_system_vgpr_workitem_id 0
		.amdhsa_next_free_vgpr 1
		.amdhsa_next_free_sgpr 0
		.amdhsa_accum_offset 4
		.amdhsa_reserve_vcc 0
		.amdhsa_reserve_flat_scratch 0
		.amdhsa_float_round_mode_32 0
		.amdhsa_float_round_mode_16_64 0
		.amdhsa_float_denorm_mode_32 3
		.amdhsa_float_denorm_mode_16_64 3
		.amdhsa_dx10_clamp 1
		.amdhsa_ieee_mode 1
		.amdhsa_fp16_overflow 0
		.amdhsa_tg_split 0
		.amdhsa_exception_fp_ieee_invalid_op 0
		.amdhsa_exception_fp_denorm_src 0
		.amdhsa_exception_fp_ieee_div_zero 0
		.amdhsa_exception_fp_ieee_overflow 0
		.amdhsa_exception_fp_ieee_underflow 0
		.amdhsa_exception_fp_ieee_inexact 0
		.amdhsa_exception_int_div_zero 0
	.end_amdhsa_kernel
	.section	.text._ZN7rocprim17ROCPRIM_400000_NS6detail17trampoline_kernelINS0_14default_configENS1_27scan_by_key_config_selectorIxxEEZZNS1_16scan_by_key_implILNS1_25lookback_scan_determinismE0ELb1ES3_N6thrust23THRUST_200600_302600_NS6detail15normal_iteratorINS9_10device_ptrIxEEEESE_SE_xNS9_10multipliesIxEENS9_8equal_toIxEExEE10hipError_tPvRmT2_T3_T4_T5_mT6_T7_P12ihipStream_tbENKUlT_T0_E_clISt17integral_constantIbLb1EESZ_EEDaSU_SV_EUlSU_E_NS1_11comp_targetILNS1_3genE0ELNS1_11target_archE4294967295ELNS1_3gpuE0ELNS1_3repE0EEENS1_30default_config_static_selectorELNS0_4arch9wavefront6targetE1EEEvT1_,"axG",@progbits,_ZN7rocprim17ROCPRIM_400000_NS6detail17trampoline_kernelINS0_14default_configENS1_27scan_by_key_config_selectorIxxEEZZNS1_16scan_by_key_implILNS1_25lookback_scan_determinismE0ELb1ES3_N6thrust23THRUST_200600_302600_NS6detail15normal_iteratorINS9_10device_ptrIxEEEESE_SE_xNS9_10multipliesIxEENS9_8equal_toIxEExEE10hipError_tPvRmT2_T3_T4_T5_mT6_T7_P12ihipStream_tbENKUlT_T0_E_clISt17integral_constantIbLb1EESZ_EEDaSU_SV_EUlSU_E_NS1_11comp_targetILNS1_3genE0ELNS1_11target_archE4294967295ELNS1_3gpuE0ELNS1_3repE0EEENS1_30default_config_static_selectorELNS0_4arch9wavefront6targetE1EEEvT1_,comdat
.Lfunc_end398:
	.size	_ZN7rocprim17ROCPRIM_400000_NS6detail17trampoline_kernelINS0_14default_configENS1_27scan_by_key_config_selectorIxxEEZZNS1_16scan_by_key_implILNS1_25lookback_scan_determinismE0ELb1ES3_N6thrust23THRUST_200600_302600_NS6detail15normal_iteratorINS9_10device_ptrIxEEEESE_SE_xNS9_10multipliesIxEENS9_8equal_toIxEExEE10hipError_tPvRmT2_T3_T4_T5_mT6_T7_P12ihipStream_tbENKUlT_T0_E_clISt17integral_constantIbLb1EESZ_EEDaSU_SV_EUlSU_E_NS1_11comp_targetILNS1_3genE0ELNS1_11target_archE4294967295ELNS1_3gpuE0ELNS1_3repE0EEENS1_30default_config_static_selectorELNS0_4arch9wavefront6targetE1EEEvT1_, .Lfunc_end398-_ZN7rocprim17ROCPRIM_400000_NS6detail17trampoline_kernelINS0_14default_configENS1_27scan_by_key_config_selectorIxxEEZZNS1_16scan_by_key_implILNS1_25lookback_scan_determinismE0ELb1ES3_N6thrust23THRUST_200600_302600_NS6detail15normal_iteratorINS9_10device_ptrIxEEEESE_SE_xNS9_10multipliesIxEENS9_8equal_toIxEExEE10hipError_tPvRmT2_T3_T4_T5_mT6_T7_P12ihipStream_tbENKUlT_T0_E_clISt17integral_constantIbLb1EESZ_EEDaSU_SV_EUlSU_E_NS1_11comp_targetILNS1_3genE0ELNS1_11target_archE4294967295ELNS1_3gpuE0ELNS1_3repE0EEENS1_30default_config_static_selectorELNS0_4arch9wavefront6targetE1EEEvT1_
                                        ; -- End function
	.section	.AMDGPU.csdata,"",@progbits
; Kernel info:
; codeLenInByte = 0
; NumSgprs: 4
; NumVgprs: 0
; NumAgprs: 0
; TotalNumVgprs: 0
; ScratchSize: 0
; MemoryBound: 0
; FloatMode: 240
; IeeeMode: 1
; LDSByteSize: 0 bytes/workgroup (compile time only)
; SGPRBlocks: 0
; VGPRBlocks: 0
; NumSGPRsForWavesPerEU: 4
; NumVGPRsForWavesPerEU: 1
; AccumOffset: 4
; Occupancy: 8
; WaveLimiterHint : 0
; COMPUTE_PGM_RSRC2:SCRATCH_EN: 0
; COMPUTE_PGM_RSRC2:USER_SGPR: 6
; COMPUTE_PGM_RSRC2:TRAP_HANDLER: 0
; COMPUTE_PGM_RSRC2:TGID_X_EN: 1
; COMPUTE_PGM_RSRC2:TGID_Y_EN: 0
; COMPUTE_PGM_RSRC2:TGID_Z_EN: 0
; COMPUTE_PGM_RSRC2:TIDIG_COMP_CNT: 0
; COMPUTE_PGM_RSRC3_GFX90A:ACCUM_OFFSET: 0
; COMPUTE_PGM_RSRC3_GFX90A:TG_SPLIT: 0
	.section	.text._ZN7rocprim17ROCPRIM_400000_NS6detail17trampoline_kernelINS0_14default_configENS1_27scan_by_key_config_selectorIxxEEZZNS1_16scan_by_key_implILNS1_25lookback_scan_determinismE0ELb1ES3_N6thrust23THRUST_200600_302600_NS6detail15normal_iteratorINS9_10device_ptrIxEEEESE_SE_xNS9_10multipliesIxEENS9_8equal_toIxEExEE10hipError_tPvRmT2_T3_T4_T5_mT6_T7_P12ihipStream_tbENKUlT_T0_E_clISt17integral_constantIbLb1EESZ_EEDaSU_SV_EUlSU_E_NS1_11comp_targetILNS1_3genE10ELNS1_11target_archE1201ELNS1_3gpuE5ELNS1_3repE0EEENS1_30default_config_static_selectorELNS0_4arch9wavefront6targetE1EEEvT1_,"axG",@progbits,_ZN7rocprim17ROCPRIM_400000_NS6detail17trampoline_kernelINS0_14default_configENS1_27scan_by_key_config_selectorIxxEEZZNS1_16scan_by_key_implILNS1_25lookback_scan_determinismE0ELb1ES3_N6thrust23THRUST_200600_302600_NS6detail15normal_iteratorINS9_10device_ptrIxEEEESE_SE_xNS9_10multipliesIxEENS9_8equal_toIxEExEE10hipError_tPvRmT2_T3_T4_T5_mT6_T7_P12ihipStream_tbENKUlT_T0_E_clISt17integral_constantIbLb1EESZ_EEDaSU_SV_EUlSU_E_NS1_11comp_targetILNS1_3genE10ELNS1_11target_archE1201ELNS1_3gpuE5ELNS1_3repE0EEENS1_30default_config_static_selectorELNS0_4arch9wavefront6targetE1EEEvT1_,comdat
	.protected	_ZN7rocprim17ROCPRIM_400000_NS6detail17trampoline_kernelINS0_14default_configENS1_27scan_by_key_config_selectorIxxEEZZNS1_16scan_by_key_implILNS1_25lookback_scan_determinismE0ELb1ES3_N6thrust23THRUST_200600_302600_NS6detail15normal_iteratorINS9_10device_ptrIxEEEESE_SE_xNS9_10multipliesIxEENS9_8equal_toIxEExEE10hipError_tPvRmT2_T3_T4_T5_mT6_T7_P12ihipStream_tbENKUlT_T0_E_clISt17integral_constantIbLb1EESZ_EEDaSU_SV_EUlSU_E_NS1_11comp_targetILNS1_3genE10ELNS1_11target_archE1201ELNS1_3gpuE5ELNS1_3repE0EEENS1_30default_config_static_selectorELNS0_4arch9wavefront6targetE1EEEvT1_ ; -- Begin function _ZN7rocprim17ROCPRIM_400000_NS6detail17trampoline_kernelINS0_14default_configENS1_27scan_by_key_config_selectorIxxEEZZNS1_16scan_by_key_implILNS1_25lookback_scan_determinismE0ELb1ES3_N6thrust23THRUST_200600_302600_NS6detail15normal_iteratorINS9_10device_ptrIxEEEESE_SE_xNS9_10multipliesIxEENS9_8equal_toIxEExEE10hipError_tPvRmT2_T3_T4_T5_mT6_T7_P12ihipStream_tbENKUlT_T0_E_clISt17integral_constantIbLb1EESZ_EEDaSU_SV_EUlSU_E_NS1_11comp_targetILNS1_3genE10ELNS1_11target_archE1201ELNS1_3gpuE5ELNS1_3repE0EEENS1_30default_config_static_selectorELNS0_4arch9wavefront6targetE1EEEvT1_
	.globl	_ZN7rocprim17ROCPRIM_400000_NS6detail17trampoline_kernelINS0_14default_configENS1_27scan_by_key_config_selectorIxxEEZZNS1_16scan_by_key_implILNS1_25lookback_scan_determinismE0ELb1ES3_N6thrust23THRUST_200600_302600_NS6detail15normal_iteratorINS9_10device_ptrIxEEEESE_SE_xNS9_10multipliesIxEENS9_8equal_toIxEExEE10hipError_tPvRmT2_T3_T4_T5_mT6_T7_P12ihipStream_tbENKUlT_T0_E_clISt17integral_constantIbLb1EESZ_EEDaSU_SV_EUlSU_E_NS1_11comp_targetILNS1_3genE10ELNS1_11target_archE1201ELNS1_3gpuE5ELNS1_3repE0EEENS1_30default_config_static_selectorELNS0_4arch9wavefront6targetE1EEEvT1_
	.p2align	8
	.type	_ZN7rocprim17ROCPRIM_400000_NS6detail17trampoline_kernelINS0_14default_configENS1_27scan_by_key_config_selectorIxxEEZZNS1_16scan_by_key_implILNS1_25lookback_scan_determinismE0ELb1ES3_N6thrust23THRUST_200600_302600_NS6detail15normal_iteratorINS9_10device_ptrIxEEEESE_SE_xNS9_10multipliesIxEENS9_8equal_toIxEExEE10hipError_tPvRmT2_T3_T4_T5_mT6_T7_P12ihipStream_tbENKUlT_T0_E_clISt17integral_constantIbLb1EESZ_EEDaSU_SV_EUlSU_E_NS1_11comp_targetILNS1_3genE10ELNS1_11target_archE1201ELNS1_3gpuE5ELNS1_3repE0EEENS1_30default_config_static_selectorELNS0_4arch9wavefront6targetE1EEEvT1_,@function
_ZN7rocprim17ROCPRIM_400000_NS6detail17trampoline_kernelINS0_14default_configENS1_27scan_by_key_config_selectorIxxEEZZNS1_16scan_by_key_implILNS1_25lookback_scan_determinismE0ELb1ES3_N6thrust23THRUST_200600_302600_NS6detail15normal_iteratorINS9_10device_ptrIxEEEESE_SE_xNS9_10multipliesIxEENS9_8equal_toIxEExEE10hipError_tPvRmT2_T3_T4_T5_mT6_T7_P12ihipStream_tbENKUlT_T0_E_clISt17integral_constantIbLb1EESZ_EEDaSU_SV_EUlSU_E_NS1_11comp_targetILNS1_3genE10ELNS1_11target_archE1201ELNS1_3gpuE5ELNS1_3repE0EEENS1_30default_config_static_selectorELNS0_4arch9wavefront6targetE1EEEvT1_: ; @_ZN7rocprim17ROCPRIM_400000_NS6detail17trampoline_kernelINS0_14default_configENS1_27scan_by_key_config_selectorIxxEEZZNS1_16scan_by_key_implILNS1_25lookback_scan_determinismE0ELb1ES3_N6thrust23THRUST_200600_302600_NS6detail15normal_iteratorINS9_10device_ptrIxEEEESE_SE_xNS9_10multipliesIxEENS9_8equal_toIxEExEE10hipError_tPvRmT2_T3_T4_T5_mT6_T7_P12ihipStream_tbENKUlT_T0_E_clISt17integral_constantIbLb1EESZ_EEDaSU_SV_EUlSU_E_NS1_11comp_targetILNS1_3genE10ELNS1_11target_archE1201ELNS1_3gpuE5ELNS1_3repE0EEENS1_30default_config_static_selectorELNS0_4arch9wavefront6targetE1EEEvT1_
; %bb.0:
	.section	.rodata,"a",@progbits
	.p2align	6, 0x0
	.amdhsa_kernel _ZN7rocprim17ROCPRIM_400000_NS6detail17trampoline_kernelINS0_14default_configENS1_27scan_by_key_config_selectorIxxEEZZNS1_16scan_by_key_implILNS1_25lookback_scan_determinismE0ELb1ES3_N6thrust23THRUST_200600_302600_NS6detail15normal_iteratorINS9_10device_ptrIxEEEESE_SE_xNS9_10multipliesIxEENS9_8equal_toIxEExEE10hipError_tPvRmT2_T3_T4_T5_mT6_T7_P12ihipStream_tbENKUlT_T0_E_clISt17integral_constantIbLb1EESZ_EEDaSU_SV_EUlSU_E_NS1_11comp_targetILNS1_3genE10ELNS1_11target_archE1201ELNS1_3gpuE5ELNS1_3repE0EEENS1_30default_config_static_selectorELNS0_4arch9wavefront6targetE1EEEvT1_
		.amdhsa_group_segment_fixed_size 0
		.amdhsa_private_segment_fixed_size 0
		.amdhsa_kernarg_size 136
		.amdhsa_user_sgpr_count 6
		.amdhsa_user_sgpr_private_segment_buffer 1
		.amdhsa_user_sgpr_dispatch_ptr 0
		.amdhsa_user_sgpr_queue_ptr 0
		.amdhsa_user_sgpr_kernarg_segment_ptr 1
		.amdhsa_user_sgpr_dispatch_id 0
		.amdhsa_user_sgpr_flat_scratch_init 0
		.amdhsa_user_sgpr_kernarg_preload_length 0
		.amdhsa_user_sgpr_kernarg_preload_offset 0
		.amdhsa_user_sgpr_private_segment_size 0
		.amdhsa_uses_dynamic_stack 0
		.amdhsa_system_sgpr_private_segment_wavefront_offset 0
		.amdhsa_system_sgpr_workgroup_id_x 1
		.amdhsa_system_sgpr_workgroup_id_y 0
		.amdhsa_system_sgpr_workgroup_id_z 0
		.amdhsa_system_sgpr_workgroup_info 0
		.amdhsa_system_vgpr_workitem_id 0
		.amdhsa_next_free_vgpr 1
		.amdhsa_next_free_sgpr 0
		.amdhsa_accum_offset 4
		.amdhsa_reserve_vcc 0
		.amdhsa_reserve_flat_scratch 0
		.amdhsa_float_round_mode_32 0
		.amdhsa_float_round_mode_16_64 0
		.amdhsa_float_denorm_mode_32 3
		.amdhsa_float_denorm_mode_16_64 3
		.amdhsa_dx10_clamp 1
		.amdhsa_ieee_mode 1
		.amdhsa_fp16_overflow 0
		.amdhsa_tg_split 0
		.amdhsa_exception_fp_ieee_invalid_op 0
		.amdhsa_exception_fp_denorm_src 0
		.amdhsa_exception_fp_ieee_div_zero 0
		.amdhsa_exception_fp_ieee_overflow 0
		.amdhsa_exception_fp_ieee_underflow 0
		.amdhsa_exception_fp_ieee_inexact 0
		.amdhsa_exception_int_div_zero 0
	.end_amdhsa_kernel
	.section	.text._ZN7rocprim17ROCPRIM_400000_NS6detail17trampoline_kernelINS0_14default_configENS1_27scan_by_key_config_selectorIxxEEZZNS1_16scan_by_key_implILNS1_25lookback_scan_determinismE0ELb1ES3_N6thrust23THRUST_200600_302600_NS6detail15normal_iteratorINS9_10device_ptrIxEEEESE_SE_xNS9_10multipliesIxEENS9_8equal_toIxEExEE10hipError_tPvRmT2_T3_T4_T5_mT6_T7_P12ihipStream_tbENKUlT_T0_E_clISt17integral_constantIbLb1EESZ_EEDaSU_SV_EUlSU_E_NS1_11comp_targetILNS1_3genE10ELNS1_11target_archE1201ELNS1_3gpuE5ELNS1_3repE0EEENS1_30default_config_static_selectorELNS0_4arch9wavefront6targetE1EEEvT1_,"axG",@progbits,_ZN7rocprim17ROCPRIM_400000_NS6detail17trampoline_kernelINS0_14default_configENS1_27scan_by_key_config_selectorIxxEEZZNS1_16scan_by_key_implILNS1_25lookback_scan_determinismE0ELb1ES3_N6thrust23THRUST_200600_302600_NS6detail15normal_iteratorINS9_10device_ptrIxEEEESE_SE_xNS9_10multipliesIxEENS9_8equal_toIxEExEE10hipError_tPvRmT2_T3_T4_T5_mT6_T7_P12ihipStream_tbENKUlT_T0_E_clISt17integral_constantIbLb1EESZ_EEDaSU_SV_EUlSU_E_NS1_11comp_targetILNS1_3genE10ELNS1_11target_archE1201ELNS1_3gpuE5ELNS1_3repE0EEENS1_30default_config_static_selectorELNS0_4arch9wavefront6targetE1EEEvT1_,comdat
.Lfunc_end399:
	.size	_ZN7rocprim17ROCPRIM_400000_NS6detail17trampoline_kernelINS0_14default_configENS1_27scan_by_key_config_selectorIxxEEZZNS1_16scan_by_key_implILNS1_25lookback_scan_determinismE0ELb1ES3_N6thrust23THRUST_200600_302600_NS6detail15normal_iteratorINS9_10device_ptrIxEEEESE_SE_xNS9_10multipliesIxEENS9_8equal_toIxEExEE10hipError_tPvRmT2_T3_T4_T5_mT6_T7_P12ihipStream_tbENKUlT_T0_E_clISt17integral_constantIbLb1EESZ_EEDaSU_SV_EUlSU_E_NS1_11comp_targetILNS1_3genE10ELNS1_11target_archE1201ELNS1_3gpuE5ELNS1_3repE0EEENS1_30default_config_static_selectorELNS0_4arch9wavefront6targetE1EEEvT1_, .Lfunc_end399-_ZN7rocprim17ROCPRIM_400000_NS6detail17trampoline_kernelINS0_14default_configENS1_27scan_by_key_config_selectorIxxEEZZNS1_16scan_by_key_implILNS1_25lookback_scan_determinismE0ELb1ES3_N6thrust23THRUST_200600_302600_NS6detail15normal_iteratorINS9_10device_ptrIxEEEESE_SE_xNS9_10multipliesIxEENS9_8equal_toIxEExEE10hipError_tPvRmT2_T3_T4_T5_mT6_T7_P12ihipStream_tbENKUlT_T0_E_clISt17integral_constantIbLb1EESZ_EEDaSU_SV_EUlSU_E_NS1_11comp_targetILNS1_3genE10ELNS1_11target_archE1201ELNS1_3gpuE5ELNS1_3repE0EEENS1_30default_config_static_selectorELNS0_4arch9wavefront6targetE1EEEvT1_
                                        ; -- End function
	.section	.AMDGPU.csdata,"",@progbits
; Kernel info:
; codeLenInByte = 0
; NumSgprs: 4
; NumVgprs: 0
; NumAgprs: 0
; TotalNumVgprs: 0
; ScratchSize: 0
; MemoryBound: 0
; FloatMode: 240
; IeeeMode: 1
; LDSByteSize: 0 bytes/workgroup (compile time only)
; SGPRBlocks: 0
; VGPRBlocks: 0
; NumSGPRsForWavesPerEU: 4
; NumVGPRsForWavesPerEU: 1
; AccumOffset: 4
; Occupancy: 8
; WaveLimiterHint : 0
; COMPUTE_PGM_RSRC2:SCRATCH_EN: 0
; COMPUTE_PGM_RSRC2:USER_SGPR: 6
; COMPUTE_PGM_RSRC2:TRAP_HANDLER: 0
; COMPUTE_PGM_RSRC2:TGID_X_EN: 1
; COMPUTE_PGM_RSRC2:TGID_Y_EN: 0
; COMPUTE_PGM_RSRC2:TGID_Z_EN: 0
; COMPUTE_PGM_RSRC2:TIDIG_COMP_CNT: 0
; COMPUTE_PGM_RSRC3_GFX90A:ACCUM_OFFSET: 0
; COMPUTE_PGM_RSRC3_GFX90A:TG_SPLIT: 0
	.section	.text._ZN7rocprim17ROCPRIM_400000_NS6detail17trampoline_kernelINS0_14default_configENS1_27scan_by_key_config_selectorIxxEEZZNS1_16scan_by_key_implILNS1_25lookback_scan_determinismE0ELb1ES3_N6thrust23THRUST_200600_302600_NS6detail15normal_iteratorINS9_10device_ptrIxEEEESE_SE_xNS9_10multipliesIxEENS9_8equal_toIxEExEE10hipError_tPvRmT2_T3_T4_T5_mT6_T7_P12ihipStream_tbENKUlT_T0_E_clISt17integral_constantIbLb1EESZ_EEDaSU_SV_EUlSU_E_NS1_11comp_targetILNS1_3genE5ELNS1_11target_archE942ELNS1_3gpuE9ELNS1_3repE0EEENS1_30default_config_static_selectorELNS0_4arch9wavefront6targetE1EEEvT1_,"axG",@progbits,_ZN7rocprim17ROCPRIM_400000_NS6detail17trampoline_kernelINS0_14default_configENS1_27scan_by_key_config_selectorIxxEEZZNS1_16scan_by_key_implILNS1_25lookback_scan_determinismE0ELb1ES3_N6thrust23THRUST_200600_302600_NS6detail15normal_iteratorINS9_10device_ptrIxEEEESE_SE_xNS9_10multipliesIxEENS9_8equal_toIxEExEE10hipError_tPvRmT2_T3_T4_T5_mT6_T7_P12ihipStream_tbENKUlT_T0_E_clISt17integral_constantIbLb1EESZ_EEDaSU_SV_EUlSU_E_NS1_11comp_targetILNS1_3genE5ELNS1_11target_archE942ELNS1_3gpuE9ELNS1_3repE0EEENS1_30default_config_static_selectorELNS0_4arch9wavefront6targetE1EEEvT1_,comdat
	.protected	_ZN7rocprim17ROCPRIM_400000_NS6detail17trampoline_kernelINS0_14default_configENS1_27scan_by_key_config_selectorIxxEEZZNS1_16scan_by_key_implILNS1_25lookback_scan_determinismE0ELb1ES3_N6thrust23THRUST_200600_302600_NS6detail15normal_iteratorINS9_10device_ptrIxEEEESE_SE_xNS9_10multipliesIxEENS9_8equal_toIxEExEE10hipError_tPvRmT2_T3_T4_T5_mT6_T7_P12ihipStream_tbENKUlT_T0_E_clISt17integral_constantIbLb1EESZ_EEDaSU_SV_EUlSU_E_NS1_11comp_targetILNS1_3genE5ELNS1_11target_archE942ELNS1_3gpuE9ELNS1_3repE0EEENS1_30default_config_static_selectorELNS0_4arch9wavefront6targetE1EEEvT1_ ; -- Begin function _ZN7rocprim17ROCPRIM_400000_NS6detail17trampoline_kernelINS0_14default_configENS1_27scan_by_key_config_selectorIxxEEZZNS1_16scan_by_key_implILNS1_25lookback_scan_determinismE0ELb1ES3_N6thrust23THRUST_200600_302600_NS6detail15normal_iteratorINS9_10device_ptrIxEEEESE_SE_xNS9_10multipliesIxEENS9_8equal_toIxEExEE10hipError_tPvRmT2_T3_T4_T5_mT6_T7_P12ihipStream_tbENKUlT_T0_E_clISt17integral_constantIbLb1EESZ_EEDaSU_SV_EUlSU_E_NS1_11comp_targetILNS1_3genE5ELNS1_11target_archE942ELNS1_3gpuE9ELNS1_3repE0EEENS1_30default_config_static_selectorELNS0_4arch9wavefront6targetE1EEEvT1_
	.globl	_ZN7rocprim17ROCPRIM_400000_NS6detail17trampoline_kernelINS0_14default_configENS1_27scan_by_key_config_selectorIxxEEZZNS1_16scan_by_key_implILNS1_25lookback_scan_determinismE0ELb1ES3_N6thrust23THRUST_200600_302600_NS6detail15normal_iteratorINS9_10device_ptrIxEEEESE_SE_xNS9_10multipliesIxEENS9_8equal_toIxEExEE10hipError_tPvRmT2_T3_T4_T5_mT6_T7_P12ihipStream_tbENKUlT_T0_E_clISt17integral_constantIbLb1EESZ_EEDaSU_SV_EUlSU_E_NS1_11comp_targetILNS1_3genE5ELNS1_11target_archE942ELNS1_3gpuE9ELNS1_3repE0EEENS1_30default_config_static_selectorELNS0_4arch9wavefront6targetE1EEEvT1_
	.p2align	8
	.type	_ZN7rocprim17ROCPRIM_400000_NS6detail17trampoline_kernelINS0_14default_configENS1_27scan_by_key_config_selectorIxxEEZZNS1_16scan_by_key_implILNS1_25lookback_scan_determinismE0ELb1ES3_N6thrust23THRUST_200600_302600_NS6detail15normal_iteratorINS9_10device_ptrIxEEEESE_SE_xNS9_10multipliesIxEENS9_8equal_toIxEExEE10hipError_tPvRmT2_T3_T4_T5_mT6_T7_P12ihipStream_tbENKUlT_T0_E_clISt17integral_constantIbLb1EESZ_EEDaSU_SV_EUlSU_E_NS1_11comp_targetILNS1_3genE5ELNS1_11target_archE942ELNS1_3gpuE9ELNS1_3repE0EEENS1_30default_config_static_selectorELNS0_4arch9wavefront6targetE1EEEvT1_,@function
_ZN7rocprim17ROCPRIM_400000_NS6detail17trampoline_kernelINS0_14default_configENS1_27scan_by_key_config_selectorIxxEEZZNS1_16scan_by_key_implILNS1_25lookback_scan_determinismE0ELb1ES3_N6thrust23THRUST_200600_302600_NS6detail15normal_iteratorINS9_10device_ptrIxEEEESE_SE_xNS9_10multipliesIxEENS9_8equal_toIxEExEE10hipError_tPvRmT2_T3_T4_T5_mT6_T7_P12ihipStream_tbENKUlT_T0_E_clISt17integral_constantIbLb1EESZ_EEDaSU_SV_EUlSU_E_NS1_11comp_targetILNS1_3genE5ELNS1_11target_archE942ELNS1_3gpuE9ELNS1_3repE0EEENS1_30default_config_static_selectorELNS0_4arch9wavefront6targetE1EEEvT1_: ; @_ZN7rocprim17ROCPRIM_400000_NS6detail17trampoline_kernelINS0_14default_configENS1_27scan_by_key_config_selectorIxxEEZZNS1_16scan_by_key_implILNS1_25lookback_scan_determinismE0ELb1ES3_N6thrust23THRUST_200600_302600_NS6detail15normal_iteratorINS9_10device_ptrIxEEEESE_SE_xNS9_10multipliesIxEENS9_8equal_toIxEExEE10hipError_tPvRmT2_T3_T4_T5_mT6_T7_P12ihipStream_tbENKUlT_T0_E_clISt17integral_constantIbLb1EESZ_EEDaSU_SV_EUlSU_E_NS1_11comp_targetILNS1_3genE5ELNS1_11target_archE942ELNS1_3gpuE9ELNS1_3repE0EEENS1_30default_config_static_selectorELNS0_4arch9wavefront6targetE1EEEvT1_
; %bb.0:
	.section	.rodata,"a",@progbits
	.p2align	6, 0x0
	.amdhsa_kernel _ZN7rocprim17ROCPRIM_400000_NS6detail17trampoline_kernelINS0_14default_configENS1_27scan_by_key_config_selectorIxxEEZZNS1_16scan_by_key_implILNS1_25lookback_scan_determinismE0ELb1ES3_N6thrust23THRUST_200600_302600_NS6detail15normal_iteratorINS9_10device_ptrIxEEEESE_SE_xNS9_10multipliesIxEENS9_8equal_toIxEExEE10hipError_tPvRmT2_T3_T4_T5_mT6_T7_P12ihipStream_tbENKUlT_T0_E_clISt17integral_constantIbLb1EESZ_EEDaSU_SV_EUlSU_E_NS1_11comp_targetILNS1_3genE5ELNS1_11target_archE942ELNS1_3gpuE9ELNS1_3repE0EEENS1_30default_config_static_selectorELNS0_4arch9wavefront6targetE1EEEvT1_
		.amdhsa_group_segment_fixed_size 0
		.amdhsa_private_segment_fixed_size 0
		.amdhsa_kernarg_size 136
		.amdhsa_user_sgpr_count 6
		.amdhsa_user_sgpr_private_segment_buffer 1
		.amdhsa_user_sgpr_dispatch_ptr 0
		.amdhsa_user_sgpr_queue_ptr 0
		.amdhsa_user_sgpr_kernarg_segment_ptr 1
		.amdhsa_user_sgpr_dispatch_id 0
		.amdhsa_user_sgpr_flat_scratch_init 0
		.amdhsa_user_sgpr_kernarg_preload_length 0
		.amdhsa_user_sgpr_kernarg_preload_offset 0
		.amdhsa_user_sgpr_private_segment_size 0
		.amdhsa_uses_dynamic_stack 0
		.amdhsa_system_sgpr_private_segment_wavefront_offset 0
		.amdhsa_system_sgpr_workgroup_id_x 1
		.amdhsa_system_sgpr_workgroup_id_y 0
		.amdhsa_system_sgpr_workgroup_id_z 0
		.amdhsa_system_sgpr_workgroup_info 0
		.amdhsa_system_vgpr_workitem_id 0
		.amdhsa_next_free_vgpr 1
		.amdhsa_next_free_sgpr 0
		.amdhsa_accum_offset 4
		.amdhsa_reserve_vcc 0
		.amdhsa_reserve_flat_scratch 0
		.amdhsa_float_round_mode_32 0
		.amdhsa_float_round_mode_16_64 0
		.amdhsa_float_denorm_mode_32 3
		.amdhsa_float_denorm_mode_16_64 3
		.amdhsa_dx10_clamp 1
		.amdhsa_ieee_mode 1
		.amdhsa_fp16_overflow 0
		.amdhsa_tg_split 0
		.amdhsa_exception_fp_ieee_invalid_op 0
		.amdhsa_exception_fp_denorm_src 0
		.amdhsa_exception_fp_ieee_div_zero 0
		.amdhsa_exception_fp_ieee_overflow 0
		.amdhsa_exception_fp_ieee_underflow 0
		.amdhsa_exception_fp_ieee_inexact 0
		.amdhsa_exception_int_div_zero 0
	.end_amdhsa_kernel
	.section	.text._ZN7rocprim17ROCPRIM_400000_NS6detail17trampoline_kernelINS0_14default_configENS1_27scan_by_key_config_selectorIxxEEZZNS1_16scan_by_key_implILNS1_25lookback_scan_determinismE0ELb1ES3_N6thrust23THRUST_200600_302600_NS6detail15normal_iteratorINS9_10device_ptrIxEEEESE_SE_xNS9_10multipliesIxEENS9_8equal_toIxEExEE10hipError_tPvRmT2_T3_T4_T5_mT6_T7_P12ihipStream_tbENKUlT_T0_E_clISt17integral_constantIbLb1EESZ_EEDaSU_SV_EUlSU_E_NS1_11comp_targetILNS1_3genE5ELNS1_11target_archE942ELNS1_3gpuE9ELNS1_3repE0EEENS1_30default_config_static_selectorELNS0_4arch9wavefront6targetE1EEEvT1_,"axG",@progbits,_ZN7rocprim17ROCPRIM_400000_NS6detail17trampoline_kernelINS0_14default_configENS1_27scan_by_key_config_selectorIxxEEZZNS1_16scan_by_key_implILNS1_25lookback_scan_determinismE0ELb1ES3_N6thrust23THRUST_200600_302600_NS6detail15normal_iteratorINS9_10device_ptrIxEEEESE_SE_xNS9_10multipliesIxEENS9_8equal_toIxEExEE10hipError_tPvRmT2_T3_T4_T5_mT6_T7_P12ihipStream_tbENKUlT_T0_E_clISt17integral_constantIbLb1EESZ_EEDaSU_SV_EUlSU_E_NS1_11comp_targetILNS1_3genE5ELNS1_11target_archE942ELNS1_3gpuE9ELNS1_3repE0EEENS1_30default_config_static_selectorELNS0_4arch9wavefront6targetE1EEEvT1_,comdat
.Lfunc_end400:
	.size	_ZN7rocprim17ROCPRIM_400000_NS6detail17trampoline_kernelINS0_14default_configENS1_27scan_by_key_config_selectorIxxEEZZNS1_16scan_by_key_implILNS1_25lookback_scan_determinismE0ELb1ES3_N6thrust23THRUST_200600_302600_NS6detail15normal_iteratorINS9_10device_ptrIxEEEESE_SE_xNS9_10multipliesIxEENS9_8equal_toIxEExEE10hipError_tPvRmT2_T3_T4_T5_mT6_T7_P12ihipStream_tbENKUlT_T0_E_clISt17integral_constantIbLb1EESZ_EEDaSU_SV_EUlSU_E_NS1_11comp_targetILNS1_3genE5ELNS1_11target_archE942ELNS1_3gpuE9ELNS1_3repE0EEENS1_30default_config_static_selectorELNS0_4arch9wavefront6targetE1EEEvT1_, .Lfunc_end400-_ZN7rocprim17ROCPRIM_400000_NS6detail17trampoline_kernelINS0_14default_configENS1_27scan_by_key_config_selectorIxxEEZZNS1_16scan_by_key_implILNS1_25lookback_scan_determinismE0ELb1ES3_N6thrust23THRUST_200600_302600_NS6detail15normal_iteratorINS9_10device_ptrIxEEEESE_SE_xNS9_10multipliesIxEENS9_8equal_toIxEExEE10hipError_tPvRmT2_T3_T4_T5_mT6_T7_P12ihipStream_tbENKUlT_T0_E_clISt17integral_constantIbLb1EESZ_EEDaSU_SV_EUlSU_E_NS1_11comp_targetILNS1_3genE5ELNS1_11target_archE942ELNS1_3gpuE9ELNS1_3repE0EEENS1_30default_config_static_selectorELNS0_4arch9wavefront6targetE1EEEvT1_
                                        ; -- End function
	.section	.AMDGPU.csdata,"",@progbits
; Kernel info:
; codeLenInByte = 0
; NumSgprs: 4
; NumVgprs: 0
; NumAgprs: 0
; TotalNumVgprs: 0
; ScratchSize: 0
; MemoryBound: 0
; FloatMode: 240
; IeeeMode: 1
; LDSByteSize: 0 bytes/workgroup (compile time only)
; SGPRBlocks: 0
; VGPRBlocks: 0
; NumSGPRsForWavesPerEU: 4
; NumVGPRsForWavesPerEU: 1
; AccumOffset: 4
; Occupancy: 8
; WaveLimiterHint : 0
; COMPUTE_PGM_RSRC2:SCRATCH_EN: 0
; COMPUTE_PGM_RSRC2:USER_SGPR: 6
; COMPUTE_PGM_RSRC2:TRAP_HANDLER: 0
; COMPUTE_PGM_RSRC2:TGID_X_EN: 1
; COMPUTE_PGM_RSRC2:TGID_Y_EN: 0
; COMPUTE_PGM_RSRC2:TGID_Z_EN: 0
; COMPUTE_PGM_RSRC2:TIDIG_COMP_CNT: 0
; COMPUTE_PGM_RSRC3_GFX90A:ACCUM_OFFSET: 0
; COMPUTE_PGM_RSRC3_GFX90A:TG_SPLIT: 0
	.section	.text._ZN7rocprim17ROCPRIM_400000_NS6detail17trampoline_kernelINS0_14default_configENS1_27scan_by_key_config_selectorIxxEEZZNS1_16scan_by_key_implILNS1_25lookback_scan_determinismE0ELb1ES3_N6thrust23THRUST_200600_302600_NS6detail15normal_iteratorINS9_10device_ptrIxEEEESE_SE_xNS9_10multipliesIxEENS9_8equal_toIxEExEE10hipError_tPvRmT2_T3_T4_T5_mT6_T7_P12ihipStream_tbENKUlT_T0_E_clISt17integral_constantIbLb1EESZ_EEDaSU_SV_EUlSU_E_NS1_11comp_targetILNS1_3genE4ELNS1_11target_archE910ELNS1_3gpuE8ELNS1_3repE0EEENS1_30default_config_static_selectorELNS0_4arch9wavefront6targetE1EEEvT1_,"axG",@progbits,_ZN7rocprim17ROCPRIM_400000_NS6detail17trampoline_kernelINS0_14default_configENS1_27scan_by_key_config_selectorIxxEEZZNS1_16scan_by_key_implILNS1_25lookback_scan_determinismE0ELb1ES3_N6thrust23THRUST_200600_302600_NS6detail15normal_iteratorINS9_10device_ptrIxEEEESE_SE_xNS9_10multipliesIxEENS9_8equal_toIxEExEE10hipError_tPvRmT2_T3_T4_T5_mT6_T7_P12ihipStream_tbENKUlT_T0_E_clISt17integral_constantIbLb1EESZ_EEDaSU_SV_EUlSU_E_NS1_11comp_targetILNS1_3genE4ELNS1_11target_archE910ELNS1_3gpuE8ELNS1_3repE0EEENS1_30default_config_static_selectorELNS0_4arch9wavefront6targetE1EEEvT1_,comdat
	.protected	_ZN7rocprim17ROCPRIM_400000_NS6detail17trampoline_kernelINS0_14default_configENS1_27scan_by_key_config_selectorIxxEEZZNS1_16scan_by_key_implILNS1_25lookback_scan_determinismE0ELb1ES3_N6thrust23THRUST_200600_302600_NS6detail15normal_iteratorINS9_10device_ptrIxEEEESE_SE_xNS9_10multipliesIxEENS9_8equal_toIxEExEE10hipError_tPvRmT2_T3_T4_T5_mT6_T7_P12ihipStream_tbENKUlT_T0_E_clISt17integral_constantIbLb1EESZ_EEDaSU_SV_EUlSU_E_NS1_11comp_targetILNS1_3genE4ELNS1_11target_archE910ELNS1_3gpuE8ELNS1_3repE0EEENS1_30default_config_static_selectorELNS0_4arch9wavefront6targetE1EEEvT1_ ; -- Begin function _ZN7rocprim17ROCPRIM_400000_NS6detail17trampoline_kernelINS0_14default_configENS1_27scan_by_key_config_selectorIxxEEZZNS1_16scan_by_key_implILNS1_25lookback_scan_determinismE0ELb1ES3_N6thrust23THRUST_200600_302600_NS6detail15normal_iteratorINS9_10device_ptrIxEEEESE_SE_xNS9_10multipliesIxEENS9_8equal_toIxEExEE10hipError_tPvRmT2_T3_T4_T5_mT6_T7_P12ihipStream_tbENKUlT_T0_E_clISt17integral_constantIbLb1EESZ_EEDaSU_SV_EUlSU_E_NS1_11comp_targetILNS1_3genE4ELNS1_11target_archE910ELNS1_3gpuE8ELNS1_3repE0EEENS1_30default_config_static_selectorELNS0_4arch9wavefront6targetE1EEEvT1_
	.globl	_ZN7rocprim17ROCPRIM_400000_NS6detail17trampoline_kernelINS0_14default_configENS1_27scan_by_key_config_selectorIxxEEZZNS1_16scan_by_key_implILNS1_25lookback_scan_determinismE0ELb1ES3_N6thrust23THRUST_200600_302600_NS6detail15normal_iteratorINS9_10device_ptrIxEEEESE_SE_xNS9_10multipliesIxEENS9_8equal_toIxEExEE10hipError_tPvRmT2_T3_T4_T5_mT6_T7_P12ihipStream_tbENKUlT_T0_E_clISt17integral_constantIbLb1EESZ_EEDaSU_SV_EUlSU_E_NS1_11comp_targetILNS1_3genE4ELNS1_11target_archE910ELNS1_3gpuE8ELNS1_3repE0EEENS1_30default_config_static_selectorELNS0_4arch9wavefront6targetE1EEEvT1_
	.p2align	8
	.type	_ZN7rocprim17ROCPRIM_400000_NS6detail17trampoline_kernelINS0_14default_configENS1_27scan_by_key_config_selectorIxxEEZZNS1_16scan_by_key_implILNS1_25lookback_scan_determinismE0ELb1ES3_N6thrust23THRUST_200600_302600_NS6detail15normal_iteratorINS9_10device_ptrIxEEEESE_SE_xNS9_10multipliesIxEENS9_8equal_toIxEExEE10hipError_tPvRmT2_T3_T4_T5_mT6_T7_P12ihipStream_tbENKUlT_T0_E_clISt17integral_constantIbLb1EESZ_EEDaSU_SV_EUlSU_E_NS1_11comp_targetILNS1_3genE4ELNS1_11target_archE910ELNS1_3gpuE8ELNS1_3repE0EEENS1_30default_config_static_selectorELNS0_4arch9wavefront6targetE1EEEvT1_,@function
_ZN7rocprim17ROCPRIM_400000_NS6detail17trampoline_kernelINS0_14default_configENS1_27scan_by_key_config_selectorIxxEEZZNS1_16scan_by_key_implILNS1_25lookback_scan_determinismE0ELb1ES3_N6thrust23THRUST_200600_302600_NS6detail15normal_iteratorINS9_10device_ptrIxEEEESE_SE_xNS9_10multipliesIxEENS9_8equal_toIxEExEE10hipError_tPvRmT2_T3_T4_T5_mT6_T7_P12ihipStream_tbENKUlT_T0_E_clISt17integral_constantIbLb1EESZ_EEDaSU_SV_EUlSU_E_NS1_11comp_targetILNS1_3genE4ELNS1_11target_archE910ELNS1_3gpuE8ELNS1_3repE0EEENS1_30default_config_static_selectorELNS0_4arch9wavefront6targetE1EEEvT1_: ; @_ZN7rocprim17ROCPRIM_400000_NS6detail17trampoline_kernelINS0_14default_configENS1_27scan_by_key_config_selectorIxxEEZZNS1_16scan_by_key_implILNS1_25lookback_scan_determinismE0ELb1ES3_N6thrust23THRUST_200600_302600_NS6detail15normal_iteratorINS9_10device_ptrIxEEEESE_SE_xNS9_10multipliesIxEENS9_8equal_toIxEExEE10hipError_tPvRmT2_T3_T4_T5_mT6_T7_P12ihipStream_tbENKUlT_T0_E_clISt17integral_constantIbLb1EESZ_EEDaSU_SV_EUlSU_E_NS1_11comp_targetILNS1_3genE4ELNS1_11target_archE910ELNS1_3gpuE8ELNS1_3repE0EEENS1_30default_config_static_selectorELNS0_4arch9wavefront6targetE1EEEvT1_
; %bb.0:
	s_load_dwordx8 s[56:63], s[4:5], 0x0
	s_load_dwordx2 s[68:69], s[4:5], 0x20
	s_load_dwordx8 s[48:55], s[4:5], 0x30
	s_load_dwordx2 s[70:71], s[4:5], 0x50
	v_cmp_ne_u32_e64 s[44:45], 0, v0
	v_cmp_eq_u32_e64 s[2:3], 0, v0
	s_and_saveexec_b64 s[0:1], s[2:3]
	s_cbranch_execz .LBB401_4
; %bb.1:
	s_mov_b64 s[8:9], exec
	v_mbcnt_lo_u32_b32 v1, s8, 0
	v_mbcnt_hi_u32_b32 v1, s9, v1
	v_cmp_eq_u32_e32 vcc, 0, v1
                                        ; implicit-def: $vgpr2
	s_and_saveexec_b64 s[6:7], vcc
	s_cbranch_execz .LBB401_3
; %bb.2:
	s_load_dwordx2 s[10:11], s[4:5], 0x80
	s_bcnt1_i32_b64 s8, s[8:9]
	v_mov_b32_e32 v2, 0
	v_mov_b32_e32 v3, s8
	s_waitcnt lgkmcnt(0)
	global_atomic_add v2, v2, v3, s[10:11] glc
.LBB401_3:
	s_or_b64 exec, exec, s[6:7]
	s_waitcnt vmcnt(0)
	v_readfirstlane_b32 s6, v2
	v_add_u32_e32 v1, s6, v1
	v_mov_b32_e32 v2, 0
	ds_write_b32 v2, v1
.LBB401_4:
	s_or_b64 exec, exec, s[0:1]
	s_load_dword s0, s[4:5], 0x58
	s_load_dwordx4 s[64:67], s[4:5], 0x60
	v_mov_b32_e32 v3, 0
	s_waitcnt lgkmcnt(0)
	s_lshl_b64 s[46:47], s[58:59], 3
	s_waitcnt lgkmcnt(0)
	; wave barrier
	ds_read_b32 v1, v3
	s_add_u32 s1, s56, s46
	s_addc_u32 s4, s57, s47
	s_add_u32 s5, s60, s46
	s_mul_i32 s7, s71, s0
	s_mul_hi_u32 s8, s70, s0
	s_addc_u32 s6, s61, s47
	s_add_i32 s7, s8, s7
	s_movk_i32 s8, 0x4c0
	s_waitcnt lgkmcnt(0)
	v_mul_lo_u32 v2, v1, s8
	v_lshlrev_b64 v[74:75], 3, v[2:3]
	v_mov_b32_e32 v2, s4
	v_add_co_u32_e32 v78, vcc, s1, v74
	v_addc_co_u32_e32 v79, vcc, v2, v75, vcc
	v_mov_b32_e32 v2, s6
	v_add_co_u32_e32 v84, vcc, s5, v74
	s_mul_i32 s0, s70, s0
	v_addc_co_u32_e32 v85, vcc, v2, v75, vcc
	v_mov_b32_e32 v3, s7
	v_add_co_u32_e32 v2, vcc, s0, v1
	s_add_u32 s6, s64, -1
	v_addc_co_u32_e32 v3, vcc, 0, v3, vcc
	s_addc_u32 s7, s65, -1
	v_cmp_le_u64_e64 s[0:1], s[6:7], v[2:3]
	v_readfirstlane_b32 s55, v1
	s_mov_b64 s[4:5], -1
	s_and_b64 vcc, exec, s[0:1]
	s_mul_i32 s33, s6, 0xfffffb40
	s_waitcnt lgkmcnt(0)
	; wave barrier
	s_waitcnt lgkmcnt(0)
	s_waitcnt lgkmcnt(0)
	; wave barrier
	s_cbranch_vccz .LBB401_63
; %bb.5:
	flat_load_dwordx2 v[2:3], v[78:79]
	s_add_i32 s60, s33, s54
	v_cmp_gt_u32_e32 vcc, s60, v0
	s_waitcnt vmcnt(0) lgkmcnt(0)
	v_pk_mov_b32 v[4:5], v[2:3], v[2:3] op_sel:[0,1]
	s_and_saveexec_b64 s[6:7], vcc
	s_cbranch_execz .LBB401_7
; %bb.6:
	v_lshlrev_b32_e32 v1, 3, v0
	v_add_co_u32_e64 v4, s[4:5], v78, v1
	v_addc_co_u32_e64 v5, s[4:5], 0, v79, s[4:5]
	flat_load_dwordx2 v[4:5], v[4:5]
.LBB401_7:
	s_or_b64 exec, exec, s[6:7]
	v_or_b32_e32 v1, 64, v0
	v_cmp_gt_u32_e64 s[6:7], s60, v1
	v_pk_mov_b32 v[6:7], v[2:3], v[2:3] op_sel:[0,1]
	s_and_saveexec_b64 s[8:9], s[6:7]
	s_cbranch_execz .LBB401_9
; %bb.8:
	v_lshlrev_b32_e32 v1, 3, v0
	v_add_co_u32_e64 v6, s[4:5], v78, v1
	v_addc_co_u32_e64 v7, s[4:5], 0, v79, s[4:5]
	flat_load_dwordx2 v[6:7], v[6:7] offset:512
.LBB401_9:
	s_or_b64 exec, exec, s[8:9]
	v_or_b32_e32 v1, 0x80, v0
	v_cmp_gt_u32_e64 s[8:9], s60, v1
	v_pk_mov_b32 v[8:9], v[2:3], v[2:3] op_sel:[0,1]
	s_and_saveexec_b64 s[10:11], s[8:9]
	s_cbranch_execz .LBB401_11
; %bb.10:
	v_lshlrev_b32_e32 v1, 3, v0
	v_add_co_u32_e64 v8, s[4:5], v78, v1
	v_addc_co_u32_e64 v9, s[4:5], 0, v79, s[4:5]
	flat_load_dwordx2 v[8:9], v[8:9] offset:1024
.LBB401_11:
	;; [unrolled: 12-line block ×7, first 2 shown]
	s_or_b64 exec, exec, s[20:21]
	v_or_b32_e32 v1, 0x200, v0
	v_cmp_gt_u32_e64 s[20:21], s60, v1
	v_pk_mov_b32 v[20:21], v[2:3], v[2:3] op_sel:[0,1]
	s_and_saveexec_b64 s[22:23], s[20:21]
	s_cbranch_execz .LBB401_23
; %bb.22:
	v_lshlrev_b32_e32 v20, 3, v1
	v_add_co_u32_e64 v20, s[4:5], v78, v20
	v_addc_co_u32_e64 v21, s[4:5], 0, v79, s[4:5]
	flat_load_dwordx2 v[20:21], v[20:21]
.LBB401_23:
	s_or_b64 exec, exec, s[22:23]
	v_or_b32_e32 v60, 0x240, v0
	v_cmp_gt_u32_e64 s[22:23], s60, v60
	v_pk_mov_b32 v[22:23], v[2:3], v[2:3] op_sel:[0,1]
	s_and_saveexec_b64 s[24:25], s[22:23]
	s_cbranch_execz .LBB401_25
; %bb.24:
	v_lshlrev_b32_e32 v22, 3, v60
	v_add_co_u32_e64 v22, s[4:5], v78, v22
	v_addc_co_u32_e64 v23, s[4:5], 0, v79, s[4:5]
	flat_load_dwordx2 v[22:23], v[22:23]
.LBB401_25:
	;; [unrolled: 12-line block ×10, first 2 shown]
	s_or_b64 exec, exec, s[42:43]
	v_or_b32_e32 v88, 0x480, v0
	v_cmp_gt_u32_e64 s[42:43], s60, v88
	s_and_saveexec_b64 s[56:57], s[42:43]
	s_cbranch_execz .LBB401_43
; %bb.42:
	v_lshlrev_b32_e32 v2, 3, v88
	v_add_co_u32_e64 v2, s[4:5], v78, v2
	v_addc_co_u32_e64 v3, s[4:5], 0, v79, s[4:5]
	flat_load_dwordx2 v[2:3], v[2:3]
.LBB401_43:
	s_or_b64 exec, exec, s[56:57]
	v_lshlrev_b32_e32 v89, 3, v0
	s_waitcnt vmcnt(0) lgkmcnt(0)
	ds_write2st64_b64 v89, v[4:5], v[6:7] offset1:1
	ds_write2st64_b64 v89, v[8:9], v[10:11] offset0:2 offset1:3
	ds_write2st64_b64 v89, v[12:13], v[14:15] offset0:4 offset1:5
	;; [unrolled: 1-line block ×8, first 2 shown]
	ds_write_b64 v89, v[2:3] offset:9216
	s_waitcnt lgkmcnt(0)
	; wave barrier
	s_waitcnt lgkmcnt(0)
	flat_load_dwordx2 v[82:83], v[78:79]
	s_movk_i32 s4, 0x90
	v_mad_u32_u24 v86, v0, s4, v89
	s_movk_i32 s4, 0xff70
	v_mad_i32_i24 v38, v0, s4, v86
	v_cmp_ne_u32_e64 s[4:5], 63, v0
	ds_read_b64 v[40:41], v86
	ds_read2_b64 v[34:37], v86 offset0:1 offset1:2
	ds_read2_b64 v[30:33], v86 offset0:3 offset1:4
	;; [unrolled: 1-line block ×9, first 2 shown]
	s_waitcnt lgkmcnt(0)
	ds_write_b64 v38, v[40:41] offset:10240
	s_waitcnt lgkmcnt(0)
	; wave barrier
	s_waitcnt lgkmcnt(0)
	s_and_saveexec_b64 s[56:57], s[4:5]
	s_cbranch_execz .LBB401_45
; %bb.44:
	s_waitcnt vmcnt(0)
	ds_read_b64 v[82:83], v89 offset:10248
.LBB401_45:
	s_or_b64 exec, exec, s[56:57]
	s_waitcnt lgkmcnt(0)
	; wave barrier
	s_waitcnt lgkmcnt(0)
                                        ; implicit-def: $vgpr38_vgpr39
	s_and_saveexec_b64 s[4:5], vcc
	s_cbranch_execz .LBB401_64
; %bb.46:
	v_add_co_u32_e32 v38, vcc, v84, v89
	v_addc_co_u32_e32 v39, vcc, 0, v85, vcc
	flat_load_dwordx2 v[38:39], v[38:39]
	s_or_b64 exec, exec, s[4:5]
                                        ; implicit-def: $vgpr42_vgpr43
	s_and_saveexec_b64 s[4:5], s[6:7]
	s_cbranch_execnz .LBB401_65
.LBB401_47:
	s_or_b64 exec, exec, s[4:5]
                                        ; implicit-def: $vgpr44_vgpr45
	s_and_saveexec_b64 s[4:5], s[8:9]
	s_cbranch_execz .LBB401_66
.LBB401_48:
	v_add_co_u32_e32 v44, vcc, v84, v89
	v_addc_co_u32_e32 v45, vcc, 0, v85, vcc
	flat_load_dwordx2 v[44:45], v[44:45] offset:1024
	s_or_b64 exec, exec, s[4:5]
                                        ; implicit-def: $vgpr46_vgpr47
	s_and_saveexec_b64 s[4:5], s[10:11]
	s_cbranch_execnz .LBB401_67
.LBB401_49:
	s_or_b64 exec, exec, s[4:5]
                                        ; implicit-def: $vgpr48_vgpr49
	s_and_saveexec_b64 s[4:5], s[12:13]
	s_cbranch_execz .LBB401_68
.LBB401_50:
	v_add_co_u32_e32 v48, vcc, v84, v89
	v_addc_co_u32_e32 v49, vcc, 0, v85, vcc
	flat_load_dwordx2 v[48:49], v[48:49] offset:2048
	s_or_b64 exec, exec, s[4:5]
                                        ; implicit-def: $vgpr50_vgpr51
	s_and_saveexec_b64 s[4:5], s[14:15]
	s_cbranch_execnz .LBB401_69
.LBB401_51:
	s_or_b64 exec, exec, s[4:5]
                                        ; implicit-def: $vgpr52_vgpr53
	s_and_saveexec_b64 s[4:5], s[16:17]
	s_cbranch_execz .LBB401_70
.LBB401_52:
	v_add_co_u32_e32 v52, vcc, v84, v89
	v_addc_co_u32_e32 v53, vcc, 0, v85, vcc
	flat_load_dwordx2 v[52:53], v[52:53] offset:3072
	s_or_b64 exec, exec, s[4:5]
                                        ; implicit-def: $vgpr54_vgpr55
	s_and_saveexec_b64 s[4:5], s[18:19]
	s_cbranch_execnz .LBB401_71
.LBB401_53:
	s_or_b64 exec, exec, s[4:5]
                                        ; implicit-def: $vgpr56_vgpr57
	s_and_saveexec_b64 s[4:5], s[20:21]
	s_cbranch_execz .LBB401_72
.LBB401_54:
	v_lshlrev_b32_e32 v1, 3, v1
	v_add_co_u32_e32 v56, vcc, v84, v1
	v_addc_co_u32_e32 v57, vcc, 0, v85, vcc
	flat_load_dwordx2 v[56:57], v[56:57]
	s_or_b64 exec, exec, s[4:5]
                                        ; implicit-def: $vgpr58_vgpr59
	s_and_saveexec_b64 s[4:5], s[22:23]
	s_cbranch_execnz .LBB401_73
.LBB401_55:
	s_or_b64 exec, exec, s[4:5]
                                        ; implicit-def: $vgpr60_vgpr61
	s_and_saveexec_b64 s[4:5], s[24:25]
	s_cbranch_execz .LBB401_74
.LBB401_56:
	v_lshlrev_b32_e32 v1, 3, v62
	v_add_co_u32_e32 v60, vcc, v84, v1
	v_addc_co_u32_e32 v61, vcc, 0, v85, vcc
	flat_load_dwordx2 v[60:61], v[60:61]
	s_or_b64 exec, exec, s[4:5]
                                        ; implicit-def: $vgpr62_vgpr63
	s_and_saveexec_b64 s[4:5], s[26:27]
	s_cbranch_execnz .LBB401_75
.LBB401_57:
	s_or_b64 exec, exec, s[4:5]
                                        ; implicit-def: $vgpr64_vgpr65
	s_and_saveexec_b64 s[4:5], s[28:29]
	s_cbranch_execz .LBB401_76
.LBB401_58:
	v_lshlrev_b32_e32 v1, 3, v66
	v_add_co_u32_e32 v64, vcc, v84, v1
	v_addc_co_u32_e32 v65, vcc, 0, v85, vcc
	flat_load_dwordx2 v[64:65], v[64:65]
	s_or_b64 exec, exec, s[4:5]
                                        ; implicit-def: $vgpr66_vgpr67
	s_and_saveexec_b64 s[4:5], s[30:31]
	s_cbranch_execnz .LBB401_77
.LBB401_59:
	s_or_b64 exec, exec, s[4:5]
                                        ; implicit-def: $vgpr68_vgpr69
	s_and_saveexec_b64 s[4:5], s[34:35]
	s_cbranch_execz .LBB401_78
.LBB401_60:
	v_lshlrev_b32_e32 v1, 3, v70
	v_add_co_u32_e32 v68, vcc, v84, v1
	v_addc_co_u32_e32 v69, vcc, 0, v85, vcc
	flat_load_dwordx2 v[68:69], v[68:69]
	s_or_b64 exec, exec, s[4:5]
                                        ; implicit-def: $vgpr70_vgpr71
	s_and_saveexec_b64 s[4:5], s[36:37]
	s_cbranch_execnz .LBB401_79
.LBB401_61:
	s_or_b64 exec, exec, s[4:5]
                                        ; implicit-def: $vgpr72_vgpr73
	s_and_saveexec_b64 s[4:5], s[38:39]
	s_cbranch_execz .LBB401_80
.LBB401_62:
	v_lshlrev_b32_e32 v1, 3, v76
	v_add_co_u32_e32 v72, vcc, v84, v1
	v_addc_co_u32_e32 v73, vcc, 0, v85, vcc
	flat_load_dwordx2 v[72:73], v[72:73]
	s_or_b64 exec, exec, s[4:5]
                                        ; implicit-def: $vgpr76_vgpr77
	s_and_saveexec_b64 s[4:5], s[40:41]
	s_cbranch_execz .LBB401_82
	s_branch .LBB401_81
.LBB401_63:
	s_mov_b64 s[10:11], 0
                                        ; implicit-def: $sgpr8_sgpr9
                                        ; implicit-def: $vgpr80_vgpr81
                                        ; implicit-def: $vgpr76_vgpr77
                                        ; implicit-def: $vgpr101
                                        ; implicit-def: $vgpr42_vgpr43
                                        ; implicit-def: $vgpr114
                                        ; implicit-def: $vgpr72_vgpr73
                                        ; implicit-def: $vgpr113
                                        ; implicit-def: $vgpr70_vgpr71
                                        ; implicit-def: $vgpr112
                                        ; implicit-def: $vgpr68_vgpr69
                                        ; implicit-def: $vgpr111
                                        ; implicit-def: $vgpr66_vgpr67
                                        ; implicit-def: $vgpr110
                                        ; implicit-def: $vgpr64_vgpr65
                                        ; implicit-def: $vgpr109
                                        ; implicit-def: $vgpr62_vgpr63
                                        ; implicit-def: $vgpr108
                                        ; implicit-def: $vgpr60_vgpr61
                                        ; implicit-def: $vgpr107
                                        ; implicit-def: $vgpr58_vgpr59
                                        ; implicit-def: $vgpr106
                                        ; implicit-def: $vgpr44_vgpr45
                                        ; implicit-def: $vgpr105
                                        ; implicit-def: $vgpr56_vgpr57
                                        ; implicit-def: $vgpr104
                                        ; implicit-def: $vgpr52_vgpr53
                                        ; implicit-def: $vgpr103
                                        ; implicit-def: $vgpr50_vgpr51
                                        ; implicit-def: $vgpr102
                                        ; implicit-def: $vgpr54_vgpr55
                                        ; implicit-def: $vgpr100
                                        ; implicit-def: $vgpr48_vgpr49
                                        ; implicit-def: $vgpr99
                                        ; implicit-def: $vgpr46_vgpr47
                                        ; implicit-def: $vgpr98
                                        ; implicit-def: $vgpr38_vgpr39
                                        ; implicit-def: $vgpr1
                                        ; implicit-def: $sgpr64
                                        ; implicit-def: $sgpr6_sgpr7
	s_and_b64 vcc, exec, s[4:5]
	v_lshlrev_b32_e32 v115, 3, v0
	s_cbranch_vccz .LBB401_128
	s_branch .LBB401_123
.LBB401_64:
	s_or_b64 exec, exec, s[4:5]
                                        ; implicit-def: $vgpr42_vgpr43
	s_and_saveexec_b64 s[4:5], s[6:7]
	s_cbranch_execz .LBB401_47
.LBB401_65:
	v_add_co_u32_e32 v42, vcc, v84, v89
	v_addc_co_u32_e32 v43, vcc, 0, v85, vcc
	flat_load_dwordx2 v[42:43], v[42:43] offset:512
	s_or_b64 exec, exec, s[4:5]
                                        ; implicit-def: $vgpr44_vgpr45
	s_and_saveexec_b64 s[4:5], s[8:9]
	s_cbranch_execnz .LBB401_48
.LBB401_66:
	s_or_b64 exec, exec, s[4:5]
                                        ; implicit-def: $vgpr46_vgpr47
	s_and_saveexec_b64 s[4:5], s[10:11]
	s_cbranch_execz .LBB401_49
.LBB401_67:
	v_add_co_u32_e32 v46, vcc, v84, v89
	v_addc_co_u32_e32 v47, vcc, 0, v85, vcc
	flat_load_dwordx2 v[46:47], v[46:47] offset:1536
	s_or_b64 exec, exec, s[4:5]
                                        ; implicit-def: $vgpr48_vgpr49
	s_and_saveexec_b64 s[4:5], s[12:13]
	s_cbranch_execnz .LBB401_50
.LBB401_68:
	s_or_b64 exec, exec, s[4:5]
                                        ; implicit-def: $vgpr50_vgpr51
	s_and_saveexec_b64 s[4:5], s[14:15]
	s_cbranch_execz .LBB401_51
.LBB401_69:
	v_add_co_u32_e32 v50, vcc, v84, v89
	v_addc_co_u32_e32 v51, vcc, 0, v85, vcc
	flat_load_dwordx2 v[50:51], v[50:51] offset:2560
	s_or_b64 exec, exec, s[4:5]
                                        ; implicit-def: $vgpr52_vgpr53
	s_and_saveexec_b64 s[4:5], s[16:17]
	s_cbranch_execnz .LBB401_52
.LBB401_70:
	s_or_b64 exec, exec, s[4:5]
                                        ; implicit-def: $vgpr54_vgpr55
	s_and_saveexec_b64 s[4:5], s[18:19]
	s_cbranch_execz .LBB401_53
.LBB401_71:
	v_add_co_u32_e32 v54, vcc, v84, v89
	v_addc_co_u32_e32 v55, vcc, 0, v85, vcc
	flat_load_dwordx2 v[54:55], v[54:55] offset:3584
	s_or_b64 exec, exec, s[4:5]
                                        ; implicit-def: $vgpr56_vgpr57
	s_and_saveexec_b64 s[4:5], s[20:21]
	s_cbranch_execnz .LBB401_54
.LBB401_72:
	s_or_b64 exec, exec, s[4:5]
                                        ; implicit-def: $vgpr58_vgpr59
	s_and_saveexec_b64 s[4:5], s[22:23]
	s_cbranch_execz .LBB401_55
.LBB401_73:
	v_lshlrev_b32_e32 v1, 3, v60
	v_add_co_u32_e32 v58, vcc, v84, v1
	v_addc_co_u32_e32 v59, vcc, 0, v85, vcc
	flat_load_dwordx2 v[58:59], v[58:59]
	s_or_b64 exec, exec, s[4:5]
                                        ; implicit-def: $vgpr60_vgpr61
	s_and_saveexec_b64 s[4:5], s[24:25]
	s_cbranch_execnz .LBB401_56
.LBB401_74:
	s_or_b64 exec, exec, s[4:5]
                                        ; implicit-def: $vgpr62_vgpr63
	s_and_saveexec_b64 s[4:5], s[26:27]
	s_cbranch_execz .LBB401_57
.LBB401_75:
	v_lshlrev_b32_e32 v1, 3, v64
	v_add_co_u32_e32 v62, vcc, v84, v1
	v_addc_co_u32_e32 v63, vcc, 0, v85, vcc
	flat_load_dwordx2 v[62:63], v[62:63]
	s_or_b64 exec, exec, s[4:5]
                                        ; implicit-def: $vgpr64_vgpr65
	s_and_saveexec_b64 s[4:5], s[28:29]
	s_cbranch_execnz .LBB401_58
.LBB401_76:
	s_or_b64 exec, exec, s[4:5]
                                        ; implicit-def: $vgpr66_vgpr67
	s_and_saveexec_b64 s[4:5], s[30:31]
	s_cbranch_execz .LBB401_59
.LBB401_77:
	v_lshlrev_b32_e32 v1, 3, v68
	v_add_co_u32_e32 v66, vcc, v84, v1
	v_addc_co_u32_e32 v67, vcc, 0, v85, vcc
	flat_load_dwordx2 v[66:67], v[66:67]
	s_or_b64 exec, exec, s[4:5]
                                        ; implicit-def: $vgpr68_vgpr69
	s_and_saveexec_b64 s[4:5], s[34:35]
	s_cbranch_execnz .LBB401_60
.LBB401_78:
	s_or_b64 exec, exec, s[4:5]
                                        ; implicit-def: $vgpr70_vgpr71
	s_and_saveexec_b64 s[4:5], s[36:37]
	s_cbranch_execz .LBB401_61
.LBB401_79:
	v_lshlrev_b32_e32 v1, 3, v72
	v_add_co_u32_e32 v70, vcc, v84, v1
	v_addc_co_u32_e32 v71, vcc, 0, v85, vcc
	flat_load_dwordx2 v[70:71], v[70:71]
	s_or_b64 exec, exec, s[4:5]
                                        ; implicit-def: $vgpr72_vgpr73
	s_and_saveexec_b64 s[4:5], s[38:39]
	s_cbranch_execnz .LBB401_62
.LBB401_80:
	s_or_b64 exec, exec, s[4:5]
                                        ; implicit-def: $vgpr76_vgpr77
	s_and_saveexec_b64 s[4:5], s[40:41]
	s_cbranch_execz .LBB401_82
.LBB401_81:
	v_lshlrev_b32_e32 v1, 3, v80
	v_add_co_u32_e32 v76, vcc, v84, v1
	v_addc_co_u32_e32 v77, vcc, 0, v85, vcc
	flat_load_dwordx2 v[76:77], v[76:77]
.LBB401_82:
	s_or_b64 exec, exec, s[4:5]
	v_mul_u32_u24_e32 v87, 19, v0
                                        ; implicit-def: $vgpr80_vgpr81
	s_and_saveexec_b64 s[4:5], s[42:43]
	s_cbranch_execz .LBB401_84
; %bb.83:
	v_lshlrev_b32_e32 v1, 3, v88
	v_add_co_u32_e32 v80, vcc, v84, v1
	v_addc_co_u32_e32 v81, vcc, 0, v85, vcc
	flat_load_dwordx2 v[80:81], v[80:81]
.LBB401_84:
	s_or_b64 exec, exec, s[4:5]
	s_waitcnt vmcnt(0) lgkmcnt(0)
	ds_write2st64_b64 v89, v[38:39], v[42:43] offset1:1
	ds_write2st64_b64 v89, v[44:45], v[46:47] offset0:2 offset1:3
	ds_write2st64_b64 v89, v[48:49], v[50:51] offset0:4 offset1:5
	;; [unrolled: 1-line block ×8, first 2 shown]
	ds_write_b64 v89, v[80:81] offset:9216
	v_pk_mov_b32 v[76:77], 0, 0
	v_cmp_gt_u32_e32 vcc, s60, v87
	s_mov_b64 s[10:11], 0
	s_mov_b32 s64, 0
	s_mov_b64 s[4:5], 0
	v_mov_b32_e32 v101, 0
	v_pk_mov_b32 v[42:43], v[76:77], v[76:77] op_sel:[0,1]
	v_mov_b32_e32 v114, 0
	v_pk_mov_b32 v[72:73], v[76:77], v[76:77] op_sel:[0,1]
	;; [unrolled: 2-line block ×17, first 2 shown]
	v_mov_b32_e32 v1, 0
	s_waitcnt lgkmcnt(0)
	; wave barrier
	s_waitcnt lgkmcnt(0)
                                        ; implicit-def: $sgpr8_sgpr9
                                        ; implicit-def: $vgpr80_vgpr81
	s_and_saveexec_b64 s[6:7], vcc
	s_cbranch_execz .LBB401_122
; %bb.85:
	ds_read_b64 v[38:39], v86
	v_cmp_ne_u64_e32 vcc, v[40:41], v[34:35]
	v_mov_b32_e32 v40, s69
	v_add_u32_e32 v42, 1, v87
	v_cndmask_b32_e64 v1, 0, 1, vcc
	s_waitcnt lgkmcnt(0)
	v_cndmask_b32_e32 v77, v39, v40, vcc
	v_mov_b32_e32 v39, s68
	v_cndmask_b32_e32 v76, v38, v39, vcc
	v_cmp_gt_u32_e32 vcc, s60, v42
	v_pk_mov_b32 v[42:43], 0, 0
	s_mov_b64 s[12:13], 0
	v_mov_b32_e32 v101, 0
	v_mov_b32_e32 v114, 0
	v_pk_mov_b32 v[72:73], v[42:43], v[42:43] op_sel:[0,1]
	v_mov_b32_e32 v113, 0
	v_pk_mov_b32 v[70:71], v[42:43], v[42:43] op_sel:[0,1]
	;; [unrolled: 2-line block ×16, first 2 shown]
                                        ; implicit-def: $sgpr14_sgpr15
                                        ; implicit-def: $vgpr80_vgpr81
	s_and_saveexec_b64 s[8:9], vcc
	s_cbranch_execz .LBB401_121
; %bb.86:
	ds_read2_b64 v[38:41], v86 offset0:1 offset1:2
	v_cmp_ne_u64_e32 vcc, v[34:35], v[36:37]
	v_mov_b32_e32 v34, s69
	v_add_u32_e32 v42, 2, v87
	v_cndmask_b32_e64 v98, 0, 1, vcc
	s_waitcnt lgkmcnt(0)
	v_cndmask_b32_e32 v39, v39, v34, vcc
	v_mov_b32_e32 v34, s68
	v_cndmask_b32_e32 v38, v38, v34, vcc
	v_cmp_gt_u32_e32 vcc, s60, v42
	v_pk_mov_b32 v[42:43], 0, 0
	s_mov_b64 s[14:15], 0
	v_mov_b32_e32 v101, 0
	v_mov_b32_e32 v114, 0
	v_pk_mov_b32 v[72:73], v[42:43], v[42:43] op_sel:[0,1]
	v_mov_b32_e32 v113, 0
	v_pk_mov_b32 v[70:71], v[42:43], v[42:43] op_sel:[0,1]
	;; [unrolled: 2-line block ×15, first 2 shown]
                                        ; implicit-def: $sgpr16_sgpr17
                                        ; implicit-def: $vgpr80_vgpr81
	s_and_saveexec_b64 s[10:11], vcc
	s_cbranch_execz .LBB401_120
; %bb.87:
	v_cmp_ne_u64_e32 vcc, v[36:37], v[30:31]
	v_mov_b32_e32 v35, s69
	v_add_u32_e32 v34, 3, v87
	v_cndmask_b32_e32 v47, v41, v35, vcc
	v_mov_b32_e32 v35, s68
	v_pk_mov_b32 v[42:43], 0, 0
	v_cndmask_b32_e64 v99, 0, 1, vcc
	v_cndmask_b32_e32 v46, v40, v35, vcc
	v_cmp_gt_u32_e32 vcc, s60, v34
	s_mov_b64 s[16:17], 0
	v_mov_b32_e32 v101, 0
	v_mov_b32_e32 v114, 0
	v_pk_mov_b32 v[72:73], v[42:43], v[42:43] op_sel:[0,1]
	v_mov_b32_e32 v113, 0
	v_pk_mov_b32 v[70:71], v[42:43], v[42:43] op_sel:[0,1]
	;; [unrolled: 2-line block ×14, first 2 shown]
                                        ; implicit-def: $sgpr18_sgpr19
                                        ; implicit-def: $vgpr80_vgpr81
	s_and_saveexec_b64 s[12:13], vcc
	s_cbranch_execz .LBB401_119
; %bb.88:
	ds_read2_b64 v[34:37], v86 offset0:3 offset1:4
	v_cmp_ne_u64_e32 vcc, v[30:31], v[32:33]
	v_mov_b32_e32 v30, s69
	v_add_u32_e32 v40, 4, v87
	v_pk_mov_b32 v[42:43], 0, 0
	s_waitcnt lgkmcnt(0)
	v_cndmask_b32_e32 v49, v35, v30, vcc
	v_mov_b32_e32 v30, s68
	v_cndmask_b32_e64 v100, 0, 1, vcc
	v_cndmask_b32_e32 v48, v34, v30, vcc
	v_cmp_gt_u32_e32 vcc, s60, v40
	s_mov_b64 s[18:19], 0
	v_mov_b32_e32 v101, 0
	v_mov_b32_e32 v114, 0
	v_pk_mov_b32 v[72:73], v[42:43], v[42:43] op_sel:[0,1]
	v_mov_b32_e32 v113, 0
	v_pk_mov_b32 v[70:71], v[42:43], v[42:43] op_sel:[0,1]
	;; [unrolled: 2-line block ×13, first 2 shown]
                                        ; implicit-def: $sgpr20_sgpr21
                                        ; implicit-def: $vgpr80_vgpr81
	s_and_saveexec_b64 s[14:15], vcc
	s_cbranch_execz .LBB401_118
; %bb.89:
	v_cmp_ne_u64_e32 vcc, v[32:33], v[26:27]
	v_mov_b32_e32 v31, s69
	v_add_u32_e32 v30, 5, v87
	v_cndmask_b32_e32 v55, v37, v31, vcc
	v_mov_b32_e32 v31, s68
	v_pk_mov_b32 v[42:43], 0, 0
	v_cndmask_b32_e64 v102, 0, 1, vcc
	v_cndmask_b32_e32 v54, v36, v31, vcc
	v_cmp_gt_u32_e32 vcc, s60, v30
	s_mov_b64 s[20:21], 0
	v_mov_b32_e32 v101, 0
	v_mov_b32_e32 v114, 0
	v_pk_mov_b32 v[72:73], v[42:43], v[42:43] op_sel:[0,1]
	v_mov_b32_e32 v113, 0
	v_pk_mov_b32 v[70:71], v[42:43], v[42:43] op_sel:[0,1]
	;; [unrolled: 2-line block ×12, first 2 shown]
                                        ; implicit-def: $sgpr22_sgpr23
                                        ; implicit-def: $vgpr80_vgpr81
	s_and_saveexec_b64 s[16:17], vcc
	s_cbranch_execz .LBB401_117
; %bb.90:
	ds_read2_b64 v[30:33], v86 offset0:5 offset1:6
	v_cmp_ne_u64_e32 vcc, v[26:27], v[28:29]
	v_mov_b32_e32 v26, s69
	v_add_u32_e32 v34, 6, v87
	v_pk_mov_b32 v[42:43], 0, 0
	s_waitcnt lgkmcnt(0)
	v_cndmask_b32_e32 v51, v31, v26, vcc
	v_mov_b32_e32 v26, s68
	v_cndmask_b32_e64 v103, 0, 1, vcc
	v_cndmask_b32_e32 v50, v30, v26, vcc
	v_cmp_gt_u32_e32 vcc, s60, v34
	s_mov_b64 s[22:23], 0
	v_mov_b32_e32 v101, 0
	v_mov_b32_e32 v114, 0
	v_pk_mov_b32 v[72:73], v[42:43], v[42:43] op_sel:[0,1]
	v_mov_b32_e32 v113, 0
	v_pk_mov_b32 v[70:71], v[42:43], v[42:43] op_sel:[0,1]
	;; [unrolled: 2-line block ×11, first 2 shown]
                                        ; implicit-def: $sgpr24_sgpr25
                                        ; implicit-def: $vgpr80_vgpr81
	s_and_saveexec_b64 s[18:19], vcc
	s_cbranch_execz .LBB401_116
; %bb.91:
	v_cmp_ne_u64_e32 vcc, v[28:29], v[22:23]
	v_mov_b32_e32 v27, s69
	v_add_u32_e32 v26, 7, v87
	v_cndmask_b32_e32 v53, v33, v27, vcc
	v_mov_b32_e32 v27, s68
	v_pk_mov_b32 v[42:43], 0, 0
	v_cndmask_b32_e64 v104, 0, 1, vcc
	v_cndmask_b32_e32 v52, v32, v27, vcc
	v_cmp_gt_u32_e32 vcc, s60, v26
	s_mov_b64 s[24:25], 0
	v_mov_b32_e32 v101, 0
	v_mov_b32_e32 v114, 0
	v_pk_mov_b32 v[72:73], v[42:43], v[42:43] op_sel:[0,1]
	v_mov_b32_e32 v113, 0
	v_pk_mov_b32 v[70:71], v[42:43], v[42:43] op_sel:[0,1]
	;; [unrolled: 2-line block ×10, first 2 shown]
                                        ; implicit-def: $sgpr26_sgpr27
                                        ; implicit-def: $vgpr80_vgpr81
	s_and_saveexec_b64 s[20:21], vcc
	s_cbranch_execz .LBB401_115
; %bb.92:
	ds_read2_b64 v[26:29], v86 offset0:7 offset1:8
	v_cmp_ne_u64_e32 vcc, v[22:23], v[24:25]
	v_mov_b32_e32 v22, s69
	v_add_u32_e32 v30, 8, v87
	v_pk_mov_b32 v[42:43], 0, 0
	s_waitcnt lgkmcnt(0)
	v_cndmask_b32_e32 v57, v27, v22, vcc
	v_mov_b32_e32 v22, s68
	v_cndmask_b32_e64 v105, 0, 1, vcc
	v_cndmask_b32_e32 v56, v26, v22, vcc
	v_cmp_gt_u32_e32 vcc, s60, v30
	s_mov_b64 s[26:27], 0
	v_mov_b32_e32 v101, 0
	v_mov_b32_e32 v114, 0
	v_pk_mov_b32 v[72:73], v[42:43], v[42:43] op_sel:[0,1]
	v_mov_b32_e32 v113, 0
	v_pk_mov_b32 v[70:71], v[42:43], v[42:43] op_sel:[0,1]
	;; [unrolled: 2-line block ×9, first 2 shown]
                                        ; implicit-def: $sgpr28_sgpr29
                                        ; implicit-def: $vgpr80_vgpr81
	s_and_saveexec_b64 s[22:23], vcc
	s_cbranch_execz .LBB401_114
; %bb.93:
	v_cmp_ne_u64_e32 vcc, v[24:25], v[18:19]
	v_mov_b32_e32 v23, s69
	v_add_u32_e32 v22, 9, v87
	v_cndmask_b32_e32 v45, v29, v23, vcc
	v_mov_b32_e32 v23, s68
	v_pk_mov_b32 v[42:43], 0, 0
	v_cndmask_b32_e64 v106, 0, 1, vcc
	v_cndmask_b32_e32 v44, v28, v23, vcc
	v_cmp_gt_u32_e32 vcc, s60, v22
	s_mov_b64 s[28:29], 0
	v_mov_b32_e32 v101, 0
	v_mov_b32_e32 v114, 0
	v_pk_mov_b32 v[72:73], v[42:43], v[42:43] op_sel:[0,1]
	v_mov_b32_e32 v113, 0
	v_pk_mov_b32 v[70:71], v[42:43], v[42:43] op_sel:[0,1]
	;; [unrolled: 2-line block ×8, first 2 shown]
                                        ; implicit-def: $sgpr30_sgpr31
                                        ; implicit-def: $vgpr80_vgpr81
	s_and_saveexec_b64 s[24:25], vcc
	s_cbranch_execz .LBB401_113
; %bb.94:
	ds_read2_b64 v[22:25], v86 offset0:9 offset1:10
	v_cmp_ne_u64_e32 vcc, v[18:19], v[20:21]
	v_mov_b32_e32 v18, s69
	v_add_u32_e32 v26, 10, v87
	v_pk_mov_b32 v[42:43], 0, 0
	s_waitcnt lgkmcnt(0)
	v_cndmask_b32_e32 v59, v23, v18, vcc
	v_mov_b32_e32 v18, s68
	v_cndmask_b32_e64 v107, 0, 1, vcc
	v_cndmask_b32_e32 v58, v22, v18, vcc
	v_cmp_gt_u32_e32 vcc, s60, v26
	s_mov_b64 s[30:31], 0
	v_mov_b32_e32 v101, 0
	v_mov_b32_e32 v114, 0
	v_pk_mov_b32 v[72:73], v[42:43], v[42:43] op_sel:[0,1]
	v_mov_b32_e32 v113, 0
	v_pk_mov_b32 v[70:71], v[42:43], v[42:43] op_sel:[0,1]
	;; [unrolled: 2-line block ×7, first 2 shown]
                                        ; implicit-def: $sgpr34_sgpr35
                                        ; implicit-def: $vgpr80_vgpr81
	s_and_saveexec_b64 s[26:27], vcc
	s_cbranch_execz .LBB401_112
; %bb.95:
	v_cmp_ne_u64_e32 vcc, v[20:21], v[14:15]
	v_mov_b32_e32 v19, s69
	v_add_u32_e32 v18, 11, v87
	v_cndmask_b32_e32 v61, v25, v19, vcc
	v_mov_b32_e32 v19, s68
	v_pk_mov_b32 v[42:43], 0, 0
	v_cndmask_b32_e64 v108, 0, 1, vcc
	v_cndmask_b32_e32 v60, v24, v19, vcc
	v_cmp_gt_u32_e32 vcc, s60, v18
	s_mov_b64 s[34:35], 0
	v_mov_b32_e32 v101, 0
	v_mov_b32_e32 v114, 0
	v_pk_mov_b32 v[72:73], v[42:43], v[42:43] op_sel:[0,1]
	v_mov_b32_e32 v113, 0
	v_pk_mov_b32 v[70:71], v[42:43], v[42:43] op_sel:[0,1]
	;; [unrolled: 2-line block ×6, first 2 shown]
                                        ; implicit-def: $sgpr36_sgpr37
                                        ; implicit-def: $vgpr80_vgpr81
	s_and_saveexec_b64 s[28:29], vcc
	s_cbranch_execz .LBB401_111
; %bb.96:
	ds_read2_b64 v[18:21], v86 offset0:11 offset1:12
	v_cmp_ne_u64_e32 vcc, v[14:15], v[16:17]
	v_mov_b32_e32 v14, s69
	v_add_u32_e32 v22, 12, v87
	v_pk_mov_b32 v[42:43], 0, 0
	s_waitcnt lgkmcnt(0)
	v_cndmask_b32_e32 v63, v19, v14, vcc
	v_mov_b32_e32 v14, s68
	v_cndmask_b32_e64 v109, 0, 1, vcc
	v_cndmask_b32_e32 v62, v18, v14, vcc
	v_cmp_gt_u32_e32 vcc, s60, v22
	s_mov_b64 s[36:37], 0
	v_mov_b32_e32 v101, 0
	v_mov_b32_e32 v114, 0
	v_pk_mov_b32 v[72:73], v[42:43], v[42:43] op_sel:[0,1]
	v_mov_b32_e32 v113, 0
	v_pk_mov_b32 v[70:71], v[42:43], v[42:43] op_sel:[0,1]
	;; [unrolled: 2-line block ×5, first 2 shown]
                                        ; implicit-def: $sgpr38_sgpr39
                                        ; implicit-def: $vgpr80_vgpr81
	s_and_saveexec_b64 s[30:31], vcc
	s_cbranch_execz .LBB401_110
; %bb.97:
	v_cmp_ne_u64_e32 vcc, v[16:17], v[10:11]
	v_mov_b32_e32 v15, s69
	v_add_u32_e32 v14, 13, v87
	v_cndmask_b32_e32 v65, v21, v15, vcc
	v_mov_b32_e32 v15, s68
	v_pk_mov_b32 v[42:43], 0, 0
	v_cndmask_b32_e64 v110, 0, 1, vcc
	v_cndmask_b32_e32 v64, v20, v15, vcc
	v_cmp_gt_u32_e32 vcc, s60, v14
	s_mov_b64 s[38:39], 0
	v_mov_b32_e32 v101, 0
	v_mov_b32_e32 v114, 0
	v_pk_mov_b32 v[72:73], v[42:43], v[42:43] op_sel:[0,1]
	v_mov_b32_e32 v113, 0
	v_pk_mov_b32 v[70:71], v[42:43], v[42:43] op_sel:[0,1]
	v_mov_b32_e32 v112, 0
	v_pk_mov_b32 v[68:69], v[42:43], v[42:43] op_sel:[0,1]
	v_mov_b32_e32 v111, 0
	v_pk_mov_b32 v[66:67], v[42:43], v[42:43] op_sel:[0,1]
                                        ; implicit-def: $sgpr40_sgpr41
                                        ; implicit-def: $vgpr80_vgpr81
	s_and_saveexec_b64 s[34:35], vcc
	s_cbranch_execz .LBB401_109
; %bb.98:
	ds_read2_b64 v[14:17], v86 offset0:13 offset1:14
	v_cmp_ne_u64_e32 vcc, v[10:11], v[12:13]
	v_mov_b32_e32 v10, s69
	v_add_u32_e32 v18, 14, v87
	v_pk_mov_b32 v[42:43], 0, 0
	s_waitcnt lgkmcnt(0)
	v_cndmask_b32_e32 v67, v15, v10, vcc
	v_mov_b32_e32 v10, s68
	v_cndmask_b32_e64 v111, 0, 1, vcc
	v_cndmask_b32_e32 v66, v14, v10, vcc
	v_cmp_gt_u32_e32 vcc, s60, v18
	s_mov_b64 s[40:41], 0
	v_mov_b32_e32 v101, 0
	v_mov_b32_e32 v114, 0
	v_pk_mov_b32 v[72:73], v[42:43], v[42:43] op_sel:[0,1]
	v_mov_b32_e32 v113, 0
	v_pk_mov_b32 v[70:71], v[42:43], v[42:43] op_sel:[0,1]
	;; [unrolled: 2-line block ×3, first 2 shown]
                                        ; implicit-def: $sgpr42_sgpr43
                                        ; implicit-def: $vgpr80_vgpr81
	s_and_saveexec_b64 s[36:37], vcc
	s_cbranch_execz .LBB401_108
; %bb.99:
	v_cmp_ne_u64_e32 vcc, v[12:13], v[6:7]
	v_mov_b32_e32 v11, s69
	v_add_u32_e32 v10, 15, v87
	v_cndmask_b32_e32 v69, v17, v11, vcc
	v_mov_b32_e32 v11, s68
	v_pk_mov_b32 v[42:43], 0, 0
	v_cndmask_b32_e64 v112, 0, 1, vcc
	v_cndmask_b32_e32 v68, v16, v11, vcc
	v_cmp_gt_u32_e32 vcc, s60, v10
	s_mov_b64 s[42:43], 0
	v_mov_b32_e32 v101, 0
	v_mov_b32_e32 v114, 0
	v_pk_mov_b32 v[72:73], v[42:43], v[42:43] op_sel:[0,1]
	v_mov_b32_e32 v113, 0
	v_pk_mov_b32 v[70:71], v[42:43], v[42:43] op_sel:[0,1]
                                        ; implicit-def: $sgpr56_sgpr57
                                        ; implicit-def: $vgpr80_vgpr81
	s_and_saveexec_b64 s[38:39], vcc
	s_cbranch_execz .LBB401_107
; %bb.100:
	ds_read2_b64 v[10:13], v86 offset0:15 offset1:16
	v_cmp_ne_u64_e32 vcc, v[6:7], v[8:9]
	v_mov_b32_e32 v6, s69
	v_add_u32_e32 v14, 16, v87
	v_pk_mov_b32 v[42:43], 0, 0
	s_waitcnt lgkmcnt(0)
	v_cndmask_b32_e32 v71, v11, v6, vcc
	v_mov_b32_e32 v6, s68
	v_cndmask_b32_e64 v113, 0, 1, vcc
	v_cndmask_b32_e32 v70, v10, v6, vcc
	v_cmp_gt_u32_e32 vcc, s60, v14
	s_mov_b64 s[56:57], 0
	v_mov_b32_e32 v101, 0
	v_mov_b32_e32 v114, 0
	v_pk_mov_b32 v[72:73], v[42:43], v[42:43] op_sel:[0,1]
                                        ; implicit-def: $sgpr58_sgpr59
                                        ; implicit-def: $vgpr80_vgpr81
	s_and_saveexec_b64 s[40:41], vcc
	s_cbranch_execz .LBB401_106
; %bb.101:
	v_cmp_ne_u64_e32 vcc, v[8:9], v[2:3]
	v_mov_b32_e32 v7, s69
	v_add_u32_e32 v6, 17, v87
	v_cndmask_b32_e32 v73, v13, v7, vcc
	v_mov_b32_e32 v7, s68
	v_cndmask_b32_e64 v114, 0, 1, vcc
	v_cndmask_b32_e32 v72, v12, v7, vcc
	v_cmp_gt_u32_e32 vcc, s60, v6
	v_mov_b32_e32 v101, 0
	v_pk_mov_b32 v[42:43], 0, 0
                                        ; implicit-def: $sgpr58_sgpr59
                                        ; implicit-def: $vgpr80_vgpr81
	s_and_saveexec_b64 s[42:43], vcc
	s_cbranch_execz .LBB401_105
; %bb.102:
	ds_read2_b64 v[6:9], v86 offset0:17 offset1:18
	v_cmp_ne_u64_e32 vcc, v[2:3], v[4:5]
	v_mov_b32_e32 v2, s69
	v_add_u32_e32 v10, 18, v87
	v_cndmask_b32_e64 v101, 0, 1, vcc
	s_waitcnt lgkmcnt(0)
	v_cndmask_b32_e32 v43, v7, v2, vcc
	v_mov_b32_e32 v2, s68
	v_cndmask_b32_e32 v42, v6, v2, vcc
	v_cmp_gt_u32_e32 vcc, s60, v10
                                        ; implicit-def: $sgpr58_sgpr59
                                        ; implicit-def: $vgpr80_vgpr81
	s_and_saveexec_b64 s[60:61], vcc
	s_xor_b64 s[60:61], exec, s[60:61]
; %bb.103:
	v_mov_b32_e32 v2, s69
	v_cmp_ne_u64_e32 vcc, v[4:5], v[82:83]
	v_cndmask_b32_e32 v81, v9, v2, vcc
	v_mov_b32_e32 v2, s68
	s_mov_b64 s[56:57], exec
	v_cndmask_b32_e32 v80, v8, v2, vcc
	s_and_b64 s[58:59], vcc, exec
; %bb.104:
	s_or_b64 exec, exec, s[60:61]
	s_and_b64 s[58:59], s[58:59], exec
	s_and_b64 s[56:57], s[56:57], exec
.LBB401_105:
	s_or_b64 exec, exec, s[42:43]
	s_and_b64 s[58:59], s[58:59], exec
	s_and_b64 s[42:43], s[56:57], exec
.LBB401_106:
	s_or_b64 exec, exec, s[40:41]
	s_and_b64 s[56:57], s[58:59], exec
	s_and_b64 s[40:41], s[42:43], exec
.LBB401_107:
	s_or_b64 exec, exec, s[38:39]
	s_and_b64 s[42:43], s[56:57], exec
	s_and_b64 s[38:39], s[40:41], exec
.LBB401_108:
	s_or_b64 exec, exec, s[36:37]
	s_and_b64 s[40:41], s[42:43], exec
	s_and_b64 s[36:37], s[38:39], exec
.LBB401_109:
	s_or_b64 exec, exec, s[34:35]
	s_and_b64 s[38:39], s[40:41], exec
	s_and_b64 s[34:35], s[36:37], exec
.LBB401_110:
	s_or_b64 exec, exec, s[30:31]
	s_and_b64 s[36:37], s[38:39], exec
	s_and_b64 s[30:31], s[34:35], exec
.LBB401_111:
	s_or_b64 exec, exec, s[28:29]
	s_and_b64 s[34:35], s[36:37], exec
	s_and_b64 s[28:29], s[30:31], exec
.LBB401_112:
	s_or_b64 exec, exec, s[26:27]
	s_and_b64 s[30:31], s[34:35], exec
	s_and_b64 s[26:27], s[28:29], exec
.LBB401_113:
	s_or_b64 exec, exec, s[24:25]
	s_and_b64 s[28:29], s[30:31], exec
	s_and_b64 s[24:25], s[26:27], exec
.LBB401_114:
	s_or_b64 exec, exec, s[22:23]
	s_and_b64 s[26:27], s[28:29], exec
	s_and_b64 s[22:23], s[24:25], exec
.LBB401_115:
	s_or_b64 exec, exec, s[20:21]
	s_and_b64 s[24:25], s[26:27], exec
	s_and_b64 s[20:21], s[22:23], exec
.LBB401_116:
	s_or_b64 exec, exec, s[18:19]
	s_and_b64 s[22:23], s[24:25], exec
	s_and_b64 s[18:19], s[20:21], exec
.LBB401_117:
	s_or_b64 exec, exec, s[16:17]
	s_and_b64 s[20:21], s[22:23], exec
	s_and_b64 s[16:17], s[18:19], exec
.LBB401_118:
	s_or_b64 exec, exec, s[14:15]
	s_and_b64 s[18:19], s[20:21], exec
	s_and_b64 s[14:15], s[16:17], exec
.LBB401_119:
	s_or_b64 exec, exec, s[12:13]
	s_and_b64 s[16:17], s[18:19], exec
	s_and_b64 s[12:13], s[14:15], exec
.LBB401_120:
	s_or_b64 exec, exec, s[10:11]
	s_and_b64 s[14:15], s[16:17], exec
	s_and_b64 s[10:11], s[12:13], exec
.LBB401_121:
	s_or_b64 exec, exec, s[8:9]
	s_and_b64 s[8:9], s[14:15], exec
	s_and_b64 s[10:11], s[10:11], exec
.LBB401_122:
	s_or_b64 exec, exec, s[6:7]
	s_mov_b64 s[6:7], 0
	s_and_b64 vcc, exec, s[4:5]
	v_lshlrev_b32_e32 v115, 3, v0
	s_cbranch_vccz .LBB401_128
.LBB401_123:
	v_add_co_u32_e32 v2, vcc, v78, v115
	v_addc_co_u32_e32 v3, vcc, 0, v79, vcc
	v_add_co_u32_e32 v20, vcc, 0x1000, v2
	v_addc_co_u32_e32 v21, vcc, 0, v3, vcc
	flat_load_dwordx2 v[4:5], v[2:3]
	flat_load_dwordx2 v[6:7], v[2:3] offset:512
	flat_load_dwordx2 v[8:9], v[2:3] offset:1024
	;; [unrolled: 1-line block ×7, first 2 shown]
	v_add_co_u32_e32 v2, vcc, 0x2000, v2
	v_addc_co_u32_e32 v3, vcc, 0, v3, vcc
	flat_load_dwordx2 v[22:23], v[20:21]
	flat_load_dwordx2 v[24:25], v[20:21] offset:512
	flat_load_dwordx2 v[26:27], v[20:21] offset:1024
	;; [unrolled: 1-line block ×7, first 2 shown]
	s_nop 0
	flat_load_dwordx2 v[20:21], v[2:3]
	flat_load_dwordx2 v[38:39], v[2:3] offset:512
	flat_load_dwordx2 v[40:41], v[2:3] offset:1024
	v_add_co_u32_e32 v2, vcc, 0x2000, v78
	v_addc_co_u32_e32 v3, vcc, 0, v79, vcc
	s_movk_i32 s4, 0x90
	v_mad_u32_u24 v1, v0, s4, v115
	s_movk_i32 s4, 0xff70
	s_movk_i32 s7, 0x1000
	;; [unrolled: 1-line block ×3, first 2 shown]
	v_cmp_ne_u32_e32 vcc, 63, v0
	s_waitcnt vmcnt(0) lgkmcnt(0)
	ds_write2st64_b64 v115, v[4:5], v[6:7] offset1:1
	ds_write2st64_b64 v115, v[8:9], v[10:11] offset0:2 offset1:3
	ds_write2st64_b64 v115, v[12:13], v[14:15] offset0:4 offset1:5
	;; [unrolled: 1-line block ×8, first 2 shown]
	ds_write_b64 v115, v[40:41] offset:9216
	s_waitcnt lgkmcnt(0)
	; wave barrier
	s_waitcnt lgkmcnt(0)
	flat_load_dwordx2 v[78:79], v[2:3] offset:1536
	v_mad_i32_i24 v6, v0, s4, v1
	ds_read_b64 v[76:77], v1
	ds_read2_b64 v[70:73], v1 offset0:1 offset1:2
	ds_read2_b64 v[66:69], v1 offset0:3 offset1:4
	;; [unrolled: 1-line block ×9, first 2 shown]
	s_waitcnt lgkmcnt(0)
	ds_write_b64 v6, v[76:77] offset:10240
	s_waitcnt lgkmcnt(0)
	; wave barrier
	s_waitcnt lgkmcnt(0)
	s_and_saveexec_b64 s[4:5], vcc
	s_cbranch_execz .LBB401_125
; %bb.124:
	s_waitcnt vmcnt(0)
	ds_read_b64 v[78:79], v115 offset:10248
.LBB401_125:
	s_or_b64 exec, exec, s[4:5]
	v_add_co_u32_e32 v6, vcc, v84, v115
	v_addc_co_u32_e32 v7, vcc, 0, v85, vcc
	v_add_co_u32_e32 v36, vcc, s7, v6
	v_addc_co_u32_e32 v37, vcc, 0, v7, vcc
	s_waitcnt lgkmcnt(0)
	; wave barrier
	s_waitcnt lgkmcnt(0)
	flat_load_dwordx2 v[8:9], v[6:7]
	flat_load_dwordx2 v[14:15], v[6:7] offset:512
	flat_load_dwordx2 v[16:17], v[6:7] offset:1024
	;; [unrolled: 1-line block ×7, first 2 shown]
	v_add_co_u32_e32 v6, vcc, s6, v6
	v_addc_co_u32_e32 v7, vcc, 0, v7, vcc
	flat_load_dwordx2 v[42:43], v[36:37]
	flat_load_dwordx2 v[44:45], v[36:37] offset:512
	flat_load_dwordx2 v[50:51], v[36:37] offset:1024
	;; [unrolled: 1-line block ×7, first 2 shown]
	s_nop 0
	flat_load_dwordx2 v[36:37], v[6:7]
	flat_load_dwordx2 v[80:81], v[6:7] offset:512
	flat_load_dwordx2 v[82:83], v[6:7] offset:1024
	v_cmp_ne_u64_e32 vcc, v[76:77], v[70:71]
	v_cmp_eq_u64_e64 s[4:5], v[76:77], v[70:71]
	v_pk_mov_b32 v[76:77], s[68:69], s[68:69] op_sel:[0,1]
	s_waitcnt vmcnt(0) lgkmcnt(0)
	ds_write2st64_b64 v115, v[8:9], v[14:15] offset1:1
	ds_write2st64_b64 v115, v[16:17], v[22:23] offset0:2 offset1:3
	ds_write2st64_b64 v115, v[24:25], v[26:27] offset0:4 offset1:5
	;; [unrolled: 1-line block ×8, first 2 shown]
	ds_write_b64 v115, v[82:83] offset:9216
	s_waitcnt lgkmcnt(0)
	; wave barrier
	s_waitcnt lgkmcnt(0)
	ds_read2_b64 v[62:65], v1 offset0:1 offset1:2
	ds_read2_b64 v[58:61], v1 offset0:3 offset1:4
	ds_read2_b64 v[50:53], v1 offset0:5 offset1:6
	ds_read2_b64 v[42:45], v1 offset0:7 offset1:8
	ds_read2_b64 v[34:37], v1 offset0:9 offset1:10
	ds_read2_b64 v[26:29], v1 offset0:11 offset1:12
	ds_read2_b64 v[22:25], v1 offset0:13 offset1:14
	ds_read2_b64 v[14:17], v1 offset0:15 offset1:16
	ds_read2_b64 v[6:9], v1 offset0:17 offset1:18
	s_and_saveexec_b64 s[6:7], s[4:5]
	s_cbranch_execz .LBB401_127
; %bb.126:
	ds_read_b64 v[76:77], v1
.LBB401_127:
	s_or_b64 exec, exec, s[6:7]
	v_cmp_ne_u64_e64 s[8:9], v[68:69], v[54:55]
	v_cmp_ne_u64_e64 s[34:35], v[12:13], v[2:3]
	;; [unrolled: 1-line block ×3, first 2 shown]
	v_mov_b32_e32 v2, s69
	v_mov_b32_e32 v3, s68
	v_cndmask_b32_e64 v1, 0, 1, vcc
	v_cmp_ne_u64_e32 vcc, v[70:71], v[72:73]
	v_cmp_ne_u64_e64 s[4:5], v[72:73], v[66:67]
	v_cmp_ne_u64_e64 s[6:7], v[66:67], v[68:69]
	v_cndmask_b32_e64 v102, 0, 1, s[8:9]
	v_cmp_ne_u64_e64 s[10:11], v[54:55], v[56:57]
	v_cmp_ne_u64_e64 s[12:13], v[56:57], v[46:47]
	;; [unrolled: 1-line block ×11, first 2 shown]
	s_waitcnt lgkmcnt(7)
	v_cndmask_b32_e64 v55, v61, v2, s[8:9]
	v_cndmask_b32_e64 v54, v60, v3, s[8:9]
	v_cmp_ne_u64_e64 s[8:9], v[4:5], v[78:79]
	v_cndmask_b32_e64 v98, 0, 1, vcc
	v_cndmask_b32_e64 v99, 0, 1, s[4:5]
	v_cndmask_b32_e64 v100, 0, 1, s[6:7]
	;; [unrolled: 1-line block ×15, first 2 shown]
	v_cndmask_b32_e32 v39, v63, v2, vcc
	v_cndmask_b32_e32 v38, v62, v3, vcc
	v_cndmask_b32_e64 v47, v65, v2, s[4:5]
	v_cndmask_b32_e64 v46, v64, v3, s[4:5]
	v_cndmask_b32_e64 v49, v59, v2, s[6:7]
	v_cndmask_b32_e64 v48, v58, v3, s[6:7]
	s_waitcnt lgkmcnt(6)
	v_cndmask_b32_e64 v51, v51, v2, s[10:11]
	v_cndmask_b32_e64 v50, v50, v3, s[10:11]
	v_cndmask_b32_e64 v53, v53, v2, s[12:13]
	v_cndmask_b32_e64 v52, v52, v3, s[12:13]
	s_waitcnt lgkmcnt(5)
	;; [unrolled: 5-line block ×7, first 2 shown]
	v_cndmask_b32_e64 v43, v7, v2, s[36:37]
	v_cndmask_b32_e64 v42, v6, v3, s[36:37]
	;; [unrolled: 1-line block ×4, first 2 shown]
	s_mov_b64 s[10:11], -1
                                        ; implicit-def: $sgpr64
                                        ; implicit-def: $sgpr6_sgpr7
.LBB401_128:
	v_pk_mov_b32 v[40:41], s[6:7], s[6:7] op_sel:[0,1]
	v_mov_b32_e32 v116, s64
	s_and_saveexec_b64 s[4:5], s[10:11]
; %bb.129:
	v_cndmask_b32_e64 v116, 0, 1, s[8:9]
	v_pk_mov_b32 v[40:41], v[80:81], v[80:81] op_sel:[0,1]
; %bb.130:
	s_or_b64 exec, exec, s[4:5]
	v_or_b32_e32 v2, v116, v101
	s_cmp_lg_u32 s55, 0
	v_or_b32_e32 v118, v2, v114
	v_mbcnt_lo_u32_b32 v117, -1, 0
	s_waitcnt lgkmcnt(0)
	; wave barrier
	s_waitcnt lgkmcnt(0)
	s_cbranch_scc0 .LBB401_195
; %bb.131:
	v_mov_b32_e32 v4, 0
	v_cmp_eq_u16_sdwa s[40:41], v98, v4 src0_sel:BYTE_0 src1_sel:DWORD
	v_cndmask_b32_e64 v2, 1, v76, s[40:41]
	v_cndmask_b32_e64 v3, 0, v77, s[40:41]
	v_mul_lo_u32 v5, v3, v38
	v_mul_lo_u32 v6, v2, v39
	v_mad_u64_u32 v[2:3], s[4:5], v2, v38, 0
	v_add3_u32 v3, v3, v6, v5
	v_cmp_eq_u16_sdwa s[38:39], v99, v4 src0_sel:BYTE_0 src1_sel:DWORD
	v_cndmask_b32_e64 v3, 0, v3, s[38:39]
	v_cndmask_b32_e64 v2, 1, v2, s[38:39]
	v_mul_lo_u32 v5, v3, v46
	v_mul_lo_u32 v6, v2, v47
	v_mad_u64_u32 v[2:3], s[4:5], v2, v46, 0
	v_add3_u32 v3, v3, v6, v5
	;; [unrolled: 7-line block ×17, first 2 shown]
	v_cmp_eq_u16_sdwa vcc, v116, v4 src0_sel:BYTE_0 src1_sel:DWORD
	v_cndmask_b32_e32 v3, 0, v3, vcc
	v_cndmask_b32_e32 v2, 1, v2, vcc
	v_mul_lo_u32 v4, v3, v40
	v_mul_lo_u32 v5, v2, v41
	v_mad_u64_u32 v[2:3], s[4:5], v2, v40, 0
	v_add3_u32 v3, v3, v5, v4
	v_or_b32_e32 v4, v118, v113
	v_or_b32_e32 v4, v4, v112
	;; [unrolled: 1-line block ×16, first 2 shown]
	v_mbcnt_hi_u32_b32 v12, -1, v117
	v_and_b32_e32 v6, 1, v4
	v_and_b32_e32 v7, 15, v12
	v_cmp_eq_u32_e32 vcc, 1, v6
	v_mov_b32_dpp v10, v2 row_shr:1 row_mask:0xf bank_mask:0xf
	v_mov_b32_dpp v11, v3 row_shr:1 row_mask:0xf bank_mask:0xf
	;; [unrolled: 1-line block ×3, first 2 shown]
	v_cmp_ne_u32_e64 s[4:5], 0, v7
	v_pk_mov_b32 v[4:5], v[2:3], v[2:3] op_sel:[0,1]
	v_mov_b32_e32 v8, v6
	s_and_saveexec_b64 s[42:43], s[4:5]
; %bb.132:
	v_cndmask_b32_e64 v4, v11, 0, vcc
	v_cndmask_b32_e64 v5, v10, 1, vcc
	v_mul_lo_u32 v4, v4, v2
	v_mul_lo_u32 v8, v5, v3
	v_mad_u64_u32 v[2:3], s[4:5], v5, v2, 0
	v_add3_u32 v3, v3, v8, v4
	v_and_b32_e32 v4, 1, v9
	v_or_b32_e32 v6, v4, v6
	v_and_b32_e32 v8, 0xffff, v6
	v_pk_mov_b32 v[4:5], v[2:3], v[2:3] op_sel:[0,1]
; %bb.133:
	s_or_b64 exec, exec, s[42:43]
	v_mov_b32_dpp v10, v2 row_shr:2 row_mask:0xf bank_mask:0xf
	v_mov_b32_dpp v11, v3 row_shr:2 row_mask:0xf bank_mask:0xf
	v_mov_b32_dpp v9, v8 row_shr:2 row_mask:0xf bank_mask:0xf
	v_cmp_lt_u32_e32 vcc, 1, v7
	s_and_saveexec_b64 s[42:43], vcc
	s_cbranch_execz .LBB401_135
; %bb.134:
	v_cmp_eq_u16_e32 vcc, 0, v6
	v_cndmask_b32_e32 v2, 1, v10, vcc
	v_cndmask_b32_e32 v8, 0, v11, vcc
	v_mul_lo_u32 v5, v2, v5
	v_mad_u64_u32 v[2:3], s[4:5], v2, v4, 0
	v_mul_lo_u32 v4, v8, v4
	v_add3_u32 v3, v3, v5, v4
	v_and_b32_e32 v4, 1, v6
	v_cmp_eq_u32_e32 vcc, 1, v4
	v_and_b32_e32 v4, 1, v9
	v_cmp_eq_u32_e64 s[4:5], 1, v4
	s_or_b64 s[4:5], vcc, s[4:5]
	v_cndmask_b32_e64 v6, 0, 1, s[4:5]
	v_cndmask_b32_e64 v8, 0, 1, s[4:5]
	v_pk_mov_b32 v[4:5], v[2:3], v[2:3] op_sel:[0,1]
.LBB401_135:
	s_or_b64 exec, exec, s[42:43]
	v_mov_b32_dpp v10, v2 row_shr:4 row_mask:0xf bank_mask:0xf
	v_mov_b32_dpp v11, v3 row_shr:4 row_mask:0xf bank_mask:0xf
	v_mov_b32_dpp v9, v8 row_shr:4 row_mask:0xf bank_mask:0xf
	v_cmp_lt_u32_e32 vcc, 3, v7
	s_and_saveexec_b64 s[42:43], vcc
	s_cbranch_execz .LBB401_137
; %bb.136:
	v_cmp_eq_u16_e32 vcc, 0, v6
	v_cndmask_b32_e32 v2, 1, v10, vcc
	v_cndmask_b32_e32 v8, 0, v11, vcc
	v_mul_lo_u32 v5, v2, v5
	v_mad_u64_u32 v[2:3], s[4:5], v2, v4, 0
	v_mul_lo_u32 v4, v8, v4
	v_add3_u32 v3, v3, v5, v4
	v_and_b32_e32 v4, 1, v6
	v_cmp_eq_u32_e32 vcc, 1, v4
	v_and_b32_e32 v4, 1, v9
	v_cmp_eq_u32_e64 s[4:5], 1, v4
	s_or_b64 s[4:5], vcc, s[4:5]
	v_cndmask_b32_e64 v6, 0, 1, s[4:5]
	v_cndmask_b32_e64 v8, 0, 1, s[4:5]
	v_pk_mov_b32 v[4:5], v[2:3], v[2:3] op_sel:[0,1]
.LBB401_137:
	;; [unrolled: 24-line block ×3, first 2 shown]
	s_or_b64 exec, exec, s[42:43]
	v_and_b32_e32 v11, 16, v12
	v_mov_b32_dpp v9, v2 row_bcast:15 row_mask:0xf bank_mask:0xf
	v_mov_b32_dpp v10, v3 row_bcast:15 row_mask:0xf bank_mask:0xf
	;; [unrolled: 1-line block ×3, first 2 shown]
	v_cmp_ne_u32_e32 vcc, 0, v11
	s_and_saveexec_b64 s[42:43], vcc
	s_cbranch_execz .LBB401_141
; %bb.140:
	v_cmp_eq_u16_e32 vcc, 0, v6
	v_cndmask_b32_e32 v2, 1, v9, vcc
	v_cndmask_b32_e32 v8, 0, v10, vcc
	v_mul_lo_u32 v5, v2, v5
	v_mad_u64_u32 v[2:3], s[4:5], v2, v4, 0
	v_mul_lo_u32 v4, v8, v4
	v_add3_u32 v3, v3, v5, v4
	v_and_b32_e32 v4, 1, v6
	v_cmp_eq_u32_e32 vcc, 1, v4
	v_and_b32_e32 v4, 1, v7
	v_cmp_eq_u32_e64 s[4:5], 1, v4
	s_or_b64 s[4:5], vcc, s[4:5]
	v_cndmask_b32_e64 v6, 0, 1, s[4:5]
	v_cndmask_b32_e64 v8, 0, 1, s[4:5]
	v_pk_mov_b32 v[4:5], v[2:3], v[2:3] op_sel:[0,1]
.LBB401_141:
	s_or_b64 exec, exec, s[42:43]
	v_mov_b32_dpp v9, v2 row_bcast:31 row_mask:0xf bank_mask:0xf
	v_mov_b32_dpp v10, v3 row_bcast:31 row_mask:0xf bank_mask:0xf
	;; [unrolled: 1-line block ×3, first 2 shown]
	v_cmp_lt_u32_e32 vcc, 31, v12
	s_and_saveexec_b64 s[42:43], vcc
	s_cbranch_execz .LBB401_143
; %bb.142:
	v_cmp_eq_u16_e32 vcc, 0, v6
	v_cndmask_b32_e32 v2, 1, v9, vcc
	v_cndmask_b32_e32 v8, 0, v10, vcc
	v_mul_lo_u32 v5, v2, v5
	v_mad_u64_u32 v[2:3], s[4:5], v2, v4, 0
	v_mul_lo_u32 v4, v8, v4
	v_add3_u32 v3, v3, v5, v4
	v_and_b32_e32 v4, 1, v6
	v_cmp_eq_u32_e32 vcc, 1, v4
	v_and_b32_e32 v4, 1, v7
	v_cmp_eq_u32_e64 s[4:5], 1, v4
	s_or_b64 s[4:5], vcc, s[4:5]
	v_cndmask_b32_e64 v6, 0, 1, s[4:5]
	v_pk_mov_b32 v[4:5], v[2:3], v[2:3] op_sel:[0,1]
.LBB401_143:
	s_or_b64 exec, exec, s[42:43]
	v_cmp_eq_u32_e32 vcc, 63, v0
	s_and_saveexec_b64 s[4:5], vcc
	s_cbranch_execz .LBB401_145
; %bb.144:
	v_mov_b32_e32 v7, 0
	ds_write_b64 v7, v[4:5]
	ds_write_b8 v7, v6 offset:8
.LBB401_145:
	s_or_b64 exec, exec, s[4:5]
	v_add_u32_e32 v4, -1, v12
	v_and_b32_e32 v5, 64, v12
	v_cmp_lt_i32_e32 vcc, v4, v5
	v_cndmask_b32_e32 v4, v4, v12, vcc
	v_lshlrev_b32_e32 v4, 2, v4
	ds_bpermute_b32 v14, v4, v2
	v_and_b32_e32 v2, 0xffff, v6
	ds_bpermute_b32 v15, v4, v3
	ds_bpermute_b32 v16, v4, v2
	v_cmp_gt_u32_e32 vcc, 64, v0
	s_waitcnt lgkmcnt(0)
	; wave barrier
	s_waitcnt lgkmcnt(0)
	s_and_saveexec_b64 s[56:57], vcc
	s_cbranch_execz .LBB401_192
; %bb.146:
	v_mov_b32_e32 v7, 0
	ds_read_b64 v[2:3], v7
	ds_read_u8 v17, v7 offset:8
	s_mov_b32 s59, 0
	v_cmp_eq_u32_e64 s[42:43], 0, v12
	s_and_saveexec_b64 s[4:5], s[42:43]
	s_cbranch_execz .LBB401_148
; %bb.147:
	s_add_i32 s58, s55, 64
	s_lshl_b64 s[60:61], s[58:59], 4
	s_add_u32 s60, s48, s60
	s_addc_u32 s61, s49, s61
	v_mov_b32_e32 v4, s58
	v_mov_b32_e32 v5, 1
	s_waitcnt lgkmcnt(1)
	global_store_dwordx2 v7, v[2:3], s[60:61]
	s_waitcnt lgkmcnt(0)
	global_store_byte v7, v17, s[60:61] offset:8
	s_waitcnt vmcnt(0)
	buffer_wbinvl1_vol
	global_store_byte v4, v5, s[52:53]
.LBB401_148:
	s_or_b64 exec, exec, s[4:5]
	v_xad_u32 v4, v12, -1, s55
	v_add_u32_e32 v6, 64, v4
	global_load_ubyte v18, v6, s[52:53] glc
	s_waitcnt vmcnt(0)
	v_cmp_eq_u16_e32 vcc, 0, v18
	s_and_saveexec_b64 s[4:5], vcc
	s_cbranch_execz .LBB401_154
; %bb.149:
	v_mov_b32_e32 v5, s53
	v_add_co_u32_e32 v8, vcc, s52, v6
	v_addc_co_u32_e32 v9, vcc, 0, v5, vcc
	s_mov_b32 s60, 1
	s_mov_b64 s[58:59], 0
.LBB401_150:                            ; =>This Loop Header: Depth=1
                                        ;     Child Loop BB401_151 Depth 2
	s_max_u32 s61, s60, 1
.LBB401_151:                            ;   Parent Loop BB401_150 Depth=1
                                        ; =>  This Inner Loop Header: Depth=2
	s_add_i32 s61, s61, -1
	s_cmp_eq_u32 s61, 0
	s_sleep 1
	s_cbranch_scc0 .LBB401_151
; %bb.152:                              ;   in Loop: Header=BB401_150 Depth=1
	global_load_ubyte v18, v[8:9], off glc
	s_cmp_lt_u32 s60, 32
	s_cselect_b64 s[64:65], -1, 0
	s_cmp_lg_u64 s[64:65], 0
	s_addc_u32 s60, s60, 0
	s_waitcnt vmcnt(0)
	v_cmp_ne_u16_e32 vcc, 0, v18
	s_or_b64 s[58:59], vcc, s[58:59]
	s_andn2_b64 exec, exec, s[58:59]
	s_cbranch_execnz .LBB401_150
; %bb.153:
	s_or_b64 exec, exec, s[58:59]
.LBB401_154:
	s_or_b64 exec, exec, s[4:5]
	v_mov_b32_e32 v5, s51
	v_mov_b32_e32 v8, s49
	v_cmp_eq_u16_e32 vcc, 1, v18
	v_cndmask_b32_e32 v5, v5, v8, vcc
	v_mov_b32_e32 v8, s50
	v_mov_b32_e32 v9, s48
	v_cndmask_b32_e32 v8, v8, v9, vcc
	v_lshlrev_b64 v[6:7], 4, v[6:7]
	v_add_co_u32_e32 v6, vcc, v8, v6
	v_addc_co_u32_e32 v7, vcc, v5, v7, vcc
	s_waitcnt lgkmcnt(0)
	buffer_wbinvl1_vol
	global_load_dwordx2 v[10:11], v[6:7], off
	global_load_ubyte v13, v[6:7], off offset:8
	v_cmp_eq_u16_e32 vcc, 2, v18
	v_lshlrev_b64 v[6:7], v12, -1
	v_and_b32_e32 v19, 63, v12
	v_and_b32_e32 v5, vcc_hi, v7
	v_and_b32_e32 v8, vcc_lo, v6
	v_cmp_ne_u32_e32 vcc, 63, v19
	v_addc_co_u32_e32 v9, vcc, 0, v12, vcc
	v_lshlrev_b32_e32 v20, 2, v9
	v_or_b32_e32 v5, 0x80000000, v5
	v_ffbl_b32_e32 v5, v5
	v_ffbl_b32_e32 v8, v8
	v_add_u32_e32 v5, 32, v5
	v_min_u32_e32 v5, v8, v5
	v_cmp_lt_u32_e32 vcc, v19, v5
	s_waitcnt vmcnt(1)
	ds_bpermute_b32 v22, v20, v10
	s_waitcnt vmcnt(0)
	v_and_b32_e32 v30, 1, v13
	ds_bpermute_b32 v23, v20, v11
	ds_bpermute_b32 v21, v20, v30
	v_mov_b32_e32 v9, v11
	v_mov_b32_e32 v8, v10
	s_and_saveexec_b64 s[4:5], vcc
	s_cbranch_execz .LBB401_156
; %bb.155:
	v_mov_b32_e32 v8, 0
	v_cmp_eq_u16_sdwa vcc, v13, v8 src0_sel:BYTE_0 src1_sel:DWORD
	s_waitcnt lgkmcnt(2)
	v_cndmask_b32_e32 v8, 1, v22, vcc
	s_waitcnt lgkmcnt(1)
	v_cndmask_b32_e32 v22, 0, v23, vcc
	v_mul_lo_u32 v11, v8, v11
	v_mad_u64_u32 v[8:9], s[58:59], v8, v10, 0
	v_mul_lo_u32 v10, v22, v10
	v_add3_u32 v9, v9, v11, v10
	s_waitcnt lgkmcnt(0)
	v_and_b32_e32 v10, 1, v21
	v_or_b32_e32 v13, v10, v13
	v_and_b32_e32 v30, 0xff, v13
	v_pk_mov_b32 v[10:11], v[8:9], v[8:9] op_sel:[0,1]
.LBB401_156:
	s_or_b64 exec, exec, s[4:5]
	v_cmp_gt_u32_e32 vcc, 62, v19
	s_waitcnt lgkmcnt(0)
	v_cndmask_b32_e64 v21, 0, 1, vcc
	v_lshlrev_b32_e32 v21, 1, v21
	v_add_lshl_u32 v21, v21, v12, 2
	ds_bpermute_b32 v24, v21, v8
	ds_bpermute_b32 v25, v21, v9
	ds_bpermute_b32 v23, v21, v30
	v_add_u32_e32 v22, 2, v19
	v_cmp_le_u32_e32 vcc, v22, v5
	s_and_saveexec_b64 s[58:59], vcc
	s_cbranch_execz .LBB401_158
; %bb.157:
	v_mov_b32_e32 v8, 0
	v_cmp_eq_u16_sdwa vcc, v13, v8 src0_sel:BYTE_0 src1_sel:DWORD
	s_waitcnt lgkmcnt(2)
	v_cndmask_b32_e32 v8, 1, v24, vcc
	s_waitcnt lgkmcnt(1)
	v_cndmask_b32_e32 v24, 0, v25, vcc
	v_mul_lo_u32 v11, v8, v11
	v_mad_u64_u32 v[8:9], s[4:5], v8, v10, 0
	v_mul_lo_u32 v10, v24, v10
	v_add3_u32 v9, v9, v11, v10
	v_and_b32_e32 v10, 1, v13
	v_cmp_eq_u32_e32 vcc, 1, v10
	s_waitcnt lgkmcnt(0)
	v_and_b32_e32 v10, 1, v23
	v_cmp_eq_u32_e64 s[4:5], 1, v10
	s_or_b64 s[4:5], vcc, s[4:5]
	v_cndmask_b32_e64 v13, 0, 1, s[4:5]
	v_cndmask_b32_e64 v30, 0, 1, s[4:5]
	v_pk_mov_b32 v[10:11], v[8:9], v[8:9] op_sel:[0,1]
.LBB401_158:
	s_or_b64 exec, exec, s[58:59]
	v_cmp_gt_u32_e32 vcc, 60, v19
	s_waitcnt lgkmcnt(0)
	v_cndmask_b32_e64 v23, 0, 1, vcc
	v_lshlrev_b32_e32 v23, 2, v23
	v_add_lshl_u32 v23, v23, v12, 2
	ds_bpermute_b32 v26, v23, v8
	ds_bpermute_b32 v27, v23, v9
	ds_bpermute_b32 v25, v23, v30
	v_add_u32_e32 v24, 4, v19
	v_cmp_le_u32_e32 vcc, v24, v5
	s_and_saveexec_b64 s[58:59], vcc
	s_cbranch_execz .LBB401_160
; %bb.159:
	v_mov_b32_e32 v8, 0
	v_cmp_eq_u16_sdwa vcc, v13, v8 src0_sel:BYTE_0 src1_sel:DWORD
	s_waitcnt lgkmcnt(2)
	v_cndmask_b32_e32 v8, 1, v26, vcc
	s_waitcnt lgkmcnt(1)
	v_cndmask_b32_e32 v26, 0, v27, vcc
	v_mul_lo_u32 v11, v8, v11
	v_mad_u64_u32 v[8:9], s[4:5], v8, v10, 0
	v_mul_lo_u32 v10, v26, v10
	v_add3_u32 v9, v9, v11, v10
	v_and_b32_e32 v10, 1, v13
	v_cmp_eq_u32_e32 vcc, 1, v10
	s_waitcnt lgkmcnt(0)
	v_and_b32_e32 v10, 1, v25
	v_cmp_eq_u32_e64 s[4:5], 1, v10
	s_or_b64 s[4:5], vcc, s[4:5]
	v_cndmask_b32_e64 v13, 0, 1, s[4:5]
	v_cndmask_b32_e64 v30, 0, 1, s[4:5]
	v_pk_mov_b32 v[10:11], v[8:9], v[8:9] op_sel:[0,1]
.LBB401_160:
	;; [unrolled: 34-line block ×4, first 2 shown]
	s_or_b64 exec, exec, s[58:59]
	v_cmp_gt_u32_e32 vcc, 32, v19
	s_waitcnt lgkmcnt(0)
	v_cndmask_b32_e64 v29, 0, 1, vcc
	v_lshlrev_b32_e32 v29, 5, v29
	v_add_lshl_u32 v29, v29, v12, 2
	ds_bpermute_b32 v12, v29, v8
	ds_bpermute_b32 v9, v29, v9
	;; [unrolled: 1-line block ×3, first 2 shown]
	v_add_u32_e32 v31, 32, v19
	v_cmp_le_u32_e32 vcc, v31, v5
	s_and_saveexec_b64 s[58:59], vcc
	s_cbranch_execz .LBB401_166
; %bb.165:
	v_mov_b32_e32 v5, 0
	v_cmp_eq_u16_sdwa vcc, v13, v5 src0_sel:BYTE_0 src1_sel:DWORD
	s_waitcnt lgkmcnt(2)
	v_cndmask_b32_e32 v5, 1, v12, vcc
	s_waitcnt lgkmcnt(1)
	v_cndmask_b32_e32 v9, 0, v9, vcc
	v_mul_lo_u32 v11, v5, v11
	v_mad_u64_u32 v[32:33], s[4:5], v5, v10, 0
	v_mul_lo_u32 v5, v9, v10
	v_add3_u32 v33, v33, v11, v5
	v_and_b32_e32 v5, 1, v13
	v_cmp_eq_u32_e32 vcc, 1, v5
	s_waitcnt lgkmcnt(0)
	v_and_b32_e32 v5, 1, v8
	v_cmp_eq_u32_e64 s[4:5], 1, v5
	s_or_b64 s[4:5], vcc, s[4:5]
	v_cndmask_b32_e64 v13, 0, 1, s[4:5]
	v_pk_mov_b32 v[10:11], v[32:33], v[32:33] op_sel:[0,1]
.LBB401_166:
	s_or_b64 exec, exec, s[58:59]
	v_mov_b32_e32 v5, 0
	v_mov_b32_e32 v32, 2
	s_branch .LBB401_168
.LBB401_167:                            ;   in Loop: Header=BB401_168 Depth=1
	s_or_b64 exec, exec, s[60:61]
	v_cmp_eq_u16_sdwa vcc, v30, v5 src0_sel:BYTE_0 src1_sel:DWORD
	s_waitcnt lgkmcnt(0)
	v_cndmask_b32_e32 v10, 1, v12, vcc
	v_cndmask_b32_e32 v11, 0, v13, vcc
	v_mul_lo_u32 v12, v11, v8
	v_mul_lo_u32 v13, v10, v9
	v_mad_u64_u32 v[10:11], s[4:5], v10, v8, 0
	v_add3_u32 v11, v11, v13, v12
	v_and_b32_e32 v12, 1, v30
	v_cmp_eq_u32_e32 vcc, 1, v12
	s_or_b64 s[4:5], vcc, s[58:59]
	v_subrev_u32_e32 v4, 64, v4
	v_cndmask_b32_e64 v13, 0, 1, s[4:5]
.LBB401_168:                            ; =>This Loop Header: Depth=1
                                        ;     Child Loop BB401_171 Depth 2
                                        ;       Child Loop BB401_172 Depth 3
	v_cmp_ne_u16_sdwa s[4:5], v18, v32 src0_sel:BYTE_0 src1_sel:DWORD
	s_waitcnt lgkmcnt(0)
	v_cndmask_b32_e64 v8, 0, 1, s[4:5]
	;;#ASMSTART
	;;#ASMEND
	v_cmp_ne_u32_e32 vcc, 0, v8
	v_mov_b32_e32 v30, v13
	s_cmp_lg_u64 vcc, exec
	v_pk_mov_b32 v[8:9], v[10:11], v[10:11] op_sel:[0,1]
	s_cbranch_scc1 .LBB401_187
; %bb.169:                              ;   in Loop: Header=BB401_168 Depth=1
	global_load_ubyte v18, v4, s[52:53] glc
	s_waitcnt vmcnt(0)
	v_cmp_eq_u16_e32 vcc, 0, v18
	s_and_saveexec_b64 s[4:5], vcc
	s_cbranch_execz .LBB401_175
; %bb.170:                              ;   in Loop: Header=BB401_168 Depth=1
	v_mov_b32_e32 v11, s53
	v_add_co_u32_e32 v10, vcc, s52, v4
	v_addc_co_u32_e32 v11, vcc, 0, v11, vcc
	s_mov_b32 s60, 1
	s_mov_b64 s[58:59], 0
.LBB401_171:                            ;   Parent Loop BB401_168 Depth=1
                                        ; =>  This Loop Header: Depth=2
                                        ;       Child Loop BB401_172 Depth 3
	s_max_u32 s61, s60, 1
.LBB401_172:                            ;   Parent Loop BB401_168 Depth=1
                                        ;     Parent Loop BB401_171 Depth=2
                                        ; =>    This Inner Loop Header: Depth=3
	s_add_i32 s61, s61, -1
	s_cmp_eq_u32 s61, 0
	s_sleep 1
	s_cbranch_scc0 .LBB401_172
; %bb.173:                              ;   in Loop: Header=BB401_171 Depth=2
	global_load_ubyte v18, v[10:11], off glc
	s_cmp_lt_u32 s60, 32
	s_cselect_b64 s[64:65], -1, 0
	s_cmp_lg_u64 s[64:65], 0
	s_addc_u32 s60, s60, 0
	s_waitcnt vmcnt(0)
	v_cmp_ne_u16_e32 vcc, 0, v18
	s_or_b64 s[58:59], vcc, s[58:59]
	s_andn2_b64 exec, exec, s[58:59]
	s_cbranch_execnz .LBB401_171
; %bb.174:                              ;   in Loop: Header=BB401_168 Depth=1
	s_or_b64 exec, exec, s[58:59]
.LBB401_175:                            ;   in Loop: Header=BB401_168 Depth=1
	s_or_b64 exec, exec, s[4:5]
	v_mov_b32_e32 v10, s51
	v_mov_b32_e32 v11, s49
	v_cmp_eq_u16_e32 vcc, 1, v18
	v_cndmask_b32_e32 v12, v10, v11, vcc
	v_mov_b32_e32 v10, s50
	v_mov_b32_e32 v11, s48
	v_cndmask_b32_e32 v13, v10, v11, vcc
	v_lshlrev_b64 v[10:11], 4, v[4:5]
	v_add_co_u32_e32 v10, vcc, v13, v10
	v_addc_co_u32_e32 v11, vcc, v12, v11, vcc
	buffer_wbinvl1_vol
	global_load_dwordx2 v[12:13], v[10:11], off
	global_load_ubyte v33, v[10:11], off offset:8
	v_cmp_eq_u16_e32 vcc, 2, v18
	v_and_b32_e32 v10, vcc_hi, v7
	v_or_b32_e32 v10, 0x80000000, v10
	v_and_b32_e32 v11, vcc_lo, v6
	v_ffbl_b32_e32 v10, v10
	v_ffbl_b32_e32 v11, v11
	v_add_u32_e32 v10, 32, v10
	v_min_u32_e32 v34, v11, v10
	v_cmp_lt_u32_e32 vcc, v19, v34
	s_waitcnt vmcnt(1)
	ds_bpermute_b32 v37, v20, v12
	s_waitcnt vmcnt(0)
	v_and_b32_e32 v35, 1, v33
	ds_bpermute_b32 v78, v20, v13
	ds_bpermute_b32 v36, v20, v35
	v_mov_b32_e32 v11, v13
	v_mov_b32_e32 v10, v12
	s_and_saveexec_b64 s[4:5], vcc
	s_cbranch_execz .LBB401_177
; %bb.176:                              ;   in Loop: Header=BB401_168 Depth=1
	v_cmp_eq_u16_sdwa vcc, v33, v5 src0_sel:BYTE_0 src1_sel:DWORD
	s_waitcnt lgkmcnt(2)
	v_cndmask_b32_e32 v10, 1, v37, vcc
	s_waitcnt lgkmcnt(1)
	v_cndmask_b32_e32 v35, 0, v78, vcc
	v_mul_lo_u32 v13, v10, v13
	v_mad_u64_u32 v[10:11], s[58:59], v10, v12, 0
	v_mul_lo_u32 v12, v35, v12
	v_add3_u32 v11, v11, v13, v12
	s_waitcnt lgkmcnt(0)
	v_and_b32_e32 v12, 1, v36
	v_or_b32_e32 v33, v12, v33
	v_and_b32_e32 v35, 0xff, v33
	v_pk_mov_b32 v[12:13], v[10:11], v[10:11] op_sel:[0,1]
.LBB401_177:                            ;   in Loop: Header=BB401_168 Depth=1
	s_or_b64 exec, exec, s[4:5]
	s_waitcnt lgkmcnt(2)
	ds_bpermute_b32 v37, v21, v10
	s_waitcnt lgkmcnt(2)
	ds_bpermute_b32 v78, v21, v11
	;; [unrolled: 2-line block ×3, first 2 shown]
	v_and_b32_e32 v79, 1, v33
	v_cmp_le_u32_e32 vcc, v22, v34
	v_cmp_eq_u32_e64 s[58:59], 1, v79
	s_and_saveexec_b64 s[4:5], vcc
	s_cbranch_execz .LBB401_179
; %bb.178:                              ;   in Loop: Header=BB401_168 Depth=1
	v_cmp_eq_u16_sdwa vcc, v33, v5 src0_sel:BYTE_0 src1_sel:DWORD
	s_waitcnt lgkmcnt(2)
	v_cndmask_b32_e32 v10, 1, v37, vcc
	s_waitcnt lgkmcnt(1)
	v_cndmask_b32_e32 v33, 0, v78, vcc
	v_mul_lo_u32 v13, v10, v13
	v_mad_u64_u32 v[10:11], s[60:61], v10, v12, 0
	v_mul_lo_u32 v12, v33, v12
	v_add3_u32 v11, v11, v13, v12
	s_waitcnt lgkmcnt(0)
	v_and_b32_e32 v12, 1, v36
	v_cmp_eq_u32_e32 vcc, 1, v12
	s_or_b64 s[60:61], s[58:59], vcc
	v_cndmask_b32_e64 v33, 0, 1, s[60:61]
	v_cndmask_b32_e64 v35, 0, 1, s[60:61]
	s_andn2_b64 s[58:59], s[58:59], exec
	s_and_b64 s[60:61], s[60:61], exec
	s_or_b64 s[58:59], s[58:59], s[60:61]
	v_pk_mov_b32 v[12:13], v[10:11], v[10:11] op_sel:[0,1]
.LBB401_179:                            ;   in Loop: Header=BB401_168 Depth=1
	s_or_b64 exec, exec, s[4:5]
	s_waitcnt lgkmcnt(2)
	ds_bpermute_b32 v37, v23, v10
	s_waitcnt lgkmcnt(2)
	ds_bpermute_b32 v78, v23, v11
	s_waitcnt lgkmcnt(2)
	ds_bpermute_b32 v36, v23, v35
	v_cmp_le_u32_e32 vcc, v24, v34
	s_and_saveexec_b64 s[60:61], vcc
	s_cbranch_execz .LBB401_181
; %bb.180:                              ;   in Loop: Header=BB401_168 Depth=1
	v_cmp_eq_u16_sdwa vcc, v33, v5 src0_sel:BYTE_0 src1_sel:DWORD
	s_waitcnt lgkmcnt(2)
	v_cndmask_b32_e32 v10, 1, v37, vcc
	s_waitcnt lgkmcnt(1)
	v_cndmask_b32_e32 v35, 0, v78, vcc
	v_mul_lo_u32 v13, v10, v13
	v_mad_u64_u32 v[10:11], s[4:5], v10, v12, 0
	v_mul_lo_u32 v12, v35, v12
	v_add3_u32 v11, v11, v13, v12
	v_and_b32_e32 v12, 1, v33
	v_cmp_eq_u32_e32 vcc, 1, v12
	s_waitcnt lgkmcnt(0)
	v_and_b32_e32 v12, 1, v36
	v_cmp_eq_u32_e64 s[4:5], 1, v12
	s_or_b64 s[4:5], vcc, s[4:5]
	v_cndmask_b32_e64 v33, 0, 1, s[4:5]
	v_cndmask_b32_e64 v35, 0, 1, s[4:5]
	s_andn2_b64 s[58:59], s[58:59], exec
	s_and_b64 s[4:5], s[4:5], exec
	s_or_b64 s[58:59], s[58:59], s[4:5]
	v_pk_mov_b32 v[12:13], v[10:11], v[10:11] op_sel:[0,1]
.LBB401_181:                            ;   in Loop: Header=BB401_168 Depth=1
	s_or_b64 exec, exec, s[60:61]
	s_waitcnt lgkmcnt(2)
	ds_bpermute_b32 v37, v25, v10
	s_waitcnt lgkmcnt(2)
	ds_bpermute_b32 v78, v25, v11
	s_waitcnt lgkmcnt(2)
	ds_bpermute_b32 v36, v25, v35
	v_cmp_le_u32_e32 vcc, v26, v34
	s_and_saveexec_b64 s[60:61], vcc
	s_cbranch_execz .LBB401_183
; %bb.182:                              ;   in Loop: Header=BB401_168 Depth=1
	v_cmp_eq_u16_sdwa vcc, v33, v5 src0_sel:BYTE_0 src1_sel:DWORD
	s_waitcnt lgkmcnt(2)
	v_cndmask_b32_e32 v10, 1, v37, vcc
	s_waitcnt lgkmcnt(1)
	v_cndmask_b32_e32 v35, 0, v78, vcc
	v_mul_lo_u32 v13, v10, v13
	v_mad_u64_u32 v[10:11], s[4:5], v10, v12, 0
	v_mul_lo_u32 v12, v35, v12
	v_add3_u32 v11, v11, v13, v12
	v_and_b32_e32 v12, 1, v33
	v_cmp_eq_u32_e32 vcc, 1, v12
	s_waitcnt lgkmcnt(0)
	v_and_b32_e32 v12, 1, v36
	v_cmp_eq_u32_e64 s[4:5], 1, v12
	s_or_b64 s[4:5], vcc, s[4:5]
	v_cndmask_b32_e64 v33, 0, 1, s[4:5]
	v_cndmask_b32_e64 v35, 0, 1, s[4:5]
	s_andn2_b64 s[58:59], s[58:59], exec
	s_and_b64 s[4:5], s[4:5], exec
	s_or_b64 s[58:59], s[58:59], s[4:5]
	v_pk_mov_b32 v[12:13], v[10:11], v[10:11] op_sel:[0,1]
.LBB401_183:                            ;   in Loop: Header=BB401_168 Depth=1
	;; [unrolled: 33-line block ×3, first 2 shown]
	s_or_b64 exec, exec, s[60:61]
	s_waitcnt lgkmcnt(0)
	ds_bpermute_b32 v36, v29, v10
	ds_bpermute_b32 v11, v29, v11
	;; [unrolled: 1-line block ×3, first 2 shown]
	v_cmp_le_u32_e32 vcc, v31, v34
	s_and_saveexec_b64 s[60:61], vcc
	s_cbranch_execz .LBB401_167
; %bb.186:                              ;   in Loop: Header=BB401_168 Depth=1
	v_cmp_eq_u16_sdwa vcc, v33, v5 src0_sel:BYTE_0 src1_sel:DWORD
	s_waitcnt lgkmcnt(2)
	v_cndmask_b32_e32 v34, 1, v36, vcc
	s_waitcnt lgkmcnt(1)
	v_cndmask_b32_e32 v11, 0, v11, vcc
	v_mul_lo_u32 v13, v34, v13
	v_mad_u64_u32 v[34:35], s[4:5], v34, v12, 0
	v_mul_lo_u32 v11, v11, v12
	v_add3_u32 v35, v35, v13, v11
	v_and_b32_e32 v11, 1, v33
	s_waitcnt lgkmcnt(0)
	v_and_b32_e32 v10, 1, v10
	v_cmp_eq_u32_e32 vcc, 1, v11
	v_cmp_eq_u32_e64 s[4:5], 1, v10
	s_or_b64 s[4:5], vcc, s[4:5]
	s_andn2_b64 s[58:59], s[58:59], exec
	s_and_b64 s[4:5], s[4:5], exec
	s_or_b64 s[58:59], s[58:59], s[4:5]
	v_pk_mov_b32 v[12:13], v[34:35], v[34:35] op_sel:[0,1]
	s_branch .LBB401_167
.LBB401_187:                            ;   in Loop: Header=BB401_168 Depth=1
                                        ; implicit-def: $vgpr13
                                        ; implicit-def: $vgpr10_vgpr11
                                        ; implicit-def: $vgpr18
	s_cbranch_execz .LBB401_168
; %bb.188:
	s_and_saveexec_b64 s[4:5], s[42:43]
	s_cbranch_execz .LBB401_190
; %bb.189:
	v_mov_b32_e32 v4, 0
	v_cmp_eq_u16_sdwa vcc, v17, v4 src0_sel:BYTE_0 src1_sel:DWORD
	v_cndmask_b32_e32 v5, 1, v8, vcc
	v_cndmask_b32_e32 v6, 0, v9, vcc
	s_mov_b32 s43, 0
	v_mul_lo_u32 v6, v6, v2
	v_mul_lo_u32 v7, v5, v3
	v_mad_u64_u32 v[2:3], s[48:49], v5, v2, 0
	s_add_i32 s42, s55, 64
	s_lshl_b64 s[48:49], s[42:43], 4
	s_add_u32 s48, s50, s48
	v_add3_u32 v3, v3, v7, v6
	v_or_b32_e32 v5, v17, v30
	s_addc_u32 s49, s51, s49
	v_and_b32_e32 v5, 1, v5
	global_store_dwordx2 v4, v[2:3], s[48:49]
	global_store_byte v4, v5, s[48:49] offset:8
	v_mov_b32_e32 v2, s42
	v_mov_b32_e32 v3, 2
	s_waitcnt vmcnt(0)
	buffer_wbinvl1_vol
	global_store_byte v2, v3, s[52:53]
.LBB401_190:
	s_or_b64 exec, exec, s[4:5]
	s_and_b64 exec, exec, s[2:3]
	s_cbranch_execz .LBB401_192
; %bb.191:
	v_mov_b32_e32 v2, 0
	ds_write_b64 v2, v[8:9]
	ds_write_b8 v2, v30 offset:8
.LBB401_192:
	s_or_b64 exec, exec, s[56:57]
	v_mov_b32_e32 v2, 0
	s_waitcnt lgkmcnt(0)
	; wave barrier
	s_waitcnt lgkmcnt(0)
	ds_read_b64 v[78:79], v2
	s_and_saveexec_b64 s[4:5], s[44:45]
	s_cbranch_execz .LBB401_194
; %bb.193:
	v_cmp_eq_u32_sdwa vcc, v16, v2 src0_sel:BYTE_0 src1_sel:DWORD
	s_waitcnt lgkmcnt(0)
	v_cndmask_b32_e32 v3, 1, v78, vcc
	v_cndmask_b32_e32 v4, 0, v79, vcc
	v_mul_lo_u32 v4, v4, v14
	v_mul_lo_u32 v5, v3, v15
	v_mad_u64_u32 v[78:79], s[42:43], v3, v14, 0
	v_add3_u32 v79, v79, v5, v4
.LBB401_194:
	s_or_b64 exec, exec, s[4:5]
	v_cmp_eq_u16_sdwa vcc, v1, v2 src0_sel:BYTE_0 src1_sel:DWORD
	s_waitcnt lgkmcnt(0)
	v_cndmask_b32_e32 v2, 1, v78, vcc
	v_cndmask_b32_e32 v3, 0, v79, vcc
	v_mul_lo_u32 v3, v3, v76
	v_mul_lo_u32 v6, v2, v77
	v_mad_u64_u32 v[4:5], s[4:5], v2, v76, 0
	v_add3_u32 v5, v5, v6, v3
	v_cndmask_b32_e64 v2, 0, v5, s[40:41]
	v_cndmask_b32_e64 v3, 1, v4, s[40:41]
	v_mul_lo_u32 v2, v2, v38
	v_mul_lo_u32 v8, v3, v39
	v_mad_u64_u32 v[6:7], s[4:5], v3, v38, 0
	v_add3_u32 v7, v7, v8, v2
	v_cndmask_b32_e64 v2, 0, v7, s[38:39]
	v_cndmask_b32_e64 v3, 1, v6, s[38:39]
	;; [unrolled: 6-line block ×17, first 2 shown]
	s_branch .LBB401_215
.LBB401_195:
                                        ; implicit-def: $vgpr78_vgpr79
                                        ; implicit-def: $vgpr96_vgpr97
                                        ; implicit-def: $vgpr94_vgpr95
                                        ; implicit-def: $vgpr92_vgpr93
                                        ; implicit-def: $vgpr90_vgpr91
                                        ; implicit-def: $vgpr88_vgpr89
                                        ; implicit-def: $vgpr86_vgpr87
                                        ; implicit-def: $vgpr84_vgpr85
                                        ; implicit-def: $vgpr82_vgpr83
                                        ; implicit-def: $vgpr80_vgpr81
                                        ; implicit-def: $vgpr34_vgpr35_vgpr36_vgpr37
                                        ; implicit-def: $vgpr30_vgpr31_vgpr32_vgpr33
                                        ; implicit-def: $vgpr26_vgpr27_vgpr28_vgpr29
                                        ; implicit-def: $vgpr22_vgpr23_vgpr24_vgpr25
                                        ; implicit-def: $vgpr18_vgpr19_vgpr20_vgpr21
                                        ; implicit-def: $vgpr14_vgpr15_vgpr16_vgpr17
                                        ; implicit-def: $vgpr10_vgpr11_vgpr12_vgpr13
                                        ; implicit-def: $vgpr6_vgpr7_vgpr8_vgpr9
                                        ; implicit-def: $vgpr2_vgpr3_vgpr4_vgpr5
	s_cbranch_execz .LBB401_215
; %bb.196:
	s_cmp_lg_u64 s[70:71], 0
	s_cselect_b32 s5, s67, 0
	s_cselect_b32 s4, s66, 0
	s_cmp_eq_u64 s[4:5], 0
	v_pk_mov_b32 v[2:3], s[68:69], s[68:69] op_sel:[0,1]
	s_cbranch_scc1 .LBB401_198
; %bb.197:
	v_mov_b32_e32 v2, 0
	global_load_dwordx2 v[2:3], v2, s[4:5]
.LBB401_198:
	v_mov_b32_e32 v6, 0
	v_cmp_eq_u16_sdwa vcc, v98, v6 src0_sel:BYTE_0 src1_sel:DWORD
	v_cndmask_b32_e32 v4, 1, v76, vcc
	v_cndmask_b32_e32 v5, 0, v77, vcc
	v_mul_lo_u32 v7, v5, v38
	v_mul_lo_u32 v8, v4, v39
	v_mad_u64_u32 v[4:5], s[4:5], v4, v38, 0
	v_add3_u32 v5, v5, v8, v7
	v_cmp_eq_u16_sdwa s[4:5], v99, v6 src0_sel:BYTE_0 src1_sel:DWORD
	v_cndmask_b32_e64 v5, 0, v5, s[4:5]
	v_cndmask_b32_e64 v4, 1, v4, s[4:5]
	v_mul_lo_u32 v7, v5, v46
	v_mul_lo_u32 v8, v4, v47
	v_mad_u64_u32 v[4:5], s[6:7], v4, v46, 0
	v_add3_u32 v5, v5, v8, v7
	v_cmp_eq_u16_sdwa s[6:7], v100, v6 src0_sel:BYTE_0 src1_sel:DWORD
	v_cndmask_b32_e64 v5, 0, v5, s[6:7]
	v_cndmask_b32_e64 v4, 1, v4, s[6:7]
	v_mul_lo_u32 v7, v5, v48
	v_mul_lo_u32 v8, v4, v49
	v_mad_u64_u32 v[4:5], s[8:9], v4, v48, 0
	v_add3_u32 v5, v5, v8, v7
	v_cmp_eq_u16_sdwa s[8:9], v102, v6 src0_sel:BYTE_0 src1_sel:DWORD
	v_cndmask_b32_e64 v5, 0, v5, s[8:9]
	v_cndmask_b32_e64 v4, 1, v4, s[8:9]
	v_mul_lo_u32 v7, v5, v54
	v_mul_lo_u32 v8, v4, v55
	v_mad_u64_u32 v[4:5], s[10:11], v4, v54, 0
	v_add3_u32 v5, v5, v8, v7
	v_cmp_eq_u16_sdwa s[10:11], v103, v6 src0_sel:BYTE_0 src1_sel:DWORD
	v_cndmask_b32_e64 v5, 0, v5, s[10:11]
	v_cndmask_b32_e64 v4, 1, v4, s[10:11]
	v_mul_lo_u32 v7, v5, v50
	v_mul_lo_u32 v8, v4, v51
	v_mad_u64_u32 v[4:5], s[12:13], v4, v50, 0
	v_add3_u32 v5, v5, v8, v7
	v_cmp_eq_u16_sdwa s[12:13], v104, v6 src0_sel:BYTE_0 src1_sel:DWORD
	v_cndmask_b32_e64 v5, 0, v5, s[12:13]
	v_cndmask_b32_e64 v4, 1, v4, s[12:13]
	v_mul_lo_u32 v7, v5, v52
	v_mul_lo_u32 v8, v4, v53
	v_mad_u64_u32 v[4:5], s[14:15], v4, v52, 0
	v_add3_u32 v5, v5, v8, v7
	v_cmp_eq_u16_sdwa s[14:15], v105, v6 src0_sel:BYTE_0 src1_sel:DWORD
	v_cndmask_b32_e64 v5, 0, v5, s[14:15]
	v_cndmask_b32_e64 v4, 1, v4, s[14:15]
	v_mul_lo_u32 v7, v5, v56
	v_mul_lo_u32 v8, v4, v57
	v_mad_u64_u32 v[4:5], s[16:17], v4, v56, 0
	v_add3_u32 v5, v5, v8, v7
	v_cmp_eq_u16_sdwa s[16:17], v106, v6 src0_sel:BYTE_0 src1_sel:DWORD
	v_cndmask_b32_e64 v5, 0, v5, s[16:17]
	v_cndmask_b32_e64 v4, 1, v4, s[16:17]
	v_mul_lo_u32 v7, v5, v44
	v_mul_lo_u32 v8, v4, v45
	v_mad_u64_u32 v[4:5], s[18:19], v4, v44, 0
	v_add3_u32 v5, v5, v8, v7
	v_cmp_eq_u16_sdwa s[18:19], v107, v6 src0_sel:BYTE_0 src1_sel:DWORD
	v_cndmask_b32_e64 v5, 0, v5, s[18:19]
	v_cndmask_b32_e64 v4, 1, v4, s[18:19]
	v_mul_lo_u32 v7, v5, v58
	v_mul_lo_u32 v8, v4, v59
	v_mad_u64_u32 v[4:5], s[20:21], v4, v58, 0
	v_add3_u32 v5, v5, v8, v7
	v_cmp_eq_u16_sdwa s[20:21], v108, v6 src0_sel:BYTE_0 src1_sel:DWORD
	v_cndmask_b32_e64 v5, 0, v5, s[20:21]
	v_cndmask_b32_e64 v4, 1, v4, s[20:21]
	v_mul_lo_u32 v7, v5, v60
	v_mul_lo_u32 v8, v4, v61
	v_mad_u64_u32 v[4:5], s[22:23], v4, v60, 0
	v_add3_u32 v5, v5, v8, v7
	v_cmp_eq_u16_sdwa s[22:23], v109, v6 src0_sel:BYTE_0 src1_sel:DWORD
	v_cndmask_b32_e64 v5, 0, v5, s[22:23]
	v_cndmask_b32_e64 v4, 1, v4, s[22:23]
	v_mul_lo_u32 v7, v5, v62
	v_mul_lo_u32 v8, v4, v63
	v_mad_u64_u32 v[4:5], s[24:25], v4, v62, 0
	v_add3_u32 v5, v5, v8, v7
	v_cmp_eq_u16_sdwa s[24:25], v110, v6 src0_sel:BYTE_0 src1_sel:DWORD
	v_cndmask_b32_e64 v5, 0, v5, s[24:25]
	v_cndmask_b32_e64 v4, 1, v4, s[24:25]
	v_mul_lo_u32 v7, v5, v64
	v_mul_lo_u32 v8, v4, v65
	v_mad_u64_u32 v[4:5], s[26:27], v4, v64, 0
	v_add3_u32 v5, v5, v8, v7
	v_cmp_eq_u16_sdwa s[26:27], v111, v6 src0_sel:BYTE_0 src1_sel:DWORD
	v_cndmask_b32_e64 v5, 0, v5, s[26:27]
	v_cndmask_b32_e64 v4, 1, v4, s[26:27]
	v_mul_lo_u32 v7, v5, v66
	v_mul_lo_u32 v8, v4, v67
	v_mad_u64_u32 v[4:5], s[28:29], v4, v66, 0
	v_add3_u32 v5, v5, v8, v7
	v_cmp_eq_u16_sdwa s[28:29], v112, v6 src0_sel:BYTE_0 src1_sel:DWORD
	v_cndmask_b32_e64 v5, 0, v5, s[28:29]
	v_cndmask_b32_e64 v4, 1, v4, s[28:29]
	v_mul_lo_u32 v7, v5, v68
	v_mul_lo_u32 v8, v4, v69
	v_mad_u64_u32 v[4:5], s[30:31], v4, v68, 0
	v_add3_u32 v5, v5, v8, v7
	v_cmp_eq_u16_sdwa s[30:31], v113, v6 src0_sel:BYTE_0 src1_sel:DWORD
	v_cndmask_b32_e64 v5, 0, v5, s[30:31]
	v_cndmask_b32_e64 v4, 1, v4, s[30:31]
	v_mul_lo_u32 v7, v5, v70
	v_mul_lo_u32 v8, v4, v71
	v_mad_u64_u32 v[4:5], s[34:35], v4, v70, 0
	v_add3_u32 v5, v5, v8, v7
	v_cmp_eq_u16_sdwa s[34:35], v114, v6 src0_sel:BYTE_0 src1_sel:DWORD
	v_cndmask_b32_e64 v5, 0, v5, s[34:35]
	v_cndmask_b32_e64 v4, 1, v4, s[34:35]
	v_mul_lo_u32 v7, v5, v72
	v_mul_lo_u32 v8, v4, v73
	v_mad_u64_u32 v[4:5], s[36:37], v4, v72, 0
	v_add3_u32 v5, v5, v8, v7
	v_cmp_eq_u16_sdwa s[36:37], v101, v6 src0_sel:BYTE_0 src1_sel:DWORD
	v_cndmask_b32_e64 v5, 0, v5, s[36:37]
	v_cndmask_b32_e64 v4, 1, v4, s[36:37]
	v_mul_lo_u32 v7, v5, v42
	v_mul_lo_u32 v8, v4, v43
	v_mad_u64_u32 v[4:5], s[38:39], v4, v42, 0
	v_add3_u32 v5, v5, v8, v7
	v_cmp_eq_u16_sdwa s[38:39], v116, v6 src0_sel:BYTE_0 src1_sel:DWORD
	v_cndmask_b32_e64 v5, 0, v5, s[38:39]
	v_cndmask_b32_e64 v4, 1, v4, s[38:39]
	v_mul_lo_u32 v6, v5, v40
	v_mul_lo_u32 v7, v4, v41
	v_mad_u64_u32 v[4:5], s[38:39], v4, v40, 0
	v_add3_u32 v5, v5, v7, v6
	v_or_b32_e32 v6, v118, v113
	v_or_b32_e32 v6, v6, v112
	;; [unrolled: 1-line block ×16, first 2 shown]
	v_mbcnt_hi_u32_b32 v8, -1, v117
	v_and_b32_e32 v9, 1, v6
	v_and_b32_e32 v10, 15, v8
	v_cmp_eq_u32_e64 s[38:39], 1, v9
	v_mov_b32_dpp v13, v4 row_shr:1 row_mask:0xf bank_mask:0xf
	v_mov_b32_dpp v14, v5 row_shr:1 row_mask:0xf bank_mask:0xf
	;; [unrolled: 1-line block ×3, first 2 shown]
	v_cmp_ne_u32_e64 s[40:41], 0, v10
	v_mov_b32_e32 v7, v5
	v_mov_b32_e32 v6, v4
	;; [unrolled: 1-line block ×3, first 2 shown]
	s_and_saveexec_b64 s[42:43], s[40:41]
; %bb.199:
	v_cndmask_b32_e64 v6, v14, 0, s[38:39]
	v_cndmask_b32_e64 v7, v13, 1, s[38:39]
	v_mul_lo_u32 v6, v6, v4
	v_mul_lo_u32 v11, v7, v5
	v_mad_u64_u32 v[4:5], s[38:39], v7, v4, 0
	v_add3_u32 v5, v5, v11, v6
	v_and_b32_e32 v6, 1, v12
	v_or_b32_e32 v9, v6, v9
	v_and_b32_e32 v11, 0xffff, v9
	v_mov_b32_e32 v7, v5
	v_mov_b32_e32 v6, v4
; %bb.200:
	s_or_b64 exec, exec, s[42:43]
	s_nop 0
	v_mov_b32_dpp v13, v6 row_shr:2 row_mask:0xf bank_mask:0xf
	v_mov_b32_dpp v14, v7 row_shr:2 row_mask:0xf bank_mask:0xf
	v_mov_b32_dpp v12, v11 row_shr:2 row_mask:0xf bank_mask:0xf
	v_cmp_lt_u32_e64 s[38:39], 1, v10
	s_and_saveexec_b64 s[42:43], s[38:39]
	s_cbranch_execz .LBB401_202
; %bb.201:
	v_cmp_eq_u16_e64 s[38:39], 0, v9
	v_cndmask_b32_e64 v6, 1, v13, s[38:39]
	v_cndmask_b32_e64 v11, 0, v14, s[38:39]
	v_mul_lo_u32 v5, v6, v5
	v_mad_u64_u32 v[6:7], s[38:39], v6, v4, 0
	v_mul_lo_u32 v4, v11, v4
	v_add3_u32 v7, v7, v5, v4
	v_and_b32_e32 v4, 1, v9
	v_cmp_eq_u32_e64 s[38:39], 1, v4
	v_and_b32_e32 v4, 1, v12
	v_cmp_eq_u32_e64 s[40:41], 1, v4
	s_or_b64 s[38:39], s[38:39], s[40:41]
	v_cndmask_b32_e64 v9, 0, 1, s[38:39]
	v_cndmask_b32_e64 v11, 0, 1, s[38:39]
	v_pk_mov_b32 v[4:5], v[6:7], v[6:7] op_sel:[0,1]
.LBB401_202:
	s_or_b64 exec, exec, s[42:43]
	v_mov_b32_dpp v13, v6 row_shr:4 row_mask:0xf bank_mask:0xf
	v_mov_b32_dpp v14, v7 row_shr:4 row_mask:0xf bank_mask:0xf
	v_mov_b32_dpp v12, v11 row_shr:4 row_mask:0xf bank_mask:0xf
	v_cmp_lt_u32_e64 s[38:39], 3, v10
	s_and_saveexec_b64 s[42:43], s[38:39]
	s_cbranch_execz .LBB401_204
; %bb.203:
	v_cmp_eq_u16_e64 s[38:39], 0, v9
	v_cndmask_b32_e64 v6, 1, v13, s[38:39]
	v_cndmask_b32_e64 v11, 0, v14, s[38:39]
	v_mul_lo_u32 v5, v6, v5
	v_mad_u64_u32 v[6:7], s[38:39], v6, v4, 0
	v_mul_lo_u32 v4, v11, v4
	v_add3_u32 v7, v7, v5, v4
	v_and_b32_e32 v4, 1, v9
	v_cmp_eq_u32_e64 s[38:39], 1, v4
	v_and_b32_e32 v4, 1, v12
	v_cmp_eq_u32_e64 s[40:41], 1, v4
	s_or_b64 s[38:39], s[38:39], s[40:41]
	v_cndmask_b32_e64 v9, 0, 1, s[38:39]
	v_cndmask_b32_e64 v11, 0, 1, s[38:39]
	v_pk_mov_b32 v[4:5], v[6:7], v[6:7] op_sel:[0,1]
.LBB401_204:
	s_or_b64 exec, exec, s[42:43]
	;; [unrolled: 24-line block ×3, first 2 shown]
	v_and_b32_e32 v14, 16, v8
	v_mov_b32_dpp v12, v6 row_bcast:15 row_mask:0xf bank_mask:0xf
	v_mov_b32_dpp v13, v7 row_bcast:15 row_mask:0xf bank_mask:0xf
	;; [unrolled: 1-line block ×3, first 2 shown]
	v_cmp_ne_u32_e64 s[38:39], 0, v14
	s_and_saveexec_b64 s[42:43], s[38:39]
	s_cbranch_execz .LBB401_208
; %bb.207:
	v_cmp_eq_u16_e64 s[38:39], 0, v9
	v_cndmask_b32_e64 v6, 1, v12, s[38:39]
	v_cndmask_b32_e64 v11, 0, v13, s[38:39]
	v_mul_lo_u32 v5, v6, v5
	v_mad_u64_u32 v[6:7], s[38:39], v6, v4, 0
	v_mul_lo_u32 v4, v11, v4
	v_add3_u32 v7, v7, v5, v4
	v_and_b32_e32 v4, 1, v9
	v_cmp_eq_u32_e64 s[38:39], 1, v4
	v_and_b32_e32 v4, 1, v10
	v_cmp_eq_u32_e64 s[40:41], 1, v4
	s_or_b64 s[38:39], s[38:39], s[40:41]
	v_cndmask_b32_e64 v9, 0, 1, s[38:39]
	v_cndmask_b32_e64 v11, 0, 1, s[38:39]
	v_pk_mov_b32 v[4:5], v[6:7], v[6:7] op_sel:[0,1]
.LBB401_208:
	s_or_b64 exec, exec, s[42:43]
	v_mov_b32_dpp v10, v6 row_bcast:31 row_mask:0xf bank_mask:0xf
	v_mov_b32_dpp v7, v7 row_bcast:31 row_mask:0xf bank_mask:0xf
	;; [unrolled: 1-line block ×3, first 2 shown]
	v_cmp_lt_u32_e64 s[38:39], 31, v8
	s_and_saveexec_b64 s[42:43], s[38:39]
	s_cbranch_execz .LBB401_210
; %bb.209:
	v_cmp_eq_u16_e64 s[38:39], 0, v9
	v_cndmask_b32_e64 v10, 1, v10, s[38:39]
	v_cndmask_b32_e64 v7, 0, v7, s[38:39]
	v_mul_lo_u32 v5, v10, v5
	v_mad_u64_u32 v[10:11], s[38:39], v10, v4, 0
	v_mul_lo_u32 v4, v7, v4
	v_add3_u32 v11, v11, v5, v4
	v_and_b32_e32 v4, 1, v9
	v_cmp_eq_u32_e64 s[38:39], 1, v4
	v_and_b32_e32 v4, 1, v6
	v_cmp_eq_u32_e64 s[40:41], 1, v4
	s_or_b64 s[38:39], s[38:39], s[40:41]
	v_cndmask_b32_e64 v9, 0, 1, s[38:39]
	v_pk_mov_b32 v[4:5], v[10:11], v[10:11] op_sel:[0,1]
.LBB401_210:
	s_or_b64 exec, exec, s[42:43]
	v_cmp_eq_u32_e64 s[38:39], 63, v0
	s_and_saveexec_b64 s[40:41], s[38:39]
	s_cbranch_execz .LBB401_212
; %bb.211:
	v_mov_b32_e32 v6, 0
	ds_write_b64 v6, v[4:5]
	ds_write_b8 v6, v9 offset:8
.LBB401_212:
	s_or_b64 exec, exec, s[40:41]
	v_cmp_eq_u16_e64 s[38:39], 0, v9
	s_waitcnt vmcnt(0)
	v_cndmask_b32_e64 v6, 1, v2, s[38:39]
	v_cndmask_b32_e64 v7, 0, v3, s[38:39]
	v_mul_lo_u32 v7, v7, v4
	v_mul_lo_u32 v9, v6, v5
	v_mad_u64_u32 v[4:5], s[38:39], v6, v4, 0
	v_add3_u32 v5, v5, v9, v7
	v_add_u32_e32 v6, -1, v8
	v_and_b32_e32 v7, 64, v8
	v_cmp_lt_i32_e64 s[38:39], v6, v7
	v_cndmask_b32_e64 v6, v6, v8, s[38:39]
	v_lshlrev_b32_e32 v6, 2, v6
	ds_bpermute_b32 v5, v6, v5
	ds_bpermute_b32 v4, v6, v4
	v_cmp_eq_u32_e64 s[38:39], 0, v8
	s_or_b64 s[38:39], s[2:3], s[38:39]
	v_mov_b32_e32 v8, 0
	s_waitcnt lgkmcnt(1)
	v_cndmask_b32_e64 v79, v5, v3, s[38:39]
	s_waitcnt lgkmcnt(0)
	v_cndmask_b32_e64 v78, v4, v2, s[38:39]
	v_cmp_eq_u16_sdwa s[38:39], v1, v8 src0_sel:BYTE_0 src1_sel:DWORD
	v_cndmask_b32_e64 v1, 0, v79, s[38:39]
	v_cndmask_b32_e64 v4, 1, v78, s[38:39]
	v_mul_lo_u32 v1, v1, v76
	v_mul_lo_u32 v6, v4, v77
	v_mad_u64_u32 v[4:5], s[38:39], v4, v76, 0
	v_add3_u32 v5, v5, v6, v1
	v_cndmask_b32_e32 v1, 0, v5, vcc
	v_cndmask_b32_e32 v6, 1, v4, vcc
	v_mul_lo_u32 v1, v1, v38
	v_mul_lo_u32 v9, v6, v39
	v_mad_u64_u32 v[6:7], s[38:39], v6, v38, 0
	v_add3_u32 v7, v7, v9, v1
	v_cndmask_b32_e64 v1, 0, v7, s[4:5]
	v_cndmask_b32_e64 v9, 1, v6, s[4:5]
	v_mul_lo_u32 v1, v1, v46
	v_mul_lo_u32 v10, v9, v47
	v_mad_u64_u32 v[80:81], s[4:5], v9, v46, 0
	v_add3_u32 v81, v81, v10, v1
	v_cndmask_b32_e64 v1, 0, v81, s[6:7]
	v_cndmask_b32_e64 v9, 1, v80, s[6:7]
	;; [unrolled: 6-line block ×16, first 2 shown]
	s_waitcnt lgkmcnt(0)
	; wave barrier
	s_and_saveexec_b64 s[4:5], s[2:3]
	s_cbranch_execz .LBB401_214
; %bb.213:
	ds_read_u8 v1, v8 offset:8
	ds_read_b64 v[12:13], v8
	v_pk_mov_b32 v[78:79], v[2:3], v[2:3] op_sel:[0,1]
	s_waitcnt lgkmcnt(1)
	v_cmp_eq_u16_e32 vcc, 0, v1
	v_cndmask_b32_e32 v16, 1, v2, vcc
	v_cndmask_b32_e32 v9, 0, v3, vcc
	s_waitcnt lgkmcnt(0)
	v_mul_lo_u32 v13, v16, v13
	v_mul_hi_u32 v17, v16, v12
	v_mul_lo_u32 v9, v9, v12
	v_add_u32_e32 v13, v17, v13
	v_add_u32_e32 v13, v13, v9
	v_mul_lo_u32 v12, v16, v12
	global_store_dwordx2 v8, v[12:13], s[50:51] offset:1024
	global_store_byte v8, v1, s[50:51] offset:1032
	v_mov_b32_e32 v1, 2
	s_waitcnt vmcnt(0)
	buffer_wbinvl1_vol
	global_store_byte v8, v1, s[52:53] offset:64
.LBB401_214:
	s_or_b64 exec, exec, s[4:5]
.LBB401_215:
	s_add_u32 s4, s62, s46
	s_addc_u32 s5, s63, s47
	v_mul_lo_u32 v1, v97, v42
	v_mul_lo_u32 v8, v96, v43
	v_mad_u64_u32 v[2:3], s[2:3], v96, v42, 0
	v_add3_u32 v3, v3, v8, v1
	v_mov_b32_e32 v1, s5
	v_add_co_u32_e32 v12, vcc, s4, v74
	v_addc_co_u32_e32 v13, vcc, v1, v75, vcc
	s_and_b64 vcc, exec, s[0:1]
	s_cbranch_vccz .LBB401_253
; %bb.216:
	s_movk_i32 s0, 0x98
	v_mul_i32_i24_e32 v17, 0xffffff70, v0
	v_mul_u32_u24_e32 v16, 0x98, v0
	v_mad_u32_u24 v8, v0, s0, v17
	s_waitcnt lgkmcnt(0)
	; wave barrier
	ds_write2_b64 v16, v[78:79], v[4:5] offset1:1
	ds_write2_b64 v16, v[6:7], v[80:81] offset0:2 offset1:3
	ds_write2_b64 v16, v[10:11], v[82:83] offset0:4 offset1:5
	;; [unrolled: 1-line block ×8, first 2 shown]
	ds_write_b64 v16, v[2:3] offset:144
	s_waitcnt lgkmcnt(0)
	; wave barrier
	s_waitcnt lgkmcnt(0)
	ds_read2st64_b64 v[68:71], v8 offset0:1 offset1:2
	ds_read2st64_b64 v[64:67], v8 offset0:3 offset1:4
	;; [unrolled: 1-line block ×9, first 2 shown]
	v_add_co_u32_e32 v8, vcc, v12, v115
	s_add_i32 s33, s33, s54
	v_addc_co_u32_e32 v9, vcc, 0, v13, vcc
	v_mov_b32_e32 v1, 0
	v_cmp_gt_u32_e32 vcc, s33, v0
	s_and_saveexec_b64 s[0:1], vcc
	s_cbranch_execz .LBB401_218
; %bb.217:
	v_add_u32_e32 v16, v16, v17
	ds_read_b64 v[16:17], v16
	s_waitcnt lgkmcnt(0)
	flat_store_dwordx2 v[8:9], v[16:17]
.LBB401_218:
	s_or_b64 exec, exec, s[0:1]
	v_or_b32_e32 v16, 64, v0
	v_cmp_gt_u32_e32 vcc, s33, v16
	s_and_saveexec_b64 s[0:1], vcc
	s_cbranch_execz .LBB401_220
; %bb.219:
	s_waitcnt lgkmcnt(0)
	flat_store_dwordx2 v[8:9], v[68:69] offset:512
.LBB401_220:
	s_or_b64 exec, exec, s[0:1]
	v_or_b32_e32 v16, 0x80, v0
	v_cmp_gt_u32_e32 vcc, s33, v16
	s_and_saveexec_b64 s[0:1], vcc
	s_cbranch_execz .LBB401_222
; %bb.221:
	s_waitcnt lgkmcnt(0)
	flat_store_dwordx2 v[8:9], v[70:71] offset:1024
.LBB401_222:
	s_or_b64 exec, exec, s[0:1]
	v_or_b32_e32 v16, 0xc0, v0
	v_cmp_gt_u32_e32 vcc, s33, v16
	s_and_saveexec_b64 s[0:1], vcc
	s_cbranch_execz .LBB401_224
; %bb.223:
	s_waitcnt lgkmcnt(0)
	flat_store_dwordx2 v[8:9], v[64:65] offset:1536
.LBB401_224:
	s_or_b64 exec, exec, s[0:1]
	v_or_b32_e32 v16, 0x100, v0
	v_cmp_gt_u32_e32 vcc, s33, v16
	s_and_saveexec_b64 s[0:1], vcc
	s_cbranch_execz .LBB401_226
; %bb.225:
	s_waitcnt lgkmcnt(0)
	flat_store_dwordx2 v[8:9], v[66:67] offset:2048
.LBB401_226:
	s_or_b64 exec, exec, s[0:1]
	v_or_b32_e32 v16, 0x140, v0
	v_cmp_gt_u32_e32 vcc, s33, v16
	s_and_saveexec_b64 s[0:1], vcc
	s_cbranch_execz .LBB401_228
; %bb.227:
	s_waitcnt lgkmcnt(0)
	flat_store_dwordx2 v[8:9], v[60:61] offset:2560
.LBB401_228:
	s_or_b64 exec, exec, s[0:1]
	v_or_b32_e32 v16, 0x180, v0
	v_cmp_gt_u32_e32 vcc, s33, v16
	s_and_saveexec_b64 s[0:1], vcc
	s_cbranch_execz .LBB401_230
; %bb.229:
	s_waitcnt lgkmcnt(0)
	flat_store_dwordx2 v[8:9], v[62:63] offset:3072
.LBB401_230:
	s_or_b64 exec, exec, s[0:1]
	v_or_b32_e32 v16, 0x1c0, v0
	v_cmp_gt_u32_e32 vcc, s33, v16
	s_and_saveexec_b64 s[0:1], vcc
	s_cbranch_execz .LBB401_232
; %bb.231:
	s_waitcnt lgkmcnt(0)
	flat_store_dwordx2 v[8:9], v[56:57] offset:3584
.LBB401_232:
	s_or_b64 exec, exec, s[0:1]
	v_or_b32_e32 v16, 0x200, v0
	v_cmp_gt_u32_e32 vcc, s33, v16
	s_and_saveexec_b64 s[0:1], vcc
	s_cbranch_execz .LBB401_234
; %bb.233:
	v_add_co_u32_e32 v16, vcc, 0x1000, v8
	v_addc_co_u32_e32 v17, vcc, 0, v9, vcc
	s_waitcnt lgkmcnt(0)
	flat_store_dwordx2 v[16:17], v[58:59]
.LBB401_234:
	s_or_b64 exec, exec, s[0:1]
	v_or_b32_e32 v16, 0x240, v0
	v_cmp_gt_u32_e32 vcc, s33, v16
	s_and_saveexec_b64 s[0:1], vcc
	s_cbranch_execz .LBB401_236
; %bb.235:
	v_add_co_u32_e32 v16, vcc, 0x1000, v8
	v_addc_co_u32_e32 v17, vcc, 0, v9, vcc
	s_waitcnt lgkmcnt(0)
	flat_store_dwordx2 v[16:17], v[52:53] offset:512
.LBB401_236:
	s_or_b64 exec, exec, s[0:1]
	v_or_b32_e32 v16, 0x280, v0
	v_cmp_gt_u32_e32 vcc, s33, v16
	s_and_saveexec_b64 s[0:1], vcc
	s_cbranch_execz .LBB401_238
; %bb.237:
	v_add_co_u32_e32 v16, vcc, 0x1000, v8
	v_addc_co_u32_e32 v17, vcc, 0, v9, vcc
	s_waitcnt lgkmcnt(0)
	flat_store_dwordx2 v[16:17], v[54:55] offset:1024
.LBB401_238:
	;; [unrolled: 11-line block ×7, first 2 shown]
	s_or_b64 exec, exec, s[0:1]
	v_or_b32_e32 v16, 0x400, v0
	v_cmp_gt_u32_e32 vcc, s33, v16
	s_and_saveexec_b64 s[0:1], vcc
	s_cbranch_execz .LBB401_250
; %bb.249:
	v_add_co_u32_e32 v16, vcc, 0x2000, v8
	v_addc_co_u32_e32 v17, vcc, 0, v9, vcc
	s_waitcnt lgkmcnt(0)
	flat_store_dwordx2 v[16:17], v[42:43]
.LBB401_250:
	s_or_b64 exec, exec, s[0:1]
	v_or_b32_e32 v16, 0x440, v0
	v_cmp_gt_u32_e32 vcc, s33, v16
	s_and_saveexec_b64 s[0:1], vcc
	s_cbranch_execz .LBB401_252
; %bb.251:
	v_add_co_u32_e32 v8, vcc, 0x2000, v8
	v_addc_co_u32_e32 v9, vcc, 0, v9, vcc
	s_waitcnt lgkmcnt(0)
	flat_store_dwordx2 v[8:9], v[36:37] offset:512
.LBB401_252:
	s_or_b64 exec, exec, s[0:1]
	v_or_b32_e32 v8, 0x480, v0
	v_cmp_gt_u32_e64 s[0:1], s33, v8
	s_branch .LBB401_255
.LBB401_253:
	s_mov_b64 s[0:1], 0
                                        ; implicit-def: $vgpr38_vgpr39
	s_cbranch_execz .LBB401_255
; %bb.254:
	v_mul_u32_u24_e32 v1, 0x98, v0
	s_waitcnt lgkmcnt(0)
	; wave barrier
	s_waitcnt lgkmcnt(0)
	s_movk_i32 s2, 0x98
	ds_write2_b64 v1, v[78:79], v[4:5] offset1:1
	ds_write2_b64 v1, v[6:7], v[80:81] offset0:2 offset1:3
	ds_write2_b64 v1, v[10:11], v[82:83] offset0:4 offset1:5
	;; [unrolled: 1-line block ×8, first 2 shown]
	ds_write_b64 v1, v[2:3] offset:144
	v_mul_i32_i24_e32 v2, 0xffffff70, v0
	v_mad_u32_u24 v10, v0, s2, v2
	s_waitcnt lgkmcnt(0)
	; wave barrier
	s_waitcnt lgkmcnt(0)
	ds_read2st64_b64 v[2:5], v10 offset1:1
	ds_read2st64_b64 v[6:9], v10 offset0:2 offset1:3
	ds_read2st64_b64 v[14:17], v10 offset0:4 offset1:5
	;; [unrolled: 1-line block ×8, first 2 shown]
	ds_read_b64 v[38:39], v10 offset:9216
	v_add_co_u32_e32 v10, vcc, v12, v115
	v_addc_co_u32_e32 v11, vcc, 0, v13, vcc
	s_movk_i32 s2, 0x1000
	s_waitcnt lgkmcnt(0)
	flat_store_dwordx2 v[10:11], v[2:3]
	flat_store_dwordx2 v[10:11], v[4:5] offset:512
	flat_store_dwordx2 v[10:11], v[6:7] offset:1024
	;; [unrolled: 1-line block ×7, first 2 shown]
	v_add_co_u32_e32 v2, vcc, s2, v10
	v_addc_co_u32_e32 v3, vcc, 0, v11, vcc
	flat_store_dwordx2 v[2:3], v[22:23]
	flat_store_dwordx2 v[2:3], v[24:25] offset:512
	flat_store_dwordx2 v[2:3], v[26:27] offset:1024
	;; [unrolled: 1-line block ×7, first 2 shown]
	v_add_co_u32_e32 v2, vcc, 0x2000, v10
	v_mov_b32_e32 v1, 0
	v_addc_co_u32_e32 v3, vcc, 0, v11, vcc
	s_or_b64 s[0:1], s[0:1], exec
	flat_store_dwordx2 v[2:3], v[40:41]
	flat_store_dwordx2 v[2:3], v[42:43] offset:512
.LBB401_255:
	s_and_saveexec_b64 s[2:3], s[0:1]
	s_cbranch_execz .LBB401_257
; %bb.256:
	v_lshlrev_b64 v[0:1], 3, v[0:1]
	v_add_co_u32_e32 v0, vcc, v12, v0
	v_addc_co_u32_e32 v1, vcc, v13, v1, vcc
	v_add_co_u32_e32 v0, vcc, 0x2000, v0
	v_addc_co_u32_e32 v1, vcc, 0, v1, vcc
	s_waitcnt lgkmcnt(0)
	flat_store_dwordx2 v[0:1], v[38:39] offset:1024
	s_endpgm
.LBB401_257:
	s_endpgm
	.section	.rodata,"a",@progbits
	.p2align	6, 0x0
	.amdhsa_kernel _ZN7rocprim17ROCPRIM_400000_NS6detail17trampoline_kernelINS0_14default_configENS1_27scan_by_key_config_selectorIxxEEZZNS1_16scan_by_key_implILNS1_25lookback_scan_determinismE0ELb1ES3_N6thrust23THRUST_200600_302600_NS6detail15normal_iteratorINS9_10device_ptrIxEEEESE_SE_xNS9_10multipliesIxEENS9_8equal_toIxEExEE10hipError_tPvRmT2_T3_T4_T5_mT6_T7_P12ihipStream_tbENKUlT_T0_E_clISt17integral_constantIbLb1EESZ_EEDaSU_SV_EUlSU_E_NS1_11comp_targetILNS1_3genE4ELNS1_11target_archE910ELNS1_3gpuE8ELNS1_3repE0EEENS1_30default_config_static_selectorELNS0_4arch9wavefront6targetE1EEEvT1_
		.amdhsa_group_segment_fixed_size 10752
		.amdhsa_private_segment_fixed_size 0
		.amdhsa_kernarg_size 136
		.amdhsa_user_sgpr_count 6
		.amdhsa_user_sgpr_private_segment_buffer 1
		.amdhsa_user_sgpr_dispatch_ptr 0
		.amdhsa_user_sgpr_queue_ptr 0
		.amdhsa_user_sgpr_kernarg_segment_ptr 1
		.amdhsa_user_sgpr_dispatch_id 0
		.amdhsa_user_sgpr_flat_scratch_init 0
		.amdhsa_user_sgpr_kernarg_preload_length 0
		.amdhsa_user_sgpr_kernarg_preload_offset 0
		.amdhsa_user_sgpr_private_segment_size 0
		.amdhsa_uses_dynamic_stack 0
		.amdhsa_system_sgpr_private_segment_wavefront_offset 0
		.amdhsa_system_sgpr_workgroup_id_x 1
		.amdhsa_system_sgpr_workgroup_id_y 0
		.amdhsa_system_sgpr_workgroup_id_z 0
		.amdhsa_system_sgpr_workgroup_info 0
		.amdhsa_system_vgpr_workitem_id 0
		.amdhsa_next_free_vgpr 119
		.amdhsa_next_free_sgpr 72
		.amdhsa_accum_offset 120
		.amdhsa_reserve_vcc 1
		.amdhsa_reserve_flat_scratch 0
		.amdhsa_float_round_mode_32 0
		.amdhsa_float_round_mode_16_64 0
		.amdhsa_float_denorm_mode_32 3
		.amdhsa_float_denorm_mode_16_64 3
		.amdhsa_dx10_clamp 1
		.amdhsa_ieee_mode 1
		.amdhsa_fp16_overflow 0
		.amdhsa_tg_split 0
		.amdhsa_exception_fp_ieee_invalid_op 0
		.amdhsa_exception_fp_denorm_src 0
		.amdhsa_exception_fp_ieee_div_zero 0
		.amdhsa_exception_fp_ieee_overflow 0
		.amdhsa_exception_fp_ieee_underflow 0
		.amdhsa_exception_fp_ieee_inexact 0
		.amdhsa_exception_int_div_zero 0
	.end_amdhsa_kernel
	.section	.text._ZN7rocprim17ROCPRIM_400000_NS6detail17trampoline_kernelINS0_14default_configENS1_27scan_by_key_config_selectorIxxEEZZNS1_16scan_by_key_implILNS1_25lookback_scan_determinismE0ELb1ES3_N6thrust23THRUST_200600_302600_NS6detail15normal_iteratorINS9_10device_ptrIxEEEESE_SE_xNS9_10multipliesIxEENS9_8equal_toIxEExEE10hipError_tPvRmT2_T3_T4_T5_mT6_T7_P12ihipStream_tbENKUlT_T0_E_clISt17integral_constantIbLb1EESZ_EEDaSU_SV_EUlSU_E_NS1_11comp_targetILNS1_3genE4ELNS1_11target_archE910ELNS1_3gpuE8ELNS1_3repE0EEENS1_30default_config_static_selectorELNS0_4arch9wavefront6targetE1EEEvT1_,"axG",@progbits,_ZN7rocprim17ROCPRIM_400000_NS6detail17trampoline_kernelINS0_14default_configENS1_27scan_by_key_config_selectorIxxEEZZNS1_16scan_by_key_implILNS1_25lookback_scan_determinismE0ELb1ES3_N6thrust23THRUST_200600_302600_NS6detail15normal_iteratorINS9_10device_ptrIxEEEESE_SE_xNS9_10multipliesIxEENS9_8equal_toIxEExEE10hipError_tPvRmT2_T3_T4_T5_mT6_T7_P12ihipStream_tbENKUlT_T0_E_clISt17integral_constantIbLb1EESZ_EEDaSU_SV_EUlSU_E_NS1_11comp_targetILNS1_3genE4ELNS1_11target_archE910ELNS1_3gpuE8ELNS1_3repE0EEENS1_30default_config_static_selectorELNS0_4arch9wavefront6targetE1EEEvT1_,comdat
.Lfunc_end401:
	.size	_ZN7rocprim17ROCPRIM_400000_NS6detail17trampoline_kernelINS0_14default_configENS1_27scan_by_key_config_selectorIxxEEZZNS1_16scan_by_key_implILNS1_25lookback_scan_determinismE0ELb1ES3_N6thrust23THRUST_200600_302600_NS6detail15normal_iteratorINS9_10device_ptrIxEEEESE_SE_xNS9_10multipliesIxEENS9_8equal_toIxEExEE10hipError_tPvRmT2_T3_T4_T5_mT6_T7_P12ihipStream_tbENKUlT_T0_E_clISt17integral_constantIbLb1EESZ_EEDaSU_SV_EUlSU_E_NS1_11comp_targetILNS1_3genE4ELNS1_11target_archE910ELNS1_3gpuE8ELNS1_3repE0EEENS1_30default_config_static_selectorELNS0_4arch9wavefront6targetE1EEEvT1_, .Lfunc_end401-_ZN7rocprim17ROCPRIM_400000_NS6detail17trampoline_kernelINS0_14default_configENS1_27scan_by_key_config_selectorIxxEEZZNS1_16scan_by_key_implILNS1_25lookback_scan_determinismE0ELb1ES3_N6thrust23THRUST_200600_302600_NS6detail15normal_iteratorINS9_10device_ptrIxEEEESE_SE_xNS9_10multipliesIxEENS9_8equal_toIxEExEE10hipError_tPvRmT2_T3_T4_T5_mT6_T7_P12ihipStream_tbENKUlT_T0_E_clISt17integral_constantIbLb1EESZ_EEDaSU_SV_EUlSU_E_NS1_11comp_targetILNS1_3genE4ELNS1_11target_archE910ELNS1_3gpuE8ELNS1_3repE0EEENS1_30default_config_static_selectorELNS0_4arch9wavefront6targetE1EEEvT1_
                                        ; -- End function
	.section	.AMDGPU.csdata,"",@progbits
; Kernel info:
; codeLenInByte = 18084
; NumSgprs: 76
; NumVgprs: 119
; NumAgprs: 0
; TotalNumVgprs: 119
; ScratchSize: 0
; MemoryBound: 0
; FloatMode: 240
; IeeeMode: 1
; LDSByteSize: 10752 bytes/workgroup (compile time only)
; SGPRBlocks: 9
; VGPRBlocks: 14
; NumSGPRsForWavesPerEU: 76
; NumVGPRsForWavesPerEU: 119
; AccumOffset: 120
; Occupancy: 2
; WaveLimiterHint : 1
; COMPUTE_PGM_RSRC2:SCRATCH_EN: 0
; COMPUTE_PGM_RSRC2:USER_SGPR: 6
; COMPUTE_PGM_RSRC2:TRAP_HANDLER: 0
; COMPUTE_PGM_RSRC2:TGID_X_EN: 1
; COMPUTE_PGM_RSRC2:TGID_Y_EN: 0
; COMPUTE_PGM_RSRC2:TGID_Z_EN: 0
; COMPUTE_PGM_RSRC2:TIDIG_COMP_CNT: 0
; COMPUTE_PGM_RSRC3_GFX90A:ACCUM_OFFSET: 29
; COMPUTE_PGM_RSRC3_GFX90A:TG_SPLIT: 0
	.section	.text._ZN7rocprim17ROCPRIM_400000_NS6detail17trampoline_kernelINS0_14default_configENS1_27scan_by_key_config_selectorIxxEEZZNS1_16scan_by_key_implILNS1_25lookback_scan_determinismE0ELb1ES3_N6thrust23THRUST_200600_302600_NS6detail15normal_iteratorINS9_10device_ptrIxEEEESE_SE_xNS9_10multipliesIxEENS9_8equal_toIxEExEE10hipError_tPvRmT2_T3_T4_T5_mT6_T7_P12ihipStream_tbENKUlT_T0_E_clISt17integral_constantIbLb1EESZ_EEDaSU_SV_EUlSU_E_NS1_11comp_targetILNS1_3genE3ELNS1_11target_archE908ELNS1_3gpuE7ELNS1_3repE0EEENS1_30default_config_static_selectorELNS0_4arch9wavefront6targetE1EEEvT1_,"axG",@progbits,_ZN7rocprim17ROCPRIM_400000_NS6detail17trampoline_kernelINS0_14default_configENS1_27scan_by_key_config_selectorIxxEEZZNS1_16scan_by_key_implILNS1_25lookback_scan_determinismE0ELb1ES3_N6thrust23THRUST_200600_302600_NS6detail15normal_iteratorINS9_10device_ptrIxEEEESE_SE_xNS9_10multipliesIxEENS9_8equal_toIxEExEE10hipError_tPvRmT2_T3_T4_T5_mT6_T7_P12ihipStream_tbENKUlT_T0_E_clISt17integral_constantIbLb1EESZ_EEDaSU_SV_EUlSU_E_NS1_11comp_targetILNS1_3genE3ELNS1_11target_archE908ELNS1_3gpuE7ELNS1_3repE0EEENS1_30default_config_static_selectorELNS0_4arch9wavefront6targetE1EEEvT1_,comdat
	.protected	_ZN7rocprim17ROCPRIM_400000_NS6detail17trampoline_kernelINS0_14default_configENS1_27scan_by_key_config_selectorIxxEEZZNS1_16scan_by_key_implILNS1_25lookback_scan_determinismE0ELb1ES3_N6thrust23THRUST_200600_302600_NS6detail15normal_iteratorINS9_10device_ptrIxEEEESE_SE_xNS9_10multipliesIxEENS9_8equal_toIxEExEE10hipError_tPvRmT2_T3_T4_T5_mT6_T7_P12ihipStream_tbENKUlT_T0_E_clISt17integral_constantIbLb1EESZ_EEDaSU_SV_EUlSU_E_NS1_11comp_targetILNS1_3genE3ELNS1_11target_archE908ELNS1_3gpuE7ELNS1_3repE0EEENS1_30default_config_static_selectorELNS0_4arch9wavefront6targetE1EEEvT1_ ; -- Begin function _ZN7rocprim17ROCPRIM_400000_NS6detail17trampoline_kernelINS0_14default_configENS1_27scan_by_key_config_selectorIxxEEZZNS1_16scan_by_key_implILNS1_25lookback_scan_determinismE0ELb1ES3_N6thrust23THRUST_200600_302600_NS6detail15normal_iteratorINS9_10device_ptrIxEEEESE_SE_xNS9_10multipliesIxEENS9_8equal_toIxEExEE10hipError_tPvRmT2_T3_T4_T5_mT6_T7_P12ihipStream_tbENKUlT_T0_E_clISt17integral_constantIbLb1EESZ_EEDaSU_SV_EUlSU_E_NS1_11comp_targetILNS1_3genE3ELNS1_11target_archE908ELNS1_3gpuE7ELNS1_3repE0EEENS1_30default_config_static_selectorELNS0_4arch9wavefront6targetE1EEEvT1_
	.globl	_ZN7rocprim17ROCPRIM_400000_NS6detail17trampoline_kernelINS0_14default_configENS1_27scan_by_key_config_selectorIxxEEZZNS1_16scan_by_key_implILNS1_25lookback_scan_determinismE0ELb1ES3_N6thrust23THRUST_200600_302600_NS6detail15normal_iteratorINS9_10device_ptrIxEEEESE_SE_xNS9_10multipliesIxEENS9_8equal_toIxEExEE10hipError_tPvRmT2_T3_T4_T5_mT6_T7_P12ihipStream_tbENKUlT_T0_E_clISt17integral_constantIbLb1EESZ_EEDaSU_SV_EUlSU_E_NS1_11comp_targetILNS1_3genE3ELNS1_11target_archE908ELNS1_3gpuE7ELNS1_3repE0EEENS1_30default_config_static_selectorELNS0_4arch9wavefront6targetE1EEEvT1_
	.p2align	8
	.type	_ZN7rocprim17ROCPRIM_400000_NS6detail17trampoline_kernelINS0_14default_configENS1_27scan_by_key_config_selectorIxxEEZZNS1_16scan_by_key_implILNS1_25lookback_scan_determinismE0ELb1ES3_N6thrust23THRUST_200600_302600_NS6detail15normal_iteratorINS9_10device_ptrIxEEEESE_SE_xNS9_10multipliesIxEENS9_8equal_toIxEExEE10hipError_tPvRmT2_T3_T4_T5_mT6_T7_P12ihipStream_tbENKUlT_T0_E_clISt17integral_constantIbLb1EESZ_EEDaSU_SV_EUlSU_E_NS1_11comp_targetILNS1_3genE3ELNS1_11target_archE908ELNS1_3gpuE7ELNS1_3repE0EEENS1_30default_config_static_selectorELNS0_4arch9wavefront6targetE1EEEvT1_,@function
_ZN7rocprim17ROCPRIM_400000_NS6detail17trampoline_kernelINS0_14default_configENS1_27scan_by_key_config_selectorIxxEEZZNS1_16scan_by_key_implILNS1_25lookback_scan_determinismE0ELb1ES3_N6thrust23THRUST_200600_302600_NS6detail15normal_iteratorINS9_10device_ptrIxEEEESE_SE_xNS9_10multipliesIxEENS9_8equal_toIxEExEE10hipError_tPvRmT2_T3_T4_T5_mT6_T7_P12ihipStream_tbENKUlT_T0_E_clISt17integral_constantIbLb1EESZ_EEDaSU_SV_EUlSU_E_NS1_11comp_targetILNS1_3genE3ELNS1_11target_archE908ELNS1_3gpuE7ELNS1_3repE0EEENS1_30default_config_static_selectorELNS0_4arch9wavefront6targetE1EEEvT1_: ; @_ZN7rocprim17ROCPRIM_400000_NS6detail17trampoline_kernelINS0_14default_configENS1_27scan_by_key_config_selectorIxxEEZZNS1_16scan_by_key_implILNS1_25lookback_scan_determinismE0ELb1ES3_N6thrust23THRUST_200600_302600_NS6detail15normal_iteratorINS9_10device_ptrIxEEEESE_SE_xNS9_10multipliesIxEENS9_8equal_toIxEExEE10hipError_tPvRmT2_T3_T4_T5_mT6_T7_P12ihipStream_tbENKUlT_T0_E_clISt17integral_constantIbLb1EESZ_EEDaSU_SV_EUlSU_E_NS1_11comp_targetILNS1_3genE3ELNS1_11target_archE908ELNS1_3gpuE7ELNS1_3repE0EEENS1_30default_config_static_selectorELNS0_4arch9wavefront6targetE1EEEvT1_
; %bb.0:
	.section	.rodata,"a",@progbits
	.p2align	6, 0x0
	.amdhsa_kernel _ZN7rocprim17ROCPRIM_400000_NS6detail17trampoline_kernelINS0_14default_configENS1_27scan_by_key_config_selectorIxxEEZZNS1_16scan_by_key_implILNS1_25lookback_scan_determinismE0ELb1ES3_N6thrust23THRUST_200600_302600_NS6detail15normal_iteratorINS9_10device_ptrIxEEEESE_SE_xNS9_10multipliesIxEENS9_8equal_toIxEExEE10hipError_tPvRmT2_T3_T4_T5_mT6_T7_P12ihipStream_tbENKUlT_T0_E_clISt17integral_constantIbLb1EESZ_EEDaSU_SV_EUlSU_E_NS1_11comp_targetILNS1_3genE3ELNS1_11target_archE908ELNS1_3gpuE7ELNS1_3repE0EEENS1_30default_config_static_selectorELNS0_4arch9wavefront6targetE1EEEvT1_
		.amdhsa_group_segment_fixed_size 0
		.amdhsa_private_segment_fixed_size 0
		.amdhsa_kernarg_size 136
		.amdhsa_user_sgpr_count 6
		.amdhsa_user_sgpr_private_segment_buffer 1
		.amdhsa_user_sgpr_dispatch_ptr 0
		.amdhsa_user_sgpr_queue_ptr 0
		.amdhsa_user_sgpr_kernarg_segment_ptr 1
		.amdhsa_user_sgpr_dispatch_id 0
		.amdhsa_user_sgpr_flat_scratch_init 0
		.amdhsa_user_sgpr_kernarg_preload_length 0
		.amdhsa_user_sgpr_kernarg_preload_offset 0
		.amdhsa_user_sgpr_private_segment_size 0
		.amdhsa_uses_dynamic_stack 0
		.amdhsa_system_sgpr_private_segment_wavefront_offset 0
		.amdhsa_system_sgpr_workgroup_id_x 1
		.amdhsa_system_sgpr_workgroup_id_y 0
		.amdhsa_system_sgpr_workgroup_id_z 0
		.amdhsa_system_sgpr_workgroup_info 0
		.amdhsa_system_vgpr_workitem_id 0
		.amdhsa_next_free_vgpr 1
		.amdhsa_next_free_sgpr 0
		.amdhsa_accum_offset 4
		.amdhsa_reserve_vcc 0
		.amdhsa_reserve_flat_scratch 0
		.amdhsa_float_round_mode_32 0
		.amdhsa_float_round_mode_16_64 0
		.amdhsa_float_denorm_mode_32 3
		.amdhsa_float_denorm_mode_16_64 3
		.amdhsa_dx10_clamp 1
		.amdhsa_ieee_mode 1
		.amdhsa_fp16_overflow 0
		.amdhsa_tg_split 0
		.amdhsa_exception_fp_ieee_invalid_op 0
		.amdhsa_exception_fp_denorm_src 0
		.amdhsa_exception_fp_ieee_div_zero 0
		.amdhsa_exception_fp_ieee_overflow 0
		.amdhsa_exception_fp_ieee_underflow 0
		.amdhsa_exception_fp_ieee_inexact 0
		.amdhsa_exception_int_div_zero 0
	.end_amdhsa_kernel
	.section	.text._ZN7rocprim17ROCPRIM_400000_NS6detail17trampoline_kernelINS0_14default_configENS1_27scan_by_key_config_selectorIxxEEZZNS1_16scan_by_key_implILNS1_25lookback_scan_determinismE0ELb1ES3_N6thrust23THRUST_200600_302600_NS6detail15normal_iteratorINS9_10device_ptrIxEEEESE_SE_xNS9_10multipliesIxEENS9_8equal_toIxEExEE10hipError_tPvRmT2_T3_T4_T5_mT6_T7_P12ihipStream_tbENKUlT_T0_E_clISt17integral_constantIbLb1EESZ_EEDaSU_SV_EUlSU_E_NS1_11comp_targetILNS1_3genE3ELNS1_11target_archE908ELNS1_3gpuE7ELNS1_3repE0EEENS1_30default_config_static_selectorELNS0_4arch9wavefront6targetE1EEEvT1_,"axG",@progbits,_ZN7rocprim17ROCPRIM_400000_NS6detail17trampoline_kernelINS0_14default_configENS1_27scan_by_key_config_selectorIxxEEZZNS1_16scan_by_key_implILNS1_25lookback_scan_determinismE0ELb1ES3_N6thrust23THRUST_200600_302600_NS6detail15normal_iteratorINS9_10device_ptrIxEEEESE_SE_xNS9_10multipliesIxEENS9_8equal_toIxEExEE10hipError_tPvRmT2_T3_T4_T5_mT6_T7_P12ihipStream_tbENKUlT_T0_E_clISt17integral_constantIbLb1EESZ_EEDaSU_SV_EUlSU_E_NS1_11comp_targetILNS1_3genE3ELNS1_11target_archE908ELNS1_3gpuE7ELNS1_3repE0EEENS1_30default_config_static_selectorELNS0_4arch9wavefront6targetE1EEEvT1_,comdat
.Lfunc_end402:
	.size	_ZN7rocprim17ROCPRIM_400000_NS6detail17trampoline_kernelINS0_14default_configENS1_27scan_by_key_config_selectorIxxEEZZNS1_16scan_by_key_implILNS1_25lookback_scan_determinismE0ELb1ES3_N6thrust23THRUST_200600_302600_NS6detail15normal_iteratorINS9_10device_ptrIxEEEESE_SE_xNS9_10multipliesIxEENS9_8equal_toIxEExEE10hipError_tPvRmT2_T3_T4_T5_mT6_T7_P12ihipStream_tbENKUlT_T0_E_clISt17integral_constantIbLb1EESZ_EEDaSU_SV_EUlSU_E_NS1_11comp_targetILNS1_3genE3ELNS1_11target_archE908ELNS1_3gpuE7ELNS1_3repE0EEENS1_30default_config_static_selectorELNS0_4arch9wavefront6targetE1EEEvT1_, .Lfunc_end402-_ZN7rocprim17ROCPRIM_400000_NS6detail17trampoline_kernelINS0_14default_configENS1_27scan_by_key_config_selectorIxxEEZZNS1_16scan_by_key_implILNS1_25lookback_scan_determinismE0ELb1ES3_N6thrust23THRUST_200600_302600_NS6detail15normal_iteratorINS9_10device_ptrIxEEEESE_SE_xNS9_10multipliesIxEENS9_8equal_toIxEExEE10hipError_tPvRmT2_T3_T4_T5_mT6_T7_P12ihipStream_tbENKUlT_T0_E_clISt17integral_constantIbLb1EESZ_EEDaSU_SV_EUlSU_E_NS1_11comp_targetILNS1_3genE3ELNS1_11target_archE908ELNS1_3gpuE7ELNS1_3repE0EEENS1_30default_config_static_selectorELNS0_4arch9wavefront6targetE1EEEvT1_
                                        ; -- End function
	.section	.AMDGPU.csdata,"",@progbits
; Kernel info:
; codeLenInByte = 0
; NumSgprs: 4
; NumVgprs: 0
; NumAgprs: 0
; TotalNumVgprs: 0
; ScratchSize: 0
; MemoryBound: 0
; FloatMode: 240
; IeeeMode: 1
; LDSByteSize: 0 bytes/workgroup (compile time only)
; SGPRBlocks: 0
; VGPRBlocks: 0
; NumSGPRsForWavesPerEU: 4
; NumVGPRsForWavesPerEU: 1
; AccumOffset: 4
; Occupancy: 8
; WaveLimiterHint : 0
; COMPUTE_PGM_RSRC2:SCRATCH_EN: 0
; COMPUTE_PGM_RSRC2:USER_SGPR: 6
; COMPUTE_PGM_RSRC2:TRAP_HANDLER: 0
; COMPUTE_PGM_RSRC2:TGID_X_EN: 1
; COMPUTE_PGM_RSRC2:TGID_Y_EN: 0
; COMPUTE_PGM_RSRC2:TGID_Z_EN: 0
; COMPUTE_PGM_RSRC2:TIDIG_COMP_CNT: 0
; COMPUTE_PGM_RSRC3_GFX90A:ACCUM_OFFSET: 0
; COMPUTE_PGM_RSRC3_GFX90A:TG_SPLIT: 0
	.section	.text._ZN7rocprim17ROCPRIM_400000_NS6detail17trampoline_kernelINS0_14default_configENS1_27scan_by_key_config_selectorIxxEEZZNS1_16scan_by_key_implILNS1_25lookback_scan_determinismE0ELb1ES3_N6thrust23THRUST_200600_302600_NS6detail15normal_iteratorINS9_10device_ptrIxEEEESE_SE_xNS9_10multipliesIxEENS9_8equal_toIxEExEE10hipError_tPvRmT2_T3_T4_T5_mT6_T7_P12ihipStream_tbENKUlT_T0_E_clISt17integral_constantIbLb1EESZ_EEDaSU_SV_EUlSU_E_NS1_11comp_targetILNS1_3genE2ELNS1_11target_archE906ELNS1_3gpuE6ELNS1_3repE0EEENS1_30default_config_static_selectorELNS0_4arch9wavefront6targetE1EEEvT1_,"axG",@progbits,_ZN7rocprim17ROCPRIM_400000_NS6detail17trampoline_kernelINS0_14default_configENS1_27scan_by_key_config_selectorIxxEEZZNS1_16scan_by_key_implILNS1_25lookback_scan_determinismE0ELb1ES3_N6thrust23THRUST_200600_302600_NS6detail15normal_iteratorINS9_10device_ptrIxEEEESE_SE_xNS9_10multipliesIxEENS9_8equal_toIxEExEE10hipError_tPvRmT2_T3_T4_T5_mT6_T7_P12ihipStream_tbENKUlT_T0_E_clISt17integral_constantIbLb1EESZ_EEDaSU_SV_EUlSU_E_NS1_11comp_targetILNS1_3genE2ELNS1_11target_archE906ELNS1_3gpuE6ELNS1_3repE0EEENS1_30default_config_static_selectorELNS0_4arch9wavefront6targetE1EEEvT1_,comdat
	.protected	_ZN7rocprim17ROCPRIM_400000_NS6detail17trampoline_kernelINS0_14default_configENS1_27scan_by_key_config_selectorIxxEEZZNS1_16scan_by_key_implILNS1_25lookback_scan_determinismE0ELb1ES3_N6thrust23THRUST_200600_302600_NS6detail15normal_iteratorINS9_10device_ptrIxEEEESE_SE_xNS9_10multipliesIxEENS9_8equal_toIxEExEE10hipError_tPvRmT2_T3_T4_T5_mT6_T7_P12ihipStream_tbENKUlT_T0_E_clISt17integral_constantIbLb1EESZ_EEDaSU_SV_EUlSU_E_NS1_11comp_targetILNS1_3genE2ELNS1_11target_archE906ELNS1_3gpuE6ELNS1_3repE0EEENS1_30default_config_static_selectorELNS0_4arch9wavefront6targetE1EEEvT1_ ; -- Begin function _ZN7rocprim17ROCPRIM_400000_NS6detail17trampoline_kernelINS0_14default_configENS1_27scan_by_key_config_selectorIxxEEZZNS1_16scan_by_key_implILNS1_25lookback_scan_determinismE0ELb1ES3_N6thrust23THRUST_200600_302600_NS6detail15normal_iteratorINS9_10device_ptrIxEEEESE_SE_xNS9_10multipliesIxEENS9_8equal_toIxEExEE10hipError_tPvRmT2_T3_T4_T5_mT6_T7_P12ihipStream_tbENKUlT_T0_E_clISt17integral_constantIbLb1EESZ_EEDaSU_SV_EUlSU_E_NS1_11comp_targetILNS1_3genE2ELNS1_11target_archE906ELNS1_3gpuE6ELNS1_3repE0EEENS1_30default_config_static_selectorELNS0_4arch9wavefront6targetE1EEEvT1_
	.globl	_ZN7rocprim17ROCPRIM_400000_NS6detail17trampoline_kernelINS0_14default_configENS1_27scan_by_key_config_selectorIxxEEZZNS1_16scan_by_key_implILNS1_25lookback_scan_determinismE0ELb1ES3_N6thrust23THRUST_200600_302600_NS6detail15normal_iteratorINS9_10device_ptrIxEEEESE_SE_xNS9_10multipliesIxEENS9_8equal_toIxEExEE10hipError_tPvRmT2_T3_T4_T5_mT6_T7_P12ihipStream_tbENKUlT_T0_E_clISt17integral_constantIbLb1EESZ_EEDaSU_SV_EUlSU_E_NS1_11comp_targetILNS1_3genE2ELNS1_11target_archE906ELNS1_3gpuE6ELNS1_3repE0EEENS1_30default_config_static_selectorELNS0_4arch9wavefront6targetE1EEEvT1_
	.p2align	8
	.type	_ZN7rocprim17ROCPRIM_400000_NS6detail17trampoline_kernelINS0_14default_configENS1_27scan_by_key_config_selectorIxxEEZZNS1_16scan_by_key_implILNS1_25lookback_scan_determinismE0ELb1ES3_N6thrust23THRUST_200600_302600_NS6detail15normal_iteratorINS9_10device_ptrIxEEEESE_SE_xNS9_10multipliesIxEENS9_8equal_toIxEExEE10hipError_tPvRmT2_T3_T4_T5_mT6_T7_P12ihipStream_tbENKUlT_T0_E_clISt17integral_constantIbLb1EESZ_EEDaSU_SV_EUlSU_E_NS1_11comp_targetILNS1_3genE2ELNS1_11target_archE906ELNS1_3gpuE6ELNS1_3repE0EEENS1_30default_config_static_selectorELNS0_4arch9wavefront6targetE1EEEvT1_,@function
_ZN7rocprim17ROCPRIM_400000_NS6detail17trampoline_kernelINS0_14default_configENS1_27scan_by_key_config_selectorIxxEEZZNS1_16scan_by_key_implILNS1_25lookback_scan_determinismE0ELb1ES3_N6thrust23THRUST_200600_302600_NS6detail15normal_iteratorINS9_10device_ptrIxEEEESE_SE_xNS9_10multipliesIxEENS9_8equal_toIxEExEE10hipError_tPvRmT2_T3_T4_T5_mT6_T7_P12ihipStream_tbENKUlT_T0_E_clISt17integral_constantIbLb1EESZ_EEDaSU_SV_EUlSU_E_NS1_11comp_targetILNS1_3genE2ELNS1_11target_archE906ELNS1_3gpuE6ELNS1_3repE0EEENS1_30default_config_static_selectorELNS0_4arch9wavefront6targetE1EEEvT1_: ; @_ZN7rocprim17ROCPRIM_400000_NS6detail17trampoline_kernelINS0_14default_configENS1_27scan_by_key_config_selectorIxxEEZZNS1_16scan_by_key_implILNS1_25lookback_scan_determinismE0ELb1ES3_N6thrust23THRUST_200600_302600_NS6detail15normal_iteratorINS9_10device_ptrIxEEEESE_SE_xNS9_10multipliesIxEENS9_8equal_toIxEExEE10hipError_tPvRmT2_T3_T4_T5_mT6_T7_P12ihipStream_tbENKUlT_T0_E_clISt17integral_constantIbLb1EESZ_EEDaSU_SV_EUlSU_E_NS1_11comp_targetILNS1_3genE2ELNS1_11target_archE906ELNS1_3gpuE6ELNS1_3repE0EEENS1_30default_config_static_selectorELNS0_4arch9wavefront6targetE1EEEvT1_
; %bb.0:
	.section	.rodata,"a",@progbits
	.p2align	6, 0x0
	.amdhsa_kernel _ZN7rocprim17ROCPRIM_400000_NS6detail17trampoline_kernelINS0_14default_configENS1_27scan_by_key_config_selectorIxxEEZZNS1_16scan_by_key_implILNS1_25lookback_scan_determinismE0ELb1ES3_N6thrust23THRUST_200600_302600_NS6detail15normal_iteratorINS9_10device_ptrIxEEEESE_SE_xNS9_10multipliesIxEENS9_8equal_toIxEExEE10hipError_tPvRmT2_T3_T4_T5_mT6_T7_P12ihipStream_tbENKUlT_T0_E_clISt17integral_constantIbLb1EESZ_EEDaSU_SV_EUlSU_E_NS1_11comp_targetILNS1_3genE2ELNS1_11target_archE906ELNS1_3gpuE6ELNS1_3repE0EEENS1_30default_config_static_selectorELNS0_4arch9wavefront6targetE1EEEvT1_
		.amdhsa_group_segment_fixed_size 0
		.amdhsa_private_segment_fixed_size 0
		.amdhsa_kernarg_size 136
		.amdhsa_user_sgpr_count 6
		.amdhsa_user_sgpr_private_segment_buffer 1
		.amdhsa_user_sgpr_dispatch_ptr 0
		.amdhsa_user_sgpr_queue_ptr 0
		.amdhsa_user_sgpr_kernarg_segment_ptr 1
		.amdhsa_user_sgpr_dispatch_id 0
		.amdhsa_user_sgpr_flat_scratch_init 0
		.amdhsa_user_sgpr_kernarg_preload_length 0
		.amdhsa_user_sgpr_kernarg_preload_offset 0
		.amdhsa_user_sgpr_private_segment_size 0
		.amdhsa_uses_dynamic_stack 0
		.amdhsa_system_sgpr_private_segment_wavefront_offset 0
		.amdhsa_system_sgpr_workgroup_id_x 1
		.amdhsa_system_sgpr_workgroup_id_y 0
		.amdhsa_system_sgpr_workgroup_id_z 0
		.amdhsa_system_sgpr_workgroup_info 0
		.amdhsa_system_vgpr_workitem_id 0
		.amdhsa_next_free_vgpr 1
		.amdhsa_next_free_sgpr 0
		.amdhsa_accum_offset 4
		.amdhsa_reserve_vcc 0
		.amdhsa_reserve_flat_scratch 0
		.amdhsa_float_round_mode_32 0
		.amdhsa_float_round_mode_16_64 0
		.amdhsa_float_denorm_mode_32 3
		.amdhsa_float_denorm_mode_16_64 3
		.amdhsa_dx10_clamp 1
		.amdhsa_ieee_mode 1
		.amdhsa_fp16_overflow 0
		.amdhsa_tg_split 0
		.amdhsa_exception_fp_ieee_invalid_op 0
		.amdhsa_exception_fp_denorm_src 0
		.amdhsa_exception_fp_ieee_div_zero 0
		.amdhsa_exception_fp_ieee_overflow 0
		.amdhsa_exception_fp_ieee_underflow 0
		.amdhsa_exception_fp_ieee_inexact 0
		.amdhsa_exception_int_div_zero 0
	.end_amdhsa_kernel
	.section	.text._ZN7rocprim17ROCPRIM_400000_NS6detail17trampoline_kernelINS0_14default_configENS1_27scan_by_key_config_selectorIxxEEZZNS1_16scan_by_key_implILNS1_25lookback_scan_determinismE0ELb1ES3_N6thrust23THRUST_200600_302600_NS6detail15normal_iteratorINS9_10device_ptrIxEEEESE_SE_xNS9_10multipliesIxEENS9_8equal_toIxEExEE10hipError_tPvRmT2_T3_T4_T5_mT6_T7_P12ihipStream_tbENKUlT_T0_E_clISt17integral_constantIbLb1EESZ_EEDaSU_SV_EUlSU_E_NS1_11comp_targetILNS1_3genE2ELNS1_11target_archE906ELNS1_3gpuE6ELNS1_3repE0EEENS1_30default_config_static_selectorELNS0_4arch9wavefront6targetE1EEEvT1_,"axG",@progbits,_ZN7rocprim17ROCPRIM_400000_NS6detail17trampoline_kernelINS0_14default_configENS1_27scan_by_key_config_selectorIxxEEZZNS1_16scan_by_key_implILNS1_25lookback_scan_determinismE0ELb1ES3_N6thrust23THRUST_200600_302600_NS6detail15normal_iteratorINS9_10device_ptrIxEEEESE_SE_xNS9_10multipliesIxEENS9_8equal_toIxEExEE10hipError_tPvRmT2_T3_T4_T5_mT6_T7_P12ihipStream_tbENKUlT_T0_E_clISt17integral_constantIbLb1EESZ_EEDaSU_SV_EUlSU_E_NS1_11comp_targetILNS1_3genE2ELNS1_11target_archE906ELNS1_3gpuE6ELNS1_3repE0EEENS1_30default_config_static_selectorELNS0_4arch9wavefront6targetE1EEEvT1_,comdat
.Lfunc_end403:
	.size	_ZN7rocprim17ROCPRIM_400000_NS6detail17trampoline_kernelINS0_14default_configENS1_27scan_by_key_config_selectorIxxEEZZNS1_16scan_by_key_implILNS1_25lookback_scan_determinismE0ELb1ES3_N6thrust23THRUST_200600_302600_NS6detail15normal_iteratorINS9_10device_ptrIxEEEESE_SE_xNS9_10multipliesIxEENS9_8equal_toIxEExEE10hipError_tPvRmT2_T3_T4_T5_mT6_T7_P12ihipStream_tbENKUlT_T0_E_clISt17integral_constantIbLb1EESZ_EEDaSU_SV_EUlSU_E_NS1_11comp_targetILNS1_3genE2ELNS1_11target_archE906ELNS1_3gpuE6ELNS1_3repE0EEENS1_30default_config_static_selectorELNS0_4arch9wavefront6targetE1EEEvT1_, .Lfunc_end403-_ZN7rocprim17ROCPRIM_400000_NS6detail17trampoline_kernelINS0_14default_configENS1_27scan_by_key_config_selectorIxxEEZZNS1_16scan_by_key_implILNS1_25lookback_scan_determinismE0ELb1ES3_N6thrust23THRUST_200600_302600_NS6detail15normal_iteratorINS9_10device_ptrIxEEEESE_SE_xNS9_10multipliesIxEENS9_8equal_toIxEExEE10hipError_tPvRmT2_T3_T4_T5_mT6_T7_P12ihipStream_tbENKUlT_T0_E_clISt17integral_constantIbLb1EESZ_EEDaSU_SV_EUlSU_E_NS1_11comp_targetILNS1_3genE2ELNS1_11target_archE906ELNS1_3gpuE6ELNS1_3repE0EEENS1_30default_config_static_selectorELNS0_4arch9wavefront6targetE1EEEvT1_
                                        ; -- End function
	.section	.AMDGPU.csdata,"",@progbits
; Kernel info:
; codeLenInByte = 0
; NumSgprs: 4
; NumVgprs: 0
; NumAgprs: 0
; TotalNumVgprs: 0
; ScratchSize: 0
; MemoryBound: 0
; FloatMode: 240
; IeeeMode: 1
; LDSByteSize: 0 bytes/workgroup (compile time only)
; SGPRBlocks: 0
; VGPRBlocks: 0
; NumSGPRsForWavesPerEU: 4
; NumVGPRsForWavesPerEU: 1
; AccumOffset: 4
; Occupancy: 8
; WaveLimiterHint : 0
; COMPUTE_PGM_RSRC2:SCRATCH_EN: 0
; COMPUTE_PGM_RSRC2:USER_SGPR: 6
; COMPUTE_PGM_RSRC2:TRAP_HANDLER: 0
; COMPUTE_PGM_RSRC2:TGID_X_EN: 1
; COMPUTE_PGM_RSRC2:TGID_Y_EN: 0
; COMPUTE_PGM_RSRC2:TGID_Z_EN: 0
; COMPUTE_PGM_RSRC2:TIDIG_COMP_CNT: 0
; COMPUTE_PGM_RSRC3_GFX90A:ACCUM_OFFSET: 0
; COMPUTE_PGM_RSRC3_GFX90A:TG_SPLIT: 0
	.section	.text._ZN7rocprim17ROCPRIM_400000_NS6detail17trampoline_kernelINS0_14default_configENS1_27scan_by_key_config_selectorIxxEEZZNS1_16scan_by_key_implILNS1_25lookback_scan_determinismE0ELb1ES3_N6thrust23THRUST_200600_302600_NS6detail15normal_iteratorINS9_10device_ptrIxEEEESE_SE_xNS9_10multipliesIxEENS9_8equal_toIxEExEE10hipError_tPvRmT2_T3_T4_T5_mT6_T7_P12ihipStream_tbENKUlT_T0_E_clISt17integral_constantIbLb1EESZ_EEDaSU_SV_EUlSU_E_NS1_11comp_targetILNS1_3genE10ELNS1_11target_archE1200ELNS1_3gpuE4ELNS1_3repE0EEENS1_30default_config_static_selectorELNS0_4arch9wavefront6targetE1EEEvT1_,"axG",@progbits,_ZN7rocprim17ROCPRIM_400000_NS6detail17trampoline_kernelINS0_14default_configENS1_27scan_by_key_config_selectorIxxEEZZNS1_16scan_by_key_implILNS1_25lookback_scan_determinismE0ELb1ES3_N6thrust23THRUST_200600_302600_NS6detail15normal_iteratorINS9_10device_ptrIxEEEESE_SE_xNS9_10multipliesIxEENS9_8equal_toIxEExEE10hipError_tPvRmT2_T3_T4_T5_mT6_T7_P12ihipStream_tbENKUlT_T0_E_clISt17integral_constantIbLb1EESZ_EEDaSU_SV_EUlSU_E_NS1_11comp_targetILNS1_3genE10ELNS1_11target_archE1200ELNS1_3gpuE4ELNS1_3repE0EEENS1_30default_config_static_selectorELNS0_4arch9wavefront6targetE1EEEvT1_,comdat
	.protected	_ZN7rocprim17ROCPRIM_400000_NS6detail17trampoline_kernelINS0_14default_configENS1_27scan_by_key_config_selectorIxxEEZZNS1_16scan_by_key_implILNS1_25lookback_scan_determinismE0ELb1ES3_N6thrust23THRUST_200600_302600_NS6detail15normal_iteratorINS9_10device_ptrIxEEEESE_SE_xNS9_10multipliesIxEENS9_8equal_toIxEExEE10hipError_tPvRmT2_T3_T4_T5_mT6_T7_P12ihipStream_tbENKUlT_T0_E_clISt17integral_constantIbLb1EESZ_EEDaSU_SV_EUlSU_E_NS1_11comp_targetILNS1_3genE10ELNS1_11target_archE1200ELNS1_3gpuE4ELNS1_3repE0EEENS1_30default_config_static_selectorELNS0_4arch9wavefront6targetE1EEEvT1_ ; -- Begin function _ZN7rocprim17ROCPRIM_400000_NS6detail17trampoline_kernelINS0_14default_configENS1_27scan_by_key_config_selectorIxxEEZZNS1_16scan_by_key_implILNS1_25lookback_scan_determinismE0ELb1ES3_N6thrust23THRUST_200600_302600_NS6detail15normal_iteratorINS9_10device_ptrIxEEEESE_SE_xNS9_10multipliesIxEENS9_8equal_toIxEExEE10hipError_tPvRmT2_T3_T4_T5_mT6_T7_P12ihipStream_tbENKUlT_T0_E_clISt17integral_constantIbLb1EESZ_EEDaSU_SV_EUlSU_E_NS1_11comp_targetILNS1_3genE10ELNS1_11target_archE1200ELNS1_3gpuE4ELNS1_3repE0EEENS1_30default_config_static_selectorELNS0_4arch9wavefront6targetE1EEEvT1_
	.globl	_ZN7rocprim17ROCPRIM_400000_NS6detail17trampoline_kernelINS0_14default_configENS1_27scan_by_key_config_selectorIxxEEZZNS1_16scan_by_key_implILNS1_25lookback_scan_determinismE0ELb1ES3_N6thrust23THRUST_200600_302600_NS6detail15normal_iteratorINS9_10device_ptrIxEEEESE_SE_xNS9_10multipliesIxEENS9_8equal_toIxEExEE10hipError_tPvRmT2_T3_T4_T5_mT6_T7_P12ihipStream_tbENKUlT_T0_E_clISt17integral_constantIbLb1EESZ_EEDaSU_SV_EUlSU_E_NS1_11comp_targetILNS1_3genE10ELNS1_11target_archE1200ELNS1_3gpuE4ELNS1_3repE0EEENS1_30default_config_static_selectorELNS0_4arch9wavefront6targetE1EEEvT1_
	.p2align	8
	.type	_ZN7rocprim17ROCPRIM_400000_NS6detail17trampoline_kernelINS0_14default_configENS1_27scan_by_key_config_selectorIxxEEZZNS1_16scan_by_key_implILNS1_25lookback_scan_determinismE0ELb1ES3_N6thrust23THRUST_200600_302600_NS6detail15normal_iteratorINS9_10device_ptrIxEEEESE_SE_xNS9_10multipliesIxEENS9_8equal_toIxEExEE10hipError_tPvRmT2_T3_T4_T5_mT6_T7_P12ihipStream_tbENKUlT_T0_E_clISt17integral_constantIbLb1EESZ_EEDaSU_SV_EUlSU_E_NS1_11comp_targetILNS1_3genE10ELNS1_11target_archE1200ELNS1_3gpuE4ELNS1_3repE0EEENS1_30default_config_static_selectorELNS0_4arch9wavefront6targetE1EEEvT1_,@function
_ZN7rocprim17ROCPRIM_400000_NS6detail17trampoline_kernelINS0_14default_configENS1_27scan_by_key_config_selectorIxxEEZZNS1_16scan_by_key_implILNS1_25lookback_scan_determinismE0ELb1ES3_N6thrust23THRUST_200600_302600_NS6detail15normal_iteratorINS9_10device_ptrIxEEEESE_SE_xNS9_10multipliesIxEENS9_8equal_toIxEExEE10hipError_tPvRmT2_T3_T4_T5_mT6_T7_P12ihipStream_tbENKUlT_T0_E_clISt17integral_constantIbLb1EESZ_EEDaSU_SV_EUlSU_E_NS1_11comp_targetILNS1_3genE10ELNS1_11target_archE1200ELNS1_3gpuE4ELNS1_3repE0EEENS1_30default_config_static_selectorELNS0_4arch9wavefront6targetE1EEEvT1_: ; @_ZN7rocprim17ROCPRIM_400000_NS6detail17trampoline_kernelINS0_14default_configENS1_27scan_by_key_config_selectorIxxEEZZNS1_16scan_by_key_implILNS1_25lookback_scan_determinismE0ELb1ES3_N6thrust23THRUST_200600_302600_NS6detail15normal_iteratorINS9_10device_ptrIxEEEESE_SE_xNS9_10multipliesIxEENS9_8equal_toIxEExEE10hipError_tPvRmT2_T3_T4_T5_mT6_T7_P12ihipStream_tbENKUlT_T0_E_clISt17integral_constantIbLb1EESZ_EEDaSU_SV_EUlSU_E_NS1_11comp_targetILNS1_3genE10ELNS1_11target_archE1200ELNS1_3gpuE4ELNS1_3repE0EEENS1_30default_config_static_selectorELNS0_4arch9wavefront6targetE1EEEvT1_
; %bb.0:
	.section	.rodata,"a",@progbits
	.p2align	6, 0x0
	.amdhsa_kernel _ZN7rocprim17ROCPRIM_400000_NS6detail17trampoline_kernelINS0_14default_configENS1_27scan_by_key_config_selectorIxxEEZZNS1_16scan_by_key_implILNS1_25lookback_scan_determinismE0ELb1ES3_N6thrust23THRUST_200600_302600_NS6detail15normal_iteratorINS9_10device_ptrIxEEEESE_SE_xNS9_10multipliesIxEENS9_8equal_toIxEExEE10hipError_tPvRmT2_T3_T4_T5_mT6_T7_P12ihipStream_tbENKUlT_T0_E_clISt17integral_constantIbLb1EESZ_EEDaSU_SV_EUlSU_E_NS1_11comp_targetILNS1_3genE10ELNS1_11target_archE1200ELNS1_3gpuE4ELNS1_3repE0EEENS1_30default_config_static_selectorELNS0_4arch9wavefront6targetE1EEEvT1_
		.amdhsa_group_segment_fixed_size 0
		.amdhsa_private_segment_fixed_size 0
		.amdhsa_kernarg_size 136
		.amdhsa_user_sgpr_count 6
		.amdhsa_user_sgpr_private_segment_buffer 1
		.amdhsa_user_sgpr_dispatch_ptr 0
		.amdhsa_user_sgpr_queue_ptr 0
		.amdhsa_user_sgpr_kernarg_segment_ptr 1
		.amdhsa_user_sgpr_dispatch_id 0
		.amdhsa_user_sgpr_flat_scratch_init 0
		.amdhsa_user_sgpr_kernarg_preload_length 0
		.amdhsa_user_sgpr_kernarg_preload_offset 0
		.amdhsa_user_sgpr_private_segment_size 0
		.amdhsa_uses_dynamic_stack 0
		.amdhsa_system_sgpr_private_segment_wavefront_offset 0
		.amdhsa_system_sgpr_workgroup_id_x 1
		.amdhsa_system_sgpr_workgroup_id_y 0
		.amdhsa_system_sgpr_workgroup_id_z 0
		.amdhsa_system_sgpr_workgroup_info 0
		.amdhsa_system_vgpr_workitem_id 0
		.amdhsa_next_free_vgpr 1
		.amdhsa_next_free_sgpr 0
		.amdhsa_accum_offset 4
		.amdhsa_reserve_vcc 0
		.amdhsa_reserve_flat_scratch 0
		.amdhsa_float_round_mode_32 0
		.amdhsa_float_round_mode_16_64 0
		.amdhsa_float_denorm_mode_32 3
		.amdhsa_float_denorm_mode_16_64 3
		.amdhsa_dx10_clamp 1
		.amdhsa_ieee_mode 1
		.amdhsa_fp16_overflow 0
		.amdhsa_tg_split 0
		.amdhsa_exception_fp_ieee_invalid_op 0
		.amdhsa_exception_fp_denorm_src 0
		.amdhsa_exception_fp_ieee_div_zero 0
		.amdhsa_exception_fp_ieee_overflow 0
		.amdhsa_exception_fp_ieee_underflow 0
		.amdhsa_exception_fp_ieee_inexact 0
		.amdhsa_exception_int_div_zero 0
	.end_amdhsa_kernel
	.section	.text._ZN7rocprim17ROCPRIM_400000_NS6detail17trampoline_kernelINS0_14default_configENS1_27scan_by_key_config_selectorIxxEEZZNS1_16scan_by_key_implILNS1_25lookback_scan_determinismE0ELb1ES3_N6thrust23THRUST_200600_302600_NS6detail15normal_iteratorINS9_10device_ptrIxEEEESE_SE_xNS9_10multipliesIxEENS9_8equal_toIxEExEE10hipError_tPvRmT2_T3_T4_T5_mT6_T7_P12ihipStream_tbENKUlT_T0_E_clISt17integral_constantIbLb1EESZ_EEDaSU_SV_EUlSU_E_NS1_11comp_targetILNS1_3genE10ELNS1_11target_archE1200ELNS1_3gpuE4ELNS1_3repE0EEENS1_30default_config_static_selectorELNS0_4arch9wavefront6targetE1EEEvT1_,"axG",@progbits,_ZN7rocprim17ROCPRIM_400000_NS6detail17trampoline_kernelINS0_14default_configENS1_27scan_by_key_config_selectorIxxEEZZNS1_16scan_by_key_implILNS1_25lookback_scan_determinismE0ELb1ES3_N6thrust23THRUST_200600_302600_NS6detail15normal_iteratorINS9_10device_ptrIxEEEESE_SE_xNS9_10multipliesIxEENS9_8equal_toIxEExEE10hipError_tPvRmT2_T3_T4_T5_mT6_T7_P12ihipStream_tbENKUlT_T0_E_clISt17integral_constantIbLb1EESZ_EEDaSU_SV_EUlSU_E_NS1_11comp_targetILNS1_3genE10ELNS1_11target_archE1200ELNS1_3gpuE4ELNS1_3repE0EEENS1_30default_config_static_selectorELNS0_4arch9wavefront6targetE1EEEvT1_,comdat
.Lfunc_end404:
	.size	_ZN7rocprim17ROCPRIM_400000_NS6detail17trampoline_kernelINS0_14default_configENS1_27scan_by_key_config_selectorIxxEEZZNS1_16scan_by_key_implILNS1_25lookback_scan_determinismE0ELb1ES3_N6thrust23THRUST_200600_302600_NS6detail15normal_iteratorINS9_10device_ptrIxEEEESE_SE_xNS9_10multipliesIxEENS9_8equal_toIxEExEE10hipError_tPvRmT2_T3_T4_T5_mT6_T7_P12ihipStream_tbENKUlT_T0_E_clISt17integral_constantIbLb1EESZ_EEDaSU_SV_EUlSU_E_NS1_11comp_targetILNS1_3genE10ELNS1_11target_archE1200ELNS1_3gpuE4ELNS1_3repE0EEENS1_30default_config_static_selectorELNS0_4arch9wavefront6targetE1EEEvT1_, .Lfunc_end404-_ZN7rocprim17ROCPRIM_400000_NS6detail17trampoline_kernelINS0_14default_configENS1_27scan_by_key_config_selectorIxxEEZZNS1_16scan_by_key_implILNS1_25lookback_scan_determinismE0ELb1ES3_N6thrust23THRUST_200600_302600_NS6detail15normal_iteratorINS9_10device_ptrIxEEEESE_SE_xNS9_10multipliesIxEENS9_8equal_toIxEExEE10hipError_tPvRmT2_T3_T4_T5_mT6_T7_P12ihipStream_tbENKUlT_T0_E_clISt17integral_constantIbLb1EESZ_EEDaSU_SV_EUlSU_E_NS1_11comp_targetILNS1_3genE10ELNS1_11target_archE1200ELNS1_3gpuE4ELNS1_3repE0EEENS1_30default_config_static_selectorELNS0_4arch9wavefront6targetE1EEEvT1_
                                        ; -- End function
	.section	.AMDGPU.csdata,"",@progbits
; Kernel info:
; codeLenInByte = 0
; NumSgprs: 4
; NumVgprs: 0
; NumAgprs: 0
; TotalNumVgprs: 0
; ScratchSize: 0
; MemoryBound: 0
; FloatMode: 240
; IeeeMode: 1
; LDSByteSize: 0 bytes/workgroup (compile time only)
; SGPRBlocks: 0
; VGPRBlocks: 0
; NumSGPRsForWavesPerEU: 4
; NumVGPRsForWavesPerEU: 1
; AccumOffset: 4
; Occupancy: 8
; WaveLimiterHint : 0
; COMPUTE_PGM_RSRC2:SCRATCH_EN: 0
; COMPUTE_PGM_RSRC2:USER_SGPR: 6
; COMPUTE_PGM_RSRC2:TRAP_HANDLER: 0
; COMPUTE_PGM_RSRC2:TGID_X_EN: 1
; COMPUTE_PGM_RSRC2:TGID_Y_EN: 0
; COMPUTE_PGM_RSRC2:TGID_Z_EN: 0
; COMPUTE_PGM_RSRC2:TIDIG_COMP_CNT: 0
; COMPUTE_PGM_RSRC3_GFX90A:ACCUM_OFFSET: 0
; COMPUTE_PGM_RSRC3_GFX90A:TG_SPLIT: 0
	.section	.text._ZN7rocprim17ROCPRIM_400000_NS6detail17trampoline_kernelINS0_14default_configENS1_27scan_by_key_config_selectorIxxEEZZNS1_16scan_by_key_implILNS1_25lookback_scan_determinismE0ELb1ES3_N6thrust23THRUST_200600_302600_NS6detail15normal_iteratorINS9_10device_ptrIxEEEESE_SE_xNS9_10multipliesIxEENS9_8equal_toIxEExEE10hipError_tPvRmT2_T3_T4_T5_mT6_T7_P12ihipStream_tbENKUlT_T0_E_clISt17integral_constantIbLb1EESZ_EEDaSU_SV_EUlSU_E_NS1_11comp_targetILNS1_3genE9ELNS1_11target_archE1100ELNS1_3gpuE3ELNS1_3repE0EEENS1_30default_config_static_selectorELNS0_4arch9wavefront6targetE1EEEvT1_,"axG",@progbits,_ZN7rocprim17ROCPRIM_400000_NS6detail17trampoline_kernelINS0_14default_configENS1_27scan_by_key_config_selectorIxxEEZZNS1_16scan_by_key_implILNS1_25lookback_scan_determinismE0ELb1ES3_N6thrust23THRUST_200600_302600_NS6detail15normal_iteratorINS9_10device_ptrIxEEEESE_SE_xNS9_10multipliesIxEENS9_8equal_toIxEExEE10hipError_tPvRmT2_T3_T4_T5_mT6_T7_P12ihipStream_tbENKUlT_T0_E_clISt17integral_constantIbLb1EESZ_EEDaSU_SV_EUlSU_E_NS1_11comp_targetILNS1_3genE9ELNS1_11target_archE1100ELNS1_3gpuE3ELNS1_3repE0EEENS1_30default_config_static_selectorELNS0_4arch9wavefront6targetE1EEEvT1_,comdat
	.protected	_ZN7rocprim17ROCPRIM_400000_NS6detail17trampoline_kernelINS0_14default_configENS1_27scan_by_key_config_selectorIxxEEZZNS1_16scan_by_key_implILNS1_25lookback_scan_determinismE0ELb1ES3_N6thrust23THRUST_200600_302600_NS6detail15normal_iteratorINS9_10device_ptrIxEEEESE_SE_xNS9_10multipliesIxEENS9_8equal_toIxEExEE10hipError_tPvRmT2_T3_T4_T5_mT6_T7_P12ihipStream_tbENKUlT_T0_E_clISt17integral_constantIbLb1EESZ_EEDaSU_SV_EUlSU_E_NS1_11comp_targetILNS1_3genE9ELNS1_11target_archE1100ELNS1_3gpuE3ELNS1_3repE0EEENS1_30default_config_static_selectorELNS0_4arch9wavefront6targetE1EEEvT1_ ; -- Begin function _ZN7rocprim17ROCPRIM_400000_NS6detail17trampoline_kernelINS0_14default_configENS1_27scan_by_key_config_selectorIxxEEZZNS1_16scan_by_key_implILNS1_25lookback_scan_determinismE0ELb1ES3_N6thrust23THRUST_200600_302600_NS6detail15normal_iteratorINS9_10device_ptrIxEEEESE_SE_xNS9_10multipliesIxEENS9_8equal_toIxEExEE10hipError_tPvRmT2_T3_T4_T5_mT6_T7_P12ihipStream_tbENKUlT_T0_E_clISt17integral_constantIbLb1EESZ_EEDaSU_SV_EUlSU_E_NS1_11comp_targetILNS1_3genE9ELNS1_11target_archE1100ELNS1_3gpuE3ELNS1_3repE0EEENS1_30default_config_static_selectorELNS0_4arch9wavefront6targetE1EEEvT1_
	.globl	_ZN7rocprim17ROCPRIM_400000_NS6detail17trampoline_kernelINS0_14default_configENS1_27scan_by_key_config_selectorIxxEEZZNS1_16scan_by_key_implILNS1_25lookback_scan_determinismE0ELb1ES3_N6thrust23THRUST_200600_302600_NS6detail15normal_iteratorINS9_10device_ptrIxEEEESE_SE_xNS9_10multipliesIxEENS9_8equal_toIxEExEE10hipError_tPvRmT2_T3_T4_T5_mT6_T7_P12ihipStream_tbENKUlT_T0_E_clISt17integral_constantIbLb1EESZ_EEDaSU_SV_EUlSU_E_NS1_11comp_targetILNS1_3genE9ELNS1_11target_archE1100ELNS1_3gpuE3ELNS1_3repE0EEENS1_30default_config_static_selectorELNS0_4arch9wavefront6targetE1EEEvT1_
	.p2align	8
	.type	_ZN7rocprim17ROCPRIM_400000_NS6detail17trampoline_kernelINS0_14default_configENS1_27scan_by_key_config_selectorIxxEEZZNS1_16scan_by_key_implILNS1_25lookback_scan_determinismE0ELb1ES3_N6thrust23THRUST_200600_302600_NS6detail15normal_iteratorINS9_10device_ptrIxEEEESE_SE_xNS9_10multipliesIxEENS9_8equal_toIxEExEE10hipError_tPvRmT2_T3_T4_T5_mT6_T7_P12ihipStream_tbENKUlT_T0_E_clISt17integral_constantIbLb1EESZ_EEDaSU_SV_EUlSU_E_NS1_11comp_targetILNS1_3genE9ELNS1_11target_archE1100ELNS1_3gpuE3ELNS1_3repE0EEENS1_30default_config_static_selectorELNS0_4arch9wavefront6targetE1EEEvT1_,@function
_ZN7rocprim17ROCPRIM_400000_NS6detail17trampoline_kernelINS0_14default_configENS1_27scan_by_key_config_selectorIxxEEZZNS1_16scan_by_key_implILNS1_25lookback_scan_determinismE0ELb1ES3_N6thrust23THRUST_200600_302600_NS6detail15normal_iteratorINS9_10device_ptrIxEEEESE_SE_xNS9_10multipliesIxEENS9_8equal_toIxEExEE10hipError_tPvRmT2_T3_T4_T5_mT6_T7_P12ihipStream_tbENKUlT_T0_E_clISt17integral_constantIbLb1EESZ_EEDaSU_SV_EUlSU_E_NS1_11comp_targetILNS1_3genE9ELNS1_11target_archE1100ELNS1_3gpuE3ELNS1_3repE0EEENS1_30default_config_static_selectorELNS0_4arch9wavefront6targetE1EEEvT1_: ; @_ZN7rocprim17ROCPRIM_400000_NS6detail17trampoline_kernelINS0_14default_configENS1_27scan_by_key_config_selectorIxxEEZZNS1_16scan_by_key_implILNS1_25lookback_scan_determinismE0ELb1ES3_N6thrust23THRUST_200600_302600_NS6detail15normal_iteratorINS9_10device_ptrIxEEEESE_SE_xNS9_10multipliesIxEENS9_8equal_toIxEExEE10hipError_tPvRmT2_T3_T4_T5_mT6_T7_P12ihipStream_tbENKUlT_T0_E_clISt17integral_constantIbLb1EESZ_EEDaSU_SV_EUlSU_E_NS1_11comp_targetILNS1_3genE9ELNS1_11target_archE1100ELNS1_3gpuE3ELNS1_3repE0EEENS1_30default_config_static_selectorELNS0_4arch9wavefront6targetE1EEEvT1_
; %bb.0:
	.section	.rodata,"a",@progbits
	.p2align	6, 0x0
	.amdhsa_kernel _ZN7rocprim17ROCPRIM_400000_NS6detail17trampoline_kernelINS0_14default_configENS1_27scan_by_key_config_selectorIxxEEZZNS1_16scan_by_key_implILNS1_25lookback_scan_determinismE0ELb1ES3_N6thrust23THRUST_200600_302600_NS6detail15normal_iteratorINS9_10device_ptrIxEEEESE_SE_xNS9_10multipliesIxEENS9_8equal_toIxEExEE10hipError_tPvRmT2_T3_T4_T5_mT6_T7_P12ihipStream_tbENKUlT_T0_E_clISt17integral_constantIbLb1EESZ_EEDaSU_SV_EUlSU_E_NS1_11comp_targetILNS1_3genE9ELNS1_11target_archE1100ELNS1_3gpuE3ELNS1_3repE0EEENS1_30default_config_static_selectorELNS0_4arch9wavefront6targetE1EEEvT1_
		.amdhsa_group_segment_fixed_size 0
		.amdhsa_private_segment_fixed_size 0
		.amdhsa_kernarg_size 136
		.amdhsa_user_sgpr_count 6
		.amdhsa_user_sgpr_private_segment_buffer 1
		.amdhsa_user_sgpr_dispatch_ptr 0
		.amdhsa_user_sgpr_queue_ptr 0
		.amdhsa_user_sgpr_kernarg_segment_ptr 1
		.amdhsa_user_sgpr_dispatch_id 0
		.amdhsa_user_sgpr_flat_scratch_init 0
		.amdhsa_user_sgpr_kernarg_preload_length 0
		.amdhsa_user_sgpr_kernarg_preload_offset 0
		.amdhsa_user_sgpr_private_segment_size 0
		.amdhsa_uses_dynamic_stack 0
		.amdhsa_system_sgpr_private_segment_wavefront_offset 0
		.amdhsa_system_sgpr_workgroup_id_x 1
		.amdhsa_system_sgpr_workgroup_id_y 0
		.amdhsa_system_sgpr_workgroup_id_z 0
		.amdhsa_system_sgpr_workgroup_info 0
		.amdhsa_system_vgpr_workitem_id 0
		.amdhsa_next_free_vgpr 1
		.amdhsa_next_free_sgpr 0
		.amdhsa_accum_offset 4
		.amdhsa_reserve_vcc 0
		.amdhsa_reserve_flat_scratch 0
		.amdhsa_float_round_mode_32 0
		.amdhsa_float_round_mode_16_64 0
		.amdhsa_float_denorm_mode_32 3
		.amdhsa_float_denorm_mode_16_64 3
		.amdhsa_dx10_clamp 1
		.amdhsa_ieee_mode 1
		.amdhsa_fp16_overflow 0
		.amdhsa_tg_split 0
		.amdhsa_exception_fp_ieee_invalid_op 0
		.amdhsa_exception_fp_denorm_src 0
		.amdhsa_exception_fp_ieee_div_zero 0
		.amdhsa_exception_fp_ieee_overflow 0
		.amdhsa_exception_fp_ieee_underflow 0
		.amdhsa_exception_fp_ieee_inexact 0
		.amdhsa_exception_int_div_zero 0
	.end_amdhsa_kernel
	.section	.text._ZN7rocprim17ROCPRIM_400000_NS6detail17trampoline_kernelINS0_14default_configENS1_27scan_by_key_config_selectorIxxEEZZNS1_16scan_by_key_implILNS1_25lookback_scan_determinismE0ELb1ES3_N6thrust23THRUST_200600_302600_NS6detail15normal_iteratorINS9_10device_ptrIxEEEESE_SE_xNS9_10multipliesIxEENS9_8equal_toIxEExEE10hipError_tPvRmT2_T3_T4_T5_mT6_T7_P12ihipStream_tbENKUlT_T0_E_clISt17integral_constantIbLb1EESZ_EEDaSU_SV_EUlSU_E_NS1_11comp_targetILNS1_3genE9ELNS1_11target_archE1100ELNS1_3gpuE3ELNS1_3repE0EEENS1_30default_config_static_selectorELNS0_4arch9wavefront6targetE1EEEvT1_,"axG",@progbits,_ZN7rocprim17ROCPRIM_400000_NS6detail17trampoline_kernelINS0_14default_configENS1_27scan_by_key_config_selectorIxxEEZZNS1_16scan_by_key_implILNS1_25lookback_scan_determinismE0ELb1ES3_N6thrust23THRUST_200600_302600_NS6detail15normal_iteratorINS9_10device_ptrIxEEEESE_SE_xNS9_10multipliesIxEENS9_8equal_toIxEExEE10hipError_tPvRmT2_T3_T4_T5_mT6_T7_P12ihipStream_tbENKUlT_T0_E_clISt17integral_constantIbLb1EESZ_EEDaSU_SV_EUlSU_E_NS1_11comp_targetILNS1_3genE9ELNS1_11target_archE1100ELNS1_3gpuE3ELNS1_3repE0EEENS1_30default_config_static_selectorELNS0_4arch9wavefront6targetE1EEEvT1_,comdat
.Lfunc_end405:
	.size	_ZN7rocprim17ROCPRIM_400000_NS6detail17trampoline_kernelINS0_14default_configENS1_27scan_by_key_config_selectorIxxEEZZNS1_16scan_by_key_implILNS1_25lookback_scan_determinismE0ELb1ES3_N6thrust23THRUST_200600_302600_NS6detail15normal_iteratorINS9_10device_ptrIxEEEESE_SE_xNS9_10multipliesIxEENS9_8equal_toIxEExEE10hipError_tPvRmT2_T3_T4_T5_mT6_T7_P12ihipStream_tbENKUlT_T0_E_clISt17integral_constantIbLb1EESZ_EEDaSU_SV_EUlSU_E_NS1_11comp_targetILNS1_3genE9ELNS1_11target_archE1100ELNS1_3gpuE3ELNS1_3repE0EEENS1_30default_config_static_selectorELNS0_4arch9wavefront6targetE1EEEvT1_, .Lfunc_end405-_ZN7rocprim17ROCPRIM_400000_NS6detail17trampoline_kernelINS0_14default_configENS1_27scan_by_key_config_selectorIxxEEZZNS1_16scan_by_key_implILNS1_25lookback_scan_determinismE0ELb1ES3_N6thrust23THRUST_200600_302600_NS6detail15normal_iteratorINS9_10device_ptrIxEEEESE_SE_xNS9_10multipliesIxEENS9_8equal_toIxEExEE10hipError_tPvRmT2_T3_T4_T5_mT6_T7_P12ihipStream_tbENKUlT_T0_E_clISt17integral_constantIbLb1EESZ_EEDaSU_SV_EUlSU_E_NS1_11comp_targetILNS1_3genE9ELNS1_11target_archE1100ELNS1_3gpuE3ELNS1_3repE0EEENS1_30default_config_static_selectorELNS0_4arch9wavefront6targetE1EEEvT1_
                                        ; -- End function
	.section	.AMDGPU.csdata,"",@progbits
; Kernel info:
; codeLenInByte = 0
; NumSgprs: 4
; NumVgprs: 0
; NumAgprs: 0
; TotalNumVgprs: 0
; ScratchSize: 0
; MemoryBound: 0
; FloatMode: 240
; IeeeMode: 1
; LDSByteSize: 0 bytes/workgroup (compile time only)
; SGPRBlocks: 0
; VGPRBlocks: 0
; NumSGPRsForWavesPerEU: 4
; NumVGPRsForWavesPerEU: 1
; AccumOffset: 4
; Occupancy: 8
; WaveLimiterHint : 0
; COMPUTE_PGM_RSRC2:SCRATCH_EN: 0
; COMPUTE_PGM_RSRC2:USER_SGPR: 6
; COMPUTE_PGM_RSRC2:TRAP_HANDLER: 0
; COMPUTE_PGM_RSRC2:TGID_X_EN: 1
; COMPUTE_PGM_RSRC2:TGID_Y_EN: 0
; COMPUTE_PGM_RSRC2:TGID_Z_EN: 0
; COMPUTE_PGM_RSRC2:TIDIG_COMP_CNT: 0
; COMPUTE_PGM_RSRC3_GFX90A:ACCUM_OFFSET: 0
; COMPUTE_PGM_RSRC3_GFX90A:TG_SPLIT: 0
	.section	.text._ZN7rocprim17ROCPRIM_400000_NS6detail17trampoline_kernelINS0_14default_configENS1_27scan_by_key_config_selectorIxxEEZZNS1_16scan_by_key_implILNS1_25lookback_scan_determinismE0ELb1ES3_N6thrust23THRUST_200600_302600_NS6detail15normal_iteratorINS9_10device_ptrIxEEEESE_SE_xNS9_10multipliesIxEENS9_8equal_toIxEExEE10hipError_tPvRmT2_T3_T4_T5_mT6_T7_P12ihipStream_tbENKUlT_T0_E_clISt17integral_constantIbLb1EESZ_EEDaSU_SV_EUlSU_E_NS1_11comp_targetILNS1_3genE8ELNS1_11target_archE1030ELNS1_3gpuE2ELNS1_3repE0EEENS1_30default_config_static_selectorELNS0_4arch9wavefront6targetE1EEEvT1_,"axG",@progbits,_ZN7rocprim17ROCPRIM_400000_NS6detail17trampoline_kernelINS0_14default_configENS1_27scan_by_key_config_selectorIxxEEZZNS1_16scan_by_key_implILNS1_25lookback_scan_determinismE0ELb1ES3_N6thrust23THRUST_200600_302600_NS6detail15normal_iteratorINS9_10device_ptrIxEEEESE_SE_xNS9_10multipliesIxEENS9_8equal_toIxEExEE10hipError_tPvRmT2_T3_T4_T5_mT6_T7_P12ihipStream_tbENKUlT_T0_E_clISt17integral_constantIbLb1EESZ_EEDaSU_SV_EUlSU_E_NS1_11comp_targetILNS1_3genE8ELNS1_11target_archE1030ELNS1_3gpuE2ELNS1_3repE0EEENS1_30default_config_static_selectorELNS0_4arch9wavefront6targetE1EEEvT1_,comdat
	.protected	_ZN7rocprim17ROCPRIM_400000_NS6detail17trampoline_kernelINS0_14default_configENS1_27scan_by_key_config_selectorIxxEEZZNS1_16scan_by_key_implILNS1_25lookback_scan_determinismE0ELb1ES3_N6thrust23THRUST_200600_302600_NS6detail15normal_iteratorINS9_10device_ptrIxEEEESE_SE_xNS9_10multipliesIxEENS9_8equal_toIxEExEE10hipError_tPvRmT2_T3_T4_T5_mT6_T7_P12ihipStream_tbENKUlT_T0_E_clISt17integral_constantIbLb1EESZ_EEDaSU_SV_EUlSU_E_NS1_11comp_targetILNS1_3genE8ELNS1_11target_archE1030ELNS1_3gpuE2ELNS1_3repE0EEENS1_30default_config_static_selectorELNS0_4arch9wavefront6targetE1EEEvT1_ ; -- Begin function _ZN7rocprim17ROCPRIM_400000_NS6detail17trampoline_kernelINS0_14default_configENS1_27scan_by_key_config_selectorIxxEEZZNS1_16scan_by_key_implILNS1_25lookback_scan_determinismE0ELb1ES3_N6thrust23THRUST_200600_302600_NS6detail15normal_iteratorINS9_10device_ptrIxEEEESE_SE_xNS9_10multipliesIxEENS9_8equal_toIxEExEE10hipError_tPvRmT2_T3_T4_T5_mT6_T7_P12ihipStream_tbENKUlT_T0_E_clISt17integral_constantIbLb1EESZ_EEDaSU_SV_EUlSU_E_NS1_11comp_targetILNS1_3genE8ELNS1_11target_archE1030ELNS1_3gpuE2ELNS1_3repE0EEENS1_30default_config_static_selectorELNS0_4arch9wavefront6targetE1EEEvT1_
	.globl	_ZN7rocprim17ROCPRIM_400000_NS6detail17trampoline_kernelINS0_14default_configENS1_27scan_by_key_config_selectorIxxEEZZNS1_16scan_by_key_implILNS1_25lookback_scan_determinismE0ELb1ES3_N6thrust23THRUST_200600_302600_NS6detail15normal_iteratorINS9_10device_ptrIxEEEESE_SE_xNS9_10multipliesIxEENS9_8equal_toIxEExEE10hipError_tPvRmT2_T3_T4_T5_mT6_T7_P12ihipStream_tbENKUlT_T0_E_clISt17integral_constantIbLb1EESZ_EEDaSU_SV_EUlSU_E_NS1_11comp_targetILNS1_3genE8ELNS1_11target_archE1030ELNS1_3gpuE2ELNS1_3repE0EEENS1_30default_config_static_selectorELNS0_4arch9wavefront6targetE1EEEvT1_
	.p2align	8
	.type	_ZN7rocprim17ROCPRIM_400000_NS6detail17trampoline_kernelINS0_14default_configENS1_27scan_by_key_config_selectorIxxEEZZNS1_16scan_by_key_implILNS1_25lookback_scan_determinismE0ELb1ES3_N6thrust23THRUST_200600_302600_NS6detail15normal_iteratorINS9_10device_ptrIxEEEESE_SE_xNS9_10multipliesIxEENS9_8equal_toIxEExEE10hipError_tPvRmT2_T3_T4_T5_mT6_T7_P12ihipStream_tbENKUlT_T0_E_clISt17integral_constantIbLb1EESZ_EEDaSU_SV_EUlSU_E_NS1_11comp_targetILNS1_3genE8ELNS1_11target_archE1030ELNS1_3gpuE2ELNS1_3repE0EEENS1_30default_config_static_selectorELNS0_4arch9wavefront6targetE1EEEvT1_,@function
_ZN7rocprim17ROCPRIM_400000_NS6detail17trampoline_kernelINS0_14default_configENS1_27scan_by_key_config_selectorIxxEEZZNS1_16scan_by_key_implILNS1_25lookback_scan_determinismE0ELb1ES3_N6thrust23THRUST_200600_302600_NS6detail15normal_iteratorINS9_10device_ptrIxEEEESE_SE_xNS9_10multipliesIxEENS9_8equal_toIxEExEE10hipError_tPvRmT2_T3_T4_T5_mT6_T7_P12ihipStream_tbENKUlT_T0_E_clISt17integral_constantIbLb1EESZ_EEDaSU_SV_EUlSU_E_NS1_11comp_targetILNS1_3genE8ELNS1_11target_archE1030ELNS1_3gpuE2ELNS1_3repE0EEENS1_30default_config_static_selectorELNS0_4arch9wavefront6targetE1EEEvT1_: ; @_ZN7rocprim17ROCPRIM_400000_NS6detail17trampoline_kernelINS0_14default_configENS1_27scan_by_key_config_selectorIxxEEZZNS1_16scan_by_key_implILNS1_25lookback_scan_determinismE0ELb1ES3_N6thrust23THRUST_200600_302600_NS6detail15normal_iteratorINS9_10device_ptrIxEEEESE_SE_xNS9_10multipliesIxEENS9_8equal_toIxEExEE10hipError_tPvRmT2_T3_T4_T5_mT6_T7_P12ihipStream_tbENKUlT_T0_E_clISt17integral_constantIbLb1EESZ_EEDaSU_SV_EUlSU_E_NS1_11comp_targetILNS1_3genE8ELNS1_11target_archE1030ELNS1_3gpuE2ELNS1_3repE0EEENS1_30default_config_static_selectorELNS0_4arch9wavefront6targetE1EEEvT1_
; %bb.0:
	.section	.rodata,"a",@progbits
	.p2align	6, 0x0
	.amdhsa_kernel _ZN7rocprim17ROCPRIM_400000_NS6detail17trampoline_kernelINS0_14default_configENS1_27scan_by_key_config_selectorIxxEEZZNS1_16scan_by_key_implILNS1_25lookback_scan_determinismE0ELb1ES3_N6thrust23THRUST_200600_302600_NS6detail15normal_iteratorINS9_10device_ptrIxEEEESE_SE_xNS9_10multipliesIxEENS9_8equal_toIxEExEE10hipError_tPvRmT2_T3_T4_T5_mT6_T7_P12ihipStream_tbENKUlT_T0_E_clISt17integral_constantIbLb1EESZ_EEDaSU_SV_EUlSU_E_NS1_11comp_targetILNS1_3genE8ELNS1_11target_archE1030ELNS1_3gpuE2ELNS1_3repE0EEENS1_30default_config_static_selectorELNS0_4arch9wavefront6targetE1EEEvT1_
		.amdhsa_group_segment_fixed_size 0
		.amdhsa_private_segment_fixed_size 0
		.amdhsa_kernarg_size 136
		.amdhsa_user_sgpr_count 6
		.amdhsa_user_sgpr_private_segment_buffer 1
		.amdhsa_user_sgpr_dispatch_ptr 0
		.amdhsa_user_sgpr_queue_ptr 0
		.amdhsa_user_sgpr_kernarg_segment_ptr 1
		.amdhsa_user_sgpr_dispatch_id 0
		.amdhsa_user_sgpr_flat_scratch_init 0
		.amdhsa_user_sgpr_kernarg_preload_length 0
		.amdhsa_user_sgpr_kernarg_preload_offset 0
		.amdhsa_user_sgpr_private_segment_size 0
		.amdhsa_uses_dynamic_stack 0
		.amdhsa_system_sgpr_private_segment_wavefront_offset 0
		.amdhsa_system_sgpr_workgroup_id_x 1
		.amdhsa_system_sgpr_workgroup_id_y 0
		.amdhsa_system_sgpr_workgroup_id_z 0
		.amdhsa_system_sgpr_workgroup_info 0
		.amdhsa_system_vgpr_workitem_id 0
		.amdhsa_next_free_vgpr 1
		.amdhsa_next_free_sgpr 0
		.amdhsa_accum_offset 4
		.amdhsa_reserve_vcc 0
		.amdhsa_reserve_flat_scratch 0
		.amdhsa_float_round_mode_32 0
		.amdhsa_float_round_mode_16_64 0
		.amdhsa_float_denorm_mode_32 3
		.amdhsa_float_denorm_mode_16_64 3
		.amdhsa_dx10_clamp 1
		.amdhsa_ieee_mode 1
		.amdhsa_fp16_overflow 0
		.amdhsa_tg_split 0
		.amdhsa_exception_fp_ieee_invalid_op 0
		.amdhsa_exception_fp_denorm_src 0
		.amdhsa_exception_fp_ieee_div_zero 0
		.amdhsa_exception_fp_ieee_overflow 0
		.amdhsa_exception_fp_ieee_underflow 0
		.amdhsa_exception_fp_ieee_inexact 0
		.amdhsa_exception_int_div_zero 0
	.end_amdhsa_kernel
	.section	.text._ZN7rocprim17ROCPRIM_400000_NS6detail17trampoline_kernelINS0_14default_configENS1_27scan_by_key_config_selectorIxxEEZZNS1_16scan_by_key_implILNS1_25lookback_scan_determinismE0ELb1ES3_N6thrust23THRUST_200600_302600_NS6detail15normal_iteratorINS9_10device_ptrIxEEEESE_SE_xNS9_10multipliesIxEENS9_8equal_toIxEExEE10hipError_tPvRmT2_T3_T4_T5_mT6_T7_P12ihipStream_tbENKUlT_T0_E_clISt17integral_constantIbLb1EESZ_EEDaSU_SV_EUlSU_E_NS1_11comp_targetILNS1_3genE8ELNS1_11target_archE1030ELNS1_3gpuE2ELNS1_3repE0EEENS1_30default_config_static_selectorELNS0_4arch9wavefront6targetE1EEEvT1_,"axG",@progbits,_ZN7rocprim17ROCPRIM_400000_NS6detail17trampoline_kernelINS0_14default_configENS1_27scan_by_key_config_selectorIxxEEZZNS1_16scan_by_key_implILNS1_25lookback_scan_determinismE0ELb1ES3_N6thrust23THRUST_200600_302600_NS6detail15normal_iteratorINS9_10device_ptrIxEEEESE_SE_xNS9_10multipliesIxEENS9_8equal_toIxEExEE10hipError_tPvRmT2_T3_T4_T5_mT6_T7_P12ihipStream_tbENKUlT_T0_E_clISt17integral_constantIbLb1EESZ_EEDaSU_SV_EUlSU_E_NS1_11comp_targetILNS1_3genE8ELNS1_11target_archE1030ELNS1_3gpuE2ELNS1_3repE0EEENS1_30default_config_static_selectorELNS0_4arch9wavefront6targetE1EEEvT1_,comdat
.Lfunc_end406:
	.size	_ZN7rocprim17ROCPRIM_400000_NS6detail17trampoline_kernelINS0_14default_configENS1_27scan_by_key_config_selectorIxxEEZZNS1_16scan_by_key_implILNS1_25lookback_scan_determinismE0ELb1ES3_N6thrust23THRUST_200600_302600_NS6detail15normal_iteratorINS9_10device_ptrIxEEEESE_SE_xNS9_10multipliesIxEENS9_8equal_toIxEExEE10hipError_tPvRmT2_T3_T4_T5_mT6_T7_P12ihipStream_tbENKUlT_T0_E_clISt17integral_constantIbLb1EESZ_EEDaSU_SV_EUlSU_E_NS1_11comp_targetILNS1_3genE8ELNS1_11target_archE1030ELNS1_3gpuE2ELNS1_3repE0EEENS1_30default_config_static_selectorELNS0_4arch9wavefront6targetE1EEEvT1_, .Lfunc_end406-_ZN7rocprim17ROCPRIM_400000_NS6detail17trampoline_kernelINS0_14default_configENS1_27scan_by_key_config_selectorIxxEEZZNS1_16scan_by_key_implILNS1_25lookback_scan_determinismE0ELb1ES3_N6thrust23THRUST_200600_302600_NS6detail15normal_iteratorINS9_10device_ptrIxEEEESE_SE_xNS9_10multipliesIxEENS9_8equal_toIxEExEE10hipError_tPvRmT2_T3_T4_T5_mT6_T7_P12ihipStream_tbENKUlT_T0_E_clISt17integral_constantIbLb1EESZ_EEDaSU_SV_EUlSU_E_NS1_11comp_targetILNS1_3genE8ELNS1_11target_archE1030ELNS1_3gpuE2ELNS1_3repE0EEENS1_30default_config_static_selectorELNS0_4arch9wavefront6targetE1EEEvT1_
                                        ; -- End function
	.section	.AMDGPU.csdata,"",@progbits
; Kernel info:
; codeLenInByte = 0
; NumSgprs: 4
; NumVgprs: 0
; NumAgprs: 0
; TotalNumVgprs: 0
; ScratchSize: 0
; MemoryBound: 0
; FloatMode: 240
; IeeeMode: 1
; LDSByteSize: 0 bytes/workgroup (compile time only)
; SGPRBlocks: 0
; VGPRBlocks: 0
; NumSGPRsForWavesPerEU: 4
; NumVGPRsForWavesPerEU: 1
; AccumOffset: 4
; Occupancy: 8
; WaveLimiterHint : 0
; COMPUTE_PGM_RSRC2:SCRATCH_EN: 0
; COMPUTE_PGM_RSRC2:USER_SGPR: 6
; COMPUTE_PGM_RSRC2:TRAP_HANDLER: 0
; COMPUTE_PGM_RSRC2:TGID_X_EN: 1
; COMPUTE_PGM_RSRC2:TGID_Y_EN: 0
; COMPUTE_PGM_RSRC2:TGID_Z_EN: 0
; COMPUTE_PGM_RSRC2:TIDIG_COMP_CNT: 0
; COMPUTE_PGM_RSRC3_GFX90A:ACCUM_OFFSET: 0
; COMPUTE_PGM_RSRC3_GFX90A:TG_SPLIT: 0
	.section	.text._ZN7rocprim17ROCPRIM_400000_NS6detail17trampoline_kernelINS0_14default_configENS1_27scan_by_key_config_selectorIxxEEZZNS1_16scan_by_key_implILNS1_25lookback_scan_determinismE0ELb1ES3_N6thrust23THRUST_200600_302600_NS6detail15normal_iteratorINS9_10device_ptrIxEEEESE_SE_xNS9_10multipliesIxEENS9_8equal_toIxEExEE10hipError_tPvRmT2_T3_T4_T5_mT6_T7_P12ihipStream_tbENKUlT_T0_E_clISt17integral_constantIbLb1EESY_IbLb0EEEEDaSU_SV_EUlSU_E_NS1_11comp_targetILNS1_3genE0ELNS1_11target_archE4294967295ELNS1_3gpuE0ELNS1_3repE0EEENS1_30default_config_static_selectorELNS0_4arch9wavefront6targetE1EEEvT1_,"axG",@progbits,_ZN7rocprim17ROCPRIM_400000_NS6detail17trampoline_kernelINS0_14default_configENS1_27scan_by_key_config_selectorIxxEEZZNS1_16scan_by_key_implILNS1_25lookback_scan_determinismE0ELb1ES3_N6thrust23THRUST_200600_302600_NS6detail15normal_iteratorINS9_10device_ptrIxEEEESE_SE_xNS9_10multipliesIxEENS9_8equal_toIxEExEE10hipError_tPvRmT2_T3_T4_T5_mT6_T7_P12ihipStream_tbENKUlT_T0_E_clISt17integral_constantIbLb1EESY_IbLb0EEEEDaSU_SV_EUlSU_E_NS1_11comp_targetILNS1_3genE0ELNS1_11target_archE4294967295ELNS1_3gpuE0ELNS1_3repE0EEENS1_30default_config_static_selectorELNS0_4arch9wavefront6targetE1EEEvT1_,comdat
	.protected	_ZN7rocprim17ROCPRIM_400000_NS6detail17trampoline_kernelINS0_14default_configENS1_27scan_by_key_config_selectorIxxEEZZNS1_16scan_by_key_implILNS1_25lookback_scan_determinismE0ELb1ES3_N6thrust23THRUST_200600_302600_NS6detail15normal_iteratorINS9_10device_ptrIxEEEESE_SE_xNS9_10multipliesIxEENS9_8equal_toIxEExEE10hipError_tPvRmT2_T3_T4_T5_mT6_T7_P12ihipStream_tbENKUlT_T0_E_clISt17integral_constantIbLb1EESY_IbLb0EEEEDaSU_SV_EUlSU_E_NS1_11comp_targetILNS1_3genE0ELNS1_11target_archE4294967295ELNS1_3gpuE0ELNS1_3repE0EEENS1_30default_config_static_selectorELNS0_4arch9wavefront6targetE1EEEvT1_ ; -- Begin function _ZN7rocprim17ROCPRIM_400000_NS6detail17trampoline_kernelINS0_14default_configENS1_27scan_by_key_config_selectorIxxEEZZNS1_16scan_by_key_implILNS1_25lookback_scan_determinismE0ELb1ES3_N6thrust23THRUST_200600_302600_NS6detail15normal_iteratorINS9_10device_ptrIxEEEESE_SE_xNS9_10multipliesIxEENS9_8equal_toIxEExEE10hipError_tPvRmT2_T3_T4_T5_mT6_T7_P12ihipStream_tbENKUlT_T0_E_clISt17integral_constantIbLb1EESY_IbLb0EEEEDaSU_SV_EUlSU_E_NS1_11comp_targetILNS1_3genE0ELNS1_11target_archE4294967295ELNS1_3gpuE0ELNS1_3repE0EEENS1_30default_config_static_selectorELNS0_4arch9wavefront6targetE1EEEvT1_
	.globl	_ZN7rocprim17ROCPRIM_400000_NS6detail17trampoline_kernelINS0_14default_configENS1_27scan_by_key_config_selectorIxxEEZZNS1_16scan_by_key_implILNS1_25lookback_scan_determinismE0ELb1ES3_N6thrust23THRUST_200600_302600_NS6detail15normal_iteratorINS9_10device_ptrIxEEEESE_SE_xNS9_10multipliesIxEENS9_8equal_toIxEExEE10hipError_tPvRmT2_T3_T4_T5_mT6_T7_P12ihipStream_tbENKUlT_T0_E_clISt17integral_constantIbLb1EESY_IbLb0EEEEDaSU_SV_EUlSU_E_NS1_11comp_targetILNS1_3genE0ELNS1_11target_archE4294967295ELNS1_3gpuE0ELNS1_3repE0EEENS1_30default_config_static_selectorELNS0_4arch9wavefront6targetE1EEEvT1_
	.p2align	8
	.type	_ZN7rocprim17ROCPRIM_400000_NS6detail17trampoline_kernelINS0_14default_configENS1_27scan_by_key_config_selectorIxxEEZZNS1_16scan_by_key_implILNS1_25lookback_scan_determinismE0ELb1ES3_N6thrust23THRUST_200600_302600_NS6detail15normal_iteratorINS9_10device_ptrIxEEEESE_SE_xNS9_10multipliesIxEENS9_8equal_toIxEExEE10hipError_tPvRmT2_T3_T4_T5_mT6_T7_P12ihipStream_tbENKUlT_T0_E_clISt17integral_constantIbLb1EESY_IbLb0EEEEDaSU_SV_EUlSU_E_NS1_11comp_targetILNS1_3genE0ELNS1_11target_archE4294967295ELNS1_3gpuE0ELNS1_3repE0EEENS1_30default_config_static_selectorELNS0_4arch9wavefront6targetE1EEEvT1_,@function
_ZN7rocprim17ROCPRIM_400000_NS6detail17trampoline_kernelINS0_14default_configENS1_27scan_by_key_config_selectorIxxEEZZNS1_16scan_by_key_implILNS1_25lookback_scan_determinismE0ELb1ES3_N6thrust23THRUST_200600_302600_NS6detail15normal_iteratorINS9_10device_ptrIxEEEESE_SE_xNS9_10multipliesIxEENS9_8equal_toIxEExEE10hipError_tPvRmT2_T3_T4_T5_mT6_T7_P12ihipStream_tbENKUlT_T0_E_clISt17integral_constantIbLb1EESY_IbLb0EEEEDaSU_SV_EUlSU_E_NS1_11comp_targetILNS1_3genE0ELNS1_11target_archE4294967295ELNS1_3gpuE0ELNS1_3repE0EEENS1_30default_config_static_selectorELNS0_4arch9wavefront6targetE1EEEvT1_: ; @_ZN7rocprim17ROCPRIM_400000_NS6detail17trampoline_kernelINS0_14default_configENS1_27scan_by_key_config_selectorIxxEEZZNS1_16scan_by_key_implILNS1_25lookback_scan_determinismE0ELb1ES3_N6thrust23THRUST_200600_302600_NS6detail15normal_iteratorINS9_10device_ptrIxEEEESE_SE_xNS9_10multipliesIxEENS9_8equal_toIxEExEE10hipError_tPvRmT2_T3_T4_T5_mT6_T7_P12ihipStream_tbENKUlT_T0_E_clISt17integral_constantIbLb1EESY_IbLb0EEEEDaSU_SV_EUlSU_E_NS1_11comp_targetILNS1_3genE0ELNS1_11target_archE4294967295ELNS1_3gpuE0ELNS1_3repE0EEENS1_30default_config_static_selectorELNS0_4arch9wavefront6targetE1EEEvT1_
; %bb.0:
	.section	.rodata,"a",@progbits
	.p2align	6, 0x0
	.amdhsa_kernel _ZN7rocprim17ROCPRIM_400000_NS6detail17trampoline_kernelINS0_14default_configENS1_27scan_by_key_config_selectorIxxEEZZNS1_16scan_by_key_implILNS1_25lookback_scan_determinismE0ELb1ES3_N6thrust23THRUST_200600_302600_NS6detail15normal_iteratorINS9_10device_ptrIxEEEESE_SE_xNS9_10multipliesIxEENS9_8equal_toIxEExEE10hipError_tPvRmT2_T3_T4_T5_mT6_T7_P12ihipStream_tbENKUlT_T0_E_clISt17integral_constantIbLb1EESY_IbLb0EEEEDaSU_SV_EUlSU_E_NS1_11comp_targetILNS1_3genE0ELNS1_11target_archE4294967295ELNS1_3gpuE0ELNS1_3repE0EEENS1_30default_config_static_selectorELNS0_4arch9wavefront6targetE1EEEvT1_
		.amdhsa_group_segment_fixed_size 0
		.amdhsa_private_segment_fixed_size 0
		.amdhsa_kernarg_size 136
		.amdhsa_user_sgpr_count 6
		.amdhsa_user_sgpr_private_segment_buffer 1
		.amdhsa_user_sgpr_dispatch_ptr 0
		.amdhsa_user_sgpr_queue_ptr 0
		.amdhsa_user_sgpr_kernarg_segment_ptr 1
		.amdhsa_user_sgpr_dispatch_id 0
		.amdhsa_user_sgpr_flat_scratch_init 0
		.amdhsa_user_sgpr_kernarg_preload_length 0
		.amdhsa_user_sgpr_kernarg_preload_offset 0
		.amdhsa_user_sgpr_private_segment_size 0
		.amdhsa_uses_dynamic_stack 0
		.amdhsa_system_sgpr_private_segment_wavefront_offset 0
		.amdhsa_system_sgpr_workgroup_id_x 1
		.amdhsa_system_sgpr_workgroup_id_y 0
		.amdhsa_system_sgpr_workgroup_id_z 0
		.amdhsa_system_sgpr_workgroup_info 0
		.amdhsa_system_vgpr_workitem_id 0
		.amdhsa_next_free_vgpr 1
		.amdhsa_next_free_sgpr 0
		.amdhsa_accum_offset 4
		.amdhsa_reserve_vcc 0
		.amdhsa_reserve_flat_scratch 0
		.amdhsa_float_round_mode_32 0
		.amdhsa_float_round_mode_16_64 0
		.amdhsa_float_denorm_mode_32 3
		.amdhsa_float_denorm_mode_16_64 3
		.amdhsa_dx10_clamp 1
		.amdhsa_ieee_mode 1
		.amdhsa_fp16_overflow 0
		.amdhsa_tg_split 0
		.amdhsa_exception_fp_ieee_invalid_op 0
		.amdhsa_exception_fp_denorm_src 0
		.amdhsa_exception_fp_ieee_div_zero 0
		.amdhsa_exception_fp_ieee_overflow 0
		.amdhsa_exception_fp_ieee_underflow 0
		.amdhsa_exception_fp_ieee_inexact 0
		.amdhsa_exception_int_div_zero 0
	.end_amdhsa_kernel
	.section	.text._ZN7rocprim17ROCPRIM_400000_NS6detail17trampoline_kernelINS0_14default_configENS1_27scan_by_key_config_selectorIxxEEZZNS1_16scan_by_key_implILNS1_25lookback_scan_determinismE0ELb1ES3_N6thrust23THRUST_200600_302600_NS6detail15normal_iteratorINS9_10device_ptrIxEEEESE_SE_xNS9_10multipliesIxEENS9_8equal_toIxEExEE10hipError_tPvRmT2_T3_T4_T5_mT6_T7_P12ihipStream_tbENKUlT_T0_E_clISt17integral_constantIbLb1EESY_IbLb0EEEEDaSU_SV_EUlSU_E_NS1_11comp_targetILNS1_3genE0ELNS1_11target_archE4294967295ELNS1_3gpuE0ELNS1_3repE0EEENS1_30default_config_static_selectorELNS0_4arch9wavefront6targetE1EEEvT1_,"axG",@progbits,_ZN7rocprim17ROCPRIM_400000_NS6detail17trampoline_kernelINS0_14default_configENS1_27scan_by_key_config_selectorIxxEEZZNS1_16scan_by_key_implILNS1_25lookback_scan_determinismE0ELb1ES3_N6thrust23THRUST_200600_302600_NS6detail15normal_iteratorINS9_10device_ptrIxEEEESE_SE_xNS9_10multipliesIxEENS9_8equal_toIxEExEE10hipError_tPvRmT2_T3_T4_T5_mT6_T7_P12ihipStream_tbENKUlT_T0_E_clISt17integral_constantIbLb1EESY_IbLb0EEEEDaSU_SV_EUlSU_E_NS1_11comp_targetILNS1_3genE0ELNS1_11target_archE4294967295ELNS1_3gpuE0ELNS1_3repE0EEENS1_30default_config_static_selectorELNS0_4arch9wavefront6targetE1EEEvT1_,comdat
.Lfunc_end407:
	.size	_ZN7rocprim17ROCPRIM_400000_NS6detail17trampoline_kernelINS0_14default_configENS1_27scan_by_key_config_selectorIxxEEZZNS1_16scan_by_key_implILNS1_25lookback_scan_determinismE0ELb1ES3_N6thrust23THRUST_200600_302600_NS6detail15normal_iteratorINS9_10device_ptrIxEEEESE_SE_xNS9_10multipliesIxEENS9_8equal_toIxEExEE10hipError_tPvRmT2_T3_T4_T5_mT6_T7_P12ihipStream_tbENKUlT_T0_E_clISt17integral_constantIbLb1EESY_IbLb0EEEEDaSU_SV_EUlSU_E_NS1_11comp_targetILNS1_3genE0ELNS1_11target_archE4294967295ELNS1_3gpuE0ELNS1_3repE0EEENS1_30default_config_static_selectorELNS0_4arch9wavefront6targetE1EEEvT1_, .Lfunc_end407-_ZN7rocprim17ROCPRIM_400000_NS6detail17trampoline_kernelINS0_14default_configENS1_27scan_by_key_config_selectorIxxEEZZNS1_16scan_by_key_implILNS1_25lookback_scan_determinismE0ELb1ES3_N6thrust23THRUST_200600_302600_NS6detail15normal_iteratorINS9_10device_ptrIxEEEESE_SE_xNS9_10multipliesIxEENS9_8equal_toIxEExEE10hipError_tPvRmT2_T3_T4_T5_mT6_T7_P12ihipStream_tbENKUlT_T0_E_clISt17integral_constantIbLb1EESY_IbLb0EEEEDaSU_SV_EUlSU_E_NS1_11comp_targetILNS1_3genE0ELNS1_11target_archE4294967295ELNS1_3gpuE0ELNS1_3repE0EEENS1_30default_config_static_selectorELNS0_4arch9wavefront6targetE1EEEvT1_
                                        ; -- End function
	.section	.AMDGPU.csdata,"",@progbits
; Kernel info:
; codeLenInByte = 0
; NumSgprs: 4
; NumVgprs: 0
; NumAgprs: 0
; TotalNumVgprs: 0
; ScratchSize: 0
; MemoryBound: 0
; FloatMode: 240
; IeeeMode: 1
; LDSByteSize: 0 bytes/workgroup (compile time only)
; SGPRBlocks: 0
; VGPRBlocks: 0
; NumSGPRsForWavesPerEU: 4
; NumVGPRsForWavesPerEU: 1
; AccumOffset: 4
; Occupancy: 8
; WaveLimiterHint : 0
; COMPUTE_PGM_RSRC2:SCRATCH_EN: 0
; COMPUTE_PGM_RSRC2:USER_SGPR: 6
; COMPUTE_PGM_RSRC2:TRAP_HANDLER: 0
; COMPUTE_PGM_RSRC2:TGID_X_EN: 1
; COMPUTE_PGM_RSRC2:TGID_Y_EN: 0
; COMPUTE_PGM_RSRC2:TGID_Z_EN: 0
; COMPUTE_PGM_RSRC2:TIDIG_COMP_CNT: 0
; COMPUTE_PGM_RSRC3_GFX90A:ACCUM_OFFSET: 0
; COMPUTE_PGM_RSRC3_GFX90A:TG_SPLIT: 0
	.section	.text._ZN7rocprim17ROCPRIM_400000_NS6detail17trampoline_kernelINS0_14default_configENS1_27scan_by_key_config_selectorIxxEEZZNS1_16scan_by_key_implILNS1_25lookback_scan_determinismE0ELb1ES3_N6thrust23THRUST_200600_302600_NS6detail15normal_iteratorINS9_10device_ptrIxEEEESE_SE_xNS9_10multipliesIxEENS9_8equal_toIxEExEE10hipError_tPvRmT2_T3_T4_T5_mT6_T7_P12ihipStream_tbENKUlT_T0_E_clISt17integral_constantIbLb1EESY_IbLb0EEEEDaSU_SV_EUlSU_E_NS1_11comp_targetILNS1_3genE10ELNS1_11target_archE1201ELNS1_3gpuE5ELNS1_3repE0EEENS1_30default_config_static_selectorELNS0_4arch9wavefront6targetE1EEEvT1_,"axG",@progbits,_ZN7rocprim17ROCPRIM_400000_NS6detail17trampoline_kernelINS0_14default_configENS1_27scan_by_key_config_selectorIxxEEZZNS1_16scan_by_key_implILNS1_25lookback_scan_determinismE0ELb1ES3_N6thrust23THRUST_200600_302600_NS6detail15normal_iteratorINS9_10device_ptrIxEEEESE_SE_xNS9_10multipliesIxEENS9_8equal_toIxEExEE10hipError_tPvRmT2_T3_T4_T5_mT6_T7_P12ihipStream_tbENKUlT_T0_E_clISt17integral_constantIbLb1EESY_IbLb0EEEEDaSU_SV_EUlSU_E_NS1_11comp_targetILNS1_3genE10ELNS1_11target_archE1201ELNS1_3gpuE5ELNS1_3repE0EEENS1_30default_config_static_selectorELNS0_4arch9wavefront6targetE1EEEvT1_,comdat
	.protected	_ZN7rocprim17ROCPRIM_400000_NS6detail17trampoline_kernelINS0_14default_configENS1_27scan_by_key_config_selectorIxxEEZZNS1_16scan_by_key_implILNS1_25lookback_scan_determinismE0ELb1ES3_N6thrust23THRUST_200600_302600_NS6detail15normal_iteratorINS9_10device_ptrIxEEEESE_SE_xNS9_10multipliesIxEENS9_8equal_toIxEExEE10hipError_tPvRmT2_T3_T4_T5_mT6_T7_P12ihipStream_tbENKUlT_T0_E_clISt17integral_constantIbLb1EESY_IbLb0EEEEDaSU_SV_EUlSU_E_NS1_11comp_targetILNS1_3genE10ELNS1_11target_archE1201ELNS1_3gpuE5ELNS1_3repE0EEENS1_30default_config_static_selectorELNS0_4arch9wavefront6targetE1EEEvT1_ ; -- Begin function _ZN7rocprim17ROCPRIM_400000_NS6detail17trampoline_kernelINS0_14default_configENS1_27scan_by_key_config_selectorIxxEEZZNS1_16scan_by_key_implILNS1_25lookback_scan_determinismE0ELb1ES3_N6thrust23THRUST_200600_302600_NS6detail15normal_iteratorINS9_10device_ptrIxEEEESE_SE_xNS9_10multipliesIxEENS9_8equal_toIxEExEE10hipError_tPvRmT2_T3_T4_T5_mT6_T7_P12ihipStream_tbENKUlT_T0_E_clISt17integral_constantIbLb1EESY_IbLb0EEEEDaSU_SV_EUlSU_E_NS1_11comp_targetILNS1_3genE10ELNS1_11target_archE1201ELNS1_3gpuE5ELNS1_3repE0EEENS1_30default_config_static_selectorELNS0_4arch9wavefront6targetE1EEEvT1_
	.globl	_ZN7rocprim17ROCPRIM_400000_NS6detail17trampoline_kernelINS0_14default_configENS1_27scan_by_key_config_selectorIxxEEZZNS1_16scan_by_key_implILNS1_25lookback_scan_determinismE0ELb1ES3_N6thrust23THRUST_200600_302600_NS6detail15normal_iteratorINS9_10device_ptrIxEEEESE_SE_xNS9_10multipliesIxEENS9_8equal_toIxEExEE10hipError_tPvRmT2_T3_T4_T5_mT6_T7_P12ihipStream_tbENKUlT_T0_E_clISt17integral_constantIbLb1EESY_IbLb0EEEEDaSU_SV_EUlSU_E_NS1_11comp_targetILNS1_3genE10ELNS1_11target_archE1201ELNS1_3gpuE5ELNS1_3repE0EEENS1_30default_config_static_selectorELNS0_4arch9wavefront6targetE1EEEvT1_
	.p2align	8
	.type	_ZN7rocprim17ROCPRIM_400000_NS6detail17trampoline_kernelINS0_14default_configENS1_27scan_by_key_config_selectorIxxEEZZNS1_16scan_by_key_implILNS1_25lookback_scan_determinismE0ELb1ES3_N6thrust23THRUST_200600_302600_NS6detail15normal_iteratorINS9_10device_ptrIxEEEESE_SE_xNS9_10multipliesIxEENS9_8equal_toIxEExEE10hipError_tPvRmT2_T3_T4_T5_mT6_T7_P12ihipStream_tbENKUlT_T0_E_clISt17integral_constantIbLb1EESY_IbLb0EEEEDaSU_SV_EUlSU_E_NS1_11comp_targetILNS1_3genE10ELNS1_11target_archE1201ELNS1_3gpuE5ELNS1_3repE0EEENS1_30default_config_static_selectorELNS0_4arch9wavefront6targetE1EEEvT1_,@function
_ZN7rocprim17ROCPRIM_400000_NS6detail17trampoline_kernelINS0_14default_configENS1_27scan_by_key_config_selectorIxxEEZZNS1_16scan_by_key_implILNS1_25lookback_scan_determinismE0ELb1ES3_N6thrust23THRUST_200600_302600_NS6detail15normal_iteratorINS9_10device_ptrIxEEEESE_SE_xNS9_10multipliesIxEENS9_8equal_toIxEExEE10hipError_tPvRmT2_T3_T4_T5_mT6_T7_P12ihipStream_tbENKUlT_T0_E_clISt17integral_constantIbLb1EESY_IbLb0EEEEDaSU_SV_EUlSU_E_NS1_11comp_targetILNS1_3genE10ELNS1_11target_archE1201ELNS1_3gpuE5ELNS1_3repE0EEENS1_30default_config_static_selectorELNS0_4arch9wavefront6targetE1EEEvT1_: ; @_ZN7rocprim17ROCPRIM_400000_NS6detail17trampoline_kernelINS0_14default_configENS1_27scan_by_key_config_selectorIxxEEZZNS1_16scan_by_key_implILNS1_25lookback_scan_determinismE0ELb1ES3_N6thrust23THRUST_200600_302600_NS6detail15normal_iteratorINS9_10device_ptrIxEEEESE_SE_xNS9_10multipliesIxEENS9_8equal_toIxEExEE10hipError_tPvRmT2_T3_T4_T5_mT6_T7_P12ihipStream_tbENKUlT_T0_E_clISt17integral_constantIbLb1EESY_IbLb0EEEEDaSU_SV_EUlSU_E_NS1_11comp_targetILNS1_3genE10ELNS1_11target_archE1201ELNS1_3gpuE5ELNS1_3repE0EEENS1_30default_config_static_selectorELNS0_4arch9wavefront6targetE1EEEvT1_
; %bb.0:
	.section	.rodata,"a",@progbits
	.p2align	6, 0x0
	.amdhsa_kernel _ZN7rocprim17ROCPRIM_400000_NS6detail17trampoline_kernelINS0_14default_configENS1_27scan_by_key_config_selectorIxxEEZZNS1_16scan_by_key_implILNS1_25lookback_scan_determinismE0ELb1ES3_N6thrust23THRUST_200600_302600_NS6detail15normal_iteratorINS9_10device_ptrIxEEEESE_SE_xNS9_10multipliesIxEENS9_8equal_toIxEExEE10hipError_tPvRmT2_T3_T4_T5_mT6_T7_P12ihipStream_tbENKUlT_T0_E_clISt17integral_constantIbLb1EESY_IbLb0EEEEDaSU_SV_EUlSU_E_NS1_11comp_targetILNS1_3genE10ELNS1_11target_archE1201ELNS1_3gpuE5ELNS1_3repE0EEENS1_30default_config_static_selectorELNS0_4arch9wavefront6targetE1EEEvT1_
		.amdhsa_group_segment_fixed_size 0
		.amdhsa_private_segment_fixed_size 0
		.amdhsa_kernarg_size 136
		.amdhsa_user_sgpr_count 6
		.amdhsa_user_sgpr_private_segment_buffer 1
		.amdhsa_user_sgpr_dispatch_ptr 0
		.amdhsa_user_sgpr_queue_ptr 0
		.amdhsa_user_sgpr_kernarg_segment_ptr 1
		.amdhsa_user_sgpr_dispatch_id 0
		.amdhsa_user_sgpr_flat_scratch_init 0
		.amdhsa_user_sgpr_kernarg_preload_length 0
		.amdhsa_user_sgpr_kernarg_preload_offset 0
		.amdhsa_user_sgpr_private_segment_size 0
		.amdhsa_uses_dynamic_stack 0
		.amdhsa_system_sgpr_private_segment_wavefront_offset 0
		.amdhsa_system_sgpr_workgroup_id_x 1
		.amdhsa_system_sgpr_workgroup_id_y 0
		.amdhsa_system_sgpr_workgroup_id_z 0
		.amdhsa_system_sgpr_workgroup_info 0
		.amdhsa_system_vgpr_workitem_id 0
		.amdhsa_next_free_vgpr 1
		.amdhsa_next_free_sgpr 0
		.amdhsa_accum_offset 4
		.amdhsa_reserve_vcc 0
		.amdhsa_reserve_flat_scratch 0
		.amdhsa_float_round_mode_32 0
		.amdhsa_float_round_mode_16_64 0
		.amdhsa_float_denorm_mode_32 3
		.amdhsa_float_denorm_mode_16_64 3
		.amdhsa_dx10_clamp 1
		.amdhsa_ieee_mode 1
		.amdhsa_fp16_overflow 0
		.amdhsa_tg_split 0
		.amdhsa_exception_fp_ieee_invalid_op 0
		.amdhsa_exception_fp_denorm_src 0
		.amdhsa_exception_fp_ieee_div_zero 0
		.amdhsa_exception_fp_ieee_overflow 0
		.amdhsa_exception_fp_ieee_underflow 0
		.amdhsa_exception_fp_ieee_inexact 0
		.amdhsa_exception_int_div_zero 0
	.end_amdhsa_kernel
	.section	.text._ZN7rocprim17ROCPRIM_400000_NS6detail17trampoline_kernelINS0_14default_configENS1_27scan_by_key_config_selectorIxxEEZZNS1_16scan_by_key_implILNS1_25lookback_scan_determinismE0ELb1ES3_N6thrust23THRUST_200600_302600_NS6detail15normal_iteratorINS9_10device_ptrIxEEEESE_SE_xNS9_10multipliesIxEENS9_8equal_toIxEExEE10hipError_tPvRmT2_T3_T4_T5_mT6_T7_P12ihipStream_tbENKUlT_T0_E_clISt17integral_constantIbLb1EESY_IbLb0EEEEDaSU_SV_EUlSU_E_NS1_11comp_targetILNS1_3genE10ELNS1_11target_archE1201ELNS1_3gpuE5ELNS1_3repE0EEENS1_30default_config_static_selectorELNS0_4arch9wavefront6targetE1EEEvT1_,"axG",@progbits,_ZN7rocprim17ROCPRIM_400000_NS6detail17trampoline_kernelINS0_14default_configENS1_27scan_by_key_config_selectorIxxEEZZNS1_16scan_by_key_implILNS1_25lookback_scan_determinismE0ELb1ES3_N6thrust23THRUST_200600_302600_NS6detail15normal_iteratorINS9_10device_ptrIxEEEESE_SE_xNS9_10multipliesIxEENS9_8equal_toIxEExEE10hipError_tPvRmT2_T3_T4_T5_mT6_T7_P12ihipStream_tbENKUlT_T0_E_clISt17integral_constantIbLb1EESY_IbLb0EEEEDaSU_SV_EUlSU_E_NS1_11comp_targetILNS1_3genE10ELNS1_11target_archE1201ELNS1_3gpuE5ELNS1_3repE0EEENS1_30default_config_static_selectorELNS0_4arch9wavefront6targetE1EEEvT1_,comdat
.Lfunc_end408:
	.size	_ZN7rocprim17ROCPRIM_400000_NS6detail17trampoline_kernelINS0_14default_configENS1_27scan_by_key_config_selectorIxxEEZZNS1_16scan_by_key_implILNS1_25lookback_scan_determinismE0ELb1ES3_N6thrust23THRUST_200600_302600_NS6detail15normal_iteratorINS9_10device_ptrIxEEEESE_SE_xNS9_10multipliesIxEENS9_8equal_toIxEExEE10hipError_tPvRmT2_T3_T4_T5_mT6_T7_P12ihipStream_tbENKUlT_T0_E_clISt17integral_constantIbLb1EESY_IbLb0EEEEDaSU_SV_EUlSU_E_NS1_11comp_targetILNS1_3genE10ELNS1_11target_archE1201ELNS1_3gpuE5ELNS1_3repE0EEENS1_30default_config_static_selectorELNS0_4arch9wavefront6targetE1EEEvT1_, .Lfunc_end408-_ZN7rocprim17ROCPRIM_400000_NS6detail17trampoline_kernelINS0_14default_configENS1_27scan_by_key_config_selectorIxxEEZZNS1_16scan_by_key_implILNS1_25lookback_scan_determinismE0ELb1ES3_N6thrust23THRUST_200600_302600_NS6detail15normal_iteratorINS9_10device_ptrIxEEEESE_SE_xNS9_10multipliesIxEENS9_8equal_toIxEExEE10hipError_tPvRmT2_T3_T4_T5_mT6_T7_P12ihipStream_tbENKUlT_T0_E_clISt17integral_constantIbLb1EESY_IbLb0EEEEDaSU_SV_EUlSU_E_NS1_11comp_targetILNS1_3genE10ELNS1_11target_archE1201ELNS1_3gpuE5ELNS1_3repE0EEENS1_30default_config_static_selectorELNS0_4arch9wavefront6targetE1EEEvT1_
                                        ; -- End function
	.section	.AMDGPU.csdata,"",@progbits
; Kernel info:
; codeLenInByte = 0
; NumSgprs: 4
; NumVgprs: 0
; NumAgprs: 0
; TotalNumVgprs: 0
; ScratchSize: 0
; MemoryBound: 0
; FloatMode: 240
; IeeeMode: 1
; LDSByteSize: 0 bytes/workgroup (compile time only)
; SGPRBlocks: 0
; VGPRBlocks: 0
; NumSGPRsForWavesPerEU: 4
; NumVGPRsForWavesPerEU: 1
; AccumOffset: 4
; Occupancy: 8
; WaveLimiterHint : 0
; COMPUTE_PGM_RSRC2:SCRATCH_EN: 0
; COMPUTE_PGM_RSRC2:USER_SGPR: 6
; COMPUTE_PGM_RSRC2:TRAP_HANDLER: 0
; COMPUTE_PGM_RSRC2:TGID_X_EN: 1
; COMPUTE_PGM_RSRC2:TGID_Y_EN: 0
; COMPUTE_PGM_RSRC2:TGID_Z_EN: 0
; COMPUTE_PGM_RSRC2:TIDIG_COMP_CNT: 0
; COMPUTE_PGM_RSRC3_GFX90A:ACCUM_OFFSET: 0
; COMPUTE_PGM_RSRC3_GFX90A:TG_SPLIT: 0
	.section	.text._ZN7rocprim17ROCPRIM_400000_NS6detail17trampoline_kernelINS0_14default_configENS1_27scan_by_key_config_selectorIxxEEZZNS1_16scan_by_key_implILNS1_25lookback_scan_determinismE0ELb1ES3_N6thrust23THRUST_200600_302600_NS6detail15normal_iteratorINS9_10device_ptrIxEEEESE_SE_xNS9_10multipliesIxEENS9_8equal_toIxEExEE10hipError_tPvRmT2_T3_T4_T5_mT6_T7_P12ihipStream_tbENKUlT_T0_E_clISt17integral_constantIbLb1EESY_IbLb0EEEEDaSU_SV_EUlSU_E_NS1_11comp_targetILNS1_3genE5ELNS1_11target_archE942ELNS1_3gpuE9ELNS1_3repE0EEENS1_30default_config_static_selectorELNS0_4arch9wavefront6targetE1EEEvT1_,"axG",@progbits,_ZN7rocprim17ROCPRIM_400000_NS6detail17trampoline_kernelINS0_14default_configENS1_27scan_by_key_config_selectorIxxEEZZNS1_16scan_by_key_implILNS1_25lookback_scan_determinismE0ELb1ES3_N6thrust23THRUST_200600_302600_NS6detail15normal_iteratorINS9_10device_ptrIxEEEESE_SE_xNS9_10multipliesIxEENS9_8equal_toIxEExEE10hipError_tPvRmT2_T3_T4_T5_mT6_T7_P12ihipStream_tbENKUlT_T0_E_clISt17integral_constantIbLb1EESY_IbLb0EEEEDaSU_SV_EUlSU_E_NS1_11comp_targetILNS1_3genE5ELNS1_11target_archE942ELNS1_3gpuE9ELNS1_3repE0EEENS1_30default_config_static_selectorELNS0_4arch9wavefront6targetE1EEEvT1_,comdat
	.protected	_ZN7rocprim17ROCPRIM_400000_NS6detail17trampoline_kernelINS0_14default_configENS1_27scan_by_key_config_selectorIxxEEZZNS1_16scan_by_key_implILNS1_25lookback_scan_determinismE0ELb1ES3_N6thrust23THRUST_200600_302600_NS6detail15normal_iteratorINS9_10device_ptrIxEEEESE_SE_xNS9_10multipliesIxEENS9_8equal_toIxEExEE10hipError_tPvRmT2_T3_T4_T5_mT6_T7_P12ihipStream_tbENKUlT_T0_E_clISt17integral_constantIbLb1EESY_IbLb0EEEEDaSU_SV_EUlSU_E_NS1_11comp_targetILNS1_3genE5ELNS1_11target_archE942ELNS1_3gpuE9ELNS1_3repE0EEENS1_30default_config_static_selectorELNS0_4arch9wavefront6targetE1EEEvT1_ ; -- Begin function _ZN7rocprim17ROCPRIM_400000_NS6detail17trampoline_kernelINS0_14default_configENS1_27scan_by_key_config_selectorIxxEEZZNS1_16scan_by_key_implILNS1_25lookback_scan_determinismE0ELb1ES3_N6thrust23THRUST_200600_302600_NS6detail15normal_iteratorINS9_10device_ptrIxEEEESE_SE_xNS9_10multipliesIxEENS9_8equal_toIxEExEE10hipError_tPvRmT2_T3_T4_T5_mT6_T7_P12ihipStream_tbENKUlT_T0_E_clISt17integral_constantIbLb1EESY_IbLb0EEEEDaSU_SV_EUlSU_E_NS1_11comp_targetILNS1_3genE5ELNS1_11target_archE942ELNS1_3gpuE9ELNS1_3repE0EEENS1_30default_config_static_selectorELNS0_4arch9wavefront6targetE1EEEvT1_
	.globl	_ZN7rocprim17ROCPRIM_400000_NS6detail17trampoline_kernelINS0_14default_configENS1_27scan_by_key_config_selectorIxxEEZZNS1_16scan_by_key_implILNS1_25lookback_scan_determinismE0ELb1ES3_N6thrust23THRUST_200600_302600_NS6detail15normal_iteratorINS9_10device_ptrIxEEEESE_SE_xNS9_10multipliesIxEENS9_8equal_toIxEExEE10hipError_tPvRmT2_T3_T4_T5_mT6_T7_P12ihipStream_tbENKUlT_T0_E_clISt17integral_constantIbLb1EESY_IbLb0EEEEDaSU_SV_EUlSU_E_NS1_11comp_targetILNS1_3genE5ELNS1_11target_archE942ELNS1_3gpuE9ELNS1_3repE0EEENS1_30default_config_static_selectorELNS0_4arch9wavefront6targetE1EEEvT1_
	.p2align	8
	.type	_ZN7rocprim17ROCPRIM_400000_NS6detail17trampoline_kernelINS0_14default_configENS1_27scan_by_key_config_selectorIxxEEZZNS1_16scan_by_key_implILNS1_25lookback_scan_determinismE0ELb1ES3_N6thrust23THRUST_200600_302600_NS6detail15normal_iteratorINS9_10device_ptrIxEEEESE_SE_xNS9_10multipliesIxEENS9_8equal_toIxEExEE10hipError_tPvRmT2_T3_T4_T5_mT6_T7_P12ihipStream_tbENKUlT_T0_E_clISt17integral_constantIbLb1EESY_IbLb0EEEEDaSU_SV_EUlSU_E_NS1_11comp_targetILNS1_3genE5ELNS1_11target_archE942ELNS1_3gpuE9ELNS1_3repE0EEENS1_30default_config_static_selectorELNS0_4arch9wavefront6targetE1EEEvT1_,@function
_ZN7rocprim17ROCPRIM_400000_NS6detail17trampoline_kernelINS0_14default_configENS1_27scan_by_key_config_selectorIxxEEZZNS1_16scan_by_key_implILNS1_25lookback_scan_determinismE0ELb1ES3_N6thrust23THRUST_200600_302600_NS6detail15normal_iteratorINS9_10device_ptrIxEEEESE_SE_xNS9_10multipliesIxEENS9_8equal_toIxEExEE10hipError_tPvRmT2_T3_T4_T5_mT6_T7_P12ihipStream_tbENKUlT_T0_E_clISt17integral_constantIbLb1EESY_IbLb0EEEEDaSU_SV_EUlSU_E_NS1_11comp_targetILNS1_3genE5ELNS1_11target_archE942ELNS1_3gpuE9ELNS1_3repE0EEENS1_30default_config_static_selectorELNS0_4arch9wavefront6targetE1EEEvT1_: ; @_ZN7rocprim17ROCPRIM_400000_NS6detail17trampoline_kernelINS0_14default_configENS1_27scan_by_key_config_selectorIxxEEZZNS1_16scan_by_key_implILNS1_25lookback_scan_determinismE0ELb1ES3_N6thrust23THRUST_200600_302600_NS6detail15normal_iteratorINS9_10device_ptrIxEEEESE_SE_xNS9_10multipliesIxEENS9_8equal_toIxEExEE10hipError_tPvRmT2_T3_T4_T5_mT6_T7_P12ihipStream_tbENKUlT_T0_E_clISt17integral_constantIbLb1EESY_IbLb0EEEEDaSU_SV_EUlSU_E_NS1_11comp_targetILNS1_3genE5ELNS1_11target_archE942ELNS1_3gpuE9ELNS1_3repE0EEENS1_30default_config_static_selectorELNS0_4arch9wavefront6targetE1EEEvT1_
; %bb.0:
	.section	.rodata,"a",@progbits
	.p2align	6, 0x0
	.amdhsa_kernel _ZN7rocprim17ROCPRIM_400000_NS6detail17trampoline_kernelINS0_14default_configENS1_27scan_by_key_config_selectorIxxEEZZNS1_16scan_by_key_implILNS1_25lookback_scan_determinismE0ELb1ES3_N6thrust23THRUST_200600_302600_NS6detail15normal_iteratorINS9_10device_ptrIxEEEESE_SE_xNS9_10multipliesIxEENS9_8equal_toIxEExEE10hipError_tPvRmT2_T3_T4_T5_mT6_T7_P12ihipStream_tbENKUlT_T0_E_clISt17integral_constantIbLb1EESY_IbLb0EEEEDaSU_SV_EUlSU_E_NS1_11comp_targetILNS1_3genE5ELNS1_11target_archE942ELNS1_3gpuE9ELNS1_3repE0EEENS1_30default_config_static_selectorELNS0_4arch9wavefront6targetE1EEEvT1_
		.amdhsa_group_segment_fixed_size 0
		.amdhsa_private_segment_fixed_size 0
		.amdhsa_kernarg_size 136
		.amdhsa_user_sgpr_count 6
		.amdhsa_user_sgpr_private_segment_buffer 1
		.amdhsa_user_sgpr_dispatch_ptr 0
		.amdhsa_user_sgpr_queue_ptr 0
		.amdhsa_user_sgpr_kernarg_segment_ptr 1
		.amdhsa_user_sgpr_dispatch_id 0
		.amdhsa_user_sgpr_flat_scratch_init 0
		.amdhsa_user_sgpr_kernarg_preload_length 0
		.amdhsa_user_sgpr_kernarg_preload_offset 0
		.amdhsa_user_sgpr_private_segment_size 0
		.amdhsa_uses_dynamic_stack 0
		.amdhsa_system_sgpr_private_segment_wavefront_offset 0
		.amdhsa_system_sgpr_workgroup_id_x 1
		.amdhsa_system_sgpr_workgroup_id_y 0
		.amdhsa_system_sgpr_workgroup_id_z 0
		.amdhsa_system_sgpr_workgroup_info 0
		.amdhsa_system_vgpr_workitem_id 0
		.amdhsa_next_free_vgpr 1
		.amdhsa_next_free_sgpr 0
		.amdhsa_accum_offset 4
		.amdhsa_reserve_vcc 0
		.amdhsa_reserve_flat_scratch 0
		.amdhsa_float_round_mode_32 0
		.amdhsa_float_round_mode_16_64 0
		.amdhsa_float_denorm_mode_32 3
		.amdhsa_float_denorm_mode_16_64 3
		.amdhsa_dx10_clamp 1
		.amdhsa_ieee_mode 1
		.amdhsa_fp16_overflow 0
		.amdhsa_tg_split 0
		.amdhsa_exception_fp_ieee_invalid_op 0
		.amdhsa_exception_fp_denorm_src 0
		.amdhsa_exception_fp_ieee_div_zero 0
		.amdhsa_exception_fp_ieee_overflow 0
		.amdhsa_exception_fp_ieee_underflow 0
		.amdhsa_exception_fp_ieee_inexact 0
		.amdhsa_exception_int_div_zero 0
	.end_amdhsa_kernel
	.section	.text._ZN7rocprim17ROCPRIM_400000_NS6detail17trampoline_kernelINS0_14default_configENS1_27scan_by_key_config_selectorIxxEEZZNS1_16scan_by_key_implILNS1_25lookback_scan_determinismE0ELb1ES3_N6thrust23THRUST_200600_302600_NS6detail15normal_iteratorINS9_10device_ptrIxEEEESE_SE_xNS9_10multipliesIxEENS9_8equal_toIxEExEE10hipError_tPvRmT2_T3_T4_T5_mT6_T7_P12ihipStream_tbENKUlT_T0_E_clISt17integral_constantIbLb1EESY_IbLb0EEEEDaSU_SV_EUlSU_E_NS1_11comp_targetILNS1_3genE5ELNS1_11target_archE942ELNS1_3gpuE9ELNS1_3repE0EEENS1_30default_config_static_selectorELNS0_4arch9wavefront6targetE1EEEvT1_,"axG",@progbits,_ZN7rocprim17ROCPRIM_400000_NS6detail17trampoline_kernelINS0_14default_configENS1_27scan_by_key_config_selectorIxxEEZZNS1_16scan_by_key_implILNS1_25lookback_scan_determinismE0ELb1ES3_N6thrust23THRUST_200600_302600_NS6detail15normal_iteratorINS9_10device_ptrIxEEEESE_SE_xNS9_10multipliesIxEENS9_8equal_toIxEExEE10hipError_tPvRmT2_T3_T4_T5_mT6_T7_P12ihipStream_tbENKUlT_T0_E_clISt17integral_constantIbLb1EESY_IbLb0EEEEDaSU_SV_EUlSU_E_NS1_11comp_targetILNS1_3genE5ELNS1_11target_archE942ELNS1_3gpuE9ELNS1_3repE0EEENS1_30default_config_static_selectorELNS0_4arch9wavefront6targetE1EEEvT1_,comdat
.Lfunc_end409:
	.size	_ZN7rocprim17ROCPRIM_400000_NS6detail17trampoline_kernelINS0_14default_configENS1_27scan_by_key_config_selectorIxxEEZZNS1_16scan_by_key_implILNS1_25lookback_scan_determinismE0ELb1ES3_N6thrust23THRUST_200600_302600_NS6detail15normal_iteratorINS9_10device_ptrIxEEEESE_SE_xNS9_10multipliesIxEENS9_8equal_toIxEExEE10hipError_tPvRmT2_T3_T4_T5_mT6_T7_P12ihipStream_tbENKUlT_T0_E_clISt17integral_constantIbLb1EESY_IbLb0EEEEDaSU_SV_EUlSU_E_NS1_11comp_targetILNS1_3genE5ELNS1_11target_archE942ELNS1_3gpuE9ELNS1_3repE0EEENS1_30default_config_static_selectorELNS0_4arch9wavefront6targetE1EEEvT1_, .Lfunc_end409-_ZN7rocprim17ROCPRIM_400000_NS6detail17trampoline_kernelINS0_14default_configENS1_27scan_by_key_config_selectorIxxEEZZNS1_16scan_by_key_implILNS1_25lookback_scan_determinismE0ELb1ES3_N6thrust23THRUST_200600_302600_NS6detail15normal_iteratorINS9_10device_ptrIxEEEESE_SE_xNS9_10multipliesIxEENS9_8equal_toIxEExEE10hipError_tPvRmT2_T3_T4_T5_mT6_T7_P12ihipStream_tbENKUlT_T0_E_clISt17integral_constantIbLb1EESY_IbLb0EEEEDaSU_SV_EUlSU_E_NS1_11comp_targetILNS1_3genE5ELNS1_11target_archE942ELNS1_3gpuE9ELNS1_3repE0EEENS1_30default_config_static_selectorELNS0_4arch9wavefront6targetE1EEEvT1_
                                        ; -- End function
	.section	.AMDGPU.csdata,"",@progbits
; Kernel info:
; codeLenInByte = 0
; NumSgprs: 4
; NumVgprs: 0
; NumAgprs: 0
; TotalNumVgprs: 0
; ScratchSize: 0
; MemoryBound: 0
; FloatMode: 240
; IeeeMode: 1
; LDSByteSize: 0 bytes/workgroup (compile time only)
; SGPRBlocks: 0
; VGPRBlocks: 0
; NumSGPRsForWavesPerEU: 4
; NumVGPRsForWavesPerEU: 1
; AccumOffset: 4
; Occupancy: 8
; WaveLimiterHint : 0
; COMPUTE_PGM_RSRC2:SCRATCH_EN: 0
; COMPUTE_PGM_RSRC2:USER_SGPR: 6
; COMPUTE_PGM_RSRC2:TRAP_HANDLER: 0
; COMPUTE_PGM_RSRC2:TGID_X_EN: 1
; COMPUTE_PGM_RSRC2:TGID_Y_EN: 0
; COMPUTE_PGM_RSRC2:TGID_Z_EN: 0
; COMPUTE_PGM_RSRC2:TIDIG_COMP_CNT: 0
; COMPUTE_PGM_RSRC3_GFX90A:ACCUM_OFFSET: 0
; COMPUTE_PGM_RSRC3_GFX90A:TG_SPLIT: 0
	.section	.text._ZN7rocprim17ROCPRIM_400000_NS6detail17trampoline_kernelINS0_14default_configENS1_27scan_by_key_config_selectorIxxEEZZNS1_16scan_by_key_implILNS1_25lookback_scan_determinismE0ELb1ES3_N6thrust23THRUST_200600_302600_NS6detail15normal_iteratorINS9_10device_ptrIxEEEESE_SE_xNS9_10multipliesIxEENS9_8equal_toIxEExEE10hipError_tPvRmT2_T3_T4_T5_mT6_T7_P12ihipStream_tbENKUlT_T0_E_clISt17integral_constantIbLb1EESY_IbLb0EEEEDaSU_SV_EUlSU_E_NS1_11comp_targetILNS1_3genE4ELNS1_11target_archE910ELNS1_3gpuE8ELNS1_3repE0EEENS1_30default_config_static_selectorELNS0_4arch9wavefront6targetE1EEEvT1_,"axG",@progbits,_ZN7rocprim17ROCPRIM_400000_NS6detail17trampoline_kernelINS0_14default_configENS1_27scan_by_key_config_selectorIxxEEZZNS1_16scan_by_key_implILNS1_25lookback_scan_determinismE0ELb1ES3_N6thrust23THRUST_200600_302600_NS6detail15normal_iteratorINS9_10device_ptrIxEEEESE_SE_xNS9_10multipliesIxEENS9_8equal_toIxEExEE10hipError_tPvRmT2_T3_T4_T5_mT6_T7_P12ihipStream_tbENKUlT_T0_E_clISt17integral_constantIbLb1EESY_IbLb0EEEEDaSU_SV_EUlSU_E_NS1_11comp_targetILNS1_3genE4ELNS1_11target_archE910ELNS1_3gpuE8ELNS1_3repE0EEENS1_30default_config_static_selectorELNS0_4arch9wavefront6targetE1EEEvT1_,comdat
	.protected	_ZN7rocprim17ROCPRIM_400000_NS6detail17trampoline_kernelINS0_14default_configENS1_27scan_by_key_config_selectorIxxEEZZNS1_16scan_by_key_implILNS1_25lookback_scan_determinismE0ELb1ES3_N6thrust23THRUST_200600_302600_NS6detail15normal_iteratorINS9_10device_ptrIxEEEESE_SE_xNS9_10multipliesIxEENS9_8equal_toIxEExEE10hipError_tPvRmT2_T3_T4_T5_mT6_T7_P12ihipStream_tbENKUlT_T0_E_clISt17integral_constantIbLb1EESY_IbLb0EEEEDaSU_SV_EUlSU_E_NS1_11comp_targetILNS1_3genE4ELNS1_11target_archE910ELNS1_3gpuE8ELNS1_3repE0EEENS1_30default_config_static_selectorELNS0_4arch9wavefront6targetE1EEEvT1_ ; -- Begin function _ZN7rocprim17ROCPRIM_400000_NS6detail17trampoline_kernelINS0_14default_configENS1_27scan_by_key_config_selectorIxxEEZZNS1_16scan_by_key_implILNS1_25lookback_scan_determinismE0ELb1ES3_N6thrust23THRUST_200600_302600_NS6detail15normal_iteratorINS9_10device_ptrIxEEEESE_SE_xNS9_10multipliesIxEENS9_8equal_toIxEExEE10hipError_tPvRmT2_T3_T4_T5_mT6_T7_P12ihipStream_tbENKUlT_T0_E_clISt17integral_constantIbLb1EESY_IbLb0EEEEDaSU_SV_EUlSU_E_NS1_11comp_targetILNS1_3genE4ELNS1_11target_archE910ELNS1_3gpuE8ELNS1_3repE0EEENS1_30default_config_static_selectorELNS0_4arch9wavefront6targetE1EEEvT1_
	.globl	_ZN7rocprim17ROCPRIM_400000_NS6detail17trampoline_kernelINS0_14default_configENS1_27scan_by_key_config_selectorIxxEEZZNS1_16scan_by_key_implILNS1_25lookback_scan_determinismE0ELb1ES3_N6thrust23THRUST_200600_302600_NS6detail15normal_iteratorINS9_10device_ptrIxEEEESE_SE_xNS9_10multipliesIxEENS9_8equal_toIxEExEE10hipError_tPvRmT2_T3_T4_T5_mT6_T7_P12ihipStream_tbENKUlT_T0_E_clISt17integral_constantIbLb1EESY_IbLb0EEEEDaSU_SV_EUlSU_E_NS1_11comp_targetILNS1_3genE4ELNS1_11target_archE910ELNS1_3gpuE8ELNS1_3repE0EEENS1_30default_config_static_selectorELNS0_4arch9wavefront6targetE1EEEvT1_
	.p2align	8
	.type	_ZN7rocprim17ROCPRIM_400000_NS6detail17trampoline_kernelINS0_14default_configENS1_27scan_by_key_config_selectorIxxEEZZNS1_16scan_by_key_implILNS1_25lookback_scan_determinismE0ELb1ES3_N6thrust23THRUST_200600_302600_NS6detail15normal_iteratorINS9_10device_ptrIxEEEESE_SE_xNS9_10multipliesIxEENS9_8equal_toIxEExEE10hipError_tPvRmT2_T3_T4_T5_mT6_T7_P12ihipStream_tbENKUlT_T0_E_clISt17integral_constantIbLb1EESY_IbLb0EEEEDaSU_SV_EUlSU_E_NS1_11comp_targetILNS1_3genE4ELNS1_11target_archE910ELNS1_3gpuE8ELNS1_3repE0EEENS1_30default_config_static_selectorELNS0_4arch9wavefront6targetE1EEEvT1_,@function
_ZN7rocprim17ROCPRIM_400000_NS6detail17trampoline_kernelINS0_14default_configENS1_27scan_by_key_config_selectorIxxEEZZNS1_16scan_by_key_implILNS1_25lookback_scan_determinismE0ELb1ES3_N6thrust23THRUST_200600_302600_NS6detail15normal_iteratorINS9_10device_ptrIxEEEESE_SE_xNS9_10multipliesIxEENS9_8equal_toIxEExEE10hipError_tPvRmT2_T3_T4_T5_mT6_T7_P12ihipStream_tbENKUlT_T0_E_clISt17integral_constantIbLb1EESY_IbLb0EEEEDaSU_SV_EUlSU_E_NS1_11comp_targetILNS1_3genE4ELNS1_11target_archE910ELNS1_3gpuE8ELNS1_3repE0EEENS1_30default_config_static_selectorELNS0_4arch9wavefront6targetE1EEEvT1_: ; @_ZN7rocprim17ROCPRIM_400000_NS6detail17trampoline_kernelINS0_14default_configENS1_27scan_by_key_config_selectorIxxEEZZNS1_16scan_by_key_implILNS1_25lookback_scan_determinismE0ELb1ES3_N6thrust23THRUST_200600_302600_NS6detail15normal_iteratorINS9_10device_ptrIxEEEESE_SE_xNS9_10multipliesIxEENS9_8equal_toIxEExEE10hipError_tPvRmT2_T3_T4_T5_mT6_T7_P12ihipStream_tbENKUlT_T0_E_clISt17integral_constantIbLb1EESY_IbLb0EEEEDaSU_SV_EUlSU_E_NS1_11comp_targetILNS1_3genE4ELNS1_11target_archE910ELNS1_3gpuE8ELNS1_3repE0EEENS1_30default_config_static_selectorELNS0_4arch9wavefront6targetE1EEEvT1_
; %bb.0:
	s_load_dwordx8 s[52:59], s[4:5], 0x0
	s_load_dwordx2 s[64:65], s[4:5], 0x20
	s_load_dwordx8 s[44:51], s[4:5], 0x30
	s_load_dwordx2 s[66:67], s[4:5], 0x50
	s_load_dword s0, s[4:5], 0x58
	s_load_dwordx4 s[60:63], s[4:5], 0x60
	s_waitcnt lgkmcnt(0)
	s_lshl_b64 s[54:55], s[54:55], 3
	s_add_u32 s2, s52, s54
	s_addc_u32 s3, s53, s55
	s_add_u32 s4, s56, s54
	s_mul_i32 s1, s67, s0
	s_mul_hi_u32 s7, s66, s0
	s_addc_u32 s5, s57, s55
	s_add_i32 s8, s7, s1
	s_mul_i32 s9, s66, s0
	s_mul_i32 s0, s6, 0x4c0
	s_mov_b32 s1, 0
	s_lshl_b64 s[52:53], s[0:1], 3
	s_add_u32 s56, s2, s52
	s_addc_u32 s57, s3, s53
	s_add_u32 s7, s4, s52
	s_addc_u32 s51, s5, s53
	;; [unrolled: 2-line block ×3, first 2 shown]
	s_add_u32 s4, s60, -1
	s_addc_u32 s5, s61, -1
	v_pk_mov_b32 v[2:3], s[4:5], s[4:5] op_sel:[0,1]
	v_cmp_ge_u64_e64 s[0:1], s[0:1], v[2:3]
	s_mov_b64 s[2:3], -1
	s_and_b64 vcc, exec, s[0:1]
	s_mul_i32 s33, s4, 0xfffffb40
	s_waitcnt lgkmcnt(0)
	; wave barrier
	s_cbranch_vccz .LBB410_59
; %bb.1:
	v_pk_mov_b32 v[2:3], s[56:57], s[56:57] op_sel:[0,1]
	flat_load_dwordx2 v[2:3], v[2:3]
	s_add_i32 s70, s33, s50
	v_cmp_gt_u32_e32 vcc, s70, v0
	s_waitcnt vmcnt(0) lgkmcnt(0)
	v_pk_mov_b32 v[4:5], v[2:3], v[2:3] op_sel:[0,1]
	s_and_saveexec_b64 s[4:5], vcc
	s_cbranch_execz .LBB410_3
; %bb.2:
	v_lshlrev_b32_e32 v1, 3, v0
	v_mov_b32_e32 v5, s57
	v_add_co_u32_e64 v4, s[2:3], s56, v1
	v_addc_co_u32_e64 v5, s[2:3], 0, v5, s[2:3]
	flat_load_dwordx2 v[4:5], v[4:5]
.LBB410_3:
	s_or_b64 exec, exec, s[4:5]
	v_or_b32_e32 v1, 64, v0
	v_cmp_gt_u32_e64 s[2:3], s70, v1
	v_pk_mov_b32 v[6:7], v[2:3], v[2:3] op_sel:[0,1]
	s_and_saveexec_b64 s[8:9], s[2:3]
	s_cbranch_execz .LBB410_5
; %bb.4:
	v_lshlrev_b32_e32 v1, 3, v0
	v_mov_b32_e32 v7, s57
	v_add_co_u32_e64 v6, s[4:5], s56, v1
	v_addc_co_u32_e64 v7, s[4:5], 0, v7, s[4:5]
	flat_load_dwordx2 v[6:7], v[6:7] offset:512
.LBB410_5:
	s_or_b64 exec, exec, s[8:9]
	v_or_b32_e32 v1, 0x80, v0
	v_cmp_gt_u32_e64 s[4:5], s70, v1
	v_pk_mov_b32 v[8:9], v[2:3], v[2:3] op_sel:[0,1]
	s_and_saveexec_b64 s[10:11], s[4:5]
	s_cbranch_execz .LBB410_7
; %bb.6:
	v_lshlrev_b32_e32 v1, 3, v0
	v_mov_b32_e32 v9, s57
	v_add_co_u32_e64 v8, s[8:9], s56, v1
	v_addc_co_u32_e64 v9, s[8:9], 0, v9, s[8:9]
	flat_load_dwordx2 v[8:9], v[8:9] offset:1024
.LBB410_7:
	;; [unrolled: 13-line block ×7, first 2 shown]
	s_or_b64 exec, exec, s[18:19]
	v_or_b32_e32 v1, 0x200, v0
	v_cmp_gt_u32_e64 s[16:17], s70, v1
	v_pk_mov_b32 v[20:21], v[2:3], v[2:3] op_sel:[0,1]
	s_and_saveexec_b64 s[20:21], s[16:17]
	s_cbranch_execz .LBB410_19
; %bb.18:
	v_lshlrev_b32_e32 v20, 3, v1
	v_mov_b32_e32 v21, s57
	v_add_co_u32_e64 v20, s[18:19], s56, v20
	v_addc_co_u32_e64 v21, s[18:19], 0, v21, s[18:19]
	flat_load_dwordx2 v[20:21], v[20:21]
.LBB410_19:
	s_or_b64 exec, exec, s[20:21]
	v_or_b32_e32 v60, 0x240, v0
	v_cmp_gt_u32_e64 s[18:19], s70, v60
	v_pk_mov_b32 v[22:23], v[2:3], v[2:3] op_sel:[0,1]
	s_and_saveexec_b64 s[22:23], s[18:19]
	s_cbranch_execz .LBB410_21
; %bb.20:
	v_lshlrev_b32_e32 v22, 3, v60
	v_mov_b32_e32 v23, s57
	v_add_co_u32_e64 v22, s[20:21], s56, v22
	v_addc_co_u32_e64 v23, s[20:21], 0, v23, s[20:21]
	flat_load_dwordx2 v[22:23], v[22:23]
.LBB410_21:
	;; [unrolled: 13-line block ×10, first 2 shown]
	s_or_b64 exec, exec, s[42:43]
	v_or_b32_e32 v82, 0x480, v0
	v_cmp_gt_u32_e64 s[38:39], s70, v82
	s_and_saveexec_b64 s[60:61], s[38:39]
	s_cbranch_execz .LBB410_39
; %bb.38:
	v_lshlrev_b32_e32 v2, 3, v82
	v_mov_b32_e32 v3, s57
	v_add_co_u32_e64 v2, s[42:43], s56, v2
	v_addc_co_u32_e64 v3, s[42:43], 0, v3, s[42:43]
	flat_load_dwordx2 v[2:3], v[2:3]
.LBB410_39:
	s_or_b64 exec, exec, s[60:61]
	v_lshlrev_b32_e32 v83, 3, v0
	s_waitcnt vmcnt(0) lgkmcnt(0)
	ds_write2st64_b64 v83, v[4:5], v[6:7] offset1:1
	ds_write2st64_b64 v83, v[8:9], v[10:11] offset0:2 offset1:3
	ds_write2st64_b64 v83, v[12:13], v[14:15] offset0:4 offset1:5
	;; [unrolled: 1-line block ×8, first 2 shown]
	ds_write_b64 v83, v[2:3] offset:9216
	v_pk_mov_b32 v[2:3], s[56:57], s[56:57] op_sel:[0,1]
	s_waitcnt lgkmcnt(0)
	; wave barrier
	s_waitcnt lgkmcnt(0)
	flat_load_dwordx2 v[78:79], v[2:3]
	s_movk_i32 s42, 0x90
	v_mad_u32_u24 v80, v0, s42, v83
	s_movk_i32 s42, 0xff70
	v_mad_i32_i24 v38, v0, s42, v80
	v_cmp_ne_u32_e64 s[42:43], 63, v0
	ds_read_b64 v[40:41], v80
	ds_read2_b64 v[34:37], v80 offset0:1 offset1:2
	ds_read2_b64 v[30:33], v80 offset0:3 offset1:4
	;; [unrolled: 1-line block ×9, first 2 shown]
	s_waitcnt lgkmcnt(0)
	ds_write_b64 v38, v[40:41] offset:10240
	s_waitcnt lgkmcnt(0)
	; wave barrier
	s_waitcnt lgkmcnt(0)
	s_and_saveexec_b64 s[60:61], s[42:43]
	s_cbranch_execz .LBB410_41
; %bb.40:
	s_waitcnt vmcnt(0)
	ds_read_b64 v[78:79], v83 offset:10248
.LBB410_41:
	s_or_b64 exec, exec, s[60:61]
	s_waitcnt lgkmcnt(0)
	; wave barrier
	s_waitcnt lgkmcnt(0)
                                        ; implicit-def: $vgpr38_vgpr39
	s_and_saveexec_b64 s[42:43], vcc
	s_cbranch_execz .LBB410_60
; %bb.42:
	v_mov_b32_e32 v39, s51
	v_add_co_u32_e32 v38, vcc, s7, v83
	v_addc_co_u32_e32 v39, vcc, 0, v39, vcc
	flat_load_dwordx2 v[38:39], v[38:39]
	s_or_b64 exec, exec, s[42:43]
                                        ; implicit-def: $vgpr42_vgpr43
	s_and_saveexec_b64 s[42:43], s[2:3]
	s_cbranch_execnz .LBB410_61
.LBB410_43:
	s_or_b64 exec, exec, s[42:43]
                                        ; implicit-def: $vgpr44_vgpr45
	s_and_saveexec_b64 s[2:3], s[4:5]
	s_cbranch_execz .LBB410_62
.LBB410_44:
	v_mov_b32_e32 v45, s51
	v_add_co_u32_e32 v44, vcc, s7, v83
	v_addc_co_u32_e32 v45, vcc, 0, v45, vcc
	flat_load_dwordx2 v[44:45], v[44:45] offset:1024
	s_or_b64 exec, exec, s[2:3]
                                        ; implicit-def: $vgpr46_vgpr47
	s_and_saveexec_b64 s[2:3], s[40:41]
	s_cbranch_execnz .LBB410_63
.LBB410_45:
	s_or_b64 exec, exec, s[2:3]
                                        ; implicit-def: $vgpr48_vgpr49
	s_and_saveexec_b64 s[2:3], s[8:9]
	s_cbranch_execz .LBB410_64
.LBB410_46:
	v_mov_b32_e32 v49, s51
	v_add_co_u32_e32 v48, vcc, s7, v83
	v_addc_co_u32_e32 v49, vcc, 0, v49, vcc
	flat_load_dwordx2 v[48:49], v[48:49] offset:2048
	s_or_b64 exec, exec, s[2:3]
                                        ; implicit-def: $vgpr50_vgpr51
	s_and_saveexec_b64 s[2:3], s[10:11]
	s_cbranch_execnz .LBB410_65
.LBB410_47:
	s_or_b64 exec, exec, s[2:3]
                                        ; implicit-def: $vgpr52_vgpr53
	s_and_saveexec_b64 s[2:3], s[12:13]
	s_cbranch_execz .LBB410_66
.LBB410_48:
	v_mov_b32_e32 v53, s51
	v_add_co_u32_e32 v52, vcc, s7, v83
	v_addc_co_u32_e32 v53, vcc, 0, v53, vcc
	flat_load_dwordx2 v[52:53], v[52:53] offset:3072
	s_or_b64 exec, exec, s[2:3]
                                        ; implicit-def: $vgpr54_vgpr55
	s_and_saveexec_b64 s[2:3], s[14:15]
	s_cbranch_execnz .LBB410_67
.LBB410_49:
	s_or_b64 exec, exec, s[2:3]
                                        ; implicit-def: $vgpr56_vgpr57
	s_and_saveexec_b64 s[2:3], s[16:17]
	s_cbranch_execz .LBB410_68
.LBB410_50:
	v_lshlrev_b32_e32 v1, 3, v1
	v_mov_b32_e32 v57, s51
	v_add_co_u32_e32 v56, vcc, s7, v1
	v_addc_co_u32_e32 v57, vcc, 0, v57, vcc
	flat_load_dwordx2 v[56:57], v[56:57]
	s_or_b64 exec, exec, s[2:3]
                                        ; implicit-def: $vgpr58_vgpr59
	s_and_saveexec_b64 s[2:3], s[18:19]
	s_cbranch_execnz .LBB410_69
.LBB410_51:
	s_or_b64 exec, exec, s[2:3]
                                        ; implicit-def: $vgpr60_vgpr61
	s_and_saveexec_b64 s[2:3], s[20:21]
	s_cbranch_execz .LBB410_70
.LBB410_52:
	v_lshlrev_b32_e32 v1, 3, v62
	v_mov_b32_e32 v61, s51
	v_add_co_u32_e32 v60, vcc, s7, v1
	v_addc_co_u32_e32 v61, vcc, 0, v61, vcc
	flat_load_dwordx2 v[60:61], v[60:61]
	s_or_b64 exec, exec, s[2:3]
                                        ; implicit-def: $vgpr62_vgpr63
	s_and_saveexec_b64 s[2:3], s[22:23]
	s_cbranch_execnz .LBB410_71
.LBB410_53:
	s_or_b64 exec, exec, s[2:3]
                                        ; implicit-def: $vgpr64_vgpr65
	s_and_saveexec_b64 s[2:3], s[24:25]
	s_cbranch_execz .LBB410_72
.LBB410_54:
	v_lshlrev_b32_e32 v1, 3, v66
	v_mov_b32_e32 v65, s51
	v_add_co_u32_e32 v64, vcc, s7, v1
	v_addc_co_u32_e32 v65, vcc, 0, v65, vcc
	flat_load_dwordx2 v[64:65], v[64:65]
	s_or_b64 exec, exec, s[2:3]
                                        ; implicit-def: $vgpr66_vgpr67
	s_and_saveexec_b64 s[2:3], s[26:27]
	s_cbranch_execnz .LBB410_73
.LBB410_55:
	s_or_b64 exec, exec, s[2:3]
                                        ; implicit-def: $vgpr68_vgpr69
	s_and_saveexec_b64 s[2:3], s[28:29]
	s_cbranch_execz .LBB410_74
.LBB410_56:
	v_lshlrev_b32_e32 v1, 3, v70
	v_mov_b32_e32 v69, s51
	v_add_co_u32_e32 v68, vcc, s7, v1
	v_addc_co_u32_e32 v69, vcc, 0, v69, vcc
	flat_load_dwordx2 v[68:69], v[68:69]
	s_or_b64 exec, exec, s[2:3]
                                        ; implicit-def: $vgpr70_vgpr71
	s_and_saveexec_b64 s[2:3], s[30:31]
	s_cbranch_execnz .LBB410_75
.LBB410_57:
	s_or_b64 exec, exec, s[2:3]
                                        ; implicit-def: $vgpr72_vgpr73
	s_and_saveexec_b64 s[2:3], s[34:35]
	s_cbranch_execz .LBB410_76
.LBB410_58:
	v_lshlrev_b32_e32 v1, 3, v74
	v_mov_b32_e32 v73, s51
	v_add_co_u32_e32 v72, vcc, s7, v1
	v_addc_co_u32_e32 v73, vcc, 0, v73, vcc
	flat_load_dwordx2 v[72:73], v[72:73]
	s_or_b64 exec, exec, s[2:3]
                                        ; implicit-def: $vgpr74_vgpr75
	s_and_saveexec_b64 s[2:3], s[36:37]
	s_cbranch_execz .LBB410_78
	s_branch .LBB410_77
.LBB410_59:
	s_mov_b64 s[10:11], 0
                                        ; implicit-def: $sgpr8_sgpr9
                                        ; implicit-def: $vgpr76_vgpr77
                                        ; implicit-def: $vgpr74_vgpr75
                                        ; implicit-def: $vgpr99
                                        ; implicit-def: $vgpr42_vgpr43
                                        ; implicit-def: $vgpr112
                                        ; implicit-def: $vgpr72_vgpr73
                                        ; implicit-def: $vgpr111
                                        ; implicit-def: $vgpr70_vgpr71
                                        ; implicit-def: $vgpr110
                                        ; implicit-def: $vgpr68_vgpr69
                                        ; implicit-def: $vgpr109
                                        ; implicit-def: $vgpr66_vgpr67
                                        ; implicit-def: $vgpr108
                                        ; implicit-def: $vgpr64_vgpr65
                                        ; implicit-def: $vgpr107
                                        ; implicit-def: $vgpr62_vgpr63
                                        ; implicit-def: $vgpr106
                                        ; implicit-def: $vgpr60_vgpr61
                                        ; implicit-def: $vgpr105
                                        ; implicit-def: $vgpr58_vgpr59
                                        ; implicit-def: $vgpr104
                                        ; implicit-def: $vgpr44_vgpr45
                                        ; implicit-def: $vgpr103
                                        ; implicit-def: $vgpr56_vgpr57
                                        ; implicit-def: $vgpr102
                                        ; implicit-def: $vgpr52_vgpr53
                                        ; implicit-def: $vgpr101
                                        ; implicit-def: $vgpr50_vgpr51
                                        ; implicit-def: $vgpr100
                                        ; implicit-def: $vgpr54_vgpr55
                                        ; implicit-def: $vgpr98
                                        ; implicit-def: $vgpr48_vgpr49
                                        ; implicit-def: $vgpr97
                                        ; implicit-def: $vgpr46_vgpr47
                                        ; implicit-def: $vgpr96
                                        ; implicit-def: $vgpr38_vgpr39
                                        ; implicit-def: $vgpr1
                                        ; implicit-def: $sgpr72
                                        ; implicit-def: $sgpr4_sgpr5
	s_and_b64 vcc, exec, s[2:3]
	v_lshlrev_b32_e32 v113, 3, v0
	s_cbranch_vccz .LBB410_124
	s_branch .LBB410_119
.LBB410_60:
	s_or_b64 exec, exec, s[42:43]
                                        ; implicit-def: $vgpr42_vgpr43
	s_and_saveexec_b64 s[42:43], s[2:3]
	s_cbranch_execz .LBB410_43
.LBB410_61:
	v_mov_b32_e32 v43, s51
	v_add_co_u32_e32 v42, vcc, s7, v83
	v_addc_co_u32_e32 v43, vcc, 0, v43, vcc
	flat_load_dwordx2 v[42:43], v[42:43] offset:512
	s_or_b64 exec, exec, s[42:43]
                                        ; implicit-def: $vgpr44_vgpr45
	s_and_saveexec_b64 s[2:3], s[4:5]
	s_cbranch_execnz .LBB410_44
.LBB410_62:
	s_or_b64 exec, exec, s[2:3]
                                        ; implicit-def: $vgpr46_vgpr47
	s_and_saveexec_b64 s[2:3], s[40:41]
	s_cbranch_execz .LBB410_45
.LBB410_63:
	v_mov_b32_e32 v47, s51
	v_add_co_u32_e32 v46, vcc, s7, v83
	v_addc_co_u32_e32 v47, vcc, 0, v47, vcc
	flat_load_dwordx2 v[46:47], v[46:47] offset:1536
	s_or_b64 exec, exec, s[2:3]
                                        ; implicit-def: $vgpr48_vgpr49
	s_and_saveexec_b64 s[2:3], s[8:9]
	s_cbranch_execnz .LBB410_46
.LBB410_64:
	s_or_b64 exec, exec, s[2:3]
                                        ; implicit-def: $vgpr50_vgpr51
	s_and_saveexec_b64 s[2:3], s[10:11]
	s_cbranch_execz .LBB410_47
.LBB410_65:
	v_mov_b32_e32 v51, s51
	v_add_co_u32_e32 v50, vcc, s7, v83
	v_addc_co_u32_e32 v51, vcc, 0, v51, vcc
	flat_load_dwordx2 v[50:51], v[50:51] offset:2560
	s_or_b64 exec, exec, s[2:3]
                                        ; implicit-def: $vgpr52_vgpr53
	s_and_saveexec_b64 s[2:3], s[12:13]
	s_cbranch_execnz .LBB410_48
.LBB410_66:
	s_or_b64 exec, exec, s[2:3]
                                        ; implicit-def: $vgpr54_vgpr55
	s_and_saveexec_b64 s[2:3], s[14:15]
	s_cbranch_execz .LBB410_49
.LBB410_67:
	v_mov_b32_e32 v55, s51
	v_add_co_u32_e32 v54, vcc, s7, v83
	v_addc_co_u32_e32 v55, vcc, 0, v55, vcc
	flat_load_dwordx2 v[54:55], v[54:55] offset:3584
	s_or_b64 exec, exec, s[2:3]
                                        ; implicit-def: $vgpr56_vgpr57
	s_and_saveexec_b64 s[2:3], s[16:17]
	s_cbranch_execnz .LBB410_50
.LBB410_68:
	s_or_b64 exec, exec, s[2:3]
                                        ; implicit-def: $vgpr58_vgpr59
	s_and_saveexec_b64 s[2:3], s[18:19]
	s_cbranch_execz .LBB410_51
.LBB410_69:
	v_lshlrev_b32_e32 v1, 3, v60
	v_mov_b32_e32 v59, s51
	v_add_co_u32_e32 v58, vcc, s7, v1
	v_addc_co_u32_e32 v59, vcc, 0, v59, vcc
	flat_load_dwordx2 v[58:59], v[58:59]
	s_or_b64 exec, exec, s[2:3]
                                        ; implicit-def: $vgpr60_vgpr61
	s_and_saveexec_b64 s[2:3], s[20:21]
	s_cbranch_execnz .LBB410_52
.LBB410_70:
	s_or_b64 exec, exec, s[2:3]
                                        ; implicit-def: $vgpr62_vgpr63
	s_and_saveexec_b64 s[2:3], s[22:23]
	s_cbranch_execz .LBB410_53
.LBB410_71:
	v_lshlrev_b32_e32 v1, 3, v64
	v_mov_b32_e32 v63, s51
	v_add_co_u32_e32 v62, vcc, s7, v1
	v_addc_co_u32_e32 v63, vcc, 0, v63, vcc
	flat_load_dwordx2 v[62:63], v[62:63]
	s_or_b64 exec, exec, s[2:3]
                                        ; implicit-def: $vgpr64_vgpr65
	s_and_saveexec_b64 s[2:3], s[24:25]
	s_cbranch_execnz .LBB410_54
.LBB410_72:
	s_or_b64 exec, exec, s[2:3]
                                        ; implicit-def: $vgpr66_vgpr67
	s_and_saveexec_b64 s[2:3], s[26:27]
	s_cbranch_execz .LBB410_55
.LBB410_73:
	v_lshlrev_b32_e32 v1, 3, v68
	v_mov_b32_e32 v67, s51
	v_add_co_u32_e32 v66, vcc, s7, v1
	v_addc_co_u32_e32 v67, vcc, 0, v67, vcc
	flat_load_dwordx2 v[66:67], v[66:67]
	s_or_b64 exec, exec, s[2:3]
                                        ; implicit-def: $vgpr68_vgpr69
	s_and_saveexec_b64 s[2:3], s[28:29]
	s_cbranch_execnz .LBB410_56
.LBB410_74:
	s_or_b64 exec, exec, s[2:3]
                                        ; implicit-def: $vgpr70_vgpr71
	s_and_saveexec_b64 s[2:3], s[30:31]
	s_cbranch_execz .LBB410_57
.LBB410_75:
	v_lshlrev_b32_e32 v1, 3, v72
	v_mov_b32_e32 v71, s51
	v_add_co_u32_e32 v70, vcc, s7, v1
	v_addc_co_u32_e32 v71, vcc, 0, v71, vcc
	flat_load_dwordx2 v[70:71], v[70:71]
	s_or_b64 exec, exec, s[2:3]
                                        ; implicit-def: $vgpr72_vgpr73
	s_and_saveexec_b64 s[2:3], s[34:35]
	s_cbranch_execnz .LBB410_58
.LBB410_76:
	s_or_b64 exec, exec, s[2:3]
                                        ; implicit-def: $vgpr74_vgpr75
	s_and_saveexec_b64 s[2:3], s[36:37]
	s_cbranch_execz .LBB410_78
.LBB410_77:
	v_lshlrev_b32_e32 v1, 3, v76
	v_mov_b32_e32 v75, s51
	v_add_co_u32_e32 v74, vcc, s7, v1
	v_addc_co_u32_e32 v75, vcc, 0, v75, vcc
	flat_load_dwordx2 v[74:75], v[74:75]
.LBB410_78:
	s_or_b64 exec, exec, s[2:3]
	v_mul_u32_u24_e32 v81, 19, v0
                                        ; implicit-def: $vgpr76_vgpr77
	s_and_saveexec_b64 s[2:3], s[38:39]
	s_cbranch_execz .LBB410_80
; %bb.79:
	v_lshlrev_b32_e32 v1, 3, v82
	v_mov_b32_e32 v77, s51
	v_add_co_u32_e32 v76, vcc, s7, v1
	v_addc_co_u32_e32 v77, vcc, 0, v77, vcc
	flat_load_dwordx2 v[76:77], v[76:77]
.LBB410_80:
	s_or_b64 exec, exec, s[2:3]
	s_waitcnt vmcnt(0) lgkmcnt(0)
	ds_write2st64_b64 v83, v[38:39], v[42:43] offset1:1
	ds_write2st64_b64 v83, v[44:45], v[46:47] offset0:2 offset1:3
	ds_write2st64_b64 v83, v[48:49], v[50:51] offset0:4 offset1:5
	;; [unrolled: 1-line block ×8, first 2 shown]
	ds_write_b64 v83, v[76:77] offset:9216
	v_pk_mov_b32 v[74:75], 0, 0
	v_cmp_gt_u32_e32 vcc, s70, v81
	s_mov_b64 s[10:11], 0
	s_mov_b32 s72, 0
	s_mov_b64 s[2:3], 0
	v_mov_b32_e32 v99, 0
	v_pk_mov_b32 v[42:43], v[74:75], v[74:75] op_sel:[0,1]
	v_mov_b32_e32 v112, 0
	v_pk_mov_b32 v[72:73], v[74:75], v[74:75] op_sel:[0,1]
	v_mov_b32_e32 v111, 0
	v_pk_mov_b32 v[70:71], v[74:75], v[74:75] op_sel:[0,1]
	v_mov_b32_e32 v110, 0
	v_pk_mov_b32 v[68:69], v[74:75], v[74:75] op_sel:[0,1]
	v_mov_b32_e32 v109, 0
	v_pk_mov_b32 v[66:67], v[74:75], v[74:75] op_sel:[0,1]
	v_mov_b32_e32 v108, 0
	v_pk_mov_b32 v[64:65], v[74:75], v[74:75] op_sel:[0,1]
	v_mov_b32_e32 v107, 0
	v_pk_mov_b32 v[62:63], v[74:75], v[74:75] op_sel:[0,1]
	v_mov_b32_e32 v106, 0
	v_pk_mov_b32 v[60:61], v[74:75], v[74:75] op_sel:[0,1]
	v_mov_b32_e32 v105, 0
	v_pk_mov_b32 v[58:59], v[74:75], v[74:75] op_sel:[0,1]
	v_mov_b32_e32 v104, 0
	v_pk_mov_b32 v[44:45], v[74:75], v[74:75] op_sel:[0,1]
	v_mov_b32_e32 v103, 0
	v_pk_mov_b32 v[56:57], v[74:75], v[74:75] op_sel:[0,1]
	v_mov_b32_e32 v102, 0
	v_pk_mov_b32 v[52:53], v[74:75], v[74:75] op_sel:[0,1]
	v_mov_b32_e32 v101, 0
	v_pk_mov_b32 v[50:51], v[74:75], v[74:75] op_sel:[0,1]
	v_mov_b32_e32 v100, 0
	v_pk_mov_b32 v[54:55], v[74:75], v[74:75] op_sel:[0,1]
	v_mov_b32_e32 v98, 0
	v_pk_mov_b32 v[48:49], v[74:75], v[74:75] op_sel:[0,1]
	v_mov_b32_e32 v97, 0
	v_pk_mov_b32 v[46:47], v[74:75], v[74:75] op_sel:[0,1]
	v_mov_b32_e32 v96, 0
	v_pk_mov_b32 v[38:39], v[74:75], v[74:75] op_sel:[0,1]
	v_mov_b32_e32 v1, 0
	s_waitcnt lgkmcnt(0)
	; wave barrier
	s_waitcnt lgkmcnt(0)
                                        ; implicit-def: $sgpr8_sgpr9
                                        ; implicit-def: $vgpr76_vgpr77
	s_and_saveexec_b64 s[4:5], vcc
	s_cbranch_execz .LBB410_118
; %bb.81:
	ds_read_b64 v[38:39], v80
	v_cmp_ne_u64_e32 vcc, v[40:41], v[34:35]
	v_mov_b32_e32 v40, s65
	v_add_u32_e32 v42, 1, v81
	v_cndmask_b32_e64 v1, 0, 1, vcc
	s_waitcnt lgkmcnt(0)
	v_cndmask_b32_e32 v75, v39, v40, vcc
	v_mov_b32_e32 v39, s64
	v_cndmask_b32_e32 v74, v38, v39, vcc
	v_cmp_gt_u32_e32 vcc, s70, v42
	v_pk_mov_b32 v[42:43], 0, 0
	s_mov_b64 s[12:13], 0
	v_mov_b32_e32 v99, 0
	v_mov_b32_e32 v112, 0
	v_pk_mov_b32 v[72:73], v[42:43], v[42:43] op_sel:[0,1]
	v_mov_b32_e32 v111, 0
	v_pk_mov_b32 v[70:71], v[42:43], v[42:43] op_sel:[0,1]
	;; [unrolled: 2-line block ×16, first 2 shown]
                                        ; implicit-def: $sgpr14_sgpr15
                                        ; implicit-def: $vgpr76_vgpr77
	s_and_saveexec_b64 s[8:9], vcc
	s_cbranch_execz .LBB410_117
; %bb.82:
	ds_read2_b64 v[38:41], v80 offset0:1 offset1:2
	v_cmp_ne_u64_e32 vcc, v[34:35], v[36:37]
	v_mov_b32_e32 v34, s65
	v_add_u32_e32 v42, 2, v81
	v_cndmask_b32_e64 v96, 0, 1, vcc
	s_waitcnt lgkmcnt(0)
	v_cndmask_b32_e32 v39, v39, v34, vcc
	v_mov_b32_e32 v34, s64
	v_cndmask_b32_e32 v38, v38, v34, vcc
	v_cmp_gt_u32_e32 vcc, s70, v42
	v_pk_mov_b32 v[42:43], 0, 0
	s_mov_b64 s[14:15], 0
	v_mov_b32_e32 v99, 0
	v_mov_b32_e32 v112, 0
	v_pk_mov_b32 v[72:73], v[42:43], v[42:43] op_sel:[0,1]
	v_mov_b32_e32 v111, 0
	v_pk_mov_b32 v[70:71], v[42:43], v[42:43] op_sel:[0,1]
	v_mov_b32_e32 v110, 0
	v_pk_mov_b32 v[68:69], v[42:43], v[42:43] op_sel:[0,1]
	v_mov_b32_e32 v109, 0
	v_pk_mov_b32 v[66:67], v[42:43], v[42:43] op_sel:[0,1]
	v_mov_b32_e32 v108, 0
	v_pk_mov_b32 v[64:65], v[42:43], v[42:43] op_sel:[0,1]
	v_mov_b32_e32 v107, 0
	v_pk_mov_b32 v[62:63], v[42:43], v[42:43] op_sel:[0,1]
	v_mov_b32_e32 v106, 0
	v_pk_mov_b32 v[60:61], v[42:43], v[42:43] op_sel:[0,1]
	v_mov_b32_e32 v105, 0
	v_pk_mov_b32 v[58:59], v[42:43], v[42:43] op_sel:[0,1]
	v_mov_b32_e32 v104, 0
	v_pk_mov_b32 v[44:45], v[42:43], v[42:43] op_sel:[0,1]
	v_mov_b32_e32 v103, 0
	v_pk_mov_b32 v[56:57], v[42:43], v[42:43] op_sel:[0,1]
	v_mov_b32_e32 v102, 0
	v_pk_mov_b32 v[52:53], v[42:43], v[42:43] op_sel:[0,1]
	v_mov_b32_e32 v101, 0
	v_pk_mov_b32 v[50:51], v[42:43], v[42:43] op_sel:[0,1]
	v_mov_b32_e32 v100, 0
	v_pk_mov_b32 v[54:55], v[42:43], v[42:43] op_sel:[0,1]
	v_mov_b32_e32 v98, 0
	v_pk_mov_b32 v[48:49], v[42:43], v[42:43] op_sel:[0,1]
	v_mov_b32_e32 v97, 0
	v_pk_mov_b32 v[46:47], v[42:43], v[42:43] op_sel:[0,1]
                                        ; implicit-def: $sgpr16_sgpr17
                                        ; implicit-def: $vgpr76_vgpr77
	s_and_saveexec_b64 s[10:11], vcc
	s_cbranch_execz .LBB410_116
; %bb.83:
	v_cmp_ne_u64_e32 vcc, v[36:37], v[30:31]
	v_mov_b32_e32 v35, s65
	v_add_u32_e32 v34, 3, v81
	v_cndmask_b32_e32 v47, v41, v35, vcc
	v_mov_b32_e32 v35, s64
	v_pk_mov_b32 v[42:43], 0, 0
	v_cndmask_b32_e64 v97, 0, 1, vcc
	v_cndmask_b32_e32 v46, v40, v35, vcc
	v_cmp_gt_u32_e32 vcc, s70, v34
	s_mov_b64 s[16:17], 0
	v_mov_b32_e32 v99, 0
	v_mov_b32_e32 v112, 0
	v_pk_mov_b32 v[72:73], v[42:43], v[42:43] op_sel:[0,1]
	v_mov_b32_e32 v111, 0
	v_pk_mov_b32 v[70:71], v[42:43], v[42:43] op_sel:[0,1]
	;; [unrolled: 2-line block ×14, first 2 shown]
                                        ; implicit-def: $sgpr18_sgpr19
                                        ; implicit-def: $vgpr76_vgpr77
	s_and_saveexec_b64 s[12:13], vcc
	s_cbranch_execz .LBB410_115
; %bb.84:
	ds_read2_b64 v[34:37], v80 offset0:3 offset1:4
	v_cmp_ne_u64_e32 vcc, v[30:31], v[32:33]
	v_mov_b32_e32 v30, s65
	v_add_u32_e32 v40, 4, v81
	v_pk_mov_b32 v[42:43], 0, 0
	s_waitcnt lgkmcnt(0)
	v_cndmask_b32_e32 v49, v35, v30, vcc
	v_mov_b32_e32 v30, s64
	v_cndmask_b32_e64 v98, 0, 1, vcc
	v_cndmask_b32_e32 v48, v34, v30, vcc
	v_cmp_gt_u32_e32 vcc, s70, v40
	s_mov_b64 s[18:19], 0
	v_mov_b32_e32 v99, 0
	v_mov_b32_e32 v112, 0
	v_pk_mov_b32 v[72:73], v[42:43], v[42:43] op_sel:[0,1]
	v_mov_b32_e32 v111, 0
	v_pk_mov_b32 v[70:71], v[42:43], v[42:43] op_sel:[0,1]
	v_mov_b32_e32 v110, 0
	v_pk_mov_b32 v[68:69], v[42:43], v[42:43] op_sel:[0,1]
	v_mov_b32_e32 v109, 0
	v_pk_mov_b32 v[66:67], v[42:43], v[42:43] op_sel:[0,1]
	v_mov_b32_e32 v108, 0
	v_pk_mov_b32 v[64:65], v[42:43], v[42:43] op_sel:[0,1]
	v_mov_b32_e32 v107, 0
	v_pk_mov_b32 v[62:63], v[42:43], v[42:43] op_sel:[0,1]
	v_mov_b32_e32 v106, 0
	v_pk_mov_b32 v[60:61], v[42:43], v[42:43] op_sel:[0,1]
	v_mov_b32_e32 v105, 0
	v_pk_mov_b32 v[58:59], v[42:43], v[42:43] op_sel:[0,1]
	v_mov_b32_e32 v104, 0
	v_pk_mov_b32 v[44:45], v[42:43], v[42:43] op_sel:[0,1]
	v_mov_b32_e32 v103, 0
	v_pk_mov_b32 v[56:57], v[42:43], v[42:43] op_sel:[0,1]
	v_mov_b32_e32 v102, 0
	v_pk_mov_b32 v[52:53], v[42:43], v[42:43] op_sel:[0,1]
	v_mov_b32_e32 v101, 0
	v_pk_mov_b32 v[50:51], v[42:43], v[42:43] op_sel:[0,1]
	v_mov_b32_e32 v100, 0
	v_pk_mov_b32 v[54:55], v[42:43], v[42:43] op_sel:[0,1]
                                        ; implicit-def: $sgpr20_sgpr21
                                        ; implicit-def: $vgpr76_vgpr77
	s_and_saveexec_b64 s[14:15], vcc
	s_cbranch_execz .LBB410_114
; %bb.85:
	v_cmp_ne_u64_e32 vcc, v[32:33], v[26:27]
	v_mov_b32_e32 v31, s65
	v_add_u32_e32 v30, 5, v81
	v_cndmask_b32_e32 v55, v37, v31, vcc
	v_mov_b32_e32 v31, s64
	v_pk_mov_b32 v[42:43], 0, 0
	v_cndmask_b32_e64 v100, 0, 1, vcc
	v_cndmask_b32_e32 v54, v36, v31, vcc
	v_cmp_gt_u32_e32 vcc, s70, v30
	s_mov_b64 s[20:21], 0
	v_mov_b32_e32 v99, 0
	v_mov_b32_e32 v112, 0
	v_pk_mov_b32 v[72:73], v[42:43], v[42:43] op_sel:[0,1]
	v_mov_b32_e32 v111, 0
	v_pk_mov_b32 v[70:71], v[42:43], v[42:43] op_sel:[0,1]
	;; [unrolled: 2-line block ×12, first 2 shown]
                                        ; implicit-def: $sgpr22_sgpr23
                                        ; implicit-def: $vgpr76_vgpr77
	s_and_saveexec_b64 s[16:17], vcc
	s_cbranch_execz .LBB410_113
; %bb.86:
	ds_read2_b64 v[30:33], v80 offset0:5 offset1:6
	v_cmp_ne_u64_e32 vcc, v[26:27], v[28:29]
	v_mov_b32_e32 v26, s65
	v_add_u32_e32 v34, 6, v81
	v_pk_mov_b32 v[42:43], 0, 0
	s_waitcnt lgkmcnt(0)
	v_cndmask_b32_e32 v51, v31, v26, vcc
	v_mov_b32_e32 v26, s64
	v_cndmask_b32_e64 v101, 0, 1, vcc
	v_cndmask_b32_e32 v50, v30, v26, vcc
	v_cmp_gt_u32_e32 vcc, s70, v34
	s_mov_b64 s[22:23], 0
	v_mov_b32_e32 v99, 0
	v_mov_b32_e32 v112, 0
	v_pk_mov_b32 v[72:73], v[42:43], v[42:43] op_sel:[0,1]
	v_mov_b32_e32 v111, 0
	v_pk_mov_b32 v[70:71], v[42:43], v[42:43] op_sel:[0,1]
	;; [unrolled: 2-line block ×11, first 2 shown]
                                        ; implicit-def: $sgpr24_sgpr25
                                        ; implicit-def: $vgpr76_vgpr77
	s_and_saveexec_b64 s[18:19], vcc
	s_cbranch_execz .LBB410_112
; %bb.87:
	v_cmp_ne_u64_e32 vcc, v[28:29], v[22:23]
	v_mov_b32_e32 v27, s65
	v_add_u32_e32 v26, 7, v81
	v_cndmask_b32_e32 v53, v33, v27, vcc
	v_mov_b32_e32 v27, s64
	v_pk_mov_b32 v[42:43], 0, 0
	v_cndmask_b32_e64 v102, 0, 1, vcc
	v_cndmask_b32_e32 v52, v32, v27, vcc
	v_cmp_gt_u32_e32 vcc, s70, v26
	s_mov_b64 s[24:25], 0
	v_mov_b32_e32 v99, 0
	v_mov_b32_e32 v112, 0
	v_pk_mov_b32 v[72:73], v[42:43], v[42:43] op_sel:[0,1]
	v_mov_b32_e32 v111, 0
	v_pk_mov_b32 v[70:71], v[42:43], v[42:43] op_sel:[0,1]
	;; [unrolled: 2-line block ×10, first 2 shown]
                                        ; implicit-def: $sgpr26_sgpr27
                                        ; implicit-def: $vgpr76_vgpr77
	s_and_saveexec_b64 s[20:21], vcc
	s_cbranch_execz .LBB410_111
; %bb.88:
	ds_read2_b64 v[26:29], v80 offset0:7 offset1:8
	v_cmp_ne_u64_e32 vcc, v[22:23], v[24:25]
	v_mov_b32_e32 v22, s65
	v_add_u32_e32 v30, 8, v81
	v_pk_mov_b32 v[42:43], 0, 0
	s_waitcnt lgkmcnt(0)
	v_cndmask_b32_e32 v57, v27, v22, vcc
	v_mov_b32_e32 v22, s64
	v_cndmask_b32_e64 v103, 0, 1, vcc
	v_cndmask_b32_e32 v56, v26, v22, vcc
	v_cmp_gt_u32_e32 vcc, s70, v30
	s_mov_b64 s[26:27], 0
	v_mov_b32_e32 v99, 0
	v_mov_b32_e32 v112, 0
	v_pk_mov_b32 v[72:73], v[42:43], v[42:43] op_sel:[0,1]
	v_mov_b32_e32 v111, 0
	v_pk_mov_b32 v[70:71], v[42:43], v[42:43] op_sel:[0,1]
	;; [unrolled: 2-line block ×9, first 2 shown]
                                        ; implicit-def: $sgpr28_sgpr29
                                        ; implicit-def: $vgpr76_vgpr77
	s_and_saveexec_b64 s[22:23], vcc
	s_cbranch_execz .LBB410_110
; %bb.89:
	v_cmp_ne_u64_e32 vcc, v[24:25], v[18:19]
	v_mov_b32_e32 v23, s65
	v_add_u32_e32 v22, 9, v81
	v_cndmask_b32_e32 v45, v29, v23, vcc
	v_mov_b32_e32 v23, s64
	v_pk_mov_b32 v[42:43], 0, 0
	v_cndmask_b32_e64 v104, 0, 1, vcc
	v_cndmask_b32_e32 v44, v28, v23, vcc
	v_cmp_gt_u32_e32 vcc, s70, v22
	s_mov_b64 s[28:29], 0
	v_mov_b32_e32 v99, 0
	v_mov_b32_e32 v112, 0
	v_pk_mov_b32 v[72:73], v[42:43], v[42:43] op_sel:[0,1]
	v_mov_b32_e32 v111, 0
	v_pk_mov_b32 v[70:71], v[42:43], v[42:43] op_sel:[0,1]
	;; [unrolled: 2-line block ×8, first 2 shown]
                                        ; implicit-def: $sgpr30_sgpr31
                                        ; implicit-def: $vgpr76_vgpr77
	s_and_saveexec_b64 s[24:25], vcc
	s_cbranch_execz .LBB410_109
; %bb.90:
	ds_read2_b64 v[22:25], v80 offset0:9 offset1:10
	v_cmp_ne_u64_e32 vcc, v[18:19], v[20:21]
	v_mov_b32_e32 v18, s65
	v_add_u32_e32 v26, 10, v81
	v_pk_mov_b32 v[42:43], 0, 0
	s_waitcnt lgkmcnt(0)
	v_cndmask_b32_e32 v59, v23, v18, vcc
	v_mov_b32_e32 v18, s64
	v_cndmask_b32_e64 v105, 0, 1, vcc
	v_cndmask_b32_e32 v58, v22, v18, vcc
	v_cmp_gt_u32_e32 vcc, s70, v26
	s_mov_b64 s[30:31], 0
	v_mov_b32_e32 v99, 0
	v_mov_b32_e32 v112, 0
	v_pk_mov_b32 v[72:73], v[42:43], v[42:43] op_sel:[0,1]
	v_mov_b32_e32 v111, 0
	v_pk_mov_b32 v[70:71], v[42:43], v[42:43] op_sel:[0,1]
	;; [unrolled: 2-line block ×7, first 2 shown]
                                        ; implicit-def: $sgpr34_sgpr35
                                        ; implicit-def: $vgpr76_vgpr77
	s_and_saveexec_b64 s[26:27], vcc
	s_cbranch_execz .LBB410_108
; %bb.91:
	v_cmp_ne_u64_e32 vcc, v[20:21], v[14:15]
	v_mov_b32_e32 v19, s65
	v_add_u32_e32 v18, 11, v81
	v_cndmask_b32_e32 v61, v25, v19, vcc
	v_mov_b32_e32 v19, s64
	v_pk_mov_b32 v[42:43], 0, 0
	v_cndmask_b32_e64 v106, 0, 1, vcc
	v_cndmask_b32_e32 v60, v24, v19, vcc
	v_cmp_gt_u32_e32 vcc, s70, v18
	s_mov_b64 s[34:35], 0
	v_mov_b32_e32 v99, 0
	v_mov_b32_e32 v112, 0
	v_pk_mov_b32 v[72:73], v[42:43], v[42:43] op_sel:[0,1]
	v_mov_b32_e32 v111, 0
	v_pk_mov_b32 v[70:71], v[42:43], v[42:43] op_sel:[0,1]
	;; [unrolled: 2-line block ×6, first 2 shown]
                                        ; implicit-def: $sgpr36_sgpr37
                                        ; implicit-def: $vgpr76_vgpr77
	s_and_saveexec_b64 s[28:29], vcc
	s_cbranch_execz .LBB410_107
; %bb.92:
	ds_read2_b64 v[18:21], v80 offset0:11 offset1:12
	v_cmp_ne_u64_e32 vcc, v[14:15], v[16:17]
	v_mov_b32_e32 v14, s65
	v_add_u32_e32 v22, 12, v81
	v_pk_mov_b32 v[42:43], 0, 0
	s_waitcnt lgkmcnt(0)
	v_cndmask_b32_e32 v63, v19, v14, vcc
	v_mov_b32_e32 v14, s64
	v_cndmask_b32_e64 v107, 0, 1, vcc
	v_cndmask_b32_e32 v62, v18, v14, vcc
	v_cmp_gt_u32_e32 vcc, s70, v22
	s_mov_b64 s[36:37], 0
	v_mov_b32_e32 v99, 0
	v_mov_b32_e32 v112, 0
	v_pk_mov_b32 v[72:73], v[42:43], v[42:43] op_sel:[0,1]
	v_mov_b32_e32 v111, 0
	v_pk_mov_b32 v[70:71], v[42:43], v[42:43] op_sel:[0,1]
	;; [unrolled: 2-line block ×5, first 2 shown]
                                        ; implicit-def: $sgpr38_sgpr39
                                        ; implicit-def: $vgpr76_vgpr77
	s_and_saveexec_b64 s[30:31], vcc
	s_cbranch_execz .LBB410_106
; %bb.93:
	v_cmp_ne_u64_e32 vcc, v[16:17], v[10:11]
	v_mov_b32_e32 v15, s65
	v_add_u32_e32 v14, 13, v81
	v_cndmask_b32_e32 v65, v21, v15, vcc
	v_mov_b32_e32 v15, s64
	v_pk_mov_b32 v[42:43], 0, 0
	v_cndmask_b32_e64 v108, 0, 1, vcc
	v_cndmask_b32_e32 v64, v20, v15, vcc
	v_cmp_gt_u32_e32 vcc, s70, v14
	s_mov_b64 s[38:39], 0
	v_mov_b32_e32 v99, 0
	v_mov_b32_e32 v112, 0
	v_pk_mov_b32 v[72:73], v[42:43], v[42:43] op_sel:[0,1]
	v_mov_b32_e32 v111, 0
	v_pk_mov_b32 v[70:71], v[42:43], v[42:43] op_sel:[0,1]
	v_mov_b32_e32 v110, 0
	v_pk_mov_b32 v[68:69], v[42:43], v[42:43] op_sel:[0,1]
	v_mov_b32_e32 v109, 0
	v_pk_mov_b32 v[66:67], v[42:43], v[42:43] op_sel:[0,1]
                                        ; implicit-def: $sgpr40_sgpr41
                                        ; implicit-def: $vgpr76_vgpr77
	s_and_saveexec_b64 s[34:35], vcc
	s_cbranch_execz .LBB410_105
; %bb.94:
	ds_read2_b64 v[14:17], v80 offset0:13 offset1:14
	v_cmp_ne_u64_e32 vcc, v[10:11], v[12:13]
	v_mov_b32_e32 v10, s65
	v_add_u32_e32 v18, 14, v81
	v_pk_mov_b32 v[42:43], 0, 0
	s_waitcnt lgkmcnt(0)
	v_cndmask_b32_e32 v67, v15, v10, vcc
	v_mov_b32_e32 v10, s64
	v_cndmask_b32_e64 v109, 0, 1, vcc
	v_cndmask_b32_e32 v66, v14, v10, vcc
	v_cmp_gt_u32_e32 vcc, s70, v18
	s_mov_b64 s[40:41], 0
	v_mov_b32_e32 v99, 0
	v_mov_b32_e32 v112, 0
	v_pk_mov_b32 v[72:73], v[42:43], v[42:43] op_sel:[0,1]
	v_mov_b32_e32 v111, 0
	v_pk_mov_b32 v[70:71], v[42:43], v[42:43] op_sel:[0,1]
	;; [unrolled: 2-line block ×3, first 2 shown]
                                        ; implicit-def: $sgpr42_sgpr43
                                        ; implicit-def: $vgpr76_vgpr77
	s_and_saveexec_b64 s[36:37], vcc
	s_cbranch_execz .LBB410_104
; %bb.95:
	v_cmp_ne_u64_e32 vcc, v[12:13], v[6:7]
	v_mov_b32_e32 v11, s65
	v_add_u32_e32 v10, 15, v81
	v_cndmask_b32_e32 v69, v17, v11, vcc
	v_mov_b32_e32 v11, s64
	v_pk_mov_b32 v[42:43], 0, 0
	v_cndmask_b32_e64 v110, 0, 1, vcc
	v_cndmask_b32_e32 v68, v16, v11, vcc
	v_cmp_gt_u32_e32 vcc, s70, v10
	s_mov_b64 s[42:43], 0
	v_mov_b32_e32 v99, 0
	v_mov_b32_e32 v112, 0
	v_pk_mov_b32 v[72:73], v[42:43], v[42:43] op_sel:[0,1]
	v_mov_b32_e32 v111, 0
	v_pk_mov_b32 v[70:71], v[42:43], v[42:43] op_sel:[0,1]
                                        ; implicit-def: $sgpr60_sgpr61
                                        ; implicit-def: $vgpr76_vgpr77
	s_and_saveexec_b64 s[38:39], vcc
	s_cbranch_execz .LBB410_103
; %bb.96:
	ds_read2_b64 v[10:13], v80 offset0:15 offset1:16
	v_cmp_ne_u64_e32 vcc, v[6:7], v[8:9]
	v_mov_b32_e32 v6, s65
	v_add_u32_e32 v14, 16, v81
	v_pk_mov_b32 v[42:43], 0, 0
	s_waitcnt lgkmcnt(0)
	v_cndmask_b32_e32 v71, v11, v6, vcc
	v_mov_b32_e32 v6, s64
	v_cndmask_b32_e64 v111, 0, 1, vcc
	v_cndmask_b32_e32 v70, v10, v6, vcc
	v_cmp_gt_u32_e32 vcc, s70, v14
	s_mov_b64 s[60:61], 0
	v_mov_b32_e32 v99, 0
	v_mov_b32_e32 v112, 0
	v_pk_mov_b32 v[72:73], v[42:43], v[42:43] op_sel:[0,1]
                                        ; implicit-def: $sgpr68_sgpr69
                                        ; implicit-def: $vgpr76_vgpr77
	s_and_saveexec_b64 s[40:41], vcc
	s_cbranch_execz .LBB410_102
; %bb.97:
	v_cmp_ne_u64_e32 vcc, v[8:9], v[2:3]
	v_mov_b32_e32 v7, s65
	v_add_u32_e32 v6, 17, v81
	v_cndmask_b32_e32 v73, v13, v7, vcc
	v_mov_b32_e32 v7, s64
	v_cndmask_b32_e64 v112, 0, 1, vcc
	v_cndmask_b32_e32 v72, v12, v7, vcc
	v_cmp_gt_u32_e32 vcc, s70, v6
	v_mov_b32_e32 v99, 0
	v_pk_mov_b32 v[42:43], 0, 0
                                        ; implicit-def: $sgpr68_sgpr69
                                        ; implicit-def: $vgpr76_vgpr77
	s_and_saveexec_b64 s[42:43], vcc
	s_cbranch_execz .LBB410_101
; %bb.98:
	ds_read2_b64 v[6:9], v80 offset0:17 offset1:18
	v_cmp_ne_u64_e32 vcc, v[2:3], v[4:5]
	v_mov_b32_e32 v2, s65
	v_add_u32_e32 v10, 18, v81
	v_cndmask_b32_e64 v99, 0, 1, vcc
	s_waitcnt lgkmcnt(0)
	v_cndmask_b32_e32 v43, v7, v2, vcc
	v_mov_b32_e32 v2, s64
	v_cndmask_b32_e32 v42, v6, v2, vcc
	v_cmp_gt_u32_e32 vcc, s70, v10
                                        ; implicit-def: $sgpr68_sgpr69
                                        ; implicit-def: $vgpr76_vgpr77
	s_and_saveexec_b64 s[70:71], vcc
	s_xor_b64 s[70:71], exec, s[70:71]
; %bb.99:
	v_mov_b32_e32 v2, s65
	v_cmp_ne_u64_e32 vcc, v[4:5], v[78:79]
	v_cndmask_b32_e32 v77, v9, v2, vcc
	v_mov_b32_e32 v2, s64
	s_mov_b64 s[60:61], exec
	v_cndmask_b32_e32 v76, v8, v2, vcc
	s_and_b64 s[68:69], vcc, exec
; %bb.100:
	s_or_b64 exec, exec, s[70:71]
	s_and_b64 s[68:69], s[68:69], exec
	s_and_b64 s[60:61], s[60:61], exec
.LBB410_101:
	s_or_b64 exec, exec, s[42:43]
	s_and_b64 s[68:69], s[68:69], exec
	s_and_b64 s[42:43], s[60:61], exec
.LBB410_102:
	s_or_b64 exec, exec, s[40:41]
	s_and_b64 s[60:61], s[68:69], exec
	s_and_b64 s[40:41], s[42:43], exec
.LBB410_103:
	s_or_b64 exec, exec, s[38:39]
	s_and_b64 s[42:43], s[60:61], exec
	s_and_b64 s[38:39], s[40:41], exec
.LBB410_104:
	s_or_b64 exec, exec, s[36:37]
	s_and_b64 s[40:41], s[42:43], exec
	s_and_b64 s[36:37], s[38:39], exec
.LBB410_105:
	s_or_b64 exec, exec, s[34:35]
	s_and_b64 s[38:39], s[40:41], exec
	s_and_b64 s[34:35], s[36:37], exec
.LBB410_106:
	s_or_b64 exec, exec, s[30:31]
	s_and_b64 s[36:37], s[38:39], exec
	s_and_b64 s[30:31], s[34:35], exec
.LBB410_107:
	s_or_b64 exec, exec, s[28:29]
	s_and_b64 s[34:35], s[36:37], exec
	s_and_b64 s[28:29], s[30:31], exec
.LBB410_108:
	s_or_b64 exec, exec, s[26:27]
	s_and_b64 s[30:31], s[34:35], exec
	s_and_b64 s[26:27], s[28:29], exec
.LBB410_109:
	s_or_b64 exec, exec, s[24:25]
	s_and_b64 s[28:29], s[30:31], exec
	s_and_b64 s[24:25], s[26:27], exec
.LBB410_110:
	s_or_b64 exec, exec, s[22:23]
	s_and_b64 s[26:27], s[28:29], exec
	s_and_b64 s[22:23], s[24:25], exec
.LBB410_111:
	s_or_b64 exec, exec, s[20:21]
	s_and_b64 s[24:25], s[26:27], exec
	s_and_b64 s[20:21], s[22:23], exec
.LBB410_112:
	s_or_b64 exec, exec, s[18:19]
	s_and_b64 s[22:23], s[24:25], exec
	s_and_b64 s[18:19], s[20:21], exec
.LBB410_113:
	s_or_b64 exec, exec, s[16:17]
	s_and_b64 s[20:21], s[22:23], exec
	s_and_b64 s[16:17], s[18:19], exec
.LBB410_114:
	s_or_b64 exec, exec, s[14:15]
	s_and_b64 s[18:19], s[20:21], exec
	s_and_b64 s[14:15], s[16:17], exec
.LBB410_115:
	s_or_b64 exec, exec, s[12:13]
	s_and_b64 s[16:17], s[18:19], exec
	s_and_b64 s[12:13], s[14:15], exec
.LBB410_116:
	s_or_b64 exec, exec, s[10:11]
	s_and_b64 s[14:15], s[16:17], exec
	s_and_b64 s[10:11], s[12:13], exec
.LBB410_117:
	s_or_b64 exec, exec, s[8:9]
	s_and_b64 s[8:9], s[14:15], exec
	s_and_b64 s[10:11], s[10:11], exec
.LBB410_118:
	s_or_b64 exec, exec, s[4:5]
	s_mov_b64 s[4:5], 0
	s_and_b64 vcc, exec, s[2:3]
	v_lshlrev_b32_e32 v113, 3, v0
	s_cbranch_vccz .LBB410_124
.LBB410_119:
	v_mov_b32_e32 v1, s57
	v_add_co_u32_e32 v2, vcc, s56, v113
	v_addc_co_u32_e32 v3, vcc, 0, v1, vcc
	v_add_co_u32_e32 v20, vcc, 0x1000, v2
	v_addc_co_u32_e32 v21, vcc, 0, v3, vcc
	flat_load_dwordx2 v[4:5], v[2:3]
	flat_load_dwordx2 v[6:7], v[2:3] offset:512
	flat_load_dwordx2 v[8:9], v[2:3] offset:1024
	flat_load_dwordx2 v[10:11], v[2:3] offset:1536
	flat_load_dwordx2 v[12:13], v[2:3] offset:2048
	flat_load_dwordx2 v[14:15], v[2:3] offset:2560
	flat_load_dwordx2 v[16:17], v[2:3] offset:3072
	flat_load_dwordx2 v[18:19], v[2:3] offset:3584
	v_add_co_u32_e32 v2, vcc, 0x2000, v2
	v_addc_co_u32_e32 v3, vcc, 0, v3, vcc
	flat_load_dwordx2 v[22:23], v[20:21]
	flat_load_dwordx2 v[24:25], v[20:21] offset:512
	flat_load_dwordx2 v[26:27], v[20:21] offset:1024
	;; [unrolled: 1-line block ×7, first 2 shown]
	s_nop 0
	flat_load_dwordx2 v[20:21], v[2:3]
	flat_load_dwordx2 v[38:39], v[2:3] offset:512
	flat_load_dwordx2 v[40:41], v[2:3] offset:1024
	v_mov_b32_e32 v1, s56
	v_mov_b32_e32 v3, s57
	v_add_co_u32_e32 v2, vcc, 0x2000, v1
	v_addc_co_u32_e32 v3, vcc, 0, v3, vcc
	s_movk_i32 s2, 0x90
	v_mad_u32_u24 v1, v0, s2, v113
	s_movk_i32 s2, 0xff70
	s_movk_i32 s5, 0x1000
	;; [unrolled: 1-line block ×3, first 2 shown]
	v_cmp_ne_u32_e32 vcc, 63, v0
	s_waitcnt vmcnt(0) lgkmcnt(0)
	ds_write2st64_b64 v113, v[4:5], v[6:7] offset1:1
	ds_write2st64_b64 v113, v[8:9], v[10:11] offset0:2 offset1:3
	ds_write2st64_b64 v113, v[12:13], v[14:15] offset0:4 offset1:5
	;; [unrolled: 1-line block ×8, first 2 shown]
	ds_write_b64 v113, v[40:41] offset:9216
	s_waitcnt lgkmcnt(0)
	; wave barrier
	s_waitcnt lgkmcnt(0)
	flat_load_dwordx2 v[76:77], v[2:3] offset:1536
	v_mad_i32_i24 v6, v0, s2, v1
	ds_read_b64 v[74:75], v1
	ds_read2_b64 v[70:73], v1 offset0:1 offset1:2
	ds_read2_b64 v[62:65], v1 offset0:3 offset1:4
	;; [unrolled: 1-line block ×9, first 2 shown]
	s_waitcnt lgkmcnt(0)
	ds_write_b64 v6, v[74:75] offset:10240
	s_waitcnt lgkmcnt(0)
	; wave barrier
	s_waitcnt lgkmcnt(0)
	s_and_saveexec_b64 s[2:3], vcc
	s_cbranch_execz .LBB410_121
; %bb.120:
	s_waitcnt vmcnt(0)
	ds_read_b64 v[76:77], v113 offset:10248
.LBB410_121:
	s_or_b64 exec, exec, s[2:3]
	v_mov_b32_e32 v7, s51
	v_add_co_u32_e32 v6, vcc, s7, v113
	v_addc_co_u32_e32 v7, vcc, 0, v7, vcc
	v_add_co_u32_e32 v36, vcc, s5, v6
	v_addc_co_u32_e32 v37, vcc, 0, v7, vcc
	s_waitcnt lgkmcnt(0)
	; wave barrier
	s_waitcnt lgkmcnt(0)
	flat_load_dwordx2 v[8:9], v[6:7]
	flat_load_dwordx2 v[14:15], v[6:7] offset:512
	flat_load_dwordx2 v[16:17], v[6:7] offset:1024
	;; [unrolled: 1-line block ×7, first 2 shown]
	v_add_co_u32_e32 v6, vcc, s4, v6
	v_addc_co_u32_e32 v7, vcc, 0, v7, vcc
	flat_load_dwordx2 v[42:43], v[36:37]
	flat_load_dwordx2 v[44:45], v[36:37] offset:512
	flat_load_dwordx2 v[50:51], v[36:37] offset:1024
	;; [unrolled: 1-line block ×7, first 2 shown]
	s_nop 0
	flat_load_dwordx2 v[36:37], v[6:7]
	flat_load_dwordx2 v[78:79], v[6:7] offset:512
	flat_load_dwordx2 v[80:81], v[6:7] offset:1024
	v_cmp_ne_u64_e32 vcc, v[74:75], v[70:71]
	v_cmp_eq_u64_e64 s[2:3], v[74:75], v[70:71]
	v_pk_mov_b32 v[74:75], s[64:65], s[64:65] op_sel:[0,1]
	s_waitcnt vmcnt(0) lgkmcnt(0)
	ds_write2st64_b64 v113, v[8:9], v[14:15] offset1:1
	ds_write2st64_b64 v113, v[16:17], v[22:23] offset0:2 offset1:3
	ds_write2st64_b64 v113, v[24:25], v[30:31] offset0:4 offset1:5
	;; [unrolled: 1-line block ×8, first 2 shown]
	ds_write_b64 v113, v[80:81] offset:9216
	s_waitcnt lgkmcnt(0)
	; wave barrier
	s_waitcnt lgkmcnt(0)
	ds_read2_b64 v[66:69], v1 offset0:1 offset1:2
	ds_read2_b64 v[58:61], v1 offset0:3 offset1:4
	;; [unrolled: 1-line block ×9, first 2 shown]
	s_and_saveexec_b64 s[4:5], s[2:3]
	s_cbranch_execz .LBB410_123
; %bb.122:
	ds_read_b64 v[74:75], v1
.LBB410_123:
	s_or_b64 exec, exec, s[4:5]
	v_cmp_ne_u64_e64 s[8:9], v[64:65], v[54:55]
	v_cmp_ne_u64_e64 s[34:35], v[12:13], v[2:3]
	v_cmp_ne_u64_e64 s[36:37], v[2:3], v[4:5]
	v_mov_b32_e32 v2, s65
	v_mov_b32_e32 v3, s64
	v_cndmask_b32_e64 v1, 0, 1, vcc
	v_cmp_ne_u64_e32 vcc, v[70:71], v[72:73]
	v_cmp_ne_u64_e64 s[2:3], v[72:73], v[62:63]
	v_cmp_ne_u64_e64 s[4:5], v[62:63], v[64:65]
	v_cndmask_b32_e64 v100, 0, 1, s[8:9]
	v_cmp_ne_u64_e64 s[10:11], v[54:55], v[56:57]
	v_cmp_ne_u64_e64 s[12:13], v[56:57], v[46:47]
	;; [unrolled: 1-line block ×11, first 2 shown]
	s_waitcnt lgkmcnt(7)
	v_cndmask_b32_e64 v55, v61, v2, s[8:9]
	v_cndmask_b32_e64 v54, v60, v3, s[8:9]
	v_cmp_ne_u64_e64 s[8:9], v[4:5], v[76:77]
	v_cndmask_b32_e64 v96, 0, 1, vcc
	v_cndmask_b32_e64 v97, 0, 1, s[2:3]
	v_cndmask_b32_e64 v98, 0, 1, s[4:5]
	;; [unrolled: 1-line block ×15, first 2 shown]
	v_cndmask_b32_e32 v39, v67, v2, vcc
	v_cndmask_b32_e32 v38, v66, v3, vcc
	v_cndmask_b32_e64 v47, v69, v2, s[2:3]
	v_cndmask_b32_e64 v46, v68, v3, s[2:3]
	v_cndmask_b32_e64 v49, v59, v2, s[4:5]
	v_cndmask_b32_e64 v48, v58, v3, s[4:5]
	s_waitcnt lgkmcnt(6)
	v_cndmask_b32_e64 v51, v51, v2, s[10:11]
	v_cndmask_b32_e64 v50, v50, v3, s[10:11]
	v_cndmask_b32_e64 v53, v53, v2, s[12:13]
	v_cndmask_b32_e64 v52, v52, v3, s[12:13]
	s_waitcnt lgkmcnt(5)
	;; [unrolled: 5-line block ×7, first 2 shown]
	v_cndmask_b32_e64 v43, v7, v2, s[36:37]
	v_cndmask_b32_e64 v42, v6, v3, s[36:37]
	;; [unrolled: 1-line block ×4, first 2 shown]
	s_mov_b64 s[10:11], -1
                                        ; implicit-def: $sgpr72
                                        ; implicit-def: $sgpr4_sgpr5
.LBB410_124:
	v_pk_mov_b32 v[40:41], s[4:5], s[4:5] op_sel:[0,1]
	v_mov_b32_e32 v114, s72
	s_and_saveexec_b64 s[2:3], s[10:11]
; %bb.125:
	v_cndmask_b32_e64 v114, 0, 1, s[8:9]
	v_pk_mov_b32 v[40:41], v[76:77], v[76:77] op_sel:[0,1]
; %bb.126:
	s_or_b64 exec, exec, s[2:3]
	v_or_b32_e32 v2, v114, v99
	s_cmp_lg_u32 s6, 0
	v_or_b32_e32 v116, v2, v112
	v_mbcnt_lo_u32_b32 v115, -1, 0
	s_waitcnt lgkmcnt(0)
	; wave barrier
	s_waitcnt lgkmcnt(0)
	s_cbranch_scc0 .LBB410_191
; %bb.127:
	v_mov_b32_e32 v4, 0
	v_cmp_eq_u16_sdwa s[36:37], v96, v4 src0_sel:BYTE_0 src1_sel:DWORD
	v_cndmask_b32_e64 v2, 1, v74, s[36:37]
	v_cndmask_b32_e64 v3, 0, v75, s[36:37]
	v_mul_lo_u32 v5, v3, v38
	v_mul_lo_u32 v6, v2, v39
	v_mad_u64_u32 v[2:3], s[2:3], v2, v38, 0
	v_add3_u32 v3, v3, v6, v5
	v_cmp_eq_u16_sdwa s[34:35], v97, v4 src0_sel:BYTE_0 src1_sel:DWORD
	v_cndmask_b32_e64 v3, 0, v3, s[34:35]
	v_cndmask_b32_e64 v2, 1, v2, s[34:35]
	v_mul_lo_u32 v5, v3, v46
	v_mul_lo_u32 v6, v2, v47
	v_mad_u64_u32 v[2:3], s[2:3], v2, v46, 0
	v_add3_u32 v3, v3, v6, v5
	;; [unrolled: 7-line block ×17, first 2 shown]
	v_cmp_eq_u16_sdwa vcc, v114, v4 src0_sel:BYTE_0 src1_sel:DWORD
	v_cndmask_b32_e32 v3, 0, v3, vcc
	v_cndmask_b32_e32 v2, 1, v2, vcc
	v_mul_lo_u32 v4, v3, v40
	v_mul_lo_u32 v5, v2, v41
	v_mad_u64_u32 v[2:3], s[38:39], v2, v40, 0
	v_add3_u32 v3, v3, v5, v4
	v_or_b32_e32 v4, v116, v111
	v_or_b32_e32 v4, v4, v110
	;; [unrolled: 1-line block ×16, first 2 shown]
	v_mbcnt_hi_u32_b32 v12, -1, v115
	v_and_b32_e32 v6, 1, v4
	v_and_b32_e32 v7, 15, v12
	v_cmp_eq_u32_e32 vcc, 1, v6
	v_mov_b32_dpp v10, v2 row_shr:1 row_mask:0xf bank_mask:0xf
	v_mov_b32_dpp v11, v3 row_shr:1 row_mask:0xf bank_mask:0xf
	v_mov_b32_dpp v9, v6 row_shr:1 row_mask:0xf bank_mask:0xf
	v_cmp_ne_u32_e64 s[38:39], 0, v7
	v_pk_mov_b32 v[4:5], v[2:3], v[2:3] op_sel:[0,1]
	v_mov_b32_e32 v8, v6
	s_and_saveexec_b64 s[42:43], s[38:39]
; %bb.128:
	v_cndmask_b32_e64 v4, v11, 0, vcc
	v_cndmask_b32_e64 v5, v10, 1, vcc
	v_mul_lo_u32 v4, v4, v2
	v_mul_lo_u32 v8, v5, v3
	v_mad_u64_u32 v[2:3], s[38:39], v5, v2, 0
	v_add3_u32 v3, v3, v8, v4
	v_and_b32_e32 v4, 1, v9
	v_or_b32_e32 v6, v4, v6
	v_and_b32_e32 v8, 0xffff, v6
	v_pk_mov_b32 v[4:5], v[2:3], v[2:3] op_sel:[0,1]
; %bb.129:
	s_or_b64 exec, exec, s[42:43]
	v_mov_b32_dpp v10, v2 row_shr:2 row_mask:0xf bank_mask:0xf
	v_mov_b32_dpp v11, v3 row_shr:2 row_mask:0xf bank_mask:0xf
	v_mov_b32_dpp v9, v8 row_shr:2 row_mask:0xf bank_mask:0xf
	v_cmp_lt_u32_e32 vcc, 1, v7
	s_and_saveexec_b64 s[42:43], vcc
	s_cbranch_execz .LBB410_131
; %bb.130:
	v_cmp_eq_u16_e32 vcc, 0, v6
	v_cndmask_b32_e32 v2, 1, v10, vcc
	v_cndmask_b32_e32 v8, 0, v11, vcc
	v_mul_lo_u32 v5, v2, v5
	v_mad_u64_u32 v[2:3], s[38:39], v2, v4, 0
	v_mul_lo_u32 v4, v8, v4
	v_add3_u32 v3, v3, v5, v4
	v_and_b32_e32 v4, 1, v6
	v_cmp_eq_u32_e32 vcc, 1, v4
	v_and_b32_e32 v4, 1, v9
	v_cmp_eq_u32_e64 s[38:39], 1, v4
	s_or_b64 s[38:39], vcc, s[38:39]
	v_cndmask_b32_e64 v6, 0, 1, s[38:39]
	v_cndmask_b32_e64 v8, 0, 1, s[38:39]
	v_pk_mov_b32 v[4:5], v[2:3], v[2:3] op_sel:[0,1]
.LBB410_131:
	s_or_b64 exec, exec, s[42:43]
	v_mov_b32_dpp v10, v2 row_shr:4 row_mask:0xf bank_mask:0xf
	v_mov_b32_dpp v11, v3 row_shr:4 row_mask:0xf bank_mask:0xf
	v_mov_b32_dpp v9, v8 row_shr:4 row_mask:0xf bank_mask:0xf
	v_cmp_lt_u32_e32 vcc, 3, v7
	s_and_saveexec_b64 s[42:43], vcc
	s_cbranch_execz .LBB410_133
; %bb.132:
	v_cmp_eq_u16_e32 vcc, 0, v6
	v_cndmask_b32_e32 v2, 1, v10, vcc
	v_cndmask_b32_e32 v8, 0, v11, vcc
	v_mul_lo_u32 v5, v2, v5
	v_mad_u64_u32 v[2:3], s[38:39], v2, v4, 0
	v_mul_lo_u32 v4, v8, v4
	v_add3_u32 v3, v3, v5, v4
	v_and_b32_e32 v4, 1, v6
	v_cmp_eq_u32_e32 vcc, 1, v4
	v_and_b32_e32 v4, 1, v9
	v_cmp_eq_u32_e64 s[38:39], 1, v4
	s_or_b64 s[38:39], vcc, s[38:39]
	v_cndmask_b32_e64 v6, 0, 1, s[38:39]
	v_cndmask_b32_e64 v8, 0, 1, s[38:39]
	v_pk_mov_b32 v[4:5], v[2:3], v[2:3] op_sel:[0,1]
.LBB410_133:
	;; [unrolled: 24-line block ×3, first 2 shown]
	s_or_b64 exec, exec, s[42:43]
	v_and_b32_e32 v11, 16, v12
	v_mov_b32_dpp v9, v2 row_bcast:15 row_mask:0xf bank_mask:0xf
	v_mov_b32_dpp v10, v3 row_bcast:15 row_mask:0xf bank_mask:0xf
	;; [unrolled: 1-line block ×3, first 2 shown]
	v_cmp_ne_u32_e32 vcc, 0, v11
	s_and_saveexec_b64 s[42:43], vcc
	s_cbranch_execz .LBB410_137
; %bb.136:
	v_cmp_eq_u16_e32 vcc, 0, v6
	v_cndmask_b32_e32 v2, 1, v9, vcc
	v_cndmask_b32_e32 v8, 0, v10, vcc
	v_mul_lo_u32 v5, v2, v5
	v_mad_u64_u32 v[2:3], s[38:39], v2, v4, 0
	v_mul_lo_u32 v4, v8, v4
	v_add3_u32 v3, v3, v5, v4
	v_and_b32_e32 v4, 1, v6
	v_cmp_eq_u32_e32 vcc, 1, v4
	v_and_b32_e32 v4, 1, v7
	v_cmp_eq_u32_e64 s[38:39], 1, v4
	s_or_b64 s[38:39], vcc, s[38:39]
	v_cndmask_b32_e64 v6, 0, 1, s[38:39]
	v_cndmask_b32_e64 v8, 0, 1, s[38:39]
	v_pk_mov_b32 v[4:5], v[2:3], v[2:3] op_sel:[0,1]
.LBB410_137:
	s_or_b64 exec, exec, s[42:43]
	v_mov_b32_dpp v9, v2 row_bcast:31 row_mask:0xf bank_mask:0xf
	v_mov_b32_dpp v10, v3 row_bcast:31 row_mask:0xf bank_mask:0xf
	;; [unrolled: 1-line block ×3, first 2 shown]
	v_cmp_lt_u32_e32 vcc, 31, v12
	s_and_saveexec_b64 s[42:43], vcc
	s_cbranch_execz .LBB410_139
; %bb.138:
	v_cmp_eq_u16_e32 vcc, 0, v6
	v_cndmask_b32_e32 v2, 1, v9, vcc
	v_cndmask_b32_e32 v8, 0, v10, vcc
	v_mul_lo_u32 v5, v2, v5
	v_mad_u64_u32 v[2:3], s[38:39], v2, v4, 0
	v_mul_lo_u32 v4, v8, v4
	v_add3_u32 v3, v3, v5, v4
	v_and_b32_e32 v4, 1, v6
	v_cmp_eq_u32_e32 vcc, 1, v4
	v_and_b32_e32 v4, 1, v7
	v_cmp_eq_u32_e64 s[38:39], 1, v4
	s_or_b64 s[38:39], vcc, s[38:39]
	v_cndmask_b32_e64 v6, 0, 1, s[38:39]
	v_pk_mov_b32 v[4:5], v[2:3], v[2:3] op_sel:[0,1]
.LBB410_139:
	s_or_b64 exec, exec, s[42:43]
	v_cmp_eq_u32_e32 vcc, 63, v0
	s_and_saveexec_b64 s[38:39], vcc
	s_cbranch_execz .LBB410_141
; %bb.140:
	v_mov_b32_e32 v7, 0
	ds_write_b64 v7, v[4:5]
	ds_write_b8 v7, v6 offset:8
.LBB410_141:
	s_or_b64 exec, exec, s[38:39]
	v_add_u32_e32 v4, -1, v12
	v_and_b32_e32 v5, 64, v12
	v_cmp_lt_i32_e32 vcc, v4, v5
	v_cndmask_b32_e32 v4, v4, v12, vcc
	v_lshlrev_b32_e32 v4, 2, v4
	ds_bpermute_b32 v14, v4, v2
	v_and_b32_e32 v2, 0xffff, v6
	ds_bpermute_b32 v15, v4, v3
	ds_bpermute_b32 v16, v4, v2
	v_cmp_gt_u32_e32 vcc, 64, v0
	s_waitcnt lgkmcnt(0)
	; wave barrier
	s_waitcnt lgkmcnt(0)
	s_and_saveexec_b64 s[56:57], vcc
	s_cbranch_execz .LBB410_188
; %bb.142:
	v_mov_b32_e32 v7, 0
	ds_read_b64 v[2:3], v7
	ds_read_u8 v17, v7 offset:8
	s_mov_b32 s61, 0
	v_cmp_eq_u32_e64 s[38:39], 0, v12
	s_and_saveexec_b64 s[42:43], s[38:39]
	s_cbranch_execz .LBB410_144
; %bb.143:
	s_add_i32 s60, s6, 64
	s_lshl_b64 s[68:69], s[60:61], 4
	s_add_u32 s68, s44, s68
	s_addc_u32 s69, s45, s69
	v_mov_b32_e32 v4, s60
	v_mov_b32_e32 v5, 1
	s_waitcnt lgkmcnt(1)
	global_store_dwordx2 v7, v[2:3], s[68:69]
	s_waitcnt lgkmcnt(0)
	global_store_byte v7, v17, s[68:69] offset:8
	s_waitcnt vmcnt(0)
	buffer_wbinvl1_vol
	global_store_byte v4, v5, s[48:49]
.LBB410_144:
	s_or_b64 exec, exec, s[42:43]
	v_xad_u32 v4, v12, -1, s6
	v_add_u32_e32 v6, 64, v4
	global_load_ubyte v18, v6, s[48:49] glc
	s_waitcnt vmcnt(0)
	v_cmp_eq_u16_e32 vcc, 0, v18
	s_and_saveexec_b64 s[42:43], vcc
	s_cbranch_execz .LBB410_150
; %bb.145:
	v_mov_b32_e32 v5, s49
	v_add_co_u32_e32 v8, vcc, s48, v6
	v_addc_co_u32_e32 v9, vcc, 0, v5, vcc
	s_mov_b32 s7, 1
	s_mov_b64 s[60:61], 0
.LBB410_146:                            ; =>This Loop Header: Depth=1
                                        ;     Child Loop BB410_147 Depth 2
	s_max_u32 s51, s7, 1
.LBB410_147:                            ;   Parent Loop BB410_146 Depth=1
                                        ; =>  This Inner Loop Header: Depth=2
	s_add_i32 s51, s51, -1
	s_cmp_eq_u32 s51, 0
	s_sleep 1
	s_cbranch_scc0 .LBB410_147
; %bb.148:                              ;   in Loop: Header=BB410_146 Depth=1
	global_load_ubyte v18, v[8:9], off glc
	s_cmp_lt_u32 s7, 32
	s_cselect_b64 s[68:69], -1, 0
	s_cmp_lg_u64 s[68:69], 0
	s_addc_u32 s7, s7, 0
	s_waitcnt vmcnt(0)
	v_cmp_ne_u16_e32 vcc, 0, v18
	s_or_b64 s[60:61], vcc, s[60:61]
	s_andn2_b64 exec, exec, s[60:61]
	s_cbranch_execnz .LBB410_146
; %bb.149:
	s_or_b64 exec, exec, s[60:61]
.LBB410_150:
	s_or_b64 exec, exec, s[42:43]
	v_mov_b32_e32 v5, s47
	v_mov_b32_e32 v8, s45
	v_cmp_eq_u16_e32 vcc, 1, v18
	v_cndmask_b32_e32 v5, v5, v8, vcc
	v_mov_b32_e32 v8, s46
	v_mov_b32_e32 v9, s44
	v_cndmask_b32_e32 v8, v8, v9, vcc
	v_lshlrev_b64 v[6:7], 4, v[6:7]
	v_add_co_u32_e32 v6, vcc, v8, v6
	v_addc_co_u32_e32 v7, vcc, v5, v7, vcc
	s_waitcnt lgkmcnt(0)
	buffer_wbinvl1_vol
	global_load_dwordx2 v[10:11], v[6:7], off
	global_load_ubyte v13, v[6:7], off offset:8
	v_cmp_eq_u16_e32 vcc, 2, v18
	v_lshlrev_b64 v[6:7], v12, -1
	v_and_b32_e32 v19, 63, v12
	v_and_b32_e32 v5, vcc_hi, v7
	v_and_b32_e32 v8, vcc_lo, v6
	v_cmp_ne_u32_e32 vcc, 63, v19
	v_addc_co_u32_e32 v9, vcc, 0, v12, vcc
	v_lshlrev_b32_e32 v20, 2, v9
	v_or_b32_e32 v5, 0x80000000, v5
	v_ffbl_b32_e32 v5, v5
	v_ffbl_b32_e32 v8, v8
	v_add_u32_e32 v5, 32, v5
	v_min_u32_e32 v5, v8, v5
	v_cmp_lt_u32_e32 vcc, v19, v5
	s_waitcnt vmcnt(1)
	ds_bpermute_b32 v22, v20, v10
	s_waitcnt vmcnt(0)
	v_and_b32_e32 v29, 1, v13
	ds_bpermute_b32 v23, v20, v11
	ds_bpermute_b32 v21, v20, v29
	v_mov_b32_e32 v9, v11
	v_mov_b32_e32 v8, v10
	s_and_saveexec_b64 s[42:43], vcc
	s_cbranch_execz .LBB410_152
; %bb.151:
	v_mov_b32_e32 v8, 0
	v_cmp_eq_u16_sdwa vcc, v13, v8 src0_sel:BYTE_0 src1_sel:DWORD
	s_waitcnt lgkmcnt(2)
	v_cndmask_b32_e32 v8, 1, v22, vcc
	s_waitcnt lgkmcnt(1)
	v_cndmask_b32_e32 v22, 0, v23, vcc
	v_mul_lo_u32 v11, v8, v11
	v_mad_u64_u32 v[8:9], s[60:61], v8, v10, 0
	v_mul_lo_u32 v10, v22, v10
	v_add3_u32 v9, v9, v11, v10
	s_waitcnt lgkmcnt(0)
	v_and_b32_e32 v10, 1, v21
	v_or_b32_e32 v13, v10, v13
	v_and_b32_e32 v29, 0xff, v13
	v_pk_mov_b32 v[10:11], v[8:9], v[8:9] op_sel:[0,1]
.LBB410_152:
	s_or_b64 exec, exec, s[42:43]
	v_cmp_gt_u32_e32 vcc, 62, v19
	s_waitcnt lgkmcnt(0)
	v_cndmask_b32_e64 v21, 0, 1, vcc
	v_lshlrev_b32_e32 v21, 1, v21
	v_add_lshl_u32 v21, v21, v12, 2
	ds_bpermute_b32 v24, v21, v8
	ds_bpermute_b32 v25, v21, v9
	ds_bpermute_b32 v23, v21, v29
	v_add_u32_e32 v22, 2, v19
	v_cmp_le_u32_e32 vcc, v22, v5
	s_and_saveexec_b64 s[60:61], vcc
	s_cbranch_execz .LBB410_154
; %bb.153:
	v_mov_b32_e32 v8, 0
	v_cmp_eq_u16_sdwa vcc, v13, v8 src0_sel:BYTE_0 src1_sel:DWORD
	s_waitcnt lgkmcnt(2)
	v_cndmask_b32_e32 v8, 1, v24, vcc
	s_waitcnt lgkmcnt(1)
	v_cndmask_b32_e32 v24, 0, v25, vcc
	v_mul_lo_u32 v11, v8, v11
	v_mad_u64_u32 v[8:9], s[42:43], v8, v10, 0
	v_mul_lo_u32 v10, v24, v10
	v_add3_u32 v9, v9, v11, v10
	v_and_b32_e32 v10, 1, v13
	v_cmp_eq_u32_e32 vcc, 1, v10
	s_waitcnt lgkmcnt(0)
	v_and_b32_e32 v10, 1, v23
	v_cmp_eq_u32_e64 s[42:43], 1, v10
	s_or_b64 s[42:43], vcc, s[42:43]
	v_cndmask_b32_e64 v13, 0, 1, s[42:43]
	v_cndmask_b32_e64 v29, 0, 1, s[42:43]
	v_pk_mov_b32 v[10:11], v[8:9], v[8:9] op_sel:[0,1]
.LBB410_154:
	s_or_b64 exec, exec, s[60:61]
	v_cmp_gt_u32_e32 vcc, 60, v19
	s_waitcnt lgkmcnt(0)
	v_cndmask_b32_e64 v23, 0, 1, vcc
	v_lshlrev_b32_e32 v23, 2, v23
	v_add_lshl_u32 v23, v23, v12, 2
	ds_bpermute_b32 v26, v23, v8
	ds_bpermute_b32 v27, v23, v9
	ds_bpermute_b32 v25, v23, v29
	v_add_u32_e32 v24, 4, v19
	v_cmp_le_u32_e32 vcc, v24, v5
	s_and_saveexec_b64 s[60:61], vcc
	s_cbranch_execz .LBB410_156
; %bb.155:
	v_mov_b32_e32 v8, 0
	v_cmp_eq_u16_sdwa vcc, v13, v8 src0_sel:BYTE_0 src1_sel:DWORD
	s_waitcnt lgkmcnt(2)
	v_cndmask_b32_e32 v8, 1, v26, vcc
	s_waitcnt lgkmcnt(1)
	v_cndmask_b32_e32 v26, 0, v27, vcc
	v_mul_lo_u32 v11, v8, v11
	v_mad_u64_u32 v[8:9], s[42:43], v8, v10, 0
	v_mul_lo_u32 v10, v26, v10
	v_add3_u32 v9, v9, v11, v10
	v_and_b32_e32 v10, 1, v13
	v_cmp_eq_u32_e32 vcc, 1, v10
	s_waitcnt lgkmcnt(0)
	v_and_b32_e32 v10, 1, v25
	v_cmp_eq_u32_e64 s[42:43], 1, v10
	s_or_b64 s[42:43], vcc, s[42:43]
	v_cndmask_b32_e64 v13, 0, 1, s[42:43]
	v_cndmask_b32_e64 v29, 0, 1, s[42:43]
	v_pk_mov_b32 v[10:11], v[8:9], v[8:9] op_sel:[0,1]
.LBB410_156:
	;; [unrolled: 34-line block ×4, first 2 shown]
	s_or_b64 exec, exec, s[60:61]
	v_cmp_gt_u32_e32 vcc, 32, v19
	s_waitcnt lgkmcnt(0)
	v_cndmask_b32_e64 v30, 0, 1, vcc
	v_lshlrev_b32_e32 v30, 5, v30
	v_add_lshl_u32 v30, v30, v12, 2
	ds_bpermute_b32 v12, v30, v8
	ds_bpermute_b32 v9, v30, v9
	;; [unrolled: 1-line block ×3, first 2 shown]
	v_add_u32_e32 v31, 32, v19
	v_cmp_le_u32_e32 vcc, v31, v5
	s_and_saveexec_b64 s[60:61], vcc
	s_cbranch_execz .LBB410_162
; %bb.161:
	v_mov_b32_e32 v5, 0
	v_cmp_eq_u16_sdwa vcc, v13, v5 src0_sel:BYTE_0 src1_sel:DWORD
	s_waitcnt lgkmcnt(2)
	v_cndmask_b32_e32 v5, 1, v12, vcc
	s_waitcnt lgkmcnt(1)
	v_cndmask_b32_e32 v9, 0, v9, vcc
	v_mul_lo_u32 v11, v5, v11
	v_mad_u64_u32 v[32:33], s[42:43], v5, v10, 0
	v_mul_lo_u32 v5, v9, v10
	v_add3_u32 v33, v33, v11, v5
	v_and_b32_e32 v5, 1, v13
	v_cmp_eq_u32_e32 vcc, 1, v5
	s_waitcnt lgkmcnt(0)
	v_and_b32_e32 v5, 1, v8
	v_cmp_eq_u32_e64 s[42:43], 1, v5
	s_or_b64 s[42:43], vcc, s[42:43]
	v_cndmask_b32_e64 v13, 0, 1, s[42:43]
	v_pk_mov_b32 v[10:11], v[32:33], v[32:33] op_sel:[0,1]
.LBB410_162:
	s_or_b64 exec, exec, s[60:61]
	v_mov_b32_e32 v5, 0
	v_mov_b32_e32 v32, 2
	s_branch .LBB410_164
.LBB410_163:                            ;   in Loop: Header=BB410_164 Depth=1
	s_or_b64 exec, exec, s[68:69]
	v_cmp_eq_u16_sdwa vcc, v29, v5 src0_sel:BYTE_0 src1_sel:DWORD
	s_waitcnt lgkmcnt(0)
	v_cndmask_b32_e32 v10, 1, v12, vcc
	v_cndmask_b32_e32 v11, 0, v13, vcc
	v_mul_lo_u32 v12, v11, v8
	v_mul_lo_u32 v13, v10, v9
	v_mad_u64_u32 v[10:11], s[42:43], v10, v8, 0
	v_add3_u32 v11, v11, v13, v12
	v_and_b32_e32 v12, 1, v29
	v_cmp_eq_u32_e32 vcc, 1, v12
	s_or_b64 s[42:43], vcc, s[60:61]
	v_subrev_u32_e32 v4, 64, v4
	v_cndmask_b32_e64 v13, 0, 1, s[42:43]
.LBB410_164:                            ; =>This Loop Header: Depth=1
                                        ;     Child Loop BB410_167 Depth 2
                                        ;       Child Loop BB410_168 Depth 3
	v_cmp_ne_u16_sdwa s[42:43], v18, v32 src0_sel:BYTE_0 src1_sel:DWORD
	s_waitcnt lgkmcnt(0)
	v_cndmask_b32_e64 v8, 0, 1, s[42:43]
	;;#ASMSTART
	;;#ASMEND
	v_cmp_ne_u32_e32 vcc, 0, v8
	v_mov_b32_e32 v29, v13
	s_cmp_lg_u64 vcc, exec
	v_pk_mov_b32 v[8:9], v[10:11], v[10:11] op_sel:[0,1]
	s_cbranch_scc1 .LBB410_183
; %bb.165:                              ;   in Loop: Header=BB410_164 Depth=1
	global_load_ubyte v18, v4, s[48:49] glc
	s_waitcnt vmcnt(0)
	v_cmp_eq_u16_e32 vcc, 0, v18
	s_and_saveexec_b64 s[42:43], vcc
	s_cbranch_execz .LBB410_171
; %bb.166:                              ;   in Loop: Header=BB410_164 Depth=1
	v_mov_b32_e32 v11, s49
	v_add_co_u32_e32 v10, vcc, s48, v4
	v_addc_co_u32_e32 v11, vcc, 0, v11, vcc
	s_mov_b32 s7, 1
	s_mov_b64 s[60:61], 0
.LBB410_167:                            ;   Parent Loop BB410_164 Depth=1
                                        ; =>  This Loop Header: Depth=2
                                        ;       Child Loop BB410_168 Depth 3
	s_max_u32 s51, s7, 1
.LBB410_168:                            ;   Parent Loop BB410_164 Depth=1
                                        ;     Parent Loop BB410_167 Depth=2
                                        ; =>    This Inner Loop Header: Depth=3
	s_add_i32 s51, s51, -1
	s_cmp_eq_u32 s51, 0
	s_sleep 1
	s_cbranch_scc0 .LBB410_168
; %bb.169:                              ;   in Loop: Header=BB410_167 Depth=2
	global_load_ubyte v18, v[10:11], off glc
	s_cmp_lt_u32 s7, 32
	s_cselect_b64 s[68:69], -1, 0
	s_cmp_lg_u64 s[68:69], 0
	s_addc_u32 s7, s7, 0
	s_waitcnt vmcnt(0)
	v_cmp_ne_u16_e32 vcc, 0, v18
	s_or_b64 s[60:61], vcc, s[60:61]
	s_andn2_b64 exec, exec, s[60:61]
	s_cbranch_execnz .LBB410_167
; %bb.170:                              ;   in Loop: Header=BB410_164 Depth=1
	s_or_b64 exec, exec, s[60:61]
.LBB410_171:                            ;   in Loop: Header=BB410_164 Depth=1
	s_or_b64 exec, exec, s[42:43]
	v_mov_b32_e32 v10, s47
	v_mov_b32_e32 v11, s45
	v_cmp_eq_u16_e32 vcc, 1, v18
	v_cndmask_b32_e32 v12, v10, v11, vcc
	v_mov_b32_e32 v10, s46
	v_mov_b32_e32 v11, s44
	v_cndmask_b32_e32 v13, v10, v11, vcc
	v_lshlrev_b64 v[10:11], 4, v[4:5]
	v_add_co_u32_e32 v10, vcc, v13, v10
	v_addc_co_u32_e32 v11, vcc, v12, v11, vcc
	buffer_wbinvl1_vol
	global_load_dwordx2 v[12:13], v[10:11], off
	global_load_ubyte v33, v[10:11], off offset:8
	v_cmp_eq_u16_e32 vcc, 2, v18
	v_and_b32_e32 v10, vcc_hi, v7
	v_or_b32_e32 v10, 0x80000000, v10
	v_and_b32_e32 v11, vcc_lo, v6
	v_ffbl_b32_e32 v10, v10
	v_ffbl_b32_e32 v11, v11
	v_add_u32_e32 v10, 32, v10
	v_min_u32_e32 v34, v11, v10
	v_cmp_lt_u32_e32 vcc, v19, v34
	s_waitcnt vmcnt(1)
	ds_bpermute_b32 v37, v20, v12
	s_waitcnt vmcnt(0)
	v_and_b32_e32 v35, 1, v33
	ds_bpermute_b32 v76, v20, v13
	ds_bpermute_b32 v36, v20, v35
	v_mov_b32_e32 v11, v13
	v_mov_b32_e32 v10, v12
	s_and_saveexec_b64 s[42:43], vcc
	s_cbranch_execz .LBB410_173
; %bb.172:                              ;   in Loop: Header=BB410_164 Depth=1
	v_cmp_eq_u16_sdwa vcc, v33, v5 src0_sel:BYTE_0 src1_sel:DWORD
	s_waitcnt lgkmcnt(2)
	v_cndmask_b32_e32 v10, 1, v37, vcc
	s_waitcnt lgkmcnt(1)
	v_cndmask_b32_e32 v35, 0, v76, vcc
	v_mul_lo_u32 v13, v10, v13
	v_mad_u64_u32 v[10:11], s[60:61], v10, v12, 0
	v_mul_lo_u32 v12, v35, v12
	v_add3_u32 v11, v11, v13, v12
	s_waitcnt lgkmcnt(0)
	v_and_b32_e32 v12, 1, v36
	v_or_b32_e32 v33, v12, v33
	v_and_b32_e32 v35, 0xff, v33
	v_pk_mov_b32 v[12:13], v[10:11], v[10:11] op_sel:[0,1]
.LBB410_173:                            ;   in Loop: Header=BB410_164 Depth=1
	s_or_b64 exec, exec, s[42:43]
	s_waitcnt lgkmcnt(2)
	ds_bpermute_b32 v37, v21, v10
	s_waitcnt lgkmcnt(2)
	ds_bpermute_b32 v76, v21, v11
	;; [unrolled: 2-line block ×3, first 2 shown]
	v_and_b32_e32 v77, 1, v33
	v_cmp_le_u32_e32 vcc, v22, v34
	v_cmp_eq_u32_e64 s[60:61], 1, v77
	s_and_saveexec_b64 s[42:43], vcc
	s_cbranch_execz .LBB410_175
; %bb.174:                              ;   in Loop: Header=BB410_164 Depth=1
	v_cmp_eq_u16_sdwa vcc, v33, v5 src0_sel:BYTE_0 src1_sel:DWORD
	s_waitcnt lgkmcnt(2)
	v_cndmask_b32_e32 v10, 1, v37, vcc
	s_waitcnt lgkmcnt(1)
	v_cndmask_b32_e32 v33, 0, v76, vcc
	v_mul_lo_u32 v13, v10, v13
	v_mad_u64_u32 v[10:11], s[68:69], v10, v12, 0
	v_mul_lo_u32 v12, v33, v12
	v_add3_u32 v11, v11, v13, v12
	s_waitcnt lgkmcnt(0)
	v_and_b32_e32 v12, 1, v36
	v_cmp_eq_u32_e32 vcc, 1, v12
	s_or_b64 s[68:69], s[60:61], vcc
	v_cndmask_b32_e64 v33, 0, 1, s[68:69]
	v_cndmask_b32_e64 v35, 0, 1, s[68:69]
	s_andn2_b64 s[60:61], s[60:61], exec
	s_and_b64 s[68:69], s[68:69], exec
	s_or_b64 s[60:61], s[60:61], s[68:69]
	v_pk_mov_b32 v[12:13], v[10:11], v[10:11] op_sel:[0,1]
.LBB410_175:                            ;   in Loop: Header=BB410_164 Depth=1
	s_or_b64 exec, exec, s[42:43]
	s_waitcnt lgkmcnt(2)
	ds_bpermute_b32 v37, v23, v10
	s_waitcnt lgkmcnt(2)
	ds_bpermute_b32 v76, v23, v11
	s_waitcnt lgkmcnt(2)
	ds_bpermute_b32 v36, v23, v35
	v_cmp_le_u32_e32 vcc, v24, v34
	s_and_saveexec_b64 s[68:69], vcc
	s_cbranch_execz .LBB410_177
; %bb.176:                              ;   in Loop: Header=BB410_164 Depth=1
	v_cmp_eq_u16_sdwa vcc, v33, v5 src0_sel:BYTE_0 src1_sel:DWORD
	s_waitcnt lgkmcnt(2)
	v_cndmask_b32_e32 v10, 1, v37, vcc
	s_waitcnt lgkmcnt(1)
	v_cndmask_b32_e32 v35, 0, v76, vcc
	v_mul_lo_u32 v13, v10, v13
	v_mad_u64_u32 v[10:11], s[42:43], v10, v12, 0
	v_mul_lo_u32 v12, v35, v12
	v_add3_u32 v11, v11, v13, v12
	v_and_b32_e32 v12, 1, v33
	v_cmp_eq_u32_e32 vcc, 1, v12
	s_waitcnt lgkmcnt(0)
	v_and_b32_e32 v12, 1, v36
	v_cmp_eq_u32_e64 s[42:43], 1, v12
	s_or_b64 s[42:43], vcc, s[42:43]
	v_cndmask_b32_e64 v33, 0, 1, s[42:43]
	v_cndmask_b32_e64 v35, 0, 1, s[42:43]
	s_andn2_b64 s[60:61], s[60:61], exec
	s_and_b64 s[42:43], s[42:43], exec
	s_or_b64 s[60:61], s[60:61], s[42:43]
	v_pk_mov_b32 v[12:13], v[10:11], v[10:11] op_sel:[0,1]
.LBB410_177:                            ;   in Loop: Header=BB410_164 Depth=1
	s_or_b64 exec, exec, s[68:69]
	s_waitcnt lgkmcnt(2)
	ds_bpermute_b32 v37, v25, v10
	s_waitcnt lgkmcnt(2)
	ds_bpermute_b32 v76, v25, v11
	s_waitcnt lgkmcnt(2)
	ds_bpermute_b32 v36, v25, v35
	v_cmp_le_u32_e32 vcc, v26, v34
	s_and_saveexec_b64 s[68:69], vcc
	s_cbranch_execz .LBB410_179
; %bb.178:                              ;   in Loop: Header=BB410_164 Depth=1
	v_cmp_eq_u16_sdwa vcc, v33, v5 src0_sel:BYTE_0 src1_sel:DWORD
	s_waitcnt lgkmcnt(2)
	v_cndmask_b32_e32 v10, 1, v37, vcc
	s_waitcnt lgkmcnt(1)
	v_cndmask_b32_e32 v35, 0, v76, vcc
	v_mul_lo_u32 v13, v10, v13
	v_mad_u64_u32 v[10:11], s[42:43], v10, v12, 0
	v_mul_lo_u32 v12, v35, v12
	v_add3_u32 v11, v11, v13, v12
	v_and_b32_e32 v12, 1, v33
	v_cmp_eq_u32_e32 vcc, 1, v12
	s_waitcnt lgkmcnt(0)
	v_and_b32_e32 v12, 1, v36
	v_cmp_eq_u32_e64 s[42:43], 1, v12
	s_or_b64 s[42:43], vcc, s[42:43]
	v_cndmask_b32_e64 v33, 0, 1, s[42:43]
	v_cndmask_b32_e64 v35, 0, 1, s[42:43]
	s_andn2_b64 s[60:61], s[60:61], exec
	s_and_b64 s[42:43], s[42:43], exec
	s_or_b64 s[60:61], s[60:61], s[42:43]
	v_pk_mov_b32 v[12:13], v[10:11], v[10:11] op_sel:[0,1]
.LBB410_179:                            ;   in Loop: Header=BB410_164 Depth=1
	;; [unrolled: 33-line block ×3, first 2 shown]
	s_or_b64 exec, exec, s[68:69]
	s_waitcnt lgkmcnt(0)
	ds_bpermute_b32 v36, v30, v10
	ds_bpermute_b32 v11, v30, v11
	;; [unrolled: 1-line block ×3, first 2 shown]
	v_cmp_le_u32_e32 vcc, v31, v34
	s_and_saveexec_b64 s[68:69], vcc
	s_cbranch_execz .LBB410_163
; %bb.182:                              ;   in Loop: Header=BB410_164 Depth=1
	v_cmp_eq_u16_sdwa vcc, v33, v5 src0_sel:BYTE_0 src1_sel:DWORD
	s_waitcnt lgkmcnt(2)
	v_cndmask_b32_e32 v34, 1, v36, vcc
	s_waitcnt lgkmcnt(1)
	v_cndmask_b32_e32 v11, 0, v11, vcc
	v_mul_lo_u32 v13, v34, v13
	v_mad_u64_u32 v[34:35], s[42:43], v34, v12, 0
	v_mul_lo_u32 v11, v11, v12
	v_add3_u32 v35, v35, v13, v11
	v_and_b32_e32 v11, 1, v33
	s_waitcnt lgkmcnt(0)
	v_and_b32_e32 v10, 1, v10
	v_cmp_eq_u32_e32 vcc, 1, v11
	v_cmp_eq_u32_e64 s[42:43], 1, v10
	s_or_b64 s[42:43], vcc, s[42:43]
	s_andn2_b64 s[60:61], s[60:61], exec
	s_and_b64 s[42:43], s[42:43], exec
	s_or_b64 s[60:61], s[60:61], s[42:43]
	v_pk_mov_b32 v[12:13], v[34:35], v[34:35] op_sel:[0,1]
	s_branch .LBB410_163
.LBB410_183:                            ;   in Loop: Header=BB410_164 Depth=1
                                        ; implicit-def: $vgpr13
                                        ; implicit-def: $vgpr10_vgpr11
                                        ; implicit-def: $vgpr18
	s_cbranch_execz .LBB410_164
; %bb.184:
	s_and_saveexec_b64 s[42:43], s[38:39]
	s_cbranch_execz .LBB410_186
; %bb.185:
	v_mov_b32_e32 v4, 0
	v_cmp_eq_u16_sdwa vcc, v17, v4 src0_sel:BYTE_0 src1_sel:DWORD
	v_cndmask_b32_e32 v5, 1, v8, vcc
	v_cndmask_b32_e32 v6, 0, v9, vcc
	s_mov_b32 s7, 0
	v_mul_lo_u32 v6, v6, v2
	v_mul_lo_u32 v7, v5, v3
	v_mad_u64_u32 v[2:3], s[38:39], v5, v2, 0
	s_add_i32 s6, s6, 64
	s_lshl_b64 s[38:39], s[6:7], 4
	s_add_u32 s38, s46, s38
	v_add3_u32 v3, v3, v7, v6
	v_or_b32_e32 v5, v17, v29
	s_addc_u32 s39, s47, s39
	v_and_b32_e32 v5, 1, v5
	global_store_dwordx2 v4, v[2:3], s[38:39]
	global_store_byte v4, v5, s[38:39] offset:8
	v_mov_b32_e32 v2, s6
	v_mov_b32_e32 v3, 2
	s_waitcnt vmcnt(0)
	buffer_wbinvl1_vol
	global_store_byte v2, v3, s[48:49]
.LBB410_186:
	s_or_b64 exec, exec, s[42:43]
	v_cmp_eq_u32_e32 vcc, 0, v0
	s_and_b64 exec, exec, vcc
	s_cbranch_execz .LBB410_188
; %bb.187:
	v_mov_b32_e32 v2, 0
	ds_write_b64 v2, v[8:9]
	ds_write_b8 v2, v29 offset:8
.LBB410_188:
	s_or_b64 exec, exec, s[56:57]
	v_mov_b32_e32 v2, 0
	s_waitcnt lgkmcnt(0)
	; wave barrier
	s_waitcnt lgkmcnt(0)
	ds_read_b64 v[76:77], v2
	v_cmp_ne_u32_e32 vcc, 0, v0
	s_and_saveexec_b64 s[6:7], vcc
	s_cbranch_execz .LBB410_190
; %bb.189:
	v_cmp_eq_u32_sdwa vcc, v16, v2 src0_sel:BYTE_0 src1_sel:DWORD
	s_waitcnt lgkmcnt(0)
	v_cndmask_b32_e32 v3, 1, v76, vcc
	v_cndmask_b32_e32 v4, 0, v77, vcc
	v_mul_lo_u32 v4, v4, v14
	v_mul_lo_u32 v5, v3, v15
	v_mad_u64_u32 v[76:77], s[38:39], v3, v14, 0
	v_add3_u32 v77, v77, v5, v4
.LBB410_190:
	s_or_b64 exec, exec, s[6:7]
	v_cmp_eq_u16_sdwa vcc, v1, v2 src0_sel:BYTE_0 src1_sel:DWORD
	s_waitcnt lgkmcnt(0)
	v_cndmask_b32_e32 v2, 1, v76, vcc
	v_cndmask_b32_e32 v3, 0, v77, vcc
	v_mul_lo_u32 v3, v3, v74
	v_mul_lo_u32 v6, v2, v75
	v_mad_u64_u32 v[4:5], s[6:7], v2, v74, 0
	v_add3_u32 v5, v5, v6, v3
	v_cndmask_b32_e64 v2, 0, v5, s[36:37]
	v_cndmask_b32_e64 v3, 1, v4, s[36:37]
	v_mul_lo_u32 v2, v2, v38
	v_mul_lo_u32 v8, v3, v39
	v_mad_u64_u32 v[6:7], s[6:7], v3, v38, 0
	v_add3_u32 v7, v7, v8, v2
	v_cndmask_b32_e64 v2, 0, v7, s[34:35]
	v_cndmask_b32_e64 v3, 1, v6, s[34:35]
	;; [unrolled: 6-line block ×17, first 2 shown]
	s_branch .LBB410_211
.LBB410_191:
                                        ; implicit-def: $vgpr76_vgpr77
                                        ; implicit-def: $vgpr94_vgpr95
                                        ; implicit-def: $vgpr92_vgpr93
                                        ; implicit-def: $vgpr90_vgpr91
                                        ; implicit-def: $vgpr88_vgpr89
                                        ; implicit-def: $vgpr86_vgpr87
                                        ; implicit-def: $vgpr84_vgpr85
                                        ; implicit-def: $vgpr82_vgpr83
                                        ; implicit-def: $vgpr80_vgpr81
                                        ; implicit-def: $vgpr78_vgpr79
                                        ; implicit-def: $vgpr34_vgpr35_vgpr36_vgpr37
                                        ; implicit-def: $vgpr30_vgpr31_vgpr32_vgpr33
                                        ; implicit-def: $vgpr26_vgpr27_vgpr28_vgpr29
                                        ; implicit-def: $vgpr22_vgpr23_vgpr24_vgpr25
                                        ; implicit-def: $vgpr18_vgpr19_vgpr20_vgpr21
                                        ; implicit-def: $vgpr14_vgpr15_vgpr16_vgpr17
                                        ; implicit-def: $vgpr10_vgpr11_vgpr12_vgpr13
                                        ; implicit-def: $vgpr6_vgpr7_vgpr8_vgpr9
                                        ; implicit-def: $vgpr2_vgpr3_vgpr4_vgpr5
	s_cbranch_execz .LBB410_211
; %bb.192:
	s_cmp_lg_u64 s[66:67], 0
	s_cselect_b32 s3, s63, 0
	s_cselect_b32 s2, s62, 0
	s_cmp_eq_u64 s[2:3], 0
	v_pk_mov_b32 v[2:3], s[64:65], s[64:65] op_sel:[0,1]
	s_cbranch_scc1 .LBB410_194
; %bb.193:
	v_mov_b32_e32 v2, 0
	global_load_dwordx2 v[2:3], v2, s[2:3]
.LBB410_194:
	v_mov_b32_e32 v6, 0
	v_cmp_eq_u16_sdwa vcc, v96, v6 src0_sel:BYTE_0 src1_sel:DWORD
	v_cndmask_b32_e32 v4, 1, v74, vcc
	v_cndmask_b32_e32 v5, 0, v75, vcc
	v_mul_lo_u32 v7, v5, v38
	v_mul_lo_u32 v8, v4, v39
	v_mad_u64_u32 v[4:5], s[2:3], v4, v38, 0
	v_add3_u32 v5, v5, v8, v7
	v_cmp_eq_u16_sdwa s[2:3], v97, v6 src0_sel:BYTE_0 src1_sel:DWORD
	v_cndmask_b32_e64 v5, 0, v5, s[2:3]
	v_cndmask_b32_e64 v4, 1, v4, s[2:3]
	v_mul_lo_u32 v7, v5, v46
	v_mul_lo_u32 v8, v4, v47
	v_mad_u64_u32 v[4:5], s[4:5], v4, v46, 0
	v_add3_u32 v5, v5, v8, v7
	v_cmp_eq_u16_sdwa s[4:5], v98, v6 src0_sel:BYTE_0 src1_sel:DWORD
	v_cndmask_b32_e64 v5, 0, v5, s[4:5]
	v_cndmask_b32_e64 v4, 1, v4, s[4:5]
	;; [unrolled: 7-line block ×17, first 2 shown]
	v_mul_lo_u32 v6, v5, v40
	v_mul_lo_u32 v7, v4, v41
	v_mad_u64_u32 v[4:5], s[36:37], v4, v40, 0
	v_add3_u32 v5, v5, v7, v6
	v_or_b32_e32 v6, v116, v111
	v_or_b32_e32 v6, v6, v110
	;; [unrolled: 1-line block ×16, first 2 shown]
	v_mbcnt_hi_u32_b32 v8, -1, v115
	v_and_b32_e32 v9, 1, v6
	v_and_b32_e32 v10, 15, v8
	v_cmp_eq_u32_e64 s[36:37], 1, v9
	v_mov_b32_dpp v13, v4 row_shr:1 row_mask:0xf bank_mask:0xf
	v_mov_b32_dpp v14, v5 row_shr:1 row_mask:0xf bank_mask:0xf
	v_mov_b32_dpp v12, v9 row_shr:1 row_mask:0xf bank_mask:0xf
	v_cmp_ne_u32_e64 s[38:39], 0, v10
	v_mov_b32_e32 v7, v5
	v_mov_b32_e32 v6, v4
	;; [unrolled: 1-line block ×3, first 2 shown]
	s_and_saveexec_b64 s[40:41], s[38:39]
; %bb.195:
	v_cndmask_b32_e64 v6, v14, 0, s[36:37]
	v_cndmask_b32_e64 v7, v13, 1, s[36:37]
	v_mul_lo_u32 v6, v6, v4
	v_mul_lo_u32 v11, v7, v5
	v_mad_u64_u32 v[4:5], s[36:37], v7, v4, 0
	v_add3_u32 v5, v5, v11, v6
	v_and_b32_e32 v6, 1, v12
	v_or_b32_e32 v9, v6, v9
	v_and_b32_e32 v11, 0xffff, v9
	v_mov_b32_e32 v7, v5
	v_mov_b32_e32 v6, v4
; %bb.196:
	s_or_b64 exec, exec, s[40:41]
	s_nop 0
	v_mov_b32_dpp v13, v6 row_shr:2 row_mask:0xf bank_mask:0xf
	v_mov_b32_dpp v14, v7 row_shr:2 row_mask:0xf bank_mask:0xf
	v_mov_b32_dpp v12, v11 row_shr:2 row_mask:0xf bank_mask:0xf
	v_cmp_lt_u32_e64 s[36:37], 1, v10
	s_and_saveexec_b64 s[40:41], s[36:37]
	s_cbranch_execz .LBB410_198
; %bb.197:
	v_cmp_eq_u16_e64 s[36:37], 0, v9
	v_cndmask_b32_e64 v6, 1, v13, s[36:37]
	v_cndmask_b32_e64 v11, 0, v14, s[36:37]
	v_mul_lo_u32 v5, v6, v5
	v_mad_u64_u32 v[6:7], s[36:37], v6, v4, 0
	v_mul_lo_u32 v4, v11, v4
	v_add3_u32 v7, v7, v5, v4
	v_and_b32_e32 v4, 1, v9
	v_cmp_eq_u32_e64 s[36:37], 1, v4
	v_and_b32_e32 v4, 1, v12
	v_cmp_eq_u32_e64 s[38:39], 1, v4
	s_or_b64 s[36:37], s[36:37], s[38:39]
	v_cndmask_b32_e64 v9, 0, 1, s[36:37]
	v_cndmask_b32_e64 v11, 0, 1, s[36:37]
	v_pk_mov_b32 v[4:5], v[6:7], v[6:7] op_sel:[0,1]
.LBB410_198:
	s_or_b64 exec, exec, s[40:41]
	v_mov_b32_dpp v13, v6 row_shr:4 row_mask:0xf bank_mask:0xf
	v_mov_b32_dpp v14, v7 row_shr:4 row_mask:0xf bank_mask:0xf
	v_mov_b32_dpp v12, v11 row_shr:4 row_mask:0xf bank_mask:0xf
	v_cmp_lt_u32_e64 s[36:37], 3, v10
	s_and_saveexec_b64 s[40:41], s[36:37]
	s_cbranch_execz .LBB410_200
; %bb.199:
	v_cmp_eq_u16_e64 s[36:37], 0, v9
	v_cndmask_b32_e64 v6, 1, v13, s[36:37]
	v_cndmask_b32_e64 v11, 0, v14, s[36:37]
	v_mul_lo_u32 v5, v6, v5
	v_mad_u64_u32 v[6:7], s[36:37], v6, v4, 0
	v_mul_lo_u32 v4, v11, v4
	v_add3_u32 v7, v7, v5, v4
	v_and_b32_e32 v4, 1, v9
	v_cmp_eq_u32_e64 s[36:37], 1, v4
	v_and_b32_e32 v4, 1, v12
	v_cmp_eq_u32_e64 s[38:39], 1, v4
	s_or_b64 s[36:37], s[36:37], s[38:39]
	v_cndmask_b32_e64 v9, 0, 1, s[36:37]
	v_cndmask_b32_e64 v11, 0, 1, s[36:37]
	v_pk_mov_b32 v[4:5], v[6:7], v[6:7] op_sel:[0,1]
.LBB410_200:
	s_or_b64 exec, exec, s[40:41]
	;; [unrolled: 24-line block ×3, first 2 shown]
	v_and_b32_e32 v14, 16, v8
	v_mov_b32_dpp v12, v6 row_bcast:15 row_mask:0xf bank_mask:0xf
	v_mov_b32_dpp v13, v7 row_bcast:15 row_mask:0xf bank_mask:0xf
	;; [unrolled: 1-line block ×3, first 2 shown]
	v_cmp_ne_u32_e64 s[36:37], 0, v14
	s_and_saveexec_b64 s[40:41], s[36:37]
	s_cbranch_execz .LBB410_204
; %bb.203:
	v_cmp_eq_u16_e64 s[36:37], 0, v9
	v_cndmask_b32_e64 v6, 1, v12, s[36:37]
	v_cndmask_b32_e64 v11, 0, v13, s[36:37]
	v_mul_lo_u32 v5, v6, v5
	v_mad_u64_u32 v[6:7], s[36:37], v6, v4, 0
	v_mul_lo_u32 v4, v11, v4
	v_add3_u32 v7, v7, v5, v4
	v_and_b32_e32 v4, 1, v9
	v_cmp_eq_u32_e64 s[36:37], 1, v4
	v_and_b32_e32 v4, 1, v10
	v_cmp_eq_u32_e64 s[38:39], 1, v4
	s_or_b64 s[36:37], s[36:37], s[38:39]
	v_cndmask_b32_e64 v9, 0, 1, s[36:37]
	v_cndmask_b32_e64 v11, 0, 1, s[36:37]
	v_pk_mov_b32 v[4:5], v[6:7], v[6:7] op_sel:[0,1]
.LBB410_204:
	s_or_b64 exec, exec, s[40:41]
	v_mov_b32_dpp v10, v6 row_bcast:31 row_mask:0xf bank_mask:0xf
	v_mov_b32_dpp v7, v7 row_bcast:31 row_mask:0xf bank_mask:0xf
	;; [unrolled: 1-line block ×3, first 2 shown]
	v_cmp_lt_u32_e64 s[36:37], 31, v8
	s_and_saveexec_b64 s[40:41], s[36:37]
	s_cbranch_execz .LBB410_206
; %bb.205:
	v_cmp_eq_u16_e64 s[36:37], 0, v9
	v_cndmask_b32_e64 v10, 1, v10, s[36:37]
	v_cndmask_b32_e64 v7, 0, v7, s[36:37]
	v_mul_lo_u32 v5, v10, v5
	v_mad_u64_u32 v[10:11], s[36:37], v10, v4, 0
	v_mul_lo_u32 v4, v7, v4
	v_add3_u32 v11, v11, v5, v4
	v_and_b32_e32 v4, 1, v9
	v_cmp_eq_u32_e64 s[36:37], 1, v4
	v_and_b32_e32 v4, 1, v6
	v_cmp_eq_u32_e64 s[38:39], 1, v4
	s_or_b64 s[36:37], s[36:37], s[38:39]
	v_cndmask_b32_e64 v9, 0, 1, s[36:37]
	v_pk_mov_b32 v[4:5], v[10:11], v[10:11] op_sel:[0,1]
.LBB410_206:
	s_or_b64 exec, exec, s[40:41]
	v_cmp_eq_u32_e64 s[36:37], 63, v0
	s_and_saveexec_b64 s[38:39], s[36:37]
	s_cbranch_execz .LBB410_208
; %bb.207:
	v_mov_b32_e32 v6, 0
	ds_write_b64 v6, v[4:5]
	ds_write_b8 v6, v9 offset:8
.LBB410_208:
	s_or_b64 exec, exec, s[38:39]
	v_cmp_eq_u16_e64 s[36:37], 0, v9
	s_waitcnt vmcnt(0)
	v_cndmask_b32_e64 v6, 1, v2, s[36:37]
	v_cndmask_b32_e64 v7, 0, v3, s[36:37]
	v_mul_lo_u32 v7, v7, v4
	v_mul_lo_u32 v9, v6, v5
	v_mad_u64_u32 v[4:5], s[36:37], v6, v4, 0
	v_add3_u32 v5, v5, v9, v7
	v_add_u32_e32 v6, -1, v8
	v_and_b32_e32 v7, 64, v8
	v_cmp_lt_i32_e64 s[36:37], v6, v7
	v_cndmask_b32_e64 v6, v6, v8, s[36:37]
	v_lshlrev_b32_e32 v6, 2, v6
	ds_bpermute_b32 v4, v6, v4
	ds_bpermute_b32 v5, v6, v5
	v_cmp_eq_u32_e64 s[38:39], 0, v8
	v_cmp_eq_u32_e64 s[36:37], 0, v0
	s_or_b64 s[38:39], s[36:37], s[38:39]
	v_mov_b32_e32 v8, 0
	s_waitcnt lgkmcnt(1)
	v_cndmask_b32_e64 v76, v4, v2, s[38:39]
	s_waitcnt lgkmcnt(0)
	v_cndmask_b32_e64 v77, v5, v3, s[38:39]
	v_cmp_eq_u16_sdwa s[38:39], v1, v8 src0_sel:BYTE_0 src1_sel:DWORD
	v_cndmask_b32_e64 v1, 0, v77, s[38:39]
	v_cndmask_b32_e64 v4, 1, v76, s[38:39]
	v_mul_lo_u32 v6, v4, v75
	v_mul_lo_u32 v1, v1, v74
	v_mad_u64_u32 v[4:5], s[38:39], v4, v74, 0
	v_add3_u32 v5, v5, v6, v1
	v_cndmask_b32_e32 v1, 0, v5, vcc
	v_cndmask_b32_e32 v6, 1, v4, vcc
	v_mul_lo_u32 v1, v1, v38
	v_mul_lo_u32 v9, v6, v39
	v_mad_u64_u32 v[6:7], s[38:39], v6, v38, 0
	v_add3_u32 v7, v7, v9, v1
	v_cndmask_b32_e64 v1, 0, v7, s[2:3]
	v_cndmask_b32_e64 v9, 1, v6, s[2:3]
	v_mul_lo_u32 v1, v1, v46
	v_mul_lo_u32 v10, v9, v47
	v_mad_u64_u32 v[78:79], s[2:3], v9, v46, 0
	v_add3_u32 v79, v79, v10, v1
	v_cndmask_b32_e64 v1, 0, v79, s[4:5]
	v_cndmask_b32_e64 v9, 1, v78, s[4:5]
	;; [unrolled: 6-line block ×16, first 2 shown]
	s_waitcnt lgkmcnt(0)
	; wave barrier
	s_and_saveexec_b64 s[2:3], s[36:37]
	s_cbranch_execz .LBB410_210
; %bb.209:
	ds_read_u8 v1, v8 offset:8
	ds_read_b64 v[12:13], v8
	v_pk_mov_b32 v[76:77], v[2:3], v[2:3] op_sel:[0,1]
	s_waitcnt lgkmcnt(1)
	v_cmp_eq_u16_e32 vcc, 0, v1
	v_cndmask_b32_e32 v16, 1, v2, vcc
	v_cndmask_b32_e32 v9, 0, v3, vcc
	s_waitcnt lgkmcnt(0)
	v_mul_lo_u32 v13, v16, v13
	v_mul_hi_u32 v17, v16, v12
	v_mul_lo_u32 v9, v9, v12
	v_add_u32_e32 v13, v17, v13
	v_add_u32_e32 v13, v13, v9
	v_mul_lo_u32 v12, v16, v12
	global_store_dwordx2 v8, v[12:13], s[46:47] offset:1024
	global_store_byte v8, v1, s[46:47] offset:1032
	v_mov_b32_e32 v1, 2
	s_waitcnt vmcnt(0)
	buffer_wbinvl1_vol
	global_store_byte v8, v1, s[48:49] offset:64
.LBB410_210:
	s_or_b64 exec, exec, s[2:3]
.LBB410_211:
	s_add_u32 s4, s58, s54
	s_addc_u32 s5, s59, s55
	v_mul_lo_u32 v1, v95, v42
	v_mul_lo_u32 v8, v94, v43
	v_mad_u64_u32 v[2:3], s[2:3], v94, v42, 0
	s_add_u32 s4, s4, s52
	v_add3_u32 v3, v3, v8, v1
	s_addc_u32 s5, s5, s53
	s_and_b64 vcc, exec, s[0:1]
	s_cbranch_vccz .LBB410_249
; %bb.212:
	s_movk_i32 s0, 0x98
	v_mul_i32_i24_e32 v13, 0xffffff70, v0
	v_mul_u32_u24_e32 v12, 0x98, v0
	v_mad_u32_u24 v8, v0, s0, v13
	s_waitcnt lgkmcnt(0)
	; wave barrier
	ds_write2_b64 v12, v[76:77], v[4:5] offset1:1
	ds_write2_b64 v12, v[6:7], v[78:79] offset0:2 offset1:3
	ds_write2_b64 v12, v[10:11], v[80:81] offset0:4 offset1:5
	;; [unrolled: 1-line block ×8, first 2 shown]
	ds_write_b64 v12, v[2:3] offset:144
	s_waitcnt lgkmcnt(0)
	; wave barrier
	s_waitcnt lgkmcnt(0)
	ds_read2st64_b64 v[68:71], v8 offset0:1 offset1:2
	ds_read2st64_b64 v[64:67], v8 offset0:3 offset1:4
	;; [unrolled: 1-line block ×9, first 2 shown]
	v_mov_b32_e32 v9, s5
	v_add_co_u32_e32 v8, vcc, s4, v113
	s_add_i32 s33, s33, s50
	v_addc_co_u32_e32 v9, vcc, 0, v9, vcc
	v_mov_b32_e32 v1, 0
	v_cmp_gt_u32_e32 vcc, s33, v0
	s_and_saveexec_b64 s[0:1], vcc
	s_cbranch_execz .LBB410_214
; %bb.213:
	v_add_u32_e32 v12, v12, v13
	ds_read_b64 v[12:13], v12
	s_waitcnt lgkmcnt(0)
	flat_store_dwordx2 v[8:9], v[12:13]
.LBB410_214:
	s_or_b64 exec, exec, s[0:1]
	v_or_b32_e32 v12, 64, v0
	v_cmp_gt_u32_e32 vcc, s33, v12
	s_and_saveexec_b64 s[0:1], vcc
	s_cbranch_execz .LBB410_216
; %bb.215:
	s_waitcnt lgkmcnt(0)
	flat_store_dwordx2 v[8:9], v[68:69] offset:512
.LBB410_216:
	s_or_b64 exec, exec, s[0:1]
	v_or_b32_e32 v12, 0x80, v0
	v_cmp_gt_u32_e32 vcc, s33, v12
	s_and_saveexec_b64 s[0:1], vcc
	s_cbranch_execz .LBB410_218
; %bb.217:
	s_waitcnt lgkmcnt(0)
	flat_store_dwordx2 v[8:9], v[70:71] offset:1024
.LBB410_218:
	s_or_b64 exec, exec, s[0:1]
	v_or_b32_e32 v12, 0xc0, v0
	v_cmp_gt_u32_e32 vcc, s33, v12
	s_and_saveexec_b64 s[0:1], vcc
	s_cbranch_execz .LBB410_220
; %bb.219:
	s_waitcnt lgkmcnt(0)
	flat_store_dwordx2 v[8:9], v[64:65] offset:1536
.LBB410_220:
	s_or_b64 exec, exec, s[0:1]
	v_or_b32_e32 v12, 0x100, v0
	v_cmp_gt_u32_e32 vcc, s33, v12
	s_and_saveexec_b64 s[0:1], vcc
	s_cbranch_execz .LBB410_222
; %bb.221:
	s_waitcnt lgkmcnt(0)
	flat_store_dwordx2 v[8:9], v[66:67] offset:2048
.LBB410_222:
	s_or_b64 exec, exec, s[0:1]
	v_or_b32_e32 v12, 0x140, v0
	v_cmp_gt_u32_e32 vcc, s33, v12
	s_and_saveexec_b64 s[0:1], vcc
	s_cbranch_execz .LBB410_224
; %bb.223:
	s_waitcnt lgkmcnt(0)
	flat_store_dwordx2 v[8:9], v[60:61] offset:2560
.LBB410_224:
	s_or_b64 exec, exec, s[0:1]
	v_or_b32_e32 v12, 0x180, v0
	v_cmp_gt_u32_e32 vcc, s33, v12
	s_and_saveexec_b64 s[0:1], vcc
	s_cbranch_execz .LBB410_226
; %bb.225:
	s_waitcnt lgkmcnt(0)
	flat_store_dwordx2 v[8:9], v[62:63] offset:3072
.LBB410_226:
	s_or_b64 exec, exec, s[0:1]
	v_or_b32_e32 v12, 0x1c0, v0
	v_cmp_gt_u32_e32 vcc, s33, v12
	s_and_saveexec_b64 s[0:1], vcc
	s_cbranch_execz .LBB410_228
; %bb.227:
	s_waitcnt lgkmcnt(0)
	flat_store_dwordx2 v[8:9], v[56:57] offset:3584
.LBB410_228:
	s_or_b64 exec, exec, s[0:1]
	v_or_b32_e32 v12, 0x200, v0
	v_cmp_gt_u32_e32 vcc, s33, v12
	s_and_saveexec_b64 s[0:1], vcc
	s_cbranch_execz .LBB410_230
; %bb.229:
	v_add_co_u32_e32 v12, vcc, 0x1000, v8
	v_addc_co_u32_e32 v13, vcc, 0, v9, vcc
	s_waitcnt lgkmcnt(0)
	flat_store_dwordx2 v[12:13], v[58:59]
.LBB410_230:
	s_or_b64 exec, exec, s[0:1]
	v_or_b32_e32 v12, 0x240, v0
	v_cmp_gt_u32_e32 vcc, s33, v12
	s_and_saveexec_b64 s[0:1], vcc
	s_cbranch_execz .LBB410_232
; %bb.231:
	v_add_co_u32_e32 v12, vcc, 0x1000, v8
	v_addc_co_u32_e32 v13, vcc, 0, v9, vcc
	s_waitcnt lgkmcnt(0)
	flat_store_dwordx2 v[12:13], v[52:53] offset:512
.LBB410_232:
	s_or_b64 exec, exec, s[0:1]
	v_or_b32_e32 v12, 0x280, v0
	v_cmp_gt_u32_e32 vcc, s33, v12
	s_and_saveexec_b64 s[0:1], vcc
	s_cbranch_execz .LBB410_234
; %bb.233:
	v_add_co_u32_e32 v12, vcc, 0x1000, v8
	v_addc_co_u32_e32 v13, vcc, 0, v9, vcc
	s_waitcnt lgkmcnt(0)
	flat_store_dwordx2 v[12:13], v[54:55] offset:1024
.LBB410_234:
	;; [unrolled: 11-line block ×7, first 2 shown]
	s_or_b64 exec, exec, s[0:1]
	v_or_b32_e32 v12, 0x400, v0
	v_cmp_gt_u32_e32 vcc, s33, v12
	s_and_saveexec_b64 s[0:1], vcc
	s_cbranch_execz .LBB410_246
; %bb.245:
	v_add_co_u32_e32 v12, vcc, 0x2000, v8
	v_addc_co_u32_e32 v13, vcc, 0, v9, vcc
	s_waitcnt lgkmcnt(0)
	flat_store_dwordx2 v[12:13], v[42:43]
.LBB410_246:
	s_or_b64 exec, exec, s[0:1]
	v_or_b32_e32 v12, 0x440, v0
	v_cmp_gt_u32_e32 vcc, s33, v12
	s_and_saveexec_b64 s[0:1], vcc
	s_cbranch_execz .LBB410_248
; %bb.247:
	v_add_co_u32_e32 v8, vcc, 0x2000, v8
	v_addc_co_u32_e32 v9, vcc, 0, v9, vcc
	s_waitcnt lgkmcnt(0)
	flat_store_dwordx2 v[8:9], v[36:37] offset:512
.LBB410_248:
	s_or_b64 exec, exec, s[0:1]
	v_or_b32_e32 v8, 0x480, v0
	v_cmp_gt_u32_e64 s[0:1], s33, v8
	s_branch .LBB410_251
.LBB410_249:
	s_mov_b64 s[0:1], 0
                                        ; implicit-def: $vgpr38_vgpr39
	s_cbranch_execz .LBB410_251
; %bb.250:
	v_mul_u32_u24_e32 v1, 0x98, v0
	s_waitcnt lgkmcnt(0)
	; wave barrier
	s_waitcnt lgkmcnt(0)
	s_movk_i32 s2, 0x98
	ds_write2_b64 v1, v[76:77], v[4:5] offset1:1
	ds_write2_b64 v1, v[6:7], v[78:79] offset0:2 offset1:3
	ds_write2_b64 v1, v[10:11], v[80:81] offset0:4 offset1:5
	;; [unrolled: 1-line block ×8, first 2 shown]
	ds_write_b64 v1, v[2:3] offset:144
	v_mul_i32_i24_e32 v2, 0xffffff70, v0
	v_mad_u32_u24 v38, v0, s2, v2
	v_mov_b32_e32 v41, s5
	v_add_co_u32_e32 v40, vcc, s4, v113
	s_waitcnt lgkmcnt(0)
	; wave barrier
	s_waitcnt lgkmcnt(0)
	ds_read2st64_b64 v[2:5], v38 offset1:1
	ds_read2st64_b64 v[6:9], v38 offset0:2 offset1:3
	ds_read2st64_b64 v[10:13], v38 offset0:4 offset1:5
	;; [unrolled: 1-line block ×8, first 2 shown]
	ds_read_b64 v[38:39], v38 offset:9216
	v_addc_co_u32_e32 v41, vcc, 0, v41, vcc
	s_movk_i32 s2, 0x1000
	s_waitcnt lgkmcnt(0)
	flat_store_dwordx2 v[40:41], v[2:3]
	flat_store_dwordx2 v[40:41], v[4:5] offset:512
	flat_store_dwordx2 v[40:41], v[6:7] offset:1024
	;; [unrolled: 1-line block ×7, first 2 shown]
	v_add_co_u32_e32 v2, vcc, s2, v40
	v_addc_co_u32_e32 v3, vcc, 0, v41, vcc
	flat_store_dwordx2 v[2:3], v[18:19]
	flat_store_dwordx2 v[2:3], v[20:21] offset:512
	flat_store_dwordx2 v[2:3], v[22:23] offset:1024
	;; [unrolled: 1-line block ×7, first 2 shown]
	v_add_co_u32_e32 v2, vcc, 0x2000, v40
	v_mov_b32_e32 v1, 0
	v_addc_co_u32_e32 v3, vcc, 0, v41, vcc
	s_or_b64 s[0:1], s[0:1], exec
	flat_store_dwordx2 v[2:3], v[34:35]
	flat_store_dwordx2 v[2:3], v[36:37] offset:512
.LBB410_251:
	s_and_saveexec_b64 s[2:3], s[0:1]
	s_cbranch_execz .LBB410_253
; %bb.252:
	v_lshlrev_b64 v[0:1], 3, v[0:1]
	v_mov_b32_e32 v2, s5
	v_add_co_u32_e32 v0, vcc, s4, v0
	v_addc_co_u32_e32 v1, vcc, v2, v1, vcc
	v_add_co_u32_e32 v0, vcc, 0x2000, v0
	v_addc_co_u32_e32 v1, vcc, 0, v1, vcc
	s_waitcnt lgkmcnt(0)
	flat_store_dwordx2 v[0:1], v[38:39] offset:1024
	s_endpgm
.LBB410_253:
	s_endpgm
	.section	.rodata,"a",@progbits
	.p2align	6, 0x0
	.amdhsa_kernel _ZN7rocprim17ROCPRIM_400000_NS6detail17trampoline_kernelINS0_14default_configENS1_27scan_by_key_config_selectorIxxEEZZNS1_16scan_by_key_implILNS1_25lookback_scan_determinismE0ELb1ES3_N6thrust23THRUST_200600_302600_NS6detail15normal_iteratorINS9_10device_ptrIxEEEESE_SE_xNS9_10multipliesIxEENS9_8equal_toIxEExEE10hipError_tPvRmT2_T3_T4_T5_mT6_T7_P12ihipStream_tbENKUlT_T0_E_clISt17integral_constantIbLb1EESY_IbLb0EEEEDaSU_SV_EUlSU_E_NS1_11comp_targetILNS1_3genE4ELNS1_11target_archE910ELNS1_3gpuE8ELNS1_3repE0EEENS1_30default_config_static_selectorELNS0_4arch9wavefront6targetE1EEEvT1_
		.amdhsa_group_segment_fixed_size 10752
		.amdhsa_private_segment_fixed_size 0
		.amdhsa_kernarg_size 136
		.amdhsa_user_sgpr_count 6
		.amdhsa_user_sgpr_private_segment_buffer 1
		.amdhsa_user_sgpr_dispatch_ptr 0
		.amdhsa_user_sgpr_queue_ptr 0
		.amdhsa_user_sgpr_kernarg_segment_ptr 1
		.amdhsa_user_sgpr_dispatch_id 0
		.amdhsa_user_sgpr_flat_scratch_init 0
		.amdhsa_user_sgpr_kernarg_preload_length 0
		.amdhsa_user_sgpr_kernarg_preload_offset 0
		.amdhsa_user_sgpr_private_segment_size 0
		.amdhsa_uses_dynamic_stack 0
		.amdhsa_system_sgpr_private_segment_wavefront_offset 0
		.amdhsa_system_sgpr_workgroup_id_x 1
		.amdhsa_system_sgpr_workgroup_id_y 0
		.amdhsa_system_sgpr_workgroup_id_z 0
		.amdhsa_system_sgpr_workgroup_info 0
		.amdhsa_system_vgpr_workitem_id 0
		.amdhsa_next_free_vgpr 117
		.amdhsa_next_free_sgpr 73
		.amdhsa_accum_offset 120
		.amdhsa_reserve_vcc 1
		.amdhsa_reserve_flat_scratch 0
		.amdhsa_float_round_mode_32 0
		.amdhsa_float_round_mode_16_64 0
		.amdhsa_float_denorm_mode_32 3
		.amdhsa_float_denorm_mode_16_64 3
		.amdhsa_dx10_clamp 1
		.amdhsa_ieee_mode 1
		.amdhsa_fp16_overflow 0
		.amdhsa_tg_split 0
		.amdhsa_exception_fp_ieee_invalid_op 0
		.amdhsa_exception_fp_denorm_src 0
		.amdhsa_exception_fp_ieee_div_zero 0
		.amdhsa_exception_fp_ieee_overflow 0
		.amdhsa_exception_fp_ieee_underflow 0
		.amdhsa_exception_fp_ieee_inexact 0
		.amdhsa_exception_int_div_zero 0
	.end_amdhsa_kernel
	.section	.text._ZN7rocprim17ROCPRIM_400000_NS6detail17trampoline_kernelINS0_14default_configENS1_27scan_by_key_config_selectorIxxEEZZNS1_16scan_by_key_implILNS1_25lookback_scan_determinismE0ELb1ES3_N6thrust23THRUST_200600_302600_NS6detail15normal_iteratorINS9_10device_ptrIxEEEESE_SE_xNS9_10multipliesIxEENS9_8equal_toIxEExEE10hipError_tPvRmT2_T3_T4_T5_mT6_T7_P12ihipStream_tbENKUlT_T0_E_clISt17integral_constantIbLb1EESY_IbLb0EEEEDaSU_SV_EUlSU_E_NS1_11comp_targetILNS1_3genE4ELNS1_11target_archE910ELNS1_3gpuE8ELNS1_3repE0EEENS1_30default_config_static_selectorELNS0_4arch9wavefront6targetE1EEEvT1_,"axG",@progbits,_ZN7rocprim17ROCPRIM_400000_NS6detail17trampoline_kernelINS0_14default_configENS1_27scan_by_key_config_selectorIxxEEZZNS1_16scan_by_key_implILNS1_25lookback_scan_determinismE0ELb1ES3_N6thrust23THRUST_200600_302600_NS6detail15normal_iteratorINS9_10device_ptrIxEEEESE_SE_xNS9_10multipliesIxEENS9_8equal_toIxEExEE10hipError_tPvRmT2_T3_T4_T5_mT6_T7_P12ihipStream_tbENKUlT_T0_E_clISt17integral_constantIbLb1EESY_IbLb0EEEEDaSU_SV_EUlSU_E_NS1_11comp_targetILNS1_3genE4ELNS1_11target_archE910ELNS1_3gpuE8ELNS1_3repE0EEENS1_30default_config_static_selectorELNS0_4arch9wavefront6targetE1EEEvT1_,comdat
.Lfunc_end410:
	.size	_ZN7rocprim17ROCPRIM_400000_NS6detail17trampoline_kernelINS0_14default_configENS1_27scan_by_key_config_selectorIxxEEZZNS1_16scan_by_key_implILNS1_25lookback_scan_determinismE0ELb1ES3_N6thrust23THRUST_200600_302600_NS6detail15normal_iteratorINS9_10device_ptrIxEEEESE_SE_xNS9_10multipliesIxEENS9_8equal_toIxEExEE10hipError_tPvRmT2_T3_T4_T5_mT6_T7_P12ihipStream_tbENKUlT_T0_E_clISt17integral_constantIbLb1EESY_IbLb0EEEEDaSU_SV_EUlSU_E_NS1_11comp_targetILNS1_3genE4ELNS1_11target_archE910ELNS1_3gpuE8ELNS1_3repE0EEENS1_30default_config_static_selectorELNS0_4arch9wavefront6targetE1EEEvT1_, .Lfunc_end410-_ZN7rocprim17ROCPRIM_400000_NS6detail17trampoline_kernelINS0_14default_configENS1_27scan_by_key_config_selectorIxxEEZZNS1_16scan_by_key_implILNS1_25lookback_scan_determinismE0ELb1ES3_N6thrust23THRUST_200600_302600_NS6detail15normal_iteratorINS9_10device_ptrIxEEEESE_SE_xNS9_10multipliesIxEENS9_8equal_toIxEExEE10hipError_tPvRmT2_T3_T4_T5_mT6_T7_P12ihipStream_tbENKUlT_T0_E_clISt17integral_constantIbLb1EESY_IbLb0EEEEDaSU_SV_EUlSU_E_NS1_11comp_targetILNS1_3genE4ELNS1_11target_archE910ELNS1_3gpuE8ELNS1_3repE0EEENS1_30default_config_static_selectorELNS0_4arch9wavefront6targetE1EEEvT1_
                                        ; -- End function
	.section	.AMDGPU.csdata,"",@progbits
; Kernel info:
; codeLenInByte = 18132
; NumSgprs: 77
; NumVgprs: 117
; NumAgprs: 0
; TotalNumVgprs: 117
; ScratchSize: 0
; MemoryBound: 0
; FloatMode: 240
; IeeeMode: 1
; LDSByteSize: 10752 bytes/workgroup (compile time only)
; SGPRBlocks: 9
; VGPRBlocks: 14
; NumSGPRsForWavesPerEU: 77
; NumVGPRsForWavesPerEU: 117
; AccumOffset: 120
; Occupancy: 2
; WaveLimiterHint : 1
; COMPUTE_PGM_RSRC2:SCRATCH_EN: 0
; COMPUTE_PGM_RSRC2:USER_SGPR: 6
; COMPUTE_PGM_RSRC2:TRAP_HANDLER: 0
; COMPUTE_PGM_RSRC2:TGID_X_EN: 1
; COMPUTE_PGM_RSRC2:TGID_Y_EN: 0
; COMPUTE_PGM_RSRC2:TGID_Z_EN: 0
; COMPUTE_PGM_RSRC2:TIDIG_COMP_CNT: 0
; COMPUTE_PGM_RSRC3_GFX90A:ACCUM_OFFSET: 29
; COMPUTE_PGM_RSRC3_GFX90A:TG_SPLIT: 0
	.section	.text._ZN7rocprim17ROCPRIM_400000_NS6detail17trampoline_kernelINS0_14default_configENS1_27scan_by_key_config_selectorIxxEEZZNS1_16scan_by_key_implILNS1_25lookback_scan_determinismE0ELb1ES3_N6thrust23THRUST_200600_302600_NS6detail15normal_iteratorINS9_10device_ptrIxEEEESE_SE_xNS9_10multipliesIxEENS9_8equal_toIxEExEE10hipError_tPvRmT2_T3_T4_T5_mT6_T7_P12ihipStream_tbENKUlT_T0_E_clISt17integral_constantIbLb1EESY_IbLb0EEEEDaSU_SV_EUlSU_E_NS1_11comp_targetILNS1_3genE3ELNS1_11target_archE908ELNS1_3gpuE7ELNS1_3repE0EEENS1_30default_config_static_selectorELNS0_4arch9wavefront6targetE1EEEvT1_,"axG",@progbits,_ZN7rocprim17ROCPRIM_400000_NS6detail17trampoline_kernelINS0_14default_configENS1_27scan_by_key_config_selectorIxxEEZZNS1_16scan_by_key_implILNS1_25lookback_scan_determinismE0ELb1ES3_N6thrust23THRUST_200600_302600_NS6detail15normal_iteratorINS9_10device_ptrIxEEEESE_SE_xNS9_10multipliesIxEENS9_8equal_toIxEExEE10hipError_tPvRmT2_T3_T4_T5_mT6_T7_P12ihipStream_tbENKUlT_T0_E_clISt17integral_constantIbLb1EESY_IbLb0EEEEDaSU_SV_EUlSU_E_NS1_11comp_targetILNS1_3genE3ELNS1_11target_archE908ELNS1_3gpuE7ELNS1_3repE0EEENS1_30default_config_static_selectorELNS0_4arch9wavefront6targetE1EEEvT1_,comdat
	.protected	_ZN7rocprim17ROCPRIM_400000_NS6detail17trampoline_kernelINS0_14default_configENS1_27scan_by_key_config_selectorIxxEEZZNS1_16scan_by_key_implILNS1_25lookback_scan_determinismE0ELb1ES3_N6thrust23THRUST_200600_302600_NS6detail15normal_iteratorINS9_10device_ptrIxEEEESE_SE_xNS9_10multipliesIxEENS9_8equal_toIxEExEE10hipError_tPvRmT2_T3_T4_T5_mT6_T7_P12ihipStream_tbENKUlT_T0_E_clISt17integral_constantIbLb1EESY_IbLb0EEEEDaSU_SV_EUlSU_E_NS1_11comp_targetILNS1_3genE3ELNS1_11target_archE908ELNS1_3gpuE7ELNS1_3repE0EEENS1_30default_config_static_selectorELNS0_4arch9wavefront6targetE1EEEvT1_ ; -- Begin function _ZN7rocprim17ROCPRIM_400000_NS6detail17trampoline_kernelINS0_14default_configENS1_27scan_by_key_config_selectorIxxEEZZNS1_16scan_by_key_implILNS1_25lookback_scan_determinismE0ELb1ES3_N6thrust23THRUST_200600_302600_NS6detail15normal_iteratorINS9_10device_ptrIxEEEESE_SE_xNS9_10multipliesIxEENS9_8equal_toIxEExEE10hipError_tPvRmT2_T3_T4_T5_mT6_T7_P12ihipStream_tbENKUlT_T0_E_clISt17integral_constantIbLb1EESY_IbLb0EEEEDaSU_SV_EUlSU_E_NS1_11comp_targetILNS1_3genE3ELNS1_11target_archE908ELNS1_3gpuE7ELNS1_3repE0EEENS1_30default_config_static_selectorELNS0_4arch9wavefront6targetE1EEEvT1_
	.globl	_ZN7rocprim17ROCPRIM_400000_NS6detail17trampoline_kernelINS0_14default_configENS1_27scan_by_key_config_selectorIxxEEZZNS1_16scan_by_key_implILNS1_25lookback_scan_determinismE0ELb1ES3_N6thrust23THRUST_200600_302600_NS6detail15normal_iteratorINS9_10device_ptrIxEEEESE_SE_xNS9_10multipliesIxEENS9_8equal_toIxEExEE10hipError_tPvRmT2_T3_T4_T5_mT6_T7_P12ihipStream_tbENKUlT_T0_E_clISt17integral_constantIbLb1EESY_IbLb0EEEEDaSU_SV_EUlSU_E_NS1_11comp_targetILNS1_3genE3ELNS1_11target_archE908ELNS1_3gpuE7ELNS1_3repE0EEENS1_30default_config_static_selectorELNS0_4arch9wavefront6targetE1EEEvT1_
	.p2align	8
	.type	_ZN7rocprim17ROCPRIM_400000_NS6detail17trampoline_kernelINS0_14default_configENS1_27scan_by_key_config_selectorIxxEEZZNS1_16scan_by_key_implILNS1_25lookback_scan_determinismE0ELb1ES3_N6thrust23THRUST_200600_302600_NS6detail15normal_iteratorINS9_10device_ptrIxEEEESE_SE_xNS9_10multipliesIxEENS9_8equal_toIxEExEE10hipError_tPvRmT2_T3_T4_T5_mT6_T7_P12ihipStream_tbENKUlT_T0_E_clISt17integral_constantIbLb1EESY_IbLb0EEEEDaSU_SV_EUlSU_E_NS1_11comp_targetILNS1_3genE3ELNS1_11target_archE908ELNS1_3gpuE7ELNS1_3repE0EEENS1_30default_config_static_selectorELNS0_4arch9wavefront6targetE1EEEvT1_,@function
_ZN7rocprim17ROCPRIM_400000_NS6detail17trampoline_kernelINS0_14default_configENS1_27scan_by_key_config_selectorIxxEEZZNS1_16scan_by_key_implILNS1_25lookback_scan_determinismE0ELb1ES3_N6thrust23THRUST_200600_302600_NS6detail15normal_iteratorINS9_10device_ptrIxEEEESE_SE_xNS9_10multipliesIxEENS9_8equal_toIxEExEE10hipError_tPvRmT2_T3_T4_T5_mT6_T7_P12ihipStream_tbENKUlT_T0_E_clISt17integral_constantIbLb1EESY_IbLb0EEEEDaSU_SV_EUlSU_E_NS1_11comp_targetILNS1_3genE3ELNS1_11target_archE908ELNS1_3gpuE7ELNS1_3repE0EEENS1_30default_config_static_selectorELNS0_4arch9wavefront6targetE1EEEvT1_: ; @_ZN7rocprim17ROCPRIM_400000_NS6detail17trampoline_kernelINS0_14default_configENS1_27scan_by_key_config_selectorIxxEEZZNS1_16scan_by_key_implILNS1_25lookback_scan_determinismE0ELb1ES3_N6thrust23THRUST_200600_302600_NS6detail15normal_iteratorINS9_10device_ptrIxEEEESE_SE_xNS9_10multipliesIxEENS9_8equal_toIxEExEE10hipError_tPvRmT2_T3_T4_T5_mT6_T7_P12ihipStream_tbENKUlT_T0_E_clISt17integral_constantIbLb1EESY_IbLb0EEEEDaSU_SV_EUlSU_E_NS1_11comp_targetILNS1_3genE3ELNS1_11target_archE908ELNS1_3gpuE7ELNS1_3repE0EEENS1_30default_config_static_selectorELNS0_4arch9wavefront6targetE1EEEvT1_
; %bb.0:
	.section	.rodata,"a",@progbits
	.p2align	6, 0x0
	.amdhsa_kernel _ZN7rocprim17ROCPRIM_400000_NS6detail17trampoline_kernelINS0_14default_configENS1_27scan_by_key_config_selectorIxxEEZZNS1_16scan_by_key_implILNS1_25lookback_scan_determinismE0ELb1ES3_N6thrust23THRUST_200600_302600_NS6detail15normal_iteratorINS9_10device_ptrIxEEEESE_SE_xNS9_10multipliesIxEENS9_8equal_toIxEExEE10hipError_tPvRmT2_T3_T4_T5_mT6_T7_P12ihipStream_tbENKUlT_T0_E_clISt17integral_constantIbLb1EESY_IbLb0EEEEDaSU_SV_EUlSU_E_NS1_11comp_targetILNS1_3genE3ELNS1_11target_archE908ELNS1_3gpuE7ELNS1_3repE0EEENS1_30default_config_static_selectorELNS0_4arch9wavefront6targetE1EEEvT1_
		.amdhsa_group_segment_fixed_size 0
		.amdhsa_private_segment_fixed_size 0
		.amdhsa_kernarg_size 136
		.amdhsa_user_sgpr_count 6
		.amdhsa_user_sgpr_private_segment_buffer 1
		.amdhsa_user_sgpr_dispatch_ptr 0
		.amdhsa_user_sgpr_queue_ptr 0
		.amdhsa_user_sgpr_kernarg_segment_ptr 1
		.amdhsa_user_sgpr_dispatch_id 0
		.amdhsa_user_sgpr_flat_scratch_init 0
		.amdhsa_user_sgpr_kernarg_preload_length 0
		.amdhsa_user_sgpr_kernarg_preload_offset 0
		.amdhsa_user_sgpr_private_segment_size 0
		.amdhsa_uses_dynamic_stack 0
		.amdhsa_system_sgpr_private_segment_wavefront_offset 0
		.amdhsa_system_sgpr_workgroup_id_x 1
		.amdhsa_system_sgpr_workgroup_id_y 0
		.amdhsa_system_sgpr_workgroup_id_z 0
		.amdhsa_system_sgpr_workgroup_info 0
		.amdhsa_system_vgpr_workitem_id 0
		.amdhsa_next_free_vgpr 1
		.amdhsa_next_free_sgpr 0
		.amdhsa_accum_offset 4
		.amdhsa_reserve_vcc 0
		.amdhsa_reserve_flat_scratch 0
		.amdhsa_float_round_mode_32 0
		.amdhsa_float_round_mode_16_64 0
		.amdhsa_float_denorm_mode_32 3
		.amdhsa_float_denorm_mode_16_64 3
		.amdhsa_dx10_clamp 1
		.amdhsa_ieee_mode 1
		.amdhsa_fp16_overflow 0
		.amdhsa_tg_split 0
		.amdhsa_exception_fp_ieee_invalid_op 0
		.amdhsa_exception_fp_denorm_src 0
		.amdhsa_exception_fp_ieee_div_zero 0
		.amdhsa_exception_fp_ieee_overflow 0
		.amdhsa_exception_fp_ieee_underflow 0
		.amdhsa_exception_fp_ieee_inexact 0
		.amdhsa_exception_int_div_zero 0
	.end_amdhsa_kernel
	.section	.text._ZN7rocprim17ROCPRIM_400000_NS6detail17trampoline_kernelINS0_14default_configENS1_27scan_by_key_config_selectorIxxEEZZNS1_16scan_by_key_implILNS1_25lookback_scan_determinismE0ELb1ES3_N6thrust23THRUST_200600_302600_NS6detail15normal_iteratorINS9_10device_ptrIxEEEESE_SE_xNS9_10multipliesIxEENS9_8equal_toIxEExEE10hipError_tPvRmT2_T3_T4_T5_mT6_T7_P12ihipStream_tbENKUlT_T0_E_clISt17integral_constantIbLb1EESY_IbLb0EEEEDaSU_SV_EUlSU_E_NS1_11comp_targetILNS1_3genE3ELNS1_11target_archE908ELNS1_3gpuE7ELNS1_3repE0EEENS1_30default_config_static_selectorELNS0_4arch9wavefront6targetE1EEEvT1_,"axG",@progbits,_ZN7rocprim17ROCPRIM_400000_NS6detail17trampoline_kernelINS0_14default_configENS1_27scan_by_key_config_selectorIxxEEZZNS1_16scan_by_key_implILNS1_25lookback_scan_determinismE0ELb1ES3_N6thrust23THRUST_200600_302600_NS6detail15normal_iteratorINS9_10device_ptrIxEEEESE_SE_xNS9_10multipliesIxEENS9_8equal_toIxEExEE10hipError_tPvRmT2_T3_T4_T5_mT6_T7_P12ihipStream_tbENKUlT_T0_E_clISt17integral_constantIbLb1EESY_IbLb0EEEEDaSU_SV_EUlSU_E_NS1_11comp_targetILNS1_3genE3ELNS1_11target_archE908ELNS1_3gpuE7ELNS1_3repE0EEENS1_30default_config_static_selectorELNS0_4arch9wavefront6targetE1EEEvT1_,comdat
.Lfunc_end411:
	.size	_ZN7rocprim17ROCPRIM_400000_NS6detail17trampoline_kernelINS0_14default_configENS1_27scan_by_key_config_selectorIxxEEZZNS1_16scan_by_key_implILNS1_25lookback_scan_determinismE0ELb1ES3_N6thrust23THRUST_200600_302600_NS6detail15normal_iteratorINS9_10device_ptrIxEEEESE_SE_xNS9_10multipliesIxEENS9_8equal_toIxEExEE10hipError_tPvRmT2_T3_T4_T5_mT6_T7_P12ihipStream_tbENKUlT_T0_E_clISt17integral_constantIbLb1EESY_IbLb0EEEEDaSU_SV_EUlSU_E_NS1_11comp_targetILNS1_3genE3ELNS1_11target_archE908ELNS1_3gpuE7ELNS1_3repE0EEENS1_30default_config_static_selectorELNS0_4arch9wavefront6targetE1EEEvT1_, .Lfunc_end411-_ZN7rocprim17ROCPRIM_400000_NS6detail17trampoline_kernelINS0_14default_configENS1_27scan_by_key_config_selectorIxxEEZZNS1_16scan_by_key_implILNS1_25lookback_scan_determinismE0ELb1ES3_N6thrust23THRUST_200600_302600_NS6detail15normal_iteratorINS9_10device_ptrIxEEEESE_SE_xNS9_10multipliesIxEENS9_8equal_toIxEExEE10hipError_tPvRmT2_T3_T4_T5_mT6_T7_P12ihipStream_tbENKUlT_T0_E_clISt17integral_constantIbLb1EESY_IbLb0EEEEDaSU_SV_EUlSU_E_NS1_11comp_targetILNS1_3genE3ELNS1_11target_archE908ELNS1_3gpuE7ELNS1_3repE0EEENS1_30default_config_static_selectorELNS0_4arch9wavefront6targetE1EEEvT1_
                                        ; -- End function
	.section	.AMDGPU.csdata,"",@progbits
; Kernel info:
; codeLenInByte = 0
; NumSgprs: 4
; NumVgprs: 0
; NumAgprs: 0
; TotalNumVgprs: 0
; ScratchSize: 0
; MemoryBound: 0
; FloatMode: 240
; IeeeMode: 1
; LDSByteSize: 0 bytes/workgroup (compile time only)
; SGPRBlocks: 0
; VGPRBlocks: 0
; NumSGPRsForWavesPerEU: 4
; NumVGPRsForWavesPerEU: 1
; AccumOffset: 4
; Occupancy: 8
; WaveLimiterHint : 0
; COMPUTE_PGM_RSRC2:SCRATCH_EN: 0
; COMPUTE_PGM_RSRC2:USER_SGPR: 6
; COMPUTE_PGM_RSRC2:TRAP_HANDLER: 0
; COMPUTE_PGM_RSRC2:TGID_X_EN: 1
; COMPUTE_PGM_RSRC2:TGID_Y_EN: 0
; COMPUTE_PGM_RSRC2:TGID_Z_EN: 0
; COMPUTE_PGM_RSRC2:TIDIG_COMP_CNT: 0
; COMPUTE_PGM_RSRC3_GFX90A:ACCUM_OFFSET: 0
; COMPUTE_PGM_RSRC3_GFX90A:TG_SPLIT: 0
	.section	.text._ZN7rocprim17ROCPRIM_400000_NS6detail17trampoline_kernelINS0_14default_configENS1_27scan_by_key_config_selectorIxxEEZZNS1_16scan_by_key_implILNS1_25lookback_scan_determinismE0ELb1ES3_N6thrust23THRUST_200600_302600_NS6detail15normal_iteratorINS9_10device_ptrIxEEEESE_SE_xNS9_10multipliesIxEENS9_8equal_toIxEExEE10hipError_tPvRmT2_T3_T4_T5_mT6_T7_P12ihipStream_tbENKUlT_T0_E_clISt17integral_constantIbLb1EESY_IbLb0EEEEDaSU_SV_EUlSU_E_NS1_11comp_targetILNS1_3genE2ELNS1_11target_archE906ELNS1_3gpuE6ELNS1_3repE0EEENS1_30default_config_static_selectorELNS0_4arch9wavefront6targetE1EEEvT1_,"axG",@progbits,_ZN7rocprim17ROCPRIM_400000_NS6detail17trampoline_kernelINS0_14default_configENS1_27scan_by_key_config_selectorIxxEEZZNS1_16scan_by_key_implILNS1_25lookback_scan_determinismE0ELb1ES3_N6thrust23THRUST_200600_302600_NS6detail15normal_iteratorINS9_10device_ptrIxEEEESE_SE_xNS9_10multipliesIxEENS9_8equal_toIxEExEE10hipError_tPvRmT2_T3_T4_T5_mT6_T7_P12ihipStream_tbENKUlT_T0_E_clISt17integral_constantIbLb1EESY_IbLb0EEEEDaSU_SV_EUlSU_E_NS1_11comp_targetILNS1_3genE2ELNS1_11target_archE906ELNS1_3gpuE6ELNS1_3repE0EEENS1_30default_config_static_selectorELNS0_4arch9wavefront6targetE1EEEvT1_,comdat
	.protected	_ZN7rocprim17ROCPRIM_400000_NS6detail17trampoline_kernelINS0_14default_configENS1_27scan_by_key_config_selectorIxxEEZZNS1_16scan_by_key_implILNS1_25lookback_scan_determinismE0ELb1ES3_N6thrust23THRUST_200600_302600_NS6detail15normal_iteratorINS9_10device_ptrIxEEEESE_SE_xNS9_10multipliesIxEENS9_8equal_toIxEExEE10hipError_tPvRmT2_T3_T4_T5_mT6_T7_P12ihipStream_tbENKUlT_T0_E_clISt17integral_constantIbLb1EESY_IbLb0EEEEDaSU_SV_EUlSU_E_NS1_11comp_targetILNS1_3genE2ELNS1_11target_archE906ELNS1_3gpuE6ELNS1_3repE0EEENS1_30default_config_static_selectorELNS0_4arch9wavefront6targetE1EEEvT1_ ; -- Begin function _ZN7rocprim17ROCPRIM_400000_NS6detail17trampoline_kernelINS0_14default_configENS1_27scan_by_key_config_selectorIxxEEZZNS1_16scan_by_key_implILNS1_25lookback_scan_determinismE0ELb1ES3_N6thrust23THRUST_200600_302600_NS6detail15normal_iteratorINS9_10device_ptrIxEEEESE_SE_xNS9_10multipliesIxEENS9_8equal_toIxEExEE10hipError_tPvRmT2_T3_T4_T5_mT6_T7_P12ihipStream_tbENKUlT_T0_E_clISt17integral_constantIbLb1EESY_IbLb0EEEEDaSU_SV_EUlSU_E_NS1_11comp_targetILNS1_3genE2ELNS1_11target_archE906ELNS1_3gpuE6ELNS1_3repE0EEENS1_30default_config_static_selectorELNS0_4arch9wavefront6targetE1EEEvT1_
	.globl	_ZN7rocprim17ROCPRIM_400000_NS6detail17trampoline_kernelINS0_14default_configENS1_27scan_by_key_config_selectorIxxEEZZNS1_16scan_by_key_implILNS1_25lookback_scan_determinismE0ELb1ES3_N6thrust23THRUST_200600_302600_NS6detail15normal_iteratorINS9_10device_ptrIxEEEESE_SE_xNS9_10multipliesIxEENS9_8equal_toIxEExEE10hipError_tPvRmT2_T3_T4_T5_mT6_T7_P12ihipStream_tbENKUlT_T0_E_clISt17integral_constantIbLb1EESY_IbLb0EEEEDaSU_SV_EUlSU_E_NS1_11comp_targetILNS1_3genE2ELNS1_11target_archE906ELNS1_3gpuE6ELNS1_3repE0EEENS1_30default_config_static_selectorELNS0_4arch9wavefront6targetE1EEEvT1_
	.p2align	8
	.type	_ZN7rocprim17ROCPRIM_400000_NS6detail17trampoline_kernelINS0_14default_configENS1_27scan_by_key_config_selectorIxxEEZZNS1_16scan_by_key_implILNS1_25lookback_scan_determinismE0ELb1ES3_N6thrust23THRUST_200600_302600_NS6detail15normal_iteratorINS9_10device_ptrIxEEEESE_SE_xNS9_10multipliesIxEENS9_8equal_toIxEExEE10hipError_tPvRmT2_T3_T4_T5_mT6_T7_P12ihipStream_tbENKUlT_T0_E_clISt17integral_constantIbLb1EESY_IbLb0EEEEDaSU_SV_EUlSU_E_NS1_11comp_targetILNS1_3genE2ELNS1_11target_archE906ELNS1_3gpuE6ELNS1_3repE0EEENS1_30default_config_static_selectorELNS0_4arch9wavefront6targetE1EEEvT1_,@function
_ZN7rocprim17ROCPRIM_400000_NS6detail17trampoline_kernelINS0_14default_configENS1_27scan_by_key_config_selectorIxxEEZZNS1_16scan_by_key_implILNS1_25lookback_scan_determinismE0ELb1ES3_N6thrust23THRUST_200600_302600_NS6detail15normal_iteratorINS9_10device_ptrIxEEEESE_SE_xNS9_10multipliesIxEENS9_8equal_toIxEExEE10hipError_tPvRmT2_T3_T4_T5_mT6_T7_P12ihipStream_tbENKUlT_T0_E_clISt17integral_constantIbLb1EESY_IbLb0EEEEDaSU_SV_EUlSU_E_NS1_11comp_targetILNS1_3genE2ELNS1_11target_archE906ELNS1_3gpuE6ELNS1_3repE0EEENS1_30default_config_static_selectorELNS0_4arch9wavefront6targetE1EEEvT1_: ; @_ZN7rocprim17ROCPRIM_400000_NS6detail17trampoline_kernelINS0_14default_configENS1_27scan_by_key_config_selectorIxxEEZZNS1_16scan_by_key_implILNS1_25lookback_scan_determinismE0ELb1ES3_N6thrust23THRUST_200600_302600_NS6detail15normal_iteratorINS9_10device_ptrIxEEEESE_SE_xNS9_10multipliesIxEENS9_8equal_toIxEExEE10hipError_tPvRmT2_T3_T4_T5_mT6_T7_P12ihipStream_tbENKUlT_T0_E_clISt17integral_constantIbLb1EESY_IbLb0EEEEDaSU_SV_EUlSU_E_NS1_11comp_targetILNS1_3genE2ELNS1_11target_archE906ELNS1_3gpuE6ELNS1_3repE0EEENS1_30default_config_static_selectorELNS0_4arch9wavefront6targetE1EEEvT1_
; %bb.0:
	.section	.rodata,"a",@progbits
	.p2align	6, 0x0
	.amdhsa_kernel _ZN7rocprim17ROCPRIM_400000_NS6detail17trampoline_kernelINS0_14default_configENS1_27scan_by_key_config_selectorIxxEEZZNS1_16scan_by_key_implILNS1_25lookback_scan_determinismE0ELb1ES3_N6thrust23THRUST_200600_302600_NS6detail15normal_iteratorINS9_10device_ptrIxEEEESE_SE_xNS9_10multipliesIxEENS9_8equal_toIxEExEE10hipError_tPvRmT2_T3_T4_T5_mT6_T7_P12ihipStream_tbENKUlT_T0_E_clISt17integral_constantIbLb1EESY_IbLb0EEEEDaSU_SV_EUlSU_E_NS1_11comp_targetILNS1_3genE2ELNS1_11target_archE906ELNS1_3gpuE6ELNS1_3repE0EEENS1_30default_config_static_selectorELNS0_4arch9wavefront6targetE1EEEvT1_
		.amdhsa_group_segment_fixed_size 0
		.amdhsa_private_segment_fixed_size 0
		.amdhsa_kernarg_size 136
		.amdhsa_user_sgpr_count 6
		.amdhsa_user_sgpr_private_segment_buffer 1
		.amdhsa_user_sgpr_dispatch_ptr 0
		.amdhsa_user_sgpr_queue_ptr 0
		.amdhsa_user_sgpr_kernarg_segment_ptr 1
		.amdhsa_user_sgpr_dispatch_id 0
		.amdhsa_user_sgpr_flat_scratch_init 0
		.amdhsa_user_sgpr_kernarg_preload_length 0
		.amdhsa_user_sgpr_kernarg_preload_offset 0
		.amdhsa_user_sgpr_private_segment_size 0
		.amdhsa_uses_dynamic_stack 0
		.amdhsa_system_sgpr_private_segment_wavefront_offset 0
		.amdhsa_system_sgpr_workgroup_id_x 1
		.amdhsa_system_sgpr_workgroup_id_y 0
		.amdhsa_system_sgpr_workgroup_id_z 0
		.amdhsa_system_sgpr_workgroup_info 0
		.amdhsa_system_vgpr_workitem_id 0
		.amdhsa_next_free_vgpr 1
		.amdhsa_next_free_sgpr 0
		.amdhsa_accum_offset 4
		.amdhsa_reserve_vcc 0
		.amdhsa_reserve_flat_scratch 0
		.amdhsa_float_round_mode_32 0
		.amdhsa_float_round_mode_16_64 0
		.amdhsa_float_denorm_mode_32 3
		.amdhsa_float_denorm_mode_16_64 3
		.amdhsa_dx10_clamp 1
		.amdhsa_ieee_mode 1
		.amdhsa_fp16_overflow 0
		.amdhsa_tg_split 0
		.amdhsa_exception_fp_ieee_invalid_op 0
		.amdhsa_exception_fp_denorm_src 0
		.amdhsa_exception_fp_ieee_div_zero 0
		.amdhsa_exception_fp_ieee_overflow 0
		.amdhsa_exception_fp_ieee_underflow 0
		.amdhsa_exception_fp_ieee_inexact 0
		.amdhsa_exception_int_div_zero 0
	.end_amdhsa_kernel
	.section	.text._ZN7rocprim17ROCPRIM_400000_NS6detail17trampoline_kernelINS0_14default_configENS1_27scan_by_key_config_selectorIxxEEZZNS1_16scan_by_key_implILNS1_25lookback_scan_determinismE0ELb1ES3_N6thrust23THRUST_200600_302600_NS6detail15normal_iteratorINS9_10device_ptrIxEEEESE_SE_xNS9_10multipliesIxEENS9_8equal_toIxEExEE10hipError_tPvRmT2_T3_T4_T5_mT6_T7_P12ihipStream_tbENKUlT_T0_E_clISt17integral_constantIbLb1EESY_IbLb0EEEEDaSU_SV_EUlSU_E_NS1_11comp_targetILNS1_3genE2ELNS1_11target_archE906ELNS1_3gpuE6ELNS1_3repE0EEENS1_30default_config_static_selectorELNS0_4arch9wavefront6targetE1EEEvT1_,"axG",@progbits,_ZN7rocprim17ROCPRIM_400000_NS6detail17trampoline_kernelINS0_14default_configENS1_27scan_by_key_config_selectorIxxEEZZNS1_16scan_by_key_implILNS1_25lookback_scan_determinismE0ELb1ES3_N6thrust23THRUST_200600_302600_NS6detail15normal_iteratorINS9_10device_ptrIxEEEESE_SE_xNS9_10multipliesIxEENS9_8equal_toIxEExEE10hipError_tPvRmT2_T3_T4_T5_mT6_T7_P12ihipStream_tbENKUlT_T0_E_clISt17integral_constantIbLb1EESY_IbLb0EEEEDaSU_SV_EUlSU_E_NS1_11comp_targetILNS1_3genE2ELNS1_11target_archE906ELNS1_3gpuE6ELNS1_3repE0EEENS1_30default_config_static_selectorELNS0_4arch9wavefront6targetE1EEEvT1_,comdat
.Lfunc_end412:
	.size	_ZN7rocprim17ROCPRIM_400000_NS6detail17trampoline_kernelINS0_14default_configENS1_27scan_by_key_config_selectorIxxEEZZNS1_16scan_by_key_implILNS1_25lookback_scan_determinismE0ELb1ES3_N6thrust23THRUST_200600_302600_NS6detail15normal_iteratorINS9_10device_ptrIxEEEESE_SE_xNS9_10multipliesIxEENS9_8equal_toIxEExEE10hipError_tPvRmT2_T3_T4_T5_mT6_T7_P12ihipStream_tbENKUlT_T0_E_clISt17integral_constantIbLb1EESY_IbLb0EEEEDaSU_SV_EUlSU_E_NS1_11comp_targetILNS1_3genE2ELNS1_11target_archE906ELNS1_3gpuE6ELNS1_3repE0EEENS1_30default_config_static_selectorELNS0_4arch9wavefront6targetE1EEEvT1_, .Lfunc_end412-_ZN7rocprim17ROCPRIM_400000_NS6detail17trampoline_kernelINS0_14default_configENS1_27scan_by_key_config_selectorIxxEEZZNS1_16scan_by_key_implILNS1_25lookback_scan_determinismE0ELb1ES3_N6thrust23THRUST_200600_302600_NS6detail15normal_iteratorINS9_10device_ptrIxEEEESE_SE_xNS9_10multipliesIxEENS9_8equal_toIxEExEE10hipError_tPvRmT2_T3_T4_T5_mT6_T7_P12ihipStream_tbENKUlT_T0_E_clISt17integral_constantIbLb1EESY_IbLb0EEEEDaSU_SV_EUlSU_E_NS1_11comp_targetILNS1_3genE2ELNS1_11target_archE906ELNS1_3gpuE6ELNS1_3repE0EEENS1_30default_config_static_selectorELNS0_4arch9wavefront6targetE1EEEvT1_
                                        ; -- End function
	.section	.AMDGPU.csdata,"",@progbits
; Kernel info:
; codeLenInByte = 0
; NumSgprs: 4
; NumVgprs: 0
; NumAgprs: 0
; TotalNumVgprs: 0
; ScratchSize: 0
; MemoryBound: 0
; FloatMode: 240
; IeeeMode: 1
; LDSByteSize: 0 bytes/workgroup (compile time only)
; SGPRBlocks: 0
; VGPRBlocks: 0
; NumSGPRsForWavesPerEU: 4
; NumVGPRsForWavesPerEU: 1
; AccumOffset: 4
; Occupancy: 8
; WaveLimiterHint : 0
; COMPUTE_PGM_RSRC2:SCRATCH_EN: 0
; COMPUTE_PGM_RSRC2:USER_SGPR: 6
; COMPUTE_PGM_RSRC2:TRAP_HANDLER: 0
; COMPUTE_PGM_RSRC2:TGID_X_EN: 1
; COMPUTE_PGM_RSRC2:TGID_Y_EN: 0
; COMPUTE_PGM_RSRC2:TGID_Z_EN: 0
; COMPUTE_PGM_RSRC2:TIDIG_COMP_CNT: 0
; COMPUTE_PGM_RSRC3_GFX90A:ACCUM_OFFSET: 0
; COMPUTE_PGM_RSRC3_GFX90A:TG_SPLIT: 0
	.section	.text._ZN7rocprim17ROCPRIM_400000_NS6detail17trampoline_kernelINS0_14default_configENS1_27scan_by_key_config_selectorIxxEEZZNS1_16scan_by_key_implILNS1_25lookback_scan_determinismE0ELb1ES3_N6thrust23THRUST_200600_302600_NS6detail15normal_iteratorINS9_10device_ptrIxEEEESE_SE_xNS9_10multipliesIxEENS9_8equal_toIxEExEE10hipError_tPvRmT2_T3_T4_T5_mT6_T7_P12ihipStream_tbENKUlT_T0_E_clISt17integral_constantIbLb1EESY_IbLb0EEEEDaSU_SV_EUlSU_E_NS1_11comp_targetILNS1_3genE10ELNS1_11target_archE1200ELNS1_3gpuE4ELNS1_3repE0EEENS1_30default_config_static_selectorELNS0_4arch9wavefront6targetE1EEEvT1_,"axG",@progbits,_ZN7rocprim17ROCPRIM_400000_NS6detail17trampoline_kernelINS0_14default_configENS1_27scan_by_key_config_selectorIxxEEZZNS1_16scan_by_key_implILNS1_25lookback_scan_determinismE0ELb1ES3_N6thrust23THRUST_200600_302600_NS6detail15normal_iteratorINS9_10device_ptrIxEEEESE_SE_xNS9_10multipliesIxEENS9_8equal_toIxEExEE10hipError_tPvRmT2_T3_T4_T5_mT6_T7_P12ihipStream_tbENKUlT_T0_E_clISt17integral_constantIbLb1EESY_IbLb0EEEEDaSU_SV_EUlSU_E_NS1_11comp_targetILNS1_3genE10ELNS1_11target_archE1200ELNS1_3gpuE4ELNS1_3repE0EEENS1_30default_config_static_selectorELNS0_4arch9wavefront6targetE1EEEvT1_,comdat
	.protected	_ZN7rocprim17ROCPRIM_400000_NS6detail17trampoline_kernelINS0_14default_configENS1_27scan_by_key_config_selectorIxxEEZZNS1_16scan_by_key_implILNS1_25lookback_scan_determinismE0ELb1ES3_N6thrust23THRUST_200600_302600_NS6detail15normal_iteratorINS9_10device_ptrIxEEEESE_SE_xNS9_10multipliesIxEENS9_8equal_toIxEExEE10hipError_tPvRmT2_T3_T4_T5_mT6_T7_P12ihipStream_tbENKUlT_T0_E_clISt17integral_constantIbLb1EESY_IbLb0EEEEDaSU_SV_EUlSU_E_NS1_11comp_targetILNS1_3genE10ELNS1_11target_archE1200ELNS1_3gpuE4ELNS1_3repE0EEENS1_30default_config_static_selectorELNS0_4arch9wavefront6targetE1EEEvT1_ ; -- Begin function _ZN7rocprim17ROCPRIM_400000_NS6detail17trampoline_kernelINS0_14default_configENS1_27scan_by_key_config_selectorIxxEEZZNS1_16scan_by_key_implILNS1_25lookback_scan_determinismE0ELb1ES3_N6thrust23THRUST_200600_302600_NS6detail15normal_iteratorINS9_10device_ptrIxEEEESE_SE_xNS9_10multipliesIxEENS9_8equal_toIxEExEE10hipError_tPvRmT2_T3_T4_T5_mT6_T7_P12ihipStream_tbENKUlT_T0_E_clISt17integral_constantIbLb1EESY_IbLb0EEEEDaSU_SV_EUlSU_E_NS1_11comp_targetILNS1_3genE10ELNS1_11target_archE1200ELNS1_3gpuE4ELNS1_3repE0EEENS1_30default_config_static_selectorELNS0_4arch9wavefront6targetE1EEEvT1_
	.globl	_ZN7rocprim17ROCPRIM_400000_NS6detail17trampoline_kernelINS0_14default_configENS1_27scan_by_key_config_selectorIxxEEZZNS1_16scan_by_key_implILNS1_25lookback_scan_determinismE0ELb1ES3_N6thrust23THRUST_200600_302600_NS6detail15normal_iteratorINS9_10device_ptrIxEEEESE_SE_xNS9_10multipliesIxEENS9_8equal_toIxEExEE10hipError_tPvRmT2_T3_T4_T5_mT6_T7_P12ihipStream_tbENKUlT_T0_E_clISt17integral_constantIbLb1EESY_IbLb0EEEEDaSU_SV_EUlSU_E_NS1_11comp_targetILNS1_3genE10ELNS1_11target_archE1200ELNS1_3gpuE4ELNS1_3repE0EEENS1_30default_config_static_selectorELNS0_4arch9wavefront6targetE1EEEvT1_
	.p2align	8
	.type	_ZN7rocprim17ROCPRIM_400000_NS6detail17trampoline_kernelINS0_14default_configENS1_27scan_by_key_config_selectorIxxEEZZNS1_16scan_by_key_implILNS1_25lookback_scan_determinismE0ELb1ES3_N6thrust23THRUST_200600_302600_NS6detail15normal_iteratorINS9_10device_ptrIxEEEESE_SE_xNS9_10multipliesIxEENS9_8equal_toIxEExEE10hipError_tPvRmT2_T3_T4_T5_mT6_T7_P12ihipStream_tbENKUlT_T0_E_clISt17integral_constantIbLb1EESY_IbLb0EEEEDaSU_SV_EUlSU_E_NS1_11comp_targetILNS1_3genE10ELNS1_11target_archE1200ELNS1_3gpuE4ELNS1_3repE0EEENS1_30default_config_static_selectorELNS0_4arch9wavefront6targetE1EEEvT1_,@function
_ZN7rocprim17ROCPRIM_400000_NS6detail17trampoline_kernelINS0_14default_configENS1_27scan_by_key_config_selectorIxxEEZZNS1_16scan_by_key_implILNS1_25lookback_scan_determinismE0ELb1ES3_N6thrust23THRUST_200600_302600_NS6detail15normal_iteratorINS9_10device_ptrIxEEEESE_SE_xNS9_10multipliesIxEENS9_8equal_toIxEExEE10hipError_tPvRmT2_T3_T4_T5_mT6_T7_P12ihipStream_tbENKUlT_T0_E_clISt17integral_constantIbLb1EESY_IbLb0EEEEDaSU_SV_EUlSU_E_NS1_11comp_targetILNS1_3genE10ELNS1_11target_archE1200ELNS1_3gpuE4ELNS1_3repE0EEENS1_30default_config_static_selectorELNS0_4arch9wavefront6targetE1EEEvT1_: ; @_ZN7rocprim17ROCPRIM_400000_NS6detail17trampoline_kernelINS0_14default_configENS1_27scan_by_key_config_selectorIxxEEZZNS1_16scan_by_key_implILNS1_25lookback_scan_determinismE0ELb1ES3_N6thrust23THRUST_200600_302600_NS6detail15normal_iteratorINS9_10device_ptrIxEEEESE_SE_xNS9_10multipliesIxEENS9_8equal_toIxEExEE10hipError_tPvRmT2_T3_T4_T5_mT6_T7_P12ihipStream_tbENKUlT_T0_E_clISt17integral_constantIbLb1EESY_IbLb0EEEEDaSU_SV_EUlSU_E_NS1_11comp_targetILNS1_3genE10ELNS1_11target_archE1200ELNS1_3gpuE4ELNS1_3repE0EEENS1_30default_config_static_selectorELNS0_4arch9wavefront6targetE1EEEvT1_
; %bb.0:
	.section	.rodata,"a",@progbits
	.p2align	6, 0x0
	.amdhsa_kernel _ZN7rocprim17ROCPRIM_400000_NS6detail17trampoline_kernelINS0_14default_configENS1_27scan_by_key_config_selectorIxxEEZZNS1_16scan_by_key_implILNS1_25lookback_scan_determinismE0ELb1ES3_N6thrust23THRUST_200600_302600_NS6detail15normal_iteratorINS9_10device_ptrIxEEEESE_SE_xNS9_10multipliesIxEENS9_8equal_toIxEExEE10hipError_tPvRmT2_T3_T4_T5_mT6_T7_P12ihipStream_tbENKUlT_T0_E_clISt17integral_constantIbLb1EESY_IbLb0EEEEDaSU_SV_EUlSU_E_NS1_11comp_targetILNS1_3genE10ELNS1_11target_archE1200ELNS1_3gpuE4ELNS1_3repE0EEENS1_30default_config_static_selectorELNS0_4arch9wavefront6targetE1EEEvT1_
		.amdhsa_group_segment_fixed_size 0
		.amdhsa_private_segment_fixed_size 0
		.amdhsa_kernarg_size 136
		.amdhsa_user_sgpr_count 6
		.amdhsa_user_sgpr_private_segment_buffer 1
		.amdhsa_user_sgpr_dispatch_ptr 0
		.amdhsa_user_sgpr_queue_ptr 0
		.amdhsa_user_sgpr_kernarg_segment_ptr 1
		.amdhsa_user_sgpr_dispatch_id 0
		.amdhsa_user_sgpr_flat_scratch_init 0
		.amdhsa_user_sgpr_kernarg_preload_length 0
		.amdhsa_user_sgpr_kernarg_preload_offset 0
		.amdhsa_user_sgpr_private_segment_size 0
		.amdhsa_uses_dynamic_stack 0
		.amdhsa_system_sgpr_private_segment_wavefront_offset 0
		.amdhsa_system_sgpr_workgroup_id_x 1
		.amdhsa_system_sgpr_workgroup_id_y 0
		.amdhsa_system_sgpr_workgroup_id_z 0
		.amdhsa_system_sgpr_workgroup_info 0
		.amdhsa_system_vgpr_workitem_id 0
		.amdhsa_next_free_vgpr 1
		.amdhsa_next_free_sgpr 0
		.amdhsa_accum_offset 4
		.amdhsa_reserve_vcc 0
		.amdhsa_reserve_flat_scratch 0
		.amdhsa_float_round_mode_32 0
		.amdhsa_float_round_mode_16_64 0
		.amdhsa_float_denorm_mode_32 3
		.amdhsa_float_denorm_mode_16_64 3
		.amdhsa_dx10_clamp 1
		.amdhsa_ieee_mode 1
		.amdhsa_fp16_overflow 0
		.amdhsa_tg_split 0
		.amdhsa_exception_fp_ieee_invalid_op 0
		.amdhsa_exception_fp_denorm_src 0
		.amdhsa_exception_fp_ieee_div_zero 0
		.amdhsa_exception_fp_ieee_overflow 0
		.amdhsa_exception_fp_ieee_underflow 0
		.amdhsa_exception_fp_ieee_inexact 0
		.amdhsa_exception_int_div_zero 0
	.end_amdhsa_kernel
	.section	.text._ZN7rocprim17ROCPRIM_400000_NS6detail17trampoline_kernelINS0_14default_configENS1_27scan_by_key_config_selectorIxxEEZZNS1_16scan_by_key_implILNS1_25lookback_scan_determinismE0ELb1ES3_N6thrust23THRUST_200600_302600_NS6detail15normal_iteratorINS9_10device_ptrIxEEEESE_SE_xNS9_10multipliesIxEENS9_8equal_toIxEExEE10hipError_tPvRmT2_T3_T4_T5_mT6_T7_P12ihipStream_tbENKUlT_T0_E_clISt17integral_constantIbLb1EESY_IbLb0EEEEDaSU_SV_EUlSU_E_NS1_11comp_targetILNS1_3genE10ELNS1_11target_archE1200ELNS1_3gpuE4ELNS1_3repE0EEENS1_30default_config_static_selectorELNS0_4arch9wavefront6targetE1EEEvT1_,"axG",@progbits,_ZN7rocprim17ROCPRIM_400000_NS6detail17trampoline_kernelINS0_14default_configENS1_27scan_by_key_config_selectorIxxEEZZNS1_16scan_by_key_implILNS1_25lookback_scan_determinismE0ELb1ES3_N6thrust23THRUST_200600_302600_NS6detail15normal_iteratorINS9_10device_ptrIxEEEESE_SE_xNS9_10multipliesIxEENS9_8equal_toIxEExEE10hipError_tPvRmT2_T3_T4_T5_mT6_T7_P12ihipStream_tbENKUlT_T0_E_clISt17integral_constantIbLb1EESY_IbLb0EEEEDaSU_SV_EUlSU_E_NS1_11comp_targetILNS1_3genE10ELNS1_11target_archE1200ELNS1_3gpuE4ELNS1_3repE0EEENS1_30default_config_static_selectorELNS0_4arch9wavefront6targetE1EEEvT1_,comdat
.Lfunc_end413:
	.size	_ZN7rocprim17ROCPRIM_400000_NS6detail17trampoline_kernelINS0_14default_configENS1_27scan_by_key_config_selectorIxxEEZZNS1_16scan_by_key_implILNS1_25lookback_scan_determinismE0ELb1ES3_N6thrust23THRUST_200600_302600_NS6detail15normal_iteratorINS9_10device_ptrIxEEEESE_SE_xNS9_10multipliesIxEENS9_8equal_toIxEExEE10hipError_tPvRmT2_T3_T4_T5_mT6_T7_P12ihipStream_tbENKUlT_T0_E_clISt17integral_constantIbLb1EESY_IbLb0EEEEDaSU_SV_EUlSU_E_NS1_11comp_targetILNS1_3genE10ELNS1_11target_archE1200ELNS1_3gpuE4ELNS1_3repE0EEENS1_30default_config_static_selectorELNS0_4arch9wavefront6targetE1EEEvT1_, .Lfunc_end413-_ZN7rocprim17ROCPRIM_400000_NS6detail17trampoline_kernelINS0_14default_configENS1_27scan_by_key_config_selectorIxxEEZZNS1_16scan_by_key_implILNS1_25lookback_scan_determinismE0ELb1ES3_N6thrust23THRUST_200600_302600_NS6detail15normal_iteratorINS9_10device_ptrIxEEEESE_SE_xNS9_10multipliesIxEENS9_8equal_toIxEExEE10hipError_tPvRmT2_T3_T4_T5_mT6_T7_P12ihipStream_tbENKUlT_T0_E_clISt17integral_constantIbLb1EESY_IbLb0EEEEDaSU_SV_EUlSU_E_NS1_11comp_targetILNS1_3genE10ELNS1_11target_archE1200ELNS1_3gpuE4ELNS1_3repE0EEENS1_30default_config_static_selectorELNS0_4arch9wavefront6targetE1EEEvT1_
                                        ; -- End function
	.section	.AMDGPU.csdata,"",@progbits
; Kernel info:
; codeLenInByte = 0
; NumSgprs: 4
; NumVgprs: 0
; NumAgprs: 0
; TotalNumVgprs: 0
; ScratchSize: 0
; MemoryBound: 0
; FloatMode: 240
; IeeeMode: 1
; LDSByteSize: 0 bytes/workgroup (compile time only)
; SGPRBlocks: 0
; VGPRBlocks: 0
; NumSGPRsForWavesPerEU: 4
; NumVGPRsForWavesPerEU: 1
; AccumOffset: 4
; Occupancy: 8
; WaveLimiterHint : 0
; COMPUTE_PGM_RSRC2:SCRATCH_EN: 0
; COMPUTE_PGM_RSRC2:USER_SGPR: 6
; COMPUTE_PGM_RSRC2:TRAP_HANDLER: 0
; COMPUTE_PGM_RSRC2:TGID_X_EN: 1
; COMPUTE_PGM_RSRC2:TGID_Y_EN: 0
; COMPUTE_PGM_RSRC2:TGID_Z_EN: 0
; COMPUTE_PGM_RSRC2:TIDIG_COMP_CNT: 0
; COMPUTE_PGM_RSRC3_GFX90A:ACCUM_OFFSET: 0
; COMPUTE_PGM_RSRC3_GFX90A:TG_SPLIT: 0
	.section	.text._ZN7rocprim17ROCPRIM_400000_NS6detail17trampoline_kernelINS0_14default_configENS1_27scan_by_key_config_selectorIxxEEZZNS1_16scan_by_key_implILNS1_25lookback_scan_determinismE0ELb1ES3_N6thrust23THRUST_200600_302600_NS6detail15normal_iteratorINS9_10device_ptrIxEEEESE_SE_xNS9_10multipliesIxEENS9_8equal_toIxEExEE10hipError_tPvRmT2_T3_T4_T5_mT6_T7_P12ihipStream_tbENKUlT_T0_E_clISt17integral_constantIbLb1EESY_IbLb0EEEEDaSU_SV_EUlSU_E_NS1_11comp_targetILNS1_3genE9ELNS1_11target_archE1100ELNS1_3gpuE3ELNS1_3repE0EEENS1_30default_config_static_selectorELNS0_4arch9wavefront6targetE1EEEvT1_,"axG",@progbits,_ZN7rocprim17ROCPRIM_400000_NS6detail17trampoline_kernelINS0_14default_configENS1_27scan_by_key_config_selectorIxxEEZZNS1_16scan_by_key_implILNS1_25lookback_scan_determinismE0ELb1ES3_N6thrust23THRUST_200600_302600_NS6detail15normal_iteratorINS9_10device_ptrIxEEEESE_SE_xNS9_10multipliesIxEENS9_8equal_toIxEExEE10hipError_tPvRmT2_T3_T4_T5_mT6_T7_P12ihipStream_tbENKUlT_T0_E_clISt17integral_constantIbLb1EESY_IbLb0EEEEDaSU_SV_EUlSU_E_NS1_11comp_targetILNS1_3genE9ELNS1_11target_archE1100ELNS1_3gpuE3ELNS1_3repE0EEENS1_30default_config_static_selectorELNS0_4arch9wavefront6targetE1EEEvT1_,comdat
	.protected	_ZN7rocprim17ROCPRIM_400000_NS6detail17trampoline_kernelINS0_14default_configENS1_27scan_by_key_config_selectorIxxEEZZNS1_16scan_by_key_implILNS1_25lookback_scan_determinismE0ELb1ES3_N6thrust23THRUST_200600_302600_NS6detail15normal_iteratorINS9_10device_ptrIxEEEESE_SE_xNS9_10multipliesIxEENS9_8equal_toIxEExEE10hipError_tPvRmT2_T3_T4_T5_mT6_T7_P12ihipStream_tbENKUlT_T0_E_clISt17integral_constantIbLb1EESY_IbLb0EEEEDaSU_SV_EUlSU_E_NS1_11comp_targetILNS1_3genE9ELNS1_11target_archE1100ELNS1_3gpuE3ELNS1_3repE0EEENS1_30default_config_static_selectorELNS0_4arch9wavefront6targetE1EEEvT1_ ; -- Begin function _ZN7rocprim17ROCPRIM_400000_NS6detail17trampoline_kernelINS0_14default_configENS1_27scan_by_key_config_selectorIxxEEZZNS1_16scan_by_key_implILNS1_25lookback_scan_determinismE0ELb1ES3_N6thrust23THRUST_200600_302600_NS6detail15normal_iteratorINS9_10device_ptrIxEEEESE_SE_xNS9_10multipliesIxEENS9_8equal_toIxEExEE10hipError_tPvRmT2_T3_T4_T5_mT6_T7_P12ihipStream_tbENKUlT_T0_E_clISt17integral_constantIbLb1EESY_IbLb0EEEEDaSU_SV_EUlSU_E_NS1_11comp_targetILNS1_3genE9ELNS1_11target_archE1100ELNS1_3gpuE3ELNS1_3repE0EEENS1_30default_config_static_selectorELNS0_4arch9wavefront6targetE1EEEvT1_
	.globl	_ZN7rocprim17ROCPRIM_400000_NS6detail17trampoline_kernelINS0_14default_configENS1_27scan_by_key_config_selectorIxxEEZZNS1_16scan_by_key_implILNS1_25lookback_scan_determinismE0ELb1ES3_N6thrust23THRUST_200600_302600_NS6detail15normal_iteratorINS9_10device_ptrIxEEEESE_SE_xNS9_10multipliesIxEENS9_8equal_toIxEExEE10hipError_tPvRmT2_T3_T4_T5_mT6_T7_P12ihipStream_tbENKUlT_T0_E_clISt17integral_constantIbLb1EESY_IbLb0EEEEDaSU_SV_EUlSU_E_NS1_11comp_targetILNS1_3genE9ELNS1_11target_archE1100ELNS1_3gpuE3ELNS1_3repE0EEENS1_30default_config_static_selectorELNS0_4arch9wavefront6targetE1EEEvT1_
	.p2align	8
	.type	_ZN7rocprim17ROCPRIM_400000_NS6detail17trampoline_kernelINS0_14default_configENS1_27scan_by_key_config_selectorIxxEEZZNS1_16scan_by_key_implILNS1_25lookback_scan_determinismE0ELb1ES3_N6thrust23THRUST_200600_302600_NS6detail15normal_iteratorINS9_10device_ptrIxEEEESE_SE_xNS9_10multipliesIxEENS9_8equal_toIxEExEE10hipError_tPvRmT2_T3_T4_T5_mT6_T7_P12ihipStream_tbENKUlT_T0_E_clISt17integral_constantIbLb1EESY_IbLb0EEEEDaSU_SV_EUlSU_E_NS1_11comp_targetILNS1_3genE9ELNS1_11target_archE1100ELNS1_3gpuE3ELNS1_3repE0EEENS1_30default_config_static_selectorELNS0_4arch9wavefront6targetE1EEEvT1_,@function
_ZN7rocprim17ROCPRIM_400000_NS6detail17trampoline_kernelINS0_14default_configENS1_27scan_by_key_config_selectorIxxEEZZNS1_16scan_by_key_implILNS1_25lookback_scan_determinismE0ELb1ES3_N6thrust23THRUST_200600_302600_NS6detail15normal_iteratorINS9_10device_ptrIxEEEESE_SE_xNS9_10multipliesIxEENS9_8equal_toIxEExEE10hipError_tPvRmT2_T3_T4_T5_mT6_T7_P12ihipStream_tbENKUlT_T0_E_clISt17integral_constantIbLb1EESY_IbLb0EEEEDaSU_SV_EUlSU_E_NS1_11comp_targetILNS1_3genE9ELNS1_11target_archE1100ELNS1_3gpuE3ELNS1_3repE0EEENS1_30default_config_static_selectorELNS0_4arch9wavefront6targetE1EEEvT1_: ; @_ZN7rocprim17ROCPRIM_400000_NS6detail17trampoline_kernelINS0_14default_configENS1_27scan_by_key_config_selectorIxxEEZZNS1_16scan_by_key_implILNS1_25lookback_scan_determinismE0ELb1ES3_N6thrust23THRUST_200600_302600_NS6detail15normal_iteratorINS9_10device_ptrIxEEEESE_SE_xNS9_10multipliesIxEENS9_8equal_toIxEExEE10hipError_tPvRmT2_T3_T4_T5_mT6_T7_P12ihipStream_tbENKUlT_T0_E_clISt17integral_constantIbLb1EESY_IbLb0EEEEDaSU_SV_EUlSU_E_NS1_11comp_targetILNS1_3genE9ELNS1_11target_archE1100ELNS1_3gpuE3ELNS1_3repE0EEENS1_30default_config_static_selectorELNS0_4arch9wavefront6targetE1EEEvT1_
; %bb.0:
	.section	.rodata,"a",@progbits
	.p2align	6, 0x0
	.amdhsa_kernel _ZN7rocprim17ROCPRIM_400000_NS6detail17trampoline_kernelINS0_14default_configENS1_27scan_by_key_config_selectorIxxEEZZNS1_16scan_by_key_implILNS1_25lookback_scan_determinismE0ELb1ES3_N6thrust23THRUST_200600_302600_NS6detail15normal_iteratorINS9_10device_ptrIxEEEESE_SE_xNS9_10multipliesIxEENS9_8equal_toIxEExEE10hipError_tPvRmT2_T3_T4_T5_mT6_T7_P12ihipStream_tbENKUlT_T0_E_clISt17integral_constantIbLb1EESY_IbLb0EEEEDaSU_SV_EUlSU_E_NS1_11comp_targetILNS1_3genE9ELNS1_11target_archE1100ELNS1_3gpuE3ELNS1_3repE0EEENS1_30default_config_static_selectorELNS0_4arch9wavefront6targetE1EEEvT1_
		.amdhsa_group_segment_fixed_size 0
		.amdhsa_private_segment_fixed_size 0
		.amdhsa_kernarg_size 136
		.amdhsa_user_sgpr_count 6
		.amdhsa_user_sgpr_private_segment_buffer 1
		.amdhsa_user_sgpr_dispatch_ptr 0
		.amdhsa_user_sgpr_queue_ptr 0
		.amdhsa_user_sgpr_kernarg_segment_ptr 1
		.amdhsa_user_sgpr_dispatch_id 0
		.amdhsa_user_sgpr_flat_scratch_init 0
		.amdhsa_user_sgpr_kernarg_preload_length 0
		.amdhsa_user_sgpr_kernarg_preload_offset 0
		.amdhsa_user_sgpr_private_segment_size 0
		.amdhsa_uses_dynamic_stack 0
		.amdhsa_system_sgpr_private_segment_wavefront_offset 0
		.amdhsa_system_sgpr_workgroup_id_x 1
		.amdhsa_system_sgpr_workgroup_id_y 0
		.amdhsa_system_sgpr_workgroup_id_z 0
		.amdhsa_system_sgpr_workgroup_info 0
		.amdhsa_system_vgpr_workitem_id 0
		.amdhsa_next_free_vgpr 1
		.amdhsa_next_free_sgpr 0
		.amdhsa_accum_offset 4
		.amdhsa_reserve_vcc 0
		.amdhsa_reserve_flat_scratch 0
		.amdhsa_float_round_mode_32 0
		.amdhsa_float_round_mode_16_64 0
		.amdhsa_float_denorm_mode_32 3
		.amdhsa_float_denorm_mode_16_64 3
		.amdhsa_dx10_clamp 1
		.amdhsa_ieee_mode 1
		.amdhsa_fp16_overflow 0
		.amdhsa_tg_split 0
		.amdhsa_exception_fp_ieee_invalid_op 0
		.amdhsa_exception_fp_denorm_src 0
		.amdhsa_exception_fp_ieee_div_zero 0
		.amdhsa_exception_fp_ieee_overflow 0
		.amdhsa_exception_fp_ieee_underflow 0
		.amdhsa_exception_fp_ieee_inexact 0
		.amdhsa_exception_int_div_zero 0
	.end_amdhsa_kernel
	.section	.text._ZN7rocprim17ROCPRIM_400000_NS6detail17trampoline_kernelINS0_14default_configENS1_27scan_by_key_config_selectorIxxEEZZNS1_16scan_by_key_implILNS1_25lookback_scan_determinismE0ELb1ES3_N6thrust23THRUST_200600_302600_NS6detail15normal_iteratorINS9_10device_ptrIxEEEESE_SE_xNS9_10multipliesIxEENS9_8equal_toIxEExEE10hipError_tPvRmT2_T3_T4_T5_mT6_T7_P12ihipStream_tbENKUlT_T0_E_clISt17integral_constantIbLb1EESY_IbLb0EEEEDaSU_SV_EUlSU_E_NS1_11comp_targetILNS1_3genE9ELNS1_11target_archE1100ELNS1_3gpuE3ELNS1_3repE0EEENS1_30default_config_static_selectorELNS0_4arch9wavefront6targetE1EEEvT1_,"axG",@progbits,_ZN7rocprim17ROCPRIM_400000_NS6detail17trampoline_kernelINS0_14default_configENS1_27scan_by_key_config_selectorIxxEEZZNS1_16scan_by_key_implILNS1_25lookback_scan_determinismE0ELb1ES3_N6thrust23THRUST_200600_302600_NS6detail15normal_iteratorINS9_10device_ptrIxEEEESE_SE_xNS9_10multipliesIxEENS9_8equal_toIxEExEE10hipError_tPvRmT2_T3_T4_T5_mT6_T7_P12ihipStream_tbENKUlT_T0_E_clISt17integral_constantIbLb1EESY_IbLb0EEEEDaSU_SV_EUlSU_E_NS1_11comp_targetILNS1_3genE9ELNS1_11target_archE1100ELNS1_3gpuE3ELNS1_3repE0EEENS1_30default_config_static_selectorELNS0_4arch9wavefront6targetE1EEEvT1_,comdat
.Lfunc_end414:
	.size	_ZN7rocprim17ROCPRIM_400000_NS6detail17trampoline_kernelINS0_14default_configENS1_27scan_by_key_config_selectorIxxEEZZNS1_16scan_by_key_implILNS1_25lookback_scan_determinismE0ELb1ES3_N6thrust23THRUST_200600_302600_NS6detail15normal_iteratorINS9_10device_ptrIxEEEESE_SE_xNS9_10multipliesIxEENS9_8equal_toIxEExEE10hipError_tPvRmT2_T3_T4_T5_mT6_T7_P12ihipStream_tbENKUlT_T0_E_clISt17integral_constantIbLb1EESY_IbLb0EEEEDaSU_SV_EUlSU_E_NS1_11comp_targetILNS1_3genE9ELNS1_11target_archE1100ELNS1_3gpuE3ELNS1_3repE0EEENS1_30default_config_static_selectorELNS0_4arch9wavefront6targetE1EEEvT1_, .Lfunc_end414-_ZN7rocprim17ROCPRIM_400000_NS6detail17trampoline_kernelINS0_14default_configENS1_27scan_by_key_config_selectorIxxEEZZNS1_16scan_by_key_implILNS1_25lookback_scan_determinismE0ELb1ES3_N6thrust23THRUST_200600_302600_NS6detail15normal_iteratorINS9_10device_ptrIxEEEESE_SE_xNS9_10multipliesIxEENS9_8equal_toIxEExEE10hipError_tPvRmT2_T3_T4_T5_mT6_T7_P12ihipStream_tbENKUlT_T0_E_clISt17integral_constantIbLb1EESY_IbLb0EEEEDaSU_SV_EUlSU_E_NS1_11comp_targetILNS1_3genE9ELNS1_11target_archE1100ELNS1_3gpuE3ELNS1_3repE0EEENS1_30default_config_static_selectorELNS0_4arch9wavefront6targetE1EEEvT1_
                                        ; -- End function
	.section	.AMDGPU.csdata,"",@progbits
; Kernel info:
; codeLenInByte = 0
; NumSgprs: 4
; NumVgprs: 0
; NumAgprs: 0
; TotalNumVgprs: 0
; ScratchSize: 0
; MemoryBound: 0
; FloatMode: 240
; IeeeMode: 1
; LDSByteSize: 0 bytes/workgroup (compile time only)
; SGPRBlocks: 0
; VGPRBlocks: 0
; NumSGPRsForWavesPerEU: 4
; NumVGPRsForWavesPerEU: 1
; AccumOffset: 4
; Occupancy: 8
; WaveLimiterHint : 0
; COMPUTE_PGM_RSRC2:SCRATCH_EN: 0
; COMPUTE_PGM_RSRC2:USER_SGPR: 6
; COMPUTE_PGM_RSRC2:TRAP_HANDLER: 0
; COMPUTE_PGM_RSRC2:TGID_X_EN: 1
; COMPUTE_PGM_RSRC2:TGID_Y_EN: 0
; COMPUTE_PGM_RSRC2:TGID_Z_EN: 0
; COMPUTE_PGM_RSRC2:TIDIG_COMP_CNT: 0
; COMPUTE_PGM_RSRC3_GFX90A:ACCUM_OFFSET: 0
; COMPUTE_PGM_RSRC3_GFX90A:TG_SPLIT: 0
	.section	.text._ZN7rocprim17ROCPRIM_400000_NS6detail17trampoline_kernelINS0_14default_configENS1_27scan_by_key_config_selectorIxxEEZZNS1_16scan_by_key_implILNS1_25lookback_scan_determinismE0ELb1ES3_N6thrust23THRUST_200600_302600_NS6detail15normal_iteratorINS9_10device_ptrIxEEEESE_SE_xNS9_10multipliesIxEENS9_8equal_toIxEExEE10hipError_tPvRmT2_T3_T4_T5_mT6_T7_P12ihipStream_tbENKUlT_T0_E_clISt17integral_constantIbLb1EESY_IbLb0EEEEDaSU_SV_EUlSU_E_NS1_11comp_targetILNS1_3genE8ELNS1_11target_archE1030ELNS1_3gpuE2ELNS1_3repE0EEENS1_30default_config_static_selectorELNS0_4arch9wavefront6targetE1EEEvT1_,"axG",@progbits,_ZN7rocprim17ROCPRIM_400000_NS6detail17trampoline_kernelINS0_14default_configENS1_27scan_by_key_config_selectorIxxEEZZNS1_16scan_by_key_implILNS1_25lookback_scan_determinismE0ELb1ES3_N6thrust23THRUST_200600_302600_NS6detail15normal_iteratorINS9_10device_ptrIxEEEESE_SE_xNS9_10multipliesIxEENS9_8equal_toIxEExEE10hipError_tPvRmT2_T3_T4_T5_mT6_T7_P12ihipStream_tbENKUlT_T0_E_clISt17integral_constantIbLb1EESY_IbLb0EEEEDaSU_SV_EUlSU_E_NS1_11comp_targetILNS1_3genE8ELNS1_11target_archE1030ELNS1_3gpuE2ELNS1_3repE0EEENS1_30default_config_static_selectorELNS0_4arch9wavefront6targetE1EEEvT1_,comdat
	.protected	_ZN7rocprim17ROCPRIM_400000_NS6detail17trampoline_kernelINS0_14default_configENS1_27scan_by_key_config_selectorIxxEEZZNS1_16scan_by_key_implILNS1_25lookback_scan_determinismE0ELb1ES3_N6thrust23THRUST_200600_302600_NS6detail15normal_iteratorINS9_10device_ptrIxEEEESE_SE_xNS9_10multipliesIxEENS9_8equal_toIxEExEE10hipError_tPvRmT2_T3_T4_T5_mT6_T7_P12ihipStream_tbENKUlT_T0_E_clISt17integral_constantIbLb1EESY_IbLb0EEEEDaSU_SV_EUlSU_E_NS1_11comp_targetILNS1_3genE8ELNS1_11target_archE1030ELNS1_3gpuE2ELNS1_3repE0EEENS1_30default_config_static_selectorELNS0_4arch9wavefront6targetE1EEEvT1_ ; -- Begin function _ZN7rocprim17ROCPRIM_400000_NS6detail17trampoline_kernelINS0_14default_configENS1_27scan_by_key_config_selectorIxxEEZZNS1_16scan_by_key_implILNS1_25lookback_scan_determinismE0ELb1ES3_N6thrust23THRUST_200600_302600_NS6detail15normal_iteratorINS9_10device_ptrIxEEEESE_SE_xNS9_10multipliesIxEENS9_8equal_toIxEExEE10hipError_tPvRmT2_T3_T4_T5_mT6_T7_P12ihipStream_tbENKUlT_T0_E_clISt17integral_constantIbLb1EESY_IbLb0EEEEDaSU_SV_EUlSU_E_NS1_11comp_targetILNS1_3genE8ELNS1_11target_archE1030ELNS1_3gpuE2ELNS1_3repE0EEENS1_30default_config_static_selectorELNS0_4arch9wavefront6targetE1EEEvT1_
	.globl	_ZN7rocprim17ROCPRIM_400000_NS6detail17trampoline_kernelINS0_14default_configENS1_27scan_by_key_config_selectorIxxEEZZNS1_16scan_by_key_implILNS1_25lookback_scan_determinismE0ELb1ES3_N6thrust23THRUST_200600_302600_NS6detail15normal_iteratorINS9_10device_ptrIxEEEESE_SE_xNS9_10multipliesIxEENS9_8equal_toIxEExEE10hipError_tPvRmT2_T3_T4_T5_mT6_T7_P12ihipStream_tbENKUlT_T0_E_clISt17integral_constantIbLb1EESY_IbLb0EEEEDaSU_SV_EUlSU_E_NS1_11comp_targetILNS1_3genE8ELNS1_11target_archE1030ELNS1_3gpuE2ELNS1_3repE0EEENS1_30default_config_static_selectorELNS0_4arch9wavefront6targetE1EEEvT1_
	.p2align	8
	.type	_ZN7rocprim17ROCPRIM_400000_NS6detail17trampoline_kernelINS0_14default_configENS1_27scan_by_key_config_selectorIxxEEZZNS1_16scan_by_key_implILNS1_25lookback_scan_determinismE0ELb1ES3_N6thrust23THRUST_200600_302600_NS6detail15normal_iteratorINS9_10device_ptrIxEEEESE_SE_xNS9_10multipliesIxEENS9_8equal_toIxEExEE10hipError_tPvRmT2_T3_T4_T5_mT6_T7_P12ihipStream_tbENKUlT_T0_E_clISt17integral_constantIbLb1EESY_IbLb0EEEEDaSU_SV_EUlSU_E_NS1_11comp_targetILNS1_3genE8ELNS1_11target_archE1030ELNS1_3gpuE2ELNS1_3repE0EEENS1_30default_config_static_selectorELNS0_4arch9wavefront6targetE1EEEvT1_,@function
_ZN7rocprim17ROCPRIM_400000_NS6detail17trampoline_kernelINS0_14default_configENS1_27scan_by_key_config_selectorIxxEEZZNS1_16scan_by_key_implILNS1_25lookback_scan_determinismE0ELb1ES3_N6thrust23THRUST_200600_302600_NS6detail15normal_iteratorINS9_10device_ptrIxEEEESE_SE_xNS9_10multipliesIxEENS9_8equal_toIxEExEE10hipError_tPvRmT2_T3_T4_T5_mT6_T7_P12ihipStream_tbENKUlT_T0_E_clISt17integral_constantIbLb1EESY_IbLb0EEEEDaSU_SV_EUlSU_E_NS1_11comp_targetILNS1_3genE8ELNS1_11target_archE1030ELNS1_3gpuE2ELNS1_3repE0EEENS1_30default_config_static_selectorELNS0_4arch9wavefront6targetE1EEEvT1_: ; @_ZN7rocprim17ROCPRIM_400000_NS6detail17trampoline_kernelINS0_14default_configENS1_27scan_by_key_config_selectorIxxEEZZNS1_16scan_by_key_implILNS1_25lookback_scan_determinismE0ELb1ES3_N6thrust23THRUST_200600_302600_NS6detail15normal_iteratorINS9_10device_ptrIxEEEESE_SE_xNS9_10multipliesIxEENS9_8equal_toIxEExEE10hipError_tPvRmT2_T3_T4_T5_mT6_T7_P12ihipStream_tbENKUlT_T0_E_clISt17integral_constantIbLb1EESY_IbLb0EEEEDaSU_SV_EUlSU_E_NS1_11comp_targetILNS1_3genE8ELNS1_11target_archE1030ELNS1_3gpuE2ELNS1_3repE0EEENS1_30default_config_static_selectorELNS0_4arch9wavefront6targetE1EEEvT1_
; %bb.0:
	.section	.rodata,"a",@progbits
	.p2align	6, 0x0
	.amdhsa_kernel _ZN7rocprim17ROCPRIM_400000_NS6detail17trampoline_kernelINS0_14default_configENS1_27scan_by_key_config_selectorIxxEEZZNS1_16scan_by_key_implILNS1_25lookback_scan_determinismE0ELb1ES3_N6thrust23THRUST_200600_302600_NS6detail15normal_iteratorINS9_10device_ptrIxEEEESE_SE_xNS9_10multipliesIxEENS9_8equal_toIxEExEE10hipError_tPvRmT2_T3_T4_T5_mT6_T7_P12ihipStream_tbENKUlT_T0_E_clISt17integral_constantIbLb1EESY_IbLb0EEEEDaSU_SV_EUlSU_E_NS1_11comp_targetILNS1_3genE8ELNS1_11target_archE1030ELNS1_3gpuE2ELNS1_3repE0EEENS1_30default_config_static_selectorELNS0_4arch9wavefront6targetE1EEEvT1_
		.amdhsa_group_segment_fixed_size 0
		.amdhsa_private_segment_fixed_size 0
		.amdhsa_kernarg_size 136
		.amdhsa_user_sgpr_count 6
		.amdhsa_user_sgpr_private_segment_buffer 1
		.amdhsa_user_sgpr_dispatch_ptr 0
		.amdhsa_user_sgpr_queue_ptr 0
		.amdhsa_user_sgpr_kernarg_segment_ptr 1
		.amdhsa_user_sgpr_dispatch_id 0
		.amdhsa_user_sgpr_flat_scratch_init 0
		.amdhsa_user_sgpr_kernarg_preload_length 0
		.amdhsa_user_sgpr_kernarg_preload_offset 0
		.amdhsa_user_sgpr_private_segment_size 0
		.amdhsa_uses_dynamic_stack 0
		.amdhsa_system_sgpr_private_segment_wavefront_offset 0
		.amdhsa_system_sgpr_workgroup_id_x 1
		.amdhsa_system_sgpr_workgroup_id_y 0
		.amdhsa_system_sgpr_workgroup_id_z 0
		.amdhsa_system_sgpr_workgroup_info 0
		.amdhsa_system_vgpr_workitem_id 0
		.amdhsa_next_free_vgpr 1
		.amdhsa_next_free_sgpr 0
		.amdhsa_accum_offset 4
		.amdhsa_reserve_vcc 0
		.amdhsa_reserve_flat_scratch 0
		.amdhsa_float_round_mode_32 0
		.amdhsa_float_round_mode_16_64 0
		.amdhsa_float_denorm_mode_32 3
		.amdhsa_float_denorm_mode_16_64 3
		.amdhsa_dx10_clamp 1
		.amdhsa_ieee_mode 1
		.amdhsa_fp16_overflow 0
		.amdhsa_tg_split 0
		.amdhsa_exception_fp_ieee_invalid_op 0
		.amdhsa_exception_fp_denorm_src 0
		.amdhsa_exception_fp_ieee_div_zero 0
		.amdhsa_exception_fp_ieee_overflow 0
		.amdhsa_exception_fp_ieee_underflow 0
		.amdhsa_exception_fp_ieee_inexact 0
		.amdhsa_exception_int_div_zero 0
	.end_amdhsa_kernel
	.section	.text._ZN7rocprim17ROCPRIM_400000_NS6detail17trampoline_kernelINS0_14default_configENS1_27scan_by_key_config_selectorIxxEEZZNS1_16scan_by_key_implILNS1_25lookback_scan_determinismE0ELb1ES3_N6thrust23THRUST_200600_302600_NS6detail15normal_iteratorINS9_10device_ptrIxEEEESE_SE_xNS9_10multipliesIxEENS9_8equal_toIxEExEE10hipError_tPvRmT2_T3_T4_T5_mT6_T7_P12ihipStream_tbENKUlT_T0_E_clISt17integral_constantIbLb1EESY_IbLb0EEEEDaSU_SV_EUlSU_E_NS1_11comp_targetILNS1_3genE8ELNS1_11target_archE1030ELNS1_3gpuE2ELNS1_3repE0EEENS1_30default_config_static_selectorELNS0_4arch9wavefront6targetE1EEEvT1_,"axG",@progbits,_ZN7rocprim17ROCPRIM_400000_NS6detail17trampoline_kernelINS0_14default_configENS1_27scan_by_key_config_selectorIxxEEZZNS1_16scan_by_key_implILNS1_25lookback_scan_determinismE0ELb1ES3_N6thrust23THRUST_200600_302600_NS6detail15normal_iteratorINS9_10device_ptrIxEEEESE_SE_xNS9_10multipliesIxEENS9_8equal_toIxEExEE10hipError_tPvRmT2_T3_T4_T5_mT6_T7_P12ihipStream_tbENKUlT_T0_E_clISt17integral_constantIbLb1EESY_IbLb0EEEEDaSU_SV_EUlSU_E_NS1_11comp_targetILNS1_3genE8ELNS1_11target_archE1030ELNS1_3gpuE2ELNS1_3repE0EEENS1_30default_config_static_selectorELNS0_4arch9wavefront6targetE1EEEvT1_,comdat
.Lfunc_end415:
	.size	_ZN7rocprim17ROCPRIM_400000_NS6detail17trampoline_kernelINS0_14default_configENS1_27scan_by_key_config_selectorIxxEEZZNS1_16scan_by_key_implILNS1_25lookback_scan_determinismE0ELb1ES3_N6thrust23THRUST_200600_302600_NS6detail15normal_iteratorINS9_10device_ptrIxEEEESE_SE_xNS9_10multipliesIxEENS9_8equal_toIxEExEE10hipError_tPvRmT2_T3_T4_T5_mT6_T7_P12ihipStream_tbENKUlT_T0_E_clISt17integral_constantIbLb1EESY_IbLb0EEEEDaSU_SV_EUlSU_E_NS1_11comp_targetILNS1_3genE8ELNS1_11target_archE1030ELNS1_3gpuE2ELNS1_3repE0EEENS1_30default_config_static_selectorELNS0_4arch9wavefront6targetE1EEEvT1_, .Lfunc_end415-_ZN7rocprim17ROCPRIM_400000_NS6detail17trampoline_kernelINS0_14default_configENS1_27scan_by_key_config_selectorIxxEEZZNS1_16scan_by_key_implILNS1_25lookback_scan_determinismE0ELb1ES3_N6thrust23THRUST_200600_302600_NS6detail15normal_iteratorINS9_10device_ptrIxEEEESE_SE_xNS9_10multipliesIxEENS9_8equal_toIxEExEE10hipError_tPvRmT2_T3_T4_T5_mT6_T7_P12ihipStream_tbENKUlT_T0_E_clISt17integral_constantIbLb1EESY_IbLb0EEEEDaSU_SV_EUlSU_E_NS1_11comp_targetILNS1_3genE8ELNS1_11target_archE1030ELNS1_3gpuE2ELNS1_3repE0EEENS1_30default_config_static_selectorELNS0_4arch9wavefront6targetE1EEEvT1_
                                        ; -- End function
	.section	.AMDGPU.csdata,"",@progbits
; Kernel info:
; codeLenInByte = 0
; NumSgprs: 4
; NumVgprs: 0
; NumAgprs: 0
; TotalNumVgprs: 0
; ScratchSize: 0
; MemoryBound: 0
; FloatMode: 240
; IeeeMode: 1
; LDSByteSize: 0 bytes/workgroup (compile time only)
; SGPRBlocks: 0
; VGPRBlocks: 0
; NumSGPRsForWavesPerEU: 4
; NumVGPRsForWavesPerEU: 1
; AccumOffset: 4
; Occupancy: 8
; WaveLimiterHint : 0
; COMPUTE_PGM_RSRC2:SCRATCH_EN: 0
; COMPUTE_PGM_RSRC2:USER_SGPR: 6
; COMPUTE_PGM_RSRC2:TRAP_HANDLER: 0
; COMPUTE_PGM_RSRC2:TGID_X_EN: 1
; COMPUTE_PGM_RSRC2:TGID_Y_EN: 0
; COMPUTE_PGM_RSRC2:TGID_Z_EN: 0
; COMPUTE_PGM_RSRC2:TIDIG_COMP_CNT: 0
; COMPUTE_PGM_RSRC3_GFX90A:ACCUM_OFFSET: 0
; COMPUTE_PGM_RSRC3_GFX90A:TG_SPLIT: 0
	.section	.text._ZN7rocprim17ROCPRIM_400000_NS6detail17trampoline_kernelINS0_14default_configENS1_27scan_by_key_config_selectorIxxEEZZNS1_16scan_by_key_implILNS1_25lookback_scan_determinismE0ELb1ES3_N6thrust23THRUST_200600_302600_NS6detail15normal_iteratorINS9_10device_ptrIxEEEESE_SE_xNS9_10multipliesIxEENS9_8equal_toIxEExEE10hipError_tPvRmT2_T3_T4_T5_mT6_T7_P12ihipStream_tbENKUlT_T0_E_clISt17integral_constantIbLb0EESY_IbLb1EEEEDaSU_SV_EUlSU_E_NS1_11comp_targetILNS1_3genE0ELNS1_11target_archE4294967295ELNS1_3gpuE0ELNS1_3repE0EEENS1_30default_config_static_selectorELNS0_4arch9wavefront6targetE1EEEvT1_,"axG",@progbits,_ZN7rocprim17ROCPRIM_400000_NS6detail17trampoline_kernelINS0_14default_configENS1_27scan_by_key_config_selectorIxxEEZZNS1_16scan_by_key_implILNS1_25lookback_scan_determinismE0ELb1ES3_N6thrust23THRUST_200600_302600_NS6detail15normal_iteratorINS9_10device_ptrIxEEEESE_SE_xNS9_10multipliesIxEENS9_8equal_toIxEExEE10hipError_tPvRmT2_T3_T4_T5_mT6_T7_P12ihipStream_tbENKUlT_T0_E_clISt17integral_constantIbLb0EESY_IbLb1EEEEDaSU_SV_EUlSU_E_NS1_11comp_targetILNS1_3genE0ELNS1_11target_archE4294967295ELNS1_3gpuE0ELNS1_3repE0EEENS1_30default_config_static_selectorELNS0_4arch9wavefront6targetE1EEEvT1_,comdat
	.protected	_ZN7rocprim17ROCPRIM_400000_NS6detail17trampoline_kernelINS0_14default_configENS1_27scan_by_key_config_selectorIxxEEZZNS1_16scan_by_key_implILNS1_25lookback_scan_determinismE0ELb1ES3_N6thrust23THRUST_200600_302600_NS6detail15normal_iteratorINS9_10device_ptrIxEEEESE_SE_xNS9_10multipliesIxEENS9_8equal_toIxEExEE10hipError_tPvRmT2_T3_T4_T5_mT6_T7_P12ihipStream_tbENKUlT_T0_E_clISt17integral_constantIbLb0EESY_IbLb1EEEEDaSU_SV_EUlSU_E_NS1_11comp_targetILNS1_3genE0ELNS1_11target_archE4294967295ELNS1_3gpuE0ELNS1_3repE0EEENS1_30default_config_static_selectorELNS0_4arch9wavefront6targetE1EEEvT1_ ; -- Begin function _ZN7rocprim17ROCPRIM_400000_NS6detail17trampoline_kernelINS0_14default_configENS1_27scan_by_key_config_selectorIxxEEZZNS1_16scan_by_key_implILNS1_25lookback_scan_determinismE0ELb1ES3_N6thrust23THRUST_200600_302600_NS6detail15normal_iteratorINS9_10device_ptrIxEEEESE_SE_xNS9_10multipliesIxEENS9_8equal_toIxEExEE10hipError_tPvRmT2_T3_T4_T5_mT6_T7_P12ihipStream_tbENKUlT_T0_E_clISt17integral_constantIbLb0EESY_IbLb1EEEEDaSU_SV_EUlSU_E_NS1_11comp_targetILNS1_3genE0ELNS1_11target_archE4294967295ELNS1_3gpuE0ELNS1_3repE0EEENS1_30default_config_static_selectorELNS0_4arch9wavefront6targetE1EEEvT1_
	.globl	_ZN7rocprim17ROCPRIM_400000_NS6detail17trampoline_kernelINS0_14default_configENS1_27scan_by_key_config_selectorIxxEEZZNS1_16scan_by_key_implILNS1_25lookback_scan_determinismE0ELb1ES3_N6thrust23THRUST_200600_302600_NS6detail15normal_iteratorINS9_10device_ptrIxEEEESE_SE_xNS9_10multipliesIxEENS9_8equal_toIxEExEE10hipError_tPvRmT2_T3_T4_T5_mT6_T7_P12ihipStream_tbENKUlT_T0_E_clISt17integral_constantIbLb0EESY_IbLb1EEEEDaSU_SV_EUlSU_E_NS1_11comp_targetILNS1_3genE0ELNS1_11target_archE4294967295ELNS1_3gpuE0ELNS1_3repE0EEENS1_30default_config_static_selectorELNS0_4arch9wavefront6targetE1EEEvT1_
	.p2align	8
	.type	_ZN7rocprim17ROCPRIM_400000_NS6detail17trampoline_kernelINS0_14default_configENS1_27scan_by_key_config_selectorIxxEEZZNS1_16scan_by_key_implILNS1_25lookback_scan_determinismE0ELb1ES3_N6thrust23THRUST_200600_302600_NS6detail15normal_iteratorINS9_10device_ptrIxEEEESE_SE_xNS9_10multipliesIxEENS9_8equal_toIxEExEE10hipError_tPvRmT2_T3_T4_T5_mT6_T7_P12ihipStream_tbENKUlT_T0_E_clISt17integral_constantIbLb0EESY_IbLb1EEEEDaSU_SV_EUlSU_E_NS1_11comp_targetILNS1_3genE0ELNS1_11target_archE4294967295ELNS1_3gpuE0ELNS1_3repE0EEENS1_30default_config_static_selectorELNS0_4arch9wavefront6targetE1EEEvT1_,@function
_ZN7rocprim17ROCPRIM_400000_NS6detail17trampoline_kernelINS0_14default_configENS1_27scan_by_key_config_selectorIxxEEZZNS1_16scan_by_key_implILNS1_25lookback_scan_determinismE0ELb1ES3_N6thrust23THRUST_200600_302600_NS6detail15normal_iteratorINS9_10device_ptrIxEEEESE_SE_xNS9_10multipliesIxEENS9_8equal_toIxEExEE10hipError_tPvRmT2_T3_T4_T5_mT6_T7_P12ihipStream_tbENKUlT_T0_E_clISt17integral_constantIbLb0EESY_IbLb1EEEEDaSU_SV_EUlSU_E_NS1_11comp_targetILNS1_3genE0ELNS1_11target_archE4294967295ELNS1_3gpuE0ELNS1_3repE0EEENS1_30default_config_static_selectorELNS0_4arch9wavefront6targetE1EEEvT1_: ; @_ZN7rocprim17ROCPRIM_400000_NS6detail17trampoline_kernelINS0_14default_configENS1_27scan_by_key_config_selectorIxxEEZZNS1_16scan_by_key_implILNS1_25lookback_scan_determinismE0ELb1ES3_N6thrust23THRUST_200600_302600_NS6detail15normal_iteratorINS9_10device_ptrIxEEEESE_SE_xNS9_10multipliesIxEENS9_8equal_toIxEExEE10hipError_tPvRmT2_T3_T4_T5_mT6_T7_P12ihipStream_tbENKUlT_T0_E_clISt17integral_constantIbLb0EESY_IbLb1EEEEDaSU_SV_EUlSU_E_NS1_11comp_targetILNS1_3genE0ELNS1_11target_archE4294967295ELNS1_3gpuE0ELNS1_3repE0EEENS1_30default_config_static_selectorELNS0_4arch9wavefront6targetE1EEEvT1_
; %bb.0:
	.section	.rodata,"a",@progbits
	.p2align	6, 0x0
	.amdhsa_kernel _ZN7rocprim17ROCPRIM_400000_NS6detail17trampoline_kernelINS0_14default_configENS1_27scan_by_key_config_selectorIxxEEZZNS1_16scan_by_key_implILNS1_25lookback_scan_determinismE0ELb1ES3_N6thrust23THRUST_200600_302600_NS6detail15normal_iteratorINS9_10device_ptrIxEEEESE_SE_xNS9_10multipliesIxEENS9_8equal_toIxEExEE10hipError_tPvRmT2_T3_T4_T5_mT6_T7_P12ihipStream_tbENKUlT_T0_E_clISt17integral_constantIbLb0EESY_IbLb1EEEEDaSU_SV_EUlSU_E_NS1_11comp_targetILNS1_3genE0ELNS1_11target_archE4294967295ELNS1_3gpuE0ELNS1_3repE0EEENS1_30default_config_static_selectorELNS0_4arch9wavefront6targetE1EEEvT1_
		.amdhsa_group_segment_fixed_size 0
		.amdhsa_private_segment_fixed_size 0
		.amdhsa_kernarg_size 136
		.amdhsa_user_sgpr_count 6
		.amdhsa_user_sgpr_private_segment_buffer 1
		.amdhsa_user_sgpr_dispatch_ptr 0
		.amdhsa_user_sgpr_queue_ptr 0
		.amdhsa_user_sgpr_kernarg_segment_ptr 1
		.amdhsa_user_sgpr_dispatch_id 0
		.amdhsa_user_sgpr_flat_scratch_init 0
		.amdhsa_user_sgpr_kernarg_preload_length 0
		.amdhsa_user_sgpr_kernarg_preload_offset 0
		.amdhsa_user_sgpr_private_segment_size 0
		.amdhsa_uses_dynamic_stack 0
		.amdhsa_system_sgpr_private_segment_wavefront_offset 0
		.amdhsa_system_sgpr_workgroup_id_x 1
		.amdhsa_system_sgpr_workgroup_id_y 0
		.amdhsa_system_sgpr_workgroup_id_z 0
		.amdhsa_system_sgpr_workgroup_info 0
		.amdhsa_system_vgpr_workitem_id 0
		.amdhsa_next_free_vgpr 1
		.amdhsa_next_free_sgpr 0
		.amdhsa_accum_offset 4
		.amdhsa_reserve_vcc 0
		.amdhsa_reserve_flat_scratch 0
		.amdhsa_float_round_mode_32 0
		.amdhsa_float_round_mode_16_64 0
		.amdhsa_float_denorm_mode_32 3
		.amdhsa_float_denorm_mode_16_64 3
		.amdhsa_dx10_clamp 1
		.amdhsa_ieee_mode 1
		.amdhsa_fp16_overflow 0
		.amdhsa_tg_split 0
		.amdhsa_exception_fp_ieee_invalid_op 0
		.amdhsa_exception_fp_denorm_src 0
		.amdhsa_exception_fp_ieee_div_zero 0
		.amdhsa_exception_fp_ieee_overflow 0
		.amdhsa_exception_fp_ieee_underflow 0
		.amdhsa_exception_fp_ieee_inexact 0
		.amdhsa_exception_int_div_zero 0
	.end_amdhsa_kernel
	.section	.text._ZN7rocprim17ROCPRIM_400000_NS6detail17trampoline_kernelINS0_14default_configENS1_27scan_by_key_config_selectorIxxEEZZNS1_16scan_by_key_implILNS1_25lookback_scan_determinismE0ELb1ES3_N6thrust23THRUST_200600_302600_NS6detail15normal_iteratorINS9_10device_ptrIxEEEESE_SE_xNS9_10multipliesIxEENS9_8equal_toIxEExEE10hipError_tPvRmT2_T3_T4_T5_mT6_T7_P12ihipStream_tbENKUlT_T0_E_clISt17integral_constantIbLb0EESY_IbLb1EEEEDaSU_SV_EUlSU_E_NS1_11comp_targetILNS1_3genE0ELNS1_11target_archE4294967295ELNS1_3gpuE0ELNS1_3repE0EEENS1_30default_config_static_selectorELNS0_4arch9wavefront6targetE1EEEvT1_,"axG",@progbits,_ZN7rocprim17ROCPRIM_400000_NS6detail17trampoline_kernelINS0_14default_configENS1_27scan_by_key_config_selectorIxxEEZZNS1_16scan_by_key_implILNS1_25lookback_scan_determinismE0ELb1ES3_N6thrust23THRUST_200600_302600_NS6detail15normal_iteratorINS9_10device_ptrIxEEEESE_SE_xNS9_10multipliesIxEENS9_8equal_toIxEExEE10hipError_tPvRmT2_T3_T4_T5_mT6_T7_P12ihipStream_tbENKUlT_T0_E_clISt17integral_constantIbLb0EESY_IbLb1EEEEDaSU_SV_EUlSU_E_NS1_11comp_targetILNS1_3genE0ELNS1_11target_archE4294967295ELNS1_3gpuE0ELNS1_3repE0EEENS1_30default_config_static_selectorELNS0_4arch9wavefront6targetE1EEEvT1_,comdat
.Lfunc_end416:
	.size	_ZN7rocprim17ROCPRIM_400000_NS6detail17trampoline_kernelINS0_14default_configENS1_27scan_by_key_config_selectorIxxEEZZNS1_16scan_by_key_implILNS1_25lookback_scan_determinismE0ELb1ES3_N6thrust23THRUST_200600_302600_NS6detail15normal_iteratorINS9_10device_ptrIxEEEESE_SE_xNS9_10multipliesIxEENS9_8equal_toIxEExEE10hipError_tPvRmT2_T3_T4_T5_mT6_T7_P12ihipStream_tbENKUlT_T0_E_clISt17integral_constantIbLb0EESY_IbLb1EEEEDaSU_SV_EUlSU_E_NS1_11comp_targetILNS1_3genE0ELNS1_11target_archE4294967295ELNS1_3gpuE0ELNS1_3repE0EEENS1_30default_config_static_selectorELNS0_4arch9wavefront6targetE1EEEvT1_, .Lfunc_end416-_ZN7rocprim17ROCPRIM_400000_NS6detail17trampoline_kernelINS0_14default_configENS1_27scan_by_key_config_selectorIxxEEZZNS1_16scan_by_key_implILNS1_25lookback_scan_determinismE0ELb1ES3_N6thrust23THRUST_200600_302600_NS6detail15normal_iteratorINS9_10device_ptrIxEEEESE_SE_xNS9_10multipliesIxEENS9_8equal_toIxEExEE10hipError_tPvRmT2_T3_T4_T5_mT6_T7_P12ihipStream_tbENKUlT_T0_E_clISt17integral_constantIbLb0EESY_IbLb1EEEEDaSU_SV_EUlSU_E_NS1_11comp_targetILNS1_3genE0ELNS1_11target_archE4294967295ELNS1_3gpuE0ELNS1_3repE0EEENS1_30default_config_static_selectorELNS0_4arch9wavefront6targetE1EEEvT1_
                                        ; -- End function
	.section	.AMDGPU.csdata,"",@progbits
; Kernel info:
; codeLenInByte = 0
; NumSgprs: 4
; NumVgprs: 0
; NumAgprs: 0
; TotalNumVgprs: 0
; ScratchSize: 0
; MemoryBound: 0
; FloatMode: 240
; IeeeMode: 1
; LDSByteSize: 0 bytes/workgroup (compile time only)
; SGPRBlocks: 0
; VGPRBlocks: 0
; NumSGPRsForWavesPerEU: 4
; NumVGPRsForWavesPerEU: 1
; AccumOffset: 4
; Occupancy: 8
; WaveLimiterHint : 0
; COMPUTE_PGM_RSRC2:SCRATCH_EN: 0
; COMPUTE_PGM_RSRC2:USER_SGPR: 6
; COMPUTE_PGM_RSRC2:TRAP_HANDLER: 0
; COMPUTE_PGM_RSRC2:TGID_X_EN: 1
; COMPUTE_PGM_RSRC2:TGID_Y_EN: 0
; COMPUTE_PGM_RSRC2:TGID_Z_EN: 0
; COMPUTE_PGM_RSRC2:TIDIG_COMP_CNT: 0
; COMPUTE_PGM_RSRC3_GFX90A:ACCUM_OFFSET: 0
; COMPUTE_PGM_RSRC3_GFX90A:TG_SPLIT: 0
	.section	.text._ZN7rocprim17ROCPRIM_400000_NS6detail17trampoline_kernelINS0_14default_configENS1_27scan_by_key_config_selectorIxxEEZZNS1_16scan_by_key_implILNS1_25lookback_scan_determinismE0ELb1ES3_N6thrust23THRUST_200600_302600_NS6detail15normal_iteratorINS9_10device_ptrIxEEEESE_SE_xNS9_10multipliesIxEENS9_8equal_toIxEExEE10hipError_tPvRmT2_T3_T4_T5_mT6_T7_P12ihipStream_tbENKUlT_T0_E_clISt17integral_constantIbLb0EESY_IbLb1EEEEDaSU_SV_EUlSU_E_NS1_11comp_targetILNS1_3genE10ELNS1_11target_archE1201ELNS1_3gpuE5ELNS1_3repE0EEENS1_30default_config_static_selectorELNS0_4arch9wavefront6targetE1EEEvT1_,"axG",@progbits,_ZN7rocprim17ROCPRIM_400000_NS6detail17trampoline_kernelINS0_14default_configENS1_27scan_by_key_config_selectorIxxEEZZNS1_16scan_by_key_implILNS1_25lookback_scan_determinismE0ELb1ES3_N6thrust23THRUST_200600_302600_NS6detail15normal_iteratorINS9_10device_ptrIxEEEESE_SE_xNS9_10multipliesIxEENS9_8equal_toIxEExEE10hipError_tPvRmT2_T3_T4_T5_mT6_T7_P12ihipStream_tbENKUlT_T0_E_clISt17integral_constantIbLb0EESY_IbLb1EEEEDaSU_SV_EUlSU_E_NS1_11comp_targetILNS1_3genE10ELNS1_11target_archE1201ELNS1_3gpuE5ELNS1_3repE0EEENS1_30default_config_static_selectorELNS0_4arch9wavefront6targetE1EEEvT1_,comdat
	.protected	_ZN7rocprim17ROCPRIM_400000_NS6detail17trampoline_kernelINS0_14default_configENS1_27scan_by_key_config_selectorIxxEEZZNS1_16scan_by_key_implILNS1_25lookback_scan_determinismE0ELb1ES3_N6thrust23THRUST_200600_302600_NS6detail15normal_iteratorINS9_10device_ptrIxEEEESE_SE_xNS9_10multipliesIxEENS9_8equal_toIxEExEE10hipError_tPvRmT2_T3_T4_T5_mT6_T7_P12ihipStream_tbENKUlT_T0_E_clISt17integral_constantIbLb0EESY_IbLb1EEEEDaSU_SV_EUlSU_E_NS1_11comp_targetILNS1_3genE10ELNS1_11target_archE1201ELNS1_3gpuE5ELNS1_3repE0EEENS1_30default_config_static_selectorELNS0_4arch9wavefront6targetE1EEEvT1_ ; -- Begin function _ZN7rocprim17ROCPRIM_400000_NS6detail17trampoline_kernelINS0_14default_configENS1_27scan_by_key_config_selectorIxxEEZZNS1_16scan_by_key_implILNS1_25lookback_scan_determinismE0ELb1ES3_N6thrust23THRUST_200600_302600_NS6detail15normal_iteratorINS9_10device_ptrIxEEEESE_SE_xNS9_10multipliesIxEENS9_8equal_toIxEExEE10hipError_tPvRmT2_T3_T4_T5_mT6_T7_P12ihipStream_tbENKUlT_T0_E_clISt17integral_constantIbLb0EESY_IbLb1EEEEDaSU_SV_EUlSU_E_NS1_11comp_targetILNS1_3genE10ELNS1_11target_archE1201ELNS1_3gpuE5ELNS1_3repE0EEENS1_30default_config_static_selectorELNS0_4arch9wavefront6targetE1EEEvT1_
	.globl	_ZN7rocprim17ROCPRIM_400000_NS6detail17trampoline_kernelINS0_14default_configENS1_27scan_by_key_config_selectorIxxEEZZNS1_16scan_by_key_implILNS1_25lookback_scan_determinismE0ELb1ES3_N6thrust23THRUST_200600_302600_NS6detail15normal_iteratorINS9_10device_ptrIxEEEESE_SE_xNS9_10multipliesIxEENS9_8equal_toIxEExEE10hipError_tPvRmT2_T3_T4_T5_mT6_T7_P12ihipStream_tbENKUlT_T0_E_clISt17integral_constantIbLb0EESY_IbLb1EEEEDaSU_SV_EUlSU_E_NS1_11comp_targetILNS1_3genE10ELNS1_11target_archE1201ELNS1_3gpuE5ELNS1_3repE0EEENS1_30default_config_static_selectorELNS0_4arch9wavefront6targetE1EEEvT1_
	.p2align	8
	.type	_ZN7rocprim17ROCPRIM_400000_NS6detail17trampoline_kernelINS0_14default_configENS1_27scan_by_key_config_selectorIxxEEZZNS1_16scan_by_key_implILNS1_25lookback_scan_determinismE0ELb1ES3_N6thrust23THRUST_200600_302600_NS6detail15normal_iteratorINS9_10device_ptrIxEEEESE_SE_xNS9_10multipliesIxEENS9_8equal_toIxEExEE10hipError_tPvRmT2_T3_T4_T5_mT6_T7_P12ihipStream_tbENKUlT_T0_E_clISt17integral_constantIbLb0EESY_IbLb1EEEEDaSU_SV_EUlSU_E_NS1_11comp_targetILNS1_3genE10ELNS1_11target_archE1201ELNS1_3gpuE5ELNS1_3repE0EEENS1_30default_config_static_selectorELNS0_4arch9wavefront6targetE1EEEvT1_,@function
_ZN7rocprim17ROCPRIM_400000_NS6detail17trampoline_kernelINS0_14default_configENS1_27scan_by_key_config_selectorIxxEEZZNS1_16scan_by_key_implILNS1_25lookback_scan_determinismE0ELb1ES3_N6thrust23THRUST_200600_302600_NS6detail15normal_iteratorINS9_10device_ptrIxEEEESE_SE_xNS9_10multipliesIxEENS9_8equal_toIxEExEE10hipError_tPvRmT2_T3_T4_T5_mT6_T7_P12ihipStream_tbENKUlT_T0_E_clISt17integral_constantIbLb0EESY_IbLb1EEEEDaSU_SV_EUlSU_E_NS1_11comp_targetILNS1_3genE10ELNS1_11target_archE1201ELNS1_3gpuE5ELNS1_3repE0EEENS1_30default_config_static_selectorELNS0_4arch9wavefront6targetE1EEEvT1_: ; @_ZN7rocprim17ROCPRIM_400000_NS6detail17trampoline_kernelINS0_14default_configENS1_27scan_by_key_config_selectorIxxEEZZNS1_16scan_by_key_implILNS1_25lookback_scan_determinismE0ELb1ES3_N6thrust23THRUST_200600_302600_NS6detail15normal_iteratorINS9_10device_ptrIxEEEESE_SE_xNS9_10multipliesIxEENS9_8equal_toIxEExEE10hipError_tPvRmT2_T3_T4_T5_mT6_T7_P12ihipStream_tbENKUlT_T0_E_clISt17integral_constantIbLb0EESY_IbLb1EEEEDaSU_SV_EUlSU_E_NS1_11comp_targetILNS1_3genE10ELNS1_11target_archE1201ELNS1_3gpuE5ELNS1_3repE0EEENS1_30default_config_static_selectorELNS0_4arch9wavefront6targetE1EEEvT1_
; %bb.0:
	.section	.rodata,"a",@progbits
	.p2align	6, 0x0
	.amdhsa_kernel _ZN7rocprim17ROCPRIM_400000_NS6detail17trampoline_kernelINS0_14default_configENS1_27scan_by_key_config_selectorIxxEEZZNS1_16scan_by_key_implILNS1_25lookback_scan_determinismE0ELb1ES3_N6thrust23THRUST_200600_302600_NS6detail15normal_iteratorINS9_10device_ptrIxEEEESE_SE_xNS9_10multipliesIxEENS9_8equal_toIxEExEE10hipError_tPvRmT2_T3_T4_T5_mT6_T7_P12ihipStream_tbENKUlT_T0_E_clISt17integral_constantIbLb0EESY_IbLb1EEEEDaSU_SV_EUlSU_E_NS1_11comp_targetILNS1_3genE10ELNS1_11target_archE1201ELNS1_3gpuE5ELNS1_3repE0EEENS1_30default_config_static_selectorELNS0_4arch9wavefront6targetE1EEEvT1_
		.amdhsa_group_segment_fixed_size 0
		.amdhsa_private_segment_fixed_size 0
		.amdhsa_kernarg_size 136
		.amdhsa_user_sgpr_count 6
		.amdhsa_user_sgpr_private_segment_buffer 1
		.amdhsa_user_sgpr_dispatch_ptr 0
		.amdhsa_user_sgpr_queue_ptr 0
		.amdhsa_user_sgpr_kernarg_segment_ptr 1
		.amdhsa_user_sgpr_dispatch_id 0
		.amdhsa_user_sgpr_flat_scratch_init 0
		.amdhsa_user_sgpr_kernarg_preload_length 0
		.amdhsa_user_sgpr_kernarg_preload_offset 0
		.amdhsa_user_sgpr_private_segment_size 0
		.amdhsa_uses_dynamic_stack 0
		.amdhsa_system_sgpr_private_segment_wavefront_offset 0
		.amdhsa_system_sgpr_workgroup_id_x 1
		.amdhsa_system_sgpr_workgroup_id_y 0
		.amdhsa_system_sgpr_workgroup_id_z 0
		.amdhsa_system_sgpr_workgroup_info 0
		.amdhsa_system_vgpr_workitem_id 0
		.amdhsa_next_free_vgpr 1
		.amdhsa_next_free_sgpr 0
		.amdhsa_accum_offset 4
		.amdhsa_reserve_vcc 0
		.amdhsa_reserve_flat_scratch 0
		.amdhsa_float_round_mode_32 0
		.amdhsa_float_round_mode_16_64 0
		.amdhsa_float_denorm_mode_32 3
		.amdhsa_float_denorm_mode_16_64 3
		.amdhsa_dx10_clamp 1
		.amdhsa_ieee_mode 1
		.amdhsa_fp16_overflow 0
		.amdhsa_tg_split 0
		.amdhsa_exception_fp_ieee_invalid_op 0
		.amdhsa_exception_fp_denorm_src 0
		.amdhsa_exception_fp_ieee_div_zero 0
		.amdhsa_exception_fp_ieee_overflow 0
		.amdhsa_exception_fp_ieee_underflow 0
		.amdhsa_exception_fp_ieee_inexact 0
		.amdhsa_exception_int_div_zero 0
	.end_amdhsa_kernel
	.section	.text._ZN7rocprim17ROCPRIM_400000_NS6detail17trampoline_kernelINS0_14default_configENS1_27scan_by_key_config_selectorIxxEEZZNS1_16scan_by_key_implILNS1_25lookback_scan_determinismE0ELb1ES3_N6thrust23THRUST_200600_302600_NS6detail15normal_iteratorINS9_10device_ptrIxEEEESE_SE_xNS9_10multipliesIxEENS9_8equal_toIxEExEE10hipError_tPvRmT2_T3_T4_T5_mT6_T7_P12ihipStream_tbENKUlT_T0_E_clISt17integral_constantIbLb0EESY_IbLb1EEEEDaSU_SV_EUlSU_E_NS1_11comp_targetILNS1_3genE10ELNS1_11target_archE1201ELNS1_3gpuE5ELNS1_3repE0EEENS1_30default_config_static_selectorELNS0_4arch9wavefront6targetE1EEEvT1_,"axG",@progbits,_ZN7rocprim17ROCPRIM_400000_NS6detail17trampoline_kernelINS0_14default_configENS1_27scan_by_key_config_selectorIxxEEZZNS1_16scan_by_key_implILNS1_25lookback_scan_determinismE0ELb1ES3_N6thrust23THRUST_200600_302600_NS6detail15normal_iteratorINS9_10device_ptrIxEEEESE_SE_xNS9_10multipliesIxEENS9_8equal_toIxEExEE10hipError_tPvRmT2_T3_T4_T5_mT6_T7_P12ihipStream_tbENKUlT_T0_E_clISt17integral_constantIbLb0EESY_IbLb1EEEEDaSU_SV_EUlSU_E_NS1_11comp_targetILNS1_3genE10ELNS1_11target_archE1201ELNS1_3gpuE5ELNS1_3repE0EEENS1_30default_config_static_selectorELNS0_4arch9wavefront6targetE1EEEvT1_,comdat
.Lfunc_end417:
	.size	_ZN7rocprim17ROCPRIM_400000_NS6detail17trampoline_kernelINS0_14default_configENS1_27scan_by_key_config_selectorIxxEEZZNS1_16scan_by_key_implILNS1_25lookback_scan_determinismE0ELb1ES3_N6thrust23THRUST_200600_302600_NS6detail15normal_iteratorINS9_10device_ptrIxEEEESE_SE_xNS9_10multipliesIxEENS9_8equal_toIxEExEE10hipError_tPvRmT2_T3_T4_T5_mT6_T7_P12ihipStream_tbENKUlT_T0_E_clISt17integral_constantIbLb0EESY_IbLb1EEEEDaSU_SV_EUlSU_E_NS1_11comp_targetILNS1_3genE10ELNS1_11target_archE1201ELNS1_3gpuE5ELNS1_3repE0EEENS1_30default_config_static_selectorELNS0_4arch9wavefront6targetE1EEEvT1_, .Lfunc_end417-_ZN7rocprim17ROCPRIM_400000_NS6detail17trampoline_kernelINS0_14default_configENS1_27scan_by_key_config_selectorIxxEEZZNS1_16scan_by_key_implILNS1_25lookback_scan_determinismE0ELb1ES3_N6thrust23THRUST_200600_302600_NS6detail15normal_iteratorINS9_10device_ptrIxEEEESE_SE_xNS9_10multipliesIxEENS9_8equal_toIxEExEE10hipError_tPvRmT2_T3_T4_T5_mT6_T7_P12ihipStream_tbENKUlT_T0_E_clISt17integral_constantIbLb0EESY_IbLb1EEEEDaSU_SV_EUlSU_E_NS1_11comp_targetILNS1_3genE10ELNS1_11target_archE1201ELNS1_3gpuE5ELNS1_3repE0EEENS1_30default_config_static_selectorELNS0_4arch9wavefront6targetE1EEEvT1_
                                        ; -- End function
	.section	.AMDGPU.csdata,"",@progbits
; Kernel info:
; codeLenInByte = 0
; NumSgprs: 4
; NumVgprs: 0
; NumAgprs: 0
; TotalNumVgprs: 0
; ScratchSize: 0
; MemoryBound: 0
; FloatMode: 240
; IeeeMode: 1
; LDSByteSize: 0 bytes/workgroup (compile time only)
; SGPRBlocks: 0
; VGPRBlocks: 0
; NumSGPRsForWavesPerEU: 4
; NumVGPRsForWavesPerEU: 1
; AccumOffset: 4
; Occupancy: 8
; WaveLimiterHint : 0
; COMPUTE_PGM_RSRC2:SCRATCH_EN: 0
; COMPUTE_PGM_RSRC2:USER_SGPR: 6
; COMPUTE_PGM_RSRC2:TRAP_HANDLER: 0
; COMPUTE_PGM_RSRC2:TGID_X_EN: 1
; COMPUTE_PGM_RSRC2:TGID_Y_EN: 0
; COMPUTE_PGM_RSRC2:TGID_Z_EN: 0
; COMPUTE_PGM_RSRC2:TIDIG_COMP_CNT: 0
; COMPUTE_PGM_RSRC3_GFX90A:ACCUM_OFFSET: 0
; COMPUTE_PGM_RSRC3_GFX90A:TG_SPLIT: 0
	.section	.text._ZN7rocprim17ROCPRIM_400000_NS6detail17trampoline_kernelINS0_14default_configENS1_27scan_by_key_config_selectorIxxEEZZNS1_16scan_by_key_implILNS1_25lookback_scan_determinismE0ELb1ES3_N6thrust23THRUST_200600_302600_NS6detail15normal_iteratorINS9_10device_ptrIxEEEESE_SE_xNS9_10multipliesIxEENS9_8equal_toIxEExEE10hipError_tPvRmT2_T3_T4_T5_mT6_T7_P12ihipStream_tbENKUlT_T0_E_clISt17integral_constantIbLb0EESY_IbLb1EEEEDaSU_SV_EUlSU_E_NS1_11comp_targetILNS1_3genE5ELNS1_11target_archE942ELNS1_3gpuE9ELNS1_3repE0EEENS1_30default_config_static_selectorELNS0_4arch9wavefront6targetE1EEEvT1_,"axG",@progbits,_ZN7rocprim17ROCPRIM_400000_NS6detail17trampoline_kernelINS0_14default_configENS1_27scan_by_key_config_selectorIxxEEZZNS1_16scan_by_key_implILNS1_25lookback_scan_determinismE0ELb1ES3_N6thrust23THRUST_200600_302600_NS6detail15normal_iteratorINS9_10device_ptrIxEEEESE_SE_xNS9_10multipliesIxEENS9_8equal_toIxEExEE10hipError_tPvRmT2_T3_T4_T5_mT6_T7_P12ihipStream_tbENKUlT_T0_E_clISt17integral_constantIbLb0EESY_IbLb1EEEEDaSU_SV_EUlSU_E_NS1_11comp_targetILNS1_3genE5ELNS1_11target_archE942ELNS1_3gpuE9ELNS1_3repE0EEENS1_30default_config_static_selectorELNS0_4arch9wavefront6targetE1EEEvT1_,comdat
	.protected	_ZN7rocprim17ROCPRIM_400000_NS6detail17trampoline_kernelINS0_14default_configENS1_27scan_by_key_config_selectorIxxEEZZNS1_16scan_by_key_implILNS1_25lookback_scan_determinismE0ELb1ES3_N6thrust23THRUST_200600_302600_NS6detail15normal_iteratorINS9_10device_ptrIxEEEESE_SE_xNS9_10multipliesIxEENS9_8equal_toIxEExEE10hipError_tPvRmT2_T3_T4_T5_mT6_T7_P12ihipStream_tbENKUlT_T0_E_clISt17integral_constantIbLb0EESY_IbLb1EEEEDaSU_SV_EUlSU_E_NS1_11comp_targetILNS1_3genE5ELNS1_11target_archE942ELNS1_3gpuE9ELNS1_3repE0EEENS1_30default_config_static_selectorELNS0_4arch9wavefront6targetE1EEEvT1_ ; -- Begin function _ZN7rocprim17ROCPRIM_400000_NS6detail17trampoline_kernelINS0_14default_configENS1_27scan_by_key_config_selectorIxxEEZZNS1_16scan_by_key_implILNS1_25lookback_scan_determinismE0ELb1ES3_N6thrust23THRUST_200600_302600_NS6detail15normal_iteratorINS9_10device_ptrIxEEEESE_SE_xNS9_10multipliesIxEENS9_8equal_toIxEExEE10hipError_tPvRmT2_T3_T4_T5_mT6_T7_P12ihipStream_tbENKUlT_T0_E_clISt17integral_constantIbLb0EESY_IbLb1EEEEDaSU_SV_EUlSU_E_NS1_11comp_targetILNS1_3genE5ELNS1_11target_archE942ELNS1_3gpuE9ELNS1_3repE0EEENS1_30default_config_static_selectorELNS0_4arch9wavefront6targetE1EEEvT1_
	.globl	_ZN7rocprim17ROCPRIM_400000_NS6detail17trampoline_kernelINS0_14default_configENS1_27scan_by_key_config_selectorIxxEEZZNS1_16scan_by_key_implILNS1_25lookback_scan_determinismE0ELb1ES3_N6thrust23THRUST_200600_302600_NS6detail15normal_iteratorINS9_10device_ptrIxEEEESE_SE_xNS9_10multipliesIxEENS9_8equal_toIxEExEE10hipError_tPvRmT2_T3_T4_T5_mT6_T7_P12ihipStream_tbENKUlT_T0_E_clISt17integral_constantIbLb0EESY_IbLb1EEEEDaSU_SV_EUlSU_E_NS1_11comp_targetILNS1_3genE5ELNS1_11target_archE942ELNS1_3gpuE9ELNS1_3repE0EEENS1_30default_config_static_selectorELNS0_4arch9wavefront6targetE1EEEvT1_
	.p2align	8
	.type	_ZN7rocprim17ROCPRIM_400000_NS6detail17trampoline_kernelINS0_14default_configENS1_27scan_by_key_config_selectorIxxEEZZNS1_16scan_by_key_implILNS1_25lookback_scan_determinismE0ELb1ES3_N6thrust23THRUST_200600_302600_NS6detail15normal_iteratorINS9_10device_ptrIxEEEESE_SE_xNS9_10multipliesIxEENS9_8equal_toIxEExEE10hipError_tPvRmT2_T3_T4_T5_mT6_T7_P12ihipStream_tbENKUlT_T0_E_clISt17integral_constantIbLb0EESY_IbLb1EEEEDaSU_SV_EUlSU_E_NS1_11comp_targetILNS1_3genE5ELNS1_11target_archE942ELNS1_3gpuE9ELNS1_3repE0EEENS1_30default_config_static_selectorELNS0_4arch9wavefront6targetE1EEEvT1_,@function
_ZN7rocprim17ROCPRIM_400000_NS6detail17trampoline_kernelINS0_14default_configENS1_27scan_by_key_config_selectorIxxEEZZNS1_16scan_by_key_implILNS1_25lookback_scan_determinismE0ELb1ES3_N6thrust23THRUST_200600_302600_NS6detail15normal_iteratorINS9_10device_ptrIxEEEESE_SE_xNS9_10multipliesIxEENS9_8equal_toIxEExEE10hipError_tPvRmT2_T3_T4_T5_mT6_T7_P12ihipStream_tbENKUlT_T0_E_clISt17integral_constantIbLb0EESY_IbLb1EEEEDaSU_SV_EUlSU_E_NS1_11comp_targetILNS1_3genE5ELNS1_11target_archE942ELNS1_3gpuE9ELNS1_3repE0EEENS1_30default_config_static_selectorELNS0_4arch9wavefront6targetE1EEEvT1_: ; @_ZN7rocprim17ROCPRIM_400000_NS6detail17trampoline_kernelINS0_14default_configENS1_27scan_by_key_config_selectorIxxEEZZNS1_16scan_by_key_implILNS1_25lookback_scan_determinismE0ELb1ES3_N6thrust23THRUST_200600_302600_NS6detail15normal_iteratorINS9_10device_ptrIxEEEESE_SE_xNS9_10multipliesIxEENS9_8equal_toIxEExEE10hipError_tPvRmT2_T3_T4_T5_mT6_T7_P12ihipStream_tbENKUlT_T0_E_clISt17integral_constantIbLb0EESY_IbLb1EEEEDaSU_SV_EUlSU_E_NS1_11comp_targetILNS1_3genE5ELNS1_11target_archE942ELNS1_3gpuE9ELNS1_3repE0EEENS1_30default_config_static_selectorELNS0_4arch9wavefront6targetE1EEEvT1_
; %bb.0:
	.section	.rodata,"a",@progbits
	.p2align	6, 0x0
	.amdhsa_kernel _ZN7rocprim17ROCPRIM_400000_NS6detail17trampoline_kernelINS0_14default_configENS1_27scan_by_key_config_selectorIxxEEZZNS1_16scan_by_key_implILNS1_25lookback_scan_determinismE0ELb1ES3_N6thrust23THRUST_200600_302600_NS6detail15normal_iteratorINS9_10device_ptrIxEEEESE_SE_xNS9_10multipliesIxEENS9_8equal_toIxEExEE10hipError_tPvRmT2_T3_T4_T5_mT6_T7_P12ihipStream_tbENKUlT_T0_E_clISt17integral_constantIbLb0EESY_IbLb1EEEEDaSU_SV_EUlSU_E_NS1_11comp_targetILNS1_3genE5ELNS1_11target_archE942ELNS1_3gpuE9ELNS1_3repE0EEENS1_30default_config_static_selectorELNS0_4arch9wavefront6targetE1EEEvT1_
		.amdhsa_group_segment_fixed_size 0
		.amdhsa_private_segment_fixed_size 0
		.amdhsa_kernarg_size 136
		.amdhsa_user_sgpr_count 6
		.amdhsa_user_sgpr_private_segment_buffer 1
		.amdhsa_user_sgpr_dispatch_ptr 0
		.amdhsa_user_sgpr_queue_ptr 0
		.amdhsa_user_sgpr_kernarg_segment_ptr 1
		.amdhsa_user_sgpr_dispatch_id 0
		.amdhsa_user_sgpr_flat_scratch_init 0
		.amdhsa_user_sgpr_kernarg_preload_length 0
		.amdhsa_user_sgpr_kernarg_preload_offset 0
		.amdhsa_user_sgpr_private_segment_size 0
		.amdhsa_uses_dynamic_stack 0
		.amdhsa_system_sgpr_private_segment_wavefront_offset 0
		.amdhsa_system_sgpr_workgroup_id_x 1
		.amdhsa_system_sgpr_workgroup_id_y 0
		.amdhsa_system_sgpr_workgroup_id_z 0
		.amdhsa_system_sgpr_workgroup_info 0
		.amdhsa_system_vgpr_workitem_id 0
		.amdhsa_next_free_vgpr 1
		.amdhsa_next_free_sgpr 0
		.amdhsa_accum_offset 4
		.amdhsa_reserve_vcc 0
		.amdhsa_reserve_flat_scratch 0
		.amdhsa_float_round_mode_32 0
		.amdhsa_float_round_mode_16_64 0
		.amdhsa_float_denorm_mode_32 3
		.amdhsa_float_denorm_mode_16_64 3
		.amdhsa_dx10_clamp 1
		.amdhsa_ieee_mode 1
		.amdhsa_fp16_overflow 0
		.amdhsa_tg_split 0
		.amdhsa_exception_fp_ieee_invalid_op 0
		.amdhsa_exception_fp_denorm_src 0
		.amdhsa_exception_fp_ieee_div_zero 0
		.amdhsa_exception_fp_ieee_overflow 0
		.amdhsa_exception_fp_ieee_underflow 0
		.amdhsa_exception_fp_ieee_inexact 0
		.amdhsa_exception_int_div_zero 0
	.end_amdhsa_kernel
	.section	.text._ZN7rocprim17ROCPRIM_400000_NS6detail17trampoline_kernelINS0_14default_configENS1_27scan_by_key_config_selectorIxxEEZZNS1_16scan_by_key_implILNS1_25lookback_scan_determinismE0ELb1ES3_N6thrust23THRUST_200600_302600_NS6detail15normal_iteratorINS9_10device_ptrIxEEEESE_SE_xNS9_10multipliesIxEENS9_8equal_toIxEExEE10hipError_tPvRmT2_T3_T4_T5_mT6_T7_P12ihipStream_tbENKUlT_T0_E_clISt17integral_constantIbLb0EESY_IbLb1EEEEDaSU_SV_EUlSU_E_NS1_11comp_targetILNS1_3genE5ELNS1_11target_archE942ELNS1_3gpuE9ELNS1_3repE0EEENS1_30default_config_static_selectorELNS0_4arch9wavefront6targetE1EEEvT1_,"axG",@progbits,_ZN7rocprim17ROCPRIM_400000_NS6detail17trampoline_kernelINS0_14default_configENS1_27scan_by_key_config_selectorIxxEEZZNS1_16scan_by_key_implILNS1_25lookback_scan_determinismE0ELb1ES3_N6thrust23THRUST_200600_302600_NS6detail15normal_iteratorINS9_10device_ptrIxEEEESE_SE_xNS9_10multipliesIxEENS9_8equal_toIxEExEE10hipError_tPvRmT2_T3_T4_T5_mT6_T7_P12ihipStream_tbENKUlT_T0_E_clISt17integral_constantIbLb0EESY_IbLb1EEEEDaSU_SV_EUlSU_E_NS1_11comp_targetILNS1_3genE5ELNS1_11target_archE942ELNS1_3gpuE9ELNS1_3repE0EEENS1_30default_config_static_selectorELNS0_4arch9wavefront6targetE1EEEvT1_,comdat
.Lfunc_end418:
	.size	_ZN7rocprim17ROCPRIM_400000_NS6detail17trampoline_kernelINS0_14default_configENS1_27scan_by_key_config_selectorIxxEEZZNS1_16scan_by_key_implILNS1_25lookback_scan_determinismE0ELb1ES3_N6thrust23THRUST_200600_302600_NS6detail15normal_iteratorINS9_10device_ptrIxEEEESE_SE_xNS9_10multipliesIxEENS9_8equal_toIxEExEE10hipError_tPvRmT2_T3_T4_T5_mT6_T7_P12ihipStream_tbENKUlT_T0_E_clISt17integral_constantIbLb0EESY_IbLb1EEEEDaSU_SV_EUlSU_E_NS1_11comp_targetILNS1_3genE5ELNS1_11target_archE942ELNS1_3gpuE9ELNS1_3repE0EEENS1_30default_config_static_selectorELNS0_4arch9wavefront6targetE1EEEvT1_, .Lfunc_end418-_ZN7rocprim17ROCPRIM_400000_NS6detail17trampoline_kernelINS0_14default_configENS1_27scan_by_key_config_selectorIxxEEZZNS1_16scan_by_key_implILNS1_25lookback_scan_determinismE0ELb1ES3_N6thrust23THRUST_200600_302600_NS6detail15normal_iteratorINS9_10device_ptrIxEEEESE_SE_xNS9_10multipliesIxEENS9_8equal_toIxEExEE10hipError_tPvRmT2_T3_T4_T5_mT6_T7_P12ihipStream_tbENKUlT_T0_E_clISt17integral_constantIbLb0EESY_IbLb1EEEEDaSU_SV_EUlSU_E_NS1_11comp_targetILNS1_3genE5ELNS1_11target_archE942ELNS1_3gpuE9ELNS1_3repE0EEENS1_30default_config_static_selectorELNS0_4arch9wavefront6targetE1EEEvT1_
                                        ; -- End function
	.section	.AMDGPU.csdata,"",@progbits
; Kernel info:
; codeLenInByte = 0
; NumSgprs: 4
; NumVgprs: 0
; NumAgprs: 0
; TotalNumVgprs: 0
; ScratchSize: 0
; MemoryBound: 0
; FloatMode: 240
; IeeeMode: 1
; LDSByteSize: 0 bytes/workgroup (compile time only)
; SGPRBlocks: 0
; VGPRBlocks: 0
; NumSGPRsForWavesPerEU: 4
; NumVGPRsForWavesPerEU: 1
; AccumOffset: 4
; Occupancy: 8
; WaveLimiterHint : 0
; COMPUTE_PGM_RSRC2:SCRATCH_EN: 0
; COMPUTE_PGM_RSRC2:USER_SGPR: 6
; COMPUTE_PGM_RSRC2:TRAP_HANDLER: 0
; COMPUTE_PGM_RSRC2:TGID_X_EN: 1
; COMPUTE_PGM_RSRC2:TGID_Y_EN: 0
; COMPUTE_PGM_RSRC2:TGID_Z_EN: 0
; COMPUTE_PGM_RSRC2:TIDIG_COMP_CNT: 0
; COMPUTE_PGM_RSRC3_GFX90A:ACCUM_OFFSET: 0
; COMPUTE_PGM_RSRC3_GFX90A:TG_SPLIT: 0
	.section	.text._ZN7rocprim17ROCPRIM_400000_NS6detail17trampoline_kernelINS0_14default_configENS1_27scan_by_key_config_selectorIxxEEZZNS1_16scan_by_key_implILNS1_25lookback_scan_determinismE0ELb1ES3_N6thrust23THRUST_200600_302600_NS6detail15normal_iteratorINS9_10device_ptrIxEEEESE_SE_xNS9_10multipliesIxEENS9_8equal_toIxEExEE10hipError_tPvRmT2_T3_T4_T5_mT6_T7_P12ihipStream_tbENKUlT_T0_E_clISt17integral_constantIbLb0EESY_IbLb1EEEEDaSU_SV_EUlSU_E_NS1_11comp_targetILNS1_3genE4ELNS1_11target_archE910ELNS1_3gpuE8ELNS1_3repE0EEENS1_30default_config_static_selectorELNS0_4arch9wavefront6targetE1EEEvT1_,"axG",@progbits,_ZN7rocprim17ROCPRIM_400000_NS6detail17trampoline_kernelINS0_14default_configENS1_27scan_by_key_config_selectorIxxEEZZNS1_16scan_by_key_implILNS1_25lookback_scan_determinismE0ELb1ES3_N6thrust23THRUST_200600_302600_NS6detail15normal_iteratorINS9_10device_ptrIxEEEESE_SE_xNS9_10multipliesIxEENS9_8equal_toIxEExEE10hipError_tPvRmT2_T3_T4_T5_mT6_T7_P12ihipStream_tbENKUlT_T0_E_clISt17integral_constantIbLb0EESY_IbLb1EEEEDaSU_SV_EUlSU_E_NS1_11comp_targetILNS1_3genE4ELNS1_11target_archE910ELNS1_3gpuE8ELNS1_3repE0EEENS1_30default_config_static_selectorELNS0_4arch9wavefront6targetE1EEEvT1_,comdat
	.protected	_ZN7rocprim17ROCPRIM_400000_NS6detail17trampoline_kernelINS0_14default_configENS1_27scan_by_key_config_selectorIxxEEZZNS1_16scan_by_key_implILNS1_25lookback_scan_determinismE0ELb1ES3_N6thrust23THRUST_200600_302600_NS6detail15normal_iteratorINS9_10device_ptrIxEEEESE_SE_xNS9_10multipliesIxEENS9_8equal_toIxEExEE10hipError_tPvRmT2_T3_T4_T5_mT6_T7_P12ihipStream_tbENKUlT_T0_E_clISt17integral_constantIbLb0EESY_IbLb1EEEEDaSU_SV_EUlSU_E_NS1_11comp_targetILNS1_3genE4ELNS1_11target_archE910ELNS1_3gpuE8ELNS1_3repE0EEENS1_30default_config_static_selectorELNS0_4arch9wavefront6targetE1EEEvT1_ ; -- Begin function _ZN7rocprim17ROCPRIM_400000_NS6detail17trampoline_kernelINS0_14default_configENS1_27scan_by_key_config_selectorIxxEEZZNS1_16scan_by_key_implILNS1_25lookback_scan_determinismE0ELb1ES3_N6thrust23THRUST_200600_302600_NS6detail15normal_iteratorINS9_10device_ptrIxEEEESE_SE_xNS9_10multipliesIxEENS9_8equal_toIxEExEE10hipError_tPvRmT2_T3_T4_T5_mT6_T7_P12ihipStream_tbENKUlT_T0_E_clISt17integral_constantIbLb0EESY_IbLb1EEEEDaSU_SV_EUlSU_E_NS1_11comp_targetILNS1_3genE4ELNS1_11target_archE910ELNS1_3gpuE8ELNS1_3repE0EEENS1_30default_config_static_selectorELNS0_4arch9wavefront6targetE1EEEvT1_
	.globl	_ZN7rocprim17ROCPRIM_400000_NS6detail17trampoline_kernelINS0_14default_configENS1_27scan_by_key_config_selectorIxxEEZZNS1_16scan_by_key_implILNS1_25lookback_scan_determinismE0ELb1ES3_N6thrust23THRUST_200600_302600_NS6detail15normal_iteratorINS9_10device_ptrIxEEEESE_SE_xNS9_10multipliesIxEENS9_8equal_toIxEExEE10hipError_tPvRmT2_T3_T4_T5_mT6_T7_P12ihipStream_tbENKUlT_T0_E_clISt17integral_constantIbLb0EESY_IbLb1EEEEDaSU_SV_EUlSU_E_NS1_11comp_targetILNS1_3genE4ELNS1_11target_archE910ELNS1_3gpuE8ELNS1_3repE0EEENS1_30default_config_static_selectorELNS0_4arch9wavefront6targetE1EEEvT1_
	.p2align	8
	.type	_ZN7rocprim17ROCPRIM_400000_NS6detail17trampoline_kernelINS0_14default_configENS1_27scan_by_key_config_selectorIxxEEZZNS1_16scan_by_key_implILNS1_25lookback_scan_determinismE0ELb1ES3_N6thrust23THRUST_200600_302600_NS6detail15normal_iteratorINS9_10device_ptrIxEEEESE_SE_xNS9_10multipliesIxEENS9_8equal_toIxEExEE10hipError_tPvRmT2_T3_T4_T5_mT6_T7_P12ihipStream_tbENKUlT_T0_E_clISt17integral_constantIbLb0EESY_IbLb1EEEEDaSU_SV_EUlSU_E_NS1_11comp_targetILNS1_3genE4ELNS1_11target_archE910ELNS1_3gpuE8ELNS1_3repE0EEENS1_30default_config_static_selectorELNS0_4arch9wavefront6targetE1EEEvT1_,@function
_ZN7rocprim17ROCPRIM_400000_NS6detail17trampoline_kernelINS0_14default_configENS1_27scan_by_key_config_selectorIxxEEZZNS1_16scan_by_key_implILNS1_25lookback_scan_determinismE0ELb1ES3_N6thrust23THRUST_200600_302600_NS6detail15normal_iteratorINS9_10device_ptrIxEEEESE_SE_xNS9_10multipliesIxEENS9_8equal_toIxEExEE10hipError_tPvRmT2_T3_T4_T5_mT6_T7_P12ihipStream_tbENKUlT_T0_E_clISt17integral_constantIbLb0EESY_IbLb1EEEEDaSU_SV_EUlSU_E_NS1_11comp_targetILNS1_3genE4ELNS1_11target_archE910ELNS1_3gpuE8ELNS1_3repE0EEENS1_30default_config_static_selectorELNS0_4arch9wavefront6targetE1EEEvT1_: ; @_ZN7rocprim17ROCPRIM_400000_NS6detail17trampoline_kernelINS0_14default_configENS1_27scan_by_key_config_selectorIxxEEZZNS1_16scan_by_key_implILNS1_25lookback_scan_determinismE0ELb1ES3_N6thrust23THRUST_200600_302600_NS6detail15normal_iteratorINS9_10device_ptrIxEEEESE_SE_xNS9_10multipliesIxEENS9_8equal_toIxEExEE10hipError_tPvRmT2_T3_T4_T5_mT6_T7_P12ihipStream_tbENKUlT_T0_E_clISt17integral_constantIbLb0EESY_IbLb1EEEEDaSU_SV_EUlSU_E_NS1_11comp_targetILNS1_3genE4ELNS1_11target_archE910ELNS1_3gpuE8ELNS1_3repE0EEENS1_30default_config_static_selectorELNS0_4arch9wavefront6targetE1EEEvT1_
; %bb.0:
	s_load_dwordx8 s[56:63], s[4:5], 0x0
	s_load_dwordx2 s[68:69], s[4:5], 0x20
	s_load_dwordx8 s[48:55], s[4:5], 0x30
	s_load_dwordx2 s[70:71], s[4:5], 0x50
	v_cmp_ne_u32_e64 s[44:45], 0, v0
	v_cmp_eq_u32_e64 s[2:3], 0, v0
	s_and_saveexec_b64 s[0:1], s[2:3]
	s_cbranch_execz .LBB419_4
; %bb.1:
	s_mov_b64 s[8:9], exec
	v_mbcnt_lo_u32_b32 v1, s8, 0
	v_mbcnt_hi_u32_b32 v1, s9, v1
	v_cmp_eq_u32_e32 vcc, 0, v1
                                        ; implicit-def: $vgpr2
	s_and_saveexec_b64 s[6:7], vcc
	s_cbranch_execz .LBB419_3
; %bb.2:
	s_load_dwordx2 s[10:11], s[4:5], 0x80
	s_bcnt1_i32_b64 s8, s[8:9]
	v_mov_b32_e32 v2, 0
	v_mov_b32_e32 v3, s8
	s_waitcnt lgkmcnt(0)
	global_atomic_add v2, v2, v3, s[10:11] glc
.LBB419_3:
	s_or_b64 exec, exec, s[6:7]
	s_waitcnt vmcnt(0)
	v_readfirstlane_b32 s6, v2
	v_add_u32_e32 v1, s6, v1
	v_mov_b32_e32 v2, 0
	ds_write_b32 v2, v1
.LBB419_4:
	s_or_b64 exec, exec, s[0:1]
	s_load_dword s0, s[4:5], 0x58
	s_load_dwordx4 s[64:67], s[4:5], 0x60
	v_mov_b32_e32 v3, 0
	s_waitcnt lgkmcnt(0)
	s_lshl_b64 s[46:47], s[58:59], 3
	s_waitcnt lgkmcnt(0)
	; wave barrier
	ds_read_b32 v1, v3
	s_add_u32 s1, s56, s46
	s_addc_u32 s4, s57, s47
	s_add_u32 s5, s60, s46
	s_mul_i32 s7, s71, s0
	s_mul_hi_u32 s8, s70, s0
	s_addc_u32 s6, s61, s47
	s_add_i32 s7, s8, s7
	s_movk_i32 s8, 0x4c0
	s_waitcnt lgkmcnt(0)
	v_mul_lo_u32 v2, v1, s8
	v_lshlrev_b64 v[74:75], 3, v[2:3]
	v_mov_b32_e32 v2, s4
	v_add_co_u32_e32 v78, vcc, s1, v74
	v_addc_co_u32_e32 v79, vcc, v2, v75, vcc
	v_mov_b32_e32 v2, s6
	v_add_co_u32_e32 v84, vcc, s5, v74
	s_mul_i32 s0, s70, s0
	v_addc_co_u32_e32 v85, vcc, v2, v75, vcc
	v_mov_b32_e32 v3, s7
	v_add_co_u32_e32 v2, vcc, s0, v1
	s_add_u32 s6, s64, -1
	v_addc_co_u32_e32 v3, vcc, 0, v3, vcc
	s_addc_u32 s7, s65, -1
	v_cmp_le_u64_e64 s[0:1], s[6:7], v[2:3]
	v_readfirstlane_b32 s55, v1
	s_mov_b64 s[4:5], -1
	s_and_b64 vcc, exec, s[0:1]
	s_mul_i32 s33, s6, 0xfffffb40
	s_waitcnt lgkmcnt(0)
	; wave barrier
	s_waitcnt lgkmcnt(0)
	s_waitcnt lgkmcnt(0)
	; wave barrier
	s_cbranch_vccz .LBB419_63
; %bb.5:
	flat_load_dwordx2 v[2:3], v[78:79]
	s_add_i32 s60, s33, s54
	v_cmp_gt_u32_e32 vcc, s60, v0
	s_waitcnt vmcnt(0) lgkmcnt(0)
	v_pk_mov_b32 v[4:5], v[2:3], v[2:3] op_sel:[0,1]
	s_and_saveexec_b64 s[6:7], vcc
	s_cbranch_execz .LBB419_7
; %bb.6:
	v_lshlrev_b32_e32 v1, 3, v0
	v_add_co_u32_e64 v4, s[4:5], v78, v1
	v_addc_co_u32_e64 v5, s[4:5], 0, v79, s[4:5]
	flat_load_dwordx2 v[4:5], v[4:5]
.LBB419_7:
	s_or_b64 exec, exec, s[6:7]
	v_or_b32_e32 v1, 64, v0
	v_cmp_gt_u32_e64 s[6:7], s60, v1
	v_pk_mov_b32 v[6:7], v[2:3], v[2:3] op_sel:[0,1]
	s_and_saveexec_b64 s[8:9], s[6:7]
	s_cbranch_execz .LBB419_9
; %bb.8:
	v_lshlrev_b32_e32 v1, 3, v0
	v_add_co_u32_e64 v6, s[4:5], v78, v1
	v_addc_co_u32_e64 v7, s[4:5], 0, v79, s[4:5]
	flat_load_dwordx2 v[6:7], v[6:7] offset:512
.LBB419_9:
	s_or_b64 exec, exec, s[8:9]
	v_or_b32_e32 v1, 0x80, v0
	v_cmp_gt_u32_e64 s[8:9], s60, v1
	v_pk_mov_b32 v[8:9], v[2:3], v[2:3] op_sel:[0,1]
	s_and_saveexec_b64 s[10:11], s[8:9]
	s_cbranch_execz .LBB419_11
; %bb.10:
	v_lshlrev_b32_e32 v1, 3, v0
	v_add_co_u32_e64 v8, s[4:5], v78, v1
	v_addc_co_u32_e64 v9, s[4:5], 0, v79, s[4:5]
	flat_load_dwordx2 v[8:9], v[8:9] offset:1024
.LBB419_11:
	;; [unrolled: 12-line block ×7, first 2 shown]
	s_or_b64 exec, exec, s[20:21]
	v_or_b32_e32 v1, 0x200, v0
	v_cmp_gt_u32_e64 s[20:21], s60, v1
	v_lshlrev_b32_e32 v1, 3, v1
	v_pk_mov_b32 v[20:21], v[2:3], v[2:3] op_sel:[0,1]
	s_and_saveexec_b64 s[22:23], s[20:21]
	s_cbranch_execz .LBB419_23
; %bb.22:
	v_add_co_u32_e64 v20, s[4:5], v78, v1
	v_addc_co_u32_e64 v21, s[4:5], 0, v79, s[4:5]
	flat_load_dwordx2 v[20:21], v[20:21]
.LBB419_23:
	s_or_b64 exec, exec, s[22:23]
	v_or_b32_e32 v22, 0x240, v0
	v_cmp_gt_u32_e64 s[22:23], s60, v22
	v_lshlrev_b32_e32 v60, 3, v22
	v_pk_mov_b32 v[22:23], v[2:3], v[2:3] op_sel:[0,1]
	s_and_saveexec_b64 s[24:25], s[22:23]
	s_cbranch_execz .LBB419_25
; %bb.24:
	v_add_co_u32_e64 v22, s[4:5], v78, v60
	v_addc_co_u32_e64 v23, s[4:5], 0, v79, s[4:5]
	flat_load_dwordx2 v[22:23], v[22:23]
.LBB419_25:
	;; [unrolled: 12-line block ×10, first 2 shown]
	s_or_b64 exec, exec, s[42:43]
	v_or_b32_e32 v40, 0x480, v0
	v_cmp_gt_u32_e64 s[42:43], s60, v40
	v_lshlrev_b32_e32 v89, 3, v40
	s_and_saveexec_b64 s[56:57], s[42:43]
	s_cbranch_execz .LBB419_43
; %bb.42:
	v_add_co_u32_e64 v2, s[4:5], v78, v89
	v_addc_co_u32_e64 v3, s[4:5], 0, v79, s[4:5]
	flat_load_dwordx2 v[2:3], v[2:3]
.LBB419_43:
	s_or_b64 exec, exec, s[56:57]
	v_lshlrev_b32_e32 v88, 3, v0
	s_waitcnt vmcnt(0) lgkmcnt(0)
	ds_write2st64_b64 v88, v[4:5], v[6:7] offset1:1
	ds_write2st64_b64 v88, v[8:9], v[10:11] offset0:2 offset1:3
	ds_write2st64_b64 v88, v[12:13], v[14:15] offset0:4 offset1:5
	;; [unrolled: 1-line block ×8, first 2 shown]
	ds_write_b64 v88, v[2:3] offset:9216
	s_waitcnt lgkmcnt(0)
	; wave barrier
	s_waitcnt lgkmcnt(0)
	flat_load_dwordx2 v[82:83], v[78:79]
	s_movk_i32 s4, 0x90
	v_mad_u32_u24 v86, v0, s4, v88
	s_movk_i32 s4, 0xff70
	v_mad_i32_i24 v38, v0, s4, v86
	v_cmp_ne_u32_e64 s[4:5], 63, v0
	ds_read_b64 v[40:41], v86
	ds_read2_b64 v[34:37], v86 offset0:1 offset1:2
	ds_read2_b64 v[30:33], v86 offset0:3 offset1:4
	ds_read2_b64 v[26:29], v86 offset0:5 offset1:6
	ds_read2_b64 v[22:25], v86 offset0:7 offset1:8
	ds_read2_b64 v[18:21], v86 offset0:9 offset1:10
	ds_read2_b64 v[14:17], v86 offset0:11 offset1:12
	ds_read2_b64 v[10:13], v86 offset0:13 offset1:14
	ds_read2_b64 v[6:9], v86 offset0:15 offset1:16
	ds_read2_b64 v[2:5], v86 offset0:17 offset1:18
	s_waitcnt lgkmcnt(0)
	ds_write_b64 v38, v[40:41] offset:10240
	s_waitcnt lgkmcnt(0)
	; wave barrier
	s_waitcnt lgkmcnt(0)
	s_and_saveexec_b64 s[56:57], s[4:5]
	s_cbranch_execz .LBB419_45
; %bb.44:
	s_waitcnt vmcnt(0)
	ds_read_b64 v[82:83], v88 offset:10248
.LBB419_45:
	s_or_b64 exec, exec, s[56:57]
	s_waitcnt lgkmcnt(0)
	; wave barrier
	s_waitcnt lgkmcnt(0)
                                        ; implicit-def: $vgpr38_vgpr39
	s_and_saveexec_b64 s[4:5], vcc
	s_cbranch_execz .LBB419_64
; %bb.46:
	v_add_co_u32_e32 v38, vcc, v84, v88
	v_addc_co_u32_e32 v39, vcc, 0, v85, vcc
	flat_load_dwordx2 v[38:39], v[38:39]
	s_or_b64 exec, exec, s[4:5]
                                        ; implicit-def: $vgpr42_vgpr43
	s_and_saveexec_b64 s[4:5], s[6:7]
	s_cbranch_execnz .LBB419_65
.LBB419_47:
	s_or_b64 exec, exec, s[4:5]
                                        ; implicit-def: $vgpr44_vgpr45
	s_and_saveexec_b64 s[4:5], s[8:9]
	s_cbranch_execz .LBB419_66
.LBB419_48:
	v_add_co_u32_e32 v44, vcc, v84, v88
	v_addc_co_u32_e32 v45, vcc, 0, v85, vcc
	flat_load_dwordx2 v[44:45], v[44:45] offset:1024
	s_or_b64 exec, exec, s[4:5]
                                        ; implicit-def: $vgpr46_vgpr47
	s_and_saveexec_b64 s[4:5], s[10:11]
	s_cbranch_execnz .LBB419_67
.LBB419_49:
	s_or_b64 exec, exec, s[4:5]
                                        ; implicit-def: $vgpr48_vgpr49
	s_and_saveexec_b64 s[4:5], s[12:13]
	s_cbranch_execz .LBB419_68
.LBB419_50:
	v_add_co_u32_e32 v48, vcc, v84, v88
	v_addc_co_u32_e32 v49, vcc, 0, v85, vcc
	flat_load_dwordx2 v[48:49], v[48:49] offset:2048
	s_or_b64 exec, exec, s[4:5]
                                        ; implicit-def: $vgpr50_vgpr51
	s_and_saveexec_b64 s[4:5], s[14:15]
	s_cbranch_execnz .LBB419_69
.LBB419_51:
	s_or_b64 exec, exec, s[4:5]
                                        ; implicit-def: $vgpr52_vgpr53
	s_and_saveexec_b64 s[4:5], s[16:17]
	s_cbranch_execz .LBB419_70
.LBB419_52:
	v_add_co_u32_e32 v52, vcc, v84, v88
	v_addc_co_u32_e32 v53, vcc, 0, v85, vcc
	flat_load_dwordx2 v[52:53], v[52:53] offset:3072
	s_or_b64 exec, exec, s[4:5]
                                        ; implicit-def: $vgpr54_vgpr55
	s_and_saveexec_b64 s[4:5], s[18:19]
	s_cbranch_execnz .LBB419_71
.LBB419_53:
	s_or_b64 exec, exec, s[4:5]
                                        ; implicit-def: $vgpr56_vgpr57
	s_and_saveexec_b64 s[4:5], s[20:21]
	s_cbranch_execz .LBB419_72
.LBB419_54:
	v_add_co_u32_e32 v56, vcc, v84, v1
	v_addc_co_u32_e32 v57, vcc, 0, v85, vcc
	flat_load_dwordx2 v[56:57], v[56:57]
	s_or_b64 exec, exec, s[4:5]
                                        ; implicit-def: $vgpr58_vgpr59
	s_and_saveexec_b64 s[4:5], s[22:23]
	s_cbranch_execnz .LBB419_73
.LBB419_55:
	s_or_b64 exec, exec, s[4:5]
                                        ; implicit-def: $vgpr60_vgpr61
	s_and_saveexec_b64 s[4:5], s[24:25]
	s_cbranch_execz .LBB419_74
.LBB419_56:
	v_add_co_u32_e32 v60, vcc, v84, v62
	v_addc_co_u32_e32 v61, vcc, 0, v85, vcc
	flat_load_dwordx2 v[60:61], v[60:61]
	s_or_b64 exec, exec, s[4:5]
                                        ; implicit-def: $vgpr62_vgpr63
	s_and_saveexec_b64 s[4:5], s[26:27]
	s_cbranch_execnz .LBB419_75
.LBB419_57:
	s_or_b64 exec, exec, s[4:5]
                                        ; implicit-def: $vgpr64_vgpr65
	s_and_saveexec_b64 s[4:5], s[28:29]
	s_cbranch_execz .LBB419_76
.LBB419_58:
	v_add_co_u32_e32 v64, vcc, v84, v66
	v_addc_co_u32_e32 v65, vcc, 0, v85, vcc
	flat_load_dwordx2 v[64:65], v[64:65]
	s_or_b64 exec, exec, s[4:5]
                                        ; implicit-def: $vgpr66_vgpr67
	s_and_saveexec_b64 s[4:5], s[30:31]
	s_cbranch_execnz .LBB419_77
.LBB419_59:
	s_or_b64 exec, exec, s[4:5]
                                        ; implicit-def: $vgpr68_vgpr69
	s_and_saveexec_b64 s[4:5], s[34:35]
	s_cbranch_execz .LBB419_78
.LBB419_60:
	v_add_co_u32_e32 v68, vcc, v84, v70
	v_addc_co_u32_e32 v69, vcc, 0, v85, vcc
	flat_load_dwordx2 v[68:69], v[68:69]
	s_or_b64 exec, exec, s[4:5]
                                        ; implicit-def: $vgpr70_vgpr71
	s_and_saveexec_b64 s[4:5], s[36:37]
	s_cbranch_execnz .LBB419_79
.LBB419_61:
	s_or_b64 exec, exec, s[4:5]
                                        ; implicit-def: $vgpr72_vgpr73
	s_and_saveexec_b64 s[4:5], s[38:39]
	s_cbranch_execz .LBB419_80
.LBB419_62:
	v_add_co_u32_e32 v72, vcc, v84, v76
	v_addc_co_u32_e32 v73, vcc, 0, v85, vcc
	flat_load_dwordx2 v[72:73], v[72:73]
	s_or_b64 exec, exec, s[4:5]
                                        ; implicit-def: $vgpr76_vgpr77
	s_and_saveexec_b64 s[4:5], s[40:41]
	s_cbranch_execz .LBB419_82
	s_branch .LBB419_81
.LBB419_63:
	s_mov_b64 s[10:11], 0
                                        ; implicit-def: $sgpr8_sgpr9
                                        ; implicit-def: $vgpr80_vgpr81
                                        ; implicit-def: $vgpr76_vgpr77
                                        ; implicit-def: $vgpr101
                                        ; implicit-def: $vgpr42_vgpr43
                                        ; implicit-def: $vgpr114
                                        ; implicit-def: $vgpr72_vgpr73
                                        ; implicit-def: $vgpr113
                                        ; implicit-def: $vgpr70_vgpr71
                                        ; implicit-def: $vgpr112
                                        ; implicit-def: $vgpr68_vgpr69
                                        ; implicit-def: $vgpr111
                                        ; implicit-def: $vgpr66_vgpr67
                                        ; implicit-def: $vgpr110
                                        ; implicit-def: $vgpr64_vgpr65
                                        ; implicit-def: $vgpr109
                                        ; implicit-def: $vgpr62_vgpr63
                                        ; implicit-def: $vgpr108
                                        ; implicit-def: $vgpr60_vgpr61
                                        ; implicit-def: $vgpr107
                                        ; implicit-def: $vgpr58_vgpr59
                                        ; implicit-def: $vgpr106
                                        ; implicit-def: $vgpr44_vgpr45
                                        ; implicit-def: $vgpr105
                                        ; implicit-def: $vgpr56_vgpr57
                                        ; implicit-def: $vgpr104
                                        ; implicit-def: $vgpr52_vgpr53
                                        ; implicit-def: $vgpr103
                                        ; implicit-def: $vgpr50_vgpr51
                                        ; implicit-def: $vgpr102
                                        ; implicit-def: $vgpr54_vgpr55
                                        ; implicit-def: $vgpr100
                                        ; implicit-def: $vgpr48_vgpr49
                                        ; implicit-def: $vgpr99
                                        ; implicit-def: $vgpr46_vgpr47
                                        ; implicit-def: $vgpr98
                                        ; implicit-def: $vgpr38_vgpr39
                                        ; implicit-def: $vgpr1
                                        ; implicit-def: $sgpr64
                                        ; implicit-def: $sgpr6_sgpr7
	s_and_b64 vcc, exec, s[4:5]
	v_lshlrev_b32_e32 v115, 3, v0
	s_cbranch_vccz .LBB419_128
	s_branch .LBB419_123
.LBB419_64:
	s_or_b64 exec, exec, s[4:5]
                                        ; implicit-def: $vgpr42_vgpr43
	s_and_saveexec_b64 s[4:5], s[6:7]
	s_cbranch_execz .LBB419_47
.LBB419_65:
	v_add_co_u32_e32 v42, vcc, v84, v88
	v_addc_co_u32_e32 v43, vcc, 0, v85, vcc
	flat_load_dwordx2 v[42:43], v[42:43] offset:512
	s_or_b64 exec, exec, s[4:5]
                                        ; implicit-def: $vgpr44_vgpr45
	s_and_saveexec_b64 s[4:5], s[8:9]
	s_cbranch_execnz .LBB419_48
.LBB419_66:
	s_or_b64 exec, exec, s[4:5]
                                        ; implicit-def: $vgpr46_vgpr47
	s_and_saveexec_b64 s[4:5], s[10:11]
	s_cbranch_execz .LBB419_49
.LBB419_67:
	v_add_co_u32_e32 v46, vcc, v84, v88
	v_addc_co_u32_e32 v47, vcc, 0, v85, vcc
	flat_load_dwordx2 v[46:47], v[46:47] offset:1536
	s_or_b64 exec, exec, s[4:5]
                                        ; implicit-def: $vgpr48_vgpr49
	s_and_saveexec_b64 s[4:5], s[12:13]
	s_cbranch_execnz .LBB419_50
.LBB419_68:
	s_or_b64 exec, exec, s[4:5]
                                        ; implicit-def: $vgpr50_vgpr51
	s_and_saveexec_b64 s[4:5], s[14:15]
	s_cbranch_execz .LBB419_51
.LBB419_69:
	v_add_co_u32_e32 v50, vcc, v84, v88
	v_addc_co_u32_e32 v51, vcc, 0, v85, vcc
	flat_load_dwordx2 v[50:51], v[50:51] offset:2560
	s_or_b64 exec, exec, s[4:5]
                                        ; implicit-def: $vgpr52_vgpr53
	s_and_saveexec_b64 s[4:5], s[16:17]
	s_cbranch_execnz .LBB419_52
.LBB419_70:
	s_or_b64 exec, exec, s[4:5]
                                        ; implicit-def: $vgpr54_vgpr55
	s_and_saveexec_b64 s[4:5], s[18:19]
	s_cbranch_execz .LBB419_53
.LBB419_71:
	v_add_co_u32_e32 v54, vcc, v84, v88
	v_addc_co_u32_e32 v55, vcc, 0, v85, vcc
	flat_load_dwordx2 v[54:55], v[54:55] offset:3584
	s_or_b64 exec, exec, s[4:5]
                                        ; implicit-def: $vgpr56_vgpr57
	s_and_saveexec_b64 s[4:5], s[20:21]
	s_cbranch_execnz .LBB419_54
.LBB419_72:
	s_or_b64 exec, exec, s[4:5]
                                        ; implicit-def: $vgpr58_vgpr59
	s_and_saveexec_b64 s[4:5], s[22:23]
	s_cbranch_execz .LBB419_55
.LBB419_73:
	v_add_co_u32_e32 v58, vcc, v84, v60
	v_addc_co_u32_e32 v59, vcc, 0, v85, vcc
	flat_load_dwordx2 v[58:59], v[58:59]
	s_or_b64 exec, exec, s[4:5]
                                        ; implicit-def: $vgpr60_vgpr61
	s_and_saveexec_b64 s[4:5], s[24:25]
	s_cbranch_execnz .LBB419_56
.LBB419_74:
	s_or_b64 exec, exec, s[4:5]
                                        ; implicit-def: $vgpr62_vgpr63
	s_and_saveexec_b64 s[4:5], s[26:27]
	s_cbranch_execz .LBB419_57
.LBB419_75:
	v_add_co_u32_e32 v62, vcc, v84, v64
	v_addc_co_u32_e32 v63, vcc, 0, v85, vcc
	flat_load_dwordx2 v[62:63], v[62:63]
	s_or_b64 exec, exec, s[4:5]
                                        ; implicit-def: $vgpr64_vgpr65
	s_and_saveexec_b64 s[4:5], s[28:29]
	s_cbranch_execnz .LBB419_58
.LBB419_76:
	s_or_b64 exec, exec, s[4:5]
                                        ; implicit-def: $vgpr66_vgpr67
	s_and_saveexec_b64 s[4:5], s[30:31]
	s_cbranch_execz .LBB419_59
.LBB419_77:
	v_add_co_u32_e32 v66, vcc, v84, v68
	v_addc_co_u32_e32 v67, vcc, 0, v85, vcc
	flat_load_dwordx2 v[66:67], v[66:67]
	s_or_b64 exec, exec, s[4:5]
                                        ; implicit-def: $vgpr68_vgpr69
	s_and_saveexec_b64 s[4:5], s[34:35]
	s_cbranch_execnz .LBB419_60
.LBB419_78:
	s_or_b64 exec, exec, s[4:5]
                                        ; implicit-def: $vgpr70_vgpr71
	s_and_saveexec_b64 s[4:5], s[36:37]
	s_cbranch_execz .LBB419_61
.LBB419_79:
	v_add_co_u32_e32 v70, vcc, v84, v72
	v_addc_co_u32_e32 v71, vcc, 0, v85, vcc
	flat_load_dwordx2 v[70:71], v[70:71]
	s_or_b64 exec, exec, s[4:5]
                                        ; implicit-def: $vgpr72_vgpr73
	s_and_saveexec_b64 s[4:5], s[38:39]
	s_cbranch_execnz .LBB419_62
.LBB419_80:
	s_or_b64 exec, exec, s[4:5]
                                        ; implicit-def: $vgpr76_vgpr77
	s_and_saveexec_b64 s[4:5], s[40:41]
	s_cbranch_execz .LBB419_82
.LBB419_81:
	v_add_co_u32_e32 v76, vcc, v84, v80
	v_addc_co_u32_e32 v77, vcc, 0, v85, vcc
	flat_load_dwordx2 v[76:77], v[76:77]
.LBB419_82:
	s_or_b64 exec, exec, s[4:5]
	v_mul_u32_u24_e32 v87, 19, v0
                                        ; implicit-def: $vgpr80_vgpr81
	s_and_saveexec_b64 s[4:5], s[42:43]
	s_cbranch_execz .LBB419_84
; %bb.83:
	v_add_co_u32_e32 v80, vcc, v84, v89
	v_addc_co_u32_e32 v81, vcc, 0, v85, vcc
	flat_load_dwordx2 v[80:81], v[80:81]
.LBB419_84:
	s_or_b64 exec, exec, s[4:5]
	s_waitcnt vmcnt(0) lgkmcnt(0)
	ds_write2st64_b64 v88, v[38:39], v[42:43] offset1:1
	ds_write2st64_b64 v88, v[44:45], v[46:47] offset0:2 offset1:3
	ds_write2st64_b64 v88, v[48:49], v[50:51] offset0:4 offset1:5
	;; [unrolled: 1-line block ×8, first 2 shown]
	ds_write_b64 v88, v[80:81] offset:9216
	v_pk_mov_b32 v[76:77], 0, 0
	v_cmp_gt_u32_e32 vcc, s60, v87
	s_mov_b64 s[10:11], 0
	s_mov_b32 s64, 0
	s_mov_b64 s[4:5], 0
	v_mov_b32_e32 v101, 0
	v_pk_mov_b32 v[42:43], v[76:77], v[76:77] op_sel:[0,1]
	v_mov_b32_e32 v114, 0
	v_pk_mov_b32 v[72:73], v[76:77], v[76:77] op_sel:[0,1]
	;; [unrolled: 2-line block ×17, first 2 shown]
	v_mov_b32_e32 v1, 0
	s_waitcnt lgkmcnt(0)
	; wave barrier
	s_waitcnt lgkmcnt(0)
                                        ; implicit-def: $sgpr8_sgpr9
                                        ; implicit-def: $vgpr80_vgpr81
	s_and_saveexec_b64 s[6:7], vcc
	s_cbranch_execz .LBB419_122
; %bb.85:
	ds_read_b64 v[38:39], v86
	v_cmp_ne_u64_e32 vcc, v[40:41], v[34:35]
	v_mov_b32_e32 v40, s69
	v_add_u32_e32 v42, 1, v87
	v_cndmask_b32_e64 v1, 0, 1, vcc
	s_waitcnt lgkmcnt(0)
	v_cndmask_b32_e32 v77, v39, v40, vcc
	v_mov_b32_e32 v39, s68
	v_cndmask_b32_e32 v76, v38, v39, vcc
	v_cmp_gt_u32_e32 vcc, s60, v42
	v_pk_mov_b32 v[42:43], 0, 0
	s_mov_b64 s[12:13], 0
	v_mov_b32_e32 v101, 0
	v_mov_b32_e32 v114, 0
	v_pk_mov_b32 v[72:73], v[42:43], v[42:43] op_sel:[0,1]
	v_mov_b32_e32 v113, 0
	v_pk_mov_b32 v[70:71], v[42:43], v[42:43] op_sel:[0,1]
	;; [unrolled: 2-line block ×16, first 2 shown]
                                        ; implicit-def: $sgpr14_sgpr15
                                        ; implicit-def: $vgpr80_vgpr81
	s_and_saveexec_b64 s[8:9], vcc
	s_cbranch_execz .LBB419_121
; %bb.86:
	ds_read2_b64 v[38:41], v86 offset0:1 offset1:2
	v_cmp_ne_u64_e32 vcc, v[34:35], v[36:37]
	v_mov_b32_e32 v34, s69
	v_add_u32_e32 v42, 2, v87
	v_cndmask_b32_e64 v98, 0, 1, vcc
	s_waitcnt lgkmcnt(0)
	v_cndmask_b32_e32 v39, v39, v34, vcc
	v_mov_b32_e32 v34, s68
	v_cndmask_b32_e32 v38, v38, v34, vcc
	v_cmp_gt_u32_e32 vcc, s60, v42
	v_pk_mov_b32 v[42:43], 0, 0
	s_mov_b64 s[14:15], 0
	v_mov_b32_e32 v101, 0
	v_mov_b32_e32 v114, 0
	v_pk_mov_b32 v[72:73], v[42:43], v[42:43] op_sel:[0,1]
	v_mov_b32_e32 v113, 0
	v_pk_mov_b32 v[70:71], v[42:43], v[42:43] op_sel:[0,1]
	;; [unrolled: 2-line block ×15, first 2 shown]
                                        ; implicit-def: $sgpr16_sgpr17
                                        ; implicit-def: $vgpr80_vgpr81
	s_and_saveexec_b64 s[10:11], vcc
	s_cbranch_execz .LBB419_120
; %bb.87:
	v_cmp_ne_u64_e32 vcc, v[36:37], v[30:31]
	v_mov_b32_e32 v35, s69
	v_add_u32_e32 v34, 3, v87
	v_cndmask_b32_e32 v47, v41, v35, vcc
	v_mov_b32_e32 v35, s68
	v_pk_mov_b32 v[42:43], 0, 0
	v_cndmask_b32_e64 v99, 0, 1, vcc
	v_cndmask_b32_e32 v46, v40, v35, vcc
	v_cmp_gt_u32_e32 vcc, s60, v34
	s_mov_b64 s[16:17], 0
	v_mov_b32_e32 v101, 0
	v_mov_b32_e32 v114, 0
	v_pk_mov_b32 v[72:73], v[42:43], v[42:43] op_sel:[0,1]
	v_mov_b32_e32 v113, 0
	v_pk_mov_b32 v[70:71], v[42:43], v[42:43] op_sel:[0,1]
	;; [unrolled: 2-line block ×14, first 2 shown]
                                        ; implicit-def: $sgpr18_sgpr19
                                        ; implicit-def: $vgpr80_vgpr81
	s_and_saveexec_b64 s[12:13], vcc
	s_cbranch_execz .LBB419_119
; %bb.88:
	ds_read2_b64 v[34:37], v86 offset0:3 offset1:4
	v_cmp_ne_u64_e32 vcc, v[30:31], v[32:33]
	v_mov_b32_e32 v30, s69
	v_add_u32_e32 v40, 4, v87
	v_pk_mov_b32 v[42:43], 0, 0
	s_waitcnt lgkmcnt(0)
	v_cndmask_b32_e32 v49, v35, v30, vcc
	v_mov_b32_e32 v30, s68
	v_cndmask_b32_e64 v100, 0, 1, vcc
	v_cndmask_b32_e32 v48, v34, v30, vcc
	v_cmp_gt_u32_e32 vcc, s60, v40
	s_mov_b64 s[18:19], 0
	v_mov_b32_e32 v101, 0
	v_mov_b32_e32 v114, 0
	v_pk_mov_b32 v[72:73], v[42:43], v[42:43] op_sel:[0,1]
	v_mov_b32_e32 v113, 0
	v_pk_mov_b32 v[70:71], v[42:43], v[42:43] op_sel:[0,1]
	;; [unrolled: 2-line block ×13, first 2 shown]
                                        ; implicit-def: $sgpr20_sgpr21
                                        ; implicit-def: $vgpr80_vgpr81
	s_and_saveexec_b64 s[14:15], vcc
	s_cbranch_execz .LBB419_118
; %bb.89:
	v_cmp_ne_u64_e32 vcc, v[32:33], v[26:27]
	v_mov_b32_e32 v31, s69
	v_add_u32_e32 v30, 5, v87
	v_cndmask_b32_e32 v55, v37, v31, vcc
	v_mov_b32_e32 v31, s68
	v_pk_mov_b32 v[42:43], 0, 0
	v_cndmask_b32_e64 v102, 0, 1, vcc
	v_cndmask_b32_e32 v54, v36, v31, vcc
	v_cmp_gt_u32_e32 vcc, s60, v30
	s_mov_b64 s[20:21], 0
	v_mov_b32_e32 v101, 0
	v_mov_b32_e32 v114, 0
	v_pk_mov_b32 v[72:73], v[42:43], v[42:43] op_sel:[0,1]
	v_mov_b32_e32 v113, 0
	v_pk_mov_b32 v[70:71], v[42:43], v[42:43] op_sel:[0,1]
	;; [unrolled: 2-line block ×12, first 2 shown]
                                        ; implicit-def: $sgpr22_sgpr23
                                        ; implicit-def: $vgpr80_vgpr81
	s_and_saveexec_b64 s[16:17], vcc
	s_cbranch_execz .LBB419_117
; %bb.90:
	ds_read2_b64 v[30:33], v86 offset0:5 offset1:6
	v_cmp_ne_u64_e32 vcc, v[26:27], v[28:29]
	v_mov_b32_e32 v26, s69
	v_add_u32_e32 v34, 6, v87
	v_pk_mov_b32 v[42:43], 0, 0
	s_waitcnt lgkmcnt(0)
	v_cndmask_b32_e32 v51, v31, v26, vcc
	v_mov_b32_e32 v26, s68
	v_cndmask_b32_e64 v103, 0, 1, vcc
	v_cndmask_b32_e32 v50, v30, v26, vcc
	v_cmp_gt_u32_e32 vcc, s60, v34
	s_mov_b64 s[22:23], 0
	v_mov_b32_e32 v101, 0
	v_mov_b32_e32 v114, 0
	v_pk_mov_b32 v[72:73], v[42:43], v[42:43] op_sel:[0,1]
	v_mov_b32_e32 v113, 0
	v_pk_mov_b32 v[70:71], v[42:43], v[42:43] op_sel:[0,1]
	v_mov_b32_e32 v112, 0
	v_pk_mov_b32 v[68:69], v[42:43], v[42:43] op_sel:[0,1]
	v_mov_b32_e32 v111, 0
	v_pk_mov_b32 v[66:67], v[42:43], v[42:43] op_sel:[0,1]
	v_mov_b32_e32 v110, 0
	v_pk_mov_b32 v[64:65], v[42:43], v[42:43] op_sel:[0,1]
	v_mov_b32_e32 v109, 0
	v_pk_mov_b32 v[62:63], v[42:43], v[42:43] op_sel:[0,1]
	v_mov_b32_e32 v108, 0
	v_pk_mov_b32 v[60:61], v[42:43], v[42:43] op_sel:[0,1]
	v_mov_b32_e32 v107, 0
	v_pk_mov_b32 v[58:59], v[42:43], v[42:43] op_sel:[0,1]
	v_mov_b32_e32 v106, 0
	v_pk_mov_b32 v[44:45], v[42:43], v[42:43] op_sel:[0,1]
	v_mov_b32_e32 v105, 0
	v_pk_mov_b32 v[56:57], v[42:43], v[42:43] op_sel:[0,1]
	v_mov_b32_e32 v104, 0
	v_pk_mov_b32 v[52:53], v[42:43], v[42:43] op_sel:[0,1]
                                        ; implicit-def: $sgpr24_sgpr25
                                        ; implicit-def: $vgpr80_vgpr81
	s_and_saveexec_b64 s[18:19], vcc
	s_cbranch_execz .LBB419_116
; %bb.91:
	v_cmp_ne_u64_e32 vcc, v[28:29], v[22:23]
	v_mov_b32_e32 v27, s69
	v_add_u32_e32 v26, 7, v87
	v_cndmask_b32_e32 v53, v33, v27, vcc
	v_mov_b32_e32 v27, s68
	v_pk_mov_b32 v[42:43], 0, 0
	v_cndmask_b32_e64 v104, 0, 1, vcc
	v_cndmask_b32_e32 v52, v32, v27, vcc
	v_cmp_gt_u32_e32 vcc, s60, v26
	s_mov_b64 s[24:25], 0
	v_mov_b32_e32 v101, 0
	v_mov_b32_e32 v114, 0
	v_pk_mov_b32 v[72:73], v[42:43], v[42:43] op_sel:[0,1]
	v_mov_b32_e32 v113, 0
	v_pk_mov_b32 v[70:71], v[42:43], v[42:43] op_sel:[0,1]
	;; [unrolled: 2-line block ×10, first 2 shown]
                                        ; implicit-def: $sgpr26_sgpr27
                                        ; implicit-def: $vgpr80_vgpr81
	s_and_saveexec_b64 s[20:21], vcc
	s_cbranch_execz .LBB419_115
; %bb.92:
	ds_read2_b64 v[26:29], v86 offset0:7 offset1:8
	v_cmp_ne_u64_e32 vcc, v[22:23], v[24:25]
	v_mov_b32_e32 v22, s69
	v_add_u32_e32 v30, 8, v87
	v_pk_mov_b32 v[42:43], 0, 0
	s_waitcnt lgkmcnt(0)
	v_cndmask_b32_e32 v57, v27, v22, vcc
	v_mov_b32_e32 v22, s68
	v_cndmask_b32_e64 v105, 0, 1, vcc
	v_cndmask_b32_e32 v56, v26, v22, vcc
	v_cmp_gt_u32_e32 vcc, s60, v30
	s_mov_b64 s[26:27], 0
	v_mov_b32_e32 v101, 0
	v_mov_b32_e32 v114, 0
	v_pk_mov_b32 v[72:73], v[42:43], v[42:43] op_sel:[0,1]
	v_mov_b32_e32 v113, 0
	v_pk_mov_b32 v[70:71], v[42:43], v[42:43] op_sel:[0,1]
	;; [unrolled: 2-line block ×9, first 2 shown]
                                        ; implicit-def: $sgpr28_sgpr29
                                        ; implicit-def: $vgpr80_vgpr81
	s_and_saveexec_b64 s[22:23], vcc
	s_cbranch_execz .LBB419_114
; %bb.93:
	v_cmp_ne_u64_e32 vcc, v[24:25], v[18:19]
	v_mov_b32_e32 v23, s69
	v_add_u32_e32 v22, 9, v87
	v_cndmask_b32_e32 v45, v29, v23, vcc
	v_mov_b32_e32 v23, s68
	v_pk_mov_b32 v[42:43], 0, 0
	v_cndmask_b32_e64 v106, 0, 1, vcc
	v_cndmask_b32_e32 v44, v28, v23, vcc
	v_cmp_gt_u32_e32 vcc, s60, v22
	s_mov_b64 s[28:29], 0
	v_mov_b32_e32 v101, 0
	v_mov_b32_e32 v114, 0
	v_pk_mov_b32 v[72:73], v[42:43], v[42:43] op_sel:[0,1]
	v_mov_b32_e32 v113, 0
	v_pk_mov_b32 v[70:71], v[42:43], v[42:43] op_sel:[0,1]
	;; [unrolled: 2-line block ×8, first 2 shown]
                                        ; implicit-def: $sgpr30_sgpr31
                                        ; implicit-def: $vgpr80_vgpr81
	s_and_saveexec_b64 s[24:25], vcc
	s_cbranch_execz .LBB419_113
; %bb.94:
	ds_read2_b64 v[22:25], v86 offset0:9 offset1:10
	v_cmp_ne_u64_e32 vcc, v[18:19], v[20:21]
	v_mov_b32_e32 v18, s69
	v_add_u32_e32 v26, 10, v87
	v_pk_mov_b32 v[42:43], 0, 0
	s_waitcnt lgkmcnt(0)
	v_cndmask_b32_e32 v59, v23, v18, vcc
	v_mov_b32_e32 v18, s68
	v_cndmask_b32_e64 v107, 0, 1, vcc
	v_cndmask_b32_e32 v58, v22, v18, vcc
	v_cmp_gt_u32_e32 vcc, s60, v26
	s_mov_b64 s[30:31], 0
	v_mov_b32_e32 v101, 0
	v_mov_b32_e32 v114, 0
	v_pk_mov_b32 v[72:73], v[42:43], v[42:43] op_sel:[0,1]
	v_mov_b32_e32 v113, 0
	v_pk_mov_b32 v[70:71], v[42:43], v[42:43] op_sel:[0,1]
	;; [unrolled: 2-line block ×7, first 2 shown]
                                        ; implicit-def: $sgpr34_sgpr35
                                        ; implicit-def: $vgpr80_vgpr81
	s_and_saveexec_b64 s[26:27], vcc
	s_cbranch_execz .LBB419_112
; %bb.95:
	v_cmp_ne_u64_e32 vcc, v[20:21], v[14:15]
	v_mov_b32_e32 v19, s69
	v_add_u32_e32 v18, 11, v87
	v_cndmask_b32_e32 v61, v25, v19, vcc
	v_mov_b32_e32 v19, s68
	v_pk_mov_b32 v[42:43], 0, 0
	v_cndmask_b32_e64 v108, 0, 1, vcc
	v_cndmask_b32_e32 v60, v24, v19, vcc
	v_cmp_gt_u32_e32 vcc, s60, v18
	s_mov_b64 s[34:35], 0
	v_mov_b32_e32 v101, 0
	v_mov_b32_e32 v114, 0
	v_pk_mov_b32 v[72:73], v[42:43], v[42:43] op_sel:[0,1]
	v_mov_b32_e32 v113, 0
	v_pk_mov_b32 v[70:71], v[42:43], v[42:43] op_sel:[0,1]
	;; [unrolled: 2-line block ×6, first 2 shown]
                                        ; implicit-def: $sgpr36_sgpr37
                                        ; implicit-def: $vgpr80_vgpr81
	s_and_saveexec_b64 s[28:29], vcc
	s_cbranch_execz .LBB419_111
; %bb.96:
	ds_read2_b64 v[18:21], v86 offset0:11 offset1:12
	v_cmp_ne_u64_e32 vcc, v[14:15], v[16:17]
	v_mov_b32_e32 v14, s69
	v_add_u32_e32 v22, 12, v87
	v_pk_mov_b32 v[42:43], 0, 0
	s_waitcnt lgkmcnt(0)
	v_cndmask_b32_e32 v63, v19, v14, vcc
	v_mov_b32_e32 v14, s68
	v_cndmask_b32_e64 v109, 0, 1, vcc
	v_cndmask_b32_e32 v62, v18, v14, vcc
	v_cmp_gt_u32_e32 vcc, s60, v22
	s_mov_b64 s[36:37], 0
	v_mov_b32_e32 v101, 0
	v_mov_b32_e32 v114, 0
	v_pk_mov_b32 v[72:73], v[42:43], v[42:43] op_sel:[0,1]
	v_mov_b32_e32 v113, 0
	v_pk_mov_b32 v[70:71], v[42:43], v[42:43] op_sel:[0,1]
	;; [unrolled: 2-line block ×5, first 2 shown]
                                        ; implicit-def: $sgpr38_sgpr39
                                        ; implicit-def: $vgpr80_vgpr81
	s_and_saveexec_b64 s[30:31], vcc
	s_cbranch_execz .LBB419_110
; %bb.97:
	v_cmp_ne_u64_e32 vcc, v[16:17], v[10:11]
	v_mov_b32_e32 v15, s69
	v_add_u32_e32 v14, 13, v87
	v_cndmask_b32_e32 v65, v21, v15, vcc
	v_mov_b32_e32 v15, s68
	v_pk_mov_b32 v[42:43], 0, 0
	v_cndmask_b32_e64 v110, 0, 1, vcc
	v_cndmask_b32_e32 v64, v20, v15, vcc
	v_cmp_gt_u32_e32 vcc, s60, v14
	s_mov_b64 s[38:39], 0
	v_mov_b32_e32 v101, 0
	v_mov_b32_e32 v114, 0
	v_pk_mov_b32 v[72:73], v[42:43], v[42:43] op_sel:[0,1]
	v_mov_b32_e32 v113, 0
	v_pk_mov_b32 v[70:71], v[42:43], v[42:43] op_sel:[0,1]
	;; [unrolled: 2-line block ×4, first 2 shown]
                                        ; implicit-def: $sgpr40_sgpr41
                                        ; implicit-def: $vgpr80_vgpr81
	s_and_saveexec_b64 s[34:35], vcc
	s_cbranch_execz .LBB419_109
; %bb.98:
	ds_read2_b64 v[14:17], v86 offset0:13 offset1:14
	v_cmp_ne_u64_e32 vcc, v[10:11], v[12:13]
	v_mov_b32_e32 v10, s69
	v_add_u32_e32 v18, 14, v87
	v_pk_mov_b32 v[42:43], 0, 0
	s_waitcnt lgkmcnt(0)
	v_cndmask_b32_e32 v67, v15, v10, vcc
	v_mov_b32_e32 v10, s68
	v_cndmask_b32_e64 v111, 0, 1, vcc
	v_cndmask_b32_e32 v66, v14, v10, vcc
	v_cmp_gt_u32_e32 vcc, s60, v18
	s_mov_b64 s[40:41], 0
	v_mov_b32_e32 v101, 0
	v_mov_b32_e32 v114, 0
	v_pk_mov_b32 v[72:73], v[42:43], v[42:43] op_sel:[0,1]
	v_mov_b32_e32 v113, 0
	v_pk_mov_b32 v[70:71], v[42:43], v[42:43] op_sel:[0,1]
	;; [unrolled: 2-line block ×3, first 2 shown]
                                        ; implicit-def: $sgpr42_sgpr43
                                        ; implicit-def: $vgpr80_vgpr81
	s_and_saveexec_b64 s[36:37], vcc
	s_cbranch_execz .LBB419_108
; %bb.99:
	v_cmp_ne_u64_e32 vcc, v[12:13], v[6:7]
	v_mov_b32_e32 v11, s69
	v_add_u32_e32 v10, 15, v87
	v_cndmask_b32_e32 v69, v17, v11, vcc
	v_mov_b32_e32 v11, s68
	v_pk_mov_b32 v[42:43], 0, 0
	v_cndmask_b32_e64 v112, 0, 1, vcc
	v_cndmask_b32_e32 v68, v16, v11, vcc
	v_cmp_gt_u32_e32 vcc, s60, v10
	s_mov_b64 s[42:43], 0
	v_mov_b32_e32 v101, 0
	v_mov_b32_e32 v114, 0
	v_pk_mov_b32 v[72:73], v[42:43], v[42:43] op_sel:[0,1]
	v_mov_b32_e32 v113, 0
	v_pk_mov_b32 v[70:71], v[42:43], v[42:43] op_sel:[0,1]
                                        ; implicit-def: $sgpr56_sgpr57
                                        ; implicit-def: $vgpr80_vgpr81
	s_and_saveexec_b64 s[38:39], vcc
	s_cbranch_execz .LBB419_107
; %bb.100:
	ds_read2_b64 v[10:13], v86 offset0:15 offset1:16
	v_cmp_ne_u64_e32 vcc, v[6:7], v[8:9]
	v_mov_b32_e32 v6, s69
	v_add_u32_e32 v14, 16, v87
	v_pk_mov_b32 v[42:43], 0, 0
	s_waitcnt lgkmcnt(0)
	v_cndmask_b32_e32 v71, v11, v6, vcc
	v_mov_b32_e32 v6, s68
	v_cndmask_b32_e64 v113, 0, 1, vcc
	v_cndmask_b32_e32 v70, v10, v6, vcc
	v_cmp_gt_u32_e32 vcc, s60, v14
	s_mov_b64 s[56:57], 0
	v_mov_b32_e32 v101, 0
	v_mov_b32_e32 v114, 0
	v_pk_mov_b32 v[72:73], v[42:43], v[42:43] op_sel:[0,1]
                                        ; implicit-def: $sgpr58_sgpr59
                                        ; implicit-def: $vgpr80_vgpr81
	s_and_saveexec_b64 s[40:41], vcc
	s_cbranch_execz .LBB419_106
; %bb.101:
	v_cmp_ne_u64_e32 vcc, v[8:9], v[2:3]
	v_mov_b32_e32 v7, s69
	v_add_u32_e32 v6, 17, v87
	v_cndmask_b32_e32 v73, v13, v7, vcc
	v_mov_b32_e32 v7, s68
	v_cndmask_b32_e64 v114, 0, 1, vcc
	v_cndmask_b32_e32 v72, v12, v7, vcc
	v_cmp_gt_u32_e32 vcc, s60, v6
	v_mov_b32_e32 v101, 0
	v_pk_mov_b32 v[42:43], 0, 0
                                        ; implicit-def: $sgpr58_sgpr59
                                        ; implicit-def: $vgpr80_vgpr81
	s_and_saveexec_b64 s[42:43], vcc
	s_cbranch_execz .LBB419_105
; %bb.102:
	ds_read2_b64 v[6:9], v86 offset0:17 offset1:18
	v_cmp_ne_u64_e32 vcc, v[2:3], v[4:5]
	v_mov_b32_e32 v2, s69
	v_add_u32_e32 v10, 18, v87
	v_cndmask_b32_e64 v101, 0, 1, vcc
	s_waitcnt lgkmcnt(0)
	v_cndmask_b32_e32 v43, v7, v2, vcc
	v_mov_b32_e32 v2, s68
	v_cndmask_b32_e32 v42, v6, v2, vcc
	v_cmp_gt_u32_e32 vcc, s60, v10
                                        ; implicit-def: $sgpr58_sgpr59
                                        ; implicit-def: $vgpr80_vgpr81
	s_and_saveexec_b64 s[60:61], vcc
	s_xor_b64 s[60:61], exec, s[60:61]
; %bb.103:
	v_mov_b32_e32 v2, s69
	v_cmp_ne_u64_e32 vcc, v[4:5], v[82:83]
	v_cndmask_b32_e32 v81, v9, v2, vcc
	v_mov_b32_e32 v2, s68
	s_mov_b64 s[56:57], exec
	v_cndmask_b32_e32 v80, v8, v2, vcc
	s_and_b64 s[58:59], vcc, exec
; %bb.104:
	s_or_b64 exec, exec, s[60:61]
	s_and_b64 s[58:59], s[58:59], exec
	s_and_b64 s[56:57], s[56:57], exec
.LBB419_105:
	s_or_b64 exec, exec, s[42:43]
	s_and_b64 s[58:59], s[58:59], exec
	s_and_b64 s[42:43], s[56:57], exec
.LBB419_106:
	s_or_b64 exec, exec, s[40:41]
	s_and_b64 s[56:57], s[58:59], exec
	s_and_b64 s[40:41], s[42:43], exec
.LBB419_107:
	s_or_b64 exec, exec, s[38:39]
	s_and_b64 s[42:43], s[56:57], exec
	s_and_b64 s[38:39], s[40:41], exec
.LBB419_108:
	s_or_b64 exec, exec, s[36:37]
	s_and_b64 s[40:41], s[42:43], exec
	s_and_b64 s[36:37], s[38:39], exec
.LBB419_109:
	s_or_b64 exec, exec, s[34:35]
	s_and_b64 s[38:39], s[40:41], exec
	s_and_b64 s[34:35], s[36:37], exec
.LBB419_110:
	s_or_b64 exec, exec, s[30:31]
	s_and_b64 s[36:37], s[38:39], exec
	s_and_b64 s[30:31], s[34:35], exec
.LBB419_111:
	s_or_b64 exec, exec, s[28:29]
	s_and_b64 s[34:35], s[36:37], exec
	s_and_b64 s[28:29], s[30:31], exec
.LBB419_112:
	s_or_b64 exec, exec, s[26:27]
	s_and_b64 s[30:31], s[34:35], exec
	s_and_b64 s[26:27], s[28:29], exec
.LBB419_113:
	s_or_b64 exec, exec, s[24:25]
	s_and_b64 s[28:29], s[30:31], exec
	s_and_b64 s[24:25], s[26:27], exec
.LBB419_114:
	s_or_b64 exec, exec, s[22:23]
	s_and_b64 s[26:27], s[28:29], exec
	s_and_b64 s[22:23], s[24:25], exec
.LBB419_115:
	s_or_b64 exec, exec, s[20:21]
	s_and_b64 s[24:25], s[26:27], exec
	s_and_b64 s[20:21], s[22:23], exec
.LBB419_116:
	s_or_b64 exec, exec, s[18:19]
	s_and_b64 s[22:23], s[24:25], exec
	s_and_b64 s[18:19], s[20:21], exec
.LBB419_117:
	s_or_b64 exec, exec, s[16:17]
	s_and_b64 s[20:21], s[22:23], exec
	s_and_b64 s[16:17], s[18:19], exec
.LBB419_118:
	s_or_b64 exec, exec, s[14:15]
	s_and_b64 s[18:19], s[20:21], exec
	s_and_b64 s[14:15], s[16:17], exec
.LBB419_119:
	s_or_b64 exec, exec, s[12:13]
	s_and_b64 s[16:17], s[18:19], exec
	s_and_b64 s[12:13], s[14:15], exec
.LBB419_120:
	s_or_b64 exec, exec, s[10:11]
	s_and_b64 s[14:15], s[16:17], exec
	s_and_b64 s[10:11], s[12:13], exec
.LBB419_121:
	s_or_b64 exec, exec, s[8:9]
	s_and_b64 s[8:9], s[14:15], exec
	s_and_b64 s[10:11], s[10:11], exec
.LBB419_122:
	s_or_b64 exec, exec, s[6:7]
	s_mov_b64 s[6:7], 0
	s_and_b64 vcc, exec, s[4:5]
	v_lshlrev_b32_e32 v115, 3, v0
	s_cbranch_vccz .LBB419_128
.LBB419_123:
	v_add_co_u32_e32 v2, vcc, v78, v115
	v_addc_co_u32_e32 v3, vcc, 0, v79, vcc
	v_add_co_u32_e32 v20, vcc, 0x1000, v2
	v_addc_co_u32_e32 v21, vcc, 0, v3, vcc
	flat_load_dwordx2 v[4:5], v[2:3]
	flat_load_dwordx2 v[6:7], v[2:3] offset:512
	flat_load_dwordx2 v[8:9], v[2:3] offset:1024
	;; [unrolled: 1-line block ×7, first 2 shown]
	v_add_co_u32_e32 v2, vcc, 0x2000, v2
	v_addc_co_u32_e32 v3, vcc, 0, v3, vcc
	flat_load_dwordx2 v[22:23], v[20:21]
	flat_load_dwordx2 v[24:25], v[20:21] offset:512
	flat_load_dwordx2 v[26:27], v[20:21] offset:1024
	;; [unrolled: 1-line block ×7, first 2 shown]
	s_nop 0
	flat_load_dwordx2 v[20:21], v[2:3]
	flat_load_dwordx2 v[38:39], v[2:3] offset:512
	flat_load_dwordx2 v[40:41], v[2:3] offset:1024
	v_add_co_u32_e32 v2, vcc, 0x2000, v78
	v_addc_co_u32_e32 v3, vcc, 0, v79, vcc
	s_movk_i32 s4, 0x90
	v_mad_u32_u24 v1, v0, s4, v115
	s_movk_i32 s4, 0xff70
	s_movk_i32 s7, 0x1000
	;; [unrolled: 1-line block ×3, first 2 shown]
	v_cmp_ne_u32_e32 vcc, 63, v0
	s_waitcnt vmcnt(0) lgkmcnt(0)
	ds_write2st64_b64 v115, v[4:5], v[6:7] offset1:1
	ds_write2st64_b64 v115, v[8:9], v[10:11] offset0:2 offset1:3
	ds_write2st64_b64 v115, v[12:13], v[14:15] offset0:4 offset1:5
	;; [unrolled: 1-line block ×8, first 2 shown]
	ds_write_b64 v115, v[40:41] offset:9216
	s_waitcnt lgkmcnt(0)
	; wave barrier
	s_waitcnt lgkmcnt(0)
	flat_load_dwordx2 v[78:79], v[2:3] offset:1536
	v_mad_i32_i24 v6, v0, s4, v1
	ds_read_b64 v[76:77], v1
	ds_read2_b64 v[70:73], v1 offset0:1 offset1:2
	ds_read2_b64 v[66:69], v1 offset0:3 offset1:4
	;; [unrolled: 1-line block ×9, first 2 shown]
	s_waitcnt lgkmcnt(0)
	ds_write_b64 v6, v[76:77] offset:10240
	s_waitcnt lgkmcnt(0)
	; wave barrier
	s_waitcnt lgkmcnt(0)
	s_and_saveexec_b64 s[4:5], vcc
	s_cbranch_execz .LBB419_125
; %bb.124:
	s_waitcnt vmcnt(0)
	ds_read_b64 v[78:79], v115 offset:10248
.LBB419_125:
	s_or_b64 exec, exec, s[4:5]
	v_add_co_u32_e32 v6, vcc, v84, v115
	v_addc_co_u32_e32 v7, vcc, 0, v85, vcc
	v_add_co_u32_e32 v36, vcc, s7, v6
	v_addc_co_u32_e32 v37, vcc, 0, v7, vcc
	s_waitcnt lgkmcnt(0)
	; wave barrier
	s_waitcnt lgkmcnt(0)
	flat_load_dwordx2 v[8:9], v[6:7]
	flat_load_dwordx2 v[14:15], v[6:7] offset:512
	flat_load_dwordx2 v[16:17], v[6:7] offset:1024
	flat_load_dwordx2 v[22:23], v[6:7] offset:1536
	flat_load_dwordx2 v[24:25], v[6:7] offset:2048
	flat_load_dwordx2 v[26:27], v[6:7] offset:2560
	flat_load_dwordx2 v[28:29], v[6:7] offset:3072
	flat_load_dwordx2 v[34:35], v[6:7] offset:3584
	v_add_co_u32_e32 v6, vcc, s6, v6
	v_addc_co_u32_e32 v7, vcc, 0, v7, vcc
	flat_load_dwordx2 v[42:43], v[36:37]
	flat_load_dwordx2 v[44:45], v[36:37] offset:512
	flat_load_dwordx2 v[50:51], v[36:37] offset:1024
	;; [unrolled: 1-line block ×7, first 2 shown]
	s_nop 0
	flat_load_dwordx2 v[36:37], v[6:7]
	flat_load_dwordx2 v[80:81], v[6:7] offset:512
	flat_load_dwordx2 v[82:83], v[6:7] offset:1024
	v_cmp_ne_u64_e32 vcc, v[76:77], v[70:71]
	v_cmp_eq_u64_e64 s[4:5], v[76:77], v[70:71]
	v_pk_mov_b32 v[76:77], s[68:69], s[68:69] op_sel:[0,1]
	s_waitcnt vmcnt(0) lgkmcnt(0)
	ds_write2st64_b64 v115, v[8:9], v[14:15] offset1:1
	ds_write2st64_b64 v115, v[16:17], v[22:23] offset0:2 offset1:3
	ds_write2st64_b64 v115, v[24:25], v[26:27] offset0:4 offset1:5
	;; [unrolled: 1-line block ×8, first 2 shown]
	ds_write_b64 v115, v[82:83] offset:9216
	s_waitcnt lgkmcnt(0)
	; wave barrier
	s_waitcnt lgkmcnt(0)
	ds_read2_b64 v[62:65], v1 offset0:1 offset1:2
	ds_read2_b64 v[58:61], v1 offset0:3 offset1:4
	;; [unrolled: 1-line block ×9, first 2 shown]
	s_and_saveexec_b64 s[6:7], s[4:5]
	s_cbranch_execz .LBB419_127
; %bb.126:
	ds_read_b64 v[76:77], v1
.LBB419_127:
	s_or_b64 exec, exec, s[6:7]
	v_cmp_ne_u64_e64 s[8:9], v[68:69], v[54:55]
	v_cmp_ne_u64_e64 s[34:35], v[12:13], v[2:3]
	;; [unrolled: 1-line block ×3, first 2 shown]
	v_mov_b32_e32 v2, s69
	v_mov_b32_e32 v3, s68
	v_cndmask_b32_e64 v1, 0, 1, vcc
	v_cmp_ne_u64_e32 vcc, v[70:71], v[72:73]
	v_cmp_ne_u64_e64 s[4:5], v[72:73], v[66:67]
	v_cmp_ne_u64_e64 s[6:7], v[66:67], v[68:69]
	v_cndmask_b32_e64 v102, 0, 1, s[8:9]
	v_cmp_ne_u64_e64 s[10:11], v[54:55], v[56:57]
	v_cmp_ne_u64_e64 s[12:13], v[56:57], v[46:47]
	v_cmp_ne_u64_e64 s[14:15], v[46:47], v[48:49]
	v_cmp_ne_u64_e64 s[16:17], v[48:49], v[38:39]
	v_cmp_ne_u64_e64 s[18:19], v[38:39], v[40:41]
	v_cmp_ne_u64_e64 s[20:21], v[40:41], v[30:31]
	v_cmp_ne_u64_e64 s[22:23], v[30:31], v[32:33]
	v_cmp_ne_u64_e64 s[24:25], v[32:33], v[18:19]
	v_cmp_ne_u64_e64 s[26:27], v[18:19], v[20:21]
	v_cmp_ne_u64_e64 s[28:29], v[20:21], v[10:11]
	v_cmp_ne_u64_e64 s[30:31], v[10:11], v[12:13]
	s_waitcnt lgkmcnt(7)
	v_cndmask_b32_e64 v55, v61, v2, s[8:9]
	v_cndmask_b32_e64 v54, v60, v3, s[8:9]
	v_cmp_ne_u64_e64 s[8:9], v[4:5], v[78:79]
	v_cndmask_b32_e64 v98, 0, 1, vcc
	v_cndmask_b32_e64 v99, 0, 1, s[4:5]
	v_cndmask_b32_e64 v100, 0, 1, s[6:7]
	;; [unrolled: 1-line block ×15, first 2 shown]
	v_cndmask_b32_e32 v39, v63, v2, vcc
	v_cndmask_b32_e32 v38, v62, v3, vcc
	v_cndmask_b32_e64 v47, v65, v2, s[4:5]
	v_cndmask_b32_e64 v46, v64, v3, s[4:5]
	v_cndmask_b32_e64 v49, v59, v2, s[6:7]
	v_cndmask_b32_e64 v48, v58, v3, s[6:7]
	s_waitcnt lgkmcnt(6)
	v_cndmask_b32_e64 v51, v51, v2, s[10:11]
	v_cndmask_b32_e64 v50, v50, v3, s[10:11]
	v_cndmask_b32_e64 v53, v53, v2, s[12:13]
	v_cndmask_b32_e64 v52, v52, v3, s[12:13]
	s_waitcnt lgkmcnt(5)
	;; [unrolled: 5-line block ×7, first 2 shown]
	v_cndmask_b32_e64 v43, v7, v2, s[36:37]
	v_cndmask_b32_e64 v42, v6, v3, s[36:37]
	;; [unrolled: 1-line block ×4, first 2 shown]
	s_mov_b64 s[10:11], -1
                                        ; implicit-def: $sgpr64
                                        ; implicit-def: $sgpr6_sgpr7
.LBB419_128:
	v_pk_mov_b32 v[40:41], s[6:7], s[6:7] op_sel:[0,1]
	v_mov_b32_e32 v116, s64
	s_and_saveexec_b64 s[4:5], s[10:11]
; %bb.129:
	v_cndmask_b32_e64 v116, 0, 1, s[8:9]
	v_pk_mov_b32 v[40:41], v[80:81], v[80:81] op_sel:[0,1]
; %bb.130:
	s_or_b64 exec, exec, s[4:5]
	v_or_b32_e32 v2, v116, v101
	s_cmp_lg_u32 s55, 0
	v_or_b32_e32 v118, v2, v114
	v_mbcnt_lo_u32_b32 v117, -1, 0
	s_waitcnt lgkmcnt(0)
	; wave barrier
	s_waitcnt lgkmcnt(0)
	s_cbranch_scc0 .LBB419_191
; %bb.131:
	v_mov_b32_e32 v4, 0
	v_cmp_eq_u16_sdwa s[40:41], v98, v4 src0_sel:BYTE_0 src1_sel:DWORD
	v_cndmask_b32_e64 v2, 1, v76, s[40:41]
	v_cndmask_b32_e64 v3, 0, v77, s[40:41]
	v_mul_lo_u32 v5, v3, v38
	v_mul_lo_u32 v6, v2, v39
	v_mad_u64_u32 v[2:3], s[4:5], v2, v38, 0
	v_add3_u32 v3, v3, v6, v5
	v_cmp_eq_u16_sdwa s[38:39], v99, v4 src0_sel:BYTE_0 src1_sel:DWORD
	v_cndmask_b32_e64 v3, 0, v3, s[38:39]
	v_cndmask_b32_e64 v2, 1, v2, s[38:39]
	v_mul_lo_u32 v5, v3, v46
	v_mul_lo_u32 v6, v2, v47
	v_mad_u64_u32 v[2:3], s[4:5], v2, v46, 0
	v_add3_u32 v3, v3, v6, v5
	;; [unrolled: 7-line block ×17, first 2 shown]
	v_cmp_eq_u16_sdwa vcc, v116, v4 src0_sel:BYTE_0 src1_sel:DWORD
	v_cndmask_b32_e32 v3, 0, v3, vcc
	v_cndmask_b32_e32 v2, 1, v2, vcc
	v_mul_lo_u32 v4, v3, v40
	v_mul_lo_u32 v5, v2, v41
	v_mad_u64_u32 v[2:3], s[4:5], v2, v40, 0
	v_add3_u32 v3, v3, v5, v4
	v_or_b32_e32 v4, v118, v113
	v_or_b32_e32 v4, v4, v112
	;; [unrolled: 1-line block ×16, first 2 shown]
	v_mbcnt_hi_u32_b32 v12, -1, v117
	v_and_b32_e32 v6, 1, v4
	v_and_b32_e32 v7, 15, v12
	v_cmp_eq_u32_e32 vcc, 1, v6
	v_mov_b32_dpp v10, v2 row_shr:1 row_mask:0xf bank_mask:0xf
	v_mov_b32_dpp v11, v3 row_shr:1 row_mask:0xf bank_mask:0xf
	;; [unrolled: 1-line block ×3, first 2 shown]
	v_cmp_ne_u32_e64 s[4:5], 0, v7
	v_pk_mov_b32 v[4:5], v[2:3], v[2:3] op_sel:[0,1]
	v_mov_b32_e32 v8, v6
	s_and_saveexec_b64 s[42:43], s[4:5]
; %bb.132:
	v_cndmask_b32_e64 v4, v11, 0, vcc
	v_cndmask_b32_e64 v5, v10, 1, vcc
	v_mul_lo_u32 v4, v4, v2
	v_mul_lo_u32 v8, v5, v3
	v_mad_u64_u32 v[2:3], s[4:5], v5, v2, 0
	v_add3_u32 v3, v3, v8, v4
	v_and_b32_e32 v4, 1, v9
	v_or_b32_e32 v6, v4, v6
	v_and_b32_e32 v8, 0xffff, v6
	v_pk_mov_b32 v[4:5], v[2:3], v[2:3] op_sel:[0,1]
; %bb.133:
	s_or_b64 exec, exec, s[42:43]
	v_mov_b32_dpp v10, v2 row_shr:2 row_mask:0xf bank_mask:0xf
	v_mov_b32_dpp v11, v3 row_shr:2 row_mask:0xf bank_mask:0xf
	v_mov_b32_dpp v9, v8 row_shr:2 row_mask:0xf bank_mask:0xf
	v_cmp_lt_u32_e32 vcc, 1, v7
	s_and_saveexec_b64 s[42:43], vcc
	s_cbranch_execz .LBB419_135
; %bb.134:
	v_cmp_eq_u16_e32 vcc, 0, v6
	v_cndmask_b32_e32 v2, 1, v10, vcc
	v_cndmask_b32_e32 v8, 0, v11, vcc
	v_mul_lo_u32 v5, v2, v5
	v_mad_u64_u32 v[2:3], s[4:5], v2, v4, 0
	v_mul_lo_u32 v4, v8, v4
	v_add3_u32 v3, v3, v5, v4
	v_and_b32_e32 v4, 1, v6
	v_cmp_eq_u32_e32 vcc, 1, v4
	v_and_b32_e32 v4, 1, v9
	v_cmp_eq_u32_e64 s[4:5], 1, v4
	s_or_b64 s[4:5], vcc, s[4:5]
	v_cndmask_b32_e64 v6, 0, 1, s[4:5]
	v_cndmask_b32_e64 v8, 0, 1, s[4:5]
	v_pk_mov_b32 v[4:5], v[2:3], v[2:3] op_sel:[0,1]
.LBB419_135:
	s_or_b64 exec, exec, s[42:43]
	v_mov_b32_dpp v10, v2 row_shr:4 row_mask:0xf bank_mask:0xf
	v_mov_b32_dpp v11, v3 row_shr:4 row_mask:0xf bank_mask:0xf
	v_mov_b32_dpp v9, v8 row_shr:4 row_mask:0xf bank_mask:0xf
	v_cmp_lt_u32_e32 vcc, 3, v7
	s_and_saveexec_b64 s[42:43], vcc
	s_cbranch_execz .LBB419_137
; %bb.136:
	v_cmp_eq_u16_e32 vcc, 0, v6
	v_cndmask_b32_e32 v2, 1, v10, vcc
	v_cndmask_b32_e32 v8, 0, v11, vcc
	v_mul_lo_u32 v5, v2, v5
	v_mad_u64_u32 v[2:3], s[4:5], v2, v4, 0
	v_mul_lo_u32 v4, v8, v4
	v_add3_u32 v3, v3, v5, v4
	v_and_b32_e32 v4, 1, v6
	v_cmp_eq_u32_e32 vcc, 1, v4
	v_and_b32_e32 v4, 1, v9
	v_cmp_eq_u32_e64 s[4:5], 1, v4
	s_or_b64 s[4:5], vcc, s[4:5]
	v_cndmask_b32_e64 v6, 0, 1, s[4:5]
	v_cndmask_b32_e64 v8, 0, 1, s[4:5]
	v_pk_mov_b32 v[4:5], v[2:3], v[2:3] op_sel:[0,1]
.LBB419_137:
	;; [unrolled: 24-line block ×3, first 2 shown]
	s_or_b64 exec, exec, s[42:43]
	v_and_b32_e32 v11, 16, v12
	v_mov_b32_dpp v9, v2 row_bcast:15 row_mask:0xf bank_mask:0xf
	v_mov_b32_dpp v10, v3 row_bcast:15 row_mask:0xf bank_mask:0xf
	;; [unrolled: 1-line block ×3, first 2 shown]
	v_cmp_ne_u32_e32 vcc, 0, v11
	s_and_saveexec_b64 s[42:43], vcc
	s_cbranch_execz .LBB419_141
; %bb.140:
	v_cmp_eq_u16_e32 vcc, 0, v6
	v_cndmask_b32_e32 v2, 1, v9, vcc
	v_cndmask_b32_e32 v8, 0, v10, vcc
	v_mul_lo_u32 v5, v2, v5
	v_mad_u64_u32 v[2:3], s[4:5], v2, v4, 0
	v_mul_lo_u32 v4, v8, v4
	v_add3_u32 v3, v3, v5, v4
	v_and_b32_e32 v4, 1, v6
	v_cmp_eq_u32_e32 vcc, 1, v4
	v_and_b32_e32 v4, 1, v7
	v_cmp_eq_u32_e64 s[4:5], 1, v4
	s_or_b64 s[4:5], vcc, s[4:5]
	v_cndmask_b32_e64 v6, 0, 1, s[4:5]
	v_cndmask_b32_e64 v8, 0, 1, s[4:5]
	v_pk_mov_b32 v[4:5], v[2:3], v[2:3] op_sel:[0,1]
.LBB419_141:
	s_or_b64 exec, exec, s[42:43]
	v_mov_b32_dpp v9, v2 row_bcast:31 row_mask:0xf bank_mask:0xf
	v_mov_b32_dpp v10, v3 row_bcast:31 row_mask:0xf bank_mask:0xf
	;; [unrolled: 1-line block ×3, first 2 shown]
	v_cmp_lt_u32_e32 vcc, 31, v12
	s_and_saveexec_b64 s[42:43], vcc
	s_cbranch_execz .LBB419_143
; %bb.142:
	v_cmp_eq_u16_e32 vcc, 0, v6
	v_cndmask_b32_e32 v2, 1, v9, vcc
	v_cndmask_b32_e32 v8, 0, v10, vcc
	v_mul_lo_u32 v5, v2, v5
	v_mad_u64_u32 v[2:3], s[4:5], v2, v4, 0
	v_mul_lo_u32 v4, v8, v4
	v_add3_u32 v3, v3, v5, v4
	v_and_b32_e32 v4, 1, v6
	v_cmp_eq_u32_e32 vcc, 1, v4
	v_and_b32_e32 v4, 1, v7
	v_cmp_eq_u32_e64 s[4:5], 1, v4
	s_or_b64 s[4:5], vcc, s[4:5]
	v_cndmask_b32_e64 v6, 0, 1, s[4:5]
	v_pk_mov_b32 v[4:5], v[2:3], v[2:3] op_sel:[0,1]
.LBB419_143:
	s_or_b64 exec, exec, s[42:43]
	v_cmp_eq_u32_e32 vcc, 63, v0
	s_and_saveexec_b64 s[4:5], vcc
	s_cbranch_execz .LBB419_145
; %bb.144:
	v_mov_b32_e32 v7, 0
	ds_write_b64 v7, v[4:5]
	ds_write_b8 v7, v6 offset:8
.LBB419_145:
	s_or_b64 exec, exec, s[4:5]
	v_add_u32_e32 v4, -1, v12
	v_and_b32_e32 v5, 64, v12
	v_cmp_lt_i32_e32 vcc, v4, v5
	v_cndmask_b32_e32 v4, v4, v12, vcc
	v_lshlrev_b32_e32 v4, 2, v4
	ds_bpermute_b32 v14, v4, v2
	v_and_b32_e32 v2, 0xffff, v6
	ds_bpermute_b32 v15, v4, v3
	ds_bpermute_b32 v16, v4, v2
	v_cmp_gt_u32_e32 vcc, 64, v0
	s_waitcnt lgkmcnt(0)
	; wave barrier
	s_waitcnt lgkmcnt(0)
	s_and_saveexec_b64 s[56:57], vcc
	s_cbranch_execz .LBB419_188
; %bb.146:
	v_mov_b32_e32 v7, 0
	ds_read_b64 v[2:3], v7
	ds_read_u8 v17, v7 offset:8
	s_mov_b32 s59, 0
	v_cmp_eq_u32_e64 s[42:43], 0, v12
	s_and_saveexec_b64 s[4:5], s[42:43]
	s_cbranch_execz .LBB419_148
; %bb.147:
	s_add_i32 s58, s55, 64
	s_lshl_b64 s[60:61], s[58:59], 4
	s_add_u32 s60, s48, s60
	s_addc_u32 s61, s49, s61
	v_mov_b32_e32 v4, s58
	v_mov_b32_e32 v5, 1
	s_waitcnt lgkmcnt(1)
	global_store_dwordx2 v7, v[2:3], s[60:61]
	s_waitcnt lgkmcnt(0)
	global_store_byte v7, v17, s[60:61] offset:8
	s_waitcnt vmcnt(0)
	buffer_wbinvl1_vol
	global_store_byte v4, v5, s[52:53]
.LBB419_148:
	s_or_b64 exec, exec, s[4:5]
	v_xad_u32 v4, v12, -1, s55
	v_add_u32_e32 v6, 64, v4
	global_load_ubyte v18, v6, s[52:53] glc
	s_waitcnt vmcnt(0)
	v_cmp_eq_u16_e32 vcc, 0, v18
	s_and_saveexec_b64 s[4:5], vcc
	s_cbranch_execz .LBB419_152
; %bb.149:
	v_mov_b32_e32 v5, s53
	v_add_co_u32_e32 v8, vcc, s52, v6
	v_addc_co_u32_e32 v9, vcc, 0, v5, vcc
	s_mov_b64 s[58:59], 0
.LBB419_150:                            ; =>This Inner Loop Header: Depth=1
	global_load_ubyte v18, v[8:9], off glc
	s_waitcnt vmcnt(0)
	v_cmp_ne_u16_e32 vcc, 0, v18
	s_or_b64 s[58:59], vcc, s[58:59]
	s_andn2_b64 exec, exec, s[58:59]
	s_cbranch_execnz .LBB419_150
; %bb.151:
	s_or_b64 exec, exec, s[58:59]
.LBB419_152:
	s_or_b64 exec, exec, s[4:5]
	v_mov_b32_e32 v5, s51
	v_mov_b32_e32 v8, s49
	v_cmp_eq_u16_e32 vcc, 1, v18
	v_cndmask_b32_e32 v5, v5, v8, vcc
	v_mov_b32_e32 v8, s50
	v_mov_b32_e32 v9, s48
	v_cndmask_b32_e32 v8, v8, v9, vcc
	v_lshlrev_b64 v[6:7], 4, v[6:7]
	v_add_co_u32_e32 v6, vcc, v8, v6
	v_addc_co_u32_e32 v7, vcc, v5, v7, vcc
	s_waitcnt lgkmcnt(0)
	buffer_wbinvl1_vol
	global_load_dwordx2 v[10:11], v[6:7], off
	global_load_ubyte v13, v[6:7], off offset:8
	v_cmp_eq_u16_e32 vcc, 2, v18
	v_lshlrev_b64 v[6:7], v12, -1
	v_and_b32_e32 v19, 63, v12
	v_and_b32_e32 v5, vcc_hi, v7
	v_and_b32_e32 v8, vcc_lo, v6
	v_cmp_ne_u32_e32 vcc, 63, v19
	v_addc_co_u32_e32 v9, vcc, 0, v12, vcc
	v_lshlrev_b32_e32 v20, 2, v9
	v_or_b32_e32 v5, 0x80000000, v5
	v_ffbl_b32_e32 v5, v5
	v_ffbl_b32_e32 v8, v8
	v_add_u32_e32 v5, 32, v5
	v_min_u32_e32 v5, v8, v5
	v_cmp_lt_u32_e32 vcc, v19, v5
	s_waitcnt vmcnt(1)
	ds_bpermute_b32 v22, v20, v10
	s_waitcnt vmcnt(0)
	v_and_b32_e32 v30, 1, v13
	ds_bpermute_b32 v23, v20, v11
	ds_bpermute_b32 v21, v20, v30
	v_mov_b32_e32 v9, v11
	v_mov_b32_e32 v8, v10
	s_and_saveexec_b64 s[4:5], vcc
	s_cbranch_execz .LBB419_154
; %bb.153:
	v_mov_b32_e32 v8, 0
	v_cmp_eq_u16_sdwa vcc, v13, v8 src0_sel:BYTE_0 src1_sel:DWORD
	s_waitcnt lgkmcnt(2)
	v_cndmask_b32_e32 v8, 1, v22, vcc
	s_waitcnt lgkmcnt(1)
	v_cndmask_b32_e32 v22, 0, v23, vcc
	v_mul_lo_u32 v11, v8, v11
	v_mad_u64_u32 v[8:9], s[58:59], v8, v10, 0
	v_mul_lo_u32 v10, v22, v10
	v_add3_u32 v9, v9, v11, v10
	s_waitcnt lgkmcnt(0)
	v_and_b32_e32 v10, 1, v21
	v_or_b32_e32 v13, v10, v13
	v_and_b32_e32 v30, 0xff, v13
	v_pk_mov_b32 v[10:11], v[8:9], v[8:9] op_sel:[0,1]
.LBB419_154:
	s_or_b64 exec, exec, s[4:5]
	v_cmp_gt_u32_e32 vcc, 62, v19
	s_waitcnt lgkmcnt(0)
	v_cndmask_b32_e64 v21, 0, 1, vcc
	v_lshlrev_b32_e32 v21, 1, v21
	v_add_lshl_u32 v21, v21, v12, 2
	ds_bpermute_b32 v24, v21, v8
	ds_bpermute_b32 v25, v21, v9
	ds_bpermute_b32 v23, v21, v30
	v_add_u32_e32 v22, 2, v19
	v_cmp_le_u32_e32 vcc, v22, v5
	s_and_saveexec_b64 s[58:59], vcc
	s_cbranch_execz .LBB419_156
; %bb.155:
	v_mov_b32_e32 v8, 0
	v_cmp_eq_u16_sdwa vcc, v13, v8 src0_sel:BYTE_0 src1_sel:DWORD
	s_waitcnt lgkmcnt(2)
	v_cndmask_b32_e32 v8, 1, v24, vcc
	s_waitcnt lgkmcnt(1)
	v_cndmask_b32_e32 v24, 0, v25, vcc
	v_mul_lo_u32 v11, v8, v11
	v_mad_u64_u32 v[8:9], s[4:5], v8, v10, 0
	v_mul_lo_u32 v10, v24, v10
	v_add3_u32 v9, v9, v11, v10
	v_and_b32_e32 v10, 1, v13
	v_cmp_eq_u32_e32 vcc, 1, v10
	s_waitcnt lgkmcnt(0)
	v_and_b32_e32 v10, 1, v23
	v_cmp_eq_u32_e64 s[4:5], 1, v10
	s_or_b64 s[4:5], vcc, s[4:5]
	v_cndmask_b32_e64 v13, 0, 1, s[4:5]
	v_cndmask_b32_e64 v30, 0, 1, s[4:5]
	v_pk_mov_b32 v[10:11], v[8:9], v[8:9] op_sel:[0,1]
.LBB419_156:
	s_or_b64 exec, exec, s[58:59]
	v_cmp_gt_u32_e32 vcc, 60, v19
	s_waitcnt lgkmcnt(0)
	v_cndmask_b32_e64 v23, 0, 1, vcc
	v_lshlrev_b32_e32 v23, 2, v23
	v_add_lshl_u32 v23, v23, v12, 2
	ds_bpermute_b32 v26, v23, v8
	ds_bpermute_b32 v27, v23, v9
	ds_bpermute_b32 v25, v23, v30
	v_add_u32_e32 v24, 4, v19
	v_cmp_le_u32_e32 vcc, v24, v5
	s_and_saveexec_b64 s[58:59], vcc
	s_cbranch_execz .LBB419_158
; %bb.157:
	v_mov_b32_e32 v8, 0
	v_cmp_eq_u16_sdwa vcc, v13, v8 src0_sel:BYTE_0 src1_sel:DWORD
	s_waitcnt lgkmcnt(2)
	v_cndmask_b32_e32 v8, 1, v26, vcc
	s_waitcnt lgkmcnt(1)
	v_cndmask_b32_e32 v26, 0, v27, vcc
	v_mul_lo_u32 v11, v8, v11
	v_mad_u64_u32 v[8:9], s[4:5], v8, v10, 0
	v_mul_lo_u32 v10, v26, v10
	v_add3_u32 v9, v9, v11, v10
	v_and_b32_e32 v10, 1, v13
	v_cmp_eq_u32_e32 vcc, 1, v10
	s_waitcnt lgkmcnt(0)
	v_and_b32_e32 v10, 1, v25
	v_cmp_eq_u32_e64 s[4:5], 1, v10
	s_or_b64 s[4:5], vcc, s[4:5]
	v_cndmask_b32_e64 v13, 0, 1, s[4:5]
	v_cndmask_b32_e64 v30, 0, 1, s[4:5]
	v_pk_mov_b32 v[10:11], v[8:9], v[8:9] op_sel:[0,1]
.LBB419_158:
	;; [unrolled: 34-line block ×4, first 2 shown]
	s_or_b64 exec, exec, s[58:59]
	v_cmp_gt_u32_e32 vcc, 32, v19
	s_waitcnt lgkmcnt(0)
	v_cndmask_b32_e64 v29, 0, 1, vcc
	v_lshlrev_b32_e32 v29, 5, v29
	v_add_lshl_u32 v29, v29, v12, 2
	ds_bpermute_b32 v12, v29, v8
	ds_bpermute_b32 v9, v29, v9
	;; [unrolled: 1-line block ×3, first 2 shown]
	v_add_u32_e32 v31, 32, v19
	v_cmp_le_u32_e32 vcc, v31, v5
	s_and_saveexec_b64 s[58:59], vcc
	s_cbranch_execz .LBB419_164
; %bb.163:
	v_mov_b32_e32 v5, 0
	v_cmp_eq_u16_sdwa vcc, v13, v5 src0_sel:BYTE_0 src1_sel:DWORD
	s_waitcnt lgkmcnt(2)
	v_cndmask_b32_e32 v5, 1, v12, vcc
	s_waitcnt lgkmcnt(1)
	v_cndmask_b32_e32 v9, 0, v9, vcc
	v_mul_lo_u32 v11, v5, v11
	v_mad_u64_u32 v[32:33], s[4:5], v5, v10, 0
	v_mul_lo_u32 v5, v9, v10
	v_add3_u32 v33, v33, v11, v5
	v_and_b32_e32 v5, 1, v13
	v_cmp_eq_u32_e32 vcc, 1, v5
	s_waitcnt lgkmcnt(0)
	v_and_b32_e32 v5, 1, v8
	v_cmp_eq_u32_e64 s[4:5], 1, v5
	s_or_b64 s[4:5], vcc, s[4:5]
	v_cndmask_b32_e64 v13, 0, 1, s[4:5]
	v_pk_mov_b32 v[10:11], v[32:33], v[32:33] op_sel:[0,1]
.LBB419_164:
	s_or_b64 exec, exec, s[58:59]
	v_mov_b32_e32 v5, 0
	v_mov_b32_e32 v32, 2
	s_branch .LBB419_166
.LBB419_165:                            ;   in Loop: Header=BB419_166 Depth=1
	s_or_b64 exec, exec, s[60:61]
	v_cmp_eq_u16_sdwa vcc, v30, v5 src0_sel:BYTE_0 src1_sel:DWORD
	s_waitcnt lgkmcnt(0)
	v_cndmask_b32_e32 v10, 1, v12, vcc
	v_cndmask_b32_e32 v11, 0, v13, vcc
	v_mul_lo_u32 v12, v11, v8
	v_mul_lo_u32 v13, v10, v9
	v_mad_u64_u32 v[10:11], s[4:5], v10, v8, 0
	v_add3_u32 v11, v11, v13, v12
	v_and_b32_e32 v12, 1, v30
	v_cmp_eq_u32_e32 vcc, 1, v12
	s_or_b64 s[4:5], vcc, s[58:59]
	v_subrev_u32_e32 v4, 64, v4
	v_cndmask_b32_e64 v13, 0, 1, s[4:5]
.LBB419_166:                            ; =>This Loop Header: Depth=1
                                        ;     Child Loop BB419_169 Depth 2
	v_cmp_ne_u16_sdwa s[4:5], v18, v32 src0_sel:BYTE_0 src1_sel:DWORD
	s_waitcnt lgkmcnt(0)
	v_cndmask_b32_e64 v8, 0, 1, s[4:5]
	;;#ASMSTART
	;;#ASMEND
	v_cmp_ne_u32_e32 vcc, 0, v8
	v_mov_b32_e32 v30, v13
	s_cmp_lg_u64 vcc, exec
	v_pk_mov_b32 v[8:9], v[10:11], v[10:11] op_sel:[0,1]
	s_cbranch_scc1 .LBB419_183
; %bb.167:                              ;   in Loop: Header=BB419_166 Depth=1
	global_load_ubyte v18, v4, s[52:53] glc
	s_waitcnt vmcnt(0)
	v_cmp_eq_u16_e32 vcc, 0, v18
	s_and_saveexec_b64 s[4:5], vcc
	s_cbranch_execz .LBB419_171
; %bb.168:                              ;   in Loop: Header=BB419_166 Depth=1
	v_mov_b32_e32 v11, s53
	v_add_co_u32_e32 v10, vcc, s52, v4
	v_addc_co_u32_e32 v11, vcc, 0, v11, vcc
	s_mov_b64 s[58:59], 0
.LBB419_169:                            ;   Parent Loop BB419_166 Depth=1
                                        ; =>  This Inner Loop Header: Depth=2
	global_load_ubyte v18, v[10:11], off glc
	s_waitcnt vmcnt(0)
	v_cmp_ne_u16_e32 vcc, 0, v18
	s_or_b64 s[58:59], vcc, s[58:59]
	s_andn2_b64 exec, exec, s[58:59]
	s_cbranch_execnz .LBB419_169
; %bb.170:                              ;   in Loop: Header=BB419_166 Depth=1
	s_or_b64 exec, exec, s[58:59]
.LBB419_171:                            ;   in Loop: Header=BB419_166 Depth=1
	s_or_b64 exec, exec, s[4:5]
	v_mov_b32_e32 v10, s51
	v_mov_b32_e32 v11, s49
	v_cmp_eq_u16_e32 vcc, 1, v18
	v_cndmask_b32_e32 v12, v10, v11, vcc
	v_mov_b32_e32 v10, s50
	v_mov_b32_e32 v11, s48
	v_cndmask_b32_e32 v13, v10, v11, vcc
	v_lshlrev_b64 v[10:11], 4, v[4:5]
	v_add_co_u32_e32 v10, vcc, v13, v10
	v_addc_co_u32_e32 v11, vcc, v12, v11, vcc
	buffer_wbinvl1_vol
	global_load_dwordx2 v[12:13], v[10:11], off
	global_load_ubyte v33, v[10:11], off offset:8
	v_cmp_eq_u16_e32 vcc, 2, v18
	v_and_b32_e32 v10, vcc_hi, v7
	v_or_b32_e32 v10, 0x80000000, v10
	v_and_b32_e32 v11, vcc_lo, v6
	v_ffbl_b32_e32 v10, v10
	v_ffbl_b32_e32 v11, v11
	v_add_u32_e32 v10, 32, v10
	v_min_u32_e32 v34, v11, v10
	v_cmp_lt_u32_e32 vcc, v19, v34
	s_waitcnt vmcnt(1)
	ds_bpermute_b32 v37, v20, v12
	s_waitcnt vmcnt(0)
	v_and_b32_e32 v35, 1, v33
	ds_bpermute_b32 v78, v20, v13
	ds_bpermute_b32 v36, v20, v35
	v_mov_b32_e32 v11, v13
	v_mov_b32_e32 v10, v12
	s_and_saveexec_b64 s[4:5], vcc
	s_cbranch_execz .LBB419_173
; %bb.172:                              ;   in Loop: Header=BB419_166 Depth=1
	v_cmp_eq_u16_sdwa vcc, v33, v5 src0_sel:BYTE_0 src1_sel:DWORD
	s_waitcnt lgkmcnt(2)
	v_cndmask_b32_e32 v10, 1, v37, vcc
	s_waitcnt lgkmcnt(1)
	v_cndmask_b32_e32 v35, 0, v78, vcc
	v_mul_lo_u32 v13, v10, v13
	v_mad_u64_u32 v[10:11], s[58:59], v10, v12, 0
	v_mul_lo_u32 v12, v35, v12
	v_add3_u32 v11, v11, v13, v12
	s_waitcnt lgkmcnt(0)
	v_and_b32_e32 v12, 1, v36
	v_or_b32_e32 v33, v12, v33
	v_and_b32_e32 v35, 0xff, v33
	v_pk_mov_b32 v[12:13], v[10:11], v[10:11] op_sel:[0,1]
.LBB419_173:                            ;   in Loop: Header=BB419_166 Depth=1
	s_or_b64 exec, exec, s[4:5]
	s_waitcnt lgkmcnt(2)
	ds_bpermute_b32 v37, v21, v10
	s_waitcnt lgkmcnt(2)
	ds_bpermute_b32 v78, v21, v11
	;; [unrolled: 2-line block ×3, first 2 shown]
	v_and_b32_e32 v79, 1, v33
	v_cmp_le_u32_e32 vcc, v22, v34
	v_cmp_eq_u32_e64 s[58:59], 1, v79
	s_and_saveexec_b64 s[4:5], vcc
	s_cbranch_execz .LBB419_175
; %bb.174:                              ;   in Loop: Header=BB419_166 Depth=1
	v_cmp_eq_u16_sdwa vcc, v33, v5 src0_sel:BYTE_0 src1_sel:DWORD
	s_waitcnt lgkmcnt(2)
	v_cndmask_b32_e32 v10, 1, v37, vcc
	s_waitcnt lgkmcnt(1)
	v_cndmask_b32_e32 v33, 0, v78, vcc
	v_mul_lo_u32 v13, v10, v13
	v_mad_u64_u32 v[10:11], s[60:61], v10, v12, 0
	v_mul_lo_u32 v12, v33, v12
	v_add3_u32 v11, v11, v13, v12
	s_waitcnt lgkmcnt(0)
	v_and_b32_e32 v12, 1, v36
	v_cmp_eq_u32_e32 vcc, 1, v12
	s_or_b64 s[60:61], s[58:59], vcc
	v_cndmask_b32_e64 v33, 0, 1, s[60:61]
	v_cndmask_b32_e64 v35, 0, 1, s[60:61]
	s_andn2_b64 s[58:59], s[58:59], exec
	s_and_b64 s[60:61], s[60:61], exec
	s_or_b64 s[58:59], s[58:59], s[60:61]
	v_pk_mov_b32 v[12:13], v[10:11], v[10:11] op_sel:[0,1]
.LBB419_175:                            ;   in Loop: Header=BB419_166 Depth=1
	s_or_b64 exec, exec, s[4:5]
	s_waitcnt lgkmcnt(2)
	ds_bpermute_b32 v37, v23, v10
	s_waitcnt lgkmcnt(2)
	ds_bpermute_b32 v78, v23, v11
	s_waitcnt lgkmcnt(2)
	ds_bpermute_b32 v36, v23, v35
	v_cmp_le_u32_e32 vcc, v24, v34
	s_and_saveexec_b64 s[60:61], vcc
	s_cbranch_execz .LBB419_177
; %bb.176:                              ;   in Loop: Header=BB419_166 Depth=1
	v_cmp_eq_u16_sdwa vcc, v33, v5 src0_sel:BYTE_0 src1_sel:DWORD
	s_waitcnt lgkmcnt(2)
	v_cndmask_b32_e32 v10, 1, v37, vcc
	s_waitcnt lgkmcnt(1)
	v_cndmask_b32_e32 v35, 0, v78, vcc
	v_mul_lo_u32 v13, v10, v13
	v_mad_u64_u32 v[10:11], s[4:5], v10, v12, 0
	v_mul_lo_u32 v12, v35, v12
	v_add3_u32 v11, v11, v13, v12
	v_and_b32_e32 v12, 1, v33
	v_cmp_eq_u32_e32 vcc, 1, v12
	s_waitcnt lgkmcnt(0)
	v_and_b32_e32 v12, 1, v36
	v_cmp_eq_u32_e64 s[4:5], 1, v12
	s_or_b64 s[4:5], vcc, s[4:5]
	v_cndmask_b32_e64 v33, 0, 1, s[4:5]
	v_cndmask_b32_e64 v35, 0, 1, s[4:5]
	s_andn2_b64 s[58:59], s[58:59], exec
	s_and_b64 s[4:5], s[4:5], exec
	s_or_b64 s[58:59], s[58:59], s[4:5]
	v_pk_mov_b32 v[12:13], v[10:11], v[10:11] op_sel:[0,1]
.LBB419_177:                            ;   in Loop: Header=BB419_166 Depth=1
	s_or_b64 exec, exec, s[60:61]
	s_waitcnt lgkmcnt(2)
	ds_bpermute_b32 v37, v25, v10
	s_waitcnt lgkmcnt(2)
	ds_bpermute_b32 v78, v25, v11
	s_waitcnt lgkmcnt(2)
	ds_bpermute_b32 v36, v25, v35
	v_cmp_le_u32_e32 vcc, v26, v34
	s_and_saveexec_b64 s[60:61], vcc
	s_cbranch_execz .LBB419_179
; %bb.178:                              ;   in Loop: Header=BB419_166 Depth=1
	v_cmp_eq_u16_sdwa vcc, v33, v5 src0_sel:BYTE_0 src1_sel:DWORD
	s_waitcnt lgkmcnt(2)
	v_cndmask_b32_e32 v10, 1, v37, vcc
	s_waitcnt lgkmcnt(1)
	v_cndmask_b32_e32 v35, 0, v78, vcc
	v_mul_lo_u32 v13, v10, v13
	v_mad_u64_u32 v[10:11], s[4:5], v10, v12, 0
	v_mul_lo_u32 v12, v35, v12
	v_add3_u32 v11, v11, v13, v12
	v_and_b32_e32 v12, 1, v33
	v_cmp_eq_u32_e32 vcc, 1, v12
	s_waitcnt lgkmcnt(0)
	v_and_b32_e32 v12, 1, v36
	v_cmp_eq_u32_e64 s[4:5], 1, v12
	s_or_b64 s[4:5], vcc, s[4:5]
	v_cndmask_b32_e64 v33, 0, 1, s[4:5]
	v_cndmask_b32_e64 v35, 0, 1, s[4:5]
	s_andn2_b64 s[58:59], s[58:59], exec
	s_and_b64 s[4:5], s[4:5], exec
	s_or_b64 s[58:59], s[58:59], s[4:5]
	v_pk_mov_b32 v[12:13], v[10:11], v[10:11] op_sel:[0,1]
.LBB419_179:                            ;   in Loop: Header=BB419_166 Depth=1
	;; [unrolled: 33-line block ×3, first 2 shown]
	s_or_b64 exec, exec, s[60:61]
	s_waitcnt lgkmcnt(0)
	ds_bpermute_b32 v36, v29, v10
	ds_bpermute_b32 v11, v29, v11
	;; [unrolled: 1-line block ×3, first 2 shown]
	v_cmp_le_u32_e32 vcc, v31, v34
	s_and_saveexec_b64 s[60:61], vcc
	s_cbranch_execz .LBB419_165
; %bb.182:                              ;   in Loop: Header=BB419_166 Depth=1
	v_cmp_eq_u16_sdwa vcc, v33, v5 src0_sel:BYTE_0 src1_sel:DWORD
	s_waitcnt lgkmcnt(2)
	v_cndmask_b32_e32 v34, 1, v36, vcc
	s_waitcnt lgkmcnt(1)
	v_cndmask_b32_e32 v11, 0, v11, vcc
	v_mul_lo_u32 v13, v34, v13
	v_mad_u64_u32 v[34:35], s[4:5], v34, v12, 0
	v_mul_lo_u32 v11, v11, v12
	v_add3_u32 v35, v35, v13, v11
	v_and_b32_e32 v11, 1, v33
	s_waitcnt lgkmcnt(0)
	v_and_b32_e32 v10, 1, v10
	v_cmp_eq_u32_e32 vcc, 1, v11
	v_cmp_eq_u32_e64 s[4:5], 1, v10
	s_or_b64 s[4:5], vcc, s[4:5]
	s_andn2_b64 s[58:59], s[58:59], exec
	s_and_b64 s[4:5], s[4:5], exec
	s_or_b64 s[58:59], s[58:59], s[4:5]
	v_pk_mov_b32 v[12:13], v[34:35], v[34:35] op_sel:[0,1]
	s_branch .LBB419_165
.LBB419_183:                            ;   in Loop: Header=BB419_166 Depth=1
                                        ; implicit-def: $vgpr13
                                        ; implicit-def: $vgpr10_vgpr11
                                        ; implicit-def: $vgpr18
	s_cbranch_execz .LBB419_166
; %bb.184:
	s_and_saveexec_b64 s[4:5], s[42:43]
	s_cbranch_execz .LBB419_186
; %bb.185:
	v_mov_b32_e32 v4, 0
	v_cmp_eq_u16_sdwa vcc, v17, v4 src0_sel:BYTE_0 src1_sel:DWORD
	v_cndmask_b32_e32 v5, 1, v8, vcc
	v_cndmask_b32_e32 v6, 0, v9, vcc
	s_mov_b32 s43, 0
	v_mul_lo_u32 v6, v6, v2
	v_mul_lo_u32 v7, v5, v3
	v_mad_u64_u32 v[2:3], s[48:49], v5, v2, 0
	s_add_i32 s42, s55, 64
	s_lshl_b64 s[48:49], s[42:43], 4
	s_add_u32 s48, s50, s48
	v_add3_u32 v3, v3, v7, v6
	v_or_b32_e32 v5, v17, v30
	s_addc_u32 s49, s51, s49
	v_and_b32_e32 v5, 1, v5
	global_store_dwordx2 v4, v[2:3], s[48:49]
	global_store_byte v4, v5, s[48:49] offset:8
	v_mov_b32_e32 v2, s42
	v_mov_b32_e32 v3, 2
	s_waitcnt vmcnt(0)
	buffer_wbinvl1_vol
	global_store_byte v2, v3, s[52:53]
.LBB419_186:
	s_or_b64 exec, exec, s[4:5]
	s_and_b64 exec, exec, s[2:3]
	s_cbranch_execz .LBB419_188
; %bb.187:
	v_mov_b32_e32 v2, 0
	ds_write_b64 v2, v[8:9]
	ds_write_b8 v2, v30 offset:8
.LBB419_188:
	s_or_b64 exec, exec, s[56:57]
	v_mov_b32_e32 v2, 0
	s_waitcnt lgkmcnt(0)
	; wave barrier
	s_waitcnt lgkmcnt(0)
	ds_read_b64 v[78:79], v2
	s_and_saveexec_b64 s[4:5], s[44:45]
	s_cbranch_execz .LBB419_190
; %bb.189:
	v_cmp_eq_u32_sdwa vcc, v16, v2 src0_sel:BYTE_0 src1_sel:DWORD
	s_waitcnt lgkmcnt(0)
	v_cndmask_b32_e32 v3, 1, v78, vcc
	v_cndmask_b32_e32 v4, 0, v79, vcc
	v_mul_lo_u32 v4, v4, v14
	v_mul_lo_u32 v5, v3, v15
	v_mad_u64_u32 v[78:79], s[42:43], v3, v14, 0
	v_add3_u32 v79, v79, v5, v4
.LBB419_190:
	s_or_b64 exec, exec, s[4:5]
	v_cmp_eq_u16_sdwa vcc, v1, v2 src0_sel:BYTE_0 src1_sel:DWORD
	s_waitcnt lgkmcnt(0)
	v_cndmask_b32_e32 v2, 1, v78, vcc
	v_cndmask_b32_e32 v3, 0, v79, vcc
	v_mul_lo_u32 v3, v3, v76
	v_mul_lo_u32 v6, v2, v77
	v_mad_u64_u32 v[4:5], s[4:5], v2, v76, 0
	v_add3_u32 v5, v5, v6, v3
	v_cndmask_b32_e64 v2, 0, v5, s[40:41]
	v_cndmask_b32_e64 v3, 1, v4, s[40:41]
	v_mul_lo_u32 v2, v2, v38
	v_mul_lo_u32 v8, v3, v39
	v_mad_u64_u32 v[6:7], s[4:5], v3, v38, 0
	v_add3_u32 v7, v7, v8, v2
	v_cndmask_b32_e64 v2, 0, v7, s[38:39]
	v_cndmask_b32_e64 v3, 1, v6, s[38:39]
	;; [unrolled: 6-line block ×17, first 2 shown]
	s_branch .LBB419_211
.LBB419_191:
                                        ; implicit-def: $vgpr78_vgpr79
                                        ; implicit-def: $vgpr96_vgpr97
                                        ; implicit-def: $vgpr94_vgpr95
                                        ; implicit-def: $vgpr92_vgpr93
                                        ; implicit-def: $vgpr90_vgpr91
                                        ; implicit-def: $vgpr88_vgpr89
                                        ; implicit-def: $vgpr86_vgpr87
                                        ; implicit-def: $vgpr84_vgpr85
                                        ; implicit-def: $vgpr82_vgpr83
                                        ; implicit-def: $vgpr80_vgpr81
                                        ; implicit-def: $vgpr34_vgpr35_vgpr36_vgpr37
                                        ; implicit-def: $vgpr30_vgpr31_vgpr32_vgpr33
                                        ; implicit-def: $vgpr26_vgpr27_vgpr28_vgpr29
                                        ; implicit-def: $vgpr22_vgpr23_vgpr24_vgpr25
                                        ; implicit-def: $vgpr18_vgpr19_vgpr20_vgpr21
                                        ; implicit-def: $vgpr14_vgpr15_vgpr16_vgpr17
                                        ; implicit-def: $vgpr10_vgpr11_vgpr12_vgpr13
                                        ; implicit-def: $vgpr6_vgpr7_vgpr8_vgpr9
                                        ; implicit-def: $vgpr2_vgpr3_vgpr4_vgpr5
	s_cbranch_execz .LBB419_211
; %bb.192:
	s_cmp_lg_u64 s[70:71], 0
	s_cselect_b32 s5, s67, 0
	s_cselect_b32 s4, s66, 0
	s_cmp_eq_u64 s[4:5], 0
	v_pk_mov_b32 v[2:3], s[68:69], s[68:69] op_sel:[0,1]
	s_cbranch_scc1 .LBB419_194
; %bb.193:
	v_mov_b32_e32 v2, 0
	global_load_dwordx2 v[2:3], v2, s[4:5]
.LBB419_194:
	v_mov_b32_e32 v6, 0
	v_cmp_eq_u16_sdwa vcc, v98, v6 src0_sel:BYTE_0 src1_sel:DWORD
	v_cndmask_b32_e32 v4, 1, v76, vcc
	v_cndmask_b32_e32 v5, 0, v77, vcc
	v_mul_lo_u32 v7, v5, v38
	v_mul_lo_u32 v8, v4, v39
	v_mad_u64_u32 v[4:5], s[4:5], v4, v38, 0
	v_add3_u32 v5, v5, v8, v7
	v_cmp_eq_u16_sdwa s[4:5], v99, v6 src0_sel:BYTE_0 src1_sel:DWORD
	v_cndmask_b32_e64 v5, 0, v5, s[4:5]
	v_cndmask_b32_e64 v4, 1, v4, s[4:5]
	v_mul_lo_u32 v7, v5, v46
	v_mul_lo_u32 v8, v4, v47
	v_mad_u64_u32 v[4:5], s[6:7], v4, v46, 0
	v_add3_u32 v5, v5, v8, v7
	v_cmp_eq_u16_sdwa s[6:7], v100, v6 src0_sel:BYTE_0 src1_sel:DWORD
	v_cndmask_b32_e64 v5, 0, v5, s[6:7]
	v_cndmask_b32_e64 v4, 1, v4, s[6:7]
	;; [unrolled: 7-line block ×17, first 2 shown]
	v_mul_lo_u32 v6, v5, v40
	v_mul_lo_u32 v7, v4, v41
	v_mad_u64_u32 v[4:5], s[38:39], v4, v40, 0
	v_add3_u32 v5, v5, v7, v6
	v_or_b32_e32 v6, v118, v113
	v_or_b32_e32 v6, v6, v112
	;; [unrolled: 1-line block ×16, first 2 shown]
	v_mbcnt_hi_u32_b32 v8, -1, v117
	v_and_b32_e32 v9, 1, v6
	v_and_b32_e32 v10, 15, v8
	v_cmp_eq_u32_e64 s[38:39], 1, v9
	v_mov_b32_dpp v13, v4 row_shr:1 row_mask:0xf bank_mask:0xf
	v_mov_b32_dpp v14, v5 row_shr:1 row_mask:0xf bank_mask:0xf
	v_mov_b32_dpp v12, v9 row_shr:1 row_mask:0xf bank_mask:0xf
	v_cmp_ne_u32_e64 s[40:41], 0, v10
	v_mov_b32_e32 v7, v5
	v_mov_b32_e32 v6, v4
	;; [unrolled: 1-line block ×3, first 2 shown]
	s_and_saveexec_b64 s[42:43], s[40:41]
; %bb.195:
	v_cndmask_b32_e64 v6, v14, 0, s[38:39]
	v_cndmask_b32_e64 v7, v13, 1, s[38:39]
	v_mul_lo_u32 v6, v6, v4
	v_mul_lo_u32 v11, v7, v5
	v_mad_u64_u32 v[4:5], s[38:39], v7, v4, 0
	v_add3_u32 v5, v5, v11, v6
	v_and_b32_e32 v6, 1, v12
	v_or_b32_e32 v9, v6, v9
	v_and_b32_e32 v11, 0xffff, v9
	v_mov_b32_e32 v7, v5
	v_mov_b32_e32 v6, v4
; %bb.196:
	s_or_b64 exec, exec, s[42:43]
	s_nop 0
	v_mov_b32_dpp v13, v6 row_shr:2 row_mask:0xf bank_mask:0xf
	v_mov_b32_dpp v14, v7 row_shr:2 row_mask:0xf bank_mask:0xf
	v_mov_b32_dpp v12, v11 row_shr:2 row_mask:0xf bank_mask:0xf
	v_cmp_lt_u32_e64 s[38:39], 1, v10
	s_and_saveexec_b64 s[42:43], s[38:39]
	s_cbranch_execz .LBB419_198
; %bb.197:
	v_cmp_eq_u16_e64 s[38:39], 0, v9
	v_cndmask_b32_e64 v6, 1, v13, s[38:39]
	v_cndmask_b32_e64 v11, 0, v14, s[38:39]
	v_mul_lo_u32 v5, v6, v5
	v_mad_u64_u32 v[6:7], s[38:39], v6, v4, 0
	v_mul_lo_u32 v4, v11, v4
	v_add3_u32 v7, v7, v5, v4
	v_and_b32_e32 v4, 1, v9
	v_cmp_eq_u32_e64 s[38:39], 1, v4
	v_and_b32_e32 v4, 1, v12
	v_cmp_eq_u32_e64 s[40:41], 1, v4
	s_or_b64 s[38:39], s[38:39], s[40:41]
	v_cndmask_b32_e64 v9, 0, 1, s[38:39]
	v_cndmask_b32_e64 v11, 0, 1, s[38:39]
	v_pk_mov_b32 v[4:5], v[6:7], v[6:7] op_sel:[0,1]
.LBB419_198:
	s_or_b64 exec, exec, s[42:43]
	v_mov_b32_dpp v13, v6 row_shr:4 row_mask:0xf bank_mask:0xf
	v_mov_b32_dpp v14, v7 row_shr:4 row_mask:0xf bank_mask:0xf
	v_mov_b32_dpp v12, v11 row_shr:4 row_mask:0xf bank_mask:0xf
	v_cmp_lt_u32_e64 s[38:39], 3, v10
	s_and_saveexec_b64 s[42:43], s[38:39]
	s_cbranch_execz .LBB419_200
; %bb.199:
	v_cmp_eq_u16_e64 s[38:39], 0, v9
	v_cndmask_b32_e64 v6, 1, v13, s[38:39]
	v_cndmask_b32_e64 v11, 0, v14, s[38:39]
	v_mul_lo_u32 v5, v6, v5
	v_mad_u64_u32 v[6:7], s[38:39], v6, v4, 0
	v_mul_lo_u32 v4, v11, v4
	v_add3_u32 v7, v7, v5, v4
	v_and_b32_e32 v4, 1, v9
	v_cmp_eq_u32_e64 s[38:39], 1, v4
	v_and_b32_e32 v4, 1, v12
	v_cmp_eq_u32_e64 s[40:41], 1, v4
	s_or_b64 s[38:39], s[38:39], s[40:41]
	v_cndmask_b32_e64 v9, 0, 1, s[38:39]
	v_cndmask_b32_e64 v11, 0, 1, s[38:39]
	v_pk_mov_b32 v[4:5], v[6:7], v[6:7] op_sel:[0,1]
.LBB419_200:
	s_or_b64 exec, exec, s[42:43]
	;; [unrolled: 24-line block ×3, first 2 shown]
	v_and_b32_e32 v14, 16, v8
	v_mov_b32_dpp v12, v6 row_bcast:15 row_mask:0xf bank_mask:0xf
	v_mov_b32_dpp v13, v7 row_bcast:15 row_mask:0xf bank_mask:0xf
	;; [unrolled: 1-line block ×3, first 2 shown]
	v_cmp_ne_u32_e64 s[38:39], 0, v14
	s_and_saveexec_b64 s[42:43], s[38:39]
	s_cbranch_execz .LBB419_204
; %bb.203:
	v_cmp_eq_u16_e64 s[38:39], 0, v9
	v_cndmask_b32_e64 v6, 1, v12, s[38:39]
	v_cndmask_b32_e64 v11, 0, v13, s[38:39]
	v_mul_lo_u32 v5, v6, v5
	v_mad_u64_u32 v[6:7], s[38:39], v6, v4, 0
	v_mul_lo_u32 v4, v11, v4
	v_add3_u32 v7, v7, v5, v4
	v_and_b32_e32 v4, 1, v9
	v_cmp_eq_u32_e64 s[38:39], 1, v4
	v_and_b32_e32 v4, 1, v10
	v_cmp_eq_u32_e64 s[40:41], 1, v4
	s_or_b64 s[38:39], s[38:39], s[40:41]
	v_cndmask_b32_e64 v9, 0, 1, s[38:39]
	v_cndmask_b32_e64 v11, 0, 1, s[38:39]
	v_pk_mov_b32 v[4:5], v[6:7], v[6:7] op_sel:[0,1]
.LBB419_204:
	s_or_b64 exec, exec, s[42:43]
	v_mov_b32_dpp v10, v6 row_bcast:31 row_mask:0xf bank_mask:0xf
	v_mov_b32_dpp v7, v7 row_bcast:31 row_mask:0xf bank_mask:0xf
	;; [unrolled: 1-line block ×3, first 2 shown]
	v_cmp_lt_u32_e64 s[38:39], 31, v8
	s_and_saveexec_b64 s[42:43], s[38:39]
	s_cbranch_execz .LBB419_206
; %bb.205:
	v_cmp_eq_u16_e64 s[38:39], 0, v9
	v_cndmask_b32_e64 v10, 1, v10, s[38:39]
	v_cndmask_b32_e64 v7, 0, v7, s[38:39]
	v_mul_lo_u32 v5, v10, v5
	v_mad_u64_u32 v[10:11], s[38:39], v10, v4, 0
	v_mul_lo_u32 v4, v7, v4
	v_add3_u32 v11, v11, v5, v4
	v_and_b32_e32 v4, 1, v9
	v_cmp_eq_u32_e64 s[38:39], 1, v4
	v_and_b32_e32 v4, 1, v6
	v_cmp_eq_u32_e64 s[40:41], 1, v4
	s_or_b64 s[38:39], s[38:39], s[40:41]
	v_cndmask_b32_e64 v9, 0, 1, s[38:39]
	v_pk_mov_b32 v[4:5], v[10:11], v[10:11] op_sel:[0,1]
.LBB419_206:
	s_or_b64 exec, exec, s[42:43]
	v_cmp_eq_u32_e64 s[38:39], 63, v0
	s_and_saveexec_b64 s[40:41], s[38:39]
	s_cbranch_execz .LBB419_208
; %bb.207:
	v_mov_b32_e32 v6, 0
	ds_write_b64 v6, v[4:5]
	ds_write_b8 v6, v9 offset:8
.LBB419_208:
	s_or_b64 exec, exec, s[40:41]
	v_cmp_eq_u16_e64 s[38:39], 0, v9
	s_waitcnt vmcnt(0)
	v_cndmask_b32_e64 v6, 1, v2, s[38:39]
	v_cndmask_b32_e64 v7, 0, v3, s[38:39]
	v_mul_lo_u32 v7, v7, v4
	v_mul_lo_u32 v9, v6, v5
	v_mad_u64_u32 v[4:5], s[38:39], v6, v4, 0
	v_add3_u32 v5, v5, v9, v7
	v_add_u32_e32 v6, -1, v8
	v_and_b32_e32 v7, 64, v8
	v_cmp_lt_i32_e64 s[38:39], v6, v7
	v_cndmask_b32_e64 v6, v6, v8, s[38:39]
	v_lshlrev_b32_e32 v6, 2, v6
	ds_bpermute_b32 v5, v6, v5
	ds_bpermute_b32 v4, v6, v4
	v_cmp_eq_u32_e64 s[38:39], 0, v8
	s_or_b64 s[38:39], s[2:3], s[38:39]
	v_mov_b32_e32 v8, 0
	s_waitcnt lgkmcnt(1)
	v_cndmask_b32_e64 v79, v5, v3, s[38:39]
	s_waitcnt lgkmcnt(0)
	v_cndmask_b32_e64 v78, v4, v2, s[38:39]
	v_cmp_eq_u16_sdwa s[38:39], v1, v8 src0_sel:BYTE_0 src1_sel:DWORD
	v_cndmask_b32_e64 v1, 0, v79, s[38:39]
	v_cndmask_b32_e64 v4, 1, v78, s[38:39]
	v_mul_lo_u32 v1, v1, v76
	v_mul_lo_u32 v6, v4, v77
	v_mad_u64_u32 v[4:5], s[38:39], v4, v76, 0
	v_add3_u32 v5, v5, v6, v1
	v_cndmask_b32_e32 v1, 0, v5, vcc
	v_cndmask_b32_e32 v6, 1, v4, vcc
	v_mul_lo_u32 v1, v1, v38
	v_mul_lo_u32 v9, v6, v39
	v_mad_u64_u32 v[6:7], s[38:39], v6, v38, 0
	v_add3_u32 v7, v7, v9, v1
	v_cndmask_b32_e64 v1, 0, v7, s[4:5]
	v_cndmask_b32_e64 v9, 1, v6, s[4:5]
	v_mul_lo_u32 v1, v1, v46
	v_mul_lo_u32 v10, v9, v47
	v_mad_u64_u32 v[80:81], s[4:5], v9, v46, 0
	v_add3_u32 v81, v81, v10, v1
	v_cndmask_b32_e64 v1, 0, v81, s[6:7]
	v_cndmask_b32_e64 v9, 1, v80, s[6:7]
	;; [unrolled: 6-line block ×16, first 2 shown]
	s_waitcnt lgkmcnt(0)
	; wave barrier
	s_and_saveexec_b64 s[4:5], s[2:3]
	s_cbranch_execz .LBB419_210
; %bb.209:
	ds_read_u8 v1, v8 offset:8
	ds_read_b64 v[12:13], v8
	v_pk_mov_b32 v[78:79], v[2:3], v[2:3] op_sel:[0,1]
	s_waitcnt lgkmcnt(1)
	v_cmp_eq_u16_e32 vcc, 0, v1
	v_cndmask_b32_e32 v16, 1, v2, vcc
	v_cndmask_b32_e32 v9, 0, v3, vcc
	s_waitcnt lgkmcnt(0)
	v_mul_lo_u32 v13, v16, v13
	v_mul_hi_u32 v17, v16, v12
	v_mul_lo_u32 v9, v9, v12
	v_add_u32_e32 v13, v17, v13
	v_add_u32_e32 v13, v13, v9
	v_mul_lo_u32 v12, v16, v12
	global_store_dwordx2 v8, v[12:13], s[50:51] offset:1024
	global_store_byte v8, v1, s[50:51] offset:1032
	v_mov_b32_e32 v1, 2
	s_waitcnt vmcnt(0)
	buffer_wbinvl1_vol
	global_store_byte v8, v1, s[52:53] offset:64
.LBB419_210:
	s_or_b64 exec, exec, s[4:5]
.LBB419_211:
	s_add_u32 s4, s62, s46
	s_addc_u32 s5, s63, s47
	v_mul_lo_u32 v1, v97, v42
	v_mul_lo_u32 v8, v96, v43
	v_mad_u64_u32 v[2:3], s[2:3], v96, v42, 0
	v_add3_u32 v3, v3, v8, v1
	v_mov_b32_e32 v1, s5
	v_add_co_u32_e32 v12, vcc, s4, v74
	v_addc_co_u32_e32 v13, vcc, v1, v75, vcc
	s_and_b64 vcc, exec, s[0:1]
	s_cbranch_vccz .LBB419_249
; %bb.212:
	s_movk_i32 s0, 0x98
	v_mul_i32_i24_e32 v17, 0xffffff70, v0
	v_mul_u32_u24_e32 v16, 0x98, v0
	v_mad_u32_u24 v8, v0, s0, v17
	s_waitcnt lgkmcnt(0)
	; wave barrier
	ds_write2_b64 v16, v[78:79], v[4:5] offset1:1
	ds_write2_b64 v16, v[6:7], v[80:81] offset0:2 offset1:3
	ds_write2_b64 v16, v[10:11], v[82:83] offset0:4 offset1:5
	;; [unrolled: 1-line block ×8, first 2 shown]
	ds_write_b64 v16, v[2:3] offset:144
	s_waitcnt lgkmcnt(0)
	; wave barrier
	s_waitcnt lgkmcnt(0)
	ds_read2st64_b64 v[68:71], v8 offset0:1 offset1:2
	ds_read2st64_b64 v[64:67], v8 offset0:3 offset1:4
	;; [unrolled: 1-line block ×9, first 2 shown]
	v_add_co_u32_e32 v8, vcc, v12, v115
	s_add_i32 s33, s33, s54
	v_addc_co_u32_e32 v9, vcc, 0, v13, vcc
	v_mov_b32_e32 v1, 0
	v_cmp_gt_u32_e32 vcc, s33, v0
	s_and_saveexec_b64 s[0:1], vcc
	s_cbranch_execz .LBB419_214
; %bb.213:
	v_add_u32_e32 v16, v16, v17
	ds_read_b64 v[16:17], v16
	s_waitcnt lgkmcnt(0)
	flat_store_dwordx2 v[8:9], v[16:17]
.LBB419_214:
	s_or_b64 exec, exec, s[0:1]
	v_or_b32_e32 v16, 64, v0
	v_cmp_gt_u32_e32 vcc, s33, v16
	s_and_saveexec_b64 s[0:1], vcc
	s_cbranch_execz .LBB419_216
; %bb.215:
	s_waitcnt lgkmcnt(0)
	flat_store_dwordx2 v[8:9], v[68:69] offset:512
.LBB419_216:
	s_or_b64 exec, exec, s[0:1]
	v_or_b32_e32 v16, 0x80, v0
	v_cmp_gt_u32_e32 vcc, s33, v16
	s_and_saveexec_b64 s[0:1], vcc
	s_cbranch_execz .LBB419_218
; %bb.217:
	s_waitcnt lgkmcnt(0)
	flat_store_dwordx2 v[8:9], v[70:71] offset:1024
.LBB419_218:
	;; [unrolled: 9-line block ×7, first 2 shown]
	s_or_b64 exec, exec, s[0:1]
	v_or_b32_e32 v16, 0x200, v0
	v_cmp_gt_u32_e32 vcc, s33, v16
	s_and_saveexec_b64 s[0:1], vcc
	s_cbranch_execz .LBB419_230
; %bb.229:
	v_add_co_u32_e32 v16, vcc, 0x1000, v8
	v_addc_co_u32_e32 v17, vcc, 0, v9, vcc
	s_waitcnt lgkmcnt(0)
	flat_store_dwordx2 v[16:17], v[58:59]
.LBB419_230:
	s_or_b64 exec, exec, s[0:1]
	v_or_b32_e32 v16, 0x240, v0
	v_cmp_gt_u32_e32 vcc, s33, v16
	s_and_saveexec_b64 s[0:1], vcc
	s_cbranch_execz .LBB419_232
; %bb.231:
	v_add_co_u32_e32 v16, vcc, 0x1000, v8
	v_addc_co_u32_e32 v17, vcc, 0, v9, vcc
	s_waitcnt lgkmcnt(0)
	flat_store_dwordx2 v[16:17], v[52:53] offset:512
.LBB419_232:
	s_or_b64 exec, exec, s[0:1]
	v_or_b32_e32 v16, 0x280, v0
	v_cmp_gt_u32_e32 vcc, s33, v16
	s_and_saveexec_b64 s[0:1], vcc
	s_cbranch_execz .LBB419_234
; %bb.233:
	v_add_co_u32_e32 v16, vcc, 0x1000, v8
	v_addc_co_u32_e32 v17, vcc, 0, v9, vcc
	s_waitcnt lgkmcnt(0)
	flat_store_dwordx2 v[16:17], v[54:55] offset:1024
.LBB419_234:
	;; [unrolled: 11-line block ×7, first 2 shown]
	s_or_b64 exec, exec, s[0:1]
	v_or_b32_e32 v16, 0x400, v0
	v_cmp_gt_u32_e32 vcc, s33, v16
	s_and_saveexec_b64 s[0:1], vcc
	s_cbranch_execz .LBB419_246
; %bb.245:
	v_add_co_u32_e32 v16, vcc, 0x2000, v8
	v_addc_co_u32_e32 v17, vcc, 0, v9, vcc
	s_waitcnt lgkmcnt(0)
	flat_store_dwordx2 v[16:17], v[42:43]
.LBB419_246:
	s_or_b64 exec, exec, s[0:1]
	v_or_b32_e32 v16, 0x440, v0
	v_cmp_gt_u32_e32 vcc, s33, v16
	s_and_saveexec_b64 s[0:1], vcc
	s_cbranch_execz .LBB419_248
; %bb.247:
	v_add_co_u32_e32 v8, vcc, 0x2000, v8
	v_addc_co_u32_e32 v9, vcc, 0, v9, vcc
	s_waitcnt lgkmcnt(0)
	flat_store_dwordx2 v[8:9], v[36:37] offset:512
.LBB419_248:
	s_or_b64 exec, exec, s[0:1]
	v_or_b32_e32 v8, 0x480, v0
	v_cmp_gt_u32_e64 s[0:1], s33, v8
	s_branch .LBB419_251
.LBB419_249:
	s_mov_b64 s[0:1], 0
                                        ; implicit-def: $vgpr38_vgpr39
	s_cbranch_execz .LBB419_251
; %bb.250:
	v_mul_u32_u24_e32 v1, 0x98, v0
	s_waitcnt lgkmcnt(0)
	; wave barrier
	s_waitcnt lgkmcnt(0)
	s_movk_i32 s2, 0x98
	ds_write2_b64 v1, v[78:79], v[4:5] offset1:1
	ds_write2_b64 v1, v[6:7], v[80:81] offset0:2 offset1:3
	ds_write2_b64 v1, v[10:11], v[82:83] offset0:4 offset1:5
	;; [unrolled: 1-line block ×8, first 2 shown]
	ds_write_b64 v1, v[2:3] offset:144
	v_mul_i32_i24_e32 v2, 0xffffff70, v0
	v_mad_u32_u24 v10, v0, s2, v2
	s_waitcnt lgkmcnt(0)
	; wave barrier
	s_waitcnt lgkmcnt(0)
	ds_read2st64_b64 v[2:5], v10 offset1:1
	ds_read2st64_b64 v[6:9], v10 offset0:2 offset1:3
	ds_read2st64_b64 v[14:17], v10 offset0:4 offset1:5
	;; [unrolled: 1-line block ×8, first 2 shown]
	ds_read_b64 v[38:39], v10 offset:9216
	v_add_co_u32_e32 v10, vcc, v12, v115
	v_addc_co_u32_e32 v11, vcc, 0, v13, vcc
	s_movk_i32 s2, 0x1000
	s_waitcnt lgkmcnt(0)
	flat_store_dwordx2 v[10:11], v[2:3]
	flat_store_dwordx2 v[10:11], v[4:5] offset:512
	flat_store_dwordx2 v[10:11], v[6:7] offset:1024
	;; [unrolled: 1-line block ×7, first 2 shown]
	v_add_co_u32_e32 v2, vcc, s2, v10
	v_addc_co_u32_e32 v3, vcc, 0, v11, vcc
	flat_store_dwordx2 v[2:3], v[22:23]
	flat_store_dwordx2 v[2:3], v[24:25] offset:512
	flat_store_dwordx2 v[2:3], v[26:27] offset:1024
	;; [unrolled: 1-line block ×7, first 2 shown]
	v_add_co_u32_e32 v2, vcc, 0x2000, v10
	v_mov_b32_e32 v1, 0
	v_addc_co_u32_e32 v3, vcc, 0, v11, vcc
	s_or_b64 s[0:1], s[0:1], exec
	flat_store_dwordx2 v[2:3], v[40:41]
	flat_store_dwordx2 v[2:3], v[42:43] offset:512
.LBB419_251:
	s_and_saveexec_b64 s[2:3], s[0:1]
	s_cbranch_execz .LBB419_253
; %bb.252:
	v_lshlrev_b64 v[0:1], 3, v[0:1]
	v_add_co_u32_e32 v0, vcc, v12, v0
	v_addc_co_u32_e32 v1, vcc, v13, v1, vcc
	v_add_co_u32_e32 v0, vcc, 0x2000, v0
	v_addc_co_u32_e32 v1, vcc, 0, v1, vcc
	s_waitcnt lgkmcnt(0)
	flat_store_dwordx2 v[0:1], v[38:39] offset:1024
	s_endpgm
.LBB419_253:
	s_endpgm
	.section	.rodata,"a",@progbits
	.p2align	6, 0x0
	.amdhsa_kernel _ZN7rocprim17ROCPRIM_400000_NS6detail17trampoline_kernelINS0_14default_configENS1_27scan_by_key_config_selectorIxxEEZZNS1_16scan_by_key_implILNS1_25lookback_scan_determinismE0ELb1ES3_N6thrust23THRUST_200600_302600_NS6detail15normal_iteratorINS9_10device_ptrIxEEEESE_SE_xNS9_10multipliesIxEENS9_8equal_toIxEExEE10hipError_tPvRmT2_T3_T4_T5_mT6_T7_P12ihipStream_tbENKUlT_T0_E_clISt17integral_constantIbLb0EESY_IbLb1EEEEDaSU_SV_EUlSU_E_NS1_11comp_targetILNS1_3genE4ELNS1_11target_archE910ELNS1_3gpuE8ELNS1_3repE0EEENS1_30default_config_static_selectorELNS0_4arch9wavefront6targetE1EEEvT1_
		.amdhsa_group_segment_fixed_size 10752
		.amdhsa_private_segment_fixed_size 0
		.amdhsa_kernarg_size 136
		.amdhsa_user_sgpr_count 6
		.amdhsa_user_sgpr_private_segment_buffer 1
		.amdhsa_user_sgpr_dispatch_ptr 0
		.amdhsa_user_sgpr_queue_ptr 0
		.amdhsa_user_sgpr_kernarg_segment_ptr 1
		.amdhsa_user_sgpr_dispatch_id 0
		.amdhsa_user_sgpr_flat_scratch_init 0
		.amdhsa_user_sgpr_kernarg_preload_length 0
		.amdhsa_user_sgpr_kernarg_preload_offset 0
		.amdhsa_user_sgpr_private_segment_size 0
		.amdhsa_uses_dynamic_stack 0
		.amdhsa_system_sgpr_private_segment_wavefront_offset 0
		.amdhsa_system_sgpr_workgroup_id_x 1
		.amdhsa_system_sgpr_workgroup_id_y 0
		.amdhsa_system_sgpr_workgroup_id_z 0
		.amdhsa_system_sgpr_workgroup_info 0
		.amdhsa_system_vgpr_workitem_id 0
		.amdhsa_next_free_vgpr 119
		.amdhsa_next_free_sgpr 72
		.amdhsa_accum_offset 120
		.amdhsa_reserve_vcc 1
		.amdhsa_reserve_flat_scratch 0
		.amdhsa_float_round_mode_32 0
		.amdhsa_float_round_mode_16_64 0
		.amdhsa_float_denorm_mode_32 3
		.amdhsa_float_denorm_mode_16_64 3
		.amdhsa_dx10_clamp 1
		.amdhsa_ieee_mode 1
		.amdhsa_fp16_overflow 0
		.amdhsa_tg_split 0
		.amdhsa_exception_fp_ieee_invalid_op 0
		.amdhsa_exception_fp_denorm_src 0
		.amdhsa_exception_fp_ieee_div_zero 0
		.amdhsa_exception_fp_ieee_overflow 0
		.amdhsa_exception_fp_ieee_underflow 0
		.amdhsa_exception_fp_ieee_inexact 0
		.amdhsa_exception_int_div_zero 0
	.end_amdhsa_kernel
	.section	.text._ZN7rocprim17ROCPRIM_400000_NS6detail17trampoline_kernelINS0_14default_configENS1_27scan_by_key_config_selectorIxxEEZZNS1_16scan_by_key_implILNS1_25lookback_scan_determinismE0ELb1ES3_N6thrust23THRUST_200600_302600_NS6detail15normal_iteratorINS9_10device_ptrIxEEEESE_SE_xNS9_10multipliesIxEENS9_8equal_toIxEExEE10hipError_tPvRmT2_T3_T4_T5_mT6_T7_P12ihipStream_tbENKUlT_T0_E_clISt17integral_constantIbLb0EESY_IbLb1EEEEDaSU_SV_EUlSU_E_NS1_11comp_targetILNS1_3genE4ELNS1_11target_archE910ELNS1_3gpuE8ELNS1_3repE0EEENS1_30default_config_static_selectorELNS0_4arch9wavefront6targetE1EEEvT1_,"axG",@progbits,_ZN7rocprim17ROCPRIM_400000_NS6detail17trampoline_kernelINS0_14default_configENS1_27scan_by_key_config_selectorIxxEEZZNS1_16scan_by_key_implILNS1_25lookback_scan_determinismE0ELb1ES3_N6thrust23THRUST_200600_302600_NS6detail15normal_iteratorINS9_10device_ptrIxEEEESE_SE_xNS9_10multipliesIxEENS9_8equal_toIxEExEE10hipError_tPvRmT2_T3_T4_T5_mT6_T7_P12ihipStream_tbENKUlT_T0_E_clISt17integral_constantIbLb0EESY_IbLb1EEEEDaSU_SV_EUlSU_E_NS1_11comp_targetILNS1_3genE4ELNS1_11target_archE910ELNS1_3gpuE8ELNS1_3repE0EEENS1_30default_config_static_selectorELNS0_4arch9wavefront6targetE1EEEvT1_,comdat
.Lfunc_end419:
	.size	_ZN7rocprim17ROCPRIM_400000_NS6detail17trampoline_kernelINS0_14default_configENS1_27scan_by_key_config_selectorIxxEEZZNS1_16scan_by_key_implILNS1_25lookback_scan_determinismE0ELb1ES3_N6thrust23THRUST_200600_302600_NS6detail15normal_iteratorINS9_10device_ptrIxEEEESE_SE_xNS9_10multipliesIxEENS9_8equal_toIxEExEE10hipError_tPvRmT2_T3_T4_T5_mT6_T7_P12ihipStream_tbENKUlT_T0_E_clISt17integral_constantIbLb0EESY_IbLb1EEEEDaSU_SV_EUlSU_E_NS1_11comp_targetILNS1_3genE4ELNS1_11target_archE910ELNS1_3gpuE8ELNS1_3repE0EEENS1_30default_config_static_selectorELNS0_4arch9wavefront6targetE1EEEvT1_, .Lfunc_end419-_ZN7rocprim17ROCPRIM_400000_NS6detail17trampoline_kernelINS0_14default_configENS1_27scan_by_key_config_selectorIxxEEZZNS1_16scan_by_key_implILNS1_25lookback_scan_determinismE0ELb1ES3_N6thrust23THRUST_200600_302600_NS6detail15normal_iteratorINS9_10device_ptrIxEEEESE_SE_xNS9_10multipliesIxEENS9_8equal_toIxEExEE10hipError_tPvRmT2_T3_T4_T5_mT6_T7_P12ihipStream_tbENKUlT_T0_E_clISt17integral_constantIbLb0EESY_IbLb1EEEEDaSU_SV_EUlSU_E_NS1_11comp_targetILNS1_3genE4ELNS1_11target_archE910ELNS1_3gpuE8ELNS1_3repE0EEENS1_30default_config_static_selectorELNS0_4arch9wavefront6targetE1EEEvT1_
                                        ; -- End function
	.section	.AMDGPU.csdata,"",@progbits
; Kernel info:
; codeLenInByte = 17960
; NumSgprs: 76
; NumVgprs: 119
; NumAgprs: 0
; TotalNumVgprs: 119
; ScratchSize: 0
; MemoryBound: 0
; FloatMode: 240
; IeeeMode: 1
; LDSByteSize: 10752 bytes/workgroup (compile time only)
; SGPRBlocks: 9
; VGPRBlocks: 14
; NumSGPRsForWavesPerEU: 76
; NumVGPRsForWavesPerEU: 119
; AccumOffset: 120
; Occupancy: 2
; WaveLimiterHint : 1
; COMPUTE_PGM_RSRC2:SCRATCH_EN: 0
; COMPUTE_PGM_RSRC2:USER_SGPR: 6
; COMPUTE_PGM_RSRC2:TRAP_HANDLER: 0
; COMPUTE_PGM_RSRC2:TGID_X_EN: 1
; COMPUTE_PGM_RSRC2:TGID_Y_EN: 0
; COMPUTE_PGM_RSRC2:TGID_Z_EN: 0
; COMPUTE_PGM_RSRC2:TIDIG_COMP_CNT: 0
; COMPUTE_PGM_RSRC3_GFX90A:ACCUM_OFFSET: 29
; COMPUTE_PGM_RSRC3_GFX90A:TG_SPLIT: 0
	.section	.text._ZN7rocprim17ROCPRIM_400000_NS6detail17trampoline_kernelINS0_14default_configENS1_27scan_by_key_config_selectorIxxEEZZNS1_16scan_by_key_implILNS1_25lookback_scan_determinismE0ELb1ES3_N6thrust23THRUST_200600_302600_NS6detail15normal_iteratorINS9_10device_ptrIxEEEESE_SE_xNS9_10multipliesIxEENS9_8equal_toIxEExEE10hipError_tPvRmT2_T3_T4_T5_mT6_T7_P12ihipStream_tbENKUlT_T0_E_clISt17integral_constantIbLb0EESY_IbLb1EEEEDaSU_SV_EUlSU_E_NS1_11comp_targetILNS1_3genE3ELNS1_11target_archE908ELNS1_3gpuE7ELNS1_3repE0EEENS1_30default_config_static_selectorELNS0_4arch9wavefront6targetE1EEEvT1_,"axG",@progbits,_ZN7rocprim17ROCPRIM_400000_NS6detail17trampoline_kernelINS0_14default_configENS1_27scan_by_key_config_selectorIxxEEZZNS1_16scan_by_key_implILNS1_25lookback_scan_determinismE0ELb1ES3_N6thrust23THRUST_200600_302600_NS6detail15normal_iteratorINS9_10device_ptrIxEEEESE_SE_xNS9_10multipliesIxEENS9_8equal_toIxEExEE10hipError_tPvRmT2_T3_T4_T5_mT6_T7_P12ihipStream_tbENKUlT_T0_E_clISt17integral_constantIbLb0EESY_IbLb1EEEEDaSU_SV_EUlSU_E_NS1_11comp_targetILNS1_3genE3ELNS1_11target_archE908ELNS1_3gpuE7ELNS1_3repE0EEENS1_30default_config_static_selectorELNS0_4arch9wavefront6targetE1EEEvT1_,comdat
	.protected	_ZN7rocprim17ROCPRIM_400000_NS6detail17trampoline_kernelINS0_14default_configENS1_27scan_by_key_config_selectorIxxEEZZNS1_16scan_by_key_implILNS1_25lookback_scan_determinismE0ELb1ES3_N6thrust23THRUST_200600_302600_NS6detail15normal_iteratorINS9_10device_ptrIxEEEESE_SE_xNS9_10multipliesIxEENS9_8equal_toIxEExEE10hipError_tPvRmT2_T3_T4_T5_mT6_T7_P12ihipStream_tbENKUlT_T0_E_clISt17integral_constantIbLb0EESY_IbLb1EEEEDaSU_SV_EUlSU_E_NS1_11comp_targetILNS1_3genE3ELNS1_11target_archE908ELNS1_3gpuE7ELNS1_3repE0EEENS1_30default_config_static_selectorELNS0_4arch9wavefront6targetE1EEEvT1_ ; -- Begin function _ZN7rocprim17ROCPRIM_400000_NS6detail17trampoline_kernelINS0_14default_configENS1_27scan_by_key_config_selectorIxxEEZZNS1_16scan_by_key_implILNS1_25lookback_scan_determinismE0ELb1ES3_N6thrust23THRUST_200600_302600_NS6detail15normal_iteratorINS9_10device_ptrIxEEEESE_SE_xNS9_10multipliesIxEENS9_8equal_toIxEExEE10hipError_tPvRmT2_T3_T4_T5_mT6_T7_P12ihipStream_tbENKUlT_T0_E_clISt17integral_constantIbLb0EESY_IbLb1EEEEDaSU_SV_EUlSU_E_NS1_11comp_targetILNS1_3genE3ELNS1_11target_archE908ELNS1_3gpuE7ELNS1_3repE0EEENS1_30default_config_static_selectorELNS0_4arch9wavefront6targetE1EEEvT1_
	.globl	_ZN7rocprim17ROCPRIM_400000_NS6detail17trampoline_kernelINS0_14default_configENS1_27scan_by_key_config_selectorIxxEEZZNS1_16scan_by_key_implILNS1_25lookback_scan_determinismE0ELb1ES3_N6thrust23THRUST_200600_302600_NS6detail15normal_iteratorINS9_10device_ptrIxEEEESE_SE_xNS9_10multipliesIxEENS9_8equal_toIxEExEE10hipError_tPvRmT2_T3_T4_T5_mT6_T7_P12ihipStream_tbENKUlT_T0_E_clISt17integral_constantIbLb0EESY_IbLb1EEEEDaSU_SV_EUlSU_E_NS1_11comp_targetILNS1_3genE3ELNS1_11target_archE908ELNS1_3gpuE7ELNS1_3repE0EEENS1_30default_config_static_selectorELNS0_4arch9wavefront6targetE1EEEvT1_
	.p2align	8
	.type	_ZN7rocprim17ROCPRIM_400000_NS6detail17trampoline_kernelINS0_14default_configENS1_27scan_by_key_config_selectorIxxEEZZNS1_16scan_by_key_implILNS1_25lookback_scan_determinismE0ELb1ES3_N6thrust23THRUST_200600_302600_NS6detail15normal_iteratorINS9_10device_ptrIxEEEESE_SE_xNS9_10multipliesIxEENS9_8equal_toIxEExEE10hipError_tPvRmT2_T3_T4_T5_mT6_T7_P12ihipStream_tbENKUlT_T0_E_clISt17integral_constantIbLb0EESY_IbLb1EEEEDaSU_SV_EUlSU_E_NS1_11comp_targetILNS1_3genE3ELNS1_11target_archE908ELNS1_3gpuE7ELNS1_3repE0EEENS1_30default_config_static_selectorELNS0_4arch9wavefront6targetE1EEEvT1_,@function
_ZN7rocprim17ROCPRIM_400000_NS6detail17trampoline_kernelINS0_14default_configENS1_27scan_by_key_config_selectorIxxEEZZNS1_16scan_by_key_implILNS1_25lookback_scan_determinismE0ELb1ES3_N6thrust23THRUST_200600_302600_NS6detail15normal_iteratorINS9_10device_ptrIxEEEESE_SE_xNS9_10multipliesIxEENS9_8equal_toIxEExEE10hipError_tPvRmT2_T3_T4_T5_mT6_T7_P12ihipStream_tbENKUlT_T0_E_clISt17integral_constantIbLb0EESY_IbLb1EEEEDaSU_SV_EUlSU_E_NS1_11comp_targetILNS1_3genE3ELNS1_11target_archE908ELNS1_3gpuE7ELNS1_3repE0EEENS1_30default_config_static_selectorELNS0_4arch9wavefront6targetE1EEEvT1_: ; @_ZN7rocprim17ROCPRIM_400000_NS6detail17trampoline_kernelINS0_14default_configENS1_27scan_by_key_config_selectorIxxEEZZNS1_16scan_by_key_implILNS1_25lookback_scan_determinismE0ELb1ES3_N6thrust23THRUST_200600_302600_NS6detail15normal_iteratorINS9_10device_ptrIxEEEESE_SE_xNS9_10multipliesIxEENS9_8equal_toIxEExEE10hipError_tPvRmT2_T3_T4_T5_mT6_T7_P12ihipStream_tbENKUlT_T0_E_clISt17integral_constantIbLb0EESY_IbLb1EEEEDaSU_SV_EUlSU_E_NS1_11comp_targetILNS1_3genE3ELNS1_11target_archE908ELNS1_3gpuE7ELNS1_3repE0EEENS1_30default_config_static_selectorELNS0_4arch9wavefront6targetE1EEEvT1_
; %bb.0:
	.section	.rodata,"a",@progbits
	.p2align	6, 0x0
	.amdhsa_kernel _ZN7rocprim17ROCPRIM_400000_NS6detail17trampoline_kernelINS0_14default_configENS1_27scan_by_key_config_selectorIxxEEZZNS1_16scan_by_key_implILNS1_25lookback_scan_determinismE0ELb1ES3_N6thrust23THRUST_200600_302600_NS6detail15normal_iteratorINS9_10device_ptrIxEEEESE_SE_xNS9_10multipliesIxEENS9_8equal_toIxEExEE10hipError_tPvRmT2_T3_T4_T5_mT6_T7_P12ihipStream_tbENKUlT_T0_E_clISt17integral_constantIbLb0EESY_IbLb1EEEEDaSU_SV_EUlSU_E_NS1_11comp_targetILNS1_3genE3ELNS1_11target_archE908ELNS1_3gpuE7ELNS1_3repE0EEENS1_30default_config_static_selectorELNS0_4arch9wavefront6targetE1EEEvT1_
		.amdhsa_group_segment_fixed_size 0
		.amdhsa_private_segment_fixed_size 0
		.amdhsa_kernarg_size 136
		.amdhsa_user_sgpr_count 6
		.amdhsa_user_sgpr_private_segment_buffer 1
		.amdhsa_user_sgpr_dispatch_ptr 0
		.amdhsa_user_sgpr_queue_ptr 0
		.amdhsa_user_sgpr_kernarg_segment_ptr 1
		.amdhsa_user_sgpr_dispatch_id 0
		.amdhsa_user_sgpr_flat_scratch_init 0
		.amdhsa_user_sgpr_kernarg_preload_length 0
		.amdhsa_user_sgpr_kernarg_preload_offset 0
		.amdhsa_user_sgpr_private_segment_size 0
		.amdhsa_uses_dynamic_stack 0
		.amdhsa_system_sgpr_private_segment_wavefront_offset 0
		.amdhsa_system_sgpr_workgroup_id_x 1
		.amdhsa_system_sgpr_workgroup_id_y 0
		.amdhsa_system_sgpr_workgroup_id_z 0
		.amdhsa_system_sgpr_workgroup_info 0
		.amdhsa_system_vgpr_workitem_id 0
		.amdhsa_next_free_vgpr 1
		.amdhsa_next_free_sgpr 0
		.amdhsa_accum_offset 4
		.amdhsa_reserve_vcc 0
		.amdhsa_reserve_flat_scratch 0
		.amdhsa_float_round_mode_32 0
		.amdhsa_float_round_mode_16_64 0
		.amdhsa_float_denorm_mode_32 3
		.amdhsa_float_denorm_mode_16_64 3
		.amdhsa_dx10_clamp 1
		.amdhsa_ieee_mode 1
		.amdhsa_fp16_overflow 0
		.amdhsa_tg_split 0
		.amdhsa_exception_fp_ieee_invalid_op 0
		.amdhsa_exception_fp_denorm_src 0
		.amdhsa_exception_fp_ieee_div_zero 0
		.amdhsa_exception_fp_ieee_overflow 0
		.amdhsa_exception_fp_ieee_underflow 0
		.amdhsa_exception_fp_ieee_inexact 0
		.amdhsa_exception_int_div_zero 0
	.end_amdhsa_kernel
	.section	.text._ZN7rocprim17ROCPRIM_400000_NS6detail17trampoline_kernelINS0_14default_configENS1_27scan_by_key_config_selectorIxxEEZZNS1_16scan_by_key_implILNS1_25lookback_scan_determinismE0ELb1ES3_N6thrust23THRUST_200600_302600_NS6detail15normal_iteratorINS9_10device_ptrIxEEEESE_SE_xNS9_10multipliesIxEENS9_8equal_toIxEExEE10hipError_tPvRmT2_T3_T4_T5_mT6_T7_P12ihipStream_tbENKUlT_T0_E_clISt17integral_constantIbLb0EESY_IbLb1EEEEDaSU_SV_EUlSU_E_NS1_11comp_targetILNS1_3genE3ELNS1_11target_archE908ELNS1_3gpuE7ELNS1_3repE0EEENS1_30default_config_static_selectorELNS0_4arch9wavefront6targetE1EEEvT1_,"axG",@progbits,_ZN7rocprim17ROCPRIM_400000_NS6detail17trampoline_kernelINS0_14default_configENS1_27scan_by_key_config_selectorIxxEEZZNS1_16scan_by_key_implILNS1_25lookback_scan_determinismE0ELb1ES3_N6thrust23THRUST_200600_302600_NS6detail15normal_iteratorINS9_10device_ptrIxEEEESE_SE_xNS9_10multipliesIxEENS9_8equal_toIxEExEE10hipError_tPvRmT2_T3_T4_T5_mT6_T7_P12ihipStream_tbENKUlT_T0_E_clISt17integral_constantIbLb0EESY_IbLb1EEEEDaSU_SV_EUlSU_E_NS1_11comp_targetILNS1_3genE3ELNS1_11target_archE908ELNS1_3gpuE7ELNS1_3repE0EEENS1_30default_config_static_selectorELNS0_4arch9wavefront6targetE1EEEvT1_,comdat
.Lfunc_end420:
	.size	_ZN7rocprim17ROCPRIM_400000_NS6detail17trampoline_kernelINS0_14default_configENS1_27scan_by_key_config_selectorIxxEEZZNS1_16scan_by_key_implILNS1_25lookback_scan_determinismE0ELb1ES3_N6thrust23THRUST_200600_302600_NS6detail15normal_iteratorINS9_10device_ptrIxEEEESE_SE_xNS9_10multipliesIxEENS9_8equal_toIxEExEE10hipError_tPvRmT2_T3_T4_T5_mT6_T7_P12ihipStream_tbENKUlT_T0_E_clISt17integral_constantIbLb0EESY_IbLb1EEEEDaSU_SV_EUlSU_E_NS1_11comp_targetILNS1_3genE3ELNS1_11target_archE908ELNS1_3gpuE7ELNS1_3repE0EEENS1_30default_config_static_selectorELNS0_4arch9wavefront6targetE1EEEvT1_, .Lfunc_end420-_ZN7rocprim17ROCPRIM_400000_NS6detail17trampoline_kernelINS0_14default_configENS1_27scan_by_key_config_selectorIxxEEZZNS1_16scan_by_key_implILNS1_25lookback_scan_determinismE0ELb1ES3_N6thrust23THRUST_200600_302600_NS6detail15normal_iteratorINS9_10device_ptrIxEEEESE_SE_xNS9_10multipliesIxEENS9_8equal_toIxEExEE10hipError_tPvRmT2_T3_T4_T5_mT6_T7_P12ihipStream_tbENKUlT_T0_E_clISt17integral_constantIbLb0EESY_IbLb1EEEEDaSU_SV_EUlSU_E_NS1_11comp_targetILNS1_3genE3ELNS1_11target_archE908ELNS1_3gpuE7ELNS1_3repE0EEENS1_30default_config_static_selectorELNS0_4arch9wavefront6targetE1EEEvT1_
                                        ; -- End function
	.section	.AMDGPU.csdata,"",@progbits
; Kernel info:
; codeLenInByte = 0
; NumSgprs: 4
; NumVgprs: 0
; NumAgprs: 0
; TotalNumVgprs: 0
; ScratchSize: 0
; MemoryBound: 0
; FloatMode: 240
; IeeeMode: 1
; LDSByteSize: 0 bytes/workgroup (compile time only)
; SGPRBlocks: 0
; VGPRBlocks: 0
; NumSGPRsForWavesPerEU: 4
; NumVGPRsForWavesPerEU: 1
; AccumOffset: 4
; Occupancy: 8
; WaveLimiterHint : 0
; COMPUTE_PGM_RSRC2:SCRATCH_EN: 0
; COMPUTE_PGM_RSRC2:USER_SGPR: 6
; COMPUTE_PGM_RSRC2:TRAP_HANDLER: 0
; COMPUTE_PGM_RSRC2:TGID_X_EN: 1
; COMPUTE_PGM_RSRC2:TGID_Y_EN: 0
; COMPUTE_PGM_RSRC2:TGID_Z_EN: 0
; COMPUTE_PGM_RSRC2:TIDIG_COMP_CNT: 0
; COMPUTE_PGM_RSRC3_GFX90A:ACCUM_OFFSET: 0
; COMPUTE_PGM_RSRC3_GFX90A:TG_SPLIT: 0
	.section	.text._ZN7rocprim17ROCPRIM_400000_NS6detail17trampoline_kernelINS0_14default_configENS1_27scan_by_key_config_selectorIxxEEZZNS1_16scan_by_key_implILNS1_25lookback_scan_determinismE0ELb1ES3_N6thrust23THRUST_200600_302600_NS6detail15normal_iteratorINS9_10device_ptrIxEEEESE_SE_xNS9_10multipliesIxEENS9_8equal_toIxEExEE10hipError_tPvRmT2_T3_T4_T5_mT6_T7_P12ihipStream_tbENKUlT_T0_E_clISt17integral_constantIbLb0EESY_IbLb1EEEEDaSU_SV_EUlSU_E_NS1_11comp_targetILNS1_3genE2ELNS1_11target_archE906ELNS1_3gpuE6ELNS1_3repE0EEENS1_30default_config_static_selectorELNS0_4arch9wavefront6targetE1EEEvT1_,"axG",@progbits,_ZN7rocprim17ROCPRIM_400000_NS6detail17trampoline_kernelINS0_14default_configENS1_27scan_by_key_config_selectorIxxEEZZNS1_16scan_by_key_implILNS1_25lookback_scan_determinismE0ELb1ES3_N6thrust23THRUST_200600_302600_NS6detail15normal_iteratorINS9_10device_ptrIxEEEESE_SE_xNS9_10multipliesIxEENS9_8equal_toIxEExEE10hipError_tPvRmT2_T3_T4_T5_mT6_T7_P12ihipStream_tbENKUlT_T0_E_clISt17integral_constantIbLb0EESY_IbLb1EEEEDaSU_SV_EUlSU_E_NS1_11comp_targetILNS1_3genE2ELNS1_11target_archE906ELNS1_3gpuE6ELNS1_3repE0EEENS1_30default_config_static_selectorELNS0_4arch9wavefront6targetE1EEEvT1_,comdat
	.protected	_ZN7rocprim17ROCPRIM_400000_NS6detail17trampoline_kernelINS0_14default_configENS1_27scan_by_key_config_selectorIxxEEZZNS1_16scan_by_key_implILNS1_25lookback_scan_determinismE0ELb1ES3_N6thrust23THRUST_200600_302600_NS6detail15normal_iteratorINS9_10device_ptrIxEEEESE_SE_xNS9_10multipliesIxEENS9_8equal_toIxEExEE10hipError_tPvRmT2_T3_T4_T5_mT6_T7_P12ihipStream_tbENKUlT_T0_E_clISt17integral_constantIbLb0EESY_IbLb1EEEEDaSU_SV_EUlSU_E_NS1_11comp_targetILNS1_3genE2ELNS1_11target_archE906ELNS1_3gpuE6ELNS1_3repE0EEENS1_30default_config_static_selectorELNS0_4arch9wavefront6targetE1EEEvT1_ ; -- Begin function _ZN7rocprim17ROCPRIM_400000_NS6detail17trampoline_kernelINS0_14default_configENS1_27scan_by_key_config_selectorIxxEEZZNS1_16scan_by_key_implILNS1_25lookback_scan_determinismE0ELb1ES3_N6thrust23THRUST_200600_302600_NS6detail15normal_iteratorINS9_10device_ptrIxEEEESE_SE_xNS9_10multipliesIxEENS9_8equal_toIxEExEE10hipError_tPvRmT2_T3_T4_T5_mT6_T7_P12ihipStream_tbENKUlT_T0_E_clISt17integral_constantIbLb0EESY_IbLb1EEEEDaSU_SV_EUlSU_E_NS1_11comp_targetILNS1_3genE2ELNS1_11target_archE906ELNS1_3gpuE6ELNS1_3repE0EEENS1_30default_config_static_selectorELNS0_4arch9wavefront6targetE1EEEvT1_
	.globl	_ZN7rocprim17ROCPRIM_400000_NS6detail17trampoline_kernelINS0_14default_configENS1_27scan_by_key_config_selectorIxxEEZZNS1_16scan_by_key_implILNS1_25lookback_scan_determinismE0ELb1ES3_N6thrust23THRUST_200600_302600_NS6detail15normal_iteratorINS9_10device_ptrIxEEEESE_SE_xNS9_10multipliesIxEENS9_8equal_toIxEExEE10hipError_tPvRmT2_T3_T4_T5_mT6_T7_P12ihipStream_tbENKUlT_T0_E_clISt17integral_constantIbLb0EESY_IbLb1EEEEDaSU_SV_EUlSU_E_NS1_11comp_targetILNS1_3genE2ELNS1_11target_archE906ELNS1_3gpuE6ELNS1_3repE0EEENS1_30default_config_static_selectorELNS0_4arch9wavefront6targetE1EEEvT1_
	.p2align	8
	.type	_ZN7rocprim17ROCPRIM_400000_NS6detail17trampoline_kernelINS0_14default_configENS1_27scan_by_key_config_selectorIxxEEZZNS1_16scan_by_key_implILNS1_25lookback_scan_determinismE0ELb1ES3_N6thrust23THRUST_200600_302600_NS6detail15normal_iteratorINS9_10device_ptrIxEEEESE_SE_xNS9_10multipliesIxEENS9_8equal_toIxEExEE10hipError_tPvRmT2_T3_T4_T5_mT6_T7_P12ihipStream_tbENKUlT_T0_E_clISt17integral_constantIbLb0EESY_IbLb1EEEEDaSU_SV_EUlSU_E_NS1_11comp_targetILNS1_3genE2ELNS1_11target_archE906ELNS1_3gpuE6ELNS1_3repE0EEENS1_30default_config_static_selectorELNS0_4arch9wavefront6targetE1EEEvT1_,@function
_ZN7rocprim17ROCPRIM_400000_NS6detail17trampoline_kernelINS0_14default_configENS1_27scan_by_key_config_selectorIxxEEZZNS1_16scan_by_key_implILNS1_25lookback_scan_determinismE0ELb1ES3_N6thrust23THRUST_200600_302600_NS6detail15normal_iteratorINS9_10device_ptrIxEEEESE_SE_xNS9_10multipliesIxEENS9_8equal_toIxEExEE10hipError_tPvRmT2_T3_T4_T5_mT6_T7_P12ihipStream_tbENKUlT_T0_E_clISt17integral_constantIbLb0EESY_IbLb1EEEEDaSU_SV_EUlSU_E_NS1_11comp_targetILNS1_3genE2ELNS1_11target_archE906ELNS1_3gpuE6ELNS1_3repE0EEENS1_30default_config_static_selectorELNS0_4arch9wavefront6targetE1EEEvT1_: ; @_ZN7rocprim17ROCPRIM_400000_NS6detail17trampoline_kernelINS0_14default_configENS1_27scan_by_key_config_selectorIxxEEZZNS1_16scan_by_key_implILNS1_25lookback_scan_determinismE0ELb1ES3_N6thrust23THRUST_200600_302600_NS6detail15normal_iteratorINS9_10device_ptrIxEEEESE_SE_xNS9_10multipliesIxEENS9_8equal_toIxEExEE10hipError_tPvRmT2_T3_T4_T5_mT6_T7_P12ihipStream_tbENKUlT_T0_E_clISt17integral_constantIbLb0EESY_IbLb1EEEEDaSU_SV_EUlSU_E_NS1_11comp_targetILNS1_3genE2ELNS1_11target_archE906ELNS1_3gpuE6ELNS1_3repE0EEENS1_30default_config_static_selectorELNS0_4arch9wavefront6targetE1EEEvT1_
; %bb.0:
	.section	.rodata,"a",@progbits
	.p2align	6, 0x0
	.amdhsa_kernel _ZN7rocprim17ROCPRIM_400000_NS6detail17trampoline_kernelINS0_14default_configENS1_27scan_by_key_config_selectorIxxEEZZNS1_16scan_by_key_implILNS1_25lookback_scan_determinismE0ELb1ES3_N6thrust23THRUST_200600_302600_NS6detail15normal_iteratorINS9_10device_ptrIxEEEESE_SE_xNS9_10multipliesIxEENS9_8equal_toIxEExEE10hipError_tPvRmT2_T3_T4_T5_mT6_T7_P12ihipStream_tbENKUlT_T0_E_clISt17integral_constantIbLb0EESY_IbLb1EEEEDaSU_SV_EUlSU_E_NS1_11comp_targetILNS1_3genE2ELNS1_11target_archE906ELNS1_3gpuE6ELNS1_3repE0EEENS1_30default_config_static_selectorELNS0_4arch9wavefront6targetE1EEEvT1_
		.amdhsa_group_segment_fixed_size 0
		.amdhsa_private_segment_fixed_size 0
		.amdhsa_kernarg_size 136
		.amdhsa_user_sgpr_count 6
		.amdhsa_user_sgpr_private_segment_buffer 1
		.amdhsa_user_sgpr_dispatch_ptr 0
		.amdhsa_user_sgpr_queue_ptr 0
		.amdhsa_user_sgpr_kernarg_segment_ptr 1
		.amdhsa_user_sgpr_dispatch_id 0
		.amdhsa_user_sgpr_flat_scratch_init 0
		.amdhsa_user_sgpr_kernarg_preload_length 0
		.amdhsa_user_sgpr_kernarg_preload_offset 0
		.amdhsa_user_sgpr_private_segment_size 0
		.amdhsa_uses_dynamic_stack 0
		.amdhsa_system_sgpr_private_segment_wavefront_offset 0
		.amdhsa_system_sgpr_workgroup_id_x 1
		.amdhsa_system_sgpr_workgroup_id_y 0
		.amdhsa_system_sgpr_workgroup_id_z 0
		.amdhsa_system_sgpr_workgroup_info 0
		.amdhsa_system_vgpr_workitem_id 0
		.amdhsa_next_free_vgpr 1
		.amdhsa_next_free_sgpr 0
		.amdhsa_accum_offset 4
		.amdhsa_reserve_vcc 0
		.amdhsa_reserve_flat_scratch 0
		.amdhsa_float_round_mode_32 0
		.amdhsa_float_round_mode_16_64 0
		.amdhsa_float_denorm_mode_32 3
		.amdhsa_float_denorm_mode_16_64 3
		.amdhsa_dx10_clamp 1
		.amdhsa_ieee_mode 1
		.amdhsa_fp16_overflow 0
		.amdhsa_tg_split 0
		.amdhsa_exception_fp_ieee_invalid_op 0
		.amdhsa_exception_fp_denorm_src 0
		.amdhsa_exception_fp_ieee_div_zero 0
		.amdhsa_exception_fp_ieee_overflow 0
		.amdhsa_exception_fp_ieee_underflow 0
		.amdhsa_exception_fp_ieee_inexact 0
		.amdhsa_exception_int_div_zero 0
	.end_amdhsa_kernel
	.section	.text._ZN7rocprim17ROCPRIM_400000_NS6detail17trampoline_kernelINS0_14default_configENS1_27scan_by_key_config_selectorIxxEEZZNS1_16scan_by_key_implILNS1_25lookback_scan_determinismE0ELb1ES3_N6thrust23THRUST_200600_302600_NS6detail15normal_iteratorINS9_10device_ptrIxEEEESE_SE_xNS9_10multipliesIxEENS9_8equal_toIxEExEE10hipError_tPvRmT2_T3_T4_T5_mT6_T7_P12ihipStream_tbENKUlT_T0_E_clISt17integral_constantIbLb0EESY_IbLb1EEEEDaSU_SV_EUlSU_E_NS1_11comp_targetILNS1_3genE2ELNS1_11target_archE906ELNS1_3gpuE6ELNS1_3repE0EEENS1_30default_config_static_selectorELNS0_4arch9wavefront6targetE1EEEvT1_,"axG",@progbits,_ZN7rocprim17ROCPRIM_400000_NS6detail17trampoline_kernelINS0_14default_configENS1_27scan_by_key_config_selectorIxxEEZZNS1_16scan_by_key_implILNS1_25lookback_scan_determinismE0ELb1ES3_N6thrust23THRUST_200600_302600_NS6detail15normal_iteratorINS9_10device_ptrIxEEEESE_SE_xNS9_10multipliesIxEENS9_8equal_toIxEExEE10hipError_tPvRmT2_T3_T4_T5_mT6_T7_P12ihipStream_tbENKUlT_T0_E_clISt17integral_constantIbLb0EESY_IbLb1EEEEDaSU_SV_EUlSU_E_NS1_11comp_targetILNS1_3genE2ELNS1_11target_archE906ELNS1_3gpuE6ELNS1_3repE0EEENS1_30default_config_static_selectorELNS0_4arch9wavefront6targetE1EEEvT1_,comdat
.Lfunc_end421:
	.size	_ZN7rocprim17ROCPRIM_400000_NS6detail17trampoline_kernelINS0_14default_configENS1_27scan_by_key_config_selectorIxxEEZZNS1_16scan_by_key_implILNS1_25lookback_scan_determinismE0ELb1ES3_N6thrust23THRUST_200600_302600_NS6detail15normal_iteratorINS9_10device_ptrIxEEEESE_SE_xNS9_10multipliesIxEENS9_8equal_toIxEExEE10hipError_tPvRmT2_T3_T4_T5_mT6_T7_P12ihipStream_tbENKUlT_T0_E_clISt17integral_constantIbLb0EESY_IbLb1EEEEDaSU_SV_EUlSU_E_NS1_11comp_targetILNS1_3genE2ELNS1_11target_archE906ELNS1_3gpuE6ELNS1_3repE0EEENS1_30default_config_static_selectorELNS0_4arch9wavefront6targetE1EEEvT1_, .Lfunc_end421-_ZN7rocprim17ROCPRIM_400000_NS6detail17trampoline_kernelINS0_14default_configENS1_27scan_by_key_config_selectorIxxEEZZNS1_16scan_by_key_implILNS1_25lookback_scan_determinismE0ELb1ES3_N6thrust23THRUST_200600_302600_NS6detail15normal_iteratorINS9_10device_ptrIxEEEESE_SE_xNS9_10multipliesIxEENS9_8equal_toIxEExEE10hipError_tPvRmT2_T3_T4_T5_mT6_T7_P12ihipStream_tbENKUlT_T0_E_clISt17integral_constantIbLb0EESY_IbLb1EEEEDaSU_SV_EUlSU_E_NS1_11comp_targetILNS1_3genE2ELNS1_11target_archE906ELNS1_3gpuE6ELNS1_3repE0EEENS1_30default_config_static_selectorELNS0_4arch9wavefront6targetE1EEEvT1_
                                        ; -- End function
	.section	.AMDGPU.csdata,"",@progbits
; Kernel info:
; codeLenInByte = 0
; NumSgprs: 4
; NumVgprs: 0
; NumAgprs: 0
; TotalNumVgprs: 0
; ScratchSize: 0
; MemoryBound: 0
; FloatMode: 240
; IeeeMode: 1
; LDSByteSize: 0 bytes/workgroup (compile time only)
; SGPRBlocks: 0
; VGPRBlocks: 0
; NumSGPRsForWavesPerEU: 4
; NumVGPRsForWavesPerEU: 1
; AccumOffset: 4
; Occupancy: 8
; WaveLimiterHint : 0
; COMPUTE_PGM_RSRC2:SCRATCH_EN: 0
; COMPUTE_PGM_RSRC2:USER_SGPR: 6
; COMPUTE_PGM_RSRC2:TRAP_HANDLER: 0
; COMPUTE_PGM_RSRC2:TGID_X_EN: 1
; COMPUTE_PGM_RSRC2:TGID_Y_EN: 0
; COMPUTE_PGM_RSRC2:TGID_Z_EN: 0
; COMPUTE_PGM_RSRC2:TIDIG_COMP_CNT: 0
; COMPUTE_PGM_RSRC3_GFX90A:ACCUM_OFFSET: 0
; COMPUTE_PGM_RSRC3_GFX90A:TG_SPLIT: 0
	.section	.text._ZN7rocprim17ROCPRIM_400000_NS6detail17trampoline_kernelINS0_14default_configENS1_27scan_by_key_config_selectorIxxEEZZNS1_16scan_by_key_implILNS1_25lookback_scan_determinismE0ELb1ES3_N6thrust23THRUST_200600_302600_NS6detail15normal_iteratorINS9_10device_ptrIxEEEESE_SE_xNS9_10multipliesIxEENS9_8equal_toIxEExEE10hipError_tPvRmT2_T3_T4_T5_mT6_T7_P12ihipStream_tbENKUlT_T0_E_clISt17integral_constantIbLb0EESY_IbLb1EEEEDaSU_SV_EUlSU_E_NS1_11comp_targetILNS1_3genE10ELNS1_11target_archE1200ELNS1_3gpuE4ELNS1_3repE0EEENS1_30default_config_static_selectorELNS0_4arch9wavefront6targetE1EEEvT1_,"axG",@progbits,_ZN7rocprim17ROCPRIM_400000_NS6detail17trampoline_kernelINS0_14default_configENS1_27scan_by_key_config_selectorIxxEEZZNS1_16scan_by_key_implILNS1_25lookback_scan_determinismE0ELb1ES3_N6thrust23THRUST_200600_302600_NS6detail15normal_iteratorINS9_10device_ptrIxEEEESE_SE_xNS9_10multipliesIxEENS9_8equal_toIxEExEE10hipError_tPvRmT2_T3_T4_T5_mT6_T7_P12ihipStream_tbENKUlT_T0_E_clISt17integral_constantIbLb0EESY_IbLb1EEEEDaSU_SV_EUlSU_E_NS1_11comp_targetILNS1_3genE10ELNS1_11target_archE1200ELNS1_3gpuE4ELNS1_3repE0EEENS1_30default_config_static_selectorELNS0_4arch9wavefront6targetE1EEEvT1_,comdat
	.protected	_ZN7rocprim17ROCPRIM_400000_NS6detail17trampoline_kernelINS0_14default_configENS1_27scan_by_key_config_selectorIxxEEZZNS1_16scan_by_key_implILNS1_25lookback_scan_determinismE0ELb1ES3_N6thrust23THRUST_200600_302600_NS6detail15normal_iteratorINS9_10device_ptrIxEEEESE_SE_xNS9_10multipliesIxEENS9_8equal_toIxEExEE10hipError_tPvRmT2_T3_T4_T5_mT6_T7_P12ihipStream_tbENKUlT_T0_E_clISt17integral_constantIbLb0EESY_IbLb1EEEEDaSU_SV_EUlSU_E_NS1_11comp_targetILNS1_3genE10ELNS1_11target_archE1200ELNS1_3gpuE4ELNS1_3repE0EEENS1_30default_config_static_selectorELNS0_4arch9wavefront6targetE1EEEvT1_ ; -- Begin function _ZN7rocprim17ROCPRIM_400000_NS6detail17trampoline_kernelINS0_14default_configENS1_27scan_by_key_config_selectorIxxEEZZNS1_16scan_by_key_implILNS1_25lookback_scan_determinismE0ELb1ES3_N6thrust23THRUST_200600_302600_NS6detail15normal_iteratorINS9_10device_ptrIxEEEESE_SE_xNS9_10multipliesIxEENS9_8equal_toIxEExEE10hipError_tPvRmT2_T3_T4_T5_mT6_T7_P12ihipStream_tbENKUlT_T0_E_clISt17integral_constantIbLb0EESY_IbLb1EEEEDaSU_SV_EUlSU_E_NS1_11comp_targetILNS1_3genE10ELNS1_11target_archE1200ELNS1_3gpuE4ELNS1_3repE0EEENS1_30default_config_static_selectorELNS0_4arch9wavefront6targetE1EEEvT1_
	.globl	_ZN7rocprim17ROCPRIM_400000_NS6detail17trampoline_kernelINS0_14default_configENS1_27scan_by_key_config_selectorIxxEEZZNS1_16scan_by_key_implILNS1_25lookback_scan_determinismE0ELb1ES3_N6thrust23THRUST_200600_302600_NS6detail15normal_iteratorINS9_10device_ptrIxEEEESE_SE_xNS9_10multipliesIxEENS9_8equal_toIxEExEE10hipError_tPvRmT2_T3_T4_T5_mT6_T7_P12ihipStream_tbENKUlT_T0_E_clISt17integral_constantIbLb0EESY_IbLb1EEEEDaSU_SV_EUlSU_E_NS1_11comp_targetILNS1_3genE10ELNS1_11target_archE1200ELNS1_3gpuE4ELNS1_3repE0EEENS1_30default_config_static_selectorELNS0_4arch9wavefront6targetE1EEEvT1_
	.p2align	8
	.type	_ZN7rocprim17ROCPRIM_400000_NS6detail17trampoline_kernelINS0_14default_configENS1_27scan_by_key_config_selectorIxxEEZZNS1_16scan_by_key_implILNS1_25lookback_scan_determinismE0ELb1ES3_N6thrust23THRUST_200600_302600_NS6detail15normal_iteratorINS9_10device_ptrIxEEEESE_SE_xNS9_10multipliesIxEENS9_8equal_toIxEExEE10hipError_tPvRmT2_T3_T4_T5_mT6_T7_P12ihipStream_tbENKUlT_T0_E_clISt17integral_constantIbLb0EESY_IbLb1EEEEDaSU_SV_EUlSU_E_NS1_11comp_targetILNS1_3genE10ELNS1_11target_archE1200ELNS1_3gpuE4ELNS1_3repE0EEENS1_30default_config_static_selectorELNS0_4arch9wavefront6targetE1EEEvT1_,@function
_ZN7rocprim17ROCPRIM_400000_NS6detail17trampoline_kernelINS0_14default_configENS1_27scan_by_key_config_selectorIxxEEZZNS1_16scan_by_key_implILNS1_25lookback_scan_determinismE0ELb1ES3_N6thrust23THRUST_200600_302600_NS6detail15normal_iteratorINS9_10device_ptrIxEEEESE_SE_xNS9_10multipliesIxEENS9_8equal_toIxEExEE10hipError_tPvRmT2_T3_T4_T5_mT6_T7_P12ihipStream_tbENKUlT_T0_E_clISt17integral_constantIbLb0EESY_IbLb1EEEEDaSU_SV_EUlSU_E_NS1_11comp_targetILNS1_3genE10ELNS1_11target_archE1200ELNS1_3gpuE4ELNS1_3repE0EEENS1_30default_config_static_selectorELNS0_4arch9wavefront6targetE1EEEvT1_: ; @_ZN7rocprim17ROCPRIM_400000_NS6detail17trampoline_kernelINS0_14default_configENS1_27scan_by_key_config_selectorIxxEEZZNS1_16scan_by_key_implILNS1_25lookback_scan_determinismE0ELb1ES3_N6thrust23THRUST_200600_302600_NS6detail15normal_iteratorINS9_10device_ptrIxEEEESE_SE_xNS9_10multipliesIxEENS9_8equal_toIxEExEE10hipError_tPvRmT2_T3_T4_T5_mT6_T7_P12ihipStream_tbENKUlT_T0_E_clISt17integral_constantIbLb0EESY_IbLb1EEEEDaSU_SV_EUlSU_E_NS1_11comp_targetILNS1_3genE10ELNS1_11target_archE1200ELNS1_3gpuE4ELNS1_3repE0EEENS1_30default_config_static_selectorELNS0_4arch9wavefront6targetE1EEEvT1_
; %bb.0:
	.section	.rodata,"a",@progbits
	.p2align	6, 0x0
	.amdhsa_kernel _ZN7rocprim17ROCPRIM_400000_NS6detail17trampoline_kernelINS0_14default_configENS1_27scan_by_key_config_selectorIxxEEZZNS1_16scan_by_key_implILNS1_25lookback_scan_determinismE0ELb1ES3_N6thrust23THRUST_200600_302600_NS6detail15normal_iteratorINS9_10device_ptrIxEEEESE_SE_xNS9_10multipliesIxEENS9_8equal_toIxEExEE10hipError_tPvRmT2_T3_T4_T5_mT6_T7_P12ihipStream_tbENKUlT_T0_E_clISt17integral_constantIbLb0EESY_IbLb1EEEEDaSU_SV_EUlSU_E_NS1_11comp_targetILNS1_3genE10ELNS1_11target_archE1200ELNS1_3gpuE4ELNS1_3repE0EEENS1_30default_config_static_selectorELNS0_4arch9wavefront6targetE1EEEvT1_
		.amdhsa_group_segment_fixed_size 0
		.amdhsa_private_segment_fixed_size 0
		.amdhsa_kernarg_size 136
		.amdhsa_user_sgpr_count 6
		.amdhsa_user_sgpr_private_segment_buffer 1
		.amdhsa_user_sgpr_dispatch_ptr 0
		.amdhsa_user_sgpr_queue_ptr 0
		.amdhsa_user_sgpr_kernarg_segment_ptr 1
		.amdhsa_user_sgpr_dispatch_id 0
		.amdhsa_user_sgpr_flat_scratch_init 0
		.amdhsa_user_sgpr_kernarg_preload_length 0
		.amdhsa_user_sgpr_kernarg_preload_offset 0
		.amdhsa_user_sgpr_private_segment_size 0
		.amdhsa_uses_dynamic_stack 0
		.amdhsa_system_sgpr_private_segment_wavefront_offset 0
		.amdhsa_system_sgpr_workgroup_id_x 1
		.amdhsa_system_sgpr_workgroup_id_y 0
		.amdhsa_system_sgpr_workgroup_id_z 0
		.amdhsa_system_sgpr_workgroup_info 0
		.amdhsa_system_vgpr_workitem_id 0
		.amdhsa_next_free_vgpr 1
		.amdhsa_next_free_sgpr 0
		.amdhsa_accum_offset 4
		.amdhsa_reserve_vcc 0
		.amdhsa_reserve_flat_scratch 0
		.amdhsa_float_round_mode_32 0
		.amdhsa_float_round_mode_16_64 0
		.amdhsa_float_denorm_mode_32 3
		.amdhsa_float_denorm_mode_16_64 3
		.amdhsa_dx10_clamp 1
		.amdhsa_ieee_mode 1
		.amdhsa_fp16_overflow 0
		.amdhsa_tg_split 0
		.amdhsa_exception_fp_ieee_invalid_op 0
		.amdhsa_exception_fp_denorm_src 0
		.amdhsa_exception_fp_ieee_div_zero 0
		.amdhsa_exception_fp_ieee_overflow 0
		.amdhsa_exception_fp_ieee_underflow 0
		.amdhsa_exception_fp_ieee_inexact 0
		.amdhsa_exception_int_div_zero 0
	.end_amdhsa_kernel
	.section	.text._ZN7rocprim17ROCPRIM_400000_NS6detail17trampoline_kernelINS0_14default_configENS1_27scan_by_key_config_selectorIxxEEZZNS1_16scan_by_key_implILNS1_25lookback_scan_determinismE0ELb1ES3_N6thrust23THRUST_200600_302600_NS6detail15normal_iteratorINS9_10device_ptrIxEEEESE_SE_xNS9_10multipliesIxEENS9_8equal_toIxEExEE10hipError_tPvRmT2_T3_T4_T5_mT6_T7_P12ihipStream_tbENKUlT_T0_E_clISt17integral_constantIbLb0EESY_IbLb1EEEEDaSU_SV_EUlSU_E_NS1_11comp_targetILNS1_3genE10ELNS1_11target_archE1200ELNS1_3gpuE4ELNS1_3repE0EEENS1_30default_config_static_selectorELNS0_4arch9wavefront6targetE1EEEvT1_,"axG",@progbits,_ZN7rocprim17ROCPRIM_400000_NS6detail17trampoline_kernelINS0_14default_configENS1_27scan_by_key_config_selectorIxxEEZZNS1_16scan_by_key_implILNS1_25lookback_scan_determinismE0ELb1ES3_N6thrust23THRUST_200600_302600_NS6detail15normal_iteratorINS9_10device_ptrIxEEEESE_SE_xNS9_10multipliesIxEENS9_8equal_toIxEExEE10hipError_tPvRmT2_T3_T4_T5_mT6_T7_P12ihipStream_tbENKUlT_T0_E_clISt17integral_constantIbLb0EESY_IbLb1EEEEDaSU_SV_EUlSU_E_NS1_11comp_targetILNS1_3genE10ELNS1_11target_archE1200ELNS1_3gpuE4ELNS1_3repE0EEENS1_30default_config_static_selectorELNS0_4arch9wavefront6targetE1EEEvT1_,comdat
.Lfunc_end422:
	.size	_ZN7rocprim17ROCPRIM_400000_NS6detail17trampoline_kernelINS0_14default_configENS1_27scan_by_key_config_selectorIxxEEZZNS1_16scan_by_key_implILNS1_25lookback_scan_determinismE0ELb1ES3_N6thrust23THRUST_200600_302600_NS6detail15normal_iteratorINS9_10device_ptrIxEEEESE_SE_xNS9_10multipliesIxEENS9_8equal_toIxEExEE10hipError_tPvRmT2_T3_T4_T5_mT6_T7_P12ihipStream_tbENKUlT_T0_E_clISt17integral_constantIbLb0EESY_IbLb1EEEEDaSU_SV_EUlSU_E_NS1_11comp_targetILNS1_3genE10ELNS1_11target_archE1200ELNS1_3gpuE4ELNS1_3repE0EEENS1_30default_config_static_selectorELNS0_4arch9wavefront6targetE1EEEvT1_, .Lfunc_end422-_ZN7rocprim17ROCPRIM_400000_NS6detail17trampoline_kernelINS0_14default_configENS1_27scan_by_key_config_selectorIxxEEZZNS1_16scan_by_key_implILNS1_25lookback_scan_determinismE0ELb1ES3_N6thrust23THRUST_200600_302600_NS6detail15normal_iteratorINS9_10device_ptrIxEEEESE_SE_xNS9_10multipliesIxEENS9_8equal_toIxEExEE10hipError_tPvRmT2_T3_T4_T5_mT6_T7_P12ihipStream_tbENKUlT_T0_E_clISt17integral_constantIbLb0EESY_IbLb1EEEEDaSU_SV_EUlSU_E_NS1_11comp_targetILNS1_3genE10ELNS1_11target_archE1200ELNS1_3gpuE4ELNS1_3repE0EEENS1_30default_config_static_selectorELNS0_4arch9wavefront6targetE1EEEvT1_
                                        ; -- End function
	.section	.AMDGPU.csdata,"",@progbits
; Kernel info:
; codeLenInByte = 0
; NumSgprs: 4
; NumVgprs: 0
; NumAgprs: 0
; TotalNumVgprs: 0
; ScratchSize: 0
; MemoryBound: 0
; FloatMode: 240
; IeeeMode: 1
; LDSByteSize: 0 bytes/workgroup (compile time only)
; SGPRBlocks: 0
; VGPRBlocks: 0
; NumSGPRsForWavesPerEU: 4
; NumVGPRsForWavesPerEU: 1
; AccumOffset: 4
; Occupancy: 8
; WaveLimiterHint : 0
; COMPUTE_PGM_RSRC2:SCRATCH_EN: 0
; COMPUTE_PGM_RSRC2:USER_SGPR: 6
; COMPUTE_PGM_RSRC2:TRAP_HANDLER: 0
; COMPUTE_PGM_RSRC2:TGID_X_EN: 1
; COMPUTE_PGM_RSRC2:TGID_Y_EN: 0
; COMPUTE_PGM_RSRC2:TGID_Z_EN: 0
; COMPUTE_PGM_RSRC2:TIDIG_COMP_CNT: 0
; COMPUTE_PGM_RSRC3_GFX90A:ACCUM_OFFSET: 0
; COMPUTE_PGM_RSRC3_GFX90A:TG_SPLIT: 0
	.section	.text._ZN7rocprim17ROCPRIM_400000_NS6detail17trampoline_kernelINS0_14default_configENS1_27scan_by_key_config_selectorIxxEEZZNS1_16scan_by_key_implILNS1_25lookback_scan_determinismE0ELb1ES3_N6thrust23THRUST_200600_302600_NS6detail15normal_iteratorINS9_10device_ptrIxEEEESE_SE_xNS9_10multipliesIxEENS9_8equal_toIxEExEE10hipError_tPvRmT2_T3_T4_T5_mT6_T7_P12ihipStream_tbENKUlT_T0_E_clISt17integral_constantIbLb0EESY_IbLb1EEEEDaSU_SV_EUlSU_E_NS1_11comp_targetILNS1_3genE9ELNS1_11target_archE1100ELNS1_3gpuE3ELNS1_3repE0EEENS1_30default_config_static_selectorELNS0_4arch9wavefront6targetE1EEEvT1_,"axG",@progbits,_ZN7rocprim17ROCPRIM_400000_NS6detail17trampoline_kernelINS0_14default_configENS1_27scan_by_key_config_selectorIxxEEZZNS1_16scan_by_key_implILNS1_25lookback_scan_determinismE0ELb1ES3_N6thrust23THRUST_200600_302600_NS6detail15normal_iteratorINS9_10device_ptrIxEEEESE_SE_xNS9_10multipliesIxEENS9_8equal_toIxEExEE10hipError_tPvRmT2_T3_T4_T5_mT6_T7_P12ihipStream_tbENKUlT_T0_E_clISt17integral_constantIbLb0EESY_IbLb1EEEEDaSU_SV_EUlSU_E_NS1_11comp_targetILNS1_3genE9ELNS1_11target_archE1100ELNS1_3gpuE3ELNS1_3repE0EEENS1_30default_config_static_selectorELNS0_4arch9wavefront6targetE1EEEvT1_,comdat
	.protected	_ZN7rocprim17ROCPRIM_400000_NS6detail17trampoline_kernelINS0_14default_configENS1_27scan_by_key_config_selectorIxxEEZZNS1_16scan_by_key_implILNS1_25lookback_scan_determinismE0ELb1ES3_N6thrust23THRUST_200600_302600_NS6detail15normal_iteratorINS9_10device_ptrIxEEEESE_SE_xNS9_10multipliesIxEENS9_8equal_toIxEExEE10hipError_tPvRmT2_T3_T4_T5_mT6_T7_P12ihipStream_tbENKUlT_T0_E_clISt17integral_constantIbLb0EESY_IbLb1EEEEDaSU_SV_EUlSU_E_NS1_11comp_targetILNS1_3genE9ELNS1_11target_archE1100ELNS1_3gpuE3ELNS1_3repE0EEENS1_30default_config_static_selectorELNS0_4arch9wavefront6targetE1EEEvT1_ ; -- Begin function _ZN7rocprim17ROCPRIM_400000_NS6detail17trampoline_kernelINS0_14default_configENS1_27scan_by_key_config_selectorIxxEEZZNS1_16scan_by_key_implILNS1_25lookback_scan_determinismE0ELb1ES3_N6thrust23THRUST_200600_302600_NS6detail15normal_iteratorINS9_10device_ptrIxEEEESE_SE_xNS9_10multipliesIxEENS9_8equal_toIxEExEE10hipError_tPvRmT2_T3_T4_T5_mT6_T7_P12ihipStream_tbENKUlT_T0_E_clISt17integral_constantIbLb0EESY_IbLb1EEEEDaSU_SV_EUlSU_E_NS1_11comp_targetILNS1_3genE9ELNS1_11target_archE1100ELNS1_3gpuE3ELNS1_3repE0EEENS1_30default_config_static_selectorELNS0_4arch9wavefront6targetE1EEEvT1_
	.globl	_ZN7rocprim17ROCPRIM_400000_NS6detail17trampoline_kernelINS0_14default_configENS1_27scan_by_key_config_selectorIxxEEZZNS1_16scan_by_key_implILNS1_25lookback_scan_determinismE0ELb1ES3_N6thrust23THRUST_200600_302600_NS6detail15normal_iteratorINS9_10device_ptrIxEEEESE_SE_xNS9_10multipliesIxEENS9_8equal_toIxEExEE10hipError_tPvRmT2_T3_T4_T5_mT6_T7_P12ihipStream_tbENKUlT_T0_E_clISt17integral_constantIbLb0EESY_IbLb1EEEEDaSU_SV_EUlSU_E_NS1_11comp_targetILNS1_3genE9ELNS1_11target_archE1100ELNS1_3gpuE3ELNS1_3repE0EEENS1_30default_config_static_selectorELNS0_4arch9wavefront6targetE1EEEvT1_
	.p2align	8
	.type	_ZN7rocprim17ROCPRIM_400000_NS6detail17trampoline_kernelINS0_14default_configENS1_27scan_by_key_config_selectorIxxEEZZNS1_16scan_by_key_implILNS1_25lookback_scan_determinismE0ELb1ES3_N6thrust23THRUST_200600_302600_NS6detail15normal_iteratorINS9_10device_ptrIxEEEESE_SE_xNS9_10multipliesIxEENS9_8equal_toIxEExEE10hipError_tPvRmT2_T3_T4_T5_mT6_T7_P12ihipStream_tbENKUlT_T0_E_clISt17integral_constantIbLb0EESY_IbLb1EEEEDaSU_SV_EUlSU_E_NS1_11comp_targetILNS1_3genE9ELNS1_11target_archE1100ELNS1_3gpuE3ELNS1_3repE0EEENS1_30default_config_static_selectorELNS0_4arch9wavefront6targetE1EEEvT1_,@function
_ZN7rocprim17ROCPRIM_400000_NS6detail17trampoline_kernelINS0_14default_configENS1_27scan_by_key_config_selectorIxxEEZZNS1_16scan_by_key_implILNS1_25lookback_scan_determinismE0ELb1ES3_N6thrust23THRUST_200600_302600_NS6detail15normal_iteratorINS9_10device_ptrIxEEEESE_SE_xNS9_10multipliesIxEENS9_8equal_toIxEExEE10hipError_tPvRmT2_T3_T4_T5_mT6_T7_P12ihipStream_tbENKUlT_T0_E_clISt17integral_constantIbLb0EESY_IbLb1EEEEDaSU_SV_EUlSU_E_NS1_11comp_targetILNS1_3genE9ELNS1_11target_archE1100ELNS1_3gpuE3ELNS1_3repE0EEENS1_30default_config_static_selectorELNS0_4arch9wavefront6targetE1EEEvT1_: ; @_ZN7rocprim17ROCPRIM_400000_NS6detail17trampoline_kernelINS0_14default_configENS1_27scan_by_key_config_selectorIxxEEZZNS1_16scan_by_key_implILNS1_25lookback_scan_determinismE0ELb1ES3_N6thrust23THRUST_200600_302600_NS6detail15normal_iteratorINS9_10device_ptrIxEEEESE_SE_xNS9_10multipliesIxEENS9_8equal_toIxEExEE10hipError_tPvRmT2_T3_T4_T5_mT6_T7_P12ihipStream_tbENKUlT_T0_E_clISt17integral_constantIbLb0EESY_IbLb1EEEEDaSU_SV_EUlSU_E_NS1_11comp_targetILNS1_3genE9ELNS1_11target_archE1100ELNS1_3gpuE3ELNS1_3repE0EEENS1_30default_config_static_selectorELNS0_4arch9wavefront6targetE1EEEvT1_
; %bb.0:
	.section	.rodata,"a",@progbits
	.p2align	6, 0x0
	.amdhsa_kernel _ZN7rocprim17ROCPRIM_400000_NS6detail17trampoline_kernelINS0_14default_configENS1_27scan_by_key_config_selectorIxxEEZZNS1_16scan_by_key_implILNS1_25lookback_scan_determinismE0ELb1ES3_N6thrust23THRUST_200600_302600_NS6detail15normal_iteratorINS9_10device_ptrIxEEEESE_SE_xNS9_10multipliesIxEENS9_8equal_toIxEExEE10hipError_tPvRmT2_T3_T4_T5_mT6_T7_P12ihipStream_tbENKUlT_T0_E_clISt17integral_constantIbLb0EESY_IbLb1EEEEDaSU_SV_EUlSU_E_NS1_11comp_targetILNS1_3genE9ELNS1_11target_archE1100ELNS1_3gpuE3ELNS1_3repE0EEENS1_30default_config_static_selectorELNS0_4arch9wavefront6targetE1EEEvT1_
		.amdhsa_group_segment_fixed_size 0
		.amdhsa_private_segment_fixed_size 0
		.amdhsa_kernarg_size 136
		.amdhsa_user_sgpr_count 6
		.amdhsa_user_sgpr_private_segment_buffer 1
		.amdhsa_user_sgpr_dispatch_ptr 0
		.amdhsa_user_sgpr_queue_ptr 0
		.amdhsa_user_sgpr_kernarg_segment_ptr 1
		.amdhsa_user_sgpr_dispatch_id 0
		.amdhsa_user_sgpr_flat_scratch_init 0
		.amdhsa_user_sgpr_kernarg_preload_length 0
		.amdhsa_user_sgpr_kernarg_preload_offset 0
		.amdhsa_user_sgpr_private_segment_size 0
		.amdhsa_uses_dynamic_stack 0
		.amdhsa_system_sgpr_private_segment_wavefront_offset 0
		.amdhsa_system_sgpr_workgroup_id_x 1
		.amdhsa_system_sgpr_workgroup_id_y 0
		.amdhsa_system_sgpr_workgroup_id_z 0
		.amdhsa_system_sgpr_workgroup_info 0
		.amdhsa_system_vgpr_workitem_id 0
		.amdhsa_next_free_vgpr 1
		.amdhsa_next_free_sgpr 0
		.amdhsa_accum_offset 4
		.amdhsa_reserve_vcc 0
		.amdhsa_reserve_flat_scratch 0
		.amdhsa_float_round_mode_32 0
		.amdhsa_float_round_mode_16_64 0
		.amdhsa_float_denorm_mode_32 3
		.amdhsa_float_denorm_mode_16_64 3
		.amdhsa_dx10_clamp 1
		.amdhsa_ieee_mode 1
		.amdhsa_fp16_overflow 0
		.amdhsa_tg_split 0
		.amdhsa_exception_fp_ieee_invalid_op 0
		.amdhsa_exception_fp_denorm_src 0
		.amdhsa_exception_fp_ieee_div_zero 0
		.amdhsa_exception_fp_ieee_overflow 0
		.amdhsa_exception_fp_ieee_underflow 0
		.amdhsa_exception_fp_ieee_inexact 0
		.amdhsa_exception_int_div_zero 0
	.end_amdhsa_kernel
	.section	.text._ZN7rocprim17ROCPRIM_400000_NS6detail17trampoline_kernelINS0_14default_configENS1_27scan_by_key_config_selectorIxxEEZZNS1_16scan_by_key_implILNS1_25lookback_scan_determinismE0ELb1ES3_N6thrust23THRUST_200600_302600_NS6detail15normal_iteratorINS9_10device_ptrIxEEEESE_SE_xNS9_10multipliesIxEENS9_8equal_toIxEExEE10hipError_tPvRmT2_T3_T4_T5_mT6_T7_P12ihipStream_tbENKUlT_T0_E_clISt17integral_constantIbLb0EESY_IbLb1EEEEDaSU_SV_EUlSU_E_NS1_11comp_targetILNS1_3genE9ELNS1_11target_archE1100ELNS1_3gpuE3ELNS1_3repE0EEENS1_30default_config_static_selectorELNS0_4arch9wavefront6targetE1EEEvT1_,"axG",@progbits,_ZN7rocprim17ROCPRIM_400000_NS6detail17trampoline_kernelINS0_14default_configENS1_27scan_by_key_config_selectorIxxEEZZNS1_16scan_by_key_implILNS1_25lookback_scan_determinismE0ELb1ES3_N6thrust23THRUST_200600_302600_NS6detail15normal_iteratorINS9_10device_ptrIxEEEESE_SE_xNS9_10multipliesIxEENS9_8equal_toIxEExEE10hipError_tPvRmT2_T3_T4_T5_mT6_T7_P12ihipStream_tbENKUlT_T0_E_clISt17integral_constantIbLb0EESY_IbLb1EEEEDaSU_SV_EUlSU_E_NS1_11comp_targetILNS1_3genE9ELNS1_11target_archE1100ELNS1_3gpuE3ELNS1_3repE0EEENS1_30default_config_static_selectorELNS0_4arch9wavefront6targetE1EEEvT1_,comdat
.Lfunc_end423:
	.size	_ZN7rocprim17ROCPRIM_400000_NS6detail17trampoline_kernelINS0_14default_configENS1_27scan_by_key_config_selectorIxxEEZZNS1_16scan_by_key_implILNS1_25lookback_scan_determinismE0ELb1ES3_N6thrust23THRUST_200600_302600_NS6detail15normal_iteratorINS9_10device_ptrIxEEEESE_SE_xNS9_10multipliesIxEENS9_8equal_toIxEExEE10hipError_tPvRmT2_T3_T4_T5_mT6_T7_P12ihipStream_tbENKUlT_T0_E_clISt17integral_constantIbLb0EESY_IbLb1EEEEDaSU_SV_EUlSU_E_NS1_11comp_targetILNS1_3genE9ELNS1_11target_archE1100ELNS1_3gpuE3ELNS1_3repE0EEENS1_30default_config_static_selectorELNS0_4arch9wavefront6targetE1EEEvT1_, .Lfunc_end423-_ZN7rocprim17ROCPRIM_400000_NS6detail17trampoline_kernelINS0_14default_configENS1_27scan_by_key_config_selectorIxxEEZZNS1_16scan_by_key_implILNS1_25lookback_scan_determinismE0ELb1ES3_N6thrust23THRUST_200600_302600_NS6detail15normal_iteratorINS9_10device_ptrIxEEEESE_SE_xNS9_10multipliesIxEENS9_8equal_toIxEExEE10hipError_tPvRmT2_T3_T4_T5_mT6_T7_P12ihipStream_tbENKUlT_T0_E_clISt17integral_constantIbLb0EESY_IbLb1EEEEDaSU_SV_EUlSU_E_NS1_11comp_targetILNS1_3genE9ELNS1_11target_archE1100ELNS1_3gpuE3ELNS1_3repE0EEENS1_30default_config_static_selectorELNS0_4arch9wavefront6targetE1EEEvT1_
                                        ; -- End function
	.section	.AMDGPU.csdata,"",@progbits
; Kernel info:
; codeLenInByte = 0
; NumSgprs: 4
; NumVgprs: 0
; NumAgprs: 0
; TotalNumVgprs: 0
; ScratchSize: 0
; MemoryBound: 0
; FloatMode: 240
; IeeeMode: 1
; LDSByteSize: 0 bytes/workgroup (compile time only)
; SGPRBlocks: 0
; VGPRBlocks: 0
; NumSGPRsForWavesPerEU: 4
; NumVGPRsForWavesPerEU: 1
; AccumOffset: 4
; Occupancy: 8
; WaveLimiterHint : 0
; COMPUTE_PGM_RSRC2:SCRATCH_EN: 0
; COMPUTE_PGM_RSRC2:USER_SGPR: 6
; COMPUTE_PGM_RSRC2:TRAP_HANDLER: 0
; COMPUTE_PGM_RSRC2:TGID_X_EN: 1
; COMPUTE_PGM_RSRC2:TGID_Y_EN: 0
; COMPUTE_PGM_RSRC2:TGID_Z_EN: 0
; COMPUTE_PGM_RSRC2:TIDIG_COMP_CNT: 0
; COMPUTE_PGM_RSRC3_GFX90A:ACCUM_OFFSET: 0
; COMPUTE_PGM_RSRC3_GFX90A:TG_SPLIT: 0
	.section	.text._ZN7rocprim17ROCPRIM_400000_NS6detail17trampoline_kernelINS0_14default_configENS1_27scan_by_key_config_selectorIxxEEZZNS1_16scan_by_key_implILNS1_25lookback_scan_determinismE0ELb1ES3_N6thrust23THRUST_200600_302600_NS6detail15normal_iteratorINS9_10device_ptrIxEEEESE_SE_xNS9_10multipliesIxEENS9_8equal_toIxEExEE10hipError_tPvRmT2_T3_T4_T5_mT6_T7_P12ihipStream_tbENKUlT_T0_E_clISt17integral_constantIbLb0EESY_IbLb1EEEEDaSU_SV_EUlSU_E_NS1_11comp_targetILNS1_3genE8ELNS1_11target_archE1030ELNS1_3gpuE2ELNS1_3repE0EEENS1_30default_config_static_selectorELNS0_4arch9wavefront6targetE1EEEvT1_,"axG",@progbits,_ZN7rocprim17ROCPRIM_400000_NS6detail17trampoline_kernelINS0_14default_configENS1_27scan_by_key_config_selectorIxxEEZZNS1_16scan_by_key_implILNS1_25lookback_scan_determinismE0ELb1ES3_N6thrust23THRUST_200600_302600_NS6detail15normal_iteratorINS9_10device_ptrIxEEEESE_SE_xNS9_10multipliesIxEENS9_8equal_toIxEExEE10hipError_tPvRmT2_T3_T4_T5_mT6_T7_P12ihipStream_tbENKUlT_T0_E_clISt17integral_constantIbLb0EESY_IbLb1EEEEDaSU_SV_EUlSU_E_NS1_11comp_targetILNS1_3genE8ELNS1_11target_archE1030ELNS1_3gpuE2ELNS1_3repE0EEENS1_30default_config_static_selectorELNS0_4arch9wavefront6targetE1EEEvT1_,comdat
	.protected	_ZN7rocprim17ROCPRIM_400000_NS6detail17trampoline_kernelINS0_14default_configENS1_27scan_by_key_config_selectorIxxEEZZNS1_16scan_by_key_implILNS1_25lookback_scan_determinismE0ELb1ES3_N6thrust23THRUST_200600_302600_NS6detail15normal_iteratorINS9_10device_ptrIxEEEESE_SE_xNS9_10multipliesIxEENS9_8equal_toIxEExEE10hipError_tPvRmT2_T3_T4_T5_mT6_T7_P12ihipStream_tbENKUlT_T0_E_clISt17integral_constantIbLb0EESY_IbLb1EEEEDaSU_SV_EUlSU_E_NS1_11comp_targetILNS1_3genE8ELNS1_11target_archE1030ELNS1_3gpuE2ELNS1_3repE0EEENS1_30default_config_static_selectorELNS0_4arch9wavefront6targetE1EEEvT1_ ; -- Begin function _ZN7rocprim17ROCPRIM_400000_NS6detail17trampoline_kernelINS0_14default_configENS1_27scan_by_key_config_selectorIxxEEZZNS1_16scan_by_key_implILNS1_25lookback_scan_determinismE0ELb1ES3_N6thrust23THRUST_200600_302600_NS6detail15normal_iteratorINS9_10device_ptrIxEEEESE_SE_xNS9_10multipliesIxEENS9_8equal_toIxEExEE10hipError_tPvRmT2_T3_T4_T5_mT6_T7_P12ihipStream_tbENKUlT_T0_E_clISt17integral_constantIbLb0EESY_IbLb1EEEEDaSU_SV_EUlSU_E_NS1_11comp_targetILNS1_3genE8ELNS1_11target_archE1030ELNS1_3gpuE2ELNS1_3repE0EEENS1_30default_config_static_selectorELNS0_4arch9wavefront6targetE1EEEvT1_
	.globl	_ZN7rocprim17ROCPRIM_400000_NS6detail17trampoline_kernelINS0_14default_configENS1_27scan_by_key_config_selectorIxxEEZZNS1_16scan_by_key_implILNS1_25lookback_scan_determinismE0ELb1ES3_N6thrust23THRUST_200600_302600_NS6detail15normal_iteratorINS9_10device_ptrIxEEEESE_SE_xNS9_10multipliesIxEENS9_8equal_toIxEExEE10hipError_tPvRmT2_T3_T4_T5_mT6_T7_P12ihipStream_tbENKUlT_T0_E_clISt17integral_constantIbLb0EESY_IbLb1EEEEDaSU_SV_EUlSU_E_NS1_11comp_targetILNS1_3genE8ELNS1_11target_archE1030ELNS1_3gpuE2ELNS1_3repE0EEENS1_30default_config_static_selectorELNS0_4arch9wavefront6targetE1EEEvT1_
	.p2align	8
	.type	_ZN7rocprim17ROCPRIM_400000_NS6detail17trampoline_kernelINS0_14default_configENS1_27scan_by_key_config_selectorIxxEEZZNS1_16scan_by_key_implILNS1_25lookback_scan_determinismE0ELb1ES3_N6thrust23THRUST_200600_302600_NS6detail15normal_iteratorINS9_10device_ptrIxEEEESE_SE_xNS9_10multipliesIxEENS9_8equal_toIxEExEE10hipError_tPvRmT2_T3_T4_T5_mT6_T7_P12ihipStream_tbENKUlT_T0_E_clISt17integral_constantIbLb0EESY_IbLb1EEEEDaSU_SV_EUlSU_E_NS1_11comp_targetILNS1_3genE8ELNS1_11target_archE1030ELNS1_3gpuE2ELNS1_3repE0EEENS1_30default_config_static_selectorELNS0_4arch9wavefront6targetE1EEEvT1_,@function
_ZN7rocprim17ROCPRIM_400000_NS6detail17trampoline_kernelINS0_14default_configENS1_27scan_by_key_config_selectorIxxEEZZNS1_16scan_by_key_implILNS1_25lookback_scan_determinismE0ELb1ES3_N6thrust23THRUST_200600_302600_NS6detail15normal_iteratorINS9_10device_ptrIxEEEESE_SE_xNS9_10multipliesIxEENS9_8equal_toIxEExEE10hipError_tPvRmT2_T3_T4_T5_mT6_T7_P12ihipStream_tbENKUlT_T0_E_clISt17integral_constantIbLb0EESY_IbLb1EEEEDaSU_SV_EUlSU_E_NS1_11comp_targetILNS1_3genE8ELNS1_11target_archE1030ELNS1_3gpuE2ELNS1_3repE0EEENS1_30default_config_static_selectorELNS0_4arch9wavefront6targetE1EEEvT1_: ; @_ZN7rocprim17ROCPRIM_400000_NS6detail17trampoline_kernelINS0_14default_configENS1_27scan_by_key_config_selectorIxxEEZZNS1_16scan_by_key_implILNS1_25lookback_scan_determinismE0ELb1ES3_N6thrust23THRUST_200600_302600_NS6detail15normal_iteratorINS9_10device_ptrIxEEEESE_SE_xNS9_10multipliesIxEENS9_8equal_toIxEExEE10hipError_tPvRmT2_T3_T4_T5_mT6_T7_P12ihipStream_tbENKUlT_T0_E_clISt17integral_constantIbLb0EESY_IbLb1EEEEDaSU_SV_EUlSU_E_NS1_11comp_targetILNS1_3genE8ELNS1_11target_archE1030ELNS1_3gpuE2ELNS1_3repE0EEENS1_30default_config_static_selectorELNS0_4arch9wavefront6targetE1EEEvT1_
; %bb.0:
	.section	.rodata,"a",@progbits
	.p2align	6, 0x0
	.amdhsa_kernel _ZN7rocprim17ROCPRIM_400000_NS6detail17trampoline_kernelINS0_14default_configENS1_27scan_by_key_config_selectorIxxEEZZNS1_16scan_by_key_implILNS1_25lookback_scan_determinismE0ELb1ES3_N6thrust23THRUST_200600_302600_NS6detail15normal_iteratorINS9_10device_ptrIxEEEESE_SE_xNS9_10multipliesIxEENS9_8equal_toIxEExEE10hipError_tPvRmT2_T3_T4_T5_mT6_T7_P12ihipStream_tbENKUlT_T0_E_clISt17integral_constantIbLb0EESY_IbLb1EEEEDaSU_SV_EUlSU_E_NS1_11comp_targetILNS1_3genE8ELNS1_11target_archE1030ELNS1_3gpuE2ELNS1_3repE0EEENS1_30default_config_static_selectorELNS0_4arch9wavefront6targetE1EEEvT1_
		.amdhsa_group_segment_fixed_size 0
		.amdhsa_private_segment_fixed_size 0
		.amdhsa_kernarg_size 136
		.amdhsa_user_sgpr_count 6
		.amdhsa_user_sgpr_private_segment_buffer 1
		.amdhsa_user_sgpr_dispatch_ptr 0
		.amdhsa_user_sgpr_queue_ptr 0
		.amdhsa_user_sgpr_kernarg_segment_ptr 1
		.amdhsa_user_sgpr_dispatch_id 0
		.amdhsa_user_sgpr_flat_scratch_init 0
		.amdhsa_user_sgpr_kernarg_preload_length 0
		.amdhsa_user_sgpr_kernarg_preload_offset 0
		.amdhsa_user_sgpr_private_segment_size 0
		.amdhsa_uses_dynamic_stack 0
		.amdhsa_system_sgpr_private_segment_wavefront_offset 0
		.amdhsa_system_sgpr_workgroup_id_x 1
		.amdhsa_system_sgpr_workgroup_id_y 0
		.amdhsa_system_sgpr_workgroup_id_z 0
		.amdhsa_system_sgpr_workgroup_info 0
		.amdhsa_system_vgpr_workitem_id 0
		.amdhsa_next_free_vgpr 1
		.amdhsa_next_free_sgpr 0
		.amdhsa_accum_offset 4
		.amdhsa_reserve_vcc 0
		.amdhsa_reserve_flat_scratch 0
		.amdhsa_float_round_mode_32 0
		.amdhsa_float_round_mode_16_64 0
		.amdhsa_float_denorm_mode_32 3
		.amdhsa_float_denorm_mode_16_64 3
		.amdhsa_dx10_clamp 1
		.amdhsa_ieee_mode 1
		.amdhsa_fp16_overflow 0
		.amdhsa_tg_split 0
		.amdhsa_exception_fp_ieee_invalid_op 0
		.amdhsa_exception_fp_denorm_src 0
		.amdhsa_exception_fp_ieee_div_zero 0
		.amdhsa_exception_fp_ieee_overflow 0
		.amdhsa_exception_fp_ieee_underflow 0
		.amdhsa_exception_fp_ieee_inexact 0
		.amdhsa_exception_int_div_zero 0
	.end_amdhsa_kernel
	.section	.text._ZN7rocprim17ROCPRIM_400000_NS6detail17trampoline_kernelINS0_14default_configENS1_27scan_by_key_config_selectorIxxEEZZNS1_16scan_by_key_implILNS1_25lookback_scan_determinismE0ELb1ES3_N6thrust23THRUST_200600_302600_NS6detail15normal_iteratorINS9_10device_ptrIxEEEESE_SE_xNS9_10multipliesIxEENS9_8equal_toIxEExEE10hipError_tPvRmT2_T3_T4_T5_mT6_T7_P12ihipStream_tbENKUlT_T0_E_clISt17integral_constantIbLb0EESY_IbLb1EEEEDaSU_SV_EUlSU_E_NS1_11comp_targetILNS1_3genE8ELNS1_11target_archE1030ELNS1_3gpuE2ELNS1_3repE0EEENS1_30default_config_static_selectorELNS0_4arch9wavefront6targetE1EEEvT1_,"axG",@progbits,_ZN7rocprim17ROCPRIM_400000_NS6detail17trampoline_kernelINS0_14default_configENS1_27scan_by_key_config_selectorIxxEEZZNS1_16scan_by_key_implILNS1_25lookback_scan_determinismE0ELb1ES3_N6thrust23THRUST_200600_302600_NS6detail15normal_iteratorINS9_10device_ptrIxEEEESE_SE_xNS9_10multipliesIxEENS9_8equal_toIxEExEE10hipError_tPvRmT2_T3_T4_T5_mT6_T7_P12ihipStream_tbENKUlT_T0_E_clISt17integral_constantIbLb0EESY_IbLb1EEEEDaSU_SV_EUlSU_E_NS1_11comp_targetILNS1_3genE8ELNS1_11target_archE1030ELNS1_3gpuE2ELNS1_3repE0EEENS1_30default_config_static_selectorELNS0_4arch9wavefront6targetE1EEEvT1_,comdat
.Lfunc_end424:
	.size	_ZN7rocprim17ROCPRIM_400000_NS6detail17trampoline_kernelINS0_14default_configENS1_27scan_by_key_config_selectorIxxEEZZNS1_16scan_by_key_implILNS1_25lookback_scan_determinismE0ELb1ES3_N6thrust23THRUST_200600_302600_NS6detail15normal_iteratorINS9_10device_ptrIxEEEESE_SE_xNS9_10multipliesIxEENS9_8equal_toIxEExEE10hipError_tPvRmT2_T3_T4_T5_mT6_T7_P12ihipStream_tbENKUlT_T0_E_clISt17integral_constantIbLb0EESY_IbLb1EEEEDaSU_SV_EUlSU_E_NS1_11comp_targetILNS1_3genE8ELNS1_11target_archE1030ELNS1_3gpuE2ELNS1_3repE0EEENS1_30default_config_static_selectorELNS0_4arch9wavefront6targetE1EEEvT1_, .Lfunc_end424-_ZN7rocprim17ROCPRIM_400000_NS6detail17trampoline_kernelINS0_14default_configENS1_27scan_by_key_config_selectorIxxEEZZNS1_16scan_by_key_implILNS1_25lookback_scan_determinismE0ELb1ES3_N6thrust23THRUST_200600_302600_NS6detail15normal_iteratorINS9_10device_ptrIxEEEESE_SE_xNS9_10multipliesIxEENS9_8equal_toIxEExEE10hipError_tPvRmT2_T3_T4_T5_mT6_T7_P12ihipStream_tbENKUlT_T0_E_clISt17integral_constantIbLb0EESY_IbLb1EEEEDaSU_SV_EUlSU_E_NS1_11comp_targetILNS1_3genE8ELNS1_11target_archE1030ELNS1_3gpuE2ELNS1_3repE0EEENS1_30default_config_static_selectorELNS0_4arch9wavefront6targetE1EEEvT1_
                                        ; -- End function
	.section	.AMDGPU.csdata,"",@progbits
; Kernel info:
; codeLenInByte = 0
; NumSgprs: 4
; NumVgprs: 0
; NumAgprs: 0
; TotalNumVgprs: 0
; ScratchSize: 0
; MemoryBound: 0
; FloatMode: 240
; IeeeMode: 1
; LDSByteSize: 0 bytes/workgroup (compile time only)
; SGPRBlocks: 0
; VGPRBlocks: 0
; NumSGPRsForWavesPerEU: 4
; NumVGPRsForWavesPerEU: 1
; AccumOffset: 4
; Occupancy: 8
; WaveLimiterHint : 0
; COMPUTE_PGM_RSRC2:SCRATCH_EN: 0
; COMPUTE_PGM_RSRC2:USER_SGPR: 6
; COMPUTE_PGM_RSRC2:TRAP_HANDLER: 0
; COMPUTE_PGM_RSRC2:TGID_X_EN: 1
; COMPUTE_PGM_RSRC2:TGID_Y_EN: 0
; COMPUTE_PGM_RSRC2:TGID_Z_EN: 0
; COMPUTE_PGM_RSRC2:TIDIG_COMP_CNT: 0
; COMPUTE_PGM_RSRC3_GFX90A:ACCUM_OFFSET: 0
; COMPUTE_PGM_RSRC3_GFX90A:TG_SPLIT: 0
	.section	.text._ZN7rocprim17ROCPRIM_400000_NS6detail17trampoline_kernelINS0_14default_configENS1_27scan_by_key_config_selectorIxxEEZZNS1_16scan_by_key_implILNS1_25lookback_scan_determinismE0ELb1ES3_N6thrust23THRUST_200600_302600_NS6detail15normal_iteratorINS9_10device_ptrIxEEEESE_SE_xNS9_4plusIvEENS9_8equal_toIxEExEE10hipError_tPvRmT2_T3_T4_T5_mT6_T7_P12ihipStream_tbENKUlT_T0_E_clISt17integral_constantIbLb0EESZ_EEDaSU_SV_EUlSU_E_NS1_11comp_targetILNS1_3genE0ELNS1_11target_archE4294967295ELNS1_3gpuE0ELNS1_3repE0EEENS1_30default_config_static_selectorELNS0_4arch9wavefront6targetE1EEEvT1_,"axG",@progbits,_ZN7rocprim17ROCPRIM_400000_NS6detail17trampoline_kernelINS0_14default_configENS1_27scan_by_key_config_selectorIxxEEZZNS1_16scan_by_key_implILNS1_25lookback_scan_determinismE0ELb1ES3_N6thrust23THRUST_200600_302600_NS6detail15normal_iteratorINS9_10device_ptrIxEEEESE_SE_xNS9_4plusIvEENS9_8equal_toIxEExEE10hipError_tPvRmT2_T3_T4_T5_mT6_T7_P12ihipStream_tbENKUlT_T0_E_clISt17integral_constantIbLb0EESZ_EEDaSU_SV_EUlSU_E_NS1_11comp_targetILNS1_3genE0ELNS1_11target_archE4294967295ELNS1_3gpuE0ELNS1_3repE0EEENS1_30default_config_static_selectorELNS0_4arch9wavefront6targetE1EEEvT1_,comdat
	.protected	_ZN7rocprim17ROCPRIM_400000_NS6detail17trampoline_kernelINS0_14default_configENS1_27scan_by_key_config_selectorIxxEEZZNS1_16scan_by_key_implILNS1_25lookback_scan_determinismE0ELb1ES3_N6thrust23THRUST_200600_302600_NS6detail15normal_iteratorINS9_10device_ptrIxEEEESE_SE_xNS9_4plusIvEENS9_8equal_toIxEExEE10hipError_tPvRmT2_T3_T4_T5_mT6_T7_P12ihipStream_tbENKUlT_T0_E_clISt17integral_constantIbLb0EESZ_EEDaSU_SV_EUlSU_E_NS1_11comp_targetILNS1_3genE0ELNS1_11target_archE4294967295ELNS1_3gpuE0ELNS1_3repE0EEENS1_30default_config_static_selectorELNS0_4arch9wavefront6targetE1EEEvT1_ ; -- Begin function _ZN7rocprim17ROCPRIM_400000_NS6detail17trampoline_kernelINS0_14default_configENS1_27scan_by_key_config_selectorIxxEEZZNS1_16scan_by_key_implILNS1_25lookback_scan_determinismE0ELb1ES3_N6thrust23THRUST_200600_302600_NS6detail15normal_iteratorINS9_10device_ptrIxEEEESE_SE_xNS9_4plusIvEENS9_8equal_toIxEExEE10hipError_tPvRmT2_T3_T4_T5_mT6_T7_P12ihipStream_tbENKUlT_T0_E_clISt17integral_constantIbLb0EESZ_EEDaSU_SV_EUlSU_E_NS1_11comp_targetILNS1_3genE0ELNS1_11target_archE4294967295ELNS1_3gpuE0ELNS1_3repE0EEENS1_30default_config_static_selectorELNS0_4arch9wavefront6targetE1EEEvT1_
	.globl	_ZN7rocprim17ROCPRIM_400000_NS6detail17trampoline_kernelINS0_14default_configENS1_27scan_by_key_config_selectorIxxEEZZNS1_16scan_by_key_implILNS1_25lookback_scan_determinismE0ELb1ES3_N6thrust23THRUST_200600_302600_NS6detail15normal_iteratorINS9_10device_ptrIxEEEESE_SE_xNS9_4plusIvEENS9_8equal_toIxEExEE10hipError_tPvRmT2_T3_T4_T5_mT6_T7_P12ihipStream_tbENKUlT_T0_E_clISt17integral_constantIbLb0EESZ_EEDaSU_SV_EUlSU_E_NS1_11comp_targetILNS1_3genE0ELNS1_11target_archE4294967295ELNS1_3gpuE0ELNS1_3repE0EEENS1_30default_config_static_selectorELNS0_4arch9wavefront6targetE1EEEvT1_
	.p2align	8
	.type	_ZN7rocprim17ROCPRIM_400000_NS6detail17trampoline_kernelINS0_14default_configENS1_27scan_by_key_config_selectorIxxEEZZNS1_16scan_by_key_implILNS1_25lookback_scan_determinismE0ELb1ES3_N6thrust23THRUST_200600_302600_NS6detail15normal_iteratorINS9_10device_ptrIxEEEESE_SE_xNS9_4plusIvEENS9_8equal_toIxEExEE10hipError_tPvRmT2_T3_T4_T5_mT6_T7_P12ihipStream_tbENKUlT_T0_E_clISt17integral_constantIbLb0EESZ_EEDaSU_SV_EUlSU_E_NS1_11comp_targetILNS1_3genE0ELNS1_11target_archE4294967295ELNS1_3gpuE0ELNS1_3repE0EEENS1_30default_config_static_selectorELNS0_4arch9wavefront6targetE1EEEvT1_,@function
_ZN7rocprim17ROCPRIM_400000_NS6detail17trampoline_kernelINS0_14default_configENS1_27scan_by_key_config_selectorIxxEEZZNS1_16scan_by_key_implILNS1_25lookback_scan_determinismE0ELb1ES3_N6thrust23THRUST_200600_302600_NS6detail15normal_iteratorINS9_10device_ptrIxEEEESE_SE_xNS9_4plusIvEENS9_8equal_toIxEExEE10hipError_tPvRmT2_T3_T4_T5_mT6_T7_P12ihipStream_tbENKUlT_T0_E_clISt17integral_constantIbLb0EESZ_EEDaSU_SV_EUlSU_E_NS1_11comp_targetILNS1_3genE0ELNS1_11target_archE4294967295ELNS1_3gpuE0ELNS1_3repE0EEENS1_30default_config_static_selectorELNS0_4arch9wavefront6targetE1EEEvT1_: ; @_ZN7rocprim17ROCPRIM_400000_NS6detail17trampoline_kernelINS0_14default_configENS1_27scan_by_key_config_selectorIxxEEZZNS1_16scan_by_key_implILNS1_25lookback_scan_determinismE0ELb1ES3_N6thrust23THRUST_200600_302600_NS6detail15normal_iteratorINS9_10device_ptrIxEEEESE_SE_xNS9_4plusIvEENS9_8equal_toIxEExEE10hipError_tPvRmT2_T3_T4_T5_mT6_T7_P12ihipStream_tbENKUlT_T0_E_clISt17integral_constantIbLb0EESZ_EEDaSU_SV_EUlSU_E_NS1_11comp_targetILNS1_3genE0ELNS1_11target_archE4294967295ELNS1_3gpuE0ELNS1_3repE0EEENS1_30default_config_static_selectorELNS0_4arch9wavefront6targetE1EEEvT1_
; %bb.0:
	.section	.rodata,"a",@progbits
	.p2align	6, 0x0
	.amdhsa_kernel _ZN7rocprim17ROCPRIM_400000_NS6detail17trampoline_kernelINS0_14default_configENS1_27scan_by_key_config_selectorIxxEEZZNS1_16scan_by_key_implILNS1_25lookback_scan_determinismE0ELb1ES3_N6thrust23THRUST_200600_302600_NS6detail15normal_iteratorINS9_10device_ptrIxEEEESE_SE_xNS9_4plusIvEENS9_8equal_toIxEExEE10hipError_tPvRmT2_T3_T4_T5_mT6_T7_P12ihipStream_tbENKUlT_T0_E_clISt17integral_constantIbLb0EESZ_EEDaSU_SV_EUlSU_E_NS1_11comp_targetILNS1_3genE0ELNS1_11target_archE4294967295ELNS1_3gpuE0ELNS1_3repE0EEENS1_30default_config_static_selectorELNS0_4arch9wavefront6targetE1EEEvT1_
		.amdhsa_group_segment_fixed_size 0
		.amdhsa_private_segment_fixed_size 0
		.amdhsa_kernarg_size 136
		.amdhsa_user_sgpr_count 6
		.amdhsa_user_sgpr_private_segment_buffer 1
		.amdhsa_user_sgpr_dispatch_ptr 0
		.amdhsa_user_sgpr_queue_ptr 0
		.amdhsa_user_sgpr_kernarg_segment_ptr 1
		.amdhsa_user_sgpr_dispatch_id 0
		.amdhsa_user_sgpr_flat_scratch_init 0
		.amdhsa_user_sgpr_kernarg_preload_length 0
		.amdhsa_user_sgpr_kernarg_preload_offset 0
		.amdhsa_user_sgpr_private_segment_size 0
		.amdhsa_uses_dynamic_stack 0
		.amdhsa_system_sgpr_private_segment_wavefront_offset 0
		.amdhsa_system_sgpr_workgroup_id_x 1
		.amdhsa_system_sgpr_workgroup_id_y 0
		.amdhsa_system_sgpr_workgroup_id_z 0
		.amdhsa_system_sgpr_workgroup_info 0
		.amdhsa_system_vgpr_workitem_id 0
		.amdhsa_next_free_vgpr 1
		.amdhsa_next_free_sgpr 0
		.amdhsa_accum_offset 4
		.amdhsa_reserve_vcc 0
		.amdhsa_reserve_flat_scratch 0
		.amdhsa_float_round_mode_32 0
		.amdhsa_float_round_mode_16_64 0
		.amdhsa_float_denorm_mode_32 3
		.amdhsa_float_denorm_mode_16_64 3
		.amdhsa_dx10_clamp 1
		.amdhsa_ieee_mode 1
		.amdhsa_fp16_overflow 0
		.amdhsa_tg_split 0
		.amdhsa_exception_fp_ieee_invalid_op 0
		.amdhsa_exception_fp_denorm_src 0
		.amdhsa_exception_fp_ieee_div_zero 0
		.amdhsa_exception_fp_ieee_overflow 0
		.amdhsa_exception_fp_ieee_underflow 0
		.amdhsa_exception_fp_ieee_inexact 0
		.amdhsa_exception_int_div_zero 0
	.end_amdhsa_kernel
	.section	.text._ZN7rocprim17ROCPRIM_400000_NS6detail17trampoline_kernelINS0_14default_configENS1_27scan_by_key_config_selectorIxxEEZZNS1_16scan_by_key_implILNS1_25lookback_scan_determinismE0ELb1ES3_N6thrust23THRUST_200600_302600_NS6detail15normal_iteratorINS9_10device_ptrIxEEEESE_SE_xNS9_4plusIvEENS9_8equal_toIxEExEE10hipError_tPvRmT2_T3_T4_T5_mT6_T7_P12ihipStream_tbENKUlT_T0_E_clISt17integral_constantIbLb0EESZ_EEDaSU_SV_EUlSU_E_NS1_11comp_targetILNS1_3genE0ELNS1_11target_archE4294967295ELNS1_3gpuE0ELNS1_3repE0EEENS1_30default_config_static_selectorELNS0_4arch9wavefront6targetE1EEEvT1_,"axG",@progbits,_ZN7rocprim17ROCPRIM_400000_NS6detail17trampoline_kernelINS0_14default_configENS1_27scan_by_key_config_selectorIxxEEZZNS1_16scan_by_key_implILNS1_25lookback_scan_determinismE0ELb1ES3_N6thrust23THRUST_200600_302600_NS6detail15normal_iteratorINS9_10device_ptrIxEEEESE_SE_xNS9_4plusIvEENS9_8equal_toIxEExEE10hipError_tPvRmT2_T3_T4_T5_mT6_T7_P12ihipStream_tbENKUlT_T0_E_clISt17integral_constantIbLb0EESZ_EEDaSU_SV_EUlSU_E_NS1_11comp_targetILNS1_3genE0ELNS1_11target_archE4294967295ELNS1_3gpuE0ELNS1_3repE0EEENS1_30default_config_static_selectorELNS0_4arch9wavefront6targetE1EEEvT1_,comdat
.Lfunc_end425:
	.size	_ZN7rocprim17ROCPRIM_400000_NS6detail17trampoline_kernelINS0_14default_configENS1_27scan_by_key_config_selectorIxxEEZZNS1_16scan_by_key_implILNS1_25lookback_scan_determinismE0ELb1ES3_N6thrust23THRUST_200600_302600_NS6detail15normal_iteratorINS9_10device_ptrIxEEEESE_SE_xNS9_4plusIvEENS9_8equal_toIxEExEE10hipError_tPvRmT2_T3_T4_T5_mT6_T7_P12ihipStream_tbENKUlT_T0_E_clISt17integral_constantIbLb0EESZ_EEDaSU_SV_EUlSU_E_NS1_11comp_targetILNS1_3genE0ELNS1_11target_archE4294967295ELNS1_3gpuE0ELNS1_3repE0EEENS1_30default_config_static_selectorELNS0_4arch9wavefront6targetE1EEEvT1_, .Lfunc_end425-_ZN7rocprim17ROCPRIM_400000_NS6detail17trampoline_kernelINS0_14default_configENS1_27scan_by_key_config_selectorIxxEEZZNS1_16scan_by_key_implILNS1_25lookback_scan_determinismE0ELb1ES3_N6thrust23THRUST_200600_302600_NS6detail15normal_iteratorINS9_10device_ptrIxEEEESE_SE_xNS9_4plusIvEENS9_8equal_toIxEExEE10hipError_tPvRmT2_T3_T4_T5_mT6_T7_P12ihipStream_tbENKUlT_T0_E_clISt17integral_constantIbLb0EESZ_EEDaSU_SV_EUlSU_E_NS1_11comp_targetILNS1_3genE0ELNS1_11target_archE4294967295ELNS1_3gpuE0ELNS1_3repE0EEENS1_30default_config_static_selectorELNS0_4arch9wavefront6targetE1EEEvT1_
                                        ; -- End function
	.section	.AMDGPU.csdata,"",@progbits
; Kernel info:
; codeLenInByte = 0
; NumSgprs: 4
; NumVgprs: 0
; NumAgprs: 0
; TotalNumVgprs: 0
; ScratchSize: 0
; MemoryBound: 0
; FloatMode: 240
; IeeeMode: 1
; LDSByteSize: 0 bytes/workgroup (compile time only)
; SGPRBlocks: 0
; VGPRBlocks: 0
; NumSGPRsForWavesPerEU: 4
; NumVGPRsForWavesPerEU: 1
; AccumOffset: 4
; Occupancy: 8
; WaveLimiterHint : 0
; COMPUTE_PGM_RSRC2:SCRATCH_EN: 0
; COMPUTE_PGM_RSRC2:USER_SGPR: 6
; COMPUTE_PGM_RSRC2:TRAP_HANDLER: 0
; COMPUTE_PGM_RSRC2:TGID_X_EN: 1
; COMPUTE_PGM_RSRC2:TGID_Y_EN: 0
; COMPUTE_PGM_RSRC2:TGID_Z_EN: 0
; COMPUTE_PGM_RSRC2:TIDIG_COMP_CNT: 0
; COMPUTE_PGM_RSRC3_GFX90A:ACCUM_OFFSET: 0
; COMPUTE_PGM_RSRC3_GFX90A:TG_SPLIT: 0
	.section	.text._ZN7rocprim17ROCPRIM_400000_NS6detail17trampoline_kernelINS0_14default_configENS1_27scan_by_key_config_selectorIxxEEZZNS1_16scan_by_key_implILNS1_25lookback_scan_determinismE0ELb1ES3_N6thrust23THRUST_200600_302600_NS6detail15normal_iteratorINS9_10device_ptrIxEEEESE_SE_xNS9_4plusIvEENS9_8equal_toIxEExEE10hipError_tPvRmT2_T3_T4_T5_mT6_T7_P12ihipStream_tbENKUlT_T0_E_clISt17integral_constantIbLb0EESZ_EEDaSU_SV_EUlSU_E_NS1_11comp_targetILNS1_3genE10ELNS1_11target_archE1201ELNS1_3gpuE5ELNS1_3repE0EEENS1_30default_config_static_selectorELNS0_4arch9wavefront6targetE1EEEvT1_,"axG",@progbits,_ZN7rocprim17ROCPRIM_400000_NS6detail17trampoline_kernelINS0_14default_configENS1_27scan_by_key_config_selectorIxxEEZZNS1_16scan_by_key_implILNS1_25lookback_scan_determinismE0ELb1ES3_N6thrust23THRUST_200600_302600_NS6detail15normal_iteratorINS9_10device_ptrIxEEEESE_SE_xNS9_4plusIvEENS9_8equal_toIxEExEE10hipError_tPvRmT2_T3_T4_T5_mT6_T7_P12ihipStream_tbENKUlT_T0_E_clISt17integral_constantIbLb0EESZ_EEDaSU_SV_EUlSU_E_NS1_11comp_targetILNS1_3genE10ELNS1_11target_archE1201ELNS1_3gpuE5ELNS1_3repE0EEENS1_30default_config_static_selectorELNS0_4arch9wavefront6targetE1EEEvT1_,comdat
	.protected	_ZN7rocprim17ROCPRIM_400000_NS6detail17trampoline_kernelINS0_14default_configENS1_27scan_by_key_config_selectorIxxEEZZNS1_16scan_by_key_implILNS1_25lookback_scan_determinismE0ELb1ES3_N6thrust23THRUST_200600_302600_NS6detail15normal_iteratorINS9_10device_ptrIxEEEESE_SE_xNS9_4plusIvEENS9_8equal_toIxEExEE10hipError_tPvRmT2_T3_T4_T5_mT6_T7_P12ihipStream_tbENKUlT_T0_E_clISt17integral_constantIbLb0EESZ_EEDaSU_SV_EUlSU_E_NS1_11comp_targetILNS1_3genE10ELNS1_11target_archE1201ELNS1_3gpuE5ELNS1_3repE0EEENS1_30default_config_static_selectorELNS0_4arch9wavefront6targetE1EEEvT1_ ; -- Begin function _ZN7rocprim17ROCPRIM_400000_NS6detail17trampoline_kernelINS0_14default_configENS1_27scan_by_key_config_selectorIxxEEZZNS1_16scan_by_key_implILNS1_25lookback_scan_determinismE0ELb1ES3_N6thrust23THRUST_200600_302600_NS6detail15normal_iteratorINS9_10device_ptrIxEEEESE_SE_xNS9_4plusIvEENS9_8equal_toIxEExEE10hipError_tPvRmT2_T3_T4_T5_mT6_T7_P12ihipStream_tbENKUlT_T0_E_clISt17integral_constantIbLb0EESZ_EEDaSU_SV_EUlSU_E_NS1_11comp_targetILNS1_3genE10ELNS1_11target_archE1201ELNS1_3gpuE5ELNS1_3repE0EEENS1_30default_config_static_selectorELNS0_4arch9wavefront6targetE1EEEvT1_
	.globl	_ZN7rocprim17ROCPRIM_400000_NS6detail17trampoline_kernelINS0_14default_configENS1_27scan_by_key_config_selectorIxxEEZZNS1_16scan_by_key_implILNS1_25lookback_scan_determinismE0ELb1ES3_N6thrust23THRUST_200600_302600_NS6detail15normal_iteratorINS9_10device_ptrIxEEEESE_SE_xNS9_4plusIvEENS9_8equal_toIxEExEE10hipError_tPvRmT2_T3_T4_T5_mT6_T7_P12ihipStream_tbENKUlT_T0_E_clISt17integral_constantIbLb0EESZ_EEDaSU_SV_EUlSU_E_NS1_11comp_targetILNS1_3genE10ELNS1_11target_archE1201ELNS1_3gpuE5ELNS1_3repE0EEENS1_30default_config_static_selectorELNS0_4arch9wavefront6targetE1EEEvT1_
	.p2align	8
	.type	_ZN7rocprim17ROCPRIM_400000_NS6detail17trampoline_kernelINS0_14default_configENS1_27scan_by_key_config_selectorIxxEEZZNS1_16scan_by_key_implILNS1_25lookback_scan_determinismE0ELb1ES3_N6thrust23THRUST_200600_302600_NS6detail15normal_iteratorINS9_10device_ptrIxEEEESE_SE_xNS9_4plusIvEENS9_8equal_toIxEExEE10hipError_tPvRmT2_T3_T4_T5_mT6_T7_P12ihipStream_tbENKUlT_T0_E_clISt17integral_constantIbLb0EESZ_EEDaSU_SV_EUlSU_E_NS1_11comp_targetILNS1_3genE10ELNS1_11target_archE1201ELNS1_3gpuE5ELNS1_3repE0EEENS1_30default_config_static_selectorELNS0_4arch9wavefront6targetE1EEEvT1_,@function
_ZN7rocprim17ROCPRIM_400000_NS6detail17trampoline_kernelINS0_14default_configENS1_27scan_by_key_config_selectorIxxEEZZNS1_16scan_by_key_implILNS1_25lookback_scan_determinismE0ELb1ES3_N6thrust23THRUST_200600_302600_NS6detail15normal_iteratorINS9_10device_ptrIxEEEESE_SE_xNS9_4plusIvEENS9_8equal_toIxEExEE10hipError_tPvRmT2_T3_T4_T5_mT6_T7_P12ihipStream_tbENKUlT_T0_E_clISt17integral_constantIbLb0EESZ_EEDaSU_SV_EUlSU_E_NS1_11comp_targetILNS1_3genE10ELNS1_11target_archE1201ELNS1_3gpuE5ELNS1_3repE0EEENS1_30default_config_static_selectorELNS0_4arch9wavefront6targetE1EEEvT1_: ; @_ZN7rocprim17ROCPRIM_400000_NS6detail17trampoline_kernelINS0_14default_configENS1_27scan_by_key_config_selectorIxxEEZZNS1_16scan_by_key_implILNS1_25lookback_scan_determinismE0ELb1ES3_N6thrust23THRUST_200600_302600_NS6detail15normal_iteratorINS9_10device_ptrIxEEEESE_SE_xNS9_4plusIvEENS9_8equal_toIxEExEE10hipError_tPvRmT2_T3_T4_T5_mT6_T7_P12ihipStream_tbENKUlT_T0_E_clISt17integral_constantIbLb0EESZ_EEDaSU_SV_EUlSU_E_NS1_11comp_targetILNS1_3genE10ELNS1_11target_archE1201ELNS1_3gpuE5ELNS1_3repE0EEENS1_30default_config_static_selectorELNS0_4arch9wavefront6targetE1EEEvT1_
; %bb.0:
	.section	.rodata,"a",@progbits
	.p2align	6, 0x0
	.amdhsa_kernel _ZN7rocprim17ROCPRIM_400000_NS6detail17trampoline_kernelINS0_14default_configENS1_27scan_by_key_config_selectorIxxEEZZNS1_16scan_by_key_implILNS1_25lookback_scan_determinismE0ELb1ES3_N6thrust23THRUST_200600_302600_NS6detail15normal_iteratorINS9_10device_ptrIxEEEESE_SE_xNS9_4plusIvEENS9_8equal_toIxEExEE10hipError_tPvRmT2_T3_T4_T5_mT6_T7_P12ihipStream_tbENKUlT_T0_E_clISt17integral_constantIbLb0EESZ_EEDaSU_SV_EUlSU_E_NS1_11comp_targetILNS1_3genE10ELNS1_11target_archE1201ELNS1_3gpuE5ELNS1_3repE0EEENS1_30default_config_static_selectorELNS0_4arch9wavefront6targetE1EEEvT1_
		.amdhsa_group_segment_fixed_size 0
		.amdhsa_private_segment_fixed_size 0
		.amdhsa_kernarg_size 136
		.amdhsa_user_sgpr_count 6
		.amdhsa_user_sgpr_private_segment_buffer 1
		.amdhsa_user_sgpr_dispatch_ptr 0
		.amdhsa_user_sgpr_queue_ptr 0
		.amdhsa_user_sgpr_kernarg_segment_ptr 1
		.amdhsa_user_sgpr_dispatch_id 0
		.amdhsa_user_sgpr_flat_scratch_init 0
		.amdhsa_user_sgpr_kernarg_preload_length 0
		.amdhsa_user_sgpr_kernarg_preload_offset 0
		.amdhsa_user_sgpr_private_segment_size 0
		.amdhsa_uses_dynamic_stack 0
		.amdhsa_system_sgpr_private_segment_wavefront_offset 0
		.amdhsa_system_sgpr_workgroup_id_x 1
		.amdhsa_system_sgpr_workgroup_id_y 0
		.amdhsa_system_sgpr_workgroup_id_z 0
		.amdhsa_system_sgpr_workgroup_info 0
		.amdhsa_system_vgpr_workitem_id 0
		.amdhsa_next_free_vgpr 1
		.amdhsa_next_free_sgpr 0
		.amdhsa_accum_offset 4
		.amdhsa_reserve_vcc 0
		.amdhsa_reserve_flat_scratch 0
		.amdhsa_float_round_mode_32 0
		.amdhsa_float_round_mode_16_64 0
		.amdhsa_float_denorm_mode_32 3
		.amdhsa_float_denorm_mode_16_64 3
		.amdhsa_dx10_clamp 1
		.amdhsa_ieee_mode 1
		.amdhsa_fp16_overflow 0
		.amdhsa_tg_split 0
		.amdhsa_exception_fp_ieee_invalid_op 0
		.amdhsa_exception_fp_denorm_src 0
		.amdhsa_exception_fp_ieee_div_zero 0
		.amdhsa_exception_fp_ieee_overflow 0
		.amdhsa_exception_fp_ieee_underflow 0
		.amdhsa_exception_fp_ieee_inexact 0
		.amdhsa_exception_int_div_zero 0
	.end_amdhsa_kernel
	.section	.text._ZN7rocprim17ROCPRIM_400000_NS6detail17trampoline_kernelINS0_14default_configENS1_27scan_by_key_config_selectorIxxEEZZNS1_16scan_by_key_implILNS1_25lookback_scan_determinismE0ELb1ES3_N6thrust23THRUST_200600_302600_NS6detail15normal_iteratorINS9_10device_ptrIxEEEESE_SE_xNS9_4plusIvEENS9_8equal_toIxEExEE10hipError_tPvRmT2_T3_T4_T5_mT6_T7_P12ihipStream_tbENKUlT_T0_E_clISt17integral_constantIbLb0EESZ_EEDaSU_SV_EUlSU_E_NS1_11comp_targetILNS1_3genE10ELNS1_11target_archE1201ELNS1_3gpuE5ELNS1_3repE0EEENS1_30default_config_static_selectorELNS0_4arch9wavefront6targetE1EEEvT1_,"axG",@progbits,_ZN7rocprim17ROCPRIM_400000_NS6detail17trampoline_kernelINS0_14default_configENS1_27scan_by_key_config_selectorIxxEEZZNS1_16scan_by_key_implILNS1_25lookback_scan_determinismE0ELb1ES3_N6thrust23THRUST_200600_302600_NS6detail15normal_iteratorINS9_10device_ptrIxEEEESE_SE_xNS9_4plusIvEENS9_8equal_toIxEExEE10hipError_tPvRmT2_T3_T4_T5_mT6_T7_P12ihipStream_tbENKUlT_T0_E_clISt17integral_constantIbLb0EESZ_EEDaSU_SV_EUlSU_E_NS1_11comp_targetILNS1_3genE10ELNS1_11target_archE1201ELNS1_3gpuE5ELNS1_3repE0EEENS1_30default_config_static_selectorELNS0_4arch9wavefront6targetE1EEEvT1_,comdat
.Lfunc_end426:
	.size	_ZN7rocprim17ROCPRIM_400000_NS6detail17trampoline_kernelINS0_14default_configENS1_27scan_by_key_config_selectorIxxEEZZNS1_16scan_by_key_implILNS1_25lookback_scan_determinismE0ELb1ES3_N6thrust23THRUST_200600_302600_NS6detail15normal_iteratorINS9_10device_ptrIxEEEESE_SE_xNS9_4plusIvEENS9_8equal_toIxEExEE10hipError_tPvRmT2_T3_T4_T5_mT6_T7_P12ihipStream_tbENKUlT_T0_E_clISt17integral_constantIbLb0EESZ_EEDaSU_SV_EUlSU_E_NS1_11comp_targetILNS1_3genE10ELNS1_11target_archE1201ELNS1_3gpuE5ELNS1_3repE0EEENS1_30default_config_static_selectorELNS0_4arch9wavefront6targetE1EEEvT1_, .Lfunc_end426-_ZN7rocprim17ROCPRIM_400000_NS6detail17trampoline_kernelINS0_14default_configENS1_27scan_by_key_config_selectorIxxEEZZNS1_16scan_by_key_implILNS1_25lookback_scan_determinismE0ELb1ES3_N6thrust23THRUST_200600_302600_NS6detail15normal_iteratorINS9_10device_ptrIxEEEESE_SE_xNS9_4plusIvEENS9_8equal_toIxEExEE10hipError_tPvRmT2_T3_T4_T5_mT6_T7_P12ihipStream_tbENKUlT_T0_E_clISt17integral_constantIbLb0EESZ_EEDaSU_SV_EUlSU_E_NS1_11comp_targetILNS1_3genE10ELNS1_11target_archE1201ELNS1_3gpuE5ELNS1_3repE0EEENS1_30default_config_static_selectorELNS0_4arch9wavefront6targetE1EEEvT1_
                                        ; -- End function
	.section	.AMDGPU.csdata,"",@progbits
; Kernel info:
; codeLenInByte = 0
; NumSgprs: 4
; NumVgprs: 0
; NumAgprs: 0
; TotalNumVgprs: 0
; ScratchSize: 0
; MemoryBound: 0
; FloatMode: 240
; IeeeMode: 1
; LDSByteSize: 0 bytes/workgroup (compile time only)
; SGPRBlocks: 0
; VGPRBlocks: 0
; NumSGPRsForWavesPerEU: 4
; NumVGPRsForWavesPerEU: 1
; AccumOffset: 4
; Occupancy: 8
; WaveLimiterHint : 0
; COMPUTE_PGM_RSRC2:SCRATCH_EN: 0
; COMPUTE_PGM_RSRC2:USER_SGPR: 6
; COMPUTE_PGM_RSRC2:TRAP_HANDLER: 0
; COMPUTE_PGM_RSRC2:TGID_X_EN: 1
; COMPUTE_PGM_RSRC2:TGID_Y_EN: 0
; COMPUTE_PGM_RSRC2:TGID_Z_EN: 0
; COMPUTE_PGM_RSRC2:TIDIG_COMP_CNT: 0
; COMPUTE_PGM_RSRC3_GFX90A:ACCUM_OFFSET: 0
; COMPUTE_PGM_RSRC3_GFX90A:TG_SPLIT: 0
	.section	.text._ZN7rocprim17ROCPRIM_400000_NS6detail17trampoline_kernelINS0_14default_configENS1_27scan_by_key_config_selectorIxxEEZZNS1_16scan_by_key_implILNS1_25lookback_scan_determinismE0ELb1ES3_N6thrust23THRUST_200600_302600_NS6detail15normal_iteratorINS9_10device_ptrIxEEEESE_SE_xNS9_4plusIvEENS9_8equal_toIxEExEE10hipError_tPvRmT2_T3_T4_T5_mT6_T7_P12ihipStream_tbENKUlT_T0_E_clISt17integral_constantIbLb0EESZ_EEDaSU_SV_EUlSU_E_NS1_11comp_targetILNS1_3genE5ELNS1_11target_archE942ELNS1_3gpuE9ELNS1_3repE0EEENS1_30default_config_static_selectorELNS0_4arch9wavefront6targetE1EEEvT1_,"axG",@progbits,_ZN7rocprim17ROCPRIM_400000_NS6detail17trampoline_kernelINS0_14default_configENS1_27scan_by_key_config_selectorIxxEEZZNS1_16scan_by_key_implILNS1_25lookback_scan_determinismE0ELb1ES3_N6thrust23THRUST_200600_302600_NS6detail15normal_iteratorINS9_10device_ptrIxEEEESE_SE_xNS9_4plusIvEENS9_8equal_toIxEExEE10hipError_tPvRmT2_T3_T4_T5_mT6_T7_P12ihipStream_tbENKUlT_T0_E_clISt17integral_constantIbLb0EESZ_EEDaSU_SV_EUlSU_E_NS1_11comp_targetILNS1_3genE5ELNS1_11target_archE942ELNS1_3gpuE9ELNS1_3repE0EEENS1_30default_config_static_selectorELNS0_4arch9wavefront6targetE1EEEvT1_,comdat
	.protected	_ZN7rocprim17ROCPRIM_400000_NS6detail17trampoline_kernelINS0_14default_configENS1_27scan_by_key_config_selectorIxxEEZZNS1_16scan_by_key_implILNS1_25lookback_scan_determinismE0ELb1ES3_N6thrust23THRUST_200600_302600_NS6detail15normal_iteratorINS9_10device_ptrIxEEEESE_SE_xNS9_4plusIvEENS9_8equal_toIxEExEE10hipError_tPvRmT2_T3_T4_T5_mT6_T7_P12ihipStream_tbENKUlT_T0_E_clISt17integral_constantIbLb0EESZ_EEDaSU_SV_EUlSU_E_NS1_11comp_targetILNS1_3genE5ELNS1_11target_archE942ELNS1_3gpuE9ELNS1_3repE0EEENS1_30default_config_static_selectorELNS0_4arch9wavefront6targetE1EEEvT1_ ; -- Begin function _ZN7rocprim17ROCPRIM_400000_NS6detail17trampoline_kernelINS0_14default_configENS1_27scan_by_key_config_selectorIxxEEZZNS1_16scan_by_key_implILNS1_25lookback_scan_determinismE0ELb1ES3_N6thrust23THRUST_200600_302600_NS6detail15normal_iteratorINS9_10device_ptrIxEEEESE_SE_xNS9_4plusIvEENS9_8equal_toIxEExEE10hipError_tPvRmT2_T3_T4_T5_mT6_T7_P12ihipStream_tbENKUlT_T0_E_clISt17integral_constantIbLb0EESZ_EEDaSU_SV_EUlSU_E_NS1_11comp_targetILNS1_3genE5ELNS1_11target_archE942ELNS1_3gpuE9ELNS1_3repE0EEENS1_30default_config_static_selectorELNS0_4arch9wavefront6targetE1EEEvT1_
	.globl	_ZN7rocprim17ROCPRIM_400000_NS6detail17trampoline_kernelINS0_14default_configENS1_27scan_by_key_config_selectorIxxEEZZNS1_16scan_by_key_implILNS1_25lookback_scan_determinismE0ELb1ES3_N6thrust23THRUST_200600_302600_NS6detail15normal_iteratorINS9_10device_ptrIxEEEESE_SE_xNS9_4plusIvEENS9_8equal_toIxEExEE10hipError_tPvRmT2_T3_T4_T5_mT6_T7_P12ihipStream_tbENKUlT_T0_E_clISt17integral_constantIbLb0EESZ_EEDaSU_SV_EUlSU_E_NS1_11comp_targetILNS1_3genE5ELNS1_11target_archE942ELNS1_3gpuE9ELNS1_3repE0EEENS1_30default_config_static_selectorELNS0_4arch9wavefront6targetE1EEEvT1_
	.p2align	8
	.type	_ZN7rocprim17ROCPRIM_400000_NS6detail17trampoline_kernelINS0_14default_configENS1_27scan_by_key_config_selectorIxxEEZZNS1_16scan_by_key_implILNS1_25lookback_scan_determinismE0ELb1ES3_N6thrust23THRUST_200600_302600_NS6detail15normal_iteratorINS9_10device_ptrIxEEEESE_SE_xNS9_4plusIvEENS9_8equal_toIxEExEE10hipError_tPvRmT2_T3_T4_T5_mT6_T7_P12ihipStream_tbENKUlT_T0_E_clISt17integral_constantIbLb0EESZ_EEDaSU_SV_EUlSU_E_NS1_11comp_targetILNS1_3genE5ELNS1_11target_archE942ELNS1_3gpuE9ELNS1_3repE0EEENS1_30default_config_static_selectorELNS0_4arch9wavefront6targetE1EEEvT1_,@function
_ZN7rocprim17ROCPRIM_400000_NS6detail17trampoline_kernelINS0_14default_configENS1_27scan_by_key_config_selectorIxxEEZZNS1_16scan_by_key_implILNS1_25lookback_scan_determinismE0ELb1ES3_N6thrust23THRUST_200600_302600_NS6detail15normal_iteratorINS9_10device_ptrIxEEEESE_SE_xNS9_4plusIvEENS9_8equal_toIxEExEE10hipError_tPvRmT2_T3_T4_T5_mT6_T7_P12ihipStream_tbENKUlT_T0_E_clISt17integral_constantIbLb0EESZ_EEDaSU_SV_EUlSU_E_NS1_11comp_targetILNS1_3genE5ELNS1_11target_archE942ELNS1_3gpuE9ELNS1_3repE0EEENS1_30default_config_static_selectorELNS0_4arch9wavefront6targetE1EEEvT1_: ; @_ZN7rocprim17ROCPRIM_400000_NS6detail17trampoline_kernelINS0_14default_configENS1_27scan_by_key_config_selectorIxxEEZZNS1_16scan_by_key_implILNS1_25lookback_scan_determinismE0ELb1ES3_N6thrust23THRUST_200600_302600_NS6detail15normal_iteratorINS9_10device_ptrIxEEEESE_SE_xNS9_4plusIvEENS9_8equal_toIxEExEE10hipError_tPvRmT2_T3_T4_T5_mT6_T7_P12ihipStream_tbENKUlT_T0_E_clISt17integral_constantIbLb0EESZ_EEDaSU_SV_EUlSU_E_NS1_11comp_targetILNS1_3genE5ELNS1_11target_archE942ELNS1_3gpuE9ELNS1_3repE0EEENS1_30default_config_static_selectorELNS0_4arch9wavefront6targetE1EEEvT1_
; %bb.0:
	.section	.rodata,"a",@progbits
	.p2align	6, 0x0
	.amdhsa_kernel _ZN7rocprim17ROCPRIM_400000_NS6detail17trampoline_kernelINS0_14default_configENS1_27scan_by_key_config_selectorIxxEEZZNS1_16scan_by_key_implILNS1_25lookback_scan_determinismE0ELb1ES3_N6thrust23THRUST_200600_302600_NS6detail15normal_iteratorINS9_10device_ptrIxEEEESE_SE_xNS9_4plusIvEENS9_8equal_toIxEExEE10hipError_tPvRmT2_T3_T4_T5_mT6_T7_P12ihipStream_tbENKUlT_T0_E_clISt17integral_constantIbLb0EESZ_EEDaSU_SV_EUlSU_E_NS1_11comp_targetILNS1_3genE5ELNS1_11target_archE942ELNS1_3gpuE9ELNS1_3repE0EEENS1_30default_config_static_selectorELNS0_4arch9wavefront6targetE1EEEvT1_
		.amdhsa_group_segment_fixed_size 0
		.amdhsa_private_segment_fixed_size 0
		.amdhsa_kernarg_size 136
		.amdhsa_user_sgpr_count 6
		.amdhsa_user_sgpr_private_segment_buffer 1
		.amdhsa_user_sgpr_dispatch_ptr 0
		.amdhsa_user_sgpr_queue_ptr 0
		.amdhsa_user_sgpr_kernarg_segment_ptr 1
		.amdhsa_user_sgpr_dispatch_id 0
		.amdhsa_user_sgpr_flat_scratch_init 0
		.amdhsa_user_sgpr_kernarg_preload_length 0
		.amdhsa_user_sgpr_kernarg_preload_offset 0
		.amdhsa_user_sgpr_private_segment_size 0
		.amdhsa_uses_dynamic_stack 0
		.amdhsa_system_sgpr_private_segment_wavefront_offset 0
		.amdhsa_system_sgpr_workgroup_id_x 1
		.amdhsa_system_sgpr_workgroup_id_y 0
		.amdhsa_system_sgpr_workgroup_id_z 0
		.amdhsa_system_sgpr_workgroup_info 0
		.amdhsa_system_vgpr_workitem_id 0
		.amdhsa_next_free_vgpr 1
		.amdhsa_next_free_sgpr 0
		.amdhsa_accum_offset 4
		.amdhsa_reserve_vcc 0
		.amdhsa_reserve_flat_scratch 0
		.amdhsa_float_round_mode_32 0
		.amdhsa_float_round_mode_16_64 0
		.amdhsa_float_denorm_mode_32 3
		.amdhsa_float_denorm_mode_16_64 3
		.amdhsa_dx10_clamp 1
		.amdhsa_ieee_mode 1
		.amdhsa_fp16_overflow 0
		.amdhsa_tg_split 0
		.amdhsa_exception_fp_ieee_invalid_op 0
		.amdhsa_exception_fp_denorm_src 0
		.amdhsa_exception_fp_ieee_div_zero 0
		.amdhsa_exception_fp_ieee_overflow 0
		.amdhsa_exception_fp_ieee_underflow 0
		.amdhsa_exception_fp_ieee_inexact 0
		.amdhsa_exception_int_div_zero 0
	.end_amdhsa_kernel
	.section	.text._ZN7rocprim17ROCPRIM_400000_NS6detail17trampoline_kernelINS0_14default_configENS1_27scan_by_key_config_selectorIxxEEZZNS1_16scan_by_key_implILNS1_25lookback_scan_determinismE0ELb1ES3_N6thrust23THRUST_200600_302600_NS6detail15normal_iteratorINS9_10device_ptrIxEEEESE_SE_xNS9_4plusIvEENS9_8equal_toIxEExEE10hipError_tPvRmT2_T3_T4_T5_mT6_T7_P12ihipStream_tbENKUlT_T0_E_clISt17integral_constantIbLb0EESZ_EEDaSU_SV_EUlSU_E_NS1_11comp_targetILNS1_3genE5ELNS1_11target_archE942ELNS1_3gpuE9ELNS1_3repE0EEENS1_30default_config_static_selectorELNS0_4arch9wavefront6targetE1EEEvT1_,"axG",@progbits,_ZN7rocprim17ROCPRIM_400000_NS6detail17trampoline_kernelINS0_14default_configENS1_27scan_by_key_config_selectorIxxEEZZNS1_16scan_by_key_implILNS1_25lookback_scan_determinismE0ELb1ES3_N6thrust23THRUST_200600_302600_NS6detail15normal_iteratorINS9_10device_ptrIxEEEESE_SE_xNS9_4plusIvEENS9_8equal_toIxEExEE10hipError_tPvRmT2_T3_T4_T5_mT6_T7_P12ihipStream_tbENKUlT_T0_E_clISt17integral_constantIbLb0EESZ_EEDaSU_SV_EUlSU_E_NS1_11comp_targetILNS1_3genE5ELNS1_11target_archE942ELNS1_3gpuE9ELNS1_3repE0EEENS1_30default_config_static_selectorELNS0_4arch9wavefront6targetE1EEEvT1_,comdat
.Lfunc_end427:
	.size	_ZN7rocprim17ROCPRIM_400000_NS6detail17trampoline_kernelINS0_14default_configENS1_27scan_by_key_config_selectorIxxEEZZNS1_16scan_by_key_implILNS1_25lookback_scan_determinismE0ELb1ES3_N6thrust23THRUST_200600_302600_NS6detail15normal_iteratorINS9_10device_ptrIxEEEESE_SE_xNS9_4plusIvEENS9_8equal_toIxEExEE10hipError_tPvRmT2_T3_T4_T5_mT6_T7_P12ihipStream_tbENKUlT_T0_E_clISt17integral_constantIbLb0EESZ_EEDaSU_SV_EUlSU_E_NS1_11comp_targetILNS1_3genE5ELNS1_11target_archE942ELNS1_3gpuE9ELNS1_3repE0EEENS1_30default_config_static_selectorELNS0_4arch9wavefront6targetE1EEEvT1_, .Lfunc_end427-_ZN7rocprim17ROCPRIM_400000_NS6detail17trampoline_kernelINS0_14default_configENS1_27scan_by_key_config_selectorIxxEEZZNS1_16scan_by_key_implILNS1_25lookback_scan_determinismE0ELb1ES3_N6thrust23THRUST_200600_302600_NS6detail15normal_iteratorINS9_10device_ptrIxEEEESE_SE_xNS9_4plusIvEENS9_8equal_toIxEExEE10hipError_tPvRmT2_T3_T4_T5_mT6_T7_P12ihipStream_tbENKUlT_T0_E_clISt17integral_constantIbLb0EESZ_EEDaSU_SV_EUlSU_E_NS1_11comp_targetILNS1_3genE5ELNS1_11target_archE942ELNS1_3gpuE9ELNS1_3repE0EEENS1_30default_config_static_selectorELNS0_4arch9wavefront6targetE1EEEvT1_
                                        ; -- End function
	.section	.AMDGPU.csdata,"",@progbits
; Kernel info:
; codeLenInByte = 0
; NumSgprs: 4
; NumVgprs: 0
; NumAgprs: 0
; TotalNumVgprs: 0
; ScratchSize: 0
; MemoryBound: 0
; FloatMode: 240
; IeeeMode: 1
; LDSByteSize: 0 bytes/workgroup (compile time only)
; SGPRBlocks: 0
; VGPRBlocks: 0
; NumSGPRsForWavesPerEU: 4
; NumVGPRsForWavesPerEU: 1
; AccumOffset: 4
; Occupancy: 8
; WaveLimiterHint : 0
; COMPUTE_PGM_RSRC2:SCRATCH_EN: 0
; COMPUTE_PGM_RSRC2:USER_SGPR: 6
; COMPUTE_PGM_RSRC2:TRAP_HANDLER: 0
; COMPUTE_PGM_RSRC2:TGID_X_EN: 1
; COMPUTE_PGM_RSRC2:TGID_Y_EN: 0
; COMPUTE_PGM_RSRC2:TGID_Z_EN: 0
; COMPUTE_PGM_RSRC2:TIDIG_COMP_CNT: 0
; COMPUTE_PGM_RSRC3_GFX90A:ACCUM_OFFSET: 0
; COMPUTE_PGM_RSRC3_GFX90A:TG_SPLIT: 0
	.section	.text._ZN7rocprim17ROCPRIM_400000_NS6detail17trampoline_kernelINS0_14default_configENS1_27scan_by_key_config_selectorIxxEEZZNS1_16scan_by_key_implILNS1_25lookback_scan_determinismE0ELb1ES3_N6thrust23THRUST_200600_302600_NS6detail15normal_iteratorINS9_10device_ptrIxEEEESE_SE_xNS9_4plusIvEENS9_8equal_toIxEExEE10hipError_tPvRmT2_T3_T4_T5_mT6_T7_P12ihipStream_tbENKUlT_T0_E_clISt17integral_constantIbLb0EESZ_EEDaSU_SV_EUlSU_E_NS1_11comp_targetILNS1_3genE4ELNS1_11target_archE910ELNS1_3gpuE8ELNS1_3repE0EEENS1_30default_config_static_selectorELNS0_4arch9wavefront6targetE1EEEvT1_,"axG",@progbits,_ZN7rocprim17ROCPRIM_400000_NS6detail17trampoline_kernelINS0_14default_configENS1_27scan_by_key_config_selectorIxxEEZZNS1_16scan_by_key_implILNS1_25lookback_scan_determinismE0ELb1ES3_N6thrust23THRUST_200600_302600_NS6detail15normal_iteratorINS9_10device_ptrIxEEEESE_SE_xNS9_4plusIvEENS9_8equal_toIxEExEE10hipError_tPvRmT2_T3_T4_T5_mT6_T7_P12ihipStream_tbENKUlT_T0_E_clISt17integral_constantIbLb0EESZ_EEDaSU_SV_EUlSU_E_NS1_11comp_targetILNS1_3genE4ELNS1_11target_archE910ELNS1_3gpuE8ELNS1_3repE0EEENS1_30default_config_static_selectorELNS0_4arch9wavefront6targetE1EEEvT1_,comdat
	.protected	_ZN7rocprim17ROCPRIM_400000_NS6detail17trampoline_kernelINS0_14default_configENS1_27scan_by_key_config_selectorIxxEEZZNS1_16scan_by_key_implILNS1_25lookback_scan_determinismE0ELb1ES3_N6thrust23THRUST_200600_302600_NS6detail15normal_iteratorINS9_10device_ptrIxEEEESE_SE_xNS9_4plusIvEENS9_8equal_toIxEExEE10hipError_tPvRmT2_T3_T4_T5_mT6_T7_P12ihipStream_tbENKUlT_T0_E_clISt17integral_constantIbLb0EESZ_EEDaSU_SV_EUlSU_E_NS1_11comp_targetILNS1_3genE4ELNS1_11target_archE910ELNS1_3gpuE8ELNS1_3repE0EEENS1_30default_config_static_selectorELNS0_4arch9wavefront6targetE1EEEvT1_ ; -- Begin function _ZN7rocprim17ROCPRIM_400000_NS6detail17trampoline_kernelINS0_14default_configENS1_27scan_by_key_config_selectorIxxEEZZNS1_16scan_by_key_implILNS1_25lookback_scan_determinismE0ELb1ES3_N6thrust23THRUST_200600_302600_NS6detail15normal_iteratorINS9_10device_ptrIxEEEESE_SE_xNS9_4plusIvEENS9_8equal_toIxEExEE10hipError_tPvRmT2_T3_T4_T5_mT6_T7_P12ihipStream_tbENKUlT_T0_E_clISt17integral_constantIbLb0EESZ_EEDaSU_SV_EUlSU_E_NS1_11comp_targetILNS1_3genE4ELNS1_11target_archE910ELNS1_3gpuE8ELNS1_3repE0EEENS1_30default_config_static_selectorELNS0_4arch9wavefront6targetE1EEEvT1_
	.globl	_ZN7rocprim17ROCPRIM_400000_NS6detail17trampoline_kernelINS0_14default_configENS1_27scan_by_key_config_selectorIxxEEZZNS1_16scan_by_key_implILNS1_25lookback_scan_determinismE0ELb1ES3_N6thrust23THRUST_200600_302600_NS6detail15normal_iteratorINS9_10device_ptrIxEEEESE_SE_xNS9_4plusIvEENS9_8equal_toIxEExEE10hipError_tPvRmT2_T3_T4_T5_mT6_T7_P12ihipStream_tbENKUlT_T0_E_clISt17integral_constantIbLb0EESZ_EEDaSU_SV_EUlSU_E_NS1_11comp_targetILNS1_3genE4ELNS1_11target_archE910ELNS1_3gpuE8ELNS1_3repE0EEENS1_30default_config_static_selectorELNS0_4arch9wavefront6targetE1EEEvT1_
	.p2align	8
	.type	_ZN7rocprim17ROCPRIM_400000_NS6detail17trampoline_kernelINS0_14default_configENS1_27scan_by_key_config_selectorIxxEEZZNS1_16scan_by_key_implILNS1_25lookback_scan_determinismE0ELb1ES3_N6thrust23THRUST_200600_302600_NS6detail15normal_iteratorINS9_10device_ptrIxEEEESE_SE_xNS9_4plusIvEENS9_8equal_toIxEExEE10hipError_tPvRmT2_T3_T4_T5_mT6_T7_P12ihipStream_tbENKUlT_T0_E_clISt17integral_constantIbLb0EESZ_EEDaSU_SV_EUlSU_E_NS1_11comp_targetILNS1_3genE4ELNS1_11target_archE910ELNS1_3gpuE8ELNS1_3repE0EEENS1_30default_config_static_selectorELNS0_4arch9wavefront6targetE1EEEvT1_,@function
_ZN7rocprim17ROCPRIM_400000_NS6detail17trampoline_kernelINS0_14default_configENS1_27scan_by_key_config_selectorIxxEEZZNS1_16scan_by_key_implILNS1_25lookback_scan_determinismE0ELb1ES3_N6thrust23THRUST_200600_302600_NS6detail15normal_iteratorINS9_10device_ptrIxEEEESE_SE_xNS9_4plusIvEENS9_8equal_toIxEExEE10hipError_tPvRmT2_T3_T4_T5_mT6_T7_P12ihipStream_tbENKUlT_T0_E_clISt17integral_constantIbLb0EESZ_EEDaSU_SV_EUlSU_E_NS1_11comp_targetILNS1_3genE4ELNS1_11target_archE910ELNS1_3gpuE8ELNS1_3repE0EEENS1_30default_config_static_selectorELNS0_4arch9wavefront6targetE1EEEvT1_: ; @_ZN7rocprim17ROCPRIM_400000_NS6detail17trampoline_kernelINS0_14default_configENS1_27scan_by_key_config_selectorIxxEEZZNS1_16scan_by_key_implILNS1_25lookback_scan_determinismE0ELb1ES3_N6thrust23THRUST_200600_302600_NS6detail15normal_iteratorINS9_10device_ptrIxEEEESE_SE_xNS9_4plusIvEENS9_8equal_toIxEExEE10hipError_tPvRmT2_T3_T4_T5_mT6_T7_P12ihipStream_tbENKUlT_T0_E_clISt17integral_constantIbLb0EESZ_EEDaSU_SV_EUlSU_E_NS1_11comp_targetILNS1_3genE4ELNS1_11target_archE910ELNS1_3gpuE8ELNS1_3repE0EEENS1_30default_config_static_selectorELNS0_4arch9wavefront6targetE1EEEvT1_
; %bb.0:
	s_load_dwordx8 s[52:59], s[4:5], 0x0
	s_load_dwordx2 s[64:65], s[4:5], 0x20
	s_load_dwordx8 s[44:51], s[4:5], 0x30
	s_load_dwordx2 s[66:67], s[4:5], 0x50
	s_load_dword s0, s[4:5], 0x58
	s_load_dwordx4 s[60:63], s[4:5], 0x60
	s_waitcnt lgkmcnt(0)
	s_lshl_b64 s[54:55], s[54:55], 3
	s_add_u32 s2, s52, s54
	s_addc_u32 s3, s53, s55
	s_add_u32 s4, s56, s54
	s_mul_i32 s1, s67, s0
	s_mul_hi_u32 s7, s66, s0
	s_addc_u32 s5, s57, s55
	s_add_i32 s8, s7, s1
	s_mul_i32 s9, s66, s0
	s_mul_i32 s0, s6, 0x4c0
	s_mov_b32 s1, 0
	s_lshl_b64 s[52:53], s[0:1], 3
	s_add_u32 s56, s2, s52
	s_addc_u32 s57, s3, s53
	s_add_u32 s7, s4, s52
	s_addc_u32 s51, s5, s53
	;; [unrolled: 2-line block ×3, first 2 shown]
	s_add_u32 s4, s60, -1
	s_addc_u32 s5, s61, -1
	v_pk_mov_b32 v[2:3], s[4:5], s[4:5] op_sel:[0,1]
	v_cmp_ge_u64_e64 s[0:1], s[0:1], v[2:3]
	s_mov_b64 s[2:3], -1
	s_and_b64 vcc, exec, s[0:1]
	s_mul_i32 s33, s4, 0xfffffb40
	s_waitcnt lgkmcnt(0)
	; wave barrier
	s_cbranch_vccz .LBB428_59
; %bb.1:
	v_pk_mov_b32 v[2:3], s[56:57], s[56:57] op_sel:[0,1]
	flat_load_dwordx2 v[2:3], v[2:3]
	s_add_i32 s70, s33, s50
	v_cmp_gt_u32_e32 vcc, s70, v0
	s_waitcnt vmcnt(0) lgkmcnt(0)
	v_pk_mov_b32 v[4:5], v[2:3], v[2:3] op_sel:[0,1]
	s_and_saveexec_b64 s[4:5], vcc
	s_cbranch_execz .LBB428_3
; %bb.2:
	v_lshlrev_b32_e32 v1, 3, v0
	v_mov_b32_e32 v5, s57
	v_add_co_u32_e64 v4, s[2:3], s56, v1
	v_addc_co_u32_e64 v5, s[2:3], 0, v5, s[2:3]
	flat_load_dwordx2 v[4:5], v[4:5]
.LBB428_3:
	s_or_b64 exec, exec, s[4:5]
	v_or_b32_e32 v1, 64, v0
	v_cmp_gt_u32_e64 s[2:3], s70, v1
	v_pk_mov_b32 v[6:7], v[2:3], v[2:3] op_sel:[0,1]
	s_and_saveexec_b64 s[8:9], s[2:3]
	s_cbranch_execz .LBB428_5
; %bb.4:
	v_lshlrev_b32_e32 v1, 3, v0
	v_mov_b32_e32 v7, s57
	v_add_co_u32_e64 v6, s[4:5], s56, v1
	v_addc_co_u32_e64 v7, s[4:5], 0, v7, s[4:5]
	flat_load_dwordx2 v[6:7], v[6:7] offset:512
.LBB428_5:
	s_or_b64 exec, exec, s[8:9]
	v_or_b32_e32 v1, 0x80, v0
	v_cmp_gt_u32_e64 s[4:5], s70, v1
	v_pk_mov_b32 v[8:9], v[2:3], v[2:3] op_sel:[0,1]
	s_and_saveexec_b64 s[10:11], s[4:5]
	s_cbranch_execz .LBB428_7
; %bb.6:
	v_lshlrev_b32_e32 v1, 3, v0
	v_mov_b32_e32 v9, s57
	v_add_co_u32_e64 v8, s[8:9], s56, v1
	v_addc_co_u32_e64 v9, s[8:9], 0, v9, s[8:9]
	flat_load_dwordx2 v[8:9], v[8:9] offset:1024
.LBB428_7:
	;; [unrolled: 13-line block ×7, first 2 shown]
	s_or_b64 exec, exec, s[18:19]
	v_or_b32_e32 v1, 0x200, v0
	v_cmp_gt_u32_e64 s[16:17], s70, v1
	v_lshlrev_b32_e32 v1, 3, v1
	v_pk_mov_b32 v[20:21], v[2:3], v[2:3] op_sel:[0,1]
	s_and_saveexec_b64 s[20:21], s[16:17]
	s_cbranch_execz .LBB428_19
; %bb.18:
	v_mov_b32_e32 v21, s57
	v_add_co_u32_e64 v20, s[18:19], s56, v1
	v_addc_co_u32_e64 v21, s[18:19], 0, v21, s[18:19]
	flat_load_dwordx2 v[20:21], v[20:21]
.LBB428_19:
	s_or_b64 exec, exec, s[20:21]
	v_or_b32_e32 v22, 0x240, v0
	v_cmp_gt_u32_e64 s[18:19], s70, v22
	v_lshlrev_b32_e32 v60, 3, v22
	v_pk_mov_b32 v[22:23], v[2:3], v[2:3] op_sel:[0,1]
	s_and_saveexec_b64 s[22:23], s[18:19]
	s_cbranch_execz .LBB428_21
; %bb.20:
	v_mov_b32_e32 v23, s57
	v_add_co_u32_e64 v22, s[20:21], s56, v60
	v_addc_co_u32_e64 v23, s[20:21], 0, v23, s[20:21]
	flat_load_dwordx2 v[22:23], v[22:23]
.LBB428_21:
	;; [unrolled: 13-line block ×10, first 2 shown]
	s_or_b64 exec, exec, s[42:43]
	v_or_b32_e32 v40, 0x480, v0
	v_cmp_gt_u32_e64 s[38:39], s70, v40
	v_lshlrev_b32_e32 v82, 3, v40
	s_and_saveexec_b64 s[60:61], s[38:39]
	s_cbranch_execz .LBB428_39
; %bb.38:
	v_mov_b32_e32 v3, s57
	v_add_co_u32_e64 v2, s[42:43], s56, v82
	v_addc_co_u32_e64 v3, s[42:43], 0, v3, s[42:43]
	flat_load_dwordx2 v[2:3], v[2:3]
.LBB428_39:
	s_or_b64 exec, exec, s[60:61]
	v_lshlrev_b32_e32 v83, 3, v0
	s_waitcnt vmcnt(0) lgkmcnt(0)
	ds_write2st64_b64 v83, v[4:5], v[6:7] offset1:1
	ds_write2st64_b64 v83, v[8:9], v[10:11] offset0:2 offset1:3
	ds_write2st64_b64 v83, v[12:13], v[14:15] offset0:4 offset1:5
	ds_write2st64_b64 v83, v[16:17], v[18:19] offset0:6 offset1:7
	ds_write2st64_b64 v83, v[20:21], v[22:23] offset0:8 offset1:9
	ds_write2st64_b64 v83, v[24:25], v[26:27] offset0:10 offset1:11
	ds_write2st64_b64 v83, v[28:29], v[30:31] offset0:12 offset1:13
	ds_write2st64_b64 v83, v[32:33], v[34:35] offset0:14 offset1:15
	ds_write2st64_b64 v83, v[36:37], v[38:39] offset0:16 offset1:17
	ds_write_b64 v83, v[2:3] offset:9216
	v_pk_mov_b32 v[2:3], s[56:57], s[56:57] op_sel:[0,1]
	s_waitcnt lgkmcnt(0)
	; wave barrier
	s_waitcnt lgkmcnt(0)
	flat_load_dwordx2 v[78:79], v[2:3]
	s_movk_i32 s42, 0x90
	v_mad_u32_u24 v80, v0, s42, v83
	s_movk_i32 s42, 0xff70
	v_mad_i32_i24 v38, v0, s42, v80
	v_cmp_ne_u32_e64 s[42:43], 63, v0
	ds_read_b64 v[40:41], v80
	ds_read2_b64 v[34:37], v80 offset0:1 offset1:2
	ds_read2_b64 v[30:33], v80 offset0:3 offset1:4
	;; [unrolled: 1-line block ×9, first 2 shown]
	s_waitcnt lgkmcnt(0)
	ds_write_b64 v38, v[40:41] offset:10240
	s_waitcnt lgkmcnt(0)
	; wave barrier
	s_waitcnt lgkmcnt(0)
	s_and_saveexec_b64 s[60:61], s[42:43]
	s_cbranch_execz .LBB428_41
; %bb.40:
	s_waitcnt vmcnt(0)
	ds_read_b64 v[78:79], v83 offset:10248
.LBB428_41:
	s_or_b64 exec, exec, s[60:61]
	s_waitcnt lgkmcnt(0)
	; wave barrier
	s_waitcnt lgkmcnt(0)
                                        ; implicit-def: $vgpr38_vgpr39
	s_and_saveexec_b64 s[42:43], vcc
	s_cbranch_execz .LBB428_60
; %bb.42:
	v_mov_b32_e32 v39, s51
	v_add_co_u32_e32 v38, vcc, s7, v83
	v_addc_co_u32_e32 v39, vcc, 0, v39, vcc
	flat_load_dwordx2 v[38:39], v[38:39]
	s_or_b64 exec, exec, s[42:43]
                                        ; implicit-def: $vgpr42_vgpr43
	s_and_saveexec_b64 s[42:43], s[2:3]
	s_cbranch_execnz .LBB428_61
.LBB428_43:
	s_or_b64 exec, exec, s[42:43]
                                        ; implicit-def: $vgpr44_vgpr45
	s_and_saveexec_b64 s[2:3], s[4:5]
	s_cbranch_execz .LBB428_62
.LBB428_44:
	v_mov_b32_e32 v45, s51
	v_add_co_u32_e32 v44, vcc, s7, v83
	v_addc_co_u32_e32 v45, vcc, 0, v45, vcc
	flat_load_dwordx2 v[44:45], v[44:45] offset:1024
	s_or_b64 exec, exec, s[2:3]
                                        ; implicit-def: $vgpr46_vgpr47
	s_and_saveexec_b64 s[2:3], s[40:41]
	s_cbranch_execnz .LBB428_63
.LBB428_45:
	s_or_b64 exec, exec, s[2:3]
                                        ; implicit-def: $vgpr48_vgpr49
	s_and_saveexec_b64 s[2:3], s[8:9]
	s_cbranch_execz .LBB428_64
.LBB428_46:
	v_mov_b32_e32 v49, s51
	v_add_co_u32_e32 v48, vcc, s7, v83
	v_addc_co_u32_e32 v49, vcc, 0, v49, vcc
	flat_load_dwordx2 v[48:49], v[48:49] offset:2048
	s_or_b64 exec, exec, s[2:3]
                                        ; implicit-def: $vgpr50_vgpr51
	s_and_saveexec_b64 s[2:3], s[10:11]
	s_cbranch_execnz .LBB428_65
.LBB428_47:
	s_or_b64 exec, exec, s[2:3]
                                        ; implicit-def: $vgpr52_vgpr53
	s_and_saveexec_b64 s[2:3], s[12:13]
	s_cbranch_execz .LBB428_66
.LBB428_48:
	v_mov_b32_e32 v53, s51
	v_add_co_u32_e32 v52, vcc, s7, v83
	v_addc_co_u32_e32 v53, vcc, 0, v53, vcc
	flat_load_dwordx2 v[52:53], v[52:53] offset:3072
	s_or_b64 exec, exec, s[2:3]
                                        ; implicit-def: $vgpr54_vgpr55
	s_and_saveexec_b64 s[2:3], s[14:15]
	s_cbranch_execnz .LBB428_67
.LBB428_49:
	s_or_b64 exec, exec, s[2:3]
                                        ; implicit-def: $vgpr56_vgpr57
	s_and_saveexec_b64 s[2:3], s[16:17]
	s_cbranch_execz .LBB428_68
.LBB428_50:
	v_mov_b32_e32 v57, s51
	v_add_co_u32_e32 v56, vcc, s7, v1
	v_addc_co_u32_e32 v57, vcc, 0, v57, vcc
	flat_load_dwordx2 v[56:57], v[56:57]
	s_or_b64 exec, exec, s[2:3]
                                        ; implicit-def: $vgpr58_vgpr59
	s_and_saveexec_b64 s[2:3], s[18:19]
	s_cbranch_execnz .LBB428_69
.LBB428_51:
	s_or_b64 exec, exec, s[2:3]
                                        ; implicit-def: $vgpr60_vgpr61
	s_and_saveexec_b64 s[2:3], s[20:21]
	s_cbranch_execz .LBB428_70
.LBB428_52:
	v_mov_b32_e32 v1, s51
	v_add_co_u32_e32 v60, vcc, s7, v62
	v_addc_co_u32_e32 v61, vcc, 0, v1, vcc
	flat_load_dwordx2 v[60:61], v[60:61]
	s_or_b64 exec, exec, s[2:3]
                                        ; implicit-def: $vgpr62_vgpr63
	s_and_saveexec_b64 s[2:3], s[22:23]
	s_cbranch_execnz .LBB428_71
.LBB428_53:
	s_or_b64 exec, exec, s[2:3]
                                        ; implicit-def: $vgpr64_vgpr65
	s_and_saveexec_b64 s[2:3], s[24:25]
	s_cbranch_execz .LBB428_72
.LBB428_54:
	v_mov_b32_e32 v1, s51
	v_add_co_u32_e32 v64, vcc, s7, v66
	v_addc_co_u32_e32 v65, vcc, 0, v1, vcc
	flat_load_dwordx2 v[64:65], v[64:65]
	s_or_b64 exec, exec, s[2:3]
                                        ; implicit-def: $vgpr66_vgpr67
	s_and_saveexec_b64 s[2:3], s[26:27]
	s_cbranch_execnz .LBB428_73
.LBB428_55:
	s_or_b64 exec, exec, s[2:3]
                                        ; implicit-def: $vgpr68_vgpr69
	s_and_saveexec_b64 s[2:3], s[28:29]
	s_cbranch_execz .LBB428_74
.LBB428_56:
	v_mov_b32_e32 v1, s51
	v_add_co_u32_e32 v68, vcc, s7, v70
	v_addc_co_u32_e32 v69, vcc, 0, v1, vcc
	flat_load_dwordx2 v[68:69], v[68:69]
	s_or_b64 exec, exec, s[2:3]
                                        ; implicit-def: $vgpr70_vgpr71
	s_and_saveexec_b64 s[2:3], s[30:31]
	s_cbranch_execnz .LBB428_75
.LBB428_57:
	s_or_b64 exec, exec, s[2:3]
                                        ; implicit-def: $vgpr72_vgpr73
	s_and_saveexec_b64 s[2:3], s[34:35]
	s_cbranch_execz .LBB428_76
.LBB428_58:
	v_mov_b32_e32 v1, s51
	v_add_co_u32_e32 v72, vcc, s7, v74
	v_addc_co_u32_e32 v73, vcc, 0, v1, vcc
	flat_load_dwordx2 v[72:73], v[72:73]
	s_or_b64 exec, exec, s[2:3]
                                        ; implicit-def: $vgpr74_vgpr75
	s_and_saveexec_b64 s[2:3], s[36:37]
	s_cbranch_execz .LBB428_78
	s_branch .LBB428_77
.LBB428_59:
	s_mov_b64 s[10:11], 0
                                        ; implicit-def: $sgpr8_sgpr9
                                        ; implicit-def: $vgpr76_vgpr77
                                        ; implicit-def: $vgpr74_vgpr75
                                        ; implicit-def: $vgpr99
                                        ; implicit-def: $vgpr42_vgpr43
                                        ; implicit-def: $vgpr112
                                        ; implicit-def: $vgpr72_vgpr73
                                        ; implicit-def: $vgpr111
                                        ; implicit-def: $vgpr70_vgpr71
                                        ; implicit-def: $vgpr110
                                        ; implicit-def: $vgpr68_vgpr69
                                        ; implicit-def: $vgpr109
                                        ; implicit-def: $vgpr66_vgpr67
                                        ; implicit-def: $vgpr108
                                        ; implicit-def: $vgpr64_vgpr65
                                        ; implicit-def: $vgpr107
                                        ; implicit-def: $vgpr62_vgpr63
                                        ; implicit-def: $vgpr106
                                        ; implicit-def: $vgpr60_vgpr61
                                        ; implicit-def: $vgpr105
                                        ; implicit-def: $vgpr58_vgpr59
                                        ; implicit-def: $vgpr104
                                        ; implicit-def: $vgpr44_vgpr45
                                        ; implicit-def: $vgpr103
                                        ; implicit-def: $vgpr56_vgpr57
                                        ; implicit-def: $vgpr102
                                        ; implicit-def: $vgpr52_vgpr53
                                        ; implicit-def: $vgpr101
                                        ; implicit-def: $vgpr50_vgpr51
                                        ; implicit-def: $vgpr100
                                        ; implicit-def: $vgpr54_vgpr55
                                        ; implicit-def: $vgpr98
                                        ; implicit-def: $vgpr48_vgpr49
                                        ; implicit-def: $vgpr97
                                        ; implicit-def: $vgpr46_vgpr47
                                        ; implicit-def: $vgpr96
                                        ; implicit-def: $vgpr38_vgpr39
                                        ; implicit-def: $vgpr1
                                        ; implicit-def: $sgpr72
                                        ; implicit-def: $sgpr4_sgpr5
	s_and_b64 vcc, exec, s[2:3]
	v_lshlrev_b32_e32 v113, 3, v0
	s_cbranch_vccz .LBB428_124
	s_branch .LBB428_119
.LBB428_60:
	s_or_b64 exec, exec, s[42:43]
                                        ; implicit-def: $vgpr42_vgpr43
	s_and_saveexec_b64 s[42:43], s[2:3]
	s_cbranch_execz .LBB428_43
.LBB428_61:
	v_mov_b32_e32 v43, s51
	v_add_co_u32_e32 v42, vcc, s7, v83
	v_addc_co_u32_e32 v43, vcc, 0, v43, vcc
	flat_load_dwordx2 v[42:43], v[42:43] offset:512
	s_or_b64 exec, exec, s[42:43]
                                        ; implicit-def: $vgpr44_vgpr45
	s_and_saveexec_b64 s[2:3], s[4:5]
	s_cbranch_execnz .LBB428_44
.LBB428_62:
	s_or_b64 exec, exec, s[2:3]
                                        ; implicit-def: $vgpr46_vgpr47
	s_and_saveexec_b64 s[2:3], s[40:41]
	s_cbranch_execz .LBB428_45
.LBB428_63:
	v_mov_b32_e32 v47, s51
	v_add_co_u32_e32 v46, vcc, s7, v83
	v_addc_co_u32_e32 v47, vcc, 0, v47, vcc
	flat_load_dwordx2 v[46:47], v[46:47] offset:1536
	s_or_b64 exec, exec, s[2:3]
                                        ; implicit-def: $vgpr48_vgpr49
	s_and_saveexec_b64 s[2:3], s[8:9]
	s_cbranch_execnz .LBB428_46
.LBB428_64:
	s_or_b64 exec, exec, s[2:3]
                                        ; implicit-def: $vgpr50_vgpr51
	s_and_saveexec_b64 s[2:3], s[10:11]
	s_cbranch_execz .LBB428_47
.LBB428_65:
	v_mov_b32_e32 v51, s51
	v_add_co_u32_e32 v50, vcc, s7, v83
	v_addc_co_u32_e32 v51, vcc, 0, v51, vcc
	flat_load_dwordx2 v[50:51], v[50:51] offset:2560
	s_or_b64 exec, exec, s[2:3]
                                        ; implicit-def: $vgpr52_vgpr53
	s_and_saveexec_b64 s[2:3], s[12:13]
	s_cbranch_execnz .LBB428_48
.LBB428_66:
	s_or_b64 exec, exec, s[2:3]
                                        ; implicit-def: $vgpr54_vgpr55
	s_and_saveexec_b64 s[2:3], s[14:15]
	s_cbranch_execz .LBB428_49
.LBB428_67:
	v_mov_b32_e32 v55, s51
	v_add_co_u32_e32 v54, vcc, s7, v83
	v_addc_co_u32_e32 v55, vcc, 0, v55, vcc
	flat_load_dwordx2 v[54:55], v[54:55] offset:3584
	s_or_b64 exec, exec, s[2:3]
                                        ; implicit-def: $vgpr56_vgpr57
	s_and_saveexec_b64 s[2:3], s[16:17]
	s_cbranch_execnz .LBB428_50
.LBB428_68:
	s_or_b64 exec, exec, s[2:3]
                                        ; implicit-def: $vgpr58_vgpr59
	s_and_saveexec_b64 s[2:3], s[18:19]
	s_cbranch_execz .LBB428_51
.LBB428_69:
	v_mov_b32_e32 v1, s51
	v_add_co_u32_e32 v58, vcc, s7, v60
	v_addc_co_u32_e32 v59, vcc, 0, v1, vcc
	flat_load_dwordx2 v[58:59], v[58:59]
	s_or_b64 exec, exec, s[2:3]
                                        ; implicit-def: $vgpr60_vgpr61
	s_and_saveexec_b64 s[2:3], s[20:21]
	s_cbranch_execnz .LBB428_52
.LBB428_70:
	s_or_b64 exec, exec, s[2:3]
                                        ; implicit-def: $vgpr62_vgpr63
	s_and_saveexec_b64 s[2:3], s[22:23]
	s_cbranch_execz .LBB428_53
.LBB428_71:
	v_mov_b32_e32 v1, s51
	v_add_co_u32_e32 v62, vcc, s7, v64
	v_addc_co_u32_e32 v63, vcc, 0, v1, vcc
	flat_load_dwordx2 v[62:63], v[62:63]
	s_or_b64 exec, exec, s[2:3]
                                        ; implicit-def: $vgpr64_vgpr65
	s_and_saveexec_b64 s[2:3], s[24:25]
	s_cbranch_execnz .LBB428_54
.LBB428_72:
	s_or_b64 exec, exec, s[2:3]
                                        ; implicit-def: $vgpr66_vgpr67
	s_and_saveexec_b64 s[2:3], s[26:27]
	s_cbranch_execz .LBB428_55
.LBB428_73:
	v_mov_b32_e32 v1, s51
	v_add_co_u32_e32 v66, vcc, s7, v68
	v_addc_co_u32_e32 v67, vcc, 0, v1, vcc
	flat_load_dwordx2 v[66:67], v[66:67]
	s_or_b64 exec, exec, s[2:3]
                                        ; implicit-def: $vgpr68_vgpr69
	s_and_saveexec_b64 s[2:3], s[28:29]
	s_cbranch_execnz .LBB428_56
.LBB428_74:
	s_or_b64 exec, exec, s[2:3]
                                        ; implicit-def: $vgpr70_vgpr71
	s_and_saveexec_b64 s[2:3], s[30:31]
	s_cbranch_execz .LBB428_57
.LBB428_75:
	v_mov_b32_e32 v1, s51
	v_add_co_u32_e32 v70, vcc, s7, v72
	v_addc_co_u32_e32 v71, vcc, 0, v1, vcc
	flat_load_dwordx2 v[70:71], v[70:71]
	s_or_b64 exec, exec, s[2:3]
                                        ; implicit-def: $vgpr72_vgpr73
	s_and_saveexec_b64 s[2:3], s[34:35]
	s_cbranch_execnz .LBB428_58
.LBB428_76:
	s_or_b64 exec, exec, s[2:3]
                                        ; implicit-def: $vgpr74_vgpr75
	s_and_saveexec_b64 s[2:3], s[36:37]
	s_cbranch_execz .LBB428_78
.LBB428_77:
	v_mov_b32_e32 v1, s51
	v_add_co_u32_e32 v74, vcc, s7, v76
	v_addc_co_u32_e32 v75, vcc, 0, v1, vcc
	flat_load_dwordx2 v[74:75], v[74:75]
.LBB428_78:
	s_or_b64 exec, exec, s[2:3]
	v_mul_u32_u24_e32 v81, 19, v0
                                        ; implicit-def: $vgpr76_vgpr77
	s_and_saveexec_b64 s[2:3], s[38:39]
	s_cbranch_execz .LBB428_80
; %bb.79:
	v_mov_b32_e32 v1, s51
	v_add_co_u32_e32 v76, vcc, s7, v82
	v_addc_co_u32_e32 v77, vcc, 0, v1, vcc
	flat_load_dwordx2 v[76:77], v[76:77]
.LBB428_80:
	s_or_b64 exec, exec, s[2:3]
	s_waitcnt vmcnt(0) lgkmcnt(0)
	ds_write2st64_b64 v83, v[38:39], v[42:43] offset1:1
	ds_write2st64_b64 v83, v[44:45], v[46:47] offset0:2 offset1:3
	ds_write2st64_b64 v83, v[48:49], v[50:51] offset0:4 offset1:5
	;; [unrolled: 1-line block ×8, first 2 shown]
	ds_write_b64 v83, v[76:77] offset:9216
	v_pk_mov_b32 v[74:75], 0, 0
	v_cmp_gt_u32_e32 vcc, s70, v81
	s_mov_b64 s[10:11], 0
	s_mov_b32 s72, 0
	s_mov_b64 s[2:3], 0
	v_mov_b32_e32 v99, 0
	v_pk_mov_b32 v[42:43], v[74:75], v[74:75] op_sel:[0,1]
	v_mov_b32_e32 v112, 0
	v_pk_mov_b32 v[72:73], v[74:75], v[74:75] op_sel:[0,1]
	;; [unrolled: 2-line block ×17, first 2 shown]
	v_mov_b32_e32 v1, 0
	s_waitcnt lgkmcnt(0)
	; wave barrier
	s_waitcnt lgkmcnt(0)
                                        ; implicit-def: $sgpr8_sgpr9
                                        ; implicit-def: $vgpr76_vgpr77
	s_and_saveexec_b64 s[4:5], vcc
	s_cbranch_execz .LBB428_118
; %bb.81:
	ds_read_b64 v[38:39], v80
	v_cmp_ne_u64_e32 vcc, v[40:41], v[34:35]
	v_mov_b32_e32 v40, s65
	v_add_u32_e32 v42, 1, v81
	v_cndmask_b32_e64 v1, 0, 1, vcc
	s_waitcnt lgkmcnt(0)
	v_cndmask_b32_e32 v75, v39, v40, vcc
	v_mov_b32_e32 v39, s64
	v_cndmask_b32_e32 v74, v38, v39, vcc
	v_cmp_gt_u32_e32 vcc, s70, v42
	v_pk_mov_b32 v[42:43], 0, 0
	s_mov_b64 s[12:13], 0
	v_mov_b32_e32 v99, 0
	v_mov_b32_e32 v112, 0
	v_pk_mov_b32 v[72:73], v[42:43], v[42:43] op_sel:[0,1]
	v_mov_b32_e32 v111, 0
	v_pk_mov_b32 v[70:71], v[42:43], v[42:43] op_sel:[0,1]
	;; [unrolled: 2-line block ×16, first 2 shown]
                                        ; implicit-def: $sgpr14_sgpr15
                                        ; implicit-def: $vgpr76_vgpr77
	s_and_saveexec_b64 s[8:9], vcc
	s_cbranch_execz .LBB428_117
; %bb.82:
	ds_read2_b64 v[38:41], v80 offset0:1 offset1:2
	v_cmp_ne_u64_e32 vcc, v[34:35], v[36:37]
	v_mov_b32_e32 v34, s65
	v_add_u32_e32 v42, 2, v81
	v_cndmask_b32_e64 v96, 0, 1, vcc
	s_waitcnt lgkmcnt(0)
	v_cndmask_b32_e32 v39, v39, v34, vcc
	v_mov_b32_e32 v34, s64
	v_cndmask_b32_e32 v38, v38, v34, vcc
	v_cmp_gt_u32_e32 vcc, s70, v42
	v_pk_mov_b32 v[42:43], 0, 0
	s_mov_b64 s[14:15], 0
	v_mov_b32_e32 v99, 0
	v_mov_b32_e32 v112, 0
	v_pk_mov_b32 v[72:73], v[42:43], v[42:43] op_sel:[0,1]
	v_mov_b32_e32 v111, 0
	v_pk_mov_b32 v[70:71], v[42:43], v[42:43] op_sel:[0,1]
	v_mov_b32_e32 v110, 0
	v_pk_mov_b32 v[68:69], v[42:43], v[42:43] op_sel:[0,1]
	v_mov_b32_e32 v109, 0
	v_pk_mov_b32 v[66:67], v[42:43], v[42:43] op_sel:[0,1]
	v_mov_b32_e32 v108, 0
	v_pk_mov_b32 v[64:65], v[42:43], v[42:43] op_sel:[0,1]
	v_mov_b32_e32 v107, 0
	v_pk_mov_b32 v[62:63], v[42:43], v[42:43] op_sel:[0,1]
	v_mov_b32_e32 v106, 0
	v_pk_mov_b32 v[60:61], v[42:43], v[42:43] op_sel:[0,1]
	v_mov_b32_e32 v105, 0
	v_pk_mov_b32 v[58:59], v[42:43], v[42:43] op_sel:[0,1]
	v_mov_b32_e32 v104, 0
	v_pk_mov_b32 v[44:45], v[42:43], v[42:43] op_sel:[0,1]
	v_mov_b32_e32 v103, 0
	v_pk_mov_b32 v[56:57], v[42:43], v[42:43] op_sel:[0,1]
	v_mov_b32_e32 v102, 0
	v_pk_mov_b32 v[52:53], v[42:43], v[42:43] op_sel:[0,1]
	v_mov_b32_e32 v101, 0
	v_pk_mov_b32 v[50:51], v[42:43], v[42:43] op_sel:[0,1]
	v_mov_b32_e32 v100, 0
	v_pk_mov_b32 v[54:55], v[42:43], v[42:43] op_sel:[0,1]
	v_mov_b32_e32 v98, 0
	v_pk_mov_b32 v[48:49], v[42:43], v[42:43] op_sel:[0,1]
	v_mov_b32_e32 v97, 0
	v_pk_mov_b32 v[46:47], v[42:43], v[42:43] op_sel:[0,1]
                                        ; implicit-def: $sgpr16_sgpr17
                                        ; implicit-def: $vgpr76_vgpr77
	s_and_saveexec_b64 s[10:11], vcc
	s_cbranch_execz .LBB428_116
; %bb.83:
	v_cmp_ne_u64_e32 vcc, v[36:37], v[30:31]
	v_mov_b32_e32 v35, s65
	v_add_u32_e32 v34, 3, v81
	v_cndmask_b32_e32 v47, v41, v35, vcc
	v_mov_b32_e32 v35, s64
	v_pk_mov_b32 v[42:43], 0, 0
	v_cndmask_b32_e64 v97, 0, 1, vcc
	v_cndmask_b32_e32 v46, v40, v35, vcc
	v_cmp_gt_u32_e32 vcc, s70, v34
	s_mov_b64 s[16:17], 0
	v_mov_b32_e32 v99, 0
	v_mov_b32_e32 v112, 0
	v_pk_mov_b32 v[72:73], v[42:43], v[42:43] op_sel:[0,1]
	v_mov_b32_e32 v111, 0
	v_pk_mov_b32 v[70:71], v[42:43], v[42:43] op_sel:[0,1]
	;; [unrolled: 2-line block ×14, first 2 shown]
                                        ; implicit-def: $sgpr18_sgpr19
                                        ; implicit-def: $vgpr76_vgpr77
	s_and_saveexec_b64 s[12:13], vcc
	s_cbranch_execz .LBB428_115
; %bb.84:
	ds_read2_b64 v[34:37], v80 offset0:3 offset1:4
	v_cmp_ne_u64_e32 vcc, v[30:31], v[32:33]
	v_mov_b32_e32 v30, s65
	v_add_u32_e32 v40, 4, v81
	v_pk_mov_b32 v[42:43], 0, 0
	s_waitcnt lgkmcnt(0)
	v_cndmask_b32_e32 v49, v35, v30, vcc
	v_mov_b32_e32 v30, s64
	v_cndmask_b32_e64 v98, 0, 1, vcc
	v_cndmask_b32_e32 v48, v34, v30, vcc
	v_cmp_gt_u32_e32 vcc, s70, v40
	s_mov_b64 s[18:19], 0
	v_mov_b32_e32 v99, 0
	v_mov_b32_e32 v112, 0
	v_pk_mov_b32 v[72:73], v[42:43], v[42:43] op_sel:[0,1]
	v_mov_b32_e32 v111, 0
	v_pk_mov_b32 v[70:71], v[42:43], v[42:43] op_sel:[0,1]
	;; [unrolled: 2-line block ×13, first 2 shown]
                                        ; implicit-def: $sgpr20_sgpr21
                                        ; implicit-def: $vgpr76_vgpr77
	s_and_saveexec_b64 s[14:15], vcc
	s_cbranch_execz .LBB428_114
; %bb.85:
	v_cmp_ne_u64_e32 vcc, v[32:33], v[26:27]
	v_mov_b32_e32 v31, s65
	v_add_u32_e32 v30, 5, v81
	v_cndmask_b32_e32 v55, v37, v31, vcc
	v_mov_b32_e32 v31, s64
	v_pk_mov_b32 v[42:43], 0, 0
	v_cndmask_b32_e64 v100, 0, 1, vcc
	v_cndmask_b32_e32 v54, v36, v31, vcc
	v_cmp_gt_u32_e32 vcc, s70, v30
	s_mov_b64 s[20:21], 0
	v_mov_b32_e32 v99, 0
	v_mov_b32_e32 v112, 0
	v_pk_mov_b32 v[72:73], v[42:43], v[42:43] op_sel:[0,1]
	v_mov_b32_e32 v111, 0
	v_pk_mov_b32 v[70:71], v[42:43], v[42:43] op_sel:[0,1]
	;; [unrolled: 2-line block ×12, first 2 shown]
                                        ; implicit-def: $sgpr22_sgpr23
                                        ; implicit-def: $vgpr76_vgpr77
	s_and_saveexec_b64 s[16:17], vcc
	s_cbranch_execz .LBB428_113
; %bb.86:
	ds_read2_b64 v[30:33], v80 offset0:5 offset1:6
	v_cmp_ne_u64_e32 vcc, v[26:27], v[28:29]
	v_mov_b32_e32 v26, s65
	v_add_u32_e32 v34, 6, v81
	v_pk_mov_b32 v[42:43], 0, 0
	s_waitcnt lgkmcnt(0)
	v_cndmask_b32_e32 v51, v31, v26, vcc
	v_mov_b32_e32 v26, s64
	v_cndmask_b32_e64 v101, 0, 1, vcc
	v_cndmask_b32_e32 v50, v30, v26, vcc
	v_cmp_gt_u32_e32 vcc, s70, v34
	s_mov_b64 s[22:23], 0
	v_mov_b32_e32 v99, 0
	v_mov_b32_e32 v112, 0
	v_pk_mov_b32 v[72:73], v[42:43], v[42:43] op_sel:[0,1]
	v_mov_b32_e32 v111, 0
	v_pk_mov_b32 v[70:71], v[42:43], v[42:43] op_sel:[0,1]
	;; [unrolled: 2-line block ×11, first 2 shown]
                                        ; implicit-def: $sgpr24_sgpr25
                                        ; implicit-def: $vgpr76_vgpr77
	s_and_saveexec_b64 s[18:19], vcc
	s_cbranch_execz .LBB428_112
; %bb.87:
	v_cmp_ne_u64_e32 vcc, v[28:29], v[22:23]
	v_mov_b32_e32 v27, s65
	v_add_u32_e32 v26, 7, v81
	v_cndmask_b32_e32 v53, v33, v27, vcc
	v_mov_b32_e32 v27, s64
	v_pk_mov_b32 v[42:43], 0, 0
	v_cndmask_b32_e64 v102, 0, 1, vcc
	v_cndmask_b32_e32 v52, v32, v27, vcc
	v_cmp_gt_u32_e32 vcc, s70, v26
	s_mov_b64 s[24:25], 0
	v_mov_b32_e32 v99, 0
	v_mov_b32_e32 v112, 0
	v_pk_mov_b32 v[72:73], v[42:43], v[42:43] op_sel:[0,1]
	v_mov_b32_e32 v111, 0
	v_pk_mov_b32 v[70:71], v[42:43], v[42:43] op_sel:[0,1]
	;; [unrolled: 2-line block ×10, first 2 shown]
                                        ; implicit-def: $sgpr26_sgpr27
                                        ; implicit-def: $vgpr76_vgpr77
	s_and_saveexec_b64 s[20:21], vcc
	s_cbranch_execz .LBB428_111
; %bb.88:
	ds_read2_b64 v[26:29], v80 offset0:7 offset1:8
	v_cmp_ne_u64_e32 vcc, v[22:23], v[24:25]
	v_mov_b32_e32 v22, s65
	v_add_u32_e32 v30, 8, v81
	v_pk_mov_b32 v[42:43], 0, 0
	s_waitcnt lgkmcnt(0)
	v_cndmask_b32_e32 v57, v27, v22, vcc
	v_mov_b32_e32 v22, s64
	v_cndmask_b32_e64 v103, 0, 1, vcc
	v_cndmask_b32_e32 v56, v26, v22, vcc
	v_cmp_gt_u32_e32 vcc, s70, v30
	s_mov_b64 s[26:27], 0
	v_mov_b32_e32 v99, 0
	v_mov_b32_e32 v112, 0
	v_pk_mov_b32 v[72:73], v[42:43], v[42:43] op_sel:[0,1]
	v_mov_b32_e32 v111, 0
	v_pk_mov_b32 v[70:71], v[42:43], v[42:43] op_sel:[0,1]
	;; [unrolled: 2-line block ×9, first 2 shown]
                                        ; implicit-def: $sgpr28_sgpr29
                                        ; implicit-def: $vgpr76_vgpr77
	s_and_saveexec_b64 s[22:23], vcc
	s_cbranch_execz .LBB428_110
; %bb.89:
	v_cmp_ne_u64_e32 vcc, v[24:25], v[18:19]
	v_mov_b32_e32 v23, s65
	v_add_u32_e32 v22, 9, v81
	v_cndmask_b32_e32 v45, v29, v23, vcc
	v_mov_b32_e32 v23, s64
	v_pk_mov_b32 v[42:43], 0, 0
	v_cndmask_b32_e64 v104, 0, 1, vcc
	v_cndmask_b32_e32 v44, v28, v23, vcc
	v_cmp_gt_u32_e32 vcc, s70, v22
	s_mov_b64 s[28:29], 0
	v_mov_b32_e32 v99, 0
	v_mov_b32_e32 v112, 0
	v_pk_mov_b32 v[72:73], v[42:43], v[42:43] op_sel:[0,1]
	v_mov_b32_e32 v111, 0
	v_pk_mov_b32 v[70:71], v[42:43], v[42:43] op_sel:[0,1]
	;; [unrolled: 2-line block ×8, first 2 shown]
                                        ; implicit-def: $sgpr30_sgpr31
                                        ; implicit-def: $vgpr76_vgpr77
	s_and_saveexec_b64 s[24:25], vcc
	s_cbranch_execz .LBB428_109
; %bb.90:
	ds_read2_b64 v[22:25], v80 offset0:9 offset1:10
	v_cmp_ne_u64_e32 vcc, v[18:19], v[20:21]
	v_mov_b32_e32 v18, s65
	v_add_u32_e32 v26, 10, v81
	v_pk_mov_b32 v[42:43], 0, 0
	s_waitcnt lgkmcnt(0)
	v_cndmask_b32_e32 v59, v23, v18, vcc
	v_mov_b32_e32 v18, s64
	v_cndmask_b32_e64 v105, 0, 1, vcc
	v_cndmask_b32_e32 v58, v22, v18, vcc
	v_cmp_gt_u32_e32 vcc, s70, v26
	s_mov_b64 s[30:31], 0
	v_mov_b32_e32 v99, 0
	v_mov_b32_e32 v112, 0
	v_pk_mov_b32 v[72:73], v[42:43], v[42:43] op_sel:[0,1]
	v_mov_b32_e32 v111, 0
	v_pk_mov_b32 v[70:71], v[42:43], v[42:43] op_sel:[0,1]
	;; [unrolled: 2-line block ×7, first 2 shown]
                                        ; implicit-def: $sgpr34_sgpr35
                                        ; implicit-def: $vgpr76_vgpr77
	s_and_saveexec_b64 s[26:27], vcc
	s_cbranch_execz .LBB428_108
; %bb.91:
	v_cmp_ne_u64_e32 vcc, v[20:21], v[14:15]
	v_mov_b32_e32 v19, s65
	v_add_u32_e32 v18, 11, v81
	v_cndmask_b32_e32 v61, v25, v19, vcc
	v_mov_b32_e32 v19, s64
	v_pk_mov_b32 v[42:43], 0, 0
	v_cndmask_b32_e64 v106, 0, 1, vcc
	v_cndmask_b32_e32 v60, v24, v19, vcc
	v_cmp_gt_u32_e32 vcc, s70, v18
	s_mov_b64 s[34:35], 0
	v_mov_b32_e32 v99, 0
	v_mov_b32_e32 v112, 0
	v_pk_mov_b32 v[72:73], v[42:43], v[42:43] op_sel:[0,1]
	v_mov_b32_e32 v111, 0
	v_pk_mov_b32 v[70:71], v[42:43], v[42:43] op_sel:[0,1]
	;; [unrolled: 2-line block ×6, first 2 shown]
                                        ; implicit-def: $sgpr36_sgpr37
                                        ; implicit-def: $vgpr76_vgpr77
	s_and_saveexec_b64 s[28:29], vcc
	s_cbranch_execz .LBB428_107
; %bb.92:
	ds_read2_b64 v[18:21], v80 offset0:11 offset1:12
	v_cmp_ne_u64_e32 vcc, v[14:15], v[16:17]
	v_mov_b32_e32 v14, s65
	v_add_u32_e32 v22, 12, v81
	v_pk_mov_b32 v[42:43], 0, 0
	s_waitcnt lgkmcnt(0)
	v_cndmask_b32_e32 v63, v19, v14, vcc
	v_mov_b32_e32 v14, s64
	v_cndmask_b32_e64 v107, 0, 1, vcc
	v_cndmask_b32_e32 v62, v18, v14, vcc
	v_cmp_gt_u32_e32 vcc, s70, v22
	s_mov_b64 s[36:37], 0
	v_mov_b32_e32 v99, 0
	v_mov_b32_e32 v112, 0
	v_pk_mov_b32 v[72:73], v[42:43], v[42:43] op_sel:[0,1]
	v_mov_b32_e32 v111, 0
	v_pk_mov_b32 v[70:71], v[42:43], v[42:43] op_sel:[0,1]
	;; [unrolled: 2-line block ×5, first 2 shown]
                                        ; implicit-def: $sgpr38_sgpr39
                                        ; implicit-def: $vgpr76_vgpr77
	s_and_saveexec_b64 s[30:31], vcc
	s_cbranch_execz .LBB428_106
; %bb.93:
	v_cmp_ne_u64_e32 vcc, v[16:17], v[10:11]
	v_mov_b32_e32 v15, s65
	v_add_u32_e32 v14, 13, v81
	v_cndmask_b32_e32 v65, v21, v15, vcc
	v_mov_b32_e32 v15, s64
	v_pk_mov_b32 v[42:43], 0, 0
	v_cndmask_b32_e64 v108, 0, 1, vcc
	v_cndmask_b32_e32 v64, v20, v15, vcc
	v_cmp_gt_u32_e32 vcc, s70, v14
	s_mov_b64 s[38:39], 0
	v_mov_b32_e32 v99, 0
	v_mov_b32_e32 v112, 0
	v_pk_mov_b32 v[72:73], v[42:43], v[42:43] op_sel:[0,1]
	v_mov_b32_e32 v111, 0
	v_pk_mov_b32 v[70:71], v[42:43], v[42:43] op_sel:[0,1]
	;; [unrolled: 2-line block ×4, first 2 shown]
                                        ; implicit-def: $sgpr40_sgpr41
                                        ; implicit-def: $vgpr76_vgpr77
	s_and_saveexec_b64 s[34:35], vcc
	s_cbranch_execz .LBB428_105
; %bb.94:
	ds_read2_b64 v[14:17], v80 offset0:13 offset1:14
	v_cmp_ne_u64_e32 vcc, v[10:11], v[12:13]
	v_mov_b32_e32 v10, s65
	v_add_u32_e32 v18, 14, v81
	v_pk_mov_b32 v[42:43], 0, 0
	s_waitcnt lgkmcnt(0)
	v_cndmask_b32_e32 v67, v15, v10, vcc
	v_mov_b32_e32 v10, s64
	v_cndmask_b32_e64 v109, 0, 1, vcc
	v_cndmask_b32_e32 v66, v14, v10, vcc
	v_cmp_gt_u32_e32 vcc, s70, v18
	s_mov_b64 s[40:41], 0
	v_mov_b32_e32 v99, 0
	v_mov_b32_e32 v112, 0
	v_pk_mov_b32 v[72:73], v[42:43], v[42:43] op_sel:[0,1]
	v_mov_b32_e32 v111, 0
	v_pk_mov_b32 v[70:71], v[42:43], v[42:43] op_sel:[0,1]
	;; [unrolled: 2-line block ×3, first 2 shown]
                                        ; implicit-def: $sgpr42_sgpr43
                                        ; implicit-def: $vgpr76_vgpr77
	s_and_saveexec_b64 s[36:37], vcc
	s_cbranch_execz .LBB428_104
; %bb.95:
	v_cmp_ne_u64_e32 vcc, v[12:13], v[6:7]
	v_mov_b32_e32 v11, s65
	v_add_u32_e32 v10, 15, v81
	v_cndmask_b32_e32 v69, v17, v11, vcc
	v_mov_b32_e32 v11, s64
	v_pk_mov_b32 v[42:43], 0, 0
	v_cndmask_b32_e64 v110, 0, 1, vcc
	v_cndmask_b32_e32 v68, v16, v11, vcc
	v_cmp_gt_u32_e32 vcc, s70, v10
	s_mov_b64 s[42:43], 0
	v_mov_b32_e32 v99, 0
	v_mov_b32_e32 v112, 0
	v_pk_mov_b32 v[72:73], v[42:43], v[42:43] op_sel:[0,1]
	v_mov_b32_e32 v111, 0
	v_pk_mov_b32 v[70:71], v[42:43], v[42:43] op_sel:[0,1]
                                        ; implicit-def: $sgpr60_sgpr61
                                        ; implicit-def: $vgpr76_vgpr77
	s_and_saveexec_b64 s[38:39], vcc
	s_cbranch_execz .LBB428_103
; %bb.96:
	ds_read2_b64 v[10:13], v80 offset0:15 offset1:16
	v_cmp_ne_u64_e32 vcc, v[6:7], v[8:9]
	v_mov_b32_e32 v6, s65
	v_add_u32_e32 v14, 16, v81
	v_pk_mov_b32 v[42:43], 0, 0
	s_waitcnt lgkmcnt(0)
	v_cndmask_b32_e32 v71, v11, v6, vcc
	v_mov_b32_e32 v6, s64
	v_cndmask_b32_e64 v111, 0, 1, vcc
	v_cndmask_b32_e32 v70, v10, v6, vcc
	v_cmp_gt_u32_e32 vcc, s70, v14
	s_mov_b64 s[60:61], 0
	v_mov_b32_e32 v99, 0
	v_mov_b32_e32 v112, 0
	v_pk_mov_b32 v[72:73], v[42:43], v[42:43] op_sel:[0,1]
                                        ; implicit-def: $sgpr68_sgpr69
                                        ; implicit-def: $vgpr76_vgpr77
	s_and_saveexec_b64 s[40:41], vcc
	s_cbranch_execz .LBB428_102
; %bb.97:
	v_cmp_ne_u64_e32 vcc, v[8:9], v[2:3]
	v_mov_b32_e32 v7, s65
	v_add_u32_e32 v6, 17, v81
	v_cndmask_b32_e32 v73, v13, v7, vcc
	v_mov_b32_e32 v7, s64
	v_cndmask_b32_e64 v112, 0, 1, vcc
	v_cndmask_b32_e32 v72, v12, v7, vcc
	v_cmp_gt_u32_e32 vcc, s70, v6
	v_mov_b32_e32 v99, 0
	v_pk_mov_b32 v[42:43], 0, 0
                                        ; implicit-def: $sgpr68_sgpr69
                                        ; implicit-def: $vgpr76_vgpr77
	s_and_saveexec_b64 s[42:43], vcc
	s_cbranch_execz .LBB428_101
; %bb.98:
	ds_read2_b64 v[6:9], v80 offset0:17 offset1:18
	v_cmp_ne_u64_e32 vcc, v[2:3], v[4:5]
	v_mov_b32_e32 v2, s65
	v_add_u32_e32 v10, 18, v81
	v_cndmask_b32_e64 v99, 0, 1, vcc
	s_waitcnt lgkmcnt(0)
	v_cndmask_b32_e32 v43, v7, v2, vcc
	v_mov_b32_e32 v2, s64
	v_cndmask_b32_e32 v42, v6, v2, vcc
	v_cmp_gt_u32_e32 vcc, s70, v10
                                        ; implicit-def: $sgpr68_sgpr69
                                        ; implicit-def: $vgpr76_vgpr77
	s_and_saveexec_b64 s[70:71], vcc
	s_xor_b64 s[70:71], exec, s[70:71]
; %bb.99:
	v_mov_b32_e32 v2, s65
	v_cmp_ne_u64_e32 vcc, v[4:5], v[78:79]
	v_cndmask_b32_e32 v77, v9, v2, vcc
	v_mov_b32_e32 v2, s64
	s_mov_b64 s[60:61], exec
	v_cndmask_b32_e32 v76, v8, v2, vcc
	s_and_b64 s[68:69], vcc, exec
; %bb.100:
	s_or_b64 exec, exec, s[70:71]
	s_and_b64 s[68:69], s[68:69], exec
	s_and_b64 s[60:61], s[60:61], exec
.LBB428_101:
	s_or_b64 exec, exec, s[42:43]
	s_and_b64 s[68:69], s[68:69], exec
	s_and_b64 s[42:43], s[60:61], exec
.LBB428_102:
	s_or_b64 exec, exec, s[40:41]
	s_and_b64 s[60:61], s[68:69], exec
	s_and_b64 s[40:41], s[42:43], exec
.LBB428_103:
	s_or_b64 exec, exec, s[38:39]
	s_and_b64 s[42:43], s[60:61], exec
	s_and_b64 s[38:39], s[40:41], exec
.LBB428_104:
	s_or_b64 exec, exec, s[36:37]
	s_and_b64 s[40:41], s[42:43], exec
	s_and_b64 s[36:37], s[38:39], exec
.LBB428_105:
	s_or_b64 exec, exec, s[34:35]
	s_and_b64 s[38:39], s[40:41], exec
	s_and_b64 s[34:35], s[36:37], exec
.LBB428_106:
	s_or_b64 exec, exec, s[30:31]
	s_and_b64 s[36:37], s[38:39], exec
	s_and_b64 s[30:31], s[34:35], exec
.LBB428_107:
	s_or_b64 exec, exec, s[28:29]
	s_and_b64 s[34:35], s[36:37], exec
	s_and_b64 s[28:29], s[30:31], exec
.LBB428_108:
	s_or_b64 exec, exec, s[26:27]
	s_and_b64 s[30:31], s[34:35], exec
	s_and_b64 s[26:27], s[28:29], exec
.LBB428_109:
	s_or_b64 exec, exec, s[24:25]
	s_and_b64 s[28:29], s[30:31], exec
	s_and_b64 s[24:25], s[26:27], exec
.LBB428_110:
	s_or_b64 exec, exec, s[22:23]
	s_and_b64 s[26:27], s[28:29], exec
	s_and_b64 s[22:23], s[24:25], exec
.LBB428_111:
	s_or_b64 exec, exec, s[20:21]
	s_and_b64 s[24:25], s[26:27], exec
	s_and_b64 s[20:21], s[22:23], exec
.LBB428_112:
	s_or_b64 exec, exec, s[18:19]
	s_and_b64 s[22:23], s[24:25], exec
	s_and_b64 s[18:19], s[20:21], exec
.LBB428_113:
	s_or_b64 exec, exec, s[16:17]
	s_and_b64 s[20:21], s[22:23], exec
	s_and_b64 s[16:17], s[18:19], exec
.LBB428_114:
	s_or_b64 exec, exec, s[14:15]
	s_and_b64 s[18:19], s[20:21], exec
	s_and_b64 s[14:15], s[16:17], exec
.LBB428_115:
	s_or_b64 exec, exec, s[12:13]
	s_and_b64 s[16:17], s[18:19], exec
	s_and_b64 s[12:13], s[14:15], exec
.LBB428_116:
	s_or_b64 exec, exec, s[10:11]
	s_and_b64 s[14:15], s[16:17], exec
	s_and_b64 s[10:11], s[12:13], exec
.LBB428_117:
	s_or_b64 exec, exec, s[8:9]
	s_and_b64 s[8:9], s[14:15], exec
	s_and_b64 s[10:11], s[10:11], exec
.LBB428_118:
	s_or_b64 exec, exec, s[4:5]
	s_mov_b64 s[4:5], 0
	s_and_b64 vcc, exec, s[2:3]
	v_lshlrev_b32_e32 v113, 3, v0
	s_cbranch_vccz .LBB428_124
.LBB428_119:
	v_mov_b32_e32 v1, s57
	v_add_co_u32_e32 v2, vcc, s56, v113
	v_addc_co_u32_e32 v3, vcc, 0, v1, vcc
	v_add_co_u32_e32 v20, vcc, 0x1000, v2
	v_addc_co_u32_e32 v21, vcc, 0, v3, vcc
	flat_load_dwordx2 v[4:5], v[2:3]
	flat_load_dwordx2 v[6:7], v[2:3] offset:512
	flat_load_dwordx2 v[8:9], v[2:3] offset:1024
	;; [unrolled: 1-line block ×7, first 2 shown]
	v_add_co_u32_e32 v2, vcc, 0x2000, v2
	v_addc_co_u32_e32 v3, vcc, 0, v3, vcc
	flat_load_dwordx2 v[22:23], v[20:21]
	flat_load_dwordx2 v[24:25], v[20:21] offset:512
	flat_load_dwordx2 v[26:27], v[20:21] offset:1024
	;; [unrolled: 1-line block ×7, first 2 shown]
	s_nop 0
	flat_load_dwordx2 v[20:21], v[2:3]
	flat_load_dwordx2 v[38:39], v[2:3] offset:512
	flat_load_dwordx2 v[40:41], v[2:3] offset:1024
	v_mov_b32_e32 v1, s56
	v_mov_b32_e32 v3, s57
	v_add_co_u32_e32 v2, vcc, 0x2000, v1
	v_addc_co_u32_e32 v3, vcc, 0, v3, vcc
	s_movk_i32 s2, 0x90
	v_mad_u32_u24 v1, v0, s2, v113
	s_movk_i32 s2, 0xff70
	s_movk_i32 s5, 0x1000
	;; [unrolled: 1-line block ×3, first 2 shown]
	v_cmp_ne_u32_e32 vcc, 63, v0
	s_waitcnt vmcnt(0) lgkmcnt(0)
	ds_write2st64_b64 v113, v[4:5], v[6:7] offset1:1
	ds_write2st64_b64 v113, v[8:9], v[10:11] offset0:2 offset1:3
	ds_write2st64_b64 v113, v[12:13], v[14:15] offset0:4 offset1:5
	;; [unrolled: 1-line block ×8, first 2 shown]
	ds_write_b64 v113, v[40:41] offset:9216
	s_waitcnt lgkmcnt(0)
	; wave barrier
	s_waitcnt lgkmcnt(0)
	flat_load_dwordx2 v[76:77], v[2:3] offset:1536
	v_mad_i32_i24 v6, v0, s2, v1
	ds_read_b64 v[74:75], v1
	ds_read2_b64 v[70:73], v1 offset0:1 offset1:2
	ds_read2_b64 v[62:65], v1 offset0:3 offset1:4
	;; [unrolled: 1-line block ×9, first 2 shown]
	s_waitcnt lgkmcnt(0)
	ds_write_b64 v6, v[74:75] offset:10240
	s_waitcnt lgkmcnt(0)
	; wave barrier
	s_waitcnt lgkmcnt(0)
	s_and_saveexec_b64 s[2:3], vcc
	s_cbranch_execz .LBB428_121
; %bb.120:
	s_waitcnt vmcnt(0)
	ds_read_b64 v[76:77], v113 offset:10248
.LBB428_121:
	s_or_b64 exec, exec, s[2:3]
	v_mov_b32_e32 v7, s51
	v_add_co_u32_e32 v6, vcc, s7, v113
	v_addc_co_u32_e32 v7, vcc, 0, v7, vcc
	v_add_co_u32_e32 v36, vcc, s5, v6
	v_addc_co_u32_e32 v37, vcc, 0, v7, vcc
	s_waitcnt lgkmcnt(0)
	; wave barrier
	s_waitcnt lgkmcnt(0)
	flat_load_dwordx2 v[8:9], v[6:7]
	flat_load_dwordx2 v[14:15], v[6:7] offset:512
	flat_load_dwordx2 v[16:17], v[6:7] offset:1024
	;; [unrolled: 1-line block ×7, first 2 shown]
	v_add_co_u32_e32 v6, vcc, s4, v6
	v_addc_co_u32_e32 v7, vcc, 0, v7, vcc
	flat_load_dwordx2 v[42:43], v[36:37]
	flat_load_dwordx2 v[44:45], v[36:37] offset:512
	flat_load_dwordx2 v[50:51], v[36:37] offset:1024
	;; [unrolled: 1-line block ×7, first 2 shown]
	s_nop 0
	flat_load_dwordx2 v[36:37], v[6:7]
	flat_load_dwordx2 v[78:79], v[6:7] offset:512
	flat_load_dwordx2 v[80:81], v[6:7] offset:1024
	v_cmp_ne_u64_e32 vcc, v[74:75], v[70:71]
	v_cmp_eq_u64_e64 s[2:3], v[74:75], v[70:71]
	v_pk_mov_b32 v[74:75], s[64:65], s[64:65] op_sel:[0,1]
	s_waitcnt vmcnt(0) lgkmcnt(0)
	ds_write2st64_b64 v113, v[8:9], v[14:15] offset1:1
	ds_write2st64_b64 v113, v[16:17], v[22:23] offset0:2 offset1:3
	ds_write2st64_b64 v113, v[24:25], v[30:31] offset0:4 offset1:5
	;; [unrolled: 1-line block ×8, first 2 shown]
	ds_write_b64 v113, v[80:81] offset:9216
	s_waitcnt lgkmcnt(0)
	; wave barrier
	s_waitcnt lgkmcnt(0)
	ds_read2_b64 v[66:69], v1 offset0:1 offset1:2
	ds_read2_b64 v[58:61], v1 offset0:3 offset1:4
	;; [unrolled: 1-line block ×9, first 2 shown]
	s_and_saveexec_b64 s[4:5], s[2:3]
	s_cbranch_execz .LBB428_123
; %bb.122:
	ds_read_b64 v[74:75], v1
.LBB428_123:
	s_or_b64 exec, exec, s[4:5]
	v_cmp_ne_u64_e64 s[8:9], v[64:65], v[54:55]
	v_cmp_ne_u64_e64 s[34:35], v[12:13], v[2:3]
	v_cmp_ne_u64_e64 s[36:37], v[2:3], v[4:5]
	v_mov_b32_e32 v2, s65
	v_mov_b32_e32 v3, s64
	v_cndmask_b32_e64 v1, 0, 1, vcc
	v_cmp_ne_u64_e32 vcc, v[70:71], v[72:73]
	v_cmp_ne_u64_e64 s[2:3], v[72:73], v[62:63]
	v_cmp_ne_u64_e64 s[4:5], v[62:63], v[64:65]
	v_cndmask_b32_e64 v100, 0, 1, s[8:9]
	v_cmp_ne_u64_e64 s[10:11], v[54:55], v[56:57]
	v_cmp_ne_u64_e64 s[12:13], v[56:57], v[46:47]
	;; [unrolled: 1-line block ×11, first 2 shown]
	s_waitcnt lgkmcnt(7)
	v_cndmask_b32_e64 v55, v61, v2, s[8:9]
	v_cndmask_b32_e64 v54, v60, v3, s[8:9]
	v_cmp_ne_u64_e64 s[8:9], v[4:5], v[76:77]
	v_cndmask_b32_e64 v96, 0, 1, vcc
	v_cndmask_b32_e64 v97, 0, 1, s[2:3]
	v_cndmask_b32_e64 v98, 0, 1, s[4:5]
	;; [unrolled: 1-line block ×15, first 2 shown]
	v_cndmask_b32_e32 v39, v67, v2, vcc
	v_cndmask_b32_e32 v38, v66, v3, vcc
	v_cndmask_b32_e64 v47, v69, v2, s[2:3]
	v_cndmask_b32_e64 v46, v68, v3, s[2:3]
	v_cndmask_b32_e64 v49, v59, v2, s[4:5]
	v_cndmask_b32_e64 v48, v58, v3, s[4:5]
	s_waitcnt lgkmcnt(6)
	v_cndmask_b32_e64 v51, v51, v2, s[10:11]
	v_cndmask_b32_e64 v50, v50, v3, s[10:11]
	v_cndmask_b32_e64 v53, v53, v2, s[12:13]
	v_cndmask_b32_e64 v52, v52, v3, s[12:13]
	s_waitcnt lgkmcnt(5)
	;; [unrolled: 5-line block ×7, first 2 shown]
	v_cndmask_b32_e64 v43, v7, v2, s[36:37]
	v_cndmask_b32_e64 v42, v6, v3, s[36:37]
	;; [unrolled: 1-line block ×4, first 2 shown]
	s_mov_b64 s[10:11], -1
                                        ; implicit-def: $sgpr72
                                        ; implicit-def: $sgpr4_sgpr5
.LBB428_124:
	v_pk_mov_b32 v[40:41], s[4:5], s[4:5] op_sel:[0,1]
	v_mov_b32_e32 v114, s72
	s_and_saveexec_b64 s[2:3], s[10:11]
; %bb.125:
	v_cndmask_b32_e64 v114, 0, 1, s[8:9]
	v_pk_mov_b32 v[40:41], v[76:77], v[76:77] op_sel:[0,1]
; %bb.126:
	s_or_b64 exec, exec, s[2:3]
	v_or_b32_e32 v2, v114, v99
	s_cmp_lg_u32 s6, 0
	v_or_b32_e32 v116, v2, v112
	v_mbcnt_lo_u32_b32 v115, -1, 0
	s_waitcnt lgkmcnt(0)
	; wave barrier
	s_waitcnt lgkmcnt(0)
	s_cbranch_scc0 .LBB428_185
; %bb.127:
	v_mov_b32_e32 v2, 0
	v_cmp_eq_u16_sdwa s[36:37], v96, v2 src0_sel:BYTE_0 src1_sel:DWORD
	v_cndmask_b32_e64 v4, 0, v74, s[36:37]
	v_cndmask_b32_e64 v3, 0, v75, s[36:37]
	v_add_co_u32_e32 v4, vcc, v4, v38
	v_cmp_eq_u16_sdwa s[34:35], v97, v2 src0_sel:BYTE_0 src1_sel:DWORD
	v_addc_co_u32_e32 v3, vcc, v3, v39, vcc
	v_cndmask_b32_e64 v4, 0, v4, s[34:35]
	v_cndmask_b32_e64 v3, 0, v3, s[34:35]
	v_add_co_u32_e32 v4, vcc, v4, v46
	v_cmp_eq_u16_sdwa s[30:31], v98, v2 src0_sel:BYTE_0 src1_sel:DWORD
	v_addc_co_u32_e32 v3, vcc, v3, v47, vcc
	;; [unrolled: 5-line block ×16, first 2 shown]
	v_cndmask_b32_e64 v4, 0, v4, s[2:3]
	v_cndmask_b32_e64 v3, 0, v3, s[2:3]
	v_add_co_u32_e32 v4, vcc, v4, v42
	v_addc_co_u32_e32 v3, vcc, v3, v43, vcc
	v_cmp_eq_u16_sdwa vcc, v114, v2 src0_sel:BYTE_0 src1_sel:DWORD
	v_cndmask_b32_e32 v2, 0, v4, vcc
	v_or_b32_e32 v4, v116, v111
	v_or_b32_e32 v4, v4, v110
	;; [unrolled: 1-line block ×15, first 2 shown]
	v_cndmask_b32_e32 v3, 0, v3, vcc
	v_add_co_u32_e32 v2, vcc, v2, v40
	v_or_b32_e32 v4, v4, v1
	v_mbcnt_hi_u32_b32 v5, -1, v115
	v_addc_co_u32_e32 v3, vcc, v3, v41, vcc
	v_and_b32_e32 v4, 1, v4
	v_and_b32_e32 v7, 15, v5
	v_cmp_eq_u32_e32 vcc, 1, v4
	v_mov_b32_dpp v9, v2 row_shr:1 row_mask:0xf bank_mask:0xf
	v_mov_b32_dpp v10, v3 row_shr:1 row_mask:0xf bank_mask:0xf
	;; [unrolled: 1-line block ×3, first 2 shown]
	v_cmp_ne_u32_e64 s[38:39], 0, v7
	v_mov_b32_e32 v6, v4
	s_and_saveexec_b64 s[42:43], s[38:39]
; %bb.128:
	v_cndmask_b32_e64 v9, v9, 0, vcc
	v_cndmask_b32_e64 v6, v10, 0, vcc
	v_add_co_u32_e32 v2, vcc, v9, v2
	v_addc_co_u32_e32 v3, vcc, v6, v3, vcc
	v_and_b32_e32 v6, 1, v8
	v_or_b32_e32 v4, v6, v4
	v_and_b32_e32 v6, 0xffff, v4
; %bb.129:
	s_or_b64 exec, exec, s[42:43]
	v_mov_b32_dpp v9, v2 row_shr:2 row_mask:0xf bank_mask:0xf
	v_mov_b32_dpp v10, v3 row_shr:2 row_mask:0xf bank_mask:0xf
	v_mov_b32_dpp v8, v6 row_shr:2 row_mask:0xf bank_mask:0xf
	v_cmp_lt_u32_e32 vcc, 1, v7
	s_and_saveexec_b64 s[42:43], vcc
	s_cbranch_execz .LBB428_131
; %bb.130:
	v_cmp_eq_u16_e32 vcc, 0, v4
	v_cndmask_b32_e32 v9, 0, v9, vcc
	v_cndmask_b32_e32 v6, 0, v10, vcc
	v_add_co_u32_e32 v2, vcc, v9, v2
	v_addc_co_u32_e32 v3, vcc, v6, v3, vcc
	v_and_b32_e32 v4, 1, v4
	v_cmp_eq_u32_e32 vcc, 1, v4
	v_and_b32_e32 v4, 1, v8
	v_cmp_eq_u32_e64 s[38:39], 1, v4
	s_or_b64 s[38:39], vcc, s[38:39]
	v_cndmask_b32_e64 v4, 0, 1, s[38:39]
	v_cndmask_b32_e64 v6, 0, 1, s[38:39]
.LBB428_131:
	s_or_b64 exec, exec, s[42:43]
	v_mov_b32_dpp v9, v2 row_shr:4 row_mask:0xf bank_mask:0xf
	v_mov_b32_dpp v10, v3 row_shr:4 row_mask:0xf bank_mask:0xf
	v_mov_b32_dpp v8, v6 row_shr:4 row_mask:0xf bank_mask:0xf
	v_cmp_lt_u32_e32 vcc, 3, v7
	s_and_saveexec_b64 s[42:43], vcc
	s_cbranch_execz .LBB428_133
; %bb.132:
	v_cmp_eq_u16_e32 vcc, 0, v4
	v_cndmask_b32_e32 v9, 0, v9, vcc
	v_cndmask_b32_e32 v6, 0, v10, vcc
	v_add_co_u32_e32 v2, vcc, v9, v2
	v_addc_co_u32_e32 v3, vcc, v6, v3, vcc
	v_and_b32_e32 v4, 1, v4
	v_cmp_eq_u32_e32 vcc, 1, v4
	v_and_b32_e32 v4, 1, v8
	v_cmp_eq_u32_e64 s[38:39], 1, v4
	s_or_b64 s[38:39], vcc, s[38:39]
	v_cndmask_b32_e64 v4, 0, 1, s[38:39]
	v_cndmask_b32_e64 v6, 0, 1, s[38:39]
.LBB428_133:
	;; [unrolled: 21-line block ×3, first 2 shown]
	s_or_b64 exec, exec, s[42:43]
	v_and_b32_e32 v10, 16, v5
	v_mov_b32_dpp v8, v2 row_bcast:15 row_mask:0xf bank_mask:0xf
	v_mov_b32_dpp v9, v3 row_bcast:15 row_mask:0xf bank_mask:0xf
	;; [unrolled: 1-line block ×3, first 2 shown]
	v_cmp_ne_u32_e32 vcc, 0, v10
	s_and_saveexec_b64 s[42:43], vcc
	s_cbranch_execz .LBB428_137
; %bb.136:
	v_cmp_eq_u16_e32 vcc, 0, v4
	v_cndmask_b32_e32 v8, 0, v8, vcc
	v_cndmask_b32_e32 v6, 0, v9, vcc
	v_add_co_u32_e32 v2, vcc, v8, v2
	v_addc_co_u32_e32 v3, vcc, v6, v3, vcc
	v_and_b32_e32 v4, 1, v4
	v_cmp_eq_u32_e32 vcc, 1, v4
	v_and_b32_e32 v4, 1, v7
	v_cmp_eq_u32_e64 s[38:39], 1, v4
	s_or_b64 s[38:39], vcc, s[38:39]
	v_cndmask_b32_e64 v4, 0, 1, s[38:39]
	v_cndmask_b32_e64 v6, 0, 1, s[38:39]
.LBB428_137:
	s_or_b64 exec, exec, s[42:43]
	v_mov_b32_dpp v7, v2 row_bcast:31 row_mask:0xf bank_mask:0xf
	v_mov_b32_dpp v8, v3 row_bcast:31 row_mask:0xf bank_mask:0xf
	;; [unrolled: 1-line block ×3, first 2 shown]
	v_cmp_lt_u32_e32 vcc, 31, v5
	s_and_saveexec_b64 s[42:43], vcc
; %bb.138:
	v_cmp_eq_u16_e32 vcc, 0, v4
	v_cndmask_b32_e32 v7, 0, v7, vcc
	v_cndmask_b32_e32 v8, 0, v8, vcc
	v_add_co_u32_e32 v2, vcc, v7, v2
	v_addc_co_u32_e32 v3, vcc, v8, v3, vcc
	v_and_b32_e32 v4, 1, v4
	v_cmp_eq_u32_e32 vcc, 1, v4
	v_and_b32_e32 v4, 1, v6
	v_cmp_eq_u32_e64 s[38:39], 1, v4
	s_or_b64 s[38:39], vcc, s[38:39]
	v_cndmask_b32_e64 v4, 0, 1, s[38:39]
; %bb.139:
	s_or_b64 exec, exec, s[42:43]
	v_cmp_eq_u32_e32 vcc, 63, v0
	s_and_saveexec_b64 s[38:39], vcc
	s_cbranch_execz .LBB428_141
; %bb.140:
	v_mov_b32_e32 v6, 0
	ds_write_b64 v6, v[2:3]
	ds_write_b8 v6, v4 offset:8
.LBB428_141:
	s_or_b64 exec, exec, s[38:39]
	v_add_u32_e32 v6, -1, v5
	v_and_b32_e32 v7, 64, v5
	v_cmp_lt_i32_e32 vcc, v6, v7
	v_cndmask_b32_e32 v6, v6, v5, vcc
	v_lshlrev_b32_e32 v6, 2, v6
	ds_bpermute_b32 v12, v6, v2
	v_and_b32_e32 v2, 0xffff, v4
	ds_bpermute_b32 v13, v6, v3
	ds_bpermute_b32 v14, v6, v2
	v_cmp_gt_u32_e32 vcc, 64, v0
	s_waitcnt lgkmcnt(0)
	; wave barrier
	s_waitcnt lgkmcnt(0)
	s_and_saveexec_b64 s[56:57], vcc
	s_cbranch_execz .LBB428_184
; %bb.142:
	v_mov_b32_e32 v7, 0
	ds_read_b64 v[2:3], v7
	ds_read_u8 v15, v7 offset:8
	s_mov_b32 s61, 0
	v_cmp_eq_u32_e64 s[38:39], 0, v5
	s_and_saveexec_b64 s[42:43], s[38:39]
	s_cbranch_execz .LBB428_144
; %bb.143:
	s_add_i32 s60, s6, 64
	s_lshl_b64 s[68:69], s[60:61], 4
	s_add_u32 s68, s44, s68
	s_addc_u32 s69, s45, s69
	v_mov_b32_e32 v4, s60
	v_mov_b32_e32 v6, 1
	s_waitcnt lgkmcnt(1)
	global_store_dwordx2 v7, v[2:3], s[68:69]
	s_waitcnt lgkmcnt(0)
	global_store_byte v7, v15, s[68:69] offset:8
	s_waitcnt vmcnt(0)
	buffer_wbinvl1_vol
	global_store_byte v4, v6, s[48:49]
.LBB428_144:
	s_or_b64 exec, exec, s[42:43]
	v_xad_u32 v4, v5, -1, s6
	v_add_u32_e32 v6, 64, v4
	global_load_ubyte v16, v6, s[48:49] glc
	s_waitcnt vmcnt(0)
	v_cmp_eq_u16_e32 vcc, 0, v16
	s_and_saveexec_b64 s[42:43], vcc
	s_cbranch_execz .LBB428_148
; %bb.145:
	v_mov_b32_e32 v9, s49
	v_add_co_u32_e32 v8, vcc, s48, v6
	v_addc_co_u32_e32 v9, vcc, 0, v9, vcc
	s_mov_b64 s[60:61], 0
.LBB428_146:                            ; =>This Inner Loop Header: Depth=1
	global_load_ubyte v16, v[8:9], off glc
	s_waitcnt vmcnt(0)
	v_cmp_ne_u16_e32 vcc, 0, v16
	s_or_b64 s[60:61], vcc, s[60:61]
	s_andn2_b64 exec, exec, s[60:61]
	s_cbranch_execnz .LBB428_146
; %bb.147:
	s_or_b64 exec, exec, s[60:61]
.LBB428_148:
	s_or_b64 exec, exec, s[42:43]
	v_mov_b32_e32 v8, s47
	v_mov_b32_e32 v9, s45
	v_cmp_eq_u16_e32 vcc, 1, v16
	v_cndmask_b32_e32 v8, v8, v9, vcc
	v_mov_b32_e32 v9, s46
	v_mov_b32_e32 v10, s44
	v_cndmask_b32_e32 v9, v9, v10, vcc
	v_lshlrev_b64 v[6:7], 4, v[6:7]
	v_add_co_u32_e32 v6, vcc, v9, v6
	v_addc_co_u32_e32 v7, vcc, v8, v7, vcc
	s_waitcnt lgkmcnt(0)
	buffer_wbinvl1_vol
	global_load_dwordx2 v[10:11], v[6:7], off
	global_load_ubyte v31, v[6:7], off offset:8
	v_cmp_eq_u16_e32 vcc, 2, v16
	v_lshlrev_b64 v[6:7], v5, -1
	v_and_b32_e32 v17, 63, v5
	v_and_b32_e32 v8, vcc_hi, v7
	v_and_b32_e32 v22, vcc_lo, v6
	v_cmp_ne_u32_e32 vcc, 63, v17
	v_addc_co_u32_e32 v9, vcc, 0, v5, vcc
	v_lshlrev_b32_e32 v18, 2, v9
	v_or_b32_e32 v8, 0x80000000, v8
	v_ffbl_b32_e32 v8, v8
	v_add_u32_e32 v8, 32, v8
	v_ffbl_b32_e32 v22, v22
	v_min_u32_e32 v8, v22, v8
	v_cmp_lt_u32_e32 vcc, v17, v8
	s_waitcnt vmcnt(1)
	ds_bpermute_b32 v20, v18, v10
	s_waitcnt vmcnt(0)
	v_and_b32_e32 v9, 1, v31
	ds_bpermute_b32 v21, v18, v11
	ds_bpermute_b32 v19, v18, v9
	s_and_saveexec_b64 s[42:43], vcc
	s_cbranch_execz .LBB428_150
; %bb.149:
	v_mov_b32_e32 v9, 0
	v_cmp_eq_u16_sdwa vcc, v31, v9 src0_sel:BYTE_0 src1_sel:DWORD
	s_waitcnt lgkmcnt(2)
	v_cndmask_b32_e32 v20, 0, v20, vcc
	s_waitcnt lgkmcnt(1)
	v_cndmask_b32_e32 v9, 0, v21, vcc
	v_add_co_u32_e32 v10, vcc, v20, v10
	v_addc_co_u32_e32 v11, vcc, v9, v11, vcc
	s_waitcnt lgkmcnt(0)
	v_and_b32_e32 v9, 1, v19
	v_or_b32_e32 v31, v9, v31
	v_and_b32_e32 v9, 0xff, v31
.LBB428_150:
	s_or_b64 exec, exec, s[42:43]
	v_cmp_gt_u32_e32 vcc, 62, v17
	s_waitcnt lgkmcnt(0)
	v_cndmask_b32_e64 v19, 0, 1, vcc
	v_lshlrev_b32_e32 v19, 1, v19
	v_add_lshl_u32 v19, v19, v5, 2
	ds_bpermute_b32 v22, v19, v10
	ds_bpermute_b32 v23, v19, v11
	ds_bpermute_b32 v21, v19, v9
	v_add_u32_e32 v20, 2, v17
	v_cmp_le_u32_e32 vcc, v20, v8
	s_and_saveexec_b64 s[60:61], vcc
	s_cbranch_execz .LBB428_152
; %bb.151:
	v_mov_b32_e32 v9, 0
	v_cmp_eq_u16_sdwa vcc, v31, v9 src0_sel:BYTE_0 src1_sel:DWORD
	s_waitcnt lgkmcnt(2)
	v_cndmask_b32_e32 v22, 0, v22, vcc
	s_waitcnt lgkmcnt(1)
	v_cndmask_b32_e32 v9, 0, v23, vcc
	v_add_co_u32_e32 v10, vcc, v22, v10
	v_addc_co_u32_e32 v11, vcc, v9, v11, vcc
	v_and_b32_e32 v9, 1, v31
	v_cmp_eq_u32_e32 vcc, 1, v9
	s_waitcnt lgkmcnt(0)
	v_and_b32_e32 v9, 1, v21
	v_cmp_eq_u32_e64 s[42:43], 1, v9
	s_or_b64 s[42:43], vcc, s[42:43]
	v_cndmask_b32_e64 v31, 0, 1, s[42:43]
	v_cndmask_b32_e64 v9, 0, 1, s[42:43]
.LBB428_152:
	s_or_b64 exec, exec, s[60:61]
	v_cmp_gt_u32_e32 vcc, 60, v17
	s_waitcnt lgkmcnt(0)
	v_cndmask_b32_e64 v21, 0, 1, vcc
	v_lshlrev_b32_e32 v21, 2, v21
	v_add_lshl_u32 v21, v21, v5, 2
	ds_bpermute_b32 v24, v21, v10
	ds_bpermute_b32 v25, v21, v11
	ds_bpermute_b32 v23, v21, v9
	v_add_u32_e32 v22, 4, v17
	v_cmp_le_u32_e32 vcc, v22, v8
	s_and_saveexec_b64 s[60:61], vcc
	s_cbranch_execz .LBB428_154
; %bb.153:
	v_mov_b32_e32 v9, 0
	v_cmp_eq_u16_sdwa vcc, v31, v9 src0_sel:BYTE_0 src1_sel:DWORD
	s_waitcnt lgkmcnt(2)
	v_cndmask_b32_e32 v24, 0, v24, vcc
	s_waitcnt lgkmcnt(1)
	v_cndmask_b32_e32 v9, 0, v25, vcc
	v_add_co_u32_e32 v10, vcc, v24, v10
	v_addc_co_u32_e32 v11, vcc, v9, v11, vcc
	v_and_b32_e32 v9, 1, v31
	v_cmp_eq_u32_e32 vcc, 1, v9
	s_waitcnt lgkmcnt(0)
	v_and_b32_e32 v9, 1, v23
	v_cmp_eq_u32_e64 s[42:43], 1, v9
	s_or_b64 s[42:43], vcc, s[42:43]
	v_cndmask_b32_e64 v31, 0, 1, s[42:43]
	v_cndmask_b32_e64 v9, 0, 1, s[42:43]
.LBB428_154:
	s_or_b64 exec, exec, s[60:61]
	v_cmp_gt_u32_e32 vcc, 56, v17
	s_waitcnt lgkmcnt(0)
	v_cndmask_b32_e64 v23, 0, 1, vcc
	v_lshlrev_b32_e32 v23, 3, v23
	v_add_lshl_u32 v23, v23, v5, 2
	ds_bpermute_b32 v26, v23, v10
	ds_bpermute_b32 v27, v23, v11
	ds_bpermute_b32 v25, v23, v9
	v_add_u32_e32 v24, 8, v17
	v_cmp_le_u32_e32 vcc, v24, v8
	s_and_saveexec_b64 s[60:61], vcc
	s_cbranch_execz .LBB428_156
; %bb.155:
	v_mov_b32_e32 v9, 0
	v_cmp_eq_u16_sdwa vcc, v31, v9 src0_sel:BYTE_0 src1_sel:DWORD
	s_waitcnt lgkmcnt(2)
	v_cndmask_b32_e32 v26, 0, v26, vcc
	s_waitcnt lgkmcnt(1)
	v_cndmask_b32_e32 v9, 0, v27, vcc
	v_add_co_u32_e32 v10, vcc, v26, v10
	v_addc_co_u32_e32 v11, vcc, v9, v11, vcc
	v_and_b32_e32 v9, 1, v31
	v_cmp_eq_u32_e32 vcc, 1, v9
	s_waitcnt lgkmcnt(0)
	v_and_b32_e32 v9, 1, v25
	v_cmp_eq_u32_e64 s[42:43], 1, v9
	s_or_b64 s[42:43], vcc, s[42:43]
	v_cndmask_b32_e64 v31, 0, 1, s[42:43]
	v_cndmask_b32_e64 v9, 0, 1, s[42:43]
.LBB428_156:
	s_or_b64 exec, exec, s[60:61]
	v_cmp_gt_u32_e32 vcc, 48, v17
	s_waitcnt lgkmcnt(0)
	v_cndmask_b32_e64 v25, 0, 1, vcc
	v_lshlrev_b32_e32 v25, 4, v25
	v_add_lshl_u32 v25, v25, v5, 2
	ds_bpermute_b32 v28, v25, v10
	ds_bpermute_b32 v29, v25, v11
	ds_bpermute_b32 v27, v25, v9
	v_add_u32_e32 v26, 16, v17
	v_cmp_le_u32_e32 vcc, v26, v8
	s_and_saveexec_b64 s[60:61], vcc
	s_cbranch_execz .LBB428_158
; %bb.157:
	v_mov_b32_e32 v9, 0
	v_cmp_eq_u16_sdwa vcc, v31, v9 src0_sel:BYTE_0 src1_sel:DWORD
	s_waitcnt lgkmcnt(2)
	v_cndmask_b32_e32 v28, 0, v28, vcc
	s_waitcnt lgkmcnt(1)
	v_cndmask_b32_e32 v9, 0, v29, vcc
	v_add_co_u32_e32 v10, vcc, v28, v10
	v_addc_co_u32_e32 v11, vcc, v9, v11, vcc
	v_and_b32_e32 v9, 1, v31
	v_cmp_eq_u32_e32 vcc, 1, v9
	s_waitcnt lgkmcnt(0)
	v_and_b32_e32 v9, 1, v27
	v_cmp_eq_u32_e64 s[42:43], 1, v9
	s_or_b64 s[42:43], vcc, s[42:43]
	v_cndmask_b32_e64 v31, 0, 1, s[42:43]
	v_cndmask_b32_e64 v9, 0, 1, s[42:43]
.LBB428_158:
	s_or_b64 exec, exec, s[60:61]
	v_cmp_gt_u32_e32 vcc, 32, v17
	s_waitcnt lgkmcnt(0)
	v_cndmask_b32_e64 v27, 0, 1, vcc
	v_lshlrev_b32_e32 v27, 5, v27
	v_add_lshl_u32 v28, v27, v5, 2
	ds_bpermute_b32 v27, v28, v10
	ds_bpermute_b32 v30, v28, v11
	;; [unrolled: 1-line block ×3, first 2 shown]
	v_add_u32_e32 v29, 32, v17
	v_cmp_le_u32_e32 vcc, v29, v8
	s_and_saveexec_b64 s[60:61], vcc
	s_cbranch_execz .LBB428_160
; %bb.159:
	v_mov_b32_e32 v8, 0
	v_cmp_eq_u16_sdwa vcc, v31, v8 src0_sel:BYTE_0 src1_sel:DWORD
	s_waitcnt lgkmcnt(2)
	v_cndmask_b32_e32 v9, 0, v27, vcc
	s_waitcnt lgkmcnt(1)
	v_cndmask_b32_e32 v8, 0, v30, vcc
	v_add_co_u32_e32 v10, vcc, v9, v10
	v_addc_co_u32_e32 v11, vcc, v8, v11, vcc
	v_and_b32_e32 v8, 1, v31
	s_waitcnt lgkmcnt(0)
	v_and_b32_e32 v5, 1, v5
	v_cmp_eq_u32_e32 vcc, 1, v8
	v_cmp_eq_u32_e64 s[42:43], 1, v5
	s_or_b64 s[42:43], vcc, s[42:43]
	v_cndmask_b32_e64 v31, 0, 1, s[42:43]
.LBB428_160:
	s_or_b64 exec, exec, s[60:61]
	s_waitcnt lgkmcnt(0)
	v_mov_b32_e32 v5, 0
	v_mov_b32_e32 v30, 2
	s_branch .LBB428_162
.LBB428_161:                            ;   in Loop: Header=BB428_162 Depth=1
	s_or_b64 exec, exec, s[68:69]
	v_cmp_eq_u16_sdwa vcc, v27, v5 src0_sel:BYTE_0 src1_sel:DWORD
	v_cndmask_b32_e32 v10, 0, v10, vcc
	v_cndmask_b32_e32 v11, 0, v11, vcc
	v_add_co_u32_e32 v10, vcc, v10, v8
	v_addc_co_u32_e32 v11, vcc, v11, v9, vcc
	v_and_b32_e32 v31, 1, v27
	v_cmp_eq_u32_e32 vcc, 1, v31
	s_or_b64 s[42:43], vcc, s[60:61]
	v_subrev_u32_e32 v4, 64, v4
	v_cndmask_b32_e64 v31, 0, 1, s[42:43]
.LBB428_162:                            ; =>This Loop Header: Depth=1
                                        ;     Child Loop BB428_165 Depth 2
	v_cmp_ne_u16_sdwa s[42:43], v16, v30 src0_sel:BYTE_0 src1_sel:DWORD
	v_cndmask_b32_e64 v8, 0, 1, s[42:43]
	;;#ASMSTART
	;;#ASMEND
	v_cmp_ne_u32_e32 vcc, 0, v8
	v_mov_b32_e32 v27, v31
	s_cmp_lg_u64 vcc, exec
	v_pk_mov_b32 v[8:9], v[10:11], v[10:11] op_sel:[0,1]
	s_cbranch_scc1 .LBB428_179
; %bb.163:                              ;   in Loop: Header=BB428_162 Depth=1
	global_load_ubyte v16, v4, s[48:49] glc
	s_waitcnt vmcnt(0)
	v_cmp_eq_u16_e32 vcc, 0, v16
	s_and_saveexec_b64 s[42:43], vcc
	s_cbranch_execz .LBB428_167
; %bb.164:                              ;   in Loop: Header=BB428_162 Depth=1
	v_mov_b32_e32 v11, s49
	v_add_co_u32_e32 v10, vcc, s48, v4
	v_addc_co_u32_e32 v11, vcc, 0, v11, vcc
	s_mov_b64 s[60:61], 0
.LBB428_165:                            ;   Parent Loop BB428_162 Depth=1
                                        ; =>  This Inner Loop Header: Depth=2
	global_load_ubyte v16, v[10:11], off glc
	s_waitcnt vmcnt(0)
	v_cmp_ne_u16_e32 vcc, 0, v16
	s_or_b64 s[60:61], vcc, s[60:61]
	s_andn2_b64 exec, exec, s[60:61]
	s_cbranch_execnz .LBB428_165
; %bb.166:                              ;   in Loop: Header=BB428_162 Depth=1
	s_or_b64 exec, exec, s[60:61]
.LBB428_167:                            ;   in Loop: Header=BB428_162 Depth=1
	s_or_b64 exec, exec, s[42:43]
	v_mov_b32_e32 v10, s47
	v_mov_b32_e32 v11, s45
	v_cmp_eq_u16_e32 vcc, 1, v16
	v_cndmask_b32_e32 v31, v10, v11, vcc
	v_mov_b32_e32 v10, s46
	v_mov_b32_e32 v11, s44
	v_cndmask_b32_e32 v32, v10, v11, vcc
	v_lshlrev_b64 v[10:11], 4, v[4:5]
	v_add_co_u32_e32 v32, vcc, v32, v10
	s_waitcnt lgkmcnt(0)
	v_addc_co_u32_e32 v33, vcc, v31, v11, vcc
	buffer_wbinvl1_vol
	global_load_dwordx2 v[10:11], v[32:33], off
	global_load_ubyte v31, v[32:33], off offset:8
	v_cmp_eq_u16_e32 vcc, 2, v16
	v_and_b32_e32 v32, vcc_hi, v7
	v_or_b32_e32 v32, 0x80000000, v32
	v_and_b32_e32 v37, vcc_lo, v6
	v_ffbl_b32_e32 v32, v32
	v_add_u32_e32 v32, 32, v32
	v_ffbl_b32_e32 v37, v37
	v_min_u32_e32 v32, v37, v32
	v_cmp_lt_u32_e32 vcc, v17, v32
	s_waitcnt vmcnt(1)
	ds_bpermute_b32 v35, v18, v10
	s_waitcnt vmcnt(0)
	v_and_b32_e32 v33, 1, v31
	ds_bpermute_b32 v36, v18, v11
	ds_bpermute_b32 v34, v18, v33
	s_and_saveexec_b64 s[42:43], vcc
	s_cbranch_execz .LBB428_169
; %bb.168:                              ;   in Loop: Header=BB428_162 Depth=1
	v_cmp_eq_u16_sdwa vcc, v31, v5 src0_sel:BYTE_0 src1_sel:DWORD
	s_waitcnt lgkmcnt(2)
	v_cndmask_b32_e32 v35, 0, v35, vcc
	s_waitcnt lgkmcnt(1)
	v_cndmask_b32_e32 v33, 0, v36, vcc
	v_add_co_u32_e32 v10, vcc, v35, v10
	v_addc_co_u32_e32 v11, vcc, v33, v11, vcc
	s_waitcnt lgkmcnt(0)
	v_and_b32_e32 v33, 1, v34
	v_or_b32_e32 v31, v33, v31
	v_and_b32_e32 v33, 0xff, v31
.LBB428_169:                            ;   in Loop: Header=BB428_162 Depth=1
	s_or_b64 exec, exec, s[42:43]
	s_waitcnt lgkmcnt(2)
	ds_bpermute_b32 v35, v19, v10
	s_waitcnt lgkmcnt(2)
	ds_bpermute_b32 v36, v19, v11
	;; [unrolled: 2-line block ×3, first 2 shown]
	v_and_b32_e32 v37, 1, v31
	v_cmp_le_u32_e32 vcc, v20, v32
	v_cmp_eq_u32_e64 s[60:61], 1, v37
	s_and_saveexec_b64 s[42:43], vcc
	s_cbranch_execz .LBB428_171
; %bb.170:                              ;   in Loop: Header=BB428_162 Depth=1
	v_cmp_eq_u16_sdwa vcc, v31, v5 src0_sel:BYTE_0 src1_sel:DWORD
	s_waitcnt lgkmcnt(2)
	v_cndmask_b32_e32 v33, 0, v35, vcc
	s_waitcnt lgkmcnt(1)
	v_cndmask_b32_e32 v31, 0, v36, vcc
	v_add_co_u32_e32 v10, vcc, v33, v10
	v_addc_co_u32_e32 v11, vcc, v31, v11, vcc
	s_waitcnt lgkmcnt(0)
	v_and_b32_e32 v31, 1, v34
	v_cmp_eq_u32_e32 vcc, 1, v31
	s_or_b64 s[68:69], s[60:61], vcc
	v_cndmask_b32_e64 v31, 0, 1, s[68:69]
	v_cndmask_b32_e64 v33, 0, 1, s[68:69]
	s_andn2_b64 s[60:61], s[60:61], exec
	s_and_b64 s[68:69], s[68:69], exec
	s_or_b64 s[60:61], s[60:61], s[68:69]
.LBB428_171:                            ;   in Loop: Header=BB428_162 Depth=1
	s_or_b64 exec, exec, s[42:43]
	s_waitcnt lgkmcnt(2)
	ds_bpermute_b32 v35, v21, v10
	s_waitcnt lgkmcnt(2)
	ds_bpermute_b32 v36, v21, v11
	s_waitcnt lgkmcnt(2)
	ds_bpermute_b32 v34, v21, v33
	v_cmp_le_u32_e32 vcc, v22, v32
	s_and_saveexec_b64 s[68:69], vcc
	s_cbranch_execz .LBB428_173
; %bb.172:                              ;   in Loop: Header=BB428_162 Depth=1
	v_cmp_eq_u16_sdwa vcc, v31, v5 src0_sel:BYTE_0 src1_sel:DWORD
	s_waitcnt lgkmcnt(2)
	v_cndmask_b32_e32 v35, 0, v35, vcc
	s_waitcnt lgkmcnt(1)
	v_cndmask_b32_e32 v33, 0, v36, vcc
	v_add_co_u32_e32 v10, vcc, v35, v10
	v_addc_co_u32_e32 v11, vcc, v33, v11, vcc
	v_and_b32_e32 v31, 1, v31
	v_cmp_eq_u32_e32 vcc, 1, v31
	s_waitcnt lgkmcnt(0)
	v_and_b32_e32 v31, 1, v34
	v_cmp_eq_u32_e64 s[42:43], 1, v31
	s_or_b64 s[42:43], vcc, s[42:43]
	v_cndmask_b32_e64 v31, 0, 1, s[42:43]
	v_cndmask_b32_e64 v33, 0, 1, s[42:43]
	s_andn2_b64 s[60:61], s[60:61], exec
	s_and_b64 s[42:43], s[42:43], exec
	s_or_b64 s[60:61], s[60:61], s[42:43]
.LBB428_173:                            ;   in Loop: Header=BB428_162 Depth=1
	s_or_b64 exec, exec, s[68:69]
	s_waitcnt lgkmcnt(2)
	ds_bpermute_b32 v35, v23, v10
	s_waitcnt lgkmcnt(2)
	ds_bpermute_b32 v36, v23, v11
	s_waitcnt lgkmcnt(2)
	ds_bpermute_b32 v34, v23, v33
	v_cmp_le_u32_e32 vcc, v24, v32
	s_and_saveexec_b64 s[68:69], vcc
	s_cbranch_execz .LBB428_175
; %bb.174:                              ;   in Loop: Header=BB428_162 Depth=1
	v_cmp_eq_u16_sdwa vcc, v31, v5 src0_sel:BYTE_0 src1_sel:DWORD
	s_waitcnt lgkmcnt(2)
	v_cndmask_b32_e32 v35, 0, v35, vcc
	s_waitcnt lgkmcnt(1)
	v_cndmask_b32_e32 v33, 0, v36, vcc
	v_add_co_u32_e32 v10, vcc, v35, v10
	v_addc_co_u32_e32 v11, vcc, v33, v11, vcc
	v_and_b32_e32 v31, 1, v31
	v_cmp_eq_u32_e32 vcc, 1, v31
	s_waitcnt lgkmcnt(0)
	v_and_b32_e32 v31, 1, v34
	v_cmp_eq_u32_e64 s[42:43], 1, v31
	s_or_b64 s[42:43], vcc, s[42:43]
	v_cndmask_b32_e64 v31, 0, 1, s[42:43]
	v_cndmask_b32_e64 v33, 0, 1, s[42:43]
	s_andn2_b64 s[60:61], s[60:61], exec
	s_and_b64 s[42:43], s[42:43], exec
	s_or_b64 s[60:61], s[60:61], s[42:43]
.LBB428_175:                            ;   in Loop: Header=BB428_162 Depth=1
	;; [unrolled: 30-line block ×3, first 2 shown]
	s_or_b64 exec, exec, s[68:69]
	s_waitcnt lgkmcnt(0)
	ds_bpermute_b32 v34, v28, v10
	ds_bpermute_b32 v35, v28, v11
	;; [unrolled: 1-line block ×3, first 2 shown]
	v_cmp_le_u32_e32 vcc, v29, v32
	s_and_saveexec_b64 s[68:69], vcc
	s_cbranch_execz .LBB428_161
; %bb.178:                              ;   in Loop: Header=BB428_162 Depth=1
	v_cmp_eq_u16_sdwa vcc, v31, v5 src0_sel:BYTE_0 src1_sel:DWORD
	s_waitcnt lgkmcnt(2)
	v_cndmask_b32_e32 v34, 0, v34, vcc
	s_waitcnt lgkmcnt(1)
	v_cndmask_b32_e32 v32, 0, v35, vcc
	v_add_co_u32_e32 v10, vcc, v34, v10
	v_addc_co_u32_e32 v11, vcc, v32, v11, vcc
	v_and_b32_e32 v31, 1, v31
	v_cmp_eq_u32_e32 vcc, 1, v31
	s_waitcnt lgkmcnt(0)
	v_and_b32_e32 v31, 1, v33
	v_cmp_eq_u32_e64 s[42:43], 1, v31
	s_or_b64 s[42:43], vcc, s[42:43]
	s_andn2_b64 s[60:61], s[60:61], exec
	s_and_b64 s[42:43], s[42:43], exec
	s_or_b64 s[60:61], s[60:61], s[42:43]
	s_branch .LBB428_161
.LBB428_179:                            ;   in Loop: Header=BB428_162 Depth=1
                                        ; implicit-def: $vgpr31
                                        ; implicit-def: $vgpr10_vgpr11
                                        ; implicit-def: $vgpr16
	s_cbranch_execz .LBB428_162
; %bb.180:
	s_and_saveexec_b64 s[42:43], s[38:39]
	s_cbranch_execz .LBB428_182
; %bb.181:
	v_mov_b32_e32 v4, 0
	s_mov_b32 s7, 0
	v_cmp_eq_u16_sdwa vcc, v15, v4 src0_sel:BYTE_0 src1_sel:DWORD
	s_add_i32 s6, s6, 64
	v_cndmask_b32_e32 v6, 0, v8, vcc
	s_lshl_b64 s[38:39], s[6:7], 4
	v_cndmask_b32_e32 v5, 0, v9, vcc
	v_add_co_u32_e32 v2, vcc, v6, v2
	s_add_u32 s38, s46, s38
	v_addc_co_u32_e32 v3, vcc, v5, v3, vcc
	v_or_b32_e32 v5, v15, v27
	s_addc_u32 s39, s47, s39
	v_and_b32_e32 v5, 1, v5
	global_store_dwordx2 v4, v[2:3], s[38:39]
	global_store_byte v4, v5, s[38:39] offset:8
	v_mov_b32_e32 v2, s6
	v_mov_b32_e32 v3, 2
	s_waitcnt vmcnt(0) lgkmcnt(0)
	buffer_wbinvl1_vol
	global_store_byte v2, v3, s[48:49]
.LBB428_182:
	s_or_b64 exec, exec, s[42:43]
	v_cmp_eq_u32_e32 vcc, 0, v0
	s_and_b64 exec, exec, vcc
	s_cbranch_execz .LBB428_184
; %bb.183:
	v_mov_b32_e32 v2, 0
	ds_write_b64 v2, v[8:9]
	ds_write_b8 v2, v27 offset:8
.LBB428_184:
	s_or_b64 exec, exec, s[56:57]
	v_mov_b32_e32 v4, 0
	s_waitcnt lgkmcnt(0)
	; wave barrier
	s_waitcnt lgkmcnt(0)
	ds_read_b64 v[2:3], v4
	v_cmp_eq_u32_sdwa vcc, v14, v4 src0_sel:BYTE_0 src1_sel:DWORD
	s_waitcnt lgkmcnt(0)
	v_cndmask_b32_e32 v6, 0, v2, vcc
	v_cndmask_b32_e32 v5, 0, v3, vcc
	v_add_co_u32_e32 v6, vcc, v12, v6
	v_addc_co_u32_e32 v5, vcc, v13, v5, vcc
	v_cmp_eq_u32_e32 vcc, 0, v0
	v_cndmask_b32_e32 v77, v5, v3, vcc
	v_cndmask_b32_e32 v76, v6, v2, vcc
	v_cmp_eq_u16_sdwa vcc, v1, v4 src0_sel:BYTE_0 src1_sel:DWORD
	v_cndmask_b32_e32 v3, 0, v76, vcc
	v_cndmask_b32_e32 v2, 0, v77, vcc
	v_add_co_u32_e32 v4, vcc, v3, v74
	v_addc_co_u32_e32 v5, vcc, v2, v75, vcc
	v_cndmask_b32_e64 v3, 0, v4, s[36:37]
	v_cndmask_b32_e64 v2, 0, v5, s[36:37]
	v_add_co_u32_e32 v6, vcc, v3, v38
	v_addc_co_u32_e32 v7, vcc, v2, v39, vcc
	v_cndmask_b32_e64 v3, 0, v6, s[34:35]
	v_cndmask_b32_e64 v2, 0, v7, s[34:35]
	;; [unrolled: 4-line block ×17, first 2 shown]
	s_branch .LBB428_205
.LBB428_185:
                                        ; implicit-def: $vgpr76_vgpr77
                                        ; implicit-def: $vgpr94_vgpr95
                                        ; implicit-def: $vgpr92_vgpr93
                                        ; implicit-def: $vgpr90_vgpr91
                                        ; implicit-def: $vgpr88_vgpr89
                                        ; implicit-def: $vgpr86_vgpr87
                                        ; implicit-def: $vgpr84_vgpr85
                                        ; implicit-def: $vgpr82_vgpr83
                                        ; implicit-def: $vgpr80_vgpr81
                                        ; implicit-def: $vgpr78_vgpr79
                                        ; implicit-def: $vgpr34_vgpr35_vgpr36_vgpr37
                                        ; implicit-def: $vgpr30_vgpr31_vgpr32_vgpr33
                                        ; implicit-def: $vgpr26_vgpr27_vgpr28_vgpr29
                                        ; implicit-def: $vgpr22_vgpr23_vgpr24_vgpr25
                                        ; implicit-def: $vgpr18_vgpr19_vgpr20_vgpr21
                                        ; implicit-def: $vgpr14_vgpr15_vgpr16_vgpr17
                                        ; implicit-def: $vgpr10_vgpr11_vgpr12_vgpr13
                                        ; implicit-def: $vgpr6_vgpr7_vgpr8_vgpr9
                                        ; implicit-def: $vgpr2_vgpr3_vgpr4_vgpr5
	s_cbranch_execz .LBB428_205
; %bb.186:
	s_cmp_lg_u64 s[66:67], 0
	s_cselect_b32 s3, s63, 0
	s_cselect_b32 s2, s62, 0
	s_cmp_eq_u64 s[2:3], 0
	v_pk_mov_b32 v[2:3], s[64:65], s[64:65] op_sel:[0,1]
	s_cbranch_scc1 .LBB428_188
; %bb.187:
	v_mov_b32_e32 v2, 0
	global_load_dwordx2 v[2:3], v2, s[2:3]
.LBB428_188:
	v_mov_b32_e32 v4, 0
	v_cmp_eq_u16_sdwa s[34:35], v96, v4 src0_sel:BYTE_0 src1_sel:DWORD
	v_cndmask_b32_e64 v6, 0, v74, s[34:35]
	v_cndmask_b32_e64 v5, 0, v75, s[34:35]
	v_add_co_u32_e32 v6, vcc, v6, v38
	v_cmp_eq_u16_sdwa s[30:31], v97, v4 src0_sel:BYTE_0 src1_sel:DWORD
	v_addc_co_u32_e32 v5, vcc, v5, v39, vcc
	v_cndmask_b32_e64 v6, 0, v6, s[30:31]
	v_cndmask_b32_e64 v5, 0, v5, s[30:31]
	v_add_co_u32_e32 v6, vcc, v6, v46
	v_cmp_eq_u16_sdwa s[28:29], v98, v4 src0_sel:BYTE_0 src1_sel:DWORD
	v_addc_co_u32_e32 v5, vcc, v5, v47, vcc
	;; [unrolled: 5-line block ×15, first 2 shown]
	v_cndmask_b32_e64 v6, 0, v6, s[2:3]
	v_cndmask_b32_e64 v5, 0, v5, s[2:3]
	v_add_co_u32_e32 v6, vcc, v6, v72
	v_addc_co_u32_e32 v5, vcc, v5, v73, vcc
	v_cmp_eq_u16_sdwa vcc, v99, v4 src0_sel:BYTE_0 src1_sel:DWORD
	v_cndmask_b32_e32 v6, 0, v6, vcc
	v_cndmask_b32_e32 v5, 0, v5, vcc
	v_add_co_u32_e64 v6, s[36:37], v6, v42
	v_addc_co_u32_e64 v5, s[36:37], v5, v43, s[36:37]
	v_cmp_eq_u16_sdwa s[36:37], v114, v4 src0_sel:BYTE_0 src1_sel:DWORD
	v_cndmask_b32_e64 v4, 0, v6, s[36:37]
	v_or_b32_e32 v6, v116, v111
	v_or_b32_e32 v6, v6, v110
	;; [unrolled: 1-line block ×16, first 2 shown]
	v_cndmask_b32_e64 v5, 0, v5, s[36:37]
	v_add_co_u32_e64 v4, s[36:37], v4, v40
	v_and_b32_e32 v7, 1, v6
	v_mbcnt_hi_u32_b32 v6, -1, v115
	v_addc_co_u32_e64 v5, s[36:37], v5, v41, s[36:37]
	v_and_b32_e32 v9, 15, v6
	v_cmp_eq_u32_e64 s[36:37], 1, v7
	v_mov_b32_dpp v11, v4 row_shr:1 row_mask:0xf bank_mask:0xf
	v_mov_b32_dpp v12, v5 row_shr:1 row_mask:0xf bank_mask:0xf
	;; [unrolled: 1-line block ×3, first 2 shown]
	v_cmp_ne_u32_e64 s[38:39], 0, v9
	v_mov_b32_e32 v8, v7
	s_and_saveexec_b64 s[40:41], s[38:39]
; %bb.189:
	v_cndmask_b32_e64 v11, v11, 0, s[36:37]
	v_cndmask_b32_e64 v8, v12, 0, s[36:37]
	v_add_co_u32_e64 v4, s[36:37], v11, v4
	v_addc_co_u32_e64 v5, s[36:37], v8, v5, s[36:37]
	v_and_b32_e32 v8, 1, v10
	v_or_b32_e32 v7, v8, v7
	v_and_b32_e32 v8, 0xffff, v7
; %bb.190:
	s_or_b64 exec, exec, s[40:41]
	v_mov_b32_dpp v11, v4 row_shr:2 row_mask:0xf bank_mask:0xf
	v_mov_b32_dpp v12, v5 row_shr:2 row_mask:0xf bank_mask:0xf
	v_mov_b32_dpp v10, v8 row_shr:2 row_mask:0xf bank_mask:0xf
	v_cmp_lt_u32_e64 s[36:37], 1, v9
	s_and_saveexec_b64 s[40:41], s[36:37]
	s_cbranch_execz .LBB428_192
; %bb.191:
	v_cmp_eq_u16_e64 s[36:37], 0, v7
	v_cndmask_b32_e64 v11, 0, v11, s[36:37]
	v_cndmask_b32_e64 v8, 0, v12, s[36:37]
	v_add_co_u32_e64 v4, s[36:37], v11, v4
	v_addc_co_u32_e64 v5, s[36:37], v8, v5, s[36:37]
	v_and_b32_e32 v7, 1, v7
	v_cmp_eq_u32_e64 s[36:37], 1, v7
	v_and_b32_e32 v7, 1, v10
	v_cmp_eq_u32_e64 s[38:39], 1, v7
	s_or_b64 s[36:37], s[36:37], s[38:39]
	v_cndmask_b32_e64 v7, 0, 1, s[36:37]
	v_cndmask_b32_e64 v8, 0, 1, s[36:37]
.LBB428_192:
	s_or_b64 exec, exec, s[40:41]
	v_mov_b32_dpp v11, v4 row_shr:4 row_mask:0xf bank_mask:0xf
	v_mov_b32_dpp v12, v5 row_shr:4 row_mask:0xf bank_mask:0xf
	v_mov_b32_dpp v10, v8 row_shr:4 row_mask:0xf bank_mask:0xf
	v_cmp_lt_u32_e64 s[36:37], 3, v9
	s_and_saveexec_b64 s[40:41], s[36:37]
	s_cbranch_execz .LBB428_194
; %bb.193:
	v_cmp_eq_u16_e64 s[36:37], 0, v7
	v_cndmask_b32_e64 v11, 0, v11, s[36:37]
	v_cndmask_b32_e64 v8, 0, v12, s[36:37]
	v_add_co_u32_e64 v4, s[36:37], v11, v4
	v_addc_co_u32_e64 v5, s[36:37], v8, v5, s[36:37]
	v_and_b32_e32 v7, 1, v7
	v_cmp_eq_u32_e64 s[36:37], 1, v7
	v_and_b32_e32 v7, 1, v10
	v_cmp_eq_u32_e64 s[38:39], 1, v7
	s_or_b64 s[36:37], s[36:37], s[38:39]
	v_cndmask_b32_e64 v7, 0, 1, s[36:37]
	v_cndmask_b32_e64 v8, 0, 1, s[36:37]
.LBB428_194:
	;; [unrolled: 21-line block ×3, first 2 shown]
	s_or_b64 exec, exec, s[40:41]
	v_and_b32_e32 v12, 16, v6
	v_mov_b32_dpp v10, v4 row_bcast:15 row_mask:0xf bank_mask:0xf
	v_mov_b32_dpp v11, v5 row_bcast:15 row_mask:0xf bank_mask:0xf
	v_mov_b32_dpp v9, v8 row_bcast:15 row_mask:0xf bank_mask:0xf
	v_cmp_ne_u32_e64 s[36:37], 0, v12
	s_and_saveexec_b64 s[40:41], s[36:37]
	s_cbranch_execz .LBB428_198
; %bb.197:
	v_cmp_eq_u16_e64 s[36:37], 0, v7
	v_cndmask_b32_e64 v10, 0, v10, s[36:37]
	v_cndmask_b32_e64 v8, 0, v11, s[36:37]
	v_add_co_u32_e64 v4, s[36:37], v10, v4
	v_addc_co_u32_e64 v5, s[36:37], v8, v5, s[36:37]
	v_and_b32_e32 v7, 1, v7
	v_cmp_eq_u32_e64 s[36:37], 1, v7
	v_and_b32_e32 v7, 1, v9
	v_cmp_eq_u32_e64 s[38:39], 1, v7
	s_or_b64 s[36:37], s[36:37], s[38:39]
	v_cndmask_b32_e64 v7, 0, 1, s[36:37]
	v_cndmask_b32_e64 v8, 0, 1, s[36:37]
.LBB428_198:
	s_or_b64 exec, exec, s[40:41]
	v_mov_b32_dpp v9, v4 row_bcast:31 row_mask:0xf bank_mask:0xf
	v_mov_b32_dpp v10, v5 row_bcast:31 row_mask:0xf bank_mask:0xf
	;; [unrolled: 1-line block ×3, first 2 shown]
	v_cmp_lt_u32_e64 s[36:37], 31, v6
	s_and_saveexec_b64 s[40:41], s[36:37]
; %bb.199:
	v_cmp_eq_u16_e64 s[36:37], 0, v7
	v_cndmask_b32_e64 v9, 0, v9, s[36:37]
	v_cndmask_b32_e64 v10, 0, v10, s[36:37]
	v_add_co_u32_e64 v4, s[36:37], v9, v4
	v_addc_co_u32_e64 v5, s[36:37], v10, v5, s[36:37]
	v_and_b32_e32 v7, 1, v7
	v_cmp_eq_u32_e64 s[36:37], 1, v7
	v_and_b32_e32 v7, 1, v8
	v_cmp_eq_u32_e64 s[38:39], 1, v7
	s_or_b64 s[36:37], s[36:37], s[38:39]
	v_cndmask_b32_e64 v7, 0, 1, s[36:37]
; %bb.200:
	s_or_b64 exec, exec, s[40:41]
	v_cmp_eq_u32_e64 s[36:37], 63, v0
	s_and_saveexec_b64 s[38:39], s[36:37]
	s_cbranch_execz .LBB428_202
; %bb.201:
	v_mov_b32_e32 v8, 0
	ds_write_b64 v8, v[4:5]
	ds_write_b8 v8, v7 offset:8
.LBB428_202:
	s_or_b64 exec, exec, s[38:39]
	v_cmp_eq_u16_e64 s[36:37], 0, v7
	s_waitcnt vmcnt(0)
	v_cndmask_b32_e64 v8, 0, v2, s[36:37]
	v_cndmask_b32_e64 v7, 0, v3, s[36:37]
	v_add_co_u32_e64 v4, s[36:37], v8, v4
	v_addc_co_u32_e64 v5, s[36:37], v7, v5, s[36:37]
	v_add_u32_e32 v7, -1, v6
	v_and_b32_e32 v8, 64, v6
	v_cmp_lt_i32_e64 s[36:37], v7, v8
	v_cndmask_b32_e64 v7, v7, v6, s[36:37]
	v_lshlrev_b32_e32 v7, 2, v7
	ds_bpermute_b32 v5, v7, v5
	ds_bpermute_b32 v4, v7, v4
	v_cmp_eq_u32_e64 s[38:39], 0, v6
	v_cmp_eq_u32_e64 s[36:37], 0, v0
	s_or_b64 s[38:39], s[36:37], s[38:39]
	v_mov_b32_e32 v8, 0
	s_waitcnt lgkmcnt(1)
	v_cndmask_b32_e64 v77, v5, v3, s[38:39]
	s_waitcnt lgkmcnt(0)
	v_cndmask_b32_e64 v76, v4, v2, s[38:39]
	v_cmp_eq_u16_sdwa s[38:39], v1, v8 src0_sel:BYTE_0 src1_sel:DWORD
	v_cndmask_b32_e64 v4, 0, v76, s[38:39]
	v_cndmask_b32_e64 v1, 0, v77, s[38:39]
	v_add_co_u32_e64 v4, s[38:39], v4, v74
	v_addc_co_u32_e64 v5, s[38:39], v1, v75, s[38:39]
	v_cndmask_b32_e64 v6, 0, v4, s[34:35]
	v_cndmask_b32_e64 v1, 0, v5, s[34:35]
	v_add_co_u32_e64 v6, s[34:35], v6, v38
	v_addc_co_u32_e64 v7, s[34:35], v1, v39, s[34:35]
	;; [unrolled: 4-line block ×17, first 2 shown]
	v_cndmask_b32_e32 v95, 0, v93, vcc
	v_cndmask_b32_e32 v94, 0, v92, vcc
	s_waitcnt lgkmcnt(0)
	; wave barrier
	s_and_saveexec_b64 s[2:3], s[36:37]
	s_cbranch_execz .LBB428_204
; %bb.203:
	ds_read_u8 v1, v8 offset:8
	ds_read_b64 v[12:13], v8
	v_pk_mov_b32 v[76:77], v[2:3], v[2:3] op_sel:[0,1]
	s_waitcnt lgkmcnt(1)
	v_cmp_eq_u16_e32 vcc, 0, v1
	v_cndmask_b32_e32 v16, 0, v2, vcc
	v_cndmask_b32_e32 v9, 0, v3, vcc
	s_waitcnt lgkmcnt(0)
	v_add_co_u32_e32 v12, vcc, v16, v12
	v_addc_co_u32_e32 v13, vcc, v9, v13, vcc
	global_store_dwordx2 v8, v[12:13], s[46:47] offset:1024
	global_store_byte v8, v1, s[46:47] offset:1032
	v_mov_b32_e32 v1, 2
	s_waitcnt vmcnt(0)
	buffer_wbinvl1_vol
	global_store_byte v8, v1, s[48:49] offset:64
.LBB428_204:
	s_or_b64 exec, exec, s[2:3]
.LBB428_205:
	s_add_u32 s2, s58, s54
	s_addc_u32 s3, s59, s55
	v_add_co_u32_e32 v2, vcc, v94, v42
	v_addc_co_u32_e32 v3, vcc, v95, v43, vcc
	s_add_u32 s4, s2, s52
	s_addc_u32 s5, s3, s53
	s_and_b64 vcc, exec, s[0:1]
	s_cbranch_vccz .LBB428_243
; %bb.206:
	s_movk_i32 s0, 0x98
	v_mul_i32_i24_e32 v13, 0xffffff70, v0
	v_mul_u32_u24_e32 v12, 0x98, v0
	v_mad_u32_u24 v8, v0, s0, v13
	s_waitcnt lgkmcnt(0)
	; wave barrier
	ds_write2_b64 v12, v[76:77], v[4:5] offset1:1
	ds_write2_b64 v12, v[6:7], v[78:79] offset0:2 offset1:3
	ds_write2_b64 v12, v[10:11], v[80:81] offset0:4 offset1:5
	;; [unrolled: 1-line block ×8, first 2 shown]
	ds_write_b64 v12, v[2:3] offset:144
	s_waitcnt lgkmcnt(0)
	; wave barrier
	s_waitcnt lgkmcnt(0)
	ds_read2st64_b64 v[68:71], v8 offset0:1 offset1:2
	ds_read2st64_b64 v[64:67], v8 offset0:3 offset1:4
	;; [unrolled: 1-line block ×9, first 2 shown]
	v_mov_b32_e32 v9, s5
	v_add_co_u32_e32 v8, vcc, s4, v113
	s_add_i32 s33, s33, s50
	v_addc_co_u32_e32 v9, vcc, 0, v9, vcc
	v_mov_b32_e32 v1, 0
	v_cmp_gt_u32_e32 vcc, s33, v0
	s_and_saveexec_b64 s[0:1], vcc
	s_cbranch_execz .LBB428_208
; %bb.207:
	v_add_u32_e32 v12, v12, v13
	ds_read_b64 v[12:13], v12
	s_waitcnt lgkmcnt(0)
	flat_store_dwordx2 v[8:9], v[12:13]
.LBB428_208:
	s_or_b64 exec, exec, s[0:1]
	v_or_b32_e32 v12, 64, v0
	v_cmp_gt_u32_e32 vcc, s33, v12
	s_and_saveexec_b64 s[0:1], vcc
	s_cbranch_execz .LBB428_210
; %bb.209:
	s_waitcnt lgkmcnt(0)
	flat_store_dwordx2 v[8:9], v[68:69] offset:512
.LBB428_210:
	s_or_b64 exec, exec, s[0:1]
	v_or_b32_e32 v12, 0x80, v0
	v_cmp_gt_u32_e32 vcc, s33, v12
	s_and_saveexec_b64 s[0:1], vcc
	s_cbranch_execz .LBB428_212
; %bb.211:
	s_waitcnt lgkmcnt(0)
	flat_store_dwordx2 v[8:9], v[70:71] offset:1024
.LBB428_212:
	;; [unrolled: 9-line block ×7, first 2 shown]
	s_or_b64 exec, exec, s[0:1]
	v_or_b32_e32 v12, 0x200, v0
	v_cmp_gt_u32_e32 vcc, s33, v12
	s_and_saveexec_b64 s[0:1], vcc
	s_cbranch_execz .LBB428_224
; %bb.223:
	v_add_co_u32_e32 v12, vcc, 0x1000, v8
	v_addc_co_u32_e32 v13, vcc, 0, v9, vcc
	s_waitcnt lgkmcnt(0)
	flat_store_dwordx2 v[12:13], v[58:59]
.LBB428_224:
	s_or_b64 exec, exec, s[0:1]
	v_or_b32_e32 v12, 0x240, v0
	v_cmp_gt_u32_e32 vcc, s33, v12
	s_and_saveexec_b64 s[0:1], vcc
	s_cbranch_execz .LBB428_226
; %bb.225:
	v_add_co_u32_e32 v12, vcc, 0x1000, v8
	v_addc_co_u32_e32 v13, vcc, 0, v9, vcc
	s_waitcnt lgkmcnt(0)
	flat_store_dwordx2 v[12:13], v[52:53] offset:512
.LBB428_226:
	s_or_b64 exec, exec, s[0:1]
	v_or_b32_e32 v12, 0x280, v0
	v_cmp_gt_u32_e32 vcc, s33, v12
	s_and_saveexec_b64 s[0:1], vcc
	s_cbranch_execz .LBB428_228
; %bb.227:
	v_add_co_u32_e32 v12, vcc, 0x1000, v8
	v_addc_co_u32_e32 v13, vcc, 0, v9, vcc
	s_waitcnt lgkmcnt(0)
	flat_store_dwordx2 v[12:13], v[54:55] offset:1024
.LBB428_228:
	;; [unrolled: 11-line block ×7, first 2 shown]
	s_or_b64 exec, exec, s[0:1]
	v_or_b32_e32 v12, 0x400, v0
	v_cmp_gt_u32_e32 vcc, s33, v12
	s_and_saveexec_b64 s[0:1], vcc
	s_cbranch_execz .LBB428_240
; %bb.239:
	v_add_co_u32_e32 v12, vcc, 0x2000, v8
	v_addc_co_u32_e32 v13, vcc, 0, v9, vcc
	s_waitcnt lgkmcnt(0)
	flat_store_dwordx2 v[12:13], v[42:43]
.LBB428_240:
	s_or_b64 exec, exec, s[0:1]
	v_or_b32_e32 v12, 0x440, v0
	v_cmp_gt_u32_e32 vcc, s33, v12
	s_and_saveexec_b64 s[0:1], vcc
	s_cbranch_execz .LBB428_242
; %bb.241:
	v_add_co_u32_e32 v8, vcc, 0x2000, v8
	v_addc_co_u32_e32 v9, vcc, 0, v9, vcc
	s_waitcnt lgkmcnt(0)
	flat_store_dwordx2 v[8:9], v[36:37] offset:512
.LBB428_242:
	s_or_b64 exec, exec, s[0:1]
	v_or_b32_e32 v8, 0x480, v0
	v_cmp_gt_u32_e64 s[0:1], s33, v8
	s_branch .LBB428_245
.LBB428_243:
	s_mov_b64 s[0:1], 0
                                        ; implicit-def: $vgpr38_vgpr39
	s_cbranch_execz .LBB428_245
; %bb.244:
	v_mul_u32_u24_e32 v1, 0x98, v0
	s_waitcnt lgkmcnt(0)
	; wave barrier
	s_waitcnt lgkmcnt(0)
	s_movk_i32 s2, 0x98
	ds_write2_b64 v1, v[76:77], v[4:5] offset1:1
	ds_write2_b64 v1, v[6:7], v[78:79] offset0:2 offset1:3
	ds_write2_b64 v1, v[10:11], v[80:81] offset0:4 offset1:5
	;; [unrolled: 1-line block ×8, first 2 shown]
	ds_write_b64 v1, v[2:3] offset:144
	v_mul_i32_i24_e32 v2, 0xffffff70, v0
	v_mad_u32_u24 v38, v0, s2, v2
	v_mov_b32_e32 v41, s5
	v_add_co_u32_e32 v40, vcc, s4, v113
	s_waitcnt lgkmcnt(0)
	; wave barrier
	s_waitcnt lgkmcnt(0)
	ds_read2st64_b64 v[2:5], v38 offset1:1
	ds_read2st64_b64 v[6:9], v38 offset0:2 offset1:3
	ds_read2st64_b64 v[10:13], v38 offset0:4 offset1:5
	;; [unrolled: 1-line block ×8, first 2 shown]
	ds_read_b64 v[38:39], v38 offset:9216
	v_addc_co_u32_e32 v41, vcc, 0, v41, vcc
	s_movk_i32 s2, 0x1000
	s_waitcnt lgkmcnt(0)
	flat_store_dwordx2 v[40:41], v[2:3]
	flat_store_dwordx2 v[40:41], v[4:5] offset:512
	flat_store_dwordx2 v[40:41], v[6:7] offset:1024
	flat_store_dwordx2 v[40:41], v[8:9] offset:1536
	flat_store_dwordx2 v[40:41], v[10:11] offset:2048
	flat_store_dwordx2 v[40:41], v[12:13] offset:2560
	flat_store_dwordx2 v[40:41], v[14:15] offset:3072
	flat_store_dwordx2 v[40:41], v[16:17] offset:3584
	v_add_co_u32_e32 v2, vcc, s2, v40
	v_addc_co_u32_e32 v3, vcc, 0, v41, vcc
	flat_store_dwordx2 v[2:3], v[18:19]
	flat_store_dwordx2 v[2:3], v[20:21] offset:512
	flat_store_dwordx2 v[2:3], v[22:23] offset:1024
	;; [unrolled: 1-line block ×7, first 2 shown]
	v_add_co_u32_e32 v2, vcc, 0x2000, v40
	v_mov_b32_e32 v1, 0
	v_addc_co_u32_e32 v3, vcc, 0, v41, vcc
	s_or_b64 s[0:1], s[0:1], exec
	flat_store_dwordx2 v[2:3], v[34:35]
	flat_store_dwordx2 v[2:3], v[36:37] offset:512
.LBB428_245:
	s_and_saveexec_b64 s[2:3], s[0:1]
	s_cbranch_execz .LBB428_247
; %bb.246:
	v_lshlrev_b64 v[0:1], 3, v[0:1]
	v_mov_b32_e32 v2, s5
	v_add_co_u32_e32 v0, vcc, s4, v0
	v_addc_co_u32_e32 v1, vcc, v2, v1, vcc
	v_add_co_u32_e32 v0, vcc, 0x2000, v0
	v_addc_co_u32_e32 v1, vcc, 0, v1, vcc
	s_waitcnt lgkmcnt(0)
	flat_store_dwordx2 v[0:1], v[38:39] offset:1024
	s_endpgm
.LBB428_247:
	s_endpgm
	.section	.rodata,"a",@progbits
	.p2align	6, 0x0
	.amdhsa_kernel _ZN7rocprim17ROCPRIM_400000_NS6detail17trampoline_kernelINS0_14default_configENS1_27scan_by_key_config_selectorIxxEEZZNS1_16scan_by_key_implILNS1_25lookback_scan_determinismE0ELb1ES3_N6thrust23THRUST_200600_302600_NS6detail15normal_iteratorINS9_10device_ptrIxEEEESE_SE_xNS9_4plusIvEENS9_8equal_toIxEExEE10hipError_tPvRmT2_T3_T4_T5_mT6_T7_P12ihipStream_tbENKUlT_T0_E_clISt17integral_constantIbLb0EESZ_EEDaSU_SV_EUlSU_E_NS1_11comp_targetILNS1_3genE4ELNS1_11target_archE910ELNS1_3gpuE8ELNS1_3repE0EEENS1_30default_config_static_selectorELNS0_4arch9wavefront6targetE1EEEvT1_
		.amdhsa_group_segment_fixed_size 10752
		.amdhsa_private_segment_fixed_size 0
		.amdhsa_kernarg_size 136
		.amdhsa_user_sgpr_count 6
		.amdhsa_user_sgpr_private_segment_buffer 1
		.amdhsa_user_sgpr_dispatch_ptr 0
		.amdhsa_user_sgpr_queue_ptr 0
		.amdhsa_user_sgpr_kernarg_segment_ptr 1
		.amdhsa_user_sgpr_dispatch_id 0
		.amdhsa_user_sgpr_flat_scratch_init 0
		.amdhsa_user_sgpr_kernarg_preload_length 0
		.amdhsa_user_sgpr_kernarg_preload_offset 0
		.amdhsa_user_sgpr_private_segment_size 0
		.amdhsa_uses_dynamic_stack 0
		.amdhsa_system_sgpr_private_segment_wavefront_offset 0
		.amdhsa_system_sgpr_workgroup_id_x 1
		.amdhsa_system_sgpr_workgroup_id_y 0
		.amdhsa_system_sgpr_workgroup_id_z 0
		.amdhsa_system_sgpr_workgroup_info 0
		.amdhsa_system_vgpr_workitem_id 0
		.amdhsa_next_free_vgpr 117
		.amdhsa_next_free_sgpr 73
		.amdhsa_accum_offset 120
		.amdhsa_reserve_vcc 1
		.amdhsa_reserve_flat_scratch 0
		.amdhsa_float_round_mode_32 0
		.amdhsa_float_round_mode_16_64 0
		.amdhsa_float_denorm_mode_32 3
		.amdhsa_float_denorm_mode_16_64 3
		.amdhsa_dx10_clamp 1
		.amdhsa_ieee_mode 1
		.amdhsa_fp16_overflow 0
		.amdhsa_tg_split 0
		.amdhsa_exception_fp_ieee_invalid_op 0
		.amdhsa_exception_fp_denorm_src 0
		.amdhsa_exception_fp_ieee_div_zero 0
		.amdhsa_exception_fp_ieee_overflow 0
		.amdhsa_exception_fp_ieee_underflow 0
		.amdhsa_exception_fp_ieee_inexact 0
		.amdhsa_exception_int_div_zero 0
	.end_amdhsa_kernel
	.section	.text._ZN7rocprim17ROCPRIM_400000_NS6detail17trampoline_kernelINS0_14default_configENS1_27scan_by_key_config_selectorIxxEEZZNS1_16scan_by_key_implILNS1_25lookback_scan_determinismE0ELb1ES3_N6thrust23THRUST_200600_302600_NS6detail15normal_iteratorINS9_10device_ptrIxEEEESE_SE_xNS9_4plusIvEENS9_8equal_toIxEExEE10hipError_tPvRmT2_T3_T4_T5_mT6_T7_P12ihipStream_tbENKUlT_T0_E_clISt17integral_constantIbLb0EESZ_EEDaSU_SV_EUlSU_E_NS1_11comp_targetILNS1_3genE4ELNS1_11target_archE910ELNS1_3gpuE8ELNS1_3repE0EEENS1_30default_config_static_selectorELNS0_4arch9wavefront6targetE1EEEvT1_,"axG",@progbits,_ZN7rocprim17ROCPRIM_400000_NS6detail17trampoline_kernelINS0_14default_configENS1_27scan_by_key_config_selectorIxxEEZZNS1_16scan_by_key_implILNS1_25lookback_scan_determinismE0ELb1ES3_N6thrust23THRUST_200600_302600_NS6detail15normal_iteratorINS9_10device_ptrIxEEEESE_SE_xNS9_4plusIvEENS9_8equal_toIxEExEE10hipError_tPvRmT2_T3_T4_T5_mT6_T7_P12ihipStream_tbENKUlT_T0_E_clISt17integral_constantIbLb0EESZ_EEDaSU_SV_EUlSU_E_NS1_11comp_targetILNS1_3genE4ELNS1_11target_archE910ELNS1_3gpuE8ELNS1_3repE0EEENS1_30default_config_static_selectorELNS0_4arch9wavefront6targetE1EEEvT1_,comdat
.Lfunc_end428:
	.size	_ZN7rocprim17ROCPRIM_400000_NS6detail17trampoline_kernelINS0_14default_configENS1_27scan_by_key_config_selectorIxxEEZZNS1_16scan_by_key_implILNS1_25lookback_scan_determinismE0ELb1ES3_N6thrust23THRUST_200600_302600_NS6detail15normal_iteratorINS9_10device_ptrIxEEEESE_SE_xNS9_4plusIvEENS9_8equal_toIxEExEE10hipError_tPvRmT2_T3_T4_T5_mT6_T7_P12ihipStream_tbENKUlT_T0_E_clISt17integral_constantIbLb0EESZ_EEDaSU_SV_EUlSU_E_NS1_11comp_targetILNS1_3genE4ELNS1_11target_archE910ELNS1_3gpuE8ELNS1_3repE0EEENS1_30default_config_static_selectorELNS0_4arch9wavefront6targetE1EEEvT1_, .Lfunc_end428-_ZN7rocprim17ROCPRIM_400000_NS6detail17trampoline_kernelINS0_14default_configENS1_27scan_by_key_config_selectorIxxEEZZNS1_16scan_by_key_implILNS1_25lookback_scan_determinismE0ELb1ES3_N6thrust23THRUST_200600_302600_NS6detail15normal_iteratorINS9_10device_ptrIxEEEESE_SE_xNS9_4plusIvEENS9_8equal_toIxEExEE10hipError_tPvRmT2_T3_T4_T5_mT6_T7_P12ihipStream_tbENKUlT_T0_E_clISt17integral_constantIbLb0EESZ_EEDaSU_SV_EUlSU_E_NS1_11comp_targetILNS1_3genE4ELNS1_11target_archE910ELNS1_3gpuE8ELNS1_3repE0EEENS1_30default_config_static_selectorELNS0_4arch9wavefront6targetE1EEEvT1_
                                        ; -- End function
	.section	.AMDGPU.csdata,"",@progbits
; Kernel info:
; codeLenInByte = 15564
; NumSgprs: 77
; NumVgprs: 117
; NumAgprs: 0
; TotalNumVgprs: 117
; ScratchSize: 0
; MemoryBound: 0
; FloatMode: 240
; IeeeMode: 1
; LDSByteSize: 10752 bytes/workgroup (compile time only)
; SGPRBlocks: 9
; VGPRBlocks: 14
; NumSGPRsForWavesPerEU: 77
; NumVGPRsForWavesPerEU: 117
; AccumOffset: 120
; Occupancy: 2
; WaveLimiterHint : 1
; COMPUTE_PGM_RSRC2:SCRATCH_EN: 0
; COMPUTE_PGM_RSRC2:USER_SGPR: 6
; COMPUTE_PGM_RSRC2:TRAP_HANDLER: 0
; COMPUTE_PGM_RSRC2:TGID_X_EN: 1
; COMPUTE_PGM_RSRC2:TGID_Y_EN: 0
; COMPUTE_PGM_RSRC2:TGID_Z_EN: 0
; COMPUTE_PGM_RSRC2:TIDIG_COMP_CNT: 0
; COMPUTE_PGM_RSRC3_GFX90A:ACCUM_OFFSET: 29
; COMPUTE_PGM_RSRC3_GFX90A:TG_SPLIT: 0
	.section	.text._ZN7rocprim17ROCPRIM_400000_NS6detail17trampoline_kernelINS0_14default_configENS1_27scan_by_key_config_selectorIxxEEZZNS1_16scan_by_key_implILNS1_25lookback_scan_determinismE0ELb1ES3_N6thrust23THRUST_200600_302600_NS6detail15normal_iteratorINS9_10device_ptrIxEEEESE_SE_xNS9_4plusIvEENS9_8equal_toIxEExEE10hipError_tPvRmT2_T3_T4_T5_mT6_T7_P12ihipStream_tbENKUlT_T0_E_clISt17integral_constantIbLb0EESZ_EEDaSU_SV_EUlSU_E_NS1_11comp_targetILNS1_3genE3ELNS1_11target_archE908ELNS1_3gpuE7ELNS1_3repE0EEENS1_30default_config_static_selectorELNS0_4arch9wavefront6targetE1EEEvT1_,"axG",@progbits,_ZN7rocprim17ROCPRIM_400000_NS6detail17trampoline_kernelINS0_14default_configENS1_27scan_by_key_config_selectorIxxEEZZNS1_16scan_by_key_implILNS1_25lookback_scan_determinismE0ELb1ES3_N6thrust23THRUST_200600_302600_NS6detail15normal_iteratorINS9_10device_ptrIxEEEESE_SE_xNS9_4plusIvEENS9_8equal_toIxEExEE10hipError_tPvRmT2_T3_T4_T5_mT6_T7_P12ihipStream_tbENKUlT_T0_E_clISt17integral_constantIbLb0EESZ_EEDaSU_SV_EUlSU_E_NS1_11comp_targetILNS1_3genE3ELNS1_11target_archE908ELNS1_3gpuE7ELNS1_3repE0EEENS1_30default_config_static_selectorELNS0_4arch9wavefront6targetE1EEEvT1_,comdat
	.protected	_ZN7rocprim17ROCPRIM_400000_NS6detail17trampoline_kernelINS0_14default_configENS1_27scan_by_key_config_selectorIxxEEZZNS1_16scan_by_key_implILNS1_25lookback_scan_determinismE0ELb1ES3_N6thrust23THRUST_200600_302600_NS6detail15normal_iteratorINS9_10device_ptrIxEEEESE_SE_xNS9_4plusIvEENS9_8equal_toIxEExEE10hipError_tPvRmT2_T3_T4_T5_mT6_T7_P12ihipStream_tbENKUlT_T0_E_clISt17integral_constantIbLb0EESZ_EEDaSU_SV_EUlSU_E_NS1_11comp_targetILNS1_3genE3ELNS1_11target_archE908ELNS1_3gpuE7ELNS1_3repE0EEENS1_30default_config_static_selectorELNS0_4arch9wavefront6targetE1EEEvT1_ ; -- Begin function _ZN7rocprim17ROCPRIM_400000_NS6detail17trampoline_kernelINS0_14default_configENS1_27scan_by_key_config_selectorIxxEEZZNS1_16scan_by_key_implILNS1_25lookback_scan_determinismE0ELb1ES3_N6thrust23THRUST_200600_302600_NS6detail15normal_iteratorINS9_10device_ptrIxEEEESE_SE_xNS9_4plusIvEENS9_8equal_toIxEExEE10hipError_tPvRmT2_T3_T4_T5_mT6_T7_P12ihipStream_tbENKUlT_T0_E_clISt17integral_constantIbLb0EESZ_EEDaSU_SV_EUlSU_E_NS1_11comp_targetILNS1_3genE3ELNS1_11target_archE908ELNS1_3gpuE7ELNS1_3repE0EEENS1_30default_config_static_selectorELNS0_4arch9wavefront6targetE1EEEvT1_
	.globl	_ZN7rocprim17ROCPRIM_400000_NS6detail17trampoline_kernelINS0_14default_configENS1_27scan_by_key_config_selectorIxxEEZZNS1_16scan_by_key_implILNS1_25lookback_scan_determinismE0ELb1ES3_N6thrust23THRUST_200600_302600_NS6detail15normal_iteratorINS9_10device_ptrIxEEEESE_SE_xNS9_4plusIvEENS9_8equal_toIxEExEE10hipError_tPvRmT2_T3_T4_T5_mT6_T7_P12ihipStream_tbENKUlT_T0_E_clISt17integral_constantIbLb0EESZ_EEDaSU_SV_EUlSU_E_NS1_11comp_targetILNS1_3genE3ELNS1_11target_archE908ELNS1_3gpuE7ELNS1_3repE0EEENS1_30default_config_static_selectorELNS0_4arch9wavefront6targetE1EEEvT1_
	.p2align	8
	.type	_ZN7rocprim17ROCPRIM_400000_NS6detail17trampoline_kernelINS0_14default_configENS1_27scan_by_key_config_selectorIxxEEZZNS1_16scan_by_key_implILNS1_25lookback_scan_determinismE0ELb1ES3_N6thrust23THRUST_200600_302600_NS6detail15normal_iteratorINS9_10device_ptrIxEEEESE_SE_xNS9_4plusIvEENS9_8equal_toIxEExEE10hipError_tPvRmT2_T3_T4_T5_mT6_T7_P12ihipStream_tbENKUlT_T0_E_clISt17integral_constantIbLb0EESZ_EEDaSU_SV_EUlSU_E_NS1_11comp_targetILNS1_3genE3ELNS1_11target_archE908ELNS1_3gpuE7ELNS1_3repE0EEENS1_30default_config_static_selectorELNS0_4arch9wavefront6targetE1EEEvT1_,@function
_ZN7rocprim17ROCPRIM_400000_NS6detail17trampoline_kernelINS0_14default_configENS1_27scan_by_key_config_selectorIxxEEZZNS1_16scan_by_key_implILNS1_25lookback_scan_determinismE0ELb1ES3_N6thrust23THRUST_200600_302600_NS6detail15normal_iteratorINS9_10device_ptrIxEEEESE_SE_xNS9_4plusIvEENS9_8equal_toIxEExEE10hipError_tPvRmT2_T3_T4_T5_mT6_T7_P12ihipStream_tbENKUlT_T0_E_clISt17integral_constantIbLb0EESZ_EEDaSU_SV_EUlSU_E_NS1_11comp_targetILNS1_3genE3ELNS1_11target_archE908ELNS1_3gpuE7ELNS1_3repE0EEENS1_30default_config_static_selectorELNS0_4arch9wavefront6targetE1EEEvT1_: ; @_ZN7rocprim17ROCPRIM_400000_NS6detail17trampoline_kernelINS0_14default_configENS1_27scan_by_key_config_selectorIxxEEZZNS1_16scan_by_key_implILNS1_25lookback_scan_determinismE0ELb1ES3_N6thrust23THRUST_200600_302600_NS6detail15normal_iteratorINS9_10device_ptrIxEEEESE_SE_xNS9_4plusIvEENS9_8equal_toIxEExEE10hipError_tPvRmT2_T3_T4_T5_mT6_T7_P12ihipStream_tbENKUlT_T0_E_clISt17integral_constantIbLb0EESZ_EEDaSU_SV_EUlSU_E_NS1_11comp_targetILNS1_3genE3ELNS1_11target_archE908ELNS1_3gpuE7ELNS1_3repE0EEENS1_30default_config_static_selectorELNS0_4arch9wavefront6targetE1EEEvT1_
; %bb.0:
	.section	.rodata,"a",@progbits
	.p2align	6, 0x0
	.amdhsa_kernel _ZN7rocprim17ROCPRIM_400000_NS6detail17trampoline_kernelINS0_14default_configENS1_27scan_by_key_config_selectorIxxEEZZNS1_16scan_by_key_implILNS1_25lookback_scan_determinismE0ELb1ES3_N6thrust23THRUST_200600_302600_NS6detail15normal_iteratorINS9_10device_ptrIxEEEESE_SE_xNS9_4plusIvEENS9_8equal_toIxEExEE10hipError_tPvRmT2_T3_T4_T5_mT6_T7_P12ihipStream_tbENKUlT_T0_E_clISt17integral_constantIbLb0EESZ_EEDaSU_SV_EUlSU_E_NS1_11comp_targetILNS1_3genE3ELNS1_11target_archE908ELNS1_3gpuE7ELNS1_3repE0EEENS1_30default_config_static_selectorELNS0_4arch9wavefront6targetE1EEEvT1_
		.amdhsa_group_segment_fixed_size 0
		.amdhsa_private_segment_fixed_size 0
		.amdhsa_kernarg_size 136
		.amdhsa_user_sgpr_count 6
		.amdhsa_user_sgpr_private_segment_buffer 1
		.amdhsa_user_sgpr_dispatch_ptr 0
		.amdhsa_user_sgpr_queue_ptr 0
		.amdhsa_user_sgpr_kernarg_segment_ptr 1
		.amdhsa_user_sgpr_dispatch_id 0
		.amdhsa_user_sgpr_flat_scratch_init 0
		.amdhsa_user_sgpr_kernarg_preload_length 0
		.amdhsa_user_sgpr_kernarg_preload_offset 0
		.amdhsa_user_sgpr_private_segment_size 0
		.amdhsa_uses_dynamic_stack 0
		.amdhsa_system_sgpr_private_segment_wavefront_offset 0
		.amdhsa_system_sgpr_workgroup_id_x 1
		.amdhsa_system_sgpr_workgroup_id_y 0
		.amdhsa_system_sgpr_workgroup_id_z 0
		.amdhsa_system_sgpr_workgroup_info 0
		.amdhsa_system_vgpr_workitem_id 0
		.amdhsa_next_free_vgpr 1
		.amdhsa_next_free_sgpr 0
		.amdhsa_accum_offset 4
		.amdhsa_reserve_vcc 0
		.amdhsa_reserve_flat_scratch 0
		.amdhsa_float_round_mode_32 0
		.amdhsa_float_round_mode_16_64 0
		.amdhsa_float_denorm_mode_32 3
		.amdhsa_float_denorm_mode_16_64 3
		.amdhsa_dx10_clamp 1
		.amdhsa_ieee_mode 1
		.amdhsa_fp16_overflow 0
		.amdhsa_tg_split 0
		.amdhsa_exception_fp_ieee_invalid_op 0
		.amdhsa_exception_fp_denorm_src 0
		.amdhsa_exception_fp_ieee_div_zero 0
		.amdhsa_exception_fp_ieee_overflow 0
		.amdhsa_exception_fp_ieee_underflow 0
		.amdhsa_exception_fp_ieee_inexact 0
		.amdhsa_exception_int_div_zero 0
	.end_amdhsa_kernel
	.section	.text._ZN7rocprim17ROCPRIM_400000_NS6detail17trampoline_kernelINS0_14default_configENS1_27scan_by_key_config_selectorIxxEEZZNS1_16scan_by_key_implILNS1_25lookback_scan_determinismE0ELb1ES3_N6thrust23THRUST_200600_302600_NS6detail15normal_iteratorINS9_10device_ptrIxEEEESE_SE_xNS9_4plusIvEENS9_8equal_toIxEExEE10hipError_tPvRmT2_T3_T4_T5_mT6_T7_P12ihipStream_tbENKUlT_T0_E_clISt17integral_constantIbLb0EESZ_EEDaSU_SV_EUlSU_E_NS1_11comp_targetILNS1_3genE3ELNS1_11target_archE908ELNS1_3gpuE7ELNS1_3repE0EEENS1_30default_config_static_selectorELNS0_4arch9wavefront6targetE1EEEvT1_,"axG",@progbits,_ZN7rocprim17ROCPRIM_400000_NS6detail17trampoline_kernelINS0_14default_configENS1_27scan_by_key_config_selectorIxxEEZZNS1_16scan_by_key_implILNS1_25lookback_scan_determinismE0ELb1ES3_N6thrust23THRUST_200600_302600_NS6detail15normal_iteratorINS9_10device_ptrIxEEEESE_SE_xNS9_4plusIvEENS9_8equal_toIxEExEE10hipError_tPvRmT2_T3_T4_T5_mT6_T7_P12ihipStream_tbENKUlT_T0_E_clISt17integral_constantIbLb0EESZ_EEDaSU_SV_EUlSU_E_NS1_11comp_targetILNS1_3genE3ELNS1_11target_archE908ELNS1_3gpuE7ELNS1_3repE0EEENS1_30default_config_static_selectorELNS0_4arch9wavefront6targetE1EEEvT1_,comdat
.Lfunc_end429:
	.size	_ZN7rocprim17ROCPRIM_400000_NS6detail17trampoline_kernelINS0_14default_configENS1_27scan_by_key_config_selectorIxxEEZZNS1_16scan_by_key_implILNS1_25lookback_scan_determinismE0ELb1ES3_N6thrust23THRUST_200600_302600_NS6detail15normal_iteratorINS9_10device_ptrIxEEEESE_SE_xNS9_4plusIvEENS9_8equal_toIxEExEE10hipError_tPvRmT2_T3_T4_T5_mT6_T7_P12ihipStream_tbENKUlT_T0_E_clISt17integral_constantIbLb0EESZ_EEDaSU_SV_EUlSU_E_NS1_11comp_targetILNS1_3genE3ELNS1_11target_archE908ELNS1_3gpuE7ELNS1_3repE0EEENS1_30default_config_static_selectorELNS0_4arch9wavefront6targetE1EEEvT1_, .Lfunc_end429-_ZN7rocprim17ROCPRIM_400000_NS6detail17trampoline_kernelINS0_14default_configENS1_27scan_by_key_config_selectorIxxEEZZNS1_16scan_by_key_implILNS1_25lookback_scan_determinismE0ELb1ES3_N6thrust23THRUST_200600_302600_NS6detail15normal_iteratorINS9_10device_ptrIxEEEESE_SE_xNS9_4plusIvEENS9_8equal_toIxEExEE10hipError_tPvRmT2_T3_T4_T5_mT6_T7_P12ihipStream_tbENKUlT_T0_E_clISt17integral_constantIbLb0EESZ_EEDaSU_SV_EUlSU_E_NS1_11comp_targetILNS1_3genE3ELNS1_11target_archE908ELNS1_3gpuE7ELNS1_3repE0EEENS1_30default_config_static_selectorELNS0_4arch9wavefront6targetE1EEEvT1_
                                        ; -- End function
	.section	.AMDGPU.csdata,"",@progbits
; Kernel info:
; codeLenInByte = 0
; NumSgprs: 4
; NumVgprs: 0
; NumAgprs: 0
; TotalNumVgprs: 0
; ScratchSize: 0
; MemoryBound: 0
; FloatMode: 240
; IeeeMode: 1
; LDSByteSize: 0 bytes/workgroup (compile time only)
; SGPRBlocks: 0
; VGPRBlocks: 0
; NumSGPRsForWavesPerEU: 4
; NumVGPRsForWavesPerEU: 1
; AccumOffset: 4
; Occupancy: 8
; WaveLimiterHint : 0
; COMPUTE_PGM_RSRC2:SCRATCH_EN: 0
; COMPUTE_PGM_RSRC2:USER_SGPR: 6
; COMPUTE_PGM_RSRC2:TRAP_HANDLER: 0
; COMPUTE_PGM_RSRC2:TGID_X_EN: 1
; COMPUTE_PGM_RSRC2:TGID_Y_EN: 0
; COMPUTE_PGM_RSRC2:TGID_Z_EN: 0
; COMPUTE_PGM_RSRC2:TIDIG_COMP_CNT: 0
; COMPUTE_PGM_RSRC3_GFX90A:ACCUM_OFFSET: 0
; COMPUTE_PGM_RSRC3_GFX90A:TG_SPLIT: 0
	.section	.text._ZN7rocprim17ROCPRIM_400000_NS6detail17trampoline_kernelINS0_14default_configENS1_27scan_by_key_config_selectorIxxEEZZNS1_16scan_by_key_implILNS1_25lookback_scan_determinismE0ELb1ES3_N6thrust23THRUST_200600_302600_NS6detail15normal_iteratorINS9_10device_ptrIxEEEESE_SE_xNS9_4plusIvEENS9_8equal_toIxEExEE10hipError_tPvRmT2_T3_T4_T5_mT6_T7_P12ihipStream_tbENKUlT_T0_E_clISt17integral_constantIbLb0EESZ_EEDaSU_SV_EUlSU_E_NS1_11comp_targetILNS1_3genE2ELNS1_11target_archE906ELNS1_3gpuE6ELNS1_3repE0EEENS1_30default_config_static_selectorELNS0_4arch9wavefront6targetE1EEEvT1_,"axG",@progbits,_ZN7rocprim17ROCPRIM_400000_NS6detail17trampoline_kernelINS0_14default_configENS1_27scan_by_key_config_selectorIxxEEZZNS1_16scan_by_key_implILNS1_25lookback_scan_determinismE0ELb1ES3_N6thrust23THRUST_200600_302600_NS6detail15normal_iteratorINS9_10device_ptrIxEEEESE_SE_xNS9_4plusIvEENS9_8equal_toIxEExEE10hipError_tPvRmT2_T3_T4_T5_mT6_T7_P12ihipStream_tbENKUlT_T0_E_clISt17integral_constantIbLb0EESZ_EEDaSU_SV_EUlSU_E_NS1_11comp_targetILNS1_3genE2ELNS1_11target_archE906ELNS1_3gpuE6ELNS1_3repE0EEENS1_30default_config_static_selectorELNS0_4arch9wavefront6targetE1EEEvT1_,comdat
	.protected	_ZN7rocprim17ROCPRIM_400000_NS6detail17trampoline_kernelINS0_14default_configENS1_27scan_by_key_config_selectorIxxEEZZNS1_16scan_by_key_implILNS1_25lookback_scan_determinismE0ELb1ES3_N6thrust23THRUST_200600_302600_NS6detail15normal_iteratorINS9_10device_ptrIxEEEESE_SE_xNS9_4plusIvEENS9_8equal_toIxEExEE10hipError_tPvRmT2_T3_T4_T5_mT6_T7_P12ihipStream_tbENKUlT_T0_E_clISt17integral_constantIbLb0EESZ_EEDaSU_SV_EUlSU_E_NS1_11comp_targetILNS1_3genE2ELNS1_11target_archE906ELNS1_3gpuE6ELNS1_3repE0EEENS1_30default_config_static_selectorELNS0_4arch9wavefront6targetE1EEEvT1_ ; -- Begin function _ZN7rocprim17ROCPRIM_400000_NS6detail17trampoline_kernelINS0_14default_configENS1_27scan_by_key_config_selectorIxxEEZZNS1_16scan_by_key_implILNS1_25lookback_scan_determinismE0ELb1ES3_N6thrust23THRUST_200600_302600_NS6detail15normal_iteratorINS9_10device_ptrIxEEEESE_SE_xNS9_4plusIvEENS9_8equal_toIxEExEE10hipError_tPvRmT2_T3_T4_T5_mT6_T7_P12ihipStream_tbENKUlT_T0_E_clISt17integral_constantIbLb0EESZ_EEDaSU_SV_EUlSU_E_NS1_11comp_targetILNS1_3genE2ELNS1_11target_archE906ELNS1_3gpuE6ELNS1_3repE0EEENS1_30default_config_static_selectorELNS0_4arch9wavefront6targetE1EEEvT1_
	.globl	_ZN7rocprim17ROCPRIM_400000_NS6detail17trampoline_kernelINS0_14default_configENS1_27scan_by_key_config_selectorIxxEEZZNS1_16scan_by_key_implILNS1_25lookback_scan_determinismE0ELb1ES3_N6thrust23THRUST_200600_302600_NS6detail15normal_iteratorINS9_10device_ptrIxEEEESE_SE_xNS9_4plusIvEENS9_8equal_toIxEExEE10hipError_tPvRmT2_T3_T4_T5_mT6_T7_P12ihipStream_tbENKUlT_T0_E_clISt17integral_constantIbLb0EESZ_EEDaSU_SV_EUlSU_E_NS1_11comp_targetILNS1_3genE2ELNS1_11target_archE906ELNS1_3gpuE6ELNS1_3repE0EEENS1_30default_config_static_selectorELNS0_4arch9wavefront6targetE1EEEvT1_
	.p2align	8
	.type	_ZN7rocprim17ROCPRIM_400000_NS6detail17trampoline_kernelINS0_14default_configENS1_27scan_by_key_config_selectorIxxEEZZNS1_16scan_by_key_implILNS1_25lookback_scan_determinismE0ELb1ES3_N6thrust23THRUST_200600_302600_NS6detail15normal_iteratorINS9_10device_ptrIxEEEESE_SE_xNS9_4plusIvEENS9_8equal_toIxEExEE10hipError_tPvRmT2_T3_T4_T5_mT6_T7_P12ihipStream_tbENKUlT_T0_E_clISt17integral_constantIbLb0EESZ_EEDaSU_SV_EUlSU_E_NS1_11comp_targetILNS1_3genE2ELNS1_11target_archE906ELNS1_3gpuE6ELNS1_3repE0EEENS1_30default_config_static_selectorELNS0_4arch9wavefront6targetE1EEEvT1_,@function
_ZN7rocprim17ROCPRIM_400000_NS6detail17trampoline_kernelINS0_14default_configENS1_27scan_by_key_config_selectorIxxEEZZNS1_16scan_by_key_implILNS1_25lookback_scan_determinismE0ELb1ES3_N6thrust23THRUST_200600_302600_NS6detail15normal_iteratorINS9_10device_ptrIxEEEESE_SE_xNS9_4plusIvEENS9_8equal_toIxEExEE10hipError_tPvRmT2_T3_T4_T5_mT6_T7_P12ihipStream_tbENKUlT_T0_E_clISt17integral_constantIbLb0EESZ_EEDaSU_SV_EUlSU_E_NS1_11comp_targetILNS1_3genE2ELNS1_11target_archE906ELNS1_3gpuE6ELNS1_3repE0EEENS1_30default_config_static_selectorELNS0_4arch9wavefront6targetE1EEEvT1_: ; @_ZN7rocprim17ROCPRIM_400000_NS6detail17trampoline_kernelINS0_14default_configENS1_27scan_by_key_config_selectorIxxEEZZNS1_16scan_by_key_implILNS1_25lookback_scan_determinismE0ELb1ES3_N6thrust23THRUST_200600_302600_NS6detail15normal_iteratorINS9_10device_ptrIxEEEESE_SE_xNS9_4plusIvEENS9_8equal_toIxEExEE10hipError_tPvRmT2_T3_T4_T5_mT6_T7_P12ihipStream_tbENKUlT_T0_E_clISt17integral_constantIbLb0EESZ_EEDaSU_SV_EUlSU_E_NS1_11comp_targetILNS1_3genE2ELNS1_11target_archE906ELNS1_3gpuE6ELNS1_3repE0EEENS1_30default_config_static_selectorELNS0_4arch9wavefront6targetE1EEEvT1_
; %bb.0:
	.section	.rodata,"a",@progbits
	.p2align	6, 0x0
	.amdhsa_kernel _ZN7rocprim17ROCPRIM_400000_NS6detail17trampoline_kernelINS0_14default_configENS1_27scan_by_key_config_selectorIxxEEZZNS1_16scan_by_key_implILNS1_25lookback_scan_determinismE0ELb1ES3_N6thrust23THRUST_200600_302600_NS6detail15normal_iteratorINS9_10device_ptrIxEEEESE_SE_xNS9_4plusIvEENS9_8equal_toIxEExEE10hipError_tPvRmT2_T3_T4_T5_mT6_T7_P12ihipStream_tbENKUlT_T0_E_clISt17integral_constantIbLb0EESZ_EEDaSU_SV_EUlSU_E_NS1_11comp_targetILNS1_3genE2ELNS1_11target_archE906ELNS1_3gpuE6ELNS1_3repE0EEENS1_30default_config_static_selectorELNS0_4arch9wavefront6targetE1EEEvT1_
		.amdhsa_group_segment_fixed_size 0
		.amdhsa_private_segment_fixed_size 0
		.amdhsa_kernarg_size 136
		.amdhsa_user_sgpr_count 6
		.amdhsa_user_sgpr_private_segment_buffer 1
		.amdhsa_user_sgpr_dispatch_ptr 0
		.amdhsa_user_sgpr_queue_ptr 0
		.amdhsa_user_sgpr_kernarg_segment_ptr 1
		.amdhsa_user_sgpr_dispatch_id 0
		.amdhsa_user_sgpr_flat_scratch_init 0
		.amdhsa_user_sgpr_kernarg_preload_length 0
		.amdhsa_user_sgpr_kernarg_preload_offset 0
		.amdhsa_user_sgpr_private_segment_size 0
		.amdhsa_uses_dynamic_stack 0
		.amdhsa_system_sgpr_private_segment_wavefront_offset 0
		.amdhsa_system_sgpr_workgroup_id_x 1
		.amdhsa_system_sgpr_workgroup_id_y 0
		.amdhsa_system_sgpr_workgroup_id_z 0
		.amdhsa_system_sgpr_workgroup_info 0
		.amdhsa_system_vgpr_workitem_id 0
		.amdhsa_next_free_vgpr 1
		.amdhsa_next_free_sgpr 0
		.amdhsa_accum_offset 4
		.amdhsa_reserve_vcc 0
		.amdhsa_reserve_flat_scratch 0
		.amdhsa_float_round_mode_32 0
		.amdhsa_float_round_mode_16_64 0
		.amdhsa_float_denorm_mode_32 3
		.amdhsa_float_denorm_mode_16_64 3
		.amdhsa_dx10_clamp 1
		.amdhsa_ieee_mode 1
		.amdhsa_fp16_overflow 0
		.amdhsa_tg_split 0
		.amdhsa_exception_fp_ieee_invalid_op 0
		.amdhsa_exception_fp_denorm_src 0
		.amdhsa_exception_fp_ieee_div_zero 0
		.amdhsa_exception_fp_ieee_overflow 0
		.amdhsa_exception_fp_ieee_underflow 0
		.amdhsa_exception_fp_ieee_inexact 0
		.amdhsa_exception_int_div_zero 0
	.end_amdhsa_kernel
	.section	.text._ZN7rocprim17ROCPRIM_400000_NS6detail17trampoline_kernelINS0_14default_configENS1_27scan_by_key_config_selectorIxxEEZZNS1_16scan_by_key_implILNS1_25lookback_scan_determinismE0ELb1ES3_N6thrust23THRUST_200600_302600_NS6detail15normal_iteratorINS9_10device_ptrIxEEEESE_SE_xNS9_4plusIvEENS9_8equal_toIxEExEE10hipError_tPvRmT2_T3_T4_T5_mT6_T7_P12ihipStream_tbENKUlT_T0_E_clISt17integral_constantIbLb0EESZ_EEDaSU_SV_EUlSU_E_NS1_11comp_targetILNS1_3genE2ELNS1_11target_archE906ELNS1_3gpuE6ELNS1_3repE0EEENS1_30default_config_static_selectorELNS0_4arch9wavefront6targetE1EEEvT1_,"axG",@progbits,_ZN7rocprim17ROCPRIM_400000_NS6detail17trampoline_kernelINS0_14default_configENS1_27scan_by_key_config_selectorIxxEEZZNS1_16scan_by_key_implILNS1_25lookback_scan_determinismE0ELb1ES3_N6thrust23THRUST_200600_302600_NS6detail15normal_iteratorINS9_10device_ptrIxEEEESE_SE_xNS9_4plusIvEENS9_8equal_toIxEExEE10hipError_tPvRmT2_T3_T4_T5_mT6_T7_P12ihipStream_tbENKUlT_T0_E_clISt17integral_constantIbLb0EESZ_EEDaSU_SV_EUlSU_E_NS1_11comp_targetILNS1_3genE2ELNS1_11target_archE906ELNS1_3gpuE6ELNS1_3repE0EEENS1_30default_config_static_selectorELNS0_4arch9wavefront6targetE1EEEvT1_,comdat
.Lfunc_end430:
	.size	_ZN7rocprim17ROCPRIM_400000_NS6detail17trampoline_kernelINS0_14default_configENS1_27scan_by_key_config_selectorIxxEEZZNS1_16scan_by_key_implILNS1_25lookback_scan_determinismE0ELb1ES3_N6thrust23THRUST_200600_302600_NS6detail15normal_iteratorINS9_10device_ptrIxEEEESE_SE_xNS9_4plusIvEENS9_8equal_toIxEExEE10hipError_tPvRmT2_T3_T4_T5_mT6_T7_P12ihipStream_tbENKUlT_T0_E_clISt17integral_constantIbLb0EESZ_EEDaSU_SV_EUlSU_E_NS1_11comp_targetILNS1_3genE2ELNS1_11target_archE906ELNS1_3gpuE6ELNS1_3repE0EEENS1_30default_config_static_selectorELNS0_4arch9wavefront6targetE1EEEvT1_, .Lfunc_end430-_ZN7rocprim17ROCPRIM_400000_NS6detail17trampoline_kernelINS0_14default_configENS1_27scan_by_key_config_selectorIxxEEZZNS1_16scan_by_key_implILNS1_25lookback_scan_determinismE0ELb1ES3_N6thrust23THRUST_200600_302600_NS6detail15normal_iteratorINS9_10device_ptrIxEEEESE_SE_xNS9_4plusIvEENS9_8equal_toIxEExEE10hipError_tPvRmT2_T3_T4_T5_mT6_T7_P12ihipStream_tbENKUlT_T0_E_clISt17integral_constantIbLb0EESZ_EEDaSU_SV_EUlSU_E_NS1_11comp_targetILNS1_3genE2ELNS1_11target_archE906ELNS1_3gpuE6ELNS1_3repE0EEENS1_30default_config_static_selectorELNS0_4arch9wavefront6targetE1EEEvT1_
                                        ; -- End function
	.section	.AMDGPU.csdata,"",@progbits
; Kernel info:
; codeLenInByte = 0
; NumSgprs: 4
; NumVgprs: 0
; NumAgprs: 0
; TotalNumVgprs: 0
; ScratchSize: 0
; MemoryBound: 0
; FloatMode: 240
; IeeeMode: 1
; LDSByteSize: 0 bytes/workgroup (compile time only)
; SGPRBlocks: 0
; VGPRBlocks: 0
; NumSGPRsForWavesPerEU: 4
; NumVGPRsForWavesPerEU: 1
; AccumOffset: 4
; Occupancy: 8
; WaveLimiterHint : 0
; COMPUTE_PGM_RSRC2:SCRATCH_EN: 0
; COMPUTE_PGM_RSRC2:USER_SGPR: 6
; COMPUTE_PGM_RSRC2:TRAP_HANDLER: 0
; COMPUTE_PGM_RSRC2:TGID_X_EN: 1
; COMPUTE_PGM_RSRC2:TGID_Y_EN: 0
; COMPUTE_PGM_RSRC2:TGID_Z_EN: 0
; COMPUTE_PGM_RSRC2:TIDIG_COMP_CNT: 0
; COMPUTE_PGM_RSRC3_GFX90A:ACCUM_OFFSET: 0
; COMPUTE_PGM_RSRC3_GFX90A:TG_SPLIT: 0
	.section	.text._ZN7rocprim17ROCPRIM_400000_NS6detail17trampoline_kernelINS0_14default_configENS1_27scan_by_key_config_selectorIxxEEZZNS1_16scan_by_key_implILNS1_25lookback_scan_determinismE0ELb1ES3_N6thrust23THRUST_200600_302600_NS6detail15normal_iteratorINS9_10device_ptrIxEEEESE_SE_xNS9_4plusIvEENS9_8equal_toIxEExEE10hipError_tPvRmT2_T3_T4_T5_mT6_T7_P12ihipStream_tbENKUlT_T0_E_clISt17integral_constantIbLb0EESZ_EEDaSU_SV_EUlSU_E_NS1_11comp_targetILNS1_3genE10ELNS1_11target_archE1200ELNS1_3gpuE4ELNS1_3repE0EEENS1_30default_config_static_selectorELNS0_4arch9wavefront6targetE1EEEvT1_,"axG",@progbits,_ZN7rocprim17ROCPRIM_400000_NS6detail17trampoline_kernelINS0_14default_configENS1_27scan_by_key_config_selectorIxxEEZZNS1_16scan_by_key_implILNS1_25lookback_scan_determinismE0ELb1ES3_N6thrust23THRUST_200600_302600_NS6detail15normal_iteratorINS9_10device_ptrIxEEEESE_SE_xNS9_4plusIvEENS9_8equal_toIxEExEE10hipError_tPvRmT2_T3_T4_T5_mT6_T7_P12ihipStream_tbENKUlT_T0_E_clISt17integral_constantIbLb0EESZ_EEDaSU_SV_EUlSU_E_NS1_11comp_targetILNS1_3genE10ELNS1_11target_archE1200ELNS1_3gpuE4ELNS1_3repE0EEENS1_30default_config_static_selectorELNS0_4arch9wavefront6targetE1EEEvT1_,comdat
	.protected	_ZN7rocprim17ROCPRIM_400000_NS6detail17trampoline_kernelINS0_14default_configENS1_27scan_by_key_config_selectorIxxEEZZNS1_16scan_by_key_implILNS1_25lookback_scan_determinismE0ELb1ES3_N6thrust23THRUST_200600_302600_NS6detail15normal_iteratorINS9_10device_ptrIxEEEESE_SE_xNS9_4plusIvEENS9_8equal_toIxEExEE10hipError_tPvRmT2_T3_T4_T5_mT6_T7_P12ihipStream_tbENKUlT_T0_E_clISt17integral_constantIbLb0EESZ_EEDaSU_SV_EUlSU_E_NS1_11comp_targetILNS1_3genE10ELNS1_11target_archE1200ELNS1_3gpuE4ELNS1_3repE0EEENS1_30default_config_static_selectorELNS0_4arch9wavefront6targetE1EEEvT1_ ; -- Begin function _ZN7rocprim17ROCPRIM_400000_NS6detail17trampoline_kernelINS0_14default_configENS1_27scan_by_key_config_selectorIxxEEZZNS1_16scan_by_key_implILNS1_25lookback_scan_determinismE0ELb1ES3_N6thrust23THRUST_200600_302600_NS6detail15normal_iteratorINS9_10device_ptrIxEEEESE_SE_xNS9_4plusIvEENS9_8equal_toIxEExEE10hipError_tPvRmT2_T3_T4_T5_mT6_T7_P12ihipStream_tbENKUlT_T0_E_clISt17integral_constantIbLb0EESZ_EEDaSU_SV_EUlSU_E_NS1_11comp_targetILNS1_3genE10ELNS1_11target_archE1200ELNS1_3gpuE4ELNS1_3repE0EEENS1_30default_config_static_selectorELNS0_4arch9wavefront6targetE1EEEvT1_
	.globl	_ZN7rocprim17ROCPRIM_400000_NS6detail17trampoline_kernelINS0_14default_configENS1_27scan_by_key_config_selectorIxxEEZZNS1_16scan_by_key_implILNS1_25lookback_scan_determinismE0ELb1ES3_N6thrust23THRUST_200600_302600_NS6detail15normal_iteratorINS9_10device_ptrIxEEEESE_SE_xNS9_4plusIvEENS9_8equal_toIxEExEE10hipError_tPvRmT2_T3_T4_T5_mT6_T7_P12ihipStream_tbENKUlT_T0_E_clISt17integral_constantIbLb0EESZ_EEDaSU_SV_EUlSU_E_NS1_11comp_targetILNS1_3genE10ELNS1_11target_archE1200ELNS1_3gpuE4ELNS1_3repE0EEENS1_30default_config_static_selectorELNS0_4arch9wavefront6targetE1EEEvT1_
	.p2align	8
	.type	_ZN7rocprim17ROCPRIM_400000_NS6detail17trampoline_kernelINS0_14default_configENS1_27scan_by_key_config_selectorIxxEEZZNS1_16scan_by_key_implILNS1_25lookback_scan_determinismE0ELb1ES3_N6thrust23THRUST_200600_302600_NS6detail15normal_iteratorINS9_10device_ptrIxEEEESE_SE_xNS9_4plusIvEENS9_8equal_toIxEExEE10hipError_tPvRmT2_T3_T4_T5_mT6_T7_P12ihipStream_tbENKUlT_T0_E_clISt17integral_constantIbLb0EESZ_EEDaSU_SV_EUlSU_E_NS1_11comp_targetILNS1_3genE10ELNS1_11target_archE1200ELNS1_3gpuE4ELNS1_3repE0EEENS1_30default_config_static_selectorELNS0_4arch9wavefront6targetE1EEEvT1_,@function
_ZN7rocprim17ROCPRIM_400000_NS6detail17trampoline_kernelINS0_14default_configENS1_27scan_by_key_config_selectorIxxEEZZNS1_16scan_by_key_implILNS1_25lookback_scan_determinismE0ELb1ES3_N6thrust23THRUST_200600_302600_NS6detail15normal_iteratorINS9_10device_ptrIxEEEESE_SE_xNS9_4plusIvEENS9_8equal_toIxEExEE10hipError_tPvRmT2_T3_T4_T5_mT6_T7_P12ihipStream_tbENKUlT_T0_E_clISt17integral_constantIbLb0EESZ_EEDaSU_SV_EUlSU_E_NS1_11comp_targetILNS1_3genE10ELNS1_11target_archE1200ELNS1_3gpuE4ELNS1_3repE0EEENS1_30default_config_static_selectorELNS0_4arch9wavefront6targetE1EEEvT1_: ; @_ZN7rocprim17ROCPRIM_400000_NS6detail17trampoline_kernelINS0_14default_configENS1_27scan_by_key_config_selectorIxxEEZZNS1_16scan_by_key_implILNS1_25lookback_scan_determinismE0ELb1ES3_N6thrust23THRUST_200600_302600_NS6detail15normal_iteratorINS9_10device_ptrIxEEEESE_SE_xNS9_4plusIvEENS9_8equal_toIxEExEE10hipError_tPvRmT2_T3_T4_T5_mT6_T7_P12ihipStream_tbENKUlT_T0_E_clISt17integral_constantIbLb0EESZ_EEDaSU_SV_EUlSU_E_NS1_11comp_targetILNS1_3genE10ELNS1_11target_archE1200ELNS1_3gpuE4ELNS1_3repE0EEENS1_30default_config_static_selectorELNS0_4arch9wavefront6targetE1EEEvT1_
; %bb.0:
	.section	.rodata,"a",@progbits
	.p2align	6, 0x0
	.amdhsa_kernel _ZN7rocprim17ROCPRIM_400000_NS6detail17trampoline_kernelINS0_14default_configENS1_27scan_by_key_config_selectorIxxEEZZNS1_16scan_by_key_implILNS1_25lookback_scan_determinismE0ELb1ES3_N6thrust23THRUST_200600_302600_NS6detail15normal_iteratorINS9_10device_ptrIxEEEESE_SE_xNS9_4plusIvEENS9_8equal_toIxEExEE10hipError_tPvRmT2_T3_T4_T5_mT6_T7_P12ihipStream_tbENKUlT_T0_E_clISt17integral_constantIbLb0EESZ_EEDaSU_SV_EUlSU_E_NS1_11comp_targetILNS1_3genE10ELNS1_11target_archE1200ELNS1_3gpuE4ELNS1_3repE0EEENS1_30default_config_static_selectorELNS0_4arch9wavefront6targetE1EEEvT1_
		.amdhsa_group_segment_fixed_size 0
		.amdhsa_private_segment_fixed_size 0
		.amdhsa_kernarg_size 136
		.amdhsa_user_sgpr_count 6
		.amdhsa_user_sgpr_private_segment_buffer 1
		.amdhsa_user_sgpr_dispatch_ptr 0
		.amdhsa_user_sgpr_queue_ptr 0
		.amdhsa_user_sgpr_kernarg_segment_ptr 1
		.amdhsa_user_sgpr_dispatch_id 0
		.amdhsa_user_sgpr_flat_scratch_init 0
		.amdhsa_user_sgpr_kernarg_preload_length 0
		.amdhsa_user_sgpr_kernarg_preload_offset 0
		.amdhsa_user_sgpr_private_segment_size 0
		.amdhsa_uses_dynamic_stack 0
		.amdhsa_system_sgpr_private_segment_wavefront_offset 0
		.amdhsa_system_sgpr_workgroup_id_x 1
		.amdhsa_system_sgpr_workgroup_id_y 0
		.amdhsa_system_sgpr_workgroup_id_z 0
		.amdhsa_system_sgpr_workgroup_info 0
		.amdhsa_system_vgpr_workitem_id 0
		.amdhsa_next_free_vgpr 1
		.amdhsa_next_free_sgpr 0
		.amdhsa_accum_offset 4
		.amdhsa_reserve_vcc 0
		.amdhsa_reserve_flat_scratch 0
		.amdhsa_float_round_mode_32 0
		.amdhsa_float_round_mode_16_64 0
		.amdhsa_float_denorm_mode_32 3
		.amdhsa_float_denorm_mode_16_64 3
		.amdhsa_dx10_clamp 1
		.amdhsa_ieee_mode 1
		.amdhsa_fp16_overflow 0
		.amdhsa_tg_split 0
		.amdhsa_exception_fp_ieee_invalid_op 0
		.amdhsa_exception_fp_denorm_src 0
		.amdhsa_exception_fp_ieee_div_zero 0
		.amdhsa_exception_fp_ieee_overflow 0
		.amdhsa_exception_fp_ieee_underflow 0
		.amdhsa_exception_fp_ieee_inexact 0
		.amdhsa_exception_int_div_zero 0
	.end_amdhsa_kernel
	.section	.text._ZN7rocprim17ROCPRIM_400000_NS6detail17trampoline_kernelINS0_14default_configENS1_27scan_by_key_config_selectorIxxEEZZNS1_16scan_by_key_implILNS1_25lookback_scan_determinismE0ELb1ES3_N6thrust23THRUST_200600_302600_NS6detail15normal_iteratorINS9_10device_ptrIxEEEESE_SE_xNS9_4plusIvEENS9_8equal_toIxEExEE10hipError_tPvRmT2_T3_T4_T5_mT6_T7_P12ihipStream_tbENKUlT_T0_E_clISt17integral_constantIbLb0EESZ_EEDaSU_SV_EUlSU_E_NS1_11comp_targetILNS1_3genE10ELNS1_11target_archE1200ELNS1_3gpuE4ELNS1_3repE0EEENS1_30default_config_static_selectorELNS0_4arch9wavefront6targetE1EEEvT1_,"axG",@progbits,_ZN7rocprim17ROCPRIM_400000_NS6detail17trampoline_kernelINS0_14default_configENS1_27scan_by_key_config_selectorIxxEEZZNS1_16scan_by_key_implILNS1_25lookback_scan_determinismE0ELb1ES3_N6thrust23THRUST_200600_302600_NS6detail15normal_iteratorINS9_10device_ptrIxEEEESE_SE_xNS9_4plusIvEENS9_8equal_toIxEExEE10hipError_tPvRmT2_T3_T4_T5_mT6_T7_P12ihipStream_tbENKUlT_T0_E_clISt17integral_constantIbLb0EESZ_EEDaSU_SV_EUlSU_E_NS1_11comp_targetILNS1_3genE10ELNS1_11target_archE1200ELNS1_3gpuE4ELNS1_3repE0EEENS1_30default_config_static_selectorELNS0_4arch9wavefront6targetE1EEEvT1_,comdat
.Lfunc_end431:
	.size	_ZN7rocprim17ROCPRIM_400000_NS6detail17trampoline_kernelINS0_14default_configENS1_27scan_by_key_config_selectorIxxEEZZNS1_16scan_by_key_implILNS1_25lookback_scan_determinismE0ELb1ES3_N6thrust23THRUST_200600_302600_NS6detail15normal_iteratorINS9_10device_ptrIxEEEESE_SE_xNS9_4plusIvEENS9_8equal_toIxEExEE10hipError_tPvRmT2_T3_T4_T5_mT6_T7_P12ihipStream_tbENKUlT_T0_E_clISt17integral_constantIbLb0EESZ_EEDaSU_SV_EUlSU_E_NS1_11comp_targetILNS1_3genE10ELNS1_11target_archE1200ELNS1_3gpuE4ELNS1_3repE0EEENS1_30default_config_static_selectorELNS0_4arch9wavefront6targetE1EEEvT1_, .Lfunc_end431-_ZN7rocprim17ROCPRIM_400000_NS6detail17trampoline_kernelINS0_14default_configENS1_27scan_by_key_config_selectorIxxEEZZNS1_16scan_by_key_implILNS1_25lookback_scan_determinismE0ELb1ES3_N6thrust23THRUST_200600_302600_NS6detail15normal_iteratorINS9_10device_ptrIxEEEESE_SE_xNS9_4plusIvEENS9_8equal_toIxEExEE10hipError_tPvRmT2_T3_T4_T5_mT6_T7_P12ihipStream_tbENKUlT_T0_E_clISt17integral_constantIbLb0EESZ_EEDaSU_SV_EUlSU_E_NS1_11comp_targetILNS1_3genE10ELNS1_11target_archE1200ELNS1_3gpuE4ELNS1_3repE0EEENS1_30default_config_static_selectorELNS0_4arch9wavefront6targetE1EEEvT1_
                                        ; -- End function
	.section	.AMDGPU.csdata,"",@progbits
; Kernel info:
; codeLenInByte = 0
; NumSgprs: 4
; NumVgprs: 0
; NumAgprs: 0
; TotalNumVgprs: 0
; ScratchSize: 0
; MemoryBound: 0
; FloatMode: 240
; IeeeMode: 1
; LDSByteSize: 0 bytes/workgroup (compile time only)
; SGPRBlocks: 0
; VGPRBlocks: 0
; NumSGPRsForWavesPerEU: 4
; NumVGPRsForWavesPerEU: 1
; AccumOffset: 4
; Occupancy: 8
; WaveLimiterHint : 0
; COMPUTE_PGM_RSRC2:SCRATCH_EN: 0
; COMPUTE_PGM_RSRC2:USER_SGPR: 6
; COMPUTE_PGM_RSRC2:TRAP_HANDLER: 0
; COMPUTE_PGM_RSRC2:TGID_X_EN: 1
; COMPUTE_PGM_RSRC2:TGID_Y_EN: 0
; COMPUTE_PGM_RSRC2:TGID_Z_EN: 0
; COMPUTE_PGM_RSRC2:TIDIG_COMP_CNT: 0
; COMPUTE_PGM_RSRC3_GFX90A:ACCUM_OFFSET: 0
; COMPUTE_PGM_RSRC3_GFX90A:TG_SPLIT: 0
	.section	.text._ZN7rocprim17ROCPRIM_400000_NS6detail17trampoline_kernelINS0_14default_configENS1_27scan_by_key_config_selectorIxxEEZZNS1_16scan_by_key_implILNS1_25lookback_scan_determinismE0ELb1ES3_N6thrust23THRUST_200600_302600_NS6detail15normal_iteratorINS9_10device_ptrIxEEEESE_SE_xNS9_4plusIvEENS9_8equal_toIxEExEE10hipError_tPvRmT2_T3_T4_T5_mT6_T7_P12ihipStream_tbENKUlT_T0_E_clISt17integral_constantIbLb0EESZ_EEDaSU_SV_EUlSU_E_NS1_11comp_targetILNS1_3genE9ELNS1_11target_archE1100ELNS1_3gpuE3ELNS1_3repE0EEENS1_30default_config_static_selectorELNS0_4arch9wavefront6targetE1EEEvT1_,"axG",@progbits,_ZN7rocprim17ROCPRIM_400000_NS6detail17trampoline_kernelINS0_14default_configENS1_27scan_by_key_config_selectorIxxEEZZNS1_16scan_by_key_implILNS1_25lookback_scan_determinismE0ELb1ES3_N6thrust23THRUST_200600_302600_NS6detail15normal_iteratorINS9_10device_ptrIxEEEESE_SE_xNS9_4plusIvEENS9_8equal_toIxEExEE10hipError_tPvRmT2_T3_T4_T5_mT6_T7_P12ihipStream_tbENKUlT_T0_E_clISt17integral_constantIbLb0EESZ_EEDaSU_SV_EUlSU_E_NS1_11comp_targetILNS1_3genE9ELNS1_11target_archE1100ELNS1_3gpuE3ELNS1_3repE0EEENS1_30default_config_static_selectorELNS0_4arch9wavefront6targetE1EEEvT1_,comdat
	.protected	_ZN7rocprim17ROCPRIM_400000_NS6detail17trampoline_kernelINS0_14default_configENS1_27scan_by_key_config_selectorIxxEEZZNS1_16scan_by_key_implILNS1_25lookback_scan_determinismE0ELb1ES3_N6thrust23THRUST_200600_302600_NS6detail15normal_iteratorINS9_10device_ptrIxEEEESE_SE_xNS9_4plusIvEENS9_8equal_toIxEExEE10hipError_tPvRmT2_T3_T4_T5_mT6_T7_P12ihipStream_tbENKUlT_T0_E_clISt17integral_constantIbLb0EESZ_EEDaSU_SV_EUlSU_E_NS1_11comp_targetILNS1_3genE9ELNS1_11target_archE1100ELNS1_3gpuE3ELNS1_3repE0EEENS1_30default_config_static_selectorELNS0_4arch9wavefront6targetE1EEEvT1_ ; -- Begin function _ZN7rocprim17ROCPRIM_400000_NS6detail17trampoline_kernelINS0_14default_configENS1_27scan_by_key_config_selectorIxxEEZZNS1_16scan_by_key_implILNS1_25lookback_scan_determinismE0ELb1ES3_N6thrust23THRUST_200600_302600_NS6detail15normal_iteratorINS9_10device_ptrIxEEEESE_SE_xNS9_4plusIvEENS9_8equal_toIxEExEE10hipError_tPvRmT2_T3_T4_T5_mT6_T7_P12ihipStream_tbENKUlT_T0_E_clISt17integral_constantIbLb0EESZ_EEDaSU_SV_EUlSU_E_NS1_11comp_targetILNS1_3genE9ELNS1_11target_archE1100ELNS1_3gpuE3ELNS1_3repE0EEENS1_30default_config_static_selectorELNS0_4arch9wavefront6targetE1EEEvT1_
	.globl	_ZN7rocprim17ROCPRIM_400000_NS6detail17trampoline_kernelINS0_14default_configENS1_27scan_by_key_config_selectorIxxEEZZNS1_16scan_by_key_implILNS1_25lookback_scan_determinismE0ELb1ES3_N6thrust23THRUST_200600_302600_NS6detail15normal_iteratorINS9_10device_ptrIxEEEESE_SE_xNS9_4plusIvEENS9_8equal_toIxEExEE10hipError_tPvRmT2_T3_T4_T5_mT6_T7_P12ihipStream_tbENKUlT_T0_E_clISt17integral_constantIbLb0EESZ_EEDaSU_SV_EUlSU_E_NS1_11comp_targetILNS1_3genE9ELNS1_11target_archE1100ELNS1_3gpuE3ELNS1_3repE0EEENS1_30default_config_static_selectorELNS0_4arch9wavefront6targetE1EEEvT1_
	.p2align	8
	.type	_ZN7rocprim17ROCPRIM_400000_NS6detail17trampoline_kernelINS0_14default_configENS1_27scan_by_key_config_selectorIxxEEZZNS1_16scan_by_key_implILNS1_25lookback_scan_determinismE0ELb1ES3_N6thrust23THRUST_200600_302600_NS6detail15normal_iteratorINS9_10device_ptrIxEEEESE_SE_xNS9_4plusIvEENS9_8equal_toIxEExEE10hipError_tPvRmT2_T3_T4_T5_mT6_T7_P12ihipStream_tbENKUlT_T0_E_clISt17integral_constantIbLb0EESZ_EEDaSU_SV_EUlSU_E_NS1_11comp_targetILNS1_3genE9ELNS1_11target_archE1100ELNS1_3gpuE3ELNS1_3repE0EEENS1_30default_config_static_selectorELNS0_4arch9wavefront6targetE1EEEvT1_,@function
_ZN7rocprim17ROCPRIM_400000_NS6detail17trampoline_kernelINS0_14default_configENS1_27scan_by_key_config_selectorIxxEEZZNS1_16scan_by_key_implILNS1_25lookback_scan_determinismE0ELb1ES3_N6thrust23THRUST_200600_302600_NS6detail15normal_iteratorINS9_10device_ptrIxEEEESE_SE_xNS9_4plusIvEENS9_8equal_toIxEExEE10hipError_tPvRmT2_T3_T4_T5_mT6_T7_P12ihipStream_tbENKUlT_T0_E_clISt17integral_constantIbLb0EESZ_EEDaSU_SV_EUlSU_E_NS1_11comp_targetILNS1_3genE9ELNS1_11target_archE1100ELNS1_3gpuE3ELNS1_3repE0EEENS1_30default_config_static_selectorELNS0_4arch9wavefront6targetE1EEEvT1_: ; @_ZN7rocprim17ROCPRIM_400000_NS6detail17trampoline_kernelINS0_14default_configENS1_27scan_by_key_config_selectorIxxEEZZNS1_16scan_by_key_implILNS1_25lookback_scan_determinismE0ELb1ES3_N6thrust23THRUST_200600_302600_NS6detail15normal_iteratorINS9_10device_ptrIxEEEESE_SE_xNS9_4plusIvEENS9_8equal_toIxEExEE10hipError_tPvRmT2_T3_T4_T5_mT6_T7_P12ihipStream_tbENKUlT_T0_E_clISt17integral_constantIbLb0EESZ_EEDaSU_SV_EUlSU_E_NS1_11comp_targetILNS1_3genE9ELNS1_11target_archE1100ELNS1_3gpuE3ELNS1_3repE0EEENS1_30default_config_static_selectorELNS0_4arch9wavefront6targetE1EEEvT1_
; %bb.0:
	.section	.rodata,"a",@progbits
	.p2align	6, 0x0
	.amdhsa_kernel _ZN7rocprim17ROCPRIM_400000_NS6detail17trampoline_kernelINS0_14default_configENS1_27scan_by_key_config_selectorIxxEEZZNS1_16scan_by_key_implILNS1_25lookback_scan_determinismE0ELb1ES3_N6thrust23THRUST_200600_302600_NS6detail15normal_iteratorINS9_10device_ptrIxEEEESE_SE_xNS9_4plusIvEENS9_8equal_toIxEExEE10hipError_tPvRmT2_T3_T4_T5_mT6_T7_P12ihipStream_tbENKUlT_T0_E_clISt17integral_constantIbLb0EESZ_EEDaSU_SV_EUlSU_E_NS1_11comp_targetILNS1_3genE9ELNS1_11target_archE1100ELNS1_3gpuE3ELNS1_3repE0EEENS1_30default_config_static_selectorELNS0_4arch9wavefront6targetE1EEEvT1_
		.amdhsa_group_segment_fixed_size 0
		.amdhsa_private_segment_fixed_size 0
		.amdhsa_kernarg_size 136
		.amdhsa_user_sgpr_count 6
		.amdhsa_user_sgpr_private_segment_buffer 1
		.amdhsa_user_sgpr_dispatch_ptr 0
		.amdhsa_user_sgpr_queue_ptr 0
		.amdhsa_user_sgpr_kernarg_segment_ptr 1
		.amdhsa_user_sgpr_dispatch_id 0
		.amdhsa_user_sgpr_flat_scratch_init 0
		.amdhsa_user_sgpr_kernarg_preload_length 0
		.amdhsa_user_sgpr_kernarg_preload_offset 0
		.amdhsa_user_sgpr_private_segment_size 0
		.amdhsa_uses_dynamic_stack 0
		.amdhsa_system_sgpr_private_segment_wavefront_offset 0
		.amdhsa_system_sgpr_workgroup_id_x 1
		.amdhsa_system_sgpr_workgroup_id_y 0
		.amdhsa_system_sgpr_workgroup_id_z 0
		.amdhsa_system_sgpr_workgroup_info 0
		.amdhsa_system_vgpr_workitem_id 0
		.amdhsa_next_free_vgpr 1
		.amdhsa_next_free_sgpr 0
		.amdhsa_accum_offset 4
		.amdhsa_reserve_vcc 0
		.amdhsa_reserve_flat_scratch 0
		.amdhsa_float_round_mode_32 0
		.amdhsa_float_round_mode_16_64 0
		.amdhsa_float_denorm_mode_32 3
		.amdhsa_float_denorm_mode_16_64 3
		.amdhsa_dx10_clamp 1
		.amdhsa_ieee_mode 1
		.amdhsa_fp16_overflow 0
		.amdhsa_tg_split 0
		.amdhsa_exception_fp_ieee_invalid_op 0
		.amdhsa_exception_fp_denorm_src 0
		.amdhsa_exception_fp_ieee_div_zero 0
		.amdhsa_exception_fp_ieee_overflow 0
		.amdhsa_exception_fp_ieee_underflow 0
		.amdhsa_exception_fp_ieee_inexact 0
		.amdhsa_exception_int_div_zero 0
	.end_amdhsa_kernel
	.section	.text._ZN7rocprim17ROCPRIM_400000_NS6detail17trampoline_kernelINS0_14default_configENS1_27scan_by_key_config_selectorIxxEEZZNS1_16scan_by_key_implILNS1_25lookback_scan_determinismE0ELb1ES3_N6thrust23THRUST_200600_302600_NS6detail15normal_iteratorINS9_10device_ptrIxEEEESE_SE_xNS9_4plusIvEENS9_8equal_toIxEExEE10hipError_tPvRmT2_T3_T4_T5_mT6_T7_P12ihipStream_tbENKUlT_T0_E_clISt17integral_constantIbLb0EESZ_EEDaSU_SV_EUlSU_E_NS1_11comp_targetILNS1_3genE9ELNS1_11target_archE1100ELNS1_3gpuE3ELNS1_3repE0EEENS1_30default_config_static_selectorELNS0_4arch9wavefront6targetE1EEEvT1_,"axG",@progbits,_ZN7rocprim17ROCPRIM_400000_NS6detail17trampoline_kernelINS0_14default_configENS1_27scan_by_key_config_selectorIxxEEZZNS1_16scan_by_key_implILNS1_25lookback_scan_determinismE0ELb1ES3_N6thrust23THRUST_200600_302600_NS6detail15normal_iteratorINS9_10device_ptrIxEEEESE_SE_xNS9_4plusIvEENS9_8equal_toIxEExEE10hipError_tPvRmT2_T3_T4_T5_mT6_T7_P12ihipStream_tbENKUlT_T0_E_clISt17integral_constantIbLb0EESZ_EEDaSU_SV_EUlSU_E_NS1_11comp_targetILNS1_3genE9ELNS1_11target_archE1100ELNS1_3gpuE3ELNS1_3repE0EEENS1_30default_config_static_selectorELNS0_4arch9wavefront6targetE1EEEvT1_,comdat
.Lfunc_end432:
	.size	_ZN7rocprim17ROCPRIM_400000_NS6detail17trampoline_kernelINS0_14default_configENS1_27scan_by_key_config_selectorIxxEEZZNS1_16scan_by_key_implILNS1_25lookback_scan_determinismE0ELb1ES3_N6thrust23THRUST_200600_302600_NS6detail15normal_iteratorINS9_10device_ptrIxEEEESE_SE_xNS9_4plusIvEENS9_8equal_toIxEExEE10hipError_tPvRmT2_T3_T4_T5_mT6_T7_P12ihipStream_tbENKUlT_T0_E_clISt17integral_constantIbLb0EESZ_EEDaSU_SV_EUlSU_E_NS1_11comp_targetILNS1_3genE9ELNS1_11target_archE1100ELNS1_3gpuE3ELNS1_3repE0EEENS1_30default_config_static_selectorELNS0_4arch9wavefront6targetE1EEEvT1_, .Lfunc_end432-_ZN7rocprim17ROCPRIM_400000_NS6detail17trampoline_kernelINS0_14default_configENS1_27scan_by_key_config_selectorIxxEEZZNS1_16scan_by_key_implILNS1_25lookback_scan_determinismE0ELb1ES3_N6thrust23THRUST_200600_302600_NS6detail15normal_iteratorINS9_10device_ptrIxEEEESE_SE_xNS9_4plusIvEENS9_8equal_toIxEExEE10hipError_tPvRmT2_T3_T4_T5_mT6_T7_P12ihipStream_tbENKUlT_T0_E_clISt17integral_constantIbLb0EESZ_EEDaSU_SV_EUlSU_E_NS1_11comp_targetILNS1_3genE9ELNS1_11target_archE1100ELNS1_3gpuE3ELNS1_3repE0EEENS1_30default_config_static_selectorELNS0_4arch9wavefront6targetE1EEEvT1_
                                        ; -- End function
	.section	.AMDGPU.csdata,"",@progbits
; Kernel info:
; codeLenInByte = 0
; NumSgprs: 4
; NumVgprs: 0
; NumAgprs: 0
; TotalNumVgprs: 0
; ScratchSize: 0
; MemoryBound: 0
; FloatMode: 240
; IeeeMode: 1
; LDSByteSize: 0 bytes/workgroup (compile time only)
; SGPRBlocks: 0
; VGPRBlocks: 0
; NumSGPRsForWavesPerEU: 4
; NumVGPRsForWavesPerEU: 1
; AccumOffset: 4
; Occupancy: 8
; WaveLimiterHint : 0
; COMPUTE_PGM_RSRC2:SCRATCH_EN: 0
; COMPUTE_PGM_RSRC2:USER_SGPR: 6
; COMPUTE_PGM_RSRC2:TRAP_HANDLER: 0
; COMPUTE_PGM_RSRC2:TGID_X_EN: 1
; COMPUTE_PGM_RSRC2:TGID_Y_EN: 0
; COMPUTE_PGM_RSRC2:TGID_Z_EN: 0
; COMPUTE_PGM_RSRC2:TIDIG_COMP_CNT: 0
; COMPUTE_PGM_RSRC3_GFX90A:ACCUM_OFFSET: 0
; COMPUTE_PGM_RSRC3_GFX90A:TG_SPLIT: 0
	.section	.text._ZN7rocprim17ROCPRIM_400000_NS6detail17trampoline_kernelINS0_14default_configENS1_27scan_by_key_config_selectorIxxEEZZNS1_16scan_by_key_implILNS1_25lookback_scan_determinismE0ELb1ES3_N6thrust23THRUST_200600_302600_NS6detail15normal_iteratorINS9_10device_ptrIxEEEESE_SE_xNS9_4plusIvEENS9_8equal_toIxEExEE10hipError_tPvRmT2_T3_T4_T5_mT6_T7_P12ihipStream_tbENKUlT_T0_E_clISt17integral_constantIbLb0EESZ_EEDaSU_SV_EUlSU_E_NS1_11comp_targetILNS1_3genE8ELNS1_11target_archE1030ELNS1_3gpuE2ELNS1_3repE0EEENS1_30default_config_static_selectorELNS0_4arch9wavefront6targetE1EEEvT1_,"axG",@progbits,_ZN7rocprim17ROCPRIM_400000_NS6detail17trampoline_kernelINS0_14default_configENS1_27scan_by_key_config_selectorIxxEEZZNS1_16scan_by_key_implILNS1_25lookback_scan_determinismE0ELb1ES3_N6thrust23THRUST_200600_302600_NS6detail15normal_iteratorINS9_10device_ptrIxEEEESE_SE_xNS9_4plusIvEENS9_8equal_toIxEExEE10hipError_tPvRmT2_T3_T4_T5_mT6_T7_P12ihipStream_tbENKUlT_T0_E_clISt17integral_constantIbLb0EESZ_EEDaSU_SV_EUlSU_E_NS1_11comp_targetILNS1_3genE8ELNS1_11target_archE1030ELNS1_3gpuE2ELNS1_3repE0EEENS1_30default_config_static_selectorELNS0_4arch9wavefront6targetE1EEEvT1_,comdat
	.protected	_ZN7rocprim17ROCPRIM_400000_NS6detail17trampoline_kernelINS0_14default_configENS1_27scan_by_key_config_selectorIxxEEZZNS1_16scan_by_key_implILNS1_25lookback_scan_determinismE0ELb1ES3_N6thrust23THRUST_200600_302600_NS6detail15normal_iteratorINS9_10device_ptrIxEEEESE_SE_xNS9_4plusIvEENS9_8equal_toIxEExEE10hipError_tPvRmT2_T3_T4_T5_mT6_T7_P12ihipStream_tbENKUlT_T0_E_clISt17integral_constantIbLb0EESZ_EEDaSU_SV_EUlSU_E_NS1_11comp_targetILNS1_3genE8ELNS1_11target_archE1030ELNS1_3gpuE2ELNS1_3repE0EEENS1_30default_config_static_selectorELNS0_4arch9wavefront6targetE1EEEvT1_ ; -- Begin function _ZN7rocprim17ROCPRIM_400000_NS6detail17trampoline_kernelINS0_14default_configENS1_27scan_by_key_config_selectorIxxEEZZNS1_16scan_by_key_implILNS1_25lookback_scan_determinismE0ELb1ES3_N6thrust23THRUST_200600_302600_NS6detail15normal_iteratorINS9_10device_ptrIxEEEESE_SE_xNS9_4plusIvEENS9_8equal_toIxEExEE10hipError_tPvRmT2_T3_T4_T5_mT6_T7_P12ihipStream_tbENKUlT_T0_E_clISt17integral_constantIbLb0EESZ_EEDaSU_SV_EUlSU_E_NS1_11comp_targetILNS1_3genE8ELNS1_11target_archE1030ELNS1_3gpuE2ELNS1_3repE0EEENS1_30default_config_static_selectorELNS0_4arch9wavefront6targetE1EEEvT1_
	.globl	_ZN7rocprim17ROCPRIM_400000_NS6detail17trampoline_kernelINS0_14default_configENS1_27scan_by_key_config_selectorIxxEEZZNS1_16scan_by_key_implILNS1_25lookback_scan_determinismE0ELb1ES3_N6thrust23THRUST_200600_302600_NS6detail15normal_iteratorINS9_10device_ptrIxEEEESE_SE_xNS9_4plusIvEENS9_8equal_toIxEExEE10hipError_tPvRmT2_T3_T4_T5_mT6_T7_P12ihipStream_tbENKUlT_T0_E_clISt17integral_constantIbLb0EESZ_EEDaSU_SV_EUlSU_E_NS1_11comp_targetILNS1_3genE8ELNS1_11target_archE1030ELNS1_3gpuE2ELNS1_3repE0EEENS1_30default_config_static_selectorELNS0_4arch9wavefront6targetE1EEEvT1_
	.p2align	8
	.type	_ZN7rocprim17ROCPRIM_400000_NS6detail17trampoline_kernelINS0_14default_configENS1_27scan_by_key_config_selectorIxxEEZZNS1_16scan_by_key_implILNS1_25lookback_scan_determinismE0ELb1ES3_N6thrust23THRUST_200600_302600_NS6detail15normal_iteratorINS9_10device_ptrIxEEEESE_SE_xNS9_4plusIvEENS9_8equal_toIxEExEE10hipError_tPvRmT2_T3_T4_T5_mT6_T7_P12ihipStream_tbENKUlT_T0_E_clISt17integral_constantIbLb0EESZ_EEDaSU_SV_EUlSU_E_NS1_11comp_targetILNS1_3genE8ELNS1_11target_archE1030ELNS1_3gpuE2ELNS1_3repE0EEENS1_30default_config_static_selectorELNS0_4arch9wavefront6targetE1EEEvT1_,@function
_ZN7rocprim17ROCPRIM_400000_NS6detail17trampoline_kernelINS0_14default_configENS1_27scan_by_key_config_selectorIxxEEZZNS1_16scan_by_key_implILNS1_25lookback_scan_determinismE0ELb1ES3_N6thrust23THRUST_200600_302600_NS6detail15normal_iteratorINS9_10device_ptrIxEEEESE_SE_xNS9_4plusIvEENS9_8equal_toIxEExEE10hipError_tPvRmT2_T3_T4_T5_mT6_T7_P12ihipStream_tbENKUlT_T0_E_clISt17integral_constantIbLb0EESZ_EEDaSU_SV_EUlSU_E_NS1_11comp_targetILNS1_3genE8ELNS1_11target_archE1030ELNS1_3gpuE2ELNS1_3repE0EEENS1_30default_config_static_selectorELNS0_4arch9wavefront6targetE1EEEvT1_: ; @_ZN7rocprim17ROCPRIM_400000_NS6detail17trampoline_kernelINS0_14default_configENS1_27scan_by_key_config_selectorIxxEEZZNS1_16scan_by_key_implILNS1_25lookback_scan_determinismE0ELb1ES3_N6thrust23THRUST_200600_302600_NS6detail15normal_iteratorINS9_10device_ptrIxEEEESE_SE_xNS9_4plusIvEENS9_8equal_toIxEExEE10hipError_tPvRmT2_T3_T4_T5_mT6_T7_P12ihipStream_tbENKUlT_T0_E_clISt17integral_constantIbLb0EESZ_EEDaSU_SV_EUlSU_E_NS1_11comp_targetILNS1_3genE8ELNS1_11target_archE1030ELNS1_3gpuE2ELNS1_3repE0EEENS1_30default_config_static_selectorELNS0_4arch9wavefront6targetE1EEEvT1_
; %bb.0:
	.section	.rodata,"a",@progbits
	.p2align	6, 0x0
	.amdhsa_kernel _ZN7rocprim17ROCPRIM_400000_NS6detail17trampoline_kernelINS0_14default_configENS1_27scan_by_key_config_selectorIxxEEZZNS1_16scan_by_key_implILNS1_25lookback_scan_determinismE0ELb1ES3_N6thrust23THRUST_200600_302600_NS6detail15normal_iteratorINS9_10device_ptrIxEEEESE_SE_xNS9_4plusIvEENS9_8equal_toIxEExEE10hipError_tPvRmT2_T3_T4_T5_mT6_T7_P12ihipStream_tbENKUlT_T0_E_clISt17integral_constantIbLb0EESZ_EEDaSU_SV_EUlSU_E_NS1_11comp_targetILNS1_3genE8ELNS1_11target_archE1030ELNS1_3gpuE2ELNS1_3repE0EEENS1_30default_config_static_selectorELNS0_4arch9wavefront6targetE1EEEvT1_
		.amdhsa_group_segment_fixed_size 0
		.amdhsa_private_segment_fixed_size 0
		.amdhsa_kernarg_size 136
		.amdhsa_user_sgpr_count 6
		.amdhsa_user_sgpr_private_segment_buffer 1
		.amdhsa_user_sgpr_dispatch_ptr 0
		.amdhsa_user_sgpr_queue_ptr 0
		.amdhsa_user_sgpr_kernarg_segment_ptr 1
		.amdhsa_user_sgpr_dispatch_id 0
		.amdhsa_user_sgpr_flat_scratch_init 0
		.amdhsa_user_sgpr_kernarg_preload_length 0
		.amdhsa_user_sgpr_kernarg_preload_offset 0
		.amdhsa_user_sgpr_private_segment_size 0
		.amdhsa_uses_dynamic_stack 0
		.amdhsa_system_sgpr_private_segment_wavefront_offset 0
		.amdhsa_system_sgpr_workgroup_id_x 1
		.amdhsa_system_sgpr_workgroup_id_y 0
		.amdhsa_system_sgpr_workgroup_id_z 0
		.amdhsa_system_sgpr_workgroup_info 0
		.amdhsa_system_vgpr_workitem_id 0
		.amdhsa_next_free_vgpr 1
		.amdhsa_next_free_sgpr 0
		.amdhsa_accum_offset 4
		.amdhsa_reserve_vcc 0
		.amdhsa_reserve_flat_scratch 0
		.amdhsa_float_round_mode_32 0
		.amdhsa_float_round_mode_16_64 0
		.amdhsa_float_denorm_mode_32 3
		.amdhsa_float_denorm_mode_16_64 3
		.amdhsa_dx10_clamp 1
		.amdhsa_ieee_mode 1
		.amdhsa_fp16_overflow 0
		.amdhsa_tg_split 0
		.amdhsa_exception_fp_ieee_invalid_op 0
		.amdhsa_exception_fp_denorm_src 0
		.amdhsa_exception_fp_ieee_div_zero 0
		.amdhsa_exception_fp_ieee_overflow 0
		.amdhsa_exception_fp_ieee_underflow 0
		.amdhsa_exception_fp_ieee_inexact 0
		.amdhsa_exception_int_div_zero 0
	.end_amdhsa_kernel
	.section	.text._ZN7rocprim17ROCPRIM_400000_NS6detail17trampoline_kernelINS0_14default_configENS1_27scan_by_key_config_selectorIxxEEZZNS1_16scan_by_key_implILNS1_25lookback_scan_determinismE0ELb1ES3_N6thrust23THRUST_200600_302600_NS6detail15normal_iteratorINS9_10device_ptrIxEEEESE_SE_xNS9_4plusIvEENS9_8equal_toIxEExEE10hipError_tPvRmT2_T3_T4_T5_mT6_T7_P12ihipStream_tbENKUlT_T0_E_clISt17integral_constantIbLb0EESZ_EEDaSU_SV_EUlSU_E_NS1_11comp_targetILNS1_3genE8ELNS1_11target_archE1030ELNS1_3gpuE2ELNS1_3repE0EEENS1_30default_config_static_selectorELNS0_4arch9wavefront6targetE1EEEvT1_,"axG",@progbits,_ZN7rocprim17ROCPRIM_400000_NS6detail17trampoline_kernelINS0_14default_configENS1_27scan_by_key_config_selectorIxxEEZZNS1_16scan_by_key_implILNS1_25lookback_scan_determinismE0ELb1ES3_N6thrust23THRUST_200600_302600_NS6detail15normal_iteratorINS9_10device_ptrIxEEEESE_SE_xNS9_4plusIvEENS9_8equal_toIxEExEE10hipError_tPvRmT2_T3_T4_T5_mT6_T7_P12ihipStream_tbENKUlT_T0_E_clISt17integral_constantIbLb0EESZ_EEDaSU_SV_EUlSU_E_NS1_11comp_targetILNS1_3genE8ELNS1_11target_archE1030ELNS1_3gpuE2ELNS1_3repE0EEENS1_30default_config_static_selectorELNS0_4arch9wavefront6targetE1EEEvT1_,comdat
.Lfunc_end433:
	.size	_ZN7rocprim17ROCPRIM_400000_NS6detail17trampoline_kernelINS0_14default_configENS1_27scan_by_key_config_selectorIxxEEZZNS1_16scan_by_key_implILNS1_25lookback_scan_determinismE0ELb1ES3_N6thrust23THRUST_200600_302600_NS6detail15normal_iteratorINS9_10device_ptrIxEEEESE_SE_xNS9_4plusIvEENS9_8equal_toIxEExEE10hipError_tPvRmT2_T3_T4_T5_mT6_T7_P12ihipStream_tbENKUlT_T0_E_clISt17integral_constantIbLb0EESZ_EEDaSU_SV_EUlSU_E_NS1_11comp_targetILNS1_3genE8ELNS1_11target_archE1030ELNS1_3gpuE2ELNS1_3repE0EEENS1_30default_config_static_selectorELNS0_4arch9wavefront6targetE1EEEvT1_, .Lfunc_end433-_ZN7rocprim17ROCPRIM_400000_NS6detail17trampoline_kernelINS0_14default_configENS1_27scan_by_key_config_selectorIxxEEZZNS1_16scan_by_key_implILNS1_25lookback_scan_determinismE0ELb1ES3_N6thrust23THRUST_200600_302600_NS6detail15normal_iteratorINS9_10device_ptrIxEEEESE_SE_xNS9_4plusIvEENS9_8equal_toIxEExEE10hipError_tPvRmT2_T3_T4_T5_mT6_T7_P12ihipStream_tbENKUlT_T0_E_clISt17integral_constantIbLb0EESZ_EEDaSU_SV_EUlSU_E_NS1_11comp_targetILNS1_3genE8ELNS1_11target_archE1030ELNS1_3gpuE2ELNS1_3repE0EEENS1_30default_config_static_selectorELNS0_4arch9wavefront6targetE1EEEvT1_
                                        ; -- End function
	.section	.AMDGPU.csdata,"",@progbits
; Kernel info:
; codeLenInByte = 0
; NumSgprs: 4
; NumVgprs: 0
; NumAgprs: 0
; TotalNumVgprs: 0
; ScratchSize: 0
; MemoryBound: 0
; FloatMode: 240
; IeeeMode: 1
; LDSByteSize: 0 bytes/workgroup (compile time only)
; SGPRBlocks: 0
; VGPRBlocks: 0
; NumSGPRsForWavesPerEU: 4
; NumVGPRsForWavesPerEU: 1
; AccumOffset: 4
; Occupancy: 8
; WaveLimiterHint : 0
; COMPUTE_PGM_RSRC2:SCRATCH_EN: 0
; COMPUTE_PGM_RSRC2:USER_SGPR: 6
; COMPUTE_PGM_RSRC2:TRAP_HANDLER: 0
; COMPUTE_PGM_RSRC2:TGID_X_EN: 1
; COMPUTE_PGM_RSRC2:TGID_Y_EN: 0
; COMPUTE_PGM_RSRC2:TGID_Z_EN: 0
; COMPUTE_PGM_RSRC2:TIDIG_COMP_CNT: 0
; COMPUTE_PGM_RSRC3_GFX90A:ACCUM_OFFSET: 0
; COMPUTE_PGM_RSRC3_GFX90A:TG_SPLIT: 0
	.section	.text._ZN7rocprim17ROCPRIM_400000_NS6detail17trampoline_kernelINS0_14default_configENS1_27scan_by_key_config_selectorIxxEEZZNS1_16scan_by_key_implILNS1_25lookback_scan_determinismE0ELb1ES3_N6thrust23THRUST_200600_302600_NS6detail15normal_iteratorINS9_10device_ptrIxEEEESE_SE_xNS9_4plusIvEENS9_8equal_toIxEExEE10hipError_tPvRmT2_T3_T4_T5_mT6_T7_P12ihipStream_tbENKUlT_T0_E_clISt17integral_constantIbLb1EESZ_EEDaSU_SV_EUlSU_E_NS1_11comp_targetILNS1_3genE0ELNS1_11target_archE4294967295ELNS1_3gpuE0ELNS1_3repE0EEENS1_30default_config_static_selectorELNS0_4arch9wavefront6targetE1EEEvT1_,"axG",@progbits,_ZN7rocprim17ROCPRIM_400000_NS6detail17trampoline_kernelINS0_14default_configENS1_27scan_by_key_config_selectorIxxEEZZNS1_16scan_by_key_implILNS1_25lookback_scan_determinismE0ELb1ES3_N6thrust23THRUST_200600_302600_NS6detail15normal_iteratorINS9_10device_ptrIxEEEESE_SE_xNS9_4plusIvEENS9_8equal_toIxEExEE10hipError_tPvRmT2_T3_T4_T5_mT6_T7_P12ihipStream_tbENKUlT_T0_E_clISt17integral_constantIbLb1EESZ_EEDaSU_SV_EUlSU_E_NS1_11comp_targetILNS1_3genE0ELNS1_11target_archE4294967295ELNS1_3gpuE0ELNS1_3repE0EEENS1_30default_config_static_selectorELNS0_4arch9wavefront6targetE1EEEvT1_,comdat
	.protected	_ZN7rocprim17ROCPRIM_400000_NS6detail17trampoline_kernelINS0_14default_configENS1_27scan_by_key_config_selectorIxxEEZZNS1_16scan_by_key_implILNS1_25lookback_scan_determinismE0ELb1ES3_N6thrust23THRUST_200600_302600_NS6detail15normal_iteratorINS9_10device_ptrIxEEEESE_SE_xNS9_4plusIvEENS9_8equal_toIxEExEE10hipError_tPvRmT2_T3_T4_T5_mT6_T7_P12ihipStream_tbENKUlT_T0_E_clISt17integral_constantIbLb1EESZ_EEDaSU_SV_EUlSU_E_NS1_11comp_targetILNS1_3genE0ELNS1_11target_archE4294967295ELNS1_3gpuE0ELNS1_3repE0EEENS1_30default_config_static_selectorELNS0_4arch9wavefront6targetE1EEEvT1_ ; -- Begin function _ZN7rocprim17ROCPRIM_400000_NS6detail17trampoline_kernelINS0_14default_configENS1_27scan_by_key_config_selectorIxxEEZZNS1_16scan_by_key_implILNS1_25lookback_scan_determinismE0ELb1ES3_N6thrust23THRUST_200600_302600_NS6detail15normal_iteratorINS9_10device_ptrIxEEEESE_SE_xNS9_4plusIvEENS9_8equal_toIxEExEE10hipError_tPvRmT2_T3_T4_T5_mT6_T7_P12ihipStream_tbENKUlT_T0_E_clISt17integral_constantIbLb1EESZ_EEDaSU_SV_EUlSU_E_NS1_11comp_targetILNS1_3genE0ELNS1_11target_archE4294967295ELNS1_3gpuE0ELNS1_3repE0EEENS1_30default_config_static_selectorELNS0_4arch9wavefront6targetE1EEEvT1_
	.globl	_ZN7rocprim17ROCPRIM_400000_NS6detail17trampoline_kernelINS0_14default_configENS1_27scan_by_key_config_selectorIxxEEZZNS1_16scan_by_key_implILNS1_25lookback_scan_determinismE0ELb1ES3_N6thrust23THRUST_200600_302600_NS6detail15normal_iteratorINS9_10device_ptrIxEEEESE_SE_xNS9_4plusIvEENS9_8equal_toIxEExEE10hipError_tPvRmT2_T3_T4_T5_mT6_T7_P12ihipStream_tbENKUlT_T0_E_clISt17integral_constantIbLb1EESZ_EEDaSU_SV_EUlSU_E_NS1_11comp_targetILNS1_3genE0ELNS1_11target_archE4294967295ELNS1_3gpuE0ELNS1_3repE0EEENS1_30default_config_static_selectorELNS0_4arch9wavefront6targetE1EEEvT1_
	.p2align	8
	.type	_ZN7rocprim17ROCPRIM_400000_NS6detail17trampoline_kernelINS0_14default_configENS1_27scan_by_key_config_selectorIxxEEZZNS1_16scan_by_key_implILNS1_25lookback_scan_determinismE0ELb1ES3_N6thrust23THRUST_200600_302600_NS6detail15normal_iteratorINS9_10device_ptrIxEEEESE_SE_xNS9_4plusIvEENS9_8equal_toIxEExEE10hipError_tPvRmT2_T3_T4_T5_mT6_T7_P12ihipStream_tbENKUlT_T0_E_clISt17integral_constantIbLb1EESZ_EEDaSU_SV_EUlSU_E_NS1_11comp_targetILNS1_3genE0ELNS1_11target_archE4294967295ELNS1_3gpuE0ELNS1_3repE0EEENS1_30default_config_static_selectorELNS0_4arch9wavefront6targetE1EEEvT1_,@function
_ZN7rocprim17ROCPRIM_400000_NS6detail17trampoline_kernelINS0_14default_configENS1_27scan_by_key_config_selectorIxxEEZZNS1_16scan_by_key_implILNS1_25lookback_scan_determinismE0ELb1ES3_N6thrust23THRUST_200600_302600_NS6detail15normal_iteratorINS9_10device_ptrIxEEEESE_SE_xNS9_4plusIvEENS9_8equal_toIxEExEE10hipError_tPvRmT2_T3_T4_T5_mT6_T7_P12ihipStream_tbENKUlT_T0_E_clISt17integral_constantIbLb1EESZ_EEDaSU_SV_EUlSU_E_NS1_11comp_targetILNS1_3genE0ELNS1_11target_archE4294967295ELNS1_3gpuE0ELNS1_3repE0EEENS1_30default_config_static_selectorELNS0_4arch9wavefront6targetE1EEEvT1_: ; @_ZN7rocprim17ROCPRIM_400000_NS6detail17trampoline_kernelINS0_14default_configENS1_27scan_by_key_config_selectorIxxEEZZNS1_16scan_by_key_implILNS1_25lookback_scan_determinismE0ELb1ES3_N6thrust23THRUST_200600_302600_NS6detail15normal_iteratorINS9_10device_ptrIxEEEESE_SE_xNS9_4plusIvEENS9_8equal_toIxEExEE10hipError_tPvRmT2_T3_T4_T5_mT6_T7_P12ihipStream_tbENKUlT_T0_E_clISt17integral_constantIbLb1EESZ_EEDaSU_SV_EUlSU_E_NS1_11comp_targetILNS1_3genE0ELNS1_11target_archE4294967295ELNS1_3gpuE0ELNS1_3repE0EEENS1_30default_config_static_selectorELNS0_4arch9wavefront6targetE1EEEvT1_
; %bb.0:
	.section	.rodata,"a",@progbits
	.p2align	6, 0x0
	.amdhsa_kernel _ZN7rocprim17ROCPRIM_400000_NS6detail17trampoline_kernelINS0_14default_configENS1_27scan_by_key_config_selectorIxxEEZZNS1_16scan_by_key_implILNS1_25lookback_scan_determinismE0ELb1ES3_N6thrust23THRUST_200600_302600_NS6detail15normal_iteratorINS9_10device_ptrIxEEEESE_SE_xNS9_4plusIvEENS9_8equal_toIxEExEE10hipError_tPvRmT2_T3_T4_T5_mT6_T7_P12ihipStream_tbENKUlT_T0_E_clISt17integral_constantIbLb1EESZ_EEDaSU_SV_EUlSU_E_NS1_11comp_targetILNS1_3genE0ELNS1_11target_archE4294967295ELNS1_3gpuE0ELNS1_3repE0EEENS1_30default_config_static_selectorELNS0_4arch9wavefront6targetE1EEEvT1_
		.amdhsa_group_segment_fixed_size 0
		.amdhsa_private_segment_fixed_size 0
		.amdhsa_kernarg_size 136
		.amdhsa_user_sgpr_count 6
		.amdhsa_user_sgpr_private_segment_buffer 1
		.amdhsa_user_sgpr_dispatch_ptr 0
		.amdhsa_user_sgpr_queue_ptr 0
		.amdhsa_user_sgpr_kernarg_segment_ptr 1
		.amdhsa_user_sgpr_dispatch_id 0
		.amdhsa_user_sgpr_flat_scratch_init 0
		.amdhsa_user_sgpr_kernarg_preload_length 0
		.amdhsa_user_sgpr_kernarg_preload_offset 0
		.amdhsa_user_sgpr_private_segment_size 0
		.amdhsa_uses_dynamic_stack 0
		.amdhsa_system_sgpr_private_segment_wavefront_offset 0
		.amdhsa_system_sgpr_workgroup_id_x 1
		.amdhsa_system_sgpr_workgroup_id_y 0
		.amdhsa_system_sgpr_workgroup_id_z 0
		.amdhsa_system_sgpr_workgroup_info 0
		.amdhsa_system_vgpr_workitem_id 0
		.amdhsa_next_free_vgpr 1
		.amdhsa_next_free_sgpr 0
		.amdhsa_accum_offset 4
		.amdhsa_reserve_vcc 0
		.amdhsa_reserve_flat_scratch 0
		.amdhsa_float_round_mode_32 0
		.amdhsa_float_round_mode_16_64 0
		.amdhsa_float_denorm_mode_32 3
		.amdhsa_float_denorm_mode_16_64 3
		.amdhsa_dx10_clamp 1
		.amdhsa_ieee_mode 1
		.amdhsa_fp16_overflow 0
		.amdhsa_tg_split 0
		.amdhsa_exception_fp_ieee_invalid_op 0
		.amdhsa_exception_fp_denorm_src 0
		.amdhsa_exception_fp_ieee_div_zero 0
		.amdhsa_exception_fp_ieee_overflow 0
		.amdhsa_exception_fp_ieee_underflow 0
		.amdhsa_exception_fp_ieee_inexact 0
		.amdhsa_exception_int_div_zero 0
	.end_amdhsa_kernel
	.section	.text._ZN7rocprim17ROCPRIM_400000_NS6detail17trampoline_kernelINS0_14default_configENS1_27scan_by_key_config_selectorIxxEEZZNS1_16scan_by_key_implILNS1_25lookback_scan_determinismE0ELb1ES3_N6thrust23THRUST_200600_302600_NS6detail15normal_iteratorINS9_10device_ptrIxEEEESE_SE_xNS9_4plusIvEENS9_8equal_toIxEExEE10hipError_tPvRmT2_T3_T4_T5_mT6_T7_P12ihipStream_tbENKUlT_T0_E_clISt17integral_constantIbLb1EESZ_EEDaSU_SV_EUlSU_E_NS1_11comp_targetILNS1_3genE0ELNS1_11target_archE4294967295ELNS1_3gpuE0ELNS1_3repE0EEENS1_30default_config_static_selectorELNS0_4arch9wavefront6targetE1EEEvT1_,"axG",@progbits,_ZN7rocprim17ROCPRIM_400000_NS6detail17trampoline_kernelINS0_14default_configENS1_27scan_by_key_config_selectorIxxEEZZNS1_16scan_by_key_implILNS1_25lookback_scan_determinismE0ELb1ES3_N6thrust23THRUST_200600_302600_NS6detail15normal_iteratorINS9_10device_ptrIxEEEESE_SE_xNS9_4plusIvEENS9_8equal_toIxEExEE10hipError_tPvRmT2_T3_T4_T5_mT6_T7_P12ihipStream_tbENKUlT_T0_E_clISt17integral_constantIbLb1EESZ_EEDaSU_SV_EUlSU_E_NS1_11comp_targetILNS1_3genE0ELNS1_11target_archE4294967295ELNS1_3gpuE0ELNS1_3repE0EEENS1_30default_config_static_selectorELNS0_4arch9wavefront6targetE1EEEvT1_,comdat
.Lfunc_end434:
	.size	_ZN7rocprim17ROCPRIM_400000_NS6detail17trampoline_kernelINS0_14default_configENS1_27scan_by_key_config_selectorIxxEEZZNS1_16scan_by_key_implILNS1_25lookback_scan_determinismE0ELb1ES3_N6thrust23THRUST_200600_302600_NS6detail15normal_iteratorINS9_10device_ptrIxEEEESE_SE_xNS9_4plusIvEENS9_8equal_toIxEExEE10hipError_tPvRmT2_T3_T4_T5_mT6_T7_P12ihipStream_tbENKUlT_T0_E_clISt17integral_constantIbLb1EESZ_EEDaSU_SV_EUlSU_E_NS1_11comp_targetILNS1_3genE0ELNS1_11target_archE4294967295ELNS1_3gpuE0ELNS1_3repE0EEENS1_30default_config_static_selectorELNS0_4arch9wavefront6targetE1EEEvT1_, .Lfunc_end434-_ZN7rocprim17ROCPRIM_400000_NS6detail17trampoline_kernelINS0_14default_configENS1_27scan_by_key_config_selectorIxxEEZZNS1_16scan_by_key_implILNS1_25lookback_scan_determinismE0ELb1ES3_N6thrust23THRUST_200600_302600_NS6detail15normal_iteratorINS9_10device_ptrIxEEEESE_SE_xNS9_4plusIvEENS9_8equal_toIxEExEE10hipError_tPvRmT2_T3_T4_T5_mT6_T7_P12ihipStream_tbENKUlT_T0_E_clISt17integral_constantIbLb1EESZ_EEDaSU_SV_EUlSU_E_NS1_11comp_targetILNS1_3genE0ELNS1_11target_archE4294967295ELNS1_3gpuE0ELNS1_3repE0EEENS1_30default_config_static_selectorELNS0_4arch9wavefront6targetE1EEEvT1_
                                        ; -- End function
	.section	.AMDGPU.csdata,"",@progbits
; Kernel info:
; codeLenInByte = 0
; NumSgprs: 4
; NumVgprs: 0
; NumAgprs: 0
; TotalNumVgprs: 0
; ScratchSize: 0
; MemoryBound: 0
; FloatMode: 240
; IeeeMode: 1
; LDSByteSize: 0 bytes/workgroup (compile time only)
; SGPRBlocks: 0
; VGPRBlocks: 0
; NumSGPRsForWavesPerEU: 4
; NumVGPRsForWavesPerEU: 1
; AccumOffset: 4
; Occupancy: 8
; WaveLimiterHint : 0
; COMPUTE_PGM_RSRC2:SCRATCH_EN: 0
; COMPUTE_PGM_RSRC2:USER_SGPR: 6
; COMPUTE_PGM_RSRC2:TRAP_HANDLER: 0
; COMPUTE_PGM_RSRC2:TGID_X_EN: 1
; COMPUTE_PGM_RSRC2:TGID_Y_EN: 0
; COMPUTE_PGM_RSRC2:TGID_Z_EN: 0
; COMPUTE_PGM_RSRC2:TIDIG_COMP_CNT: 0
; COMPUTE_PGM_RSRC3_GFX90A:ACCUM_OFFSET: 0
; COMPUTE_PGM_RSRC3_GFX90A:TG_SPLIT: 0
	.section	.text._ZN7rocprim17ROCPRIM_400000_NS6detail17trampoline_kernelINS0_14default_configENS1_27scan_by_key_config_selectorIxxEEZZNS1_16scan_by_key_implILNS1_25lookback_scan_determinismE0ELb1ES3_N6thrust23THRUST_200600_302600_NS6detail15normal_iteratorINS9_10device_ptrIxEEEESE_SE_xNS9_4plusIvEENS9_8equal_toIxEExEE10hipError_tPvRmT2_T3_T4_T5_mT6_T7_P12ihipStream_tbENKUlT_T0_E_clISt17integral_constantIbLb1EESZ_EEDaSU_SV_EUlSU_E_NS1_11comp_targetILNS1_3genE10ELNS1_11target_archE1201ELNS1_3gpuE5ELNS1_3repE0EEENS1_30default_config_static_selectorELNS0_4arch9wavefront6targetE1EEEvT1_,"axG",@progbits,_ZN7rocprim17ROCPRIM_400000_NS6detail17trampoline_kernelINS0_14default_configENS1_27scan_by_key_config_selectorIxxEEZZNS1_16scan_by_key_implILNS1_25lookback_scan_determinismE0ELb1ES3_N6thrust23THRUST_200600_302600_NS6detail15normal_iteratorINS9_10device_ptrIxEEEESE_SE_xNS9_4plusIvEENS9_8equal_toIxEExEE10hipError_tPvRmT2_T3_T4_T5_mT6_T7_P12ihipStream_tbENKUlT_T0_E_clISt17integral_constantIbLb1EESZ_EEDaSU_SV_EUlSU_E_NS1_11comp_targetILNS1_3genE10ELNS1_11target_archE1201ELNS1_3gpuE5ELNS1_3repE0EEENS1_30default_config_static_selectorELNS0_4arch9wavefront6targetE1EEEvT1_,comdat
	.protected	_ZN7rocprim17ROCPRIM_400000_NS6detail17trampoline_kernelINS0_14default_configENS1_27scan_by_key_config_selectorIxxEEZZNS1_16scan_by_key_implILNS1_25lookback_scan_determinismE0ELb1ES3_N6thrust23THRUST_200600_302600_NS6detail15normal_iteratorINS9_10device_ptrIxEEEESE_SE_xNS9_4plusIvEENS9_8equal_toIxEExEE10hipError_tPvRmT2_T3_T4_T5_mT6_T7_P12ihipStream_tbENKUlT_T0_E_clISt17integral_constantIbLb1EESZ_EEDaSU_SV_EUlSU_E_NS1_11comp_targetILNS1_3genE10ELNS1_11target_archE1201ELNS1_3gpuE5ELNS1_3repE0EEENS1_30default_config_static_selectorELNS0_4arch9wavefront6targetE1EEEvT1_ ; -- Begin function _ZN7rocprim17ROCPRIM_400000_NS6detail17trampoline_kernelINS0_14default_configENS1_27scan_by_key_config_selectorIxxEEZZNS1_16scan_by_key_implILNS1_25lookback_scan_determinismE0ELb1ES3_N6thrust23THRUST_200600_302600_NS6detail15normal_iteratorINS9_10device_ptrIxEEEESE_SE_xNS9_4plusIvEENS9_8equal_toIxEExEE10hipError_tPvRmT2_T3_T4_T5_mT6_T7_P12ihipStream_tbENKUlT_T0_E_clISt17integral_constantIbLb1EESZ_EEDaSU_SV_EUlSU_E_NS1_11comp_targetILNS1_3genE10ELNS1_11target_archE1201ELNS1_3gpuE5ELNS1_3repE0EEENS1_30default_config_static_selectorELNS0_4arch9wavefront6targetE1EEEvT1_
	.globl	_ZN7rocprim17ROCPRIM_400000_NS6detail17trampoline_kernelINS0_14default_configENS1_27scan_by_key_config_selectorIxxEEZZNS1_16scan_by_key_implILNS1_25lookback_scan_determinismE0ELb1ES3_N6thrust23THRUST_200600_302600_NS6detail15normal_iteratorINS9_10device_ptrIxEEEESE_SE_xNS9_4plusIvEENS9_8equal_toIxEExEE10hipError_tPvRmT2_T3_T4_T5_mT6_T7_P12ihipStream_tbENKUlT_T0_E_clISt17integral_constantIbLb1EESZ_EEDaSU_SV_EUlSU_E_NS1_11comp_targetILNS1_3genE10ELNS1_11target_archE1201ELNS1_3gpuE5ELNS1_3repE0EEENS1_30default_config_static_selectorELNS0_4arch9wavefront6targetE1EEEvT1_
	.p2align	8
	.type	_ZN7rocprim17ROCPRIM_400000_NS6detail17trampoline_kernelINS0_14default_configENS1_27scan_by_key_config_selectorIxxEEZZNS1_16scan_by_key_implILNS1_25lookback_scan_determinismE0ELb1ES3_N6thrust23THRUST_200600_302600_NS6detail15normal_iteratorINS9_10device_ptrIxEEEESE_SE_xNS9_4plusIvEENS9_8equal_toIxEExEE10hipError_tPvRmT2_T3_T4_T5_mT6_T7_P12ihipStream_tbENKUlT_T0_E_clISt17integral_constantIbLb1EESZ_EEDaSU_SV_EUlSU_E_NS1_11comp_targetILNS1_3genE10ELNS1_11target_archE1201ELNS1_3gpuE5ELNS1_3repE0EEENS1_30default_config_static_selectorELNS0_4arch9wavefront6targetE1EEEvT1_,@function
_ZN7rocprim17ROCPRIM_400000_NS6detail17trampoline_kernelINS0_14default_configENS1_27scan_by_key_config_selectorIxxEEZZNS1_16scan_by_key_implILNS1_25lookback_scan_determinismE0ELb1ES3_N6thrust23THRUST_200600_302600_NS6detail15normal_iteratorINS9_10device_ptrIxEEEESE_SE_xNS9_4plusIvEENS9_8equal_toIxEExEE10hipError_tPvRmT2_T3_T4_T5_mT6_T7_P12ihipStream_tbENKUlT_T0_E_clISt17integral_constantIbLb1EESZ_EEDaSU_SV_EUlSU_E_NS1_11comp_targetILNS1_3genE10ELNS1_11target_archE1201ELNS1_3gpuE5ELNS1_3repE0EEENS1_30default_config_static_selectorELNS0_4arch9wavefront6targetE1EEEvT1_: ; @_ZN7rocprim17ROCPRIM_400000_NS6detail17trampoline_kernelINS0_14default_configENS1_27scan_by_key_config_selectorIxxEEZZNS1_16scan_by_key_implILNS1_25lookback_scan_determinismE0ELb1ES3_N6thrust23THRUST_200600_302600_NS6detail15normal_iteratorINS9_10device_ptrIxEEEESE_SE_xNS9_4plusIvEENS9_8equal_toIxEExEE10hipError_tPvRmT2_T3_T4_T5_mT6_T7_P12ihipStream_tbENKUlT_T0_E_clISt17integral_constantIbLb1EESZ_EEDaSU_SV_EUlSU_E_NS1_11comp_targetILNS1_3genE10ELNS1_11target_archE1201ELNS1_3gpuE5ELNS1_3repE0EEENS1_30default_config_static_selectorELNS0_4arch9wavefront6targetE1EEEvT1_
; %bb.0:
	.section	.rodata,"a",@progbits
	.p2align	6, 0x0
	.amdhsa_kernel _ZN7rocprim17ROCPRIM_400000_NS6detail17trampoline_kernelINS0_14default_configENS1_27scan_by_key_config_selectorIxxEEZZNS1_16scan_by_key_implILNS1_25lookback_scan_determinismE0ELb1ES3_N6thrust23THRUST_200600_302600_NS6detail15normal_iteratorINS9_10device_ptrIxEEEESE_SE_xNS9_4plusIvEENS9_8equal_toIxEExEE10hipError_tPvRmT2_T3_T4_T5_mT6_T7_P12ihipStream_tbENKUlT_T0_E_clISt17integral_constantIbLb1EESZ_EEDaSU_SV_EUlSU_E_NS1_11comp_targetILNS1_3genE10ELNS1_11target_archE1201ELNS1_3gpuE5ELNS1_3repE0EEENS1_30default_config_static_selectorELNS0_4arch9wavefront6targetE1EEEvT1_
		.amdhsa_group_segment_fixed_size 0
		.amdhsa_private_segment_fixed_size 0
		.amdhsa_kernarg_size 136
		.amdhsa_user_sgpr_count 6
		.amdhsa_user_sgpr_private_segment_buffer 1
		.amdhsa_user_sgpr_dispatch_ptr 0
		.amdhsa_user_sgpr_queue_ptr 0
		.amdhsa_user_sgpr_kernarg_segment_ptr 1
		.amdhsa_user_sgpr_dispatch_id 0
		.amdhsa_user_sgpr_flat_scratch_init 0
		.amdhsa_user_sgpr_kernarg_preload_length 0
		.amdhsa_user_sgpr_kernarg_preload_offset 0
		.amdhsa_user_sgpr_private_segment_size 0
		.amdhsa_uses_dynamic_stack 0
		.amdhsa_system_sgpr_private_segment_wavefront_offset 0
		.amdhsa_system_sgpr_workgroup_id_x 1
		.amdhsa_system_sgpr_workgroup_id_y 0
		.amdhsa_system_sgpr_workgroup_id_z 0
		.amdhsa_system_sgpr_workgroup_info 0
		.amdhsa_system_vgpr_workitem_id 0
		.amdhsa_next_free_vgpr 1
		.amdhsa_next_free_sgpr 0
		.amdhsa_accum_offset 4
		.amdhsa_reserve_vcc 0
		.amdhsa_reserve_flat_scratch 0
		.amdhsa_float_round_mode_32 0
		.amdhsa_float_round_mode_16_64 0
		.amdhsa_float_denorm_mode_32 3
		.amdhsa_float_denorm_mode_16_64 3
		.amdhsa_dx10_clamp 1
		.amdhsa_ieee_mode 1
		.amdhsa_fp16_overflow 0
		.amdhsa_tg_split 0
		.amdhsa_exception_fp_ieee_invalid_op 0
		.amdhsa_exception_fp_denorm_src 0
		.amdhsa_exception_fp_ieee_div_zero 0
		.amdhsa_exception_fp_ieee_overflow 0
		.amdhsa_exception_fp_ieee_underflow 0
		.amdhsa_exception_fp_ieee_inexact 0
		.amdhsa_exception_int_div_zero 0
	.end_amdhsa_kernel
	.section	.text._ZN7rocprim17ROCPRIM_400000_NS6detail17trampoline_kernelINS0_14default_configENS1_27scan_by_key_config_selectorIxxEEZZNS1_16scan_by_key_implILNS1_25lookback_scan_determinismE0ELb1ES3_N6thrust23THRUST_200600_302600_NS6detail15normal_iteratorINS9_10device_ptrIxEEEESE_SE_xNS9_4plusIvEENS9_8equal_toIxEExEE10hipError_tPvRmT2_T3_T4_T5_mT6_T7_P12ihipStream_tbENKUlT_T0_E_clISt17integral_constantIbLb1EESZ_EEDaSU_SV_EUlSU_E_NS1_11comp_targetILNS1_3genE10ELNS1_11target_archE1201ELNS1_3gpuE5ELNS1_3repE0EEENS1_30default_config_static_selectorELNS0_4arch9wavefront6targetE1EEEvT1_,"axG",@progbits,_ZN7rocprim17ROCPRIM_400000_NS6detail17trampoline_kernelINS0_14default_configENS1_27scan_by_key_config_selectorIxxEEZZNS1_16scan_by_key_implILNS1_25lookback_scan_determinismE0ELb1ES3_N6thrust23THRUST_200600_302600_NS6detail15normal_iteratorINS9_10device_ptrIxEEEESE_SE_xNS9_4plusIvEENS9_8equal_toIxEExEE10hipError_tPvRmT2_T3_T4_T5_mT6_T7_P12ihipStream_tbENKUlT_T0_E_clISt17integral_constantIbLb1EESZ_EEDaSU_SV_EUlSU_E_NS1_11comp_targetILNS1_3genE10ELNS1_11target_archE1201ELNS1_3gpuE5ELNS1_3repE0EEENS1_30default_config_static_selectorELNS0_4arch9wavefront6targetE1EEEvT1_,comdat
.Lfunc_end435:
	.size	_ZN7rocprim17ROCPRIM_400000_NS6detail17trampoline_kernelINS0_14default_configENS1_27scan_by_key_config_selectorIxxEEZZNS1_16scan_by_key_implILNS1_25lookback_scan_determinismE0ELb1ES3_N6thrust23THRUST_200600_302600_NS6detail15normal_iteratorINS9_10device_ptrIxEEEESE_SE_xNS9_4plusIvEENS9_8equal_toIxEExEE10hipError_tPvRmT2_T3_T4_T5_mT6_T7_P12ihipStream_tbENKUlT_T0_E_clISt17integral_constantIbLb1EESZ_EEDaSU_SV_EUlSU_E_NS1_11comp_targetILNS1_3genE10ELNS1_11target_archE1201ELNS1_3gpuE5ELNS1_3repE0EEENS1_30default_config_static_selectorELNS0_4arch9wavefront6targetE1EEEvT1_, .Lfunc_end435-_ZN7rocprim17ROCPRIM_400000_NS6detail17trampoline_kernelINS0_14default_configENS1_27scan_by_key_config_selectorIxxEEZZNS1_16scan_by_key_implILNS1_25lookback_scan_determinismE0ELb1ES3_N6thrust23THRUST_200600_302600_NS6detail15normal_iteratorINS9_10device_ptrIxEEEESE_SE_xNS9_4plusIvEENS9_8equal_toIxEExEE10hipError_tPvRmT2_T3_T4_T5_mT6_T7_P12ihipStream_tbENKUlT_T0_E_clISt17integral_constantIbLb1EESZ_EEDaSU_SV_EUlSU_E_NS1_11comp_targetILNS1_3genE10ELNS1_11target_archE1201ELNS1_3gpuE5ELNS1_3repE0EEENS1_30default_config_static_selectorELNS0_4arch9wavefront6targetE1EEEvT1_
                                        ; -- End function
	.section	.AMDGPU.csdata,"",@progbits
; Kernel info:
; codeLenInByte = 0
; NumSgprs: 4
; NumVgprs: 0
; NumAgprs: 0
; TotalNumVgprs: 0
; ScratchSize: 0
; MemoryBound: 0
; FloatMode: 240
; IeeeMode: 1
; LDSByteSize: 0 bytes/workgroup (compile time only)
; SGPRBlocks: 0
; VGPRBlocks: 0
; NumSGPRsForWavesPerEU: 4
; NumVGPRsForWavesPerEU: 1
; AccumOffset: 4
; Occupancy: 8
; WaveLimiterHint : 0
; COMPUTE_PGM_RSRC2:SCRATCH_EN: 0
; COMPUTE_PGM_RSRC2:USER_SGPR: 6
; COMPUTE_PGM_RSRC2:TRAP_HANDLER: 0
; COMPUTE_PGM_RSRC2:TGID_X_EN: 1
; COMPUTE_PGM_RSRC2:TGID_Y_EN: 0
; COMPUTE_PGM_RSRC2:TGID_Z_EN: 0
; COMPUTE_PGM_RSRC2:TIDIG_COMP_CNT: 0
; COMPUTE_PGM_RSRC3_GFX90A:ACCUM_OFFSET: 0
; COMPUTE_PGM_RSRC3_GFX90A:TG_SPLIT: 0
	.section	.text._ZN7rocprim17ROCPRIM_400000_NS6detail17trampoline_kernelINS0_14default_configENS1_27scan_by_key_config_selectorIxxEEZZNS1_16scan_by_key_implILNS1_25lookback_scan_determinismE0ELb1ES3_N6thrust23THRUST_200600_302600_NS6detail15normal_iteratorINS9_10device_ptrIxEEEESE_SE_xNS9_4plusIvEENS9_8equal_toIxEExEE10hipError_tPvRmT2_T3_T4_T5_mT6_T7_P12ihipStream_tbENKUlT_T0_E_clISt17integral_constantIbLb1EESZ_EEDaSU_SV_EUlSU_E_NS1_11comp_targetILNS1_3genE5ELNS1_11target_archE942ELNS1_3gpuE9ELNS1_3repE0EEENS1_30default_config_static_selectorELNS0_4arch9wavefront6targetE1EEEvT1_,"axG",@progbits,_ZN7rocprim17ROCPRIM_400000_NS6detail17trampoline_kernelINS0_14default_configENS1_27scan_by_key_config_selectorIxxEEZZNS1_16scan_by_key_implILNS1_25lookback_scan_determinismE0ELb1ES3_N6thrust23THRUST_200600_302600_NS6detail15normal_iteratorINS9_10device_ptrIxEEEESE_SE_xNS9_4plusIvEENS9_8equal_toIxEExEE10hipError_tPvRmT2_T3_T4_T5_mT6_T7_P12ihipStream_tbENKUlT_T0_E_clISt17integral_constantIbLb1EESZ_EEDaSU_SV_EUlSU_E_NS1_11comp_targetILNS1_3genE5ELNS1_11target_archE942ELNS1_3gpuE9ELNS1_3repE0EEENS1_30default_config_static_selectorELNS0_4arch9wavefront6targetE1EEEvT1_,comdat
	.protected	_ZN7rocprim17ROCPRIM_400000_NS6detail17trampoline_kernelINS0_14default_configENS1_27scan_by_key_config_selectorIxxEEZZNS1_16scan_by_key_implILNS1_25lookback_scan_determinismE0ELb1ES3_N6thrust23THRUST_200600_302600_NS6detail15normal_iteratorINS9_10device_ptrIxEEEESE_SE_xNS9_4plusIvEENS9_8equal_toIxEExEE10hipError_tPvRmT2_T3_T4_T5_mT6_T7_P12ihipStream_tbENKUlT_T0_E_clISt17integral_constantIbLb1EESZ_EEDaSU_SV_EUlSU_E_NS1_11comp_targetILNS1_3genE5ELNS1_11target_archE942ELNS1_3gpuE9ELNS1_3repE0EEENS1_30default_config_static_selectorELNS0_4arch9wavefront6targetE1EEEvT1_ ; -- Begin function _ZN7rocprim17ROCPRIM_400000_NS6detail17trampoline_kernelINS0_14default_configENS1_27scan_by_key_config_selectorIxxEEZZNS1_16scan_by_key_implILNS1_25lookback_scan_determinismE0ELb1ES3_N6thrust23THRUST_200600_302600_NS6detail15normal_iteratorINS9_10device_ptrIxEEEESE_SE_xNS9_4plusIvEENS9_8equal_toIxEExEE10hipError_tPvRmT2_T3_T4_T5_mT6_T7_P12ihipStream_tbENKUlT_T0_E_clISt17integral_constantIbLb1EESZ_EEDaSU_SV_EUlSU_E_NS1_11comp_targetILNS1_3genE5ELNS1_11target_archE942ELNS1_3gpuE9ELNS1_3repE0EEENS1_30default_config_static_selectorELNS0_4arch9wavefront6targetE1EEEvT1_
	.globl	_ZN7rocprim17ROCPRIM_400000_NS6detail17trampoline_kernelINS0_14default_configENS1_27scan_by_key_config_selectorIxxEEZZNS1_16scan_by_key_implILNS1_25lookback_scan_determinismE0ELb1ES3_N6thrust23THRUST_200600_302600_NS6detail15normal_iteratorINS9_10device_ptrIxEEEESE_SE_xNS9_4plusIvEENS9_8equal_toIxEExEE10hipError_tPvRmT2_T3_T4_T5_mT6_T7_P12ihipStream_tbENKUlT_T0_E_clISt17integral_constantIbLb1EESZ_EEDaSU_SV_EUlSU_E_NS1_11comp_targetILNS1_3genE5ELNS1_11target_archE942ELNS1_3gpuE9ELNS1_3repE0EEENS1_30default_config_static_selectorELNS0_4arch9wavefront6targetE1EEEvT1_
	.p2align	8
	.type	_ZN7rocprim17ROCPRIM_400000_NS6detail17trampoline_kernelINS0_14default_configENS1_27scan_by_key_config_selectorIxxEEZZNS1_16scan_by_key_implILNS1_25lookback_scan_determinismE0ELb1ES3_N6thrust23THRUST_200600_302600_NS6detail15normal_iteratorINS9_10device_ptrIxEEEESE_SE_xNS9_4plusIvEENS9_8equal_toIxEExEE10hipError_tPvRmT2_T3_T4_T5_mT6_T7_P12ihipStream_tbENKUlT_T0_E_clISt17integral_constantIbLb1EESZ_EEDaSU_SV_EUlSU_E_NS1_11comp_targetILNS1_3genE5ELNS1_11target_archE942ELNS1_3gpuE9ELNS1_3repE0EEENS1_30default_config_static_selectorELNS0_4arch9wavefront6targetE1EEEvT1_,@function
_ZN7rocprim17ROCPRIM_400000_NS6detail17trampoline_kernelINS0_14default_configENS1_27scan_by_key_config_selectorIxxEEZZNS1_16scan_by_key_implILNS1_25lookback_scan_determinismE0ELb1ES3_N6thrust23THRUST_200600_302600_NS6detail15normal_iteratorINS9_10device_ptrIxEEEESE_SE_xNS9_4plusIvEENS9_8equal_toIxEExEE10hipError_tPvRmT2_T3_T4_T5_mT6_T7_P12ihipStream_tbENKUlT_T0_E_clISt17integral_constantIbLb1EESZ_EEDaSU_SV_EUlSU_E_NS1_11comp_targetILNS1_3genE5ELNS1_11target_archE942ELNS1_3gpuE9ELNS1_3repE0EEENS1_30default_config_static_selectorELNS0_4arch9wavefront6targetE1EEEvT1_: ; @_ZN7rocprim17ROCPRIM_400000_NS6detail17trampoline_kernelINS0_14default_configENS1_27scan_by_key_config_selectorIxxEEZZNS1_16scan_by_key_implILNS1_25lookback_scan_determinismE0ELb1ES3_N6thrust23THRUST_200600_302600_NS6detail15normal_iteratorINS9_10device_ptrIxEEEESE_SE_xNS9_4plusIvEENS9_8equal_toIxEExEE10hipError_tPvRmT2_T3_T4_T5_mT6_T7_P12ihipStream_tbENKUlT_T0_E_clISt17integral_constantIbLb1EESZ_EEDaSU_SV_EUlSU_E_NS1_11comp_targetILNS1_3genE5ELNS1_11target_archE942ELNS1_3gpuE9ELNS1_3repE0EEENS1_30default_config_static_selectorELNS0_4arch9wavefront6targetE1EEEvT1_
; %bb.0:
	.section	.rodata,"a",@progbits
	.p2align	6, 0x0
	.amdhsa_kernel _ZN7rocprim17ROCPRIM_400000_NS6detail17trampoline_kernelINS0_14default_configENS1_27scan_by_key_config_selectorIxxEEZZNS1_16scan_by_key_implILNS1_25lookback_scan_determinismE0ELb1ES3_N6thrust23THRUST_200600_302600_NS6detail15normal_iteratorINS9_10device_ptrIxEEEESE_SE_xNS9_4plusIvEENS9_8equal_toIxEExEE10hipError_tPvRmT2_T3_T4_T5_mT6_T7_P12ihipStream_tbENKUlT_T0_E_clISt17integral_constantIbLb1EESZ_EEDaSU_SV_EUlSU_E_NS1_11comp_targetILNS1_3genE5ELNS1_11target_archE942ELNS1_3gpuE9ELNS1_3repE0EEENS1_30default_config_static_selectorELNS0_4arch9wavefront6targetE1EEEvT1_
		.amdhsa_group_segment_fixed_size 0
		.amdhsa_private_segment_fixed_size 0
		.amdhsa_kernarg_size 136
		.amdhsa_user_sgpr_count 6
		.amdhsa_user_sgpr_private_segment_buffer 1
		.amdhsa_user_sgpr_dispatch_ptr 0
		.amdhsa_user_sgpr_queue_ptr 0
		.amdhsa_user_sgpr_kernarg_segment_ptr 1
		.amdhsa_user_sgpr_dispatch_id 0
		.amdhsa_user_sgpr_flat_scratch_init 0
		.amdhsa_user_sgpr_kernarg_preload_length 0
		.amdhsa_user_sgpr_kernarg_preload_offset 0
		.amdhsa_user_sgpr_private_segment_size 0
		.amdhsa_uses_dynamic_stack 0
		.amdhsa_system_sgpr_private_segment_wavefront_offset 0
		.amdhsa_system_sgpr_workgroup_id_x 1
		.amdhsa_system_sgpr_workgroup_id_y 0
		.amdhsa_system_sgpr_workgroup_id_z 0
		.amdhsa_system_sgpr_workgroup_info 0
		.amdhsa_system_vgpr_workitem_id 0
		.amdhsa_next_free_vgpr 1
		.amdhsa_next_free_sgpr 0
		.amdhsa_accum_offset 4
		.amdhsa_reserve_vcc 0
		.amdhsa_reserve_flat_scratch 0
		.amdhsa_float_round_mode_32 0
		.amdhsa_float_round_mode_16_64 0
		.amdhsa_float_denorm_mode_32 3
		.amdhsa_float_denorm_mode_16_64 3
		.amdhsa_dx10_clamp 1
		.amdhsa_ieee_mode 1
		.amdhsa_fp16_overflow 0
		.amdhsa_tg_split 0
		.amdhsa_exception_fp_ieee_invalid_op 0
		.amdhsa_exception_fp_denorm_src 0
		.amdhsa_exception_fp_ieee_div_zero 0
		.amdhsa_exception_fp_ieee_overflow 0
		.amdhsa_exception_fp_ieee_underflow 0
		.amdhsa_exception_fp_ieee_inexact 0
		.amdhsa_exception_int_div_zero 0
	.end_amdhsa_kernel
	.section	.text._ZN7rocprim17ROCPRIM_400000_NS6detail17trampoline_kernelINS0_14default_configENS1_27scan_by_key_config_selectorIxxEEZZNS1_16scan_by_key_implILNS1_25lookback_scan_determinismE0ELb1ES3_N6thrust23THRUST_200600_302600_NS6detail15normal_iteratorINS9_10device_ptrIxEEEESE_SE_xNS9_4plusIvEENS9_8equal_toIxEExEE10hipError_tPvRmT2_T3_T4_T5_mT6_T7_P12ihipStream_tbENKUlT_T0_E_clISt17integral_constantIbLb1EESZ_EEDaSU_SV_EUlSU_E_NS1_11comp_targetILNS1_3genE5ELNS1_11target_archE942ELNS1_3gpuE9ELNS1_3repE0EEENS1_30default_config_static_selectorELNS0_4arch9wavefront6targetE1EEEvT1_,"axG",@progbits,_ZN7rocprim17ROCPRIM_400000_NS6detail17trampoline_kernelINS0_14default_configENS1_27scan_by_key_config_selectorIxxEEZZNS1_16scan_by_key_implILNS1_25lookback_scan_determinismE0ELb1ES3_N6thrust23THRUST_200600_302600_NS6detail15normal_iteratorINS9_10device_ptrIxEEEESE_SE_xNS9_4plusIvEENS9_8equal_toIxEExEE10hipError_tPvRmT2_T3_T4_T5_mT6_T7_P12ihipStream_tbENKUlT_T0_E_clISt17integral_constantIbLb1EESZ_EEDaSU_SV_EUlSU_E_NS1_11comp_targetILNS1_3genE5ELNS1_11target_archE942ELNS1_3gpuE9ELNS1_3repE0EEENS1_30default_config_static_selectorELNS0_4arch9wavefront6targetE1EEEvT1_,comdat
.Lfunc_end436:
	.size	_ZN7rocprim17ROCPRIM_400000_NS6detail17trampoline_kernelINS0_14default_configENS1_27scan_by_key_config_selectorIxxEEZZNS1_16scan_by_key_implILNS1_25lookback_scan_determinismE0ELb1ES3_N6thrust23THRUST_200600_302600_NS6detail15normal_iteratorINS9_10device_ptrIxEEEESE_SE_xNS9_4plusIvEENS9_8equal_toIxEExEE10hipError_tPvRmT2_T3_T4_T5_mT6_T7_P12ihipStream_tbENKUlT_T0_E_clISt17integral_constantIbLb1EESZ_EEDaSU_SV_EUlSU_E_NS1_11comp_targetILNS1_3genE5ELNS1_11target_archE942ELNS1_3gpuE9ELNS1_3repE0EEENS1_30default_config_static_selectorELNS0_4arch9wavefront6targetE1EEEvT1_, .Lfunc_end436-_ZN7rocprim17ROCPRIM_400000_NS6detail17trampoline_kernelINS0_14default_configENS1_27scan_by_key_config_selectorIxxEEZZNS1_16scan_by_key_implILNS1_25lookback_scan_determinismE0ELb1ES3_N6thrust23THRUST_200600_302600_NS6detail15normal_iteratorINS9_10device_ptrIxEEEESE_SE_xNS9_4plusIvEENS9_8equal_toIxEExEE10hipError_tPvRmT2_T3_T4_T5_mT6_T7_P12ihipStream_tbENKUlT_T0_E_clISt17integral_constantIbLb1EESZ_EEDaSU_SV_EUlSU_E_NS1_11comp_targetILNS1_3genE5ELNS1_11target_archE942ELNS1_3gpuE9ELNS1_3repE0EEENS1_30default_config_static_selectorELNS0_4arch9wavefront6targetE1EEEvT1_
                                        ; -- End function
	.section	.AMDGPU.csdata,"",@progbits
; Kernel info:
; codeLenInByte = 0
; NumSgprs: 4
; NumVgprs: 0
; NumAgprs: 0
; TotalNumVgprs: 0
; ScratchSize: 0
; MemoryBound: 0
; FloatMode: 240
; IeeeMode: 1
; LDSByteSize: 0 bytes/workgroup (compile time only)
; SGPRBlocks: 0
; VGPRBlocks: 0
; NumSGPRsForWavesPerEU: 4
; NumVGPRsForWavesPerEU: 1
; AccumOffset: 4
; Occupancy: 8
; WaveLimiterHint : 0
; COMPUTE_PGM_RSRC2:SCRATCH_EN: 0
; COMPUTE_PGM_RSRC2:USER_SGPR: 6
; COMPUTE_PGM_RSRC2:TRAP_HANDLER: 0
; COMPUTE_PGM_RSRC2:TGID_X_EN: 1
; COMPUTE_PGM_RSRC2:TGID_Y_EN: 0
; COMPUTE_PGM_RSRC2:TGID_Z_EN: 0
; COMPUTE_PGM_RSRC2:TIDIG_COMP_CNT: 0
; COMPUTE_PGM_RSRC3_GFX90A:ACCUM_OFFSET: 0
; COMPUTE_PGM_RSRC3_GFX90A:TG_SPLIT: 0
	.section	.text._ZN7rocprim17ROCPRIM_400000_NS6detail17trampoline_kernelINS0_14default_configENS1_27scan_by_key_config_selectorIxxEEZZNS1_16scan_by_key_implILNS1_25lookback_scan_determinismE0ELb1ES3_N6thrust23THRUST_200600_302600_NS6detail15normal_iteratorINS9_10device_ptrIxEEEESE_SE_xNS9_4plusIvEENS9_8equal_toIxEExEE10hipError_tPvRmT2_T3_T4_T5_mT6_T7_P12ihipStream_tbENKUlT_T0_E_clISt17integral_constantIbLb1EESZ_EEDaSU_SV_EUlSU_E_NS1_11comp_targetILNS1_3genE4ELNS1_11target_archE910ELNS1_3gpuE8ELNS1_3repE0EEENS1_30default_config_static_selectorELNS0_4arch9wavefront6targetE1EEEvT1_,"axG",@progbits,_ZN7rocprim17ROCPRIM_400000_NS6detail17trampoline_kernelINS0_14default_configENS1_27scan_by_key_config_selectorIxxEEZZNS1_16scan_by_key_implILNS1_25lookback_scan_determinismE0ELb1ES3_N6thrust23THRUST_200600_302600_NS6detail15normal_iteratorINS9_10device_ptrIxEEEESE_SE_xNS9_4plusIvEENS9_8equal_toIxEExEE10hipError_tPvRmT2_T3_T4_T5_mT6_T7_P12ihipStream_tbENKUlT_T0_E_clISt17integral_constantIbLb1EESZ_EEDaSU_SV_EUlSU_E_NS1_11comp_targetILNS1_3genE4ELNS1_11target_archE910ELNS1_3gpuE8ELNS1_3repE0EEENS1_30default_config_static_selectorELNS0_4arch9wavefront6targetE1EEEvT1_,comdat
	.protected	_ZN7rocprim17ROCPRIM_400000_NS6detail17trampoline_kernelINS0_14default_configENS1_27scan_by_key_config_selectorIxxEEZZNS1_16scan_by_key_implILNS1_25lookback_scan_determinismE0ELb1ES3_N6thrust23THRUST_200600_302600_NS6detail15normal_iteratorINS9_10device_ptrIxEEEESE_SE_xNS9_4plusIvEENS9_8equal_toIxEExEE10hipError_tPvRmT2_T3_T4_T5_mT6_T7_P12ihipStream_tbENKUlT_T0_E_clISt17integral_constantIbLb1EESZ_EEDaSU_SV_EUlSU_E_NS1_11comp_targetILNS1_3genE4ELNS1_11target_archE910ELNS1_3gpuE8ELNS1_3repE0EEENS1_30default_config_static_selectorELNS0_4arch9wavefront6targetE1EEEvT1_ ; -- Begin function _ZN7rocprim17ROCPRIM_400000_NS6detail17trampoline_kernelINS0_14default_configENS1_27scan_by_key_config_selectorIxxEEZZNS1_16scan_by_key_implILNS1_25lookback_scan_determinismE0ELb1ES3_N6thrust23THRUST_200600_302600_NS6detail15normal_iteratorINS9_10device_ptrIxEEEESE_SE_xNS9_4plusIvEENS9_8equal_toIxEExEE10hipError_tPvRmT2_T3_T4_T5_mT6_T7_P12ihipStream_tbENKUlT_T0_E_clISt17integral_constantIbLb1EESZ_EEDaSU_SV_EUlSU_E_NS1_11comp_targetILNS1_3genE4ELNS1_11target_archE910ELNS1_3gpuE8ELNS1_3repE0EEENS1_30default_config_static_selectorELNS0_4arch9wavefront6targetE1EEEvT1_
	.globl	_ZN7rocprim17ROCPRIM_400000_NS6detail17trampoline_kernelINS0_14default_configENS1_27scan_by_key_config_selectorIxxEEZZNS1_16scan_by_key_implILNS1_25lookback_scan_determinismE0ELb1ES3_N6thrust23THRUST_200600_302600_NS6detail15normal_iteratorINS9_10device_ptrIxEEEESE_SE_xNS9_4plusIvEENS9_8equal_toIxEExEE10hipError_tPvRmT2_T3_T4_T5_mT6_T7_P12ihipStream_tbENKUlT_T0_E_clISt17integral_constantIbLb1EESZ_EEDaSU_SV_EUlSU_E_NS1_11comp_targetILNS1_3genE4ELNS1_11target_archE910ELNS1_3gpuE8ELNS1_3repE0EEENS1_30default_config_static_selectorELNS0_4arch9wavefront6targetE1EEEvT1_
	.p2align	8
	.type	_ZN7rocprim17ROCPRIM_400000_NS6detail17trampoline_kernelINS0_14default_configENS1_27scan_by_key_config_selectorIxxEEZZNS1_16scan_by_key_implILNS1_25lookback_scan_determinismE0ELb1ES3_N6thrust23THRUST_200600_302600_NS6detail15normal_iteratorINS9_10device_ptrIxEEEESE_SE_xNS9_4plusIvEENS9_8equal_toIxEExEE10hipError_tPvRmT2_T3_T4_T5_mT6_T7_P12ihipStream_tbENKUlT_T0_E_clISt17integral_constantIbLb1EESZ_EEDaSU_SV_EUlSU_E_NS1_11comp_targetILNS1_3genE4ELNS1_11target_archE910ELNS1_3gpuE8ELNS1_3repE0EEENS1_30default_config_static_selectorELNS0_4arch9wavefront6targetE1EEEvT1_,@function
_ZN7rocprim17ROCPRIM_400000_NS6detail17trampoline_kernelINS0_14default_configENS1_27scan_by_key_config_selectorIxxEEZZNS1_16scan_by_key_implILNS1_25lookback_scan_determinismE0ELb1ES3_N6thrust23THRUST_200600_302600_NS6detail15normal_iteratorINS9_10device_ptrIxEEEESE_SE_xNS9_4plusIvEENS9_8equal_toIxEExEE10hipError_tPvRmT2_T3_T4_T5_mT6_T7_P12ihipStream_tbENKUlT_T0_E_clISt17integral_constantIbLb1EESZ_EEDaSU_SV_EUlSU_E_NS1_11comp_targetILNS1_3genE4ELNS1_11target_archE910ELNS1_3gpuE8ELNS1_3repE0EEENS1_30default_config_static_selectorELNS0_4arch9wavefront6targetE1EEEvT1_: ; @_ZN7rocprim17ROCPRIM_400000_NS6detail17trampoline_kernelINS0_14default_configENS1_27scan_by_key_config_selectorIxxEEZZNS1_16scan_by_key_implILNS1_25lookback_scan_determinismE0ELb1ES3_N6thrust23THRUST_200600_302600_NS6detail15normal_iteratorINS9_10device_ptrIxEEEESE_SE_xNS9_4plusIvEENS9_8equal_toIxEExEE10hipError_tPvRmT2_T3_T4_T5_mT6_T7_P12ihipStream_tbENKUlT_T0_E_clISt17integral_constantIbLb1EESZ_EEDaSU_SV_EUlSU_E_NS1_11comp_targetILNS1_3genE4ELNS1_11target_archE910ELNS1_3gpuE8ELNS1_3repE0EEENS1_30default_config_static_selectorELNS0_4arch9wavefront6targetE1EEEvT1_
; %bb.0:
	s_load_dwordx8 s[52:59], s[4:5], 0x0
	s_load_dwordx2 s[64:65], s[4:5], 0x20
	s_load_dwordx8 s[44:51], s[4:5], 0x30
	s_load_dwordx2 s[66:67], s[4:5], 0x50
	v_cmp_eq_u32_e64 s[0:1], 0, v0
	s_and_saveexec_b64 s[2:3], s[0:1]
	s_cbranch_execz .LBB437_4
; %bb.1:
	s_mov_b64 s[8:9], exec
	v_mbcnt_lo_u32_b32 v1, s8, 0
	v_mbcnt_hi_u32_b32 v1, s9, v1
	v_cmp_eq_u32_e32 vcc, 0, v1
                                        ; implicit-def: $vgpr2
	s_and_saveexec_b64 s[6:7], vcc
	s_cbranch_execz .LBB437_3
; %bb.2:
	s_load_dwordx2 s[10:11], s[4:5], 0x80
	s_bcnt1_i32_b64 s8, s[8:9]
	v_mov_b32_e32 v2, 0
	v_mov_b32_e32 v3, s8
	s_waitcnt lgkmcnt(0)
	global_atomic_add v2, v2, v3, s[10:11] glc
.LBB437_3:
	s_or_b64 exec, exec, s[6:7]
	s_waitcnt vmcnt(0)
	v_readfirstlane_b32 s6, v2
	v_add_u32_e32 v1, s6, v1
	v_mov_b32_e32 v2, 0
	ds_write_b32 v2, v1
.LBB437_4:
	s_or_b64 exec, exec, s[2:3]
	s_load_dword s2, s[4:5], 0x58
	s_load_dwordx4 s[60:63], s[4:5], 0x60
	v_mov_b32_e32 v3, 0
	s_waitcnt lgkmcnt(0)
	s_lshl_b64 s[54:55], s[54:55], 3
	s_waitcnt lgkmcnt(0)
	; wave barrier
	ds_read_b32 v1, v3
	s_add_u32 s3, s52, s54
	s_addc_u32 s4, s53, s55
	s_add_u32 s5, s56, s54
	s_mul_i32 s7, s67, s2
	s_mul_hi_u32 s8, s66, s2
	s_addc_u32 s6, s57, s55
	s_add_i32 s7, s8, s7
	s_movk_i32 s8, 0x4c0
	s_waitcnt lgkmcnt(0)
	v_mul_lo_u32 v2, v1, s8
	v_lshlrev_b64 v[74:75], 3, v[2:3]
	v_mov_b32_e32 v2, s4
	v_add_co_u32_e32 v78, vcc, s3, v74
	v_addc_co_u32_e32 v79, vcc, v2, v75, vcc
	v_mov_b32_e32 v2, s6
	v_add_co_u32_e32 v84, vcc, s5, v74
	s_mul_i32 s2, s66, s2
	v_addc_co_u32_e32 v85, vcc, v2, v75, vcc
	v_mov_b32_e32 v3, s7
	v_add_co_u32_e32 v2, vcc, s2, v1
	s_add_u32 s6, s60, -1
	v_addc_co_u32_e32 v3, vcc, 0, v3, vcc
	s_addc_u32 s7, s61, -1
	v_cmp_le_u64_e64 s[2:3], s[6:7], v[2:3]
	v_readfirstlane_b32 s51, v1
	s_mov_b64 s[4:5], -1
	s_and_b64 vcc, exec, s[2:3]
	s_mul_i32 s33, s6, 0xfffffb40
	s_waitcnt lgkmcnt(0)
	; wave barrier
	s_waitcnt lgkmcnt(0)
	s_waitcnt lgkmcnt(0)
	; wave barrier
	s_cbranch_vccz .LBB437_63
; %bb.5:
	flat_load_dwordx2 v[2:3], v[78:79]
	s_add_i32 s60, s33, s50
	v_cmp_gt_u32_e32 vcc, s60, v0
	s_waitcnt vmcnt(0) lgkmcnt(0)
	v_pk_mov_b32 v[4:5], v[2:3], v[2:3] op_sel:[0,1]
	s_and_saveexec_b64 s[6:7], vcc
	s_cbranch_execz .LBB437_7
; %bb.6:
	v_lshlrev_b32_e32 v1, 3, v0
	v_add_co_u32_e64 v4, s[4:5], v78, v1
	v_addc_co_u32_e64 v5, s[4:5], 0, v79, s[4:5]
	flat_load_dwordx2 v[4:5], v[4:5]
.LBB437_7:
	s_or_b64 exec, exec, s[6:7]
	v_or_b32_e32 v1, 64, v0
	v_cmp_gt_u32_e64 s[4:5], s60, v1
	v_pk_mov_b32 v[6:7], v[2:3], v[2:3] op_sel:[0,1]
	s_and_saveexec_b64 s[8:9], s[4:5]
	s_cbranch_execz .LBB437_9
; %bb.8:
	v_lshlrev_b32_e32 v1, 3, v0
	v_add_co_u32_e64 v6, s[6:7], v78, v1
	v_addc_co_u32_e64 v7, s[6:7], 0, v79, s[6:7]
	flat_load_dwordx2 v[6:7], v[6:7] offset:512
.LBB437_9:
	s_or_b64 exec, exec, s[8:9]
	v_or_b32_e32 v1, 0x80, v0
	v_cmp_gt_u32_e64 s[6:7], s60, v1
	v_pk_mov_b32 v[8:9], v[2:3], v[2:3] op_sel:[0,1]
	s_and_saveexec_b64 s[10:11], s[6:7]
	s_cbranch_execz .LBB437_11
; %bb.10:
	v_lshlrev_b32_e32 v1, 3, v0
	v_add_co_u32_e64 v8, s[8:9], v78, v1
	v_addc_co_u32_e64 v9, s[8:9], 0, v79, s[8:9]
	flat_load_dwordx2 v[8:9], v[8:9] offset:1024
.LBB437_11:
	;; [unrolled: 12-line block ×7, first 2 shown]
	s_or_b64 exec, exec, s[20:21]
	v_or_b32_e32 v1, 0x200, v0
	v_cmp_gt_u32_e64 s[18:19], s60, v1
	v_pk_mov_b32 v[20:21], v[2:3], v[2:3] op_sel:[0,1]
	s_and_saveexec_b64 s[22:23], s[18:19]
	s_cbranch_execz .LBB437_23
; %bb.22:
	v_lshlrev_b32_e32 v20, 3, v1
	v_add_co_u32_e64 v20, s[20:21], v78, v20
	v_addc_co_u32_e64 v21, s[20:21], 0, v79, s[20:21]
	flat_load_dwordx2 v[20:21], v[20:21]
.LBB437_23:
	s_or_b64 exec, exec, s[22:23]
	v_or_b32_e32 v60, 0x240, v0
	v_cmp_gt_u32_e64 s[20:21], s60, v60
	v_pk_mov_b32 v[22:23], v[2:3], v[2:3] op_sel:[0,1]
	s_and_saveexec_b64 s[24:25], s[20:21]
	s_cbranch_execz .LBB437_25
; %bb.24:
	v_lshlrev_b32_e32 v22, 3, v60
	v_add_co_u32_e64 v22, s[22:23], v78, v22
	v_addc_co_u32_e64 v23, s[22:23], 0, v79, s[22:23]
	flat_load_dwordx2 v[22:23], v[22:23]
.LBB437_25:
	s_or_b64 exec, exec, s[24:25]
	v_or_b32_e32 v62, 0x280, v0
	v_cmp_gt_u32_e64 s[22:23], s60, v62
	v_pk_mov_b32 v[24:25], v[2:3], v[2:3] op_sel:[0,1]
	s_and_saveexec_b64 s[26:27], s[22:23]
	s_cbranch_execz .LBB437_27
; %bb.26:
	v_lshlrev_b32_e32 v24, 3, v62
	v_add_co_u32_e64 v24, s[24:25], v78, v24
	v_addc_co_u32_e64 v25, s[24:25], 0, v79, s[24:25]
	flat_load_dwordx2 v[24:25], v[24:25]
.LBB437_27:
	s_or_b64 exec, exec, s[26:27]
	v_or_b32_e32 v64, 0x2c0, v0
	v_cmp_gt_u32_e64 s[24:25], s60, v64
	v_pk_mov_b32 v[26:27], v[2:3], v[2:3] op_sel:[0,1]
	s_and_saveexec_b64 s[28:29], s[24:25]
	s_cbranch_execz .LBB437_29
; %bb.28:
	v_lshlrev_b32_e32 v26, 3, v64
	v_add_co_u32_e64 v26, s[26:27], v78, v26
	v_addc_co_u32_e64 v27, s[26:27], 0, v79, s[26:27]
	flat_load_dwordx2 v[26:27], v[26:27]
.LBB437_29:
	s_or_b64 exec, exec, s[28:29]
	v_or_b32_e32 v66, 0x300, v0
	v_cmp_gt_u32_e64 s[26:27], s60, v66
	v_pk_mov_b32 v[28:29], v[2:3], v[2:3] op_sel:[0,1]
	s_and_saveexec_b64 s[30:31], s[26:27]
	s_cbranch_execz .LBB437_31
; %bb.30:
	v_lshlrev_b32_e32 v28, 3, v66
	v_add_co_u32_e64 v28, s[28:29], v78, v28
	v_addc_co_u32_e64 v29, s[28:29], 0, v79, s[28:29]
	flat_load_dwordx2 v[28:29], v[28:29]
.LBB437_31:
	s_or_b64 exec, exec, s[30:31]
	v_or_b32_e32 v68, 0x340, v0
	v_cmp_gt_u32_e64 s[28:29], s60, v68
	v_pk_mov_b32 v[30:31], v[2:3], v[2:3] op_sel:[0,1]
	s_and_saveexec_b64 s[34:35], s[28:29]
	s_cbranch_execz .LBB437_33
; %bb.32:
	v_lshlrev_b32_e32 v30, 3, v68
	v_add_co_u32_e64 v30, s[30:31], v78, v30
	v_addc_co_u32_e64 v31, s[30:31], 0, v79, s[30:31]
	flat_load_dwordx2 v[30:31], v[30:31]
.LBB437_33:
	s_or_b64 exec, exec, s[34:35]
	v_or_b32_e32 v70, 0x380, v0
	v_cmp_gt_u32_e64 s[30:31], s60, v70
	v_pk_mov_b32 v[32:33], v[2:3], v[2:3] op_sel:[0,1]
	s_and_saveexec_b64 s[36:37], s[30:31]
	s_cbranch_execz .LBB437_35
; %bb.34:
	v_lshlrev_b32_e32 v32, 3, v70
	v_add_co_u32_e64 v32, s[34:35], v78, v32
	v_addc_co_u32_e64 v33, s[34:35], 0, v79, s[34:35]
	flat_load_dwordx2 v[32:33], v[32:33]
.LBB437_35:
	s_or_b64 exec, exec, s[36:37]
	v_or_b32_e32 v72, 0x3c0, v0
	v_cmp_gt_u32_e64 s[34:35], s60, v72
	v_pk_mov_b32 v[34:35], v[2:3], v[2:3] op_sel:[0,1]
	s_and_saveexec_b64 s[38:39], s[34:35]
	s_cbranch_execz .LBB437_37
; %bb.36:
	v_lshlrev_b32_e32 v34, 3, v72
	v_add_co_u32_e64 v34, s[36:37], v78, v34
	v_addc_co_u32_e64 v35, s[36:37], 0, v79, s[36:37]
	flat_load_dwordx2 v[34:35], v[34:35]
.LBB437_37:
	s_or_b64 exec, exec, s[38:39]
	v_or_b32_e32 v76, 0x400, v0
	v_cmp_gt_u32_e64 s[36:37], s60, v76
	v_pk_mov_b32 v[36:37], v[2:3], v[2:3] op_sel:[0,1]
	s_and_saveexec_b64 s[40:41], s[36:37]
	s_cbranch_execz .LBB437_39
; %bb.38:
	v_lshlrev_b32_e32 v36, 3, v76
	v_add_co_u32_e64 v36, s[38:39], v78, v36
	v_addc_co_u32_e64 v37, s[38:39], 0, v79, s[38:39]
	flat_load_dwordx2 v[36:37], v[36:37]
.LBB437_39:
	s_or_b64 exec, exec, s[40:41]
	v_or_b32_e32 v80, 0x440, v0
	v_cmp_gt_u32_e64 s[38:39], s60, v80
	v_pk_mov_b32 v[38:39], v[2:3], v[2:3] op_sel:[0,1]
	s_and_saveexec_b64 s[42:43], s[38:39]
	s_cbranch_execz .LBB437_41
; %bb.40:
	v_lshlrev_b32_e32 v38, 3, v80
	v_add_co_u32_e64 v38, s[40:41], v78, v38
	v_addc_co_u32_e64 v39, s[40:41], 0, v79, s[40:41]
	flat_load_dwordx2 v[38:39], v[38:39]
.LBB437_41:
	s_or_b64 exec, exec, s[42:43]
	v_or_b32_e32 v88, 0x480, v0
	v_cmp_gt_u32_e64 s[40:41], s60, v88
	s_and_saveexec_b64 s[52:53], s[40:41]
	s_cbranch_execz .LBB437_43
; %bb.42:
	v_lshlrev_b32_e32 v2, 3, v88
	v_add_co_u32_e64 v2, s[42:43], v78, v2
	v_addc_co_u32_e64 v3, s[42:43], 0, v79, s[42:43]
	flat_load_dwordx2 v[2:3], v[2:3]
.LBB437_43:
	s_or_b64 exec, exec, s[52:53]
	v_lshlrev_b32_e32 v89, 3, v0
	s_waitcnt vmcnt(0) lgkmcnt(0)
	ds_write2st64_b64 v89, v[4:5], v[6:7] offset1:1
	ds_write2st64_b64 v89, v[8:9], v[10:11] offset0:2 offset1:3
	ds_write2st64_b64 v89, v[12:13], v[14:15] offset0:4 offset1:5
	;; [unrolled: 1-line block ×8, first 2 shown]
	ds_write_b64 v89, v[2:3] offset:9216
	s_waitcnt lgkmcnt(0)
	; wave barrier
	s_waitcnt lgkmcnt(0)
	flat_load_dwordx2 v[82:83], v[78:79]
	s_movk_i32 s42, 0x90
	v_mad_u32_u24 v86, v0, s42, v89
	s_movk_i32 s42, 0xff70
	v_mad_i32_i24 v38, v0, s42, v86
	v_cmp_ne_u32_e64 s[42:43], 63, v0
	ds_read_b64 v[40:41], v86
	ds_read2_b64 v[34:37], v86 offset0:1 offset1:2
	ds_read2_b64 v[30:33], v86 offset0:3 offset1:4
	;; [unrolled: 1-line block ×9, first 2 shown]
	s_waitcnt lgkmcnt(0)
	ds_write_b64 v38, v[40:41] offset:10240
	s_waitcnt lgkmcnt(0)
	; wave barrier
	s_waitcnt lgkmcnt(0)
	s_and_saveexec_b64 s[52:53], s[42:43]
	s_cbranch_execz .LBB437_45
; %bb.44:
	s_waitcnt vmcnt(0)
	ds_read_b64 v[82:83], v89 offset:10248
.LBB437_45:
	s_or_b64 exec, exec, s[52:53]
	s_waitcnt lgkmcnt(0)
	; wave barrier
	s_waitcnt lgkmcnt(0)
                                        ; implicit-def: $vgpr38_vgpr39
	s_and_saveexec_b64 s[42:43], vcc
	s_cbranch_execz .LBB437_64
; %bb.46:
	v_add_co_u32_e32 v38, vcc, v84, v89
	v_addc_co_u32_e32 v39, vcc, 0, v85, vcc
	flat_load_dwordx2 v[38:39], v[38:39]
	s_or_b64 exec, exec, s[42:43]
                                        ; implicit-def: $vgpr42_vgpr43
	s_and_saveexec_b64 s[42:43], s[4:5]
	s_cbranch_execnz .LBB437_65
.LBB437_47:
	s_or_b64 exec, exec, s[42:43]
                                        ; implicit-def: $vgpr44_vgpr45
	s_and_saveexec_b64 s[4:5], s[6:7]
	s_cbranch_execz .LBB437_66
.LBB437_48:
	v_add_co_u32_e32 v44, vcc, v84, v89
	v_addc_co_u32_e32 v45, vcc, 0, v85, vcc
	flat_load_dwordx2 v[44:45], v[44:45] offset:1024
	s_or_b64 exec, exec, s[4:5]
                                        ; implicit-def: $vgpr46_vgpr47
	s_and_saveexec_b64 s[4:5], s[8:9]
	s_cbranch_execnz .LBB437_67
.LBB437_49:
	s_or_b64 exec, exec, s[4:5]
                                        ; implicit-def: $vgpr48_vgpr49
	s_and_saveexec_b64 s[4:5], s[10:11]
	s_cbranch_execz .LBB437_68
.LBB437_50:
	v_add_co_u32_e32 v48, vcc, v84, v89
	v_addc_co_u32_e32 v49, vcc, 0, v85, vcc
	flat_load_dwordx2 v[48:49], v[48:49] offset:2048
	s_or_b64 exec, exec, s[4:5]
                                        ; implicit-def: $vgpr50_vgpr51
	s_and_saveexec_b64 s[4:5], s[12:13]
	s_cbranch_execnz .LBB437_69
.LBB437_51:
	s_or_b64 exec, exec, s[4:5]
                                        ; implicit-def: $vgpr52_vgpr53
	s_and_saveexec_b64 s[4:5], s[14:15]
	s_cbranch_execz .LBB437_70
.LBB437_52:
	v_add_co_u32_e32 v52, vcc, v84, v89
	v_addc_co_u32_e32 v53, vcc, 0, v85, vcc
	flat_load_dwordx2 v[52:53], v[52:53] offset:3072
	s_or_b64 exec, exec, s[4:5]
                                        ; implicit-def: $vgpr54_vgpr55
	s_and_saveexec_b64 s[4:5], s[16:17]
	s_cbranch_execnz .LBB437_71
.LBB437_53:
	s_or_b64 exec, exec, s[4:5]
                                        ; implicit-def: $vgpr56_vgpr57
	s_and_saveexec_b64 s[4:5], s[18:19]
	s_cbranch_execz .LBB437_72
.LBB437_54:
	v_lshlrev_b32_e32 v1, 3, v1
	v_add_co_u32_e32 v56, vcc, v84, v1
	v_addc_co_u32_e32 v57, vcc, 0, v85, vcc
	flat_load_dwordx2 v[56:57], v[56:57]
	s_or_b64 exec, exec, s[4:5]
                                        ; implicit-def: $vgpr58_vgpr59
	s_and_saveexec_b64 s[4:5], s[20:21]
	s_cbranch_execnz .LBB437_73
.LBB437_55:
	s_or_b64 exec, exec, s[4:5]
                                        ; implicit-def: $vgpr60_vgpr61
	s_and_saveexec_b64 s[4:5], s[22:23]
	s_cbranch_execz .LBB437_74
.LBB437_56:
	v_lshlrev_b32_e32 v1, 3, v62
	v_add_co_u32_e32 v60, vcc, v84, v1
	v_addc_co_u32_e32 v61, vcc, 0, v85, vcc
	flat_load_dwordx2 v[60:61], v[60:61]
	s_or_b64 exec, exec, s[4:5]
                                        ; implicit-def: $vgpr62_vgpr63
	s_and_saveexec_b64 s[4:5], s[24:25]
	s_cbranch_execnz .LBB437_75
.LBB437_57:
	s_or_b64 exec, exec, s[4:5]
                                        ; implicit-def: $vgpr64_vgpr65
	s_and_saveexec_b64 s[4:5], s[26:27]
	s_cbranch_execz .LBB437_76
.LBB437_58:
	v_lshlrev_b32_e32 v1, 3, v66
	v_add_co_u32_e32 v64, vcc, v84, v1
	v_addc_co_u32_e32 v65, vcc, 0, v85, vcc
	flat_load_dwordx2 v[64:65], v[64:65]
	s_or_b64 exec, exec, s[4:5]
                                        ; implicit-def: $vgpr66_vgpr67
	s_and_saveexec_b64 s[4:5], s[28:29]
	s_cbranch_execnz .LBB437_77
.LBB437_59:
	s_or_b64 exec, exec, s[4:5]
                                        ; implicit-def: $vgpr68_vgpr69
	s_and_saveexec_b64 s[4:5], s[30:31]
	s_cbranch_execz .LBB437_78
.LBB437_60:
	v_lshlrev_b32_e32 v1, 3, v70
	v_add_co_u32_e32 v68, vcc, v84, v1
	v_addc_co_u32_e32 v69, vcc, 0, v85, vcc
	flat_load_dwordx2 v[68:69], v[68:69]
	s_or_b64 exec, exec, s[4:5]
                                        ; implicit-def: $vgpr70_vgpr71
	s_and_saveexec_b64 s[4:5], s[34:35]
	s_cbranch_execnz .LBB437_79
.LBB437_61:
	s_or_b64 exec, exec, s[4:5]
                                        ; implicit-def: $vgpr72_vgpr73
	s_and_saveexec_b64 s[4:5], s[36:37]
	s_cbranch_execz .LBB437_80
.LBB437_62:
	v_lshlrev_b32_e32 v1, 3, v76
	v_add_co_u32_e32 v72, vcc, v84, v1
	v_addc_co_u32_e32 v73, vcc, 0, v85, vcc
	flat_load_dwordx2 v[72:73], v[72:73]
	s_or_b64 exec, exec, s[4:5]
                                        ; implicit-def: $vgpr76_vgpr77
	s_and_saveexec_b64 s[4:5], s[38:39]
	s_cbranch_execz .LBB437_82
	s_branch .LBB437_81
.LBB437_63:
	s_mov_b64 s[10:11], 0
                                        ; implicit-def: $sgpr8_sgpr9
                                        ; implicit-def: $vgpr80_vgpr81
                                        ; implicit-def: $vgpr76_vgpr77
                                        ; implicit-def: $vgpr101
                                        ; implicit-def: $vgpr42_vgpr43
                                        ; implicit-def: $vgpr114
                                        ; implicit-def: $vgpr72_vgpr73
                                        ; implicit-def: $vgpr113
                                        ; implicit-def: $vgpr70_vgpr71
                                        ; implicit-def: $vgpr112
                                        ; implicit-def: $vgpr68_vgpr69
                                        ; implicit-def: $vgpr111
                                        ; implicit-def: $vgpr66_vgpr67
                                        ; implicit-def: $vgpr110
                                        ; implicit-def: $vgpr64_vgpr65
                                        ; implicit-def: $vgpr109
                                        ; implicit-def: $vgpr62_vgpr63
                                        ; implicit-def: $vgpr108
                                        ; implicit-def: $vgpr60_vgpr61
                                        ; implicit-def: $vgpr107
                                        ; implicit-def: $vgpr58_vgpr59
                                        ; implicit-def: $vgpr106
                                        ; implicit-def: $vgpr44_vgpr45
                                        ; implicit-def: $vgpr105
                                        ; implicit-def: $vgpr56_vgpr57
                                        ; implicit-def: $vgpr104
                                        ; implicit-def: $vgpr52_vgpr53
                                        ; implicit-def: $vgpr103
                                        ; implicit-def: $vgpr50_vgpr51
                                        ; implicit-def: $vgpr102
                                        ; implicit-def: $vgpr54_vgpr55
                                        ; implicit-def: $vgpr100
                                        ; implicit-def: $vgpr48_vgpr49
                                        ; implicit-def: $vgpr99
                                        ; implicit-def: $vgpr46_vgpr47
                                        ; implicit-def: $vgpr98
                                        ; implicit-def: $vgpr38_vgpr39
                                        ; implicit-def: $vgpr1
                                        ; implicit-def: $sgpr68
                                        ; implicit-def: $sgpr6_sgpr7
	s_and_b64 vcc, exec, s[4:5]
	v_lshlrev_b32_e32 v115, 3, v0
	s_cbranch_vccz .LBB437_128
	s_branch .LBB437_123
.LBB437_64:
	s_or_b64 exec, exec, s[42:43]
                                        ; implicit-def: $vgpr42_vgpr43
	s_and_saveexec_b64 s[42:43], s[4:5]
	s_cbranch_execz .LBB437_47
.LBB437_65:
	v_add_co_u32_e32 v42, vcc, v84, v89
	v_addc_co_u32_e32 v43, vcc, 0, v85, vcc
	flat_load_dwordx2 v[42:43], v[42:43] offset:512
	s_or_b64 exec, exec, s[42:43]
                                        ; implicit-def: $vgpr44_vgpr45
	s_and_saveexec_b64 s[4:5], s[6:7]
	s_cbranch_execnz .LBB437_48
.LBB437_66:
	s_or_b64 exec, exec, s[4:5]
                                        ; implicit-def: $vgpr46_vgpr47
	s_and_saveexec_b64 s[4:5], s[8:9]
	s_cbranch_execz .LBB437_49
.LBB437_67:
	v_add_co_u32_e32 v46, vcc, v84, v89
	v_addc_co_u32_e32 v47, vcc, 0, v85, vcc
	flat_load_dwordx2 v[46:47], v[46:47] offset:1536
	s_or_b64 exec, exec, s[4:5]
                                        ; implicit-def: $vgpr48_vgpr49
	s_and_saveexec_b64 s[4:5], s[10:11]
	s_cbranch_execnz .LBB437_50
.LBB437_68:
	s_or_b64 exec, exec, s[4:5]
                                        ; implicit-def: $vgpr50_vgpr51
	s_and_saveexec_b64 s[4:5], s[12:13]
	s_cbranch_execz .LBB437_51
.LBB437_69:
	v_add_co_u32_e32 v50, vcc, v84, v89
	v_addc_co_u32_e32 v51, vcc, 0, v85, vcc
	flat_load_dwordx2 v[50:51], v[50:51] offset:2560
	s_or_b64 exec, exec, s[4:5]
                                        ; implicit-def: $vgpr52_vgpr53
	s_and_saveexec_b64 s[4:5], s[14:15]
	s_cbranch_execnz .LBB437_52
.LBB437_70:
	s_or_b64 exec, exec, s[4:5]
                                        ; implicit-def: $vgpr54_vgpr55
	s_and_saveexec_b64 s[4:5], s[16:17]
	s_cbranch_execz .LBB437_53
.LBB437_71:
	v_add_co_u32_e32 v54, vcc, v84, v89
	v_addc_co_u32_e32 v55, vcc, 0, v85, vcc
	flat_load_dwordx2 v[54:55], v[54:55] offset:3584
	s_or_b64 exec, exec, s[4:5]
                                        ; implicit-def: $vgpr56_vgpr57
	s_and_saveexec_b64 s[4:5], s[18:19]
	s_cbranch_execnz .LBB437_54
.LBB437_72:
	s_or_b64 exec, exec, s[4:5]
                                        ; implicit-def: $vgpr58_vgpr59
	s_and_saveexec_b64 s[4:5], s[20:21]
	s_cbranch_execz .LBB437_55
.LBB437_73:
	v_lshlrev_b32_e32 v1, 3, v60
	v_add_co_u32_e32 v58, vcc, v84, v1
	v_addc_co_u32_e32 v59, vcc, 0, v85, vcc
	flat_load_dwordx2 v[58:59], v[58:59]
	s_or_b64 exec, exec, s[4:5]
                                        ; implicit-def: $vgpr60_vgpr61
	s_and_saveexec_b64 s[4:5], s[22:23]
	s_cbranch_execnz .LBB437_56
.LBB437_74:
	s_or_b64 exec, exec, s[4:5]
                                        ; implicit-def: $vgpr62_vgpr63
	s_and_saveexec_b64 s[4:5], s[24:25]
	s_cbranch_execz .LBB437_57
.LBB437_75:
	v_lshlrev_b32_e32 v1, 3, v64
	v_add_co_u32_e32 v62, vcc, v84, v1
	v_addc_co_u32_e32 v63, vcc, 0, v85, vcc
	flat_load_dwordx2 v[62:63], v[62:63]
	s_or_b64 exec, exec, s[4:5]
                                        ; implicit-def: $vgpr64_vgpr65
	s_and_saveexec_b64 s[4:5], s[26:27]
	s_cbranch_execnz .LBB437_58
.LBB437_76:
	s_or_b64 exec, exec, s[4:5]
                                        ; implicit-def: $vgpr66_vgpr67
	s_and_saveexec_b64 s[4:5], s[28:29]
	s_cbranch_execz .LBB437_59
.LBB437_77:
	v_lshlrev_b32_e32 v1, 3, v68
	v_add_co_u32_e32 v66, vcc, v84, v1
	v_addc_co_u32_e32 v67, vcc, 0, v85, vcc
	flat_load_dwordx2 v[66:67], v[66:67]
	s_or_b64 exec, exec, s[4:5]
                                        ; implicit-def: $vgpr68_vgpr69
	s_and_saveexec_b64 s[4:5], s[30:31]
	s_cbranch_execnz .LBB437_60
.LBB437_78:
	s_or_b64 exec, exec, s[4:5]
                                        ; implicit-def: $vgpr70_vgpr71
	s_and_saveexec_b64 s[4:5], s[34:35]
	s_cbranch_execz .LBB437_61
.LBB437_79:
	v_lshlrev_b32_e32 v1, 3, v72
	v_add_co_u32_e32 v70, vcc, v84, v1
	v_addc_co_u32_e32 v71, vcc, 0, v85, vcc
	flat_load_dwordx2 v[70:71], v[70:71]
	s_or_b64 exec, exec, s[4:5]
                                        ; implicit-def: $vgpr72_vgpr73
	s_and_saveexec_b64 s[4:5], s[36:37]
	s_cbranch_execnz .LBB437_62
.LBB437_80:
	s_or_b64 exec, exec, s[4:5]
                                        ; implicit-def: $vgpr76_vgpr77
	s_and_saveexec_b64 s[4:5], s[38:39]
	s_cbranch_execz .LBB437_82
.LBB437_81:
	v_lshlrev_b32_e32 v1, 3, v80
	v_add_co_u32_e32 v76, vcc, v84, v1
	v_addc_co_u32_e32 v77, vcc, 0, v85, vcc
	flat_load_dwordx2 v[76:77], v[76:77]
.LBB437_82:
	s_or_b64 exec, exec, s[4:5]
	v_mul_u32_u24_e32 v87, 19, v0
                                        ; implicit-def: $vgpr80_vgpr81
	s_and_saveexec_b64 s[4:5], s[40:41]
	s_cbranch_execz .LBB437_84
; %bb.83:
	v_lshlrev_b32_e32 v1, 3, v88
	v_add_co_u32_e32 v80, vcc, v84, v1
	v_addc_co_u32_e32 v81, vcc, 0, v85, vcc
	flat_load_dwordx2 v[80:81], v[80:81]
.LBB437_84:
	s_or_b64 exec, exec, s[4:5]
	s_waitcnt vmcnt(0) lgkmcnt(0)
	ds_write2st64_b64 v89, v[38:39], v[42:43] offset1:1
	ds_write2st64_b64 v89, v[44:45], v[46:47] offset0:2 offset1:3
	ds_write2st64_b64 v89, v[48:49], v[50:51] offset0:4 offset1:5
	;; [unrolled: 1-line block ×8, first 2 shown]
	ds_write_b64 v89, v[80:81] offset:9216
	v_pk_mov_b32 v[76:77], 0, 0
	v_cmp_gt_u32_e32 vcc, s60, v87
	s_mov_b64 s[10:11], 0
	s_mov_b32 s68, 0
	s_mov_b64 s[4:5], 0
	v_mov_b32_e32 v101, 0
	v_pk_mov_b32 v[42:43], v[76:77], v[76:77] op_sel:[0,1]
	v_mov_b32_e32 v114, 0
	v_pk_mov_b32 v[72:73], v[76:77], v[76:77] op_sel:[0,1]
	;; [unrolled: 2-line block ×17, first 2 shown]
	v_mov_b32_e32 v1, 0
	s_waitcnt lgkmcnt(0)
	; wave barrier
	s_waitcnt lgkmcnt(0)
                                        ; implicit-def: $sgpr8_sgpr9
                                        ; implicit-def: $vgpr80_vgpr81
	s_and_saveexec_b64 s[6:7], vcc
	s_cbranch_execz .LBB437_122
; %bb.85:
	ds_read_b64 v[38:39], v86
	v_cmp_ne_u64_e32 vcc, v[40:41], v[34:35]
	v_mov_b32_e32 v40, s65
	v_add_u32_e32 v42, 1, v87
	v_cndmask_b32_e64 v1, 0, 1, vcc
	s_waitcnt lgkmcnt(0)
	v_cndmask_b32_e32 v77, v39, v40, vcc
	v_mov_b32_e32 v39, s64
	v_cndmask_b32_e32 v76, v38, v39, vcc
	v_cmp_gt_u32_e32 vcc, s60, v42
	v_pk_mov_b32 v[42:43], 0, 0
	s_mov_b64 s[12:13], 0
	v_mov_b32_e32 v101, 0
	v_mov_b32_e32 v114, 0
	v_pk_mov_b32 v[72:73], v[42:43], v[42:43] op_sel:[0,1]
	v_mov_b32_e32 v113, 0
	v_pk_mov_b32 v[70:71], v[42:43], v[42:43] op_sel:[0,1]
	v_mov_b32_e32 v112, 0
	v_pk_mov_b32 v[68:69], v[42:43], v[42:43] op_sel:[0,1]
	v_mov_b32_e32 v111, 0
	v_pk_mov_b32 v[66:67], v[42:43], v[42:43] op_sel:[0,1]
	v_mov_b32_e32 v110, 0
	v_pk_mov_b32 v[64:65], v[42:43], v[42:43] op_sel:[0,1]
	v_mov_b32_e32 v109, 0
	v_pk_mov_b32 v[62:63], v[42:43], v[42:43] op_sel:[0,1]
	v_mov_b32_e32 v108, 0
	v_pk_mov_b32 v[60:61], v[42:43], v[42:43] op_sel:[0,1]
	v_mov_b32_e32 v107, 0
	v_pk_mov_b32 v[58:59], v[42:43], v[42:43] op_sel:[0,1]
	v_mov_b32_e32 v106, 0
	v_pk_mov_b32 v[44:45], v[42:43], v[42:43] op_sel:[0,1]
	v_mov_b32_e32 v105, 0
	v_pk_mov_b32 v[56:57], v[42:43], v[42:43] op_sel:[0,1]
	v_mov_b32_e32 v104, 0
	v_pk_mov_b32 v[52:53], v[42:43], v[42:43] op_sel:[0,1]
	v_mov_b32_e32 v103, 0
	v_pk_mov_b32 v[50:51], v[42:43], v[42:43] op_sel:[0,1]
	v_mov_b32_e32 v102, 0
	v_pk_mov_b32 v[54:55], v[42:43], v[42:43] op_sel:[0,1]
	v_mov_b32_e32 v100, 0
	v_pk_mov_b32 v[48:49], v[42:43], v[42:43] op_sel:[0,1]
	v_mov_b32_e32 v99, 0
	v_pk_mov_b32 v[46:47], v[42:43], v[42:43] op_sel:[0,1]
	v_mov_b32_e32 v98, 0
	v_pk_mov_b32 v[38:39], v[42:43], v[42:43] op_sel:[0,1]
                                        ; implicit-def: $sgpr14_sgpr15
                                        ; implicit-def: $vgpr80_vgpr81
	s_and_saveexec_b64 s[8:9], vcc
	s_cbranch_execz .LBB437_121
; %bb.86:
	ds_read2_b64 v[38:41], v86 offset0:1 offset1:2
	v_cmp_ne_u64_e32 vcc, v[34:35], v[36:37]
	v_mov_b32_e32 v34, s65
	v_add_u32_e32 v42, 2, v87
	v_cndmask_b32_e64 v98, 0, 1, vcc
	s_waitcnt lgkmcnt(0)
	v_cndmask_b32_e32 v39, v39, v34, vcc
	v_mov_b32_e32 v34, s64
	v_cndmask_b32_e32 v38, v38, v34, vcc
	v_cmp_gt_u32_e32 vcc, s60, v42
	v_pk_mov_b32 v[42:43], 0, 0
	s_mov_b64 s[14:15], 0
	v_mov_b32_e32 v101, 0
	v_mov_b32_e32 v114, 0
	v_pk_mov_b32 v[72:73], v[42:43], v[42:43] op_sel:[0,1]
	v_mov_b32_e32 v113, 0
	v_pk_mov_b32 v[70:71], v[42:43], v[42:43] op_sel:[0,1]
	;; [unrolled: 2-line block ×15, first 2 shown]
                                        ; implicit-def: $sgpr16_sgpr17
                                        ; implicit-def: $vgpr80_vgpr81
	s_and_saveexec_b64 s[10:11], vcc
	s_cbranch_execz .LBB437_120
; %bb.87:
	v_cmp_ne_u64_e32 vcc, v[36:37], v[30:31]
	v_mov_b32_e32 v35, s65
	v_add_u32_e32 v34, 3, v87
	v_cndmask_b32_e32 v47, v41, v35, vcc
	v_mov_b32_e32 v35, s64
	v_pk_mov_b32 v[42:43], 0, 0
	v_cndmask_b32_e64 v99, 0, 1, vcc
	v_cndmask_b32_e32 v46, v40, v35, vcc
	v_cmp_gt_u32_e32 vcc, s60, v34
	s_mov_b64 s[16:17], 0
	v_mov_b32_e32 v101, 0
	v_mov_b32_e32 v114, 0
	v_pk_mov_b32 v[72:73], v[42:43], v[42:43] op_sel:[0,1]
	v_mov_b32_e32 v113, 0
	v_pk_mov_b32 v[70:71], v[42:43], v[42:43] op_sel:[0,1]
	;; [unrolled: 2-line block ×14, first 2 shown]
                                        ; implicit-def: $sgpr18_sgpr19
                                        ; implicit-def: $vgpr80_vgpr81
	s_and_saveexec_b64 s[12:13], vcc
	s_cbranch_execz .LBB437_119
; %bb.88:
	ds_read2_b64 v[34:37], v86 offset0:3 offset1:4
	v_cmp_ne_u64_e32 vcc, v[30:31], v[32:33]
	v_mov_b32_e32 v30, s65
	v_add_u32_e32 v40, 4, v87
	v_pk_mov_b32 v[42:43], 0, 0
	s_waitcnt lgkmcnt(0)
	v_cndmask_b32_e32 v49, v35, v30, vcc
	v_mov_b32_e32 v30, s64
	v_cndmask_b32_e64 v100, 0, 1, vcc
	v_cndmask_b32_e32 v48, v34, v30, vcc
	v_cmp_gt_u32_e32 vcc, s60, v40
	s_mov_b64 s[18:19], 0
	v_mov_b32_e32 v101, 0
	v_mov_b32_e32 v114, 0
	v_pk_mov_b32 v[72:73], v[42:43], v[42:43] op_sel:[0,1]
	v_mov_b32_e32 v113, 0
	v_pk_mov_b32 v[70:71], v[42:43], v[42:43] op_sel:[0,1]
	;; [unrolled: 2-line block ×13, first 2 shown]
                                        ; implicit-def: $sgpr20_sgpr21
                                        ; implicit-def: $vgpr80_vgpr81
	s_and_saveexec_b64 s[14:15], vcc
	s_cbranch_execz .LBB437_118
; %bb.89:
	v_cmp_ne_u64_e32 vcc, v[32:33], v[26:27]
	v_mov_b32_e32 v31, s65
	v_add_u32_e32 v30, 5, v87
	v_cndmask_b32_e32 v55, v37, v31, vcc
	v_mov_b32_e32 v31, s64
	v_pk_mov_b32 v[42:43], 0, 0
	v_cndmask_b32_e64 v102, 0, 1, vcc
	v_cndmask_b32_e32 v54, v36, v31, vcc
	v_cmp_gt_u32_e32 vcc, s60, v30
	s_mov_b64 s[20:21], 0
	v_mov_b32_e32 v101, 0
	v_mov_b32_e32 v114, 0
	v_pk_mov_b32 v[72:73], v[42:43], v[42:43] op_sel:[0,1]
	v_mov_b32_e32 v113, 0
	v_pk_mov_b32 v[70:71], v[42:43], v[42:43] op_sel:[0,1]
	;; [unrolled: 2-line block ×12, first 2 shown]
                                        ; implicit-def: $sgpr22_sgpr23
                                        ; implicit-def: $vgpr80_vgpr81
	s_and_saveexec_b64 s[16:17], vcc
	s_cbranch_execz .LBB437_117
; %bb.90:
	ds_read2_b64 v[30:33], v86 offset0:5 offset1:6
	v_cmp_ne_u64_e32 vcc, v[26:27], v[28:29]
	v_mov_b32_e32 v26, s65
	v_add_u32_e32 v34, 6, v87
	v_pk_mov_b32 v[42:43], 0, 0
	s_waitcnt lgkmcnt(0)
	v_cndmask_b32_e32 v51, v31, v26, vcc
	v_mov_b32_e32 v26, s64
	v_cndmask_b32_e64 v103, 0, 1, vcc
	v_cndmask_b32_e32 v50, v30, v26, vcc
	v_cmp_gt_u32_e32 vcc, s60, v34
	s_mov_b64 s[22:23], 0
	v_mov_b32_e32 v101, 0
	v_mov_b32_e32 v114, 0
	v_pk_mov_b32 v[72:73], v[42:43], v[42:43] op_sel:[0,1]
	v_mov_b32_e32 v113, 0
	v_pk_mov_b32 v[70:71], v[42:43], v[42:43] op_sel:[0,1]
	;; [unrolled: 2-line block ×11, first 2 shown]
                                        ; implicit-def: $sgpr24_sgpr25
                                        ; implicit-def: $vgpr80_vgpr81
	s_and_saveexec_b64 s[18:19], vcc
	s_cbranch_execz .LBB437_116
; %bb.91:
	v_cmp_ne_u64_e32 vcc, v[28:29], v[22:23]
	v_mov_b32_e32 v27, s65
	v_add_u32_e32 v26, 7, v87
	v_cndmask_b32_e32 v53, v33, v27, vcc
	v_mov_b32_e32 v27, s64
	v_pk_mov_b32 v[42:43], 0, 0
	v_cndmask_b32_e64 v104, 0, 1, vcc
	v_cndmask_b32_e32 v52, v32, v27, vcc
	v_cmp_gt_u32_e32 vcc, s60, v26
	s_mov_b64 s[24:25], 0
	v_mov_b32_e32 v101, 0
	v_mov_b32_e32 v114, 0
	v_pk_mov_b32 v[72:73], v[42:43], v[42:43] op_sel:[0,1]
	v_mov_b32_e32 v113, 0
	v_pk_mov_b32 v[70:71], v[42:43], v[42:43] op_sel:[0,1]
	;; [unrolled: 2-line block ×10, first 2 shown]
                                        ; implicit-def: $sgpr26_sgpr27
                                        ; implicit-def: $vgpr80_vgpr81
	s_and_saveexec_b64 s[20:21], vcc
	s_cbranch_execz .LBB437_115
; %bb.92:
	ds_read2_b64 v[26:29], v86 offset0:7 offset1:8
	v_cmp_ne_u64_e32 vcc, v[22:23], v[24:25]
	v_mov_b32_e32 v22, s65
	v_add_u32_e32 v30, 8, v87
	v_pk_mov_b32 v[42:43], 0, 0
	s_waitcnt lgkmcnt(0)
	v_cndmask_b32_e32 v57, v27, v22, vcc
	v_mov_b32_e32 v22, s64
	v_cndmask_b32_e64 v105, 0, 1, vcc
	v_cndmask_b32_e32 v56, v26, v22, vcc
	v_cmp_gt_u32_e32 vcc, s60, v30
	s_mov_b64 s[26:27], 0
	v_mov_b32_e32 v101, 0
	v_mov_b32_e32 v114, 0
	v_pk_mov_b32 v[72:73], v[42:43], v[42:43] op_sel:[0,1]
	v_mov_b32_e32 v113, 0
	v_pk_mov_b32 v[70:71], v[42:43], v[42:43] op_sel:[0,1]
	;; [unrolled: 2-line block ×9, first 2 shown]
                                        ; implicit-def: $sgpr28_sgpr29
                                        ; implicit-def: $vgpr80_vgpr81
	s_and_saveexec_b64 s[22:23], vcc
	s_cbranch_execz .LBB437_114
; %bb.93:
	v_cmp_ne_u64_e32 vcc, v[24:25], v[18:19]
	v_mov_b32_e32 v23, s65
	v_add_u32_e32 v22, 9, v87
	v_cndmask_b32_e32 v45, v29, v23, vcc
	v_mov_b32_e32 v23, s64
	v_pk_mov_b32 v[42:43], 0, 0
	v_cndmask_b32_e64 v106, 0, 1, vcc
	v_cndmask_b32_e32 v44, v28, v23, vcc
	v_cmp_gt_u32_e32 vcc, s60, v22
	s_mov_b64 s[28:29], 0
	v_mov_b32_e32 v101, 0
	v_mov_b32_e32 v114, 0
	v_pk_mov_b32 v[72:73], v[42:43], v[42:43] op_sel:[0,1]
	v_mov_b32_e32 v113, 0
	v_pk_mov_b32 v[70:71], v[42:43], v[42:43] op_sel:[0,1]
	;; [unrolled: 2-line block ×8, first 2 shown]
                                        ; implicit-def: $sgpr30_sgpr31
                                        ; implicit-def: $vgpr80_vgpr81
	s_and_saveexec_b64 s[24:25], vcc
	s_cbranch_execz .LBB437_113
; %bb.94:
	ds_read2_b64 v[22:25], v86 offset0:9 offset1:10
	v_cmp_ne_u64_e32 vcc, v[18:19], v[20:21]
	v_mov_b32_e32 v18, s65
	v_add_u32_e32 v26, 10, v87
	v_pk_mov_b32 v[42:43], 0, 0
	s_waitcnt lgkmcnt(0)
	v_cndmask_b32_e32 v59, v23, v18, vcc
	v_mov_b32_e32 v18, s64
	v_cndmask_b32_e64 v107, 0, 1, vcc
	v_cndmask_b32_e32 v58, v22, v18, vcc
	v_cmp_gt_u32_e32 vcc, s60, v26
	s_mov_b64 s[30:31], 0
	v_mov_b32_e32 v101, 0
	v_mov_b32_e32 v114, 0
	v_pk_mov_b32 v[72:73], v[42:43], v[42:43] op_sel:[0,1]
	v_mov_b32_e32 v113, 0
	v_pk_mov_b32 v[70:71], v[42:43], v[42:43] op_sel:[0,1]
	;; [unrolled: 2-line block ×7, first 2 shown]
                                        ; implicit-def: $sgpr34_sgpr35
                                        ; implicit-def: $vgpr80_vgpr81
	s_and_saveexec_b64 s[26:27], vcc
	s_cbranch_execz .LBB437_112
; %bb.95:
	v_cmp_ne_u64_e32 vcc, v[20:21], v[14:15]
	v_mov_b32_e32 v19, s65
	v_add_u32_e32 v18, 11, v87
	v_cndmask_b32_e32 v61, v25, v19, vcc
	v_mov_b32_e32 v19, s64
	v_pk_mov_b32 v[42:43], 0, 0
	v_cndmask_b32_e64 v108, 0, 1, vcc
	v_cndmask_b32_e32 v60, v24, v19, vcc
	v_cmp_gt_u32_e32 vcc, s60, v18
	s_mov_b64 s[34:35], 0
	v_mov_b32_e32 v101, 0
	v_mov_b32_e32 v114, 0
	v_pk_mov_b32 v[72:73], v[42:43], v[42:43] op_sel:[0,1]
	v_mov_b32_e32 v113, 0
	v_pk_mov_b32 v[70:71], v[42:43], v[42:43] op_sel:[0,1]
	;; [unrolled: 2-line block ×6, first 2 shown]
                                        ; implicit-def: $sgpr36_sgpr37
                                        ; implicit-def: $vgpr80_vgpr81
	s_and_saveexec_b64 s[28:29], vcc
	s_cbranch_execz .LBB437_111
; %bb.96:
	ds_read2_b64 v[18:21], v86 offset0:11 offset1:12
	v_cmp_ne_u64_e32 vcc, v[14:15], v[16:17]
	v_mov_b32_e32 v14, s65
	v_add_u32_e32 v22, 12, v87
	v_pk_mov_b32 v[42:43], 0, 0
	s_waitcnt lgkmcnt(0)
	v_cndmask_b32_e32 v63, v19, v14, vcc
	v_mov_b32_e32 v14, s64
	v_cndmask_b32_e64 v109, 0, 1, vcc
	v_cndmask_b32_e32 v62, v18, v14, vcc
	v_cmp_gt_u32_e32 vcc, s60, v22
	s_mov_b64 s[36:37], 0
	v_mov_b32_e32 v101, 0
	v_mov_b32_e32 v114, 0
	v_pk_mov_b32 v[72:73], v[42:43], v[42:43] op_sel:[0,1]
	v_mov_b32_e32 v113, 0
	v_pk_mov_b32 v[70:71], v[42:43], v[42:43] op_sel:[0,1]
	v_mov_b32_e32 v112, 0
	v_pk_mov_b32 v[68:69], v[42:43], v[42:43] op_sel:[0,1]
	v_mov_b32_e32 v111, 0
	v_pk_mov_b32 v[66:67], v[42:43], v[42:43] op_sel:[0,1]
	v_mov_b32_e32 v110, 0
	v_pk_mov_b32 v[64:65], v[42:43], v[42:43] op_sel:[0,1]
                                        ; implicit-def: $sgpr38_sgpr39
                                        ; implicit-def: $vgpr80_vgpr81
	s_and_saveexec_b64 s[30:31], vcc
	s_cbranch_execz .LBB437_110
; %bb.97:
	v_cmp_ne_u64_e32 vcc, v[16:17], v[10:11]
	v_mov_b32_e32 v15, s65
	v_add_u32_e32 v14, 13, v87
	v_cndmask_b32_e32 v65, v21, v15, vcc
	v_mov_b32_e32 v15, s64
	v_pk_mov_b32 v[42:43], 0, 0
	v_cndmask_b32_e64 v110, 0, 1, vcc
	v_cndmask_b32_e32 v64, v20, v15, vcc
	v_cmp_gt_u32_e32 vcc, s60, v14
	s_mov_b64 s[38:39], 0
	v_mov_b32_e32 v101, 0
	v_mov_b32_e32 v114, 0
	v_pk_mov_b32 v[72:73], v[42:43], v[42:43] op_sel:[0,1]
	v_mov_b32_e32 v113, 0
	v_pk_mov_b32 v[70:71], v[42:43], v[42:43] op_sel:[0,1]
	;; [unrolled: 2-line block ×4, first 2 shown]
                                        ; implicit-def: $sgpr40_sgpr41
                                        ; implicit-def: $vgpr80_vgpr81
	s_and_saveexec_b64 s[34:35], vcc
	s_cbranch_execz .LBB437_109
; %bb.98:
	ds_read2_b64 v[14:17], v86 offset0:13 offset1:14
	v_cmp_ne_u64_e32 vcc, v[10:11], v[12:13]
	v_mov_b32_e32 v10, s65
	v_add_u32_e32 v18, 14, v87
	v_pk_mov_b32 v[42:43], 0, 0
	s_waitcnt lgkmcnt(0)
	v_cndmask_b32_e32 v67, v15, v10, vcc
	v_mov_b32_e32 v10, s64
	v_cndmask_b32_e64 v111, 0, 1, vcc
	v_cndmask_b32_e32 v66, v14, v10, vcc
	v_cmp_gt_u32_e32 vcc, s60, v18
	s_mov_b64 s[40:41], 0
	v_mov_b32_e32 v101, 0
	v_mov_b32_e32 v114, 0
	v_pk_mov_b32 v[72:73], v[42:43], v[42:43] op_sel:[0,1]
	v_mov_b32_e32 v113, 0
	v_pk_mov_b32 v[70:71], v[42:43], v[42:43] op_sel:[0,1]
	;; [unrolled: 2-line block ×3, first 2 shown]
                                        ; implicit-def: $sgpr42_sgpr43
                                        ; implicit-def: $vgpr80_vgpr81
	s_and_saveexec_b64 s[36:37], vcc
	s_cbranch_execz .LBB437_108
; %bb.99:
	v_cmp_ne_u64_e32 vcc, v[12:13], v[6:7]
	v_mov_b32_e32 v11, s65
	v_add_u32_e32 v10, 15, v87
	v_cndmask_b32_e32 v69, v17, v11, vcc
	v_mov_b32_e32 v11, s64
	v_pk_mov_b32 v[42:43], 0, 0
	v_cndmask_b32_e64 v112, 0, 1, vcc
	v_cndmask_b32_e32 v68, v16, v11, vcc
	v_cmp_gt_u32_e32 vcc, s60, v10
	s_mov_b64 s[42:43], 0
	v_mov_b32_e32 v101, 0
	v_mov_b32_e32 v114, 0
	v_pk_mov_b32 v[72:73], v[42:43], v[42:43] op_sel:[0,1]
	v_mov_b32_e32 v113, 0
	v_pk_mov_b32 v[70:71], v[42:43], v[42:43] op_sel:[0,1]
                                        ; implicit-def: $sgpr52_sgpr53
                                        ; implicit-def: $vgpr80_vgpr81
	s_and_saveexec_b64 s[38:39], vcc
	s_cbranch_execz .LBB437_107
; %bb.100:
	ds_read2_b64 v[10:13], v86 offset0:15 offset1:16
	v_cmp_ne_u64_e32 vcc, v[6:7], v[8:9]
	v_mov_b32_e32 v6, s65
	v_add_u32_e32 v14, 16, v87
	v_pk_mov_b32 v[42:43], 0, 0
	s_waitcnt lgkmcnt(0)
	v_cndmask_b32_e32 v71, v11, v6, vcc
	v_mov_b32_e32 v6, s64
	v_cndmask_b32_e64 v113, 0, 1, vcc
	v_cndmask_b32_e32 v70, v10, v6, vcc
	v_cmp_gt_u32_e32 vcc, s60, v14
	s_mov_b64 s[52:53], 0
	v_mov_b32_e32 v101, 0
	v_mov_b32_e32 v114, 0
	v_pk_mov_b32 v[72:73], v[42:43], v[42:43] op_sel:[0,1]
                                        ; implicit-def: $sgpr56_sgpr57
                                        ; implicit-def: $vgpr80_vgpr81
	s_and_saveexec_b64 s[40:41], vcc
	s_cbranch_execz .LBB437_106
; %bb.101:
	v_cmp_ne_u64_e32 vcc, v[8:9], v[2:3]
	v_mov_b32_e32 v7, s65
	v_add_u32_e32 v6, 17, v87
	v_cndmask_b32_e32 v73, v13, v7, vcc
	v_mov_b32_e32 v7, s64
	v_cndmask_b32_e64 v114, 0, 1, vcc
	v_cndmask_b32_e32 v72, v12, v7, vcc
	v_cmp_gt_u32_e32 vcc, s60, v6
	v_mov_b32_e32 v101, 0
	v_pk_mov_b32 v[42:43], 0, 0
                                        ; implicit-def: $sgpr56_sgpr57
                                        ; implicit-def: $vgpr80_vgpr81
	s_and_saveexec_b64 s[42:43], vcc
	s_cbranch_execz .LBB437_105
; %bb.102:
	ds_read2_b64 v[6:9], v86 offset0:17 offset1:18
	v_cmp_ne_u64_e32 vcc, v[2:3], v[4:5]
	v_mov_b32_e32 v2, s65
	v_add_u32_e32 v10, 18, v87
	v_cndmask_b32_e64 v101, 0, 1, vcc
	s_waitcnt lgkmcnt(0)
	v_cndmask_b32_e32 v43, v7, v2, vcc
	v_mov_b32_e32 v2, s64
	v_cndmask_b32_e32 v42, v6, v2, vcc
	v_cmp_gt_u32_e32 vcc, s60, v10
                                        ; implicit-def: $sgpr56_sgpr57
                                        ; implicit-def: $vgpr80_vgpr81
	s_and_saveexec_b64 s[60:61], vcc
	s_xor_b64 s[60:61], exec, s[60:61]
; %bb.103:
	v_mov_b32_e32 v2, s65
	v_cmp_ne_u64_e32 vcc, v[4:5], v[82:83]
	v_cndmask_b32_e32 v81, v9, v2, vcc
	v_mov_b32_e32 v2, s64
	s_mov_b64 s[52:53], exec
	v_cndmask_b32_e32 v80, v8, v2, vcc
	s_and_b64 s[56:57], vcc, exec
; %bb.104:
	s_or_b64 exec, exec, s[60:61]
	s_and_b64 s[56:57], s[56:57], exec
	s_and_b64 s[52:53], s[52:53], exec
.LBB437_105:
	s_or_b64 exec, exec, s[42:43]
	s_and_b64 s[56:57], s[56:57], exec
	s_and_b64 s[42:43], s[52:53], exec
.LBB437_106:
	s_or_b64 exec, exec, s[40:41]
	s_and_b64 s[52:53], s[56:57], exec
	s_and_b64 s[40:41], s[42:43], exec
.LBB437_107:
	s_or_b64 exec, exec, s[38:39]
	s_and_b64 s[42:43], s[52:53], exec
	s_and_b64 s[38:39], s[40:41], exec
.LBB437_108:
	s_or_b64 exec, exec, s[36:37]
	s_and_b64 s[40:41], s[42:43], exec
	s_and_b64 s[36:37], s[38:39], exec
.LBB437_109:
	s_or_b64 exec, exec, s[34:35]
	s_and_b64 s[38:39], s[40:41], exec
	s_and_b64 s[34:35], s[36:37], exec
.LBB437_110:
	s_or_b64 exec, exec, s[30:31]
	s_and_b64 s[36:37], s[38:39], exec
	s_and_b64 s[30:31], s[34:35], exec
.LBB437_111:
	s_or_b64 exec, exec, s[28:29]
	s_and_b64 s[34:35], s[36:37], exec
	s_and_b64 s[28:29], s[30:31], exec
.LBB437_112:
	s_or_b64 exec, exec, s[26:27]
	s_and_b64 s[30:31], s[34:35], exec
	s_and_b64 s[26:27], s[28:29], exec
.LBB437_113:
	s_or_b64 exec, exec, s[24:25]
	s_and_b64 s[28:29], s[30:31], exec
	s_and_b64 s[24:25], s[26:27], exec
.LBB437_114:
	s_or_b64 exec, exec, s[22:23]
	s_and_b64 s[26:27], s[28:29], exec
	s_and_b64 s[22:23], s[24:25], exec
.LBB437_115:
	s_or_b64 exec, exec, s[20:21]
	s_and_b64 s[24:25], s[26:27], exec
	s_and_b64 s[20:21], s[22:23], exec
.LBB437_116:
	s_or_b64 exec, exec, s[18:19]
	s_and_b64 s[22:23], s[24:25], exec
	s_and_b64 s[18:19], s[20:21], exec
.LBB437_117:
	s_or_b64 exec, exec, s[16:17]
	s_and_b64 s[20:21], s[22:23], exec
	s_and_b64 s[16:17], s[18:19], exec
.LBB437_118:
	s_or_b64 exec, exec, s[14:15]
	s_and_b64 s[18:19], s[20:21], exec
	s_and_b64 s[14:15], s[16:17], exec
.LBB437_119:
	s_or_b64 exec, exec, s[12:13]
	s_and_b64 s[16:17], s[18:19], exec
	s_and_b64 s[12:13], s[14:15], exec
.LBB437_120:
	s_or_b64 exec, exec, s[10:11]
	s_and_b64 s[14:15], s[16:17], exec
	s_and_b64 s[10:11], s[12:13], exec
.LBB437_121:
	s_or_b64 exec, exec, s[8:9]
	s_and_b64 s[8:9], s[14:15], exec
	s_and_b64 s[10:11], s[10:11], exec
.LBB437_122:
	s_or_b64 exec, exec, s[6:7]
	s_mov_b64 s[6:7], 0
	s_and_b64 vcc, exec, s[4:5]
	v_lshlrev_b32_e32 v115, 3, v0
	s_cbranch_vccz .LBB437_128
.LBB437_123:
	v_add_co_u32_e32 v2, vcc, v78, v115
	v_addc_co_u32_e32 v3, vcc, 0, v79, vcc
	v_add_co_u32_e32 v20, vcc, 0x1000, v2
	v_addc_co_u32_e32 v21, vcc, 0, v3, vcc
	flat_load_dwordx2 v[4:5], v[2:3]
	flat_load_dwordx2 v[6:7], v[2:3] offset:512
	flat_load_dwordx2 v[8:9], v[2:3] offset:1024
	;; [unrolled: 1-line block ×7, first 2 shown]
	v_add_co_u32_e32 v2, vcc, 0x2000, v2
	v_addc_co_u32_e32 v3, vcc, 0, v3, vcc
	flat_load_dwordx2 v[22:23], v[20:21]
	flat_load_dwordx2 v[24:25], v[20:21] offset:512
	flat_load_dwordx2 v[26:27], v[20:21] offset:1024
	;; [unrolled: 1-line block ×7, first 2 shown]
	s_nop 0
	flat_load_dwordx2 v[20:21], v[2:3]
	flat_load_dwordx2 v[38:39], v[2:3] offset:512
	flat_load_dwordx2 v[40:41], v[2:3] offset:1024
	v_add_co_u32_e32 v2, vcc, 0x2000, v78
	v_addc_co_u32_e32 v3, vcc, 0, v79, vcc
	s_movk_i32 s4, 0x90
	v_mad_u32_u24 v1, v0, s4, v115
	s_movk_i32 s4, 0xff70
	s_movk_i32 s7, 0x1000
	;; [unrolled: 1-line block ×3, first 2 shown]
	v_cmp_ne_u32_e32 vcc, 63, v0
	s_waitcnt vmcnt(0) lgkmcnt(0)
	ds_write2st64_b64 v115, v[4:5], v[6:7] offset1:1
	ds_write2st64_b64 v115, v[8:9], v[10:11] offset0:2 offset1:3
	ds_write2st64_b64 v115, v[12:13], v[14:15] offset0:4 offset1:5
	;; [unrolled: 1-line block ×8, first 2 shown]
	ds_write_b64 v115, v[40:41] offset:9216
	s_waitcnt lgkmcnt(0)
	; wave barrier
	s_waitcnt lgkmcnt(0)
	flat_load_dwordx2 v[78:79], v[2:3] offset:1536
	v_mad_i32_i24 v6, v0, s4, v1
	ds_read_b64 v[76:77], v1
	ds_read2_b64 v[70:73], v1 offset0:1 offset1:2
	ds_read2_b64 v[66:69], v1 offset0:3 offset1:4
	;; [unrolled: 1-line block ×9, first 2 shown]
	s_waitcnt lgkmcnt(0)
	ds_write_b64 v6, v[76:77] offset:10240
	s_waitcnt lgkmcnt(0)
	; wave barrier
	s_waitcnt lgkmcnt(0)
	s_and_saveexec_b64 s[4:5], vcc
	s_cbranch_execz .LBB437_125
; %bb.124:
	s_waitcnt vmcnt(0)
	ds_read_b64 v[78:79], v115 offset:10248
.LBB437_125:
	s_or_b64 exec, exec, s[4:5]
	v_add_co_u32_e32 v6, vcc, v84, v115
	v_addc_co_u32_e32 v7, vcc, 0, v85, vcc
	v_add_co_u32_e32 v36, vcc, s7, v6
	v_addc_co_u32_e32 v37, vcc, 0, v7, vcc
	s_waitcnt lgkmcnt(0)
	; wave barrier
	s_waitcnt lgkmcnt(0)
	flat_load_dwordx2 v[8:9], v[6:7]
	flat_load_dwordx2 v[14:15], v[6:7] offset:512
	flat_load_dwordx2 v[16:17], v[6:7] offset:1024
	;; [unrolled: 1-line block ×7, first 2 shown]
	v_add_co_u32_e32 v6, vcc, s6, v6
	v_addc_co_u32_e32 v7, vcc, 0, v7, vcc
	flat_load_dwordx2 v[42:43], v[36:37]
	flat_load_dwordx2 v[44:45], v[36:37] offset:512
	flat_load_dwordx2 v[50:51], v[36:37] offset:1024
	;; [unrolled: 1-line block ×7, first 2 shown]
	s_nop 0
	flat_load_dwordx2 v[36:37], v[6:7]
	flat_load_dwordx2 v[80:81], v[6:7] offset:512
	flat_load_dwordx2 v[82:83], v[6:7] offset:1024
	v_cmp_ne_u64_e32 vcc, v[76:77], v[70:71]
	v_cmp_eq_u64_e64 s[4:5], v[76:77], v[70:71]
	v_pk_mov_b32 v[76:77], s[64:65], s[64:65] op_sel:[0,1]
	s_waitcnt vmcnt(0) lgkmcnt(0)
	ds_write2st64_b64 v115, v[8:9], v[14:15] offset1:1
	ds_write2st64_b64 v115, v[16:17], v[22:23] offset0:2 offset1:3
	ds_write2st64_b64 v115, v[24:25], v[26:27] offset0:4 offset1:5
	;; [unrolled: 1-line block ×8, first 2 shown]
	ds_write_b64 v115, v[82:83] offset:9216
	s_waitcnt lgkmcnt(0)
	; wave barrier
	s_waitcnt lgkmcnt(0)
	ds_read2_b64 v[62:65], v1 offset0:1 offset1:2
	ds_read2_b64 v[58:61], v1 offset0:3 offset1:4
	ds_read2_b64 v[50:53], v1 offset0:5 offset1:6
	ds_read2_b64 v[42:45], v1 offset0:7 offset1:8
	ds_read2_b64 v[34:37], v1 offset0:9 offset1:10
	ds_read2_b64 v[26:29], v1 offset0:11 offset1:12
	ds_read2_b64 v[22:25], v1 offset0:13 offset1:14
	ds_read2_b64 v[14:17], v1 offset0:15 offset1:16
	ds_read2_b64 v[6:9], v1 offset0:17 offset1:18
	s_and_saveexec_b64 s[6:7], s[4:5]
	s_cbranch_execz .LBB437_127
; %bb.126:
	ds_read_b64 v[76:77], v1
.LBB437_127:
	s_or_b64 exec, exec, s[6:7]
	v_cmp_ne_u64_e64 s[8:9], v[68:69], v[54:55]
	v_cmp_ne_u64_e64 s[34:35], v[12:13], v[2:3]
	;; [unrolled: 1-line block ×3, first 2 shown]
	v_mov_b32_e32 v2, s65
	v_mov_b32_e32 v3, s64
	v_cndmask_b32_e64 v1, 0, 1, vcc
	v_cmp_ne_u64_e32 vcc, v[70:71], v[72:73]
	v_cmp_ne_u64_e64 s[4:5], v[72:73], v[66:67]
	v_cmp_ne_u64_e64 s[6:7], v[66:67], v[68:69]
	v_cndmask_b32_e64 v102, 0, 1, s[8:9]
	v_cmp_ne_u64_e64 s[10:11], v[54:55], v[56:57]
	v_cmp_ne_u64_e64 s[12:13], v[56:57], v[46:47]
	;; [unrolled: 1-line block ×11, first 2 shown]
	s_waitcnt lgkmcnt(7)
	v_cndmask_b32_e64 v55, v61, v2, s[8:9]
	v_cndmask_b32_e64 v54, v60, v3, s[8:9]
	v_cmp_ne_u64_e64 s[8:9], v[4:5], v[78:79]
	v_cndmask_b32_e64 v98, 0, 1, vcc
	v_cndmask_b32_e64 v99, 0, 1, s[4:5]
	v_cndmask_b32_e64 v100, 0, 1, s[6:7]
	;; [unrolled: 1-line block ×15, first 2 shown]
	v_cndmask_b32_e32 v39, v63, v2, vcc
	v_cndmask_b32_e32 v38, v62, v3, vcc
	v_cndmask_b32_e64 v47, v65, v2, s[4:5]
	v_cndmask_b32_e64 v46, v64, v3, s[4:5]
	v_cndmask_b32_e64 v49, v59, v2, s[6:7]
	v_cndmask_b32_e64 v48, v58, v3, s[6:7]
	s_waitcnt lgkmcnt(6)
	v_cndmask_b32_e64 v51, v51, v2, s[10:11]
	v_cndmask_b32_e64 v50, v50, v3, s[10:11]
	v_cndmask_b32_e64 v53, v53, v2, s[12:13]
	v_cndmask_b32_e64 v52, v52, v3, s[12:13]
	s_waitcnt lgkmcnt(5)
	;; [unrolled: 5-line block ×7, first 2 shown]
	v_cndmask_b32_e64 v43, v7, v2, s[36:37]
	v_cndmask_b32_e64 v42, v6, v3, s[36:37]
	;; [unrolled: 1-line block ×4, first 2 shown]
	s_mov_b64 s[10:11], -1
                                        ; implicit-def: $sgpr68
                                        ; implicit-def: $sgpr6_sgpr7
.LBB437_128:
	v_pk_mov_b32 v[40:41], s[6:7], s[6:7] op_sel:[0,1]
	v_mov_b32_e32 v116, s68
	s_and_saveexec_b64 s[4:5], s[10:11]
; %bb.129:
	v_cndmask_b32_e64 v116, 0, 1, s[8:9]
	v_pk_mov_b32 v[40:41], v[80:81], v[80:81] op_sel:[0,1]
; %bb.130:
	s_or_b64 exec, exec, s[4:5]
	v_or_b32_e32 v2, v116, v101
	s_cmp_lg_u32 s51, 0
	v_or_b32_e32 v118, v2, v114
	v_mbcnt_lo_u32_b32 v117, -1, 0
	s_waitcnt lgkmcnt(0)
	; wave barrier
	s_waitcnt lgkmcnt(0)
	s_cbranch_scc0 .LBB437_193
; %bb.131:
	v_mov_b32_e32 v2, 0
	v_cmp_eq_u16_sdwa s[38:39], v98, v2 src0_sel:BYTE_0 src1_sel:DWORD
	v_cndmask_b32_e64 v4, 0, v76, s[38:39]
	v_cndmask_b32_e64 v3, 0, v77, s[38:39]
	v_add_co_u32_e32 v4, vcc, v4, v38
	v_cmp_eq_u16_sdwa s[36:37], v99, v2 src0_sel:BYTE_0 src1_sel:DWORD
	v_addc_co_u32_e32 v3, vcc, v3, v39, vcc
	v_cndmask_b32_e64 v4, 0, v4, s[36:37]
	v_cndmask_b32_e64 v3, 0, v3, s[36:37]
	v_add_co_u32_e32 v4, vcc, v4, v46
	v_cmp_eq_u16_sdwa s[34:35], v100, v2 src0_sel:BYTE_0 src1_sel:DWORD
	v_addc_co_u32_e32 v3, vcc, v3, v47, vcc
	;; [unrolled: 5-line block ×16, first 2 shown]
	v_cndmask_b32_e64 v4, 0, v4, s[4:5]
	v_cndmask_b32_e64 v3, 0, v3, s[4:5]
	v_add_co_u32_e32 v4, vcc, v4, v42
	v_addc_co_u32_e32 v3, vcc, v3, v43, vcc
	v_cmp_eq_u16_sdwa vcc, v116, v2 src0_sel:BYTE_0 src1_sel:DWORD
	v_cndmask_b32_e32 v2, 0, v4, vcc
	v_or_b32_e32 v4, v118, v113
	v_or_b32_e32 v4, v4, v112
	;; [unrolled: 1-line block ×15, first 2 shown]
	v_cndmask_b32_e32 v3, 0, v3, vcc
	v_add_co_u32_e32 v2, vcc, v2, v40
	v_or_b32_e32 v4, v4, v1
	v_mbcnt_hi_u32_b32 v5, -1, v117
	v_addc_co_u32_e32 v3, vcc, v3, v41, vcc
	v_and_b32_e32 v4, 1, v4
	v_and_b32_e32 v7, 15, v5
	v_cmp_eq_u32_e32 vcc, 1, v4
	v_mov_b32_dpp v9, v2 row_shr:1 row_mask:0xf bank_mask:0xf
	v_mov_b32_dpp v10, v3 row_shr:1 row_mask:0xf bank_mask:0xf
	v_mov_b32_dpp v8, v4 row_shr:1 row_mask:0xf bank_mask:0xf
	v_cmp_ne_u32_e64 s[40:41], 0, v7
	v_mov_b32_e32 v6, v4
	s_and_saveexec_b64 s[42:43], s[40:41]
; %bb.132:
	v_cndmask_b32_e64 v9, v9, 0, vcc
	v_cndmask_b32_e64 v6, v10, 0, vcc
	v_add_co_u32_e32 v2, vcc, v9, v2
	v_addc_co_u32_e32 v3, vcc, v6, v3, vcc
	v_and_b32_e32 v6, 1, v8
	v_or_b32_e32 v4, v6, v4
	v_and_b32_e32 v6, 0xffff, v4
; %bb.133:
	s_or_b64 exec, exec, s[42:43]
	v_mov_b32_dpp v9, v2 row_shr:2 row_mask:0xf bank_mask:0xf
	v_mov_b32_dpp v10, v3 row_shr:2 row_mask:0xf bank_mask:0xf
	v_mov_b32_dpp v8, v6 row_shr:2 row_mask:0xf bank_mask:0xf
	v_cmp_lt_u32_e32 vcc, 1, v7
	s_and_saveexec_b64 s[42:43], vcc
	s_cbranch_execz .LBB437_135
; %bb.134:
	v_cmp_eq_u16_e32 vcc, 0, v4
	v_cndmask_b32_e32 v9, 0, v9, vcc
	v_cndmask_b32_e32 v6, 0, v10, vcc
	v_add_co_u32_e32 v2, vcc, v9, v2
	v_addc_co_u32_e32 v3, vcc, v6, v3, vcc
	v_and_b32_e32 v4, 1, v4
	v_cmp_eq_u32_e32 vcc, 1, v4
	v_and_b32_e32 v4, 1, v8
	v_cmp_eq_u32_e64 s[40:41], 1, v4
	s_or_b64 s[40:41], vcc, s[40:41]
	v_cndmask_b32_e64 v4, 0, 1, s[40:41]
	v_cndmask_b32_e64 v6, 0, 1, s[40:41]
.LBB437_135:
	s_or_b64 exec, exec, s[42:43]
	v_mov_b32_dpp v9, v2 row_shr:4 row_mask:0xf bank_mask:0xf
	v_mov_b32_dpp v10, v3 row_shr:4 row_mask:0xf bank_mask:0xf
	v_mov_b32_dpp v8, v6 row_shr:4 row_mask:0xf bank_mask:0xf
	v_cmp_lt_u32_e32 vcc, 3, v7
	s_and_saveexec_b64 s[42:43], vcc
	s_cbranch_execz .LBB437_137
; %bb.136:
	v_cmp_eq_u16_e32 vcc, 0, v4
	v_cndmask_b32_e32 v9, 0, v9, vcc
	v_cndmask_b32_e32 v6, 0, v10, vcc
	v_add_co_u32_e32 v2, vcc, v9, v2
	v_addc_co_u32_e32 v3, vcc, v6, v3, vcc
	v_and_b32_e32 v4, 1, v4
	v_cmp_eq_u32_e32 vcc, 1, v4
	v_and_b32_e32 v4, 1, v8
	v_cmp_eq_u32_e64 s[40:41], 1, v4
	s_or_b64 s[40:41], vcc, s[40:41]
	v_cndmask_b32_e64 v4, 0, 1, s[40:41]
	v_cndmask_b32_e64 v6, 0, 1, s[40:41]
.LBB437_137:
	;; [unrolled: 21-line block ×3, first 2 shown]
	s_or_b64 exec, exec, s[42:43]
	v_and_b32_e32 v10, 16, v5
	v_mov_b32_dpp v8, v2 row_bcast:15 row_mask:0xf bank_mask:0xf
	v_mov_b32_dpp v9, v3 row_bcast:15 row_mask:0xf bank_mask:0xf
	;; [unrolled: 1-line block ×3, first 2 shown]
	v_cmp_ne_u32_e32 vcc, 0, v10
	s_and_saveexec_b64 s[42:43], vcc
	s_cbranch_execz .LBB437_141
; %bb.140:
	v_cmp_eq_u16_e32 vcc, 0, v4
	v_cndmask_b32_e32 v8, 0, v8, vcc
	v_cndmask_b32_e32 v6, 0, v9, vcc
	v_add_co_u32_e32 v2, vcc, v8, v2
	v_addc_co_u32_e32 v3, vcc, v6, v3, vcc
	v_and_b32_e32 v4, 1, v4
	v_cmp_eq_u32_e32 vcc, 1, v4
	v_and_b32_e32 v4, 1, v7
	v_cmp_eq_u32_e64 s[40:41], 1, v4
	s_or_b64 s[40:41], vcc, s[40:41]
	v_cndmask_b32_e64 v4, 0, 1, s[40:41]
	v_cndmask_b32_e64 v6, 0, 1, s[40:41]
.LBB437_141:
	s_or_b64 exec, exec, s[42:43]
	v_mov_b32_dpp v7, v2 row_bcast:31 row_mask:0xf bank_mask:0xf
	v_mov_b32_dpp v8, v3 row_bcast:31 row_mask:0xf bank_mask:0xf
	;; [unrolled: 1-line block ×3, first 2 shown]
	v_cmp_lt_u32_e32 vcc, 31, v5
	s_and_saveexec_b64 s[42:43], vcc
; %bb.142:
	v_cmp_eq_u16_e32 vcc, 0, v4
	v_cndmask_b32_e32 v7, 0, v7, vcc
	v_cndmask_b32_e32 v8, 0, v8, vcc
	v_add_co_u32_e32 v2, vcc, v7, v2
	v_addc_co_u32_e32 v3, vcc, v8, v3, vcc
	v_and_b32_e32 v4, 1, v4
	v_cmp_eq_u32_e32 vcc, 1, v4
	v_and_b32_e32 v4, 1, v6
	v_cmp_eq_u32_e64 s[40:41], 1, v4
	s_or_b64 s[40:41], vcc, s[40:41]
	v_cndmask_b32_e64 v4, 0, 1, s[40:41]
; %bb.143:
	s_or_b64 exec, exec, s[42:43]
	v_cmp_eq_u32_e32 vcc, 63, v0
	s_and_saveexec_b64 s[40:41], vcc
	s_cbranch_execz .LBB437_145
; %bb.144:
	v_mov_b32_e32 v6, 0
	ds_write_b64 v6, v[2:3]
	ds_write_b8 v6, v4 offset:8
.LBB437_145:
	s_or_b64 exec, exec, s[40:41]
	v_add_u32_e32 v6, -1, v5
	v_and_b32_e32 v7, 64, v5
	v_cmp_lt_i32_e32 vcc, v6, v7
	v_cndmask_b32_e32 v6, v6, v5, vcc
	v_lshlrev_b32_e32 v6, 2, v6
	ds_bpermute_b32 v12, v6, v2
	v_and_b32_e32 v2, 0xffff, v4
	ds_bpermute_b32 v13, v6, v3
	ds_bpermute_b32 v14, v6, v2
	v_cmp_gt_u32_e32 vcc, 64, v0
	s_waitcnt lgkmcnt(0)
	; wave barrier
	s_waitcnt lgkmcnt(0)
	s_and_saveexec_b64 s[52:53], vcc
	s_cbranch_execz .LBB437_192
; %bb.146:
	v_mov_b32_e32 v7, 0
	ds_read_b64 v[2:3], v7
	ds_read_u8 v15, v7 offset:8
	s_mov_b32 s57, 0
	v_cmp_eq_u32_e64 s[40:41], 0, v5
	s_and_saveexec_b64 s[42:43], s[40:41]
	s_cbranch_execz .LBB437_148
; %bb.147:
	s_add_i32 s56, s51, 64
	s_lshl_b64 s[60:61], s[56:57], 4
	s_add_u32 s60, s44, s60
	s_addc_u32 s61, s45, s61
	v_mov_b32_e32 v4, s56
	v_mov_b32_e32 v6, 1
	s_waitcnt lgkmcnt(1)
	global_store_dwordx2 v7, v[2:3], s[60:61]
	s_waitcnt lgkmcnt(0)
	global_store_byte v7, v15, s[60:61] offset:8
	s_waitcnt vmcnt(0)
	buffer_wbinvl1_vol
	global_store_byte v4, v6, s[48:49]
.LBB437_148:
	s_or_b64 exec, exec, s[42:43]
	v_xad_u32 v4, v5, -1, s51
	v_add_u32_e32 v6, 64, v4
	global_load_ubyte v16, v6, s[48:49] glc
	s_waitcnt vmcnt(0)
	v_cmp_eq_u16_e32 vcc, 0, v16
	s_and_saveexec_b64 s[42:43], vcc
	s_cbranch_execz .LBB437_154
; %bb.149:
	v_mov_b32_e32 v9, s49
	v_add_co_u32_e32 v8, vcc, s48, v6
	v_addc_co_u32_e32 v9, vcc, 0, v9, vcc
	s_mov_b32 s60, 1
	s_mov_b64 s[56:57], 0
.LBB437_150:                            ; =>This Loop Header: Depth=1
                                        ;     Child Loop BB437_151 Depth 2
	s_max_u32 s61, s60, 1
.LBB437_151:                            ;   Parent Loop BB437_150 Depth=1
                                        ; =>  This Inner Loop Header: Depth=2
	s_add_i32 s61, s61, -1
	s_cmp_eq_u32 s61, 0
	s_sleep 1
	s_cbranch_scc0 .LBB437_151
; %bb.152:                              ;   in Loop: Header=BB437_150 Depth=1
	global_load_ubyte v16, v[8:9], off glc
	s_cmp_lt_u32 s60, 32
	s_cselect_b64 s[68:69], -1, 0
	s_cmp_lg_u64 s[68:69], 0
	s_addc_u32 s60, s60, 0
	s_waitcnt vmcnt(0)
	v_cmp_ne_u16_e32 vcc, 0, v16
	s_or_b64 s[56:57], vcc, s[56:57]
	s_andn2_b64 exec, exec, s[56:57]
	s_cbranch_execnz .LBB437_150
; %bb.153:
	s_or_b64 exec, exec, s[56:57]
.LBB437_154:
	s_or_b64 exec, exec, s[42:43]
	v_mov_b32_e32 v8, s47
	v_mov_b32_e32 v9, s45
	v_cmp_eq_u16_e32 vcc, 1, v16
	v_cndmask_b32_e32 v8, v8, v9, vcc
	v_mov_b32_e32 v9, s46
	v_mov_b32_e32 v10, s44
	v_cndmask_b32_e32 v9, v9, v10, vcc
	v_lshlrev_b64 v[6:7], 4, v[6:7]
	v_add_co_u32_e32 v6, vcc, v9, v6
	v_addc_co_u32_e32 v7, vcc, v8, v7, vcc
	s_waitcnt lgkmcnt(0)
	buffer_wbinvl1_vol
	global_load_dwordx2 v[10:11], v[6:7], off
	global_load_ubyte v31, v[6:7], off offset:8
	v_cmp_eq_u16_e32 vcc, 2, v16
	v_lshlrev_b64 v[6:7], v5, -1
	v_and_b32_e32 v17, 63, v5
	v_and_b32_e32 v8, vcc_hi, v7
	v_and_b32_e32 v22, vcc_lo, v6
	v_cmp_ne_u32_e32 vcc, 63, v17
	v_addc_co_u32_e32 v9, vcc, 0, v5, vcc
	v_lshlrev_b32_e32 v18, 2, v9
	v_or_b32_e32 v8, 0x80000000, v8
	v_ffbl_b32_e32 v8, v8
	v_add_u32_e32 v8, 32, v8
	v_ffbl_b32_e32 v22, v22
	v_min_u32_e32 v8, v22, v8
	v_cmp_lt_u32_e32 vcc, v17, v8
	s_waitcnt vmcnt(1)
	ds_bpermute_b32 v20, v18, v10
	s_waitcnt vmcnt(0)
	v_and_b32_e32 v9, 1, v31
	ds_bpermute_b32 v21, v18, v11
	ds_bpermute_b32 v19, v18, v9
	s_and_saveexec_b64 s[42:43], vcc
	s_cbranch_execz .LBB437_156
; %bb.155:
	v_mov_b32_e32 v9, 0
	v_cmp_eq_u16_sdwa vcc, v31, v9 src0_sel:BYTE_0 src1_sel:DWORD
	s_waitcnt lgkmcnt(2)
	v_cndmask_b32_e32 v20, 0, v20, vcc
	s_waitcnt lgkmcnt(1)
	v_cndmask_b32_e32 v9, 0, v21, vcc
	v_add_co_u32_e32 v10, vcc, v20, v10
	v_addc_co_u32_e32 v11, vcc, v9, v11, vcc
	s_waitcnt lgkmcnt(0)
	v_and_b32_e32 v9, 1, v19
	v_or_b32_e32 v31, v9, v31
	v_and_b32_e32 v9, 0xff, v31
.LBB437_156:
	s_or_b64 exec, exec, s[42:43]
	v_cmp_gt_u32_e32 vcc, 62, v17
	s_waitcnt lgkmcnt(0)
	v_cndmask_b32_e64 v19, 0, 1, vcc
	v_lshlrev_b32_e32 v19, 1, v19
	v_add_lshl_u32 v19, v19, v5, 2
	ds_bpermute_b32 v22, v19, v10
	ds_bpermute_b32 v23, v19, v11
	ds_bpermute_b32 v21, v19, v9
	v_add_u32_e32 v20, 2, v17
	v_cmp_le_u32_e32 vcc, v20, v8
	s_and_saveexec_b64 s[56:57], vcc
	s_cbranch_execz .LBB437_158
; %bb.157:
	v_mov_b32_e32 v9, 0
	v_cmp_eq_u16_sdwa vcc, v31, v9 src0_sel:BYTE_0 src1_sel:DWORD
	s_waitcnt lgkmcnt(2)
	v_cndmask_b32_e32 v22, 0, v22, vcc
	s_waitcnt lgkmcnt(1)
	v_cndmask_b32_e32 v9, 0, v23, vcc
	v_add_co_u32_e32 v10, vcc, v22, v10
	v_addc_co_u32_e32 v11, vcc, v9, v11, vcc
	v_and_b32_e32 v9, 1, v31
	v_cmp_eq_u32_e32 vcc, 1, v9
	s_waitcnt lgkmcnt(0)
	v_and_b32_e32 v9, 1, v21
	v_cmp_eq_u32_e64 s[42:43], 1, v9
	s_or_b64 s[42:43], vcc, s[42:43]
	v_cndmask_b32_e64 v31, 0, 1, s[42:43]
	v_cndmask_b32_e64 v9, 0, 1, s[42:43]
.LBB437_158:
	s_or_b64 exec, exec, s[56:57]
	v_cmp_gt_u32_e32 vcc, 60, v17
	s_waitcnt lgkmcnt(0)
	v_cndmask_b32_e64 v21, 0, 1, vcc
	v_lshlrev_b32_e32 v21, 2, v21
	v_add_lshl_u32 v21, v21, v5, 2
	ds_bpermute_b32 v24, v21, v10
	ds_bpermute_b32 v25, v21, v11
	ds_bpermute_b32 v23, v21, v9
	v_add_u32_e32 v22, 4, v17
	v_cmp_le_u32_e32 vcc, v22, v8
	s_and_saveexec_b64 s[56:57], vcc
	s_cbranch_execz .LBB437_160
; %bb.159:
	v_mov_b32_e32 v9, 0
	v_cmp_eq_u16_sdwa vcc, v31, v9 src0_sel:BYTE_0 src1_sel:DWORD
	s_waitcnt lgkmcnt(2)
	v_cndmask_b32_e32 v24, 0, v24, vcc
	s_waitcnt lgkmcnt(1)
	v_cndmask_b32_e32 v9, 0, v25, vcc
	v_add_co_u32_e32 v10, vcc, v24, v10
	v_addc_co_u32_e32 v11, vcc, v9, v11, vcc
	v_and_b32_e32 v9, 1, v31
	v_cmp_eq_u32_e32 vcc, 1, v9
	s_waitcnt lgkmcnt(0)
	v_and_b32_e32 v9, 1, v23
	v_cmp_eq_u32_e64 s[42:43], 1, v9
	s_or_b64 s[42:43], vcc, s[42:43]
	v_cndmask_b32_e64 v31, 0, 1, s[42:43]
	v_cndmask_b32_e64 v9, 0, 1, s[42:43]
.LBB437_160:
	;; [unrolled: 31-line block ×4, first 2 shown]
	s_or_b64 exec, exec, s[56:57]
	v_cmp_gt_u32_e32 vcc, 32, v17
	s_waitcnt lgkmcnt(0)
	v_cndmask_b32_e64 v27, 0, 1, vcc
	v_lshlrev_b32_e32 v27, 5, v27
	v_add_lshl_u32 v28, v27, v5, 2
	ds_bpermute_b32 v27, v28, v10
	ds_bpermute_b32 v30, v28, v11
	ds_bpermute_b32 v5, v28, v9
	v_add_u32_e32 v29, 32, v17
	v_cmp_le_u32_e32 vcc, v29, v8
	s_and_saveexec_b64 s[56:57], vcc
	s_cbranch_execz .LBB437_166
; %bb.165:
	v_mov_b32_e32 v8, 0
	v_cmp_eq_u16_sdwa vcc, v31, v8 src0_sel:BYTE_0 src1_sel:DWORD
	s_waitcnt lgkmcnt(2)
	v_cndmask_b32_e32 v9, 0, v27, vcc
	s_waitcnt lgkmcnt(1)
	v_cndmask_b32_e32 v8, 0, v30, vcc
	v_add_co_u32_e32 v10, vcc, v9, v10
	v_addc_co_u32_e32 v11, vcc, v8, v11, vcc
	v_and_b32_e32 v8, 1, v31
	s_waitcnt lgkmcnt(0)
	v_and_b32_e32 v5, 1, v5
	v_cmp_eq_u32_e32 vcc, 1, v8
	v_cmp_eq_u32_e64 s[42:43], 1, v5
	s_or_b64 s[42:43], vcc, s[42:43]
	v_cndmask_b32_e64 v31, 0, 1, s[42:43]
.LBB437_166:
	s_or_b64 exec, exec, s[56:57]
	s_waitcnt lgkmcnt(0)
	v_mov_b32_e32 v5, 0
	v_mov_b32_e32 v30, 2
	s_branch .LBB437_168
.LBB437_167:                            ;   in Loop: Header=BB437_168 Depth=1
	s_or_b64 exec, exec, s[60:61]
	v_cmp_eq_u16_sdwa vcc, v27, v5 src0_sel:BYTE_0 src1_sel:DWORD
	v_cndmask_b32_e32 v10, 0, v10, vcc
	v_cndmask_b32_e32 v11, 0, v11, vcc
	v_add_co_u32_e32 v10, vcc, v10, v8
	v_addc_co_u32_e32 v11, vcc, v11, v9, vcc
	v_and_b32_e32 v31, 1, v27
	v_cmp_eq_u32_e32 vcc, 1, v31
	s_or_b64 s[42:43], vcc, s[56:57]
	v_subrev_u32_e32 v4, 64, v4
	v_cndmask_b32_e64 v31, 0, 1, s[42:43]
.LBB437_168:                            ; =>This Loop Header: Depth=1
                                        ;     Child Loop BB437_171 Depth 2
                                        ;       Child Loop BB437_172 Depth 3
	v_cmp_ne_u16_sdwa s[42:43], v16, v30 src0_sel:BYTE_0 src1_sel:DWORD
	v_cndmask_b32_e64 v8, 0, 1, s[42:43]
	;;#ASMSTART
	;;#ASMEND
	v_cmp_ne_u32_e32 vcc, 0, v8
	v_mov_b32_e32 v27, v31
	s_cmp_lg_u64 vcc, exec
	v_pk_mov_b32 v[8:9], v[10:11], v[10:11] op_sel:[0,1]
	s_cbranch_scc1 .LBB437_187
; %bb.169:                              ;   in Loop: Header=BB437_168 Depth=1
	global_load_ubyte v16, v4, s[48:49] glc
	s_waitcnt vmcnt(0)
	v_cmp_eq_u16_e32 vcc, 0, v16
	s_and_saveexec_b64 s[42:43], vcc
	s_cbranch_execz .LBB437_175
; %bb.170:                              ;   in Loop: Header=BB437_168 Depth=1
	v_mov_b32_e32 v11, s49
	v_add_co_u32_e32 v10, vcc, s48, v4
	v_addc_co_u32_e32 v11, vcc, 0, v11, vcc
	s_mov_b32 s60, 1
	s_mov_b64 s[56:57], 0
.LBB437_171:                            ;   Parent Loop BB437_168 Depth=1
                                        ; =>  This Loop Header: Depth=2
                                        ;       Child Loop BB437_172 Depth 3
	s_max_u32 s61, s60, 1
.LBB437_172:                            ;   Parent Loop BB437_168 Depth=1
                                        ;     Parent Loop BB437_171 Depth=2
                                        ; =>    This Inner Loop Header: Depth=3
	s_add_i32 s61, s61, -1
	s_cmp_eq_u32 s61, 0
	s_sleep 1
	s_cbranch_scc0 .LBB437_172
; %bb.173:                              ;   in Loop: Header=BB437_171 Depth=2
	global_load_ubyte v16, v[10:11], off glc
	s_cmp_lt_u32 s60, 32
	s_cselect_b64 s[68:69], -1, 0
	s_cmp_lg_u64 s[68:69], 0
	s_addc_u32 s60, s60, 0
	s_waitcnt vmcnt(0)
	v_cmp_ne_u16_e32 vcc, 0, v16
	s_or_b64 s[56:57], vcc, s[56:57]
	s_andn2_b64 exec, exec, s[56:57]
	s_cbranch_execnz .LBB437_171
; %bb.174:                              ;   in Loop: Header=BB437_168 Depth=1
	s_or_b64 exec, exec, s[56:57]
.LBB437_175:                            ;   in Loop: Header=BB437_168 Depth=1
	s_or_b64 exec, exec, s[42:43]
	v_mov_b32_e32 v10, s47
	v_mov_b32_e32 v11, s45
	v_cmp_eq_u16_e32 vcc, 1, v16
	v_cndmask_b32_e32 v31, v10, v11, vcc
	v_mov_b32_e32 v10, s46
	v_mov_b32_e32 v11, s44
	v_cndmask_b32_e32 v32, v10, v11, vcc
	v_lshlrev_b64 v[10:11], 4, v[4:5]
	v_add_co_u32_e32 v32, vcc, v32, v10
	s_waitcnt lgkmcnt(0)
	v_addc_co_u32_e32 v33, vcc, v31, v11, vcc
	buffer_wbinvl1_vol
	global_load_dwordx2 v[10:11], v[32:33], off
	global_load_ubyte v31, v[32:33], off offset:8
	v_cmp_eq_u16_e32 vcc, 2, v16
	v_and_b32_e32 v32, vcc_hi, v7
	v_or_b32_e32 v32, 0x80000000, v32
	v_and_b32_e32 v37, vcc_lo, v6
	v_ffbl_b32_e32 v32, v32
	v_add_u32_e32 v32, 32, v32
	v_ffbl_b32_e32 v37, v37
	v_min_u32_e32 v32, v37, v32
	v_cmp_lt_u32_e32 vcc, v17, v32
	s_waitcnt vmcnt(1)
	ds_bpermute_b32 v35, v18, v10
	s_waitcnt vmcnt(0)
	v_and_b32_e32 v33, 1, v31
	ds_bpermute_b32 v36, v18, v11
	ds_bpermute_b32 v34, v18, v33
	s_and_saveexec_b64 s[42:43], vcc
	s_cbranch_execz .LBB437_177
; %bb.176:                              ;   in Loop: Header=BB437_168 Depth=1
	v_cmp_eq_u16_sdwa vcc, v31, v5 src0_sel:BYTE_0 src1_sel:DWORD
	s_waitcnt lgkmcnt(2)
	v_cndmask_b32_e32 v35, 0, v35, vcc
	s_waitcnt lgkmcnt(1)
	v_cndmask_b32_e32 v33, 0, v36, vcc
	v_add_co_u32_e32 v10, vcc, v35, v10
	v_addc_co_u32_e32 v11, vcc, v33, v11, vcc
	s_waitcnt lgkmcnt(0)
	v_and_b32_e32 v33, 1, v34
	v_or_b32_e32 v31, v33, v31
	v_and_b32_e32 v33, 0xff, v31
.LBB437_177:                            ;   in Loop: Header=BB437_168 Depth=1
	s_or_b64 exec, exec, s[42:43]
	s_waitcnt lgkmcnt(2)
	ds_bpermute_b32 v35, v19, v10
	s_waitcnt lgkmcnt(2)
	ds_bpermute_b32 v36, v19, v11
	;; [unrolled: 2-line block ×3, first 2 shown]
	v_and_b32_e32 v37, 1, v31
	v_cmp_le_u32_e32 vcc, v20, v32
	v_cmp_eq_u32_e64 s[56:57], 1, v37
	s_and_saveexec_b64 s[42:43], vcc
	s_cbranch_execz .LBB437_179
; %bb.178:                              ;   in Loop: Header=BB437_168 Depth=1
	v_cmp_eq_u16_sdwa vcc, v31, v5 src0_sel:BYTE_0 src1_sel:DWORD
	s_waitcnt lgkmcnt(2)
	v_cndmask_b32_e32 v33, 0, v35, vcc
	s_waitcnt lgkmcnt(1)
	v_cndmask_b32_e32 v31, 0, v36, vcc
	v_add_co_u32_e32 v10, vcc, v33, v10
	v_addc_co_u32_e32 v11, vcc, v31, v11, vcc
	s_waitcnt lgkmcnt(0)
	v_and_b32_e32 v31, 1, v34
	v_cmp_eq_u32_e32 vcc, 1, v31
	s_or_b64 s[60:61], s[56:57], vcc
	v_cndmask_b32_e64 v31, 0, 1, s[60:61]
	v_cndmask_b32_e64 v33, 0, 1, s[60:61]
	s_andn2_b64 s[56:57], s[56:57], exec
	s_and_b64 s[60:61], s[60:61], exec
	s_or_b64 s[56:57], s[56:57], s[60:61]
.LBB437_179:                            ;   in Loop: Header=BB437_168 Depth=1
	s_or_b64 exec, exec, s[42:43]
	s_waitcnt lgkmcnt(2)
	ds_bpermute_b32 v35, v21, v10
	s_waitcnt lgkmcnt(2)
	ds_bpermute_b32 v36, v21, v11
	s_waitcnt lgkmcnt(2)
	ds_bpermute_b32 v34, v21, v33
	v_cmp_le_u32_e32 vcc, v22, v32
	s_and_saveexec_b64 s[60:61], vcc
	s_cbranch_execz .LBB437_181
; %bb.180:                              ;   in Loop: Header=BB437_168 Depth=1
	v_cmp_eq_u16_sdwa vcc, v31, v5 src0_sel:BYTE_0 src1_sel:DWORD
	s_waitcnt lgkmcnt(2)
	v_cndmask_b32_e32 v35, 0, v35, vcc
	s_waitcnt lgkmcnt(1)
	v_cndmask_b32_e32 v33, 0, v36, vcc
	v_add_co_u32_e32 v10, vcc, v35, v10
	v_addc_co_u32_e32 v11, vcc, v33, v11, vcc
	v_and_b32_e32 v31, 1, v31
	v_cmp_eq_u32_e32 vcc, 1, v31
	s_waitcnt lgkmcnt(0)
	v_and_b32_e32 v31, 1, v34
	v_cmp_eq_u32_e64 s[42:43], 1, v31
	s_or_b64 s[42:43], vcc, s[42:43]
	v_cndmask_b32_e64 v31, 0, 1, s[42:43]
	v_cndmask_b32_e64 v33, 0, 1, s[42:43]
	s_andn2_b64 s[56:57], s[56:57], exec
	s_and_b64 s[42:43], s[42:43], exec
	s_or_b64 s[56:57], s[56:57], s[42:43]
.LBB437_181:                            ;   in Loop: Header=BB437_168 Depth=1
	s_or_b64 exec, exec, s[60:61]
	s_waitcnt lgkmcnt(2)
	ds_bpermute_b32 v35, v23, v10
	s_waitcnt lgkmcnt(2)
	ds_bpermute_b32 v36, v23, v11
	s_waitcnt lgkmcnt(2)
	ds_bpermute_b32 v34, v23, v33
	v_cmp_le_u32_e32 vcc, v24, v32
	s_and_saveexec_b64 s[60:61], vcc
	s_cbranch_execz .LBB437_183
; %bb.182:                              ;   in Loop: Header=BB437_168 Depth=1
	v_cmp_eq_u16_sdwa vcc, v31, v5 src0_sel:BYTE_0 src1_sel:DWORD
	s_waitcnt lgkmcnt(2)
	v_cndmask_b32_e32 v35, 0, v35, vcc
	s_waitcnt lgkmcnt(1)
	v_cndmask_b32_e32 v33, 0, v36, vcc
	v_add_co_u32_e32 v10, vcc, v35, v10
	v_addc_co_u32_e32 v11, vcc, v33, v11, vcc
	v_and_b32_e32 v31, 1, v31
	v_cmp_eq_u32_e32 vcc, 1, v31
	s_waitcnt lgkmcnt(0)
	v_and_b32_e32 v31, 1, v34
	v_cmp_eq_u32_e64 s[42:43], 1, v31
	s_or_b64 s[42:43], vcc, s[42:43]
	v_cndmask_b32_e64 v31, 0, 1, s[42:43]
	v_cndmask_b32_e64 v33, 0, 1, s[42:43]
	s_andn2_b64 s[56:57], s[56:57], exec
	s_and_b64 s[42:43], s[42:43], exec
	s_or_b64 s[56:57], s[56:57], s[42:43]
.LBB437_183:                            ;   in Loop: Header=BB437_168 Depth=1
	;; [unrolled: 30-line block ×3, first 2 shown]
	s_or_b64 exec, exec, s[60:61]
	s_waitcnt lgkmcnt(0)
	ds_bpermute_b32 v34, v28, v10
	ds_bpermute_b32 v35, v28, v11
	ds_bpermute_b32 v33, v28, v33
	v_cmp_le_u32_e32 vcc, v29, v32
	s_and_saveexec_b64 s[60:61], vcc
	s_cbranch_execz .LBB437_167
; %bb.186:                              ;   in Loop: Header=BB437_168 Depth=1
	v_cmp_eq_u16_sdwa vcc, v31, v5 src0_sel:BYTE_0 src1_sel:DWORD
	s_waitcnt lgkmcnt(2)
	v_cndmask_b32_e32 v34, 0, v34, vcc
	s_waitcnt lgkmcnt(1)
	v_cndmask_b32_e32 v32, 0, v35, vcc
	v_add_co_u32_e32 v10, vcc, v34, v10
	v_addc_co_u32_e32 v11, vcc, v32, v11, vcc
	v_and_b32_e32 v31, 1, v31
	v_cmp_eq_u32_e32 vcc, 1, v31
	s_waitcnt lgkmcnt(0)
	v_and_b32_e32 v31, 1, v33
	v_cmp_eq_u32_e64 s[42:43], 1, v31
	s_or_b64 s[42:43], vcc, s[42:43]
	s_andn2_b64 s[56:57], s[56:57], exec
	s_and_b64 s[42:43], s[42:43], exec
	s_or_b64 s[56:57], s[56:57], s[42:43]
	s_branch .LBB437_167
.LBB437_187:                            ;   in Loop: Header=BB437_168 Depth=1
                                        ; implicit-def: $vgpr31
                                        ; implicit-def: $vgpr10_vgpr11
                                        ; implicit-def: $vgpr16
	s_cbranch_execz .LBB437_168
; %bb.188:
	s_and_saveexec_b64 s[42:43], s[40:41]
	s_cbranch_execz .LBB437_190
; %bb.189:
	v_mov_b32_e32 v4, 0
	s_mov_b32 s41, 0
	v_cmp_eq_u16_sdwa vcc, v15, v4 src0_sel:BYTE_0 src1_sel:DWORD
	s_add_i32 s40, s51, 64
	v_cndmask_b32_e32 v6, 0, v8, vcc
	s_lshl_b64 s[44:45], s[40:41], 4
	v_cndmask_b32_e32 v5, 0, v9, vcc
	v_add_co_u32_e32 v2, vcc, v6, v2
	s_add_u32 s44, s46, s44
	v_addc_co_u32_e32 v3, vcc, v5, v3, vcc
	v_or_b32_e32 v5, v15, v27
	s_addc_u32 s45, s47, s45
	v_and_b32_e32 v5, 1, v5
	global_store_dwordx2 v4, v[2:3], s[44:45]
	global_store_byte v4, v5, s[44:45] offset:8
	v_mov_b32_e32 v2, s40
	v_mov_b32_e32 v3, 2
	s_waitcnt vmcnt(0) lgkmcnt(0)
	buffer_wbinvl1_vol
	global_store_byte v2, v3, s[48:49]
.LBB437_190:
	s_or_b64 exec, exec, s[42:43]
	s_and_b64 exec, exec, s[0:1]
	s_cbranch_execz .LBB437_192
; %bb.191:
	v_mov_b32_e32 v2, 0
	ds_write_b64 v2, v[8:9]
	ds_write_b8 v2, v27 offset:8
.LBB437_192:
	s_or_b64 exec, exec, s[52:53]
	v_mov_b32_e32 v4, 0
	s_waitcnt lgkmcnt(0)
	; wave barrier
	s_waitcnt lgkmcnt(0)
	ds_read_b64 v[2:3], v4
	v_cmp_eq_u32_sdwa vcc, v14, v4 src0_sel:BYTE_0 src1_sel:DWORD
	s_waitcnt lgkmcnt(0)
	v_cndmask_b32_e32 v6, 0, v2, vcc
	v_cndmask_b32_e32 v5, 0, v3, vcc
	v_add_co_u32_e32 v6, vcc, v12, v6
	v_addc_co_u32_e32 v5, vcc, v13, v5, vcc
	v_cndmask_b32_e64 v78, v6, v2, s[0:1]
	v_cmp_eq_u16_sdwa vcc, v1, v4 src0_sel:BYTE_0 src1_sel:DWORD
	v_cndmask_b32_e64 v79, v5, v3, s[0:1]
	v_cndmask_b32_e32 v3, 0, v78, vcc
	v_cndmask_b32_e32 v2, 0, v79, vcc
	v_add_co_u32_e32 v4, vcc, v3, v76
	v_addc_co_u32_e32 v5, vcc, v2, v77, vcc
	v_cndmask_b32_e64 v3, 0, v4, s[38:39]
	v_cndmask_b32_e64 v2, 0, v5, s[38:39]
	v_add_co_u32_e32 v6, vcc, v3, v38
	v_addc_co_u32_e32 v7, vcc, v2, v39, vcc
	v_cndmask_b32_e64 v3, 0, v6, s[36:37]
	v_cndmask_b32_e64 v2, 0, v7, s[36:37]
	;; [unrolled: 4-line block ×17, first 2 shown]
	s_branch .LBB437_213
.LBB437_193:
                                        ; implicit-def: $vgpr78_vgpr79
                                        ; implicit-def: $vgpr96_vgpr97
                                        ; implicit-def: $vgpr94_vgpr95
                                        ; implicit-def: $vgpr92_vgpr93
                                        ; implicit-def: $vgpr90_vgpr91
                                        ; implicit-def: $vgpr88_vgpr89
                                        ; implicit-def: $vgpr86_vgpr87
                                        ; implicit-def: $vgpr84_vgpr85
                                        ; implicit-def: $vgpr82_vgpr83
                                        ; implicit-def: $vgpr80_vgpr81
                                        ; implicit-def: $vgpr34_vgpr35_vgpr36_vgpr37
                                        ; implicit-def: $vgpr30_vgpr31_vgpr32_vgpr33
                                        ; implicit-def: $vgpr26_vgpr27_vgpr28_vgpr29
                                        ; implicit-def: $vgpr22_vgpr23_vgpr24_vgpr25
                                        ; implicit-def: $vgpr18_vgpr19_vgpr20_vgpr21
                                        ; implicit-def: $vgpr14_vgpr15_vgpr16_vgpr17
                                        ; implicit-def: $vgpr10_vgpr11_vgpr12_vgpr13
                                        ; implicit-def: $vgpr6_vgpr7_vgpr8_vgpr9
                                        ; implicit-def: $vgpr2_vgpr3_vgpr4_vgpr5
	s_cbranch_execz .LBB437_213
; %bb.194:
	s_cmp_lg_u64 s[66:67], 0
	s_cselect_b32 s5, s63, 0
	s_cselect_b32 s4, s62, 0
	s_cmp_eq_u64 s[4:5], 0
	v_pk_mov_b32 v[2:3], s[64:65], s[64:65] op_sel:[0,1]
	s_cbranch_scc1 .LBB437_196
; %bb.195:
	v_mov_b32_e32 v2, 0
	global_load_dwordx2 v[2:3], v2, s[4:5]
.LBB437_196:
	v_mov_b32_e32 v4, 0
	v_cmp_eq_u16_sdwa s[36:37], v98, v4 src0_sel:BYTE_0 src1_sel:DWORD
	v_cndmask_b32_e64 v6, 0, v76, s[36:37]
	v_cndmask_b32_e64 v5, 0, v77, s[36:37]
	v_add_co_u32_e32 v6, vcc, v6, v38
	v_cmp_eq_u16_sdwa s[34:35], v99, v4 src0_sel:BYTE_0 src1_sel:DWORD
	v_addc_co_u32_e32 v5, vcc, v5, v39, vcc
	v_cndmask_b32_e64 v6, 0, v6, s[34:35]
	v_cndmask_b32_e64 v5, 0, v5, s[34:35]
	v_add_co_u32_e32 v6, vcc, v6, v46
	v_cmp_eq_u16_sdwa s[30:31], v100, v4 src0_sel:BYTE_0 src1_sel:DWORD
	v_addc_co_u32_e32 v5, vcc, v5, v47, vcc
	;; [unrolled: 5-line block ×15, first 2 shown]
	v_cndmask_b32_e64 v6, 0, v6, s[4:5]
	v_cndmask_b32_e64 v5, 0, v5, s[4:5]
	v_add_co_u32_e32 v6, vcc, v6, v72
	v_addc_co_u32_e32 v5, vcc, v5, v73, vcc
	v_cmp_eq_u16_sdwa vcc, v101, v4 src0_sel:BYTE_0 src1_sel:DWORD
	v_cndmask_b32_e32 v6, 0, v6, vcc
	v_cndmask_b32_e32 v5, 0, v5, vcc
	v_add_co_u32_e64 v6, s[38:39], v6, v42
	v_addc_co_u32_e64 v5, s[38:39], v5, v43, s[38:39]
	v_cmp_eq_u16_sdwa s[38:39], v116, v4 src0_sel:BYTE_0 src1_sel:DWORD
	v_cndmask_b32_e64 v4, 0, v6, s[38:39]
	v_or_b32_e32 v6, v118, v113
	v_or_b32_e32 v6, v6, v112
	;; [unrolled: 1-line block ×16, first 2 shown]
	v_cndmask_b32_e64 v5, 0, v5, s[38:39]
	v_add_co_u32_e64 v4, s[38:39], v4, v40
	v_and_b32_e32 v7, 1, v6
	v_mbcnt_hi_u32_b32 v6, -1, v117
	v_addc_co_u32_e64 v5, s[38:39], v5, v41, s[38:39]
	v_and_b32_e32 v9, 15, v6
	v_cmp_eq_u32_e64 s[38:39], 1, v7
	v_mov_b32_dpp v11, v4 row_shr:1 row_mask:0xf bank_mask:0xf
	v_mov_b32_dpp v12, v5 row_shr:1 row_mask:0xf bank_mask:0xf
	;; [unrolled: 1-line block ×3, first 2 shown]
	v_cmp_ne_u32_e64 s[40:41], 0, v9
	v_mov_b32_e32 v8, v7
	s_and_saveexec_b64 s[42:43], s[40:41]
; %bb.197:
	v_cndmask_b32_e64 v11, v11, 0, s[38:39]
	v_cndmask_b32_e64 v8, v12, 0, s[38:39]
	v_add_co_u32_e64 v4, s[38:39], v11, v4
	v_addc_co_u32_e64 v5, s[38:39], v8, v5, s[38:39]
	v_and_b32_e32 v8, 1, v10
	v_or_b32_e32 v7, v8, v7
	v_and_b32_e32 v8, 0xffff, v7
; %bb.198:
	s_or_b64 exec, exec, s[42:43]
	v_mov_b32_dpp v11, v4 row_shr:2 row_mask:0xf bank_mask:0xf
	v_mov_b32_dpp v12, v5 row_shr:2 row_mask:0xf bank_mask:0xf
	v_mov_b32_dpp v10, v8 row_shr:2 row_mask:0xf bank_mask:0xf
	v_cmp_lt_u32_e64 s[38:39], 1, v9
	s_and_saveexec_b64 s[42:43], s[38:39]
	s_cbranch_execz .LBB437_200
; %bb.199:
	v_cmp_eq_u16_e64 s[38:39], 0, v7
	v_cndmask_b32_e64 v11, 0, v11, s[38:39]
	v_cndmask_b32_e64 v8, 0, v12, s[38:39]
	v_add_co_u32_e64 v4, s[38:39], v11, v4
	v_addc_co_u32_e64 v5, s[38:39], v8, v5, s[38:39]
	v_and_b32_e32 v7, 1, v7
	v_cmp_eq_u32_e64 s[38:39], 1, v7
	v_and_b32_e32 v7, 1, v10
	v_cmp_eq_u32_e64 s[40:41], 1, v7
	s_or_b64 s[38:39], s[38:39], s[40:41]
	v_cndmask_b32_e64 v7, 0, 1, s[38:39]
	v_cndmask_b32_e64 v8, 0, 1, s[38:39]
.LBB437_200:
	s_or_b64 exec, exec, s[42:43]
	v_mov_b32_dpp v11, v4 row_shr:4 row_mask:0xf bank_mask:0xf
	v_mov_b32_dpp v12, v5 row_shr:4 row_mask:0xf bank_mask:0xf
	v_mov_b32_dpp v10, v8 row_shr:4 row_mask:0xf bank_mask:0xf
	v_cmp_lt_u32_e64 s[38:39], 3, v9
	s_and_saveexec_b64 s[42:43], s[38:39]
	s_cbranch_execz .LBB437_202
; %bb.201:
	v_cmp_eq_u16_e64 s[38:39], 0, v7
	v_cndmask_b32_e64 v11, 0, v11, s[38:39]
	v_cndmask_b32_e64 v8, 0, v12, s[38:39]
	v_add_co_u32_e64 v4, s[38:39], v11, v4
	v_addc_co_u32_e64 v5, s[38:39], v8, v5, s[38:39]
	v_and_b32_e32 v7, 1, v7
	v_cmp_eq_u32_e64 s[38:39], 1, v7
	v_and_b32_e32 v7, 1, v10
	v_cmp_eq_u32_e64 s[40:41], 1, v7
	s_or_b64 s[38:39], s[38:39], s[40:41]
	v_cndmask_b32_e64 v7, 0, 1, s[38:39]
	v_cndmask_b32_e64 v8, 0, 1, s[38:39]
.LBB437_202:
	;; [unrolled: 21-line block ×3, first 2 shown]
	s_or_b64 exec, exec, s[42:43]
	v_and_b32_e32 v12, 16, v6
	v_mov_b32_dpp v10, v4 row_bcast:15 row_mask:0xf bank_mask:0xf
	v_mov_b32_dpp v11, v5 row_bcast:15 row_mask:0xf bank_mask:0xf
	;; [unrolled: 1-line block ×3, first 2 shown]
	v_cmp_ne_u32_e64 s[38:39], 0, v12
	s_and_saveexec_b64 s[42:43], s[38:39]
	s_cbranch_execz .LBB437_206
; %bb.205:
	v_cmp_eq_u16_e64 s[38:39], 0, v7
	v_cndmask_b32_e64 v10, 0, v10, s[38:39]
	v_cndmask_b32_e64 v8, 0, v11, s[38:39]
	v_add_co_u32_e64 v4, s[38:39], v10, v4
	v_addc_co_u32_e64 v5, s[38:39], v8, v5, s[38:39]
	v_and_b32_e32 v7, 1, v7
	v_cmp_eq_u32_e64 s[38:39], 1, v7
	v_and_b32_e32 v7, 1, v9
	v_cmp_eq_u32_e64 s[40:41], 1, v7
	s_or_b64 s[38:39], s[38:39], s[40:41]
	v_cndmask_b32_e64 v7, 0, 1, s[38:39]
	v_cndmask_b32_e64 v8, 0, 1, s[38:39]
.LBB437_206:
	s_or_b64 exec, exec, s[42:43]
	v_mov_b32_dpp v9, v4 row_bcast:31 row_mask:0xf bank_mask:0xf
	v_mov_b32_dpp v10, v5 row_bcast:31 row_mask:0xf bank_mask:0xf
	v_mov_b32_dpp v8, v8 row_bcast:31 row_mask:0xf bank_mask:0xf
	v_cmp_lt_u32_e64 s[38:39], 31, v6
	s_and_saveexec_b64 s[42:43], s[38:39]
; %bb.207:
	v_cmp_eq_u16_e64 s[38:39], 0, v7
	v_cndmask_b32_e64 v9, 0, v9, s[38:39]
	v_cndmask_b32_e64 v10, 0, v10, s[38:39]
	v_add_co_u32_e64 v4, s[38:39], v9, v4
	v_addc_co_u32_e64 v5, s[38:39], v10, v5, s[38:39]
	v_and_b32_e32 v7, 1, v7
	v_cmp_eq_u32_e64 s[38:39], 1, v7
	v_and_b32_e32 v7, 1, v8
	v_cmp_eq_u32_e64 s[40:41], 1, v7
	s_or_b64 s[38:39], s[38:39], s[40:41]
	v_cndmask_b32_e64 v7, 0, 1, s[38:39]
; %bb.208:
	s_or_b64 exec, exec, s[42:43]
	v_cmp_eq_u32_e64 s[38:39], 63, v0
	s_and_saveexec_b64 s[40:41], s[38:39]
	s_cbranch_execz .LBB437_210
; %bb.209:
	v_mov_b32_e32 v8, 0
	ds_write_b64 v8, v[4:5]
	ds_write_b8 v8, v7 offset:8
.LBB437_210:
	s_or_b64 exec, exec, s[40:41]
	v_cmp_eq_u16_e64 s[38:39], 0, v7
	s_waitcnt vmcnt(0)
	v_cndmask_b32_e64 v8, 0, v2, s[38:39]
	v_cndmask_b32_e64 v7, 0, v3, s[38:39]
	v_add_co_u32_e64 v4, s[38:39], v8, v4
	v_addc_co_u32_e64 v5, s[38:39], v7, v5, s[38:39]
	v_add_u32_e32 v7, -1, v6
	v_and_b32_e32 v8, 64, v6
	v_cmp_lt_i32_e64 s[38:39], v7, v8
	v_cndmask_b32_e64 v7, v7, v6, s[38:39]
	v_lshlrev_b32_e32 v7, 2, v7
	ds_bpermute_b32 v5, v7, v5
	ds_bpermute_b32 v4, v7, v4
	v_cmp_eq_u32_e64 s[38:39], 0, v6
	s_or_b64 s[38:39], s[0:1], s[38:39]
	v_mov_b32_e32 v8, 0
	s_waitcnt lgkmcnt(1)
	v_cndmask_b32_e64 v79, v5, v3, s[38:39]
	s_waitcnt lgkmcnt(0)
	v_cndmask_b32_e64 v78, v4, v2, s[38:39]
	v_cmp_eq_u16_sdwa s[38:39], v1, v8 src0_sel:BYTE_0 src1_sel:DWORD
	v_cndmask_b32_e64 v4, 0, v78, s[38:39]
	v_cndmask_b32_e64 v1, 0, v79, s[38:39]
	v_add_co_u32_e64 v4, s[38:39], v4, v76
	v_addc_co_u32_e64 v5, s[38:39], v1, v77, s[38:39]
	v_cndmask_b32_e64 v6, 0, v4, s[36:37]
	v_cndmask_b32_e64 v1, 0, v5, s[36:37]
	v_add_co_u32_e64 v6, s[36:37], v6, v38
	v_addc_co_u32_e64 v7, s[36:37], v1, v39, s[36:37]
	;; [unrolled: 4-line block ×17, first 2 shown]
	v_cndmask_b32_e32 v97, 0, v95, vcc
	v_cndmask_b32_e32 v96, 0, v94, vcc
	s_waitcnt lgkmcnt(0)
	; wave barrier
	s_and_saveexec_b64 s[4:5], s[0:1]
	s_cbranch_execz .LBB437_212
; %bb.211:
	ds_read_u8 v1, v8 offset:8
	ds_read_b64 v[12:13], v8
	v_pk_mov_b32 v[78:79], v[2:3], v[2:3] op_sel:[0,1]
	s_waitcnt lgkmcnt(1)
	v_cmp_eq_u16_e32 vcc, 0, v1
	v_cndmask_b32_e32 v16, 0, v2, vcc
	v_cndmask_b32_e32 v9, 0, v3, vcc
	s_waitcnt lgkmcnt(0)
	v_add_co_u32_e32 v12, vcc, v16, v12
	v_addc_co_u32_e32 v13, vcc, v9, v13, vcc
	global_store_dwordx2 v8, v[12:13], s[46:47] offset:1024
	global_store_byte v8, v1, s[46:47] offset:1032
	v_mov_b32_e32 v1, 2
	s_waitcnt vmcnt(0)
	buffer_wbinvl1_vol
	global_store_byte v8, v1, s[48:49] offset:64
.LBB437_212:
	s_or_b64 exec, exec, s[4:5]
.LBB437_213:
	s_add_u32 s0, s58, s54
	v_add_co_u32_e32 v2, vcc, v96, v42
	s_addc_u32 s1, s59, s55
	v_addc_co_u32_e32 v3, vcc, v97, v43, vcc
	v_mov_b32_e32 v1, s1
	v_add_co_u32_e32 v12, vcc, s0, v74
	v_addc_co_u32_e32 v13, vcc, v1, v75, vcc
	s_and_b64 vcc, exec, s[2:3]
	s_cbranch_vccz .LBB437_251
; %bb.214:
	s_movk_i32 s0, 0x98
	v_mul_i32_i24_e32 v17, 0xffffff70, v0
	v_mul_u32_u24_e32 v16, 0x98, v0
	v_mad_u32_u24 v8, v0, s0, v17
	s_waitcnt lgkmcnt(0)
	; wave barrier
	ds_write2_b64 v16, v[78:79], v[4:5] offset1:1
	ds_write2_b64 v16, v[6:7], v[80:81] offset0:2 offset1:3
	ds_write2_b64 v16, v[10:11], v[82:83] offset0:4 offset1:5
	;; [unrolled: 1-line block ×8, first 2 shown]
	ds_write_b64 v16, v[2:3] offset:144
	s_waitcnt lgkmcnt(0)
	; wave barrier
	s_waitcnt lgkmcnt(0)
	ds_read2st64_b64 v[68:71], v8 offset0:1 offset1:2
	ds_read2st64_b64 v[64:67], v8 offset0:3 offset1:4
	;; [unrolled: 1-line block ×9, first 2 shown]
	v_add_co_u32_e32 v8, vcc, v12, v115
	s_add_i32 s33, s33, s50
	v_addc_co_u32_e32 v9, vcc, 0, v13, vcc
	v_mov_b32_e32 v1, 0
	v_cmp_gt_u32_e32 vcc, s33, v0
	s_and_saveexec_b64 s[0:1], vcc
	s_cbranch_execz .LBB437_216
; %bb.215:
	v_add_u32_e32 v16, v16, v17
	ds_read_b64 v[16:17], v16
	s_waitcnt lgkmcnt(0)
	flat_store_dwordx2 v[8:9], v[16:17]
.LBB437_216:
	s_or_b64 exec, exec, s[0:1]
	v_or_b32_e32 v16, 64, v0
	v_cmp_gt_u32_e32 vcc, s33, v16
	s_and_saveexec_b64 s[0:1], vcc
	s_cbranch_execz .LBB437_218
; %bb.217:
	s_waitcnt lgkmcnt(0)
	flat_store_dwordx2 v[8:9], v[68:69] offset:512
.LBB437_218:
	s_or_b64 exec, exec, s[0:1]
	v_or_b32_e32 v16, 0x80, v0
	v_cmp_gt_u32_e32 vcc, s33, v16
	s_and_saveexec_b64 s[0:1], vcc
	s_cbranch_execz .LBB437_220
; %bb.219:
	s_waitcnt lgkmcnt(0)
	flat_store_dwordx2 v[8:9], v[70:71] offset:1024
.LBB437_220:
	;; [unrolled: 9-line block ×7, first 2 shown]
	s_or_b64 exec, exec, s[0:1]
	v_or_b32_e32 v16, 0x200, v0
	v_cmp_gt_u32_e32 vcc, s33, v16
	s_and_saveexec_b64 s[0:1], vcc
	s_cbranch_execz .LBB437_232
; %bb.231:
	v_add_co_u32_e32 v16, vcc, 0x1000, v8
	v_addc_co_u32_e32 v17, vcc, 0, v9, vcc
	s_waitcnt lgkmcnt(0)
	flat_store_dwordx2 v[16:17], v[58:59]
.LBB437_232:
	s_or_b64 exec, exec, s[0:1]
	v_or_b32_e32 v16, 0x240, v0
	v_cmp_gt_u32_e32 vcc, s33, v16
	s_and_saveexec_b64 s[0:1], vcc
	s_cbranch_execz .LBB437_234
; %bb.233:
	v_add_co_u32_e32 v16, vcc, 0x1000, v8
	v_addc_co_u32_e32 v17, vcc, 0, v9, vcc
	s_waitcnt lgkmcnt(0)
	flat_store_dwordx2 v[16:17], v[52:53] offset:512
.LBB437_234:
	s_or_b64 exec, exec, s[0:1]
	v_or_b32_e32 v16, 0x280, v0
	v_cmp_gt_u32_e32 vcc, s33, v16
	s_and_saveexec_b64 s[0:1], vcc
	s_cbranch_execz .LBB437_236
; %bb.235:
	v_add_co_u32_e32 v16, vcc, 0x1000, v8
	v_addc_co_u32_e32 v17, vcc, 0, v9, vcc
	s_waitcnt lgkmcnt(0)
	flat_store_dwordx2 v[16:17], v[54:55] offset:1024
.LBB437_236:
	;; [unrolled: 11-line block ×7, first 2 shown]
	s_or_b64 exec, exec, s[0:1]
	v_or_b32_e32 v16, 0x400, v0
	v_cmp_gt_u32_e32 vcc, s33, v16
	s_and_saveexec_b64 s[0:1], vcc
	s_cbranch_execz .LBB437_248
; %bb.247:
	v_add_co_u32_e32 v16, vcc, 0x2000, v8
	v_addc_co_u32_e32 v17, vcc, 0, v9, vcc
	s_waitcnt lgkmcnt(0)
	flat_store_dwordx2 v[16:17], v[42:43]
.LBB437_248:
	s_or_b64 exec, exec, s[0:1]
	v_or_b32_e32 v16, 0x440, v0
	v_cmp_gt_u32_e32 vcc, s33, v16
	s_and_saveexec_b64 s[0:1], vcc
	s_cbranch_execz .LBB437_250
; %bb.249:
	v_add_co_u32_e32 v8, vcc, 0x2000, v8
	v_addc_co_u32_e32 v9, vcc, 0, v9, vcc
	s_waitcnt lgkmcnt(0)
	flat_store_dwordx2 v[8:9], v[36:37] offset:512
.LBB437_250:
	s_or_b64 exec, exec, s[0:1]
	v_or_b32_e32 v8, 0x480, v0
	v_cmp_gt_u32_e64 s[0:1], s33, v8
	s_branch .LBB437_253
.LBB437_251:
	s_mov_b64 s[0:1], 0
                                        ; implicit-def: $vgpr38_vgpr39
	s_cbranch_execz .LBB437_253
; %bb.252:
	v_mul_u32_u24_e32 v1, 0x98, v0
	s_waitcnt lgkmcnt(0)
	; wave barrier
	s_waitcnt lgkmcnt(0)
	s_movk_i32 s2, 0x98
	ds_write2_b64 v1, v[78:79], v[4:5] offset1:1
	ds_write2_b64 v1, v[6:7], v[80:81] offset0:2 offset1:3
	ds_write2_b64 v1, v[10:11], v[82:83] offset0:4 offset1:5
	;; [unrolled: 1-line block ×8, first 2 shown]
	ds_write_b64 v1, v[2:3] offset:144
	v_mul_i32_i24_e32 v2, 0xffffff70, v0
	v_mad_u32_u24 v10, v0, s2, v2
	s_waitcnt lgkmcnt(0)
	; wave barrier
	s_waitcnt lgkmcnt(0)
	ds_read2st64_b64 v[2:5], v10 offset1:1
	ds_read2st64_b64 v[6:9], v10 offset0:2 offset1:3
	ds_read2st64_b64 v[14:17], v10 offset0:4 offset1:5
	;; [unrolled: 1-line block ×8, first 2 shown]
	ds_read_b64 v[38:39], v10 offset:9216
	v_add_co_u32_e32 v10, vcc, v12, v115
	v_addc_co_u32_e32 v11, vcc, 0, v13, vcc
	s_movk_i32 s2, 0x1000
	s_waitcnt lgkmcnt(0)
	flat_store_dwordx2 v[10:11], v[2:3]
	flat_store_dwordx2 v[10:11], v[4:5] offset:512
	flat_store_dwordx2 v[10:11], v[6:7] offset:1024
	;; [unrolled: 1-line block ×7, first 2 shown]
	v_add_co_u32_e32 v2, vcc, s2, v10
	v_addc_co_u32_e32 v3, vcc, 0, v11, vcc
	flat_store_dwordx2 v[2:3], v[22:23]
	flat_store_dwordx2 v[2:3], v[24:25] offset:512
	flat_store_dwordx2 v[2:3], v[26:27] offset:1024
	;; [unrolled: 1-line block ×7, first 2 shown]
	v_add_co_u32_e32 v2, vcc, 0x2000, v10
	v_mov_b32_e32 v1, 0
	v_addc_co_u32_e32 v3, vcc, 0, v11, vcc
	s_or_b64 s[0:1], s[0:1], exec
	flat_store_dwordx2 v[2:3], v[40:41]
	flat_store_dwordx2 v[2:3], v[42:43] offset:512
.LBB437_253:
	s_and_saveexec_b64 s[2:3], s[0:1]
	s_cbranch_execz .LBB437_255
; %bb.254:
	v_lshlrev_b64 v[0:1], 3, v[0:1]
	v_add_co_u32_e32 v0, vcc, v12, v0
	v_addc_co_u32_e32 v1, vcc, v13, v1, vcc
	v_add_co_u32_e32 v0, vcc, 0x2000, v0
	v_addc_co_u32_e32 v1, vcc, 0, v1, vcc
	s_waitcnt lgkmcnt(0)
	flat_store_dwordx2 v[0:1], v[38:39] offset:1024
	s_endpgm
.LBB437_255:
	s_endpgm
	.section	.rodata,"a",@progbits
	.p2align	6, 0x0
	.amdhsa_kernel _ZN7rocprim17ROCPRIM_400000_NS6detail17trampoline_kernelINS0_14default_configENS1_27scan_by_key_config_selectorIxxEEZZNS1_16scan_by_key_implILNS1_25lookback_scan_determinismE0ELb1ES3_N6thrust23THRUST_200600_302600_NS6detail15normal_iteratorINS9_10device_ptrIxEEEESE_SE_xNS9_4plusIvEENS9_8equal_toIxEExEE10hipError_tPvRmT2_T3_T4_T5_mT6_T7_P12ihipStream_tbENKUlT_T0_E_clISt17integral_constantIbLb1EESZ_EEDaSU_SV_EUlSU_E_NS1_11comp_targetILNS1_3genE4ELNS1_11target_archE910ELNS1_3gpuE8ELNS1_3repE0EEENS1_30default_config_static_selectorELNS0_4arch9wavefront6targetE1EEEvT1_
		.amdhsa_group_segment_fixed_size 10752
		.amdhsa_private_segment_fixed_size 0
		.amdhsa_kernarg_size 136
		.amdhsa_user_sgpr_count 6
		.amdhsa_user_sgpr_private_segment_buffer 1
		.amdhsa_user_sgpr_dispatch_ptr 0
		.amdhsa_user_sgpr_queue_ptr 0
		.amdhsa_user_sgpr_kernarg_segment_ptr 1
		.amdhsa_user_sgpr_dispatch_id 0
		.amdhsa_user_sgpr_flat_scratch_init 0
		.amdhsa_user_sgpr_kernarg_preload_length 0
		.amdhsa_user_sgpr_kernarg_preload_offset 0
		.amdhsa_user_sgpr_private_segment_size 0
		.amdhsa_uses_dynamic_stack 0
		.amdhsa_system_sgpr_private_segment_wavefront_offset 0
		.amdhsa_system_sgpr_workgroup_id_x 1
		.amdhsa_system_sgpr_workgroup_id_y 0
		.amdhsa_system_sgpr_workgroup_id_z 0
		.amdhsa_system_sgpr_workgroup_info 0
		.amdhsa_system_vgpr_workitem_id 0
		.amdhsa_next_free_vgpr 119
		.amdhsa_next_free_sgpr 70
		.amdhsa_accum_offset 120
		.amdhsa_reserve_vcc 1
		.amdhsa_reserve_flat_scratch 0
		.amdhsa_float_round_mode_32 0
		.amdhsa_float_round_mode_16_64 0
		.amdhsa_float_denorm_mode_32 3
		.amdhsa_float_denorm_mode_16_64 3
		.amdhsa_dx10_clamp 1
		.amdhsa_ieee_mode 1
		.amdhsa_fp16_overflow 0
		.amdhsa_tg_split 0
		.amdhsa_exception_fp_ieee_invalid_op 0
		.amdhsa_exception_fp_denorm_src 0
		.amdhsa_exception_fp_ieee_div_zero 0
		.amdhsa_exception_fp_ieee_overflow 0
		.amdhsa_exception_fp_ieee_underflow 0
		.amdhsa_exception_fp_ieee_inexact 0
		.amdhsa_exception_int_div_zero 0
	.end_amdhsa_kernel
	.section	.text._ZN7rocprim17ROCPRIM_400000_NS6detail17trampoline_kernelINS0_14default_configENS1_27scan_by_key_config_selectorIxxEEZZNS1_16scan_by_key_implILNS1_25lookback_scan_determinismE0ELb1ES3_N6thrust23THRUST_200600_302600_NS6detail15normal_iteratorINS9_10device_ptrIxEEEESE_SE_xNS9_4plusIvEENS9_8equal_toIxEExEE10hipError_tPvRmT2_T3_T4_T5_mT6_T7_P12ihipStream_tbENKUlT_T0_E_clISt17integral_constantIbLb1EESZ_EEDaSU_SV_EUlSU_E_NS1_11comp_targetILNS1_3genE4ELNS1_11target_archE910ELNS1_3gpuE8ELNS1_3repE0EEENS1_30default_config_static_selectorELNS0_4arch9wavefront6targetE1EEEvT1_,"axG",@progbits,_ZN7rocprim17ROCPRIM_400000_NS6detail17trampoline_kernelINS0_14default_configENS1_27scan_by_key_config_selectorIxxEEZZNS1_16scan_by_key_implILNS1_25lookback_scan_determinismE0ELb1ES3_N6thrust23THRUST_200600_302600_NS6detail15normal_iteratorINS9_10device_ptrIxEEEESE_SE_xNS9_4plusIvEENS9_8equal_toIxEExEE10hipError_tPvRmT2_T3_T4_T5_mT6_T7_P12ihipStream_tbENKUlT_T0_E_clISt17integral_constantIbLb1EESZ_EEDaSU_SV_EUlSU_E_NS1_11comp_targetILNS1_3genE4ELNS1_11target_archE910ELNS1_3gpuE8ELNS1_3repE0EEENS1_30default_config_static_selectorELNS0_4arch9wavefront6targetE1EEEvT1_,comdat
.Lfunc_end437:
	.size	_ZN7rocprim17ROCPRIM_400000_NS6detail17trampoline_kernelINS0_14default_configENS1_27scan_by_key_config_selectorIxxEEZZNS1_16scan_by_key_implILNS1_25lookback_scan_determinismE0ELb1ES3_N6thrust23THRUST_200600_302600_NS6detail15normal_iteratorINS9_10device_ptrIxEEEESE_SE_xNS9_4plusIvEENS9_8equal_toIxEExEE10hipError_tPvRmT2_T3_T4_T5_mT6_T7_P12ihipStream_tbENKUlT_T0_E_clISt17integral_constantIbLb1EESZ_EEDaSU_SV_EUlSU_E_NS1_11comp_targetILNS1_3genE4ELNS1_11target_archE910ELNS1_3gpuE8ELNS1_3repE0EEENS1_30default_config_static_selectorELNS0_4arch9wavefront6targetE1EEEvT1_, .Lfunc_end437-_ZN7rocprim17ROCPRIM_400000_NS6detail17trampoline_kernelINS0_14default_configENS1_27scan_by_key_config_selectorIxxEEZZNS1_16scan_by_key_implILNS1_25lookback_scan_determinismE0ELb1ES3_N6thrust23THRUST_200600_302600_NS6detail15normal_iteratorINS9_10device_ptrIxEEEESE_SE_xNS9_4plusIvEENS9_8equal_toIxEExEE10hipError_tPvRmT2_T3_T4_T5_mT6_T7_P12ihipStream_tbENKUlT_T0_E_clISt17integral_constantIbLb1EESZ_EEDaSU_SV_EUlSU_E_NS1_11comp_targetILNS1_3genE4ELNS1_11target_archE910ELNS1_3gpuE8ELNS1_3repE0EEENS1_30default_config_static_selectorELNS0_4arch9wavefront6targetE1EEEvT1_
                                        ; -- End function
	.section	.AMDGPU.csdata,"",@progbits
; Kernel info:
; codeLenInByte = 15640
; NumSgprs: 74
; NumVgprs: 119
; NumAgprs: 0
; TotalNumVgprs: 119
; ScratchSize: 0
; MemoryBound: 0
; FloatMode: 240
; IeeeMode: 1
; LDSByteSize: 10752 bytes/workgroup (compile time only)
; SGPRBlocks: 9
; VGPRBlocks: 14
; NumSGPRsForWavesPerEU: 74
; NumVGPRsForWavesPerEU: 119
; AccumOffset: 120
; Occupancy: 2
; WaveLimiterHint : 1
; COMPUTE_PGM_RSRC2:SCRATCH_EN: 0
; COMPUTE_PGM_RSRC2:USER_SGPR: 6
; COMPUTE_PGM_RSRC2:TRAP_HANDLER: 0
; COMPUTE_PGM_RSRC2:TGID_X_EN: 1
; COMPUTE_PGM_RSRC2:TGID_Y_EN: 0
; COMPUTE_PGM_RSRC2:TGID_Z_EN: 0
; COMPUTE_PGM_RSRC2:TIDIG_COMP_CNT: 0
; COMPUTE_PGM_RSRC3_GFX90A:ACCUM_OFFSET: 29
; COMPUTE_PGM_RSRC3_GFX90A:TG_SPLIT: 0
	.section	.text._ZN7rocprim17ROCPRIM_400000_NS6detail17trampoline_kernelINS0_14default_configENS1_27scan_by_key_config_selectorIxxEEZZNS1_16scan_by_key_implILNS1_25lookback_scan_determinismE0ELb1ES3_N6thrust23THRUST_200600_302600_NS6detail15normal_iteratorINS9_10device_ptrIxEEEESE_SE_xNS9_4plusIvEENS9_8equal_toIxEExEE10hipError_tPvRmT2_T3_T4_T5_mT6_T7_P12ihipStream_tbENKUlT_T0_E_clISt17integral_constantIbLb1EESZ_EEDaSU_SV_EUlSU_E_NS1_11comp_targetILNS1_3genE3ELNS1_11target_archE908ELNS1_3gpuE7ELNS1_3repE0EEENS1_30default_config_static_selectorELNS0_4arch9wavefront6targetE1EEEvT1_,"axG",@progbits,_ZN7rocprim17ROCPRIM_400000_NS6detail17trampoline_kernelINS0_14default_configENS1_27scan_by_key_config_selectorIxxEEZZNS1_16scan_by_key_implILNS1_25lookback_scan_determinismE0ELb1ES3_N6thrust23THRUST_200600_302600_NS6detail15normal_iteratorINS9_10device_ptrIxEEEESE_SE_xNS9_4plusIvEENS9_8equal_toIxEExEE10hipError_tPvRmT2_T3_T4_T5_mT6_T7_P12ihipStream_tbENKUlT_T0_E_clISt17integral_constantIbLb1EESZ_EEDaSU_SV_EUlSU_E_NS1_11comp_targetILNS1_3genE3ELNS1_11target_archE908ELNS1_3gpuE7ELNS1_3repE0EEENS1_30default_config_static_selectorELNS0_4arch9wavefront6targetE1EEEvT1_,comdat
	.protected	_ZN7rocprim17ROCPRIM_400000_NS6detail17trampoline_kernelINS0_14default_configENS1_27scan_by_key_config_selectorIxxEEZZNS1_16scan_by_key_implILNS1_25lookback_scan_determinismE0ELb1ES3_N6thrust23THRUST_200600_302600_NS6detail15normal_iteratorINS9_10device_ptrIxEEEESE_SE_xNS9_4plusIvEENS9_8equal_toIxEExEE10hipError_tPvRmT2_T3_T4_T5_mT6_T7_P12ihipStream_tbENKUlT_T0_E_clISt17integral_constantIbLb1EESZ_EEDaSU_SV_EUlSU_E_NS1_11comp_targetILNS1_3genE3ELNS1_11target_archE908ELNS1_3gpuE7ELNS1_3repE0EEENS1_30default_config_static_selectorELNS0_4arch9wavefront6targetE1EEEvT1_ ; -- Begin function _ZN7rocprim17ROCPRIM_400000_NS6detail17trampoline_kernelINS0_14default_configENS1_27scan_by_key_config_selectorIxxEEZZNS1_16scan_by_key_implILNS1_25lookback_scan_determinismE0ELb1ES3_N6thrust23THRUST_200600_302600_NS6detail15normal_iteratorINS9_10device_ptrIxEEEESE_SE_xNS9_4plusIvEENS9_8equal_toIxEExEE10hipError_tPvRmT2_T3_T4_T5_mT6_T7_P12ihipStream_tbENKUlT_T0_E_clISt17integral_constantIbLb1EESZ_EEDaSU_SV_EUlSU_E_NS1_11comp_targetILNS1_3genE3ELNS1_11target_archE908ELNS1_3gpuE7ELNS1_3repE0EEENS1_30default_config_static_selectorELNS0_4arch9wavefront6targetE1EEEvT1_
	.globl	_ZN7rocprim17ROCPRIM_400000_NS6detail17trampoline_kernelINS0_14default_configENS1_27scan_by_key_config_selectorIxxEEZZNS1_16scan_by_key_implILNS1_25lookback_scan_determinismE0ELb1ES3_N6thrust23THRUST_200600_302600_NS6detail15normal_iteratorINS9_10device_ptrIxEEEESE_SE_xNS9_4plusIvEENS9_8equal_toIxEExEE10hipError_tPvRmT2_T3_T4_T5_mT6_T7_P12ihipStream_tbENKUlT_T0_E_clISt17integral_constantIbLb1EESZ_EEDaSU_SV_EUlSU_E_NS1_11comp_targetILNS1_3genE3ELNS1_11target_archE908ELNS1_3gpuE7ELNS1_3repE0EEENS1_30default_config_static_selectorELNS0_4arch9wavefront6targetE1EEEvT1_
	.p2align	8
	.type	_ZN7rocprim17ROCPRIM_400000_NS6detail17trampoline_kernelINS0_14default_configENS1_27scan_by_key_config_selectorIxxEEZZNS1_16scan_by_key_implILNS1_25lookback_scan_determinismE0ELb1ES3_N6thrust23THRUST_200600_302600_NS6detail15normal_iteratorINS9_10device_ptrIxEEEESE_SE_xNS9_4plusIvEENS9_8equal_toIxEExEE10hipError_tPvRmT2_T3_T4_T5_mT6_T7_P12ihipStream_tbENKUlT_T0_E_clISt17integral_constantIbLb1EESZ_EEDaSU_SV_EUlSU_E_NS1_11comp_targetILNS1_3genE3ELNS1_11target_archE908ELNS1_3gpuE7ELNS1_3repE0EEENS1_30default_config_static_selectorELNS0_4arch9wavefront6targetE1EEEvT1_,@function
_ZN7rocprim17ROCPRIM_400000_NS6detail17trampoline_kernelINS0_14default_configENS1_27scan_by_key_config_selectorIxxEEZZNS1_16scan_by_key_implILNS1_25lookback_scan_determinismE0ELb1ES3_N6thrust23THRUST_200600_302600_NS6detail15normal_iteratorINS9_10device_ptrIxEEEESE_SE_xNS9_4plusIvEENS9_8equal_toIxEExEE10hipError_tPvRmT2_T3_T4_T5_mT6_T7_P12ihipStream_tbENKUlT_T0_E_clISt17integral_constantIbLb1EESZ_EEDaSU_SV_EUlSU_E_NS1_11comp_targetILNS1_3genE3ELNS1_11target_archE908ELNS1_3gpuE7ELNS1_3repE0EEENS1_30default_config_static_selectorELNS0_4arch9wavefront6targetE1EEEvT1_: ; @_ZN7rocprim17ROCPRIM_400000_NS6detail17trampoline_kernelINS0_14default_configENS1_27scan_by_key_config_selectorIxxEEZZNS1_16scan_by_key_implILNS1_25lookback_scan_determinismE0ELb1ES3_N6thrust23THRUST_200600_302600_NS6detail15normal_iteratorINS9_10device_ptrIxEEEESE_SE_xNS9_4plusIvEENS9_8equal_toIxEExEE10hipError_tPvRmT2_T3_T4_T5_mT6_T7_P12ihipStream_tbENKUlT_T0_E_clISt17integral_constantIbLb1EESZ_EEDaSU_SV_EUlSU_E_NS1_11comp_targetILNS1_3genE3ELNS1_11target_archE908ELNS1_3gpuE7ELNS1_3repE0EEENS1_30default_config_static_selectorELNS0_4arch9wavefront6targetE1EEEvT1_
; %bb.0:
	.section	.rodata,"a",@progbits
	.p2align	6, 0x0
	.amdhsa_kernel _ZN7rocprim17ROCPRIM_400000_NS6detail17trampoline_kernelINS0_14default_configENS1_27scan_by_key_config_selectorIxxEEZZNS1_16scan_by_key_implILNS1_25lookback_scan_determinismE0ELb1ES3_N6thrust23THRUST_200600_302600_NS6detail15normal_iteratorINS9_10device_ptrIxEEEESE_SE_xNS9_4plusIvEENS9_8equal_toIxEExEE10hipError_tPvRmT2_T3_T4_T5_mT6_T7_P12ihipStream_tbENKUlT_T0_E_clISt17integral_constantIbLb1EESZ_EEDaSU_SV_EUlSU_E_NS1_11comp_targetILNS1_3genE3ELNS1_11target_archE908ELNS1_3gpuE7ELNS1_3repE0EEENS1_30default_config_static_selectorELNS0_4arch9wavefront6targetE1EEEvT1_
		.amdhsa_group_segment_fixed_size 0
		.amdhsa_private_segment_fixed_size 0
		.amdhsa_kernarg_size 136
		.amdhsa_user_sgpr_count 6
		.amdhsa_user_sgpr_private_segment_buffer 1
		.amdhsa_user_sgpr_dispatch_ptr 0
		.amdhsa_user_sgpr_queue_ptr 0
		.amdhsa_user_sgpr_kernarg_segment_ptr 1
		.amdhsa_user_sgpr_dispatch_id 0
		.amdhsa_user_sgpr_flat_scratch_init 0
		.amdhsa_user_sgpr_kernarg_preload_length 0
		.amdhsa_user_sgpr_kernarg_preload_offset 0
		.amdhsa_user_sgpr_private_segment_size 0
		.amdhsa_uses_dynamic_stack 0
		.amdhsa_system_sgpr_private_segment_wavefront_offset 0
		.amdhsa_system_sgpr_workgroup_id_x 1
		.amdhsa_system_sgpr_workgroup_id_y 0
		.amdhsa_system_sgpr_workgroup_id_z 0
		.amdhsa_system_sgpr_workgroup_info 0
		.amdhsa_system_vgpr_workitem_id 0
		.amdhsa_next_free_vgpr 1
		.amdhsa_next_free_sgpr 0
		.amdhsa_accum_offset 4
		.amdhsa_reserve_vcc 0
		.amdhsa_reserve_flat_scratch 0
		.amdhsa_float_round_mode_32 0
		.amdhsa_float_round_mode_16_64 0
		.amdhsa_float_denorm_mode_32 3
		.amdhsa_float_denorm_mode_16_64 3
		.amdhsa_dx10_clamp 1
		.amdhsa_ieee_mode 1
		.amdhsa_fp16_overflow 0
		.amdhsa_tg_split 0
		.amdhsa_exception_fp_ieee_invalid_op 0
		.amdhsa_exception_fp_denorm_src 0
		.amdhsa_exception_fp_ieee_div_zero 0
		.amdhsa_exception_fp_ieee_overflow 0
		.amdhsa_exception_fp_ieee_underflow 0
		.amdhsa_exception_fp_ieee_inexact 0
		.amdhsa_exception_int_div_zero 0
	.end_amdhsa_kernel
	.section	.text._ZN7rocprim17ROCPRIM_400000_NS6detail17trampoline_kernelINS0_14default_configENS1_27scan_by_key_config_selectorIxxEEZZNS1_16scan_by_key_implILNS1_25lookback_scan_determinismE0ELb1ES3_N6thrust23THRUST_200600_302600_NS6detail15normal_iteratorINS9_10device_ptrIxEEEESE_SE_xNS9_4plusIvEENS9_8equal_toIxEExEE10hipError_tPvRmT2_T3_T4_T5_mT6_T7_P12ihipStream_tbENKUlT_T0_E_clISt17integral_constantIbLb1EESZ_EEDaSU_SV_EUlSU_E_NS1_11comp_targetILNS1_3genE3ELNS1_11target_archE908ELNS1_3gpuE7ELNS1_3repE0EEENS1_30default_config_static_selectorELNS0_4arch9wavefront6targetE1EEEvT1_,"axG",@progbits,_ZN7rocprim17ROCPRIM_400000_NS6detail17trampoline_kernelINS0_14default_configENS1_27scan_by_key_config_selectorIxxEEZZNS1_16scan_by_key_implILNS1_25lookback_scan_determinismE0ELb1ES3_N6thrust23THRUST_200600_302600_NS6detail15normal_iteratorINS9_10device_ptrIxEEEESE_SE_xNS9_4plusIvEENS9_8equal_toIxEExEE10hipError_tPvRmT2_T3_T4_T5_mT6_T7_P12ihipStream_tbENKUlT_T0_E_clISt17integral_constantIbLb1EESZ_EEDaSU_SV_EUlSU_E_NS1_11comp_targetILNS1_3genE3ELNS1_11target_archE908ELNS1_3gpuE7ELNS1_3repE0EEENS1_30default_config_static_selectorELNS0_4arch9wavefront6targetE1EEEvT1_,comdat
.Lfunc_end438:
	.size	_ZN7rocprim17ROCPRIM_400000_NS6detail17trampoline_kernelINS0_14default_configENS1_27scan_by_key_config_selectorIxxEEZZNS1_16scan_by_key_implILNS1_25lookback_scan_determinismE0ELb1ES3_N6thrust23THRUST_200600_302600_NS6detail15normal_iteratorINS9_10device_ptrIxEEEESE_SE_xNS9_4plusIvEENS9_8equal_toIxEExEE10hipError_tPvRmT2_T3_T4_T5_mT6_T7_P12ihipStream_tbENKUlT_T0_E_clISt17integral_constantIbLb1EESZ_EEDaSU_SV_EUlSU_E_NS1_11comp_targetILNS1_3genE3ELNS1_11target_archE908ELNS1_3gpuE7ELNS1_3repE0EEENS1_30default_config_static_selectorELNS0_4arch9wavefront6targetE1EEEvT1_, .Lfunc_end438-_ZN7rocprim17ROCPRIM_400000_NS6detail17trampoline_kernelINS0_14default_configENS1_27scan_by_key_config_selectorIxxEEZZNS1_16scan_by_key_implILNS1_25lookback_scan_determinismE0ELb1ES3_N6thrust23THRUST_200600_302600_NS6detail15normal_iteratorINS9_10device_ptrIxEEEESE_SE_xNS9_4plusIvEENS9_8equal_toIxEExEE10hipError_tPvRmT2_T3_T4_T5_mT6_T7_P12ihipStream_tbENKUlT_T0_E_clISt17integral_constantIbLb1EESZ_EEDaSU_SV_EUlSU_E_NS1_11comp_targetILNS1_3genE3ELNS1_11target_archE908ELNS1_3gpuE7ELNS1_3repE0EEENS1_30default_config_static_selectorELNS0_4arch9wavefront6targetE1EEEvT1_
                                        ; -- End function
	.section	.AMDGPU.csdata,"",@progbits
; Kernel info:
; codeLenInByte = 0
; NumSgprs: 4
; NumVgprs: 0
; NumAgprs: 0
; TotalNumVgprs: 0
; ScratchSize: 0
; MemoryBound: 0
; FloatMode: 240
; IeeeMode: 1
; LDSByteSize: 0 bytes/workgroup (compile time only)
; SGPRBlocks: 0
; VGPRBlocks: 0
; NumSGPRsForWavesPerEU: 4
; NumVGPRsForWavesPerEU: 1
; AccumOffset: 4
; Occupancy: 8
; WaveLimiterHint : 0
; COMPUTE_PGM_RSRC2:SCRATCH_EN: 0
; COMPUTE_PGM_RSRC2:USER_SGPR: 6
; COMPUTE_PGM_RSRC2:TRAP_HANDLER: 0
; COMPUTE_PGM_RSRC2:TGID_X_EN: 1
; COMPUTE_PGM_RSRC2:TGID_Y_EN: 0
; COMPUTE_PGM_RSRC2:TGID_Z_EN: 0
; COMPUTE_PGM_RSRC2:TIDIG_COMP_CNT: 0
; COMPUTE_PGM_RSRC3_GFX90A:ACCUM_OFFSET: 0
; COMPUTE_PGM_RSRC3_GFX90A:TG_SPLIT: 0
	.section	.text._ZN7rocprim17ROCPRIM_400000_NS6detail17trampoline_kernelINS0_14default_configENS1_27scan_by_key_config_selectorIxxEEZZNS1_16scan_by_key_implILNS1_25lookback_scan_determinismE0ELb1ES3_N6thrust23THRUST_200600_302600_NS6detail15normal_iteratorINS9_10device_ptrIxEEEESE_SE_xNS9_4plusIvEENS9_8equal_toIxEExEE10hipError_tPvRmT2_T3_T4_T5_mT6_T7_P12ihipStream_tbENKUlT_T0_E_clISt17integral_constantIbLb1EESZ_EEDaSU_SV_EUlSU_E_NS1_11comp_targetILNS1_3genE2ELNS1_11target_archE906ELNS1_3gpuE6ELNS1_3repE0EEENS1_30default_config_static_selectorELNS0_4arch9wavefront6targetE1EEEvT1_,"axG",@progbits,_ZN7rocprim17ROCPRIM_400000_NS6detail17trampoline_kernelINS0_14default_configENS1_27scan_by_key_config_selectorIxxEEZZNS1_16scan_by_key_implILNS1_25lookback_scan_determinismE0ELb1ES3_N6thrust23THRUST_200600_302600_NS6detail15normal_iteratorINS9_10device_ptrIxEEEESE_SE_xNS9_4plusIvEENS9_8equal_toIxEExEE10hipError_tPvRmT2_T3_T4_T5_mT6_T7_P12ihipStream_tbENKUlT_T0_E_clISt17integral_constantIbLb1EESZ_EEDaSU_SV_EUlSU_E_NS1_11comp_targetILNS1_3genE2ELNS1_11target_archE906ELNS1_3gpuE6ELNS1_3repE0EEENS1_30default_config_static_selectorELNS0_4arch9wavefront6targetE1EEEvT1_,comdat
	.protected	_ZN7rocprim17ROCPRIM_400000_NS6detail17trampoline_kernelINS0_14default_configENS1_27scan_by_key_config_selectorIxxEEZZNS1_16scan_by_key_implILNS1_25lookback_scan_determinismE0ELb1ES3_N6thrust23THRUST_200600_302600_NS6detail15normal_iteratorINS9_10device_ptrIxEEEESE_SE_xNS9_4plusIvEENS9_8equal_toIxEExEE10hipError_tPvRmT2_T3_T4_T5_mT6_T7_P12ihipStream_tbENKUlT_T0_E_clISt17integral_constantIbLb1EESZ_EEDaSU_SV_EUlSU_E_NS1_11comp_targetILNS1_3genE2ELNS1_11target_archE906ELNS1_3gpuE6ELNS1_3repE0EEENS1_30default_config_static_selectorELNS0_4arch9wavefront6targetE1EEEvT1_ ; -- Begin function _ZN7rocprim17ROCPRIM_400000_NS6detail17trampoline_kernelINS0_14default_configENS1_27scan_by_key_config_selectorIxxEEZZNS1_16scan_by_key_implILNS1_25lookback_scan_determinismE0ELb1ES3_N6thrust23THRUST_200600_302600_NS6detail15normal_iteratorINS9_10device_ptrIxEEEESE_SE_xNS9_4plusIvEENS9_8equal_toIxEExEE10hipError_tPvRmT2_T3_T4_T5_mT6_T7_P12ihipStream_tbENKUlT_T0_E_clISt17integral_constantIbLb1EESZ_EEDaSU_SV_EUlSU_E_NS1_11comp_targetILNS1_3genE2ELNS1_11target_archE906ELNS1_3gpuE6ELNS1_3repE0EEENS1_30default_config_static_selectorELNS0_4arch9wavefront6targetE1EEEvT1_
	.globl	_ZN7rocprim17ROCPRIM_400000_NS6detail17trampoline_kernelINS0_14default_configENS1_27scan_by_key_config_selectorIxxEEZZNS1_16scan_by_key_implILNS1_25lookback_scan_determinismE0ELb1ES3_N6thrust23THRUST_200600_302600_NS6detail15normal_iteratorINS9_10device_ptrIxEEEESE_SE_xNS9_4plusIvEENS9_8equal_toIxEExEE10hipError_tPvRmT2_T3_T4_T5_mT6_T7_P12ihipStream_tbENKUlT_T0_E_clISt17integral_constantIbLb1EESZ_EEDaSU_SV_EUlSU_E_NS1_11comp_targetILNS1_3genE2ELNS1_11target_archE906ELNS1_3gpuE6ELNS1_3repE0EEENS1_30default_config_static_selectorELNS0_4arch9wavefront6targetE1EEEvT1_
	.p2align	8
	.type	_ZN7rocprim17ROCPRIM_400000_NS6detail17trampoline_kernelINS0_14default_configENS1_27scan_by_key_config_selectorIxxEEZZNS1_16scan_by_key_implILNS1_25lookback_scan_determinismE0ELb1ES3_N6thrust23THRUST_200600_302600_NS6detail15normal_iteratorINS9_10device_ptrIxEEEESE_SE_xNS9_4plusIvEENS9_8equal_toIxEExEE10hipError_tPvRmT2_T3_T4_T5_mT6_T7_P12ihipStream_tbENKUlT_T0_E_clISt17integral_constantIbLb1EESZ_EEDaSU_SV_EUlSU_E_NS1_11comp_targetILNS1_3genE2ELNS1_11target_archE906ELNS1_3gpuE6ELNS1_3repE0EEENS1_30default_config_static_selectorELNS0_4arch9wavefront6targetE1EEEvT1_,@function
_ZN7rocprim17ROCPRIM_400000_NS6detail17trampoline_kernelINS0_14default_configENS1_27scan_by_key_config_selectorIxxEEZZNS1_16scan_by_key_implILNS1_25lookback_scan_determinismE0ELb1ES3_N6thrust23THRUST_200600_302600_NS6detail15normal_iteratorINS9_10device_ptrIxEEEESE_SE_xNS9_4plusIvEENS9_8equal_toIxEExEE10hipError_tPvRmT2_T3_T4_T5_mT6_T7_P12ihipStream_tbENKUlT_T0_E_clISt17integral_constantIbLb1EESZ_EEDaSU_SV_EUlSU_E_NS1_11comp_targetILNS1_3genE2ELNS1_11target_archE906ELNS1_3gpuE6ELNS1_3repE0EEENS1_30default_config_static_selectorELNS0_4arch9wavefront6targetE1EEEvT1_: ; @_ZN7rocprim17ROCPRIM_400000_NS6detail17trampoline_kernelINS0_14default_configENS1_27scan_by_key_config_selectorIxxEEZZNS1_16scan_by_key_implILNS1_25lookback_scan_determinismE0ELb1ES3_N6thrust23THRUST_200600_302600_NS6detail15normal_iteratorINS9_10device_ptrIxEEEESE_SE_xNS9_4plusIvEENS9_8equal_toIxEExEE10hipError_tPvRmT2_T3_T4_T5_mT6_T7_P12ihipStream_tbENKUlT_T0_E_clISt17integral_constantIbLb1EESZ_EEDaSU_SV_EUlSU_E_NS1_11comp_targetILNS1_3genE2ELNS1_11target_archE906ELNS1_3gpuE6ELNS1_3repE0EEENS1_30default_config_static_selectorELNS0_4arch9wavefront6targetE1EEEvT1_
; %bb.0:
	.section	.rodata,"a",@progbits
	.p2align	6, 0x0
	.amdhsa_kernel _ZN7rocprim17ROCPRIM_400000_NS6detail17trampoline_kernelINS0_14default_configENS1_27scan_by_key_config_selectorIxxEEZZNS1_16scan_by_key_implILNS1_25lookback_scan_determinismE0ELb1ES3_N6thrust23THRUST_200600_302600_NS6detail15normal_iteratorINS9_10device_ptrIxEEEESE_SE_xNS9_4plusIvEENS9_8equal_toIxEExEE10hipError_tPvRmT2_T3_T4_T5_mT6_T7_P12ihipStream_tbENKUlT_T0_E_clISt17integral_constantIbLb1EESZ_EEDaSU_SV_EUlSU_E_NS1_11comp_targetILNS1_3genE2ELNS1_11target_archE906ELNS1_3gpuE6ELNS1_3repE0EEENS1_30default_config_static_selectorELNS0_4arch9wavefront6targetE1EEEvT1_
		.amdhsa_group_segment_fixed_size 0
		.amdhsa_private_segment_fixed_size 0
		.amdhsa_kernarg_size 136
		.amdhsa_user_sgpr_count 6
		.amdhsa_user_sgpr_private_segment_buffer 1
		.amdhsa_user_sgpr_dispatch_ptr 0
		.amdhsa_user_sgpr_queue_ptr 0
		.amdhsa_user_sgpr_kernarg_segment_ptr 1
		.amdhsa_user_sgpr_dispatch_id 0
		.amdhsa_user_sgpr_flat_scratch_init 0
		.amdhsa_user_sgpr_kernarg_preload_length 0
		.amdhsa_user_sgpr_kernarg_preload_offset 0
		.amdhsa_user_sgpr_private_segment_size 0
		.amdhsa_uses_dynamic_stack 0
		.amdhsa_system_sgpr_private_segment_wavefront_offset 0
		.amdhsa_system_sgpr_workgroup_id_x 1
		.amdhsa_system_sgpr_workgroup_id_y 0
		.amdhsa_system_sgpr_workgroup_id_z 0
		.amdhsa_system_sgpr_workgroup_info 0
		.amdhsa_system_vgpr_workitem_id 0
		.amdhsa_next_free_vgpr 1
		.amdhsa_next_free_sgpr 0
		.amdhsa_accum_offset 4
		.amdhsa_reserve_vcc 0
		.amdhsa_reserve_flat_scratch 0
		.amdhsa_float_round_mode_32 0
		.amdhsa_float_round_mode_16_64 0
		.amdhsa_float_denorm_mode_32 3
		.amdhsa_float_denorm_mode_16_64 3
		.amdhsa_dx10_clamp 1
		.amdhsa_ieee_mode 1
		.amdhsa_fp16_overflow 0
		.amdhsa_tg_split 0
		.amdhsa_exception_fp_ieee_invalid_op 0
		.amdhsa_exception_fp_denorm_src 0
		.amdhsa_exception_fp_ieee_div_zero 0
		.amdhsa_exception_fp_ieee_overflow 0
		.amdhsa_exception_fp_ieee_underflow 0
		.amdhsa_exception_fp_ieee_inexact 0
		.amdhsa_exception_int_div_zero 0
	.end_amdhsa_kernel
	.section	.text._ZN7rocprim17ROCPRIM_400000_NS6detail17trampoline_kernelINS0_14default_configENS1_27scan_by_key_config_selectorIxxEEZZNS1_16scan_by_key_implILNS1_25lookback_scan_determinismE0ELb1ES3_N6thrust23THRUST_200600_302600_NS6detail15normal_iteratorINS9_10device_ptrIxEEEESE_SE_xNS9_4plusIvEENS9_8equal_toIxEExEE10hipError_tPvRmT2_T3_T4_T5_mT6_T7_P12ihipStream_tbENKUlT_T0_E_clISt17integral_constantIbLb1EESZ_EEDaSU_SV_EUlSU_E_NS1_11comp_targetILNS1_3genE2ELNS1_11target_archE906ELNS1_3gpuE6ELNS1_3repE0EEENS1_30default_config_static_selectorELNS0_4arch9wavefront6targetE1EEEvT1_,"axG",@progbits,_ZN7rocprim17ROCPRIM_400000_NS6detail17trampoline_kernelINS0_14default_configENS1_27scan_by_key_config_selectorIxxEEZZNS1_16scan_by_key_implILNS1_25lookback_scan_determinismE0ELb1ES3_N6thrust23THRUST_200600_302600_NS6detail15normal_iteratorINS9_10device_ptrIxEEEESE_SE_xNS9_4plusIvEENS9_8equal_toIxEExEE10hipError_tPvRmT2_T3_T4_T5_mT6_T7_P12ihipStream_tbENKUlT_T0_E_clISt17integral_constantIbLb1EESZ_EEDaSU_SV_EUlSU_E_NS1_11comp_targetILNS1_3genE2ELNS1_11target_archE906ELNS1_3gpuE6ELNS1_3repE0EEENS1_30default_config_static_selectorELNS0_4arch9wavefront6targetE1EEEvT1_,comdat
.Lfunc_end439:
	.size	_ZN7rocprim17ROCPRIM_400000_NS6detail17trampoline_kernelINS0_14default_configENS1_27scan_by_key_config_selectorIxxEEZZNS1_16scan_by_key_implILNS1_25lookback_scan_determinismE0ELb1ES3_N6thrust23THRUST_200600_302600_NS6detail15normal_iteratorINS9_10device_ptrIxEEEESE_SE_xNS9_4plusIvEENS9_8equal_toIxEExEE10hipError_tPvRmT2_T3_T4_T5_mT6_T7_P12ihipStream_tbENKUlT_T0_E_clISt17integral_constantIbLb1EESZ_EEDaSU_SV_EUlSU_E_NS1_11comp_targetILNS1_3genE2ELNS1_11target_archE906ELNS1_3gpuE6ELNS1_3repE0EEENS1_30default_config_static_selectorELNS0_4arch9wavefront6targetE1EEEvT1_, .Lfunc_end439-_ZN7rocprim17ROCPRIM_400000_NS6detail17trampoline_kernelINS0_14default_configENS1_27scan_by_key_config_selectorIxxEEZZNS1_16scan_by_key_implILNS1_25lookback_scan_determinismE0ELb1ES3_N6thrust23THRUST_200600_302600_NS6detail15normal_iteratorINS9_10device_ptrIxEEEESE_SE_xNS9_4plusIvEENS9_8equal_toIxEExEE10hipError_tPvRmT2_T3_T4_T5_mT6_T7_P12ihipStream_tbENKUlT_T0_E_clISt17integral_constantIbLb1EESZ_EEDaSU_SV_EUlSU_E_NS1_11comp_targetILNS1_3genE2ELNS1_11target_archE906ELNS1_3gpuE6ELNS1_3repE0EEENS1_30default_config_static_selectorELNS0_4arch9wavefront6targetE1EEEvT1_
                                        ; -- End function
	.section	.AMDGPU.csdata,"",@progbits
; Kernel info:
; codeLenInByte = 0
; NumSgprs: 4
; NumVgprs: 0
; NumAgprs: 0
; TotalNumVgprs: 0
; ScratchSize: 0
; MemoryBound: 0
; FloatMode: 240
; IeeeMode: 1
; LDSByteSize: 0 bytes/workgroup (compile time only)
; SGPRBlocks: 0
; VGPRBlocks: 0
; NumSGPRsForWavesPerEU: 4
; NumVGPRsForWavesPerEU: 1
; AccumOffset: 4
; Occupancy: 8
; WaveLimiterHint : 0
; COMPUTE_PGM_RSRC2:SCRATCH_EN: 0
; COMPUTE_PGM_RSRC2:USER_SGPR: 6
; COMPUTE_PGM_RSRC2:TRAP_HANDLER: 0
; COMPUTE_PGM_RSRC2:TGID_X_EN: 1
; COMPUTE_PGM_RSRC2:TGID_Y_EN: 0
; COMPUTE_PGM_RSRC2:TGID_Z_EN: 0
; COMPUTE_PGM_RSRC2:TIDIG_COMP_CNT: 0
; COMPUTE_PGM_RSRC3_GFX90A:ACCUM_OFFSET: 0
; COMPUTE_PGM_RSRC3_GFX90A:TG_SPLIT: 0
	.section	.text._ZN7rocprim17ROCPRIM_400000_NS6detail17trampoline_kernelINS0_14default_configENS1_27scan_by_key_config_selectorIxxEEZZNS1_16scan_by_key_implILNS1_25lookback_scan_determinismE0ELb1ES3_N6thrust23THRUST_200600_302600_NS6detail15normal_iteratorINS9_10device_ptrIxEEEESE_SE_xNS9_4plusIvEENS9_8equal_toIxEExEE10hipError_tPvRmT2_T3_T4_T5_mT6_T7_P12ihipStream_tbENKUlT_T0_E_clISt17integral_constantIbLb1EESZ_EEDaSU_SV_EUlSU_E_NS1_11comp_targetILNS1_3genE10ELNS1_11target_archE1200ELNS1_3gpuE4ELNS1_3repE0EEENS1_30default_config_static_selectorELNS0_4arch9wavefront6targetE1EEEvT1_,"axG",@progbits,_ZN7rocprim17ROCPRIM_400000_NS6detail17trampoline_kernelINS0_14default_configENS1_27scan_by_key_config_selectorIxxEEZZNS1_16scan_by_key_implILNS1_25lookback_scan_determinismE0ELb1ES3_N6thrust23THRUST_200600_302600_NS6detail15normal_iteratorINS9_10device_ptrIxEEEESE_SE_xNS9_4plusIvEENS9_8equal_toIxEExEE10hipError_tPvRmT2_T3_T4_T5_mT6_T7_P12ihipStream_tbENKUlT_T0_E_clISt17integral_constantIbLb1EESZ_EEDaSU_SV_EUlSU_E_NS1_11comp_targetILNS1_3genE10ELNS1_11target_archE1200ELNS1_3gpuE4ELNS1_3repE0EEENS1_30default_config_static_selectorELNS0_4arch9wavefront6targetE1EEEvT1_,comdat
	.protected	_ZN7rocprim17ROCPRIM_400000_NS6detail17trampoline_kernelINS0_14default_configENS1_27scan_by_key_config_selectorIxxEEZZNS1_16scan_by_key_implILNS1_25lookback_scan_determinismE0ELb1ES3_N6thrust23THRUST_200600_302600_NS6detail15normal_iteratorINS9_10device_ptrIxEEEESE_SE_xNS9_4plusIvEENS9_8equal_toIxEExEE10hipError_tPvRmT2_T3_T4_T5_mT6_T7_P12ihipStream_tbENKUlT_T0_E_clISt17integral_constantIbLb1EESZ_EEDaSU_SV_EUlSU_E_NS1_11comp_targetILNS1_3genE10ELNS1_11target_archE1200ELNS1_3gpuE4ELNS1_3repE0EEENS1_30default_config_static_selectorELNS0_4arch9wavefront6targetE1EEEvT1_ ; -- Begin function _ZN7rocprim17ROCPRIM_400000_NS6detail17trampoline_kernelINS0_14default_configENS1_27scan_by_key_config_selectorIxxEEZZNS1_16scan_by_key_implILNS1_25lookback_scan_determinismE0ELb1ES3_N6thrust23THRUST_200600_302600_NS6detail15normal_iteratorINS9_10device_ptrIxEEEESE_SE_xNS9_4plusIvEENS9_8equal_toIxEExEE10hipError_tPvRmT2_T3_T4_T5_mT6_T7_P12ihipStream_tbENKUlT_T0_E_clISt17integral_constantIbLb1EESZ_EEDaSU_SV_EUlSU_E_NS1_11comp_targetILNS1_3genE10ELNS1_11target_archE1200ELNS1_3gpuE4ELNS1_3repE0EEENS1_30default_config_static_selectorELNS0_4arch9wavefront6targetE1EEEvT1_
	.globl	_ZN7rocprim17ROCPRIM_400000_NS6detail17trampoline_kernelINS0_14default_configENS1_27scan_by_key_config_selectorIxxEEZZNS1_16scan_by_key_implILNS1_25lookback_scan_determinismE0ELb1ES3_N6thrust23THRUST_200600_302600_NS6detail15normal_iteratorINS9_10device_ptrIxEEEESE_SE_xNS9_4plusIvEENS9_8equal_toIxEExEE10hipError_tPvRmT2_T3_T4_T5_mT6_T7_P12ihipStream_tbENKUlT_T0_E_clISt17integral_constantIbLb1EESZ_EEDaSU_SV_EUlSU_E_NS1_11comp_targetILNS1_3genE10ELNS1_11target_archE1200ELNS1_3gpuE4ELNS1_3repE0EEENS1_30default_config_static_selectorELNS0_4arch9wavefront6targetE1EEEvT1_
	.p2align	8
	.type	_ZN7rocprim17ROCPRIM_400000_NS6detail17trampoline_kernelINS0_14default_configENS1_27scan_by_key_config_selectorIxxEEZZNS1_16scan_by_key_implILNS1_25lookback_scan_determinismE0ELb1ES3_N6thrust23THRUST_200600_302600_NS6detail15normal_iteratorINS9_10device_ptrIxEEEESE_SE_xNS9_4plusIvEENS9_8equal_toIxEExEE10hipError_tPvRmT2_T3_T4_T5_mT6_T7_P12ihipStream_tbENKUlT_T0_E_clISt17integral_constantIbLb1EESZ_EEDaSU_SV_EUlSU_E_NS1_11comp_targetILNS1_3genE10ELNS1_11target_archE1200ELNS1_3gpuE4ELNS1_3repE0EEENS1_30default_config_static_selectorELNS0_4arch9wavefront6targetE1EEEvT1_,@function
_ZN7rocprim17ROCPRIM_400000_NS6detail17trampoline_kernelINS0_14default_configENS1_27scan_by_key_config_selectorIxxEEZZNS1_16scan_by_key_implILNS1_25lookback_scan_determinismE0ELb1ES3_N6thrust23THRUST_200600_302600_NS6detail15normal_iteratorINS9_10device_ptrIxEEEESE_SE_xNS9_4plusIvEENS9_8equal_toIxEExEE10hipError_tPvRmT2_T3_T4_T5_mT6_T7_P12ihipStream_tbENKUlT_T0_E_clISt17integral_constantIbLb1EESZ_EEDaSU_SV_EUlSU_E_NS1_11comp_targetILNS1_3genE10ELNS1_11target_archE1200ELNS1_3gpuE4ELNS1_3repE0EEENS1_30default_config_static_selectorELNS0_4arch9wavefront6targetE1EEEvT1_: ; @_ZN7rocprim17ROCPRIM_400000_NS6detail17trampoline_kernelINS0_14default_configENS1_27scan_by_key_config_selectorIxxEEZZNS1_16scan_by_key_implILNS1_25lookback_scan_determinismE0ELb1ES3_N6thrust23THRUST_200600_302600_NS6detail15normal_iteratorINS9_10device_ptrIxEEEESE_SE_xNS9_4plusIvEENS9_8equal_toIxEExEE10hipError_tPvRmT2_T3_T4_T5_mT6_T7_P12ihipStream_tbENKUlT_T0_E_clISt17integral_constantIbLb1EESZ_EEDaSU_SV_EUlSU_E_NS1_11comp_targetILNS1_3genE10ELNS1_11target_archE1200ELNS1_3gpuE4ELNS1_3repE0EEENS1_30default_config_static_selectorELNS0_4arch9wavefront6targetE1EEEvT1_
; %bb.0:
	.section	.rodata,"a",@progbits
	.p2align	6, 0x0
	.amdhsa_kernel _ZN7rocprim17ROCPRIM_400000_NS6detail17trampoline_kernelINS0_14default_configENS1_27scan_by_key_config_selectorIxxEEZZNS1_16scan_by_key_implILNS1_25lookback_scan_determinismE0ELb1ES3_N6thrust23THRUST_200600_302600_NS6detail15normal_iteratorINS9_10device_ptrIxEEEESE_SE_xNS9_4plusIvEENS9_8equal_toIxEExEE10hipError_tPvRmT2_T3_T4_T5_mT6_T7_P12ihipStream_tbENKUlT_T0_E_clISt17integral_constantIbLb1EESZ_EEDaSU_SV_EUlSU_E_NS1_11comp_targetILNS1_3genE10ELNS1_11target_archE1200ELNS1_3gpuE4ELNS1_3repE0EEENS1_30default_config_static_selectorELNS0_4arch9wavefront6targetE1EEEvT1_
		.amdhsa_group_segment_fixed_size 0
		.amdhsa_private_segment_fixed_size 0
		.amdhsa_kernarg_size 136
		.amdhsa_user_sgpr_count 6
		.amdhsa_user_sgpr_private_segment_buffer 1
		.amdhsa_user_sgpr_dispatch_ptr 0
		.amdhsa_user_sgpr_queue_ptr 0
		.amdhsa_user_sgpr_kernarg_segment_ptr 1
		.amdhsa_user_sgpr_dispatch_id 0
		.amdhsa_user_sgpr_flat_scratch_init 0
		.amdhsa_user_sgpr_kernarg_preload_length 0
		.amdhsa_user_sgpr_kernarg_preload_offset 0
		.amdhsa_user_sgpr_private_segment_size 0
		.amdhsa_uses_dynamic_stack 0
		.amdhsa_system_sgpr_private_segment_wavefront_offset 0
		.amdhsa_system_sgpr_workgroup_id_x 1
		.amdhsa_system_sgpr_workgroup_id_y 0
		.amdhsa_system_sgpr_workgroup_id_z 0
		.amdhsa_system_sgpr_workgroup_info 0
		.amdhsa_system_vgpr_workitem_id 0
		.amdhsa_next_free_vgpr 1
		.amdhsa_next_free_sgpr 0
		.amdhsa_accum_offset 4
		.amdhsa_reserve_vcc 0
		.amdhsa_reserve_flat_scratch 0
		.amdhsa_float_round_mode_32 0
		.amdhsa_float_round_mode_16_64 0
		.amdhsa_float_denorm_mode_32 3
		.amdhsa_float_denorm_mode_16_64 3
		.amdhsa_dx10_clamp 1
		.amdhsa_ieee_mode 1
		.amdhsa_fp16_overflow 0
		.amdhsa_tg_split 0
		.amdhsa_exception_fp_ieee_invalid_op 0
		.amdhsa_exception_fp_denorm_src 0
		.amdhsa_exception_fp_ieee_div_zero 0
		.amdhsa_exception_fp_ieee_overflow 0
		.amdhsa_exception_fp_ieee_underflow 0
		.amdhsa_exception_fp_ieee_inexact 0
		.amdhsa_exception_int_div_zero 0
	.end_amdhsa_kernel
	.section	.text._ZN7rocprim17ROCPRIM_400000_NS6detail17trampoline_kernelINS0_14default_configENS1_27scan_by_key_config_selectorIxxEEZZNS1_16scan_by_key_implILNS1_25lookback_scan_determinismE0ELb1ES3_N6thrust23THRUST_200600_302600_NS6detail15normal_iteratorINS9_10device_ptrIxEEEESE_SE_xNS9_4plusIvEENS9_8equal_toIxEExEE10hipError_tPvRmT2_T3_T4_T5_mT6_T7_P12ihipStream_tbENKUlT_T0_E_clISt17integral_constantIbLb1EESZ_EEDaSU_SV_EUlSU_E_NS1_11comp_targetILNS1_3genE10ELNS1_11target_archE1200ELNS1_3gpuE4ELNS1_3repE0EEENS1_30default_config_static_selectorELNS0_4arch9wavefront6targetE1EEEvT1_,"axG",@progbits,_ZN7rocprim17ROCPRIM_400000_NS6detail17trampoline_kernelINS0_14default_configENS1_27scan_by_key_config_selectorIxxEEZZNS1_16scan_by_key_implILNS1_25lookback_scan_determinismE0ELb1ES3_N6thrust23THRUST_200600_302600_NS6detail15normal_iteratorINS9_10device_ptrIxEEEESE_SE_xNS9_4plusIvEENS9_8equal_toIxEExEE10hipError_tPvRmT2_T3_T4_T5_mT6_T7_P12ihipStream_tbENKUlT_T0_E_clISt17integral_constantIbLb1EESZ_EEDaSU_SV_EUlSU_E_NS1_11comp_targetILNS1_3genE10ELNS1_11target_archE1200ELNS1_3gpuE4ELNS1_3repE0EEENS1_30default_config_static_selectorELNS0_4arch9wavefront6targetE1EEEvT1_,comdat
.Lfunc_end440:
	.size	_ZN7rocprim17ROCPRIM_400000_NS6detail17trampoline_kernelINS0_14default_configENS1_27scan_by_key_config_selectorIxxEEZZNS1_16scan_by_key_implILNS1_25lookback_scan_determinismE0ELb1ES3_N6thrust23THRUST_200600_302600_NS6detail15normal_iteratorINS9_10device_ptrIxEEEESE_SE_xNS9_4plusIvEENS9_8equal_toIxEExEE10hipError_tPvRmT2_T3_T4_T5_mT6_T7_P12ihipStream_tbENKUlT_T0_E_clISt17integral_constantIbLb1EESZ_EEDaSU_SV_EUlSU_E_NS1_11comp_targetILNS1_3genE10ELNS1_11target_archE1200ELNS1_3gpuE4ELNS1_3repE0EEENS1_30default_config_static_selectorELNS0_4arch9wavefront6targetE1EEEvT1_, .Lfunc_end440-_ZN7rocprim17ROCPRIM_400000_NS6detail17trampoline_kernelINS0_14default_configENS1_27scan_by_key_config_selectorIxxEEZZNS1_16scan_by_key_implILNS1_25lookback_scan_determinismE0ELb1ES3_N6thrust23THRUST_200600_302600_NS6detail15normal_iteratorINS9_10device_ptrIxEEEESE_SE_xNS9_4plusIvEENS9_8equal_toIxEExEE10hipError_tPvRmT2_T3_T4_T5_mT6_T7_P12ihipStream_tbENKUlT_T0_E_clISt17integral_constantIbLb1EESZ_EEDaSU_SV_EUlSU_E_NS1_11comp_targetILNS1_3genE10ELNS1_11target_archE1200ELNS1_3gpuE4ELNS1_3repE0EEENS1_30default_config_static_selectorELNS0_4arch9wavefront6targetE1EEEvT1_
                                        ; -- End function
	.section	.AMDGPU.csdata,"",@progbits
; Kernel info:
; codeLenInByte = 0
; NumSgprs: 4
; NumVgprs: 0
; NumAgprs: 0
; TotalNumVgprs: 0
; ScratchSize: 0
; MemoryBound: 0
; FloatMode: 240
; IeeeMode: 1
; LDSByteSize: 0 bytes/workgroup (compile time only)
; SGPRBlocks: 0
; VGPRBlocks: 0
; NumSGPRsForWavesPerEU: 4
; NumVGPRsForWavesPerEU: 1
; AccumOffset: 4
; Occupancy: 8
; WaveLimiterHint : 0
; COMPUTE_PGM_RSRC2:SCRATCH_EN: 0
; COMPUTE_PGM_RSRC2:USER_SGPR: 6
; COMPUTE_PGM_RSRC2:TRAP_HANDLER: 0
; COMPUTE_PGM_RSRC2:TGID_X_EN: 1
; COMPUTE_PGM_RSRC2:TGID_Y_EN: 0
; COMPUTE_PGM_RSRC2:TGID_Z_EN: 0
; COMPUTE_PGM_RSRC2:TIDIG_COMP_CNT: 0
; COMPUTE_PGM_RSRC3_GFX90A:ACCUM_OFFSET: 0
; COMPUTE_PGM_RSRC3_GFX90A:TG_SPLIT: 0
	.section	.text._ZN7rocprim17ROCPRIM_400000_NS6detail17trampoline_kernelINS0_14default_configENS1_27scan_by_key_config_selectorIxxEEZZNS1_16scan_by_key_implILNS1_25lookback_scan_determinismE0ELb1ES3_N6thrust23THRUST_200600_302600_NS6detail15normal_iteratorINS9_10device_ptrIxEEEESE_SE_xNS9_4plusIvEENS9_8equal_toIxEExEE10hipError_tPvRmT2_T3_T4_T5_mT6_T7_P12ihipStream_tbENKUlT_T0_E_clISt17integral_constantIbLb1EESZ_EEDaSU_SV_EUlSU_E_NS1_11comp_targetILNS1_3genE9ELNS1_11target_archE1100ELNS1_3gpuE3ELNS1_3repE0EEENS1_30default_config_static_selectorELNS0_4arch9wavefront6targetE1EEEvT1_,"axG",@progbits,_ZN7rocprim17ROCPRIM_400000_NS6detail17trampoline_kernelINS0_14default_configENS1_27scan_by_key_config_selectorIxxEEZZNS1_16scan_by_key_implILNS1_25lookback_scan_determinismE0ELb1ES3_N6thrust23THRUST_200600_302600_NS6detail15normal_iteratorINS9_10device_ptrIxEEEESE_SE_xNS9_4plusIvEENS9_8equal_toIxEExEE10hipError_tPvRmT2_T3_T4_T5_mT6_T7_P12ihipStream_tbENKUlT_T0_E_clISt17integral_constantIbLb1EESZ_EEDaSU_SV_EUlSU_E_NS1_11comp_targetILNS1_3genE9ELNS1_11target_archE1100ELNS1_3gpuE3ELNS1_3repE0EEENS1_30default_config_static_selectorELNS0_4arch9wavefront6targetE1EEEvT1_,comdat
	.protected	_ZN7rocprim17ROCPRIM_400000_NS6detail17trampoline_kernelINS0_14default_configENS1_27scan_by_key_config_selectorIxxEEZZNS1_16scan_by_key_implILNS1_25lookback_scan_determinismE0ELb1ES3_N6thrust23THRUST_200600_302600_NS6detail15normal_iteratorINS9_10device_ptrIxEEEESE_SE_xNS9_4plusIvEENS9_8equal_toIxEExEE10hipError_tPvRmT2_T3_T4_T5_mT6_T7_P12ihipStream_tbENKUlT_T0_E_clISt17integral_constantIbLb1EESZ_EEDaSU_SV_EUlSU_E_NS1_11comp_targetILNS1_3genE9ELNS1_11target_archE1100ELNS1_3gpuE3ELNS1_3repE0EEENS1_30default_config_static_selectorELNS0_4arch9wavefront6targetE1EEEvT1_ ; -- Begin function _ZN7rocprim17ROCPRIM_400000_NS6detail17trampoline_kernelINS0_14default_configENS1_27scan_by_key_config_selectorIxxEEZZNS1_16scan_by_key_implILNS1_25lookback_scan_determinismE0ELb1ES3_N6thrust23THRUST_200600_302600_NS6detail15normal_iteratorINS9_10device_ptrIxEEEESE_SE_xNS9_4plusIvEENS9_8equal_toIxEExEE10hipError_tPvRmT2_T3_T4_T5_mT6_T7_P12ihipStream_tbENKUlT_T0_E_clISt17integral_constantIbLb1EESZ_EEDaSU_SV_EUlSU_E_NS1_11comp_targetILNS1_3genE9ELNS1_11target_archE1100ELNS1_3gpuE3ELNS1_3repE0EEENS1_30default_config_static_selectorELNS0_4arch9wavefront6targetE1EEEvT1_
	.globl	_ZN7rocprim17ROCPRIM_400000_NS6detail17trampoline_kernelINS0_14default_configENS1_27scan_by_key_config_selectorIxxEEZZNS1_16scan_by_key_implILNS1_25lookback_scan_determinismE0ELb1ES3_N6thrust23THRUST_200600_302600_NS6detail15normal_iteratorINS9_10device_ptrIxEEEESE_SE_xNS9_4plusIvEENS9_8equal_toIxEExEE10hipError_tPvRmT2_T3_T4_T5_mT6_T7_P12ihipStream_tbENKUlT_T0_E_clISt17integral_constantIbLb1EESZ_EEDaSU_SV_EUlSU_E_NS1_11comp_targetILNS1_3genE9ELNS1_11target_archE1100ELNS1_3gpuE3ELNS1_3repE0EEENS1_30default_config_static_selectorELNS0_4arch9wavefront6targetE1EEEvT1_
	.p2align	8
	.type	_ZN7rocprim17ROCPRIM_400000_NS6detail17trampoline_kernelINS0_14default_configENS1_27scan_by_key_config_selectorIxxEEZZNS1_16scan_by_key_implILNS1_25lookback_scan_determinismE0ELb1ES3_N6thrust23THRUST_200600_302600_NS6detail15normal_iteratorINS9_10device_ptrIxEEEESE_SE_xNS9_4plusIvEENS9_8equal_toIxEExEE10hipError_tPvRmT2_T3_T4_T5_mT6_T7_P12ihipStream_tbENKUlT_T0_E_clISt17integral_constantIbLb1EESZ_EEDaSU_SV_EUlSU_E_NS1_11comp_targetILNS1_3genE9ELNS1_11target_archE1100ELNS1_3gpuE3ELNS1_3repE0EEENS1_30default_config_static_selectorELNS0_4arch9wavefront6targetE1EEEvT1_,@function
_ZN7rocprim17ROCPRIM_400000_NS6detail17trampoline_kernelINS0_14default_configENS1_27scan_by_key_config_selectorIxxEEZZNS1_16scan_by_key_implILNS1_25lookback_scan_determinismE0ELb1ES3_N6thrust23THRUST_200600_302600_NS6detail15normal_iteratorINS9_10device_ptrIxEEEESE_SE_xNS9_4plusIvEENS9_8equal_toIxEExEE10hipError_tPvRmT2_T3_T4_T5_mT6_T7_P12ihipStream_tbENKUlT_T0_E_clISt17integral_constantIbLb1EESZ_EEDaSU_SV_EUlSU_E_NS1_11comp_targetILNS1_3genE9ELNS1_11target_archE1100ELNS1_3gpuE3ELNS1_3repE0EEENS1_30default_config_static_selectorELNS0_4arch9wavefront6targetE1EEEvT1_: ; @_ZN7rocprim17ROCPRIM_400000_NS6detail17trampoline_kernelINS0_14default_configENS1_27scan_by_key_config_selectorIxxEEZZNS1_16scan_by_key_implILNS1_25lookback_scan_determinismE0ELb1ES3_N6thrust23THRUST_200600_302600_NS6detail15normal_iteratorINS9_10device_ptrIxEEEESE_SE_xNS9_4plusIvEENS9_8equal_toIxEExEE10hipError_tPvRmT2_T3_T4_T5_mT6_T7_P12ihipStream_tbENKUlT_T0_E_clISt17integral_constantIbLb1EESZ_EEDaSU_SV_EUlSU_E_NS1_11comp_targetILNS1_3genE9ELNS1_11target_archE1100ELNS1_3gpuE3ELNS1_3repE0EEENS1_30default_config_static_selectorELNS0_4arch9wavefront6targetE1EEEvT1_
; %bb.0:
	.section	.rodata,"a",@progbits
	.p2align	6, 0x0
	.amdhsa_kernel _ZN7rocprim17ROCPRIM_400000_NS6detail17trampoline_kernelINS0_14default_configENS1_27scan_by_key_config_selectorIxxEEZZNS1_16scan_by_key_implILNS1_25lookback_scan_determinismE0ELb1ES3_N6thrust23THRUST_200600_302600_NS6detail15normal_iteratorINS9_10device_ptrIxEEEESE_SE_xNS9_4plusIvEENS9_8equal_toIxEExEE10hipError_tPvRmT2_T3_T4_T5_mT6_T7_P12ihipStream_tbENKUlT_T0_E_clISt17integral_constantIbLb1EESZ_EEDaSU_SV_EUlSU_E_NS1_11comp_targetILNS1_3genE9ELNS1_11target_archE1100ELNS1_3gpuE3ELNS1_3repE0EEENS1_30default_config_static_selectorELNS0_4arch9wavefront6targetE1EEEvT1_
		.amdhsa_group_segment_fixed_size 0
		.amdhsa_private_segment_fixed_size 0
		.amdhsa_kernarg_size 136
		.amdhsa_user_sgpr_count 6
		.amdhsa_user_sgpr_private_segment_buffer 1
		.amdhsa_user_sgpr_dispatch_ptr 0
		.amdhsa_user_sgpr_queue_ptr 0
		.amdhsa_user_sgpr_kernarg_segment_ptr 1
		.amdhsa_user_sgpr_dispatch_id 0
		.amdhsa_user_sgpr_flat_scratch_init 0
		.amdhsa_user_sgpr_kernarg_preload_length 0
		.amdhsa_user_sgpr_kernarg_preload_offset 0
		.amdhsa_user_sgpr_private_segment_size 0
		.amdhsa_uses_dynamic_stack 0
		.amdhsa_system_sgpr_private_segment_wavefront_offset 0
		.amdhsa_system_sgpr_workgroup_id_x 1
		.amdhsa_system_sgpr_workgroup_id_y 0
		.amdhsa_system_sgpr_workgroup_id_z 0
		.amdhsa_system_sgpr_workgroup_info 0
		.amdhsa_system_vgpr_workitem_id 0
		.amdhsa_next_free_vgpr 1
		.amdhsa_next_free_sgpr 0
		.amdhsa_accum_offset 4
		.amdhsa_reserve_vcc 0
		.amdhsa_reserve_flat_scratch 0
		.amdhsa_float_round_mode_32 0
		.amdhsa_float_round_mode_16_64 0
		.amdhsa_float_denorm_mode_32 3
		.amdhsa_float_denorm_mode_16_64 3
		.amdhsa_dx10_clamp 1
		.amdhsa_ieee_mode 1
		.amdhsa_fp16_overflow 0
		.amdhsa_tg_split 0
		.amdhsa_exception_fp_ieee_invalid_op 0
		.amdhsa_exception_fp_denorm_src 0
		.amdhsa_exception_fp_ieee_div_zero 0
		.amdhsa_exception_fp_ieee_overflow 0
		.amdhsa_exception_fp_ieee_underflow 0
		.amdhsa_exception_fp_ieee_inexact 0
		.amdhsa_exception_int_div_zero 0
	.end_amdhsa_kernel
	.section	.text._ZN7rocprim17ROCPRIM_400000_NS6detail17trampoline_kernelINS0_14default_configENS1_27scan_by_key_config_selectorIxxEEZZNS1_16scan_by_key_implILNS1_25lookback_scan_determinismE0ELb1ES3_N6thrust23THRUST_200600_302600_NS6detail15normal_iteratorINS9_10device_ptrIxEEEESE_SE_xNS9_4plusIvEENS9_8equal_toIxEExEE10hipError_tPvRmT2_T3_T4_T5_mT6_T7_P12ihipStream_tbENKUlT_T0_E_clISt17integral_constantIbLb1EESZ_EEDaSU_SV_EUlSU_E_NS1_11comp_targetILNS1_3genE9ELNS1_11target_archE1100ELNS1_3gpuE3ELNS1_3repE0EEENS1_30default_config_static_selectorELNS0_4arch9wavefront6targetE1EEEvT1_,"axG",@progbits,_ZN7rocprim17ROCPRIM_400000_NS6detail17trampoline_kernelINS0_14default_configENS1_27scan_by_key_config_selectorIxxEEZZNS1_16scan_by_key_implILNS1_25lookback_scan_determinismE0ELb1ES3_N6thrust23THRUST_200600_302600_NS6detail15normal_iteratorINS9_10device_ptrIxEEEESE_SE_xNS9_4plusIvEENS9_8equal_toIxEExEE10hipError_tPvRmT2_T3_T4_T5_mT6_T7_P12ihipStream_tbENKUlT_T0_E_clISt17integral_constantIbLb1EESZ_EEDaSU_SV_EUlSU_E_NS1_11comp_targetILNS1_3genE9ELNS1_11target_archE1100ELNS1_3gpuE3ELNS1_3repE0EEENS1_30default_config_static_selectorELNS0_4arch9wavefront6targetE1EEEvT1_,comdat
.Lfunc_end441:
	.size	_ZN7rocprim17ROCPRIM_400000_NS6detail17trampoline_kernelINS0_14default_configENS1_27scan_by_key_config_selectorIxxEEZZNS1_16scan_by_key_implILNS1_25lookback_scan_determinismE0ELb1ES3_N6thrust23THRUST_200600_302600_NS6detail15normal_iteratorINS9_10device_ptrIxEEEESE_SE_xNS9_4plusIvEENS9_8equal_toIxEExEE10hipError_tPvRmT2_T3_T4_T5_mT6_T7_P12ihipStream_tbENKUlT_T0_E_clISt17integral_constantIbLb1EESZ_EEDaSU_SV_EUlSU_E_NS1_11comp_targetILNS1_3genE9ELNS1_11target_archE1100ELNS1_3gpuE3ELNS1_3repE0EEENS1_30default_config_static_selectorELNS0_4arch9wavefront6targetE1EEEvT1_, .Lfunc_end441-_ZN7rocprim17ROCPRIM_400000_NS6detail17trampoline_kernelINS0_14default_configENS1_27scan_by_key_config_selectorIxxEEZZNS1_16scan_by_key_implILNS1_25lookback_scan_determinismE0ELb1ES3_N6thrust23THRUST_200600_302600_NS6detail15normal_iteratorINS9_10device_ptrIxEEEESE_SE_xNS9_4plusIvEENS9_8equal_toIxEExEE10hipError_tPvRmT2_T3_T4_T5_mT6_T7_P12ihipStream_tbENKUlT_T0_E_clISt17integral_constantIbLb1EESZ_EEDaSU_SV_EUlSU_E_NS1_11comp_targetILNS1_3genE9ELNS1_11target_archE1100ELNS1_3gpuE3ELNS1_3repE0EEENS1_30default_config_static_selectorELNS0_4arch9wavefront6targetE1EEEvT1_
                                        ; -- End function
	.section	.AMDGPU.csdata,"",@progbits
; Kernel info:
; codeLenInByte = 0
; NumSgprs: 4
; NumVgprs: 0
; NumAgprs: 0
; TotalNumVgprs: 0
; ScratchSize: 0
; MemoryBound: 0
; FloatMode: 240
; IeeeMode: 1
; LDSByteSize: 0 bytes/workgroup (compile time only)
; SGPRBlocks: 0
; VGPRBlocks: 0
; NumSGPRsForWavesPerEU: 4
; NumVGPRsForWavesPerEU: 1
; AccumOffset: 4
; Occupancy: 8
; WaveLimiterHint : 0
; COMPUTE_PGM_RSRC2:SCRATCH_EN: 0
; COMPUTE_PGM_RSRC2:USER_SGPR: 6
; COMPUTE_PGM_RSRC2:TRAP_HANDLER: 0
; COMPUTE_PGM_RSRC2:TGID_X_EN: 1
; COMPUTE_PGM_RSRC2:TGID_Y_EN: 0
; COMPUTE_PGM_RSRC2:TGID_Z_EN: 0
; COMPUTE_PGM_RSRC2:TIDIG_COMP_CNT: 0
; COMPUTE_PGM_RSRC3_GFX90A:ACCUM_OFFSET: 0
; COMPUTE_PGM_RSRC3_GFX90A:TG_SPLIT: 0
	.section	.text._ZN7rocprim17ROCPRIM_400000_NS6detail17trampoline_kernelINS0_14default_configENS1_27scan_by_key_config_selectorIxxEEZZNS1_16scan_by_key_implILNS1_25lookback_scan_determinismE0ELb1ES3_N6thrust23THRUST_200600_302600_NS6detail15normal_iteratorINS9_10device_ptrIxEEEESE_SE_xNS9_4plusIvEENS9_8equal_toIxEExEE10hipError_tPvRmT2_T3_T4_T5_mT6_T7_P12ihipStream_tbENKUlT_T0_E_clISt17integral_constantIbLb1EESZ_EEDaSU_SV_EUlSU_E_NS1_11comp_targetILNS1_3genE8ELNS1_11target_archE1030ELNS1_3gpuE2ELNS1_3repE0EEENS1_30default_config_static_selectorELNS0_4arch9wavefront6targetE1EEEvT1_,"axG",@progbits,_ZN7rocprim17ROCPRIM_400000_NS6detail17trampoline_kernelINS0_14default_configENS1_27scan_by_key_config_selectorIxxEEZZNS1_16scan_by_key_implILNS1_25lookback_scan_determinismE0ELb1ES3_N6thrust23THRUST_200600_302600_NS6detail15normal_iteratorINS9_10device_ptrIxEEEESE_SE_xNS9_4plusIvEENS9_8equal_toIxEExEE10hipError_tPvRmT2_T3_T4_T5_mT6_T7_P12ihipStream_tbENKUlT_T0_E_clISt17integral_constantIbLb1EESZ_EEDaSU_SV_EUlSU_E_NS1_11comp_targetILNS1_3genE8ELNS1_11target_archE1030ELNS1_3gpuE2ELNS1_3repE0EEENS1_30default_config_static_selectorELNS0_4arch9wavefront6targetE1EEEvT1_,comdat
	.protected	_ZN7rocprim17ROCPRIM_400000_NS6detail17trampoline_kernelINS0_14default_configENS1_27scan_by_key_config_selectorIxxEEZZNS1_16scan_by_key_implILNS1_25lookback_scan_determinismE0ELb1ES3_N6thrust23THRUST_200600_302600_NS6detail15normal_iteratorINS9_10device_ptrIxEEEESE_SE_xNS9_4plusIvEENS9_8equal_toIxEExEE10hipError_tPvRmT2_T3_T4_T5_mT6_T7_P12ihipStream_tbENKUlT_T0_E_clISt17integral_constantIbLb1EESZ_EEDaSU_SV_EUlSU_E_NS1_11comp_targetILNS1_3genE8ELNS1_11target_archE1030ELNS1_3gpuE2ELNS1_3repE0EEENS1_30default_config_static_selectorELNS0_4arch9wavefront6targetE1EEEvT1_ ; -- Begin function _ZN7rocprim17ROCPRIM_400000_NS6detail17trampoline_kernelINS0_14default_configENS1_27scan_by_key_config_selectorIxxEEZZNS1_16scan_by_key_implILNS1_25lookback_scan_determinismE0ELb1ES3_N6thrust23THRUST_200600_302600_NS6detail15normal_iteratorINS9_10device_ptrIxEEEESE_SE_xNS9_4plusIvEENS9_8equal_toIxEExEE10hipError_tPvRmT2_T3_T4_T5_mT6_T7_P12ihipStream_tbENKUlT_T0_E_clISt17integral_constantIbLb1EESZ_EEDaSU_SV_EUlSU_E_NS1_11comp_targetILNS1_3genE8ELNS1_11target_archE1030ELNS1_3gpuE2ELNS1_3repE0EEENS1_30default_config_static_selectorELNS0_4arch9wavefront6targetE1EEEvT1_
	.globl	_ZN7rocprim17ROCPRIM_400000_NS6detail17trampoline_kernelINS0_14default_configENS1_27scan_by_key_config_selectorIxxEEZZNS1_16scan_by_key_implILNS1_25lookback_scan_determinismE0ELb1ES3_N6thrust23THRUST_200600_302600_NS6detail15normal_iteratorINS9_10device_ptrIxEEEESE_SE_xNS9_4plusIvEENS9_8equal_toIxEExEE10hipError_tPvRmT2_T3_T4_T5_mT6_T7_P12ihipStream_tbENKUlT_T0_E_clISt17integral_constantIbLb1EESZ_EEDaSU_SV_EUlSU_E_NS1_11comp_targetILNS1_3genE8ELNS1_11target_archE1030ELNS1_3gpuE2ELNS1_3repE0EEENS1_30default_config_static_selectorELNS0_4arch9wavefront6targetE1EEEvT1_
	.p2align	8
	.type	_ZN7rocprim17ROCPRIM_400000_NS6detail17trampoline_kernelINS0_14default_configENS1_27scan_by_key_config_selectorIxxEEZZNS1_16scan_by_key_implILNS1_25lookback_scan_determinismE0ELb1ES3_N6thrust23THRUST_200600_302600_NS6detail15normal_iteratorINS9_10device_ptrIxEEEESE_SE_xNS9_4plusIvEENS9_8equal_toIxEExEE10hipError_tPvRmT2_T3_T4_T5_mT6_T7_P12ihipStream_tbENKUlT_T0_E_clISt17integral_constantIbLb1EESZ_EEDaSU_SV_EUlSU_E_NS1_11comp_targetILNS1_3genE8ELNS1_11target_archE1030ELNS1_3gpuE2ELNS1_3repE0EEENS1_30default_config_static_selectorELNS0_4arch9wavefront6targetE1EEEvT1_,@function
_ZN7rocprim17ROCPRIM_400000_NS6detail17trampoline_kernelINS0_14default_configENS1_27scan_by_key_config_selectorIxxEEZZNS1_16scan_by_key_implILNS1_25lookback_scan_determinismE0ELb1ES3_N6thrust23THRUST_200600_302600_NS6detail15normal_iteratorINS9_10device_ptrIxEEEESE_SE_xNS9_4plusIvEENS9_8equal_toIxEExEE10hipError_tPvRmT2_T3_T4_T5_mT6_T7_P12ihipStream_tbENKUlT_T0_E_clISt17integral_constantIbLb1EESZ_EEDaSU_SV_EUlSU_E_NS1_11comp_targetILNS1_3genE8ELNS1_11target_archE1030ELNS1_3gpuE2ELNS1_3repE0EEENS1_30default_config_static_selectorELNS0_4arch9wavefront6targetE1EEEvT1_: ; @_ZN7rocprim17ROCPRIM_400000_NS6detail17trampoline_kernelINS0_14default_configENS1_27scan_by_key_config_selectorIxxEEZZNS1_16scan_by_key_implILNS1_25lookback_scan_determinismE0ELb1ES3_N6thrust23THRUST_200600_302600_NS6detail15normal_iteratorINS9_10device_ptrIxEEEESE_SE_xNS9_4plusIvEENS9_8equal_toIxEExEE10hipError_tPvRmT2_T3_T4_T5_mT6_T7_P12ihipStream_tbENKUlT_T0_E_clISt17integral_constantIbLb1EESZ_EEDaSU_SV_EUlSU_E_NS1_11comp_targetILNS1_3genE8ELNS1_11target_archE1030ELNS1_3gpuE2ELNS1_3repE0EEENS1_30default_config_static_selectorELNS0_4arch9wavefront6targetE1EEEvT1_
; %bb.0:
	.section	.rodata,"a",@progbits
	.p2align	6, 0x0
	.amdhsa_kernel _ZN7rocprim17ROCPRIM_400000_NS6detail17trampoline_kernelINS0_14default_configENS1_27scan_by_key_config_selectorIxxEEZZNS1_16scan_by_key_implILNS1_25lookback_scan_determinismE0ELb1ES3_N6thrust23THRUST_200600_302600_NS6detail15normal_iteratorINS9_10device_ptrIxEEEESE_SE_xNS9_4plusIvEENS9_8equal_toIxEExEE10hipError_tPvRmT2_T3_T4_T5_mT6_T7_P12ihipStream_tbENKUlT_T0_E_clISt17integral_constantIbLb1EESZ_EEDaSU_SV_EUlSU_E_NS1_11comp_targetILNS1_3genE8ELNS1_11target_archE1030ELNS1_3gpuE2ELNS1_3repE0EEENS1_30default_config_static_selectorELNS0_4arch9wavefront6targetE1EEEvT1_
		.amdhsa_group_segment_fixed_size 0
		.amdhsa_private_segment_fixed_size 0
		.amdhsa_kernarg_size 136
		.amdhsa_user_sgpr_count 6
		.amdhsa_user_sgpr_private_segment_buffer 1
		.amdhsa_user_sgpr_dispatch_ptr 0
		.amdhsa_user_sgpr_queue_ptr 0
		.amdhsa_user_sgpr_kernarg_segment_ptr 1
		.amdhsa_user_sgpr_dispatch_id 0
		.amdhsa_user_sgpr_flat_scratch_init 0
		.amdhsa_user_sgpr_kernarg_preload_length 0
		.amdhsa_user_sgpr_kernarg_preload_offset 0
		.amdhsa_user_sgpr_private_segment_size 0
		.amdhsa_uses_dynamic_stack 0
		.amdhsa_system_sgpr_private_segment_wavefront_offset 0
		.amdhsa_system_sgpr_workgroup_id_x 1
		.amdhsa_system_sgpr_workgroup_id_y 0
		.amdhsa_system_sgpr_workgroup_id_z 0
		.amdhsa_system_sgpr_workgroup_info 0
		.amdhsa_system_vgpr_workitem_id 0
		.amdhsa_next_free_vgpr 1
		.amdhsa_next_free_sgpr 0
		.amdhsa_accum_offset 4
		.amdhsa_reserve_vcc 0
		.amdhsa_reserve_flat_scratch 0
		.amdhsa_float_round_mode_32 0
		.amdhsa_float_round_mode_16_64 0
		.amdhsa_float_denorm_mode_32 3
		.amdhsa_float_denorm_mode_16_64 3
		.amdhsa_dx10_clamp 1
		.amdhsa_ieee_mode 1
		.amdhsa_fp16_overflow 0
		.amdhsa_tg_split 0
		.amdhsa_exception_fp_ieee_invalid_op 0
		.amdhsa_exception_fp_denorm_src 0
		.amdhsa_exception_fp_ieee_div_zero 0
		.amdhsa_exception_fp_ieee_overflow 0
		.amdhsa_exception_fp_ieee_underflow 0
		.amdhsa_exception_fp_ieee_inexact 0
		.amdhsa_exception_int_div_zero 0
	.end_amdhsa_kernel
	.section	.text._ZN7rocprim17ROCPRIM_400000_NS6detail17trampoline_kernelINS0_14default_configENS1_27scan_by_key_config_selectorIxxEEZZNS1_16scan_by_key_implILNS1_25lookback_scan_determinismE0ELb1ES3_N6thrust23THRUST_200600_302600_NS6detail15normal_iteratorINS9_10device_ptrIxEEEESE_SE_xNS9_4plusIvEENS9_8equal_toIxEExEE10hipError_tPvRmT2_T3_T4_T5_mT6_T7_P12ihipStream_tbENKUlT_T0_E_clISt17integral_constantIbLb1EESZ_EEDaSU_SV_EUlSU_E_NS1_11comp_targetILNS1_3genE8ELNS1_11target_archE1030ELNS1_3gpuE2ELNS1_3repE0EEENS1_30default_config_static_selectorELNS0_4arch9wavefront6targetE1EEEvT1_,"axG",@progbits,_ZN7rocprim17ROCPRIM_400000_NS6detail17trampoline_kernelINS0_14default_configENS1_27scan_by_key_config_selectorIxxEEZZNS1_16scan_by_key_implILNS1_25lookback_scan_determinismE0ELb1ES3_N6thrust23THRUST_200600_302600_NS6detail15normal_iteratorINS9_10device_ptrIxEEEESE_SE_xNS9_4plusIvEENS9_8equal_toIxEExEE10hipError_tPvRmT2_T3_T4_T5_mT6_T7_P12ihipStream_tbENKUlT_T0_E_clISt17integral_constantIbLb1EESZ_EEDaSU_SV_EUlSU_E_NS1_11comp_targetILNS1_3genE8ELNS1_11target_archE1030ELNS1_3gpuE2ELNS1_3repE0EEENS1_30default_config_static_selectorELNS0_4arch9wavefront6targetE1EEEvT1_,comdat
.Lfunc_end442:
	.size	_ZN7rocprim17ROCPRIM_400000_NS6detail17trampoline_kernelINS0_14default_configENS1_27scan_by_key_config_selectorIxxEEZZNS1_16scan_by_key_implILNS1_25lookback_scan_determinismE0ELb1ES3_N6thrust23THRUST_200600_302600_NS6detail15normal_iteratorINS9_10device_ptrIxEEEESE_SE_xNS9_4plusIvEENS9_8equal_toIxEExEE10hipError_tPvRmT2_T3_T4_T5_mT6_T7_P12ihipStream_tbENKUlT_T0_E_clISt17integral_constantIbLb1EESZ_EEDaSU_SV_EUlSU_E_NS1_11comp_targetILNS1_3genE8ELNS1_11target_archE1030ELNS1_3gpuE2ELNS1_3repE0EEENS1_30default_config_static_selectorELNS0_4arch9wavefront6targetE1EEEvT1_, .Lfunc_end442-_ZN7rocprim17ROCPRIM_400000_NS6detail17trampoline_kernelINS0_14default_configENS1_27scan_by_key_config_selectorIxxEEZZNS1_16scan_by_key_implILNS1_25lookback_scan_determinismE0ELb1ES3_N6thrust23THRUST_200600_302600_NS6detail15normal_iteratorINS9_10device_ptrIxEEEESE_SE_xNS9_4plusIvEENS9_8equal_toIxEExEE10hipError_tPvRmT2_T3_T4_T5_mT6_T7_P12ihipStream_tbENKUlT_T0_E_clISt17integral_constantIbLb1EESZ_EEDaSU_SV_EUlSU_E_NS1_11comp_targetILNS1_3genE8ELNS1_11target_archE1030ELNS1_3gpuE2ELNS1_3repE0EEENS1_30default_config_static_selectorELNS0_4arch9wavefront6targetE1EEEvT1_
                                        ; -- End function
	.section	.AMDGPU.csdata,"",@progbits
; Kernel info:
; codeLenInByte = 0
; NumSgprs: 4
; NumVgprs: 0
; NumAgprs: 0
; TotalNumVgprs: 0
; ScratchSize: 0
; MemoryBound: 0
; FloatMode: 240
; IeeeMode: 1
; LDSByteSize: 0 bytes/workgroup (compile time only)
; SGPRBlocks: 0
; VGPRBlocks: 0
; NumSGPRsForWavesPerEU: 4
; NumVGPRsForWavesPerEU: 1
; AccumOffset: 4
; Occupancy: 8
; WaveLimiterHint : 0
; COMPUTE_PGM_RSRC2:SCRATCH_EN: 0
; COMPUTE_PGM_RSRC2:USER_SGPR: 6
; COMPUTE_PGM_RSRC2:TRAP_HANDLER: 0
; COMPUTE_PGM_RSRC2:TGID_X_EN: 1
; COMPUTE_PGM_RSRC2:TGID_Y_EN: 0
; COMPUTE_PGM_RSRC2:TGID_Z_EN: 0
; COMPUTE_PGM_RSRC2:TIDIG_COMP_CNT: 0
; COMPUTE_PGM_RSRC3_GFX90A:ACCUM_OFFSET: 0
; COMPUTE_PGM_RSRC3_GFX90A:TG_SPLIT: 0
	.section	.text._ZN7rocprim17ROCPRIM_400000_NS6detail17trampoline_kernelINS0_14default_configENS1_27scan_by_key_config_selectorIxxEEZZNS1_16scan_by_key_implILNS1_25lookback_scan_determinismE0ELb1ES3_N6thrust23THRUST_200600_302600_NS6detail15normal_iteratorINS9_10device_ptrIxEEEESE_SE_xNS9_4plusIvEENS9_8equal_toIxEExEE10hipError_tPvRmT2_T3_T4_T5_mT6_T7_P12ihipStream_tbENKUlT_T0_E_clISt17integral_constantIbLb1EESY_IbLb0EEEEDaSU_SV_EUlSU_E_NS1_11comp_targetILNS1_3genE0ELNS1_11target_archE4294967295ELNS1_3gpuE0ELNS1_3repE0EEENS1_30default_config_static_selectorELNS0_4arch9wavefront6targetE1EEEvT1_,"axG",@progbits,_ZN7rocprim17ROCPRIM_400000_NS6detail17trampoline_kernelINS0_14default_configENS1_27scan_by_key_config_selectorIxxEEZZNS1_16scan_by_key_implILNS1_25lookback_scan_determinismE0ELb1ES3_N6thrust23THRUST_200600_302600_NS6detail15normal_iteratorINS9_10device_ptrIxEEEESE_SE_xNS9_4plusIvEENS9_8equal_toIxEExEE10hipError_tPvRmT2_T3_T4_T5_mT6_T7_P12ihipStream_tbENKUlT_T0_E_clISt17integral_constantIbLb1EESY_IbLb0EEEEDaSU_SV_EUlSU_E_NS1_11comp_targetILNS1_3genE0ELNS1_11target_archE4294967295ELNS1_3gpuE0ELNS1_3repE0EEENS1_30default_config_static_selectorELNS0_4arch9wavefront6targetE1EEEvT1_,comdat
	.protected	_ZN7rocprim17ROCPRIM_400000_NS6detail17trampoline_kernelINS0_14default_configENS1_27scan_by_key_config_selectorIxxEEZZNS1_16scan_by_key_implILNS1_25lookback_scan_determinismE0ELb1ES3_N6thrust23THRUST_200600_302600_NS6detail15normal_iteratorINS9_10device_ptrIxEEEESE_SE_xNS9_4plusIvEENS9_8equal_toIxEExEE10hipError_tPvRmT2_T3_T4_T5_mT6_T7_P12ihipStream_tbENKUlT_T0_E_clISt17integral_constantIbLb1EESY_IbLb0EEEEDaSU_SV_EUlSU_E_NS1_11comp_targetILNS1_3genE0ELNS1_11target_archE4294967295ELNS1_3gpuE0ELNS1_3repE0EEENS1_30default_config_static_selectorELNS0_4arch9wavefront6targetE1EEEvT1_ ; -- Begin function _ZN7rocprim17ROCPRIM_400000_NS6detail17trampoline_kernelINS0_14default_configENS1_27scan_by_key_config_selectorIxxEEZZNS1_16scan_by_key_implILNS1_25lookback_scan_determinismE0ELb1ES3_N6thrust23THRUST_200600_302600_NS6detail15normal_iteratorINS9_10device_ptrIxEEEESE_SE_xNS9_4plusIvEENS9_8equal_toIxEExEE10hipError_tPvRmT2_T3_T4_T5_mT6_T7_P12ihipStream_tbENKUlT_T0_E_clISt17integral_constantIbLb1EESY_IbLb0EEEEDaSU_SV_EUlSU_E_NS1_11comp_targetILNS1_3genE0ELNS1_11target_archE4294967295ELNS1_3gpuE0ELNS1_3repE0EEENS1_30default_config_static_selectorELNS0_4arch9wavefront6targetE1EEEvT1_
	.globl	_ZN7rocprim17ROCPRIM_400000_NS6detail17trampoline_kernelINS0_14default_configENS1_27scan_by_key_config_selectorIxxEEZZNS1_16scan_by_key_implILNS1_25lookback_scan_determinismE0ELb1ES3_N6thrust23THRUST_200600_302600_NS6detail15normal_iteratorINS9_10device_ptrIxEEEESE_SE_xNS9_4plusIvEENS9_8equal_toIxEExEE10hipError_tPvRmT2_T3_T4_T5_mT6_T7_P12ihipStream_tbENKUlT_T0_E_clISt17integral_constantIbLb1EESY_IbLb0EEEEDaSU_SV_EUlSU_E_NS1_11comp_targetILNS1_3genE0ELNS1_11target_archE4294967295ELNS1_3gpuE0ELNS1_3repE0EEENS1_30default_config_static_selectorELNS0_4arch9wavefront6targetE1EEEvT1_
	.p2align	8
	.type	_ZN7rocprim17ROCPRIM_400000_NS6detail17trampoline_kernelINS0_14default_configENS1_27scan_by_key_config_selectorIxxEEZZNS1_16scan_by_key_implILNS1_25lookback_scan_determinismE0ELb1ES3_N6thrust23THRUST_200600_302600_NS6detail15normal_iteratorINS9_10device_ptrIxEEEESE_SE_xNS9_4plusIvEENS9_8equal_toIxEExEE10hipError_tPvRmT2_T3_T4_T5_mT6_T7_P12ihipStream_tbENKUlT_T0_E_clISt17integral_constantIbLb1EESY_IbLb0EEEEDaSU_SV_EUlSU_E_NS1_11comp_targetILNS1_3genE0ELNS1_11target_archE4294967295ELNS1_3gpuE0ELNS1_3repE0EEENS1_30default_config_static_selectorELNS0_4arch9wavefront6targetE1EEEvT1_,@function
_ZN7rocprim17ROCPRIM_400000_NS6detail17trampoline_kernelINS0_14default_configENS1_27scan_by_key_config_selectorIxxEEZZNS1_16scan_by_key_implILNS1_25lookback_scan_determinismE0ELb1ES3_N6thrust23THRUST_200600_302600_NS6detail15normal_iteratorINS9_10device_ptrIxEEEESE_SE_xNS9_4plusIvEENS9_8equal_toIxEExEE10hipError_tPvRmT2_T3_T4_T5_mT6_T7_P12ihipStream_tbENKUlT_T0_E_clISt17integral_constantIbLb1EESY_IbLb0EEEEDaSU_SV_EUlSU_E_NS1_11comp_targetILNS1_3genE0ELNS1_11target_archE4294967295ELNS1_3gpuE0ELNS1_3repE0EEENS1_30default_config_static_selectorELNS0_4arch9wavefront6targetE1EEEvT1_: ; @_ZN7rocprim17ROCPRIM_400000_NS6detail17trampoline_kernelINS0_14default_configENS1_27scan_by_key_config_selectorIxxEEZZNS1_16scan_by_key_implILNS1_25lookback_scan_determinismE0ELb1ES3_N6thrust23THRUST_200600_302600_NS6detail15normal_iteratorINS9_10device_ptrIxEEEESE_SE_xNS9_4plusIvEENS9_8equal_toIxEExEE10hipError_tPvRmT2_T3_T4_T5_mT6_T7_P12ihipStream_tbENKUlT_T0_E_clISt17integral_constantIbLb1EESY_IbLb0EEEEDaSU_SV_EUlSU_E_NS1_11comp_targetILNS1_3genE0ELNS1_11target_archE4294967295ELNS1_3gpuE0ELNS1_3repE0EEENS1_30default_config_static_selectorELNS0_4arch9wavefront6targetE1EEEvT1_
; %bb.0:
	.section	.rodata,"a",@progbits
	.p2align	6, 0x0
	.amdhsa_kernel _ZN7rocprim17ROCPRIM_400000_NS6detail17trampoline_kernelINS0_14default_configENS1_27scan_by_key_config_selectorIxxEEZZNS1_16scan_by_key_implILNS1_25lookback_scan_determinismE0ELb1ES3_N6thrust23THRUST_200600_302600_NS6detail15normal_iteratorINS9_10device_ptrIxEEEESE_SE_xNS9_4plusIvEENS9_8equal_toIxEExEE10hipError_tPvRmT2_T3_T4_T5_mT6_T7_P12ihipStream_tbENKUlT_T0_E_clISt17integral_constantIbLb1EESY_IbLb0EEEEDaSU_SV_EUlSU_E_NS1_11comp_targetILNS1_3genE0ELNS1_11target_archE4294967295ELNS1_3gpuE0ELNS1_3repE0EEENS1_30default_config_static_selectorELNS0_4arch9wavefront6targetE1EEEvT1_
		.amdhsa_group_segment_fixed_size 0
		.amdhsa_private_segment_fixed_size 0
		.amdhsa_kernarg_size 136
		.amdhsa_user_sgpr_count 6
		.amdhsa_user_sgpr_private_segment_buffer 1
		.amdhsa_user_sgpr_dispatch_ptr 0
		.amdhsa_user_sgpr_queue_ptr 0
		.amdhsa_user_sgpr_kernarg_segment_ptr 1
		.amdhsa_user_sgpr_dispatch_id 0
		.amdhsa_user_sgpr_flat_scratch_init 0
		.amdhsa_user_sgpr_kernarg_preload_length 0
		.amdhsa_user_sgpr_kernarg_preload_offset 0
		.amdhsa_user_sgpr_private_segment_size 0
		.amdhsa_uses_dynamic_stack 0
		.amdhsa_system_sgpr_private_segment_wavefront_offset 0
		.amdhsa_system_sgpr_workgroup_id_x 1
		.amdhsa_system_sgpr_workgroup_id_y 0
		.amdhsa_system_sgpr_workgroup_id_z 0
		.amdhsa_system_sgpr_workgroup_info 0
		.amdhsa_system_vgpr_workitem_id 0
		.amdhsa_next_free_vgpr 1
		.amdhsa_next_free_sgpr 0
		.amdhsa_accum_offset 4
		.amdhsa_reserve_vcc 0
		.amdhsa_reserve_flat_scratch 0
		.amdhsa_float_round_mode_32 0
		.amdhsa_float_round_mode_16_64 0
		.amdhsa_float_denorm_mode_32 3
		.amdhsa_float_denorm_mode_16_64 3
		.amdhsa_dx10_clamp 1
		.amdhsa_ieee_mode 1
		.amdhsa_fp16_overflow 0
		.amdhsa_tg_split 0
		.amdhsa_exception_fp_ieee_invalid_op 0
		.amdhsa_exception_fp_denorm_src 0
		.amdhsa_exception_fp_ieee_div_zero 0
		.amdhsa_exception_fp_ieee_overflow 0
		.amdhsa_exception_fp_ieee_underflow 0
		.amdhsa_exception_fp_ieee_inexact 0
		.amdhsa_exception_int_div_zero 0
	.end_amdhsa_kernel
	.section	.text._ZN7rocprim17ROCPRIM_400000_NS6detail17trampoline_kernelINS0_14default_configENS1_27scan_by_key_config_selectorIxxEEZZNS1_16scan_by_key_implILNS1_25lookback_scan_determinismE0ELb1ES3_N6thrust23THRUST_200600_302600_NS6detail15normal_iteratorINS9_10device_ptrIxEEEESE_SE_xNS9_4plusIvEENS9_8equal_toIxEExEE10hipError_tPvRmT2_T3_T4_T5_mT6_T7_P12ihipStream_tbENKUlT_T0_E_clISt17integral_constantIbLb1EESY_IbLb0EEEEDaSU_SV_EUlSU_E_NS1_11comp_targetILNS1_3genE0ELNS1_11target_archE4294967295ELNS1_3gpuE0ELNS1_3repE0EEENS1_30default_config_static_selectorELNS0_4arch9wavefront6targetE1EEEvT1_,"axG",@progbits,_ZN7rocprim17ROCPRIM_400000_NS6detail17trampoline_kernelINS0_14default_configENS1_27scan_by_key_config_selectorIxxEEZZNS1_16scan_by_key_implILNS1_25lookback_scan_determinismE0ELb1ES3_N6thrust23THRUST_200600_302600_NS6detail15normal_iteratorINS9_10device_ptrIxEEEESE_SE_xNS9_4plusIvEENS9_8equal_toIxEExEE10hipError_tPvRmT2_T3_T4_T5_mT6_T7_P12ihipStream_tbENKUlT_T0_E_clISt17integral_constantIbLb1EESY_IbLb0EEEEDaSU_SV_EUlSU_E_NS1_11comp_targetILNS1_3genE0ELNS1_11target_archE4294967295ELNS1_3gpuE0ELNS1_3repE0EEENS1_30default_config_static_selectorELNS0_4arch9wavefront6targetE1EEEvT1_,comdat
.Lfunc_end443:
	.size	_ZN7rocprim17ROCPRIM_400000_NS6detail17trampoline_kernelINS0_14default_configENS1_27scan_by_key_config_selectorIxxEEZZNS1_16scan_by_key_implILNS1_25lookback_scan_determinismE0ELb1ES3_N6thrust23THRUST_200600_302600_NS6detail15normal_iteratorINS9_10device_ptrIxEEEESE_SE_xNS9_4plusIvEENS9_8equal_toIxEExEE10hipError_tPvRmT2_T3_T4_T5_mT6_T7_P12ihipStream_tbENKUlT_T0_E_clISt17integral_constantIbLb1EESY_IbLb0EEEEDaSU_SV_EUlSU_E_NS1_11comp_targetILNS1_3genE0ELNS1_11target_archE4294967295ELNS1_3gpuE0ELNS1_3repE0EEENS1_30default_config_static_selectorELNS0_4arch9wavefront6targetE1EEEvT1_, .Lfunc_end443-_ZN7rocprim17ROCPRIM_400000_NS6detail17trampoline_kernelINS0_14default_configENS1_27scan_by_key_config_selectorIxxEEZZNS1_16scan_by_key_implILNS1_25lookback_scan_determinismE0ELb1ES3_N6thrust23THRUST_200600_302600_NS6detail15normal_iteratorINS9_10device_ptrIxEEEESE_SE_xNS9_4plusIvEENS9_8equal_toIxEExEE10hipError_tPvRmT2_T3_T4_T5_mT6_T7_P12ihipStream_tbENKUlT_T0_E_clISt17integral_constantIbLb1EESY_IbLb0EEEEDaSU_SV_EUlSU_E_NS1_11comp_targetILNS1_3genE0ELNS1_11target_archE4294967295ELNS1_3gpuE0ELNS1_3repE0EEENS1_30default_config_static_selectorELNS0_4arch9wavefront6targetE1EEEvT1_
                                        ; -- End function
	.section	.AMDGPU.csdata,"",@progbits
; Kernel info:
; codeLenInByte = 0
; NumSgprs: 4
; NumVgprs: 0
; NumAgprs: 0
; TotalNumVgprs: 0
; ScratchSize: 0
; MemoryBound: 0
; FloatMode: 240
; IeeeMode: 1
; LDSByteSize: 0 bytes/workgroup (compile time only)
; SGPRBlocks: 0
; VGPRBlocks: 0
; NumSGPRsForWavesPerEU: 4
; NumVGPRsForWavesPerEU: 1
; AccumOffset: 4
; Occupancy: 8
; WaveLimiterHint : 0
; COMPUTE_PGM_RSRC2:SCRATCH_EN: 0
; COMPUTE_PGM_RSRC2:USER_SGPR: 6
; COMPUTE_PGM_RSRC2:TRAP_HANDLER: 0
; COMPUTE_PGM_RSRC2:TGID_X_EN: 1
; COMPUTE_PGM_RSRC2:TGID_Y_EN: 0
; COMPUTE_PGM_RSRC2:TGID_Z_EN: 0
; COMPUTE_PGM_RSRC2:TIDIG_COMP_CNT: 0
; COMPUTE_PGM_RSRC3_GFX90A:ACCUM_OFFSET: 0
; COMPUTE_PGM_RSRC3_GFX90A:TG_SPLIT: 0
	.section	.text._ZN7rocprim17ROCPRIM_400000_NS6detail17trampoline_kernelINS0_14default_configENS1_27scan_by_key_config_selectorIxxEEZZNS1_16scan_by_key_implILNS1_25lookback_scan_determinismE0ELb1ES3_N6thrust23THRUST_200600_302600_NS6detail15normal_iteratorINS9_10device_ptrIxEEEESE_SE_xNS9_4plusIvEENS9_8equal_toIxEExEE10hipError_tPvRmT2_T3_T4_T5_mT6_T7_P12ihipStream_tbENKUlT_T0_E_clISt17integral_constantIbLb1EESY_IbLb0EEEEDaSU_SV_EUlSU_E_NS1_11comp_targetILNS1_3genE10ELNS1_11target_archE1201ELNS1_3gpuE5ELNS1_3repE0EEENS1_30default_config_static_selectorELNS0_4arch9wavefront6targetE1EEEvT1_,"axG",@progbits,_ZN7rocprim17ROCPRIM_400000_NS6detail17trampoline_kernelINS0_14default_configENS1_27scan_by_key_config_selectorIxxEEZZNS1_16scan_by_key_implILNS1_25lookback_scan_determinismE0ELb1ES3_N6thrust23THRUST_200600_302600_NS6detail15normal_iteratorINS9_10device_ptrIxEEEESE_SE_xNS9_4plusIvEENS9_8equal_toIxEExEE10hipError_tPvRmT2_T3_T4_T5_mT6_T7_P12ihipStream_tbENKUlT_T0_E_clISt17integral_constantIbLb1EESY_IbLb0EEEEDaSU_SV_EUlSU_E_NS1_11comp_targetILNS1_3genE10ELNS1_11target_archE1201ELNS1_3gpuE5ELNS1_3repE0EEENS1_30default_config_static_selectorELNS0_4arch9wavefront6targetE1EEEvT1_,comdat
	.protected	_ZN7rocprim17ROCPRIM_400000_NS6detail17trampoline_kernelINS0_14default_configENS1_27scan_by_key_config_selectorIxxEEZZNS1_16scan_by_key_implILNS1_25lookback_scan_determinismE0ELb1ES3_N6thrust23THRUST_200600_302600_NS6detail15normal_iteratorINS9_10device_ptrIxEEEESE_SE_xNS9_4plusIvEENS9_8equal_toIxEExEE10hipError_tPvRmT2_T3_T4_T5_mT6_T7_P12ihipStream_tbENKUlT_T0_E_clISt17integral_constantIbLb1EESY_IbLb0EEEEDaSU_SV_EUlSU_E_NS1_11comp_targetILNS1_3genE10ELNS1_11target_archE1201ELNS1_3gpuE5ELNS1_3repE0EEENS1_30default_config_static_selectorELNS0_4arch9wavefront6targetE1EEEvT1_ ; -- Begin function _ZN7rocprim17ROCPRIM_400000_NS6detail17trampoline_kernelINS0_14default_configENS1_27scan_by_key_config_selectorIxxEEZZNS1_16scan_by_key_implILNS1_25lookback_scan_determinismE0ELb1ES3_N6thrust23THRUST_200600_302600_NS6detail15normal_iteratorINS9_10device_ptrIxEEEESE_SE_xNS9_4plusIvEENS9_8equal_toIxEExEE10hipError_tPvRmT2_T3_T4_T5_mT6_T7_P12ihipStream_tbENKUlT_T0_E_clISt17integral_constantIbLb1EESY_IbLb0EEEEDaSU_SV_EUlSU_E_NS1_11comp_targetILNS1_3genE10ELNS1_11target_archE1201ELNS1_3gpuE5ELNS1_3repE0EEENS1_30default_config_static_selectorELNS0_4arch9wavefront6targetE1EEEvT1_
	.globl	_ZN7rocprim17ROCPRIM_400000_NS6detail17trampoline_kernelINS0_14default_configENS1_27scan_by_key_config_selectorIxxEEZZNS1_16scan_by_key_implILNS1_25lookback_scan_determinismE0ELb1ES3_N6thrust23THRUST_200600_302600_NS6detail15normal_iteratorINS9_10device_ptrIxEEEESE_SE_xNS9_4plusIvEENS9_8equal_toIxEExEE10hipError_tPvRmT2_T3_T4_T5_mT6_T7_P12ihipStream_tbENKUlT_T0_E_clISt17integral_constantIbLb1EESY_IbLb0EEEEDaSU_SV_EUlSU_E_NS1_11comp_targetILNS1_3genE10ELNS1_11target_archE1201ELNS1_3gpuE5ELNS1_3repE0EEENS1_30default_config_static_selectorELNS0_4arch9wavefront6targetE1EEEvT1_
	.p2align	8
	.type	_ZN7rocprim17ROCPRIM_400000_NS6detail17trampoline_kernelINS0_14default_configENS1_27scan_by_key_config_selectorIxxEEZZNS1_16scan_by_key_implILNS1_25lookback_scan_determinismE0ELb1ES3_N6thrust23THRUST_200600_302600_NS6detail15normal_iteratorINS9_10device_ptrIxEEEESE_SE_xNS9_4plusIvEENS9_8equal_toIxEExEE10hipError_tPvRmT2_T3_T4_T5_mT6_T7_P12ihipStream_tbENKUlT_T0_E_clISt17integral_constantIbLb1EESY_IbLb0EEEEDaSU_SV_EUlSU_E_NS1_11comp_targetILNS1_3genE10ELNS1_11target_archE1201ELNS1_3gpuE5ELNS1_3repE0EEENS1_30default_config_static_selectorELNS0_4arch9wavefront6targetE1EEEvT1_,@function
_ZN7rocprim17ROCPRIM_400000_NS6detail17trampoline_kernelINS0_14default_configENS1_27scan_by_key_config_selectorIxxEEZZNS1_16scan_by_key_implILNS1_25lookback_scan_determinismE0ELb1ES3_N6thrust23THRUST_200600_302600_NS6detail15normal_iteratorINS9_10device_ptrIxEEEESE_SE_xNS9_4plusIvEENS9_8equal_toIxEExEE10hipError_tPvRmT2_T3_T4_T5_mT6_T7_P12ihipStream_tbENKUlT_T0_E_clISt17integral_constantIbLb1EESY_IbLb0EEEEDaSU_SV_EUlSU_E_NS1_11comp_targetILNS1_3genE10ELNS1_11target_archE1201ELNS1_3gpuE5ELNS1_3repE0EEENS1_30default_config_static_selectorELNS0_4arch9wavefront6targetE1EEEvT1_: ; @_ZN7rocprim17ROCPRIM_400000_NS6detail17trampoline_kernelINS0_14default_configENS1_27scan_by_key_config_selectorIxxEEZZNS1_16scan_by_key_implILNS1_25lookback_scan_determinismE0ELb1ES3_N6thrust23THRUST_200600_302600_NS6detail15normal_iteratorINS9_10device_ptrIxEEEESE_SE_xNS9_4plusIvEENS9_8equal_toIxEExEE10hipError_tPvRmT2_T3_T4_T5_mT6_T7_P12ihipStream_tbENKUlT_T0_E_clISt17integral_constantIbLb1EESY_IbLb0EEEEDaSU_SV_EUlSU_E_NS1_11comp_targetILNS1_3genE10ELNS1_11target_archE1201ELNS1_3gpuE5ELNS1_3repE0EEENS1_30default_config_static_selectorELNS0_4arch9wavefront6targetE1EEEvT1_
; %bb.0:
	.section	.rodata,"a",@progbits
	.p2align	6, 0x0
	.amdhsa_kernel _ZN7rocprim17ROCPRIM_400000_NS6detail17trampoline_kernelINS0_14default_configENS1_27scan_by_key_config_selectorIxxEEZZNS1_16scan_by_key_implILNS1_25lookback_scan_determinismE0ELb1ES3_N6thrust23THRUST_200600_302600_NS6detail15normal_iteratorINS9_10device_ptrIxEEEESE_SE_xNS9_4plusIvEENS9_8equal_toIxEExEE10hipError_tPvRmT2_T3_T4_T5_mT6_T7_P12ihipStream_tbENKUlT_T0_E_clISt17integral_constantIbLb1EESY_IbLb0EEEEDaSU_SV_EUlSU_E_NS1_11comp_targetILNS1_3genE10ELNS1_11target_archE1201ELNS1_3gpuE5ELNS1_3repE0EEENS1_30default_config_static_selectorELNS0_4arch9wavefront6targetE1EEEvT1_
		.amdhsa_group_segment_fixed_size 0
		.amdhsa_private_segment_fixed_size 0
		.amdhsa_kernarg_size 136
		.amdhsa_user_sgpr_count 6
		.amdhsa_user_sgpr_private_segment_buffer 1
		.amdhsa_user_sgpr_dispatch_ptr 0
		.amdhsa_user_sgpr_queue_ptr 0
		.amdhsa_user_sgpr_kernarg_segment_ptr 1
		.amdhsa_user_sgpr_dispatch_id 0
		.amdhsa_user_sgpr_flat_scratch_init 0
		.amdhsa_user_sgpr_kernarg_preload_length 0
		.amdhsa_user_sgpr_kernarg_preload_offset 0
		.amdhsa_user_sgpr_private_segment_size 0
		.amdhsa_uses_dynamic_stack 0
		.amdhsa_system_sgpr_private_segment_wavefront_offset 0
		.amdhsa_system_sgpr_workgroup_id_x 1
		.amdhsa_system_sgpr_workgroup_id_y 0
		.amdhsa_system_sgpr_workgroup_id_z 0
		.amdhsa_system_sgpr_workgroup_info 0
		.amdhsa_system_vgpr_workitem_id 0
		.amdhsa_next_free_vgpr 1
		.amdhsa_next_free_sgpr 0
		.amdhsa_accum_offset 4
		.amdhsa_reserve_vcc 0
		.amdhsa_reserve_flat_scratch 0
		.amdhsa_float_round_mode_32 0
		.amdhsa_float_round_mode_16_64 0
		.amdhsa_float_denorm_mode_32 3
		.amdhsa_float_denorm_mode_16_64 3
		.amdhsa_dx10_clamp 1
		.amdhsa_ieee_mode 1
		.amdhsa_fp16_overflow 0
		.amdhsa_tg_split 0
		.amdhsa_exception_fp_ieee_invalid_op 0
		.amdhsa_exception_fp_denorm_src 0
		.amdhsa_exception_fp_ieee_div_zero 0
		.amdhsa_exception_fp_ieee_overflow 0
		.amdhsa_exception_fp_ieee_underflow 0
		.amdhsa_exception_fp_ieee_inexact 0
		.amdhsa_exception_int_div_zero 0
	.end_amdhsa_kernel
	.section	.text._ZN7rocprim17ROCPRIM_400000_NS6detail17trampoline_kernelINS0_14default_configENS1_27scan_by_key_config_selectorIxxEEZZNS1_16scan_by_key_implILNS1_25lookback_scan_determinismE0ELb1ES3_N6thrust23THRUST_200600_302600_NS6detail15normal_iteratorINS9_10device_ptrIxEEEESE_SE_xNS9_4plusIvEENS9_8equal_toIxEExEE10hipError_tPvRmT2_T3_T4_T5_mT6_T7_P12ihipStream_tbENKUlT_T0_E_clISt17integral_constantIbLb1EESY_IbLb0EEEEDaSU_SV_EUlSU_E_NS1_11comp_targetILNS1_3genE10ELNS1_11target_archE1201ELNS1_3gpuE5ELNS1_3repE0EEENS1_30default_config_static_selectorELNS0_4arch9wavefront6targetE1EEEvT1_,"axG",@progbits,_ZN7rocprim17ROCPRIM_400000_NS6detail17trampoline_kernelINS0_14default_configENS1_27scan_by_key_config_selectorIxxEEZZNS1_16scan_by_key_implILNS1_25lookback_scan_determinismE0ELb1ES3_N6thrust23THRUST_200600_302600_NS6detail15normal_iteratorINS9_10device_ptrIxEEEESE_SE_xNS9_4plusIvEENS9_8equal_toIxEExEE10hipError_tPvRmT2_T3_T4_T5_mT6_T7_P12ihipStream_tbENKUlT_T0_E_clISt17integral_constantIbLb1EESY_IbLb0EEEEDaSU_SV_EUlSU_E_NS1_11comp_targetILNS1_3genE10ELNS1_11target_archE1201ELNS1_3gpuE5ELNS1_3repE0EEENS1_30default_config_static_selectorELNS0_4arch9wavefront6targetE1EEEvT1_,comdat
.Lfunc_end444:
	.size	_ZN7rocprim17ROCPRIM_400000_NS6detail17trampoline_kernelINS0_14default_configENS1_27scan_by_key_config_selectorIxxEEZZNS1_16scan_by_key_implILNS1_25lookback_scan_determinismE0ELb1ES3_N6thrust23THRUST_200600_302600_NS6detail15normal_iteratorINS9_10device_ptrIxEEEESE_SE_xNS9_4plusIvEENS9_8equal_toIxEExEE10hipError_tPvRmT2_T3_T4_T5_mT6_T7_P12ihipStream_tbENKUlT_T0_E_clISt17integral_constantIbLb1EESY_IbLb0EEEEDaSU_SV_EUlSU_E_NS1_11comp_targetILNS1_3genE10ELNS1_11target_archE1201ELNS1_3gpuE5ELNS1_3repE0EEENS1_30default_config_static_selectorELNS0_4arch9wavefront6targetE1EEEvT1_, .Lfunc_end444-_ZN7rocprim17ROCPRIM_400000_NS6detail17trampoline_kernelINS0_14default_configENS1_27scan_by_key_config_selectorIxxEEZZNS1_16scan_by_key_implILNS1_25lookback_scan_determinismE0ELb1ES3_N6thrust23THRUST_200600_302600_NS6detail15normal_iteratorINS9_10device_ptrIxEEEESE_SE_xNS9_4plusIvEENS9_8equal_toIxEExEE10hipError_tPvRmT2_T3_T4_T5_mT6_T7_P12ihipStream_tbENKUlT_T0_E_clISt17integral_constantIbLb1EESY_IbLb0EEEEDaSU_SV_EUlSU_E_NS1_11comp_targetILNS1_3genE10ELNS1_11target_archE1201ELNS1_3gpuE5ELNS1_3repE0EEENS1_30default_config_static_selectorELNS0_4arch9wavefront6targetE1EEEvT1_
                                        ; -- End function
	.section	.AMDGPU.csdata,"",@progbits
; Kernel info:
; codeLenInByte = 0
; NumSgprs: 4
; NumVgprs: 0
; NumAgprs: 0
; TotalNumVgprs: 0
; ScratchSize: 0
; MemoryBound: 0
; FloatMode: 240
; IeeeMode: 1
; LDSByteSize: 0 bytes/workgroup (compile time only)
; SGPRBlocks: 0
; VGPRBlocks: 0
; NumSGPRsForWavesPerEU: 4
; NumVGPRsForWavesPerEU: 1
; AccumOffset: 4
; Occupancy: 8
; WaveLimiterHint : 0
; COMPUTE_PGM_RSRC2:SCRATCH_EN: 0
; COMPUTE_PGM_RSRC2:USER_SGPR: 6
; COMPUTE_PGM_RSRC2:TRAP_HANDLER: 0
; COMPUTE_PGM_RSRC2:TGID_X_EN: 1
; COMPUTE_PGM_RSRC2:TGID_Y_EN: 0
; COMPUTE_PGM_RSRC2:TGID_Z_EN: 0
; COMPUTE_PGM_RSRC2:TIDIG_COMP_CNT: 0
; COMPUTE_PGM_RSRC3_GFX90A:ACCUM_OFFSET: 0
; COMPUTE_PGM_RSRC3_GFX90A:TG_SPLIT: 0
	.section	.text._ZN7rocprim17ROCPRIM_400000_NS6detail17trampoline_kernelINS0_14default_configENS1_27scan_by_key_config_selectorIxxEEZZNS1_16scan_by_key_implILNS1_25lookback_scan_determinismE0ELb1ES3_N6thrust23THRUST_200600_302600_NS6detail15normal_iteratorINS9_10device_ptrIxEEEESE_SE_xNS9_4plusIvEENS9_8equal_toIxEExEE10hipError_tPvRmT2_T3_T4_T5_mT6_T7_P12ihipStream_tbENKUlT_T0_E_clISt17integral_constantIbLb1EESY_IbLb0EEEEDaSU_SV_EUlSU_E_NS1_11comp_targetILNS1_3genE5ELNS1_11target_archE942ELNS1_3gpuE9ELNS1_3repE0EEENS1_30default_config_static_selectorELNS0_4arch9wavefront6targetE1EEEvT1_,"axG",@progbits,_ZN7rocprim17ROCPRIM_400000_NS6detail17trampoline_kernelINS0_14default_configENS1_27scan_by_key_config_selectorIxxEEZZNS1_16scan_by_key_implILNS1_25lookback_scan_determinismE0ELb1ES3_N6thrust23THRUST_200600_302600_NS6detail15normal_iteratorINS9_10device_ptrIxEEEESE_SE_xNS9_4plusIvEENS9_8equal_toIxEExEE10hipError_tPvRmT2_T3_T4_T5_mT6_T7_P12ihipStream_tbENKUlT_T0_E_clISt17integral_constantIbLb1EESY_IbLb0EEEEDaSU_SV_EUlSU_E_NS1_11comp_targetILNS1_3genE5ELNS1_11target_archE942ELNS1_3gpuE9ELNS1_3repE0EEENS1_30default_config_static_selectorELNS0_4arch9wavefront6targetE1EEEvT1_,comdat
	.protected	_ZN7rocprim17ROCPRIM_400000_NS6detail17trampoline_kernelINS0_14default_configENS1_27scan_by_key_config_selectorIxxEEZZNS1_16scan_by_key_implILNS1_25lookback_scan_determinismE0ELb1ES3_N6thrust23THRUST_200600_302600_NS6detail15normal_iteratorINS9_10device_ptrIxEEEESE_SE_xNS9_4plusIvEENS9_8equal_toIxEExEE10hipError_tPvRmT2_T3_T4_T5_mT6_T7_P12ihipStream_tbENKUlT_T0_E_clISt17integral_constantIbLb1EESY_IbLb0EEEEDaSU_SV_EUlSU_E_NS1_11comp_targetILNS1_3genE5ELNS1_11target_archE942ELNS1_3gpuE9ELNS1_3repE0EEENS1_30default_config_static_selectorELNS0_4arch9wavefront6targetE1EEEvT1_ ; -- Begin function _ZN7rocprim17ROCPRIM_400000_NS6detail17trampoline_kernelINS0_14default_configENS1_27scan_by_key_config_selectorIxxEEZZNS1_16scan_by_key_implILNS1_25lookback_scan_determinismE0ELb1ES3_N6thrust23THRUST_200600_302600_NS6detail15normal_iteratorINS9_10device_ptrIxEEEESE_SE_xNS9_4plusIvEENS9_8equal_toIxEExEE10hipError_tPvRmT2_T3_T4_T5_mT6_T7_P12ihipStream_tbENKUlT_T0_E_clISt17integral_constantIbLb1EESY_IbLb0EEEEDaSU_SV_EUlSU_E_NS1_11comp_targetILNS1_3genE5ELNS1_11target_archE942ELNS1_3gpuE9ELNS1_3repE0EEENS1_30default_config_static_selectorELNS0_4arch9wavefront6targetE1EEEvT1_
	.globl	_ZN7rocprim17ROCPRIM_400000_NS6detail17trampoline_kernelINS0_14default_configENS1_27scan_by_key_config_selectorIxxEEZZNS1_16scan_by_key_implILNS1_25lookback_scan_determinismE0ELb1ES3_N6thrust23THRUST_200600_302600_NS6detail15normal_iteratorINS9_10device_ptrIxEEEESE_SE_xNS9_4plusIvEENS9_8equal_toIxEExEE10hipError_tPvRmT2_T3_T4_T5_mT6_T7_P12ihipStream_tbENKUlT_T0_E_clISt17integral_constantIbLb1EESY_IbLb0EEEEDaSU_SV_EUlSU_E_NS1_11comp_targetILNS1_3genE5ELNS1_11target_archE942ELNS1_3gpuE9ELNS1_3repE0EEENS1_30default_config_static_selectorELNS0_4arch9wavefront6targetE1EEEvT1_
	.p2align	8
	.type	_ZN7rocprim17ROCPRIM_400000_NS6detail17trampoline_kernelINS0_14default_configENS1_27scan_by_key_config_selectorIxxEEZZNS1_16scan_by_key_implILNS1_25lookback_scan_determinismE0ELb1ES3_N6thrust23THRUST_200600_302600_NS6detail15normal_iteratorINS9_10device_ptrIxEEEESE_SE_xNS9_4plusIvEENS9_8equal_toIxEExEE10hipError_tPvRmT2_T3_T4_T5_mT6_T7_P12ihipStream_tbENKUlT_T0_E_clISt17integral_constantIbLb1EESY_IbLb0EEEEDaSU_SV_EUlSU_E_NS1_11comp_targetILNS1_3genE5ELNS1_11target_archE942ELNS1_3gpuE9ELNS1_3repE0EEENS1_30default_config_static_selectorELNS0_4arch9wavefront6targetE1EEEvT1_,@function
_ZN7rocprim17ROCPRIM_400000_NS6detail17trampoline_kernelINS0_14default_configENS1_27scan_by_key_config_selectorIxxEEZZNS1_16scan_by_key_implILNS1_25lookback_scan_determinismE0ELb1ES3_N6thrust23THRUST_200600_302600_NS6detail15normal_iteratorINS9_10device_ptrIxEEEESE_SE_xNS9_4plusIvEENS9_8equal_toIxEExEE10hipError_tPvRmT2_T3_T4_T5_mT6_T7_P12ihipStream_tbENKUlT_T0_E_clISt17integral_constantIbLb1EESY_IbLb0EEEEDaSU_SV_EUlSU_E_NS1_11comp_targetILNS1_3genE5ELNS1_11target_archE942ELNS1_3gpuE9ELNS1_3repE0EEENS1_30default_config_static_selectorELNS0_4arch9wavefront6targetE1EEEvT1_: ; @_ZN7rocprim17ROCPRIM_400000_NS6detail17trampoline_kernelINS0_14default_configENS1_27scan_by_key_config_selectorIxxEEZZNS1_16scan_by_key_implILNS1_25lookback_scan_determinismE0ELb1ES3_N6thrust23THRUST_200600_302600_NS6detail15normal_iteratorINS9_10device_ptrIxEEEESE_SE_xNS9_4plusIvEENS9_8equal_toIxEExEE10hipError_tPvRmT2_T3_T4_T5_mT6_T7_P12ihipStream_tbENKUlT_T0_E_clISt17integral_constantIbLb1EESY_IbLb0EEEEDaSU_SV_EUlSU_E_NS1_11comp_targetILNS1_3genE5ELNS1_11target_archE942ELNS1_3gpuE9ELNS1_3repE0EEENS1_30default_config_static_selectorELNS0_4arch9wavefront6targetE1EEEvT1_
; %bb.0:
	.section	.rodata,"a",@progbits
	.p2align	6, 0x0
	.amdhsa_kernel _ZN7rocprim17ROCPRIM_400000_NS6detail17trampoline_kernelINS0_14default_configENS1_27scan_by_key_config_selectorIxxEEZZNS1_16scan_by_key_implILNS1_25lookback_scan_determinismE0ELb1ES3_N6thrust23THRUST_200600_302600_NS6detail15normal_iteratorINS9_10device_ptrIxEEEESE_SE_xNS9_4plusIvEENS9_8equal_toIxEExEE10hipError_tPvRmT2_T3_T4_T5_mT6_T7_P12ihipStream_tbENKUlT_T0_E_clISt17integral_constantIbLb1EESY_IbLb0EEEEDaSU_SV_EUlSU_E_NS1_11comp_targetILNS1_3genE5ELNS1_11target_archE942ELNS1_3gpuE9ELNS1_3repE0EEENS1_30default_config_static_selectorELNS0_4arch9wavefront6targetE1EEEvT1_
		.amdhsa_group_segment_fixed_size 0
		.amdhsa_private_segment_fixed_size 0
		.amdhsa_kernarg_size 136
		.amdhsa_user_sgpr_count 6
		.amdhsa_user_sgpr_private_segment_buffer 1
		.amdhsa_user_sgpr_dispatch_ptr 0
		.amdhsa_user_sgpr_queue_ptr 0
		.amdhsa_user_sgpr_kernarg_segment_ptr 1
		.amdhsa_user_sgpr_dispatch_id 0
		.amdhsa_user_sgpr_flat_scratch_init 0
		.amdhsa_user_sgpr_kernarg_preload_length 0
		.amdhsa_user_sgpr_kernarg_preload_offset 0
		.amdhsa_user_sgpr_private_segment_size 0
		.amdhsa_uses_dynamic_stack 0
		.amdhsa_system_sgpr_private_segment_wavefront_offset 0
		.amdhsa_system_sgpr_workgroup_id_x 1
		.amdhsa_system_sgpr_workgroup_id_y 0
		.amdhsa_system_sgpr_workgroup_id_z 0
		.amdhsa_system_sgpr_workgroup_info 0
		.amdhsa_system_vgpr_workitem_id 0
		.amdhsa_next_free_vgpr 1
		.amdhsa_next_free_sgpr 0
		.amdhsa_accum_offset 4
		.amdhsa_reserve_vcc 0
		.amdhsa_reserve_flat_scratch 0
		.amdhsa_float_round_mode_32 0
		.amdhsa_float_round_mode_16_64 0
		.amdhsa_float_denorm_mode_32 3
		.amdhsa_float_denorm_mode_16_64 3
		.amdhsa_dx10_clamp 1
		.amdhsa_ieee_mode 1
		.amdhsa_fp16_overflow 0
		.amdhsa_tg_split 0
		.amdhsa_exception_fp_ieee_invalid_op 0
		.amdhsa_exception_fp_denorm_src 0
		.amdhsa_exception_fp_ieee_div_zero 0
		.amdhsa_exception_fp_ieee_overflow 0
		.amdhsa_exception_fp_ieee_underflow 0
		.amdhsa_exception_fp_ieee_inexact 0
		.amdhsa_exception_int_div_zero 0
	.end_amdhsa_kernel
	.section	.text._ZN7rocprim17ROCPRIM_400000_NS6detail17trampoline_kernelINS0_14default_configENS1_27scan_by_key_config_selectorIxxEEZZNS1_16scan_by_key_implILNS1_25lookback_scan_determinismE0ELb1ES3_N6thrust23THRUST_200600_302600_NS6detail15normal_iteratorINS9_10device_ptrIxEEEESE_SE_xNS9_4plusIvEENS9_8equal_toIxEExEE10hipError_tPvRmT2_T3_T4_T5_mT6_T7_P12ihipStream_tbENKUlT_T0_E_clISt17integral_constantIbLb1EESY_IbLb0EEEEDaSU_SV_EUlSU_E_NS1_11comp_targetILNS1_3genE5ELNS1_11target_archE942ELNS1_3gpuE9ELNS1_3repE0EEENS1_30default_config_static_selectorELNS0_4arch9wavefront6targetE1EEEvT1_,"axG",@progbits,_ZN7rocprim17ROCPRIM_400000_NS6detail17trampoline_kernelINS0_14default_configENS1_27scan_by_key_config_selectorIxxEEZZNS1_16scan_by_key_implILNS1_25lookback_scan_determinismE0ELb1ES3_N6thrust23THRUST_200600_302600_NS6detail15normal_iteratorINS9_10device_ptrIxEEEESE_SE_xNS9_4plusIvEENS9_8equal_toIxEExEE10hipError_tPvRmT2_T3_T4_T5_mT6_T7_P12ihipStream_tbENKUlT_T0_E_clISt17integral_constantIbLb1EESY_IbLb0EEEEDaSU_SV_EUlSU_E_NS1_11comp_targetILNS1_3genE5ELNS1_11target_archE942ELNS1_3gpuE9ELNS1_3repE0EEENS1_30default_config_static_selectorELNS0_4arch9wavefront6targetE1EEEvT1_,comdat
.Lfunc_end445:
	.size	_ZN7rocprim17ROCPRIM_400000_NS6detail17trampoline_kernelINS0_14default_configENS1_27scan_by_key_config_selectorIxxEEZZNS1_16scan_by_key_implILNS1_25lookback_scan_determinismE0ELb1ES3_N6thrust23THRUST_200600_302600_NS6detail15normal_iteratorINS9_10device_ptrIxEEEESE_SE_xNS9_4plusIvEENS9_8equal_toIxEExEE10hipError_tPvRmT2_T3_T4_T5_mT6_T7_P12ihipStream_tbENKUlT_T0_E_clISt17integral_constantIbLb1EESY_IbLb0EEEEDaSU_SV_EUlSU_E_NS1_11comp_targetILNS1_3genE5ELNS1_11target_archE942ELNS1_3gpuE9ELNS1_3repE0EEENS1_30default_config_static_selectorELNS0_4arch9wavefront6targetE1EEEvT1_, .Lfunc_end445-_ZN7rocprim17ROCPRIM_400000_NS6detail17trampoline_kernelINS0_14default_configENS1_27scan_by_key_config_selectorIxxEEZZNS1_16scan_by_key_implILNS1_25lookback_scan_determinismE0ELb1ES3_N6thrust23THRUST_200600_302600_NS6detail15normal_iteratorINS9_10device_ptrIxEEEESE_SE_xNS9_4plusIvEENS9_8equal_toIxEExEE10hipError_tPvRmT2_T3_T4_T5_mT6_T7_P12ihipStream_tbENKUlT_T0_E_clISt17integral_constantIbLb1EESY_IbLb0EEEEDaSU_SV_EUlSU_E_NS1_11comp_targetILNS1_3genE5ELNS1_11target_archE942ELNS1_3gpuE9ELNS1_3repE0EEENS1_30default_config_static_selectorELNS0_4arch9wavefront6targetE1EEEvT1_
                                        ; -- End function
	.section	.AMDGPU.csdata,"",@progbits
; Kernel info:
; codeLenInByte = 0
; NumSgprs: 4
; NumVgprs: 0
; NumAgprs: 0
; TotalNumVgprs: 0
; ScratchSize: 0
; MemoryBound: 0
; FloatMode: 240
; IeeeMode: 1
; LDSByteSize: 0 bytes/workgroup (compile time only)
; SGPRBlocks: 0
; VGPRBlocks: 0
; NumSGPRsForWavesPerEU: 4
; NumVGPRsForWavesPerEU: 1
; AccumOffset: 4
; Occupancy: 8
; WaveLimiterHint : 0
; COMPUTE_PGM_RSRC2:SCRATCH_EN: 0
; COMPUTE_PGM_RSRC2:USER_SGPR: 6
; COMPUTE_PGM_RSRC2:TRAP_HANDLER: 0
; COMPUTE_PGM_RSRC2:TGID_X_EN: 1
; COMPUTE_PGM_RSRC2:TGID_Y_EN: 0
; COMPUTE_PGM_RSRC2:TGID_Z_EN: 0
; COMPUTE_PGM_RSRC2:TIDIG_COMP_CNT: 0
; COMPUTE_PGM_RSRC3_GFX90A:ACCUM_OFFSET: 0
; COMPUTE_PGM_RSRC3_GFX90A:TG_SPLIT: 0
	.section	.text._ZN7rocprim17ROCPRIM_400000_NS6detail17trampoline_kernelINS0_14default_configENS1_27scan_by_key_config_selectorIxxEEZZNS1_16scan_by_key_implILNS1_25lookback_scan_determinismE0ELb1ES3_N6thrust23THRUST_200600_302600_NS6detail15normal_iteratorINS9_10device_ptrIxEEEESE_SE_xNS9_4plusIvEENS9_8equal_toIxEExEE10hipError_tPvRmT2_T3_T4_T5_mT6_T7_P12ihipStream_tbENKUlT_T0_E_clISt17integral_constantIbLb1EESY_IbLb0EEEEDaSU_SV_EUlSU_E_NS1_11comp_targetILNS1_3genE4ELNS1_11target_archE910ELNS1_3gpuE8ELNS1_3repE0EEENS1_30default_config_static_selectorELNS0_4arch9wavefront6targetE1EEEvT1_,"axG",@progbits,_ZN7rocprim17ROCPRIM_400000_NS6detail17trampoline_kernelINS0_14default_configENS1_27scan_by_key_config_selectorIxxEEZZNS1_16scan_by_key_implILNS1_25lookback_scan_determinismE0ELb1ES3_N6thrust23THRUST_200600_302600_NS6detail15normal_iteratorINS9_10device_ptrIxEEEESE_SE_xNS9_4plusIvEENS9_8equal_toIxEExEE10hipError_tPvRmT2_T3_T4_T5_mT6_T7_P12ihipStream_tbENKUlT_T0_E_clISt17integral_constantIbLb1EESY_IbLb0EEEEDaSU_SV_EUlSU_E_NS1_11comp_targetILNS1_3genE4ELNS1_11target_archE910ELNS1_3gpuE8ELNS1_3repE0EEENS1_30default_config_static_selectorELNS0_4arch9wavefront6targetE1EEEvT1_,comdat
	.protected	_ZN7rocprim17ROCPRIM_400000_NS6detail17trampoline_kernelINS0_14default_configENS1_27scan_by_key_config_selectorIxxEEZZNS1_16scan_by_key_implILNS1_25lookback_scan_determinismE0ELb1ES3_N6thrust23THRUST_200600_302600_NS6detail15normal_iteratorINS9_10device_ptrIxEEEESE_SE_xNS9_4plusIvEENS9_8equal_toIxEExEE10hipError_tPvRmT2_T3_T4_T5_mT6_T7_P12ihipStream_tbENKUlT_T0_E_clISt17integral_constantIbLb1EESY_IbLb0EEEEDaSU_SV_EUlSU_E_NS1_11comp_targetILNS1_3genE4ELNS1_11target_archE910ELNS1_3gpuE8ELNS1_3repE0EEENS1_30default_config_static_selectorELNS0_4arch9wavefront6targetE1EEEvT1_ ; -- Begin function _ZN7rocprim17ROCPRIM_400000_NS6detail17trampoline_kernelINS0_14default_configENS1_27scan_by_key_config_selectorIxxEEZZNS1_16scan_by_key_implILNS1_25lookback_scan_determinismE0ELb1ES3_N6thrust23THRUST_200600_302600_NS6detail15normal_iteratorINS9_10device_ptrIxEEEESE_SE_xNS9_4plusIvEENS9_8equal_toIxEExEE10hipError_tPvRmT2_T3_T4_T5_mT6_T7_P12ihipStream_tbENKUlT_T0_E_clISt17integral_constantIbLb1EESY_IbLb0EEEEDaSU_SV_EUlSU_E_NS1_11comp_targetILNS1_3genE4ELNS1_11target_archE910ELNS1_3gpuE8ELNS1_3repE0EEENS1_30default_config_static_selectorELNS0_4arch9wavefront6targetE1EEEvT1_
	.globl	_ZN7rocprim17ROCPRIM_400000_NS6detail17trampoline_kernelINS0_14default_configENS1_27scan_by_key_config_selectorIxxEEZZNS1_16scan_by_key_implILNS1_25lookback_scan_determinismE0ELb1ES3_N6thrust23THRUST_200600_302600_NS6detail15normal_iteratorINS9_10device_ptrIxEEEESE_SE_xNS9_4plusIvEENS9_8equal_toIxEExEE10hipError_tPvRmT2_T3_T4_T5_mT6_T7_P12ihipStream_tbENKUlT_T0_E_clISt17integral_constantIbLb1EESY_IbLb0EEEEDaSU_SV_EUlSU_E_NS1_11comp_targetILNS1_3genE4ELNS1_11target_archE910ELNS1_3gpuE8ELNS1_3repE0EEENS1_30default_config_static_selectorELNS0_4arch9wavefront6targetE1EEEvT1_
	.p2align	8
	.type	_ZN7rocprim17ROCPRIM_400000_NS6detail17trampoline_kernelINS0_14default_configENS1_27scan_by_key_config_selectorIxxEEZZNS1_16scan_by_key_implILNS1_25lookback_scan_determinismE0ELb1ES3_N6thrust23THRUST_200600_302600_NS6detail15normal_iteratorINS9_10device_ptrIxEEEESE_SE_xNS9_4plusIvEENS9_8equal_toIxEExEE10hipError_tPvRmT2_T3_T4_T5_mT6_T7_P12ihipStream_tbENKUlT_T0_E_clISt17integral_constantIbLb1EESY_IbLb0EEEEDaSU_SV_EUlSU_E_NS1_11comp_targetILNS1_3genE4ELNS1_11target_archE910ELNS1_3gpuE8ELNS1_3repE0EEENS1_30default_config_static_selectorELNS0_4arch9wavefront6targetE1EEEvT1_,@function
_ZN7rocprim17ROCPRIM_400000_NS6detail17trampoline_kernelINS0_14default_configENS1_27scan_by_key_config_selectorIxxEEZZNS1_16scan_by_key_implILNS1_25lookback_scan_determinismE0ELb1ES3_N6thrust23THRUST_200600_302600_NS6detail15normal_iteratorINS9_10device_ptrIxEEEESE_SE_xNS9_4plusIvEENS9_8equal_toIxEExEE10hipError_tPvRmT2_T3_T4_T5_mT6_T7_P12ihipStream_tbENKUlT_T0_E_clISt17integral_constantIbLb1EESY_IbLb0EEEEDaSU_SV_EUlSU_E_NS1_11comp_targetILNS1_3genE4ELNS1_11target_archE910ELNS1_3gpuE8ELNS1_3repE0EEENS1_30default_config_static_selectorELNS0_4arch9wavefront6targetE1EEEvT1_: ; @_ZN7rocprim17ROCPRIM_400000_NS6detail17trampoline_kernelINS0_14default_configENS1_27scan_by_key_config_selectorIxxEEZZNS1_16scan_by_key_implILNS1_25lookback_scan_determinismE0ELb1ES3_N6thrust23THRUST_200600_302600_NS6detail15normal_iteratorINS9_10device_ptrIxEEEESE_SE_xNS9_4plusIvEENS9_8equal_toIxEExEE10hipError_tPvRmT2_T3_T4_T5_mT6_T7_P12ihipStream_tbENKUlT_T0_E_clISt17integral_constantIbLb1EESY_IbLb0EEEEDaSU_SV_EUlSU_E_NS1_11comp_targetILNS1_3genE4ELNS1_11target_archE910ELNS1_3gpuE8ELNS1_3repE0EEENS1_30default_config_static_selectorELNS0_4arch9wavefront6targetE1EEEvT1_
; %bb.0:
	s_load_dwordx8 s[52:59], s[4:5], 0x0
	s_load_dwordx2 s[64:65], s[4:5], 0x20
	s_load_dwordx8 s[44:51], s[4:5], 0x30
	s_load_dwordx2 s[66:67], s[4:5], 0x50
	s_load_dword s0, s[4:5], 0x58
	s_load_dwordx4 s[60:63], s[4:5], 0x60
	s_waitcnt lgkmcnt(0)
	s_lshl_b64 s[54:55], s[54:55], 3
	s_add_u32 s2, s52, s54
	s_addc_u32 s3, s53, s55
	s_add_u32 s4, s56, s54
	s_mul_i32 s1, s67, s0
	s_mul_hi_u32 s7, s66, s0
	s_addc_u32 s5, s57, s55
	s_add_i32 s8, s7, s1
	s_mul_i32 s9, s66, s0
	s_mul_i32 s0, s6, 0x4c0
	s_mov_b32 s1, 0
	s_lshl_b64 s[52:53], s[0:1], 3
	s_add_u32 s56, s2, s52
	s_addc_u32 s57, s3, s53
	s_add_u32 s7, s4, s52
	s_addc_u32 s51, s5, s53
	;; [unrolled: 2-line block ×3, first 2 shown]
	s_add_u32 s4, s60, -1
	s_addc_u32 s5, s61, -1
	v_pk_mov_b32 v[2:3], s[4:5], s[4:5] op_sel:[0,1]
	v_cmp_ge_u64_e64 s[0:1], s[0:1], v[2:3]
	s_mov_b64 s[2:3], -1
	s_and_b64 vcc, exec, s[0:1]
	s_mul_i32 s33, s4, 0xfffffb40
	s_waitcnt lgkmcnt(0)
	; wave barrier
	s_cbranch_vccz .LBB446_59
; %bb.1:
	v_pk_mov_b32 v[2:3], s[56:57], s[56:57] op_sel:[0,1]
	flat_load_dwordx2 v[2:3], v[2:3]
	s_add_i32 s70, s33, s50
	v_cmp_gt_u32_e32 vcc, s70, v0
	s_waitcnt vmcnt(0) lgkmcnt(0)
	v_pk_mov_b32 v[4:5], v[2:3], v[2:3] op_sel:[0,1]
	s_and_saveexec_b64 s[4:5], vcc
	s_cbranch_execz .LBB446_3
; %bb.2:
	v_lshlrev_b32_e32 v1, 3, v0
	v_mov_b32_e32 v5, s57
	v_add_co_u32_e64 v4, s[2:3], s56, v1
	v_addc_co_u32_e64 v5, s[2:3], 0, v5, s[2:3]
	flat_load_dwordx2 v[4:5], v[4:5]
.LBB446_3:
	s_or_b64 exec, exec, s[4:5]
	v_or_b32_e32 v1, 64, v0
	v_cmp_gt_u32_e64 s[2:3], s70, v1
	v_pk_mov_b32 v[6:7], v[2:3], v[2:3] op_sel:[0,1]
	s_and_saveexec_b64 s[8:9], s[2:3]
	s_cbranch_execz .LBB446_5
; %bb.4:
	v_lshlrev_b32_e32 v1, 3, v0
	v_mov_b32_e32 v7, s57
	v_add_co_u32_e64 v6, s[4:5], s56, v1
	v_addc_co_u32_e64 v7, s[4:5], 0, v7, s[4:5]
	flat_load_dwordx2 v[6:7], v[6:7] offset:512
.LBB446_5:
	s_or_b64 exec, exec, s[8:9]
	v_or_b32_e32 v1, 0x80, v0
	v_cmp_gt_u32_e64 s[4:5], s70, v1
	v_pk_mov_b32 v[8:9], v[2:3], v[2:3] op_sel:[0,1]
	s_and_saveexec_b64 s[10:11], s[4:5]
	s_cbranch_execz .LBB446_7
; %bb.6:
	v_lshlrev_b32_e32 v1, 3, v0
	v_mov_b32_e32 v9, s57
	v_add_co_u32_e64 v8, s[8:9], s56, v1
	v_addc_co_u32_e64 v9, s[8:9], 0, v9, s[8:9]
	flat_load_dwordx2 v[8:9], v[8:9] offset:1024
.LBB446_7:
	;; [unrolled: 13-line block ×7, first 2 shown]
	s_or_b64 exec, exec, s[18:19]
	v_or_b32_e32 v1, 0x200, v0
	v_cmp_gt_u32_e64 s[16:17], s70, v1
	v_pk_mov_b32 v[20:21], v[2:3], v[2:3] op_sel:[0,1]
	s_and_saveexec_b64 s[20:21], s[16:17]
	s_cbranch_execz .LBB446_19
; %bb.18:
	v_lshlrev_b32_e32 v20, 3, v1
	v_mov_b32_e32 v21, s57
	v_add_co_u32_e64 v20, s[18:19], s56, v20
	v_addc_co_u32_e64 v21, s[18:19], 0, v21, s[18:19]
	flat_load_dwordx2 v[20:21], v[20:21]
.LBB446_19:
	s_or_b64 exec, exec, s[20:21]
	v_or_b32_e32 v60, 0x240, v0
	v_cmp_gt_u32_e64 s[18:19], s70, v60
	v_pk_mov_b32 v[22:23], v[2:3], v[2:3] op_sel:[0,1]
	s_and_saveexec_b64 s[22:23], s[18:19]
	s_cbranch_execz .LBB446_21
; %bb.20:
	v_lshlrev_b32_e32 v22, 3, v60
	v_mov_b32_e32 v23, s57
	v_add_co_u32_e64 v22, s[20:21], s56, v22
	v_addc_co_u32_e64 v23, s[20:21], 0, v23, s[20:21]
	flat_load_dwordx2 v[22:23], v[22:23]
.LBB446_21:
	;; [unrolled: 13-line block ×10, first 2 shown]
	s_or_b64 exec, exec, s[42:43]
	v_or_b32_e32 v82, 0x480, v0
	v_cmp_gt_u32_e64 s[38:39], s70, v82
	s_and_saveexec_b64 s[60:61], s[38:39]
	s_cbranch_execz .LBB446_39
; %bb.38:
	v_lshlrev_b32_e32 v2, 3, v82
	v_mov_b32_e32 v3, s57
	v_add_co_u32_e64 v2, s[42:43], s56, v2
	v_addc_co_u32_e64 v3, s[42:43], 0, v3, s[42:43]
	flat_load_dwordx2 v[2:3], v[2:3]
.LBB446_39:
	s_or_b64 exec, exec, s[60:61]
	v_lshlrev_b32_e32 v83, 3, v0
	s_waitcnt vmcnt(0) lgkmcnt(0)
	ds_write2st64_b64 v83, v[4:5], v[6:7] offset1:1
	ds_write2st64_b64 v83, v[8:9], v[10:11] offset0:2 offset1:3
	ds_write2st64_b64 v83, v[12:13], v[14:15] offset0:4 offset1:5
	;; [unrolled: 1-line block ×8, first 2 shown]
	ds_write_b64 v83, v[2:3] offset:9216
	v_pk_mov_b32 v[2:3], s[56:57], s[56:57] op_sel:[0,1]
	s_waitcnt lgkmcnt(0)
	; wave barrier
	s_waitcnt lgkmcnt(0)
	flat_load_dwordx2 v[78:79], v[2:3]
	s_movk_i32 s42, 0x90
	v_mad_u32_u24 v80, v0, s42, v83
	s_movk_i32 s42, 0xff70
	v_mad_i32_i24 v38, v0, s42, v80
	v_cmp_ne_u32_e64 s[42:43], 63, v0
	ds_read_b64 v[40:41], v80
	ds_read2_b64 v[34:37], v80 offset0:1 offset1:2
	ds_read2_b64 v[30:33], v80 offset0:3 offset1:4
	;; [unrolled: 1-line block ×9, first 2 shown]
	s_waitcnt lgkmcnt(0)
	ds_write_b64 v38, v[40:41] offset:10240
	s_waitcnt lgkmcnt(0)
	; wave barrier
	s_waitcnt lgkmcnt(0)
	s_and_saveexec_b64 s[60:61], s[42:43]
	s_cbranch_execz .LBB446_41
; %bb.40:
	s_waitcnt vmcnt(0)
	ds_read_b64 v[78:79], v83 offset:10248
.LBB446_41:
	s_or_b64 exec, exec, s[60:61]
	s_waitcnt lgkmcnt(0)
	; wave barrier
	s_waitcnt lgkmcnt(0)
                                        ; implicit-def: $vgpr38_vgpr39
	s_and_saveexec_b64 s[42:43], vcc
	s_cbranch_execz .LBB446_60
; %bb.42:
	v_mov_b32_e32 v39, s51
	v_add_co_u32_e32 v38, vcc, s7, v83
	v_addc_co_u32_e32 v39, vcc, 0, v39, vcc
	flat_load_dwordx2 v[38:39], v[38:39]
	s_or_b64 exec, exec, s[42:43]
                                        ; implicit-def: $vgpr42_vgpr43
	s_and_saveexec_b64 s[42:43], s[2:3]
	s_cbranch_execnz .LBB446_61
.LBB446_43:
	s_or_b64 exec, exec, s[42:43]
                                        ; implicit-def: $vgpr44_vgpr45
	s_and_saveexec_b64 s[2:3], s[4:5]
	s_cbranch_execz .LBB446_62
.LBB446_44:
	v_mov_b32_e32 v45, s51
	v_add_co_u32_e32 v44, vcc, s7, v83
	v_addc_co_u32_e32 v45, vcc, 0, v45, vcc
	flat_load_dwordx2 v[44:45], v[44:45] offset:1024
	s_or_b64 exec, exec, s[2:3]
                                        ; implicit-def: $vgpr46_vgpr47
	s_and_saveexec_b64 s[2:3], s[40:41]
	s_cbranch_execnz .LBB446_63
.LBB446_45:
	s_or_b64 exec, exec, s[2:3]
                                        ; implicit-def: $vgpr48_vgpr49
	s_and_saveexec_b64 s[2:3], s[8:9]
	s_cbranch_execz .LBB446_64
.LBB446_46:
	v_mov_b32_e32 v49, s51
	v_add_co_u32_e32 v48, vcc, s7, v83
	v_addc_co_u32_e32 v49, vcc, 0, v49, vcc
	flat_load_dwordx2 v[48:49], v[48:49] offset:2048
	s_or_b64 exec, exec, s[2:3]
                                        ; implicit-def: $vgpr50_vgpr51
	s_and_saveexec_b64 s[2:3], s[10:11]
	s_cbranch_execnz .LBB446_65
.LBB446_47:
	s_or_b64 exec, exec, s[2:3]
                                        ; implicit-def: $vgpr52_vgpr53
	s_and_saveexec_b64 s[2:3], s[12:13]
	s_cbranch_execz .LBB446_66
.LBB446_48:
	v_mov_b32_e32 v53, s51
	v_add_co_u32_e32 v52, vcc, s7, v83
	v_addc_co_u32_e32 v53, vcc, 0, v53, vcc
	flat_load_dwordx2 v[52:53], v[52:53] offset:3072
	s_or_b64 exec, exec, s[2:3]
                                        ; implicit-def: $vgpr54_vgpr55
	s_and_saveexec_b64 s[2:3], s[14:15]
	s_cbranch_execnz .LBB446_67
.LBB446_49:
	s_or_b64 exec, exec, s[2:3]
                                        ; implicit-def: $vgpr56_vgpr57
	s_and_saveexec_b64 s[2:3], s[16:17]
	s_cbranch_execz .LBB446_68
.LBB446_50:
	v_lshlrev_b32_e32 v1, 3, v1
	v_mov_b32_e32 v57, s51
	v_add_co_u32_e32 v56, vcc, s7, v1
	v_addc_co_u32_e32 v57, vcc, 0, v57, vcc
	flat_load_dwordx2 v[56:57], v[56:57]
	s_or_b64 exec, exec, s[2:3]
                                        ; implicit-def: $vgpr58_vgpr59
	s_and_saveexec_b64 s[2:3], s[18:19]
	s_cbranch_execnz .LBB446_69
.LBB446_51:
	s_or_b64 exec, exec, s[2:3]
                                        ; implicit-def: $vgpr60_vgpr61
	s_and_saveexec_b64 s[2:3], s[20:21]
	s_cbranch_execz .LBB446_70
.LBB446_52:
	v_lshlrev_b32_e32 v1, 3, v62
	v_mov_b32_e32 v61, s51
	v_add_co_u32_e32 v60, vcc, s7, v1
	v_addc_co_u32_e32 v61, vcc, 0, v61, vcc
	flat_load_dwordx2 v[60:61], v[60:61]
	s_or_b64 exec, exec, s[2:3]
                                        ; implicit-def: $vgpr62_vgpr63
	s_and_saveexec_b64 s[2:3], s[22:23]
	s_cbranch_execnz .LBB446_71
.LBB446_53:
	s_or_b64 exec, exec, s[2:3]
                                        ; implicit-def: $vgpr64_vgpr65
	s_and_saveexec_b64 s[2:3], s[24:25]
	s_cbranch_execz .LBB446_72
.LBB446_54:
	v_lshlrev_b32_e32 v1, 3, v66
	v_mov_b32_e32 v65, s51
	v_add_co_u32_e32 v64, vcc, s7, v1
	v_addc_co_u32_e32 v65, vcc, 0, v65, vcc
	flat_load_dwordx2 v[64:65], v[64:65]
	s_or_b64 exec, exec, s[2:3]
                                        ; implicit-def: $vgpr66_vgpr67
	s_and_saveexec_b64 s[2:3], s[26:27]
	s_cbranch_execnz .LBB446_73
.LBB446_55:
	s_or_b64 exec, exec, s[2:3]
                                        ; implicit-def: $vgpr68_vgpr69
	s_and_saveexec_b64 s[2:3], s[28:29]
	s_cbranch_execz .LBB446_74
.LBB446_56:
	v_lshlrev_b32_e32 v1, 3, v70
	v_mov_b32_e32 v69, s51
	v_add_co_u32_e32 v68, vcc, s7, v1
	v_addc_co_u32_e32 v69, vcc, 0, v69, vcc
	flat_load_dwordx2 v[68:69], v[68:69]
	s_or_b64 exec, exec, s[2:3]
                                        ; implicit-def: $vgpr70_vgpr71
	s_and_saveexec_b64 s[2:3], s[30:31]
	s_cbranch_execnz .LBB446_75
.LBB446_57:
	s_or_b64 exec, exec, s[2:3]
                                        ; implicit-def: $vgpr72_vgpr73
	s_and_saveexec_b64 s[2:3], s[34:35]
	s_cbranch_execz .LBB446_76
.LBB446_58:
	v_lshlrev_b32_e32 v1, 3, v74
	v_mov_b32_e32 v73, s51
	v_add_co_u32_e32 v72, vcc, s7, v1
	v_addc_co_u32_e32 v73, vcc, 0, v73, vcc
	flat_load_dwordx2 v[72:73], v[72:73]
	s_or_b64 exec, exec, s[2:3]
                                        ; implicit-def: $vgpr74_vgpr75
	s_and_saveexec_b64 s[2:3], s[36:37]
	s_cbranch_execz .LBB446_78
	s_branch .LBB446_77
.LBB446_59:
	s_mov_b64 s[10:11], 0
                                        ; implicit-def: $sgpr8_sgpr9
                                        ; implicit-def: $vgpr76_vgpr77
                                        ; implicit-def: $vgpr74_vgpr75
                                        ; implicit-def: $vgpr99
                                        ; implicit-def: $vgpr42_vgpr43
                                        ; implicit-def: $vgpr112
                                        ; implicit-def: $vgpr72_vgpr73
                                        ; implicit-def: $vgpr111
                                        ; implicit-def: $vgpr70_vgpr71
                                        ; implicit-def: $vgpr110
                                        ; implicit-def: $vgpr68_vgpr69
                                        ; implicit-def: $vgpr109
                                        ; implicit-def: $vgpr66_vgpr67
                                        ; implicit-def: $vgpr108
                                        ; implicit-def: $vgpr64_vgpr65
                                        ; implicit-def: $vgpr107
                                        ; implicit-def: $vgpr62_vgpr63
                                        ; implicit-def: $vgpr106
                                        ; implicit-def: $vgpr60_vgpr61
                                        ; implicit-def: $vgpr105
                                        ; implicit-def: $vgpr58_vgpr59
                                        ; implicit-def: $vgpr104
                                        ; implicit-def: $vgpr44_vgpr45
                                        ; implicit-def: $vgpr103
                                        ; implicit-def: $vgpr56_vgpr57
                                        ; implicit-def: $vgpr102
                                        ; implicit-def: $vgpr52_vgpr53
                                        ; implicit-def: $vgpr101
                                        ; implicit-def: $vgpr50_vgpr51
                                        ; implicit-def: $vgpr100
                                        ; implicit-def: $vgpr54_vgpr55
                                        ; implicit-def: $vgpr98
                                        ; implicit-def: $vgpr48_vgpr49
                                        ; implicit-def: $vgpr97
                                        ; implicit-def: $vgpr46_vgpr47
                                        ; implicit-def: $vgpr96
                                        ; implicit-def: $vgpr38_vgpr39
                                        ; implicit-def: $vgpr1
                                        ; implicit-def: $sgpr72
                                        ; implicit-def: $sgpr4_sgpr5
	s_and_b64 vcc, exec, s[2:3]
	v_lshlrev_b32_e32 v113, 3, v0
	s_cbranch_vccz .LBB446_124
	s_branch .LBB446_119
.LBB446_60:
	s_or_b64 exec, exec, s[42:43]
                                        ; implicit-def: $vgpr42_vgpr43
	s_and_saveexec_b64 s[42:43], s[2:3]
	s_cbranch_execz .LBB446_43
.LBB446_61:
	v_mov_b32_e32 v43, s51
	v_add_co_u32_e32 v42, vcc, s7, v83
	v_addc_co_u32_e32 v43, vcc, 0, v43, vcc
	flat_load_dwordx2 v[42:43], v[42:43] offset:512
	s_or_b64 exec, exec, s[42:43]
                                        ; implicit-def: $vgpr44_vgpr45
	s_and_saveexec_b64 s[2:3], s[4:5]
	s_cbranch_execnz .LBB446_44
.LBB446_62:
	s_or_b64 exec, exec, s[2:3]
                                        ; implicit-def: $vgpr46_vgpr47
	s_and_saveexec_b64 s[2:3], s[40:41]
	s_cbranch_execz .LBB446_45
.LBB446_63:
	v_mov_b32_e32 v47, s51
	v_add_co_u32_e32 v46, vcc, s7, v83
	v_addc_co_u32_e32 v47, vcc, 0, v47, vcc
	flat_load_dwordx2 v[46:47], v[46:47] offset:1536
	s_or_b64 exec, exec, s[2:3]
                                        ; implicit-def: $vgpr48_vgpr49
	s_and_saveexec_b64 s[2:3], s[8:9]
	s_cbranch_execnz .LBB446_46
.LBB446_64:
	s_or_b64 exec, exec, s[2:3]
                                        ; implicit-def: $vgpr50_vgpr51
	s_and_saveexec_b64 s[2:3], s[10:11]
	s_cbranch_execz .LBB446_47
.LBB446_65:
	v_mov_b32_e32 v51, s51
	v_add_co_u32_e32 v50, vcc, s7, v83
	v_addc_co_u32_e32 v51, vcc, 0, v51, vcc
	flat_load_dwordx2 v[50:51], v[50:51] offset:2560
	s_or_b64 exec, exec, s[2:3]
                                        ; implicit-def: $vgpr52_vgpr53
	s_and_saveexec_b64 s[2:3], s[12:13]
	s_cbranch_execnz .LBB446_48
.LBB446_66:
	s_or_b64 exec, exec, s[2:3]
                                        ; implicit-def: $vgpr54_vgpr55
	s_and_saveexec_b64 s[2:3], s[14:15]
	s_cbranch_execz .LBB446_49
.LBB446_67:
	v_mov_b32_e32 v55, s51
	v_add_co_u32_e32 v54, vcc, s7, v83
	v_addc_co_u32_e32 v55, vcc, 0, v55, vcc
	flat_load_dwordx2 v[54:55], v[54:55] offset:3584
	s_or_b64 exec, exec, s[2:3]
                                        ; implicit-def: $vgpr56_vgpr57
	s_and_saveexec_b64 s[2:3], s[16:17]
	s_cbranch_execnz .LBB446_50
.LBB446_68:
	s_or_b64 exec, exec, s[2:3]
                                        ; implicit-def: $vgpr58_vgpr59
	s_and_saveexec_b64 s[2:3], s[18:19]
	s_cbranch_execz .LBB446_51
.LBB446_69:
	v_lshlrev_b32_e32 v1, 3, v60
	v_mov_b32_e32 v59, s51
	v_add_co_u32_e32 v58, vcc, s7, v1
	v_addc_co_u32_e32 v59, vcc, 0, v59, vcc
	flat_load_dwordx2 v[58:59], v[58:59]
	s_or_b64 exec, exec, s[2:3]
                                        ; implicit-def: $vgpr60_vgpr61
	s_and_saveexec_b64 s[2:3], s[20:21]
	s_cbranch_execnz .LBB446_52
.LBB446_70:
	s_or_b64 exec, exec, s[2:3]
                                        ; implicit-def: $vgpr62_vgpr63
	s_and_saveexec_b64 s[2:3], s[22:23]
	s_cbranch_execz .LBB446_53
.LBB446_71:
	v_lshlrev_b32_e32 v1, 3, v64
	v_mov_b32_e32 v63, s51
	v_add_co_u32_e32 v62, vcc, s7, v1
	v_addc_co_u32_e32 v63, vcc, 0, v63, vcc
	flat_load_dwordx2 v[62:63], v[62:63]
	s_or_b64 exec, exec, s[2:3]
                                        ; implicit-def: $vgpr64_vgpr65
	s_and_saveexec_b64 s[2:3], s[24:25]
	s_cbranch_execnz .LBB446_54
.LBB446_72:
	s_or_b64 exec, exec, s[2:3]
                                        ; implicit-def: $vgpr66_vgpr67
	s_and_saveexec_b64 s[2:3], s[26:27]
	s_cbranch_execz .LBB446_55
.LBB446_73:
	v_lshlrev_b32_e32 v1, 3, v68
	v_mov_b32_e32 v67, s51
	v_add_co_u32_e32 v66, vcc, s7, v1
	v_addc_co_u32_e32 v67, vcc, 0, v67, vcc
	flat_load_dwordx2 v[66:67], v[66:67]
	s_or_b64 exec, exec, s[2:3]
                                        ; implicit-def: $vgpr68_vgpr69
	s_and_saveexec_b64 s[2:3], s[28:29]
	s_cbranch_execnz .LBB446_56
.LBB446_74:
	s_or_b64 exec, exec, s[2:3]
                                        ; implicit-def: $vgpr70_vgpr71
	s_and_saveexec_b64 s[2:3], s[30:31]
	s_cbranch_execz .LBB446_57
.LBB446_75:
	v_lshlrev_b32_e32 v1, 3, v72
	v_mov_b32_e32 v71, s51
	v_add_co_u32_e32 v70, vcc, s7, v1
	v_addc_co_u32_e32 v71, vcc, 0, v71, vcc
	flat_load_dwordx2 v[70:71], v[70:71]
	s_or_b64 exec, exec, s[2:3]
                                        ; implicit-def: $vgpr72_vgpr73
	s_and_saveexec_b64 s[2:3], s[34:35]
	s_cbranch_execnz .LBB446_58
.LBB446_76:
	s_or_b64 exec, exec, s[2:3]
                                        ; implicit-def: $vgpr74_vgpr75
	s_and_saveexec_b64 s[2:3], s[36:37]
	s_cbranch_execz .LBB446_78
.LBB446_77:
	v_lshlrev_b32_e32 v1, 3, v76
	v_mov_b32_e32 v75, s51
	v_add_co_u32_e32 v74, vcc, s7, v1
	v_addc_co_u32_e32 v75, vcc, 0, v75, vcc
	flat_load_dwordx2 v[74:75], v[74:75]
.LBB446_78:
	s_or_b64 exec, exec, s[2:3]
	v_mul_u32_u24_e32 v81, 19, v0
                                        ; implicit-def: $vgpr76_vgpr77
	s_and_saveexec_b64 s[2:3], s[38:39]
	s_cbranch_execz .LBB446_80
; %bb.79:
	v_lshlrev_b32_e32 v1, 3, v82
	v_mov_b32_e32 v77, s51
	v_add_co_u32_e32 v76, vcc, s7, v1
	v_addc_co_u32_e32 v77, vcc, 0, v77, vcc
	flat_load_dwordx2 v[76:77], v[76:77]
.LBB446_80:
	s_or_b64 exec, exec, s[2:3]
	s_waitcnt vmcnt(0) lgkmcnt(0)
	ds_write2st64_b64 v83, v[38:39], v[42:43] offset1:1
	ds_write2st64_b64 v83, v[44:45], v[46:47] offset0:2 offset1:3
	ds_write2st64_b64 v83, v[48:49], v[50:51] offset0:4 offset1:5
	;; [unrolled: 1-line block ×8, first 2 shown]
	ds_write_b64 v83, v[76:77] offset:9216
	v_pk_mov_b32 v[74:75], 0, 0
	v_cmp_gt_u32_e32 vcc, s70, v81
	s_mov_b64 s[10:11], 0
	s_mov_b32 s72, 0
	s_mov_b64 s[2:3], 0
	v_mov_b32_e32 v99, 0
	v_pk_mov_b32 v[42:43], v[74:75], v[74:75] op_sel:[0,1]
	v_mov_b32_e32 v112, 0
	v_pk_mov_b32 v[72:73], v[74:75], v[74:75] op_sel:[0,1]
	;; [unrolled: 2-line block ×17, first 2 shown]
	v_mov_b32_e32 v1, 0
	s_waitcnt lgkmcnt(0)
	; wave barrier
	s_waitcnt lgkmcnt(0)
                                        ; implicit-def: $sgpr8_sgpr9
                                        ; implicit-def: $vgpr76_vgpr77
	s_and_saveexec_b64 s[4:5], vcc
	s_cbranch_execz .LBB446_118
; %bb.81:
	ds_read_b64 v[38:39], v80
	v_cmp_ne_u64_e32 vcc, v[40:41], v[34:35]
	v_mov_b32_e32 v40, s65
	v_add_u32_e32 v42, 1, v81
	v_cndmask_b32_e64 v1, 0, 1, vcc
	s_waitcnt lgkmcnt(0)
	v_cndmask_b32_e32 v75, v39, v40, vcc
	v_mov_b32_e32 v39, s64
	v_cndmask_b32_e32 v74, v38, v39, vcc
	v_cmp_gt_u32_e32 vcc, s70, v42
	v_pk_mov_b32 v[42:43], 0, 0
	s_mov_b64 s[12:13], 0
	v_mov_b32_e32 v99, 0
	v_mov_b32_e32 v112, 0
	v_pk_mov_b32 v[72:73], v[42:43], v[42:43] op_sel:[0,1]
	v_mov_b32_e32 v111, 0
	v_pk_mov_b32 v[70:71], v[42:43], v[42:43] op_sel:[0,1]
	v_mov_b32_e32 v110, 0
	v_pk_mov_b32 v[68:69], v[42:43], v[42:43] op_sel:[0,1]
	v_mov_b32_e32 v109, 0
	v_pk_mov_b32 v[66:67], v[42:43], v[42:43] op_sel:[0,1]
	v_mov_b32_e32 v108, 0
	v_pk_mov_b32 v[64:65], v[42:43], v[42:43] op_sel:[0,1]
	v_mov_b32_e32 v107, 0
	v_pk_mov_b32 v[62:63], v[42:43], v[42:43] op_sel:[0,1]
	v_mov_b32_e32 v106, 0
	v_pk_mov_b32 v[60:61], v[42:43], v[42:43] op_sel:[0,1]
	v_mov_b32_e32 v105, 0
	v_pk_mov_b32 v[58:59], v[42:43], v[42:43] op_sel:[0,1]
	v_mov_b32_e32 v104, 0
	v_pk_mov_b32 v[44:45], v[42:43], v[42:43] op_sel:[0,1]
	v_mov_b32_e32 v103, 0
	v_pk_mov_b32 v[56:57], v[42:43], v[42:43] op_sel:[0,1]
	v_mov_b32_e32 v102, 0
	v_pk_mov_b32 v[52:53], v[42:43], v[42:43] op_sel:[0,1]
	v_mov_b32_e32 v101, 0
	v_pk_mov_b32 v[50:51], v[42:43], v[42:43] op_sel:[0,1]
	v_mov_b32_e32 v100, 0
	v_pk_mov_b32 v[54:55], v[42:43], v[42:43] op_sel:[0,1]
	v_mov_b32_e32 v98, 0
	v_pk_mov_b32 v[48:49], v[42:43], v[42:43] op_sel:[0,1]
	v_mov_b32_e32 v97, 0
	v_pk_mov_b32 v[46:47], v[42:43], v[42:43] op_sel:[0,1]
	v_mov_b32_e32 v96, 0
	v_pk_mov_b32 v[38:39], v[42:43], v[42:43] op_sel:[0,1]
                                        ; implicit-def: $sgpr14_sgpr15
                                        ; implicit-def: $vgpr76_vgpr77
	s_and_saveexec_b64 s[8:9], vcc
	s_cbranch_execz .LBB446_117
; %bb.82:
	ds_read2_b64 v[38:41], v80 offset0:1 offset1:2
	v_cmp_ne_u64_e32 vcc, v[34:35], v[36:37]
	v_mov_b32_e32 v34, s65
	v_add_u32_e32 v42, 2, v81
	v_cndmask_b32_e64 v96, 0, 1, vcc
	s_waitcnt lgkmcnt(0)
	v_cndmask_b32_e32 v39, v39, v34, vcc
	v_mov_b32_e32 v34, s64
	v_cndmask_b32_e32 v38, v38, v34, vcc
	v_cmp_gt_u32_e32 vcc, s70, v42
	v_pk_mov_b32 v[42:43], 0, 0
	s_mov_b64 s[14:15], 0
	v_mov_b32_e32 v99, 0
	v_mov_b32_e32 v112, 0
	v_pk_mov_b32 v[72:73], v[42:43], v[42:43] op_sel:[0,1]
	v_mov_b32_e32 v111, 0
	v_pk_mov_b32 v[70:71], v[42:43], v[42:43] op_sel:[0,1]
	;; [unrolled: 2-line block ×15, first 2 shown]
                                        ; implicit-def: $sgpr16_sgpr17
                                        ; implicit-def: $vgpr76_vgpr77
	s_and_saveexec_b64 s[10:11], vcc
	s_cbranch_execz .LBB446_116
; %bb.83:
	v_cmp_ne_u64_e32 vcc, v[36:37], v[30:31]
	v_mov_b32_e32 v35, s65
	v_add_u32_e32 v34, 3, v81
	v_cndmask_b32_e32 v47, v41, v35, vcc
	v_mov_b32_e32 v35, s64
	v_pk_mov_b32 v[42:43], 0, 0
	v_cndmask_b32_e64 v97, 0, 1, vcc
	v_cndmask_b32_e32 v46, v40, v35, vcc
	v_cmp_gt_u32_e32 vcc, s70, v34
	s_mov_b64 s[16:17], 0
	v_mov_b32_e32 v99, 0
	v_mov_b32_e32 v112, 0
	v_pk_mov_b32 v[72:73], v[42:43], v[42:43] op_sel:[0,1]
	v_mov_b32_e32 v111, 0
	v_pk_mov_b32 v[70:71], v[42:43], v[42:43] op_sel:[0,1]
	v_mov_b32_e32 v110, 0
	v_pk_mov_b32 v[68:69], v[42:43], v[42:43] op_sel:[0,1]
	v_mov_b32_e32 v109, 0
	v_pk_mov_b32 v[66:67], v[42:43], v[42:43] op_sel:[0,1]
	v_mov_b32_e32 v108, 0
	v_pk_mov_b32 v[64:65], v[42:43], v[42:43] op_sel:[0,1]
	v_mov_b32_e32 v107, 0
	v_pk_mov_b32 v[62:63], v[42:43], v[42:43] op_sel:[0,1]
	v_mov_b32_e32 v106, 0
	v_pk_mov_b32 v[60:61], v[42:43], v[42:43] op_sel:[0,1]
	v_mov_b32_e32 v105, 0
	v_pk_mov_b32 v[58:59], v[42:43], v[42:43] op_sel:[0,1]
	v_mov_b32_e32 v104, 0
	v_pk_mov_b32 v[44:45], v[42:43], v[42:43] op_sel:[0,1]
	v_mov_b32_e32 v103, 0
	v_pk_mov_b32 v[56:57], v[42:43], v[42:43] op_sel:[0,1]
	v_mov_b32_e32 v102, 0
	v_pk_mov_b32 v[52:53], v[42:43], v[42:43] op_sel:[0,1]
	v_mov_b32_e32 v101, 0
	v_pk_mov_b32 v[50:51], v[42:43], v[42:43] op_sel:[0,1]
	v_mov_b32_e32 v100, 0
	v_pk_mov_b32 v[54:55], v[42:43], v[42:43] op_sel:[0,1]
	v_mov_b32_e32 v98, 0
	v_pk_mov_b32 v[48:49], v[42:43], v[42:43] op_sel:[0,1]
                                        ; implicit-def: $sgpr18_sgpr19
                                        ; implicit-def: $vgpr76_vgpr77
	s_and_saveexec_b64 s[12:13], vcc
	s_cbranch_execz .LBB446_115
; %bb.84:
	ds_read2_b64 v[34:37], v80 offset0:3 offset1:4
	v_cmp_ne_u64_e32 vcc, v[30:31], v[32:33]
	v_mov_b32_e32 v30, s65
	v_add_u32_e32 v40, 4, v81
	v_pk_mov_b32 v[42:43], 0, 0
	s_waitcnt lgkmcnt(0)
	v_cndmask_b32_e32 v49, v35, v30, vcc
	v_mov_b32_e32 v30, s64
	v_cndmask_b32_e64 v98, 0, 1, vcc
	v_cndmask_b32_e32 v48, v34, v30, vcc
	v_cmp_gt_u32_e32 vcc, s70, v40
	s_mov_b64 s[18:19], 0
	v_mov_b32_e32 v99, 0
	v_mov_b32_e32 v112, 0
	v_pk_mov_b32 v[72:73], v[42:43], v[42:43] op_sel:[0,1]
	v_mov_b32_e32 v111, 0
	v_pk_mov_b32 v[70:71], v[42:43], v[42:43] op_sel:[0,1]
	;; [unrolled: 2-line block ×13, first 2 shown]
                                        ; implicit-def: $sgpr20_sgpr21
                                        ; implicit-def: $vgpr76_vgpr77
	s_and_saveexec_b64 s[14:15], vcc
	s_cbranch_execz .LBB446_114
; %bb.85:
	v_cmp_ne_u64_e32 vcc, v[32:33], v[26:27]
	v_mov_b32_e32 v31, s65
	v_add_u32_e32 v30, 5, v81
	v_cndmask_b32_e32 v55, v37, v31, vcc
	v_mov_b32_e32 v31, s64
	v_pk_mov_b32 v[42:43], 0, 0
	v_cndmask_b32_e64 v100, 0, 1, vcc
	v_cndmask_b32_e32 v54, v36, v31, vcc
	v_cmp_gt_u32_e32 vcc, s70, v30
	s_mov_b64 s[20:21], 0
	v_mov_b32_e32 v99, 0
	v_mov_b32_e32 v112, 0
	v_pk_mov_b32 v[72:73], v[42:43], v[42:43] op_sel:[0,1]
	v_mov_b32_e32 v111, 0
	v_pk_mov_b32 v[70:71], v[42:43], v[42:43] op_sel:[0,1]
	;; [unrolled: 2-line block ×12, first 2 shown]
                                        ; implicit-def: $sgpr22_sgpr23
                                        ; implicit-def: $vgpr76_vgpr77
	s_and_saveexec_b64 s[16:17], vcc
	s_cbranch_execz .LBB446_113
; %bb.86:
	ds_read2_b64 v[30:33], v80 offset0:5 offset1:6
	v_cmp_ne_u64_e32 vcc, v[26:27], v[28:29]
	v_mov_b32_e32 v26, s65
	v_add_u32_e32 v34, 6, v81
	v_pk_mov_b32 v[42:43], 0, 0
	s_waitcnt lgkmcnt(0)
	v_cndmask_b32_e32 v51, v31, v26, vcc
	v_mov_b32_e32 v26, s64
	v_cndmask_b32_e64 v101, 0, 1, vcc
	v_cndmask_b32_e32 v50, v30, v26, vcc
	v_cmp_gt_u32_e32 vcc, s70, v34
	s_mov_b64 s[22:23], 0
	v_mov_b32_e32 v99, 0
	v_mov_b32_e32 v112, 0
	v_pk_mov_b32 v[72:73], v[42:43], v[42:43] op_sel:[0,1]
	v_mov_b32_e32 v111, 0
	v_pk_mov_b32 v[70:71], v[42:43], v[42:43] op_sel:[0,1]
	;; [unrolled: 2-line block ×11, first 2 shown]
                                        ; implicit-def: $sgpr24_sgpr25
                                        ; implicit-def: $vgpr76_vgpr77
	s_and_saveexec_b64 s[18:19], vcc
	s_cbranch_execz .LBB446_112
; %bb.87:
	v_cmp_ne_u64_e32 vcc, v[28:29], v[22:23]
	v_mov_b32_e32 v27, s65
	v_add_u32_e32 v26, 7, v81
	v_cndmask_b32_e32 v53, v33, v27, vcc
	v_mov_b32_e32 v27, s64
	v_pk_mov_b32 v[42:43], 0, 0
	v_cndmask_b32_e64 v102, 0, 1, vcc
	v_cndmask_b32_e32 v52, v32, v27, vcc
	v_cmp_gt_u32_e32 vcc, s70, v26
	s_mov_b64 s[24:25], 0
	v_mov_b32_e32 v99, 0
	v_mov_b32_e32 v112, 0
	v_pk_mov_b32 v[72:73], v[42:43], v[42:43] op_sel:[0,1]
	v_mov_b32_e32 v111, 0
	v_pk_mov_b32 v[70:71], v[42:43], v[42:43] op_sel:[0,1]
	;; [unrolled: 2-line block ×10, first 2 shown]
                                        ; implicit-def: $sgpr26_sgpr27
                                        ; implicit-def: $vgpr76_vgpr77
	s_and_saveexec_b64 s[20:21], vcc
	s_cbranch_execz .LBB446_111
; %bb.88:
	ds_read2_b64 v[26:29], v80 offset0:7 offset1:8
	v_cmp_ne_u64_e32 vcc, v[22:23], v[24:25]
	v_mov_b32_e32 v22, s65
	v_add_u32_e32 v30, 8, v81
	v_pk_mov_b32 v[42:43], 0, 0
	s_waitcnt lgkmcnt(0)
	v_cndmask_b32_e32 v57, v27, v22, vcc
	v_mov_b32_e32 v22, s64
	v_cndmask_b32_e64 v103, 0, 1, vcc
	v_cndmask_b32_e32 v56, v26, v22, vcc
	v_cmp_gt_u32_e32 vcc, s70, v30
	s_mov_b64 s[26:27], 0
	v_mov_b32_e32 v99, 0
	v_mov_b32_e32 v112, 0
	v_pk_mov_b32 v[72:73], v[42:43], v[42:43] op_sel:[0,1]
	v_mov_b32_e32 v111, 0
	v_pk_mov_b32 v[70:71], v[42:43], v[42:43] op_sel:[0,1]
	;; [unrolled: 2-line block ×9, first 2 shown]
                                        ; implicit-def: $sgpr28_sgpr29
                                        ; implicit-def: $vgpr76_vgpr77
	s_and_saveexec_b64 s[22:23], vcc
	s_cbranch_execz .LBB446_110
; %bb.89:
	v_cmp_ne_u64_e32 vcc, v[24:25], v[18:19]
	v_mov_b32_e32 v23, s65
	v_add_u32_e32 v22, 9, v81
	v_cndmask_b32_e32 v45, v29, v23, vcc
	v_mov_b32_e32 v23, s64
	v_pk_mov_b32 v[42:43], 0, 0
	v_cndmask_b32_e64 v104, 0, 1, vcc
	v_cndmask_b32_e32 v44, v28, v23, vcc
	v_cmp_gt_u32_e32 vcc, s70, v22
	s_mov_b64 s[28:29], 0
	v_mov_b32_e32 v99, 0
	v_mov_b32_e32 v112, 0
	v_pk_mov_b32 v[72:73], v[42:43], v[42:43] op_sel:[0,1]
	v_mov_b32_e32 v111, 0
	v_pk_mov_b32 v[70:71], v[42:43], v[42:43] op_sel:[0,1]
	;; [unrolled: 2-line block ×8, first 2 shown]
                                        ; implicit-def: $sgpr30_sgpr31
                                        ; implicit-def: $vgpr76_vgpr77
	s_and_saveexec_b64 s[24:25], vcc
	s_cbranch_execz .LBB446_109
; %bb.90:
	ds_read2_b64 v[22:25], v80 offset0:9 offset1:10
	v_cmp_ne_u64_e32 vcc, v[18:19], v[20:21]
	v_mov_b32_e32 v18, s65
	v_add_u32_e32 v26, 10, v81
	v_pk_mov_b32 v[42:43], 0, 0
	s_waitcnt lgkmcnt(0)
	v_cndmask_b32_e32 v59, v23, v18, vcc
	v_mov_b32_e32 v18, s64
	v_cndmask_b32_e64 v105, 0, 1, vcc
	v_cndmask_b32_e32 v58, v22, v18, vcc
	v_cmp_gt_u32_e32 vcc, s70, v26
	s_mov_b64 s[30:31], 0
	v_mov_b32_e32 v99, 0
	v_mov_b32_e32 v112, 0
	v_pk_mov_b32 v[72:73], v[42:43], v[42:43] op_sel:[0,1]
	v_mov_b32_e32 v111, 0
	v_pk_mov_b32 v[70:71], v[42:43], v[42:43] op_sel:[0,1]
	;; [unrolled: 2-line block ×7, first 2 shown]
                                        ; implicit-def: $sgpr34_sgpr35
                                        ; implicit-def: $vgpr76_vgpr77
	s_and_saveexec_b64 s[26:27], vcc
	s_cbranch_execz .LBB446_108
; %bb.91:
	v_cmp_ne_u64_e32 vcc, v[20:21], v[14:15]
	v_mov_b32_e32 v19, s65
	v_add_u32_e32 v18, 11, v81
	v_cndmask_b32_e32 v61, v25, v19, vcc
	v_mov_b32_e32 v19, s64
	v_pk_mov_b32 v[42:43], 0, 0
	v_cndmask_b32_e64 v106, 0, 1, vcc
	v_cndmask_b32_e32 v60, v24, v19, vcc
	v_cmp_gt_u32_e32 vcc, s70, v18
	s_mov_b64 s[34:35], 0
	v_mov_b32_e32 v99, 0
	v_mov_b32_e32 v112, 0
	v_pk_mov_b32 v[72:73], v[42:43], v[42:43] op_sel:[0,1]
	v_mov_b32_e32 v111, 0
	v_pk_mov_b32 v[70:71], v[42:43], v[42:43] op_sel:[0,1]
	;; [unrolled: 2-line block ×6, first 2 shown]
                                        ; implicit-def: $sgpr36_sgpr37
                                        ; implicit-def: $vgpr76_vgpr77
	s_and_saveexec_b64 s[28:29], vcc
	s_cbranch_execz .LBB446_107
; %bb.92:
	ds_read2_b64 v[18:21], v80 offset0:11 offset1:12
	v_cmp_ne_u64_e32 vcc, v[14:15], v[16:17]
	v_mov_b32_e32 v14, s65
	v_add_u32_e32 v22, 12, v81
	v_pk_mov_b32 v[42:43], 0, 0
	s_waitcnt lgkmcnt(0)
	v_cndmask_b32_e32 v63, v19, v14, vcc
	v_mov_b32_e32 v14, s64
	v_cndmask_b32_e64 v107, 0, 1, vcc
	v_cndmask_b32_e32 v62, v18, v14, vcc
	v_cmp_gt_u32_e32 vcc, s70, v22
	s_mov_b64 s[36:37], 0
	v_mov_b32_e32 v99, 0
	v_mov_b32_e32 v112, 0
	v_pk_mov_b32 v[72:73], v[42:43], v[42:43] op_sel:[0,1]
	v_mov_b32_e32 v111, 0
	v_pk_mov_b32 v[70:71], v[42:43], v[42:43] op_sel:[0,1]
	;; [unrolled: 2-line block ×5, first 2 shown]
                                        ; implicit-def: $sgpr38_sgpr39
                                        ; implicit-def: $vgpr76_vgpr77
	s_and_saveexec_b64 s[30:31], vcc
	s_cbranch_execz .LBB446_106
; %bb.93:
	v_cmp_ne_u64_e32 vcc, v[16:17], v[10:11]
	v_mov_b32_e32 v15, s65
	v_add_u32_e32 v14, 13, v81
	v_cndmask_b32_e32 v65, v21, v15, vcc
	v_mov_b32_e32 v15, s64
	v_pk_mov_b32 v[42:43], 0, 0
	v_cndmask_b32_e64 v108, 0, 1, vcc
	v_cndmask_b32_e32 v64, v20, v15, vcc
	v_cmp_gt_u32_e32 vcc, s70, v14
	s_mov_b64 s[38:39], 0
	v_mov_b32_e32 v99, 0
	v_mov_b32_e32 v112, 0
	v_pk_mov_b32 v[72:73], v[42:43], v[42:43] op_sel:[0,1]
	v_mov_b32_e32 v111, 0
	v_pk_mov_b32 v[70:71], v[42:43], v[42:43] op_sel:[0,1]
	;; [unrolled: 2-line block ×4, first 2 shown]
                                        ; implicit-def: $sgpr40_sgpr41
                                        ; implicit-def: $vgpr76_vgpr77
	s_and_saveexec_b64 s[34:35], vcc
	s_cbranch_execz .LBB446_105
; %bb.94:
	ds_read2_b64 v[14:17], v80 offset0:13 offset1:14
	v_cmp_ne_u64_e32 vcc, v[10:11], v[12:13]
	v_mov_b32_e32 v10, s65
	v_add_u32_e32 v18, 14, v81
	v_pk_mov_b32 v[42:43], 0, 0
	s_waitcnt lgkmcnt(0)
	v_cndmask_b32_e32 v67, v15, v10, vcc
	v_mov_b32_e32 v10, s64
	v_cndmask_b32_e64 v109, 0, 1, vcc
	v_cndmask_b32_e32 v66, v14, v10, vcc
	v_cmp_gt_u32_e32 vcc, s70, v18
	s_mov_b64 s[40:41], 0
	v_mov_b32_e32 v99, 0
	v_mov_b32_e32 v112, 0
	v_pk_mov_b32 v[72:73], v[42:43], v[42:43] op_sel:[0,1]
	v_mov_b32_e32 v111, 0
	v_pk_mov_b32 v[70:71], v[42:43], v[42:43] op_sel:[0,1]
	;; [unrolled: 2-line block ×3, first 2 shown]
                                        ; implicit-def: $sgpr42_sgpr43
                                        ; implicit-def: $vgpr76_vgpr77
	s_and_saveexec_b64 s[36:37], vcc
	s_cbranch_execz .LBB446_104
; %bb.95:
	v_cmp_ne_u64_e32 vcc, v[12:13], v[6:7]
	v_mov_b32_e32 v11, s65
	v_add_u32_e32 v10, 15, v81
	v_cndmask_b32_e32 v69, v17, v11, vcc
	v_mov_b32_e32 v11, s64
	v_pk_mov_b32 v[42:43], 0, 0
	v_cndmask_b32_e64 v110, 0, 1, vcc
	v_cndmask_b32_e32 v68, v16, v11, vcc
	v_cmp_gt_u32_e32 vcc, s70, v10
	s_mov_b64 s[42:43], 0
	v_mov_b32_e32 v99, 0
	v_mov_b32_e32 v112, 0
	v_pk_mov_b32 v[72:73], v[42:43], v[42:43] op_sel:[0,1]
	v_mov_b32_e32 v111, 0
	v_pk_mov_b32 v[70:71], v[42:43], v[42:43] op_sel:[0,1]
                                        ; implicit-def: $sgpr60_sgpr61
                                        ; implicit-def: $vgpr76_vgpr77
	s_and_saveexec_b64 s[38:39], vcc
	s_cbranch_execz .LBB446_103
; %bb.96:
	ds_read2_b64 v[10:13], v80 offset0:15 offset1:16
	v_cmp_ne_u64_e32 vcc, v[6:7], v[8:9]
	v_mov_b32_e32 v6, s65
	v_add_u32_e32 v14, 16, v81
	v_pk_mov_b32 v[42:43], 0, 0
	s_waitcnt lgkmcnt(0)
	v_cndmask_b32_e32 v71, v11, v6, vcc
	v_mov_b32_e32 v6, s64
	v_cndmask_b32_e64 v111, 0, 1, vcc
	v_cndmask_b32_e32 v70, v10, v6, vcc
	v_cmp_gt_u32_e32 vcc, s70, v14
	s_mov_b64 s[60:61], 0
	v_mov_b32_e32 v99, 0
	v_mov_b32_e32 v112, 0
	v_pk_mov_b32 v[72:73], v[42:43], v[42:43] op_sel:[0,1]
                                        ; implicit-def: $sgpr68_sgpr69
                                        ; implicit-def: $vgpr76_vgpr77
	s_and_saveexec_b64 s[40:41], vcc
	s_cbranch_execz .LBB446_102
; %bb.97:
	v_cmp_ne_u64_e32 vcc, v[8:9], v[2:3]
	v_mov_b32_e32 v7, s65
	v_add_u32_e32 v6, 17, v81
	v_cndmask_b32_e32 v73, v13, v7, vcc
	v_mov_b32_e32 v7, s64
	v_cndmask_b32_e64 v112, 0, 1, vcc
	v_cndmask_b32_e32 v72, v12, v7, vcc
	v_cmp_gt_u32_e32 vcc, s70, v6
	v_mov_b32_e32 v99, 0
	v_pk_mov_b32 v[42:43], 0, 0
                                        ; implicit-def: $sgpr68_sgpr69
                                        ; implicit-def: $vgpr76_vgpr77
	s_and_saveexec_b64 s[42:43], vcc
	s_cbranch_execz .LBB446_101
; %bb.98:
	ds_read2_b64 v[6:9], v80 offset0:17 offset1:18
	v_cmp_ne_u64_e32 vcc, v[2:3], v[4:5]
	v_mov_b32_e32 v2, s65
	v_add_u32_e32 v10, 18, v81
	v_cndmask_b32_e64 v99, 0, 1, vcc
	s_waitcnt lgkmcnt(0)
	v_cndmask_b32_e32 v43, v7, v2, vcc
	v_mov_b32_e32 v2, s64
	v_cndmask_b32_e32 v42, v6, v2, vcc
	v_cmp_gt_u32_e32 vcc, s70, v10
                                        ; implicit-def: $sgpr68_sgpr69
                                        ; implicit-def: $vgpr76_vgpr77
	s_and_saveexec_b64 s[70:71], vcc
	s_xor_b64 s[70:71], exec, s[70:71]
; %bb.99:
	v_mov_b32_e32 v2, s65
	v_cmp_ne_u64_e32 vcc, v[4:5], v[78:79]
	v_cndmask_b32_e32 v77, v9, v2, vcc
	v_mov_b32_e32 v2, s64
	s_mov_b64 s[60:61], exec
	v_cndmask_b32_e32 v76, v8, v2, vcc
	s_and_b64 s[68:69], vcc, exec
; %bb.100:
	s_or_b64 exec, exec, s[70:71]
	s_and_b64 s[68:69], s[68:69], exec
	s_and_b64 s[60:61], s[60:61], exec
.LBB446_101:
	s_or_b64 exec, exec, s[42:43]
	s_and_b64 s[68:69], s[68:69], exec
	s_and_b64 s[42:43], s[60:61], exec
.LBB446_102:
	s_or_b64 exec, exec, s[40:41]
	s_and_b64 s[60:61], s[68:69], exec
	s_and_b64 s[40:41], s[42:43], exec
.LBB446_103:
	s_or_b64 exec, exec, s[38:39]
	s_and_b64 s[42:43], s[60:61], exec
	s_and_b64 s[38:39], s[40:41], exec
.LBB446_104:
	s_or_b64 exec, exec, s[36:37]
	s_and_b64 s[40:41], s[42:43], exec
	s_and_b64 s[36:37], s[38:39], exec
.LBB446_105:
	s_or_b64 exec, exec, s[34:35]
	s_and_b64 s[38:39], s[40:41], exec
	s_and_b64 s[34:35], s[36:37], exec
.LBB446_106:
	s_or_b64 exec, exec, s[30:31]
	s_and_b64 s[36:37], s[38:39], exec
	s_and_b64 s[30:31], s[34:35], exec
.LBB446_107:
	s_or_b64 exec, exec, s[28:29]
	s_and_b64 s[34:35], s[36:37], exec
	s_and_b64 s[28:29], s[30:31], exec
.LBB446_108:
	s_or_b64 exec, exec, s[26:27]
	s_and_b64 s[30:31], s[34:35], exec
	s_and_b64 s[26:27], s[28:29], exec
.LBB446_109:
	s_or_b64 exec, exec, s[24:25]
	s_and_b64 s[28:29], s[30:31], exec
	s_and_b64 s[24:25], s[26:27], exec
.LBB446_110:
	s_or_b64 exec, exec, s[22:23]
	s_and_b64 s[26:27], s[28:29], exec
	s_and_b64 s[22:23], s[24:25], exec
.LBB446_111:
	s_or_b64 exec, exec, s[20:21]
	s_and_b64 s[24:25], s[26:27], exec
	s_and_b64 s[20:21], s[22:23], exec
.LBB446_112:
	s_or_b64 exec, exec, s[18:19]
	s_and_b64 s[22:23], s[24:25], exec
	s_and_b64 s[18:19], s[20:21], exec
.LBB446_113:
	s_or_b64 exec, exec, s[16:17]
	s_and_b64 s[20:21], s[22:23], exec
	s_and_b64 s[16:17], s[18:19], exec
.LBB446_114:
	s_or_b64 exec, exec, s[14:15]
	s_and_b64 s[18:19], s[20:21], exec
	s_and_b64 s[14:15], s[16:17], exec
.LBB446_115:
	s_or_b64 exec, exec, s[12:13]
	s_and_b64 s[16:17], s[18:19], exec
	s_and_b64 s[12:13], s[14:15], exec
.LBB446_116:
	s_or_b64 exec, exec, s[10:11]
	s_and_b64 s[14:15], s[16:17], exec
	s_and_b64 s[10:11], s[12:13], exec
.LBB446_117:
	s_or_b64 exec, exec, s[8:9]
	s_and_b64 s[8:9], s[14:15], exec
	s_and_b64 s[10:11], s[10:11], exec
.LBB446_118:
	s_or_b64 exec, exec, s[4:5]
	s_mov_b64 s[4:5], 0
	s_and_b64 vcc, exec, s[2:3]
	v_lshlrev_b32_e32 v113, 3, v0
	s_cbranch_vccz .LBB446_124
.LBB446_119:
	v_mov_b32_e32 v1, s57
	v_add_co_u32_e32 v2, vcc, s56, v113
	v_addc_co_u32_e32 v3, vcc, 0, v1, vcc
	v_add_co_u32_e32 v20, vcc, 0x1000, v2
	v_addc_co_u32_e32 v21, vcc, 0, v3, vcc
	flat_load_dwordx2 v[4:5], v[2:3]
	flat_load_dwordx2 v[6:7], v[2:3] offset:512
	flat_load_dwordx2 v[8:9], v[2:3] offset:1024
	;; [unrolled: 1-line block ×7, first 2 shown]
	v_add_co_u32_e32 v2, vcc, 0x2000, v2
	v_addc_co_u32_e32 v3, vcc, 0, v3, vcc
	flat_load_dwordx2 v[22:23], v[20:21]
	flat_load_dwordx2 v[24:25], v[20:21] offset:512
	flat_load_dwordx2 v[26:27], v[20:21] offset:1024
	;; [unrolled: 1-line block ×7, first 2 shown]
	s_nop 0
	flat_load_dwordx2 v[20:21], v[2:3]
	flat_load_dwordx2 v[38:39], v[2:3] offset:512
	flat_load_dwordx2 v[40:41], v[2:3] offset:1024
	v_mov_b32_e32 v1, s56
	v_mov_b32_e32 v3, s57
	v_add_co_u32_e32 v2, vcc, 0x2000, v1
	v_addc_co_u32_e32 v3, vcc, 0, v3, vcc
	s_movk_i32 s2, 0x90
	v_mad_u32_u24 v1, v0, s2, v113
	s_movk_i32 s2, 0xff70
	s_movk_i32 s5, 0x1000
	;; [unrolled: 1-line block ×3, first 2 shown]
	v_cmp_ne_u32_e32 vcc, 63, v0
	s_waitcnt vmcnt(0) lgkmcnt(0)
	ds_write2st64_b64 v113, v[4:5], v[6:7] offset1:1
	ds_write2st64_b64 v113, v[8:9], v[10:11] offset0:2 offset1:3
	ds_write2st64_b64 v113, v[12:13], v[14:15] offset0:4 offset1:5
	;; [unrolled: 1-line block ×8, first 2 shown]
	ds_write_b64 v113, v[40:41] offset:9216
	s_waitcnt lgkmcnt(0)
	; wave barrier
	s_waitcnt lgkmcnt(0)
	flat_load_dwordx2 v[76:77], v[2:3] offset:1536
	v_mad_i32_i24 v6, v0, s2, v1
	ds_read_b64 v[74:75], v1
	ds_read2_b64 v[70:73], v1 offset0:1 offset1:2
	ds_read2_b64 v[62:65], v1 offset0:3 offset1:4
	;; [unrolled: 1-line block ×9, first 2 shown]
	s_waitcnt lgkmcnt(0)
	ds_write_b64 v6, v[74:75] offset:10240
	s_waitcnt lgkmcnt(0)
	; wave barrier
	s_waitcnt lgkmcnt(0)
	s_and_saveexec_b64 s[2:3], vcc
	s_cbranch_execz .LBB446_121
; %bb.120:
	s_waitcnt vmcnt(0)
	ds_read_b64 v[76:77], v113 offset:10248
.LBB446_121:
	s_or_b64 exec, exec, s[2:3]
	v_mov_b32_e32 v7, s51
	v_add_co_u32_e32 v6, vcc, s7, v113
	v_addc_co_u32_e32 v7, vcc, 0, v7, vcc
	v_add_co_u32_e32 v36, vcc, s5, v6
	v_addc_co_u32_e32 v37, vcc, 0, v7, vcc
	s_waitcnt lgkmcnt(0)
	; wave barrier
	s_waitcnt lgkmcnt(0)
	flat_load_dwordx2 v[8:9], v[6:7]
	flat_load_dwordx2 v[14:15], v[6:7] offset:512
	flat_load_dwordx2 v[16:17], v[6:7] offset:1024
	;; [unrolled: 1-line block ×7, first 2 shown]
	v_add_co_u32_e32 v6, vcc, s4, v6
	v_addc_co_u32_e32 v7, vcc, 0, v7, vcc
	flat_load_dwordx2 v[42:43], v[36:37]
	flat_load_dwordx2 v[44:45], v[36:37] offset:512
	flat_load_dwordx2 v[50:51], v[36:37] offset:1024
	;; [unrolled: 1-line block ×7, first 2 shown]
	s_nop 0
	flat_load_dwordx2 v[36:37], v[6:7]
	flat_load_dwordx2 v[78:79], v[6:7] offset:512
	flat_load_dwordx2 v[80:81], v[6:7] offset:1024
	v_cmp_ne_u64_e32 vcc, v[74:75], v[70:71]
	v_cmp_eq_u64_e64 s[2:3], v[74:75], v[70:71]
	v_pk_mov_b32 v[74:75], s[64:65], s[64:65] op_sel:[0,1]
	s_waitcnt vmcnt(0) lgkmcnt(0)
	ds_write2st64_b64 v113, v[8:9], v[14:15] offset1:1
	ds_write2st64_b64 v113, v[16:17], v[22:23] offset0:2 offset1:3
	ds_write2st64_b64 v113, v[24:25], v[30:31] offset0:4 offset1:5
	;; [unrolled: 1-line block ×8, first 2 shown]
	ds_write_b64 v113, v[80:81] offset:9216
	s_waitcnt lgkmcnt(0)
	; wave barrier
	s_waitcnt lgkmcnt(0)
	ds_read2_b64 v[66:69], v1 offset0:1 offset1:2
	ds_read2_b64 v[58:61], v1 offset0:3 offset1:4
	ds_read2_b64 v[50:53], v1 offset0:5 offset1:6
	ds_read2_b64 v[42:45], v1 offset0:7 offset1:8
	ds_read2_b64 v[34:37], v1 offset0:9 offset1:10
	ds_read2_b64 v[30:33], v1 offset0:11 offset1:12
	ds_read2_b64 v[22:25], v1 offset0:13 offset1:14
	ds_read2_b64 v[14:17], v1 offset0:15 offset1:16
	ds_read2_b64 v[6:9], v1 offset0:17 offset1:18
	s_and_saveexec_b64 s[4:5], s[2:3]
	s_cbranch_execz .LBB446_123
; %bb.122:
	ds_read_b64 v[74:75], v1
.LBB446_123:
	s_or_b64 exec, exec, s[4:5]
	v_cmp_ne_u64_e64 s[8:9], v[64:65], v[54:55]
	v_cmp_ne_u64_e64 s[34:35], v[12:13], v[2:3]
	;; [unrolled: 1-line block ×3, first 2 shown]
	v_mov_b32_e32 v2, s65
	v_mov_b32_e32 v3, s64
	v_cndmask_b32_e64 v1, 0, 1, vcc
	v_cmp_ne_u64_e32 vcc, v[70:71], v[72:73]
	v_cmp_ne_u64_e64 s[2:3], v[72:73], v[62:63]
	v_cmp_ne_u64_e64 s[4:5], v[62:63], v[64:65]
	v_cndmask_b32_e64 v100, 0, 1, s[8:9]
	v_cmp_ne_u64_e64 s[10:11], v[54:55], v[56:57]
	v_cmp_ne_u64_e64 s[12:13], v[56:57], v[46:47]
	;; [unrolled: 1-line block ×11, first 2 shown]
	s_waitcnt lgkmcnt(7)
	v_cndmask_b32_e64 v55, v61, v2, s[8:9]
	v_cndmask_b32_e64 v54, v60, v3, s[8:9]
	v_cmp_ne_u64_e64 s[8:9], v[4:5], v[76:77]
	v_cndmask_b32_e64 v96, 0, 1, vcc
	v_cndmask_b32_e64 v97, 0, 1, s[2:3]
	v_cndmask_b32_e64 v98, 0, 1, s[4:5]
	;; [unrolled: 1-line block ×15, first 2 shown]
	v_cndmask_b32_e32 v39, v67, v2, vcc
	v_cndmask_b32_e32 v38, v66, v3, vcc
	v_cndmask_b32_e64 v47, v69, v2, s[2:3]
	v_cndmask_b32_e64 v46, v68, v3, s[2:3]
	v_cndmask_b32_e64 v49, v59, v2, s[4:5]
	v_cndmask_b32_e64 v48, v58, v3, s[4:5]
	s_waitcnt lgkmcnt(6)
	v_cndmask_b32_e64 v51, v51, v2, s[10:11]
	v_cndmask_b32_e64 v50, v50, v3, s[10:11]
	v_cndmask_b32_e64 v53, v53, v2, s[12:13]
	v_cndmask_b32_e64 v52, v52, v3, s[12:13]
	s_waitcnt lgkmcnt(5)
	;; [unrolled: 5-line block ×7, first 2 shown]
	v_cndmask_b32_e64 v43, v7, v2, s[36:37]
	v_cndmask_b32_e64 v42, v6, v3, s[36:37]
	;; [unrolled: 1-line block ×4, first 2 shown]
	s_mov_b64 s[10:11], -1
                                        ; implicit-def: $sgpr72
                                        ; implicit-def: $sgpr4_sgpr5
.LBB446_124:
	v_pk_mov_b32 v[40:41], s[4:5], s[4:5] op_sel:[0,1]
	v_mov_b32_e32 v114, s72
	s_and_saveexec_b64 s[2:3], s[10:11]
; %bb.125:
	v_cndmask_b32_e64 v114, 0, 1, s[8:9]
	v_pk_mov_b32 v[40:41], v[76:77], v[76:77] op_sel:[0,1]
; %bb.126:
	s_or_b64 exec, exec, s[2:3]
	v_or_b32_e32 v2, v114, v99
	s_cmp_lg_u32 s6, 0
	v_or_b32_e32 v116, v2, v112
	v_mbcnt_lo_u32_b32 v115, -1, 0
	s_waitcnt lgkmcnt(0)
	; wave barrier
	s_waitcnt lgkmcnt(0)
	s_cbranch_scc0 .LBB446_189
; %bb.127:
	v_mov_b32_e32 v2, 0
	v_cmp_eq_u16_sdwa s[36:37], v96, v2 src0_sel:BYTE_0 src1_sel:DWORD
	v_cndmask_b32_e64 v4, 0, v74, s[36:37]
	v_cndmask_b32_e64 v3, 0, v75, s[36:37]
	v_add_co_u32_e32 v4, vcc, v4, v38
	v_cmp_eq_u16_sdwa s[34:35], v97, v2 src0_sel:BYTE_0 src1_sel:DWORD
	v_addc_co_u32_e32 v3, vcc, v3, v39, vcc
	v_cndmask_b32_e64 v4, 0, v4, s[34:35]
	v_cndmask_b32_e64 v3, 0, v3, s[34:35]
	v_add_co_u32_e32 v4, vcc, v4, v46
	v_cmp_eq_u16_sdwa s[30:31], v98, v2 src0_sel:BYTE_0 src1_sel:DWORD
	v_addc_co_u32_e32 v3, vcc, v3, v47, vcc
	;; [unrolled: 5-line block ×16, first 2 shown]
	v_cndmask_b32_e64 v4, 0, v4, s[2:3]
	v_cndmask_b32_e64 v3, 0, v3, s[2:3]
	v_add_co_u32_e32 v4, vcc, v4, v42
	v_addc_co_u32_e32 v3, vcc, v3, v43, vcc
	v_cmp_eq_u16_sdwa vcc, v114, v2 src0_sel:BYTE_0 src1_sel:DWORD
	v_cndmask_b32_e32 v2, 0, v4, vcc
	v_or_b32_e32 v4, v116, v111
	v_or_b32_e32 v4, v4, v110
	;; [unrolled: 1-line block ×15, first 2 shown]
	v_cndmask_b32_e32 v3, 0, v3, vcc
	v_add_co_u32_e32 v2, vcc, v2, v40
	v_or_b32_e32 v4, v4, v1
	v_mbcnt_hi_u32_b32 v5, -1, v115
	v_addc_co_u32_e32 v3, vcc, v3, v41, vcc
	v_and_b32_e32 v4, 1, v4
	v_and_b32_e32 v7, 15, v5
	v_cmp_eq_u32_e32 vcc, 1, v4
	v_mov_b32_dpp v9, v2 row_shr:1 row_mask:0xf bank_mask:0xf
	v_mov_b32_dpp v10, v3 row_shr:1 row_mask:0xf bank_mask:0xf
	v_mov_b32_dpp v8, v4 row_shr:1 row_mask:0xf bank_mask:0xf
	v_cmp_ne_u32_e64 s[38:39], 0, v7
	v_mov_b32_e32 v6, v4
	s_and_saveexec_b64 s[42:43], s[38:39]
; %bb.128:
	v_cndmask_b32_e64 v9, v9, 0, vcc
	v_cndmask_b32_e64 v6, v10, 0, vcc
	v_add_co_u32_e32 v2, vcc, v9, v2
	v_addc_co_u32_e32 v3, vcc, v6, v3, vcc
	v_and_b32_e32 v6, 1, v8
	v_or_b32_e32 v4, v6, v4
	v_and_b32_e32 v6, 0xffff, v4
; %bb.129:
	s_or_b64 exec, exec, s[42:43]
	v_mov_b32_dpp v9, v2 row_shr:2 row_mask:0xf bank_mask:0xf
	v_mov_b32_dpp v10, v3 row_shr:2 row_mask:0xf bank_mask:0xf
	v_mov_b32_dpp v8, v6 row_shr:2 row_mask:0xf bank_mask:0xf
	v_cmp_lt_u32_e32 vcc, 1, v7
	s_and_saveexec_b64 s[42:43], vcc
	s_cbranch_execz .LBB446_131
; %bb.130:
	v_cmp_eq_u16_e32 vcc, 0, v4
	v_cndmask_b32_e32 v9, 0, v9, vcc
	v_cndmask_b32_e32 v6, 0, v10, vcc
	v_add_co_u32_e32 v2, vcc, v9, v2
	v_addc_co_u32_e32 v3, vcc, v6, v3, vcc
	v_and_b32_e32 v4, 1, v4
	v_cmp_eq_u32_e32 vcc, 1, v4
	v_and_b32_e32 v4, 1, v8
	v_cmp_eq_u32_e64 s[38:39], 1, v4
	s_or_b64 s[38:39], vcc, s[38:39]
	v_cndmask_b32_e64 v4, 0, 1, s[38:39]
	v_cndmask_b32_e64 v6, 0, 1, s[38:39]
.LBB446_131:
	s_or_b64 exec, exec, s[42:43]
	v_mov_b32_dpp v9, v2 row_shr:4 row_mask:0xf bank_mask:0xf
	v_mov_b32_dpp v10, v3 row_shr:4 row_mask:0xf bank_mask:0xf
	v_mov_b32_dpp v8, v6 row_shr:4 row_mask:0xf bank_mask:0xf
	v_cmp_lt_u32_e32 vcc, 3, v7
	s_and_saveexec_b64 s[42:43], vcc
	s_cbranch_execz .LBB446_133
; %bb.132:
	v_cmp_eq_u16_e32 vcc, 0, v4
	v_cndmask_b32_e32 v9, 0, v9, vcc
	v_cndmask_b32_e32 v6, 0, v10, vcc
	v_add_co_u32_e32 v2, vcc, v9, v2
	v_addc_co_u32_e32 v3, vcc, v6, v3, vcc
	v_and_b32_e32 v4, 1, v4
	v_cmp_eq_u32_e32 vcc, 1, v4
	v_and_b32_e32 v4, 1, v8
	v_cmp_eq_u32_e64 s[38:39], 1, v4
	s_or_b64 s[38:39], vcc, s[38:39]
	v_cndmask_b32_e64 v4, 0, 1, s[38:39]
	v_cndmask_b32_e64 v6, 0, 1, s[38:39]
.LBB446_133:
	;; [unrolled: 21-line block ×3, first 2 shown]
	s_or_b64 exec, exec, s[42:43]
	v_and_b32_e32 v10, 16, v5
	v_mov_b32_dpp v8, v2 row_bcast:15 row_mask:0xf bank_mask:0xf
	v_mov_b32_dpp v9, v3 row_bcast:15 row_mask:0xf bank_mask:0xf
	;; [unrolled: 1-line block ×3, first 2 shown]
	v_cmp_ne_u32_e32 vcc, 0, v10
	s_and_saveexec_b64 s[42:43], vcc
	s_cbranch_execz .LBB446_137
; %bb.136:
	v_cmp_eq_u16_e32 vcc, 0, v4
	v_cndmask_b32_e32 v8, 0, v8, vcc
	v_cndmask_b32_e32 v6, 0, v9, vcc
	v_add_co_u32_e32 v2, vcc, v8, v2
	v_addc_co_u32_e32 v3, vcc, v6, v3, vcc
	v_and_b32_e32 v4, 1, v4
	v_cmp_eq_u32_e32 vcc, 1, v4
	v_and_b32_e32 v4, 1, v7
	v_cmp_eq_u32_e64 s[38:39], 1, v4
	s_or_b64 s[38:39], vcc, s[38:39]
	v_cndmask_b32_e64 v4, 0, 1, s[38:39]
	v_cndmask_b32_e64 v6, 0, 1, s[38:39]
.LBB446_137:
	s_or_b64 exec, exec, s[42:43]
	v_mov_b32_dpp v7, v2 row_bcast:31 row_mask:0xf bank_mask:0xf
	v_mov_b32_dpp v8, v3 row_bcast:31 row_mask:0xf bank_mask:0xf
	v_mov_b32_dpp v6, v6 row_bcast:31 row_mask:0xf bank_mask:0xf
	v_cmp_lt_u32_e32 vcc, 31, v5
	s_and_saveexec_b64 s[42:43], vcc
; %bb.138:
	v_cmp_eq_u16_e32 vcc, 0, v4
	v_cndmask_b32_e32 v7, 0, v7, vcc
	v_cndmask_b32_e32 v8, 0, v8, vcc
	v_add_co_u32_e32 v2, vcc, v7, v2
	v_addc_co_u32_e32 v3, vcc, v8, v3, vcc
	v_and_b32_e32 v4, 1, v4
	v_cmp_eq_u32_e32 vcc, 1, v4
	v_and_b32_e32 v4, 1, v6
	v_cmp_eq_u32_e64 s[38:39], 1, v4
	s_or_b64 s[38:39], vcc, s[38:39]
	v_cndmask_b32_e64 v4, 0, 1, s[38:39]
; %bb.139:
	s_or_b64 exec, exec, s[42:43]
	v_cmp_eq_u32_e32 vcc, 63, v0
	s_and_saveexec_b64 s[38:39], vcc
	s_cbranch_execz .LBB446_141
; %bb.140:
	v_mov_b32_e32 v6, 0
	ds_write_b64 v6, v[2:3]
	ds_write_b8 v6, v4 offset:8
.LBB446_141:
	s_or_b64 exec, exec, s[38:39]
	v_add_u32_e32 v6, -1, v5
	v_and_b32_e32 v7, 64, v5
	v_cmp_lt_i32_e32 vcc, v6, v7
	v_cndmask_b32_e32 v6, v6, v5, vcc
	v_lshlrev_b32_e32 v6, 2, v6
	ds_bpermute_b32 v12, v6, v2
	v_and_b32_e32 v2, 0xffff, v4
	ds_bpermute_b32 v13, v6, v3
	ds_bpermute_b32 v14, v6, v2
	v_cmp_gt_u32_e32 vcc, 64, v0
	s_waitcnt lgkmcnt(0)
	; wave barrier
	s_waitcnt lgkmcnt(0)
	s_and_saveexec_b64 s[56:57], vcc
	s_cbranch_execz .LBB446_188
; %bb.142:
	v_mov_b32_e32 v7, 0
	ds_read_b64 v[2:3], v7
	ds_read_u8 v15, v7 offset:8
	s_mov_b32 s61, 0
	v_cmp_eq_u32_e64 s[38:39], 0, v5
	s_and_saveexec_b64 s[42:43], s[38:39]
	s_cbranch_execz .LBB446_144
; %bb.143:
	s_add_i32 s60, s6, 64
	s_lshl_b64 s[68:69], s[60:61], 4
	s_add_u32 s68, s44, s68
	s_addc_u32 s69, s45, s69
	v_mov_b32_e32 v4, s60
	v_mov_b32_e32 v6, 1
	s_waitcnt lgkmcnt(1)
	global_store_dwordx2 v7, v[2:3], s[68:69]
	s_waitcnt lgkmcnt(0)
	global_store_byte v7, v15, s[68:69] offset:8
	s_waitcnt vmcnt(0)
	buffer_wbinvl1_vol
	global_store_byte v4, v6, s[48:49]
.LBB446_144:
	s_or_b64 exec, exec, s[42:43]
	v_xad_u32 v4, v5, -1, s6
	v_add_u32_e32 v6, 64, v4
	global_load_ubyte v16, v6, s[48:49] glc
	s_waitcnt vmcnt(0)
	v_cmp_eq_u16_e32 vcc, 0, v16
	s_and_saveexec_b64 s[42:43], vcc
	s_cbranch_execz .LBB446_150
; %bb.145:
	v_mov_b32_e32 v9, s49
	v_add_co_u32_e32 v8, vcc, s48, v6
	v_addc_co_u32_e32 v9, vcc, 0, v9, vcc
	s_mov_b32 s7, 1
	s_mov_b64 s[60:61], 0
.LBB446_146:                            ; =>This Loop Header: Depth=1
                                        ;     Child Loop BB446_147 Depth 2
	s_max_u32 s51, s7, 1
.LBB446_147:                            ;   Parent Loop BB446_146 Depth=1
                                        ; =>  This Inner Loop Header: Depth=2
	s_add_i32 s51, s51, -1
	s_cmp_eq_u32 s51, 0
	s_sleep 1
	s_cbranch_scc0 .LBB446_147
; %bb.148:                              ;   in Loop: Header=BB446_146 Depth=1
	global_load_ubyte v16, v[8:9], off glc
	s_cmp_lt_u32 s7, 32
	s_cselect_b64 s[68:69], -1, 0
	s_cmp_lg_u64 s[68:69], 0
	s_addc_u32 s7, s7, 0
	s_waitcnt vmcnt(0)
	v_cmp_ne_u16_e32 vcc, 0, v16
	s_or_b64 s[60:61], vcc, s[60:61]
	s_andn2_b64 exec, exec, s[60:61]
	s_cbranch_execnz .LBB446_146
; %bb.149:
	s_or_b64 exec, exec, s[60:61]
.LBB446_150:
	s_or_b64 exec, exec, s[42:43]
	v_mov_b32_e32 v8, s47
	v_mov_b32_e32 v9, s45
	v_cmp_eq_u16_e32 vcc, 1, v16
	v_cndmask_b32_e32 v8, v8, v9, vcc
	v_mov_b32_e32 v9, s46
	v_mov_b32_e32 v10, s44
	v_cndmask_b32_e32 v9, v9, v10, vcc
	v_lshlrev_b64 v[6:7], 4, v[6:7]
	v_add_co_u32_e32 v6, vcc, v9, v6
	v_addc_co_u32_e32 v7, vcc, v8, v7, vcc
	s_waitcnt lgkmcnt(0)
	buffer_wbinvl1_vol
	global_load_dwordx2 v[10:11], v[6:7], off
	global_load_ubyte v31, v[6:7], off offset:8
	v_cmp_eq_u16_e32 vcc, 2, v16
	v_lshlrev_b64 v[6:7], v5, -1
	v_and_b32_e32 v17, 63, v5
	v_and_b32_e32 v8, vcc_hi, v7
	v_and_b32_e32 v22, vcc_lo, v6
	v_cmp_ne_u32_e32 vcc, 63, v17
	v_addc_co_u32_e32 v9, vcc, 0, v5, vcc
	v_lshlrev_b32_e32 v18, 2, v9
	v_or_b32_e32 v8, 0x80000000, v8
	v_ffbl_b32_e32 v8, v8
	v_add_u32_e32 v8, 32, v8
	v_ffbl_b32_e32 v22, v22
	v_min_u32_e32 v8, v22, v8
	v_cmp_lt_u32_e32 vcc, v17, v8
	s_waitcnt vmcnt(1)
	ds_bpermute_b32 v20, v18, v10
	s_waitcnt vmcnt(0)
	v_and_b32_e32 v9, 1, v31
	ds_bpermute_b32 v21, v18, v11
	ds_bpermute_b32 v19, v18, v9
	s_and_saveexec_b64 s[42:43], vcc
	s_cbranch_execz .LBB446_152
; %bb.151:
	v_mov_b32_e32 v9, 0
	v_cmp_eq_u16_sdwa vcc, v31, v9 src0_sel:BYTE_0 src1_sel:DWORD
	s_waitcnt lgkmcnt(2)
	v_cndmask_b32_e32 v20, 0, v20, vcc
	s_waitcnt lgkmcnt(1)
	v_cndmask_b32_e32 v9, 0, v21, vcc
	v_add_co_u32_e32 v10, vcc, v20, v10
	v_addc_co_u32_e32 v11, vcc, v9, v11, vcc
	s_waitcnt lgkmcnt(0)
	v_and_b32_e32 v9, 1, v19
	v_or_b32_e32 v31, v9, v31
	v_and_b32_e32 v9, 0xff, v31
.LBB446_152:
	s_or_b64 exec, exec, s[42:43]
	v_cmp_gt_u32_e32 vcc, 62, v17
	s_waitcnt lgkmcnt(0)
	v_cndmask_b32_e64 v19, 0, 1, vcc
	v_lshlrev_b32_e32 v19, 1, v19
	v_add_lshl_u32 v19, v19, v5, 2
	ds_bpermute_b32 v22, v19, v10
	ds_bpermute_b32 v23, v19, v11
	ds_bpermute_b32 v21, v19, v9
	v_add_u32_e32 v20, 2, v17
	v_cmp_le_u32_e32 vcc, v20, v8
	s_and_saveexec_b64 s[60:61], vcc
	s_cbranch_execz .LBB446_154
; %bb.153:
	v_mov_b32_e32 v9, 0
	v_cmp_eq_u16_sdwa vcc, v31, v9 src0_sel:BYTE_0 src1_sel:DWORD
	s_waitcnt lgkmcnt(2)
	v_cndmask_b32_e32 v22, 0, v22, vcc
	s_waitcnt lgkmcnt(1)
	v_cndmask_b32_e32 v9, 0, v23, vcc
	v_add_co_u32_e32 v10, vcc, v22, v10
	v_addc_co_u32_e32 v11, vcc, v9, v11, vcc
	v_and_b32_e32 v9, 1, v31
	v_cmp_eq_u32_e32 vcc, 1, v9
	s_waitcnt lgkmcnt(0)
	v_and_b32_e32 v9, 1, v21
	v_cmp_eq_u32_e64 s[42:43], 1, v9
	s_or_b64 s[42:43], vcc, s[42:43]
	v_cndmask_b32_e64 v31, 0, 1, s[42:43]
	v_cndmask_b32_e64 v9, 0, 1, s[42:43]
.LBB446_154:
	s_or_b64 exec, exec, s[60:61]
	v_cmp_gt_u32_e32 vcc, 60, v17
	s_waitcnt lgkmcnt(0)
	v_cndmask_b32_e64 v21, 0, 1, vcc
	v_lshlrev_b32_e32 v21, 2, v21
	v_add_lshl_u32 v21, v21, v5, 2
	ds_bpermute_b32 v24, v21, v10
	ds_bpermute_b32 v25, v21, v11
	ds_bpermute_b32 v23, v21, v9
	v_add_u32_e32 v22, 4, v17
	v_cmp_le_u32_e32 vcc, v22, v8
	s_and_saveexec_b64 s[60:61], vcc
	s_cbranch_execz .LBB446_156
; %bb.155:
	v_mov_b32_e32 v9, 0
	v_cmp_eq_u16_sdwa vcc, v31, v9 src0_sel:BYTE_0 src1_sel:DWORD
	s_waitcnt lgkmcnt(2)
	v_cndmask_b32_e32 v24, 0, v24, vcc
	s_waitcnt lgkmcnt(1)
	v_cndmask_b32_e32 v9, 0, v25, vcc
	v_add_co_u32_e32 v10, vcc, v24, v10
	v_addc_co_u32_e32 v11, vcc, v9, v11, vcc
	v_and_b32_e32 v9, 1, v31
	v_cmp_eq_u32_e32 vcc, 1, v9
	s_waitcnt lgkmcnt(0)
	v_and_b32_e32 v9, 1, v23
	v_cmp_eq_u32_e64 s[42:43], 1, v9
	s_or_b64 s[42:43], vcc, s[42:43]
	v_cndmask_b32_e64 v31, 0, 1, s[42:43]
	v_cndmask_b32_e64 v9, 0, 1, s[42:43]
.LBB446_156:
	;; [unrolled: 31-line block ×4, first 2 shown]
	s_or_b64 exec, exec, s[60:61]
	v_cmp_gt_u32_e32 vcc, 32, v17
	s_waitcnt lgkmcnt(0)
	v_cndmask_b32_e64 v27, 0, 1, vcc
	v_lshlrev_b32_e32 v27, 5, v27
	v_add_lshl_u32 v28, v27, v5, 2
	ds_bpermute_b32 v27, v28, v10
	ds_bpermute_b32 v30, v28, v11
	;; [unrolled: 1-line block ×3, first 2 shown]
	v_add_u32_e32 v29, 32, v17
	v_cmp_le_u32_e32 vcc, v29, v8
	s_and_saveexec_b64 s[60:61], vcc
	s_cbranch_execz .LBB446_162
; %bb.161:
	v_mov_b32_e32 v8, 0
	v_cmp_eq_u16_sdwa vcc, v31, v8 src0_sel:BYTE_0 src1_sel:DWORD
	s_waitcnt lgkmcnt(2)
	v_cndmask_b32_e32 v9, 0, v27, vcc
	s_waitcnt lgkmcnt(1)
	v_cndmask_b32_e32 v8, 0, v30, vcc
	v_add_co_u32_e32 v10, vcc, v9, v10
	v_addc_co_u32_e32 v11, vcc, v8, v11, vcc
	v_and_b32_e32 v8, 1, v31
	s_waitcnt lgkmcnt(0)
	v_and_b32_e32 v5, 1, v5
	v_cmp_eq_u32_e32 vcc, 1, v8
	v_cmp_eq_u32_e64 s[42:43], 1, v5
	s_or_b64 s[42:43], vcc, s[42:43]
	v_cndmask_b32_e64 v31, 0, 1, s[42:43]
.LBB446_162:
	s_or_b64 exec, exec, s[60:61]
	s_waitcnt lgkmcnt(0)
	v_mov_b32_e32 v5, 0
	v_mov_b32_e32 v30, 2
	s_branch .LBB446_164
.LBB446_163:                            ;   in Loop: Header=BB446_164 Depth=1
	s_or_b64 exec, exec, s[68:69]
	v_cmp_eq_u16_sdwa vcc, v27, v5 src0_sel:BYTE_0 src1_sel:DWORD
	v_cndmask_b32_e32 v10, 0, v10, vcc
	v_cndmask_b32_e32 v11, 0, v11, vcc
	v_add_co_u32_e32 v10, vcc, v10, v8
	v_addc_co_u32_e32 v11, vcc, v11, v9, vcc
	v_and_b32_e32 v31, 1, v27
	v_cmp_eq_u32_e32 vcc, 1, v31
	s_or_b64 s[42:43], vcc, s[60:61]
	v_subrev_u32_e32 v4, 64, v4
	v_cndmask_b32_e64 v31, 0, 1, s[42:43]
.LBB446_164:                            ; =>This Loop Header: Depth=1
                                        ;     Child Loop BB446_167 Depth 2
                                        ;       Child Loop BB446_168 Depth 3
	v_cmp_ne_u16_sdwa s[42:43], v16, v30 src0_sel:BYTE_0 src1_sel:DWORD
	v_cndmask_b32_e64 v8, 0, 1, s[42:43]
	;;#ASMSTART
	;;#ASMEND
	v_cmp_ne_u32_e32 vcc, 0, v8
	v_mov_b32_e32 v27, v31
	s_cmp_lg_u64 vcc, exec
	v_pk_mov_b32 v[8:9], v[10:11], v[10:11] op_sel:[0,1]
	s_cbranch_scc1 .LBB446_183
; %bb.165:                              ;   in Loop: Header=BB446_164 Depth=1
	global_load_ubyte v16, v4, s[48:49] glc
	s_waitcnt vmcnt(0)
	v_cmp_eq_u16_e32 vcc, 0, v16
	s_and_saveexec_b64 s[42:43], vcc
	s_cbranch_execz .LBB446_171
; %bb.166:                              ;   in Loop: Header=BB446_164 Depth=1
	v_mov_b32_e32 v11, s49
	v_add_co_u32_e32 v10, vcc, s48, v4
	v_addc_co_u32_e32 v11, vcc, 0, v11, vcc
	s_mov_b32 s7, 1
	s_mov_b64 s[60:61], 0
.LBB446_167:                            ;   Parent Loop BB446_164 Depth=1
                                        ; =>  This Loop Header: Depth=2
                                        ;       Child Loop BB446_168 Depth 3
	s_max_u32 s51, s7, 1
.LBB446_168:                            ;   Parent Loop BB446_164 Depth=1
                                        ;     Parent Loop BB446_167 Depth=2
                                        ; =>    This Inner Loop Header: Depth=3
	s_add_i32 s51, s51, -1
	s_cmp_eq_u32 s51, 0
	s_sleep 1
	s_cbranch_scc0 .LBB446_168
; %bb.169:                              ;   in Loop: Header=BB446_167 Depth=2
	global_load_ubyte v16, v[10:11], off glc
	s_cmp_lt_u32 s7, 32
	s_cselect_b64 s[68:69], -1, 0
	s_cmp_lg_u64 s[68:69], 0
	s_addc_u32 s7, s7, 0
	s_waitcnt vmcnt(0)
	v_cmp_ne_u16_e32 vcc, 0, v16
	s_or_b64 s[60:61], vcc, s[60:61]
	s_andn2_b64 exec, exec, s[60:61]
	s_cbranch_execnz .LBB446_167
; %bb.170:                              ;   in Loop: Header=BB446_164 Depth=1
	s_or_b64 exec, exec, s[60:61]
.LBB446_171:                            ;   in Loop: Header=BB446_164 Depth=1
	s_or_b64 exec, exec, s[42:43]
	v_mov_b32_e32 v10, s47
	v_mov_b32_e32 v11, s45
	v_cmp_eq_u16_e32 vcc, 1, v16
	v_cndmask_b32_e32 v31, v10, v11, vcc
	v_mov_b32_e32 v10, s46
	v_mov_b32_e32 v11, s44
	v_cndmask_b32_e32 v32, v10, v11, vcc
	v_lshlrev_b64 v[10:11], 4, v[4:5]
	v_add_co_u32_e32 v32, vcc, v32, v10
	s_waitcnt lgkmcnt(0)
	v_addc_co_u32_e32 v33, vcc, v31, v11, vcc
	buffer_wbinvl1_vol
	global_load_dwordx2 v[10:11], v[32:33], off
	global_load_ubyte v31, v[32:33], off offset:8
	v_cmp_eq_u16_e32 vcc, 2, v16
	v_and_b32_e32 v32, vcc_hi, v7
	v_or_b32_e32 v32, 0x80000000, v32
	v_and_b32_e32 v37, vcc_lo, v6
	v_ffbl_b32_e32 v32, v32
	v_add_u32_e32 v32, 32, v32
	v_ffbl_b32_e32 v37, v37
	v_min_u32_e32 v32, v37, v32
	v_cmp_lt_u32_e32 vcc, v17, v32
	s_waitcnt vmcnt(1)
	ds_bpermute_b32 v35, v18, v10
	s_waitcnt vmcnt(0)
	v_and_b32_e32 v33, 1, v31
	ds_bpermute_b32 v36, v18, v11
	ds_bpermute_b32 v34, v18, v33
	s_and_saveexec_b64 s[42:43], vcc
	s_cbranch_execz .LBB446_173
; %bb.172:                              ;   in Loop: Header=BB446_164 Depth=1
	v_cmp_eq_u16_sdwa vcc, v31, v5 src0_sel:BYTE_0 src1_sel:DWORD
	s_waitcnt lgkmcnt(2)
	v_cndmask_b32_e32 v35, 0, v35, vcc
	s_waitcnt lgkmcnt(1)
	v_cndmask_b32_e32 v33, 0, v36, vcc
	v_add_co_u32_e32 v10, vcc, v35, v10
	v_addc_co_u32_e32 v11, vcc, v33, v11, vcc
	s_waitcnt lgkmcnt(0)
	v_and_b32_e32 v33, 1, v34
	v_or_b32_e32 v31, v33, v31
	v_and_b32_e32 v33, 0xff, v31
.LBB446_173:                            ;   in Loop: Header=BB446_164 Depth=1
	s_or_b64 exec, exec, s[42:43]
	s_waitcnt lgkmcnt(2)
	ds_bpermute_b32 v35, v19, v10
	s_waitcnt lgkmcnt(2)
	ds_bpermute_b32 v36, v19, v11
	;; [unrolled: 2-line block ×3, first 2 shown]
	v_and_b32_e32 v37, 1, v31
	v_cmp_le_u32_e32 vcc, v20, v32
	v_cmp_eq_u32_e64 s[60:61], 1, v37
	s_and_saveexec_b64 s[42:43], vcc
	s_cbranch_execz .LBB446_175
; %bb.174:                              ;   in Loop: Header=BB446_164 Depth=1
	v_cmp_eq_u16_sdwa vcc, v31, v5 src0_sel:BYTE_0 src1_sel:DWORD
	s_waitcnt lgkmcnt(2)
	v_cndmask_b32_e32 v33, 0, v35, vcc
	s_waitcnt lgkmcnt(1)
	v_cndmask_b32_e32 v31, 0, v36, vcc
	v_add_co_u32_e32 v10, vcc, v33, v10
	v_addc_co_u32_e32 v11, vcc, v31, v11, vcc
	s_waitcnt lgkmcnt(0)
	v_and_b32_e32 v31, 1, v34
	v_cmp_eq_u32_e32 vcc, 1, v31
	s_or_b64 s[68:69], s[60:61], vcc
	v_cndmask_b32_e64 v31, 0, 1, s[68:69]
	v_cndmask_b32_e64 v33, 0, 1, s[68:69]
	s_andn2_b64 s[60:61], s[60:61], exec
	s_and_b64 s[68:69], s[68:69], exec
	s_or_b64 s[60:61], s[60:61], s[68:69]
.LBB446_175:                            ;   in Loop: Header=BB446_164 Depth=1
	s_or_b64 exec, exec, s[42:43]
	s_waitcnt lgkmcnt(2)
	ds_bpermute_b32 v35, v21, v10
	s_waitcnt lgkmcnt(2)
	ds_bpermute_b32 v36, v21, v11
	s_waitcnt lgkmcnt(2)
	ds_bpermute_b32 v34, v21, v33
	v_cmp_le_u32_e32 vcc, v22, v32
	s_and_saveexec_b64 s[68:69], vcc
	s_cbranch_execz .LBB446_177
; %bb.176:                              ;   in Loop: Header=BB446_164 Depth=1
	v_cmp_eq_u16_sdwa vcc, v31, v5 src0_sel:BYTE_0 src1_sel:DWORD
	s_waitcnt lgkmcnt(2)
	v_cndmask_b32_e32 v35, 0, v35, vcc
	s_waitcnt lgkmcnt(1)
	v_cndmask_b32_e32 v33, 0, v36, vcc
	v_add_co_u32_e32 v10, vcc, v35, v10
	v_addc_co_u32_e32 v11, vcc, v33, v11, vcc
	v_and_b32_e32 v31, 1, v31
	v_cmp_eq_u32_e32 vcc, 1, v31
	s_waitcnt lgkmcnt(0)
	v_and_b32_e32 v31, 1, v34
	v_cmp_eq_u32_e64 s[42:43], 1, v31
	s_or_b64 s[42:43], vcc, s[42:43]
	v_cndmask_b32_e64 v31, 0, 1, s[42:43]
	v_cndmask_b32_e64 v33, 0, 1, s[42:43]
	s_andn2_b64 s[60:61], s[60:61], exec
	s_and_b64 s[42:43], s[42:43], exec
	s_or_b64 s[60:61], s[60:61], s[42:43]
.LBB446_177:                            ;   in Loop: Header=BB446_164 Depth=1
	s_or_b64 exec, exec, s[68:69]
	s_waitcnt lgkmcnt(2)
	ds_bpermute_b32 v35, v23, v10
	s_waitcnt lgkmcnt(2)
	ds_bpermute_b32 v36, v23, v11
	s_waitcnt lgkmcnt(2)
	ds_bpermute_b32 v34, v23, v33
	v_cmp_le_u32_e32 vcc, v24, v32
	s_and_saveexec_b64 s[68:69], vcc
	s_cbranch_execz .LBB446_179
; %bb.178:                              ;   in Loop: Header=BB446_164 Depth=1
	v_cmp_eq_u16_sdwa vcc, v31, v5 src0_sel:BYTE_0 src1_sel:DWORD
	s_waitcnt lgkmcnt(2)
	v_cndmask_b32_e32 v35, 0, v35, vcc
	s_waitcnt lgkmcnt(1)
	v_cndmask_b32_e32 v33, 0, v36, vcc
	v_add_co_u32_e32 v10, vcc, v35, v10
	v_addc_co_u32_e32 v11, vcc, v33, v11, vcc
	v_and_b32_e32 v31, 1, v31
	v_cmp_eq_u32_e32 vcc, 1, v31
	s_waitcnt lgkmcnt(0)
	v_and_b32_e32 v31, 1, v34
	v_cmp_eq_u32_e64 s[42:43], 1, v31
	s_or_b64 s[42:43], vcc, s[42:43]
	v_cndmask_b32_e64 v31, 0, 1, s[42:43]
	v_cndmask_b32_e64 v33, 0, 1, s[42:43]
	s_andn2_b64 s[60:61], s[60:61], exec
	s_and_b64 s[42:43], s[42:43], exec
	s_or_b64 s[60:61], s[60:61], s[42:43]
.LBB446_179:                            ;   in Loop: Header=BB446_164 Depth=1
	;; [unrolled: 30-line block ×3, first 2 shown]
	s_or_b64 exec, exec, s[68:69]
	s_waitcnt lgkmcnt(0)
	ds_bpermute_b32 v34, v28, v10
	ds_bpermute_b32 v35, v28, v11
	;; [unrolled: 1-line block ×3, first 2 shown]
	v_cmp_le_u32_e32 vcc, v29, v32
	s_and_saveexec_b64 s[68:69], vcc
	s_cbranch_execz .LBB446_163
; %bb.182:                              ;   in Loop: Header=BB446_164 Depth=1
	v_cmp_eq_u16_sdwa vcc, v31, v5 src0_sel:BYTE_0 src1_sel:DWORD
	s_waitcnt lgkmcnt(2)
	v_cndmask_b32_e32 v34, 0, v34, vcc
	s_waitcnt lgkmcnt(1)
	v_cndmask_b32_e32 v32, 0, v35, vcc
	v_add_co_u32_e32 v10, vcc, v34, v10
	v_addc_co_u32_e32 v11, vcc, v32, v11, vcc
	v_and_b32_e32 v31, 1, v31
	v_cmp_eq_u32_e32 vcc, 1, v31
	s_waitcnt lgkmcnt(0)
	v_and_b32_e32 v31, 1, v33
	v_cmp_eq_u32_e64 s[42:43], 1, v31
	s_or_b64 s[42:43], vcc, s[42:43]
	s_andn2_b64 s[60:61], s[60:61], exec
	s_and_b64 s[42:43], s[42:43], exec
	s_or_b64 s[60:61], s[60:61], s[42:43]
	s_branch .LBB446_163
.LBB446_183:                            ;   in Loop: Header=BB446_164 Depth=1
                                        ; implicit-def: $vgpr31
                                        ; implicit-def: $vgpr10_vgpr11
                                        ; implicit-def: $vgpr16
	s_cbranch_execz .LBB446_164
; %bb.184:
	s_and_saveexec_b64 s[42:43], s[38:39]
	s_cbranch_execz .LBB446_186
; %bb.185:
	v_mov_b32_e32 v4, 0
	s_mov_b32 s7, 0
	v_cmp_eq_u16_sdwa vcc, v15, v4 src0_sel:BYTE_0 src1_sel:DWORD
	s_add_i32 s6, s6, 64
	v_cndmask_b32_e32 v6, 0, v8, vcc
	s_lshl_b64 s[38:39], s[6:7], 4
	v_cndmask_b32_e32 v5, 0, v9, vcc
	v_add_co_u32_e32 v2, vcc, v6, v2
	s_add_u32 s38, s46, s38
	v_addc_co_u32_e32 v3, vcc, v5, v3, vcc
	v_or_b32_e32 v5, v15, v27
	s_addc_u32 s39, s47, s39
	v_and_b32_e32 v5, 1, v5
	global_store_dwordx2 v4, v[2:3], s[38:39]
	global_store_byte v4, v5, s[38:39] offset:8
	v_mov_b32_e32 v2, s6
	v_mov_b32_e32 v3, 2
	s_waitcnt vmcnt(0) lgkmcnt(0)
	buffer_wbinvl1_vol
	global_store_byte v2, v3, s[48:49]
.LBB446_186:
	s_or_b64 exec, exec, s[42:43]
	v_cmp_eq_u32_e32 vcc, 0, v0
	s_and_b64 exec, exec, vcc
	s_cbranch_execz .LBB446_188
; %bb.187:
	v_mov_b32_e32 v2, 0
	ds_write_b64 v2, v[8:9]
	ds_write_b8 v2, v27 offset:8
.LBB446_188:
	s_or_b64 exec, exec, s[56:57]
	v_mov_b32_e32 v4, 0
	s_waitcnt lgkmcnt(0)
	; wave barrier
	s_waitcnt lgkmcnt(0)
	ds_read_b64 v[2:3], v4
	v_cmp_eq_u32_sdwa vcc, v14, v4 src0_sel:BYTE_0 src1_sel:DWORD
	s_waitcnt lgkmcnt(0)
	v_cndmask_b32_e32 v6, 0, v2, vcc
	v_cndmask_b32_e32 v5, 0, v3, vcc
	v_add_co_u32_e32 v6, vcc, v12, v6
	v_addc_co_u32_e32 v5, vcc, v13, v5, vcc
	v_cmp_eq_u32_e32 vcc, 0, v0
	v_cndmask_b32_e32 v77, v5, v3, vcc
	v_cndmask_b32_e32 v76, v6, v2, vcc
	v_cmp_eq_u16_sdwa vcc, v1, v4 src0_sel:BYTE_0 src1_sel:DWORD
	v_cndmask_b32_e32 v3, 0, v76, vcc
	v_cndmask_b32_e32 v2, 0, v77, vcc
	v_add_co_u32_e32 v4, vcc, v3, v74
	v_addc_co_u32_e32 v5, vcc, v2, v75, vcc
	v_cndmask_b32_e64 v3, 0, v4, s[36:37]
	v_cndmask_b32_e64 v2, 0, v5, s[36:37]
	v_add_co_u32_e32 v6, vcc, v3, v38
	v_addc_co_u32_e32 v7, vcc, v2, v39, vcc
	v_cndmask_b32_e64 v3, 0, v6, s[34:35]
	v_cndmask_b32_e64 v2, 0, v7, s[34:35]
	;; [unrolled: 4-line block ×17, first 2 shown]
	s_branch .LBB446_209
.LBB446_189:
                                        ; implicit-def: $vgpr76_vgpr77
                                        ; implicit-def: $vgpr94_vgpr95
                                        ; implicit-def: $vgpr92_vgpr93
                                        ; implicit-def: $vgpr90_vgpr91
                                        ; implicit-def: $vgpr88_vgpr89
                                        ; implicit-def: $vgpr86_vgpr87
                                        ; implicit-def: $vgpr84_vgpr85
                                        ; implicit-def: $vgpr82_vgpr83
                                        ; implicit-def: $vgpr80_vgpr81
                                        ; implicit-def: $vgpr78_vgpr79
                                        ; implicit-def: $vgpr34_vgpr35_vgpr36_vgpr37
                                        ; implicit-def: $vgpr30_vgpr31_vgpr32_vgpr33
                                        ; implicit-def: $vgpr26_vgpr27_vgpr28_vgpr29
                                        ; implicit-def: $vgpr22_vgpr23_vgpr24_vgpr25
                                        ; implicit-def: $vgpr18_vgpr19_vgpr20_vgpr21
                                        ; implicit-def: $vgpr14_vgpr15_vgpr16_vgpr17
                                        ; implicit-def: $vgpr10_vgpr11_vgpr12_vgpr13
                                        ; implicit-def: $vgpr6_vgpr7_vgpr8_vgpr9
                                        ; implicit-def: $vgpr2_vgpr3_vgpr4_vgpr5
	s_cbranch_execz .LBB446_209
; %bb.190:
	s_cmp_lg_u64 s[66:67], 0
	s_cselect_b32 s3, s63, 0
	s_cselect_b32 s2, s62, 0
	s_cmp_eq_u64 s[2:3], 0
	v_pk_mov_b32 v[2:3], s[64:65], s[64:65] op_sel:[0,1]
	s_cbranch_scc1 .LBB446_192
; %bb.191:
	v_mov_b32_e32 v2, 0
	global_load_dwordx2 v[2:3], v2, s[2:3]
.LBB446_192:
	v_mov_b32_e32 v4, 0
	v_cmp_eq_u16_sdwa s[34:35], v96, v4 src0_sel:BYTE_0 src1_sel:DWORD
	v_cndmask_b32_e64 v6, 0, v74, s[34:35]
	v_cndmask_b32_e64 v5, 0, v75, s[34:35]
	v_add_co_u32_e32 v6, vcc, v6, v38
	v_cmp_eq_u16_sdwa s[30:31], v97, v4 src0_sel:BYTE_0 src1_sel:DWORD
	v_addc_co_u32_e32 v5, vcc, v5, v39, vcc
	v_cndmask_b32_e64 v6, 0, v6, s[30:31]
	v_cndmask_b32_e64 v5, 0, v5, s[30:31]
	v_add_co_u32_e32 v6, vcc, v6, v46
	v_cmp_eq_u16_sdwa s[28:29], v98, v4 src0_sel:BYTE_0 src1_sel:DWORD
	v_addc_co_u32_e32 v5, vcc, v5, v47, vcc
	;; [unrolled: 5-line block ×15, first 2 shown]
	v_cndmask_b32_e64 v6, 0, v6, s[2:3]
	v_cndmask_b32_e64 v5, 0, v5, s[2:3]
	v_add_co_u32_e32 v6, vcc, v6, v72
	v_addc_co_u32_e32 v5, vcc, v5, v73, vcc
	v_cmp_eq_u16_sdwa vcc, v99, v4 src0_sel:BYTE_0 src1_sel:DWORD
	v_cndmask_b32_e32 v6, 0, v6, vcc
	v_cndmask_b32_e32 v5, 0, v5, vcc
	v_add_co_u32_e64 v6, s[36:37], v6, v42
	v_addc_co_u32_e64 v5, s[36:37], v5, v43, s[36:37]
	v_cmp_eq_u16_sdwa s[36:37], v114, v4 src0_sel:BYTE_0 src1_sel:DWORD
	v_cndmask_b32_e64 v4, 0, v6, s[36:37]
	v_or_b32_e32 v6, v116, v111
	v_or_b32_e32 v6, v6, v110
	;; [unrolled: 1-line block ×16, first 2 shown]
	v_cndmask_b32_e64 v5, 0, v5, s[36:37]
	v_add_co_u32_e64 v4, s[36:37], v4, v40
	v_and_b32_e32 v7, 1, v6
	v_mbcnt_hi_u32_b32 v6, -1, v115
	v_addc_co_u32_e64 v5, s[36:37], v5, v41, s[36:37]
	v_and_b32_e32 v9, 15, v6
	v_cmp_eq_u32_e64 s[36:37], 1, v7
	v_mov_b32_dpp v11, v4 row_shr:1 row_mask:0xf bank_mask:0xf
	v_mov_b32_dpp v12, v5 row_shr:1 row_mask:0xf bank_mask:0xf
	;; [unrolled: 1-line block ×3, first 2 shown]
	v_cmp_ne_u32_e64 s[38:39], 0, v9
	v_mov_b32_e32 v8, v7
	s_and_saveexec_b64 s[40:41], s[38:39]
; %bb.193:
	v_cndmask_b32_e64 v11, v11, 0, s[36:37]
	v_cndmask_b32_e64 v8, v12, 0, s[36:37]
	v_add_co_u32_e64 v4, s[36:37], v11, v4
	v_addc_co_u32_e64 v5, s[36:37], v8, v5, s[36:37]
	v_and_b32_e32 v8, 1, v10
	v_or_b32_e32 v7, v8, v7
	v_and_b32_e32 v8, 0xffff, v7
; %bb.194:
	s_or_b64 exec, exec, s[40:41]
	v_mov_b32_dpp v11, v4 row_shr:2 row_mask:0xf bank_mask:0xf
	v_mov_b32_dpp v12, v5 row_shr:2 row_mask:0xf bank_mask:0xf
	v_mov_b32_dpp v10, v8 row_shr:2 row_mask:0xf bank_mask:0xf
	v_cmp_lt_u32_e64 s[36:37], 1, v9
	s_and_saveexec_b64 s[40:41], s[36:37]
	s_cbranch_execz .LBB446_196
; %bb.195:
	v_cmp_eq_u16_e64 s[36:37], 0, v7
	v_cndmask_b32_e64 v11, 0, v11, s[36:37]
	v_cndmask_b32_e64 v8, 0, v12, s[36:37]
	v_add_co_u32_e64 v4, s[36:37], v11, v4
	v_addc_co_u32_e64 v5, s[36:37], v8, v5, s[36:37]
	v_and_b32_e32 v7, 1, v7
	v_cmp_eq_u32_e64 s[36:37], 1, v7
	v_and_b32_e32 v7, 1, v10
	v_cmp_eq_u32_e64 s[38:39], 1, v7
	s_or_b64 s[36:37], s[36:37], s[38:39]
	v_cndmask_b32_e64 v7, 0, 1, s[36:37]
	v_cndmask_b32_e64 v8, 0, 1, s[36:37]
.LBB446_196:
	s_or_b64 exec, exec, s[40:41]
	v_mov_b32_dpp v11, v4 row_shr:4 row_mask:0xf bank_mask:0xf
	v_mov_b32_dpp v12, v5 row_shr:4 row_mask:0xf bank_mask:0xf
	v_mov_b32_dpp v10, v8 row_shr:4 row_mask:0xf bank_mask:0xf
	v_cmp_lt_u32_e64 s[36:37], 3, v9
	s_and_saveexec_b64 s[40:41], s[36:37]
	s_cbranch_execz .LBB446_198
; %bb.197:
	v_cmp_eq_u16_e64 s[36:37], 0, v7
	v_cndmask_b32_e64 v11, 0, v11, s[36:37]
	v_cndmask_b32_e64 v8, 0, v12, s[36:37]
	v_add_co_u32_e64 v4, s[36:37], v11, v4
	v_addc_co_u32_e64 v5, s[36:37], v8, v5, s[36:37]
	v_and_b32_e32 v7, 1, v7
	v_cmp_eq_u32_e64 s[36:37], 1, v7
	v_and_b32_e32 v7, 1, v10
	v_cmp_eq_u32_e64 s[38:39], 1, v7
	s_or_b64 s[36:37], s[36:37], s[38:39]
	v_cndmask_b32_e64 v7, 0, 1, s[36:37]
	v_cndmask_b32_e64 v8, 0, 1, s[36:37]
.LBB446_198:
	;; [unrolled: 21-line block ×3, first 2 shown]
	s_or_b64 exec, exec, s[40:41]
	v_and_b32_e32 v12, 16, v6
	v_mov_b32_dpp v10, v4 row_bcast:15 row_mask:0xf bank_mask:0xf
	v_mov_b32_dpp v11, v5 row_bcast:15 row_mask:0xf bank_mask:0xf
	;; [unrolled: 1-line block ×3, first 2 shown]
	v_cmp_ne_u32_e64 s[36:37], 0, v12
	s_and_saveexec_b64 s[40:41], s[36:37]
	s_cbranch_execz .LBB446_202
; %bb.201:
	v_cmp_eq_u16_e64 s[36:37], 0, v7
	v_cndmask_b32_e64 v10, 0, v10, s[36:37]
	v_cndmask_b32_e64 v8, 0, v11, s[36:37]
	v_add_co_u32_e64 v4, s[36:37], v10, v4
	v_addc_co_u32_e64 v5, s[36:37], v8, v5, s[36:37]
	v_and_b32_e32 v7, 1, v7
	v_cmp_eq_u32_e64 s[36:37], 1, v7
	v_and_b32_e32 v7, 1, v9
	v_cmp_eq_u32_e64 s[38:39], 1, v7
	s_or_b64 s[36:37], s[36:37], s[38:39]
	v_cndmask_b32_e64 v7, 0, 1, s[36:37]
	v_cndmask_b32_e64 v8, 0, 1, s[36:37]
.LBB446_202:
	s_or_b64 exec, exec, s[40:41]
	v_mov_b32_dpp v9, v4 row_bcast:31 row_mask:0xf bank_mask:0xf
	v_mov_b32_dpp v10, v5 row_bcast:31 row_mask:0xf bank_mask:0xf
	;; [unrolled: 1-line block ×3, first 2 shown]
	v_cmp_lt_u32_e64 s[36:37], 31, v6
	s_and_saveexec_b64 s[40:41], s[36:37]
; %bb.203:
	v_cmp_eq_u16_e64 s[36:37], 0, v7
	v_cndmask_b32_e64 v9, 0, v9, s[36:37]
	v_cndmask_b32_e64 v10, 0, v10, s[36:37]
	v_add_co_u32_e64 v4, s[36:37], v9, v4
	v_addc_co_u32_e64 v5, s[36:37], v10, v5, s[36:37]
	v_and_b32_e32 v7, 1, v7
	v_cmp_eq_u32_e64 s[36:37], 1, v7
	v_and_b32_e32 v7, 1, v8
	v_cmp_eq_u32_e64 s[38:39], 1, v7
	s_or_b64 s[36:37], s[36:37], s[38:39]
	v_cndmask_b32_e64 v7, 0, 1, s[36:37]
; %bb.204:
	s_or_b64 exec, exec, s[40:41]
	v_cmp_eq_u32_e64 s[36:37], 63, v0
	s_and_saveexec_b64 s[38:39], s[36:37]
	s_cbranch_execz .LBB446_206
; %bb.205:
	v_mov_b32_e32 v8, 0
	ds_write_b64 v8, v[4:5]
	ds_write_b8 v8, v7 offset:8
.LBB446_206:
	s_or_b64 exec, exec, s[38:39]
	v_cmp_eq_u16_e64 s[36:37], 0, v7
	s_waitcnt vmcnt(0)
	v_cndmask_b32_e64 v8, 0, v2, s[36:37]
	v_cndmask_b32_e64 v7, 0, v3, s[36:37]
	v_add_co_u32_e64 v4, s[36:37], v8, v4
	v_addc_co_u32_e64 v5, s[36:37], v7, v5, s[36:37]
	v_add_u32_e32 v7, -1, v6
	v_and_b32_e32 v8, 64, v6
	v_cmp_lt_i32_e64 s[36:37], v7, v8
	v_cndmask_b32_e64 v7, v7, v6, s[36:37]
	v_lshlrev_b32_e32 v7, 2, v7
	ds_bpermute_b32 v5, v7, v5
	ds_bpermute_b32 v4, v7, v4
	v_cmp_eq_u32_e64 s[38:39], 0, v6
	v_cmp_eq_u32_e64 s[36:37], 0, v0
	s_or_b64 s[38:39], s[36:37], s[38:39]
	v_mov_b32_e32 v8, 0
	s_waitcnt lgkmcnt(1)
	v_cndmask_b32_e64 v77, v5, v3, s[38:39]
	s_waitcnt lgkmcnt(0)
	v_cndmask_b32_e64 v76, v4, v2, s[38:39]
	v_cmp_eq_u16_sdwa s[38:39], v1, v8 src0_sel:BYTE_0 src1_sel:DWORD
	v_cndmask_b32_e64 v4, 0, v76, s[38:39]
	v_cndmask_b32_e64 v1, 0, v77, s[38:39]
	v_add_co_u32_e64 v4, s[38:39], v4, v74
	v_addc_co_u32_e64 v5, s[38:39], v1, v75, s[38:39]
	v_cndmask_b32_e64 v6, 0, v4, s[34:35]
	v_cndmask_b32_e64 v1, 0, v5, s[34:35]
	v_add_co_u32_e64 v6, s[34:35], v6, v38
	v_addc_co_u32_e64 v7, s[34:35], v1, v39, s[34:35]
	;; [unrolled: 4-line block ×17, first 2 shown]
	v_cndmask_b32_e32 v95, 0, v93, vcc
	v_cndmask_b32_e32 v94, 0, v92, vcc
	s_waitcnt lgkmcnt(0)
	; wave barrier
	s_and_saveexec_b64 s[2:3], s[36:37]
	s_cbranch_execz .LBB446_208
; %bb.207:
	ds_read_u8 v1, v8 offset:8
	ds_read_b64 v[12:13], v8
	v_pk_mov_b32 v[76:77], v[2:3], v[2:3] op_sel:[0,1]
	s_waitcnt lgkmcnt(1)
	v_cmp_eq_u16_e32 vcc, 0, v1
	v_cndmask_b32_e32 v16, 0, v2, vcc
	v_cndmask_b32_e32 v9, 0, v3, vcc
	s_waitcnt lgkmcnt(0)
	v_add_co_u32_e32 v12, vcc, v16, v12
	v_addc_co_u32_e32 v13, vcc, v9, v13, vcc
	global_store_dwordx2 v8, v[12:13], s[46:47] offset:1024
	global_store_byte v8, v1, s[46:47] offset:1032
	v_mov_b32_e32 v1, 2
	s_waitcnt vmcnt(0)
	buffer_wbinvl1_vol
	global_store_byte v8, v1, s[48:49] offset:64
.LBB446_208:
	s_or_b64 exec, exec, s[2:3]
.LBB446_209:
	s_add_u32 s2, s58, s54
	s_addc_u32 s3, s59, s55
	v_add_co_u32_e32 v2, vcc, v94, v42
	v_addc_co_u32_e32 v3, vcc, v95, v43, vcc
	s_add_u32 s4, s2, s52
	s_addc_u32 s5, s3, s53
	s_and_b64 vcc, exec, s[0:1]
	s_cbranch_vccz .LBB446_247
; %bb.210:
	s_movk_i32 s0, 0x98
	v_mul_i32_i24_e32 v13, 0xffffff70, v0
	v_mul_u32_u24_e32 v12, 0x98, v0
	v_mad_u32_u24 v8, v0, s0, v13
	s_waitcnt lgkmcnt(0)
	; wave barrier
	ds_write2_b64 v12, v[76:77], v[4:5] offset1:1
	ds_write2_b64 v12, v[6:7], v[78:79] offset0:2 offset1:3
	ds_write2_b64 v12, v[10:11], v[80:81] offset0:4 offset1:5
	;; [unrolled: 1-line block ×8, first 2 shown]
	ds_write_b64 v12, v[2:3] offset:144
	s_waitcnt lgkmcnt(0)
	; wave barrier
	s_waitcnt lgkmcnt(0)
	ds_read2st64_b64 v[68:71], v8 offset0:1 offset1:2
	ds_read2st64_b64 v[64:67], v8 offset0:3 offset1:4
	;; [unrolled: 1-line block ×9, first 2 shown]
	v_mov_b32_e32 v9, s5
	v_add_co_u32_e32 v8, vcc, s4, v113
	s_add_i32 s33, s33, s50
	v_addc_co_u32_e32 v9, vcc, 0, v9, vcc
	v_mov_b32_e32 v1, 0
	v_cmp_gt_u32_e32 vcc, s33, v0
	s_and_saveexec_b64 s[0:1], vcc
	s_cbranch_execz .LBB446_212
; %bb.211:
	v_add_u32_e32 v12, v12, v13
	ds_read_b64 v[12:13], v12
	s_waitcnt lgkmcnt(0)
	flat_store_dwordx2 v[8:9], v[12:13]
.LBB446_212:
	s_or_b64 exec, exec, s[0:1]
	v_or_b32_e32 v12, 64, v0
	v_cmp_gt_u32_e32 vcc, s33, v12
	s_and_saveexec_b64 s[0:1], vcc
	s_cbranch_execz .LBB446_214
; %bb.213:
	s_waitcnt lgkmcnt(0)
	flat_store_dwordx2 v[8:9], v[68:69] offset:512
.LBB446_214:
	s_or_b64 exec, exec, s[0:1]
	v_or_b32_e32 v12, 0x80, v0
	v_cmp_gt_u32_e32 vcc, s33, v12
	s_and_saveexec_b64 s[0:1], vcc
	s_cbranch_execz .LBB446_216
; %bb.215:
	s_waitcnt lgkmcnt(0)
	flat_store_dwordx2 v[8:9], v[70:71] offset:1024
.LBB446_216:
	;; [unrolled: 9-line block ×7, first 2 shown]
	s_or_b64 exec, exec, s[0:1]
	v_or_b32_e32 v12, 0x200, v0
	v_cmp_gt_u32_e32 vcc, s33, v12
	s_and_saveexec_b64 s[0:1], vcc
	s_cbranch_execz .LBB446_228
; %bb.227:
	v_add_co_u32_e32 v12, vcc, 0x1000, v8
	v_addc_co_u32_e32 v13, vcc, 0, v9, vcc
	s_waitcnt lgkmcnt(0)
	flat_store_dwordx2 v[12:13], v[58:59]
.LBB446_228:
	s_or_b64 exec, exec, s[0:1]
	v_or_b32_e32 v12, 0x240, v0
	v_cmp_gt_u32_e32 vcc, s33, v12
	s_and_saveexec_b64 s[0:1], vcc
	s_cbranch_execz .LBB446_230
; %bb.229:
	v_add_co_u32_e32 v12, vcc, 0x1000, v8
	v_addc_co_u32_e32 v13, vcc, 0, v9, vcc
	s_waitcnt lgkmcnt(0)
	flat_store_dwordx2 v[12:13], v[52:53] offset:512
.LBB446_230:
	s_or_b64 exec, exec, s[0:1]
	v_or_b32_e32 v12, 0x280, v0
	v_cmp_gt_u32_e32 vcc, s33, v12
	s_and_saveexec_b64 s[0:1], vcc
	s_cbranch_execz .LBB446_232
; %bb.231:
	v_add_co_u32_e32 v12, vcc, 0x1000, v8
	v_addc_co_u32_e32 v13, vcc, 0, v9, vcc
	s_waitcnt lgkmcnt(0)
	flat_store_dwordx2 v[12:13], v[54:55] offset:1024
.LBB446_232:
	;; [unrolled: 11-line block ×7, first 2 shown]
	s_or_b64 exec, exec, s[0:1]
	v_or_b32_e32 v12, 0x400, v0
	v_cmp_gt_u32_e32 vcc, s33, v12
	s_and_saveexec_b64 s[0:1], vcc
	s_cbranch_execz .LBB446_244
; %bb.243:
	v_add_co_u32_e32 v12, vcc, 0x2000, v8
	v_addc_co_u32_e32 v13, vcc, 0, v9, vcc
	s_waitcnt lgkmcnt(0)
	flat_store_dwordx2 v[12:13], v[42:43]
.LBB446_244:
	s_or_b64 exec, exec, s[0:1]
	v_or_b32_e32 v12, 0x440, v0
	v_cmp_gt_u32_e32 vcc, s33, v12
	s_and_saveexec_b64 s[0:1], vcc
	s_cbranch_execz .LBB446_246
; %bb.245:
	v_add_co_u32_e32 v8, vcc, 0x2000, v8
	v_addc_co_u32_e32 v9, vcc, 0, v9, vcc
	s_waitcnt lgkmcnt(0)
	flat_store_dwordx2 v[8:9], v[36:37] offset:512
.LBB446_246:
	s_or_b64 exec, exec, s[0:1]
	v_or_b32_e32 v8, 0x480, v0
	v_cmp_gt_u32_e64 s[0:1], s33, v8
	s_branch .LBB446_249
.LBB446_247:
	s_mov_b64 s[0:1], 0
                                        ; implicit-def: $vgpr38_vgpr39
	s_cbranch_execz .LBB446_249
; %bb.248:
	v_mul_u32_u24_e32 v1, 0x98, v0
	s_waitcnt lgkmcnt(0)
	; wave barrier
	s_waitcnt lgkmcnt(0)
	s_movk_i32 s2, 0x98
	ds_write2_b64 v1, v[76:77], v[4:5] offset1:1
	ds_write2_b64 v1, v[6:7], v[78:79] offset0:2 offset1:3
	ds_write2_b64 v1, v[10:11], v[80:81] offset0:4 offset1:5
	;; [unrolled: 1-line block ×8, first 2 shown]
	ds_write_b64 v1, v[2:3] offset:144
	v_mul_i32_i24_e32 v2, 0xffffff70, v0
	v_mad_u32_u24 v38, v0, s2, v2
	v_mov_b32_e32 v41, s5
	v_add_co_u32_e32 v40, vcc, s4, v113
	s_waitcnt lgkmcnt(0)
	; wave barrier
	s_waitcnt lgkmcnt(0)
	ds_read2st64_b64 v[2:5], v38 offset1:1
	ds_read2st64_b64 v[6:9], v38 offset0:2 offset1:3
	ds_read2st64_b64 v[10:13], v38 offset0:4 offset1:5
	;; [unrolled: 1-line block ×8, first 2 shown]
	ds_read_b64 v[38:39], v38 offset:9216
	v_addc_co_u32_e32 v41, vcc, 0, v41, vcc
	s_movk_i32 s2, 0x1000
	s_waitcnt lgkmcnt(0)
	flat_store_dwordx2 v[40:41], v[2:3]
	flat_store_dwordx2 v[40:41], v[4:5] offset:512
	flat_store_dwordx2 v[40:41], v[6:7] offset:1024
	;; [unrolled: 1-line block ×7, first 2 shown]
	v_add_co_u32_e32 v2, vcc, s2, v40
	v_addc_co_u32_e32 v3, vcc, 0, v41, vcc
	flat_store_dwordx2 v[2:3], v[18:19]
	flat_store_dwordx2 v[2:3], v[20:21] offset:512
	flat_store_dwordx2 v[2:3], v[22:23] offset:1024
	;; [unrolled: 1-line block ×7, first 2 shown]
	v_add_co_u32_e32 v2, vcc, 0x2000, v40
	v_mov_b32_e32 v1, 0
	v_addc_co_u32_e32 v3, vcc, 0, v41, vcc
	s_or_b64 s[0:1], s[0:1], exec
	flat_store_dwordx2 v[2:3], v[34:35]
	flat_store_dwordx2 v[2:3], v[36:37] offset:512
.LBB446_249:
	s_and_saveexec_b64 s[2:3], s[0:1]
	s_cbranch_execz .LBB446_251
; %bb.250:
	v_lshlrev_b64 v[0:1], 3, v[0:1]
	v_mov_b32_e32 v2, s5
	v_add_co_u32_e32 v0, vcc, s4, v0
	v_addc_co_u32_e32 v1, vcc, v2, v1, vcc
	v_add_co_u32_e32 v0, vcc, 0x2000, v0
	v_addc_co_u32_e32 v1, vcc, 0, v1, vcc
	s_waitcnt lgkmcnt(0)
	flat_store_dwordx2 v[0:1], v[38:39] offset:1024
	s_endpgm
.LBB446_251:
	s_endpgm
	.section	.rodata,"a",@progbits
	.p2align	6, 0x0
	.amdhsa_kernel _ZN7rocprim17ROCPRIM_400000_NS6detail17trampoline_kernelINS0_14default_configENS1_27scan_by_key_config_selectorIxxEEZZNS1_16scan_by_key_implILNS1_25lookback_scan_determinismE0ELb1ES3_N6thrust23THRUST_200600_302600_NS6detail15normal_iteratorINS9_10device_ptrIxEEEESE_SE_xNS9_4plusIvEENS9_8equal_toIxEExEE10hipError_tPvRmT2_T3_T4_T5_mT6_T7_P12ihipStream_tbENKUlT_T0_E_clISt17integral_constantIbLb1EESY_IbLb0EEEEDaSU_SV_EUlSU_E_NS1_11comp_targetILNS1_3genE4ELNS1_11target_archE910ELNS1_3gpuE8ELNS1_3repE0EEENS1_30default_config_static_selectorELNS0_4arch9wavefront6targetE1EEEvT1_
		.amdhsa_group_segment_fixed_size 10752
		.amdhsa_private_segment_fixed_size 0
		.amdhsa_kernarg_size 136
		.amdhsa_user_sgpr_count 6
		.amdhsa_user_sgpr_private_segment_buffer 1
		.amdhsa_user_sgpr_dispatch_ptr 0
		.amdhsa_user_sgpr_queue_ptr 0
		.amdhsa_user_sgpr_kernarg_segment_ptr 1
		.amdhsa_user_sgpr_dispatch_id 0
		.amdhsa_user_sgpr_flat_scratch_init 0
		.amdhsa_user_sgpr_kernarg_preload_length 0
		.amdhsa_user_sgpr_kernarg_preload_offset 0
		.amdhsa_user_sgpr_private_segment_size 0
		.amdhsa_uses_dynamic_stack 0
		.amdhsa_system_sgpr_private_segment_wavefront_offset 0
		.amdhsa_system_sgpr_workgroup_id_x 1
		.amdhsa_system_sgpr_workgroup_id_y 0
		.amdhsa_system_sgpr_workgroup_id_z 0
		.amdhsa_system_sgpr_workgroup_info 0
		.amdhsa_system_vgpr_workitem_id 0
		.amdhsa_next_free_vgpr 117
		.amdhsa_next_free_sgpr 73
		.amdhsa_accum_offset 120
		.amdhsa_reserve_vcc 1
		.amdhsa_reserve_flat_scratch 0
		.amdhsa_float_round_mode_32 0
		.amdhsa_float_round_mode_16_64 0
		.amdhsa_float_denorm_mode_32 3
		.amdhsa_float_denorm_mode_16_64 3
		.amdhsa_dx10_clamp 1
		.amdhsa_ieee_mode 1
		.amdhsa_fp16_overflow 0
		.amdhsa_tg_split 0
		.amdhsa_exception_fp_ieee_invalid_op 0
		.amdhsa_exception_fp_denorm_src 0
		.amdhsa_exception_fp_ieee_div_zero 0
		.amdhsa_exception_fp_ieee_overflow 0
		.amdhsa_exception_fp_ieee_underflow 0
		.amdhsa_exception_fp_ieee_inexact 0
		.amdhsa_exception_int_div_zero 0
	.end_amdhsa_kernel
	.section	.text._ZN7rocprim17ROCPRIM_400000_NS6detail17trampoline_kernelINS0_14default_configENS1_27scan_by_key_config_selectorIxxEEZZNS1_16scan_by_key_implILNS1_25lookback_scan_determinismE0ELb1ES3_N6thrust23THRUST_200600_302600_NS6detail15normal_iteratorINS9_10device_ptrIxEEEESE_SE_xNS9_4plusIvEENS9_8equal_toIxEExEE10hipError_tPvRmT2_T3_T4_T5_mT6_T7_P12ihipStream_tbENKUlT_T0_E_clISt17integral_constantIbLb1EESY_IbLb0EEEEDaSU_SV_EUlSU_E_NS1_11comp_targetILNS1_3genE4ELNS1_11target_archE910ELNS1_3gpuE8ELNS1_3repE0EEENS1_30default_config_static_selectorELNS0_4arch9wavefront6targetE1EEEvT1_,"axG",@progbits,_ZN7rocprim17ROCPRIM_400000_NS6detail17trampoline_kernelINS0_14default_configENS1_27scan_by_key_config_selectorIxxEEZZNS1_16scan_by_key_implILNS1_25lookback_scan_determinismE0ELb1ES3_N6thrust23THRUST_200600_302600_NS6detail15normal_iteratorINS9_10device_ptrIxEEEESE_SE_xNS9_4plusIvEENS9_8equal_toIxEExEE10hipError_tPvRmT2_T3_T4_T5_mT6_T7_P12ihipStream_tbENKUlT_T0_E_clISt17integral_constantIbLb1EESY_IbLb0EEEEDaSU_SV_EUlSU_E_NS1_11comp_targetILNS1_3genE4ELNS1_11target_archE910ELNS1_3gpuE8ELNS1_3repE0EEENS1_30default_config_static_selectorELNS0_4arch9wavefront6targetE1EEEvT1_,comdat
.Lfunc_end446:
	.size	_ZN7rocprim17ROCPRIM_400000_NS6detail17trampoline_kernelINS0_14default_configENS1_27scan_by_key_config_selectorIxxEEZZNS1_16scan_by_key_implILNS1_25lookback_scan_determinismE0ELb1ES3_N6thrust23THRUST_200600_302600_NS6detail15normal_iteratorINS9_10device_ptrIxEEEESE_SE_xNS9_4plusIvEENS9_8equal_toIxEExEE10hipError_tPvRmT2_T3_T4_T5_mT6_T7_P12ihipStream_tbENKUlT_T0_E_clISt17integral_constantIbLb1EESY_IbLb0EEEEDaSU_SV_EUlSU_E_NS1_11comp_targetILNS1_3genE4ELNS1_11target_archE910ELNS1_3gpuE8ELNS1_3repE0EEENS1_30default_config_static_selectorELNS0_4arch9wavefront6targetE1EEEvT1_, .Lfunc_end446-_ZN7rocprim17ROCPRIM_400000_NS6detail17trampoline_kernelINS0_14default_configENS1_27scan_by_key_config_selectorIxxEEZZNS1_16scan_by_key_implILNS1_25lookback_scan_determinismE0ELb1ES3_N6thrust23THRUST_200600_302600_NS6detail15normal_iteratorINS9_10device_ptrIxEEEESE_SE_xNS9_4plusIvEENS9_8equal_toIxEExEE10hipError_tPvRmT2_T3_T4_T5_mT6_T7_P12ihipStream_tbENKUlT_T0_E_clISt17integral_constantIbLb1EESY_IbLb0EEEEDaSU_SV_EUlSU_E_NS1_11comp_targetILNS1_3genE4ELNS1_11target_archE910ELNS1_3gpuE8ELNS1_3repE0EEENS1_30default_config_static_selectorELNS0_4arch9wavefront6targetE1EEEvT1_
                                        ; -- End function
	.section	.AMDGPU.csdata,"",@progbits
; Kernel info:
; codeLenInByte = 15688
; NumSgprs: 77
; NumVgprs: 117
; NumAgprs: 0
; TotalNumVgprs: 117
; ScratchSize: 0
; MemoryBound: 0
; FloatMode: 240
; IeeeMode: 1
; LDSByteSize: 10752 bytes/workgroup (compile time only)
; SGPRBlocks: 9
; VGPRBlocks: 14
; NumSGPRsForWavesPerEU: 77
; NumVGPRsForWavesPerEU: 117
; AccumOffset: 120
; Occupancy: 2
; WaveLimiterHint : 1
; COMPUTE_PGM_RSRC2:SCRATCH_EN: 0
; COMPUTE_PGM_RSRC2:USER_SGPR: 6
; COMPUTE_PGM_RSRC2:TRAP_HANDLER: 0
; COMPUTE_PGM_RSRC2:TGID_X_EN: 1
; COMPUTE_PGM_RSRC2:TGID_Y_EN: 0
; COMPUTE_PGM_RSRC2:TGID_Z_EN: 0
; COMPUTE_PGM_RSRC2:TIDIG_COMP_CNT: 0
; COMPUTE_PGM_RSRC3_GFX90A:ACCUM_OFFSET: 29
; COMPUTE_PGM_RSRC3_GFX90A:TG_SPLIT: 0
	.section	.text._ZN7rocprim17ROCPRIM_400000_NS6detail17trampoline_kernelINS0_14default_configENS1_27scan_by_key_config_selectorIxxEEZZNS1_16scan_by_key_implILNS1_25lookback_scan_determinismE0ELb1ES3_N6thrust23THRUST_200600_302600_NS6detail15normal_iteratorINS9_10device_ptrIxEEEESE_SE_xNS9_4plusIvEENS9_8equal_toIxEExEE10hipError_tPvRmT2_T3_T4_T5_mT6_T7_P12ihipStream_tbENKUlT_T0_E_clISt17integral_constantIbLb1EESY_IbLb0EEEEDaSU_SV_EUlSU_E_NS1_11comp_targetILNS1_3genE3ELNS1_11target_archE908ELNS1_3gpuE7ELNS1_3repE0EEENS1_30default_config_static_selectorELNS0_4arch9wavefront6targetE1EEEvT1_,"axG",@progbits,_ZN7rocprim17ROCPRIM_400000_NS6detail17trampoline_kernelINS0_14default_configENS1_27scan_by_key_config_selectorIxxEEZZNS1_16scan_by_key_implILNS1_25lookback_scan_determinismE0ELb1ES3_N6thrust23THRUST_200600_302600_NS6detail15normal_iteratorINS9_10device_ptrIxEEEESE_SE_xNS9_4plusIvEENS9_8equal_toIxEExEE10hipError_tPvRmT2_T3_T4_T5_mT6_T7_P12ihipStream_tbENKUlT_T0_E_clISt17integral_constantIbLb1EESY_IbLb0EEEEDaSU_SV_EUlSU_E_NS1_11comp_targetILNS1_3genE3ELNS1_11target_archE908ELNS1_3gpuE7ELNS1_3repE0EEENS1_30default_config_static_selectorELNS0_4arch9wavefront6targetE1EEEvT1_,comdat
	.protected	_ZN7rocprim17ROCPRIM_400000_NS6detail17trampoline_kernelINS0_14default_configENS1_27scan_by_key_config_selectorIxxEEZZNS1_16scan_by_key_implILNS1_25lookback_scan_determinismE0ELb1ES3_N6thrust23THRUST_200600_302600_NS6detail15normal_iteratorINS9_10device_ptrIxEEEESE_SE_xNS9_4plusIvEENS9_8equal_toIxEExEE10hipError_tPvRmT2_T3_T4_T5_mT6_T7_P12ihipStream_tbENKUlT_T0_E_clISt17integral_constantIbLb1EESY_IbLb0EEEEDaSU_SV_EUlSU_E_NS1_11comp_targetILNS1_3genE3ELNS1_11target_archE908ELNS1_3gpuE7ELNS1_3repE0EEENS1_30default_config_static_selectorELNS0_4arch9wavefront6targetE1EEEvT1_ ; -- Begin function _ZN7rocprim17ROCPRIM_400000_NS6detail17trampoline_kernelINS0_14default_configENS1_27scan_by_key_config_selectorIxxEEZZNS1_16scan_by_key_implILNS1_25lookback_scan_determinismE0ELb1ES3_N6thrust23THRUST_200600_302600_NS6detail15normal_iteratorINS9_10device_ptrIxEEEESE_SE_xNS9_4plusIvEENS9_8equal_toIxEExEE10hipError_tPvRmT2_T3_T4_T5_mT6_T7_P12ihipStream_tbENKUlT_T0_E_clISt17integral_constantIbLb1EESY_IbLb0EEEEDaSU_SV_EUlSU_E_NS1_11comp_targetILNS1_3genE3ELNS1_11target_archE908ELNS1_3gpuE7ELNS1_3repE0EEENS1_30default_config_static_selectorELNS0_4arch9wavefront6targetE1EEEvT1_
	.globl	_ZN7rocprim17ROCPRIM_400000_NS6detail17trampoline_kernelINS0_14default_configENS1_27scan_by_key_config_selectorIxxEEZZNS1_16scan_by_key_implILNS1_25lookback_scan_determinismE0ELb1ES3_N6thrust23THRUST_200600_302600_NS6detail15normal_iteratorINS9_10device_ptrIxEEEESE_SE_xNS9_4plusIvEENS9_8equal_toIxEExEE10hipError_tPvRmT2_T3_T4_T5_mT6_T7_P12ihipStream_tbENKUlT_T0_E_clISt17integral_constantIbLb1EESY_IbLb0EEEEDaSU_SV_EUlSU_E_NS1_11comp_targetILNS1_3genE3ELNS1_11target_archE908ELNS1_3gpuE7ELNS1_3repE0EEENS1_30default_config_static_selectorELNS0_4arch9wavefront6targetE1EEEvT1_
	.p2align	8
	.type	_ZN7rocprim17ROCPRIM_400000_NS6detail17trampoline_kernelINS0_14default_configENS1_27scan_by_key_config_selectorIxxEEZZNS1_16scan_by_key_implILNS1_25lookback_scan_determinismE0ELb1ES3_N6thrust23THRUST_200600_302600_NS6detail15normal_iteratorINS9_10device_ptrIxEEEESE_SE_xNS9_4plusIvEENS9_8equal_toIxEExEE10hipError_tPvRmT2_T3_T4_T5_mT6_T7_P12ihipStream_tbENKUlT_T0_E_clISt17integral_constantIbLb1EESY_IbLb0EEEEDaSU_SV_EUlSU_E_NS1_11comp_targetILNS1_3genE3ELNS1_11target_archE908ELNS1_3gpuE7ELNS1_3repE0EEENS1_30default_config_static_selectorELNS0_4arch9wavefront6targetE1EEEvT1_,@function
_ZN7rocprim17ROCPRIM_400000_NS6detail17trampoline_kernelINS0_14default_configENS1_27scan_by_key_config_selectorIxxEEZZNS1_16scan_by_key_implILNS1_25lookback_scan_determinismE0ELb1ES3_N6thrust23THRUST_200600_302600_NS6detail15normal_iteratorINS9_10device_ptrIxEEEESE_SE_xNS9_4plusIvEENS9_8equal_toIxEExEE10hipError_tPvRmT2_T3_T4_T5_mT6_T7_P12ihipStream_tbENKUlT_T0_E_clISt17integral_constantIbLb1EESY_IbLb0EEEEDaSU_SV_EUlSU_E_NS1_11comp_targetILNS1_3genE3ELNS1_11target_archE908ELNS1_3gpuE7ELNS1_3repE0EEENS1_30default_config_static_selectorELNS0_4arch9wavefront6targetE1EEEvT1_: ; @_ZN7rocprim17ROCPRIM_400000_NS6detail17trampoline_kernelINS0_14default_configENS1_27scan_by_key_config_selectorIxxEEZZNS1_16scan_by_key_implILNS1_25lookback_scan_determinismE0ELb1ES3_N6thrust23THRUST_200600_302600_NS6detail15normal_iteratorINS9_10device_ptrIxEEEESE_SE_xNS9_4plusIvEENS9_8equal_toIxEExEE10hipError_tPvRmT2_T3_T4_T5_mT6_T7_P12ihipStream_tbENKUlT_T0_E_clISt17integral_constantIbLb1EESY_IbLb0EEEEDaSU_SV_EUlSU_E_NS1_11comp_targetILNS1_3genE3ELNS1_11target_archE908ELNS1_3gpuE7ELNS1_3repE0EEENS1_30default_config_static_selectorELNS0_4arch9wavefront6targetE1EEEvT1_
; %bb.0:
	.section	.rodata,"a",@progbits
	.p2align	6, 0x0
	.amdhsa_kernel _ZN7rocprim17ROCPRIM_400000_NS6detail17trampoline_kernelINS0_14default_configENS1_27scan_by_key_config_selectorIxxEEZZNS1_16scan_by_key_implILNS1_25lookback_scan_determinismE0ELb1ES3_N6thrust23THRUST_200600_302600_NS6detail15normal_iteratorINS9_10device_ptrIxEEEESE_SE_xNS9_4plusIvEENS9_8equal_toIxEExEE10hipError_tPvRmT2_T3_T4_T5_mT6_T7_P12ihipStream_tbENKUlT_T0_E_clISt17integral_constantIbLb1EESY_IbLb0EEEEDaSU_SV_EUlSU_E_NS1_11comp_targetILNS1_3genE3ELNS1_11target_archE908ELNS1_3gpuE7ELNS1_3repE0EEENS1_30default_config_static_selectorELNS0_4arch9wavefront6targetE1EEEvT1_
		.amdhsa_group_segment_fixed_size 0
		.amdhsa_private_segment_fixed_size 0
		.amdhsa_kernarg_size 136
		.amdhsa_user_sgpr_count 6
		.amdhsa_user_sgpr_private_segment_buffer 1
		.amdhsa_user_sgpr_dispatch_ptr 0
		.amdhsa_user_sgpr_queue_ptr 0
		.amdhsa_user_sgpr_kernarg_segment_ptr 1
		.amdhsa_user_sgpr_dispatch_id 0
		.amdhsa_user_sgpr_flat_scratch_init 0
		.amdhsa_user_sgpr_kernarg_preload_length 0
		.amdhsa_user_sgpr_kernarg_preload_offset 0
		.amdhsa_user_sgpr_private_segment_size 0
		.amdhsa_uses_dynamic_stack 0
		.amdhsa_system_sgpr_private_segment_wavefront_offset 0
		.amdhsa_system_sgpr_workgroup_id_x 1
		.amdhsa_system_sgpr_workgroup_id_y 0
		.amdhsa_system_sgpr_workgroup_id_z 0
		.amdhsa_system_sgpr_workgroup_info 0
		.amdhsa_system_vgpr_workitem_id 0
		.amdhsa_next_free_vgpr 1
		.amdhsa_next_free_sgpr 0
		.amdhsa_accum_offset 4
		.amdhsa_reserve_vcc 0
		.amdhsa_reserve_flat_scratch 0
		.amdhsa_float_round_mode_32 0
		.amdhsa_float_round_mode_16_64 0
		.amdhsa_float_denorm_mode_32 3
		.amdhsa_float_denorm_mode_16_64 3
		.amdhsa_dx10_clamp 1
		.amdhsa_ieee_mode 1
		.amdhsa_fp16_overflow 0
		.amdhsa_tg_split 0
		.amdhsa_exception_fp_ieee_invalid_op 0
		.amdhsa_exception_fp_denorm_src 0
		.amdhsa_exception_fp_ieee_div_zero 0
		.amdhsa_exception_fp_ieee_overflow 0
		.amdhsa_exception_fp_ieee_underflow 0
		.amdhsa_exception_fp_ieee_inexact 0
		.amdhsa_exception_int_div_zero 0
	.end_amdhsa_kernel
	.section	.text._ZN7rocprim17ROCPRIM_400000_NS6detail17trampoline_kernelINS0_14default_configENS1_27scan_by_key_config_selectorIxxEEZZNS1_16scan_by_key_implILNS1_25lookback_scan_determinismE0ELb1ES3_N6thrust23THRUST_200600_302600_NS6detail15normal_iteratorINS9_10device_ptrIxEEEESE_SE_xNS9_4plusIvEENS9_8equal_toIxEExEE10hipError_tPvRmT2_T3_T4_T5_mT6_T7_P12ihipStream_tbENKUlT_T0_E_clISt17integral_constantIbLb1EESY_IbLb0EEEEDaSU_SV_EUlSU_E_NS1_11comp_targetILNS1_3genE3ELNS1_11target_archE908ELNS1_3gpuE7ELNS1_3repE0EEENS1_30default_config_static_selectorELNS0_4arch9wavefront6targetE1EEEvT1_,"axG",@progbits,_ZN7rocprim17ROCPRIM_400000_NS6detail17trampoline_kernelINS0_14default_configENS1_27scan_by_key_config_selectorIxxEEZZNS1_16scan_by_key_implILNS1_25lookback_scan_determinismE0ELb1ES3_N6thrust23THRUST_200600_302600_NS6detail15normal_iteratorINS9_10device_ptrIxEEEESE_SE_xNS9_4plusIvEENS9_8equal_toIxEExEE10hipError_tPvRmT2_T3_T4_T5_mT6_T7_P12ihipStream_tbENKUlT_T0_E_clISt17integral_constantIbLb1EESY_IbLb0EEEEDaSU_SV_EUlSU_E_NS1_11comp_targetILNS1_3genE3ELNS1_11target_archE908ELNS1_3gpuE7ELNS1_3repE0EEENS1_30default_config_static_selectorELNS0_4arch9wavefront6targetE1EEEvT1_,comdat
.Lfunc_end447:
	.size	_ZN7rocprim17ROCPRIM_400000_NS6detail17trampoline_kernelINS0_14default_configENS1_27scan_by_key_config_selectorIxxEEZZNS1_16scan_by_key_implILNS1_25lookback_scan_determinismE0ELb1ES3_N6thrust23THRUST_200600_302600_NS6detail15normal_iteratorINS9_10device_ptrIxEEEESE_SE_xNS9_4plusIvEENS9_8equal_toIxEExEE10hipError_tPvRmT2_T3_T4_T5_mT6_T7_P12ihipStream_tbENKUlT_T0_E_clISt17integral_constantIbLb1EESY_IbLb0EEEEDaSU_SV_EUlSU_E_NS1_11comp_targetILNS1_3genE3ELNS1_11target_archE908ELNS1_3gpuE7ELNS1_3repE0EEENS1_30default_config_static_selectorELNS0_4arch9wavefront6targetE1EEEvT1_, .Lfunc_end447-_ZN7rocprim17ROCPRIM_400000_NS6detail17trampoline_kernelINS0_14default_configENS1_27scan_by_key_config_selectorIxxEEZZNS1_16scan_by_key_implILNS1_25lookback_scan_determinismE0ELb1ES3_N6thrust23THRUST_200600_302600_NS6detail15normal_iteratorINS9_10device_ptrIxEEEESE_SE_xNS9_4plusIvEENS9_8equal_toIxEExEE10hipError_tPvRmT2_T3_T4_T5_mT6_T7_P12ihipStream_tbENKUlT_T0_E_clISt17integral_constantIbLb1EESY_IbLb0EEEEDaSU_SV_EUlSU_E_NS1_11comp_targetILNS1_3genE3ELNS1_11target_archE908ELNS1_3gpuE7ELNS1_3repE0EEENS1_30default_config_static_selectorELNS0_4arch9wavefront6targetE1EEEvT1_
                                        ; -- End function
	.section	.AMDGPU.csdata,"",@progbits
; Kernel info:
; codeLenInByte = 0
; NumSgprs: 4
; NumVgprs: 0
; NumAgprs: 0
; TotalNumVgprs: 0
; ScratchSize: 0
; MemoryBound: 0
; FloatMode: 240
; IeeeMode: 1
; LDSByteSize: 0 bytes/workgroup (compile time only)
; SGPRBlocks: 0
; VGPRBlocks: 0
; NumSGPRsForWavesPerEU: 4
; NumVGPRsForWavesPerEU: 1
; AccumOffset: 4
; Occupancy: 8
; WaveLimiterHint : 0
; COMPUTE_PGM_RSRC2:SCRATCH_EN: 0
; COMPUTE_PGM_RSRC2:USER_SGPR: 6
; COMPUTE_PGM_RSRC2:TRAP_HANDLER: 0
; COMPUTE_PGM_RSRC2:TGID_X_EN: 1
; COMPUTE_PGM_RSRC2:TGID_Y_EN: 0
; COMPUTE_PGM_RSRC2:TGID_Z_EN: 0
; COMPUTE_PGM_RSRC2:TIDIG_COMP_CNT: 0
; COMPUTE_PGM_RSRC3_GFX90A:ACCUM_OFFSET: 0
; COMPUTE_PGM_RSRC3_GFX90A:TG_SPLIT: 0
	.section	.text._ZN7rocprim17ROCPRIM_400000_NS6detail17trampoline_kernelINS0_14default_configENS1_27scan_by_key_config_selectorIxxEEZZNS1_16scan_by_key_implILNS1_25lookback_scan_determinismE0ELb1ES3_N6thrust23THRUST_200600_302600_NS6detail15normal_iteratorINS9_10device_ptrIxEEEESE_SE_xNS9_4plusIvEENS9_8equal_toIxEExEE10hipError_tPvRmT2_T3_T4_T5_mT6_T7_P12ihipStream_tbENKUlT_T0_E_clISt17integral_constantIbLb1EESY_IbLb0EEEEDaSU_SV_EUlSU_E_NS1_11comp_targetILNS1_3genE2ELNS1_11target_archE906ELNS1_3gpuE6ELNS1_3repE0EEENS1_30default_config_static_selectorELNS0_4arch9wavefront6targetE1EEEvT1_,"axG",@progbits,_ZN7rocprim17ROCPRIM_400000_NS6detail17trampoline_kernelINS0_14default_configENS1_27scan_by_key_config_selectorIxxEEZZNS1_16scan_by_key_implILNS1_25lookback_scan_determinismE0ELb1ES3_N6thrust23THRUST_200600_302600_NS6detail15normal_iteratorINS9_10device_ptrIxEEEESE_SE_xNS9_4plusIvEENS9_8equal_toIxEExEE10hipError_tPvRmT2_T3_T4_T5_mT6_T7_P12ihipStream_tbENKUlT_T0_E_clISt17integral_constantIbLb1EESY_IbLb0EEEEDaSU_SV_EUlSU_E_NS1_11comp_targetILNS1_3genE2ELNS1_11target_archE906ELNS1_3gpuE6ELNS1_3repE0EEENS1_30default_config_static_selectorELNS0_4arch9wavefront6targetE1EEEvT1_,comdat
	.protected	_ZN7rocprim17ROCPRIM_400000_NS6detail17trampoline_kernelINS0_14default_configENS1_27scan_by_key_config_selectorIxxEEZZNS1_16scan_by_key_implILNS1_25lookback_scan_determinismE0ELb1ES3_N6thrust23THRUST_200600_302600_NS6detail15normal_iteratorINS9_10device_ptrIxEEEESE_SE_xNS9_4plusIvEENS9_8equal_toIxEExEE10hipError_tPvRmT2_T3_T4_T5_mT6_T7_P12ihipStream_tbENKUlT_T0_E_clISt17integral_constantIbLb1EESY_IbLb0EEEEDaSU_SV_EUlSU_E_NS1_11comp_targetILNS1_3genE2ELNS1_11target_archE906ELNS1_3gpuE6ELNS1_3repE0EEENS1_30default_config_static_selectorELNS0_4arch9wavefront6targetE1EEEvT1_ ; -- Begin function _ZN7rocprim17ROCPRIM_400000_NS6detail17trampoline_kernelINS0_14default_configENS1_27scan_by_key_config_selectorIxxEEZZNS1_16scan_by_key_implILNS1_25lookback_scan_determinismE0ELb1ES3_N6thrust23THRUST_200600_302600_NS6detail15normal_iteratorINS9_10device_ptrIxEEEESE_SE_xNS9_4plusIvEENS9_8equal_toIxEExEE10hipError_tPvRmT2_T3_T4_T5_mT6_T7_P12ihipStream_tbENKUlT_T0_E_clISt17integral_constantIbLb1EESY_IbLb0EEEEDaSU_SV_EUlSU_E_NS1_11comp_targetILNS1_3genE2ELNS1_11target_archE906ELNS1_3gpuE6ELNS1_3repE0EEENS1_30default_config_static_selectorELNS0_4arch9wavefront6targetE1EEEvT1_
	.globl	_ZN7rocprim17ROCPRIM_400000_NS6detail17trampoline_kernelINS0_14default_configENS1_27scan_by_key_config_selectorIxxEEZZNS1_16scan_by_key_implILNS1_25lookback_scan_determinismE0ELb1ES3_N6thrust23THRUST_200600_302600_NS6detail15normal_iteratorINS9_10device_ptrIxEEEESE_SE_xNS9_4plusIvEENS9_8equal_toIxEExEE10hipError_tPvRmT2_T3_T4_T5_mT6_T7_P12ihipStream_tbENKUlT_T0_E_clISt17integral_constantIbLb1EESY_IbLb0EEEEDaSU_SV_EUlSU_E_NS1_11comp_targetILNS1_3genE2ELNS1_11target_archE906ELNS1_3gpuE6ELNS1_3repE0EEENS1_30default_config_static_selectorELNS0_4arch9wavefront6targetE1EEEvT1_
	.p2align	8
	.type	_ZN7rocprim17ROCPRIM_400000_NS6detail17trampoline_kernelINS0_14default_configENS1_27scan_by_key_config_selectorIxxEEZZNS1_16scan_by_key_implILNS1_25lookback_scan_determinismE0ELb1ES3_N6thrust23THRUST_200600_302600_NS6detail15normal_iteratorINS9_10device_ptrIxEEEESE_SE_xNS9_4plusIvEENS9_8equal_toIxEExEE10hipError_tPvRmT2_T3_T4_T5_mT6_T7_P12ihipStream_tbENKUlT_T0_E_clISt17integral_constantIbLb1EESY_IbLb0EEEEDaSU_SV_EUlSU_E_NS1_11comp_targetILNS1_3genE2ELNS1_11target_archE906ELNS1_3gpuE6ELNS1_3repE0EEENS1_30default_config_static_selectorELNS0_4arch9wavefront6targetE1EEEvT1_,@function
_ZN7rocprim17ROCPRIM_400000_NS6detail17trampoline_kernelINS0_14default_configENS1_27scan_by_key_config_selectorIxxEEZZNS1_16scan_by_key_implILNS1_25lookback_scan_determinismE0ELb1ES3_N6thrust23THRUST_200600_302600_NS6detail15normal_iteratorINS9_10device_ptrIxEEEESE_SE_xNS9_4plusIvEENS9_8equal_toIxEExEE10hipError_tPvRmT2_T3_T4_T5_mT6_T7_P12ihipStream_tbENKUlT_T0_E_clISt17integral_constantIbLb1EESY_IbLb0EEEEDaSU_SV_EUlSU_E_NS1_11comp_targetILNS1_3genE2ELNS1_11target_archE906ELNS1_3gpuE6ELNS1_3repE0EEENS1_30default_config_static_selectorELNS0_4arch9wavefront6targetE1EEEvT1_: ; @_ZN7rocprim17ROCPRIM_400000_NS6detail17trampoline_kernelINS0_14default_configENS1_27scan_by_key_config_selectorIxxEEZZNS1_16scan_by_key_implILNS1_25lookback_scan_determinismE0ELb1ES3_N6thrust23THRUST_200600_302600_NS6detail15normal_iteratorINS9_10device_ptrIxEEEESE_SE_xNS9_4plusIvEENS9_8equal_toIxEExEE10hipError_tPvRmT2_T3_T4_T5_mT6_T7_P12ihipStream_tbENKUlT_T0_E_clISt17integral_constantIbLb1EESY_IbLb0EEEEDaSU_SV_EUlSU_E_NS1_11comp_targetILNS1_3genE2ELNS1_11target_archE906ELNS1_3gpuE6ELNS1_3repE0EEENS1_30default_config_static_selectorELNS0_4arch9wavefront6targetE1EEEvT1_
; %bb.0:
	.section	.rodata,"a",@progbits
	.p2align	6, 0x0
	.amdhsa_kernel _ZN7rocprim17ROCPRIM_400000_NS6detail17trampoline_kernelINS0_14default_configENS1_27scan_by_key_config_selectorIxxEEZZNS1_16scan_by_key_implILNS1_25lookback_scan_determinismE0ELb1ES3_N6thrust23THRUST_200600_302600_NS6detail15normal_iteratorINS9_10device_ptrIxEEEESE_SE_xNS9_4plusIvEENS9_8equal_toIxEExEE10hipError_tPvRmT2_T3_T4_T5_mT6_T7_P12ihipStream_tbENKUlT_T0_E_clISt17integral_constantIbLb1EESY_IbLb0EEEEDaSU_SV_EUlSU_E_NS1_11comp_targetILNS1_3genE2ELNS1_11target_archE906ELNS1_3gpuE6ELNS1_3repE0EEENS1_30default_config_static_selectorELNS0_4arch9wavefront6targetE1EEEvT1_
		.amdhsa_group_segment_fixed_size 0
		.amdhsa_private_segment_fixed_size 0
		.amdhsa_kernarg_size 136
		.amdhsa_user_sgpr_count 6
		.amdhsa_user_sgpr_private_segment_buffer 1
		.amdhsa_user_sgpr_dispatch_ptr 0
		.amdhsa_user_sgpr_queue_ptr 0
		.amdhsa_user_sgpr_kernarg_segment_ptr 1
		.amdhsa_user_sgpr_dispatch_id 0
		.amdhsa_user_sgpr_flat_scratch_init 0
		.amdhsa_user_sgpr_kernarg_preload_length 0
		.amdhsa_user_sgpr_kernarg_preload_offset 0
		.amdhsa_user_sgpr_private_segment_size 0
		.amdhsa_uses_dynamic_stack 0
		.amdhsa_system_sgpr_private_segment_wavefront_offset 0
		.amdhsa_system_sgpr_workgroup_id_x 1
		.amdhsa_system_sgpr_workgroup_id_y 0
		.amdhsa_system_sgpr_workgroup_id_z 0
		.amdhsa_system_sgpr_workgroup_info 0
		.amdhsa_system_vgpr_workitem_id 0
		.amdhsa_next_free_vgpr 1
		.amdhsa_next_free_sgpr 0
		.amdhsa_accum_offset 4
		.amdhsa_reserve_vcc 0
		.amdhsa_reserve_flat_scratch 0
		.amdhsa_float_round_mode_32 0
		.amdhsa_float_round_mode_16_64 0
		.amdhsa_float_denorm_mode_32 3
		.amdhsa_float_denorm_mode_16_64 3
		.amdhsa_dx10_clamp 1
		.amdhsa_ieee_mode 1
		.amdhsa_fp16_overflow 0
		.amdhsa_tg_split 0
		.amdhsa_exception_fp_ieee_invalid_op 0
		.amdhsa_exception_fp_denorm_src 0
		.amdhsa_exception_fp_ieee_div_zero 0
		.amdhsa_exception_fp_ieee_overflow 0
		.amdhsa_exception_fp_ieee_underflow 0
		.amdhsa_exception_fp_ieee_inexact 0
		.amdhsa_exception_int_div_zero 0
	.end_amdhsa_kernel
	.section	.text._ZN7rocprim17ROCPRIM_400000_NS6detail17trampoline_kernelINS0_14default_configENS1_27scan_by_key_config_selectorIxxEEZZNS1_16scan_by_key_implILNS1_25lookback_scan_determinismE0ELb1ES3_N6thrust23THRUST_200600_302600_NS6detail15normal_iteratorINS9_10device_ptrIxEEEESE_SE_xNS9_4plusIvEENS9_8equal_toIxEExEE10hipError_tPvRmT2_T3_T4_T5_mT6_T7_P12ihipStream_tbENKUlT_T0_E_clISt17integral_constantIbLb1EESY_IbLb0EEEEDaSU_SV_EUlSU_E_NS1_11comp_targetILNS1_3genE2ELNS1_11target_archE906ELNS1_3gpuE6ELNS1_3repE0EEENS1_30default_config_static_selectorELNS0_4arch9wavefront6targetE1EEEvT1_,"axG",@progbits,_ZN7rocprim17ROCPRIM_400000_NS6detail17trampoline_kernelINS0_14default_configENS1_27scan_by_key_config_selectorIxxEEZZNS1_16scan_by_key_implILNS1_25lookback_scan_determinismE0ELb1ES3_N6thrust23THRUST_200600_302600_NS6detail15normal_iteratorINS9_10device_ptrIxEEEESE_SE_xNS9_4plusIvEENS9_8equal_toIxEExEE10hipError_tPvRmT2_T3_T4_T5_mT6_T7_P12ihipStream_tbENKUlT_T0_E_clISt17integral_constantIbLb1EESY_IbLb0EEEEDaSU_SV_EUlSU_E_NS1_11comp_targetILNS1_3genE2ELNS1_11target_archE906ELNS1_3gpuE6ELNS1_3repE0EEENS1_30default_config_static_selectorELNS0_4arch9wavefront6targetE1EEEvT1_,comdat
.Lfunc_end448:
	.size	_ZN7rocprim17ROCPRIM_400000_NS6detail17trampoline_kernelINS0_14default_configENS1_27scan_by_key_config_selectorIxxEEZZNS1_16scan_by_key_implILNS1_25lookback_scan_determinismE0ELb1ES3_N6thrust23THRUST_200600_302600_NS6detail15normal_iteratorINS9_10device_ptrIxEEEESE_SE_xNS9_4plusIvEENS9_8equal_toIxEExEE10hipError_tPvRmT2_T3_T4_T5_mT6_T7_P12ihipStream_tbENKUlT_T0_E_clISt17integral_constantIbLb1EESY_IbLb0EEEEDaSU_SV_EUlSU_E_NS1_11comp_targetILNS1_3genE2ELNS1_11target_archE906ELNS1_3gpuE6ELNS1_3repE0EEENS1_30default_config_static_selectorELNS0_4arch9wavefront6targetE1EEEvT1_, .Lfunc_end448-_ZN7rocprim17ROCPRIM_400000_NS6detail17trampoline_kernelINS0_14default_configENS1_27scan_by_key_config_selectorIxxEEZZNS1_16scan_by_key_implILNS1_25lookback_scan_determinismE0ELb1ES3_N6thrust23THRUST_200600_302600_NS6detail15normal_iteratorINS9_10device_ptrIxEEEESE_SE_xNS9_4plusIvEENS9_8equal_toIxEExEE10hipError_tPvRmT2_T3_T4_T5_mT6_T7_P12ihipStream_tbENKUlT_T0_E_clISt17integral_constantIbLb1EESY_IbLb0EEEEDaSU_SV_EUlSU_E_NS1_11comp_targetILNS1_3genE2ELNS1_11target_archE906ELNS1_3gpuE6ELNS1_3repE0EEENS1_30default_config_static_selectorELNS0_4arch9wavefront6targetE1EEEvT1_
                                        ; -- End function
	.section	.AMDGPU.csdata,"",@progbits
; Kernel info:
; codeLenInByte = 0
; NumSgprs: 4
; NumVgprs: 0
; NumAgprs: 0
; TotalNumVgprs: 0
; ScratchSize: 0
; MemoryBound: 0
; FloatMode: 240
; IeeeMode: 1
; LDSByteSize: 0 bytes/workgroup (compile time only)
; SGPRBlocks: 0
; VGPRBlocks: 0
; NumSGPRsForWavesPerEU: 4
; NumVGPRsForWavesPerEU: 1
; AccumOffset: 4
; Occupancy: 8
; WaveLimiterHint : 0
; COMPUTE_PGM_RSRC2:SCRATCH_EN: 0
; COMPUTE_PGM_RSRC2:USER_SGPR: 6
; COMPUTE_PGM_RSRC2:TRAP_HANDLER: 0
; COMPUTE_PGM_RSRC2:TGID_X_EN: 1
; COMPUTE_PGM_RSRC2:TGID_Y_EN: 0
; COMPUTE_PGM_RSRC2:TGID_Z_EN: 0
; COMPUTE_PGM_RSRC2:TIDIG_COMP_CNT: 0
; COMPUTE_PGM_RSRC3_GFX90A:ACCUM_OFFSET: 0
; COMPUTE_PGM_RSRC3_GFX90A:TG_SPLIT: 0
	.section	.text._ZN7rocprim17ROCPRIM_400000_NS6detail17trampoline_kernelINS0_14default_configENS1_27scan_by_key_config_selectorIxxEEZZNS1_16scan_by_key_implILNS1_25lookback_scan_determinismE0ELb1ES3_N6thrust23THRUST_200600_302600_NS6detail15normal_iteratorINS9_10device_ptrIxEEEESE_SE_xNS9_4plusIvEENS9_8equal_toIxEExEE10hipError_tPvRmT2_T3_T4_T5_mT6_T7_P12ihipStream_tbENKUlT_T0_E_clISt17integral_constantIbLb1EESY_IbLb0EEEEDaSU_SV_EUlSU_E_NS1_11comp_targetILNS1_3genE10ELNS1_11target_archE1200ELNS1_3gpuE4ELNS1_3repE0EEENS1_30default_config_static_selectorELNS0_4arch9wavefront6targetE1EEEvT1_,"axG",@progbits,_ZN7rocprim17ROCPRIM_400000_NS6detail17trampoline_kernelINS0_14default_configENS1_27scan_by_key_config_selectorIxxEEZZNS1_16scan_by_key_implILNS1_25lookback_scan_determinismE0ELb1ES3_N6thrust23THRUST_200600_302600_NS6detail15normal_iteratorINS9_10device_ptrIxEEEESE_SE_xNS9_4plusIvEENS9_8equal_toIxEExEE10hipError_tPvRmT2_T3_T4_T5_mT6_T7_P12ihipStream_tbENKUlT_T0_E_clISt17integral_constantIbLb1EESY_IbLb0EEEEDaSU_SV_EUlSU_E_NS1_11comp_targetILNS1_3genE10ELNS1_11target_archE1200ELNS1_3gpuE4ELNS1_3repE0EEENS1_30default_config_static_selectorELNS0_4arch9wavefront6targetE1EEEvT1_,comdat
	.protected	_ZN7rocprim17ROCPRIM_400000_NS6detail17trampoline_kernelINS0_14default_configENS1_27scan_by_key_config_selectorIxxEEZZNS1_16scan_by_key_implILNS1_25lookback_scan_determinismE0ELb1ES3_N6thrust23THRUST_200600_302600_NS6detail15normal_iteratorINS9_10device_ptrIxEEEESE_SE_xNS9_4plusIvEENS9_8equal_toIxEExEE10hipError_tPvRmT2_T3_T4_T5_mT6_T7_P12ihipStream_tbENKUlT_T0_E_clISt17integral_constantIbLb1EESY_IbLb0EEEEDaSU_SV_EUlSU_E_NS1_11comp_targetILNS1_3genE10ELNS1_11target_archE1200ELNS1_3gpuE4ELNS1_3repE0EEENS1_30default_config_static_selectorELNS0_4arch9wavefront6targetE1EEEvT1_ ; -- Begin function _ZN7rocprim17ROCPRIM_400000_NS6detail17trampoline_kernelINS0_14default_configENS1_27scan_by_key_config_selectorIxxEEZZNS1_16scan_by_key_implILNS1_25lookback_scan_determinismE0ELb1ES3_N6thrust23THRUST_200600_302600_NS6detail15normal_iteratorINS9_10device_ptrIxEEEESE_SE_xNS9_4plusIvEENS9_8equal_toIxEExEE10hipError_tPvRmT2_T3_T4_T5_mT6_T7_P12ihipStream_tbENKUlT_T0_E_clISt17integral_constantIbLb1EESY_IbLb0EEEEDaSU_SV_EUlSU_E_NS1_11comp_targetILNS1_3genE10ELNS1_11target_archE1200ELNS1_3gpuE4ELNS1_3repE0EEENS1_30default_config_static_selectorELNS0_4arch9wavefront6targetE1EEEvT1_
	.globl	_ZN7rocprim17ROCPRIM_400000_NS6detail17trampoline_kernelINS0_14default_configENS1_27scan_by_key_config_selectorIxxEEZZNS1_16scan_by_key_implILNS1_25lookback_scan_determinismE0ELb1ES3_N6thrust23THRUST_200600_302600_NS6detail15normal_iteratorINS9_10device_ptrIxEEEESE_SE_xNS9_4plusIvEENS9_8equal_toIxEExEE10hipError_tPvRmT2_T3_T4_T5_mT6_T7_P12ihipStream_tbENKUlT_T0_E_clISt17integral_constantIbLb1EESY_IbLb0EEEEDaSU_SV_EUlSU_E_NS1_11comp_targetILNS1_3genE10ELNS1_11target_archE1200ELNS1_3gpuE4ELNS1_3repE0EEENS1_30default_config_static_selectorELNS0_4arch9wavefront6targetE1EEEvT1_
	.p2align	8
	.type	_ZN7rocprim17ROCPRIM_400000_NS6detail17trampoline_kernelINS0_14default_configENS1_27scan_by_key_config_selectorIxxEEZZNS1_16scan_by_key_implILNS1_25lookback_scan_determinismE0ELb1ES3_N6thrust23THRUST_200600_302600_NS6detail15normal_iteratorINS9_10device_ptrIxEEEESE_SE_xNS9_4plusIvEENS9_8equal_toIxEExEE10hipError_tPvRmT2_T3_T4_T5_mT6_T7_P12ihipStream_tbENKUlT_T0_E_clISt17integral_constantIbLb1EESY_IbLb0EEEEDaSU_SV_EUlSU_E_NS1_11comp_targetILNS1_3genE10ELNS1_11target_archE1200ELNS1_3gpuE4ELNS1_3repE0EEENS1_30default_config_static_selectorELNS0_4arch9wavefront6targetE1EEEvT1_,@function
_ZN7rocprim17ROCPRIM_400000_NS6detail17trampoline_kernelINS0_14default_configENS1_27scan_by_key_config_selectorIxxEEZZNS1_16scan_by_key_implILNS1_25lookback_scan_determinismE0ELb1ES3_N6thrust23THRUST_200600_302600_NS6detail15normal_iteratorINS9_10device_ptrIxEEEESE_SE_xNS9_4plusIvEENS9_8equal_toIxEExEE10hipError_tPvRmT2_T3_T4_T5_mT6_T7_P12ihipStream_tbENKUlT_T0_E_clISt17integral_constantIbLb1EESY_IbLb0EEEEDaSU_SV_EUlSU_E_NS1_11comp_targetILNS1_3genE10ELNS1_11target_archE1200ELNS1_3gpuE4ELNS1_3repE0EEENS1_30default_config_static_selectorELNS0_4arch9wavefront6targetE1EEEvT1_: ; @_ZN7rocprim17ROCPRIM_400000_NS6detail17trampoline_kernelINS0_14default_configENS1_27scan_by_key_config_selectorIxxEEZZNS1_16scan_by_key_implILNS1_25lookback_scan_determinismE0ELb1ES3_N6thrust23THRUST_200600_302600_NS6detail15normal_iteratorINS9_10device_ptrIxEEEESE_SE_xNS9_4plusIvEENS9_8equal_toIxEExEE10hipError_tPvRmT2_T3_T4_T5_mT6_T7_P12ihipStream_tbENKUlT_T0_E_clISt17integral_constantIbLb1EESY_IbLb0EEEEDaSU_SV_EUlSU_E_NS1_11comp_targetILNS1_3genE10ELNS1_11target_archE1200ELNS1_3gpuE4ELNS1_3repE0EEENS1_30default_config_static_selectorELNS0_4arch9wavefront6targetE1EEEvT1_
; %bb.0:
	.section	.rodata,"a",@progbits
	.p2align	6, 0x0
	.amdhsa_kernel _ZN7rocprim17ROCPRIM_400000_NS6detail17trampoline_kernelINS0_14default_configENS1_27scan_by_key_config_selectorIxxEEZZNS1_16scan_by_key_implILNS1_25lookback_scan_determinismE0ELb1ES3_N6thrust23THRUST_200600_302600_NS6detail15normal_iteratorINS9_10device_ptrIxEEEESE_SE_xNS9_4plusIvEENS9_8equal_toIxEExEE10hipError_tPvRmT2_T3_T4_T5_mT6_T7_P12ihipStream_tbENKUlT_T0_E_clISt17integral_constantIbLb1EESY_IbLb0EEEEDaSU_SV_EUlSU_E_NS1_11comp_targetILNS1_3genE10ELNS1_11target_archE1200ELNS1_3gpuE4ELNS1_3repE0EEENS1_30default_config_static_selectorELNS0_4arch9wavefront6targetE1EEEvT1_
		.amdhsa_group_segment_fixed_size 0
		.amdhsa_private_segment_fixed_size 0
		.amdhsa_kernarg_size 136
		.amdhsa_user_sgpr_count 6
		.amdhsa_user_sgpr_private_segment_buffer 1
		.amdhsa_user_sgpr_dispatch_ptr 0
		.amdhsa_user_sgpr_queue_ptr 0
		.amdhsa_user_sgpr_kernarg_segment_ptr 1
		.amdhsa_user_sgpr_dispatch_id 0
		.amdhsa_user_sgpr_flat_scratch_init 0
		.amdhsa_user_sgpr_kernarg_preload_length 0
		.amdhsa_user_sgpr_kernarg_preload_offset 0
		.amdhsa_user_sgpr_private_segment_size 0
		.amdhsa_uses_dynamic_stack 0
		.amdhsa_system_sgpr_private_segment_wavefront_offset 0
		.amdhsa_system_sgpr_workgroup_id_x 1
		.amdhsa_system_sgpr_workgroup_id_y 0
		.amdhsa_system_sgpr_workgroup_id_z 0
		.amdhsa_system_sgpr_workgroup_info 0
		.amdhsa_system_vgpr_workitem_id 0
		.amdhsa_next_free_vgpr 1
		.amdhsa_next_free_sgpr 0
		.amdhsa_accum_offset 4
		.amdhsa_reserve_vcc 0
		.amdhsa_reserve_flat_scratch 0
		.amdhsa_float_round_mode_32 0
		.amdhsa_float_round_mode_16_64 0
		.amdhsa_float_denorm_mode_32 3
		.amdhsa_float_denorm_mode_16_64 3
		.amdhsa_dx10_clamp 1
		.amdhsa_ieee_mode 1
		.amdhsa_fp16_overflow 0
		.amdhsa_tg_split 0
		.amdhsa_exception_fp_ieee_invalid_op 0
		.amdhsa_exception_fp_denorm_src 0
		.amdhsa_exception_fp_ieee_div_zero 0
		.amdhsa_exception_fp_ieee_overflow 0
		.amdhsa_exception_fp_ieee_underflow 0
		.amdhsa_exception_fp_ieee_inexact 0
		.amdhsa_exception_int_div_zero 0
	.end_amdhsa_kernel
	.section	.text._ZN7rocprim17ROCPRIM_400000_NS6detail17trampoline_kernelINS0_14default_configENS1_27scan_by_key_config_selectorIxxEEZZNS1_16scan_by_key_implILNS1_25lookback_scan_determinismE0ELb1ES3_N6thrust23THRUST_200600_302600_NS6detail15normal_iteratorINS9_10device_ptrIxEEEESE_SE_xNS9_4plusIvEENS9_8equal_toIxEExEE10hipError_tPvRmT2_T3_T4_T5_mT6_T7_P12ihipStream_tbENKUlT_T0_E_clISt17integral_constantIbLb1EESY_IbLb0EEEEDaSU_SV_EUlSU_E_NS1_11comp_targetILNS1_3genE10ELNS1_11target_archE1200ELNS1_3gpuE4ELNS1_3repE0EEENS1_30default_config_static_selectorELNS0_4arch9wavefront6targetE1EEEvT1_,"axG",@progbits,_ZN7rocprim17ROCPRIM_400000_NS6detail17trampoline_kernelINS0_14default_configENS1_27scan_by_key_config_selectorIxxEEZZNS1_16scan_by_key_implILNS1_25lookback_scan_determinismE0ELb1ES3_N6thrust23THRUST_200600_302600_NS6detail15normal_iteratorINS9_10device_ptrIxEEEESE_SE_xNS9_4plusIvEENS9_8equal_toIxEExEE10hipError_tPvRmT2_T3_T4_T5_mT6_T7_P12ihipStream_tbENKUlT_T0_E_clISt17integral_constantIbLb1EESY_IbLb0EEEEDaSU_SV_EUlSU_E_NS1_11comp_targetILNS1_3genE10ELNS1_11target_archE1200ELNS1_3gpuE4ELNS1_3repE0EEENS1_30default_config_static_selectorELNS0_4arch9wavefront6targetE1EEEvT1_,comdat
.Lfunc_end449:
	.size	_ZN7rocprim17ROCPRIM_400000_NS6detail17trampoline_kernelINS0_14default_configENS1_27scan_by_key_config_selectorIxxEEZZNS1_16scan_by_key_implILNS1_25lookback_scan_determinismE0ELb1ES3_N6thrust23THRUST_200600_302600_NS6detail15normal_iteratorINS9_10device_ptrIxEEEESE_SE_xNS9_4plusIvEENS9_8equal_toIxEExEE10hipError_tPvRmT2_T3_T4_T5_mT6_T7_P12ihipStream_tbENKUlT_T0_E_clISt17integral_constantIbLb1EESY_IbLb0EEEEDaSU_SV_EUlSU_E_NS1_11comp_targetILNS1_3genE10ELNS1_11target_archE1200ELNS1_3gpuE4ELNS1_3repE0EEENS1_30default_config_static_selectorELNS0_4arch9wavefront6targetE1EEEvT1_, .Lfunc_end449-_ZN7rocprim17ROCPRIM_400000_NS6detail17trampoline_kernelINS0_14default_configENS1_27scan_by_key_config_selectorIxxEEZZNS1_16scan_by_key_implILNS1_25lookback_scan_determinismE0ELb1ES3_N6thrust23THRUST_200600_302600_NS6detail15normal_iteratorINS9_10device_ptrIxEEEESE_SE_xNS9_4plusIvEENS9_8equal_toIxEExEE10hipError_tPvRmT2_T3_T4_T5_mT6_T7_P12ihipStream_tbENKUlT_T0_E_clISt17integral_constantIbLb1EESY_IbLb0EEEEDaSU_SV_EUlSU_E_NS1_11comp_targetILNS1_3genE10ELNS1_11target_archE1200ELNS1_3gpuE4ELNS1_3repE0EEENS1_30default_config_static_selectorELNS0_4arch9wavefront6targetE1EEEvT1_
                                        ; -- End function
	.section	.AMDGPU.csdata,"",@progbits
; Kernel info:
; codeLenInByte = 0
; NumSgprs: 4
; NumVgprs: 0
; NumAgprs: 0
; TotalNumVgprs: 0
; ScratchSize: 0
; MemoryBound: 0
; FloatMode: 240
; IeeeMode: 1
; LDSByteSize: 0 bytes/workgroup (compile time only)
; SGPRBlocks: 0
; VGPRBlocks: 0
; NumSGPRsForWavesPerEU: 4
; NumVGPRsForWavesPerEU: 1
; AccumOffset: 4
; Occupancy: 8
; WaveLimiterHint : 0
; COMPUTE_PGM_RSRC2:SCRATCH_EN: 0
; COMPUTE_PGM_RSRC2:USER_SGPR: 6
; COMPUTE_PGM_RSRC2:TRAP_HANDLER: 0
; COMPUTE_PGM_RSRC2:TGID_X_EN: 1
; COMPUTE_PGM_RSRC2:TGID_Y_EN: 0
; COMPUTE_PGM_RSRC2:TGID_Z_EN: 0
; COMPUTE_PGM_RSRC2:TIDIG_COMP_CNT: 0
; COMPUTE_PGM_RSRC3_GFX90A:ACCUM_OFFSET: 0
; COMPUTE_PGM_RSRC3_GFX90A:TG_SPLIT: 0
	.section	.text._ZN7rocprim17ROCPRIM_400000_NS6detail17trampoline_kernelINS0_14default_configENS1_27scan_by_key_config_selectorIxxEEZZNS1_16scan_by_key_implILNS1_25lookback_scan_determinismE0ELb1ES3_N6thrust23THRUST_200600_302600_NS6detail15normal_iteratorINS9_10device_ptrIxEEEESE_SE_xNS9_4plusIvEENS9_8equal_toIxEExEE10hipError_tPvRmT2_T3_T4_T5_mT6_T7_P12ihipStream_tbENKUlT_T0_E_clISt17integral_constantIbLb1EESY_IbLb0EEEEDaSU_SV_EUlSU_E_NS1_11comp_targetILNS1_3genE9ELNS1_11target_archE1100ELNS1_3gpuE3ELNS1_3repE0EEENS1_30default_config_static_selectorELNS0_4arch9wavefront6targetE1EEEvT1_,"axG",@progbits,_ZN7rocprim17ROCPRIM_400000_NS6detail17trampoline_kernelINS0_14default_configENS1_27scan_by_key_config_selectorIxxEEZZNS1_16scan_by_key_implILNS1_25lookback_scan_determinismE0ELb1ES3_N6thrust23THRUST_200600_302600_NS6detail15normal_iteratorINS9_10device_ptrIxEEEESE_SE_xNS9_4plusIvEENS9_8equal_toIxEExEE10hipError_tPvRmT2_T3_T4_T5_mT6_T7_P12ihipStream_tbENKUlT_T0_E_clISt17integral_constantIbLb1EESY_IbLb0EEEEDaSU_SV_EUlSU_E_NS1_11comp_targetILNS1_3genE9ELNS1_11target_archE1100ELNS1_3gpuE3ELNS1_3repE0EEENS1_30default_config_static_selectorELNS0_4arch9wavefront6targetE1EEEvT1_,comdat
	.protected	_ZN7rocprim17ROCPRIM_400000_NS6detail17trampoline_kernelINS0_14default_configENS1_27scan_by_key_config_selectorIxxEEZZNS1_16scan_by_key_implILNS1_25lookback_scan_determinismE0ELb1ES3_N6thrust23THRUST_200600_302600_NS6detail15normal_iteratorINS9_10device_ptrIxEEEESE_SE_xNS9_4plusIvEENS9_8equal_toIxEExEE10hipError_tPvRmT2_T3_T4_T5_mT6_T7_P12ihipStream_tbENKUlT_T0_E_clISt17integral_constantIbLb1EESY_IbLb0EEEEDaSU_SV_EUlSU_E_NS1_11comp_targetILNS1_3genE9ELNS1_11target_archE1100ELNS1_3gpuE3ELNS1_3repE0EEENS1_30default_config_static_selectorELNS0_4arch9wavefront6targetE1EEEvT1_ ; -- Begin function _ZN7rocprim17ROCPRIM_400000_NS6detail17trampoline_kernelINS0_14default_configENS1_27scan_by_key_config_selectorIxxEEZZNS1_16scan_by_key_implILNS1_25lookback_scan_determinismE0ELb1ES3_N6thrust23THRUST_200600_302600_NS6detail15normal_iteratorINS9_10device_ptrIxEEEESE_SE_xNS9_4plusIvEENS9_8equal_toIxEExEE10hipError_tPvRmT2_T3_T4_T5_mT6_T7_P12ihipStream_tbENKUlT_T0_E_clISt17integral_constantIbLb1EESY_IbLb0EEEEDaSU_SV_EUlSU_E_NS1_11comp_targetILNS1_3genE9ELNS1_11target_archE1100ELNS1_3gpuE3ELNS1_3repE0EEENS1_30default_config_static_selectorELNS0_4arch9wavefront6targetE1EEEvT1_
	.globl	_ZN7rocprim17ROCPRIM_400000_NS6detail17trampoline_kernelINS0_14default_configENS1_27scan_by_key_config_selectorIxxEEZZNS1_16scan_by_key_implILNS1_25lookback_scan_determinismE0ELb1ES3_N6thrust23THRUST_200600_302600_NS6detail15normal_iteratorINS9_10device_ptrIxEEEESE_SE_xNS9_4plusIvEENS9_8equal_toIxEExEE10hipError_tPvRmT2_T3_T4_T5_mT6_T7_P12ihipStream_tbENKUlT_T0_E_clISt17integral_constantIbLb1EESY_IbLb0EEEEDaSU_SV_EUlSU_E_NS1_11comp_targetILNS1_3genE9ELNS1_11target_archE1100ELNS1_3gpuE3ELNS1_3repE0EEENS1_30default_config_static_selectorELNS0_4arch9wavefront6targetE1EEEvT1_
	.p2align	8
	.type	_ZN7rocprim17ROCPRIM_400000_NS6detail17trampoline_kernelINS0_14default_configENS1_27scan_by_key_config_selectorIxxEEZZNS1_16scan_by_key_implILNS1_25lookback_scan_determinismE0ELb1ES3_N6thrust23THRUST_200600_302600_NS6detail15normal_iteratorINS9_10device_ptrIxEEEESE_SE_xNS9_4plusIvEENS9_8equal_toIxEExEE10hipError_tPvRmT2_T3_T4_T5_mT6_T7_P12ihipStream_tbENKUlT_T0_E_clISt17integral_constantIbLb1EESY_IbLb0EEEEDaSU_SV_EUlSU_E_NS1_11comp_targetILNS1_3genE9ELNS1_11target_archE1100ELNS1_3gpuE3ELNS1_3repE0EEENS1_30default_config_static_selectorELNS0_4arch9wavefront6targetE1EEEvT1_,@function
_ZN7rocprim17ROCPRIM_400000_NS6detail17trampoline_kernelINS0_14default_configENS1_27scan_by_key_config_selectorIxxEEZZNS1_16scan_by_key_implILNS1_25lookback_scan_determinismE0ELb1ES3_N6thrust23THRUST_200600_302600_NS6detail15normal_iteratorINS9_10device_ptrIxEEEESE_SE_xNS9_4plusIvEENS9_8equal_toIxEExEE10hipError_tPvRmT2_T3_T4_T5_mT6_T7_P12ihipStream_tbENKUlT_T0_E_clISt17integral_constantIbLb1EESY_IbLb0EEEEDaSU_SV_EUlSU_E_NS1_11comp_targetILNS1_3genE9ELNS1_11target_archE1100ELNS1_3gpuE3ELNS1_3repE0EEENS1_30default_config_static_selectorELNS0_4arch9wavefront6targetE1EEEvT1_: ; @_ZN7rocprim17ROCPRIM_400000_NS6detail17trampoline_kernelINS0_14default_configENS1_27scan_by_key_config_selectorIxxEEZZNS1_16scan_by_key_implILNS1_25lookback_scan_determinismE0ELb1ES3_N6thrust23THRUST_200600_302600_NS6detail15normal_iteratorINS9_10device_ptrIxEEEESE_SE_xNS9_4plusIvEENS9_8equal_toIxEExEE10hipError_tPvRmT2_T3_T4_T5_mT6_T7_P12ihipStream_tbENKUlT_T0_E_clISt17integral_constantIbLb1EESY_IbLb0EEEEDaSU_SV_EUlSU_E_NS1_11comp_targetILNS1_3genE9ELNS1_11target_archE1100ELNS1_3gpuE3ELNS1_3repE0EEENS1_30default_config_static_selectorELNS0_4arch9wavefront6targetE1EEEvT1_
; %bb.0:
	.section	.rodata,"a",@progbits
	.p2align	6, 0x0
	.amdhsa_kernel _ZN7rocprim17ROCPRIM_400000_NS6detail17trampoline_kernelINS0_14default_configENS1_27scan_by_key_config_selectorIxxEEZZNS1_16scan_by_key_implILNS1_25lookback_scan_determinismE0ELb1ES3_N6thrust23THRUST_200600_302600_NS6detail15normal_iteratorINS9_10device_ptrIxEEEESE_SE_xNS9_4plusIvEENS9_8equal_toIxEExEE10hipError_tPvRmT2_T3_T4_T5_mT6_T7_P12ihipStream_tbENKUlT_T0_E_clISt17integral_constantIbLb1EESY_IbLb0EEEEDaSU_SV_EUlSU_E_NS1_11comp_targetILNS1_3genE9ELNS1_11target_archE1100ELNS1_3gpuE3ELNS1_3repE0EEENS1_30default_config_static_selectorELNS0_4arch9wavefront6targetE1EEEvT1_
		.amdhsa_group_segment_fixed_size 0
		.amdhsa_private_segment_fixed_size 0
		.amdhsa_kernarg_size 136
		.amdhsa_user_sgpr_count 6
		.amdhsa_user_sgpr_private_segment_buffer 1
		.amdhsa_user_sgpr_dispatch_ptr 0
		.amdhsa_user_sgpr_queue_ptr 0
		.amdhsa_user_sgpr_kernarg_segment_ptr 1
		.amdhsa_user_sgpr_dispatch_id 0
		.amdhsa_user_sgpr_flat_scratch_init 0
		.amdhsa_user_sgpr_kernarg_preload_length 0
		.amdhsa_user_sgpr_kernarg_preload_offset 0
		.amdhsa_user_sgpr_private_segment_size 0
		.amdhsa_uses_dynamic_stack 0
		.amdhsa_system_sgpr_private_segment_wavefront_offset 0
		.amdhsa_system_sgpr_workgroup_id_x 1
		.amdhsa_system_sgpr_workgroup_id_y 0
		.amdhsa_system_sgpr_workgroup_id_z 0
		.amdhsa_system_sgpr_workgroup_info 0
		.amdhsa_system_vgpr_workitem_id 0
		.amdhsa_next_free_vgpr 1
		.amdhsa_next_free_sgpr 0
		.amdhsa_accum_offset 4
		.amdhsa_reserve_vcc 0
		.amdhsa_reserve_flat_scratch 0
		.amdhsa_float_round_mode_32 0
		.amdhsa_float_round_mode_16_64 0
		.amdhsa_float_denorm_mode_32 3
		.amdhsa_float_denorm_mode_16_64 3
		.amdhsa_dx10_clamp 1
		.amdhsa_ieee_mode 1
		.amdhsa_fp16_overflow 0
		.amdhsa_tg_split 0
		.amdhsa_exception_fp_ieee_invalid_op 0
		.amdhsa_exception_fp_denorm_src 0
		.amdhsa_exception_fp_ieee_div_zero 0
		.amdhsa_exception_fp_ieee_overflow 0
		.amdhsa_exception_fp_ieee_underflow 0
		.amdhsa_exception_fp_ieee_inexact 0
		.amdhsa_exception_int_div_zero 0
	.end_amdhsa_kernel
	.section	.text._ZN7rocprim17ROCPRIM_400000_NS6detail17trampoline_kernelINS0_14default_configENS1_27scan_by_key_config_selectorIxxEEZZNS1_16scan_by_key_implILNS1_25lookback_scan_determinismE0ELb1ES3_N6thrust23THRUST_200600_302600_NS6detail15normal_iteratorINS9_10device_ptrIxEEEESE_SE_xNS9_4plusIvEENS9_8equal_toIxEExEE10hipError_tPvRmT2_T3_T4_T5_mT6_T7_P12ihipStream_tbENKUlT_T0_E_clISt17integral_constantIbLb1EESY_IbLb0EEEEDaSU_SV_EUlSU_E_NS1_11comp_targetILNS1_3genE9ELNS1_11target_archE1100ELNS1_3gpuE3ELNS1_3repE0EEENS1_30default_config_static_selectorELNS0_4arch9wavefront6targetE1EEEvT1_,"axG",@progbits,_ZN7rocprim17ROCPRIM_400000_NS6detail17trampoline_kernelINS0_14default_configENS1_27scan_by_key_config_selectorIxxEEZZNS1_16scan_by_key_implILNS1_25lookback_scan_determinismE0ELb1ES3_N6thrust23THRUST_200600_302600_NS6detail15normal_iteratorINS9_10device_ptrIxEEEESE_SE_xNS9_4plusIvEENS9_8equal_toIxEExEE10hipError_tPvRmT2_T3_T4_T5_mT6_T7_P12ihipStream_tbENKUlT_T0_E_clISt17integral_constantIbLb1EESY_IbLb0EEEEDaSU_SV_EUlSU_E_NS1_11comp_targetILNS1_3genE9ELNS1_11target_archE1100ELNS1_3gpuE3ELNS1_3repE0EEENS1_30default_config_static_selectorELNS0_4arch9wavefront6targetE1EEEvT1_,comdat
.Lfunc_end450:
	.size	_ZN7rocprim17ROCPRIM_400000_NS6detail17trampoline_kernelINS0_14default_configENS1_27scan_by_key_config_selectorIxxEEZZNS1_16scan_by_key_implILNS1_25lookback_scan_determinismE0ELb1ES3_N6thrust23THRUST_200600_302600_NS6detail15normal_iteratorINS9_10device_ptrIxEEEESE_SE_xNS9_4plusIvEENS9_8equal_toIxEExEE10hipError_tPvRmT2_T3_T4_T5_mT6_T7_P12ihipStream_tbENKUlT_T0_E_clISt17integral_constantIbLb1EESY_IbLb0EEEEDaSU_SV_EUlSU_E_NS1_11comp_targetILNS1_3genE9ELNS1_11target_archE1100ELNS1_3gpuE3ELNS1_3repE0EEENS1_30default_config_static_selectorELNS0_4arch9wavefront6targetE1EEEvT1_, .Lfunc_end450-_ZN7rocprim17ROCPRIM_400000_NS6detail17trampoline_kernelINS0_14default_configENS1_27scan_by_key_config_selectorIxxEEZZNS1_16scan_by_key_implILNS1_25lookback_scan_determinismE0ELb1ES3_N6thrust23THRUST_200600_302600_NS6detail15normal_iteratorINS9_10device_ptrIxEEEESE_SE_xNS9_4plusIvEENS9_8equal_toIxEExEE10hipError_tPvRmT2_T3_T4_T5_mT6_T7_P12ihipStream_tbENKUlT_T0_E_clISt17integral_constantIbLb1EESY_IbLb0EEEEDaSU_SV_EUlSU_E_NS1_11comp_targetILNS1_3genE9ELNS1_11target_archE1100ELNS1_3gpuE3ELNS1_3repE0EEENS1_30default_config_static_selectorELNS0_4arch9wavefront6targetE1EEEvT1_
                                        ; -- End function
	.section	.AMDGPU.csdata,"",@progbits
; Kernel info:
; codeLenInByte = 0
; NumSgprs: 4
; NumVgprs: 0
; NumAgprs: 0
; TotalNumVgprs: 0
; ScratchSize: 0
; MemoryBound: 0
; FloatMode: 240
; IeeeMode: 1
; LDSByteSize: 0 bytes/workgroup (compile time only)
; SGPRBlocks: 0
; VGPRBlocks: 0
; NumSGPRsForWavesPerEU: 4
; NumVGPRsForWavesPerEU: 1
; AccumOffset: 4
; Occupancy: 8
; WaveLimiterHint : 0
; COMPUTE_PGM_RSRC2:SCRATCH_EN: 0
; COMPUTE_PGM_RSRC2:USER_SGPR: 6
; COMPUTE_PGM_RSRC2:TRAP_HANDLER: 0
; COMPUTE_PGM_RSRC2:TGID_X_EN: 1
; COMPUTE_PGM_RSRC2:TGID_Y_EN: 0
; COMPUTE_PGM_RSRC2:TGID_Z_EN: 0
; COMPUTE_PGM_RSRC2:TIDIG_COMP_CNT: 0
; COMPUTE_PGM_RSRC3_GFX90A:ACCUM_OFFSET: 0
; COMPUTE_PGM_RSRC3_GFX90A:TG_SPLIT: 0
	.section	.text._ZN7rocprim17ROCPRIM_400000_NS6detail17trampoline_kernelINS0_14default_configENS1_27scan_by_key_config_selectorIxxEEZZNS1_16scan_by_key_implILNS1_25lookback_scan_determinismE0ELb1ES3_N6thrust23THRUST_200600_302600_NS6detail15normal_iteratorINS9_10device_ptrIxEEEESE_SE_xNS9_4plusIvEENS9_8equal_toIxEExEE10hipError_tPvRmT2_T3_T4_T5_mT6_T7_P12ihipStream_tbENKUlT_T0_E_clISt17integral_constantIbLb1EESY_IbLb0EEEEDaSU_SV_EUlSU_E_NS1_11comp_targetILNS1_3genE8ELNS1_11target_archE1030ELNS1_3gpuE2ELNS1_3repE0EEENS1_30default_config_static_selectorELNS0_4arch9wavefront6targetE1EEEvT1_,"axG",@progbits,_ZN7rocprim17ROCPRIM_400000_NS6detail17trampoline_kernelINS0_14default_configENS1_27scan_by_key_config_selectorIxxEEZZNS1_16scan_by_key_implILNS1_25lookback_scan_determinismE0ELb1ES3_N6thrust23THRUST_200600_302600_NS6detail15normal_iteratorINS9_10device_ptrIxEEEESE_SE_xNS9_4plusIvEENS9_8equal_toIxEExEE10hipError_tPvRmT2_T3_T4_T5_mT6_T7_P12ihipStream_tbENKUlT_T0_E_clISt17integral_constantIbLb1EESY_IbLb0EEEEDaSU_SV_EUlSU_E_NS1_11comp_targetILNS1_3genE8ELNS1_11target_archE1030ELNS1_3gpuE2ELNS1_3repE0EEENS1_30default_config_static_selectorELNS0_4arch9wavefront6targetE1EEEvT1_,comdat
	.protected	_ZN7rocprim17ROCPRIM_400000_NS6detail17trampoline_kernelINS0_14default_configENS1_27scan_by_key_config_selectorIxxEEZZNS1_16scan_by_key_implILNS1_25lookback_scan_determinismE0ELb1ES3_N6thrust23THRUST_200600_302600_NS6detail15normal_iteratorINS9_10device_ptrIxEEEESE_SE_xNS9_4plusIvEENS9_8equal_toIxEExEE10hipError_tPvRmT2_T3_T4_T5_mT6_T7_P12ihipStream_tbENKUlT_T0_E_clISt17integral_constantIbLb1EESY_IbLb0EEEEDaSU_SV_EUlSU_E_NS1_11comp_targetILNS1_3genE8ELNS1_11target_archE1030ELNS1_3gpuE2ELNS1_3repE0EEENS1_30default_config_static_selectorELNS0_4arch9wavefront6targetE1EEEvT1_ ; -- Begin function _ZN7rocprim17ROCPRIM_400000_NS6detail17trampoline_kernelINS0_14default_configENS1_27scan_by_key_config_selectorIxxEEZZNS1_16scan_by_key_implILNS1_25lookback_scan_determinismE0ELb1ES3_N6thrust23THRUST_200600_302600_NS6detail15normal_iteratorINS9_10device_ptrIxEEEESE_SE_xNS9_4plusIvEENS9_8equal_toIxEExEE10hipError_tPvRmT2_T3_T4_T5_mT6_T7_P12ihipStream_tbENKUlT_T0_E_clISt17integral_constantIbLb1EESY_IbLb0EEEEDaSU_SV_EUlSU_E_NS1_11comp_targetILNS1_3genE8ELNS1_11target_archE1030ELNS1_3gpuE2ELNS1_3repE0EEENS1_30default_config_static_selectorELNS0_4arch9wavefront6targetE1EEEvT1_
	.globl	_ZN7rocprim17ROCPRIM_400000_NS6detail17trampoline_kernelINS0_14default_configENS1_27scan_by_key_config_selectorIxxEEZZNS1_16scan_by_key_implILNS1_25lookback_scan_determinismE0ELb1ES3_N6thrust23THRUST_200600_302600_NS6detail15normal_iteratorINS9_10device_ptrIxEEEESE_SE_xNS9_4plusIvEENS9_8equal_toIxEExEE10hipError_tPvRmT2_T3_T4_T5_mT6_T7_P12ihipStream_tbENKUlT_T0_E_clISt17integral_constantIbLb1EESY_IbLb0EEEEDaSU_SV_EUlSU_E_NS1_11comp_targetILNS1_3genE8ELNS1_11target_archE1030ELNS1_3gpuE2ELNS1_3repE0EEENS1_30default_config_static_selectorELNS0_4arch9wavefront6targetE1EEEvT1_
	.p2align	8
	.type	_ZN7rocprim17ROCPRIM_400000_NS6detail17trampoline_kernelINS0_14default_configENS1_27scan_by_key_config_selectorIxxEEZZNS1_16scan_by_key_implILNS1_25lookback_scan_determinismE0ELb1ES3_N6thrust23THRUST_200600_302600_NS6detail15normal_iteratorINS9_10device_ptrIxEEEESE_SE_xNS9_4plusIvEENS9_8equal_toIxEExEE10hipError_tPvRmT2_T3_T4_T5_mT6_T7_P12ihipStream_tbENKUlT_T0_E_clISt17integral_constantIbLb1EESY_IbLb0EEEEDaSU_SV_EUlSU_E_NS1_11comp_targetILNS1_3genE8ELNS1_11target_archE1030ELNS1_3gpuE2ELNS1_3repE0EEENS1_30default_config_static_selectorELNS0_4arch9wavefront6targetE1EEEvT1_,@function
_ZN7rocprim17ROCPRIM_400000_NS6detail17trampoline_kernelINS0_14default_configENS1_27scan_by_key_config_selectorIxxEEZZNS1_16scan_by_key_implILNS1_25lookback_scan_determinismE0ELb1ES3_N6thrust23THRUST_200600_302600_NS6detail15normal_iteratorINS9_10device_ptrIxEEEESE_SE_xNS9_4plusIvEENS9_8equal_toIxEExEE10hipError_tPvRmT2_T3_T4_T5_mT6_T7_P12ihipStream_tbENKUlT_T0_E_clISt17integral_constantIbLb1EESY_IbLb0EEEEDaSU_SV_EUlSU_E_NS1_11comp_targetILNS1_3genE8ELNS1_11target_archE1030ELNS1_3gpuE2ELNS1_3repE0EEENS1_30default_config_static_selectorELNS0_4arch9wavefront6targetE1EEEvT1_: ; @_ZN7rocprim17ROCPRIM_400000_NS6detail17trampoline_kernelINS0_14default_configENS1_27scan_by_key_config_selectorIxxEEZZNS1_16scan_by_key_implILNS1_25lookback_scan_determinismE0ELb1ES3_N6thrust23THRUST_200600_302600_NS6detail15normal_iteratorINS9_10device_ptrIxEEEESE_SE_xNS9_4plusIvEENS9_8equal_toIxEExEE10hipError_tPvRmT2_T3_T4_T5_mT6_T7_P12ihipStream_tbENKUlT_T0_E_clISt17integral_constantIbLb1EESY_IbLb0EEEEDaSU_SV_EUlSU_E_NS1_11comp_targetILNS1_3genE8ELNS1_11target_archE1030ELNS1_3gpuE2ELNS1_3repE0EEENS1_30default_config_static_selectorELNS0_4arch9wavefront6targetE1EEEvT1_
; %bb.0:
	.section	.rodata,"a",@progbits
	.p2align	6, 0x0
	.amdhsa_kernel _ZN7rocprim17ROCPRIM_400000_NS6detail17trampoline_kernelINS0_14default_configENS1_27scan_by_key_config_selectorIxxEEZZNS1_16scan_by_key_implILNS1_25lookback_scan_determinismE0ELb1ES3_N6thrust23THRUST_200600_302600_NS6detail15normal_iteratorINS9_10device_ptrIxEEEESE_SE_xNS9_4plusIvEENS9_8equal_toIxEExEE10hipError_tPvRmT2_T3_T4_T5_mT6_T7_P12ihipStream_tbENKUlT_T0_E_clISt17integral_constantIbLb1EESY_IbLb0EEEEDaSU_SV_EUlSU_E_NS1_11comp_targetILNS1_3genE8ELNS1_11target_archE1030ELNS1_3gpuE2ELNS1_3repE0EEENS1_30default_config_static_selectorELNS0_4arch9wavefront6targetE1EEEvT1_
		.amdhsa_group_segment_fixed_size 0
		.amdhsa_private_segment_fixed_size 0
		.amdhsa_kernarg_size 136
		.amdhsa_user_sgpr_count 6
		.amdhsa_user_sgpr_private_segment_buffer 1
		.amdhsa_user_sgpr_dispatch_ptr 0
		.amdhsa_user_sgpr_queue_ptr 0
		.amdhsa_user_sgpr_kernarg_segment_ptr 1
		.amdhsa_user_sgpr_dispatch_id 0
		.amdhsa_user_sgpr_flat_scratch_init 0
		.amdhsa_user_sgpr_kernarg_preload_length 0
		.amdhsa_user_sgpr_kernarg_preload_offset 0
		.amdhsa_user_sgpr_private_segment_size 0
		.amdhsa_uses_dynamic_stack 0
		.amdhsa_system_sgpr_private_segment_wavefront_offset 0
		.amdhsa_system_sgpr_workgroup_id_x 1
		.amdhsa_system_sgpr_workgroup_id_y 0
		.amdhsa_system_sgpr_workgroup_id_z 0
		.amdhsa_system_sgpr_workgroup_info 0
		.amdhsa_system_vgpr_workitem_id 0
		.amdhsa_next_free_vgpr 1
		.amdhsa_next_free_sgpr 0
		.amdhsa_accum_offset 4
		.amdhsa_reserve_vcc 0
		.amdhsa_reserve_flat_scratch 0
		.amdhsa_float_round_mode_32 0
		.amdhsa_float_round_mode_16_64 0
		.amdhsa_float_denorm_mode_32 3
		.amdhsa_float_denorm_mode_16_64 3
		.amdhsa_dx10_clamp 1
		.amdhsa_ieee_mode 1
		.amdhsa_fp16_overflow 0
		.amdhsa_tg_split 0
		.amdhsa_exception_fp_ieee_invalid_op 0
		.amdhsa_exception_fp_denorm_src 0
		.amdhsa_exception_fp_ieee_div_zero 0
		.amdhsa_exception_fp_ieee_overflow 0
		.amdhsa_exception_fp_ieee_underflow 0
		.amdhsa_exception_fp_ieee_inexact 0
		.amdhsa_exception_int_div_zero 0
	.end_amdhsa_kernel
	.section	.text._ZN7rocprim17ROCPRIM_400000_NS6detail17trampoline_kernelINS0_14default_configENS1_27scan_by_key_config_selectorIxxEEZZNS1_16scan_by_key_implILNS1_25lookback_scan_determinismE0ELb1ES3_N6thrust23THRUST_200600_302600_NS6detail15normal_iteratorINS9_10device_ptrIxEEEESE_SE_xNS9_4plusIvEENS9_8equal_toIxEExEE10hipError_tPvRmT2_T3_T4_T5_mT6_T7_P12ihipStream_tbENKUlT_T0_E_clISt17integral_constantIbLb1EESY_IbLb0EEEEDaSU_SV_EUlSU_E_NS1_11comp_targetILNS1_3genE8ELNS1_11target_archE1030ELNS1_3gpuE2ELNS1_3repE0EEENS1_30default_config_static_selectorELNS0_4arch9wavefront6targetE1EEEvT1_,"axG",@progbits,_ZN7rocprim17ROCPRIM_400000_NS6detail17trampoline_kernelINS0_14default_configENS1_27scan_by_key_config_selectorIxxEEZZNS1_16scan_by_key_implILNS1_25lookback_scan_determinismE0ELb1ES3_N6thrust23THRUST_200600_302600_NS6detail15normal_iteratorINS9_10device_ptrIxEEEESE_SE_xNS9_4plusIvEENS9_8equal_toIxEExEE10hipError_tPvRmT2_T3_T4_T5_mT6_T7_P12ihipStream_tbENKUlT_T0_E_clISt17integral_constantIbLb1EESY_IbLb0EEEEDaSU_SV_EUlSU_E_NS1_11comp_targetILNS1_3genE8ELNS1_11target_archE1030ELNS1_3gpuE2ELNS1_3repE0EEENS1_30default_config_static_selectorELNS0_4arch9wavefront6targetE1EEEvT1_,comdat
.Lfunc_end451:
	.size	_ZN7rocprim17ROCPRIM_400000_NS6detail17trampoline_kernelINS0_14default_configENS1_27scan_by_key_config_selectorIxxEEZZNS1_16scan_by_key_implILNS1_25lookback_scan_determinismE0ELb1ES3_N6thrust23THRUST_200600_302600_NS6detail15normal_iteratorINS9_10device_ptrIxEEEESE_SE_xNS9_4plusIvEENS9_8equal_toIxEExEE10hipError_tPvRmT2_T3_T4_T5_mT6_T7_P12ihipStream_tbENKUlT_T0_E_clISt17integral_constantIbLb1EESY_IbLb0EEEEDaSU_SV_EUlSU_E_NS1_11comp_targetILNS1_3genE8ELNS1_11target_archE1030ELNS1_3gpuE2ELNS1_3repE0EEENS1_30default_config_static_selectorELNS0_4arch9wavefront6targetE1EEEvT1_, .Lfunc_end451-_ZN7rocprim17ROCPRIM_400000_NS6detail17trampoline_kernelINS0_14default_configENS1_27scan_by_key_config_selectorIxxEEZZNS1_16scan_by_key_implILNS1_25lookback_scan_determinismE0ELb1ES3_N6thrust23THRUST_200600_302600_NS6detail15normal_iteratorINS9_10device_ptrIxEEEESE_SE_xNS9_4plusIvEENS9_8equal_toIxEExEE10hipError_tPvRmT2_T3_T4_T5_mT6_T7_P12ihipStream_tbENKUlT_T0_E_clISt17integral_constantIbLb1EESY_IbLb0EEEEDaSU_SV_EUlSU_E_NS1_11comp_targetILNS1_3genE8ELNS1_11target_archE1030ELNS1_3gpuE2ELNS1_3repE0EEENS1_30default_config_static_selectorELNS0_4arch9wavefront6targetE1EEEvT1_
                                        ; -- End function
	.section	.AMDGPU.csdata,"",@progbits
; Kernel info:
; codeLenInByte = 0
; NumSgprs: 4
; NumVgprs: 0
; NumAgprs: 0
; TotalNumVgprs: 0
; ScratchSize: 0
; MemoryBound: 0
; FloatMode: 240
; IeeeMode: 1
; LDSByteSize: 0 bytes/workgroup (compile time only)
; SGPRBlocks: 0
; VGPRBlocks: 0
; NumSGPRsForWavesPerEU: 4
; NumVGPRsForWavesPerEU: 1
; AccumOffset: 4
; Occupancy: 8
; WaveLimiterHint : 0
; COMPUTE_PGM_RSRC2:SCRATCH_EN: 0
; COMPUTE_PGM_RSRC2:USER_SGPR: 6
; COMPUTE_PGM_RSRC2:TRAP_HANDLER: 0
; COMPUTE_PGM_RSRC2:TGID_X_EN: 1
; COMPUTE_PGM_RSRC2:TGID_Y_EN: 0
; COMPUTE_PGM_RSRC2:TGID_Z_EN: 0
; COMPUTE_PGM_RSRC2:TIDIG_COMP_CNT: 0
; COMPUTE_PGM_RSRC3_GFX90A:ACCUM_OFFSET: 0
; COMPUTE_PGM_RSRC3_GFX90A:TG_SPLIT: 0
	.section	.text._ZN7rocprim17ROCPRIM_400000_NS6detail17trampoline_kernelINS0_14default_configENS1_27scan_by_key_config_selectorIxxEEZZNS1_16scan_by_key_implILNS1_25lookback_scan_determinismE0ELb1ES3_N6thrust23THRUST_200600_302600_NS6detail15normal_iteratorINS9_10device_ptrIxEEEESE_SE_xNS9_4plusIvEENS9_8equal_toIxEExEE10hipError_tPvRmT2_T3_T4_T5_mT6_T7_P12ihipStream_tbENKUlT_T0_E_clISt17integral_constantIbLb0EESY_IbLb1EEEEDaSU_SV_EUlSU_E_NS1_11comp_targetILNS1_3genE0ELNS1_11target_archE4294967295ELNS1_3gpuE0ELNS1_3repE0EEENS1_30default_config_static_selectorELNS0_4arch9wavefront6targetE1EEEvT1_,"axG",@progbits,_ZN7rocprim17ROCPRIM_400000_NS6detail17trampoline_kernelINS0_14default_configENS1_27scan_by_key_config_selectorIxxEEZZNS1_16scan_by_key_implILNS1_25lookback_scan_determinismE0ELb1ES3_N6thrust23THRUST_200600_302600_NS6detail15normal_iteratorINS9_10device_ptrIxEEEESE_SE_xNS9_4plusIvEENS9_8equal_toIxEExEE10hipError_tPvRmT2_T3_T4_T5_mT6_T7_P12ihipStream_tbENKUlT_T0_E_clISt17integral_constantIbLb0EESY_IbLb1EEEEDaSU_SV_EUlSU_E_NS1_11comp_targetILNS1_3genE0ELNS1_11target_archE4294967295ELNS1_3gpuE0ELNS1_3repE0EEENS1_30default_config_static_selectorELNS0_4arch9wavefront6targetE1EEEvT1_,comdat
	.protected	_ZN7rocprim17ROCPRIM_400000_NS6detail17trampoline_kernelINS0_14default_configENS1_27scan_by_key_config_selectorIxxEEZZNS1_16scan_by_key_implILNS1_25lookback_scan_determinismE0ELb1ES3_N6thrust23THRUST_200600_302600_NS6detail15normal_iteratorINS9_10device_ptrIxEEEESE_SE_xNS9_4plusIvEENS9_8equal_toIxEExEE10hipError_tPvRmT2_T3_T4_T5_mT6_T7_P12ihipStream_tbENKUlT_T0_E_clISt17integral_constantIbLb0EESY_IbLb1EEEEDaSU_SV_EUlSU_E_NS1_11comp_targetILNS1_3genE0ELNS1_11target_archE4294967295ELNS1_3gpuE0ELNS1_3repE0EEENS1_30default_config_static_selectorELNS0_4arch9wavefront6targetE1EEEvT1_ ; -- Begin function _ZN7rocprim17ROCPRIM_400000_NS6detail17trampoline_kernelINS0_14default_configENS1_27scan_by_key_config_selectorIxxEEZZNS1_16scan_by_key_implILNS1_25lookback_scan_determinismE0ELb1ES3_N6thrust23THRUST_200600_302600_NS6detail15normal_iteratorINS9_10device_ptrIxEEEESE_SE_xNS9_4plusIvEENS9_8equal_toIxEExEE10hipError_tPvRmT2_T3_T4_T5_mT6_T7_P12ihipStream_tbENKUlT_T0_E_clISt17integral_constantIbLb0EESY_IbLb1EEEEDaSU_SV_EUlSU_E_NS1_11comp_targetILNS1_3genE0ELNS1_11target_archE4294967295ELNS1_3gpuE0ELNS1_3repE0EEENS1_30default_config_static_selectorELNS0_4arch9wavefront6targetE1EEEvT1_
	.globl	_ZN7rocprim17ROCPRIM_400000_NS6detail17trampoline_kernelINS0_14default_configENS1_27scan_by_key_config_selectorIxxEEZZNS1_16scan_by_key_implILNS1_25lookback_scan_determinismE0ELb1ES3_N6thrust23THRUST_200600_302600_NS6detail15normal_iteratorINS9_10device_ptrIxEEEESE_SE_xNS9_4plusIvEENS9_8equal_toIxEExEE10hipError_tPvRmT2_T3_T4_T5_mT6_T7_P12ihipStream_tbENKUlT_T0_E_clISt17integral_constantIbLb0EESY_IbLb1EEEEDaSU_SV_EUlSU_E_NS1_11comp_targetILNS1_3genE0ELNS1_11target_archE4294967295ELNS1_3gpuE0ELNS1_3repE0EEENS1_30default_config_static_selectorELNS0_4arch9wavefront6targetE1EEEvT1_
	.p2align	8
	.type	_ZN7rocprim17ROCPRIM_400000_NS6detail17trampoline_kernelINS0_14default_configENS1_27scan_by_key_config_selectorIxxEEZZNS1_16scan_by_key_implILNS1_25lookback_scan_determinismE0ELb1ES3_N6thrust23THRUST_200600_302600_NS6detail15normal_iteratorINS9_10device_ptrIxEEEESE_SE_xNS9_4plusIvEENS9_8equal_toIxEExEE10hipError_tPvRmT2_T3_T4_T5_mT6_T7_P12ihipStream_tbENKUlT_T0_E_clISt17integral_constantIbLb0EESY_IbLb1EEEEDaSU_SV_EUlSU_E_NS1_11comp_targetILNS1_3genE0ELNS1_11target_archE4294967295ELNS1_3gpuE0ELNS1_3repE0EEENS1_30default_config_static_selectorELNS0_4arch9wavefront6targetE1EEEvT1_,@function
_ZN7rocprim17ROCPRIM_400000_NS6detail17trampoline_kernelINS0_14default_configENS1_27scan_by_key_config_selectorIxxEEZZNS1_16scan_by_key_implILNS1_25lookback_scan_determinismE0ELb1ES3_N6thrust23THRUST_200600_302600_NS6detail15normal_iteratorINS9_10device_ptrIxEEEESE_SE_xNS9_4plusIvEENS9_8equal_toIxEExEE10hipError_tPvRmT2_T3_T4_T5_mT6_T7_P12ihipStream_tbENKUlT_T0_E_clISt17integral_constantIbLb0EESY_IbLb1EEEEDaSU_SV_EUlSU_E_NS1_11comp_targetILNS1_3genE0ELNS1_11target_archE4294967295ELNS1_3gpuE0ELNS1_3repE0EEENS1_30default_config_static_selectorELNS0_4arch9wavefront6targetE1EEEvT1_: ; @_ZN7rocprim17ROCPRIM_400000_NS6detail17trampoline_kernelINS0_14default_configENS1_27scan_by_key_config_selectorIxxEEZZNS1_16scan_by_key_implILNS1_25lookback_scan_determinismE0ELb1ES3_N6thrust23THRUST_200600_302600_NS6detail15normal_iteratorINS9_10device_ptrIxEEEESE_SE_xNS9_4plusIvEENS9_8equal_toIxEExEE10hipError_tPvRmT2_T3_T4_T5_mT6_T7_P12ihipStream_tbENKUlT_T0_E_clISt17integral_constantIbLb0EESY_IbLb1EEEEDaSU_SV_EUlSU_E_NS1_11comp_targetILNS1_3genE0ELNS1_11target_archE4294967295ELNS1_3gpuE0ELNS1_3repE0EEENS1_30default_config_static_selectorELNS0_4arch9wavefront6targetE1EEEvT1_
; %bb.0:
	.section	.rodata,"a",@progbits
	.p2align	6, 0x0
	.amdhsa_kernel _ZN7rocprim17ROCPRIM_400000_NS6detail17trampoline_kernelINS0_14default_configENS1_27scan_by_key_config_selectorIxxEEZZNS1_16scan_by_key_implILNS1_25lookback_scan_determinismE0ELb1ES3_N6thrust23THRUST_200600_302600_NS6detail15normal_iteratorINS9_10device_ptrIxEEEESE_SE_xNS9_4plusIvEENS9_8equal_toIxEExEE10hipError_tPvRmT2_T3_T4_T5_mT6_T7_P12ihipStream_tbENKUlT_T0_E_clISt17integral_constantIbLb0EESY_IbLb1EEEEDaSU_SV_EUlSU_E_NS1_11comp_targetILNS1_3genE0ELNS1_11target_archE4294967295ELNS1_3gpuE0ELNS1_3repE0EEENS1_30default_config_static_selectorELNS0_4arch9wavefront6targetE1EEEvT1_
		.amdhsa_group_segment_fixed_size 0
		.amdhsa_private_segment_fixed_size 0
		.amdhsa_kernarg_size 136
		.amdhsa_user_sgpr_count 6
		.amdhsa_user_sgpr_private_segment_buffer 1
		.amdhsa_user_sgpr_dispatch_ptr 0
		.amdhsa_user_sgpr_queue_ptr 0
		.amdhsa_user_sgpr_kernarg_segment_ptr 1
		.amdhsa_user_sgpr_dispatch_id 0
		.amdhsa_user_sgpr_flat_scratch_init 0
		.amdhsa_user_sgpr_kernarg_preload_length 0
		.amdhsa_user_sgpr_kernarg_preload_offset 0
		.amdhsa_user_sgpr_private_segment_size 0
		.amdhsa_uses_dynamic_stack 0
		.amdhsa_system_sgpr_private_segment_wavefront_offset 0
		.amdhsa_system_sgpr_workgroup_id_x 1
		.amdhsa_system_sgpr_workgroup_id_y 0
		.amdhsa_system_sgpr_workgroup_id_z 0
		.amdhsa_system_sgpr_workgroup_info 0
		.amdhsa_system_vgpr_workitem_id 0
		.amdhsa_next_free_vgpr 1
		.amdhsa_next_free_sgpr 0
		.amdhsa_accum_offset 4
		.amdhsa_reserve_vcc 0
		.amdhsa_reserve_flat_scratch 0
		.amdhsa_float_round_mode_32 0
		.amdhsa_float_round_mode_16_64 0
		.amdhsa_float_denorm_mode_32 3
		.amdhsa_float_denorm_mode_16_64 3
		.amdhsa_dx10_clamp 1
		.amdhsa_ieee_mode 1
		.amdhsa_fp16_overflow 0
		.amdhsa_tg_split 0
		.amdhsa_exception_fp_ieee_invalid_op 0
		.amdhsa_exception_fp_denorm_src 0
		.amdhsa_exception_fp_ieee_div_zero 0
		.amdhsa_exception_fp_ieee_overflow 0
		.amdhsa_exception_fp_ieee_underflow 0
		.amdhsa_exception_fp_ieee_inexact 0
		.amdhsa_exception_int_div_zero 0
	.end_amdhsa_kernel
	.section	.text._ZN7rocprim17ROCPRIM_400000_NS6detail17trampoline_kernelINS0_14default_configENS1_27scan_by_key_config_selectorIxxEEZZNS1_16scan_by_key_implILNS1_25lookback_scan_determinismE0ELb1ES3_N6thrust23THRUST_200600_302600_NS6detail15normal_iteratorINS9_10device_ptrIxEEEESE_SE_xNS9_4plusIvEENS9_8equal_toIxEExEE10hipError_tPvRmT2_T3_T4_T5_mT6_T7_P12ihipStream_tbENKUlT_T0_E_clISt17integral_constantIbLb0EESY_IbLb1EEEEDaSU_SV_EUlSU_E_NS1_11comp_targetILNS1_3genE0ELNS1_11target_archE4294967295ELNS1_3gpuE0ELNS1_3repE0EEENS1_30default_config_static_selectorELNS0_4arch9wavefront6targetE1EEEvT1_,"axG",@progbits,_ZN7rocprim17ROCPRIM_400000_NS6detail17trampoline_kernelINS0_14default_configENS1_27scan_by_key_config_selectorIxxEEZZNS1_16scan_by_key_implILNS1_25lookback_scan_determinismE0ELb1ES3_N6thrust23THRUST_200600_302600_NS6detail15normal_iteratorINS9_10device_ptrIxEEEESE_SE_xNS9_4plusIvEENS9_8equal_toIxEExEE10hipError_tPvRmT2_T3_T4_T5_mT6_T7_P12ihipStream_tbENKUlT_T0_E_clISt17integral_constantIbLb0EESY_IbLb1EEEEDaSU_SV_EUlSU_E_NS1_11comp_targetILNS1_3genE0ELNS1_11target_archE4294967295ELNS1_3gpuE0ELNS1_3repE0EEENS1_30default_config_static_selectorELNS0_4arch9wavefront6targetE1EEEvT1_,comdat
.Lfunc_end452:
	.size	_ZN7rocprim17ROCPRIM_400000_NS6detail17trampoline_kernelINS0_14default_configENS1_27scan_by_key_config_selectorIxxEEZZNS1_16scan_by_key_implILNS1_25lookback_scan_determinismE0ELb1ES3_N6thrust23THRUST_200600_302600_NS6detail15normal_iteratorINS9_10device_ptrIxEEEESE_SE_xNS9_4plusIvEENS9_8equal_toIxEExEE10hipError_tPvRmT2_T3_T4_T5_mT6_T7_P12ihipStream_tbENKUlT_T0_E_clISt17integral_constantIbLb0EESY_IbLb1EEEEDaSU_SV_EUlSU_E_NS1_11comp_targetILNS1_3genE0ELNS1_11target_archE4294967295ELNS1_3gpuE0ELNS1_3repE0EEENS1_30default_config_static_selectorELNS0_4arch9wavefront6targetE1EEEvT1_, .Lfunc_end452-_ZN7rocprim17ROCPRIM_400000_NS6detail17trampoline_kernelINS0_14default_configENS1_27scan_by_key_config_selectorIxxEEZZNS1_16scan_by_key_implILNS1_25lookback_scan_determinismE0ELb1ES3_N6thrust23THRUST_200600_302600_NS6detail15normal_iteratorINS9_10device_ptrIxEEEESE_SE_xNS9_4plusIvEENS9_8equal_toIxEExEE10hipError_tPvRmT2_T3_T4_T5_mT6_T7_P12ihipStream_tbENKUlT_T0_E_clISt17integral_constantIbLb0EESY_IbLb1EEEEDaSU_SV_EUlSU_E_NS1_11comp_targetILNS1_3genE0ELNS1_11target_archE4294967295ELNS1_3gpuE0ELNS1_3repE0EEENS1_30default_config_static_selectorELNS0_4arch9wavefront6targetE1EEEvT1_
                                        ; -- End function
	.section	.AMDGPU.csdata,"",@progbits
; Kernel info:
; codeLenInByte = 0
; NumSgprs: 4
; NumVgprs: 0
; NumAgprs: 0
; TotalNumVgprs: 0
; ScratchSize: 0
; MemoryBound: 0
; FloatMode: 240
; IeeeMode: 1
; LDSByteSize: 0 bytes/workgroup (compile time only)
; SGPRBlocks: 0
; VGPRBlocks: 0
; NumSGPRsForWavesPerEU: 4
; NumVGPRsForWavesPerEU: 1
; AccumOffset: 4
; Occupancy: 8
; WaveLimiterHint : 0
; COMPUTE_PGM_RSRC2:SCRATCH_EN: 0
; COMPUTE_PGM_RSRC2:USER_SGPR: 6
; COMPUTE_PGM_RSRC2:TRAP_HANDLER: 0
; COMPUTE_PGM_RSRC2:TGID_X_EN: 1
; COMPUTE_PGM_RSRC2:TGID_Y_EN: 0
; COMPUTE_PGM_RSRC2:TGID_Z_EN: 0
; COMPUTE_PGM_RSRC2:TIDIG_COMP_CNT: 0
; COMPUTE_PGM_RSRC3_GFX90A:ACCUM_OFFSET: 0
; COMPUTE_PGM_RSRC3_GFX90A:TG_SPLIT: 0
	.section	.text._ZN7rocprim17ROCPRIM_400000_NS6detail17trampoline_kernelINS0_14default_configENS1_27scan_by_key_config_selectorIxxEEZZNS1_16scan_by_key_implILNS1_25lookback_scan_determinismE0ELb1ES3_N6thrust23THRUST_200600_302600_NS6detail15normal_iteratorINS9_10device_ptrIxEEEESE_SE_xNS9_4plusIvEENS9_8equal_toIxEExEE10hipError_tPvRmT2_T3_T4_T5_mT6_T7_P12ihipStream_tbENKUlT_T0_E_clISt17integral_constantIbLb0EESY_IbLb1EEEEDaSU_SV_EUlSU_E_NS1_11comp_targetILNS1_3genE10ELNS1_11target_archE1201ELNS1_3gpuE5ELNS1_3repE0EEENS1_30default_config_static_selectorELNS0_4arch9wavefront6targetE1EEEvT1_,"axG",@progbits,_ZN7rocprim17ROCPRIM_400000_NS6detail17trampoline_kernelINS0_14default_configENS1_27scan_by_key_config_selectorIxxEEZZNS1_16scan_by_key_implILNS1_25lookback_scan_determinismE0ELb1ES3_N6thrust23THRUST_200600_302600_NS6detail15normal_iteratorINS9_10device_ptrIxEEEESE_SE_xNS9_4plusIvEENS9_8equal_toIxEExEE10hipError_tPvRmT2_T3_T4_T5_mT6_T7_P12ihipStream_tbENKUlT_T0_E_clISt17integral_constantIbLb0EESY_IbLb1EEEEDaSU_SV_EUlSU_E_NS1_11comp_targetILNS1_3genE10ELNS1_11target_archE1201ELNS1_3gpuE5ELNS1_3repE0EEENS1_30default_config_static_selectorELNS0_4arch9wavefront6targetE1EEEvT1_,comdat
	.protected	_ZN7rocprim17ROCPRIM_400000_NS6detail17trampoline_kernelINS0_14default_configENS1_27scan_by_key_config_selectorIxxEEZZNS1_16scan_by_key_implILNS1_25lookback_scan_determinismE0ELb1ES3_N6thrust23THRUST_200600_302600_NS6detail15normal_iteratorINS9_10device_ptrIxEEEESE_SE_xNS9_4plusIvEENS9_8equal_toIxEExEE10hipError_tPvRmT2_T3_T4_T5_mT6_T7_P12ihipStream_tbENKUlT_T0_E_clISt17integral_constantIbLb0EESY_IbLb1EEEEDaSU_SV_EUlSU_E_NS1_11comp_targetILNS1_3genE10ELNS1_11target_archE1201ELNS1_3gpuE5ELNS1_3repE0EEENS1_30default_config_static_selectorELNS0_4arch9wavefront6targetE1EEEvT1_ ; -- Begin function _ZN7rocprim17ROCPRIM_400000_NS6detail17trampoline_kernelINS0_14default_configENS1_27scan_by_key_config_selectorIxxEEZZNS1_16scan_by_key_implILNS1_25lookback_scan_determinismE0ELb1ES3_N6thrust23THRUST_200600_302600_NS6detail15normal_iteratorINS9_10device_ptrIxEEEESE_SE_xNS9_4plusIvEENS9_8equal_toIxEExEE10hipError_tPvRmT2_T3_T4_T5_mT6_T7_P12ihipStream_tbENKUlT_T0_E_clISt17integral_constantIbLb0EESY_IbLb1EEEEDaSU_SV_EUlSU_E_NS1_11comp_targetILNS1_3genE10ELNS1_11target_archE1201ELNS1_3gpuE5ELNS1_3repE0EEENS1_30default_config_static_selectorELNS0_4arch9wavefront6targetE1EEEvT1_
	.globl	_ZN7rocprim17ROCPRIM_400000_NS6detail17trampoline_kernelINS0_14default_configENS1_27scan_by_key_config_selectorIxxEEZZNS1_16scan_by_key_implILNS1_25lookback_scan_determinismE0ELb1ES3_N6thrust23THRUST_200600_302600_NS6detail15normal_iteratorINS9_10device_ptrIxEEEESE_SE_xNS9_4plusIvEENS9_8equal_toIxEExEE10hipError_tPvRmT2_T3_T4_T5_mT6_T7_P12ihipStream_tbENKUlT_T0_E_clISt17integral_constantIbLb0EESY_IbLb1EEEEDaSU_SV_EUlSU_E_NS1_11comp_targetILNS1_3genE10ELNS1_11target_archE1201ELNS1_3gpuE5ELNS1_3repE0EEENS1_30default_config_static_selectorELNS0_4arch9wavefront6targetE1EEEvT1_
	.p2align	8
	.type	_ZN7rocprim17ROCPRIM_400000_NS6detail17trampoline_kernelINS0_14default_configENS1_27scan_by_key_config_selectorIxxEEZZNS1_16scan_by_key_implILNS1_25lookback_scan_determinismE0ELb1ES3_N6thrust23THRUST_200600_302600_NS6detail15normal_iteratorINS9_10device_ptrIxEEEESE_SE_xNS9_4plusIvEENS9_8equal_toIxEExEE10hipError_tPvRmT2_T3_T4_T5_mT6_T7_P12ihipStream_tbENKUlT_T0_E_clISt17integral_constantIbLb0EESY_IbLb1EEEEDaSU_SV_EUlSU_E_NS1_11comp_targetILNS1_3genE10ELNS1_11target_archE1201ELNS1_3gpuE5ELNS1_3repE0EEENS1_30default_config_static_selectorELNS0_4arch9wavefront6targetE1EEEvT1_,@function
_ZN7rocprim17ROCPRIM_400000_NS6detail17trampoline_kernelINS0_14default_configENS1_27scan_by_key_config_selectorIxxEEZZNS1_16scan_by_key_implILNS1_25lookback_scan_determinismE0ELb1ES3_N6thrust23THRUST_200600_302600_NS6detail15normal_iteratorINS9_10device_ptrIxEEEESE_SE_xNS9_4plusIvEENS9_8equal_toIxEExEE10hipError_tPvRmT2_T3_T4_T5_mT6_T7_P12ihipStream_tbENKUlT_T0_E_clISt17integral_constantIbLb0EESY_IbLb1EEEEDaSU_SV_EUlSU_E_NS1_11comp_targetILNS1_3genE10ELNS1_11target_archE1201ELNS1_3gpuE5ELNS1_3repE0EEENS1_30default_config_static_selectorELNS0_4arch9wavefront6targetE1EEEvT1_: ; @_ZN7rocprim17ROCPRIM_400000_NS6detail17trampoline_kernelINS0_14default_configENS1_27scan_by_key_config_selectorIxxEEZZNS1_16scan_by_key_implILNS1_25lookback_scan_determinismE0ELb1ES3_N6thrust23THRUST_200600_302600_NS6detail15normal_iteratorINS9_10device_ptrIxEEEESE_SE_xNS9_4plusIvEENS9_8equal_toIxEExEE10hipError_tPvRmT2_T3_T4_T5_mT6_T7_P12ihipStream_tbENKUlT_T0_E_clISt17integral_constantIbLb0EESY_IbLb1EEEEDaSU_SV_EUlSU_E_NS1_11comp_targetILNS1_3genE10ELNS1_11target_archE1201ELNS1_3gpuE5ELNS1_3repE0EEENS1_30default_config_static_selectorELNS0_4arch9wavefront6targetE1EEEvT1_
; %bb.0:
	.section	.rodata,"a",@progbits
	.p2align	6, 0x0
	.amdhsa_kernel _ZN7rocprim17ROCPRIM_400000_NS6detail17trampoline_kernelINS0_14default_configENS1_27scan_by_key_config_selectorIxxEEZZNS1_16scan_by_key_implILNS1_25lookback_scan_determinismE0ELb1ES3_N6thrust23THRUST_200600_302600_NS6detail15normal_iteratorINS9_10device_ptrIxEEEESE_SE_xNS9_4plusIvEENS9_8equal_toIxEExEE10hipError_tPvRmT2_T3_T4_T5_mT6_T7_P12ihipStream_tbENKUlT_T0_E_clISt17integral_constantIbLb0EESY_IbLb1EEEEDaSU_SV_EUlSU_E_NS1_11comp_targetILNS1_3genE10ELNS1_11target_archE1201ELNS1_3gpuE5ELNS1_3repE0EEENS1_30default_config_static_selectorELNS0_4arch9wavefront6targetE1EEEvT1_
		.amdhsa_group_segment_fixed_size 0
		.amdhsa_private_segment_fixed_size 0
		.amdhsa_kernarg_size 136
		.amdhsa_user_sgpr_count 6
		.amdhsa_user_sgpr_private_segment_buffer 1
		.amdhsa_user_sgpr_dispatch_ptr 0
		.amdhsa_user_sgpr_queue_ptr 0
		.amdhsa_user_sgpr_kernarg_segment_ptr 1
		.amdhsa_user_sgpr_dispatch_id 0
		.amdhsa_user_sgpr_flat_scratch_init 0
		.amdhsa_user_sgpr_kernarg_preload_length 0
		.amdhsa_user_sgpr_kernarg_preload_offset 0
		.amdhsa_user_sgpr_private_segment_size 0
		.amdhsa_uses_dynamic_stack 0
		.amdhsa_system_sgpr_private_segment_wavefront_offset 0
		.amdhsa_system_sgpr_workgroup_id_x 1
		.amdhsa_system_sgpr_workgroup_id_y 0
		.amdhsa_system_sgpr_workgroup_id_z 0
		.amdhsa_system_sgpr_workgroup_info 0
		.amdhsa_system_vgpr_workitem_id 0
		.amdhsa_next_free_vgpr 1
		.amdhsa_next_free_sgpr 0
		.amdhsa_accum_offset 4
		.amdhsa_reserve_vcc 0
		.amdhsa_reserve_flat_scratch 0
		.amdhsa_float_round_mode_32 0
		.amdhsa_float_round_mode_16_64 0
		.amdhsa_float_denorm_mode_32 3
		.amdhsa_float_denorm_mode_16_64 3
		.amdhsa_dx10_clamp 1
		.amdhsa_ieee_mode 1
		.amdhsa_fp16_overflow 0
		.amdhsa_tg_split 0
		.amdhsa_exception_fp_ieee_invalid_op 0
		.amdhsa_exception_fp_denorm_src 0
		.amdhsa_exception_fp_ieee_div_zero 0
		.amdhsa_exception_fp_ieee_overflow 0
		.amdhsa_exception_fp_ieee_underflow 0
		.amdhsa_exception_fp_ieee_inexact 0
		.amdhsa_exception_int_div_zero 0
	.end_amdhsa_kernel
	.section	.text._ZN7rocprim17ROCPRIM_400000_NS6detail17trampoline_kernelINS0_14default_configENS1_27scan_by_key_config_selectorIxxEEZZNS1_16scan_by_key_implILNS1_25lookback_scan_determinismE0ELb1ES3_N6thrust23THRUST_200600_302600_NS6detail15normal_iteratorINS9_10device_ptrIxEEEESE_SE_xNS9_4plusIvEENS9_8equal_toIxEExEE10hipError_tPvRmT2_T3_T4_T5_mT6_T7_P12ihipStream_tbENKUlT_T0_E_clISt17integral_constantIbLb0EESY_IbLb1EEEEDaSU_SV_EUlSU_E_NS1_11comp_targetILNS1_3genE10ELNS1_11target_archE1201ELNS1_3gpuE5ELNS1_3repE0EEENS1_30default_config_static_selectorELNS0_4arch9wavefront6targetE1EEEvT1_,"axG",@progbits,_ZN7rocprim17ROCPRIM_400000_NS6detail17trampoline_kernelINS0_14default_configENS1_27scan_by_key_config_selectorIxxEEZZNS1_16scan_by_key_implILNS1_25lookback_scan_determinismE0ELb1ES3_N6thrust23THRUST_200600_302600_NS6detail15normal_iteratorINS9_10device_ptrIxEEEESE_SE_xNS9_4plusIvEENS9_8equal_toIxEExEE10hipError_tPvRmT2_T3_T4_T5_mT6_T7_P12ihipStream_tbENKUlT_T0_E_clISt17integral_constantIbLb0EESY_IbLb1EEEEDaSU_SV_EUlSU_E_NS1_11comp_targetILNS1_3genE10ELNS1_11target_archE1201ELNS1_3gpuE5ELNS1_3repE0EEENS1_30default_config_static_selectorELNS0_4arch9wavefront6targetE1EEEvT1_,comdat
.Lfunc_end453:
	.size	_ZN7rocprim17ROCPRIM_400000_NS6detail17trampoline_kernelINS0_14default_configENS1_27scan_by_key_config_selectorIxxEEZZNS1_16scan_by_key_implILNS1_25lookback_scan_determinismE0ELb1ES3_N6thrust23THRUST_200600_302600_NS6detail15normal_iteratorINS9_10device_ptrIxEEEESE_SE_xNS9_4plusIvEENS9_8equal_toIxEExEE10hipError_tPvRmT2_T3_T4_T5_mT6_T7_P12ihipStream_tbENKUlT_T0_E_clISt17integral_constantIbLb0EESY_IbLb1EEEEDaSU_SV_EUlSU_E_NS1_11comp_targetILNS1_3genE10ELNS1_11target_archE1201ELNS1_3gpuE5ELNS1_3repE0EEENS1_30default_config_static_selectorELNS0_4arch9wavefront6targetE1EEEvT1_, .Lfunc_end453-_ZN7rocprim17ROCPRIM_400000_NS6detail17trampoline_kernelINS0_14default_configENS1_27scan_by_key_config_selectorIxxEEZZNS1_16scan_by_key_implILNS1_25lookback_scan_determinismE0ELb1ES3_N6thrust23THRUST_200600_302600_NS6detail15normal_iteratorINS9_10device_ptrIxEEEESE_SE_xNS9_4plusIvEENS9_8equal_toIxEExEE10hipError_tPvRmT2_T3_T4_T5_mT6_T7_P12ihipStream_tbENKUlT_T0_E_clISt17integral_constantIbLb0EESY_IbLb1EEEEDaSU_SV_EUlSU_E_NS1_11comp_targetILNS1_3genE10ELNS1_11target_archE1201ELNS1_3gpuE5ELNS1_3repE0EEENS1_30default_config_static_selectorELNS0_4arch9wavefront6targetE1EEEvT1_
                                        ; -- End function
	.section	.AMDGPU.csdata,"",@progbits
; Kernel info:
; codeLenInByte = 0
; NumSgprs: 4
; NumVgprs: 0
; NumAgprs: 0
; TotalNumVgprs: 0
; ScratchSize: 0
; MemoryBound: 0
; FloatMode: 240
; IeeeMode: 1
; LDSByteSize: 0 bytes/workgroup (compile time only)
; SGPRBlocks: 0
; VGPRBlocks: 0
; NumSGPRsForWavesPerEU: 4
; NumVGPRsForWavesPerEU: 1
; AccumOffset: 4
; Occupancy: 8
; WaveLimiterHint : 0
; COMPUTE_PGM_RSRC2:SCRATCH_EN: 0
; COMPUTE_PGM_RSRC2:USER_SGPR: 6
; COMPUTE_PGM_RSRC2:TRAP_HANDLER: 0
; COMPUTE_PGM_RSRC2:TGID_X_EN: 1
; COMPUTE_PGM_RSRC2:TGID_Y_EN: 0
; COMPUTE_PGM_RSRC2:TGID_Z_EN: 0
; COMPUTE_PGM_RSRC2:TIDIG_COMP_CNT: 0
; COMPUTE_PGM_RSRC3_GFX90A:ACCUM_OFFSET: 0
; COMPUTE_PGM_RSRC3_GFX90A:TG_SPLIT: 0
	.section	.text._ZN7rocprim17ROCPRIM_400000_NS6detail17trampoline_kernelINS0_14default_configENS1_27scan_by_key_config_selectorIxxEEZZNS1_16scan_by_key_implILNS1_25lookback_scan_determinismE0ELb1ES3_N6thrust23THRUST_200600_302600_NS6detail15normal_iteratorINS9_10device_ptrIxEEEESE_SE_xNS9_4plusIvEENS9_8equal_toIxEExEE10hipError_tPvRmT2_T3_T4_T5_mT6_T7_P12ihipStream_tbENKUlT_T0_E_clISt17integral_constantIbLb0EESY_IbLb1EEEEDaSU_SV_EUlSU_E_NS1_11comp_targetILNS1_3genE5ELNS1_11target_archE942ELNS1_3gpuE9ELNS1_3repE0EEENS1_30default_config_static_selectorELNS0_4arch9wavefront6targetE1EEEvT1_,"axG",@progbits,_ZN7rocprim17ROCPRIM_400000_NS6detail17trampoline_kernelINS0_14default_configENS1_27scan_by_key_config_selectorIxxEEZZNS1_16scan_by_key_implILNS1_25lookback_scan_determinismE0ELb1ES3_N6thrust23THRUST_200600_302600_NS6detail15normal_iteratorINS9_10device_ptrIxEEEESE_SE_xNS9_4plusIvEENS9_8equal_toIxEExEE10hipError_tPvRmT2_T3_T4_T5_mT6_T7_P12ihipStream_tbENKUlT_T0_E_clISt17integral_constantIbLb0EESY_IbLb1EEEEDaSU_SV_EUlSU_E_NS1_11comp_targetILNS1_3genE5ELNS1_11target_archE942ELNS1_3gpuE9ELNS1_3repE0EEENS1_30default_config_static_selectorELNS0_4arch9wavefront6targetE1EEEvT1_,comdat
	.protected	_ZN7rocprim17ROCPRIM_400000_NS6detail17trampoline_kernelINS0_14default_configENS1_27scan_by_key_config_selectorIxxEEZZNS1_16scan_by_key_implILNS1_25lookback_scan_determinismE0ELb1ES3_N6thrust23THRUST_200600_302600_NS6detail15normal_iteratorINS9_10device_ptrIxEEEESE_SE_xNS9_4plusIvEENS9_8equal_toIxEExEE10hipError_tPvRmT2_T3_T4_T5_mT6_T7_P12ihipStream_tbENKUlT_T0_E_clISt17integral_constantIbLb0EESY_IbLb1EEEEDaSU_SV_EUlSU_E_NS1_11comp_targetILNS1_3genE5ELNS1_11target_archE942ELNS1_3gpuE9ELNS1_3repE0EEENS1_30default_config_static_selectorELNS0_4arch9wavefront6targetE1EEEvT1_ ; -- Begin function _ZN7rocprim17ROCPRIM_400000_NS6detail17trampoline_kernelINS0_14default_configENS1_27scan_by_key_config_selectorIxxEEZZNS1_16scan_by_key_implILNS1_25lookback_scan_determinismE0ELb1ES3_N6thrust23THRUST_200600_302600_NS6detail15normal_iteratorINS9_10device_ptrIxEEEESE_SE_xNS9_4plusIvEENS9_8equal_toIxEExEE10hipError_tPvRmT2_T3_T4_T5_mT6_T7_P12ihipStream_tbENKUlT_T0_E_clISt17integral_constantIbLb0EESY_IbLb1EEEEDaSU_SV_EUlSU_E_NS1_11comp_targetILNS1_3genE5ELNS1_11target_archE942ELNS1_3gpuE9ELNS1_3repE0EEENS1_30default_config_static_selectorELNS0_4arch9wavefront6targetE1EEEvT1_
	.globl	_ZN7rocprim17ROCPRIM_400000_NS6detail17trampoline_kernelINS0_14default_configENS1_27scan_by_key_config_selectorIxxEEZZNS1_16scan_by_key_implILNS1_25lookback_scan_determinismE0ELb1ES3_N6thrust23THRUST_200600_302600_NS6detail15normal_iteratorINS9_10device_ptrIxEEEESE_SE_xNS9_4plusIvEENS9_8equal_toIxEExEE10hipError_tPvRmT2_T3_T4_T5_mT6_T7_P12ihipStream_tbENKUlT_T0_E_clISt17integral_constantIbLb0EESY_IbLb1EEEEDaSU_SV_EUlSU_E_NS1_11comp_targetILNS1_3genE5ELNS1_11target_archE942ELNS1_3gpuE9ELNS1_3repE0EEENS1_30default_config_static_selectorELNS0_4arch9wavefront6targetE1EEEvT1_
	.p2align	8
	.type	_ZN7rocprim17ROCPRIM_400000_NS6detail17trampoline_kernelINS0_14default_configENS1_27scan_by_key_config_selectorIxxEEZZNS1_16scan_by_key_implILNS1_25lookback_scan_determinismE0ELb1ES3_N6thrust23THRUST_200600_302600_NS6detail15normal_iteratorINS9_10device_ptrIxEEEESE_SE_xNS9_4plusIvEENS9_8equal_toIxEExEE10hipError_tPvRmT2_T3_T4_T5_mT6_T7_P12ihipStream_tbENKUlT_T0_E_clISt17integral_constantIbLb0EESY_IbLb1EEEEDaSU_SV_EUlSU_E_NS1_11comp_targetILNS1_3genE5ELNS1_11target_archE942ELNS1_3gpuE9ELNS1_3repE0EEENS1_30default_config_static_selectorELNS0_4arch9wavefront6targetE1EEEvT1_,@function
_ZN7rocprim17ROCPRIM_400000_NS6detail17trampoline_kernelINS0_14default_configENS1_27scan_by_key_config_selectorIxxEEZZNS1_16scan_by_key_implILNS1_25lookback_scan_determinismE0ELb1ES3_N6thrust23THRUST_200600_302600_NS6detail15normal_iteratorINS9_10device_ptrIxEEEESE_SE_xNS9_4plusIvEENS9_8equal_toIxEExEE10hipError_tPvRmT2_T3_T4_T5_mT6_T7_P12ihipStream_tbENKUlT_T0_E_clISt17integral_constantIbLb0EESY_IbLb1EEEEDaSU_SV_EUlSU_E_NS1_11comp_targetILNS1_3genE5ELNS1_11target_archE942ELNS1_3gpuE9ELNS1_3repE0EEENS1_30default_config_static_selectorELNS0_4arch9wavefront6targetE1EEEvT1_: ; @_ZN7rocprim17ROCPRIM_400000_NS6detail17trampoline_kernelINS0_14default_configENS1_27scan_by_key_config_selectorIxxEEZZNS1_16scan_by_key_implILNS1_25lookback_scan_determinismE0ELb1ES3_N6thrust23THRUST_200600_302600_NS6detail15normal_iteratorINS9_10device_ptrIxEEEESE_SE_xNS9_4plusIvEENS9_8equal_toIxEExEE10hipError_tPvRmT2_T3_T4_T5_mT6_T7_P12ihipStream_tbENKUlT_T0_E_clISt17integral_constantIbLb0EESY_IbLb1EEEEDaSU_SV_EUlSU_E_NS1_11comp_targetILNS1_3genE5ELNS1_11target_archE942ELNS1_3gpuE9ELNS1_3repE0EEENS1_30default_config_static_selectorELNS0_4arch9wavefront6targetE1EEEvT1_
; %bb.0:
	.section	.rodata,"a",@progbits
	.p2align	6, 0x0
	.amdhsa_kernel _ZN7rocprim17ROCPRIM_400000_NS6detail17trampoline_kernelINS0_14default_configENS1_27scan_by_key_config_selectorIxxEEZZNS1_16scan_by_key_implILNS1_25lookback_scan_determinismE0ELb1ES3_N6thrust23THRUST_200600_302600_NS6detail15normal_iteratorINS9_10device_ptrIxEEEESE_SE_xNS9_4plusIvEENS9_8equal_toIxEExEE10hipError_tPvRmT2_T3_T4_T5_mT6_T7_P12ihipStream_tbENKUlT_T0_E_clISt17integral_constantIbLb0EESY_IbLb1EEEEDaSU_SV_EUlSU_E_NS1_11comp_targetILNS1_3genE5ELNS1_11target_archE942ELNS1_3gpuE9ELNS1_3repE0EEENS1_30default_config_static_selectorELNS0_4arch9wavefront6targetE1EEEvT1_
		.amdhsa_group_segment_fixed_size 0
		.amdhsa_private_segment_fixed_size 0
		.amdhsa_kernarg_size 136
		.amdhsa_user_sgpr_count 6
		.amdhsa_user_sgpr_private_segment_buffer 1
		.amdhsa_user_sgpr_dispatch_ptr 0
		.amdhsa_user_sgpr_queue_ptr 0
		.amdhsa_user_sgpr_kernarg_segment_ptr 1
		.amdhsa_user_sgpr_dispatch_id 0
		.amdhsa_user_sgpr_flat_scratch_init 0
		.amdhsa_user_sgpr_kernarg_preload_length 0
		.amdhsa_user_sgpr_kernarg_preload_offset 0
		.amdhsa_user_sgpr_private_segment_size 0
		.amdhsa_uses_dynamic_stack 0
		.amdhsa_system_sgpr_private_segment_wavefront_offset 0
		.amdhsa_system_sgpr_workgroup_id_x 1
		.amdhsa_system_sgpr_workgroup_id_y 0
		.amdhsa_system_sgpr_workgroup_id_z 0
		.amdhsa_system_sgpr_workgroup_info 0
		.amdhsa_system_vgpr_workitem_id 0
		.amdhsa_next_free_vgpr 1
		.amdhsa_next_free_sgpr 0
		.amdhsa_accum_offset 4
		.amdhsa_reserve_vcc 0
		.amdhsa_reserve_flat_scratch 0
		.amdhsa_float_round_mode_32 0
		.amdhsa_float_round_mode_16_64 0
		.amdhsa_float_denorm_mode_32 3
		.amdhsa_float_denorm_mode_16_64 3
		.amdhsa_dx10_clamp 1
		.amdhsa_ieee_mode 1
		.amdhsa_fp16_overflow 0
		.amdhsa_tg_split 0
		.amdhsa_exception_fp_ieee_invalid_op 0
		.amdhsa_exception_fp_denorm_src 0
		.amdhsa_exception_fp_ieee_div_zero 0
		.amdhsa_exception_fp_ieee_overflow 0
		.amdhsa_exception_fp_ieee_underflow 0
		.amdhsa_exception_fp_ieee_inexact 0
		.amdhsa_exception_int_div_zero 0
	.end_amdhsa_kernel
	.section	.text._ZN7rocprim17ROCPRIM_400000_NS6detail17trampoline_kernelINS0_14default_configENS1_27scan_by_key_config_selectorIxxEEZZNS1_16scan_by_key_implILNS1_25lookback_scan_determinismE0ELb1ES3_N6thrust23THRUST_200600_302600_NS6detail15normal_iteratorINS9_10device_ptrIxEEEESE_SE_xNS9_4plusIvEENS9_8equal_toIxEExEE10hipError_tPvRmT2_T3_T4_T5_mT6_T7_P12ihipStream_tbENKUlT_T0_E_clISt17integral_constantIbLb0EESY_IbLb1EEEEDaSU_SV_EUlSU_E_NS1_11comp_targetILNS1_3genE5ELNS1_11target_archE942ELNS1_3gpuE9ELNS1_3repE0EEENS1_30default_config_static_selectorELNS0_4arch9wavefront6targetE1EEEvT1_,"axG",@progbits,_ZN7rocprim17ROCPRIM_400000_NS6detail17trampoline_kernelINS0_14default_configENS1_27scan_by_key_config_selectorIxxEEZZNS1_16scan_by_key_implILNS1_25lookback_scan_determinismE0ELb1ES3_N6thrust23THRUST_200600_302600_NS6detail15normal_iteratorINS9_10device_ptrIxEEEESE_SE_xNS9_4plusIvEENS9_8equal_toIxEExEE10hipError_tPvRmT2_T3_T4_T5_mT6_T7_P12ihipStream_tbENKUlT_T0_E_clISt17integral_constantIbLb0EESY_IbLb1EEEEDaSU_SV_EUlSU_E_NS1_11comp_targetILNS1_3genE5ELNS1_11target_archE942ELNS1_3gpuE9ELNS1_3repE0EEENS1_30default_config_static_selectorELNS0_4arch9wavefront6targetE1EEEvT1_,comdat
.Lfunc_end454:
	.size	_ZN7rocprim17ROCPRIM_400000_NS6detail17trampoline_kernelINS0_14default_configENS1_27scan_by_key_config_selectorIxxEEZZNS1_16scan_by_key_implILNS1_25lookback_scan_determinismE0ELb1ES3_N6thrust23THRUST_200600_302600_NS6detail15normal_iteratorINS9_10device_ptrIxEEEESE_SE_xNS9_4plusIvEENS9_8equal_toIxEExEE10hipError_tPvRmT2_T3_T4_T5_mT6_T7_P12ihipStream_tbENKUlT_T0_E_clISt17integral_constantIbLb0EESY_IbLb1EEEEDaSU_SV_EUlSU_E_NS1_11comp_targetILNS1_3genE5ELNS1_11target_archE942ELNS1_3gpuE9ELNS1_3repE0EEENS1_30default_config_static_selectorELNS0_4arch9wavefront6targetE1EEEvT1_, .Lfunc_end454-_ZN7rocprim17ROCPRIM_400000_NS6detail17trampoline_kernelINS0_14default_configENS1_27scan_by_key_config_selectorIxxEEZZNS1_16scan_by_key_implILNS1_25lookback_scan_determinismE0ELb1ES3_N6thrust23THRUST_200600_302600_NS6detail15normal_iteratorINS9_10device_ptrIxEEEESE_SE_xNS9_4plusIvEENS9_8equal_toIxEExEE10hipError_tPvRmT2_T3_T4_T5_mT6_T7_P12ihipStream_tbENKUlT_T0_E_clISt17integral_constantIbLb0EESY_IbLb1EEEEDaSU_SV_EUlSU_E_NS1_11comp_targetILNS1_3genE5ELNS1_11target_archE942ELNS1_3gpuE9ELNS1_3repE0EEENS1_30default_config_static_selectorELNS0_4arch9wavefront6targetE1EEEvT1_
                                        ; -- End function
	.section	.AMDGPU.csdata,"",@progbits
; Kernel info:
; codeLenInByte = 0
; NumSgprs: 4
; NumVgprs: 0
; NumAgprs: 0
; TotalNumVgprs: 0
; ScratchSize: 0
; MemoryBound: 0
; FloatMode: 240
; IeeeMode: 1
; LDSByteSize: 0 bytes/workgroup (compile time only)
; SGPRBlocks: 0
; VGPRBlocks: 0
; NumSGPRsForWavesPerEU: 4
; NumVGPRsForWavesPerEU: 1
; AccumOffset: 4
; Occupancy: 8
; WaveLimiterHint : 0
; COMPUTE_PGM_RSRC2:SCRATCH_EN: 0
; COMPUTE_PGM_RSRC2:USER_SGPR: 6
; COMPUTE_PGM_RSRC2:TRAP_HANDLER: 0
; COMPUTE_PGM_RSRC2:TGID_X_EN: 1
; COMPUTE_PGM_RSRC2:TGID_Y_EN: 0
; COMPUTE_PGM_RSRC2:TGID_Z_EN: 0
; COMPUTE_PGM_RSRC2:TIDIG_COMP_CNT: 0
; COMPUTE_PGM_RSRC3_GFX90A:ACCUM_OFFSET: 0
; COMPUTE_PGM_RSRC3_GFX90A:TG_SPLIT: 0
	.section	.text._ZN7rocprim17ROCPRIM_400000_NS6detail17trampoline_kernelINS0_14default_configENS1_27scan_by_key_config_selectorIxxEEZZNS1_16scan_by_key_implILNS1_25lookback_scan_determinismE0ELb1ES3_N6thrust23THRUST_200600_302600_NS6detail15normal_iteratorINS9_10device_ptrIxEEEESE_SE_xNS9_4plusIvEENS9_8equal_toIxEExEE10hipError_tPvRmT2_T3_T4_T5_mT6_T7_P12ihipStream_tbENKUlT_T0_E_clISt17integral_constantIbLb0EESY_IbLb1EEEEDaSU_SV_EUlSU_E_NS1_11comp_targetILNS1_3genE4ELNS1_11target_archE910ELNS1_3gpuE8ELNS1_3repE0EEENS1_30default_config_static_selectorELNS0_4arch9wavefront6targetE1EEEvT1_,"axG",@progbits,_ZN7rocprim17ROCPRIM_400000_NS6detail17trampoline_kernelINS0_14default_configENS1_27scan_by_key_config_selectorIxxEEZZNS1_16scan_by_key_implILNS1_25lookback_scan_determinismE0ELb1ES3_N6thrust23THRUST_200600_302600_NS6detail15normal_iteratorINS9_10device_ptrIxEEEESE_SE_xNS9_4plusIvEENS9_8equal_toIxEExEE10hipError_tPvRmT2_T3_T4_T5_mT6_T7_P12ihipStream_tbENKUlT_T0_E_clISt17integral_constantIbLb0EESY_IbLb1EEEEDaSU_SV_EUlSU_E_NS1_11comp_targetILNS1_3genE4ELNS1_11target_archE910ELNS1_3gpuE8ELNS1_3repE0EEENS1_30default_config_static_selectorELNS0_4arch9wavefront6targetE1EEEvT1_,comdat
	.protected	_ZN7rocprim17ROCPRIM_400000_NS6detail17trampoline_kernelINS0_14default_configENS1_27scan_by_key_config_selectorIxxEEZZNS1_16scan_by_key_implILNS1_25lookback_scan_determinismE0ELb1ES3_N6thrust23THRUST_200600_302600_NS6detail15normal_iteratorINS9_10device_ptrIxEEEESE_SE_xNS9_4plusIvEENS9_8equal_toIxEExEE10hipError_tPvRmT2_T3_T4_T5_mT6_T7_P12ihipStream_tbENKUlT_T0_E_clISt17integral_constantIbLb0EESY_IbLb1EEEEDaSU_SV_EUlSU_E_NS1_11comp_targetILNS1_3genE4ELNS1_11target_archE910ELNS1_3gpuE8ELNS1_3repE0EEENS1_30default_config_static_selectorELNS0_4arch9wavefront6targetE1EEEvT1_ ; -- Begin function _ZN7rocprim17ROCPRIM_400000_NS6detail17trampoline_kernelINS0_14default_configENS1_27scan_by_key_config_selectorIxxEEZZNS1_16scan_by_key_implILNS1_25lookback_scan_determinismE0ELb1ES3_N6thrust23THRUST_200600_302600_NS6detail15normal_iteratorINS9_10device_ptrIxEEEESE_SE_xNS9_4plusIvEENS9_8equal_toIxEExEE10hipError_tPvRmT2_T3_T4_T5_mT6_T7_P12ihipStream_tbENKUlT_T0_E_clISt17integral_constantIbLb0EESY_IbLb1EEEEDaSU_SV_EUlSU_E_NS1_11comp_targetILNS1_3genE4ELNS1_11target_archE910ELNS1_3gpuE8ELNS1_3repE0EEENS1_30default_config_static_selectorELNS0_4arch9wavefront6targetE1EEEvT1_
	.globl	_ZN7rocprim17ROCPRIM_400000_NS6detail17trampoline_kernelINS0_14default_configENS1_27scan_by_key_config_selectorIxxEEZZNS1_16scan_by_key_implILNS1_25lookback_scan_determinismE0ELb1ES3_N6thrust23THRUST_200600_302600_NS6detail15normal_iteratorINS9_10device_ptrIxEEEESE_SE_xNS9_4plusIvEENS9_8equal_toIxEExEE10hipError_tPvRmT2_T3_T4_T5_mT6_T7_P12ihipStream_tbENKUlT_T0_E_clISt17integral_constantIbLb0EESY_IbLb1EEEEDaSU_SV_EUlSU_E_NS1_11comp_targetILNS1_3genE4ELNS1_11target_archE910ELNS1_3gpuE8ELNS1_3repE0EEENS1_30default_config_static_selectorELNS0_4arch9wavefront6targetE1EEEvT1_
	.p2align	8
	.type	_ZN7rocprim17ROCPRIM_400000_NS6detail17trampoline_kernelINS0_14default_configENS1_27scan_by_key_config_selectorIxxEEZZNS1_16scan_by_key_implILNS1_25lookback_scan_determinismE0ELb1ES3_N6thrust23THRUST_200600_302600_NS6detail15normal_iteratorINS9_10device_ptrIxEEEESE_SE_xNS9_4plusIvEENS9_8equal_toIxEExEE10hipError_tPvRmT2_T3_T4_T5_mT6_T7_P12ihipStream_tbENKUlT_T0_E_clISt17integral_constantIbLb0EESY_IbLb1EEEEDaSU_SV_EUlSU_E_NS1_11comp_targetILNS1_3genE4ELNS1_11target_archE910ELNS1_3gpuE8ELNS1_3repE0EEENS1_30default_config_static_selectorELNS0_4arch9wavefront6targetE1EEEvT1_,@function
_ZN7rocprim17ROCPRIM_400000_NS6detail17trampoline_kernelINS0_14default_configENS1_27scan_by_key_config_selectorIxxEEZZNS1_16scan_by_key_implILNS1_25lookback_scan_determinismE0ELb1ES3_N6thrust23THRUST_200600_302600_NS6detail15normal_iteratorINS9_10device_ptrIxEEEESE_SE_xNS9_4plusIvEENS9_8equal_toIxEExEE10hipError_tPvRmT2_T3_T4_T5_mT6_T7_P12ihipStream_tbENKUlT_T0_E_clISt17integral_constantIbLb0EESY_IbLb1EEEEDaSU_SV_EUlSU_E_NS1_11comp_targetILNS1_3genE4ELNS1_11target_archE910ELNS1_3gpuE8ELNS1_3repE0EEENS1_30default_config_static_selectorELNS0_4arch9wavefront6targetE1EEEvT1_: ; @_ZN7rocprim17ROCPRIM_400000_NS6detail17trampoline_kernelINS0_14default_configENS1_27scan_by_key_config_selectorIxxEEZZNS1_16scan_by_key_implILNS1_25lookback_scan_determinismE0ELb1ES3_N6thrust23THRUST_200600_302600_NS6detail15normal_iteratorINS9_10device_ptrIxEEEESE_SE_xNS9_4plusIvEENS9_8equal_toIxEExEE10hipError_tPvRmT2_T3_T4_T5_mT6_T7_P12ihipStream_tbENKUlT_T0_E_clISt17integral_constantIbLb0EESY_IbLb1EEEEDaSU_SV_EUlSU_E_NS1_11comp_targetILNS1_3genE4ELNS1_11target_archE910ELNS1_3gpuE8ELNS1_3repE0EEENS1_30default_config_static_selectorELNS0_4arch9wavefront6targetE1EEEvT1_
; %bb.0:
	s_load_dwordx8 s[52:59], s[4:5], 0x0
	s_load_dwordx2 s[64:65], s[4:5], 0x20
	s_load_dwordx8 s[44:51], s[4:5], 0x30
	s_load_dwordx2 s[66:67], s[4:5], 0x50
	v_cmp_eq_u32_e64 s[0:1], 0, v0
	s_and_saveexec_b64 s[2:3], s[0:1]
	s_cbranch_execz .LBB455_4
; %bb.1:
	s_mov_b64 s[8:9], exec
	v_mbcnt_lo_u32_b32 v1, s8, 0
	v_mbcnt_hi_u32_b32 v1, s9, v1
	v_cmp_eq_u32_e32 vcc, 0, v1
                                        ; implicit-def: $vgpr2
	s_and_saveexec_b64 s[6:7], vcc
	s_cbranch_execz .LBB455_3
; %bb.2:
	s_load_dwordx2 s[10:11], s[4:5], 0x80
	s_bcnt1_i32_b64 s8, s[8:9]
	v_mov_b32_e32 v2, 0
	v_mov_b32_e32 v3, s8
	s_waitcnt lgkmcnt(0)
	global_atomic_add v2, v2, v3, s[10:11] glc
.LBB455_3:
	s_or_b64 exec, exec, s[6:7]
	s_waitcnt vmcnt(0)
	v_readfirstlane_b32 s6, v2
	v_add_u32_e32 v1, s6, v1
	v_mov_b32_e32 v2, 0
	ds_write_b32 v2, v1
.LBB455_4:
	s_or_b64 exec, exec, s[2:3]
	s_load_dword s2, s[4:5], 0x58
	s_load_dwordx4 s[60:63], s[4:5], 0x60
	v_mov_b32_e32 v3, 0
	s_waitcnt lgkmcnt(0)
	s_lshl_b64 s[54:55], s[54:55], 3
	s_waitcnt lgkmcnt(0)
	; wave barrier
	ds_read_b32 v1, v3
	s_add_u32 s3, s52, s54
	s_addc_u32 s4, s53, s55
	s_add_u32 s5, s56, s54
	s_mul_i32 s7, s67, s2
	s_mul_hi_u32 s8, s66, s2
	s_addc_u32 s6, s57, s55
	s_add_i32 s7, s8, s7
	s_movk_i32 s8, 0x4c0
	s_waitcnt lgkmcnt(0)
	v_mul_lo_u32 v2, v1, s8
	v_lshlrev_b64 v[74:75], 3, v[2:3]
	v_mov_b32_e32 v2, s4
	v_add_co_u32_e32 v78, vcc, s3, v74
	v_addc_co_u32_e32 v79, vcc, v2, v75, vcc
	v_mov_b32_e32 v2, s6
	v_add_co_u32_e32 v84, vcc, s5, v74
	s_mul_i32 s2, s66, s2
	v_addc_co_u32_e32 v85, vcc, v2, v75, vcc
	v_mov_b32_e32 v3, s7
	v_add_co_u32_e32 v2, vcc, s2, v1
	s_add_u32 s6, s60, -1
	v_addc_co_u32_e32 v3, vcc, 0, v3, vcc
	s_addc_u32 s7, s61, -1
	v_cmp_le_u64_e64 s[2:3], s[6:7], v[2:3]
	v_readfirstlane_b32 s51, v1
	s_mov_b64 s[4:5], -1
	s_and_b64 vcc, exec, s[2:3]
	s_mul_i32 s33, s6, 0xfffffb40
	s_waitcnt lgkmcnt(0)
	; wave barrier
	s_waitcnt lgkmcnt(0)
	s_waitcnt lgkmcnt(0)
	; wave barrier
	s_cbranch_vccz .LBB455_63
; %bb.5:
	flat_load_dwordx2 v[2:3], v[78:79]
	s_add_i32 s60, s33, s50
	v_cmp_gt_u32_e32 vcc, s60, v0
	s_waitcnt vmcnt(0) lgkmcnt(0)
	v_pk_mov_b32 v[4:5], v[2:3], v[2:3] op_sel:[0,1]
	s_and_saveexec_b64 s[6:7], vcc
	s_cbranch_execz .LBB455_7
; %bb.6:
	v_lshlrev_b32_e32 v1, 3, v0
	v_add_co_u32_e64 v4, s[4:5], v78, v1
	v_addc_co_u32_e64 v5, s[4:5], 0, v79, s[4:5]
	flat_load_dwordx2 v[4:5], v[4:5]
.LBB455_7:
	s_or_b64 exec, exec, s[6:7]
	v_or_b32_e32 v1, 64, v0
	v_cmp_gt_u32_e64 s[4:5], s60, v1
	v_pk_mov_b32 v[6:7], v[2:3], v[2:3] op_sel:[0,1]
	s_and_saveexec_b64 s[8:9], s[4:5]
	s_cbranch_execz .LBB455_9
; %bb.8:
	v_lshlrev_b32_e32 v1, 3, v0
	v_add_co_u32_e64 v6, s[6:7], v78, v1
	v_addc_co_u32_e64 v7, s[6:7], 0, v79, s[6:7]
	flat_load_dwordx2 v[6:7], v[6:7] offset:512
.LBB455_9:
	s_or_b64 exec, exec, s[8:9]
	v_or_b32_e32 v1, 0x80, v0
	v_cmp_gt_u32_e64 s[6:7], s60, v1
	v_pk_mov_b32 v[8:9], v[2:3], v[2:3] op_sel:[0,1]
	s_and_saveexec_b64 s[10:11], s[6:7]
	s_cbranch_execz .LBB455_11
; %bb.10:
	v_lshlrev_b32_e32 v1, 3, v0
	v_add_co_u32_e64 v8, s[8:9], v78, v1
	v_addc_co_u32_e64 v9, s[8:9], 0, v79, s[8:9]
	flat_load_dwordx2 v[8:9], v[8:9] offset:1024
.LBB455_11:
	;; [unrolled: 12-line block ×7, first 2 shown]
	s_or_b64 exec, exec, s[20:21]
	v_or_b32_e32 v1, 0x200, v0
	v_cmp_gt_u32_e64 s[18:19], s60, v1
	v_lshlrev_b32_e32 v1, 3, v1
	v_pk_mov_b32 v[20:21], v[2:3], v[2:3] op_sel:[0,1]
	s_and_saveexec_b64 s[22:23], s[18:19]
	s_cbranch_execz .LBB455_23
; %bb.22:
	v_add_co_u32_e64 v20, s[20:21], v78, v1
	v_addc_co_u32_e64 v21, s[20:21], 0, v79, s[20:21]
	flat_load_dwordx2 v[20:21], v[20:21]
.LBB455_23:
	s_or_b64 exec, exec, s[22:23]
	v_or_b32_e32 v22, 0x240, v0
	v_cmp_gt_u32_e64 s[20:21], s60, v22
	v_lshlrev_b32_e32 v60, 3, v22
	v_pk_mov_b32 v[22:23], v[2:3], v[2:3] op_sel:[0,1]
	s_and_saveexec_b64 s[24:25], s[20:21]
	s_cbranch_execz .LBB455_25
; %bb.24:
	v_add_co_u32_e64 v22, s[22:23], v78, v60
	v_addc_co_u32_e64 v23, s[22:23], 0, v79, s[22:23]
	flat_load_dwordx2 v[22:23], v[22:23]
.LBB455_25:
	;; [unrolled: 12-line block ×10, first 2 shown]
	s_or_b64 exec, exec, s[42:43]
	v_or_b32_e32 v40, 0x480, v0
	v_cmp_gt_u32_e64 s[40:41], s60, v40
	v_lshlrev_b32_e32 v89, 3, v40
	s_and_saveexec_b64 s[52:53], s[40:41]
	s_cbranch_execz .LBB455_43
; %bb.42:
	v_add_co_u32_e64 v2, s[42:43], v78, v89
	v_addc_co_u32_e64 v3, s[42:43], 0, v79, s[42:43]
	flat_load_dwordx2 v[2:3], v[2:3]
.LBB455_43:
	s_or_b64 exec, exec, s[52:53]
	v_lshlrev_b32_e32 v88, 3, v0
	s_waitcnt vmcnt(0) lgkmcnt(0)
	ds_write2st64_b64 v88, v[4:5], v[6:7] offset1:1
	ds_write2st64_b64 v88, v[8:9], v[10:11] offset0:2 offset1:3
	ds_write2st64_b64 v88, v[12:13], v[14:15] offset0:4 offset1:5
	;; [unrolled: 1-line block ×8, first 2 shown]
	ds_write_b64 v88, v[2:3] offset:9216
	s_waitcnt lgkmcnt(0)
	; wave barrier
	s_waitcnt lgkmcnt(0)
	flat_load_dwordx2 v[82:83], v[78:79]
	s_movk_i32 s42, 0x90
	v_mad_u32_u24 v86, v0, s42, v88
	s_movk_i32 s42, 0xff70
	v_mad_i32_i24 v38, v0, s42, v86
	v_cmp_ne_u32_e64 s[42:43], 63, v0
	ds_read_b64 v[40:41], v86
	ds_read2_b64 v[34:37], v86 offset0:1 offset1:2
	ds_read2_b64 v[30:33], v86 offset0:3 offset1:4
	;; [unrolled: 1-line block ×9, first 2 shown]
	s_waitcnt lgkmcnt(0)
	ds_write_b64 v38, v[40:41] offset:10240
	s_waitcnt lgkmcnt(0)
	; wave barrier
	s_waitcnt lgkmcnt(0)
	s_and_saveexec_b64 s[52:53], s[42:43]
	s_cbranch_execz .LBB455_45
; %bb.44:
	s_waitcnt vmcnt(0)
	ds_read_b64 v[82:83], v88 offset:10248
.LBB455_45:
	s_or_b64 exec, exec, s[52:53]
	s_waitcnt lgkmcnt(0)
	; wave barrier
	s_waitcnt lgkmcnt(0)
                                        ; implicit-def: $vgpr38_vgpr39
	s_and_saveexec_b64 s[42:43], vcc
	s_cbranch_execz .LBB455_64
; %bb.46:
	v_add_co_u32_e32 v38, vcc, v84, v88
	v_addc_co_u32_e32 v39, vcc, 0, v85, vcc
	flat_load_dwordx2 v[38:39], v[38:39]
	s_or_b64 exec, exec, s[42:43]
                                        ; implicit-def: $vgpr42_vgpr43
	s_and_saveexec_b64 s[42:43], s[4:5]
	s_cbranch_execnz .LBB455_65
.LBB455_47:
	s_or_b64 exec, exec, s[42:43]
                                        ; implicit-def: $vgpr44_vgpr45
	s_and_saveexec_b64 s[4:5], s[6:7]
	s_cbranch_execz .LBB455_66
.LBB455_48:
	v_add_co_u32_e32 v44, vcc, v84, v88
	v_addc_co_u32_e32 v45, vcc, 0, v85, vcc
	flat_load_dwordx2 v[44:45], v[44:45] offset:1024
	s_or_b64 exec, exec, s[4:5]
                                        ; implicit-def: $vgpr46_vgpr47
	s_and_saveexec_b64 s[4:5], s[8:9]
	s_cbranch_execnz .LBB455_67
.LBB455_49:
	s_or_b64 exec, exec, s[4:5]
                                        ; implicit-def: $vgpr48_vgpr49
	s_and_saveexec_b64 s[4:5], s[10:11]
	s_cbranch_execz .LBB455_68
.LBB455_50:
	v_add_co_u32_e32 v48, vcc, v84, v88
	v_addc_co_u32_e32 v49, vcc, 0, v85, vcc
	flat_load_dwordx2 v[48:49], v[48:49] offset:2048
	s_or_b64 exec, exec, s[4:5]
                                        ; implicit-def: $vgpr50_vgpr51
	s_and_saveexec_b64 s[4:5], s[12:13]
	s_cbranch_execnz .LBB455_69
.LBB455_51:
	s_or_b64 exec, exec, s[4:5]
                                        ; implicit-def: $vgpr52_vgpr53
	s_and_saveexec_b64 s[4:5], s[14:15]
	s_cbranch_execz .LBB455_70
.LBB455_52:
	v_add_co_u32_e32 v52, vcc, v84, v88
	v_addc_co_u32_e32 v53, vcc, 0, v85, vcc
	flat_load_dwordx2 v[52:53], v[52:53] offset:3072
	s_or_b64 exec, exec, s[4:5]
                                        ; implicit-def: $vgpr54_vgpr55
	s_and_saveexec_b64 s[4:5], s[16:17]
	s_cbranch_execnz .LBB455_71
.LBB455_53:
	s_or_b64 exec, exec, s[4:5]
                                        ; implicit-def: $vgpr56_vgpr57
	s_and_saveexec_b64 s[4:5], s[18:19]
	s_cbranch_execz .LBB455_72
.LBB455_54:
	v_add_co_u32_e32 v56, vcc, v84, v1
	v_addc_co_u32_e32 v57, vcc, 0, v85, vcc
	flat_load_dwordx2 v[56:57], v[56:57]
	s_or_b64 exec, exec, s[4:5]
                                        ; implicit-def: $vgpr58_vgpr59
	s_and_saveexec_b64 s[4:5], s[20:21]
	s_cbranch_execnz .LBB455_73
.LBB455_55:
	s_or_b64 exec, exec, s[4:5]
                                        ; implicit-def: $vgpr60_vgpr61
	s_and_saveexec_b64 s[4:5], s[22:23]
	s_cbranch_execz .LBB455_74
.LBB455_56:
	v_add_co_u32_e32 v60, vcc, v84, v62
	v_addc_co_u32_e32 v61, vcc, 0, v85, vcc
	flat_load_dwordx2 v[60:61], v[60:61]
	s_or_b64 exec, exec, s[4:5]
                                        ; implicit-def: $vgpr62_vgpr63
	s_and_saveexec_b64 s[4:5], s[24:25]
	s_cbranch_execnz .LBB455_75
.LBB455_57:
	s_or_b64 exec, exec, s[4:5]
                                        ; implicit-def: $vgpr64_vgpr65
	s_and_saveexec_b64 s[4:5], s[26:27]
	s_cbranch_execz .LBB455_76
.LBB455_58:
	v_add_co_u32_e32 v64, vcc, v84, v66
	v_addc_co_u32_e32 v65, vcc, 0, v85, vcc
	flat_load_dwordx2 v[64:65], v[64:65]
	s_or_b64 exec, exec, s[4:5]
                                        ; implicit-def: $vgpr66_vgpr67
	s_and_saveexec_b64 s[4:5], s[28:29]
	s_cbranch_execnz .LBB455_77
.LBB455_59:
	s_or_b64 exec, exec, s[4:5]
                                        ; implicit-def: $vgpr68_vgpr69
	s_and_saveexec_b64 s[4:5], s[30:31]
	s_cbranch_execz .LBB455_78
.LBB455_60:
	v_add_co_u32_e32 v68, vcc, v84, v70
	v_addc_co_u32_e32 v69, vcc, 0, v85, vcc
	flat_load_dwordx2 v[68:69], v[68:69]
	s_or_b64 exec, exec, s[4:5]
                                        ; implicit-def: $vgpr70_vgpr71
	s_and_saveexec_b64 s[4:5], s[34:35]
	s_cbranch_execnz .LBB455_79
.LBB455_61:
	s_or_b64 exec, exec, s[4:5]
                                        ; implicit-def: $vgpr72_vgpr73
	s_and_saveexec_b64 s[4:5], s[36:37]
	s_cbranch_execz .LBB455_80
.LBB455_62:
	v_add_co_u32_e32 v72, vcc, v84, v76
	v_addc_co_u32_e32 v73, vcc, 0, v85, vcc
	flat_load_dwordx2 v[72:73], v[72:73]
	s_or_b64 exec, exec, s[4:5]
                                        ; implicit-def: $vgpr76_vgpr77
	s_and_saveexec_b64 s[4:5], s[38:39]
	s_cbranch_execz .LBB455_82
	s_branch .LBB455_81
.LBB455_63:
	s_mov_b64 s[10:11], 0
                                        ; implicit-def: $sgpr8_sgpr9
                                        ; implicit-def: $vgpr80_vgpr81
                                        ; implicit-def: $vgpr76_vgpr77
                                        ; implicit-def: $vgpr101
                                        ; implicit-def: $vgpr42_vgpr43
                                        ; implicit-def: $vgpr114
                                        ; implicit-def: $vgpr72_vgpr73
                                        ; implicit-def: $vgpr113
                                        ; implicit-def: $vgpr70_vgpr71
                                        ; implicit-def: $vgpr112
                                        ; implicit-def: $vgpr68_vgpr69
                                        ; implicit-def: $vgpr111
                                        ; implicit-def: $vgpr66_vgpr67
                                        ; implicit-def: $vgpr110
                                        ; implicit-def: $vgpr64_vgpr65
                                        ; implicit-def: $vgpr109
                                        ; implicit-def: $vgpr62_vgpr63
                                        ; implicit-def: $vgpr108
                                        ; implicit-def: $vgpr60_vgpr61
                                        ; implicit-def: $vgpr107
                                        ; implicit-def: $vgpr58_vgpr59
                                        ; implicit-def: $vgpr106
                                        ; implicit-def: $vgpr44_vgpr45
                                        ; implicit-def: $vgpr105
                                        ; implicit-def: $vgpr56_vgpr57
                                        ; implicit-def: $vgpr104
                                        ; implicit-def: $vgpr52_vgpr53
                                        ; implicit-def: $vgpr103
                                        ; implicit-def: $vgpr50_vgpr51
                                        ; implicit-def: $vgpr102
                                        ; implicit-def: $vgpr54_vgpr55
                                        ; implicit-def: $vgpr100
                                        ; implicit-def: $vgpr48_vgpr49
                                        ; implicit-def: $vgpr99
                                        ; implicit-def: $vgpr46_vgpr47
                                        ; implicit-def: $vgpr98
                                        ; implicit-def: $vgpr38_vgpr39
                                        ; implicit-def: $vgpr1
                                        ; implicit-def: $sgpr68
                                        ; implicit-def: $sgpr6_sgpr7
	s_and_b64 vcc, exec, s[4:5]
	v_lshlrev_b32_e32 v115, 3, v0
	s_cbranch_vccz .LBB455_128
	s_branch .LBB455_123
.LBB455_64:
	s_or_b64 exec, exec, s[42:43]
                                        ; implicit-def: $vgpr42_vgpr43
	s_and_saveexec_b64 s[42:43], s[4:5]
	s_cbranch_execz .LBB455_47
.LBB455_65:
	v_add_co_u32_e32 v42, vcc, v84, v88
	v_addc_co_u32_e32 v43, vcc, 0, v85, vcc
	flat_load_dwordx2 v[42:43], v[42:43] offset:512
	s_or_b64 exec, exec, s[42:43]
                                        ; implicit-def: $vgpr44_vgpr45
	s_and_saveexec_b64 s[4:5], s[6:7]
	s_cbranch_execnz .LBB455_48
.LBB455_66:
	s_or_b64 exec, exec, s[4:5]
                                        ; implicit-def: $vgpr46_vgpr47
	s_and_saveexec_b64 s[4:5], s[8:9]
	s_cbranch_execz .LBB455_49
.LBB455_67:
	v_add_co_u32_e32 v46, vcc, v84, v88
	v_addc_co_u32_e32 v47, vcc, 0, v85, vcc
	flat_load_dwordx2 v[46:47], v[46:47] offset:1536
	s_or_b64 exec, exec, s[4:5]
                                        ; implicit-def: $vgpr48_vgpr49
	s_and_saveexec_b64 s[4:5], s[10:11]
	s_cbranch_execnz .LBB455_50
.LBB455_68:
	s_or_b64 exec, exec, s[4:5]
                                        ; implicit-def: $vgpr50_vgpr51
	s_and_saveexec_b64 s[4:5], s[12:13]
	s_cbranch_execz .LBB455_51
.LBB455_69:
	v_add_co_u32_e32 v50, vcc, v84, v88
	v_addc_co_u32_e32 v51, vcc, 0, v85, vcc
	flat_load_dwordx2 v[50:51], v[50:51] offset:2560
	s_or_b64 exec, exec, s[4:5]
                                        ; implicit-def: $vgpr52_vgpr53
	s_and_saveexec_b64 s[4:5], s[14:15]
	s_cbranch_execnz .LBB455_52
.LBB455_70:
	s_or_b64 exec, exec, s[4:5]
                                        ; implicit-def: $vgpr54_vgpr55
	s_and_saveexec_b64 s[4:5], s[16:17]
	s_cbranch_execz .LBB455_53
.LBB455_71:
	v_add_co_u32_e32 v54, vcc, v84, v88
	v_addc_co_u32_e32 v55, vcc, 0, v85, vcc
	flat_load_dwordx2 v[54:55], v[54:55] offset:3584
	s_or_b64 exec, exec, s[4:5]
                                        ; implicit-def: $vgpr56_vgpr57
	s_and_saveexec_b64 s[4:5], s[18:19]
	s_cbranch_execnz .LBB455_54
.LBB455_72:
	s_or_b64 exec, exec, s[4:5]
                                        ; implicit-def: $vgpr58_vgpr59
	s_and_saveexec_b64 s[4:5], s[20:21]
	s_cbranch_execz .LBB455_55
.LBB455_73:
	v_add_co_u32_e32 v58, vcc, v84, v60
	v_addc_co_u32_e32 v59, vcc, 0, v85, vcc
	flat_load_dwordx2 v[58:59], v[58:59]
	s_or_b64 exec, exec, s[4:5]
                                        ; implicit-def: $vgpr60_vgpr61
	s_and_saveexec_b64 s[4:5], s[22:23]
	s_cbranch_execnz .LBB455_56
.LBB455_74:
	s_or_b64 exec, exec, s[4:5]
                                        ; implicit-def: $vgpr62_vgpr63
	s_and_saveexec_b64 s[4:5], s[24:25]
	s_cbranch_execz .LBB455_57
.LBB455_75:
	v_add_co_u32_e32 v62, vcc, v84, v64
	v_addc_co_u32_e32 v63, vcc, 0, v85, vcc
	flat_load_dwordx2 v[62:63], v[62:63]
	s_or_b64 exec, exec, s[4:5]
                                        ; implicit-def: $vgpr64_vgpr65
	s_and_saveexec_b64 s[4:5], s[26:27]
	s_cbranch_execnz .LBB455_58
.LBB455_76:
	s_or_b64 exec, exec, s[4:5]
                                        ; implicit-def: $vgpr66_vgpr67
	s_and_saveexec_b64 s[4:5], s[28:29]
	s_cbranch_execz .LBB455_59
.LBB455_77:
	v_add_co_u32_e32 v66, vcc, v84, v68
	v_addc_co_u32_e32 v67, vcc, 0, v85, vcc
	flat_load_dwordx2 v[66:67], v[66:67]
	s_or_b64 exec, exec, s[4:5]
                                        ; implicit-def: $vgpr68_vgpr69
	s_and_saveexec_b64 s[4:5], s[30:31]
	s_cbranch_execnz .LBB455_60
.LBB455_78:
	s_or_b64 exec, exec, s[4:5]
                                        ; implicit-def: $vgpr70_vgpr71
	s_and_saveexec_b64 s[4:5], s[34:35]
	s_cbranch_execz .LBB455_61
.LBB455_79:
	v_add_co_u32_e32 v70, vcc, v84, v72
	v_addc_co_u32_e32 v71, vcc, 0, v85, vcc
	flat_load_dwordx2 v[70:71], v[70:71]
	s_or_b64 exec, exec, s[4:5]
                                        ; implicit-def: $vgpr72_vgpr73
	s_and_saveexec_b64 s[4:5], s[36:37]
	s_cbranch_execnz .LBB455_62
.LBB455_80:
	s_or_b64 exec, exec, s[4:5]
                                        ; implicit-def: $vgpr76_vgpr77
	s_and_saveexec_b64 s[4:5], s[38:39]
	s_cbranch_execz .LBB455_82
.LBB455_81:
	v_add_co_u32_e32 v76, vcc, v84, v80
	v_addc_co_u32_e32 v77, vcc, 0, v85, vcc
	flat_load_dwordx2 v[76:77], v[76:77]
.LBB455_82:
	s_or_b64 exec, exec, s[4:5]
	v_mul_u32_u24_e32 v87, 19, v0
                                        ; implicit-def: $vgpr80_vgpr81
	s_and_saveexec_b64 s[4:5], s[40:41]
	s_cbranch_execz .LBB455_84
; %bb.83:
	v_add_co_u32_e32 v80, vcc, v84, v89
	v_addc_co_u32_e32 v81, vcc, 0, v85, vcc
	flat_load_dwordx2 v[80:81], v[80:81]
.LBB455_84:
	s_or_b64 exec, exec, s[4:5]
	s_waitcnt vmcnt(0) lgkmcnt(0)
	ds_write2st64_b64 v88, v[38:39], v[42:43] offset1:1
	ds_write2st64_b64 v88, v[44:45], v[46:47] offset0:2 offset1:3
	ds_write2st64_b64 v88, v[48:49], v[50:51] offset0:4 offset1:5
	;; [unrolled: 1-line block ×8, first 2 shown]
	ds_write_b64 v88, v[80:81] offset:9216
	v_pk_mov_b32 v[76:77], 0, 0
	v_cmp_gt_u32_e32 vcc, s60, v87
	s_mov_b64 s[10:11], 0
	s_mov_b32 s68, 0
	s_mov_b64 s[4:5], 0
	v_mov_b32_e32 v101, 0
	v_pk_mov_b32 v[42:43], v[76:77], v[76:77] op_sel:[0,1]
	v_mov_b32_e32 v114, 0
	v_pk_mov_b32 v[72:73], v[76:77], v[76:77] op_sel:[0,1]
	;; [unrolled: 2-line block ×17, first 2 shown]
	v_mov_b32_e32 v1, 0
	s_waitcnt lgkmcnt(0)
	; wave barrier
	s_waitcnt lgkmcnt(0)
                                        ; implicit-def: $sgpr8_sgpr9
                                        ; implicit-def: $vgpr80_vgpr81
	s_and_saveexec_b64 s[6:7], vcc
	s_cbranch_execz .LBB455_122
; %bb.85:
	ds_read_b64 v[38:39], v86
	v_cmp_ne_u64_e32 vcc, v[40:41], v[34:35]
	v_mov_b32_e32 v40, s65
	v_add_u32_e32 v42, 1, v87
	v_cndmask_b32_e64 v1, 0, 1, vcc
	s_waitcnt lgkmcnt(0)
	v_cndmask_b32_e32 v77, v39, v40, vcc
	v_mov_b32_e32 v39, s64
	v_cndmask_b32_e32 v76, v38, v39, vcc
	v_cmp_gt_u32_e32 vcc, s60, v42
	v_pk_mov_b32 v[42:43], 0, 0
	s_mov_b64 s[12:13], 0
	v_mov_b32_e32 v101, 0
	v_mov_b32_e32 v114, 0
	v_pk_mov_b32 v[72:73], v[42:43], v[42:43] op_sel:[0,1]
	v_mov_b32_e32 v113, 0
	v_pk_mov_b32 v[70:71], v[42:43], v[42:43] op_sel:[0,1]
	;; [unrolled: 2-line block ×16, first 2 shown]
                                        ; implicit-def: $sgpr14_sgpr15
                                        ; implicit-def: $vgpr80_vgpr81
	s_and_saveexec_b64 s[8:9], vcc
	s_cbranch_execz .LBB455_121
; %bb.86:
	ds_read2_b64 v[38:41], v86 offset0:1 offset1:2
	v_cmp_ne_u64_e32 vcc, v[34:35], v[36:37]
	v_mov_b32_e32 v34, s65
	v_add_u32_e32 v42, 2, v87
	v_cndmask_b32_e64 v98, 0, 1, vcc
	s_waitcnt lgkmcnt(0)
	v_cndmask_b32_e32 v39, v39, v34, vcc
	v_mov_b32_e32 v34, s64
	v_cndmask_b32_e32 v38, v38, v34, vcc
	v_cmp_gt_u32_e32 vcc, s60, v42
	v_pk_mov_b32 v[42:43], 0, 0
	s_mov_b64 s[14:15], 0
	v_mov_b32_e32 v101, 0
	v_mov_b32_e32 v114, 0
	v_pk_mov_b32 v[72:73], v[42:43], v[42:43] op_sel:[0,1]
	v_mov_b32_e32 v113, 0
	v_pk_mov_b32 v[70:71], v[42:43], v[42:43] op_sel:[0,1]
	;; [unrolled: 2-line block ×15, first 2 shown]
                                        ; implicit-def: $sgpr16_sgpr17
                                        ; implicit-def: $vgpr80_vgpr81
	s_and_saveexec_b64 s[10:11], vcc
	s_cbranch_execz .LBB455_120
; %bb.87:
	v_cmp_ne_u64_e32 vcc, v[36:37], v[30:31]
	v_mov_b32_e32 v35, s65
	v_add_u32_e32 v34, 3, v87
	v_cndmask_b32_e32 v47, v41, v35, vcc
	v_mov_b32_e32 v35, s64
	v_pk_mov_b32 v[42:43], 0, 0
	v_cndmask_b32_e64 v99, 0, 1, vcc
	v_cndmask_b32_e32 v46, v40, v35, vcc
	v_cmp_gt_u32_e32 vcc, s60, v34
	s_mov_b64 s[16:17], 0
	v_mov_b32_e32 v101, 0
	v_mov_b32_e32 v114, 0
	v_pk_mov_b32 v[72:73], v[42:43], v[42:43] op_sel:[0,1]
	v_mov_b32_e32 v113, 0
	v_pk_mov_b32 v[70:71], v[42:43], v[42:43] op_sel:[0,1]
	;; [unrolled: 2-line block ×14, first 2 shown]
                                        ; implicit-def: $sgpr18_sgpr19
                                        ; implicit-def: $vgpr80_vgpr81
	s_and_saveexec_b64 s[12:13], vcc
	s_cbranch_execz .LBB455_119
; %bb.88:
	ds_read2_b64 v[34:37], v86 offset0:3 offset1:4
	v_cmp_ne_u64_e32 vcc, v[30:31], v[32:33]
	v_mov_b32_e32 v30, s65
	v_add_u32_e32 v40, 4, v87
	v_pk_mov_b32 v[42:43], 0, 0
	s_waitcnt lgkmcnt(0)
	v_cndmask_b32_e32 v49, v35, v30, vcc
	v_mov_b32_e32 v30, s64
	v_cndmask_b32_e64 v100, 0, 1, vcc
	v_cndmask_b32_e32 v48, v34, v30, vcc
	v_cmp_gt_u32_e32 vcc, s60, v40
	s_mov_b64 s[18:19], 0
	v_mov_b32_e32 v101, 0
	v_mov_b32_e32 v114, 0
	v_pk_mov_b32 v[72:73], v[42:43], v[42:43] op_sel:[0,1]
	v_mov_b32_e32 v113, 0
	v_pk_mov_b32 v[70:71], v[42:43], v[42:43] op_sel:[0,1]
	;; [unrolled: 2-line block ×13, first 2 shown]
                                        ; implicit-def: $sgpr20_sgpr21
                                        ; implicit-def: $vgpr80_vgpr81
	s_and_saveexec_b64 s[14:15], vcc
	s_cbranch_execz .LBB455_118
; %bb.89:
	v_cmp_ne_u64_e32 vcc, v[32:33], v[26:27]
	v_mov_b32_e32 v31, s65
	v_add_u32_e32 v30, 5, v87
	v_cndmask_b32_e32 v55, v37, v31, vcc
	v_mov_b32_e32 v31, s64
	v_pk_mov_b32 v[42:43], 0, 0
	v_cndmask_b32_e64 v102, 0, 1, vcc
	v_cndmask_b32_e32 v54, v36, v31, vcc
	v_cmp_gt_u32_e32 vcc, s60, v30
	s_mov_b64 s[20:21], 0
	v_mov_b32_e32 v101, 0
	v_mov_b32_e32 v114, 0
	v_pk_mov_b32 v[72:73], v[42:43], v[42:43] op_sel:[0,1]
	v_mov_b32_e32 v113, 0
	v_pk_mov_b32 v[70:71], v[42:43], v[42:43] op_sel:[0,1]
	v_mov_b32_e32 v112, 0
	v_pk_mov_b32 v[68:69], v[42:43], v[42:43] op_sel:[0,1]
	v_mov_b32_e32 v111, 0
	v_pk_mov_b32 v[66:67], v[42:43], v[42:43] op_sel:[0,1]
	v_mov_b32_e32 v110, 0
	v_pk_mov_b32 v[64:65], v[42:43], v[42:43] op_sel:[0,1]
	v_mov_b32_e32 v109, 0
	v_pk_mov_b32 v[62:63], v[42:43], v[42:43] op_sel:[0,1]
	v_mov_b32_e32 v108, 0
	v_pk_mov_b32 v[60:61], v[42:43], v[42:43] op_sel:[0,1]
	v_mov_b32_e32 v107, 0
	v_pk_mov_b32 v[58:59], v[42:43], v[42:43] op_sel:[0,1]
	v_mov_b32_e32 v106, 0
	v_pk_mov_b32 v[44:45], v[42:43], v[42:43] op_sel:[0,1]
	v_mov_b32_e32 v105, 0
	v_pk_mov_b32 v[56:57], v[42:43], v[42:43] op_sel:[0,1]
	v_mov_b32_e32 v104, 0
	v_pk_mov_b32 v[52:53], v[42:43], v[42:43] op_sel:[0,1]
	v_mov_b32_e32 v103, 0
	v_pk_mov_b32 v[50:51], v[42:43], v[42:43] op_sel:[0,1]
                                        ; implicit-def: $sgpr22_sgpr23
                                        ; implicit-def: $vgpr80_vgpr81
	s_and_saveexec_b64 s[16:17], vcc
	s_cbranch_execz .LBB455_117
; %bb.90:
	ds_read2_b64 v[30:33], v86 offset0:5 offset1:6
	v_cmp_ne_u64_e32 vcc, v[26:27], v[28:29]
	v_mov_b32_e32 v26, s65
	v_add_u32_e32 v34, 6, v87
	v_pk_mov_b32 v[42:43], 0, 0
	s_waitcnt lgkmcnt(0)
	v_cndmask_b32_e32 v51, v31, v26, vcc
	v_mov_b32_e32 v26, s64
	v_cndmask_b32_e64 v103, 0, 1, vcc
	v_cndmask_b32_e32 v50, v30, v26, vcc
	v_cmp_gt_u32_e32 vcc, s60, v34
	s_mov_b64 s[22:23], 0
	v_mov_b32_e32 v101, 0
	v_mov_b32_e32 v114, 0
	v_pk_mov_b32 v[72:73], v[42:43], v[42:43] op_sel:[0,1]
	v_mov_b32_e32 v113, 0
	v_pk_mov_b32 v[70:71], v[42:43], v[42:43] op_sel:[0,1]
	;; [unrolled: 2-line block ×11, first 2 shown]
                                        ; implicit-def: $sgpr24_sgpr25
                                        ; implicit-def: $vgpr80_vgpr81
	s_and_saveexec_b64 s[18:19], vcc
	s_cbranch_execz .LBB455_116
; %bb.91:
	v_cmp_ne_u64_e32 vcc, v[28:29], v[22:23]
	v_mov_b32_e32 v27, s65
	v_add_u32_e32 v26, 7, v87
	v_cndmask_b32_e32 v53, v33, v27, vcc
	v_mov_b32_e32 v27, s64
	v_pk_mov_b32 v[42:43], 0, 0
	v_cndmask_b32_e64 v104, 0, 1, vcc
	v_cndmask_b32_e32 v52, v32, v27, vcc
	v_cmp_gt_u32_e32 vcc, s60, v26
	s_mov_b64 s[24:25], 0
	v_mov_b32_e32 v101, 0
	v_mov_b32_e32 v114, 0
	v_pk_mov_b32 v[72:73], v[42:43], v[42:43] op_sel:[0,1]
	v_mov_b32_e32 v113, 0
	v_pk_mov_b32 v[70:71], v[42:43], v[42:43] op_sel:[0,1]
	;; [unrolled: 2-line block ×10, first 2 shown]
                                        ; implicit-def: $sgpr26_sgpr27
                                        ; implicit-def: $vgpr80_vgpr81
	s_and_saveexec_b64 s[20:21], vcc
	s_cbranch_execz .LBB455_115
; %bb.92:
	ds_read2_b64 v[26:29], v86 offset0:7 offset1:8
	v_cmp_ne_u64_e32 vcc, v[22:23], v[24:25]
	v_mov_b32_e32 v22, s65
	v_add_u32_e32 v30, 8, v87
	v_pk_mov_b32 v[42:43], 0, 0
	s_waitcnt lgkmcnt(0)
	v_cndmask_b32_e32 v57, v27, v22, vcc
	v_mov_b32_e32 v22, s64
	v_cndmask_b32_e64 v105, 0, 1, vcc
	v_cndmask_b32_e32 v56, v26, v22, vcc
	v_cmp_gt_u32_e32 vcc, s60, v30
	s_mov_b64 s[26:27], 0
	v_mov_b32_e32 v101, 0
	v_mov_b32_e32 v114, 0
	v_pk_mov_b32 v[72:73], v[42:43], v[42:43] op_sel:[0,1]
	v_mov_b32_e32 v113, 0
	v_pk_mov_b32 v[70:71], v[42:43], v[42:43] op_sel:[0,1]
	;; [unrolled: 2-line block ×9, first 2 shown]
                                        ; implicit-def: $sgpr28_sgpr29
                                        ; implicit-def: $vgpr80_vgpr81
	s_and_saveexec_b64 s[22:23], vcc
	s_cbranch_execz .LBB455_114
; %bb.93:
	v_cmp_ne_u64_e32 vcc, v[24:25], v[18:19]
	v_mov_b32_e32 v23, s65
	v_add_u32_e32 v22, 9, v87
	v_cndmask_b32_e32 v45, v29, v23, vcc
	v_mov_b32_e32 v23, s64
	v_pk_mov_b32 v[42:43], 0, 0
	v_cndmask_b32_e64 v106, 0, 1, vcc
	v_cndmask_b32_e32 v44, v28, v23, vcc
	v_cmp_gt_u32_e32 vcc, s60, v22
	s_mov_b64 s[28:29], 0
	v_mov_b32_e32 v101, 0
	v_mov_b32_e32 v114, 0
	v_pk_mov_b32 v[72:73], v[42:43], v[42:43] op_sel:[0,1]
	v_mov_b32_e32 v113, 0
	v_pk_mov_b32 v[70:71], v[42:43], v[42:43] op_sel:[0,1]
	;; [unrolled: 2-line block ×8, first 2 shown]
                                        ; implicit-def: $sgpr30_sgpr31
                                        ; implicit-def: $vgpr80_vgpr81
	s_and_saveexec_b64 s[24:25], vcc
	s_cbranch_execz .LBB455_113
; %bb.94:
	ds_read2_b64 v[22:25], v86 offset0:9 offset1:10
	v_cmp_ne_u64_e32 vcc, v[18:19], v[20:21]
	v_mov_b32_e32 v18, s65
	v_add_u32_e32 v26, 10, v87
	v_pk_mov_b32 v[42:43], 0, 0
	s_waitcnt lgkmcnt(0)
	v_cndmask_b32_e32 v59, v23, v18, vcc
	v_mov_b32_e32 v18, s64
	v_cndmask_b32_e64 v107, 0, 1, vcc
	v_cndmask_b32_e32 v58, v22, v18, vcc
	v_cmp_gt_u32_e32 vcc, s60, v26
	s_mov_b64 s[30:31], 0
	v_mov_b32_e32 v101, 0
	v_mov_b32_e32 v114, 0
	v_pk_mov_b32 v[72:73], v[42:43], v[42:43] op_sel:[0,1]
	v_mov_b32_e32 v113, 0
	v_pk_mov_b32 v[70:71], v[42:43], v[42:43] op_sel:[0,1]
	;; [unrolled: 2-line block ×7, first 2 shown]
                                        ; implicit-def: $sgpr34_sgpr35
                                        ; implicit-def: $vgpr80_vgpr81
	s_and_saveexec_b64 s[26:27], vcc
	s_cbranch_execz .LBB455_112
; %bb.95:
	v_cmp_ne_u64_e32 vcc, v[20:21], v[14:15]
	v_mov_b32_e32 v19, s65
	v_add_u32_e32 v18, 11, v87
	v_cndmask_b32_e32 v61, v25, v19, vcc
	v_mov_b32_e32 v19, s64
	v_pk_mov_b32 v[42:43], 0, 0
	v_cndmask_b32_e64 v108, 0, 1, vcc
	v_cndmask_b32_e32 v60, v24, v19, vcc
	v_cmp_gt_u32_e32 vcc, s60, v18
	s_mov_b64 s[34:35], 0
	v_mov_b32_e32 v101, 0
	v_mov_b32_e32 v114, 0
	v_pk_mov_b32 v[72:73], v[42:43], v[42:43] op_sel:[0,1]
	v_mov_b32_e32 v113, 0
	v_pk_mov_b32 v[70:71], v[42:43], v[42:43] op_sel:[0,1]
	;; [unrolled: 2-line block ×6, first 2 shown]
                                        ; implicit-def: $sgpr36_sgpr37
                                        ; implicit-def: $vgpr80_vgpr81
	s_and_saveexec_b64 s[28:29], vcc
	s_cbranch_execz .LBB455_111
; %bb.96:
	ds_read2_b64 v[18:21], v86 offset0:11 offset1:12
	v_cmp_ne_u64_e32 vcc, v[14:15], v[16:17]
	v_mov_b32_e32 v14, s65
	v_add_u32_e32 v22, 12, v87
	v_pk_mov_b32 v[42:43], 0, 0
	s_waitcnt lgkmcnt(0)
	v_cndmask_b32_e32 v63, v19, v14, vcc
	v_mov_b32_e32 v14, s64
	v_cndmask_b32_e64 v109, 0, 1, vcc
	v_cndmask_b32_e32 v62, v18, v14, vcc
	v_cmp_gt_u32_e32 vcc, s60, v22
	s_mov_b64 s[36:37], 0
	v_mov_b32_e32 v101, 0
	v_mov_b32_e32 v114, 0
	v_pk_mov_b32 v[72:73], v[42:43], v[42:43] op_sel:[0,1]
	v_mov_b32_e32 v113, 0
	v_pk_mov_b32 v[70:71], v[42:43], v[42:43] op_sel:[0,1]
	;; [unrolled: 2-line block ×5, first 2 shown]
                                        ; implicit-def: $sgpr38_sgpr39
                                        ; implicit-def: $vgpr80_vgpr81
	s_and_saveexec_b64 s[30:31], vcc
	s_cbranch_execz .LBB455_110
; %bb.97:
	v_cmp_ne_u64_e32 vcc, v[16:17], v[10:11]
	v_mov_b32_e32 v15, s65
	v_add_u32_e32 v14, 13, v87
	v_cndmask_b32_e32 v65, v21, v15, vcc
	v_mov_b32_e32 v15, s64
	v_pk_mov_b32 v[42:43], 0, 0
	v_cndmask_b32_e64 v110, 0, 1, vcc
	v_cndmask_b32_e32 v64, v20, v15, vcc
	v_cmp_gt_u32_e32 vcc, s60, v14
	s_mov_b64 s[38:39], 0
	v_mov_b32_e32 v101, 0
	v_mov_b32_e32 v114, 0
	v_pk_mov_b32 v[72:73], v[42:43], v[42:43] op_sel:[0,1]
	v_mov_b32_e32 v113, 0
	v_pk_mov_b32 v[70:71], v[42:43], v[42:43] op_sel:[0,1]
	;; [unrolled: 2-line block ×4, first 2 shown]
                                        ; implicit-def: $sgpr40_sgpr41
                                        ; implicit-def: $vgpr80_vgpr81
	s_and_saveexec_b64 s[34:35], vcc
	s_cbranch_execz .LBB455_109
; %bb.98:
	ds_read2_b64 v[14:17], v86 offset0:13 offset1:14
	v_cmp_ne_u64_e32 vcc, v[10:11], v[12:13]
	v_mov_b32_e32 v10, s65
	v_add_u32_e32 v18, 14, v87
	v_pk_mov_b32 v[42:43], 0, 0
	s_waitcnt lgkmcnt(0)
	v_cndmask_b32_e32 v67, v15, v10, vcc
	v_mov_b32_e32 v10, s64
	v_cndmask_b32_e64 v111, 0, 1, vcc
	v_cndmask_b32_e32 v66, v14, v10, vcc
	v_cmp_gt_u32_e32 vcc, s60, v18
	s_mov_b64 s[40:41], 0
	v_mov_b32_e32 v101, 0
	v_mov_b32_e32 v114, 0
	v_pk_mov_b32 v[72:73], v[42:43], v[42:43] op_sel:[0,1]
	v_mov_b32_e32 v113, 0
	v_pk_mov_b32 v[70:71], v[42:43], v[42:43] op_sel:[0,1]
	;; [unrolled: 2-line block ×3, first 2 shown]
                                        ; implicit-def: $sgpr42_sgpr43
                                        ; implicit-def: $vgpr80_vgpr81
	s_and_saveexec_b64 s[36:37], vcc
	s_cbranch_execz .LBB455_108
; %bb.99:
	v_cmp_ne_u64_e32 vcc, v[12:13], v[6:7]
	v_mov_b32_e32 v11, s65
	v_add_u32_e32 v10, 15, v87
	v_cndmask_b32_e32 v69, v17, v11, vcc
	v_mov_b32_e32 v11, s64
	v_pk_mov_b32 v[42:43], 0, 0
	v_cndmask_b32_e64 v112, 0, 1, vcc
	v_cndmask_b32_e32 v68, v16, v11, vcc
	v_cmp_gt_u32_e32 vcc, s60, v10
	s_mov_b64 s[42:43], 0
	v_mov_b32_e32 v101, 0
	v_mov_b32_e32 v114, 0
	v_pk_mov_b32 v[72:73], v[42:43], v[42:43] op_sel:[0,1]
	v_mov_b32_e32 v113, 0
	v_pk_mov_b32 v[70:71], v[42:43], v[42:43] op_sel:[0,1]
                                        ; implicit-def: $sgpr52_sgpr53
                                        ; implicit-def: $vgpr80_vgpr81
	s_and_saveexec_b64 s[38:39], vcc
	s_cbranch_execz .LBB455_107
; %bb.100:
	ds_read2_b64 v[10:13], v86 offset0:15 offset1:16
	v_cmp_ne_u64_e32 vcc, v[6:7], v[8:9]
	v_mov_b32_e32 v6, s65
	v_add_u32_e32 v14, 16, v87
	v_pk_mov_b32 v[42:43], 0, 0
	s_waitcnt lgkmcnt(0)
	v_cndmask_b32_e32 v71, v11, v6, vcc
	v_mov_b32_e32 v6, s64
	v_cndmask_b32_e64 v113, 0, 1, vcc
	v_cndmask_b32_e32 v70, v10, v6, vcc
	v_cmp_gt_u32_e32 vcc, s60, v14
	s_mov_b64 s[52:53], 0
	v_mov_b32_e32 v101, 0
	v_mov_b32_e32 v114, 0
	v_pk_mov_b32 v[72:73], v[42:43], v[42:43] op_sel:[0,1]
                                        ; implicit-def: $sgpr56_sgpr57
                                        ; implicit-def: $vgpr80_vgpr81
	s_and_saveexec_b64 s[40:41], vcc
	s_cbranch_execz .LBB455_106
; %bb.101:
	v_cmp_ne_u64_e32 vcc, v[8:9], v[2:3]
	v_mov_b32_e32 v7, s65
	v_add_u32_e32 v6, 17, v87
	v_cndmask_b32_e32 v73, v13, v7, vcc
	v_mov_b32_e32 v7, s64
	v_cndmask_b32_e64 v114, 0, 1, vcc
	v_cndmask_b32_e32 v72, v12, v7, vcc
	v_cmp_gt_u32_e32 vcc, s60, v6
	v_mov_b32_e32 v101, 0
	v_pk_mov_b32 v[42:43], 0, 0
                                        ; implicit-def: $sgpr56_sgpr57
                                        ; implicit-def: $vgpr80_vgpr81
	s_and_saveexec_b64 s[42:43], vcc
	s_cbranch_execz .LBB455_105
; %bb.102:
	ds_read2_b64 v[6:9], v86 offset0:17 offset1:18
	v_cmp_ne_u64_e32 vcc, v[2:3], v[4:5]
	v_mov_b32_e32 v2, s65
	v_add_u32_e32 v10, 18, v87
	v_cndmask_b32_e64 v101, 0, 1, vcc
	s_waitcnt lgkmcnt(0)
	v_cndmask_b32_e32 v43, v7, v2, vcc
	v_mov_b32_e32 v2, s64
	v_cndmask_b32_e32 v42, v6, v2, vcc
	v_cmp_gt_u32_e32 vcc, s60, v10
                                        ; implicit-def: $sgpr56_sgpr57
                                        ; implicit-def: $vgpr80_vgpr81
	s_and_saveexec_b64 s[60:61], vcc
	s_xor_b64 s[60:61], exec, s[60:61]
; %bb.103:
	v_mov_b32_e32 v2, s65
	v_cmp_ne_u64_e32 vcc, v[4:5], v[82:83]
	v_cndmask_b32_e32 v81, v9, v2, vcc
	v_mov_b32_e32 v2, s64
	s_mov_b64 s[52:53], exec
	v_cndmask_b32_e32 v80, v8, v2, vcc
	s_and_b64 s[56:57], vcc, exec
; %bb.104:
	s_or_b64 exec, exec, s[60:61]
	s_and_b64 s[56:57], s[56:57], exec
	s_and_b64 s[52:53], s[52:53], exec
.LBB455_105:
	s_or_b64 exec, exec, s[42:43]
	s_and_b64 s[56:57], s[56:57], exec
	s_and_b64 s[42:43], s[52:53], exec
.LBB455_106:
	s_or_b64 exec, exec, s[40:41]
	s_and_b64 s[52:53], s[56:57], exec
	s_and_b64 s[40:41], s[42:43], exec
.LBB455_107:
	s_or_b64 exec, exec, s[38:39]
	s_and_b64 s[42:43], s[52:53], exec
	s_and_b64 s[38:39], s[40:41], exec
.LBB455_108:
	s_or_b64 exec, exec, s[36:37]
	s_and_b64 s[40:41], s[42:43], exec
	s_and_b64 s[36:37], s[38:39], exec
.LBB455_109:
	s_or_b64 exec, exec, s[34:35]
	s_and_b64 s[38:39], s[40:41], exec
	s_and_b64 s[34:35], s[36:37], exec
.LBB455_110:
	s_or_b64 exec, exec, s[30:31]
	s_and_b64 s[36:37], s[38:39], exec
	s_and_b64 s[30:31], s[34:35], exec
.LBB455_111:
	s_or_b64 exec, exec, s[28:29]
	s_and_b64 s[34:35], s[36:37], exec
	s_and_b64 s[28:29], s[30:31], exec
.LBB455_112:
	s_or_b64 exec, exec, s[26:27]
	s_and_b64 s[30:31], s[34:35], exec
	s_and_b64 s[26:27], s[28:29], exec
.LBB455_113:
	s_or_b64 exec, exec, s[24:25]
	s_and_b64 s[28:29], s[30:31], exec
	s_and_b64 s[24:25], s[26:27], exec
.LBB455_114:
	s_or_b64 exec, exec, s[22:23]
	s_and_b64 s[26:27], s[28:29], exec
	s_and_b64 s[22:23], s[24:25], exec
.LBB455_115:
	s_or_b64 exec, exec, s[20:21]
	s_and_b64 s[24:25], s[26:27], exec
	s_and_b64 s[20:21], s[22:23], exec
.LBB455_116:
	s_or_b64 exec, exec, s[18:19]
	s_and_b64 s[22:23], s[24:25], exec
	s_and_b64 s[18:19], s[20:21], exec
.LBB455_117:
	s_or_b64 exec, exec, s[16:17]
	s_and_b64 s[20:21], s[22:23], exec
	s_and_b64 s[16:17], s[18:19], exec
.LBB455_118:
	s_or_b64 exec, exec, s[14:15]
	s_and_b64 s[18:19], s[20:21], exec
	s_and_b64 s[14:15], s[16:17], exec
.LBB455_119:
	s_or_b64 exec, exec, s[12:13]
	s_and_b64 s[16:17], s[18:19], exec
	s_and_b64 s[12:13], s[14:15], exec
.LBB455_120:
	s_or_b64 exec, exec, s[10:11]
	s_and_b64 s[14:15], s[16:17], exec
	s_and_b64 s[10:11], s[12:13], exec
.LBB455_121:
	s_or_b64 exec, exec, s[8:9]
	s_and_b64 s[8:9], s[14:15], exec
	s_and_b64 s[10:11], s[10:11], exec
.LBB455_122:
	s_or_b64 exec, exec, s[6:7]
	s_mov_b64 s[6:7], 0
	s_and_b64 vcc, exec, s[4:5]
	v_lshlrev_b32_e32 v115, 3, v0
	s_cbranch_vccz .LBB455_128
.LBB455_123:
	v_add_co_u32_e32 v2, vcc, v78, v115
	v_addc_co_u32_e32 v3, vcc, 0, v79, vcc
	v_add_co_u32_e32 v20, vcc, 0x1000, v2
	v_addc_co_u32_e32 v21, vcc, 0, v3, vcc
	flat_load_dwordx2 v[4:5], v[2:3]
	flat_load_dwordx2 v[6:7], v[2:3] offset:512
	flat_load_dwordx2 v[8:9], v[2:3] offset:1024
	;; [unrolled: 1-line block ×7, first 2 shown]
	v_add_co_u32_e32 v2, vcc, 0x2000, v2
	v_addc_co_u32_e32 v3, vcc, 0, v3, vcc
	flat_load_dwordx2 v[22:23], v[20:21]
	flat_load_dwordx2 v[24:25], v[20:21] offset:512
	flat_load_dwordx2 v[26:27], v[20:21] offset:1024
	;; [unrolled: 1-line block ×7, first 2 shown]
	s_nop 0
	flat_load_dwordx2 v[20:21], v[2:3]
	flat_load_dwordx2 v[38:39], v[2:3] offset:512
	flat_load_dwordx2 v[40:41], v[2:3] offset:1024
	v_add_co_u32_e32 v2, vcc, 0x2000, v78
	v_addc_co_u32_e32 v3, vcc, 0, v79, vcc
	s_movk_i32 s4, 0x90
	v_mad_u32_u24 v1, v0, s4, v115
	s_movk_i32 s4, 0xff70
	s_movk_i32 s7, 0x1000
	;; [unrolled: 1-line block ×3, first 2 shown]
	v_cmp_ne_u32_e32 vcc, 63, v0
	s_waitcnt vmcnt(0) lgkmcnt(0)
	ds_write2st64_b64 v115, v[4:5], v[6:7] offset1:1
	ds_write2st64_b64 v115, v[8:9], v[10:11] offset0:2 offset1:3
	ds_write2st64_b64 v115, v[12:13], v[14:15] offset0:4 offset1:5
	ds_write2st64_b64 v115, v[16:17], v[18:19] offset0:6 offset1:7
	ds_write2st64_b64 v115, v[22:23], v[24:25] offset0:8 offset1:9
	ds_write2st64_b64 v115, v[26:27], v[28:29] offset0:10 offset1:11
	ds_write2st64_b64 v115, v[30:31], v[32:33] offset0:12 offset1:13
	ds_write2st64_b64 v115, v[34:35], v[36:37] offset0:14 offset1:15
	ds_write2st64_b64 v115, v[20:21], v[38:39] offset0:16 offset1:17
	ds_write_b64 v115, v[40:41] offset:9216
	s_waitcnt lgkmcnt(0)
	; wave barrier
	s_waitcnt lgkmcnt(0)
	flat_load_dwordx2 v[78:79], v[2:3] offset:1536
	v_mad_i32_i24 v6, v0, s4, v1
	ds_read_b64 v[76:77], v1
	ds_read2_b64 v[70:73], v1 offset0:1 offset1:2
	ds_read2_b64 v[66:69], v1 offset0:3 offset1:4
	;; [unrolled: 1-line block ×9, first 2 shown]
	s_waitcnt lgkmcnt(0)
	ds_write_b64 v6, v[76:77] offset:10240
	s_waitcnt lgkmcnt(0)
	; wave barrier
	s_waitcnt lgkmcnt(0)
	s_and_saveexec_b64 s[4:5], vcc
	s_cbranch_execz .LBB455_125
; %bb.124:
	s_waitcnt vmcnt(0)
	ds_read_b64 v[78:79], v115 offset:10248
.LBB455_125:
	s_or_b64 exec, exec, s[4:5]
	v_add_co_u32_e32 v6, vcc, v84, v115
	v_addc_co_u32_e32 v7, vcc, 0, v85, vcc
	v_add_co_u32_e32 v36, vcc, s7, v6
	v_addc_co_u32_e32 v37, vcc, 0, v7, vcc
	s_waitcnt lgkmcnt(0)
	; wave barrier
	s_waitcnt lgkmcnt(0)
	flat_load_dwordx2 v[8:9], v[6:7]
	flat_load_dwordx2 v[14:15], v[6:7] offset:512
	flat_load_dwordx2 v[16:17], v[6:7] offset:1024
	;; [unrolled: 1-line block ×7, first 2 shown]
	v_add_co_u32_e32 v6, vcc, s6, v6
	v_addc_co_u32_e32 v7, vcc, 0, v7, vcc
	flat_load_dwordx2 v[42:43], v[36:37]
	flat_load_dwordx2 v[44:45], v[36:37] offset:512
	flat_load_dwordx2 v[50:51], v[36:37] offset:1024
	;; [unrolled: 1-line block ×7, first 2 shown]
	s_nop 0
	flat_load_dwordx2 v[36:37], v[6:7]
	flat_load_dwordx2 v[80:81], v[6:7] offset:512
	flat_load_dwordx2 v[82:83], v[6:7] offset:1024
	v_cmp_ne_u64_e32 vcc, v[76:77], v[70:71]
	v_cmp_eq_u64_e64 s[4:5], v[76:77], v[70:71]
	v_pk_mov_b32 v[76:77], s[64:65], s[64:65] op_sel:[0,1]
	s_waitcnt vmcnt(0) lgkmcnt(0)
	ds_write2st64_b64 v115, v[8:9], v[14:15] offset1:1
	ds_write2st64_b64 v115, v[16:17], v[22:23] offset0:2 offset1:3
	ds_write2st64_b64 v115, v[24:25], v[26:27] offset0:4 offset1:5
	;; [unrolled: 1-line block ×8, first 2 shown]
	ds_write_b64 v115, v[82:83] offset:9216
	s_waitcnt lgkmcnt(0)
	; wave barrier
	s_waitcnt lgkmcnt(0)
	ds_read2_b64 v[62:65], v1 offset0:1 offset1:2
	ds_read2_b64 v[58:61], v1 offset0:3 offset1:4
	;; [unrolled: 1-line block ×9, first 2 shown]
	s_and_saveexec_b64 s[6:7], s[4:5]
	s_cbranch_execz .LBB455_127
; %bb.126:
	ds_read_b64 v[76:77], v1
.LBB455_127:
	s_or_b64 exec, exec, s[6:7]
	v_cmp_ne_u64_e64 s[8:9], v[68:69], v[54:55]
	v_cmp_ne_u64_e64 s[34:35], v[12:13], v[2:3]
	;; [unrolled: 1-line block ×3, first 2 shown]
	v_mov_b32_e32 v2, s65
	v_mov_b32_e32 v3, s64
	v_cndmask_b32_e64 v1, 0, 1, vcc
	v_cmp_ne_u64_e32 vcc, v[70:71], v[72:73]
	v_cmp_ne_u64_e64 s[4:5], v[72:73], v[66:67]
	v_cmp_ne_u64_e64 s[6:7], v[66:67], v[68:69]
	v_cndmask_b32_e64 v102, 0, 1, s[8:9]
	v_cmp_ne_u64_e64 s[10:11], v[54:55], v[56:57]
	v_cmp_ne_u64_e64 s[12:13], v[56:57], v[46:47]
	;; [unrolled: 1-line block ×11, first 2 shown]
	s_waitcnt lgkmcnt(7)
	v_cndmask_b32_e64 v55, v61, v2, s[8:9]
	v_cndmask_b32_e64 v54, v60, v3, s[8:9]
	v_cmp_ne_u64_e64 s[8:9], v[4:5], v[78:79]
	v_cndmask_b32_e64 v98, 0, 1, vcc
	v_cndmask_b32_e64 v99, 0, 1, s[4:5]
	v_cndmask_b32_e64 v100, 0, 1, s[6:7]
	;; [unrolled: 1-line block ×15, first 2 shown]
	v_cndmask_b32_e32 v39, v63, v2, vcc
	v_cndmask_b32_e32 v38, v62, v3, vcc
	v_cndmask_b32_e64 v47, v65, v2, s[4:5]
	v_cndmask_b32_e64 v46, v64, v3, s[4:5]
	v_cndmask_b32_e64 v49, v59, v2, s[6:7]
	v_cndmask_b32_e64 v48, v58, v3, s[6:7]
	s_waitcnt lgkmcnt(6)
	v_cndmask_b32_e64 v51, v51, v2, s[10:11]
	v_cndmask_b32_e64 v50, v50, v3, s[10:11]
	v_cndmask_b32_e64 v53, v53, v2, s[12:13]
	v_cndmask_b32_e64 v52, v52, v3, s[12:13]
	s_waitcnt lgkmcnt(5)
	;; [unrolled: 5-line block ×7, first 2 shown]
	v_cndmask_b32_e64 v43, v7, v2, s[36:37]
	v_cndmask_b32_e64 v42, v6, v3, s[36:37]
	;; [unrolled: 1-line block ×4, first 2 shown]
	s_mov_b64 s[10:11], -1
                                        ; implicit-def: $sgpr68
                                        ; implicit-def: $sgpr6_sgpr7
.LBB455_128:
	v_pk_mov_b32 v[40:41], s[6:7], s[6:7] op_sel:[0,1]
	v_mov_b32_e32 v116, s68
	s_and_saveexec_b64 s[4:5], s[10:11]
; %bb.129:
	v_cndmask_b32_e64 v116, 0, 1, s[8:9]
	v_pk_mov_b32 v[40:41], v[80:81], v[80:81] op_sel:[0,1]
; %bb.130:
	s_or_b64 exec, exec, s[4:5]
	v_or_b32_e32 v2, v116, v101
	s_cmp_lg_u32 s51, 0
	v_or_b32_e32 v118, v2, v114
	v_mbcnt_lo_u32_b32 v117, -1, 0
	s_waitcnt lgkmcnt(0)
	; wave barrier
	s_waitcnt lgkmcnt(0)
	s_cbranch_scc0 .LBB455_189
; %bb.131:
	v_mov_b32_e32 v2, 0
	v_cmp_eq_u16_sdwa s[38:39], v98, v2 src0_sel:BYTE_0 src1_sel:DWORD
	v_cndmask_b32_e64 v4, 0, v76, s[38:39]
	v_cndmask_b32_e64 v3, 0, v77, s[38:39]
	v_add_co_u32_e32 v4, vcc, v4, v38
	v_cmp_eq_u16_sdwa s[36:37], v99, v2 src0_sel:BYTE_0 src1_sel:DWORD
	v_addc_co_u32_e32 v3, vcc, v3, v39, vcc
	v_cndmask_b32_e64 v4, 0, v4, s[36:37]
	v_cndmask_b32_e64 v3, 0, v3, s[36:37]
	v_add_co_u32_e32 v4, vcc, v4, v46
	v_cmp_eq_u16_sdwa s[34:35], v100, v2 src0_sel:BYTE_0 src1_sel:DWORD
	v_addc_co_u32_e32 v3, vcc, v3, v47, vcc
	;; [unrolled: 5-line block ×16, first 2 shown]
	v_cndmask_b32_e64 v4, 0, v4, s[4:5]
	v_cndmask_b32_e64 v3, 0, v3, s[4:5]
	v_add_co_u32_e32 v4, vcc, v4, v42
	v_addc_co_u32_e32 v3, vcc, v3, v43, vcc
	v_cmp_eq_u16_sdwa vcc, v116, v2 src0_sel:BYTE_0 src1_sel:DWORD
	v_cndmask_b32_e32 v2, 0, v4, vcc
	v_or_b32_e32 v4, v118, v113
	v_or_b32_e32 v4, v4, v112
	;; [unrolled: 1-line block ×15, first 2 shown]
	v_cndmask_b32_e32 v3, 0, v3, vcc
	v_add_co_u32_e32 v2, vcc, v2, v40
	v_or_b32_e32 v4, v4, v1
	v_mbcnt_hi_u32_b32 v5, -1, v117
	v_addc_co_u32_e32 v3, vcc, v3, v41, vcc
	v_and_b32_e32 v4, 1, v4
	v_and_b32_e32 v7, 15, v5
	v_cmp_eq_u32_e32 vcc, 1, v4
	v_mov_b32_dpp v9, v2 row_shr:1 row_mask:0xf bank_mask:0xf
	v_mov_b32_dpp v10, v3 row_shr:1 row_mask:0xf bank_mask:0xf
	v_mov_b32_dpp v8, v4 row_shr:1 row_mask:0xf bank_mask:0xf
	v_cmp_ne_u32_e64 s[40:41], 0, v7
	v_mov_b32_e32 v6, v4
	s_and_saveexec_b64 s[42:43], s[40:41]
; %bb.132:
	v_cndmask_b32_e64 v9, v9, 0, vcc
	v_cndmask_b32_e64 v6, v10, 0, vcc
	v_add_co_u32_e32 v2, vcc, v9, v2
	v_addc_co_u32_e32 v3, vcc, v6, v3, vcc
	v_and_b32_e32 v6, 1, v8
	v_or_b32_e32 v4, v6, v4
	v_and_b32_e32 v6, 0xffff, v4
; %bb.133:
	s_or_b64 exec, exec, s[42:43]
	v_mov_b32_dpp v9, v2 row_shr:2 row_mask:0xf bank_mask:0xf
	v_mov_b32_dpp v10, v3 row_shr:2 row_mask:0xf bank_mask:0xf
	v_mov_b32_dpp v8, v6 row_shr:2 row_mask:0xf bank_mask:0xf
	v_cmp_lt_u32_e32 vcc, 1, v7
	s_and_saveexec_b64 s[42:43], vcc
	s_cbranch_execz .LBB455_135
; %bb.134:
	v_cmp_eq_u16_e32 vcc, 0, v4
	v_cndmask_b32_e32 v9, 0, v9, vcc
	v_cndmask_b32_e32 v6, 0, v10, vcc
	v_add_co_u32_e32 v2, vcc, v9, v2
	v_addc_co_u32_e32 v3, vcc, v6, v3, vcc
	v_and_b32_e32 v4, 1, v4
	v_cmp_eq_u32_e32 vcc, 1, v4
	v_and_b32_e32 v4, 1, v8
	v_cmp_eq_u32_e64 s[40:41], 1, v4
	s_or_b64 s[40:41], vcc, s[40:41]
	v_cndmask_b32_e64 v4, 0, 1, s[40:41]
	v_cndmask_b32_e64 v6, 0, 1, s[40:41]
.LBB455_135:
	s_or_b64 exec, exec, s[42:43]
	v_mov_b32_dpp v9, v2 row_shr:4 row_mask:0xf bank_mask:0xf
	v_mov_b32_dpp v10, v3 row_shr:4 row_mask:0xf bank_mask:0xf
	v_mov_b32_dpp v8, v6 row_shr:4 row_mask:0xf bank_mask:0xf
	v_cmp_lt_u32_e32 vcc, 3, v7
	s_and_saveexec_b64 s[42:43], vcc
	s_cbranch_execz .LBB455_137
; %bb.136:
	v_cmp_eq_u16_e32 vcc, 0, v4
	v_cndmask_b32_e32 v9, 0, v9, vcc
	v_cndmask_b32_e32 v6, 0, v10, vcc
	v_add_co_u32_e32 v2, vcc, v9, v2
	v_addc_co_u32_e32 v3, vcc, v6, v3, vcc
	v_and_b32_e32 v4, 1, v4
	v_cmp_eq_u32_e32 vcc, 1, v4
	v_and_b32_e32 v4, 1, v8
	v_cmp_eq_u32_e64 s[40:41], 1, v4
	s_or_b64 s[40:41], vcc, s[40:41]
	v_cndmask_b32_e64 v4, 0, 1, s[40:41]
	v_cndmask_b32_e64 v6, 0, 1, s[40:41]
.LBB455_137:
	;; [unrolled: 21-line block ×3, first 2 shown]
	s_or_b64 exec, exec, s[42:43]
	v_and_b32_e32 v10, 16, v5
	v_mov_b32_dpp v8, v2 row_bcast:15 row_mask:0xf bank_mask:0xf
	v_mov_b32_dpp v9, v3 row_bcast:15 row_mask:0xf bank_mask:0xf
	;; [unrolled: 1-line block ×3, first 2 shown]
	v_cmp_ne_u32_e32 vcc, 0, v10
	s_and_saveexec_b64 s[42:43], vcc
	s_cbranch_execz .LBB455_141
; %bb.140:
	v_cmp_eq_u16_e32 vcc, 0, v4
	v_cndmask_b32_e32 v8, 0, v8, vcc
	v_cndmask_b32_e32 v6, 0, v9, vcc
	v_add_co_u32_e32 v2, vcc, v8, v2
	v_addc_co_u32_e32 v3, vcc, v6, v3, vcc
	v_and_b32_e32 v4, 1, v4
	v_cmp_eq_u32_e32 vcc, 1, v4
	v_and_b32_e32 v4, 1, v7
	v_cmp_eq_u32_e64 s[40:41], 1, v4
	s_or_b64 s[40:41], vcc, s[40:41]
	v_cndmask_b32_e64 v4, 0, 1, s[40:41]
	v_cndmask_b32_e64 v6, 0, 1, s[40:41]
.LBB455_141:
	s_or_b64 exec, exec, s[42:43]
	v_mov_b32_dpp v7, v2 row_bcast:31 row_mask:0xf bank_mask:0xf
	v_mov_b32_dpp v8, v3 row_bcast:31 row_mask:0xf bank_mask:0xf
	;; [unrolled: 1-line block ×3, first 2 shown]
	v_cmp_lt_u32_e32 vcc, 31, v5
	s_and_saveexec_b64 s[42:43], vcc
; %bb.142:
	v_cmp_eq_u16_e32 vcc, 0, v4
	v_cndmask_b32_e32 v7, 0, v7, vcc
	v_cndmask_b32_e32 v8, 0, v8, vcc
	v_add_co_u32_e32 v2, vcc, v7, v2
	v_addc_co_u32_e32 v3, vcc, v8, v3, vcc
	v_and_b32_e32 v4, 1, v4
	v_cmp_eq_u32_e32 vcc, 1, v4
	v_and_b32_e32 v4, 1, v6
	v_cmp_eq_u32_e64 s[40:41], 1, v4
	s_or_b64 s[40:41], vcc, s[40:41]
	v_cndmask_b32_e64 v4, 0, 1, s[40:41]
; %bb.143:
	s_or_b64 exec, exec, s[42:43]
	v_cmp_eq_u32_e32 vcc, 63, v0
	s_and_saveexec_b64 s[40:41], vcc
	s_cbranch_execz .LBB455_145
; %bb.144:
	v_mov_b32_e32 v6, 0
	ds_write_b64 v6, v[2:3]
	ds_write_b8 v6, v4 offset:8
.LBB455_145:
	s_or_b64 exec, exec, s[40:41]
	v_add_u32_e32 v6, -1, v5
	v_and_b32_e32 v7, 64, v5
	v_cmp_lt_i32_e32 vcc, v6, v7
	v_cndmask_b32_e32 v6, v6, v5, vcc
	v_lshlrev_b32_e32 v6, 2, v6
	ds_bpermute_b32 v12, v6, v2
	v_and_b32_e32 v2, 0xffff, v4
	ds_bpermute_b32 v13, v6, v3
	ds_bpermute_b32 v14, v6, v2
	v_cmp_gt_u32_e32 vcc, 64, v0
	s_waitcnt lgkmcnt(0)
	; wave barrier
	s_waitcnt lgkmcnt(0)
	s_and_saveexec_b64 s[52:53], vcc
	s_cbranch_execz .LBB455_188
; %bb.146:
	v_mov_b32_e32 v7, 0
	ds_read_b64 v[2:3], v7
	ds_read_u8 v15, v7 offset:8
	s_mov_b32 s57, 0
	v_cmp_eq_u32_e64 s[40:41], 0, v5
	s_and_saveexec_b64 s[42:43], s[40:41]
	s_cbranch_execz .LBB455_148
; %bb.147:
	s_add_i32 s56, s51, 64
	s_lshl_b64 s[60:61], s[56:57], 4
	s_add_u32 s60, s44, s60
	s_addc_u32 s61, s45, s61
	v_mov_b32_e32 v4, s56
	v_mov_b32_e32 v6, 1
	s_waitcnt lgkmcnt(1)
	global_store_dwordx2 v7, v[2:3], s[60:61]
	s_waitcnt lgkmcnt(0)
	global_store_byte v7, v15, s[60:61] offset:8
	s_waitcnt vmcnt(0)
	buffer_wbinvl1_vol
	global_store_byte v4, v6, s[48:49]
.LBB455_148:
	s_or_b64 exec, exec, s[42:43]
	v_xad_u32 v4, v5, -1, s51
	v_add_u32_e32 v6, 64, v4
	global_load_ubyte v16, v6, s[48:49] glc
	s_waitcnt vmcnt(0)
	v_cmp_eq_u16_e32 vcc, 0, v16
	s_and_saveexec_b64 s[42:43], vcc
	s_cbranch_execz .LBB455_152
; %bb.149:
	v_mov_b32_e32 v9, s49
	v_add_co_u32_e32 v8, vcc, s48, v6
	v_addc_co_u32_e32 v9, vcc, 0, v9, vcc
	s_mov_b64 s[56:57], 0
.LBB455_150:                            ; =>This Inner Loop Header: Depth=1
	global_load_ubyte v16, v[8:9], off glc
	s_waitcnt vmcnt(0)
	v_cmp_ne_u16_e32 vcc, 0, v16
	s_or_b64 s[56:57], vcc, s[56:57]
	s_andn2_b64 exec, exec, s[56:57]
	s_cbranch_execnz .LBB455_150
; %bb.151:
	s_or_b64 exec, exec, s[56:57]
.LBB455_152:
	s_or_b64 exec, exec, s[42:43]
	v_mov_b32_e32 v8, s47
	v_mov_b32_e32 v9, s45
	v_cmp_eq_u16_e32 vcc, 1, v16
	v_cndmask_b32_e32 v8, v8, v9, vcc
	v_mov_b32_e32 v9, s46
	v_mov_b32_e32 v10, s44
	v_cndmask_b32_e32 v9, v9, v10, vcc
	v_lshlrev_b64 v[6:7], 4, v[6:7]
	v_add_co_u32_e32 v6, vcc, v9, v6
	v_addc_co_u32_e32 v7, vcc, v8, v7, vcc
	s_waitcnt lgkmcnt(0)
	buffer_wbinvl1_vol
	global_load_dwordx2 v[10:11], v[6:7], off
	global_load_ubyte v31, v[6:7], off offset:8
	v_cmp_eq_u16_e32 vcc, 2, v16
	v_lshlrev_b64 v[6:7], v5, -1
	v_and_b32_e32 v17, 63, v5
	v_and_b32_e32 v8, vcc_hi, v7
	v_and_b32_e32 v22, vcc_lo, v6
	v_cmp_ne_u32_e32 vcc, 63, v17
	v_addc_co_u32_e32 v9, vcc, 0, v5, vcc
	v_lshlrev_b32_e32 v18, 2, v9
	v_or_b32_e32 v8, 0x80000000, v8
	v_ffbl_b32_e32 v8, v8
	v_add_u32_e32 v8, 32, v8
	v_ffbl_b32_e32 v22, v22
	v_min_u32_e32 v8, v22, v8
	v_cmp_lt_u32_e32 vcc, v17, v8
	s_waitcnt vmcnt(1)
	ds_bpermute_b32 v20, v18, v10
	s_waitcnt vmcnt(0)
	v_and_b32_e32 v9, 1, v31
	ds_bpermute_b32 v21, v18, v11
	ds_bpermute_b32 v19, v18, v9
	s_and_saveexec_b64 s[42:43], vcc
	s_cbranch_execz .LBB455_154
; %bb.153:
	v_mov_b32_e32 v9, 0
	v_cmp_eq_u16_sdwa vcc, v31, v9 src0_sel:BYTE_0 src1_sel:DWORD
	s_waitcnt lgkmcnt(2)
	v_cndmask_b32_e32 v20, 0, v20, vcc
	s_waitcnt lgkmcnt(1)
	v_cndmask_b32_e32 v9, 0, v21, vcc
	v_add_co_u32_e32 v10, vcc, v20, v10
	v_addc_co_u32_e32 v11, vcc, v9, v11, vcc
	s_waitcnt lgkmcnt(0)
	v_and_b32_e32 v9, 1, v19
	v_or_b32_e32 v31, v9, v31
	v_and_b32_e32 v9, 0xff, v31
.LBB455_154:
	s_or_b64 exec, exec, s[42:43]
	v_cmp_gt_u32_e32 vcc, 62, v17
	s_waitcnt lgkmcnt(0)
	v_cndmask_b32_e64 v19, 0, 1, vcc
	v_lshlrev_b32_e32 v19, 1, v19
	v_add_lshl_u32 v19, v19, v5, 2
	ds_bpermute_b32 v22, v19, v10
	ds_bpermute_b32 v23, v19, v11
	ds_bpermute_b32 v21, v19, v9
	v_add_u32_e32 v20, 2, v17
	v_cmp_le_u32_e32 vcc, v20, v8
	s_and_saveexec_b64 s[56:57], vcc
	s_cbranch_execz .LBB455_156
; %bb.155:
	v_mov_b32_e32 v9, 0
	v_cmp_eq_u16_sdwa vcc, v31, v9 src0_sel:BYTE_0 src1_sel:DWORD
	s_waitcnt lgkmcnt(2)
	v_cndmask_b32_e32 v22, 0, v22, vcc
	s_waitcnt lgkmcnt(1)
	v_cndmask_b32_e32 v9, 0, v23, vcc
	v_add_co_u32_e32 v10, vcc, v22, v10
	v_addc_co_u32_e32 v11, vcc, v9, v11, vcc
	v_and_b32_e32 v9, 1, v31
	v_cmp_eq_u32_e32 vcc, 1, v9
	s_waitcnt lgkmcnt(0)
	v_and_b32_e32 v9, 1, v21
	v_cmp_eq_u32_e64 s[42:43], 1, v9
	s_or_b64 s[42:43], vcc, s[42:43]
	v_cndmask_b32_e64 v31, 0, 1, s[42:43]
	v_cndmask_b32_e64 v9, 0, 1, s[42:43]
.LBB455_156:
	s_or_b64 exec, exec, s[56:57]
	v_cmp_gt_u32_e32 vcc, 60, v17
	s_waitcnt lgkmcnt(0)
	v_cndmask_b32_e64 v21, 0, 1, vcc
	v_lshlrev_b32_e32 v21, 2, v21
	v_add_lshl_u32 v21, v21, v5, 2
	ds_bpermute_b32 v24, v21, v10
	ds_bpermute_b32 v25, v21, v11
	ds_bpermute_b32 v23, v21, v9
	v_add_u32_e32 v22, 4, v17
	v_cmp_le_u32_e32 vcc, v22, v8
	s_and_saveexec_b64 s[56:57], vcc
	s_cbranch_execz .LBB455_158
; %bb.157:
	v_mov_b32_e32 v9, 0
	v_cmp_eq_u16_sdwa vcc, v31, v9 src0_sel:BYTE_0 src1_sel:DWORD
	s_waitcnt lgkmcnt(2)
	v_cndmask_b32_e32 v24, 0, v24, vcc
	s_waitcnt lgkmcnt(1)
	v_cndmask_b32_e32 v9, 0, v25, vcc
	v_add_co_u32_e32 v10, vcc, v24, v10
	v_addc_co_u32_e32 v11, vcc, v9, v11, vcc
	v_and_b32_e32 v9, 1, v31
	v_cmp_eq_u32_e32 vcc, 1, v9
	s_waitcnt lgkmcnt(0)
	v_and_b32_e32 v9, 1, v23
	v_cmp_eq_u32_e64 s[42:43], 1, v9
	s_or_b64 s[42:43], vcc, s[42:43]
	v_cndmask_b32_e64 v31, 0, 1, s[42:43]
	v_cndmask_b32_e64 v9, 0, 1, s[42:43]
.LBB455_158:
	s_or_b64 exec, exec, s[56:57]
	v_cmp_gt_u32_e32 vcc, 56, v17
	s_waitcnt lgkmcnt(0)
	v_cndmask_b32_e64 v23, 0, 1, vcc
	v_lshlrev_b32_e32 v23, 3, v23
	v_add_lshl_u32 v23, v23, v5, 2
	ds_bpermute_b32 v26, v23, v10
	ds_bpermute_b32 v27, v23, v11
	ds_bpermute_b32 v25, v23, v9
	v_add_u32_e32 v24, 8, v17
	v_cmp_le_u32_e32 vcc, v24, v8
	s_and_saveexec_b64 s[56:57], vcc
	s_cbranch_execz .LBB455_160
; %bb.159:
	v_mov_b32_e32 v9, 0
	v_cmp_eq_u16_sdwa vcc, v31, v9 src0_sel:BYTE_0 src1_sel:DWORD
	s_waitcnt lgkmcnt(2)
	v_cndmask_b32_e32 v26, 0, v26, vcc
	s_waitcnt lgkmcnt(1)
	v_cndmask_b32_e32 v9, 0, v27, vcc
	v_add_co_u32_e32 v10, vcc, v26, v10
	v_addc_co_u32_e32 v11, vcc, v9, v11, vcc
	v_and_b32_e32 v9, 1, v31
	v_cmp_eq_u32_e32 vcc, 1, v9
	s_waitcnt lgkmcnt(0)
	v_and_b32_e32 v9, 1, v25
	v_cmp_eq_u32_e64 s[42:43], 1, v9
	s_or_b64 s[42:43], vcc, s[42:43]
	v_cndmask_b32_e64 v31, 0, 1, s[42:43]
	v_cndmask_b32_e64 v9, 0, 1, s[42:43]
.LBB455_160:
	s_or_b64 exec, exec, s[56:57]
	v_cmp_gt_u32_e32 vcc, 48, v17
	s_waitcnt lgkmcnt(0)
	v_cndmask_b32_e64 v25, 0, 1, vcc
	v_lshlrev_b32_e32 v25, 4, v25
	v_add_lshl_u32 v25, v25, v5, 2
	ds_bpermute_b32 v28, v25, v10
	ds_bpermute_b32 v29, v25, v11
	ds_bpermute_b32 v27, v25, v9
	v_add_u32_e32 v26, 16, v17
	v_cmp_le_u32_e32 vcc, v26, v8
	s_and_saveexec_b64 s[56:57], vcc
	s_cbranch_execz .LBB455_162
; %bb.161:
	v_mov_b32_e32 v9, 0
	v_cmp_eq_u16_sdwa vcc, v31, v9 src0_sel:BYTE_0 src1_sel:DWORD
	s_waitcnt lgkmcnt(2)
	v_cndmask_b32_e32 v28, 0, v28, vcc
	s_waitcnt lgkmcnt(1)
	v_cndmask_b32_e32 v9, 0, v29, vcc
	v_add_co_u32_e32 v10, vcc, v28, v10
	v_addc_co_u32_e32 v11, vcc, v9, v11, vcc
	v_and_b32_e32 v9, 1, v31
	v_cmp_eq_u32_e32 vcc, 1, v9
	s_waitcnt lgkmcnt(0)
	v_and_b32_e32 v9, 1, v27
	v_cmp_eq_u32_e64 s[42:43], 1, v9
	s_or_b64 s[42:43], vcc, s[42:43]
	v_cndmask_b32_e64 v31, 0, 1, s[42:43]
	v_cndmask_b32_e64 v9, 0, 1, s[42:43]
.LBB455_162:
	s_or_b64 exec, exec, s[56:57]
	v_cmp_gt_u32_e32 vcc, 32, v17
	s_waitcnt lgkmcnt(0)
	v_cndmask_b32_e64 v27, 0, 1, vcc
	v_lshlrev_b32_e32 v27, 5, v27
	v_add_lshl_u32 v28, v27, v5, 2
	ds_bpermute_b32 v27, v28, v10
	ds_bpermute_b32 v30, v28, v11
	;; [unrolled: 1-line block ×3, first 2 shown]
	v_add_u32_e32 v29, 32, v17
	v_cmp_le_u32_e32 vcc, v29, v8
	s_and_saveexec_b64 s[56:57], vcc
	s_cbranch_execz .LBB455_164
; %bb.163:
	v_mov_b32_e32 v8, 0
	v_cmp_eq_u16_sdwa vcc, v31, v8 src0_sel:BYTE_0 src1_sel:DWORD
	s_waitcnt lgkmcnt(2)
	v_cndmask_b32_e32 v9, 0, v27, vcc
	s_waitcnt lgkmcnt(1)
	v_cndmask_b32_e32 v8, 0, v30, vcc
	v_add_co_u32_e32 v10, vcc, v9, v10
	v_addc_co_u32_e32 v11, vcc, v8, v11, vcc
	v_and_b32_e32 v8, 1, v31
	s_waitcnt lgkmcnt(0)
	v_and_b32_e32 v5, 1, v5
	v_cmp_eq_u32_e32 vcc, 1, v8
	v_cmp_eq_u32_e64 s[42:43], 1, v5
	s_or_b64 s[42:43], vcc, s[42:43]
	v_cndmask_b32_e64 v31, 0, 1, s[42:43]
.LBB455_164:
	s_or_b64 exec, exec, s[56:57]
	s_waitcnt lgkmcnt(0)
	v_mov_b32_e32 v5, 0
	v_mov_b32_e32 v30, 2
	s_branch .LBB455_166
.LBB455_165:                            ;   in Loop: Header=BB455_166 Depth=1
	s_or_b64 exec, exec, s[60:61]
	v_cmp_eq_u16_sdwa vcc, v27, v5 src0_sel:BYTE_0 src1_sel:DWORD
	v_cndmask_b32_e32 v10, 0, v10, vcc
	v_cndmask_b32_e32 v11, 0, v11, vcc
	v_add_co_u32_e32 v10, vcc, v10, v8
	v_addc_co_u32_e32 v11, vcc, v11, v9, vcc
	v_and_b32_e32 v31, 1, v27
	v_cmp_eq_u32_e32 vcc, 1, v31
	s_or_b64 s[42:43], vcc, s[56:57]
	v_subrev_u32_e32 v4, 64, v4
	v_cndmask_b32_e64 v31, 0, 1, s[42:43]
.LBB455_166:                            ; =>This Loop Header: Depth=1
                                        ;     Child Loop BB455_169 Depth 2
	v_cmp_ne_u16_sdwa s[42:43], v16, v30 src0_sel:BYTE_0 src1_sel:DWORD
	v_cndmask_b32_e64 v8, 0, 1, s[42:43]
	;;#ASMSTART
	;;#ASMEND
	v_cmp_ne_u32_e32 vcc, 0, v8
	v_mov_b32_e32 v27, v31
	s_cmp_lg_u64 vcc, exec
	v_pk_mov_b32 v[8:9], v[10:11], v[10:11] op_sel:[0,1]
	s_cbranch_scc1 .LBB455_183
; %bb.167:                              ;   in Loop: Header=BB455_166 Depth=1
	global_load_ubyte v16, v4, s[48:49] glc
	s_waitcnt vmcnt(0)
	v_cmp_eq_u16_e32 vcc, 0, v16
	s_and_saveexec_b64 s[42:43], vcc
	s_cbranch_execz .LBB455_171
; %bb.168:                              ;   in Loop: Header=BB455_166 Depth=1
	v_mov_b32_e32 v11, s49
	v_add_co_u32_e32 v10, vcc, s48, v4
	v_addc_co_u32_e32 v11, vcc, 0, v11, vcc
	s_mov_b64 s[56:57], 0
.LBB455_169:                            ;   Parent Loop BB455_166 Depth=1
                                        ; =>  This Inner Loop Header: Depth=2
	global_load_ubyte v16, v[10:11], off glc
	s_waitcnt vmcnt(0)
	v_cmp_ne_u16_e32 vcc, 0, v16
	s_or_b64 s[56:57], vcc, s[56:57]
	s_andn2_b64 exec, exec, s[56:57]
	s_cbranch_execnz .LBB455_169
; %bb.170:                              ;   in Loop: Header=BB455_166 Depth=1
	s_or_b64 exec, exec, s[56:57]
.LBB455_171:                            ;   in Loop: Header=BB455_166 Depth=1
	s_or_b64 exec, exec, s[42:43]
	v_mov_b32_e32 v10, s47
	v_mov_b32_e32 v11, s45
	v_cmp_eq_u16_e32 vcc, 1, v16
	v_cndmask_b32_e32 v31, v10, v11, vcc
	v_mov_b32_e32 v10, s46
	v_mov_b32_e32 v11, s44
	v_cndmask_b32_e32 v32, v10, v11, vcc
	v_lshlrev_b64 v[10:11], 4, v[4:5]
	v_add_co_u32_e32 v32, vcc, v32, v10
	s_waitcnt lgkmcnt(0)
	v_addc_co_u32_e32 v33, vcc, v31, v11, vcc
	buffer_wbinvl1_vol
	global_load_dwordx2 v[10:11], v[32:33], off
	global_load_ubyte v31, v[32:33], off offset:8
	v_cmp_eq_u16_e32 vcc, 2, v16
	v_and_b32_e32 v32, vcc_hi, v7
	v_or_b32_e32 v32, 0x80000000, v32
	v_and_b32_e32 v37, vcc_lo, v6
	v_ffbl_b32_e32 v32, v32
	v_add_u32_e32 v32, 32, v32
	v_ffbl_b32_e32 v37, v37
	v_min_u32_e32 v32, v37, v32
	v_cmp_lt_u32_e32 vcc, v17, v32
	s_waitcnt vmcnt(1)
	ds_bpermute_b32 v35, v18, v10
	s_waitcnt vmcnt(0)
	v_and_b32_e32 v33, 1, v31
	ds_bpermute_b32 v36, v18, v11
	ds_bpermute_b32 v34, v18, v33
	s_and_saveexec_b64 s[42:43], vcc
	s_cbranch_execz .LBB455_173
; %bb.172:                              ;   in Loop: Header=BB455_166 Depth=1
	v_cmp_eq_u16_sdwa vcc, v31, v5 src0_sel:BYTE_0 src1_sel:DWORD
	s_waitcnt lgkmcnt(2)
	v_cndmask_b32_e32 v35, 0, v35, vcc
	s_waitcnt lgkmcnt(1)
	v_cndmask_b32_e32 v33, 0, v36, vcc
	v_add_co_u32_e32 v10, vcc, v35, v10
	v_addc_co_u32_e32 v11, vcc, v33, v11, vcc
	s_waitcnt lgkmcnt(0)
	v_and_b32_e32 v33, 1, v34
	v_or_b32_e32 v31, v33, v31
	v_and_b32_e32 v33, 0xff, v31
.LBB455_173:                            ;   in Loop: Header=BB455_166 Depth=1
	s_or_b64 exec, exec, s[42:43]
	s_waitcnt lgkmcnt(2)
	ds_bpermute_b32 v35, v19, v10
	s_waitcnt lgkmcnt(2)
	ds_bpermute_b32 v36, v19, v11
	;; [unrolled: 2-line block ×3, first 2 shown]
	v_and_b32_e32 v37, 1, v31
	v_cmp_le_u32_e32 vcc, v20, v32
	v_cmp_eq_u32_e64 s[56:57], 1, v37
	s_and_saveexec_b64 s[42:43], vcc
	s_cbranch_execz .LBB455_175
; %bb.174:                              ;   in Loop: Header=BB455_166 Depth=1
	v_cmp_eq_u16_sdwa vcc, v31, v5 src0_sel:BYTE_0 src1_sel:DWORD
	s_waitcnt lgkmcnt(2)
	v_cndmask_b32_e32 v33, 0, v35, vcc
	s_waitcnt lgkmcnt(1)
	v_cndmask_b32_e32 v31, 0, v36, vcc
	v_add_co_u32_e32 v10, vcc, v33, v10
	v_addc_co_u32_e32 v11, vcc, v31, v11, vcc
	s_waitcnt lgkmcnt(0)
	v_and_b32_e32 v31, 1, v34
	v_cmp_eq_u32_e32 vcc, 1, v31
	s_or_b64 s[60:61], s[56:57], vcc
	v_cndmask_b32_e64 v31, 0, 1, s[60:61]
	v_cndmask_b32_e64 v33, 0, 1, s[60:61]
	s_andn2_b64 s[56:57], s[56:57], exec
	s_and_b64 s[60:61], s[60:61], exec
	s_or_b64 s[56:57], s[56:57], s[60:61]
.LBB455_175:                            ;   in Loop: Header=BB455_166 Depth=1
	s_or_b64 exec, exec, s[42:43]
	s_waitcnt lgkmcnt(2)
	ds_bpermute_b32 v35, v21, v10
	s_waitcnt lgkmcnt(2)
	ds_bpermute_b32 v36, v21, v11
	s_waitcnt lgkmcnt(2)
	ds_bpermute_b32 v34, v21, v33
	v_cmp_le_u32_e32 vcc, v22, v32
	s_and_saveexec_b64 s[60:61], vcc
	s_cbranch_execz .LBB455_177
; %bb.176:                              ;   in Loop: Header=BB455_166 Depth=1
	v_cmp_eq_u16_sdwa vcc, v31, v5 src0_sel:BYTE_0 src1_sel:DWORD
	s_waitcnt lgkmcnt(2)
	v_cndmask_b32_e32 v35, 0, v35, vcc
	s_waitcnt lgkmcnt(1)
	v_cndmask_b32_e32 v33, 0, v36, vcc
	v_add_co_u32_e32 v10, vcc, v35, v10
	v_addc_co_u32_e32 v11, vcc, v33, v11, vcc
	v_and_b32_e32 v31, 1, v31
	v_cmp_eq_u32_e32 vcc, 1, v31
	s_waitcnt lgkmcnt(0)
	v_and_b32_e32 v31, 1, v34
	v_cmp_eq_u32_e64 s[42:43], 1, v31
	s_or_b64 s[42:43], vcc, s[42:43]
	v_cndmask_b32_e64 v31, 0, 1, s[42:43]
	v_cndmask_b32_e64 v33, 0, 1, s[42:43]
	s_andn2_b64 s[56:57], s[56:57], exec
	s_and_b64 s[42:43], s[42:43], exec
	s_or_b64 s[56:57], s[56:57], s[42:43]
.LBB455_177:                            ;   in Loop: Header=BB455_166 Depth=1
	s_or_b64 exec, exec, s[60:61]
	s_waitcnt lgkmcnt(2)
	ds_bpermute_b32 v35, v23, v10
	s_waitcnt lgkmcnt(2)
	ds_bpermute_b32 v36, v23, v11
	s_waitcnt lgkmcnt(2)
	ds_bpermute_b32 v34, v23, v33
	v_cmp_le_u32_e32 vcc, v24, v32
	s_and_saveexec_b64 s[60:61], vcc
	s_cbranch_execz .LBB455_179
; %bb.178:                              ;   in Loop: Header=BB455_166 Depth=1
	v_cmp_eq_u16_sdwa vcc, v31, v5 src0_sel:BYTE_0 src1_sel:DWORD
	s_waitcnt lgkmcnt(2)
	v_cndmask_b32_e32 v35, 0, v35, vcc
	s_waitcnt lgkmcnt(1)
	v_cndmask_b32_e32 v33, 0, v36, vcc
	v_add_co_u32_e32 v10, vcc, v35, v10
	v_addc_co_u32_e32 v11, vcc, v33, v11, vcc
	v_and_b32_e32 v31, 1, v31
	v_cmp_eq_u32_e32 vcc, 1, v31
	s_waitcnt lgkmcnt(0)
	v_and_b32_e32 v31, 1, v34
	v_cmp_eq_u32_e64 s[42:43], 1, v31
	s_or_b64 s[42:43], vcc, s[42:43]
	v_cndmask_b32_e64 v31, 0, 1, s[42:43]
	v_cndmask_b32_e64 v33, 0, 1, s[42:43]
	s_andn2_b64 s[56:57], s[56:57], exec
	s_and_b64 s[42:43], s[42:43], exec
	s_or_b64 s[56:57], s[56:57], s[42:43]
.LBB455_179:                            ;   in Loop: Header=BB455_166 Depth=1
	;; [unrolled: 30-line block ×3, first 2 shown]
	s_or_b64 exec, exec, s[60:61]
	s_waitcnt lgkmcnt(0)
	ds_bpermute_b32 v34, v28, v10
	ds_bpermute_b32 v35, v28, v11
	;; [unrolled: 1-line block ×3, first 2 shown]
	v_cmp_le_u32_e32 vcc, v29, v32
	s_and_saveexec_b64 s[60:61], vcc
	s_cbranch_execz .LBB455_165
; %bb.182:                              ;   in Loop: Header=BB455_166 Depth=1
	v_cmp_eq_u16_sdwa vcc, v31, v5 src0_sel:BYTE_0 src1_sel:DWORD
	s_waitcnt lgkmcnt(2)
	v_cndmask_b32_e32 v34, 0, v34, vcc
	s_waitcnt lgkmcnt(1)
	v_cndmask_b32_e32 v32, 0, v35, vcc
	v_add_co_u32_e32 v10, vcc, v34, v10
	v_addc_co_u32_e32 v11, vcc, v32, v11, vcc
	v_and_b32_e32 v31, 1, v31
	v_cmp_eq_u32_e32 vcc, 1, v31
	s_waitcnt lgkmcnt(0)
	v_and_b32_e32 v31, 1, v33
	v_cmp_eq_u32_e64 s[42:43], 1, v31
	s_or_b64 s[42:43], vcc, s[42:43]
	s_andn2_b64 s[56:57], s[56:57], exec
	s_and_b64 s[42:43], s[42:43], exec
	s_or_b64 s[56:57], s[56:57], s[42:43]
	s_branch .LBB455_165
.LBB455_183:                            ;   in Loop: Header=BB455_166 Depth=1
                                        ; implicit-def: $vgpr31
                                        ; implicit-def: $vgpr10_vgpr11
                                        ; implicit-def: $vgpr16
	s_cbranch_execz .LBB455_166
; %bb.184:
	s_and_saveexec_b64 s[42:43], s[40:41]
	s_cbranch_execz .LBB455_186
; %bb.185:
	v_mov_b32_e32 v4, 0
	s_mov_b32 s41, 0
	v_cmp_eq_u16_sdwa vcc, v15, v4 src0_sel:BYTE_0 src1_sel:DWORD
	s_add_i32 s40, s51, 64
	v_cndmask_b32_e32 v6, 0, v8, vcc
	s_lshl_b64 s[44:45], s[40:41], 4
	v_cndmask_b32_e32 v5, 0, v9, vcc
	v_add_co_u32_e32 v2, vcc, v6, v2
	s_add_u32 s44, s46, s44
	v_addc_co_u32_e32 v3, vcc, v5, v3, vcc
	v_or_b32_e32 v5, v15, v27
	s_addc_u32 s45, s47, s45
	v_and_b32_e32 v5, 1, v5
	global_store_dwordx2 v4, v[2:3], s[44:45]
	global_store_byte v4, v5, s[44:45] offset:8
	v_mov_b32_e32 v2, s40
	v_mov_b32_e32 v3, 2
	s_waitcnt vmcnt(0) lgkmcnt(0)
	buffer_wbinvl1_vol
	global_store_byte v2, v3, s[48:49]
.LBB455_186:
	s_or_b64 exec, exec, s[42:43]
	s_and_b64 exec, exec, s[0:1]
	s_cbranch_execz .LBB455_188
; %bb.187:
	v_mov_b32_e32 v2, 0
	ds_write_b64 v2, v[8:9]
	ds_write_b8 v2, v27 offset:8
.LBB455_188:
	s_or_b64 exec, exec, s[52:53]
	v_mov_b32_e32 v4, 0
	s_waitcnt lgkmcnt(0)
	; wave barrier
	s_waitcnt lgkmcnt(0)
	ds_read_b64 v[2:3], v4
	v_cmp_eq_u32_sdwa vcc, v14, v4 src0_sel:BYTE_0 src1_sel:DWORD
	s_waitcnt lgkmcnt(0)
	v_cndmask_b32_e32 v6, 0, v2, vcc
	v_cndmask_b32_e32 v5, 0, v3, vcc
	v_add_co_u32_e32 v6, vcc, v12, v6
	v_addc_co_u32_e32 v5, vcc, v13, v5, vcc
	v_cndmask_b32_e64 v78, v6, v2, s[0:1]
	v_cmp_eq_u16_sdwa vcc, v1, v4 src0_sel:BYTE_0 src1_sel:DWORD
	v_cndmask_b32_e64 v79, v5, v3, s[0:1]
	v_cndmask_b32_e32 v3, 0, v78, vcc
	v_cndmask_b32_e32 v2, 0, v79, vcc
	v_add_co_u32_e32 v4, vcc, v3, v76
	v_addc_co_u32_e32 v5, vcc, v2, v77, vcc
	v_cndmask_b32_e64 v3, 0, v4, s[38:39]
	v_cndmask_b32_e64 v2, 0, v5, s[38:39]
	v_add_co_u32_e32 v6, vcc, v3, v38
	v_addc_co_u32_e32 v7, vcc, v2, v39, vcc
	v_cndmask_b32_e64 v3, 0, v6, s[36:37]
	v_cndmask_b32_e64 v2, 0, v7, s[36:37]
	;; [unrolled: 4-line block ×17, first 2 shown]
	s_branch .LBB455_209
.LBB455_189:
                                        ; implicit-def: $vgpr78_vgpr79
                                        ; implicit-def: $vgpr96_vgpr97
                                        ; implicit-def: $vgpr94_vgpr95
                                        ; implicit-def: $vgpr92_vgpr93
                                        ; implicit-def: $vgpr90_vgpr91
                                        ; implicit-def: $vgpr88_vgpr89
                                        ; implicit-def: $vgpr86_vgpr87
                                        ; implicit-def: $vgpr84_vgpr85
                                        ; implicit-def: $vgpr82_vgpr83
                                        ; implicit-def: $vgpr80_vgpr81
                                        ; implicit-def: $vgpr34_vgpr35_vgpr36_vgpr37
                                        ; implicit-def: $vgpr30_vgpr31_vgpr32_vgpr33
                                        ; implicit-def: $vgpr26_vgpr27_vgpr28_vgpr29
                                        ; implicit-def: $vgpr22_vgpr23_vgpr24_vgpr25
                                        ; implicit-def: $vgpr18_vgpr19_vgpr20_vgpr21
                                        ; implicit-def: $vgpr14_vgpr15_vgpr16_vgpr17
                                        ; implicit-def: $vgpr10_vgpr11_vgpr12_vgpr13
                                        ; implicit-def: $vgpr6_vgpr7_vgpr8_vgpr9
                                        ; implicit-def: $vgpr2_vgpr3_vgpr4_vgpr5
	s_cbranch_execz .LBB455_209
; %bb.190:
	s_cmp_lg_u64 s[66:67], 0
	s_cselect_b32 s5, s63, 0
	s_cselect_b32 s4, s62, 0
	s_cmp_eq_u64 s[4:5], 0
	v_pk_mov_b32 v[2:3], s[64:65], s[64:65] op_sel:[0,1]
	s_cbranch_scc1 .LBB455_192
; %bb.191:
	v_mov_b32_e32 v2, 0
	global_load_dwordx2 v[2:3], v2, s[4:5]
.LBB455_192:
	v_mov_b32_e32 v4, 0
	v_cmp_eq_u16_sdwa s[36:37], v98, v4 src0_sel:BYTE_0 src1_sel:DWORD
	v_cndmask_b32_e64 v6, 0, v76, s[36:37]
	v_cndmask_b32_e64 v5, 0, v77, s[36:37]
	v_add_co_u32_e32 v6, vcc, v6, v38
	v_cmp_eq_u16_sdwa s[34:35], v99, v4 src0_sel:BYTE_0 src1_sel:DWORD
	v_addc_co_u32_e32 v5, vcc, v5, v39, vcc
	v_cndmask_b32_e64 v6, 0, v6, s[34:35]
	v_cndmask_b32_e64 v5, 0, v5, s[34:35]
	v_add_co_u32_e32 v6, vcc, v6, v46
	v_cmp_eq_u16_sdwa s[30:31], v100, v4 src0_sel:BYTE_0 src1_sel:DWORD
	v_addc_co_u32_e32 v5, vcc, v5, v47, vcc
	;; [unrolled: 5-line block ×15, first 2 shown]
	v_cndmask_b32_e64 v6, 0, v6, s[4:5]
	v_cndmask_b32_e64 v5, 0, v5, s[4:5]
	v_add_co_u32_e32 v6, vcc, v6, v72
	v_addc_co_u32_e32 v5, vcc, v5, v73, vcc
	v_cmp_eq_u16_sdwa vcc, v101, v4 src0_sel:BYTE_0 src1_sel:DWORD
	v_cndmask_b32_e32 v6, 0, v6, vcc
	v_cndmask_b32_e32 v5, 0, v5, vcc
	v_add_co_u32_e64 v6, s[38:39], v6, v42
	v_addc_co_u32_e64 v5, s[38:39], v5, v43, s[38:39]
	v_cmp_eq_u16_sdwa s[38:39], v116, v4 src0_sel:BYTE_0 src1_sel:DWORD
	v_cndmask_b32_e64 v4, 0, v6, s[38:39]
	v_or_b32_e32 v6, v118, v113
	v_or_b32_e32 v6, v6, v112
	;; [unrolled: 1-line block ×16, first 2 shown]
	v_cndmask_b32_e64 v5, 0, v5, s[38:39]
	v_add_co_u32_e64 v4, s[38:39], v4, v40
	v_and_b32_e32 v7, 1, v6
	v_mbcnt_hi_u32_b32 v6, -1, v117
	v_addc_co_u32_e64 v5, s[38:39], v5, v41, s[38:39]
	v_and_b32_e32 v9, 15, v6
	v_cmp_eq_u32_e64 s[38:39], 1, v7
	v_mov_b32_dpp v11, v4 row_shr:1 row_mask:0xf bank_mask:0xf
	v_mov_b32_dpp v12, v5 row_shr:1 row_mask:0xf bank_mask:0xf
	;; [unrolled: 1-line block ×3, first 2 shown]
	v_cmp_ne_u32_e64 s[40:41], 0, v9
	v_mov_b32_e32 v8, v7
	s_and_saveexec_b64 s[42:43], s[40:41]
; %bb.193:
	v_cndmask_b32_e64 v11, v11, 0, s[38:39]
	v_cndmask_b32_e64 v8, v12, 0, s[38:39]
	v_add_co_u32_e64 v4, s[38:39], v11, v4
	v_addc_co_u32_e64 v5, s[38:39], v8, v5, s[38:39]
	v_and_b32_e32 v8, 1, v10
	v_or_b32_e32 v7, v8, v7
	v_and_b32_e32 v8, 0xffff, v7
; %bb.194:
	s_or_b64 exec, exec, s[42:43]
	v_mov_b32_dpp v11, v4 row_shr:2 row_mask:0xf bank_mask:0xf
	v_mov_b32_dpp v12, v5 row_shr:2 row_mask:0xf bank_mask:0xf
	v_mov_b32_dpp v10, v8 row_shr:2 row_mask:0xf bank_mask:0xf
	v_cmp_lt_u32_e64 s[38:39], 1, v9
	s_and_saveexec_b64 s[42:43], s[38:39]
	s_cbranch_execz .LBB455_196
; %bb.195:
	v_cmp_eq_u16_e64 s[38:39], 0, v7
	v_cndmask_b32_e64 v11, 0, v11, s[38:39]
	v_cndmask_b32_e64 v8, 0, v12, s[38:39]
	v_add_co_u32_e64 v4, s[38:39], v11, v4
	v_addc_co_u32_e64 v5, s[38:39], v8, v5, s[38:39]
	v_and_b32_e32 v7, 1, v7
	v_cmp_eq_u32_e64 s[38:39], 1, v7
	v_and_b32_e32 v7, 1, v10
	v_cmp_eq_u32_e64 s[40:41], 1, v7
	s_or_b64 s[38:39], s[38:39], s[40:41]
	v_cndmask_b32_e64 v7, 0, 1, s[38:39]
	v_cndmask_b32_e64 v8, 0, 1, s[38:39]
.LBB455_196:
	s_or_b64 exec, exec, s[42:43]
	v_mov_b32_dpp v11, v4 row_shr:4 row_mask:0xf bank_mask:0xf
	v_mov_b32_dpp v12, v5 row_shr:4 row_mask:0xf bank_mask:0xf
	v_mov_b32_dpp v10, v8 row_shr:4 row_mask:0xf bank_mask:0xf
	v_cmp_lt_u32_e64 s[38:39], 3, v9
	s_and_saveexec_b64 s[42:43], s[38:39]
	s_cbranch_execz .LBB455_198
; %bb.197:
	v_cmp_eq_u16_e64 s[38:39], 0, v7
	v_cndmask_b32_e64 v11, 0, v11, s[38:39]
	v_cndmask_b32_e64 v8, 0, v12, s[38:39]
	v_add_co_u32_e64 v4, s[38:39], v11, v4
	v_addc_co_u32_e64 v5, s[38:39], v8, v5, s[38:39]
	v_and_b32_e32 v7, 1, v7
	v_cmp_eq_u32_e64 s[38:39], 1, v7
	v_and_b32_e32 v7, 1, v10
	v_cmp_eq_u32_e64 s[40:41], 1, v7
	s_or_b64 s[38:39], s[38:39], s[40:41]
	v_cndmask_b32_e64 v7, 0, 1, s[38:39]
	v_cndmask_b32_e64 v8, 0, 1, s[38:39]
.LBB455_198:
	;; [unrolled: 21-line block ×3, first 2 shown]
	s_or_b64 exec, exec, s[42:43]
	v_and_b32_e32 v12, 16, v6
	v_mov_b32_dpp v10, v4 row_bcast:15 row_mask:0xf bank_mask:0xf
	v_mov_b32_dpp v11, v5 row_bcast:15 row_mask:0xf bank_mask:0xf
	;; [unrolled: 1-line block ×3, first 2 shown]
	v_cmp_ne_u32_e64 s[38:39], 0, v12
	s_and_saveexec_b64 s[42:43], s[38:39]
	s_cbranch_execz .LBB455_202
; %bb.201:
	v_cmp_eq_u16_e64 s[38:39], 0, v7
	v_cndmask_b32_e64 v10, 0, v10, s[38:39]
	v_cndmask_b32_e64 v8, 0, v11, s[38:39]
	v_add_co_u32_e64 v4, s[38:39], v10, v4
	v_addc_co_u32_e64 v5, s[38:39], v8, v5, s[38:39]
	v_and_b32_e32 v7, 1, v7
	v_cmp_eq_u32_e64 s[38:39], 1, v7
	v_and_b32_e32 v7, 1, v9
	v_cmp_eq_u32_e64 s[40:41], 1, v7
	s_or_b64 s[38:39], s[38:39], s[40:41]
	v_cndmask_b32_e64 v7, 0, 1, s[38:39]
	v_cndmask_b32_e64 v8, 0, 1, s[38:39]
.LBB455_202:
	s_or_b64 exec, exec, s[42:43]
	v_mov_b32_dpp v9, v4 row_bcast:31 row_mask:0xf bank_mask:0xf
	v_mov_b32_dpp v10, v5 row_bcast:31 row_mask:0xf bank_mask:0xf
	;; [unrolled: 1-line block ×3, first 2 shown]
	v_cmp_lt_u32_e64 s[38:39], 31, v6
	s_and_saveexec_b64 s[42:43], s[38:39]
; %bb.203:
	v_cmp_eq_u16_e64 s[38:39], 0, v7
	v_cndmask_b32_e64 v9, 0, v9, s[38:39]
	v_cndmask_b32_e64 v10, 0, v10, s[38:39]
	v_add_co_u32_e64 v4, s[38:39], v9, v4
	v_addc_co_u32_e64 v5, s[38:39], v10, v5, s[38:39]
	v_and_b32_e32 v7, 1, v7
	v_cmp_eq_u32_e64 s[38:39], 1, v7
	v_and_b32_e32 v7, 1, v8
	v_cmp_eq_u32_e64 s[40:41], 1, v7
	s_or_b64 s[38:39], s[38:39], s[40:41]
	v_cndmask_b32_e64 v7, 0, 1, s[38:39]
; %bb.204:
	s_or_b64 exec, exec, s[42:43]
	v_cmp_eq_u32_e64 s[38:39], 63, v0
	s_and_saveexec_b64 s[40:41], s[38:39]
	s_cbranch_execz .LBB455_206
; %bb.205:
	v_mov_b32_e32 v8, 0
	ds_write_b64 v8, v[4:5]
	ds_write_b8 v8, v7 offset:8
.LBB455_206:
	s_or_b64 exec, exec, s[40:41]
	v_cmp_eq_u16_e64 s[38:39], 0, v7
	s_waitcnt vmcnt(0)
	v_cndmask_b32_e64 v8, 0, v2, s[38:39]
	v_cndmask_b32_e64 v7, 0, v3, s[38:39]
	v_add_co_u32_e64 v4, s[38:39], v8, v4
	v_addc_co_u32_e64 v5, s[38:39], v7, v5, s[38:39]
	v_add_u32_e32 v7, -1, v6
	v_and_b32_e32 v8, 64, v6
	v_cmp_lt_i32_e64 s[38:39], v7, v8
	v_cndmask_b32_e64 v7, v7, v6, s[38:39]
	v_lshlrev_b32_e32 v7, 2, v7
	ds_bpermute_b32 v5, v7, v5
	ds_bpermute_b32 v4, v7, v4
	v_cmp_eq_u32_e64 s[38:39], 0, v6
	s_or_b64 s[38:39], s[0:1], s[38:39]
	v_mov_b32_e32 v8, 0
	s_waitcnt lgkmcnt(1)
	v_cndmask_b32_e64 v79, v5, v3, s[38:39]
	s_waitcnt lgkmcnt(0)
	v_cndmask_b32_e64 v78, v4, v2, s[38:39]
	v_cmp_eq_u16_sdwa s[38:39], v1, v8 src0_sel:BYTE_0 src1_sel:DWORD
	v_cndmask_b32_e64 v4, 0, v78, s[38:39]
	v_cndmask_b32_e64 v1, 0, v79, s[38:39]
	v_add_co_u32_e64 v4, s[38:39], v4, v76
	v_addc_co_u32_e64 v5, s[38:39], v1, v77, s[38:39]
	v_cndmask_b32_e64 v6, 0, v4, s[36:37]
	v_cndmask_b32_e64 v1, 0, v5, s[36:37]
	v_add_co_u32_e64 v6, s[36:37], v6, v38
	v_addc_co_u32_e64 v7, s[36:37], v1, v39, s[36:37]
	v_cndmask_b32_e64 v9, 0, v6, s[34:35]
	v_cndmask_b32_e64 v1, 0, v7, s[34:35]
	v_add_co_u32_e64 v80, s[34:35], v9, v46
	v_addc_co_u32_e64 v81, s[34:35], v1, v47, s[34:35]
	v_cndmask_b32_e64 v9, 0, v80, s[30:31]
	v_cndmask_b32_e64 v1, 0, v81, s[30:31]
	v_add_co_u32_e64 v10, s[30:31], v9, v48
	v_addc_co_u32_e64 v11, s[30:31], v1, v49, s[30:31]
	v_cndmask_b32_e64 v9, 0, v10, s[28:29]
	v_cndmask_b32_e64 v1, 0, v11, s[28:29]
	v_add_co_u32_e64 v82, s[28:29], v9, v54
	v_addc_co_u32_e64 v83, s[28:29], v1, v55, s[28:29]
	v_cndmask_b32_e64 v9, 0, v82, s[26:27]
	v_cndmask_b32_e64 v1, 0, v83, s[26:27]
	v_add_co_u32_e64 v14, s[26:27], v9, v50
	v_addc_co_u32_e64 v15, s[26:27], v1, v51, s[26:27]
	v_cndmask_b32_e64 v9, 0, v14, s[24:25]
	v_cndmask_b32_e64 v1, 0, v15, s[24:25]
	v_add_co_u32_e64 v84, s[24:25], v9, v52
	v_addc_co_u32_e64 v85, s[24:25], v1, v53, s[24:25]
	v_cndmask_b32_e64 v9, 0, v84, s[22:23]
	v_cndmask_b32_e64 v1, 0, v85, s[22:23]
	v_add_co_u32_e64 v18, s[22:23], v9, v56
	v_addc_co_u32_e64 v19, s[22:23], v1, v57, s[22:23]
	v_cndmask_b32_e64 v9, 0, v18, s[20:21]
	v_cndmask_b32_e64 v1, 0, v19, s[20:21]
	v_add_co_u32_e64 v86, s[20:21], v9, v44
	v_addc_co_u32_e64 v87, s[20:21], v1, v45, s[20:21]
	v_cndmask_b32_e64 v9, 0, v86, s[18:19]
	v_cndmask_b32_e64 v1, 0, v87, s[18:19]
	v_add_co_u32_e64 v22, s[18:19], v9, v58
	v_addc_co_u32_e64 v23, s[18:19], v1, v59, s[18:19]
	v_cndmask_b32_e64 v9, 0, v22, s[16:17]
	v_cndmask_b32_e64 v1, 0, v23, s[16:17]
	v_add_co_u32_e64 v88, s[16:17], v9, v60
	v_addc_co_u32_e64 v89, s[16:17], v1, v61, s[16:17]
	v_cndmask_b32_e64 v9, 0, v88, s[14:15]
	v_cndmask_b32_e64 v1, 0, v89, s[14:15]
	v_add_co_u32_e64 v26, s[14:15], v9, v62
	v_addc_co_u32_e64 v27, s[14:15], v1, v63, s[14:15]
	v_cndmask_b32_e64 v9, 0, v26, s[12:13]
	v_cndmask_b32_e64 v1, 0, v27, s[12:13]
	v_add_co_u32_e64 v90, s[12:13], v9, v64
	v_addc_co_u32_e64 v91, s[12:13], v1, v65, s[12:13]
	v_cndmask_b32_e64 v9, 0, v90, s[10:11]
	v_cndmask_b32_e64 v1, 0, v91, s[10:11]
	v_add_co_u32_e64 v30, s[10:11], v9, v66
	v_addc_co_u32_e64 v31, s[10:11], v1, v67, s[10:11]
	v_cndmask_b32_e64 v9, 0, v30, s[8:9]
	v_cndmask_b32_e64 v1, 0, v31, s[8:9]
	v_add_co_u32_e64 v92, s[8:9], v9, v68
	v_addc_co_u32_e64 v93, s[8:9], v1, v69, s[8:9]
	v_cndmask_b32_e64 v9, 0, v92, s[6:7]
	v_cndmask_b32_e64 v1, 0, v93, s[6:7]
	v_add_co_u32_e64 v34, s[6:7], v9, v70
	v_addc_co_u32_e64 v35, s[6:7], v1, v71, s[6:7]
	v_cndmask_b32_e64 v9, 0, v34, s[4:5]
	v_cndmask_b32_e64 v1, 0, v35, s[4:5]
	v_add_co_u32_e64 v94, s[4:5], v9, v72
	v_addc_co_u32_e64 v95, s[4:5], v1, v73, s[4:5]
	v_cndmask_b32_e32 v97, 0, v95, vcc
	v_cndmask_b32_e32 v96, 0, v94, vcc
	s_waitcnt lgkmcnt(0)
	; wave barrier
	s_and_saveexec_b64 s[4:5], s[0:1]
	s_cbranch_execz .LBB455_208
; %bb.207:
	ds_read_u8 v1, v8 offset:8
	ds_read_b64 v[12:13], v8
	v_pk_mov_b32 v[78:79], v[2:3], v[2:3] op_sel:[0,1]
	s_waitcnt lgkmcnt(1)
	v_cmp_eq_u16_e32 vcc, 0, v1
	v_cndmask_b32_e32 v16, 0, v2, vcc
	v_cndmask_b32_e32 v9, 0, v3, vcc
	s_waitcnt lgkmcnt(0)
	v_add_co_u32_e32 v12, vcc, v16, v12
	v_addc_co_u32_e32 v13, vcc, v9, v13, vcc
	global_store_dwordx2 v8, v[12:13], s[46:47] offset:1024
	global_store_byte v8, v1, s[46:47] offset:1032
	v_mov_b32_e32 v1, 2
	s_waitcnt vmcnt(0)
	buffer_wbinvl1_vol
	global_store_byte v8, v1, s[48:49] offset:64
.LBB455_208:
	s_or_b64 exec, exec, s[4:5]
.LBB455_209:
	s_add_u32 s0, s58, s54
	v_add_co_u32_e32 v2, vcc, v96, v42
	s_addc_u32 s1, s59, s55
	v_addc_co_u32_e32 v3, vcc, v97, v43, vcc
	v_mov_b32_e32 v1, s1
	v_add_co_u32_e32 v12, vcc, s0, v74
	v_addc_co_u32_e32 v13, vcc, v1, v75, vcc
	s_and_b64 vcc, exec, s[2:3]
	s_cbranch_vccz .LBB455_247
; %bb.210:
	s_movk_i32 s0, 0x98
	v_mul_i32_i24_e32 v17, 0xffffff70, v0
	v_mul_u32_u24_e32 v16, 0x98, v0
	v_mad_u32_u24 v8, v0, s0, v17
	s_waitcnt lgkmcnt(0)
	; wave barrier
	ds_write2_b64 v16, v[78:79], v[4:5] offset1:1
	ds_write2_b64 v16, v[6:7], v[80:81] offset0:2 offset1:3
	ds_write2_b64 v16, v[10:11], v[82:83] offset0:4 offset1:5
	;; [unrolled: 1-line block ×8, first 2 shown]
	ds_write_b64 v16, v[2:3] offset:144
	s_waitcnt lgkmcnt(0)
	; wave barrier
	s_waitcnt lgkmcnt(0)
	ds_read2st64_b64 v[68:71], v8 offset0:1 offset1:2
	ds_read2st64_b64 v[64:67], v8 offset0:3 offset1:4
	;; [unrolled: 1-line block ×9, first 2 shown]
	v_add_co_u32_e32 v8, vcc, v12, v115
	s_add_i32 s33, s33, s50
	v_addc_co_u32_e32 v9, vcc, 0, v13, vcc
	v_mov_b32_e32 v1, 0
	v_cmp_gt_u32_e32 vcc, s33, v0
	s_and_saveexec_b64 s[0:1], vcc
	s_cbranch_execz .LBB455_212
; %bb.211:
	v_add_u32_e32 v16, v16, v17
	ds_read_b64 v[16:17], v16
	s_waitcnt lgkmcnt(0)
	flat_store_dwordx2 v[8:9], v[16:17]
.LBB455_212:
	s_or_b64 exec, exec, s[0:1]
	v_or_b32_e32 v16, 64, v0
	v_cmp_gt_u32_e32 vcc, s33, v16
	s_and_saveexec_b64 s[0:1], vcc
	s_cbranch_execz .LBB455_214
; %bb.213:
	s_waitcnt lgkmcnt(0)
	flat_store_dwordx2 v[8:9], v[68:69] offset:512
.LBB455_214:
	s_or_b64 exec, exec, s[0:1]
	v_or_b32_e32 v16, 0x80, v0
	v_cmp_gt_u32_e32 vcc, s33, v16
	s_and_saveexec_b64 s[0:1], vcc
	s_cbranch_execz .LBB455_216
; %bb.215:
	s_waitcnt lgkmcnt(0)
	flat_store_dwordx2 v[8:9], v[70:71] offset:1024
.LBB455_216:
	;; [unrolled: 9-line block ×7, first 2 shown]
	s_or_b64 exec, exec, s[0:1]
	v_or_b32_e32 v16, 0x200, v0
	v_cmp_gt_u32_e32 vcc, s33, v16
	s_and_saveexec_b64 s[0:1], vcc
	s_cbranch_execz .LBB455_228
; %bb.227:
	v_add_co_u32_e32 v16, vcc, 0x1000, v8
	v_addc_co_u32_e32 v17, vcc, 0, v9, vcc
	s_waitcnt lgkmcnt(0)
	flat_store_dwordx2 v[16:17], v[58:59]
.LBB455_228:
	s_or_b64 exec, exec, s[0:1]
	v_or_b32_e32 v16, 0x240, v0
	v_cmp_gt_u32_e32 vcc, s33, v16
	s_and_saveexec_b64 s[0:1], vcc
	s_cbranch_execz .LBB455_230
; %bb.229:
	v_add_co_u32_e32 v16, vcc, 0x1000, v8
	v_addc_co_u32_e32 v17, vcc, 0, v9, vcc
	s_waitcnt lgkmcnt(0)
	flat_store_dwordx2 v[16:17], v[52:53] offset:512
.LBB455_230:
	s_or_b64 exec, exec, s[0:1]
	v_or_b32_e32 v16, 0x280, v0
	v_cmp_gt_u32_e32 vcc, s33, v16
	s_and_saveexec_b64 s[0:1], vcc
	s_cbranch_execz .LBB455_232
; %bb.231:
	v_add_co_u32_e32 v16, vcc, 0x1000, v8
	v_addc_co_u32_e32 v17, vcc, 0, v9, vcc
	s_waitcnt lgkmcnt(0)
	flat_store_dwordx2 v[16:17], v[54:55] offset:1024
.LBB455_232:
	;; [unrolled: 11-line block ×7, first 2 shown]
	s_or_b64 exec, exec, s[0:1]
	v_or_b32_e32 v16, 0x400, v0
	v_cmp_gt_u32_e32 vcc, s33, v16
	s_and_saveexec_b64 s[0:1], vcc
	s_cbranch_execz .LBB455_244
; %bb.243:
	v_add_co_u32_e32 v16, vcc, 0x2000, v8
	v_addc_co_u32_e32 v17, vcc, 0, v9, vcc
	s_waitcnt lgkmcnt(0)
	flat_store_dwordx2 v[16:17], v[42:43]
.LBB455_244:
	s_or_b64 exec, exec, s[0:1]
	v_or_b32_e32 v16, 0x440, v0
	v_cmp_gt_u32_e32 vcc, s33, v16
	s_and_saveexec_b64 s[0:1], vcc
	s_cbranch_execz .LBB455_246
; %bb.245:
	v_add_co_u32_e32 v8, vcc, 0x2000, v8
	v_addc_co_u32_e32 v9, vcc, 0, v9, vcc
	s_waitcnt lgkmcnt(0)
	flat_store_dwordx2 v[8:9], v[36:37] offset:512
.LBB455_246:
	s_or_b64 exec, exec, s[0:1]
	v_or_b32_e32 v8, 0x480, v0
	v_cmp_gt_u32_e64 s[0:1], s33, v8
	s_branch .LBB455_249
.LBB455_247:
	s_mov_b64 s[0:1], 0
                                        ; implicit-def: $vgpr38_vgpr39
	s_cbranch_execz .LBB455_249
; %bb.248:
	v_mul_u32_u24_e32 v1, 0x98, v0
	s_waitcnt lgkmcnt(0)
	; wave barrier
	s_waitcnt lgkmcnt(0)
	s_movk_i32 s2, 0x98
	ds_write2_b64 v1, v[78:79], v[4:5] offset1:1
	ds_write2_b64 v1, v[6:7], v[80:81] offset0:2 offset1:3
	ds_write2_b64 v1, v[10:11], v[82:83] offset0:4 offset1:5
	;; [unrolled: 1-line block ×8, first 2 shown]
	ds_write_b64 v1, v[2:3] offset:144
	v_mul_i32_i24_e32 v2, 0xffffff70, v0
	v_mad_u32_u24 v10, v0, s2, v2
	s_waitcnt lgkmcnt(0)
	; wave barrier
	s_waitcnt lgkmcnt(0)
	ds_read2st64_b64 v[2:5], v10 offset1:1
	ds_read2st64_b64 v[6:9], v10 offset0:2 offset1:3
	ds_read2st64_b64 v[14:17], v10 offset0:4 offset1:5
	;; [unrolled: 1-line block ×8, first 2 shown]
	ds_read_b64 v[38:39], v10 offset:9216
	v_add_co_u32_e32 v10, vcc, v12, v115
	v_addc_co_u32_e32 v11, vcc, 0, v13, vcc
	s_movk_i32 s2, 0x1000
	s_waitcnt lgkmcnt(0)
	flat_store_dwordx2 v[10:11], v[2:3]
	flat_store_dwordx2 v[10:11], v[4:5] offset:512
	flat_store_dwordx2 v[10:11], v[6:7] offset:1024
	;; [unrolled: 1-line block ×7, first 2 shown]
	v_add_co_u32_e32 v2, vcc, s2, v10
	v_addc_co_u32_e32 v3, vcc, 0, v11, vcc
	flat_store_dwordx2 v[2:3], v[22:23]
	flat_store_dwordx2 v[2:3], v[24:25] offset:512
	flat_store_dwordx2 v[2:3], v[26:27] offset:1024
	;; [unrolled: 1-line block ×7, first 2 shown]
	v_add_co_u32_e32 v2, vcc, 0x2000, v10
	v_mov_b32_e32 v1, 0
	v_addc_co_u32_e32 v3, vcc, 0, v11, vcc
	s_or_b64 s[0:1], s[0:1], exec
	flat_store_dwordx2 v[2:3], v[40:41]
	flat_store_dwordx2 v[2:3], v[42:43] offset:512
.LBB455_249:
	s_and_saveexec_b64 s[2:3], s[0:1]
	s_cbranch_execz .LBB455_251
; %bb.250:
	v_lshlrev_b64 v[0:1], 3, v[0:1]
	v_add_co_u32_e32 v0, vcc, v12, v0
	v_addc_co_u32_e32 v1, vcc, v13, v1, vcc
	v_add_co_u32_e32 v0, vcc, 0x2000, v0
	v_addc_co_u32_e32 v1, vcc, 0, v1, vcc
	s_waitcnt lgkmcnt(0)
	flat_store_dwordx2 v[0:1], v[38:39] offset:1024
	s_endpgm
.LBB455_251:
	s_endpgm
	.section	.rodata,"a",@progbits
	.p2align	6, 0x0
	.amdhsa_kernel _ZN7rocprim17ROCPRIM_400000_NS6detail17trampoline_kernelINS0_14default_configENS1_27scan_by_key_config_selectorIxxEEZZNS1_16scan_by_key_implILNS1_25lookback_scan_determinismE0ELb1ES3_N6thrust23THRUST_200600_302600_NS6detail15normal_iteratorINS9_10device_ptrIxEEEESE_SE_xNS9_4plusIvEENS9_8equal_toIxEExEE10hipError_tPvRmT2_T3_T4_T5_mT6_T7_P12ihipStream_tbENKUlT_T0_E_clISt17integral_constantIbLb0EESY_IbLb1EEEEDaSU_SV_EUlSU_E_NS1_11comp_targetILNS1_3genE4ELNS1_11target_archE910ELNS1_3gpuE8ELNS1_3repE0EEENS1_30default_config_static_selectorELNS0_4arch9wavefront6targetE1EEEvT1_
		.amdhsa_group_segment_fixed_size 10752
		.amdhsa_private_segment_fixed_size 0
		.amdhsa_kernarg_size 136
		.amdhsa_user_sgpr_count 6
		.amdhsa_user_sgpr_private_segment_buffer 1
		.amdhsa_user_sgpr_dispatch_ptr 0
		.amdhsa_user_sgpr_queue_ptr 0
		.amdhsa_user_sgpr_kernarg_segment_ptr 1
		.amdhsa_user_sgpr_dispatch_id 0
		.amdhsa_user_sgpr_flat_scratch_init 0
		.amdhsa_user_sgpr_kernarg_preload_length 0
		.amdhsa_user_sgpr_kernarg_preload_offset 0
		.amdhsa_user_sgpr_private_segment_size 0
		.amdhsa_uses_dynamic_stack 0
		.amdhsa_system_sgpr_private_segment_wavefront_offset 0
		.amdhsa_system_sgpr_workgroup_id_x 1
		.amdhsa_system_sgpr_workgroup_id_y 0
		.amdhsa_system_sgpr_workgroup_id_z 0
		.amdhsa_system_sgpr_workgroup_info 0
		.amdhsa_system_vgpr_workitem_id 0
		.amdhsa_next_free_vgpr 119
		.amdhsa_next_free_sgpr 69
		.amdhsa_accum_offset 120
		.amdhsa_reserve_vcc 1
		.amdhsa_reserve_flat_scratch 0
		.amdhsa_float_round_mode_32 0
		.amdhsa_float_round_mode_16_64 0
		.amdhsa_float_denorm_mode_32 3
		.amdhsa_float_denorm_mode_16_64 3
		.amdhsa_dx10_clamp 1
		.amdhsa_ieee_mode 1
		.amdhsa_fp16_overflow 0
		.amdhsa_tg_split 0
		.amdhsa_exception_fp_ieee_invalid_op 0
		.amdhsa_exception_fp_denorm_src 0
		.amdhsa_exception_fp_ieee_div_zero 0
		.amdhsa_exception_fp_ieee_overflow 0
		.amdhsa_exception_fp_ieee_underflow 0
		.amdhsa_exception_fp_ieee_inexact 0
		.amdhsa_exception_int_div_zero 0
	.end_amdhsa_kernel
	.section	.text._ZN7rocprim17ROCPRIM_400000_NS6detail17trampoline_kernelINS0_14default_configENS1_27scan_by_key_config_selectorIxxEEZZNS1_16scan_by_key_implILNS1_25lookback_scan_determinismE0ELb1ES3_N6thrust23THRUST_200600_302600_NS6detail15normal_iteratorINS9_10device_ptrIxEEEESE_SE_xNS9_4plusIvEENS9_8equal_toIxEExEE10hipError_tPvRmT2_T3_T4_T5_mT6_T7_P12ihipStream_tbENKUlT_T0_E_clISt17integral_constantIbLb0EESY_IbLb1EEEEDaSU_SV_EUlSU_E_NS1_11comp_targetILNS1_3genE4ELNS1_11target_archE910ELNS1_3gpuE8ELNS1_3repE0EEENS1_30default_config_static_selectorELNS0_4arch9wavefront6targetE1EEEvT1_,"axG",@progbits,_ZN7rocprim17ROCPRIM_400000_NS6detail17trampoline_kernelINS0_14default_configENS1_27scan_by_key_config_selectorIxxEEZZNS1_16scan_by_key_implILNS1_25lookback_scan_determinismE0ELb1ES3_N6thrust23THRUST_200600_302600_NS6detail15normal_iteratorINS9_10device_ptrIxEEEESE_SE_xNS9_4plusIvEENS9_8equal_toIxEExEE10hipError_tPvRmT2_T3_T4_T5_mT6_T7_P12ihipStream_tbENKUlT_T0_E_clISt17integral_constantIbLb0EESY_IbLb1EEEEDaSU_SV_EUlSU_E_NS1_11comp_targetILNS1_3genE4ELNS1_11target_archE910ELNS1_3gpuE8ELNS1_3repE0EEENS1_30default_config_static_selectorELNS0_4arch9wavefront6targetE1EEEvT1_,comdat
.Lfunc_end455:
	.size	_ZN7rocprim17ROCPRIM_400000_NS6detail17trampoline_kernelINS0_14default_configENS1_27scan_by_key_config_selectorIxxEEZZNS1_16scan_by_key_implILNS1_25lookback_scan_determinismE0ELb1ES3_N6thrust23THRUST_200600_302600_NS6detail15normal_iteratorINS9_10device_ptrIxEEEESE_SE_xNS9_4plusIvEENS9_8equal_toIxEExEE10hipError_tPvRmT2_T3_T4_T5_mT6_T7_P12ihipStream_tbENKUlT_T0_E_clISt17integral_constantIbLb0EESY_IbLb1EEEEDaSU_SV_EUlSU_E_NS1_11comp_targetILNS1_3genE4ELNS1_11target_archE910ELNS1_3gpuE8ELNS1_3repE0EEENS1_30default_config_static_selectorELNS0_4arch9wavefront6targetE1EEEvT1_, .Lfunc_end455-_ZN7rocprim17ROCPRIM_400000_NS6detail17trampoline_kernelINS0_14default_configENS1_27scan_by_key_config_selectorIxxEEZZNS1_16scan_by_key_implILNS1_25lookback_scan_determinismE0ELb1ES3_N6thrust23THRUST_200600_302600_NS6detail15normal_iteratorINS9_10device_ptrIxEEEESE_SE_xNS9_4plusIvEENS9_8equal_toIxEExEE10hipError_tPvRmT2_T3_T4_T5_mT6_T7_P12ihipStream_tbENKUlT_T0_E_clISt17integral_constantIbLb0EESY_IbLb1EEEEDaSU_SV_EUlSU_E_NS1_11comp_targetILNS1_3genE4ELNS1_11target_archE910ELNS1_3gpuE8ELNS1_3repE0EEENS1_30default_config_static_selectorELNS0_4arch9wavefront6targetE1EEEvT1_
                                        ; -- End function
	.section	.AMDGPU.csdata,"",@progbits
; Kernel info:
; codeLenInByte = 15516
; NumSgprs: 73
; NumVgprs: 119
; NumAgprs: 0
; TotalNumVgprs: 119
; ScratchSize: 0
; MemoryBound: 0
; FloatMode: 240
; IeeeMode: 1
; LDSByteSize: 10752 bytes/workgroup (compile time only)
; SGPRBlocks: 9
; VGPRBlocks: 14
; NumSGPRsForWavesPerEU: 73
; NumVGPRsForWavesPerEU: 119
; AccumOffset: 120
; Occupancy: 2
; WaveLimiterHint : 1
; COMPUTE_PGM_RSRC2:SCRATCH_EN: 0
; COMPUTE_PGM_RSRC2:USER_SGPR: 6
; COMPUTE_PGM_RSRC2:TRAP_HANDLER: 0
; COMPUTE_PGM_RSRC2:TGID_X_EN: 1
; COMPUTE_PGM_RSRC2:TGID_Y_EN: 0
; COMPUTE_PGM_RSRC2:TGID_Z_EN: 0
; COMPUTE_PGM_RSRC2:TIDIG_COMP_CNT: 0
; COMPUTE_PGM_RSRC3_GFX90A:ACCUM_OFFSET: 29
; COMPUTE_PGM_RSRC3_GFX90A:TG_SPLIT: 0
	.section	.text._ZN7rocprim17ROCPRIM_400000_NS6detail17trampoline_kernelINS0_14default_configENS1_27scan_by_key_config_selectorIxxEEZZNS1_16scan_by_key_implILNS1_25lookback_scan_determinismE0ELb1ES3_N6thrust23THRUST_200600_302600_NS6detail15normal_iteratorINS9_10device_ptrIxEEEESE_SE_xNS9_4plusIvEENS9_8equal_toIxEExEE10hipError_tPvRmT2_T3_T4_T5_mT6_T7_P12ihipStream_tbENKUlT_T0_E_clISt17integral_constantIbLb0EESY_IbLb1EEEEDaSU_SV_EUlSU_E_NS1_11comp_targetILNS1_3genE3ELNS1_11target_archE908ELNS1_3gpuE7ELNS1_3repE0EEENS1_30default_config_static_selectorELNS0_4arch9wavefront6targetE1EEEvT1_,"axG",@progbits,_ZN7rocprim17ROCPRIM_400000_NS6detail17trampoline_kernelINS0_14default_configENS1_27scan_by_key_config_selectorIxxEEZZNS1_16scan_by_key_implILNS1_25lookback_scan_determinismE0ELb1ES3_N6thrust23THRUST_200600_302600_NS6detail15normal_iteratorINS9_10device_ptrIxEEEESE_SE_xNS9_4plusIvEENS9_8equal_toIxEExEE10hipError_tPvRmT2_T3_T4_T5_mT6_T7_P12ihipStream_tbENKUlT_T0_E_clISt17integral_constantIbLb0EESY_IbLb1EEEEDaSU_SV_EUlSU_E_NS1_11comp_targetILNS1_3genE3ELNS1_11target_archE908ELNS1_3gpuE7ELNS1_3repE0EEENS1_30default_config_static_selectorELNS0_4arch9wavefront6targetE1EEEvT1_,comdat
	.protected	_ZN7rocprim17ROCPRIM_400000_NS6detail17trampoline_kernelINS0_14default_configENS1_27scan_by_key_config_selectorIxxEEZZNS1_16scan_by_key_implILNS1_25lookback_scan_determinismE0ELb1ES3_N6thrust23THRUST_200600_302600_NS6detail15normal_iteratorINS9_10device_ptrIxEEEESE_SE_xNS9_4plusIvEENS9_8equal_toIxEExEE10hipError_tPvRmT2_T3_T4_T5_mT6_T7_P12ihipStream_tbENKUlT_T0_E_clISt17integral_constantIbLb0EESY_IbLb1EEEEDaSU_SV_EUlSU_E_NS1_11comp_targetILNS1_3genE3ELNS1_11target_archE908ELNS1_3gpuE7ELNS1_3repE0EEENS1_30default_config_static_selectorELNS0_4arch9wavefront6targetE1EEEvT1_ ; -- Begin function _ZN7rocprim17ROCPRIM_400000_NS6detail17trampoline_kernelINS0_14default_configENS1_27scan_by_key_config_selectorIxxEEZZNS1_16scan_by_key_implILNS1_25lookback_scan_determinismE0ELb1ES3_N6thrust23THRUST_200600_302600_NS6detail15normal_iteratorINS9_10device_ptrIxEEEESE_SE_xNS9_4plusIvEENS9_8equal_toIxEExEE10hipError_tPvRmT2_T3_T4_T5_mT6_T7_P12ihipStream_tbENKUlT_T0_E_clISt17integral_constantIbLb0EESY_IbLb1EEEEDaSU_SV_EUlSU_E_NS1_11comp_targetILNS1_3genE3ELNS1_11target_archE908ELNS1_3gpuE7ELNS1_3repE0EEENS1_30default_config_static_selectorELNS0_4arch9wavefront6targetE1EEEvT1_
	.globl	_ZN7rocprim17ROCPRIM_400000_NS6detail17trampoline_kernelINS0_14default_configENS1_27scan_by_key_config_selectorIxxEEZZNS1_16scan_by_key_implILNS1_25lookback_scan_determinismE0ELb1ES3_N6thrust23THRUST_200600_302600_NS6detail15normal_iteratorINS9_10device_ptrIxEEEESE_SE_xNS9_4plusIvEENS9_8equal_toIxEExEE10hipError_tPvRmT2_T3_T4_T5_mT6_T7_P12ihipStream_tbENKUlT_T0_E_clISt17integral_constantIbLb0EESY_IbLb1EEEEDaSU_SV_EUlSU_E_NS1_11comp_targetILNS1_3genE3ELNS1_11target_archE908ELNS1_3gpuE7ELNS1_3repE0EEENS1_30default_config_static_selectorELNS0_4arch9wavefront6targetE1EEEvT1_
	.p2align	8
	.type	_ZN7rocprim17ROCPRIM_400000_NS6detail17trampoline_kernelINS0_14default_configENS1_27scan_by_key_config_selectorIxxEEZZNS1_16scan_by_key_implILNS1_25lookback_scan_determinismE0ELb1ES3_N6thrust23THRUST_200600_302600_NS6detail15normal_iteratorINS9_10device_ptrIxEEEESE_SE_xNS9_4plusIvEENS9_8equal_toIxEExEE10hipError_tPvRmT2_T3_T4_T5_mT6_T7_P12ihipStream_tbENKUlT_T0_E_clISt17integral_constantIbLb0EESY_IbLb1EEEEDaSU_SV_EUlSU_E_NS1_11comp_targetILNS1_3genE3ELNS1_11target_archE908ELNS1_3gpuE7ELNS1_3repE0EEENS1_30default_config_static_selectorELNS0_4arch9wavefront6targetE1EEEvT1_,@function
_ZN7rocprim17ROCPRIM_400000_NS6detail17trampoline_kernelINS0_14default_configENS1_27scan_by_key_config_selectorIxxEEZZNS1_16scan_by_key_implILNS1_25lookback_scan_determinismE0ELb1ES3_N6thrust23THRUST_200600_302600_NS6detail15normal_iteratorINS9_10device_ptrIxEEEESE_SE_xNS9_4plusIvEENS9_8equal_toIxEExEE10hipError_tPvRmT2_T3_T4_T5_mT6_T7_P12ihipStream_tbENKUlT_T0_E_clISt17integral_constantIbLb0EESY_IbLb1EEEEDaSU_SV_EUlSU_E_NS1_11comp_targetILNS1_3genE3ELNS1_11target_archE908ELNS1_3gpuE7ELNS1_3repE0EEENS1_30default_config_static_selectorELNS0_4arch9wavefront6targetE1EEEvT1_: ; @_ZN7rocprim17ROCPRIM_400000_NS6detail17trampoline_kernelINS0_14default_configENS1_27scan_by_key_config_selectorIxxEEZZNS1_16scan_by_key_implILNS1_25lookback_scan_determinismE0ELb1ES3_N6thrust23THRUST_200600_302600_NS6detail15normal_iteratorINS9_10device_ptrIxEEEESE_SE_xNS9_4plusIvEENS9_8equal_toIxEExEE10hipError_tPvRmT2_T3_T4_T5_mT6_T7_P12ihipStream_tbENKUlT_T0_E_clISt17integral_constantIbLb0EESY_IbLb1EEEEDaSU_SV_EUlSU_E_NS1_11comp_targetILNS1_3genE3ELNS1_11target_archE908ELNS1_3gpuE7ELNS1_3repE0EEENS1_30default_config_static_selectorELNS0_4arch9wavefront6targetE1EEEvT1_
; %bb.0:
	.section	.rodata,"a",@progbits
	.p2align	6, 0x0
	.amdhsa_kernel _ZN7rocprim17ROCPRIM_400000_NS6detail17trampoline_kernelINS0_14default_configENS1_27scan_by_key_config_selectorIxxEEZZNS1_16scan_by_key_implILNS1_25lookback_scan_determinismE0ELb1ES3_N6thrust23THRUST_200600_302600_NS6detail15normal_iteratorINS9_10device_ptrIxEEEESE_SE_xNS9_4plusIvEENS9_8equal_toIxEExEE10hipError_tPvRmT2_T3_T4_T5_mT6_T7_P12ihipStream_tbENKUlT_T0_E_clISt17integral_constantIbLb0EESY_IbLb1EEEEDaSU_SV_EUlSU_E_NS1_11comp_targetILNS1_3genE3ELNS1_11target_archE908ELNS1_3gpuE7ELNS1_3repE0EEENS1_30default_config_static_selectorELNS0_4arch9wavefront6targetE1EEEvT1_
		.amdhsa_group_segment_fixed_size 0
		.amdhsa_private_segment_fixed_size 0
		.amdhsa_kernarg_size 136
		.amdhsa_user_sgpr_count 6
		.amdhsa_user_sgpr_private_segment_buffer 1
		.amdhsa_user_sgpr_dispatch_ptr 0
		.amdhsa_user_sgpr_queue_ptr 0
		.amdhsa_user_sgpr_kernarg_segment_ptr 1
		.amdhsa_user_sgpr_dispatch_id 0
		.amdhsa_user_sgpr_flat_scratch_init 0
		.amdhsa_user_sgpr_kernarg_preload_length 0
		.amdhsa_user_sgpr_kernarg_preload_offset 0
		.amdhsa_user_sgpr_private_segment_size 0
		.amdhsa_uses_dynamic_stack 0
		.amdhsa_system_sgpr_private_segment_wavefront_offset 0
		.amdhsa_system_sgpr_workgroup_id_x 1
		.amdhsa_system_sgpr_workgroup_id_y 0
		.amdhsa_system_sgpr_workgroup_id_z 0
		.amdhsa_system_sgpr_workgroup_info 0
		.amdhsa_system_vgpr_workitem_id 0
		.amdhsa_next_free_vgpr 1
		.amdhsa_next_free_sgpr 0
		.amdhsa_accum_offset 4
		.amdhsa_reserve_vcc 0
		.amdhsa_reserve_flat_scratch 0
		.amdhsa_float_round_mode_32 0
		.amdhsa_float_round_mode_16_64 0
		.amdhsa_float_denorm_mode_32 3
		.amdhsa_float_denorm_mode_16_64 3
		.amdhsa_dx10_clamp 1
		.amdhsa_ieee_mode 1
		.amdhsa_fp16_overflow 0
		.amdhsa_tg_split 0
		.amdhsa_exception_fp_ieee_invalid_op 0
		.amdhsa_exception_fp_denorm_src 0
		.amdhsa_exception_fp_ieee_div_zero 0
		.amdhsa_exception_fp_ieee_overflow 0
		.amdhsa_exception_fp_ieee_underflow 0
		.amdhsa_exception_fp_ieee_inexact 0
		.amdhsa_exception_int_div_zero 0
	.end_amdhsa_kernel
	.section	.text._ZN7rocprim17ROCPRIM_400000_NS6detail17trampoline_kernelINS0_14default_configENS1_27scan_by_key_config_selectorIxxEEZZNS1_16scan_by_key_implILNS1_25lookback_scan_determinismE0ELb1ES3_N6thrust23THRUST_200600_302600_NS6detail15normal_iteratorINS9_10device_ptrIxEEEESE_SE_xNS9_4plusIvEENS9_8equal_toIxEExEE10hipError_tPvRmT2_T3_T4_T5_mT6_T7_P12ihipStream_tbENKUlT_T0_E_clISt17integral_constantIbLb0EESY_IbLb1EEEEDaSU_SV_EUlSU_E_NS1_11comp_targetILNS1_3genE3ELNS1_11target_archE908ELNS1_3gpuE7ELNS1_3repE0EEENS1_30default_config_static_selectorELNS0_4arch9wavefront6targetE1EEEvT1_,"axG",@progbits,_ZN7rocprim17ROCPRIM_400000_NS6detail17trampoline_kernelINS0_14default_configENS1_27scan_by_key_config_selectorIxxEEZZNS1_16scan_by_key_implILNS1_25lookback_scan_determinismE0ELb1ES3_N6thrust23THRUST_200600_302600_NS6detail15normal_iteratorINS9_10device_ptrIxEEEESE_SE_xNS9_4plusIvEENS9_8equal_toIxEExEE10hipError_tPvRmT2_T3_T4_T5_mT6_T7_P12ihipStream_tbENKUlT_T0_E_clISt17integral_constantIbLb0EESY_IbLb1EEEEDaSU_SV_EUlSU_E_NS1_11comp_targetILNS1_3genE3ELNS1_11target_archE908ELNS1_3gpuE7ELNS1_3repE0EEENS1_30default_config_static_selectorELNS0_4arch9wavefront6targetE1EEEvT1_,comdat
.Lfunc_end456:
	.size	_ZN7rocprim17ROCPRIM_400000_NS6detail17trampoline_kernelINS0_14default_configENS1_27scan_by_key_config_selectorIxxEEZZNS1_16scan_by_key_implILNS1_25lookback_scan_determinismE0ELb1ES3_N6thrust23THRUST_200600_302600_NS6detail15normal_iteratorINS9_10device_ptrIxEEEESE_SE_xNS9_4plusIvEENS9_8equal_toIxEExEE10hipError_tPvRmT2_T3_T4_T5_mT6_T7_P12ihipStream_tbENKUlT_T0_E_clISt17integral_constantIbLb0EESY_IbLb1EEEEDaSU_SV_EUlSU_E_NS1_11comp_targetILNS1_3genE3ELNS1_11target_archE908ELNS1_3gpuE7ELNS1_3repE0EEENS1_30default_config_static_selectorELNS0_4arch9wavefront6targetE1EEEvT1_, .Lfunc_end456-_ZN7rocprim17ROCPRIM_400000_NS6detail17trampoline_kernelINS0_14default_configENS1_27scan_by_key_config_selectorIxxEEZZNS1_16scan_by_key_implILNS1_25lookback_scan_determinismE0ELb1ES3_N6thrust23THRUST_200600_302600_NS6detail15normal_iteratorINS9_10device_ptrIxEEEESE_SE_xNS9_4plusIvEENS9_8equal_toIxEExEE10hipError_tPvRmT2_T3_T4_T5_mT6_T7_P12ihipStream_tbENKUlT_T0_E_clISt17integral_constantIbLb0EESY_IbLb1EEEEDaSU_SV_EUlSU_E_NS1_11comp_targetILNS1_3genE3ELNS1_11target_archE908ELNS1_3gpuE7ELNS1_3repE0EEENS1_30default_config_static_selectorELNS0_4arch9wavefront6targetE1EEEvT1_
                                        ; -- End function
	.section	.AMDGPU.csdata,"",@progbits
; Kernel info:
; codeLenInByte = 0
; NumSgprs: 4
; NumVgprs: 0
; NumAgprs: 0
; TotalNumVgprs: 0
; ScratchSize: 0
; MemoryBound: 0
; FloatMode: 240
; IeeeMode: 1
; LDSByteSize: 0 bytes/workgroup (compile time only)
; SGPRBlocks: 0
; VGPRBlocks: 0
; NumSGPRsForWavesPerEU: 4
; NumVGPRsForWavesPerEU: 1
; AccumOffset: 4
; Occupancy: 8
; WaveLimiterHint : 0
; COMPUTE_PGM_RSRC2:SCRATCH_EN: 0
; COMPUTE_PGM_RSRC2:USER_SGPR: 6
; COMPUTE_PGM_RSRC2:TRAP_HANDLER: 0
; COMPUTE_PGM_RSRC2:TGID_X_EN: 1
; COMPUTE_PGM_RSRC2:TGID_Y_EN: 0
; COMPUTE_PGM_RSRC2:TGID_Z_EN: 0
; COMPUTE_PGM_RSRC2:TIDIG_COMP_CNT: 0
; COMPUTE_PGM_RSRC3_GFX90A:ACCUM_OFFSET: 0
; COMPUTE_PGM_RSRC3_GFX90A:TG_SPLIT: 0
	.section	.text._ZN7rocprim17ROCPRIM_400000_NS6detail17trampoline_kernelINS0_14default_configENS1_27scan_by_key_config_selectorIxxEEZZNS1_16scan_by_key_implILNS1_25lookback_scan_determinismE0ELb1ES3_N6thrust23THRUST_200600_302600_NS6detail15normal_iteratorINS9_10device_ptrIxEEEESE_SE_xNS9_4plusIvEENS9_8equal_toIxEExEE10hipError_tPvRmT2_T3_T4_T5_mT6_T7_P12ihipStream_tbENKUlT_T0_E_clISt17integral_constantIbLb0EESY_IbLb1EEEEDaSU_SV_EUlSU_E_NS1_11comp_targetILNS1_3genE2ELNS1_11target_archE906ELNS1_3gpuE6ELNS1_3repE0EEENS1_30default_config_static_selectorELNS0_4arch9wavefront6targetE1EEEvT1_,"axG",@progbits,_ZN7rocprim17ROCPRIM_400000_NS6detail17trampoline_kernelINS0_14default_configENS1_27scan_by_key_config_selectorIxxEEZZNS1_16scan_by_key_implILNS1_25lookback_scan_determinismE0ELb1ES3_N6thrust23THRUST_200600_302600_NS6detail15normal_iteratorINS9_10device_ptrIxEEEESE_SE_xNS9_4plusIvEENS9_8equal_toIxEExEE10hipError_tPvRmT2_T3_T4_T5_mT6_T7_P12ihipStream_tbENKUlT_T0_E_clISt17integral_constantIbLb0EESY_IbLb1EEEEDaSU_SV_EUlSU_E_NS1_11comp_targetILNS1_3genE2ELNS1_11target_archE906ELNS1_3gpuE6ELNS1_3repE0EEENS1_30default_config_static_selectorELNS0_4arch9wavefront6targetE1EEEvT1_,comdat
	.protected	_ZN7rocprim17ROCPRIM_400000_NS6detail17trampoline_kernelINS0_14default_configENS1_27scan_by_key_config_selectorIxxEEZZNS1_16scan_by_key_implILNS1_25lookback_scan_determinismE0ELb1ES3_N6thrust23THRUST_200600_302600_NS6detail15normal_iteratorINS9_10device_ptrIxEEEESE_SE_xNS9_4plusIvEENS9_8equal_toIxEExEE10hipError_tPvRmT2_T3_T4_T5_mT6_T7_P12ihipStream_tbENKUlT_T0_E_clISt17integral_constantIbLb0EESY_IbLb1EEEEDaSU_SV_EUlSU_E_NS1_11comp_targetILNS1_3genE2ELNS1_11target_archE906ELNS1_3gpuE6ELNS1_3repE0EEENS1_30default_config_static_selectorELNS0_4arch9wavefront6targetE1EEEvT1_ ; -- Begin function _ZN7rocprim17ROCPRIM_400000_NS6detail17trampoline_kernelINS0_14default_configENS1_27scan_by_key_config_selectorIxxEEZZNS1_16scan_by_key_implILNS1_25lookback_scan_determinismE0ELb1ES3_N6thrust23THRUST_200600_302600_NS6detail15normal_iteratorINS9_10device_ptrIxEEEESE_SE_xNS9_4plusIvEENS9_8equal_toIxEExEE10hipError_tPvRmT2_T3_T4_T5_mT6_T7_P12ihipStream_tbENKUlT_T0_E_clISt17integral_constantIbLb0EESY_IbLb1EEEEDaSU_SV_EUlSU_E_NS1_11comp_targetILNS1_3genE2ELNS1_11target_archE906ELNS1_3gpuE6ELNS1_3repE0EEENS1_30default_config_static_selectorELNS0_4arch9wavefront6targetE1EEEvT1_
	.globl	_ZN7rocprim17ROCPRIM_400000_NS6detail17trampoline_kernelINS0_14default_configENS1_27scan_by_key_config_selectorIxxEEZZNS1_16scan_by_key_implILNS1_25lookback_scan_determinismE0ELb1ES3_N6thrust23THRUST_200600_302600_NS6detail15normal_iteratorINS9_10device_ptrIxEEEESE_SE_xNS9_4plusIvEENS9_8equal_toIxEExEE10hipError_tPvRmT2_T3_T4_T5_mT6_T7_P12ihipStream_tbENKUlT_T0_E_clISt17integral_constantIbLb0EESY_IbLb1EEEEDaSU_SV_EUlSU_E_NS1_11comp_targetILNS1_3genE2ELNS1_11target_archE906ELNS1_3gpuE6ELNS1_3repE0EEENS1_30default_config_static_selectorELNS0_4arch9wavefront6targetE1EEEvT1_
	.p2align	8
	.type	_ZN7rocprim17ROCPRIM_400000_NS6detail17trampoline_kernelINS0_14default_configENS1_27scan_by_key_config_selectorIxxEEZZNS1_16scan_by_key_implILNS1_25lookback_scan_determinismE0ELb1ES3_N6thrust23THRUST_200600_302600_NS6detail15normal_iteratorINS9_10device_ptrIxEEEESE_SE_xNS9_4plusIvEENS9_8equal_toIxEExEE10hipError_tPvRmT2_T3_T4_T5_mT6_T7_P12ihipStream_tbENKUlT_T0_E_clISt17integral_constantIbLb0EESY_IbLb1EEEEDaSU_SV_EUlSU_E_NS1_11comp_targetILNS1_3genE2ELNS1_11target_archE906ELNS1_3gpuE6ELNS1_3repE0EEENS1_30default_config_static_selectorELNS0_4arch9wavefront6targetE1EEEvT1_,@function
_ZN7rocprim17ROCPRIM_400000_NS6detail17trampoline_kernelINS0_14default_configENS1_27scan_by_key_config_selectorIxxEEZZNS1_16scan_by_key_implILNS1_25lookback_scan_determinismE0ELb1ES3_N6thrust23THRUST_200600_302600_NS6detail15normal_iteratorINS9_10device_ptrIxEEEESE_SE_xNS9_4plusIvEENS9_8equal_toIxEExEE10hipError_tPvRmT2_T3_T4_T5_mT6_T7_P12ihipStream_tbENKUlT_T0_E_clISt17integral_constantIbLb0EESY_IbLb1EEEEDaSU_SV_EUlSU_E_NS1_11comp_targetILNS1_3genE2ELNS1_11target_archE906ELNS1_3gpuE6ELNS1_3repE0EEENS1_30default_config_static_selectorELNS0_4arch9wavefront6targetE1EEEvT1_: ; @_ZN7rocprim17ROCPRIM_400000_NS6detail17trampoline_kernelINS0_14default_configENS1_27scan_by_key_config_selectorIxxEEZZNS1_16scan_by_key_implILNS1_25lookback_scan_determinismE0ELb1ES3_N6thrust23THRUST_200600_302600_NS6detail15normal_iteratorINS9_10device_ptrIxEEEESE_SE_xNS9_4plusIvEENS9_8equal_toIxEExEE10hipError_tPvRmT2_T3_T4_T5_mT6_T7_P12ihipStream_tbENKUlT_T0_E_clISt17integral_constantIbLb0EESY_IbLb1EEEEDaSU_SV_EUlSU_E_NS1_11comp_targetILNS1_3genE2ELNS1_11target_archE906ELNS1_3gpuE6ELNS1_3repE0EEENS1_30default_config_static_selectorELNS0_4arch9wavefront6targetE1EEEvT1_
; %bb.0:
	.section	.rodata,"a",@progbits
	.p2align	6, 0x0
	.amdhsa_kernel _ZN7rocprim17ROCPRIM_400000_NS6detail17trampoline_kernelINS0_14default_configENS1_27scan_by_key_config_selectorIxxEEZZNS1_16scan_by_key_implILNS1_25lookback_scan_determinismE0ELb1ES3_N6thrust23THRUST_200600_302600_NS6detail15normal_iteratorINS9_10device_ptrIxEEEESE_SE_xNS9_4plusIvEENS9_8equal_toIxEExEE10hipError_tPvRmT2_T3_T4_T5_mT6_T7_P12ihipStream_tbENKUlT_T0_E_clISt17integral_constantIbLb0EESY_IbLb1EEEEDaSU_SV_EUlSU_E_NS1_11comp_targetILNS1_3genE2ELNS1_11target_archE906ELNS1_3gpuE6ELNS1_3repE0EEENS1_30default_config_static_selectorELNS0_4arch9wavefront6targetE1EEEvT1_
		.amdhsa_group_segment_fixed_size 0
		.amdhsa_private_segment_fixed_size 0
		.amdhsa_kernarg_size 136
		.amdhsa_user_sgpr_count 6
		.amdhsa_user_sgpr_private_segment_buffer 1
		.amdhsa_user_sgpr_dispatch_ptr 0
		.amdhsa_user_sgpr_queue_ptr 0
		.amdhsa_user_sgpr_kernarg_segment_ptr 1
		.amdhsa_user_sgpr_dispatch_id 0
		.amdhsa_user_sgpr_flat_scratch_init 0
		.amdhsa_user_sgpr_kernarg_preload_length 0
		.amdhsa_user_sgpr_kernarg_preload_offset 0
		.amdhsa_user_sgpr_private_segment_size 0
		.amdhsa_uses_dynamic_stack 0
		.amdhsa_system_sgpr_private_segment_wavefront_offset 0
		.amdhsa_system_sgpr_workgroup_id_x 1
		.amdhsa_system_sgpr_workgroup_id_y 0
		.amdhsa_system_sgpr_workgroup_id_z 0
		.amdhsa_system_sgpr_workgroup_info 0
		.amdhsa_system_vgpr_workitem_id 0
		.amdhsa_next_free_vgpr 1
		.amdhsa_next_free_sgpr 0
		.amdhsa_accum_offset 4
		.amdhsa_reserve_vcc 0
		.amdhsa_reserve_flat_scratch 0
		.amdhsa_float_round_mode_32 0
		.amdhsa_float_round_mode_16_64 0
		.amdhsa_float_denorm_mode_32 3
		.amdhsa_float_denorm_mode_16_64 3
		.amdhsa_dx10_clamp 1
		.amdhsa_ieee_mode 1
		.amdhsa_fp16_overflow 0
		.amdhsa_tg_split 0
		.amdhsa_exception_fp_ieee_invalid_op 0
		.amdhsa_exception_fp_denorm_src 0
		.amdhsa_exception_fp_ieee_div_zero 0
		.amdhsa_exception_fp_ieee_overflow 0
		.amdhsa_exception_fp_ieee_underflow 0
		.amdhsa_exception_fp_ieee_inexact 0
		.amdhsa_exception_int_div_zero 0
	.end_amdhsa_kernel
	.section	.text._ZN7rocprim17ROCPRIM_400000_NS6detail17trampoline_kernelINS0_14default_configENS1_27scan_by_key_config_selectorIxxEEZZNS1_16scan_by_key_implILNS1_25lookback_scan_determinismE0ELb1ES3_N6thrust23THRUST_200600_302600_NS6detail15normal_iteratorINS9_10device_ptrIxEEEESE_SE_xNS9_4plusIvEENS9_8equal_toIxEExEE10hipError_tPvRmT2_T3_T4_T5_mT6_T7_P12ihipStream_tbENKUlT_T0_E_clISt17integral_constantIbLb0EESY_IbLb1EEEEDaSU_SV_EUlSU_E_NS1_11comp_targetILNS1_3genE2ELNS1_11target_archE906ELNS1_3gpuE6ELNS1_3repE0EEENS1_30default_config_static_selectorELNS0_4arch9wavefront6targetE1EEEvT1_,"axG",@progbits,_ZN7rocprim17ROCPRIM_400000_NS6detail17trampoline_kernelINS0_14default_configENS1_27scan_by_key_config_selectorIxxEEZZNS1_16scan_by_key_implILNS1_25lookback_scan_determinismE0ELb1ES3_N6thrust23THRUST_200600_302600_NS6detail15normal_iteratorINS9_10device_ptrIxEEEESE_SE_xNS9_4plusIvEENS9_8equal_toIxEExEE10hipError_tPvRmT2_T3_T4_T5_mT6_T7_P12ihipStream_tbENKUlT_T0_E_clISt17integral_constantIbLb0EESY_IbLb1EEEEDaSU_SV_EUlSU_E_NS1_11comp_targetILNS1_3genE2ELNS1_11target_archE906ELNS1_3gpuE6ELNS1_3repE0EEENS1_30default_config_static_selectorELNS0_4arch9wavefront6targetE1EEEvT1_,comdat
.Lfunc_end457:
	.size	_ZN7rocprim17ROCPRIM_400000_NS6detail17trampoline_kernelINS0_14default_configENS1_27scan_by_key_config_selectorIxxEEZZNS1_16scan_by_key_implILNS1_25lookback_scan_determinismE0ELb1ES3_N6thrust23THRUST_200600_302600_NS6detail15normal_iteratorINS9_10device_ptrIxEEEESE_SE_xNS9_4plusIvEENS9_8equal_toIxEExEE10hipError_tPvRmT2_T3_T4_T5_mT6_T7_P12ihipStream_tbENKUlT_T0_E_clISt17integral_constantIbLb0EESY_IbLb1EEEEDaSU_SV_EUlSU_E_NS1_11comp_targetILNS1_3genE2ELNS1_11target_archE906ELNS1_3gpuE6ELNS1_3repE0EEENS1_30default_config_static_selectorELNS0_4arch9wavefront6targetE1EEEvT1_, .Lfunc_end457-_ZN7rocprim17ROCPRIM_400000_NS6detail17trampoline_kernelINS0_14default_configENS1_27scan_by_key_config_selectorIxxEEZZNS1_16scan_by_key_implILNS1_25lookback_scan_determinismE0ELb1ES3_N6thrust23THRUST_200600_302600_NS6detail15normal_iteratorINS9_10device_ptrIxEEEESE_SE_xNS9_4plusIvEENS9_8equal_toIxEExEE10hipError_tPvRmT2_T3_T4_T5_mT6_T7_P12ihipStream_tbENKUlT_T0_E_clISt17integral_constantIbLb0EESY_IbLb1EEEEDaSU_SV_EUlSU_E_NS1_11comp_targetILNS1_3genE2ELNS1_11target_archE906ELNS1_3gpuE6ELNS1_3repE0EEENS1_30default_config_static_selectorELNS0_4arch9wavefront6targetE1EEEvT1_
                                        ; -- End function
	.section	.AMDGPU.csdata,"",@progbits
; Kernel info:
; codeLenInByte = 0
; NumSgprs: 4
; NumVgprs: 0
; NumAgprs: 0
; TotalNumVgprs: 0
; ScratchSize: 0
; MemoryBound: 0
; FloatMode: 240
; IeeeMode: 1
; LDSByteSize: 0 bytes/workgroup (compile time only)
; SGPRBlocks: 0
; VGPRBlocks: 0
; NumSGPRsForWavesPerEU: 4
; NumVGPRsForWavesPerEU: 1
; AccumOffset: 4
; Occupancy: 8
; WaveLimiterHint : 0
; COMPUTE_PGM_RSRC2:SCRATCH_EN: 0
; COMPUTE_PGM_RSRC2:USER_SGPR: 6
; COMPUTE_PGM_RSRC2:TRAP_HANDLER: 0
; COMPUTE_PGM_RSRC2:TGID_X_EN: 1
; COMPUTE_PGM_RSRC2:TGID_Y_EN: 0
; COMPUTE_PGM_RSRC2:TGID_Z_EN: 0
; COMPUTE_PGM_RSRC2:TIDIG_COMP_CNT: 0
; COMPUTE_PGM_RSRC3_GFX90A:ACCUM_OFFSET: 0
; COMPUTE_PGM_RSRC3_GFX90A:TG_SPLIT: 0
	.section	.text._ZN7rocprim17ROCPRIM_400000_NS6detail17trampoline_kernelINS0_14default_configENS1_27scan_by_key_config_selectorIxxEEZZNS1_16scan_by_key_implILNS1_25lookback_scan_determinismE0ELb1ES3_N6thrust23THRUST_200600_302600_NS6detail15normal_iteratorINS9_10device_ptrIxEEEESE_SE_xNS9_4plusIvEENS9_8equal_toIxEExEE10hipError_tPvRmT2_T3_T4_T5_mT6_T7_P12ihipStream_tbENKUlT_T0_E_clISt17integral_constantIbLb0EESY_IbLb1EEEEDaSU_SV_EUlSU_E_NS1_11comp_targetILNS1_3genE10ELNS1_11target_archE1200ELNS1_3gpuE4ELNS1_3repE0EEENS1_30default_config_static_selectorELNS0_4arch9wavefront6targetE1EEEvT1_,"axG",@progbits,_ZN7rocprim17ROCPRIM_400000_NS6detail17trampoline_kernelINS0_14default_configENS1_27scan_by_key_config_selectorIxxEEZZNS1_16scan_by_key_implILNS1_25lookback_scan_determinismE0ELb1ES3_N6thrust23THRUST_200600_302600_NS6detail15normal_iteratorINS9_10device_ptrIxEEEESE_SE_xNS9_4plusIvEENS9_8equal_toIxEExEE10hipError_tPvRmT2_T3_T4_T5_mT6_T7_P12ihipStream_tbENKUlT_T0_E_clISt17integral_constantIbLb0EESY_IbLb1EEEEDaSU_SV_EUlSU_E_NS1_11comp_targetILNS1_3genE10ELNS1_11target_archE1200ELNS1_3gpuE4ELNS1_3repE0EEENS1_30default_config_static_selectorELNS0_4arch9wavefront6targetE1EEEvT1_,comdat
	.protected	_ZN7rocprim17ROCPRIM_400000_NS6detail17trampoline_kernelINS0_14default_configENS1_27scan_by_key_config_selectorIxxEEZZNS1_16scan_by_key_implILNS1_25lookback_scan_determinismE0ELb1ES3_N6thrust23THRUST_200600_302600_NS6detail15normal_iteratorINS9_10device_ptrIxEEEESE_SE_xNS9_4plusIvEENS9_8equal_toIxEExEE10hipError_tPvRmT2_T3_T4_T5_mT6_T7_P12ihipStream_tbENKUlT_T0_E_clISt17integral_constantIbLb0EESY_IbLb1EEEEDaSU_SV_EUlSU_E_NS1_11comp_targetILNS1_3genE10ELNS1_11target_archE1200ELNS1_3gpuE4ELNS1_3repE0EEENS1_30default_config_static_selectorELNS0_4arch9wavefront6targetE1EEEvT1_ ; -- Begin function _ZN7rocprim17ROCPRIM_400000_NS6detail17trampoline_kernelINS0_14default_configENS1_27scan_by_key_config_selectorIxxEEZZNS1_16scan_by_key_implILNS1_25lookback_scan_determinismE0ELb1ES3_N6thrust23THRUST_200600_302600_NS6detail15normal_iteratorINS9_10device_ptrIxEEEESE_SE_xNS9_4plusIvEENS9_8equal_toIxEExEE10hipError_tPvRmT2_T3_T4_T5_mT6_T7_P12ihipStream_tbENKUlT_T0_E_clISt17integral_constantIbLb0EESY_IbLb1EEEEDaSU_SV_EUlSU_E_NS1_11comp_targetILNS1_3genE10ELNS1_11target_archE1200ELNS1_3gpuE4ELNS1_3repE0EEENS1_30default_config_static_selectorELNS0_4arch9wavefront6targetE1EEEvT1_
	.globl	_ZN7rocprim17ROCPRIM_400000_NS6detail17trampoline_kernelINS0_14default_configENS1_27scan_by_key_config_selectorIxxEEZZNS1_16scan_by_key_implILNS1_25lookback_scan_determinismE0ELb1ES3_N6thrust23THRUST_200600_302600_NS6detail15normal_iteratorINS9_10device_ptrIxEEEESE_SE_xNS9_4plusIvEENS9_8equal_toIxEExEE10hipError_tPvRmT2_T3_T4_T5_mT6_T7_P12ihipStream_tbENKUlT_T0_E_clISt17integral_constantIbLb0EESY_IbLb1EEEEDaSU_SV_EUlSU_E_NS1_11comp_targetILNS1_3genE10ELNS1_11target_archE1200ELNS1_3gpuE4ELNS1_3repE0EEENS1_30default_config_static_selectorELNS0_4arch9wavefront6targetE1EEEvT1_
	.p2align	8
	.type	_ZN7rocprim17ROCPRIM_400000_NS6detail17trampoline_kernelINS0_14default_configENS1_27scan_by_key_config_selectorIxxEEZZNS1_16scan_by_key_implILNS1_25lookback_scan_determinismE0ELb1ES3_N6thrust23THRUST_200600_302600_NS6detail15normal_iteratorINS9_10device_ptrIxEEEESE_SE_xNS9_4plusIvEENS9_8equal_toIxEExEE10hipError_tPvRmT2_T3_T4_T5_mT6_T7_P12ihipStream_tbENKUlT_T0_E_clISt17integral_constantIbLb0EESY_IbLb1EEEEDaSU_SV_EUlSU_E_NS1_11comp_targetILNS1_3genE10ELNS1_11target_archE1200ELNS1_3gpuE4ELNS1_3repE0EEENS1_30default_config_static_selectorELNS0_4arch9wavefront6targetE1EEEvT1_,@function
_ZN7rocprim17ROCPRIM_400000_NS6detail17trampoline_kernelINS0_14default_configENS1_27scan_by_key_config_selectorIxxEEZZNS1_16scan_by_key_implILNS1_25lookback_scan_determinismE0ELb1ES3_N6thrust23THRUST_200600_302600_NS6detail15normal_iteratorINS9_10device_ptrIxEEEESE_SE_xNS9_4plusIvEENS9_8equal_toIxEExEE10hipError_tPvRmT2_T3_T4_T5_mT6_T7_P12ihipStream_tbENKUlT_T0_E_clISt17integral_constantIbLb0EESY_IbLb1EEEEDaSU_SV_EUlSU_E_NS1_11comp_targetILNS1_3genE10ELNS1_11target_archE1200ELNS1_3gpuE4ELNS1_3repE0EEENS1_30default_config_static_selectorELNS0_4arch9wavefront6targetE1EEEvT1_: ; @_ZN7rocprim17ROCPRIM_400000_NS6detail17trampoline_kernelINS0_14default_configENS1_27scan_by_key_config_selectorIxxEEZZNS1_16scan_by_key_implILNS1_25lookback_scan_determinismE0ELb1ES3_N6thrust23THRUST_200600_302600_NS6detail15normal_iteratorINS9_10device_ptrIxEEEESE_SE_xNS9_4plusIvEENS9_8equal_toIxEExEE10hipError_tPvRmT2_T3_T4_T5_mT6_T7_P12ihipStream_tbENKUlT_T0_E_clISt17integral_constantIbLb0EESY_IbLb1EEEEDaSU_SV_EUlSU_E_NS1_11comp_targetILNS1_3genE10ELNS1_11target_archE1200ELNS1_3gpuE4ELNS1_3repE0EEENS1_30default_config_static_selectorELNS0_4arch9wavefront6targetE1EEEvT1_
; %bb.0:
	.section	.rodata,"a",@progbits
	.p2align	6, 0x0
	.amdhsa_kernel _ZN7rocprim17ROCPRIM_400000_NS6detail17trampoline_kernelINS0_14default_configENS1_27scan_by_key_config_selectorIxxEEZZNS1_16scan_by_key_implILNS1_25lookback_scan_determinismE0ELb1ES3_N6thrust23THRUST_200600_302600_NS6detail15normal_iteratorINS9_10device_ptrIxEEEESE_SE_xNS9_4plusIvEENS9_8equal_toIxEExEE10hipError_tPvRmT2_T3_T4_T5_mT6_T7_P12ihipStream_tbENKUlT_T0_E_clISt17integral_constantIbLb0EESY_IbLb1EEEEDaSU_SV_EUlSU_E_NS1_11comp_targetILNS1_3genE10ELNS1_11target_archE1200ELNS1_3gpuE4ELNS1_3repE0EEENS1_30default_config_static_selectorELNS0_4arch9wavefront6targetE1EEEvT1_
		.amdhsa_group_segment_fixed_size 0
		.amdhsa_private_segment_fixed_size 0
		.amdhsa_kernarg_size 136
		.amdhsa_user_sgpr_count 6
		.amdhsa_user_sgpr_private_segment_buffer 1
		.amdhsa_user_sgpr_dispatch_ptr 0
		.amdhsa_user_sgpr_queue_ptr 0
		.amdhsa_user_sgpr_kernarg_segment_ptr 1
		.amdhsa_user_sgpr_dispatch_id 0
		.amdhsa_user_sgpr_flat_scratch_init 0
		.amdhsa_user_sgpr_kernarg_preload_length 0
		.amdhsa_user_sgpr_kernarg_preload_offset 0
		.amdhsa_user_sgpr_private_segment_size 0
		.amdhsa_uses_dynamic_stack 0
		.amdhsa_system_sgpr_private_segment_wavefront_offset 0
		.amdhsa_system_sgpr_workgroup_id_x 1
		.amdhsa_system_sgpr_workgroup_id_y 0
		.amdhsa_system_sgpr_workgroup_id_z 0
		.amdhsa_system_sgpr_workgroup_info 0
		.amdhsa_system_vgpr_workitem_id 0
		.amdhsa_next_free_vgpr 1
		.amdhsa_next_free_sgpr 0
		.amdhsa_accum_offset 4
		.amdhsa_reserve_vcc 0
		.amdhsa_reserve_flat_scratch 0
		.amdhsa_float_round_mode_32 0
		.amdhsa_float_round_mode_16_64 0
		.amdhsa_float_denorm_mode_32 3
		.amdhsa_float_denorm_mode_16_64 3
		.amdhsa_dx10_clamp 1
		.amdhsa_ieee_mode 1
		.amdhsa_fp16_overflow 0
		.amdhsa_tg_split 0
		.amdhsa_exception_fp_ieee_invalid_op 0
		.amdhsa_exception_fp_denorm_src 0
		.amdhsa_exception_fp_ieee_div_zero 0
		.amdhsa_exception_fp_ieee_overflow 0
		.amdhsa_exception_fp_ieee_underflow 0
		.amdhsa_exception_fp_ieee_inexact 0
		.amdhsa_exception_int_div_zero 0
	.end_amdhsa_kernel
	.section	.text._ZN7rocprim17ROCPRIM_400000_NS6detail17trampoline_kernelINS0_14default_configENS1_27scan_by_key_config_selectorIxxEEZZNS1_16scan_by_key_implILNS1_25lookback_scan_determinismE0ELb1ES3_N6thrust23THRUST_200600_302600_NS6detail15normal_iteratorINS9_10device_ptrIxEEEESE_SE_xNS9_4plusIvEENS9_8equal_toIxEExEE10hipError_tPvRmT2_T3_T4_T5_mT6_T7_P12ihipStream_tbENKUlT_T0_E_clISt17integral_constantIbLb0EESY_IbLb1EEEEDaSU_SV_EUlSU_E_NS1_11comp_targetILNS1_3genE10ELNS1_11target_archE1200ELNS1_3gpuE4ELNS1_3repE0EEENS1_30default_config_static_selectorELNS0_4arch9wavefront6targetE1EEEvT1_,"axG",@progbits,_ZN7rocprim17ROCPRIM_400000_NS6detail17trampoline_kernelINS0_14default_configENS1_27scan_by_key_config_selectorIxxEEZZNS1_16scan_by_key_implILNS1_25lookback_scan_determinismE0ELb1ES3_N6thrust23THRUST_200600_302600_NS6detail15normal_iteratorINS9_10device_ptrIxEEEESE_SE_xNS9_4plusIvEENS9_8equal_toIxEExEE10hipError_tPvRmT2_T3_T4_T5_mT6_T7_P12ihipStream_tbENKUlT_T0_E_clISt17integral_constantIbLb0EESY_IbLb1EEEEDaSU_SV_EUlSU_E_NS1_11comp_targetILNS1_3genE10ELNS1_11target_archE1200ELNS1_3gpuE4ELNS1_3repE0EEENS1_30default_config_static_selectorELNS0_4arch9wavefront6targetE1EEEvT1_,comdat
.Lfunc_end458:
	.size	_ZN7rocprim17ROCPRIM_400000_NS6detail17trampoline_kernelINS0_14default_configENS1_27scan_by_key_config_selectorIxxEEZZNS1_16scan_by_key_implILNS1_25lookback_scan_determinismE0ELb1ES3_N6thrust23THRUST_200600_302600_NS6detail15normal_iteratorINS9_10device_ptrIxEEEESE_SE_xNS9_4plusIvEENS9_8equal_toIxEExEE10hipError_tPvRmT2_T3_T4_T5_mT6_T7_P12ihipStream_tbENKUlT_T0_E_clISt17integral_constantIbLb0EESY_IbLb1EEEEDaSU_SV_EUlSU_E_NS1_11comp_targetILNS1_3genE10ELNS1_11target_archE1200ELNS1_3gpuE4ELNS1_3repE0EEENS1_30default_config_static_selectorELNS0_4arch9wavefront6targetE1EEEvT1_, .Lfunc_end458-_ZN7rocprim17ROCPRIM_400000_NS6detail17trampoline_kernelINS0_14default_configENS1_27scan_by_key_config_selectorIxxEEZZNS1_16scan_by_key_implILNS1_25lookback_scan_determinismE0ELb1ES3_N6thrust23THRUST_200600_302600_NS6detail15normal_iteratorINS9_10device_ptrIxEEEESE_SE_xNS9_4plusIvEENS9_8equal_toIxEExEE10hipError_tPvRmT2_T3_T4_T5_mT6_T7_P12ihipStream_tbENKUlT_T0_E_clISt17integral_constantIbLb0EESY_IbLb1EEEEDaSU_SV_EUlSU_E_NS1_11comp_targetILNS1_3genE10ELNS1_11target_archE1200ELNS1_3gpuE4ELNS1_3repE0EEENS1_30default_config_static_selectorELNS0_4arch9wavefront6targetE1EEEvT1_
                                        ; -- End function
	.section	.AMDGPU.csdata,"",@progbits
; Kernel info:
; codeLenInByte = 0
; NumSgprs: 4
; NumVgprs: 0
; NumAgprs: 0
; TotalNumVgprs: 0
; ScratchSize: 0
; MemoryBound: 0
; FloatMode: 240
; IeeeMode: 1
; LDSByteSize: 0 bytes/workgroup (compile time only)
; SGPRBlocks: 0
; VGPRBlocks: 0
; NumSGPRsForWavesPerEU: 4
; NumVGPRsForWavesPerEU: 1
; AccumOffset: 4
; Occupancy: 8
; WaveLimiterHint : 0
; COMPUTE_PGM_RSRC2:SCRATCH_EN: 0
; COMPUTE_PGM_RSRC2:USER_SGPR: 6
; COMPUTE_PGM_RSRC2:TRAP_HANDLER: 0
; COMPUTE_PGM_RSRC2:TGID_X_EN: 1
; COMPUTE_PGM_RSRC2:TGID_Y_EN: 0
; COMPUTE_PGM_RSRC2:TGID_Z_EN: 0
; COMPUTE_PGM_RSRC2:TIDIG_COMP_CNT: 0
; COMPUTE_PGM_RSRC3_GFX90A:ACCUM_OFFSET: 0
; COMPUTE_PGM_RSRC3_GFX90A:TG_SPLIT: 0
	.section	.text._ZN7rocprim17ROCPRIM_400000_NS6detail17trampoline_kernelINS0_14default_configENS1_27scan_by_key_config_selectorIxxEEZZNS1_16scan_by_key_implILNS1_25lookback_scan_determinismE0ELb1ES3_N6thrust23THRUST_200600_302600_NS6detail15normal_iteratorINS9_10device_ptrIxEEEESE_SE_xNS9_4plusIvEENS9_8equal_toIxEExEE10hipError_tPvRmT2_T3_T4_T5_mT6_T7_P12ihipStream_tbENKUlT_T0_E_clISt17integral_constantIbLb0EESY_IbLb1EEEEDaSU_SV_EUlSU_E_NS1_11comp_targetILNS1_3genE9ELNS1_11target_archE1100ELNS1_3gpuE3ELNS1_3repE0EEENS1_30default_config_static_selectorELNS0_4arch9wavefront6targetE1EEEvT1_,"axG",@progbits,_ZN7rocprim17ROCPRIM_400000_NS6detail17trampoline_kernelINS0_14default_configENS1_27scan_by_key_config_selectorIxxEEZZNS1_16scan_by_key_implILNS1_25lookback_scan_determinismE0ELb1ES3_N6thrust23THRUST_200600_302600_NS6detail15normal_iteratorINS9_10device_ptrIxEEEESE_SE_xNS9_4plusIvEENS9_8equal_toIxEExEE10hipError_tPvRmT2_T3_T4_T5_mT6_T7_P12ihipStream_tbENKUlT_T0_E_clISt17integral_constantIbLb0EESY_IbLb1EEEEDaSU_SV_EUlSU_E_NS1_11comp_targetILNS1_3genE9ELNS1_11target_archE1100ELNS1_3gpuE3ELNS1_3repE0EEENS1_30default_config_static_selectorELNS0_4arch9wavefront6targetE1EEEvT1_,comdat
	.protected	_ZN7rocprim17ROCPRIM_400000_NS6detail17trampoline_kernelINS0_14default_configENS1_27scan_by_key_config_selectorIxxEEZZNS1_16scan_by_key_implILNS1_25lookback_scan_determinismE0ELb1ES3_N6thrust23THRUST_200600_302600_NS6detail15normal_iteratorINS9_10device_ptrIxEEEESE_SE_xNS9_4plusIvEENS9_8equal_toIxEExEE10hipError_tPvRmT2_T3_T4_T5_mT6_T7_P12ihipStream_tbENKUlT_T0_E_clISt17integral_constantIbLb0EESY_IbLb1EEEEDaSU_SV_EUlSU_E_NS1_11comp_targetILNS1_3genE9ELNS1_11target_archE1100ELNS1_3gpuE3ELNS1_3repE0EEENS1_30default_config_static_selectorELNS0_4arch9wavefront6targetE1EEEvT1_ ; -- Begin function _ZN7rocprim17ROCPRIM_400000_NS6detail17trampoline_kernelINS0_14default_configENS1_27scan_by_key_config_selectorIxxEEZZNS1_16scan_by_key_implILNS1_25lookback_scan_determinismE0ELb1ES3_N6thrust23THRUST_200600_302600_NS6detail15normal_iteratorINS9_10device_ptrIxEEEESE_SE_xNS9_4plusIvEENS9_8equal_toIxEExEE10hipError_tPvRmT2_T3_T4_T5_mT6_T7_P12ihipStream_tbENKUlT_T0_E_clISt17integral_constantIbLb0EESY_IbLb1EEEEDaSU_SV_EUlSU_E_NS1_11comp_targetILNS1_3genE9ELNS1_11target_archE1100ELNS1_3gpuE3ELNS1_3repE0EEENS1_30default_config_static_selectorELNS0_4arch9wavefront6targetE1EEEvT1_
	.globl	_ZN7rocprim17ROCPRIM_400000_NS6detail17trampoline_kernelINS0_14default_configENS1_27scan_by_key_config_selectorIxxEEZZNS1_16scan_by_key_implILNS1_25lookback_scan_determinismE0ELb1ES3_N6thrust23THRUST_200600_302600_NS6detail15normal_iteratorINS9_10device_ptrIxEEEESE_SE_xNS9_4plusIvEENS9_8equal_toIxEExEE10hipError_tPvRmT2_T3_T4_T5_mT6_T7_P12ihipStream_tbENKUlT_T0_E_clISt17integral_constantIbLb0EESY_IbLb1EEEEDaSU_SV_EUlSU_E_NS1_11comp_targetILNS1_3genE9ELNS1_11target_archE1100ELNS1_3gpuE3ELNS1_3repE0EEENS1_30default_config_static_selectorELNS0_4arch9wavefront6targetE1EEEvT1_
	.p2align	8
	.type	_ZN7rocprim17ROCPRIM_400000_NS6detail17trampoline_kernelINS0_14default_configENS1_27scan_by_key_config_selectorIxxEEZZNS1_16scan_by_key_implILNS1_25lookback_scan_determinismE0ELb1ES3_N6thrust23THRUST_200600_302600_NS6detail15normal_iteratorINS9_10device_ptrIxEEEESE_SE_xNS9_4plusIvEENS9_8equal_toIxEExEE10hipError_tPvRmT2_T3_T4_T5_mT6_T7_P12ihipStream_tbENKUlT_T0_E_clISt17integral_constantIbLb0EESY_IbLb1EEEEDaSU_SV_EUlSU_E_NS1_11comp_targetILNS1_3genE9ELNS1_11target_archE1100ELNS1_3gpuE3ELNS1_3repE0EEENS1_30default_config_static_selectorELNS0_4arch9wavefront6targetE1EEEvT1_,@function
_ZN7rocprim17ROCPRIM_400000_NS6detail17trampoline_kernelINS0_14default_configENS1_27scan_by_key_config_selectorIxxEEZZNS1_16scan_by_key_implILNS1_25lookback_scan_determinismE0ELb1ES3_N6thrust23THRUST_200600_302600_NS6detail15normal_iteratorINS9_10device_ptrIxEEEESE_SE_xNS9_4plusIvEENS9_8equal_toIxEExEE10hipError_tPvRmT2_T3_T4_T5_mT6_T7_P12ihipStream_tbENKUlT_T0_E_clISt17integral_constantIbLb0EESY_IbLb1EEEEDaSU_SV_EUlSU_E_NS1_11comp_targetILNS1_3genE9ELNS1_11target_archE1100ELNS1_3gpuE3ELNS1_3repE0EEENS1_30default_config_static_selectorELNS0_4arch9wavefront6targetE1EEEvT1_: ; @_ZN7rocprim17ROCPRIM_400000_NS6detail17trampoline_kernelINS0_14default_configENS1_27scan_by_key_config_selectorIxxEEZZNS1_16scan_by_key_implILNS1_25lookback_scan_determinismE0ELb1ES3_N6thrust23THRUST_200600_302600_NS6detail15normal_iteratorINS9_10device_ptrIxEEEESE_SE_xNS9_4plusIvEENS9_8equal_toIxEExEE10hipError_tPvRmT2_T3_T4_T5_mT6_T7_P12ihipStream_tbENKUlT_T0_E_clISt17integral_constantIbLb0EESY_IbLb1EEEEDaSU_SV_EUlSU_E_NS1_11comp_targetILNS1_3genE9ELNS1_11target_archE1100ELNS1_3gpuE3ELNS1_3repE0EEENS1_30default_config_static_selectorELNS0_4arch9wavefront6targetE1EEEvT1_
; %bb.0:
	.section	.rodata,"a",@progbits
	.p2align	6, 0x0
	.amdhsa_kernel _ZN7rocprim17ROCPRIM_400000_NS6detail17trampoline_kernelINS0_14default_configENS1_27scan_by_key_config_selectorIxxEEZZNS1_16scan_by_key_implILNS1_25lookback_scan_determinismE0ELb1ES3_N6thrust23THRUST_200600_302600_NS6detail15normal_iteratorINS9_10device_ptrIxEEEESE_SE_xNS9_4plusIvEENS9_8equal_toIxEExEE10hipError_tPvRmT2_T3_T4_T5_mT6_T7_P12ihipStream_tbENKUlT_T0_E_clISt17integral_constantIbLb0EESY_IbLb1EEEEDaSU_SV_EUlSU_E_NS1_11comp_targetILNS1_3genE9ELNS1_11target_archE1100ELNS1_3gpuE3ELNS1_3repE0EEENS1_30default_config_static_selectorELNS0_4arch9wavefront6targetE1EEEvT1_
		.amdhsa_group_segment_fixed_size 0
		.amdhsa_private_segment_fixed_size 0
		.amdhsa_kernarg_size 136
		.amdhsa_user_sgpr_count 6
		.amdhsa_user_sgpr_private_segment_buffer 1
		.amdhsa_user_sgpr_dispatch_ptr 0
		.amdhsa_user_sgpr_queue_ptr 0
		.amdhsa_user_sgpr_kernarg_segment_ptr 1
		.amdhsa_user_sgpr_dispatch_id 0
		.amdhsa_user_sgpr_flat_scratch_init 0
		.amdhsa_user_sgpr_kernarg_preload_length 0
		.amdhsa_user_sgpr_kernarg_preload_offset 0
		.amdhsa_user_sgpr_private_segment_size 0
		.amdhsa_uses_dynamic_stack 0
		.amdhsa_system_sgpr_private_segment_wavefront_offset 0
		.amdhsa_system_sgpr_workgroup_id_x 1
		.amdhsa_system_sgpr_workgroup_id_y 0
		.amdhsa_system_sgpr_workgroup_id_z 0
		.amdhsa_system_sgpr_workgroup_info 0
		.amdhsa_system_vgpr_workitem_id 0
		.amdhsa_next_free_vgpr 1
		.amdhsa_next_free_sgpr 0
		.amdhsa_accum_offset 4
		.amdhsa_reserve_vcc 0
		.amdhsa_reserve_flat_scratch 0
		.amdhsa_float_round_mode_32 0
		.amdhsa_float_round_mode_16_64 0
		.amdhsa_float_denorm_mode_32 3
		.amdhsa_float_denorm_mode_16_64 3
		.amdhsa_dx10_clamp 1
		.amdhsa_ieee_mode 1
		.amdhsa_fp16_overflow 0
		.amdhsa_tg_split 0
		.amdhsa_exception_fp_ieee_invalid_op 0
		.amdhsa_exception_fp_denorm_src 0
		.amdhsa_exception_fp_ieee_div_zero 0
		.amdhsa_exception_fp_ieee_overflow 0
		.amdhsa_exception_fp_ieee_underflow 0
		.amdhsa_exception_fp_ieee_inexact 0
		.amdhsa_exception_int_div_zero 0
	.end_amdhsa_kernel
	.section	.text._ZN7rocprim17ROCPRIM_400000_NS6detail17trampoline_kernelINS0_14default_configENS1_27scan_by_key_config_selectorIxxEEZZNS1_16scan_by_key_implILNS1_25lookback_scan_determinismE0ELb1ES3_N6thrust23THRUST_200600_302600_NS6detail15normal_iteratorINS9_10device_ptrIxEEEESE_SE_xNS9_4plusIvEENS9_8equal_toIxEExEE10hipError_tPvRmT2_T3_T4_T5_mT6_T7_P12ihipStream_tbENKUlT_T0_E_clISt17integral_constantIbLb0EESY_IbLb1EEEEDaSU_SV_EUlSU_E_NS1_11comp_targetILNS1_3genE9ELNS1_11target_archE1100ELNS1_3gpuE3ELNS1_3repE0EEENS1_30default_config_static_selectorELNS0_4arch9wavefront6targetE1EEEvT1_,"axG",@progbits,_ZN7rocprim17ROCPRIM_400000_NS6detail17trampoline_kernelINS0_14default_configENS1_27scan_by_key_config_selectorIxxEEZZNS1_16scan_by_key_implILNS1_25lookback_scan_determinismE0ELb1ES3_N6thrust23THRUST_200600_302600_NS6detail15normal_iteratorINS9_10device_ptrIxEEEESE_SE_xNS9_4plusIvEENS9_8equal_toIxEExEE10hipError_tPvRmT2_T3_T4_T5_mT6_T7_P12ihipStream_tbENKUlT_T0_E_clISt17integral_constantIbLb0EESY_IbLb1EEEEDaSU_SV_EUlSU_E_NS1_11comp_targetILNS1_3genE9ELNS1_11target_archE1100ELNS1_3gpuE3ELNS1_3repE0EEENS1_30default_config_static_selectorELNS0_4arch9wavefront6targetE1EEEvT1_,comdat
.Lfunc_end459:
	.size	_ZN7rocprim17ROCPRIM_400000_NS6detail17trampoline_kernelINS0_14default_configENS1_27scan_by_key_config_selectorIxxEEZZNS1_16scan_by_key_implILNS1_25lookback_scan_determinismE0ELb1ES3_N6thrust23THRUST_200600_302600_NS6detail15normal_iteratorINS9_10device_ptrIxEEEESE_SE_xNS9_4plusIvEENS9_8equal_toIxEExEE10hipError_tPvRmT2_T3_T4_T5_mT6_T7_P12ihipStream_tbENKUlT_T0_E_clISt17integral_constantIbLb0EESY_IbLb1EEEEDaSU_SV_EUlSU_E_NS1_11comp_targetILNS1_3genE9ELNS1_11target_archE1100ELNS1_3gpuE3ELNS1_3repE0EEENS1_30default_config_static_selectorELNS0_4arch9wavefront6targetE1EEEvT1_, .Lfunc_end459-_ZN7rocprim17ROCPRIM_400000_NS6detail17trampoline_kernelINS0_14default_configENS1_27scan_by_key_config_selectorIxxEEZZNS1_16scan_by_key_implILNS1_25lookback_scan_determinismE0ELb1ES3_N6thrust23THRUST_200600_302600_NS6detail15normal_iteratorINS9_10device_ptrIxEEEESE_SE_xNS9_4plusIvEENS9_8equal_toIxEExEE10hipError_tPvRmT2_T3_T4_T5_mT6_T7_P12ihipStream_tbENKUlT_T0_E_clISt17integral_constantIbLb0EESY_IbLb1EEEEDaSU_SV_EUlSU_E_NS1_11comp_targetILNS1_3genE9ELNS1_11target_archE1100ELNS1_3gpuE3ELNS1_3repE0EEENS1_30default_config_static_selectorELNS0_4arch9wavefront6targetE1EEEvT1_
                                        ; -- End function
	.section	.AMDGPU.csdata,"",@progbits
; Kernel info:
; codeLenInByte = 0
; NumSgprs: 4
; NumVgprs: 0
; NumAgprs: 0
; TotalNumVgprs: 0
; ScratchSize: 0
; MemoryBound: 0
; FloatMode: 240
; IeeeMode: 1
; LDSByteSize: 0 bytes/workgroup (compile time only)
; SGPRBlocks: 0
; VGPRBlocks: 0
; NumSGPRsForWavesPerEU: 4
; NumVGPRsForWavesPerEU: 1
; AccumOffset: 4
; Occupancy: 8
; WaveLimiterHint : 0
; COMPUTE_PGM_RSRC2:SCRATCH_EN: 0
; COMPUTE_PGM_RSRC2:USER_SGPR: 6
; COMPUTE_PGM_RSRC2:TRAP_HANDLER: 0
; COMPUTE_PGM_RSRC2:TGID_X_EN: 1
; COMPUTE_PGM_RSRC2:TGID_Y_EN: 0
; COMPUTE_PGM_RSRC2:TGID_Z_EN: 0
; COMPUTE_PGM_RSRC2:TIDIG_COMP_CNT: 0
; COMPUTE_PGM_RSRC3_GFX90A:ACCUM_OFFSET: 0
; COMPUTE_PGM_RSRC3_GFX90A:TG_SPLIT: 0
	.section	.text._ZN7rocprim17ROCPRIM_400000_NS6detail17trampoline_kernelINS0_14default_configENS1_27scan_by_key_config_selectorIxxEEZZNS1_16scan_by_key_implILNS1_25lookback_scan_determinismE0ELb1ES3_N6thrust23THRUST_200600_302600_NS6detail15normal_iteratorINS9_10device_ptrIxEEEESE_SE_xNS9_4plusIvEENS9_8equal_toIxEExEE10hipError_tPvRmT2_T3_T4_T5_mT6_T7_P12ihipStream_tbENKUlT_T0_E_clISt17integral_constantIbLb0EESY_IbLb1EEEEDaSU_SV_EUlSU_E_NS1_11comp_targetILNS1_3genE8ELNS1_11target_archE1030ELNS1_3gpuE2ELNS1_3repE0EEENS1_30default_config_static_selectorELNS0_4arch9wavefront6targetE1EEEvT1_,"axG",@progbits,_ZN7rocprim17ROCPRIM_400000_NS6detail17trampoline_kernelINS0_14default_configENS1_27scan_by_key_config_selectorIxxEEZZNS1_16scan_by_key_implILNS1_25lookback_scan_determinismE0ELb1ES3_N6thrust23THRUST_200600_302600_NS6detail15normal_iteratorINS9_10device_ptrIxEEEESE_SE_xNS9_4plusIvEENS9_8equal_toIxEExEE10hipError_tPvRmT2_T3_T4_T5_mT6_T7_P12ihipStream_tbENKUlT_T0_E_clISt17integral_constantIbLb0EESY_IbLb1EEEEDaSU_SV_EUlSU_E_NS1_11comp_targetILNS1_3genE8ELNS1_11target_archE1030ELNS1_3gpuE2ELNS1_3repE0EEENS1_30default_config_static_selectorELNS0_4arch9wavefront6targetE1EEEvT1_,comdat
	.protected	_ZN7rocprim17ROCPRIM_400000_NS6detail17trampoline_kernelINS0_14default_configENS1_27scan_by_key_config_selectorIxxEEZZNS1_16scan_by_key_implILNS1_25lookback_scan_determinismE0ELb1ES3_N6thrust23THRUST_200600_302600_NS6detail15normal_iteratorINS9_10device_ptrIxEEEESE_SE_xNS9_4plusIvEENS9_8equal_toIxEExEE10hipError_tPvRmT2_T3_T4_T5_mT6_T7_P12ihipStream_tbENKUlT_T0_E_clISt17integral_constantIbLb0EESY_IbLb1EEEEDaSU_SV_EUlSU_E_NS1_11comp_targetILNS1_3genE8ELNS1_11target_archE1030ELNS1_3gpuE2ELNS1_3repE0EEENS1_30default_config_static_selectorELNS0_4arch9wavefront6targetE1EEEvT1_ ; -- Begin function _ZN7rocprim17ROCPRIM_400000_NS6detail17trampoline_kernelINS0_14default_configENS1_27scan_by_key_config_selectorIxxEEZZNS1_16scan_by_key_implILNS1_25lookback_scan_determinismE0ELb1ES3_N6thrust23THRUST_200600_302600_NS6detail15normal_iteratorINS9_10device_ptrIxEEEESE_SE_xNS9_4plusIvEENS9_8equal_toIxEExEE10hipError_tPvRmT2_T3_T4_T5_mT6_T7_P12ihipStream_tbENKUlT_T0_E_clISt17integral_constantIbLb0EESY_IbLb1EEEEDaSU_SV_EUlSU_E_NS1_11comp_targetILNS1_3genE8ELNS1_11target_archE1030ELNS1_3gpuE2ELNS1_3repE0EEENS1_30default_config_static_selectorELNS0_4arch9wavefront6targetE1EEEvT1_
	.globl	_ZN7rocprim17ROCPRIM_400000_NS6detail17trampoline_kernelINS0_14default_configENS1_27scan_by_key_config_selectorIxxEEZZNS1_16scan_by_key_implILNS1_25lookback_scan_determinismE0ELb1ES3_N6thrust23THRUST_200600_302600_NS6detail15normal_iteratorINS9_10device_ptrIxEEEESE_SE_xNS9_4plusIvEENS9_8equal_toIxEExEE10hipError_tPvRmT2_T3_T4_T5_mT6_T7_P12ihipStream_tbENKUlT_T0_E_clISt17integral_constantIbLb0EESY_IbLb1EEEEDaSU_SV_EUlSU_E_NS1_11comp_targetILNS1_3genE8ELNS1_11target_archE1030ELNS1_3gpuE2ELNS1_3repE0EEENS1_30default_config_static_selectorELNS0_4arch9wavefront6targetE1EEEvT1_
	.p2align	8
	.type	_ZN7rocprim17ROCPRIM_400000_NS6detail17trampoline_kernelINS0_14default_configENS1_27scan_by_key_config_selectorIxxEEZZNS1_16scan_by_key_implILNS1_25lookback_scan_determinismE0ELb1ES3_N6thrust23THRUST_200600_302600_NS6detail15normal_iteratorINS9_10device_ptrIxEEEESE_SE_xNS9_4plusIvEENS9_8equal_toIxEExEE10hipError_tPvRmT2_T3_T4_T5_mT6_T7_P12ihipStream_tbENKUlT_T0_E_clISt17integral_constantIbLb0EESY_IbLb1EEEEDaSU_SV_EUlSU_E_NS1_11comp_targetILNS1_3genE8ELNS1_11target_archE1030ELNS1_3gpuE2ELNS1_3repE0EEENS1_30default_config_static_selectorELNS0_4arch9wavefront6targetE1EEEvT1_,@function
_ZN7rocprim17ROCPRIM_400000_NS6detail17trampoline_kernelINS0_14default_configENS1_27scan_by_key_config_selectorIxxEEZZNS1_16scan_by_key_implILNS1_25lookback_scan_determinismE0ELb1ES3_N6thrust23THRUST_200600_302600_NS6detail15normal_iteratorINS9_10device_ptrIxEEEESE_SE_xNS9_4plusIvEENS9_8equal_toIxEExEE10hipError_tPvRmT2_T3_T4_T5_mT6_T7_P12ihipStream_tbENKUlT_T0_E_clISt17integral_constantIbLb0EESY_IbLb1EEEEDaSU_SV_EUlSU_E_NS1_11comp_targetILNS1_3genE8ELNS1_11target_archE1030ELNS1_3gpuE2ELNS1_3repE0EEENS1_30default_config_static_selectorELNS0_4arch9wavefront6targetE1EEEvT1_: ; @_ZN7rocprim17ROCPRIM_400000_NS6detail17trampoline_kernelINS0_14default_configENS1_27scan_by_key_config_selectorIxxEEZZNS1_16scan_by_key_implILNS1_25lookback_scan_determinismE0ELb1ES3_N6thrust23THRUST_200600_302600_NS6detail15normal_iteratorINS9_10device_ptrIxEEEESE_SE_xNS9_4plusIvEENS9_8equal_toIxEExEE10hipError_tPvRmT2_T3_T4_T5_mT6_T7_P12ihipStream_tbENKUlT_T0_E_clISt17integral_constantIbLb0EESY_IbLb1EEEEDaSU_SV_EUlSU_E_NS1_11comp_targetILNS1_3genE8ELNS1_11target_archE1030ELNS1_3gpuE2ELNS1_3repE0EEENS1_30default_config_static_selectorELNS0_4arch9wavefront6targetE1EEEvT1_
; %bb.0:
	.section	.rodata,"a",@progbits
	.p2align	6, 0x0
	.amdhsa_kernel _ZN7rocprim17ROCPRIM_400000_NS6detail17trampoline_kernelINS0_14default_configENS1_27scan_by_key_config_selectorIxxEEZZNS1_16scan_by_key_implILNS1_25lookback_scan_determinismE0ELb1ES3_N6thrust23THRUST_200600_302600_NS6detail15normal_iteratorINS9_10device_ptrIxEEEESE_SE_xNS9_4plusIvEENS9_8equal_toIxEExEE10hipError_tPvRmT2_T3_T4_T5_mT6_T7_P12ihipStream_tbENKUlT_T0_E_clISt17integral_constantIbLb0EESY_IbLb1EEEEDaSU_SV_EUlSU_E_NS1_11comp_targetILNS1_3genE8ELNS1_11target_archE1030ELNS1_3gpuE2ELNS1_3repE0EEENS1_30default_config_static_selectorELNS0_4arch9wavefront6targetE1EEEvT1_
		.amdhsa_group_segment_fixed_size 0
		.amdhsa_private_segment_fixed_size 0
		.amdhsa_kernarg_size 136
		.amdhsa_user_sgpr_count 6
		.amdhsa_user_sgpr_private_segment_buffer 1
		.amdhsa_user_sgpr_dispatch_ptr 0
		.amdhsa_user_sgpr_queue_ptr 0
		.amdhsa_user_sgpr_kernarg_segment_ptr 1
		.amdhsa_user_sgpr_dispatch_id 0
		.amdhsa_user_sgpr_flat_scratch_init 0
		.amdhsa_user_sgpr_kernarg_preload_length 0
		.amdhsa_user_sgpr_kernarg_preload_offset 0
		.amdhsa_user_sgpr_private_segment_size 0
		.amdhsa_uses_dynamic_stack 0
		.amdhsa_system_sgpr_private_segment_wavefront_offset 0
		.amdhsa_system_sgpr_workgroup_id_x 1
		.amdhsa_system_sgpr_workgroup_id_y 0
		.amdhsa_system_sgpr_workgroup_id_z 0
		.amdhsa_system_sgpr_workgroup_info 0
		.amdhsa_system_vgpr_workitem_id 0
		.amdhsa_next_free_vgpr 1
		.amdhsa_next_free_sgpr 0
		.amdhsa_accum_offset 4
		.amdhsa_reserve_vcc 0
		.amdhsa_reserve_flat_scratch 0
		.amdhsa_float_round_mode_32 0
		.amdhsa_float_round_mode_16_64 0
		.amdhsa_float_denorm_mode_32 3
		.amdhsa_float_denorm_mode_16_64 3
		.amdhsa_dx10_clamp 1
		.amdhsa_ieee_mode 1
		.amdhsa_fp16_overflow 0
		.amdhsa_tg_split 0
		.amdhsa_exception_fp_ieee_invalid_op 0
		.amdhsa_exception_fp_denorm_src 0
		.amdhsa_exception_fp_ieee_div_zero 0
		.amdhsa_exception_fp_ieee_overflow 0
		.amdhsa_exception_fp_ieee_underflow 0
		.amdhsa_exception_fp_ieee_inexact 0
		.amdhsa_exception_int_div_zero 0
	.end_amdhsa_kernel
	.section	.text._ZN7rocprim17ROCPRIM_400000_NS6detail17trampoline_kernelINS0_14default_configENS1_27scan_by_key_config_selectorIxxEEZZNS1_16scan_by_key_implILNS1_25lookback_scan_determinismE0ELb1ES3_N6thrust23THRUST_200600_302600_NS6detail15normal_iteratorINS9_10device_ptrIxEEEESE_SE_xNS9_4plusIvEENS9_8equal_toIxEExEE10hipError_tPvRmT2_T3_T4_T5_mT6_T7_P12ihipStream_tbENKUlT_T0_E_clISt17integral_constantIbLb0EESY_IbLb1EEEEDaSU_SV_EUlSU_E_NS1_11comp_targetILNS1_3genE8ELNS1_11target_archE1030ELNS1_3gpuE2ELNS1_3repE0EEENS1_30default_config_static_selectorELNS0_4arch9wavefront6targetE1EEEvT1_,"axG",@progbits,_ZN7rocprim17ROCPRIM_400000_NS6detail17trampoline_kernelINS0_14default_configENS1_27scan_by_key_config_selectorIxxEEZZNS1_16scan_by_key_implILNS1_25lookback_scan_determinismE0ELb1ES3_N6thrust23THRUST_200600_302600_NS6detail15normal_iteratorINS9_10device_ptrIxEEEESE_SE_xNS9_4plusIvEENS9_8equal_toIxEExEE10hipError_tPvRmT2_T3_T4_T5_mT6_T7_P12ihipStream_tbENKUlT_T0_E_clISt17integral_constantIbLb0EESY_IbLb1EEEEDaSU_SV_EUlSU_E_NS1_11comp_targetILNS1_3genE8ELNS1_11target_archE1030ELNS1_3gpuE2ELNS1_3repE0EEENS1_30default_config_static_selectorELNS0_4arch9wavefront6targetE1EEEvT1_,comdat
.Lfunc_end460:
	.size	_ZN7rocprim17ROCPRIM_400000_NS6detail17trampoline_kernelINS0_14default_configENS1_27scan_by_key_config_selectorIxxEEZZNS1_16scan_by_key_implILNS1_25lookback_scan_determinismE0ELb1ES3_N6thrust23THRUST_200600_302600_NS6detail15normal_iteratorINS9_10device_ptrIxEEEESE_SE_xNS9_4plusIvEENS9_8equal_toIxEExEE10hipError_tPvRmT2_T3_T4_T5_mT6_T7_P12ihipStream_tbENKUlT_T0_E_clISt17integral_constantIbLb0EESY_IbLb1EEEEDaSU_SV_EUlSU_E_NS1_11comp_targetILNS1_3genE8ELNS1_11target_archE1030ELNS1_3gpuE2ELNS1_3repE0EEENS1_30default_config_static_selectorELNS0_4arch9wavefront6targetE1EEEvT1_, .Lfunc_end460-_ZN7rocprim17ROCPRIM_400000_NS6detail17trampoline_kernelINS0_14default_configENS1_27scan_by_key_config_selectorIxxEEZZNS1_16scan_by_key_implILNS1_25lookback_scan_determinismE0ELb1ES3_N6thrust23THRUST_200600_302600_NS6detail15normal_iteratorINS9_10device_ptrIxEEEESE_SE_xNS9_4plusIvEENS9_8equal_toIxEExEE10hipError_tPvRmT2_T3_T4_T5_mT6_T7_P12ihipStream_tbENKUlT_T0_E_clISt17integral_constantIbLb0EESY_IbLb1EEEEDaSU_SV_EUlSU_E_NS1_11comp_targetILNS1_3genE8ELNS1_11target_archE1030ELNS1_3gpuE2ELNS1_3repE0EEENS1_30default_config_static_selectorELNS0_4arch9wavefront6targetE1EEEvT1_
                                        ; -- End function
	.section	.AMDGPU.csdata,"",@progbits
; Kernel info:
; codeLenInByte = 0
; NumSgprs: 4
; NumVgprs: 0
; NumAgprs: 0
; TotalNumVgprs: 0
; ScratchSize: 0
; MemoryBound: 0
; FloatMode: 240
; IeeeMode: 1
; LDSByteSize: 0 bytes/workgroup (compile time only)
; SGPRBlocks: 0
; VGPRBlocks: 0
; NumSGPRsForWavesPerEU: 4
; NumVGPRsForWavesPerEU: 1
; AccumOffset: 4
; Occupancy: 8
; WaveLimiterHint : 0
; COMPUTE_PGM_RSRC2:SCRATCH_EN: 0
; COMPUTE_PGM_RSRC2:USER_SGPR: 6
; COMPUTE_PGM_RSRC2:TRAP_HANDLER: 0
; COMPUTE_PGM_RSRC2:TGID_X_EN: 1
; COMPUTE_PGM_RSRC2:TGID_Y_EN: 0
; COMPUTE_PGM_RSRC2:TGID_Z_EN: 0
; COMPUTE_PGM_RSRC2:TIDIG_COMP_CNT: 0
; COMPUTE_PGM_RSRC3_GFX90A:ACCUM_OFFSET: 0
; COMPUTE_PGM_RSRC3_GFX90A:TG_SPLIT: 0
	.section	.text._ZN7rocprim17ROCPRIM_400000_NS6detail17trampoline_kernelINS0_14default_configENS1_27scan_by_key_config_selectorIiiEEZZNS1_16scan_by_key_implILNS1_25lookback_scan_determinismE0ELb1ES3_N6thrust23THRUST_200600_302600_NS6detail15normal_iteratorINS9_10device_ptrIiEEEESE_SE_iNS9_4plusIvEENS9_8equal_toIvEEiEE10hipError_tPvRmT2_T3_T4_T5_mT6_T7_P12ihipStream_tbENKUlT_T0_E_clISt17integral_constantIbLb0EESZ_EEDaSU_SV_EUlSU_E_NS1_11comp_targetILNS1_3genE0ELNS1_11target_archE4294967295ELNS1_3gpuE0ELNS1_3repE0EEENS1_30default_config_static_selectorELNS0_4arch9wavefront6targetE1EEEvT1_,"axG",@progbits,_ZN7rocprim17ROCPRIM_400000_NS6detail17trampoline_kernelINS0_14default_configENS1_27scan_by_key_config_selectorIiiEEZZNS1_16scan_by_key_implILNS1_25lookback_scan_determinismE0ELb1ES3_N6thrust23THRUST_200600_302600_NS6detail15normal_iteratorINS9_10device_ptrIiEEEESE_SE_iNS9_4plusIvEENS9_8equal_toIvEEiEE10hipError_tPvRmT2_T3_T4_T5_mT6_T7_P12ihipStream_tbENKUlT_T0_E_clISt17integral_constantIbLb0EESZ_EEDaSU_SV_EUlSU_E_NS1_11comp_targetILNS1_3genE0ELNS1_11target_archE4294967295ELNS1_3gpuE0ELNS1_3repE0EEENS1_30default_config_static_selectorELNS0_4arch9wavefront6targetE1EEEvT1_,comdat
	.protected	_ZN7rocprim17ROCPRIM_400000_NS6detail17trampoline_kernelINS0_14default_configENS1_27scan_by_key_config_selectorIiiEEZZNS1_16scan_by_key_implILNS1_25lookback_scan_determinismE0ELb1ES3_N6thrust23THRUST_200600_302600_NS6detail15normal_iteratorINS9_10device_ptrIiEEEESE_SE_iNS9_4plusIvEENS9_8equal_toIvEEiEE10hipError_tPvRmT2_T3_T4_T5_mT6_T7_P12ihipStream_tbENKUlT_T0_E_clISt17integral_constantIbLb0EESZ_EEDaSU_SV_EUlSU_E_NS1_11comp_targetILNS1_3genE0ELNS1_11target_archE4294967295ELNS1_3gpuE0ELNS1_3repE0EEENS1_30default_config_static_selectorELNS0_4arch9wavefront6targetE1EEEvT1_ ; -- Begin function _ZN7rocprim17ROCPRIM_400000_NS6detail17trampoline_kernelINS0_14default_configENS1_27scan_by_key_config_selectorIiiEEZZNS1_16scan_by_key_implILNS1_25lookback_scan_determinismE0ELb1ES3_N6thrust23THRUST_200600_302600_NS6detail15normal_iteratorINS9_10device_ptrIiEEEESE_SE_iNS9_4plusIvEENS9_8equal_toIvEEiEE10hipError_tPvRmT2_T3_T4_T5_mT6_T7_P12ihipStream_tbENKUlT_T0_E_clISt17integral_constantIbLb0EESZ_EEDaSU_SV_EUlSU_E_NS1_11comp_targetILNS1_3genE0ELNS1_11target_archE4294967295ELNS1_3gpuE0ELNS1_3repE0EEENS1_30default_config_static_selectorELNS0_4arch9wavefront6targetE1EEEvT1_
	.globl	_ZN7rocprim17ROCPRIM_400000_NS6detail17trampoline_kernelINS0_14default_configENS1_27scan_by_key_config_selectorIiiEEZZNS1_16scan_by_key_implILNS1_25lookback_scan_determinismE0ELb1ES3_N6thrust23THRUST_200600_302600_NS6detail15normal_iteratorINS9_10device_ptrIiEEEESE_SE_iNS9_4plusIvEENS9_8equal_toIvEEiEE10hipError_tPvRmT2_T3_T4_T5_mT6_T7_P12ihipStream_tbENKUlT_T0_E_clISt17integral_constantIbLb0EESZ_EEDaSU_SV_EUlSU_E_NS1_11comp_targetILNS1_3genE0ELNS1_11target_archE4294967295ELNS1_3gpuE0ELNS1_3repE0EEENS1_30default_config_static_selectorELNS0_4arch9wavefront6targetE1EEEvT1_
	.p2align	8
	.type	_ZN7rocprim17ROCPRIM_400000_NS6detail17trampoline_kernelINS0_14default_configENS1_27scan_by_key_config_selectorIiiEEZZNS1_16scan_by_key_implILNS1_25lookback_scan_determinismE0ELb1ES3_N6thrust23THRUST_200600_302600_NS6detail15normal_iteratorINS9_10device_ptrIiEEEESE_SE_iNS9_4plusIvEENS9_8equal_toIvEEiEE10hipError_tPvRmT2_T3_T4_T5_mT6_T7_P12ihipStream_tbENKUlT_T0_E_clISt17integral_constantIbLb0EESZ_EEDaSU_SV_EUlSU_E_NS1_11comp_targetILNS1_3genE0ELNS1_11target_archE4294967295ELNS1_3gpuE0ELNS1_3repE0EEENS1_30default_config_static_selectorELNS0_4arch9wavefront6targetE1EEEvT1_,@function
_ZN7rocprim17ROCPRIM_400000_NS6detail17trampoline_kernelINS0_14default_configENS1_27scan_by_key_config_selectorIiiEEZZNS1_16scan_by_key_implILNS1_25lookback_scan_determinismE0ELb1ES3_N6thrust23THRUST_200600_302600_NS6detail15normal_iteratorINS9_10device_ptrIiEEEESE_SE_iNS9_4plusIvEENS9_8equal_toIvEEiEE10hipError_tPvRmT2_T3_T4_T5_mT6_T7_P12ihipStream_tbENKUlT_T0_E_clISt17integral_constantIbLb0EESZ_EEDaSU_SV_EUlSU_E_NS1_11comp_targetILNS1_3genE0ELNS1_11target_archE4294967295ELNS1_3gpuE0ELNS1_3repE0EEENS1_30default_config_static_selectorELNS0_4arch9wavefront6targetE1EEEvT1_: ; @_ZN7rocprim17ROCPRIM_400000_NS6detail17trampoline_kernelINS0_14default_configENS1_27scan_by_key_config_selectorIiiEEZZNS1_16scan_by_key_implILNS1_25lookback_scan_determinismE0ELb1ES3_N6thrust23THRUST_200600_302600_NS6detail15normal_iteratorINS9_10device_ptrIiEEEESE_SE_iNS9_4plusIvEENS9_8equal_toIvEEiEE10hipError_tPvRmT2_T3_T4_T5_mT6_T7_P12ihipStream_tbENKUlT_T0_E_clISt17integral_constantIbLb0EESZ_EEDaSU_SV_EUlSU_E_NS1_11comp_targetILNS1_3genE0ELNS1_11target_archE4294967295ELNS1_3gpuE0ELNS1_3repE0EEENS1_30default_config_static_selectorELNS0_4arch9wavefront6targetE1EEEvT1_
; %bb.0:
	.section	.rodata,"a",@progbits
	.p2align	6, 0x0
	.amdhsa_kernel _ZN7rocprim17ROCPRIM_400000_NS6detail17trampoline_kernelINS0_14default_configENS1_27scan_by_key_config_selectorIiiEEZZNS1_16scan_by_key_implILNS1_25lookback_scan_determinismE0ELb1ES3_N6thrust23THRUST_200600_302600_NS6detail15normal_iteratorINS9_10device_ptrIiEEEESE_SE_iNS9_4plusIvEENS9_8equal_toIvEEiEE10hipError_tPvRmT2_T3_T4_T5_mT6_T7_P12ihipStream_tbENKUlT_T0_E_clISt17integral_constantIbLb0EESZ_EEDaSU_SV_EUlSU_E_NS1_11comp_targetILNS1_3genE0ELNS1_11target_archE4294967295ELNS1_3gpuE0ELNS1_3repE0EEENS1_30default_config_static_selectorELNS0_4arch9wavefront6targetE1EEEvT1_
		.amdhsa_group_segment_fixed_size 0
		.amdhsa_private_segment_fixed_size 0
		.amdhsa_kernarg_size 112
		.amdhsa_user_sgpr_count 6
		.amdhsa_user_sgpr_private_segment_buffer 1
		.amdhsa_user_sgpr_dispatch_ptr 0
		.amdhsa_user_sgpr_queue_ptr 0
		.amdhsa_user_sgpr_kernarg_segment_ptr 1
		.amdhsa_user_sgpr_dispatch_id 0
		.amdhsa_user_sgpr_flat_scratch_init 0
		.amdhsa_user_sgpr_kernarg_preload_length 0
		.amdhsa_user_sgpr_kernarg_preload_offset 0
		.amdhsa_user_sgpr_private_segment_size 0
		.amdhsa_uses_dynamic_stack 0
		.amdhsa_system_sgpr_private_segment_wavefront_offset 0
		.amdhsa_system_sgpr_workgroup_id_x 1
		.amdhsa_system_sgpr_workgroup_id_y 0
		.amdhsa_system_sgpr_workgroup_id_z 0
		.amdhsa_system_sgpr_workgroup_info 0
		.amdhsa_system_vgpr_workitem_id 0
		.amdhsa_next_free_vgpr 1
		.amdhsa_next_free_sgpr 0
		.amdhsa_accum_offset 4
		.amdhsa_reserve_vcc 0
		.amdhsa_reserve_flat_scratch 0
		.amdhsa_float_round_mode_32 0
		.amdhsa_float_round_mode_16_64 0
		.amdhsa_float_denorm_mode_32 3
		.amdhsa_float_denorm_mode_16_64 3
		.amdhsa_dx10_clamp 1
		.amdhsa_ieee_mode 1
		.amdhsa_fp16_overflow 0
		.amdhsa_tg_split 0
		.amdhsa_exception_fp_ieee_invalid_op 0
		.amdhsa_exception_fp_denorm_src 0
		.amdhsa_exception_fp_ieee_div_zero 0
		.amdhsa_exception_fp_ieee_overflow 0
		.amdhsa_exception_fp_ieee_underflow 0
		.amdhsa_exception_fp_ieee_inexact 0
		.amdhsa_exception_int_div_zero 0
	.end_amdhsa_kernel
	.section	.text._ZN7rocprim17ROCPRIM_400000_NS6detail17trampoline_kernelINS0_14default_configENS1_27scan_by_key_config_selectorIiiEEZZNS1_16scan_by_key_implILNS1_25lookback_scan_determinismE0ELb1ES3_N6thrust23THRUST_200600_302600_NS6detail15normal_iteratorINS9_10device_ptrIiEEEESE_SE_iNS9_4plusIvEENS9_8equal_toIvEEiEE10hipError_tPvRmT2_T3_T4_T5_mT6_T7_P12ihipStream_tbENKUlT_T0_E_clISt17integral_constantIbLb0EESZ_EEDaSU_SV_EUlSU_E_NS1_11comp_targetILNS1_3genE0ELNS1_11target_archE4294967295ELNS1_3gpuE0ELNS1_3repE0EEENS1_30default_config_static_selectorELNS0_4arch9wavefront6targetE1EEEvT1_,"axG",@progbits,_ZN7rocprim17ROCPRIM_400000_NS6detail17trampoline_kernelINS0_14default_configENS1_27scan_by_key_config_selectorIiiEEZZNS1_16scan_by_key_implILNS1_25lookback_scan_determinismE0ELb1ES3_N6thrust23THRUST_200600_302600_NS6detail15normal_iteratorINS9_10device_ptrIiEEEESE_SE_iNS9_4plusIvEENS9_8equal_toIvEEiEE10hipError_tPvRmT2_T3_T4_T5_mT6_T7_P12ihipStream_tbENKUlT_T0_E_clISt17integral_constantIbLb0EESZ_EEDaSU_SV_EUlSU_E_NS1_11comp_targetILNS1_3genE0ELNS1_11target_archE4294967295ELNS1_3gpuE0ELNS1_3repE0EEENS1_30default_config_static_selectorELNS0_4arch9wavefront6targetE1EEEvT1_,comdat
.Lfunc_end461:
	.size	_ZN7rocprim17ROCPRIM_400000_NS6detail17trampoline_kernelINS0_14default_configENS1_27scan_by_key_config_selectorIiiEEZZNS1_16scan_by_key_implILNS1_25lookback_scan_determinismE0ELb1ES3_N6thrust23THRUST_200600_302600_NS6detail15normal_iteratorINS9_10device_ptrIiEEEESE_SE_iNS9_4plusIvEENS9_8equal_toIvEEiEE10hipError_tPvRmT2_T3_T4_T5_mT6_T7_P12ihipStream_tbENKUlT_T0_E_clISt17integral_constantIbLb0EESZ_EEDaSU_SV_EUlSU_E_NS1_11comp_targetILNS1_3genE0ELNS1_11target_archE4294967295ELNS1_3gpuE0ELNS1_3repE0EEENS1_30default_config_static_selectorELNS0_4arch9wavefront6targetE1EEEvT1_, .Lfunc_end461-_ZN7rocprim17ROCPRIM_400000_NS6detail17trampoline_kernelINS0_14default_configENS1_27scan_by_key_config_selectorIiiEEZZNS1_16scan_by_key_implILNS1_25lookback_scan_determinismE0ELb1ES3_N6thrust23THRUST_200600_302600_NS6detail15normal_iteratorINS9_10device_ptrIiEEEESE_SE_iNS9_4plusIvEENS9_8equal_toIvEEiEE10hipError_tPvRmT2_T3_T4_T5_mT6_T7_P12ihipStream_tbENKUlT_T0_E_clISt17integral_constantIbLb0EESZ_EEDaSU_SV_EUlSU_E_NS1_11comp_targetILNS1_3genE0ELNS1_11target_archE4294967295ELNS1_3gpuE0ELNS1_3repE0EEENS1_30default_config_static_selectorELNS0_4arch9wavefront6targetE1EEEvT1_
                                        ; -- End function
	.section	.AMDGPU.csdata,"",@progbits
; Kernel info:
; codeLenInByte = 0
; NumSgprs: 4
; NumVgprs: 0
; NumAgprs: 0
; TotalNumVgprs: 0
; ScratchSize: 0
; MemoryBound: 0
; FloatMode: 240
; IeeeMode: 1
; LDSByteSize: 0 bytes/workgroup (compile time only)
; SGPRBlocks: 0
; VGPRBlocks: 0
; NumSGPRsForWavesPerEU: 4
; NumVGPRsForWavesPerEU: 1
; AccumOffset: 4
; Occupancy: 8
; WaveLimiterHint : 0
; COMPUTE_PGM_RSRC2:SCRATCH_EN: 0
; COMPUTE_PGM_RSRC2:USER_SGPR: 6
; COMPUTE_PGM_RSRC2:TRAP_HANDLER: 0
; COMPUTE_PGM_RSRC2:TGID_X_EN: 1
; COMPUTE_PGM_RSRC2:TGID_Y_EN: 0
; COMPUTE_PGM_RSRC2:TGID_Z_EN: 0
; COMPUTE_PGM_RSRC2:TIDIG_COMP_CNT: 0
; COMPUTE_PGM_RSRC3_GFX90A:ACCUM_OFFSET: 0
; COMPUTE_PGM_RSRC3_GFX90A:TG_SPLIT: 0
	.section	.text._ZN7rocprim17ROCPRIM_400000_NS6detail17trampoline_kernelINS0_14default_configENS1_27scan_by_key_config_selectorIiiEEZZNS1_16scan_by_key_implILNS1_25lookback_scan_determinismE0ELb1ES3_N6thrust23THRUST_200600_302600_NS6detail15normal_iteratorINS9_10device_ptrIiEEEESE_SE_iNS9_4plusIvEENS9_8equal_toIvEEiEE10hipError_tPvRmT2_T3_T4_T5_mT6_T7_P12ihipStream_tbENKUlT_T0_E_clISt17integral_constantIbLb0EESZ_EEDaSU_SV_EUlSU_E_NS1_11comp_targetILNS1_3genE10ELNS1_11target_archE1201ELNS1_3gpuE5ELNS1_3repE0EEENS1_30default_config_static_selectorELNS0_4arch9wavefront6targetE1EEEvT1_,"axG",@progbits,_ZN7rocprim17ROCPRIM_400000_NS6detail17trampoline_kernelINS0_14default_configENS1_27scan_by_key_config_selectorIiiEEZZNS1_16scan_by_key_implILNS1_25lookback_scan_determinismE0ELb1ES3_N6thrust23THRUST_200600_302600_NS6detail15normal_iteratorINS9_10device_ptrIiEEEESE_SE_iNS9_4plusIvEENS9_8equal_toIvEEiEE10hipError_tPvRmT2_T3_T4_T5_mT6_T7_P12ihipStream_tbENKUlT_T0_E_clISt17integral_constantIbLb0EESZ_EEDaSU_SV_EUlSU_E_NS1_11comp_targetILNS1_3genE10ELNS1_11target_archE1201ELNS1_3gpuE5ELNS1_3repE0EEENS1_30default_config_static_selectorELNS0_4arch9wavefront6targetE1EEEvT1_,comdat
	.protected	_ZN7rocprim17ROCPRIM_400000_NS6detail17trampoline_kernelINS0_14default_configENS1_27scan_by_key_config_selectorIiiEEZZNS1_16scan_by_key_implILNS1_25lookback_scan_determinismE0ELb1ES3_N6thrust23THRUST_200600_302600_NS6detail15normal_iteratorINS9_10device_ptrIiEEEESE_SE_iNS9_4plusIvEENS9_8equal_toIvEEiEE10hipError_tPvRmT2_T3_T4_T5_mT6_T7_P12ihipStream_tbENKUlT_T0_E_clISt17integral_constantIbLb0EESZ_EEDaSU_SV_EUlSU_E_NS1_11comp_targetILNS1_3genE10ELNS1_11target_archE1201ELNS1_3gpuE5ELNS1_3repE0EEENS1_30default_config_static_selectorELNS0_4arch9wavefront6targetE1EEEvT1_ ; -- Begin function _ZN7rocprim17ROCPRIM_400000_NS6detail17trampoline_kernelINS0_14default_configENS1_27scan_by_key_config_selectorIiiEEZZNS1_16scan_by_key_implILNS1_25lookback_scan_determinismE0ELb1ES3_N6thrust23THRUST_200600_302600_NS6detail15normal_iteratorINS9_10device_ptrIiEEEESE_SE_iNS9_4plusIvEENS9_8equal_toIvEEiEE10hipError_tPvRmT2_T3_T4_T5_mT6_T7_P12ihipStream_tbENKUlT_T0_E_clISt17integral_constantIbLb0EESZ_EEDaSU_SV_EUlSU_E_NS1_11comp_targetILNS1_3genE10ELNS1_11target_archE1201ELNS1_3gpuE5ELNS1_3repE0EEENS1_30default_config_static_selectorELNS0_4arch9wavefront6targetE1EEEvT1_
	.globl	_ZN7rocprim17ROCPRIM_400000_NS6detail17trampoline_kernelINS0_14default_configENS1_27scan_by_key_config_selectorIiiEEZZNS1_16scan_by_key_implILNS1_25lookback_scan_determinismE0ELb1ES3_N6thrust23THRUST_200600_302600_NS6detail15normal_iteratorINS9_10device_ptrIiEEEESE_SE_iNS9_4plusIvEENS9_8equal_toIvEEiEE10hipError_tPvRmT2_T3_T4_T5_mT6_T7_P12ihipStream_tbENKUlT_T0_E_clISt17integral_constantIbLb0EESZ_EEDaSU_SV_EUlSU_E_NS1_11comp_targetILNS1_3genE10ELNS1_11target_archE1201ELNS1_3gpuE5ELNS1_3repE0EEENS1_30default_config_static_selectorELNS0_4arch9wavefront6targetE1EEEvT1_
	.p2align	8
	.type	_ZN7rocprim17ROCPRIM_400000_NS6detail17trampoline_kernelINS0_14default_configENS1_27scan_by_key_config_selectorIiiEEZZNS1_16scan_by_key_implILNS1_25lookback_scan_determinismE0ELb1ES3_N6thrust23THRUST_200600_302600_NS6detail15normal_iteratorINS9_10device_ptrIiEEEESE_SE_iNS9_4plusIvEENS9_8equal_toIvEEiEE10hipError_tPvRmT2_T3_T4_T5_mT6_T7_P12ihipStream_tbENKUlT_T0_E_clISt17integral_constantIbLb0EESZ_EEDaSU_SV_EUlSU_E_NS1_11comp_targetILNS1_3genE10ELNS1_11target_archE1201ELNS1_3gpuE5ELNS1_3repE0EEENS1_30default_config_static_selectorELNS0_4arch9wavefront6targetE1EEEvT1_,@function
_ZN7rocprim17ROCPRIM_400000_NS6detail17trampoline_kernelINS0_14default_configENS1_27scan_by_key_config_selectorIiiEEZZNS1_16scan_by_key_implILNS1_25lookback_scan_determinismE0ELb1ES3_N6thrust23THRUST_200600_302600_NS6detail15normal_iteratorINS9_10device_ptrIiEEEESE_SE_iNS9_4plusIvEENS9_8equal_toIvEEiEE10hipError_tPvRmT2_T3_T4_T5_mT6_T7_P12ihipStream_tbENKUlT_T0_E_clISt17integral_constantIbLb0EESZ_EEDaSU_SV_EUlSU_E_NS1_11comp_targetILNS1_3genE10ELNS1_11target_archE1201ELNS1_3gpuE5ELNS1_3repE0EEENS1_30default_config_static_selectorELNS0_4arch9wavefront6targetE1EEEvT1_: ; @_ZN7rocprim17ROCPRIM_400000_NS6detail17trampoline_kernelINS0_14default_configENS1_27scan_by_key_config_selectorIiiEEZZNS1_16scan_by_key_implILNS1_25lookback_scan_determinismE0ELb1ES3_N6thrust23THRUST_200600_302600_NS6detail15normal_iteratorINS9_10device_ptrIiEEEESE_SE_iNS9_4plusIvEENS9_8equal_toIvEEiEE10hipError_tPvRmT2_T3_T4_T5_mT6_T7_P12ihipStream_tbENKUlT_T0_E_clISt17integral_constantIbLb0EESZ_EEDaSU_SV_EUlSU_E_NS1_11comp_targetILNS1_3genE10ELNS1_11target_archE1201ELNS1_3gpuE5ELNS1_3repE0EEENS1_30default_config_static_selectorELNS0_4arch9wavefront6targetE1EEEvT1_
; %bb.0:
	.section	.rodata,"a",@progbits
	.p2align	6, 0x0
	.amdhsa_kernel _ZN7rocprim17ROCPRIM_400000_NS6detail17trampoline_kernelINS0_14default_configENS1_27scan_by_key_config_selectorIiiEEZZNS1_16scan_by_key_implILNS1_25lookback_scan_determinismE0ELb1ES3_N6thrust23THRUST_200600_302600_NS6detail15normal_iteratorINS9_10device_ptrIiEEEESE_SE_iNS9_4plusIvEENS9_8equal_toIvEEiEE10hipError_tPvRmT2_T3_T4_T5_mT6_T7_P12ihipStream_tbENKUlT_T0_E_clISt17integral_constantIbLb0EESZ_EEDaSU_SV_EUlSU_E_NS1_11comp_targetILNS1_3genE10ELNS1_11target_archE1201ELNS1_3gpuE5ELNS1_3repE0EEENS1_30default_config_static_selectorELNS0_4arch9wavefront6targetE1EEEvT1_
		.amdhsa_group_segment_fixed_size 0
		.amdhsa_private_segment_fixed_size 0
		.amdhsa_kernarg_size 112
		.amdhsa_user_sgpr_count 6
		.amdhsa_user_sgpr_private_segment_buffer 1
		.amdhsa_user_sgpr_dispatch_ptr 0
		.amdhsa_user_sgpr_queue_ptr 0
		.amdhsa_user_sgpr_kernarg_segment_ptr 1
		.amdhsa_user_sgpr_dispatch_id 0
		.amdhsa_user_sgpr_flat_scratch_init 0
		.amdhsa_user_sgpr_kernarg_preload_length 0
		.amdhsa_user_sgpr_kernarg_preload_offset 0
		.amdhsa_user_sgpr_private_segment_size 0
		.amdhsa_uses_dynamic_stack 0
		.amdhsa_system_sgpr_private_segment_wavefront_offset 0
		.amdhsa_system_sgpr_workgroup_id_x 1
		.amdhsa_system_sgpr_workgroup_id_y 0
		.amdhsa_system_sgpr_workgroup_id_z 0
		.amdhsa_system_sgpr_workgroup_info 0
		.amdhsa_system_vgpr_workitem_id 0
		.amdhsa_next_free_vgpr 1
		.amdhsa_next_free_sgpr 0
		.amdhsa_accum_offset 4
		.amdhsa_reserve_vcc 0
		.amdhsa_reserve_flat_scratch 0
		.amdhsa_float_round_mode_32 0
		.amdhsa_float_round_mode_16_64 0
		.amdhsa_float_denorm_mode_32 3
		.amdhsa_float_denorm_mode_16_64 3
		.amdhsa_dx10_clamp 1
		.amdhsa_ieee_mode 1
		.amdhsa_fp16_overflow 0
		.amdhsa_tg_split 0
		.amdhsa_exception_fp_ieee_invalid_op 0
		.amdhsa_exception_fp_denorm_src 0
		.amdhsa_exception_fp_ieee_div_zero 0
		.amdhsa_exception_fp_ieee_overflow 0
		.amdhsa_exception_fp_ieee_underflow 0
		.amdhsa_exception_fp_ieee_inexact 0
		.amdhsa_exception_int_div_zero 0
	.end_amdhsa_kernel
	.section	.text._ZN7rocprim17ROCPRIM_400000_NS6detail17trampoline_kernelINS0_14default_configENS1_27scan_by_key_config_selectorIiiEEZZNS1_16scan_by_key_implILNS1_25lookback_scan_determinismE0ELb1ES3_N6thrust23THRUST_200600_302600_NS6detail15normal_iteratorINS9_10device_ptrIiEEEESE_SE_iNS9_4plusIvEENS9_8equal_toIvEEiEE10hipError_tPvRmT2_T3_T4_T5_mT6_T7_P12ihipStream_tbENKUlT_T0_E_clISt17integral_constantIbLb0EESZ_EEDaSU_SV_EUlSU_E_NS1_11comp_targetILNS1_3genE10ELNS1_11target_archE1201ELNS1_3gpuE5ELNS1_3repE0EEENS1_30default_config_static_selectorELNS0_4arch9wavefront6targetE1EEEvT1_,"axG",@progbits,_ZN7rocprim17ROCPRIM_400000_NS6detail17trampoline_kernelINS0_14default_configENS1_27scan_by_key_config_selectorIiiEEZZNS1_16scan_by_key_implILNS1_25lookback_scan_determinismE0ELb1ES3_N6thrust23THRUST_200600_302600_NS6detail15normal_iteratorINS9_10device_ptrIiEEEESE_SE_iNS9_4plusIvEENS9_8equal_toIvEEiEE10hipError_tPvRmT2_T3_T4_T5_mT6_T7_P12ihipStream_tbENKUlT_T0_E_clISt17integral_constantIbLb0EESZ_EEDaSU_SV_EUlSU_E_NS1_11comp_targetILNS1_3genE10ELNS1_11target_archE1201ELNS1_3gpuE5ELNS1_3repE0EEENS1_30default_config_static_selectorELNS0_4arch9wavefront6targetE1EEEvT1_,comdat
.Lfunc_end462:
	.size	_ZN7rocprim17ROCPRIM_400000_NS6detail17trampoline_kernelINS0_14default_configENS1_27scan_by_key_config_selectorIiiEEZZNS1_16scan_by_key_implILNS1_25lookback_scan_determinismE0ELb1ES3_N6thrust23THRUST_200600_302600_NS6detail15normal_iteratorINS9_10device_ptrIiEEEESE_SE_iNS9_4plusIvEENS9_8equal_toIvEEiEE10hipError_tPvRmT2_T3_T4_T5_mT6_T7_P12ihipStream_tbENKUlT_T0_E_clISt17integral_constantIbLb0EESZ_EEDaSU_SV_EUlSU_E_NS1_11comp_targetILNS1_3genE10ELNS1_11target_archE1201ELNS1_3gpuE5ELNS1_3repE0EEENS1_30default_config_static_selectorELNS0_4arch9wavefront6targetE1EEEvT1_, .Lfunc_end462-_ZN7rocprim17ROCPRIM_400000_NS6detail17trampoline_kernelINS0_14default_configENS1_27scan_by_key_config_selectorIiiEEZZNS1_16scan_by_key_implILNS1_25lookback_scan_determinismE0ELb1ES3_N6thrust23THRUST_200600_302600_NS6detail15normal_iteratorINS9_10device_ptrIiEEEESE_SE_iNS9_4plusIvEENS9_8equal_toIvEEiEE10hipError_tPvRmT2_T3_T4_T5_mT6_T7_P12ihipStream_tbENKUlT_T0_E_clISt17integral_constantIbLb0EESZ_EEDaSU_SV_EUlSU_E_NS1_11comp_targetILNS1_3genE10ELNS1_11target_archE1201ELNS1_3gpuE5ELNS1_3repE0EEENS1_30default_config_static_selectorELNS0_4arch9wavefront6targetE1EEEvT1_
                                        ; -- End function
	.section	.AMDGPU.csdata,"",@progbits
; Kernel info:
; codeLenInByte = 0
; NumSgprs: 4
; NumVgprs: 0
; NumAgprs: 0
; TotalNumVgprs: 0
; ScratchSize: 0
; MemoryBound: 0
; FloatMode: 240
; IeeeMode: 1
; LDSByteSize: 0 bytes/workgroup (compile time only)
; SGPRBlocks: 0
; VGPRBlocks: 0
; NumSGPRsForWavesPerEU: 4
; NumVGPRsForWavesPerEU: 1
; AccumOffset: 4
; Occupancy: 8
; WaveLimiterHint : 0
; COMPUTE_PGM_RSRC2:SCRATCH_EN: 0
; COMPUTE_PGM_RSRC2:USER_SGPR: 6
; COMPUTE_PGM_RSRC2:TRAP_HANDLER: 0
; COMPUTE_PGM_RSRC2:TGID_X_EN: 1
; COMPUTE_PGM_RSRC2:TGID_Y_EN: 0
; COMPUTE_PGM_RSRC2:TGID_Z_EN: 0
; COMPUTE_PGM_RSRC2:TIDIG_COMP_CNT: 0
; COMPUTE_PGM_RSRC3_GFX90A:ACCUM_OFFSET: 0
; COMPUTE_PGM_RSRC3_GFX90A:TG_SPLIT: 0
	.section	.text._ZN7rocprim17ROCPRIM_400000_NS6detail17trampoline_kernelINS0_14default_configENS1_27scan_by_key_config_selectorIiiEEZZNS1_16scan_by_key_implILNS1_25lookback_scan_determinismE0ELb1ES3_N6thrust23THRUST_200600_302600_NS6detail15normal_iteratorINS9_10device_ptrIiEEEESE_SE_iNS9_4plusIvEENS9_8equal_toIvEEiEE10hipError_tPvRmT2_T3_T4_T5_mT6_T7_P12ihipStream_tbENKUlT_T0_E_clISt17integral_constantIbLb0EESZ_EEDaSU_SV_EUlSU_E_NS1_11comp_targetILNS1_3genE5ELNS1_11target_archE942ELNS1_3gpuE9ELNS1_3repE0EEENS1_30default_config_static_selectorELNS0_4arch9wavefront6targetE1EEEvT1_,"axG",@progbits,_ZN7rocprim17ROCPRIM_400000_NS6detail17trampoline_kernelINS0_14default_configENS1_27scan_by_key_config_selectorIiiEEZZNS1_16scan_by_key_implILNS1_25lookback_scan_determinismE0ELb1ES3_N6thrust23THRUST_200600_302600_NS6detail15normal_iteratorINS9_10device_ptrIiEEEESE_SE_iNS9_4plusIvEENS9_8equal_toIvEEiEE10hipError_tPvRmT2_T3_T4_T5_mT6_T7_P12ihipStream_tbENKUlT_T0_E_clISt17integral_constantIbLb0EESZ_EEDaSU_SV_EUlSU_E_NS1_11comp_targetILNS1_3genE5ELNS1_11target_archE942ELNS1_3gpuE9ELNS1_3repE0EEENS1_30default_config_static_selectorELNS0_4arch9wavefront6targetE1EEEvT1_,comdat
	.protected	_ZN7rocprim17ROCPRIM_400000_NS6detail17trampoline_kernelINS0_14default_configENS1_27scan_by_key_config_selectorIiiEEZZNS1_16scan_by_key_implILNS1_25lookback_scan_determinismE0ELb1ES3_N6thrust23THRUST_200600_302600_NS6detail15normal_iteratorINS9_10device_ptrIiEEEESE_SE_iNS9_4plusIvEENS9_8equal_toIvEEiEE10hipError_tPvRmT2_T3_T4_T5_mT6_T7_P12ihipStream_tbENKUlT_T0_E_clISt17integral_constantIbLb0EESZ_EEDaSU_SV_EUlSU_E_NS1_11comp_targetILNS1_3genE5ELNS1_11target_archE942ELNS1_3gpuE9ELNS1_3repE0EEENS1_30default_config_static_selectorELNS0_4arch9wavefront6targetE1EEEvT1_ ; -- Begin function _ZN7rocprim17ROCPRIM_400000_NS6detail17trampoline_kernelINS0_14default_configENS1_27scan_by_key_config_selectorIiiEEZZNS1_16scan_by_key_implILNS1_25lookback_scan_determinismE0ELb1ES3_N6thrust23THRUST_200600_302600_NS6detail15normal_iteratorINS9_10device_ptrIiEEEESE_SE_iNS9_4plusIvEENS9_8equal_toIvEEiEE10hipError_tPvRmT2_T3_T4_T5_mT6_T7_P12ihipStream_tbENKUlT_T0_E_clISt17integral_constantIbLb0EESZ_EEDaSU_SV_EUlSU_E_NS1_11comp_targetILNS1_3genE5ELNS1_11target_archE942ELNS1_3gpuE9ELNS1_3repE0EEENS1_30default_config_static_selectorELNS0_4arch9wavefront6targetE1EEEvT1_
	.globl	_ZN7rocprim17ROCPRIM_400000_NS6detail17trampoline_kernelINS0_14default_configENS1_27scan_by_key_config_selectorIiiEEZZNS1_16scan_by_key_implILNS1_25lookback_scan_determinismE0ELb1ES3_N6thrust23THRUST_200600_302600_NS6detail15normal_iteratorINS9_10device_ptrIiEEEESE_SE_iNS9_4plusIvEENS9_8equal_toIvEEiEE10hipError_tPvRmT2_T3_T4_T5_mT6_T7_P12ihipStream_tbENKUlT_T0_E_clISt17integral_constantIbLb0EESZ_EEDaSU_SV_EUlSU_E_NS1_11comp_targetILNS1_3genE5ELNS1_11target_archE942ELNS1_3gpuE9ELNS1_3repE0EEENS1_30default_config_static_selectorELNS0_4arch9wavefront6targetE1EEEvT1_
	.p2align	8
	.type	_ZN7rocprim17ROCPRIM_400000_NS6detail17trampoline_kernelINS0_14default_configENS1_27scan_by_key_config_selectorIiiEEZZNS1_16scan_by_key_implILNS1_25lookback_scan_determinismE0ELb1ES3_N6thrust23THRUST_200600_302600_NS6detail15normal_iteratorINS9_10device_ptrIiEEEESE_SE_iNS9_4plusIvEENS9_8equal_toIvEEiEE10hipError_tPvRmT2_T3_T4_T5_mT6_T7_P12ihipStream_tbENKUlT_T0_E_clISt17integral_constantIbLb0EESZ_EEDaSU_SV_EUlSU_E_NS1_11comp_targetILNS1_3genE5ELNS1_11target_archE942ELNS1_3gpuE9ELNS1_3repE0EEENS1_30default_config_static_selectorELNS0_4arch9wavefront6targetE1EEEvT1_,@function
_ZN7rocprim17ROCPRIM_400000_NS6detail17trampoline_kernelINS0_14default_configENS1_27scan_by_key_config_selectorIiiEEZZNS1_16scan_by_key_implILNS1_25lookback_scan_determinismE0ELb1ES3_N6thrust23THRUST_200600_302600_NS6detail15normal_iteratorINS9_10device_ptrIiEEEESE_SE_iNS9_4plusIvEENS9_8equal_toIvEEiEE10hipError_tPvRmT2_T3_T4_T5_mT6_T7_P12ihipStream_tbENKUlT_T0_E_clISt17integral_constantIbLb0EESZ_EEDaSU_SV_EUlSU_E_NS1_11comp_targetILNS1_3genE5ELNS1_11target_archE942ELNS1_3gpuE9ELNS1_3repE0EEENS1_30default_config_static_selectorELNS0_4arch9wavefront6targetE1EEEvT1_: ; @_ZN7rocprim17ROCPRIM_400000_NS6detail17trampoline_kernelINS0_14default_configENS1_27scan_by_key_config_selectorIiiEEZZNS1_16scan_by_key_implILNS1_25lookback_scan_determinismE0ELb1ES3_N6thrust23THRUST_200600_302600_NS6detail15normal_iteratorINS9_10device_ptrIiEEEESE_SE_iNS9_4plusIvEENS9_8equal_toIvEEiEE10hipError_tPvRmT2_T3_T4_T5_mT6_T7_P12ihipStream_tbENKUlT_T0_E_clISt17integral_constantIbLb0EESZ_EEDaSU_SV_EUlSU_E_NS1_11comp_targetILNS1_3genE5ELNS1_11target_archE942ELNS1_3gpuE9ELNS1_3repE0EEENS1_30default_config_static_selectorELNS0_4arch9wavefront6targetE1EEEvT1_
; %bb.0:
	.section	.rodata,"a",@progbits
	.p2align	6, 0x0
	.amdhsa_kernel _ZN7rocprim17ROCPRIM_400000_NS6detail17trampoline_kernelINS0_14default_configENS1_27scan_by_key_config_selectorIiiEEZZNS1_16scan_by_key_implILNS1_25lookback_scan_determinismE0ELb1ES3_N6thrust23THRUST_200600_302600_NS6detail15normal_iteratorINS9_10device_ptrIiEEEESE_SE_iNS9_4plusIvEENS9_8equal_toIvEEiEE10hipError_tPvRmT2_T3_T4_T5_mT6_T7_P12ihipStream_tbENKUlT_T0_E_clISt17integral_constantIbLb0EESZ_EEDaSU_SV_EUlSU_E_NS1_11comp_targetILNS1_3genE5ELNS1_11target_archE942ELNS1_3gpuE9ELNS1_3repE0EEENS1_30default_config_static_selectorELNS0_4arch9wavefront6targetE1EEEvT1_
		.amdhsa_group_segment_fixed_size 0
		.amdhsa_private_segment_fixed_size 0
		.amdhsa_kernarg_size 112
		.amdhsa_user_sgpr_count 6
		.amdhsa_user_sgpr_private_segment_buffer 1
		.amdhsa_user_sgpr_dispatch_ptr 0
		.amdhsa_user_sgpr_queue_ptr 0
		.amdhsa_user_sgpr_kernarg_segment_ptr 1
		.amdhsa_user_sgpr_dispatch_id 0
		.amdhsa_user_sgpr_flat_scratch_init 0
		.amdhsa_user_sgpr_kernarg_preload_length 0
		.amdhsa_user_sgpr_kernarg_preload_offset 0
		.amdhsa_user_sgpr_private_segment_size 0
		.amdhsa_uses_dynamic_stack 0
		.amdhsa_system_sgpr_private_segment_wavefront_offset 0
		.amdhsa_system_sgpr_workgroup_id_x 1
		.amdhsa_system_sgpr_workgroup_id_y 0
		.amdhsa_system_sgpr_workgroup_id_z 0
		.amdhsa_system_sgpr_workgroup_info 0
		.amdhsa_system_vgpr_workitem_id 0
		.amdhsa_next_free_vgpr 1
		.amdhsa_next_free_sgpr 0
		.amdhsa_accum_offset 4
		.amdhsa_reserve_vcc 0
		.amdhsa_reserve_flat_scratch 0
		.amdhsa_float_round_mode_32 0
		.amdhsa_float_round_mode_16_64 0
		.amdhsa_float_denorm_mode_32 3
		.amdhsa_float_denorm_mode_16_64 3
		.amdhsa_dx10_clamp 1
		.amdhsa_ieee_mode 1
		.amdhsa_fp16_overflow 0
		.amdhsa_tg_split 0
		.amdhsa_exception_fp_ieee_invalid_op 0
		.amdhsa_exception_fp_denorm_src 0
		.amdhsa_exception_fp_ieee_div_zero 0
		.amdhsa_exception_fp_ieee_overflow 0
		.amdhsa_exception_fp_ieee_underflow 0
		.amdhsa_exception_fp_ieee_inexact 0
		.amdhsa_exception_int_div_zero 0
	.end_amdhsa_kernel
	.section	.text._ZN7rocprim17ROCPRIM_400000_NS6detail17trampoline_kernelINS0_14default_configENS1_27scan_by_key_config_selectorIiiEEZZNS1_16scan_by_key_implILNS1_25lookback_scan_determinismE0ELb1ES3_N6thrust23THRUST_200600_302600_NS6detail15normal_iteratorINS9_10device_ptrIiEEEESE_SE_iNS9_4plusIvEENS9_8equal_toIvEEiEE10hipError_tPvRmT2_T3_T4_T5_mT6_T7_P12ihipStream_tbENKUlT_T0_E_clISt17integral_constantIbLb0EESZ_EEDaSU_SV_EUlSU_E_NS1_11comp_targetILNS1_3genE5ELNS1_11target_archE942ELNS1_3gpuE9ELNS1_3repE0EEENS1_30default_config_static_selectorELNS0_4arch9wavefront6targetE1EEEvT1_,"axG",@progbits,_ZN7rocprim17ROCPRIM_400000_NS6detail17trampoline_kernelINS0_14default_configENS1_27scan_by_key_config_selectorIiiEEZZNS1_16scan_by_key_implILNS1_25lookback_scan_determinismE0ELb1ES3_N6thrust23THRUST_200600_302600_NS6detail15normal_iteratorINS9_10device_ptrIiEEEESE_SE_iNS9_4plusIvEENS9_8equal_toIvEEiEE10hipError_tPvRmT2_T3_T4_T5_mT6_T7_P12ihipStream_tbENKUlT_T0_E_clISt17integral_constantIbLb0EESZ_EEDaSU_SV_EUlSU_E_NS1_11comp_targetILNS1_3genE5ELNS1_11target_archE942ELNS1_3gpuE9ELNS1_3repE0EEENS1_30default_config_static_selectorELNS0_4arch9wavefront6targetE1EEEvT1_,comdat
.Lfunc_end463:
	.size	_ZN7rocprim17ROCPRIM_400000_NS6detail17trampoline_kernelINS0_14default_configENS1_27scan_by_key_config_selectorIiiEEZZNS1_16scan_by_key_implILNS1_25lookback_scan_determinismE0ELb1ES3_N6thrust23THRUST_200600_302600_NS6detail15normal_iteratorINS9_10device_ptrIiEEEESE_SE_iNS9_4plusIvEENS9_8equal_toIvEEiEE10hipError_tPvRmT2_T3_T4_T5_mT6_T7_P12ihipStream_tbENKUlT_T0_E_clISt17integral_constantIbLb0EESZ_EEDaSU_SV_EUlSU_E_NS1_11comp_targetILNS1_3genE5ELNS1_11target_archE942ELNS1_3gpuE9ELNS1_3repE0EEENS1_30default_config_static_selectorELNS0_4arch9wavefront6targetE1EEEvT1_, .Lfunc_end463-_ZN7rocprim17ROCPRIM_400000_NS6detail17trampoline_kernelINS0_14default_configENS1_27scan_by_key_config_selectorIiiEEZZNS1_16scan_by_key_implILNS1_25lookback_scan_determinismE0ELb1ES3_N6thrust23THRUST_200600_302600_NS6detail15normal_iteratorINS9_10device_ptrIiEEEESE_SE_iNS9_4plusIvEENS9_8equal_toIvEEiEE10hipError_tPvRmT2_T3_T4_T5_mT6_T7_P12ihipStream_tbENKUlT_T0_E_clISt17integral_constantIbLb0EESZ_EEDaSU_SV_EUlSU_E_NS1_11comp_targetILNS1_3genE5ELNS1_11target_archE942ELNS1_3gpuE9ELNS1_3repE0EEENS1_30default_config_static_selectorELNS0_4arch9wavefront6targetE1EEEvT1_
                                        ; -- End function
	.section	.AMDGPU.csdata,"",@progbits
; Kernel info:
; codeLenInByte = 0
; NumSgprs: 4
; NumVgprs: 0
; NumAgprs: 0
; TotalNumVgprs: 0
; ScratchSize: 0
; MemoryBound: 0
; FloatMode: 240
; IeeeMode: 1
; LDSByteSize: 0 bytes/workgroup (compile time only)
; SGPRBlocks: 0
; VGPRBlocks: 0
; NumSGPRsForWavesPerEU: 4
; NumVGPRsForWavesPerEU: 1
; AccumOffset: 4
; Occupancy: 8
; WaveLimiterHint : 0
; COMPUTE_PGM_RSRC2:SCRATCH_EN: 0
; COMPUTE_PGM_RSRC2:USER_SGPR: 6
; COMPUTE_PGM_RSRC2:TRAP_HANDLER: 0
; COMPUTE_PGM_RSRC2:TGID_X_EN: 1
; COMPUTE_PGM_RSRC2:TGID_Y_EN: 0
; COMPUTE_PGM_RSRC2:TGID_Z_EN: 0
; COMPUTE_PGM_RSRC2:TIDIG_COMP_CNT: 0
; COMPUTE_PGM_RSRC3_GFX90A:ACCUM_OFFSET: 0
; COMPUTE_PGM_RSRC3_GFX90A:TG_SPLIT: 0
	.section	.text._ZN7rocprim17ROCPRIM_400000_NS6detail17trampoline_kernelINS0_14default_configENS1_27scan_by_key_config_selectorIiiEEZZNS1_16scan_by_key_implILNS1_25lookback_scan_determinismE0ELb1ES3_N6thrust23THRUST_200600_302600_NS6detail15normal_iteratorINS9_10device_ptrIiEEEESE_SE_iNS9_4plusIvEENS9_8equal_toIvEEiEE10hipError_tPvRmT2_T3_T4_T5_mT6_T7_P12ihipStream_tbENKUlT_T0_E_clISt17integral_constantIbLb0EESZ_EEDaSU_SV_EUlSU_E_NS1_11comp_targetILNS1_3genE4ELNS1_11target_archE910ELNS1_3gpuE8ELNS1_3repE0EEENS1_30default_config_static_selectorELNS0_4arch9wavefront6targetE1EEEvT1_,"axG",@progbits,_ZN7rocprim17ROCPRIM_400000_NS6detail17trampoline_kernelINS0_14default_configENS1_27scan_by_key_config_selectorIiiEEZZNS1_16scan_by_key_implILNS1_25lookback_scan_determinismE0ELb1ES3_N6thrust23THRUST_200600_302600_NS6detail15normal_iteratorINS9_10device_ptrIiEEEESE_SE_iNS9_4plusIvEENS9_8equal_toIvEEiEE10hipError_tPvRmT2_T3_T4_T5_mT6_T7_P12ihipStream_tbENKUlT_T0_E_clISt17integral_constantIbLb0EESZ_EEDaSU_SV_EUlSU_E_NS1_11comp_targetILNS1_3genE4ELNS1_11target_archE910ELNS1_3gpuE8ELNS1_3repE0EEENS1_30default_config_static_selectorELNS0_4arch9wavefront6targetE1EEEvT1_,comdat
	.protected	_ZN7rocprim17ROCPRIM_400000_NS6detail17trampoline_kernelINS0_14default_configENS1_27scan_by_key_config_selectorIiiEEZZNS1_16scan_by_key_implILNS1_25lookback_scan_determinismE0ELb1ES3_N6thrust23THRUST_200600_302600_NS6detail15normal_iteratorINS9_10device_ptrIiEEEESE_SE_iNS9_4plusIvEENS9_8equal_toIvEEiEE10hipError_tPvRmT2_T3_T4_T5_mT6_T7_P12ihipStream_tbENKUlT_T0_E_clISt17integral_constantIbLb0EESZ_EEDaSU_SV_EUlSU_E_NS1_11comp_targetILNS1_3genE4ELNS1_11target_archE910ELNS1_3gpuE8ELNS1_3repE0EEENS1_30default_config_static_selectorELNS0_4arch9wavefront6targetE1EEEvT1_ ; -- Begin function _ZN7rocprim17ROCPRIM_400000_NS6detail17trampoline_kernelINS0_14default_configENS1_27scan_by_key_config_selectorIiiEEZZNS1_16scan_by_key_implILNS1_25lookback_scan_determinismE0ELb1ES3_N6thrust23THRUST_200600_302600_NS6detail15normal_iteratorINS9_10device_ptrIiEEEESE_SE_iNS9_4plusIvEENS9_8equal_toIvEEiEE10hipError_tPvRmT2_T3_T4_T5_mT6_T7_P12ihipStream_tbENKUlT_T0_E_clISt17integral_constantIbLb0EESZ_EEDaSU_SV_EUlSU_E_NS1_11comp_targetILNS1_3genE4ELNS1_11target_archE910ELNS1_3gpuE8ELNS1_3repE0EEENS1_30default_config_static_selectorELNS0_4arch9wavefront6targetE1EEEvT1_
	.globl	_ZN7rocprim17ROCPRIM_400000_NS6detail17trampoline_kernelINS0_14default_configENS1_27scan_by_key_config_selectorIiiEEZZNS1_16scan_by_key_implILNS1_25lookback_scan_determinismE0ELb1ES3_N6thrust23THRUST_200600_302600_NS6detail15normal_iteratorINS9_10device_ptrIiEEEESE_SE_iNS9_4plusIvEENS9_8equal_toIvEEiEE10hipError_tPvRmT2_T3_T4_T5_mT6_T7_P12ihipStream_tbENKUlT_T0_E_clISt17integral_constantIbLb0EESZ_EEDaSU_SV_EUlSU_E_NS1_11comp_targetILNS1_3genE4ELNS1_11target_archE910ELNS1_3gpuE8ELNS1_3repE0EEENS1_30default_config_static_selectorELNS0_4arch9wavefront6targetE1EEEvT1_
	.p2align	8
	.type	_ZN7rocprim17ROCPRIM_400000_NS6detail17trampoline_kernelINS0_14default_configENS1_27scan_by_key_config_selectorIiiEEZZNS1_16scan_by_key_implILNS1_25lookback_scan_determinismE0ELb1ES3_N6thrust23THRUST_200600_302600_NS6detail15normal_iteratorINS9_10device_ptrIiEEEESE_SE_iNS9_4plusIvEENS9_8equal_toIvEEiEE10hipError_tPvRmT2_T3_T4_T5_mT6_T7_P12ihipStream_tbENKUlT_T0_E_clISt17integral_constantIbLb0EESZ_EEDaSU_SV_EUlSU_E_NS1_11comp_targetILNS1_3genE4ELNS1_11target_archE910ELNS1_3gpuE8ELNS1_3repE0EEENS1_30default_config_static_selectorELNS0_4arch9wavefront6targetE1EEEvT1_,@function
_ZN7rocprim17ROCPRIM_400000_NS6detail17trampoline_kernelINS0_14default_configENS1_27scan_by_key_config_selectorIiiEEZZNS1_16scan_by_key_implILNS1_25lookback_scan_determinismE0ELb1ES3_N6thrust23THRUST_200600_302600_NS6detail15normal_iteratorINS9_10device_ptrIiEEEESE_SE_iNS9_4plusIvEENS9_8equal_toIvEEiEE10hipError_tPvRmT2_T3_T4_T5_mT6_T7_P12ihipStream_tbENKUlT_T0_E_clISt17integral_constantIbLb0EESZ_EEDaSU_SV_EUlSU_E_NS1_11comp_targetILNS1_3genE4ELNS1_11target_archE910ELNS1_3gpuE8ELNS1_3repE0EEENS1_30default_config_static_selectorELNS0_4arch9wavefront6targetE1EEEvT1_: ; @_ZN7rocprim17ROCPRIM_400000_NS6detail17trampoline_kernelINS0_14default_configENS1_27scan_by_key_config_selectorIiiEEZZNS1_16scan_by_key_implILNS1_25lookback_scan_determinismE0ELb1ES3_N6thrust23THRUST_200600_302600_NS6detail15normal_iteratorINS9_10device_ptrIiEEEESE_SE_iNS9_4plusIvEENS9_8equal_toIvEEiEE10hipError_tPvRmT2_T3_T4_T5_mT6_T7_P12ihipStream_tbENKUlT_T0_E_clISt17integral_constantIbLb0EESZ_EEDaSU_SV_EUlSU_E_NS1_11comp_targetILNS1_3genE4ELNS1_11target_archE910ELNS1_3gpuE8ELNS1_3repE0EEENS1_30default_config_static_selectorELNS0_4arch9wavefront6targetE1EEEvT1_
; %bb.0:
	s_load_dwordx8 s[36:43], s[4:5], 0x0
	s_load_dword s56, s[4:5], 0x20
	s_load_dwordx4 s[44:47], s[4:5], 0x28
	s_load_dwordx2 s[52:53], s[4:5], 0x38
	s_load_dword s0, s[4:5], 0x40
	s_load_dwordx4 s[48:51], s[4:5], 0x48
	s_waitcnt lgkmcnt(0)
	s_lshl_b64 s[34:35], s[38:39], 2
	s_add_u32 s2, s36, s34
	s_addc_u32 s3, s37, s35
	s_add_u32 s4, s40, s34
	s_mul_i32 s1, s53, s0
	s_mul_hi_u32 s7, s52, s0
	s_addc_u32 s5, s41, s35
	s_add_i32 s8, s7, s1
	s_mul_i32 s9, s52, s0
	s_mul_i32 s0, s6, 0xe00
	s_mov_b32 s1, 0
	s_lshl_b64 s[36:37], s[0:1], 2
	s_add_u32 s38, s2, s36
	s_addc_u32 s39, s3, s37
	s_add_u32 s7, s4, s36
	s_addc_u32 s47, s5, s37
	;; [unrolled: 2-line block ×3, first 2 shown]
	s_add_u32 s4, s48, -1
	s_addc_u32 s5, s49, -1
	v_pk_mov_b32 v[2:3], s[4:5], s[4:5] op_sel:[0,1]
	v_cmp_ge_u64_e64 s[0:1], s[0:1], v[2:3]
	s_mov_b64 s[2:3], -1
	s_and_b64 vcc, exec, s[0:1]
	s_mul_i32 s33, s4, 0xfffff200
	s_barrier
	s_cbranch_vccz .LBB464_76
; %bb.1:
	v_pk_mov_b32 v[2:3], s[38:39], s[38:39] op_sel:[0,1]
	flat_load_dword v1, v[2:3]
	s_add_i32 s54, s33, s46
	v_cmp_gt_u32_e32 vcc, s54, v0
	s_waitcnt vmcnt(0) lgkmcnt(0)
	v_mov_b32_e32 v13, v1
	s_and_saveexec_b64 s[4:5], vcc
	s_cbranch_execz .LBB464_3
; %bb.2:
	v_lshlrev_b32_e32 v2, 2, v0
	v_mov_b32_e32 v3, s39
	v_add_co_u32_e64 v2, s[2:3], s38, v2
	v_addc_co_u32_e64 v3, s[2:3], 0, v3, s[2:3]
	flat_load_dword v13, v[2:3]
.LBB464_3:
	s_or_b64 exec, exec, s[4:5]
	v_or_b32_e32 v2, 0x100, v0
	v_cmp_gt_u32_e64 s[2:3], s54, v2
	v_mov_b32_e32 v14, v1
	s_and_saveexec_b64 s[8:9], s[2:3]
	s_cbranch_execz .LBB464_5
; %bb.4:
	v_lshlrev_b32_e32 v2, 2, v0
	v_mov_b32_e32 v3, s39
	v_add_co_u32_e64 v2, s[4:5], s38, v2
	v_addc_co_u32_e64 v3, s[4:5], 0, v3, s[4:5]
	flat_load_dword v14, v[2:3] offset:1024
.LBB464_5:
	s_or_b64 exec, exec, s[8:9]
	v_or_b32_e32 v2, 0x200, v0
	v_cmp_gt_u32_e64 s[4:5], s54, v2
	v_mov_b32_e32 v15, v1
	s_and_saveexec_b64 s[10:11], s[4:5]
	s_cbranch_execz .LBB464_7
; %bb.6:
	v_lshlrev_b32_e32 v2, 2, v0
	v_mov_b32_e32 v3, s39
	v_add_co_u32_e64 v2, s[8:9], s38, v2
	v_addc_co_u32_e64 v3, s[8:9], 0, v3, s[8:9]
	flat_load_dword v15, v[2:3] offset:2048
.LBB464_7:
	;; [unrolled: 13-line block ×3, first 2 shown]
	s_or_b64 exec, exec, s[10:11]
	v_or_b32_e32 v2, 0x400, v0
	v_cmp_gt_u32_e64 s[8:9], s54, v2
	v_lshlrev_b32_e32 v2, 2, v2
	v_mov_b32_e32 v17, v1
	s_and_saveexec_b64 s[12:13], s[8:9]
	s_cbranch_execz .LBB464_11
; %bb.10:
	v_mov_b32_e32 v3, s39
	v_add_co_u32_e64 v4, s[10:11], s38, v2
	v_addc_co_u32_e64 v5, s[10:11], 0, v3, s[10:11]
	flat_load_dword v17, v[4:5]
.LBB464_11:
	s_or_b64 exec, exec, s[12:13]
	v_or_b32_e32 v3, 0x500, v0
	v_cmp_gt_u32_e64 s[10:11], s54, v3
	v_lshlrev_b32_e32 v3, 2, v3
	v_mov_b32_e32 v18, v1
	s_and_saveexec_b64 s[14:15], s[10:11]
	s_cbranch_execz .LBB464_13
; %bb.12:
	v_mov_b32_e32 v5, s39
	v_add_co_u32_e64 v4, s[12:13], s38, v3
	v_addc_co_u32_e64 v5, s[12:13], 0, v5, s[12:13]
	flat_load_dword v18, v[4:5]
.LBB464_13:
	;; [unrolled: 13-line block ×9, first 2 shown]
	s_or_b64 exec, exec, s[30:31]
	v_or_b32_e32 v11, 0xd00, v0
	v_cmp_gt_u32_e64 s[26:27], s54, v11
	v_lshlrev_b32_e32 v11, 2, v11
	s_and_saveexec_b64 s[40:41], s[26:27]
	s_cbranch_execz .LBB464_29
; %bb.28:
	v_mov_b32_e32 v1, s39
	v_add_co_u32_e64 v26, s[30:31], s38, v11
	v_addc_co_u32_e64 v27, s[30:31], 0, v1, s[30:31]
	flat_load_dword v1, v[26:27]
.LBB464_29:
	s_or_b64 exec, exec, s[40:41]
	v_lshlrev_b32_e32 v12, 2, v0
	s_waitcnt vmcnt(0) lgkmcnt(0)
	ds_write2st64_b32 v12, v13, v14 offset1:4
	ds_write2st64_b32 v12, v15, v16 offset0:8 offset1:12
	ds_write2st64_b32 v12, v17, v18 offset0:16 offset1:20
	;; [unrolled: 1-line block ×6, first 2 shown]
	v_pk_mov_b32 v[14:15], s[38:39], s[38:39] op_sel:[0,1]
	s_waitcnt lgkmcnt(0)
	s_barrier
	flat_load_dword v1, v[14:15]
	v_mad_u32_u24 v44, v0, 52, v12
	s_movk_i32 s30, 0xffcc
	ds_read2_b64 v[34:37], v44 offset1:1
	ds_read2_b64 v[30:33], v44 offset0:2 offset1:3
	ds_read2_b64 v[26:29], v44 offset0:4 offset1:5
	ds_read_b64 v[40:41], v44 offset:48
	v_mad_i32_i24 v13, v0, s30, v44
	s_movk_i32 s30, 0xff
	v_cmp_ne_u32_e64 s[30:31], s30, v0
	s_waitcnt lgkmcnt(0)
	ds_write_b32 v13, v34 offset:15360
	s_waitcnt lgkmcnt(0)
	s_barrier
	s_and_saveexec_b64 s[40:41], s[30:31]
	s_cbranch_execz .LBB464_31
; %bb.30:
	s_waitcnt vmcnt(0)
	ds_read_b32 v1, v12 offset:15364
.LBB464_31:
	s_or_b64 exec, exec, s[40:41]
	s_waitcnt lgkmcnt(0)
	s_barrier
	s_waitcnt lgkmcnt(0)
                                        ; implicit-def: $vgpr13
	s_and_saveexec_b64 s[30:31], vcc
	s_cbranch_execz .LBB464_113
; %bb.32:
	v_mov_b32_e32 v13, s47
	v_add_co_u32_e32 v14, vcc, s7, v12
	v_addc_co_u32_e32 v15, vcc, 0, v13, vcc
	flat_load_dword v13, v[14:15]
	s_or_b64 exec, exec, s[30:31]
                                        ; implicit-def: $vgpr14
	s_and_saveexec_b64 s[30:31], s[2:3]
	s_cbranch_execnz .LBB464_114
.LBB464_33:
	s_or_b64 exec, exec, s[30:31]
                                        ; implicit-def: $vgpr15
	s_and_saveexec_b64 s[2:3], s[4:5]
	s_cbranch_execz .LBB464_115
.LBB464_34:
	v_mov_b32_e32 v15, s47
	v_add_co_u32_e32 v16, vcc, s7, v12
	v_addc_co_u32_e32 v17, vcc, 0, v15, vcc
	flat_load_dword v15, v[16:17] offset:2048
	s_or_b64 exec, exec, s[2:3]
                                        ; implicit-def: $vgpr16
	s_and_saveexec_b64 s[2:3], s[28:29]
	s_cbranch_execnz .LBB464_116
.LBB464_35:
	s_or_b64 exec, exec, s[2:3]
                                        ; implicit-def: $vgpr17
	s_and_saveexec_b64 s[2:3], s[8:9]
	s_cbranch_execz .LBB464_117
.LBB464_36:
	v_mov_b32_e32 v17, s47
	v_add_co_u32_e32 v18, vcc, s7, v2
	v_addc_co_u32_e32 v19, vcc, 0, v17, vcc
	flat_load_dword v17, v[18:19]
	s_or_b64 exec, exec, s[2:3]
                                        ; implicit-def: $vgpr2
	s_and_saveexec_b64 s[2:3], s[10:11]
	s_cbranch_execnz .LBB464_118
.LBB464_37:
	s_or_b64 exec, exec, s[2:3]
                                        ; implicit-def: $vgpr3
	s_and_saveexec_b64 s[2:3], s[12:13]
	s_cbranch_execz .LBB464_119
.LBB464_38:
	v_mov_b32_e32 v3, s47
	v_add_co_u32_e32 v18, vcc, s7, v4
	v_addc_co_u32_e32 v19, vcc, 0, v3, vcc
	flat_load_dword v3, v[18:19]
	s_or_b64 exec, exec, s[2:3]
                                        ; implicit-def: $vgpr4
	s_and_saveexec_b64 s[2:3], s[14:15]
	s_cbranch_execnz .LBB464_120
.LBB464_39:
	s_or_b64 exec, exec, s[2:3]
                                        ; implicit-def: $vgpr5
	s_and_saveexec_b64 s[2:3], s[16:17]
	s_cbranch_execz .LBB464_121
.LBB464_40:
	v_mov_b32_e32 v5, s47
	v_add_co_u32_e32 v18, vcc, s7, v6
	v_addc_co_u32_e32 v19, vcc, 0, v5, vcc
	flat_load_dword v5, v[18:19]
	s_or_b64 exec, exec, s[2:3]
                                        ; implicit-def: $vgpr6
	s_and_saveexec_b64 s[2:3], s[18:19]
	s_cbranch_execnz .LBB464_122
.LBB464_41:
	s_or_b64 exec, exec, s[2:3]
                                        ; implicit-def: $vgpr7
	s_and_saveexec_b64 s[2:3], s[20:21]
	s_cbranch_execz .LBB464_123
.LBB464_42:
	v_mov_b32_e32 v7, s47
	v_add_co_u32_e32 v18, vcc, s7, v8
	v_addc_co_u32_e32 v19, vcc, 0, v7, vcc
	flat_load_dword v7, v[18:19]
	s_or_b64 exec, exec, s[2:3]
                                        ; implicit-def: $vgpr8
	s_and_saveexec_b64 s[2:3], s[22:23]
	s_cbranch_execnz .LBB464_124
.LBB464_43:
	s_or_b64 exec, exec, s[2:3]
                                        ; implicit-def: $vgpr9
	s_and_saveexec_b64 s[2:3], s[24:25]
	s_cbranch_execz .LBB464_45
.LBB464_44:
	v_mov_b32_e32 v9, s47
	v_add_co_u32_e32 v18, vcc, s7, v10
	v_addc_co_u32_e32 v19, vcc, 0, v9, vcc
	flat_load_dword v9, v[18:19]
.LBB464_45:
	s_or_b64 exec, exec, s[2:3]
	v_mul_u32_u24_e32 v45, 14, v0
                                        ; implicit-def: $vgpr10
	s_and_saveexec_b64 s[2:3], s[26:27]
	s_cbranch_execz .LBB464_47
; %bb.46:
	v_mov_b32_e32 v18, s47
	v_add_co_u32_e32 v10, vcc, s7, v11
	v_addc_co_u32_e32 v11, vcc, 0, v18, vcc
	flat_load_dword v10, v[10:11]
.LBB464_47:
	s_or_b64 exec, exec, s[2:3]
	s_mov_b32 s8, 0
	s_mov_b32 s9, s8
	s_waitcnt vmcnt(0) lgkmcnt(0)
	ds_write2st64_b32 v12, v13, v14 offset1:4
	ds_write2st64_b32 v12, v15, v16 offset0:8 offset1:12
	ds_write2st64_b32 v12, v17, v2 offset0:16 offset1:20
	;; [unrolled: 1-line block ×6, first 2 shown]
	s_mov_b32 s10, s8
	s_mov_b32 s11, s8
	;; [unrolled: 1-line block ×6, first 2 shown]
	v_pk_mov_b32 v[2:3], s[8:9], s[8:9] op_sel:[0,1]
	v_pk_mov_b32 v[8:9], s[14:15], s[14:15] op_sel:[0,1]
	;; [unrolled: 1-line block ×6, first 2 shown]
	v_cmp_gt_u32_e32 vcc, s54, v45
	s_mov_b64 s[2:3], 0
	v_pk_mov_b32 v[38:39], 0, 0
	s_mov_b64 s[18:19], 0
	v_pk_mov_b32 v[14:15], v[6:7], v[6:7] op_sel:[0,1]
	v_pk_mov_b32 v[12:13], v[4:5], v[4:5] op_sel:[0,1]
	;; [unrolled: 1-line block ×6, first 2 shown]
	s_waitcnt lgkmcnt(0)
	s_barrier
	s_waitcnt lgkmcnt(0)
                                        ; implicit-def: $sgpr16_sgpr17
                                        ; implicit-def: $vgpr42
	s_and_saveexec_b64 s[4:5], vcc
	s_cbranch_execz .LBB464_75
; %bb.48:
	ds_read_b32 v2, v44
	v_mov_b32_e32 v4, s56
	v_cmp_eq_u32_e32 vcc, v34, v35
	v_or_b32_e32 v3, 1, v45
                                        ; implicit-def: $vgpr42
	s_waitcnt lgkmcnt(0)
	v_cndmask_b32_e32 v38, v4, v2, vcc
	v_cmp_ne_u32_e32 vcc, v34, v35
	v_cndmask_b32_e64 v39, 0, 1, vcc
	v_cmp_gt_u32_e32 vcc, s54, v3
	v_pk_mov_b32 v[2:3], s[8:9], s[8:9] op_sel:[0,1]
	v_pk_mov_b32 v[8:9], s[14:15], s[14:15] op_sel:[0,1]
	;; [unrolled: 1-line block ×12, first 2 shown]
                                        ; implicit-def: $sgpr8_sgpr9
	s_and_saveexec_b64 s[16:17], vcc
	s_cbranch_execz .LBB464_74
; %bb.49:
	ds_read2_b32 v[42:43], v44 offset0:1 offset1:2
	s_mov_b32 s8, 0
	v_mov_b32_e32 v3, s56
	v_cmp_eq_u32_e32 vcc, v35, v36
	s_mov_b32 s14, s8
	s_mov_b32 s15, s8
	v_add_u32_e32 v2, 2, v45
	s_waitcnt lgkmcnt(0)
	v_cndmask_b32_e32 v8, v3, v42, vcc
	v_cmp_ne_u32_e32 vcc, v35, v36
	s_mov_b32 s9, s8
	s_mov_b32 s10, s8
	;; [unrolled: 1-line block ×5, first 2 shown]
	v_pk_mov_b32 v[16:17], s[14:15], s[14:15] op_sel:[0,1]
	v_cndmask_b32_e64 v9, 0, 1, vcc
	v_cmp_gt_u32_e32 vcc, s54, v2
	v_mov_b32_e32 v2, 0
	v_pk_mov_b32 v[14:15], s[12:13], s[12:13] op_sel:[0,1]
	v_pk_mov_b32 v[12:13], s[10:11], s[10:11] op_sel:[0,1]
	;; [unrolled: 1-line block ×4, first 2 shown]
	v_mov_b32_e32 v3, v2
	v_mov_b32_e32 v4, v2
	v_mov_b32_e32 v5, v2
	v_mov_b32_e32 v6, v2
	v_mov_b32_e32 v7, v2
	s_mov_b64 s[20:21], 0
	v_pk_mov_b32 v[22:23], v[14:15], v[14:15] op_sel:[0,1]
	v_pk_mov_b32 v[20:21], v[12:13], v[12:13] op_sel:[0,1]
	;; [unrolled: 1-line block ×3, first 2 shown]
                                        ; implicit-def: $sgpr24_sgpr25
                                        ; implicit-def: $vgpr42
	s_and_saveexec_b64 s[18:19], vcc
	s_cbranch_execz .LBB464_73
; %bb.50:
	v_mov_b32_e32 v4, s56
	v_cmp_eq_u32_e32 vcc, v36, v37
	v_pk_mov_b32 v[16:17], s[14:15], s[14:15] op_sel:[0,1]
	v_add_u32_e32 v3, 3, v45
	v_cndmask_b32_e32 v6, v4, v43, vcc
	v_cmp_ne_u32_e32 vcc, v36, v37
	v_pk_mov_b32 v[14:15], s[12:13], s[12:13] op_sel:[0,1]
	v_pk_mov_b32 v[12:13], s[10:11], s[10:11] op_sel:[0,1]
	v_pk_mov_b32 v[10:11], s[8:9], s[8:9] op_sel:[0,1]
	v_pk_mov_b32 v[24:25], v[16:17], v[16:17] op_sel:[0,1]
	v_cndmask_b32_e64 v7, 0, 1, vcc
	v_cmp_gt_u32_e32 vcc, s54, v3
	v_mov_b32_e32 v3, v2
	v_mov_b32_e32 v4, v2
	;; [unrolled: 1-line block ×3, first 2 shown]
	s_mov_b64 s[22:23], 0
	v_pk_mov_b32 v[22:23], v[14:15], v[14:15] op_sel:[0,1]
	v_pk_mov_b32 v[20:21], v[12:13], v[12:13] op_sel:[0,1]
	;; [unrolled: 1-line block ×3, first 2 shown]
                                        ; implicit-def: $sgpr8_sgpr9
                                        ; implicit-def: $vgpr42
	s_and_saveexec_b64 s[20:21], vcc
	s_cbranch_execz .LBB464_72
; %bb.51:
	ds_read2_b32 v[34:35], v44 offset0:3 offset1:4
	s_mov_b32 s8, 0
	s_mov_b32 s14, s8
	;; [unrolled: 1-line block ×3, first 2 shown]
	v_mov_b32_e32 v3, s56
	v_cmp_eq_u32_e32 vcc, v37, v30
	s_mov_b32 s9, s8
	s_mov_b32 s10, s8
	;; [unrolled: 1-line block ×5, first 2 shown]
	v_pk_mov_b32 v[16:17], s[14:15], s[14:15] op_sel:[0,1]
	v_add_u32_e32 v2, 4, v45
	s_waitcnt lgkmcnt(0)
	v_cndmask_b32_e32 v4, v3, v34, vcc
	v_cmp_ne_u32_e32 vcc, v37, v30
	v_pk_mov_b32 v[14:15], s[12:13], s[12:13] op_sel:[0,1]
	v_pk_mov_b32 v[12:13], s[10:11], s[10:11] op_sel:[0,1]
	;; [unrolled: 1-line block ×4, first 2 shown]
	v_cndmask_b32_e64 v5, 0, 1, vcc
	v_cmp_gt_u32_e32 vcc, s54, v2
	v_mov_b32_e32 v2, s8
	v_mov_b32_e32 v3, s8
	s_mov_b64 s[24:25], 0
	v_pk_mov_b32 v[22:23], v[14:15], v[14:15] op_sel:[0,1]
	v_pk_mov_b32 v[20:21], v[12:13], v[12:13] op_sel:[0,1]
	;; [unrolled: 1-line block ×3, first 2 shown]
                                        ; implicit-def: $sgpr26_sgpr27
                                        ; implicit-def: $vgpr42
	s_and_saveexec_b64 s[22:23], vcc
	s_cbranch_execz .LBB464_71
; %bb.52:
	v_mov_b32_e32 v2, s56
	v_cmp_eq_u32_e32 vcc, v30, v31
	v_add_u32_e32 v10, 5, v45
	v_cndmask_b32_e32 v2, v2, v35, vcc
	v_cmp_ne_u32_e32 vcc, v30, v31
	v_cndmask_b32_e64 v3, 0, 1, vcc
	v_cmp_gt_u32_e32 vcc, s54, v10
	v_pk_mov_b32 v[16:17], s[14:15], s[14:15] op_sel:[0,1]
	v_pk_mov_b32 v[14:15], s[12:13], s[12:13] op_sel:[0,1]
	;; [unrolled: 1-line block ×5, first 2 shown]
	s_mov_b64 s[28:29], 0
	v_pk_mov_b32 v[22:23], v[14:15], v[14:15] op_sel:[0,1]
	v_pk_mov_b32 v[20:21], v[12:13], v[12:13] op_sel:[0,1]
	v_pk_mov_b32 v[18:19], v[10:11], v[10:11] op_sel:[0,1]
                                        ; implicit-def: $sgpr8_sgpr9
                                        ; implicit-def: $vgpr42
	s_and_saveexec_b64 s[24:25], vcc
	s_cbranch_execz .LBB464_70
; %bb.53:
	ds_read2_b32 v[34:35], v44 offset0:5 offset1:6
	v_mov_b32_e32 v11, s56
	v_cmp_eq_u32_e32 vcc, v31, v32
	s_mov_b32 s8, 0
	v_add_u32_e32 v10, 6, v45
	s_waitcnt lgkmcnt(0)
	v_cndmask_b32_e32 v16, v11, v34, vcc
	v_cmp_ne_u32_e32 vcc, v31, v32
	s_mov_b32 s14, s8
	s_mov_b32 s15, s8
	v_cndmask_b32_e64 v17, 0, 1, vcc
	v_cmp_gt_u32_e32 vcc, s54, v10
	v_mov_b32_e32 v10, 0
	s_mov_b32 s9, s8
	s_mov_b32 s10, s8
	s_mov_b32 s11, s8
	s_mov_b32 s12, s8
	s_mov_b32 s13, s8
	v_pk_mov_b32 v[24:25], s[14:15], s[14:15] op_sel:[0,1]
	v_mov_b32_e32 v11, v10
	v_mov_b32_e32 v12, v10
	;; [unrolled: 1-line block ×5, first 2 shown]
	v_pk_mov_b32 v[22:23], s[12:13], s[12:13] op_sel:[0,1]
	v_pk_mov_b32 v[20:21], s[10:11], s[10:11] op_sel:[0,1]
	;; [unrolled: 1-line block ×3, first 2 shown]
                                        ; implicit-def: $sgpr40_sgpr41
                                        ; implicit-def: $vgpr42
	s_and_saveexec_b64 s[26:27], vcc
	s_cbranch_execz .LBB464_69
; %bb.54:
	v_mov_b32_e32 v12, s56
	v_cmp_eq_u32_e32 vcc, v32, v33
	v_add_u32_e32 v11, 7, v45
	v_cndmask_b32_e32 v14, v12, v35, vcc
	v_cmp_ne_u32_e32 vcc, v32, v33
	v_pk_mov_b32 v[24:25], s[14:15], s[14:15] op_sel:[0,1]
	v_cndmask_b32_e64 v15, 0, 1, vcc
	v_cmp_gt_u32_e32 vcc, s54, v11
	v_mov_b32_e32 v11, v10
	v_mov_b32_e32 v12, v10
	;; [unrolled: 1-line block ×3, first 2 shown]
	s_mov_b64 s[30:31], 0
	v_pk_mov_b32 v[22:23], s[12:13], s[12:13] op_sel:[0,1]
	v_pk_mov_b32 v[20:21], s[10:11], s[10:11] op_sel:[0,1]
	;; [unrolled: 1-line block ×3, first 2 shown]
                                        ; implicit-def: $sgpr8_sgpr9
                                        ; implicit-def: $vgpr42
	s_and_saveexec_b64 s[28:29], vcc
	s_cbranch_execz .LBB464_68
; %bb.55:
	ds_read2_b32 v[30:31], v44 offset0:7 offset1:8
	s_mov_b32 s8, 0
	v_mov_b32_e32 v11, s56
	v_cmp_eq_u32_e32 vcc, v33, v26
	s_mov_b32 s14, s8
	s_mov_b32 s15, s8
	v_add_u32_e32 v10, 8, v45
	s_waitcnt lgkmcnt(0)
	v_cndmask_b32_e32 v12, v11, v30, vcc
	v_cmp_ne_u32_e32 vcc, v33, v26
	s_mov_b32 s9, s8
	s_mov_b32 s10, s8
	;; [unrolled: 1-line block ×5, first 2 shown]
	v_pk_mov_b32 v[24:25], s[14:15], s[14:15] op_sel:[0,1]
	v_cndmask_b32_e64 v13, 0, 1, vcc
	v_cmp_gt_u32_e32 vcc, s54, v10
	v_mov_b32_e32 v10, s8
	v_mov_b32_e32 v11, s8
	s_mov_b64 s[40:41], 0
	v_pk_mov_b32 v[22:23], s[12:13], s[12:13] op_sel:[0,1]
	v_pk_mov_b32 v[20:21], s[10:11], s[10:11] op_sel:[0,1]
	v_pk_mov_b32 v[18:19], s[8:9], s[8:9] op_sel:[0,1]
                                        ; implicit-def: $sgpr48_sgpr49
                                        ; implicit-def: $vgpr42
	s_and_saveexec_b64 s[30:31], vcc
	s_cbranch_execz .LBB464_67
; %bb.56:
	v_mov_b32_e32 v10, s56
	v_cmp_eq_u32_e32 vcc, v26, v27
	v_add_u32_e32 v18, 9, v45
	v_cndmask_b32_e32 v10, v10, v31, vcc
	v_cmp_ne_u32_e32 vcc, v26, v27
	v_cndmask_b32_e64 v11, 0, 1, vcc
	v_cmp_gt_u32_e32 vcc, s54, v18
	v_pk_mov_b32 v[24:25], s[14:15], s[14:15] op_sel:[0,1]
	v_pk_mov_b32 v[22:23], s[12:13], s[12:13] op_sel:[0,1]
	;; [unrolled: 1-line block ×4, first 2 shown]
                                        ; implicit-def: $sgpr10_sgpr11
                                        ; implicit-def: $vgpr42
	s_and_saveexec_b64 s[8:9], vcc
	s_cbranch_execz .LBB464_66
; %bb.57:
	ds_read2_b32 v[30:31], v44 offset0:9 offset1:10
	v_mov_b32_e32 v18, s56
	v_cmp_eq_u32_e32 vcc, v27, v28
	v_add_u32_e32 v20, 10, v45
	v_mov_b32_e32 v22, 0
	s_waitcnt lgkmcnt(0)
	v_cndmask_b32_e32 v18, v18, v30, vcc
	v_cmp_ne_u32_e32 vcc, v27, v28
	v_cndmask_b32_e64 v19, 0, 1, vcc
	v_cmp_gt_u32_e32 vcc, s54, v20
	v_mov_b32_e32 v20, v22
	v_mov_b32_e32 v21, v22
	;; [unrolled: 1-line block ×5, first 2 shown]
	s_mov_b64 s[12:13], 0
                                        ; implicit-def: $sgpr40_sgpr41
                                        ; implicit-def: $vgpr42
	s_and_saveexec_b64 s[10:11], vcc
	s_cbranch_execz .LBB464_65
; %bb.58:
	v_mov_b32_e32 v20, s56
	v_cmp_eq_u32_e32 vcc, v28, v29
	v_add_u32_e32 v23, 11, v45
	v_cndmask_b32_e32 v20, v20, v31, vcc
	v_cmp_ne_u32_e32 vcc, v28, v29
	v_cndmask_b32_e64 v21, 0, 1, vcc
	v_cmp_gt_u32_e32 vcc, s54, v23
	s_mov_b32 s40, 0
	v_mov_b32_e32 v23, v22
	v_mov_b32_e32 v24, v22
	;; [unrolled: 1-line block ×3, first 2 shown]
	s_mov_b64 s[14:15], 0
                                        ; implicit-def: $sgpr48_sgpr49
                                        ; implicit-def: $vgpr42
	s_and_saveexec_b64 s[12:13], vcc
	s_cbranch_execz .LBB464_64
; %bb.59:
	ds_read2_b32 v[26:27], v44 offset0:11 offset1:12
	v_mov_b32_e32 v22, s56
	v_cmp_eq_u32_e32 vcc, v29, v40
	v_add_u32_e32 v24, 12, v45
	v_mov_b32_e32 v25, s40
	s_waitcnt lgkmcnt(0)
	v_cndmask_b32_e32 v22, v22, v26, vcc
	v_cmp_ne_u32_e32 vcc, v29, v40
	v_cndmask_b32_e64 v23, 0, 1, vcc
	v_cmp_gt_u32_e32 vcc, s54, v24
	v_mov_b32_e32 v24, s40
	s_mov_b64 s[40:41], 0
                                        ; implicit-def: $sgpr48_sgpr49
                                        ; implicit-def: $vgpr42
	s_and_saveexec_b64 s[14:15], vcc
	s_cbranch_execz .LBB464_63
; %bb.60:
	v_mov_b32_e32 v24, s56
	v_cmp_eq_u32_e32 vcc, v40, v41
	v_add_u32_e32 v26, 13, v45
	v_cndmask_b32_e32 v24, v24, v27, vcc
	v_cmp_ne_u32_e32 vcc, v40, v41
	v_cndmask_b32_e64 v25, 0, 1, vcc
	v_cmp_gt_u32_e32 vcc, s54, v26
                                        ; implicit-def: $sgpr48_sgpr49
                                        ; implicit-def: $vgpr42
	s_and_saveexec_b64 s[54:55], vcc
	s_xor_b64 s[54:55], exec, s[54:55]
	s_cbranch_execz .LBB464_62
; %bb.61:
	ds_read_b32 v26, v44 offset:52
	v_mov_b32_e32 v27, s56
	v_cmp_ne_u32_e32 vcc, v41, v1
	s_mov_b64 s[40:41], exec
	s_and_b64 s[48:49], vcc, exec
	s_waitcnt lgkmcnt(0)
	v_cndmask_b32_e32 v42, v26, v27, vcc
.LBB464_62:
	s_or_b64 exec, exec, s[54:55]
	s_and_b64 s[48:49], s[48:49], exec
	s_and_b64 s[40:41], s[40:41], exec
.LBB464_63:
	s_or_b64 exec, exec, s[14:15]
	s_and_b64 s[48:49], s[48:49], exec
	s_and_b64 s[14:15], s[40:41], exec
.LBB464_64:
	s_or_b64 exec, exec, s[12:13]
	s_and_b64 s[40:41], s[48:49], exec
	s_and_b64 s[12:13], s[14:15], exec
.LBB464_65:
	s_or_b64 exec, exec, s[10:11]
	s_and_b64 s[10:11], s[40:41], exec
	s_and_b64 s[40:41], s[12:13], exec
.LBB464_66:
	s_or_b64 exec, exec, s[8:9]
	s_and_b64 s[48:49], s[10:11], exec
	s_and_b64 s[40:41], s[40:41], exec
.LBB464_67:
	s_or_b64 exec, exec, s[30:31]
	s_and_b64 s[8:9], s[48:49], exec
	s_and_b64 s[30:31], s[40:41], exec
.LBB464_68:
	s_or_b64 exec, exec, s[28:29]
	s_and_b64 s[40:41], s[8:9], exec
	s_and_b64 s[28:29], s[30:31], exec
.LBB464_69:
	s_or_b64 exec, exec, s[26:27]
	s_and_b64 s[8:9], s[40:41], exec
	s_and_b64 s[28:29], s[28:29], exec
.LBB464_70:
	s_or_b64 exec, exec, s[24:25]
	s_and_b64 s[26:27], s[8:9], exec
	s_and_b64 s[24:25], s[28:29], exec
.LBB464_71:
	s_or_b64 exec, exec, s[22:23]
	s_and_b64 s[8:9], s[26:27], exec
	s_and_b64 s[22:23], s[24:25], exec
.LBB464_72:
	s_or_b64 exec, exec, s[20:21]
	s_and_b64 s[24:25], s[8:9], exec
	s_and_b64 s[20:21], s[22:23], exec
.LBB464_73:
	s_or_b64 exec, exec, s[18:19]
	s_and_b64 s[8:9], s[24:25], exec
	s_and_b64 s[18:19], s[20:21], exec
.LBB464_74:
	s_or_b64 exec, exec, s[16:17]
	s_and_b64 s[16:17], s[8:9], exec
	s_and_b64 s[18:19], s[18:19], exec
.LBB464_75:
	s_or_b64 exec, exec, s[4:5]
	s_and_b64 vcc, exec, s[2:3]
	v_lshlrev_b32_e32 v50, 2, v0
	s_cbranch_vccnz .LBB464_77
	s_branch .LBB464_82
.LBB464_76:
	s_mov_b64 s[18:19], 0
                                        ; implicit-def: $sgpr16_sgpr17
                                        ; implicit-def: $vgpr2_vgpr3_vgpr4_vgpr5_vgpr6_vgpr7_vgpr8_vgpr9
                                        ; implicit-def: $vgpr10_vgpr11_vgpr12_vgpr13_vgpr14_vgpr15_vgpr16_vgpr17
                                        ; implicit-def: $vgpr18_vgpr19_vgpr20_vgpr21_vgpr22_vgpr23_vgpr24_vgpr25
                                        ; implicit-def: $vgpr42
                                        ; implicit-def: $vgpr38_vgpr39
	s_and_b64 vcc, exec, s[2:3]
	v_lshlrev_b32_e32 v50, 2, v0
	s_cbranch_vccz .LBB464_82
.LBB464_77:
	v_mov_b32_e32 v1, s39
	v_add_co_u32_e32 v2, vcc, s38, v50
	v_addc_co_u32_e32 v3, vcc, 0, v1, vcc
	v_add_co_u32_e32 v4, vcc, 0x1000, v2
	v_addc_co_u32_e32 v5, vcc, 0, v3, vcc
	flat_load_dword v1, v[2:3]
	flat_load_dword v6, v[2:3] offset:1024
	flat_load_dword v7, v[2:3] offset:2048
	;; [unrolled: 1-line block ×3, first 2 shown]
	flat_load_dword v9, v[4:5]
	flat_load_dword v10, v[4:5] offset:1024
	flat_load_dword v11, v[4:5] offset:2048
	;; [unrolled: 1-line block ×3, first 2 shown]
	v_add_co_u32_e32 v4, vcc, 0x2000, v2
	v_addc_co_u32_e32 v5, vcc, 0, v3, vcc
	v_add_co_u32_e32 v2, vcc, 0x3000, v2
	v_addc_co_u32_e32 v3, vcc, 0, v3, vcc
	flat_load_dword v13, v[4:5]
	flat_load_dword v14, v[4:5] offset:1024
	flat_load_dword v15, v[4:5] offset:2048
	;; [unrolled: 1-line block ×3, first 2 shown]
	flat_load_dword v17, v[2:3]
	flat_load_dword v18, v[2:3] offset:1024
	v_mov_b32_e32 v2, s38
	v_mov_b32_e32 v3, s39
	v_add_co_u32_e32 v2, vcc, 0x3000, v2
	v_addc_co_u32_e32 v3, vcc, 0, v3, vcc
	s_movk_i32 s4, 0xffcc
	s_movk_i32 s9, 0x1000
	s_mov_b32 s2, 0
	s_movk_i32 s8, 0x2000
	s_movk_i32 s3, 0x3000
	s_waitcnt vmcnt(0) lgkmcnt(0)
	ds_write2st64_b32 v50, v1, v6 offset1:4
	ds_write2st64_b32 v50, v7, v8 offset0:8 offset1:12
	ds_write2st64_b32 v50, v9, v10 offset0:16 offset1:20
	;; [unrolled: 1-line block ×6, first 2 shown]
	s_waitcnt lgkmcnt(0)
	s_barrier
	flat_load_dword v1, v[2:3] offset:2048
	v_mad_u32_u24 v6, v0, 52, v50
	v_mad_i32_i24 v2, v0, s4, v6
	s_movk_i32 s4, 0xff
	v_cmp_ne_u32_e32 vcc, s4, v0
	ds_read2_b32 v[26:27], v6 offset1:13
	ds_read2_b32 v[18:19], v6 offset0:7 offset1:8
	ds_read2_b32 v[20:21], v6 offset0:5 offset1:6
	;; [unrolled: 1-line block ×6, first 2 shown]
	s_waitcnt lgkmcnt(0)
	ds_write_b32 v2, v26 offset:15360
	s_waitcnt lgkmcnt(0)
	s_barrier
	s_and_saveexec_b64 s[4:5], vcc
	s_cbranch_execz .LBB464_79
; %bb.78:
	s_waitcnt vmcnt(0)
	ds_read_b32 v1, v50 offset:15364
.LBB464_79:
	s_or_b64 exec, exec, s[4:5]
	v_mov_b32_e32 v3, s47
	v_add_co_u32_e32 v2, vcc, s7, v50
	v_addc_co_u32_e32 v3, vcc, 0, v3, vcc
	v_add_co_u32_e32 v4, vcc, s9, v2
	v_addc_co_u32_e32 v5, vcc, 0, v3, vcc
	s_waitcnt lgkmcnt(0)
	s_barrier
	flat_load_dword v7, v[2:3]
	flat_load_dword v8, v[2:3] offset:1024
	flat_load_dword v9, v[2:3] offset:2048
	;; [unrolled: 1-line block ×3, first 2 shown]
	flat_load_dword v15, v[4:5]
	flat_load_dword v16, v[4:5] offset:1024
	flat_load_dword v17, v[4:5] offset:2048
	;; [unrolled: 1-line block ×3, first 2 shown]
	v_add_co_u32_e32 v4, vcc, s8, v2
	v_addc_co_u32_e32 v5, vcc, 0, v3, vcc
	v_add_co_u32_e32 v2, vcc, s3, v2
	v_addc_co_u32_e32 v3, vcc, 0, v3, vcc
	flat_load_dword v23, v[4:5]
	flat_load_dword v24, v[4:5] offset:1024
	flat_load_dword v25, v[4:5] offset:2048
	;; [unrolled: 1-line block ×3, first 2 shown]
	flat_load_dword v33, v[2:3]
	flat_load_dword v34, v[2:3] offset:1024
	s_mov_b32 s3, 1
	v_cmp_eq_u32_e32 vcc, v26, v12
	v_pk_mov_b32 v[38:39], s[2:3], s[2:3] op_sel:[0,1]
	s_waitcnt vmcnt(0) lgkmcnt(0)
	ds_write2st64_b32 v50, v7, v8 offset1:4
	ds_write2st64_b32 v50, v9, v14 offset0:8 offset1:12
	ds_write2st64_b32 v50, v15, v16 offset0:16 offset1:20
	;; [unrolled: 1-line block ×6, first 2 shown]
	s_waitcnt lgkmcnt(0)
	s_barrier
	ds_read2_b32 v[24:25], v6 offset0:7 offset1:8
	ds_read2_b32 v[14:15], v6 offset0:5 offset1:6
	;; [unrolled: 1-line block ×4, first 2 shown]
	ds_read_b32 v34, v6 offset:52
	ds_read2_b32 v[22:23], v6 offset0:11 offset1:12
	ds_read2_b32 v[32:33], v6 offset0:9 offset1:10
	v_mov_b32_e32 v7, s56
	s_and_saveexec_b64 s[2:3], vcc
	s_cbranch_execz .LBB464_81
; %bb.80:
	ds_read_b32 v7, v6
	v_pk_mov_b32 v[38:39], 0, 0
.LBB464_81:
	s_or_b64 exec, exec, s[2:3]
	v_mov_b32_e32 v26, s56
	v_cmp_eq_u32_e32 vcc, v12, v13
	s_waitcnt lgkmcnt(3)
	v_cndmask_b32_e32 v8, v26, v4, vcc
	v_cmp_eq_u32_e32 vcc, v13, v10
	v_cndmask_b32_e32 v6, v26, v5, vcc
	v_cmp_eq_u32_e32 vcc, v10, v11
	;; [unrolled: 2-line block ×3, first 2 shown]
	v_cndmask_b32_e32 v2, v26, v3, vcc
	v_cmp_ne_u32_e32 vcc, v12, v13
	v_cndmask_b32_e64 v9, 0, 1, vcc
	v_cmp_ne_u32_e32 vcc, v13, v10
	s_waitcnt lgkmcnt(0)
	v_or_b32_e32 v38, v38, v7
	v_cndmask_b32_e64 v7, 0, 1, vcc
	v_cmp_ne_u32_e32 vcc, v10, v11
	v_cndmask_b32_e64 v5, 0, 1, vcc
	v_cmp_ne_u32_e32 vcc, v11, v20
	v_cndmask_b32_e64 v3, 0, 1, vcc
	v_cmp_eq_u32_e32 vcc, v20, v21
	v_cndmask_b32_e32 v16, v26, v14, vcc
	v_cmp_eq_u32_e32 vcc, v21, v18
	v_cndmask_b32_e32 v14, v26, v15, vcc
	;; [unrolled: 2-line block ×4, first 2 shown]
	v_cmp_ne_u32_e32 vcc, v20, v21
	v_cndmask_b32_e64 v17, 0, 1, vcc
	v_cmp_ne_u32_e32 vcc, v21, v18
	v_cndmask_b32_e64 v15, 0, 1, vcc
	v_cmp_ne_u32_e32 vcc, v18, v19
	v_cndmask_b32_e64 v13, 0, 1, vcc
	v_cmp_ne_u32_e32 vcc, v19, v28
	v_cndmask_b32_e64 v11, 0, 1, vcc
	v_cmp_eq_u32_e32 vcc, v31, v27
	v_cndmask_b32_e32 v24, v26, v23, vcc
	v_cmp_eq_u32_e32 vcc, v30, v31
	v_cndmask_b32_e32 v22, v26, v22, vcc
	;; [unrolled: 2-line block ×4, first 2 shown]
	v_cmp_ne_u32_e32 vcc, v31, v27
	v_cndmask_b32_e64 v25, 0, 1, vcc
	v_cmp_ne_u32_e32 vcc, v30, v31
	v_cndmask_b32_e64 v23, 0, 1, vcc
	;; [unrolled: 2-line block ×3, first 2 shown]
	v_cmp_ne_u32_e32 vcc, v28, v29
	v_cmp_ne_u32_e64 s[16:17], v27, v1
	v_cndmask_b32_e64 v19, 0, 1, vcc
	v_cndmask_b32_e64 v42, v34, v26, s[16:17]
	s_mov_b64 s[18:19], -1
                                        ; implicit-def: $sgpr2_sgpr3
.LBB464_82:
	v_pk_mov_b32 v[40:41], s[2:3], s[2:3] op_sel:[0,1]
	s_and_saveexec_b64 s[2:3], s[18:19]
; %bb.83:
	v_cndmask_b32_e64 v43, 0, 1, s[16:17]
	v_pk_mov_b32 v[40:41], v[42:43], v[42:43] op_sel:[0,1]
; %bb.84:
	s_or_b64 exec, exec, s[2:3]
	s_mov_b32 s26, 0
	s_cmp_lg_u32 s6, 0
	v_mbcnt_lo_u32_b32 v52, -1, 0
	v_lshrrev_b32_e32 v1, 6, v0
	v_or_b32_e32 v51, 63, v0
	s_barrier
	s_cbranch_scc0 .LBB464_125
; %bb.85:
	s_mov_b32 s27, 1
	v_cmp_gt_u64_e64 s[2:3], s[26:27], v[8:9]
	v_cndmask_b32_e64 v27, 0, v38, s[2:3]
	v_add_u32_e32 v27, v27, v8
	v_cmp_gt_u64_e64 s[4:5], s[26:27], v[6:7]
	v_cndmask_b32_e64 v27, 0, v27, s[4:5]
	v_add_u32_e32 v27, v27, v6
	;; [unrolled: 3-line block ×12, first 2 shown]
	v_cmp_gt_u64_e32 vcc, s[26:27], v[40:41]
	v_cndmask_b32_e32 v27, 0, v27, vcc
	v_add_u32_e32 v28, v27, v40
	v_or3_b32 v27, v41, v25, v23
	v_or3_b32 v27, v27, v21, v19
	;; [unrolled: 1-line block ×6, first 2 shown]
	v_mov_b32_e32 v26, 0
	v_and_b32_e32 v27, 1, v27
	v_cmp_eq_u64_e32 vcc, 0, v[26:27]
	v_cndmask_b32_e32 v27, 1, v39, vcc
	v_and_b32_e32 v29, 0xff, v27
	v_mov_b32_dpp v31, v28 row_shr:1 row_mask:0xf bank_mask:0xf
	v_cmp_eq_u16_e32 vcc, 0, v29
	v_mov_b32_dpp v32, v29 row_shr:1 row_mask:0xf bank_mask:0xf
	v_and_b32_e32 v33, 1, v27
	v_mbcnt_hi_u32_b32 v46, -1, v52
	v_cndmask_b32_e32 v31, 0, v31, vcc
	v_and_b32_e32 v32, 1, v32
	v_cmp_eq_u32_e32 vcc, 1, v33
	v_and_b32_e32 v30, 15, v46
	v_cndmask_b32_e64 v32, v32, 1, vcc
	v_and_b32_e32 v33, 0xffff, v32
	v_cmp_eq_u32_e32 vcc, 0, v30
	v_cndmask_b32_e32 v27, v32, v27, vcc
	v_cndmask_b32_e32 v29, v33, v29, vcc
	v_and_b32_e32 v33, 1, v27
	v_cndmask_b32_e64 v31, v31, 0, vcc
	v_mov_b32_dpp v32, v29 row_shr:2 row_mask:0xf bank_mask:0xf
	v_and_b32_e32 v32, 1, v32
	v_cmp_eq_u32_e32 vcc, 1, v33
	v_cndmask_b32_e64 v32, v32, 1, vcc
	v_and_b32_e32 v33, 0xffff, v32
	v_cmp_lt_u32_e32 vcc, 1, v30
	v_add_u32_e32 v28, v31, v28
	v_cmp_eq_u16_sdwa s[26:27], v27, v26 src0_sel:BYTE_0 src1_sel:DWORD
	v_cndmask_b32_e32 v27, v27, v32, vcc
	v_cndmask_b32_e32 v29, v29, v33, vcc
	v_mov_b32_dpp v31, v28 row_shr:2 row_mask:0xf bank_mask:0xf
	s_and_b64 vcc, vcc, s[26:27]
	v_mov_b32_dpp v32, v29 row_shr:4 row_mask:0xf bank_mask:0xf
	v_and_b32_e32 v33, 1, v27
	v_cndmask_b32_e32 v31, 0, v31, vcc
	v_and_b32_e32 v32, 1, v32
	v_cmp_eq_u32_e32 vcc, 1, v33
	v_cndmask_b32_e64 v32, v32, 1, vcc
	v_and_b32_e32 v33, 0xffff, v32
	v_cmp_lt_u32_e32 vcc, 3, v30
	v_add_u32_e32 v28, v31, v28
	v_cmp_eq_u16_sdwa s[26:27], v27, v26 src0_sel:BYTE_0 src1_sel:DWORD
	v_cndmask_b32_e32 v27, v27, v32, vcc
	v_cndmask_b32_e32 v29, v29, v33, vcc
	v_mov_b32_dpp v31, v28 row_shr:4 row_mask:0xf bank_mask:0xf
	s_and_b64 vcc, vcc, s[26:27]
	v_mov_b32_dpp v32, v29 row_shr:8 row_mask:0xf bank_mask:0xf
	v_and_b32_e32 v33, 1, v27
	v_cndmask_b32_e32 v31, 0, v31, vcc
	v_and_b32_e32 v32, 1, v32
	v_cmp_eq_u32_e32 vcc, 1, v33
	v_cndmask_b32_e64 v32, v32, 1, vcc
	v_add_u32_e32 v28, v31, v28
	v_cmp_eq_u16_sdwa s[26:27], v27, v26 src0_sel:BYTE_0 src1_sel:DWORD
	v_and_b32_e32 v33, 0xffff, v32
	v_cmp_lt_u32_e32 vcc, 7, v30
	v_mov_b32_dpp v31, v28 row_shr:8 row_mask:0xf bank_mask:0xf
	v_cndmask_b32_e32 v27, v27, v32, vcc
	v_cndmask_b32_e32 v29, v29, v33, vcc
	s_and_b64 vcc, vcc, s[26:27]
	v_cndmask_b32_e32 v30, 0, v31, vcc
	v_add_u32_e32 v28, v30, v28
	v_mov_b32_dpp v31, v29 row_bcast:15 row_mask:0xf bank_mask:0xf
	v_cmp_eq_u16_sdwa vcc, v27, v26 src0_sel:BYTE_0 src1_sel:DWORD
	v_mov_b32_dpp v30, v28 row_bcast:15 row_mask:0xf bank_mask:0xf
	v_and_b32_e32 v34, 1, v27
	v_cndmask_b32_e32 v30, 0, v30, vcc
	v_and_b32_e32 v31, 1, v31
	v_cmp_eq_u32_e32 vcc, 1, v34
	v_and_b32_e32 v33, 16, v46
	v_cndmask_b32_e64 v31, v31, 1, vcc
	v_and_b32_e32 v34, 0xffff, v31
	v_cmp_eq_u32_e32 vcc, 0, v33
	v_cndmask_b32_e32 v27, v31, v27, vcc
	v_cndmask_b32_e32 v29, v34, v29, vcc
	v_bfe_i32 v32, v46, 4, 1
	v_cmp_eq_u16_sdwa s[26:27], v27, v26 src0_sel:BYTE_0 src1_sel:DWORD
	v_mov_b32_dpp v29, v29 row_bcast:31 row_mask:0xf bank_mask:0xf
	v_and_b32_e32 v26, 1, v27
	v_and_b32_e32 v30, v32, v30
	;; [unrolled: 1-line block ×3, first 2 shown]
	v_cmp_eq_u32_e32 vcc, 1, v26
	v_add_u32_e32 v28, v30, v28
	v_cndmask_b32_e64 v26, v29, 1, vcc
	v_cmp_lt_u32_e32 vcc, 31, v46
	v_mov_b32_dpp v30, v28 row_bcast:31 row_mask:0xf bank_mask:0xf
	v_cndmask_b32_e32 v29, v27, v26, vcc
	s_and_b64 vcc, vcc, s[26:27]
	v_cndmask_b32_e32 v26, 0, v30, vcc
	v_add_u32_e32 v28, v26, v28
	v_cmp_eq_u32_e32 vcc, v51, v0
	s_and_saveexec_b64 s[26:27], vcc
	s_cbranch_execz .LBB464_87
; %bb.86:
	v_lshlrev_b32_e32 v26, 3, v1
	ds_write_b32 v26, v28
	ds_write_b8 v26, v29 offset:4
.LBB464_87:
	s_or_b64 exec, exec, s[26:27]
	v_cmp_gt_u32_e32 vcc, 4, v0
	s_waitcnt lgkmcnt(0)
	s_barrier
	s_and_saveexec_b64 s[26:27], vcc
	s_cbranch_execz .LBB464_91
; %bb.88:
	v_lshlrev_b32_e32 v30, 3, v0
	ds_read_b64 v[26:27], v30
	v_and_b32_e32 v31, 3, v46
	v_cmp_ne_u32_e32 vcc, 0, v31
	s_waitcnt lgkmcnt(0)
	v_mov_b32_dpp v32, v26 row_shr:1 row_mask:0xf bank_mask:0xf
	v_mov_b32_dpp v34, v27 row_shr:1 row_mask:0xf bank_mask:0xf
	v_mov_b32_e32 v33, v27
	s_and_saveexec_b64 s[30:31], vcc
	s_cbranch_execz .LBB464_90
; %bb.89:
	v_and_b32_e32 v33, 1, v27
	v_and_b32_e32 v34, 1, v34
	v_cmp_eq_u32_e32 vcc, 1, v33
	v_mov_b32_e32 v33, 0
	v_cndmask_b32_e64 v34, v34, 1, vcc
	v_cmp_eq_u16_sdwa vcc, v27, v33 src0_sel:BYTE_0 src1_sel:DWORD
	v_cndmask_b32_e32 v32, 0, v32, vcc
	v_add_u32_e32 v26, v32, v26
	v_and_b32_e32 v32, 0xffff, v34
	s_movk_i32 s7, 0xff00
	v_and_or_b32 v33, v27, s7, v32
	v_mov_b32_e32 v27, v34
.LBB464_90:
	s_or_b64 exec, exec, s[30:31]
	v_mov_b32_dpp v33, v33 row_shr:2 row_mask:0xf bank_mask:0xf
	v_and_b32_e32 v34, 1, v27
	v_and_b32_e32 v33, 1, v33
	v_cmp_eq_u32_e32 vcc, 1, v34
	v_mov_b32_e32 v34, 0
	v_cndmask_b32_e64 v33, v33, 1, vcc
	v_cmp_eq_u16_sdwa s[30:31], v27, v34 src0_sel:BYTE_0 src1_sel:DWORD
	v_cmp_lt_u32_e32 vcc, 1, v31
	v_mov_b32_dpp v32, v26 row_shr:2 row_mask:0xf bank_mask:0xf
	v_cndmask_b32_e32 v27, v27, v33, vcc
	s_and_b64 vcc, vcc, s[30:31]
	v_cndmask_b32_e32 v31, 0, v32, vcc
	v_add_u32_e32 v26, v31, v26
	ds_write_b32 v30, v26
	ds_write_b8 v30, v27 offset:4
.LBB464_91:
	s_or_b64 exec, exec, s[26:27]
	v_cmp_gt_u32_e32 vcc, 64, v0
	v_cmp_lt_u32_e64 s[26:27], 63, v0
	v_mov_b32_e32 v42, 0
	v_mov_b32_e32 v43, 0
	s_waitcnt lgkmcnt(0)
	s_barrier
	s_and_saveexec_b64 s[30:31], s[26:27]
	s_cbranch_execz .LBB464_93
; %bb.92:
	v_lshl_add_u32 v26, v1, 3, -8
	ds_read_b32 v42, v26
	ds_read_u8 v43, v26 offset:4
	v_mov_b32_e32 v27, 0
	v_and_b32_e32 v30, 1, v29
	v_cmp_eq_u16_sdwa s[26:27], v29, v27 src0_sel:BYTE_0 src1_sel:DWORD
	s_waitcnt lgkmcnt(1)
	v_cndmask_b32_e64 v26, 0, v42, s[26:27]
	v_cmp_eq_u32_e64 s[26:27], 1, v30
	v_add_u32_e32 v28, v26, v28
	s_waitcnt lgkmcnt(0)
	v_cndmask_b32_e64 v29, v43, 1, s[26:27]
.LBB464_93:
	s_or_b64 exec, exec, s[30:31]
	v_and_b32_e32 v26, 0xff, v29
	v_add_u32_e32 v27, -1, v46
	v_and_b32_e32 v29, 64, v46
	v_cmp_lt_i32_e64 s[26:27], v27, v29
	v_cndmask_b32_e64 v27, v27, v46, s[26:27]
	v_lshlrev_b32_e32 v27, 2, v27
	ds_bpermute_b32 v44, v27, v28
	ds_bpermute_b32 v45, v27, v26
	v_cmp_eq_u32_e64 s[26:27], 0, v46
	s_and_saveexec_b64 s[38:39], vcc
	s_cbranch_execz .LBB464_112
; %bb.94:
	v_mov_b32_e32 v29, 0
	ds_read_b64 v[26:27], v29 offset:24
	s_waitcnt lgkmcnt(0)
	v_readfirstlane_b32 s7, v27
	s_and_saveexec_b64 s[30:31], s[26:27]
	s_cbranch_execz .LBB464_96
; %bb.95:
	s_add_i32 s40, s6, 64
	s_mov_b32 s41, 0
	s_lshl_b64 s[48:49], s[40:41], 4
	s_add_u32 s48, s44, s48
	s_addc_u32 s49, s45, s49
	s_and_b32 s55, s7, 0xff000000
	s_mov_b32 s54, s41
	s_and_b32 s59, s7, 0xff0000
	s_mov_b32 s58, s41
	s_or_b64 s[54:55], s[58:59], s[54:55]
	s_and_b32 s59, s7, 0xff00
	s_or_b64 s[54:55], s[54:55], s[58:59]
	s_and_b32 s59, s7, 0xff
	s_or_b64 s[40:41], s[54:55], s[58:59]
	v_mov_b32_e32 v27, s41
	v_mov_b32_e32 v28, 1
	v_pk_mov_b32 v[30:31], s[48:49], s[48:49] op_sel:[0,1]
	;;#ASMSTART
	global_store_dwordx4 v[30:31], v[26:29] off	
s_waitcnt vmcnt(0)
	;;#ASMEND
.LBB464_96:
	s_or_b64 exec, exec, s[30:31]
	v_xad_u32 v34, v46, -1, s6
	v_add_u32_e32 v28, 64, v34
	v_lshlrev_b64 v[30:31], 4, v[28:29]
	v_mov_b32_e32 v27, s45
	v_add_co_u32_e32 v36, vcc, s44, v30
	v_addc_co_u32_e32 v37, vcc, v27, v31, vcc
	;;#ASMSTART
	global_load_dwordx4 v[30:33], v[36:37] off glc	
s_waitcnt vmcnt(0)
	;;#ASMEND
	v_and_b32_e32 v27, 0xff0000, v30
	v_or_b32_sdwa v27, v30, v27 dst_sel:DWORD dst_unused:UNUSED_PAD src0_sel:WORD_0 src1_sel:DWORD
	v_and_b32_e32 v28, 0xff000000, v30
	v_and_b32_e32 v30, 0xff, v31
	v_or3_b32 v31, 0, 0, v30
	v_or3_b32 v30, v27, v28, 0
	v_cmp_eq_u16_sdwa s[40:41], v32, v29 src0_sel:BYTE_0 src1_sel:DWORD
	s_and_saveexec_b64 s[30:31], s[40:41]
	s_cbranch_execz .LBB464_100
; %bb.97:
	s_mov_b64 s[40:41], 0
	v_mov_b32_e32 v27, 0
.LBB464_98:                             ; =>This Inner Loop Header: Depth=1
	;;#ASMSTART
	global_load_dwordx4 v[30:33], v[36:37] off glc	
s_waitcnt vmcnt(0)
	;;#ASMEND
	v_cmp_ne_u16_sdwa s[48:49], v32, v27 src0_sel:BYTE_0 src1_sel:DWORD
	s_or_b64 s[40:41], s[48:49], s[40:41]
	s_andn2_b64 exec, exec, s[40:41]
	s_cbranch_execnz .LBB464_98
; %bb.99:
	s_or_b64 exec, exec, s[40:41]
	v_and_b32_e32 v31, 0xff, v31
.LBB464_100:
	s_or_b64 exec, exec, s[30:31]
	v_mov_b32_e32 v27, 2
	v_cmp_eq_u16_sdwa s[30:31], v32, v27 src0_sel:BYTE_0 src1_sel:DWORD
	v_lshlrev_b64 v[28:29], v46, -1
	v_and_b32_e32 v33, s31, v29
	v_or_b32_e32 v33, 0x80000000, v33
	v_and_b32_e32 v35, s30, v28
	v_ffbl_b32_e32 v33, v33
	v_and_b32_e32 v47, 63, v46
	v_add_u32_e32 v33, 32, v33
	v_ffbl_b32_e32 v35, v35
	v_cmp_ne_u32_e32 vcc, 63, v47
	v_min_u32_e32 v33, v35, v33
	v_addc_co_u32_e32 v35, vcc, 0, v46, vcc
	v_lshlrev_b32_e32 v48, 2, v35
	ds_bpermute_b32 v35, v48, v31
	ds_bpermute_b32 v36, v48, v30
	s_mov_b32 s40, 0
	v_and_b32_e32 v37, 1, v31
	s_mov_b32 s41, 1
	s_waitcnt lgkmcnt(1)
	v_and_b32_e32 v35, 1, v35
	v_cmp_eq_u32_e32 vcc, 1, v37
	v_cndmask_b32_e64 v35, v35, 1, vcc
	v_cmp_gt_u64_e32 vcc, s[40:41], v[30:31]
	v_cmp_lt_u32_e64 s[30:31], v47, v33
	s_and_b64 vcc, s[30:31], vcc
	v_and_b32_e32 v37, 0xffff, v35
	v_cndmask_b32_e64 v54, v31, v35, s[30:31]
	s_waitcnt lgkmcnt(0)
	v_cndmask_b32_e32 v35, 0, v36, vcc
	v_cmp_gt_u32_e32 vcc, 62, v47
	v_cndmask_b32_e64 v36, 0, 1, vcc
	v_lshlrev_b32_e32 v36, 1, v36
	v_cndmask_b32_e64 v31, v31, v37, s[30:31]
	v_add_lshl_u32 v49, v36, v46, 2
	ds_bpermute_b32 v36, v49, v31
	v_add_u32_e32 v30, v35, v30
	ds_bpermute_b32 v37, v49, v30
	v_and_b32_e32 v35, 1, v54
	v_cmp_eq_u32_e32 vcc, 1, v35
	s_waitcnt lgkmcnt(1)
	v_and_b32_e32 v36, 1, v36
	v_mov_b32_e32 v35, 0
	v_add_u32_e32 v53, 2, v47
	v_cndmask_b32_e64 v36, v36, 1, vcc
	v_cmp_eq_u16_sdwa vcc, v54, v35 src0_sel:BYTE_0 src1_sel:DWORD
	v_and_b32_e32 v55, 0xffff, v36
	s_waitcnt lgkmcnt(0)
	v_cndmask_b32_e32 v37, 0, v37, vcc
	v_cmp_gt_u32_e32 vcc, v53, v33
	v_cndmask_b32_e32 v36, v36, v54, vcc
	v_cndmask_b32_e64 v37, v37, 0, vcc
	v_cndmask_b32_e32 v31, v55, v31, vcc
	v_cmp_gt_u32_e32 vcc, 60, v47
	v_cndmask_b32_e64 v54, 0, 1, vcc
	v_lshlrev_b32_e32 v54, 2, v54
	v_add_lshl_u32 v54, v54, v46, 2
	ds_bpermute_b32 v56, v54, v31
	v_add_u32_e32 v30, v37, v30
	ds_bpermute_b32 v37, v54, v30
	v_and_b32_e32 v57, 1, v36
	v_cmp_eq_u32_e32 vcc, 1, v57
	s_waitcnt lgkmcnt(1)
	v_and_b32_e32 v56, 1, v56
	v_add_u32_e32 v55, 4, v47
	v_cndmask_b32_e64 v56, v56, 1, vcc
	v_cmp_eq_u16_sdwa vcc, v36, v35 src0_sel:BYTE_0 src1_sel:DWORD
	v_and_b32_e32 v57, 0xffff, v56
	s_waitcnt lgkmcnt(0)
	v_cndmask_b32_e32 v37, 0, v37, vcc
	v_cmp_gt_u32_e32 vcc, v55, v33
	v_cndmask_b32_e32 v36, v56, v36, vcc
	v_cndmask_b32_e64 v37, v37, 0, vcc
	v_cndmask_b32_e32 v31, v57, v31, vcc
	v_cmp_gt_u32_e32 vcc, 56, v47
	v_cndmask_b32_e64 v56, 0, 1, vcc
	v_lshlrev_b32_e32 v56, 3, v56
	v_add_lshl_u32 v56, v56, v46, 2
	ds_bpermute_b32 v58, v56, v31
	v_add_u32_e32 v30, v37, v30
	ds_bpermute_b32 v37, v56, v30
	v_and_b32_e32 v59, 1, v36
	v_cmp_eq_u32_e32 vcc, 1, v59
	s_waitcnt lgkmcnt(1)
	v_and_b32_e32 v58, 1, v58
	;; [unrolled: 21-line block ×4, first 2 shown]
	v_add_u32_e32 v62, 32, v47
	v_cndmask_b32_e64 v31, v31, 1, vcc
	v_cmp_eq_u16_sdwa vcc, v36, v35 src0_sel:BYTE_0 src1_sel:DWORD
	s_waitcnt lgkmcnt(0)
	v_cndmask_b32_e32 v37, 0, v37, vcc
	v_cmp_gt_u32_e32 vcc, v62, v33
	v_cndmask_b32_e64 v33, v37, 0, vcc
	v_cndmask_b32_e32 v31, v31, v36, vcc
	v_add_u32_e32 v30, v33, v30
	s_branch .LBB464_102
.LBB464_101:                            ;   in Loop: Header=BB464_102 Depth=1
	s_or_b64 exec, exec, s[30:31]
	v_cmp_eq_u16_sdwa s[30:31], v32, v27 src0_sel:BYTE_0 src1_sel:DWORD
	v_and_b32_e32 v33, s31, v29
	ds_bpermute_b32 v37, v48, v31
	v_or_b32_e32 v33, 0x80000000, v33
	v_and_b32_e32 v36, s30, v28
	v_ffbl_b32_e32 v33, v33
	v_add_u32_e32 v33, 32, v33
	v_ffbl_b32_e32 v36, v36
	v_min_u32_e32 v33, v36, v33
	ds_bpermute_b32 v36, v48, v30
	v_and_b32_e32 v63, 1, v31
	s_waitcnt lgkmcnt(1)
	v_and_b32_e32 v37, 1, v37
	v_cmp_eq_u32_e32 vcc, 1, v63
	v_cndmask_b32_e64 v37, v37, 1, vcc
	v_cmp_gt_u64_e32 vcc, s[40:41], v[30:31]
	v_and_b32_e32 v63, 0xffff, v37
	v_cmp_lt_u32_e64 s[30:31], v47, v33
	v_cndmask_b32_e64 v37, v31, v37, s[30:31]
	v_cndmask_b32_e64 v31, v31, v63, s[30:31]
	s_and_b64 vcc, s[30:31], vcc
	ds_bpermute_b32 v63, v49, v31
	s_waitcnt lgkmcnt(1)
	v_cndmask_b32_e32 v36, 0, v36, vcc
	v_add_u32_e32 v30, v36, v30
	ds_bpermute_b32 v36, v49, v30
	v_and_b32_e32 v64, 1, v37
	s_waitcnt lgkmcnt(1)
	v_and_b32_e32 v63, 1, v63
	v_cmp_eq_u32_e32 vcc, 1, v64
	v_cndmask_b32_e64 v63, v63, 1, vcc
	v_cmp_eq_u16_sdwa vcc, v37, v35 src0_sel:BYTE_0 src1_sel:DWORD
	v_and_b32_e32 v64, 0xffff, v63
	s_waitcnt lgkmcnt(0)
	v_cndmask_b32_e32 v36, 0, v36, vcc
	v_cmp_gt_u32_e32 vcc, v53, v33
	v_cndmask_b32_e32 v31, v64, v31, vcc
	v_cndmask_b32_e32 v37, v63, v37, vcc
	ds_bpermute_b32 v63, v54, v31
	v_cndmask_b32_e64 v36, v36, 0, vcc
	v_add_u32_e32 v30, v36, v30
	ds_bpermute_b32 v36, v54, v30
	v_and_b32_e32 v64, 1, v37
	s_waitcnt lgkmcnt(1)
	v_and_b32_e32 v63, 1, v63
	v_cmp_eq_u32_e32 vcc, 1, v64
	v_cndmask_b32_e64 v63, v63, 1, vcc
	v_cmp_eq_u16_sdwa vcc, v37, v35 src0_sel:BYTE_0 src1_sel:DWORD
	v_and_b32_e32 v64, 0xffff, v63
	s_waitcnt lgkmcnt(0)
	v_cndmask_b32_e32 v36, 0, v36, vcc
	v_cmp_gt_u32_e32 vcc, v55, v33
	v_cndmask_b32_e32 v31, v64, v31, vcc
	v_cndmask_b32_e32 v37, v63, v37, vcc
	ds_bpermute_b32 v63, v56, v31
	v_cndmask_b32_e64 v36, v36, 0, vcc
	;; [unrolled: 16-line block ×3, first 2 shown]
	v_add_u32_e32 v30, v36, v30
	ds_bpermute_b32 v36, v58, v30
	v_and_b32_e32 v64, 1, v37
	s_waitcnt lgkmcnt(1)
	v_and_b32_e32 v63, 1, v63
	v_cmp_eq_u32_e32 vcc, 1, v64
	v_cndmask_b32_e64 v63, v63, 1, vcc
	v_cmp_eq_u16_sdwa vcc, v37, v35 src0_sel:BYTE_0 src1_sel:DWORD
	v_and_b32_e32 v64, 0xffff, v63
	s_waitcnt lgkmcnt(0)
	v_cndmask_b32_e32 v36, 0, v36, vcc
	v_cmp_gt_u32_e32 vcc, v59, v33
	v_cndmask_b32_e64 v36, v36, 0, vcc
	v_cndmask_b32_e32 v31, v64, v31, vcc
	ds_bpermute_b32 v31, v61, v31
	v_add_u32_e32 v30, v36, v30
	ds_bpermute_b32 v36, v61, v30
	v_cndmask_b32_e32 v37, v63, v37, vcc
	v_and_b32_e32 v63, 1, v37
	v_cmp_eq_u32_e32 vcc, 1, v63
	s_waitcnt lgkmcnt(1)
	v_cndmask_b32_e64 v31, v31, 1, vcc
	v_cmp_eq_u16_sdwa vcc, v37, v35 src0_sel:BYTE_0 src1_sel:DWORD
	s_waitcnt lgkmcnt(0)
	v_cndmask_b32_e32 v36, 0, v36, vcc
	v_cmp_gt_u32_e32 vcc, v62, v33
	v_cndmask_b32_e64 v33, v36, 0, vcc
	v_cndmask_b32_e32 v31, v31, v37, vcc
	v_add_u32_e32 v30, v33, v30
	v_cmp_eq_u16_sdwa vcc, v46, v35 src0_sel:BYTE_0 src1_sel:DWORD
	v_and_b32_e32 v33, 1, v46
	v_cndmask_b32_e32 v30, 0, v30, vcc
	v_and_b32_e32 v31, 1, v31
	v_cmp_eq_u32_e32 vcc, 1, v33
	v_subrev_u32_e32 v34, 64, v34
	v_add_u32_e32 v30, v30, v60
	v_cndmask_b32_e64 v31, v31, 1, vcc
.LBB464_102:                            ; =>This Loop Header: Depth=1
                                        ;     Child Loop BB464_105 Depth 2
	v_cmp_ne_u16_sdwa s[30:31], v32, v27 src0_sel:BYTE_0 src1_sel:DWORD
	v_mov_b32_e32 v46, v31
	v_cndmask_b32_e64 v31, 0, 1, s[30:31]
	;;#ASMSTART
	;;#ASMEND
	v_cmp_ne_u32_e32 vcc, 0, v31
	s_cmp_lg_u64 vcc, exec
	v_mov_b32_e32 v60, v30
	s_cbranch_scc1 .LBB464_107
; %bb.103:                              ;   in Loop: Header=BB464_102 Depth=1
	v_lshlrev_b64 v[30:31], 4, v[34:35]
	v_mov_b32_e32 v32, s45
	v_add_co_u32_e32 v36, vcc, s44, v30
	v_addc_co_u32_e32 v37, vcc, v32, v31, vcc
	;;#ASMSTART
	global_load_dwordx4 v[30:33], v[36:37] off glc	
s_waitcnt vmcnt(0)
	;;#ASMEND
	v_and_b32_e32 v33, 0xff0000, v30
	v_or_b32_sdwa v33, v30, v33 dst_sel:DWORD dst_unused:UNUSED_PAD src0_sel:WORD_0 src1_sel:DWORD
	v_and_b32_e32 v30, 0xff000000, v30
	v_and_b32_e32 v31, 0xff, v31
	v_or3_b32 v31, 0, 0, v31
	v_or3_b32 v30, v33, v30, 0
	v_cmp_eq_u16_sdwa s[48:49], v32, v35 src0_sel:BYTE_0 src1_sel:DWORD
	s_and_saveexec_b64 s[30:31], s[48:49]
	s_cbranch_execz .LBB464_101
; %bb.104:                              ;   in Loop: Header=BB464_102 Depth=1
	s_mov_b64 s[48:49], 0
.LBB464_105:                            ;   Parent Loop BB464_102 Depth=1
                                        ; =>  This Inner Loop Header: Depth=2
	;;#ASMSTART
	global_load_dwordx4 v[30:33], v[36:37] off glc	
s_waitcnt vmcnt(0)
	;;#ASMEND
	v_cmp_ne_u16_sdwa s[54:55], v32, v35 src0_sel:BYTE_0 src1_sel:DWORD
	s_or_b64 s[48:49], s[54:55], s[48:49]
	s_andn2_b64 exec, exec, s[48:49]
	s_cbranch_execnz .LBB464_105
; %bb.106:                              ;   in Loop: Header=BB464_102 Depth=1
	s_or_b64 exec, exec, s[48:49]
	v_and_b32_e32 v31, 0xff, v31
	s_branch .LBB464_101
.LBB464_107:                            ;   in Loop: Header=BB464_102 Depth=1
                                        ; implicit-def: $vgpr31
                                        ; implicit-def: $vgpr30
                                        ; implicit-def: $vgpr32
	s_cbranch_execz .LBB464_102
; %bb.108:
	s_and_saveexec_b64 s[30:31], s[26:27]
	s_cbranch_execz .LBB464_110
; %bb.109:
	s_and_b32 s40, s7, 0xff
	s_cmp_eq_u32 s40, 0
	s_cselect_b64 vcc, -1, 0
	s_bitcmp1_b32 s7, 0
	s_mov_b32 s41, 0
	s_cselect_b64 s[48:49], -1, 0
	s_add_i32 s40, s6, 64
	s_lshl_b64 s[6:7], s[40:41], 4
	v_cndmask_b32_e32 v27, 0, v60, vcc
	s_add_u32 s6, s44, s6
	v_add_u32_e32 v26, v27, v26
	v_and_b32_e32 v27, 1, v46
	s_addc_u32 s7, s45, s7
	v_mov_b32_e32 v29, 0
	v_cndmask_b32_e64 v27, v27, 1, s[48:49]
	v_mov_b32_e32 v28, 2
	v_pk_mov_b32 v[30:31], s[6:7], s[6:7] op_sel:[0,1]
	;;#ASMSTART
	global_store_dwordx4 v[30:31], v[26:29] off	
s_waitcnt vmcnt(0)
	;;#ASMEND
.LBB464_110:
	s_or_b64 exec, exec, s[30:31]
	v_cmp_eq_u32_e32 vcc, 0, v0
	s_and_b64 exec, exec, vcc
	s_cbranch_execz .LBB464_112
; %bb.111:
	v_mov_b32_e32 v26, 0
	ds_write_b32 v26, v60 offset:24
	ds_write_b8 v26, v46 offset:28
.LBB464_112:
	s_or_b64 exec, exec, s[38:39]
	v_mov_b32_e32 v28, 0
	s_waitcnt lgkmcnt(0)
	s_barrier
	ds_read_b32 v26, v28 offset:24
	v_cndmask_b32_e64 v27, v45, v43, s[26:27]
	v_cmp_eq_u16_sdwa vcc, v27, v28 src0_sel:BYTE_0 src1_sel:DWORD
	v_cndmask_b32_e64 v29, v44, v42, s[26:27]
	s_waitcnt lgkmcnt(0)
	v_cndmask_b32_e32 v27, 0, v26, vcc
	v_add_u32_e32 v27, v27, v29
	v_cmp_eq_u32_e32 vcc, 0, v0
	v_and_b32_e32 v29, 0xff, v39
	v_cndmask_b32_e32 v26, v27, v26, vcc
	v_cmp_eq_u64_e32 vcc, 0, v[28:29]
	v_cndmask_b32_e32 v27, 0, v26, vcc
	v_add_u32_e32 v27, v27, v38
	v_cndmask_b32_e64 v28, 0, v27, s[2:3]
	v_add_u32_e32 v42, v28, v8
	v_cndmask_b32_e64 v28, 0, v42, s[4:5]
	;; [unrolled: 2-line block ×12, first 2 shown]
	v_add_u32_e32 v49, v28, v24
	s_branch .LBB464_139
.LBB464_113:
	s_or_b64 exec, exec, s[30:31]
                                        ; implicit-def: $vgpr14
	s_and_saveexec_b64 s[30:31], s[2:3]
	s_cbranch_execz .LBB464_33
.LBB464_114:
	v_mov_b32_e32 v15, s47
	v_add_co_u32_e32 v14, vcc, s7, v12
	v_addc_co_u32_e32 v15, vcc, 0, v15, vcc
	flat_load_dword v14, v[14:15] offset:1024
	s_or_b64 exec, exec, s[30:31]
                                        ; implicit-def: $vgpr15
	s_and_saveexec_b64 s[2:3], s[4:5]
	s_cbranch_execnz .LBB464_34
.LBB464_115:
	s_or_b64 exec, exec, s[2:3]
                                        ; implicit-def: $vgpr16
	s_and_saveexec_b64 s[2:3], s[28:29]
	s_cbranch_execz .LBB464_35
.LBB464_116:
	v_mov_b32_e32 v17, s47
	v_add_co_u32_e32 v16, vcc, s7, v12
	v_addc_co_u32_e32 v17, vcc, 0, v17, vcc
	flat_load_dword v16, v[16:17] offset:3072
	s_or_b64 exec, exec, s[2:3]
                                        ; implicit-def: $vgpr17
	s_and_saveexec_b64 s[2:3], s[8:9]
	s_cbranch_execnz .LBB464_36
.LBB464_117:
	s_or_b64 exec, exec, s[2:3]
                                        ; implicit-def: $vgpr2
	s_and_saveexec_b64 s[2:3], s[10:11]
	s_cbranch_execz .LBB464_37
.LBB464_118:
	v_mov_b32_e32 v18, s47
	v_add_co_u32_e32 v2, vcc, s7, v3
	v_addc_co_u32_e32 v3, vcc, 0, v18, vcc
	flat_load_dword v2, v[2:3]
	s_or_b64 exec, exec, s[2:3]
                                        ; implicit-def: $vgpr3
	s_and_saveexec_b64 s[2:3], s[12:13]
	s_cbranch_execnz .LBB464_38
.LBB464_119:
	s_or_b64 exec, exec, s[2:3]
                                        ; implicit-def: $vgpr4
	s_and_saveexec_b64 s[2:3], s[14:15]
	s_cbranch_execz .LBB464_39
.LBB464_120:
	v_mov_b32_e32 v18, s47
	v_add_co_u32_e32 v4, vcc, s7, v5
	v_addc_co_u32_e32 v5, vcc, 0, v18, vcc
	flat_load_dword v4, v[4:5]
	s_or_b64 exec, exec, s[2:3]
                                        ; implicit-def: $vgpr5
	s_and_saveexec_b64 s[2:3], s[16:17]
	s_cbranch_execnz .LBB464_40
.LBB464_121:
	s_or_b64 exec, exec, s[2:3]
                                        ; implicit-def: $vgpr6
	s_and_saveexec_b64 s[2:3], s[18:19]
	s_cbranch_execz .LBB464_41
.LBB464_122:
	v_mov_b32_e32 v18, s47
	v_add_co_u32_e32 v6, vcc, s7, v7
	v_addc_co_u32_e32 v7, vcc, 0, v18, vcc
	flat_load_dword v6, v[6:7]
	s_or_b64 exec, exec, s[2:3]
                                        ; implicit-def: $vgpr7
	s_and_saveexec_b64 s[2:3], s[20:21]
	s_cbranch_execnz .LBB464_42
.LBB464_123:
	s_or_b64 exec, exec, s[2:3]
                                        ; implicit-def: $vgpr8
	s_and_saveexec_b64 s[2:3], s[22:23]
	s_cbranch_execz .LBB464_43
.LBB464_124:
	v_mov_b32_e32 v18, s47
	v_add_co_u32_e32 v8, vcc, s7, v9
	v_addc_co_u32_e32 v9, vcc, 0, v18, vcc
	flat_load_dword v8, v[8:9]
	s_or_b64 exec, exec, s[2:3]
                                        ; implicit-def: $vgpr9
	s_and_saveexec_b64 s[2:3], s[24:25]
	s_cbranch_execz .LBB464_45
	s_branch .LBB464_44
.LBB464_125:
                                        ; implicit-def: $vgpr49
                                        ; implicit-def: $vgpr47
                                        ; implicit-def: $vgpr45
                                        ; implicit-def: $vgpr43
                                        ; implicit-def: $vgpr34_vgpr35_vgpr36_vgpr37
                                        ; implicit-def: $vgpr30_vgpr31_vgpr32_vgpr33
                                        ; implicit-def: $vgpr26_vgpr27_vgpr28_vgpr29
	s_cbranch_execz .LBB464_139
; %bb.126:
	s_cmp_lg_u64 s[52:53], 0
	s_cselect_b32 s3, s51, 0
	s_cselect_b32 s2, s50, 0
	s_mov_b32 s24, 0
	s_cmp_eq_u64 s[2:3], 0
	v_mov_b32_e32 v32, s56
	s_cbranch_scc1 .LBB464_128
; %bb.127:
	v_mov_b32_e32 v26, 0
	global_load_dword v32, v26, s[2:3]
.LBB464_128:
	s_mov_b32 s25, 1
	v_cmp_gt_u64_e32 vcc, s[24:25], v[8:9]
	v_cndmask_b32_e32 v27, 0, v38, vcc
	v_add_u32_e32 v27, v27, v8
	v_cmp_gt_u64_e64 s[2:3], s[24:25], v[6:7]
	v_cndmask_b32_e64 v27, 0, v27, s[2:3]
	v_add_u32_e32 v27, v27, v6
	v_cmp_gt_u64_e64 s[4:5], s[24:25], v[4:5]
	v_cndmask_b32_e64 v27, 0, v27, s[4:5]
	;; [unrolled: 3-line block ×11, first 2 shown]
	v_mov_b32_e32 v26, 0
	v_add_u32_e32 v27, v27, v24
	v_cmp_gt_u64_e64 s[24:25], s[24:25], v[40:41]
	v_or3_b32 v7, v23, v15, v7
	v_cndmask_b32_e64 v27, 0, v27, s[24:25]
	v_or3_b32 v9, v25, v17, v9
	v_and_b32_e32 v35, 1, v7
	v_mov_b32_e32 v34, v26
	v_add_u32_e32 v33, v27, v40
	v_and_b32_e32 v27, 1, v41
	v_or3_b32 v3, v19, v11, v3
	v_and_b32_e32 v31, 1, v9
	v_mov_b32_e32 v30, v26
	v_cmp_ne_u64_e64 s[26:27], 0, v[34:35]
	v_cmp_eq_u32_e64 s[24:25], 1, v27
	v_or3_b32 v5, v21, v13, v5
	v_and_b32_e32 v27, 1, v3
	v_cndmask_b32_e64 v3, 0, 1, s[26:27]
	v_cmp_ne_u64_e64 s[26:27], 0, v[30:31]
	v_and_b32_e32 v29, 1, v5
	v_mov_b32_e32 v28, v26
	v_cndmask_b32_e64 v5, 0, 1, s[26:27]
	v_lshlrev_b16_e32 v3, 2, v3
	v_lshlrev_b16_e32 v5, 3, v5
	v_cmp_ne_u64_e64 s[26:27], 0, v[28:29]
	v_or_b32_e32 v3, v5, v3
	v_cndmask_b32_e64 v5, 0, 1, s[26:27]
	v_cmp_ne_u64_e64 s[26:27], 0, v[26:27]
	v_lshlrev_b16_e32 v5, 1, v5
	v_cndmask_b32_e64 v7, 0, 1, s[26:27]
	v_or_b32_e32 v5, v7, v5
	v_and_b32_e32 v5, 3, v5
	v_or_b32_e32 v3, v5, v3
	v_and_b32_e32 v3, 15, v3
	v_cmp_ne_u16_e64 s[26:27], 0, v3
	s_or_b64 s[24:25], s[24:25], s[26:27]
	v_cndmask_b32_e64 v5, v39, 1, s[24:25]
	v_and_b32_e32 v7, 0xff, v5
	v_mov_b32_dpp v11, v33 row_shr:1 row_mask:0xf bank_mask:0xf
	v_cmp_eq_u16_e64 s[24:25], 0, v7
	v_mov_b32_dpp v13, v7 row_shr:1 row_mask:0xf bank_mask:0xf
	v_and_b32_e32 v15, 1, v5
	v_mbcnt_hi_u32_b32 v3, -1, v52
	v_cndmask_b32_e64 v11, 0, v11, s[24:25]
	v_and_b32_e32 v13, 1, v13
	v_cmp_eq_u32_e64 s[24:25], 1, v15
	v_and_b32_e32 v9, 15, v3
	v_cndmask_b32_e64 v13, v13, 1, s[24:25]
	v_and_b32_e32 v15, 0xffff, v13
	v_cmp_eq_u32_e64 s[24:25], 0, v9
	v_cndmask_b32_e64 v5, v13, v5, s[24:25]
	v_cndmask_b32_e64 v7, v15, v7, s[24:25]
	v_and_b32_e32 v17, 1, v5
	v_cndmask_b32_e64 v11, v11, 0, s[24:25]
	v_mov_b32_dpp v15, v7 row_shr:2 row_mask:0xf bank_mask:0xf
	v_and_b32_e32 v15, 1, v15
	v_cmp_eq_u32_e64 s[24:25], 1, v17
	v_cndmask_b32_e64 v15, v15, 1, s[24:25]
	v_and_b32_e32 v17, 0xffff, v15
	v_cmp_lt_u32_e64 s[24:25], 1, v9
	v_add_u32_e32 v11, v11, v33
	v_cmp_eq_u16_sdwa s[26:27], v5, v26 src0_sel:BYTE_0 src1_sel:DWORD
	v_cndmask_b32_e64 v5, v5, v15, s[24:25]
	v_cndmask_b32_e64 v7, v7, v17, s[24:25]
	v_mov_b32_dpp v13, v11 row_shr:2 row_mask:0xf bank_mask:0xf
	s_and_b64 s[24:25], s[24:25], s[26:27]
	v_mov_b32_dpp v15, v7 row_shr:4 row_mask:0xf bank_mask:0xf
	v_and_b32_e32 v17, 1, v5
	v_cndmask_b32_e64 v13, 0, v13, s[24:25]
	v_and_b32_e32 v15, 1, v15
	v_cmp_eq_u32_e64 s[24:25], 1, v17
	v_cndmask_b32_e64 v15, v15, 1, s[24:25]
	v_and_b32_e32 v17, 0xffff, v15
	v_cmp_lt_u32_e64 s[24:25], 3, v9
	v_add_u32_e32 v11, v13, v11
	v_cmp_eq_u16_sdwa s[26:27], v5, v26 src0_sel:BYTE_0 src1_sel:DWORD
	v_cndmask_b32_e64 v5, v5, v15, s[24:25]
	v_cndmask_b32_e64 v7, v7, v17, s[24:25]
	v_mov_b32_dpp v13, v11 row_shr:4 row_mask:0xf bank_mask:0xf
	s_and_b64 s[24:25], s[24:25], s[26:27]
	v_mov_b32_dpp v15, v7 row_shr:8 row_mask:0xf bank_mask:0xf
	v_and_b32_e32 v17, 1, v5
	v_cndmask_b32_e64 v13, 0, v13, s[24:25]
	v_and_b32_e32 v15, 1, v15
	v_cmp_eq_u32_e64 s[24:25], 1, v17
	v_cndmask_b32_e64 v15, v15, 1, s[24:25]
	v_add_u32_e32 v11, v13, v11
	v_cmp_eq_u16_sdwa s[26:27], v5, v26 src0_sel:BYTE_0 src1_sel:DWORD
	v_and_b32_e32 v17, 0xffff, v15
	v_cmp_lt_u32_e64 s[24:25], 7, v9
	v_mov_b32_dpp v13, v11 row_shr:8 row_mask:0xf bank_mask:0xf
	v_cndmask_b32_e64 v5, v5, v15, s[24:25]
	v_cndmask_b32_e64 v7, v7, v17, s[24:25]
	s_and_b64 s[24:25], s[24:25], s[26:27]
	v_cndmask_b32_e64 v9, 0, v13, s[24:25]
	v_add_u32_e32 v9, v9, v11
	v_mov_b32_dpp v13, v7 row_bcast:15 row_mask:0xf bank_mask:0xf
	v_cmp_eq_u16_sdwa s[24:25], v5, v26 src0_sel:BYTE_0 src1_sel:DWORD
	v_mov_b32_dpp v11, v9 row_bcast:15 row_mask:0xf bank_mask:0xf
	v_and_b32_e32 v19, 1, v5
	v_cndmask_b32_e64 v11, 0, v11, s[24:25]
	v_and_b32_e32 v13, 1, v13
	v_cmp_eq_u32_e64 s[24:25], 1, v19
	v_and_b32_e32 v17, 16, v3
	v_cndmask_b32_e64 v13, v13, 1, s[24:25]
	v_and_b32_e32 v19, 0xffff, v13
	v_cmp_eq_u32_e64 s[24:25], 0, v17
	v_cndmask_b32_e64 v5, v13, v5, s[24:25]
	v_cndmask_b32_e64 v7, v19, v7, s[24:25]
	v_bfe_i32 v15, v3, 4, 1
	v_and_b32_e32 v13, 1, v5
	v_mov_b32_dpp v7, v7 row_bcast:31 row_mask:0xf bank_mask:0xf
	v_and_b32_e32 v11, v15, v11
	v_and_b32_e32 v7, 1, v7
	v_cmp_eq_u32_e64 s[24:25], 1, v13
	v_add_u32_e32 v9, v11, v9
	v_cmp_eq_u16_sdwa s[26:27], v5, v26 src0_sel:BYTE_0 src1_sel:DWORD
	v_cndmask_b32_e64 v7, v7, 1, s[24:25]
	v_cmp_lt_u32_e64 s[24:25], 31, v3
	v_mov_b32_dpp v11, v9 row_bcast:31 row_mask:0xf bank_mask:0xf
	v_cndmask_b32_e64 v5, v5, v7, s[24:25]
	s_and_b64 s[24:25], s[24:25], s[26:27]
	v_cndmask_b32_e64 v7, 0, v11, s[24:25]
	v_add_u32_e32 v7, v7, v9
	v_cmp_eq_u32_e64 s[24:25], v51, v0
	s_and_saveexec_b64 s[26:27], s[24:25]
	s_cbranch_execz .LBB464_130
; %bb.129:
	v_lshlrev_b32_e32 v9, 3, v1
	ds_write_b32 v9, v7
	ds_write_b8 v9, v5 offset:4
.LBB464_130:
	s_or_b64 exec, exec, s[26:27]
	v_cmp_gt_u32_e64 s[24:25], 4, v0
	s_waitcnt lgkmcnt(0)
	s_barrier
	s_and_saveexec_b64 s[26:27], s[24:25]
	s_cbranch_execz .LBB464_134
; %bb.131:
	v_lshlrev_b32_e32 v9, 3, v0
	ds_read_b64 v[26:27], v9
	v_and_b32_e32 v11, 3, v3
	v_cmp_ne_u32_e64 s[24:25], 0, v11
	s_waitcnt lgkmcnt(0)
	v_mov_b32_dpp v13, v26 row_shr:1 row_mask:0xf bank_mask:0xf
	v_mov_b32_dpp v17, v27 row_shr:1 row_mask:0xf bank_mask:0xf
	v_mov_b32_e32 v15, v27
	s_and_saveexec_b64 s[28:29], s[24:25]
	s_cbranch_execz .LBB464_133
; %bb.132:
	v_and_b32_e32 v15, 1, v27
	v_and_b32_e32 v17, 1, v17
	v_cmp_eq_u32_e64 s[24:25], 1, v15
	v_mov_b32_e32 v15, 0
	v_cndmask_b32_e64 v17, v17, 1, s[24:25]
	v_cmp_eq_u16_sdwa s[24:25], v27, v15 src0_sel:BYTE_0 src1_sel:DWORD
	v_cndmask_b32_e64 v13, 0, v13, s[24:25]
	v_add_u32_e32 v26, v13, v26
	v_and_b32_e32 v13, 0xffff, v17
	s_movk_i32 s24, 0xff00
	v_and_or_b32 v15, v27, s24, v13
	v_mov_b32_e32 v27, v17
.LBB464_133:
	s_or_b64 exec, exec, s[28:29]
	v_mov_b32_dpp v15, v15 row_shr:2 row_mask:0xf bank_mask:0xf
	v_and_b32_e32 v17, 1, v27
	v_and_b32_e32 v15, 1, v15
	v_cmp_eq_u32_e64 s[24:25], 1, v17
	v_mov_b32_e32 v17, 0
	v_cndmask_b32_e64 v15, v15, 1, s[24:25]
	v_cmp_eq_u16_sdwa s[28:29], v27, v17 src0_sel:BYTE_0 src1_sel:DWORD
	v_cmp_lt_u32_e64 s[24:25], 1, v11
	v_mov_b32_dpp v13, v26 row_shr:2 row_mask:0xf bank_mask:0xf
	v_cndmask_b32_e64 v11, v27, v15, s[24:25]
	s_and_b64 s[24:25], s[24:25], s[28:29]
	v_cndmask_b32_e64 v13, 0, v13, s[24:25]
	v_add_u32_e32 v13, v13, v26
	ds_write_b32 v9, v13
	ds_write_b8 v9, v11 offset:4
.LBB464_134:
	s_or_b64 exec, exec, s[26:27]
	v_cmp_lt_u32_e64 s[24:25], 63, v0
	s_waitcnt vmcnt(0)
	v_mov_b32_e32 v9, v32
	s_waitcnt lgkmcnt(0)
	s_barrier
	s_and_saveexec_b64 s[26:27], s[24:25]
	s_cbranch_execz .LBB464_136
; %bb.135:
	v_lshl_add_u32 v1, v1, 3, -8
	ds_read_u8 v9, v1 offset:4
	ds_read_b32 v1, v1
	s_waitcnt lgkmcnt(1)
	v_cmp_eq_u16_e64 s[24:25], 0, v9
	v_cndmask_b32_e64 v9, 0, v32, s[24:25]
	s_waitcnt lgkmcnt(0)
	v_add_u32_e32 v9, v9, v1
.LBB464_136:
	s_or_b64 exec, exec, s[26:27]
	v_mov_b32_e32 v28, 0
	v_cmp_eq_u16_sdwa s[24:25], v5, v28 src0_sel:BYTE_0 src1_sel:DWORD
	v_cndmask_b32_e64 v1, 0, v9, s[24:25]
	v_add_u32_e32 v1, v1, v7
	v_add_u32_e32 v5, -1, v3
	v_and_b32_e32 v7, 64, v3
	v_cmp_lt_i32_e64 s[24:25], v5, v7
	v_cndmask_b32_e64 v5, v5, v3, s[24:25]
	v_lshlrev_b32_e32 v5, 2, v5
	ds_bpermute_b32 v1, v5, v1
	v_cmp_eq_u32_e64 s[24:25], 0, v3
	v_and_b32_e32 v29, 0xff, v39
	v_cmp_eq_u64_e64 s[26:27], 0, v[28:29]
	s_waitcnt lgkmcnt(0)
	v_cndmask_b32_e64 v26, v1, v9, s[24:25]
	v_cmp_eq_u32_e64 s[24:25], 0, v0
	v_cndmask_b32_e64 v1, v26, v32, s[24:25]
	v_cndmask_b32_e64 v1, 0, v1, s[26:27]
	v_add_u32_e32 v27, v1, v38
	v_cndmask_b32_e32 v1, 0, v27, vcc
	v_add_u32_e32 v42, v1, v8
	v_cndmask_b32_e64 v1, 0, v42, s[2:3]
	v_add_u32_e32 v43, v1, v6
	v_cndmask_b32_e64 v1, 0, v43, s[4:5]
	;; [unrolled: 2-line block ×11, first 2 shown]
	s_and_saveexec_b64 s[2:3], s[24:25]
	s_cbranch_execz .LBB464_138
; %bb.137:
	ds_read_u8 v3, v28 offset:28
	ds_read_b32 v2, v28 offset:24
	s_add_u32 s4, s44, 0x400
	s_addc_u32 s5, s45, 0
	v_mov_b32_e32 v5, v28
	s_waitcnt lgkmcnt(1)
	v_cmp_eq_u16_e32 vcc, 0, v3
	v_cndmask_b32_e32 v4, 0, v32, vcc
	s_waitcnt lgkmcnt(0)
	v_add_u32_e32 v2, v4, v2
	v_and_b32_e32 v3, 0xffff, v3
	v_mov_b32_e32 v4, 2
	v_pk_mov_b32 v[6:7], s[4:5], s[4:5] op_sel:[0,1]
	;;#ASMSTART
	global_store_dwordx4 v[6:7], v[2:5] off	
s_waitcnt vmcnt(0)
	;;#ASMEND
	v_mov_b32_e32 v26, v32
.LBB464_138:
	s_or_b64 exec, exec, s[2:3]
	v_add_u32_e32 v49, v1, v24
.LBB464_139:
	s_add_u32 s2, s42, s34
	s_addc_u32 s3, s43, s35
	s_add_u32 s4, s2, s36
	v_mul_u32_u24_e32 v1, 14, v0
	s_addc_u32 s5, s3, s37
	s_and_b64 vcc, exec, s[0:1]
	v_lshlrev_b32_e32 v2, 2, v1
	s_cbranch_vccz .LBB464_167
; %bb.140:
	s_movk_i32 s0, 0xffcc
	v_mad_i32_i24 v3, v0, s0, v2
	s_barrier
	ds_write2_b64 v2, v[26:27], v[42:43] offset1:1
	ds_write2_b64 v2, v[30:31], v[44:45] offset0:2 offset1:3
	ds_write2_b64 v2, v[34:35], v[46:47] offset0:4 offset1:5
	ds_write_b64 v2, v[48:49] offset:48
	s_waitcnt lgkmcnt(0)
	s_barrier
	ds_read2st64_b32 v[16:17], v3 offset0:4 offset1:8
	ds_read2st64_b32 v[14:15], v3 offset0:12 offset1:16
	ds_read2st64_b32 v[12:13], v3 offset0:20 offset1:24
	ds_read2st64_b32 v[10:11], v3 offset0:28 offset1:32
	ds_read2st64_b32 v[8:9], v3 offset0:36 offset1:40
	ds_read2st64_b32 v[4:5], v3 offset0:44 offset1:48
	ds_read_b32 v3, v3 offset:13312
	v_mov_b32_e32 v7, s5
	v_add_co_u32_e32 v6, vcc, s4, v50
	s_add_i32 s33, s33, s46
	v_addc_co_u32_e32 v7, vcc, 0, v7, vcc
	v_mov_b32_e32 v1, 0
	v_cmp_gt_u32_e32 vcc, s33, v0
	s_and_saveexec_b64 s[0:1], vcc
	s_cbranch_execz .LBB464_142
; %bb.141:
	v_mul_i32_i24_e32 v18, 0xffffffcc, v0
	v_add_u32_e32 v18, v2, v18
	ds_read_b32 v18, v18
	s_waitcnt lgkmcnt(0)
	flat_store_dword v[6:7], v18
.LBB464_142:
	s_or_b64 exec, exec, s[0:1]
	v_or_b32_e32 v18, 0x100, v0
	v_cmp_gt_u32_e32 vcc, s33, v18
	s_and_saveexec_b64 s[0:1], vcc
	s_cbranch_execz .LBB464_144
; %bb.143:
	s_waitcnt lgkmcnt(0)
	flat_store_dword v[6:7], v16 offset:1024
.LBB464_144:
	s_or_b64 exec, exec, s[0:1]
	s_waitcnt lgkmcnt(0)
	v_or_b32_e32 v16, 0x200, v0
	v_cmp_gt_u32_e32 vcc, s33, v16
	s_and_saveexec_b64 s[0:1], vcc
	s_cbranch_execz .LBB464_146
; %bb.145:
	flat_store_dword v[6:7], v17 offset:2048
.LBB464_146:
	s_or_b64 exec, exec, s[0:1]
	v_or_b32_e32 v16, 0x300, v0
	v_cmp_gt_u32_e32 vcc, s33, v16
	s_and_saveexec_b64 s[0:1], vcc
	s_cbranch_execz .LBB464_148
; %bb.147:
	flat_store_dword v[6:7], v14 offset:3072
.LBB464_148:
	s_or_b64 exec, exec, s[0:1]
	v_or_b32_e32 v14, 0x400, v0
	v_cmp_gt_u32_e32 vcc, s33, v14
	s_and_saveexec_b64 s[0:1], vcc
	s_cbranch_execz .LBB464_150
; %bb.149:
	v_add_co_u32_e32 v16, vcc, 0x1000, v6
	v_addc_co_u32_e32 v17, vcc, 0, v7, vcc
	flat_store_dword v[16:17], v15
.LBB464_150:
	s_or_b64 exec, exec, s[0:1]
	v_or_b32_e32 v14, 0x500, v0
	v_cmp_gt_u32_e32 vcc, s33, v14
	s_and_saveexec_b64 s[0:1], vcc
	s_cbranch_execz .LBB464_152
; %bb.151:
	v_add_co_u32_e32 v14, vcc, 0x1000, v6
	v_addc_co_u32_e32 v15, vcc, 0, v7, vcc
	flat_store_dword v[14:15], v12 offset:1024
.LBB464_152:
	s_or_b64 exec, exec, s[0:1]
	v_or_b32_e32 v12, 0x600, v0
	v_cmp_gt_u32_e32 vcc, s33, v12
	s_and_saveexec_b64 s[0:1], vcc
	s_cbranch_execz .LBB464_154
; %bb.153:
	v_add_co_u32_e32 v14, vcc, 0x1000, v6
	v_addc_co_u32_e32 v15, vcc, 0, v7, vcc
	flat_store_dword v[14:15], v13 offset:2048
.LBB464_154:
	;; [unrolled: 10-line block ×3, first 2 shown]
	s_or_b64 exec, exec, s[0:1]
	v_or_b32_e32 v10, 0x800, v0
	v_cmp_gt_u32_e32 vcc, s33, v10
	s_and_saveexec_b64 s[0:1], vcc
	s_cbranch_execz .LBB464_158
; %bb.157:
	v_add_co_u32_e32 v12, vcc, 0x2000, v6
	v_addc_co_u32_e32 v13, vcc, 0, v7, vcc
	flat_store_dword v[12:13], v11
.LBB464_158:
	s_or_b64 exec, exec, s[0:1]
	v_or_b32_e32 v10, 0x900, v0
	v_cmp_gt_u32_e32 vcc, s33, v10
	s_and_saveexec_b64 s[0:1], vcc
	s_cbranch_execz .LBB464_160
; %bb.159:
	v_add_co_u32_e32 v10, vcc, 0x2000, v6
	v_addc_co_u32_e32 v11, vcc, 0, v7, vcc
	flat_store_dword v[10:11], v8 offset:1024
.LBB464_160:
	s_or_b64 exec, exec, s[0:1]
	v_or_b32_e32 v8, 0xa00, v0
	v_cmp_gt_u32_e32 vcc, s33, v8
	s_and_saveexec_b64 s[0:1], vcc
	s_cbranch_execz .LBB464_162
; %bb.161:
	v_add_co_u32_e32 v10, vcc, 0x2000, v6
	v_addc_co_u32_e32 v11, vcc, 0, v7, vcc
	flat_store_dword v[10:11], v9 offset:2048
.LBB464_162:
	;; [unrolled: 10-line block ×3, first 2 shown]
	s_or_b64 exec, exec, s[0:1]
	v_or_b32_e32 v4, 0xc00, v0
	v_cmp_gt_u32_e32 vcc, s33, v4
	s_and_saveexec_b64 s[0:1], vcc
	s_cbranch_execz .LBB464_166
; %bb.165:
	v_add_co_u32_e32 v6, vcc, 0x3000, v6
	v_addc_co_u32_e32 v7, vcc, 0, v7, vcc
	flat_store_dword v[6:7], v5
.LBB464_166:
	s_or_b64 exec, exec, s[0:1]
	v_or_b32_e32 v4, 0xd00, v0
	v_cmp_gt_u32_e64 s[0:1], s33, v4
	s_branch .LBB464_169
.LBB464_167:
	s_mov_b64 s[0:1], 0
                                        ; implicit-def: $vgpr3
	s_cbranch_execz .LBB464_169
; %bb.168:
	s_movk_i32 s2, 0xffcc
	s_waitcnt lgkmcnt(0)
	s_barrier
	ds_write2_b64 v2, v[26:27], v[42:43] offset1:1
	ds_write2_b64 v2, v[30:31], v[44:45] offset0:2 offset1:3
	ds_write2_b64 v2, v[34:35], v[46:47] offset0:4 offset1:5
	ds_write_b64 v2, v[48:49] offset:48
	v_mad_i32_i24 v2, v0, s2, v2
	v_mov_b32_e32 v17, s5
	v_add_co_u32_e32 v16, vcc, s4, v50
	s_waitcnt lgkmcnt(0)
	s_barrier
	ds_read2st64_b32 v[4:5], v2 offset1:4
	ds_read2st64_b32 v[6:7], v2 offset0:8 offset1:12
	ds_read2st64_b32 v[8:9], v2 offset0:16 offset1:20
	;; [unrolled: 1-line block ×6, first 2 shown]
	v_addc_co_u32_e32 v17, vcc, 0, v17, vcc
	s_movk_i32 s2, 0x1000
	s_waitcnt lgkmcnt(0)
	flat_store_dword v[16:17], v4
	flat_store_dword v[16:17], v5 offset:1024
	flat_store_dword v[16:17], v6 offset:2048
	;; [unrolled: 1-line block ×3, first 2 shown]
	v_add_co_u32_e32 v4, vcc, s2, v16
	v_addc_co_u32_e32 v5, vcc, 0, v17, vcc
	flat_store_dword v[4:5], v8
	flat_store_dword v[4:5], v9 offset:1024
	flat_store_dword v[4:5], v10 offset:2048
	;; [unrolled: 1-line block ×3, first 2 shown]
	v_add_co_u32_e32 v4, vcc, 0x2000, v16
	v_addc_co_u32_e32 v5, vcc, 0, v17, vcc
	flat_store_dword v[4:5], v12
	flat_store_dword v[4:5], v13 offset:1024
	flat_store_dword v[4:5], v14 offset:2048
	;; [unrolled: 1-line block ×3, first 2 shown]
	v_add_co_u32_e32 v4, vcc, 0x3000, v16
	v_mov_b32_e32 v1, 0
	v_addc_co_u32_e32 v5, vcc, 0, v17, vcc
	s_or_b64 s[0:1], s[0:1], exec
	flat_store_dword v[4:5], v2
.LBB464_169:
	s_and_saveexec_b64 s[2:3], s[0:1]
	s_cbranch_execz .LBB464_171
; %bb.170:
	v_lshlrev_b64 v[0:1], 2, v[0:1]
	v_mov_b32_e32 v2, s5
	v_add_co_u32_e32 v0, vcc, s4, v0
	v_addc_co_u32_e32 v1, vcc, v2, v1, vcc
	v_add_co_u32_e32 v0, vcc, 0x3000, v0
	v_addc_co_u32_e32 v1, vcc, 0, v1, vcc
	flat_store_dword v[0:1], v3 offset:1024
	s_endpgm
.LBB464_171:
	s_endpgm
	.section	.rodata,"a",@progbits
	.p2align	6, 0x0
	.amdhsa_kernel _ZN7rocprim17ROCPRIM_400000_NS6detail17trampoline_kernelINS0_14default_configENS1_27scan_by_key_config_selectorIiiEEZZNS1_16scan_by_key_implILNS1_25lookback_scan_determinismE0ELb1ES3_N6thrust23THRUST_200600_302600_NS6detail15normal_iteratorINS9_10device_ptrIiEEEESE_SE_iNS9_4plusIvEENS9_8equal_toIvEEiEE10hipError_tPvRmT2_T3_T4_T5_mT6_T7_P12ihipStream_tbENKUlT_T0_E_clISt17integral_constantIbLb0EESZ_EEDaSU_SV_EUlSU_E_NS1_11comp_targetILNS1_3genE4ELNS1_11target_archE910ELNS1_3gpuE8ELNS1_3repE0EEENS1_30default_config_static_selectorELNS0_4arch9wavefront6targetE1EEEvT1_
		.amdhsa_group_segment_fixed_size 16384
		.amdhsa_private_segment_fixed_size 0
		.amdhsa_kernarg_size 112
		.amdhsa_user_sgpr_count 6
		.amdhsa_user_sgpr_private_segment_buffer 1
		.amdhsa_user_sgpr_dispatch_ptr 0
		.amdhsa_user_sgpr_queue_ptr 0
		.amdhsa_user_sgpr_kernarg_segment_ptr 1
		.amdhsa_user_sgpr_dispatch_id 0
		.amdhsa_user_sgpr_flat_scratch_init 0
		.amdhsa_user_sgpr_kernarg_preload_length 0
		.amdhsa_user_sgpr_kernarg_preload_offset 0
		.amdhsa_user_sgpr_private_segment_size 0
		.amdhsa_uses_dynamic_stack 0
		.amdhsa_system_sgpr_private_segment_wavefront_offset 0
		.amdhsa_system_sgpr_workgroup_id_x 1
		.amdhsa_system_sgpr_workgroup_id_y 0
		.amdhsa_system_sgpr_workgroup_id_z 0
		.amdhsa_system_sgpr_workgroup_info 0
		.amdhsa_system_vgpr_workitem_id 0
		.amdhsa_next_free_vgpr 65
		.amdhsa_next_free_sgpr 60
		.amdhsa_accum_offset 68
		.amdhsa_reserve_vcc 1
		.amdhsa_reserve_flat_scratch 0
		.amdhsa_float_round_mode_32 0
		.amdhsa_float_round_mode_16_64 0
		.amdhsa_float_denorm_mode_32 3
		.amdhsa_float_denorm_mode_16_64 3
		.amdhsa_dx10_clamp 1
		.amdhsa_ieee_mode 1
		.amdhsa_fp16_overflow 0
		.amdhsa_tg_split 0
		.amdhsa_exception_fp_ieee_invalid_op 0
		.amdhsa_exception_fp_denorm_src 0
		.amdhsa_exception_fp_ieee_div_zero 0
		.amdhsa_exception_fp_ieee_overflow 0
		.amdhsa_exception_fp_ieee_underflow 0
		.amdhsa_exception_fp_ieee_inexact 0
		.amdhsa_exception_int_div_zero 0
	.end_amdhsa_kernel
	.section	.text._ZN7rocprim17ROCPRIM_400000_NS6detail17trampoline_kernelINS0_14default_configENS1_27scan_by_key_config_selectorIiiEEZZNS1_16scan_by_key_implILNS1_25lookback_scan_determinismE0ELb1ES3_N6thrust23THRUST_200600_302600_NS6detail15normal_iteratorINS9_10device_ptrIiEEEESE_SE_iNS9_4plusIvEENS9_8equal_toIvEEiEE10hipError_tPvRmT2_T3_T4_T5_mT6_T7_P12ihipStream_tbENKUlT_T0_E_clISt17integral_constantIbLb0EESZ_EEDaSU_SV_EUlSU_E_NS1_11comp_targetILNS1_3genE4ELNS1_11target_archE910ELNS1_3gpuE8ELNS1_3repE0EEENS1_30default_config_static_selectorELNS0_4arch9wavefront6targetE1EEEvT1_,"axG",@progbits,_ZN7rocprim17ROCPRIM_400000_NS6detail17trampoline_kernelINS0_14default_configENS1_27scan_by_key_config_selectorIiiEEZZNS1_16scan_by_key_implILNS1_25lookback_scan_determinismE0ELb1ES3_N6thrust23THRUST_200600_302600_NS6detail15normal_iteratorINS9_10device_ptrIiEEEESE_SE_iNS9_4plusIvEENS9_8equal_toIvEEiEE10hipError_tPvRmT2_T3_T4_T5_mT6_T7_P12ihipStream_tbENKUlT_T0_E_clISt17integral_constantIbLb0EESZ_EEDaSU_SV_EUlSU_E_NS1_11comp_targetILNS1_3genE4ELNS1_11target_archE910ELNS1_3gpuE8ELNS1_3repE0EEENS1_30default_config_static_selectorELNS0_4arch9wavefront6targetE1EEEvT1_,comdat
.Lfunc_end464:
	.size	_ZN7rocprim17ROCPRIM_400000_NS6detail17trampoline_kernelINS0_14default_configENS1_27scan_by_key_config_selectorIiiEEZZNS1_16scan_by_key_implILNS1_25lookback_scan_determinismE0ELb1ES3_N6thrust23THRUST_200600_302600_NS6detail15normal_iteratorINS9_10device_ptrIiEEEESE_SE_iNS9_4plusIvEENS9_8equal_toIvEEiEE10hipError_tPvRmT2_T3_T4_T5_mT6_T7_P12ihipStream_tbENKUlT_T0_E_clISt17integral_constantIbLb0EESZ_EEDaSU_SV_EUlSU_E_NS1_11comp_targetILNS1_3genE4ELNS1_11target_archE910ELNS1_3gpuE8ELNS1_3repE0EEENS1_30default_config_static_selectorELNS0_4arch9wavefront6targetE1EEEvT1_, .Lfunc_end464-_ZN7rocprim17ROCPRIM_400000_NS6detail17trampoline_kernelINS0_14default_configENS1_27scan_by_key_config_selectorIiiEEZZNS1_16scan_by_key_implILNS1_25lookback_scan_determinismE0ELb1ES3_N6thrust23THRUST_200600_302600_NS6detail15normal_iteratorINS9_10device_ptrIiEEEESE_SE_iNS9_4plusIvEENS9_8equal_toIvEEiEE10hipError_tPvRmT2_T3_T4_T5_mT6_T7_P12ihipStream_tbENKUlT_T0_E_clISt17integral_constantIbLb0EESZ_EEDaSU_SV_EUlSU_E_NS1_11comp_targetILNS1_3genE4ELNS1_11target_archE910ELNS1_3gpuE8ELNS1_3repE0EEENS1_30default_config_static_selectorELNS0_4arch9wavefront6targetE1EEEvT1_
                                        ; -- End function
	.section	.AMDGPU.csdata,"",@progbits
; Kernel info:
; codeLenInByte = 11184
; NumSgprs: 64
; NumVgprs: 65
; NumAgprs: 0
; TotalNumVgprs: 65
; ScratchSize: 0
; MemoryBound: 0
; FloatMode: 240
; IeeeMode: 1
; LDSByteSize: 16384 bytes/workgroup (compile time only)
; SGPRBlocks: 7
; VGPRBlocks: 8
; NumSGPRsForWavesPerEU: 64
; NumVGPRsForWavesPerEU: 65
; AccumOffset: 68
; Occupancy: 4
; WaveLimiterHint : 1
; COMPUTE_PGM_RSRC2:SCRATCH_EN: 0
; COMPUTE_PGM_RSRC2:USER_SGPR: 6
; COMPUTE_PGM_RSRC2:TRAP_HANDLER: 0
; COMPUTE_PGM_RSRC2:TGID_X_EN: 1
; COMPUTE_PGM_RSRC2:TGID_Y_EN: 0
; COMPUTE_PGM_RSRC2:TGID_Z_EN: 0
; COMPUTE_PGM_RSRC2:TIDIG_COMP_CNT: 0
; COMPUTE_PGM_RSRC3_GFX90A:ACCUM_OFFSET: 16
; COMPUTE_PGM_RSRC3_GFX90A:TG_SPLIT: 0
	.section	.text._ZN7rocprim17ROCPRIM_400000_NS6detail17trampoline_kernelINS0_14default_configENS1_27scan_by_key_config_selectorIiiEEZZNS1_16scan_by_key_implILNS1_25lookback_scan_determinismE0ELb1ES3_N6thrust23THRUST_200600_302600_NS6detail15normal_iteratorINS9_10device_ptrIiEEEESE_SE_iNS9_4plusIvEENS9_8equal_toIvEEiEE10hipError_tPvRmT2_T3_T4_T5_mT6_T7_P12ihipStream_tbENKUlT_T0_E_clISt17integral_constantIbLb0EESZ_EEDaSU_SV_EUlSU_E_NS1_11comp_targetILNS1_3genE3ELNS1_11target_archE908ELNS1_3gpuE7ELNS1_3repE0EEENS1_30default_config_static_selectorELNS0_4arch9wavefront6targetE1EEEvT1_,"axG",@progbits,_ZN7rocprim17ROCPRIM_400000_NS6detail17trampoline_kernelINS0_14default_configENS1_27scan_by_key_config_selectorIiiEEZZNS1_16scan_by_key_implILNS1_25lookback_scan_determinismE0ELb1ES3_N6thrust23THRUST_200600_302600_NS6detail15normal_iteratorINS9_10device_ptrIiEEEESE_SE_iNS9_4plusIvEENS9_8equal_toIvEEiEE10hipError_tPvRmT2_T3_T4_T5_mT6_T7_P12ihipStream_tbENKUlT_T0_E_clISt17integral_constantIbLb0EESZ_EEDaSU_SV_EUlSU_E_NS1_11comp_targetILNS1_3genE3ELNS1_11target_archE908ELNS1_3gpuE7ELNS1_3repE0EEENS1_30default_config_static_selectorELNS0_4arch9wavefront6targetE1EEEvT1_,comdat
	.protected	_ZN7rocprim17ROCPRIM_400000_NS6detail17trampoline_kernelINS0_14default_configENS1_27scan_by_key_config_selectorIiiEEZZNS1_16scan_by_key_implILNS1_25lookback_scan_determinismE0ELb1ES3_N6thrust23THRUST_200600_302600_NS6detail15normal_iteratorINS9_10device_ptrIiEEEESE_SE_iNS9_4plusIvEENS9_8equal_toIvEEiEE10hipError_tPvRmT2_T3_T4_T5_mT6_T7_P12ihipStream_tbENKUlT_T0_E_clISt17integral_constantIbLb0EESZ_EEDaSU_SV_EUlSU_E_NS1_11comp_targetILNS1_3genE3ELNS1_11target_archE908ELNS1_3gpuE7ELNS1_3repE0EEENS1_30default_config_static_selectorELNS0_4arch9wavefront6targetE1EEEvT1_ ; -- Begin function _ZN7rocprim17ROCPRIM_400000_NS6detail17trampoline_kernelINS0_14default_configENS1_27scan_by_key_config_selectorIiiEEZZNS1_16scan_by_key_implILNS1_25lookback_scan_determinismE0ELb1ES3_N6thrust23THRUST_200600_302600_NS6detail15normal_iteratorINS9_10device_ptrIiEEEESE_SE_iNS9_4plusIvEENS9_8equal_toIvEEiEE10hipError_tPvRmT2_T3_T4_T5_mT6_T7_P12ihipStream_tbENKUlT_T0_E_clISt17integral_constantIbLb0EESZ_EEDaSU_SV_EUlSU_E_NS1_11comp_targetILNS1_3genE3ELNS1_11target_archE908ELNS1_3gpuE7ELNS1_3repE0EEENS1_30default_config_static_selectorELNS0_4arch9wavefront6targetE1EEEvT1_
	.globl	_ZN7rocprim17ROCPRIM_400000_NS6detail17trampoline_kernelINS0_14default_configENS1_27scan_by_key_config_selectorIiiEEZZNS1_16scan_by_key_implILNS1_25lookback_scan_determinismE0ELb1ES3_N6thrust23THRUST_200600_302600_NS6detail15normal_iteratorINS9_10device_ptrIiEEEESE_SE_iNS9_4plusIvEENS9_8equal_toIvEEiEE10hipError_tPvRmT2_T3_T4_T5_mT6_T7_P12ihipStream_tbENKUlT_T0_E_clISt17integral_constantIbLb0EESZ_EEDaSU_SV_EUlSU_E_NS1_11comp_targetILNS1_3genE3ELNS1_11target_archE908ELNS1_3gpuE7ELNS1_3repE0EEENS1_30default_config_static_selectorELNS0_4arch9wavefront6targetE1EEEvT1_
	.p2align	8
	.type	_ZN7rocprim17ROCPRIM_400000_NS6detail17trampoline_kernelINS0_14default_configENS1_27scan_by_key_config_selectorIiiEEZZNS1_16scan_by_key_implILNS1_25lookback_scan_determinismE0ELb1ES3_N6thrust23THRUST_200600_302600_NS6detail15normal_iteratorINS9_10device_ptrIiEEEESE_SE_iNS9_4plusIvEENS9_8equal_toIvEEiEE10hipError_tPvRmT2_T3_T4_T5_mT6_T7_P12ihipStream_tbENKUlT_T0_E_clISt17integral_constantIbLb0EESZ_EEDaSU_SV_EUlSU_E_NS1_11comp_targetILNS1_3genE3ELNS1_11target_archE908ELNS1_3gpuE7ELNS1_3repE0EEENS1_30default_config_static_selectorELNS0_4arch9wavefront6targetE1EEEvT1_,@function
_ZN7rocprim17ROCPRIM_400000_NS6detail17trampoline_kernelINS0_14default_configENS1_27scan_by_key_config_selectorIiiEEZZNS1_16scan_by_key_implILNS1_25lookback_scan_determinismE0ELb1ES3_N6thrust23THRUST_200600_302600_NS6detail15normal_iteratorINS9_10device_ptrIiEEEESE_SE_iNS9_4plusIvEENS9_8equal_toIvEEiEE10hipError_tPvRmT2_T3_T4_T5_mT6_T7_P12ihipStream_tbENKUlT_T0_E_clISt17integral_constantIbLb0EESZ_EEDaSU_SV_EUlSU_E_NS1_11comp_targetILNS1_3genE3ELNS1_11target_archE908ELNS1_3gpuE7ELNS1_3repE0EEENS1_30default_config_static_selectorELNS0_4arch9wavefront6targetE1EEEvT1_: ; @_ZN7rocprim17ROCPRIM_400000_NS6detail17trampoline_kernelINS0_14default_configENS1_27scan_by_key_config_selectorIiiEEZZNS1_16scan_by_key_implILNS1_25lookback_scan_determinismE0ELb1ES3_N6thrust23THRUST_200600_302600_NS6detail15normal_iteratorINS9_10device_ptrIiEEEESE_SE_iNS9_4plusIvEENS9_8equal_toIvEEiEE10hipError_tPvRmT2_T3_T4_T5_mT6_T7_P12ihipStream_tbENKUlT_T0_E_clISt17integral_constantIbLb0EESZ_EEDaSU_SV_EUlSU_E_NS1_11comp_targetILNS1_3genE3ELNS1_11target_archE908ELNS1_3gpuE7ELNS1_3repE0EEENS1_30default_config_static_selectorELNS0_4arch9wavefront6targetE1EEEvT1_
; %bb.0:
	.section	.rodata,"a",@progbits
	.p2align	6, 0x0
	.amdhsa_kernel _ZN7rocprim17ROCPRIM_400000_NS6detail17trampoline_kernelINS0_14default_configENS1_27scan_by_key_config_selectorIiiEEZZNS1_16scan_by_key_implILNS1_25lookback_scan_determinismE0ELb1ES3_N6thrust23THRUST_200600_302600_NS6detail15normal_iteratorINS9_10device_ptrIiEEEESE_SE_iNS9_4plusIvEENS9_8equal_toIvEEiEE10hipError_tPvRmT2_T3_T4_T5_mT6_T7_P12ihipStream_tbENKUlT_T0_E_clISt17integral_constantIbLb0EESZ_EEDaSU_SV_EUlSU_E_NS1_11comp_targetILNS1_3genE3ELNS1_11target_archE908ELNS1_3gpuE7ELNS1_3repE0EEENS1_30default_config_static_selectorELNS0_4arch9wavefront6targetE1EEEvT1_
		.amdhsa_group_segment_fixed_size 0
		.amdhsa_private_segment_fixed_size 0
		.amdhsa_kernarg_size 112
		.amdhsa_user_sgpr_count 6
		.amdhsa_user_sgpr_private_segment_buffer 1
		.amdhsa_user_sgpr_dispatch_ptr 0
		.amdhsa_user_sgpr_queue_ptr 0
		.amdhsa_user_sgpr_kernarg_segment_ptr 1
		.amdhsa_user_sgpr_dispatch_id 0
		.amdhsa_user_sgpr_flat_scratch_init 0
		.amdhsa_user_sgpr_kernarg_preload_length 0
		.amdhsa_user_sgpr_kernarg_preload_offset 0
		.amdhsa_user_sgpr_private_segment_size 0
		.amdhsa_uses_dynamic_stack 0
		.amdhsa_system_sgpr_private_segment_wavefront_offset 0
		.amdhsa_system_sgpr_workgroup_id_x 1
		.amdhsa_system_sgpr_workgroup_id_y 0
		.amdhsa_system_sgpr_workgroup_id_z 0
		.amdhsa_system_sgpr_workgroup_info 0
		.amdhsa_system_vgpr_workitem_id 0
		.amdhsa_next_free_vgpr 1
		.amdhsa_next_free_sgpr 0
		.amdhsa_accum_offset 4
		.amdhsa_reserve_vcc 0
		.amdhsa_reserve_flat_scratch 0
		.amdhsa_float_round_mode_32 0
		.amdhsa_float_round_mode_16_64 0
		.amdhsa_float_denorm_mode_32 3
		.amdhsa_float_denorm_mode_16_64 3
		.amdhsa_dx10_clamp 1
		.amdhsa_ieee_mode 1
		.amdhsa_fp16_overflow 0
		.amdhsa_tg_split 0
		.amdhsa_exception_fp_ieee_invalid_op 0
		.amdhsa_exception_fp_denorm_src 0
		.amdhsa_exception_fp_ieee_div_zero 0
		.amdhsa_exception_fp_ieee_overflow 0
		.amdhsa_exception_fp_ieee_underflow 0
		.amdhsa_exception_fp_ieee_inexact 0
		.amdhsa_exception_int_div_zero 0
	.end_amdhsa_kernel
	.section	.text._ZN7rocprim17ROCPRIM_400000_NS6detail17trampoline_kernelINS0_14default_configENS1_27scan_by_key_config_selectorIiiEEZZNS1_16scan_by_key_implILNS1_25lookback_scan_determinismE0ELb1ES3_N6thrust23THRUST_200600_302600_NS6detail15normal_iteratorINS9_10device_ptrIiEEEESE_SE_iNS9_4plusIvEENS9_8equal_toIvEEiEE10hipError_tPvRmT2_T3_T4_T5_mT6_T7_P12ihipStream_tbENKUlT_T0_E_clISt17integral_constantIbLb0EESZ_EEDaSU_SV_EUlSU_E_NS1_11comp_targetILNS1_3genE3ELNS1_11target_archE908ELNS1_3gpuE7ELNS1_3repE0EEENS1_30default_config_static_selectorELNS0_4arch9wavefront6targetE1EEEvT1_,"axG",@progbits,_ZN7rocprim17ROCPRIM_400000_NS6detail17trampoline_kernelINS0_14default_configENS1_27scan_by_key_config_selectorIiiEEZZNS1_16scan_by_key_implILNS1_25lookback_scan_determinismE0ELb1ES3_N6thrust23THRUST_200600_302600_NS6detail15normal_iteratorINS9_10device_ptrIiEEEESE_SE_iNS9_4plusIvEENS9_8equal_toIvEEiEE10hipError_tPvRmT2_T3_T4_T5_mT6_T7_P12ihipStream_tbENKUlT_T0_E_clISt17integral_constantIbLb0EESZ_EEDaSU_SV_EUlSU_E_NS1_11comp_targetILNS1_3genE3ELNS1_11target_archE908ELNS1_3gpuE7ELNS1_3repE0EEENS1_30default_config_static_selectorELNS0_4arch9wavefront6targetE1EEEvT1_,comdat
.Lfunc_end465:
	.size	_ZN7rocprim17ROCPRIM_400000_NS6detail17trampoline_kernelINS0_14default_configENS1_27scan_by_key_config_selectorIiiEEZZNS1_16scan_by_key_implILNS1_25lookback_scan_determinismE0ELb1ES3_N6thrust23THRUST_200600_302600_NS6detail15normal_iteratorINS9_10device_ptrIiEEEESE_SE_iNS9_4plusIvEENS9_8equal_toIvEEiEE10hipError_tPvRmT2_T3_T4_T5_mT6_T7_P12ihipStream_tbENKUlT_T0_E_clISt17integral_constantIbLb0EESZ_EEDaSU_SV_EUlSU_E_NS1_11comp_targetILNS1_3genE3ELNS1_11target_archE908ELNS1_3gpuE7ELNS1_3repE0EEENS1_30default_config_static_selectorELNS0_4arch9wavefront6targetE1EEEvT1_, .Lfunc_end465-_ZN7rocprim17ROCPRIM_400000_NS6detail17trampoline_kernelINS0_14default_configENS1_27scan_by_key_config_selectorIiiEEZZNS1_16scan_by_key_implILNS1_25lookback_scan_determinismE0ELb1ES3_N6thrust23THRUST_200600_302600_NS6detail15normal_iteratorINS9_10device_ptrIiEEEESE_SE_iNS9_4plusIvEENS9_8equal_toIvEEiEE10hipError_tPvRmT2_T3_T4_T5_mT6_T7_P12ihipStream_tbENKUlT_T0_E_clISt17integral_constantIbLb0EESZ_EEDaSU_SV_EUlSU_E_NS1_11comp_targetILNS1_3genE3ELNS1_11target_archE908ELNS1_3gpuE7ELNS1_3repE0EEENS1_30default_config_static_selectorELNS0_4arch9wavefront6targetE1EEEvT1_
                                        ; -- End function
	.section	.AMDGPU.csdata,"",@progbits
; Kernel info:
; codeLenInByte = 0
; NumSgprs: 4
; NumVgprs: 0
; NumAgprs: 0
; TotalNumVgprs: 0
; ScratchSize: 0
; MemoryBound: 0
; FloatMode: 240
; IeeeMode: 1
; LDSByteSize: 0 bytes/workgroup (compile time only)
; SGPRBlocks: 0
; VGPRBlocks: 0
; NumSGPRsForWavesPerEU: 4
; NumVGPRsForWavesPerEU: 1
; AccumOffset: 4
; Occupancy: 8
; WaveLimiterHint : 0
; COMPUTE_PGM_RSRC2:SCRATCH_EN: 0
; COMPUTE_PGM_RSRC2:USER_SGPR: 6
; COMPUTE_PGM_RSRC2:TRAP_HANDLER: 0
; COMPUTE_PGM_RSRC2:TGID_X_EN: 1
; COMPUTE_PGM_RSRC2:TGID_Y_EN: 0
; COMPUTE_PGM_RSRC2:TGID_Z_EN: 0
; COMPUTE_PGM_RSRC2:TIDIG_COMP_CNT: 0
; COMPUTE_PGM_RSRC3_GFX90A:ACCUM_OFFSET: 0
; COMPUTE_PGM_RSRC3_GFX90A:TG_SPLIT: 0
	.section	.text._ZN7rocprim17ROCPRIM_400000_NS6detail17trampoline_kernelINS0_14default_configENS1_27scan_by_key_config_selectorIiiEEZZNS1_16scan_by_key_implILNS1_25lookback_scan_determinismE0ELb1ES3_N6thrust23THRUST_200600_302600_NS6detail15normal_iteratorINS9_10device_ptrIiEEEESE_SE_iNS9_4plusIvEENS9_8equal_toIvEEiEE10hipError_tPvRmT2_T3_T4_T5_mT6_T7_P12ihipStream_tbENKUlT_T0_E_clISt17integral_constantIbLb0EESZ_EEDaSU_SV_EUlSU_E_NS1_11comp_targetILNS1_3genE2ELNS1_11target_archE906ELNS1_3gpuE6ELNS1_3repE0EEENS1_30default_config_static_selectorELNS0_4arch9wavefront6targetE1EEEvT1_,"axG",@progbits,_ZN7rocprim17ROCPRIM_400000_NS6detail17trampoline_kernelINS0_14default_configENS1_27scan_by_key_config_selectorIiiEEZZNS1_16scan_by_key_implILNS1_25lookback_scan_determinismE0ELb1ES3_N6thrust23THRUST_200600_302600_NS6detail15normal_iteratorINS9_10device_ptrIiEEEESE_SE_iNS9_4plusIvEENS9_8equal_toIvEEiEE10hipError_tPvRmT2_T3_T4_T5_mT6_T7_P12ihipStream_tbENKUlT_T0_E_clISt17integral_constantIbLb0EESZ_EEDaSU_SV_EUlSU_E_NS1_11comp_targetILNS1_3genE2ELNS1_11target_archE906ELNS1_3gpuE6ELNS1_3repE0EEENS1_30default_config_static_selectorELNS0_4arch9wavefront6targetE1EEEvT1_,comdat
	.protected	_ZN7rocprim17ROCPRIM_400000_NS6detail17trampoline_kernelINS0_14default_configENS1_27scan_by_key_config_selectorIiiEEZZNS1_16scan_by_key_implILNS1_25lookback_scan_determinismE0ELb1ES3_N6thrust23THRUST_200600_302600_NS6detail15normal_iteratorINS9_10device_ptrIiEEEESE_SE_iNS9_4plusIvEENS9_8equal_toIvEEiEE10hipError_tPvRmT2_T3_T4_T5_mT6_T7_P12ihipStream_tbENKUlT_T0_E_clISt17integral_constantIbLb0EESZ_EEDaSU_SV_EUlSU_E_NS1_11comp_targetILNS1_3genE2ELNS1_11target_archE906ELNS1_3gpuE6ELNS1_3repE0EEENS1_30default_config_static_selectorELNS0_4arch9wavefront6targetE1EEEvT1_ ; -- Begin function _ZN7rocprim17ROCPRIM_400000_NS6detail17trampoline_kernelINS0_14default_configENS1_27scan_by_key_config_selectorIiiEEZZNS1_16scan_by_key_implILNS1_25lookback_scan_determinismE0ELb1ES3_N6thrust23THRUST_200600_302600_NS6detail15normal_iteratorINS9_10device_ptrIiEEEESE_SE_iNS9_4plusIvEENS9_8equal_toIvEEiEE10hipError_tPvRmT2_T3_T4_T5_mT6_T7_P12ihipStream_tbENKUlT_T0_E_clISt17integral_constantIbLb0EESZ_EEDaSU_SV_EUlSU_E_NS1_11comp_targetILNS1_3genE2ELNS1_11target_archE906ELNS1_3gpuE6ELNS1_3repE0EEENS1_30default_config_static_selectorELNS0_4arch9wavefront6targetE1EEEvT1_
	.globl	_ZN7rocprim17ROCPRIM_400000_NS6detail17trampoline_kernelINS0_14default_configENS1_27scan_by_key_config_selectorIiiEEZZNS1_16scan_by_key_implILNS1_25lookback_scan_determinismE0ELb1ES3_N6thrust23THRUST_200600_302600_NS6detail15normal_iteratorINS9_10device_ptrIiEEEESE_SE_iNS9_4plusIvEENS9_8equal_toIvEEiEE10hipError_tPvRmT2_T3_T4_T5_mT6_T7_P12ihipStream_tbENKUlT_T0_E_clISt17integral_constantIbLb0EESZ_EEDaSU_SV_EUlSU_E_NS1_11comp_targetILNS1_3genE2ELNS1_11target_archE906ELNS1_3gpuE6ELNS1_3repE0EEENS1_30default_config_static_selectorELNS0_4arch9wavefront6targetE1EEEvT1_
	.p2align	8
	.type	_ZN7rocprim17ROCPRIM_400000_NS6detail17trampoline_kernelINS0_14default_configENS1_27scan_by_key_config_selectorIiiEEZZNS1_16scan_by_key_implILNS1_25lookback_scan_determinismE0ELb1ES3_N6thrust23THRUST_200600_302600_NS6detail15normal_iteratorINS9_10device_ptrIiEEEESE_SE_iNS9_4plusIvEENS9_8equal_toIvEEiEE10hipError_tPvRmT2_T3_T4_T5_mT6_T7_P12ihipStream_tbENKUlT_T0_E_clISt17integral_constantIbLb0EESZ_EEDaSU_SV_EUlSU_E_NS1_11comp_targetILNS1_3genE2ELNS1_11target_archE906ELNS1_3gpuE6ELNS1_3repE0EEENS1_30default_config_static_selectorELNS0_4arch9wavefront6targetE1EEEvT1_,@function
_ZN7rocprim17ROCPRIM_400000_NS6detail17trampoline_kernelINS0_14default_configENS1_27scan_by_key_config_selectorIiiEEZZNS1_16scan_by_key_implILNS1_25lookback_scan_determinismE0ELb1ES3_N6thrust23THRUST_200600_302600_NS6detail15normal_iteratorINS9_10device_ptrIiEEEESE_SE_iNS9_4plusIvEENS9_8equal_toIvEEiEE10hipError_tPvRmT2_T3_T4_T5_mT6_T7_P12ihipStream_tbENKUlT_T0_E_clISt17integral_constantIbLb0EESZ_EEDaSU_SV_EUlSU_E_NS1_11comp_targetILNS1_3genE2ELNS1_11target_archE906ELNS1_3gpuE6ELNS1_3repE0EEENS1_30default_config_static_selectorELNS0_4arch9wavefront6targetE1EEEvT1_: ; @_ZN7rocprim17ROCPRIM_400000_NS6detail17trampoline_kernelINS0_14default_configENS1_27scan_by_key_config_selectorIiiEEZZNS1_16scan_by_key_implILNS1_25lookback_scan_determinismE0ELb1ES3_N6thrust23THRUST_200600_302600_NS6detail15normal_iteratorINS9_10device_ptrIiEEEESE_SE_iNS9_4plusIvEENS9_8equal_toIvEEiEE10hipError_tPvRmT2_T3_T4_T5_mT6_T7_P12ihipStream_tbENKUlT_T0_E_clISt17integral_constantIbLb0EESZ_EEDaSU_SV_EUlSU_E_NS1_11comp_targetILNS1_3genE2ELNS1_11target_archE906ELNS1_3gpuE6ELNS1_3repE0EEENS1_30default_config_static_selectorELNS0_4arch9wavefront6targetE1EEEvT1_
; %bb.0:
	.section	.rodata,"a",@progbits
	.p2align	6, 0x0
	.amdhsa_kernel _ZN7rocprim17ROCPRIM_400000_NS6detail17trampoline_kernelINS0_14default_configENS1_27scan_by_key_config_selectorIiiEEZZNS1_16scan_by_key_implILNS1_25lookback_scan_determinismE0ELb1ES3_N6thrust23THRUST_200600_302600_NS6detail15normal_iteratorINS9_10device_ptrIiEEEESE_SE_iNS9_4plusIvEENS9_8equal_toIvEEiEE10hipError_tPvRmT2_T3_T4_T5_mT6_T7_P12ihipStream_tbENKUlT_T0_E_clISt17integral_constantIbLb0EESZ_EEDaSU_SV_EUlSU_E_NS1_11comp_targetILNS1_3genE2ELNS1_11target_archE906ELNS1_3gpuE6ELNS1_3repE0EEENS1_30default_config_static_selectorELNS0_4arch9wavefront6targetE1EEEvT1_
		.amdhsa_group_segment_fixed_size 0
		.amdhsa_private_segment_fixed_size 0
		.amdhsa_kernarg_size 112
		.amdhsa_user_sgpr_count 6
		.amdhsa_user_sgpr_private_segment_buffer 1
		.amdhsa_user_sgpr_dispatch_ptr 0
		.amdhsa_user_sgpr_queue_ptr 0
		.amdhsa_user_sgpr_kernarg_segment_ptr 1
		.amdhsa_user_sgpr_dispatch_id 0
		.amdhsa_user_sgpr_flat_scratch_init 0
		.amdhsa_user_sgpr_kernarg_preload_length 0
		.amdhsa_user_sgpr_kernarg_preload_offset 0
		.amdhsa_user_sgpr_private_segment_size 0
		.amdhsa_uses_dynamic_stack 0
		.amdhsa_system_sgpr_private_segment_wavefront_offset 0
		.amdhsa_system_sgpr_workgroup_id_x 1
		.amdhsa_system_sgpr_workgroup_id_y 0
		.amdhsa_system_sgpr_workgroup_id_z 0
		.amdhsa_system_sgpr_workgroup_info 0
		.amdhsa_system_vgpr_workitem_id 0
		.amdhsa_next_free_vgpr 1
		.amdhsa_next_free_sgpr 0
		.amdhsa_accum_offset 4
		.amdhsa_reserve_vcc 0
		.amdhsa_reserve_flat_scratch 0
		.amdhsa_float_round_mode_32 0
		.amdhsa_float_round_mode_16_64 0
		.amdhsa_float_denorm_mode_32 3
		.amdhsa_float_denorm_mode_16_64 3
		.amdhsa_dx10_clamp 1
		.amdhsa_ieee_mode 1
		.amdhsa_fp16_overflow 0
		.amdhsa_tg_split 0
		.amdhsa_exception_fp_ieee_invalid_op 0
		.amdhsa_exception_fp_denorm_src 0
		.amdhsa_exception_fp_ieee_div_zero 0
		.amdhsa_exception_fp_ieee_overflow 0
		.amdhsa_exception_fp_ieee_underflow 0
		.amdhsa_exception_fp_ieee_inexact 0
		.amdhsa_exception_int_div_zero 0
	.end_amdhsa_kernel
	.section	.text._ZN7rocprim17ROCPRIM_400000_NS6detail17trampoline_kernelINS0_14default_configENS1_27scan_by_key_config_selectorIiiEEZZNS1_16scan_by_key_implILNS1_25lookback_scan_determinismE0ELb1ES3_N6thrust23THRUST_200600_302600_NS6detail15normal_iteratorINS9_10device_ptrIiEEEESE_SE_iNS9_4plusIvEENS9_8equal_toIvEEiEE10hipError_tPvRmT2_T3_T4_T5_mT6_T7_P12ihipStream_tbENKUlT_T0_E_clISt17integral_constantIbLb0EESZ_EEDaSU_SV_EUlSU_E_NS1_11comp_targetILNS1_3genE2ELNS1_11target_archE906ELNS1_3gpuE6ELNS1_3repE0EEENS1_30default_config_static_selectorELNS0_4arch9wavefront6targetE1EEEvT1_,"axG",@progbits,_ZN7rocprim17ROCPRIM_400000_NS6detail17trampoline_kernelINS0_14default_configENS1_27scan_by_key_config_selectorIiiEEZZNS1_16scan_by_key_implILNS1_25lookback_scan_determinismE0ELb1ES3_N6thrust23THRUST_200600_302600_NS6detail15normal_iteratorINS9_10device_ptrIiEEEESE_SE_iNS9_4plusIvEENS9_8equal_toIvEEiEE10hipError_tPvRmT2_T3_T4_T5_mT6_T7_P12ihipStream_tbENKUlT_T0_E_clISt17integral_constantIbLb0EESZ_EEDaSU_SV_EUlSU_E_NS1_11comp_targetILNS1_3genE2ELNS1_11target_archE906ELNS1_3gpuE6ELNS1_3repE0EEENS1_30default_config_static_selectorELNS0_4arch9wavefront6targetE1EEEvT1_,comdat
.Lfunc_end466:
	.size	_ZN7rocprim17ROCPRIM_400000_NS6detail17trampoline_kernelINS0_14default_configENS1_27scan_by_key_config_selectorIiiEEZZNS1_16scan_by_key_implILNS1_25lookback_scan_determinismE0ELb1ES3_N6thrust23THRUST_200600_302600_NS6detail15normal_iteratorINS9_10device_ptrIiEEEESE_SE_iNS9_4plusIvEENS9_8equal_toIvEEiEE10hipError_tPvRmT2_T3_T4_T5_mT6_T7_P12ihipStream_tbENKUlT_T0_E_clISt17integral_constantIbLb0EESZ_EEDaSU_SV_EUlSU_E_NS1_11comp_targetILNS1_3genE2ELNS1_11target_archE906ELNS1_3gpuE6ELNS1_3repE0EEENS1_30default_config_static_selectorELNS0_4arch9wavefront6targetE1EEEvT1_, .Lfunc_end466-_ZN7rocprim17ROCPRIM_400000_NS6detail17trampoline_kernelINS0_14default_configENS1_27scan_by_key_config_selectorIiiEEZZNS1_16scan_by_key_implILNS1_25lookback_scan_determinismE0ELb1ES3_N6thrust23THRUST_200600_302600_NS6detail15normal_iteratorINS9_10device_ptrIiEEEESE_SE_iNS9_4plusIvEENS9_8equal_toIvEEiEE10hipError_tPvRmT2_T3_T4_T5_mT6_T7_P12ihipStream_tbENKUlT_T0_E_clISt17integral_constantIbLb0EESZ_EEDaSU_SV_EUlSU_E_NS1_11comp_targetILNS1_3genE2ELNS1_11target_archE906ELNS1_3gpuE6ELNS1_3repE0EEENS1_30default_config_static_selectorELNS0_4arch9wavefront6targetE1EEEvT1_
                                        ; -- End function
	.section	.AMDGPU.csdata,"",@progbits
; Kernel info:
; codeLenInByte = 0
; NumSgprs: 4
; NumVgprs: 0
; NumAgprs: 0
; TotalNumVgprs: 0
; ScratchSize: 0
; MemoryBound: 0
; FloatMode: 240
; IeeeMode: 1
; LDSByteSize: 0 bytes/workgroup (compile time only)
; SGPRBlocks: 0
; VGPRBlocks: 0
; NumSGPRsForWavesPerEU: 4
; NumVGPRsForWavesPerEU: 1
; AccumOffset: 4
; Occupancy: 8
; WaveLimiterHint : 0
; COMPUTE_PGM_RSRC2:SCRATCH_EN: 0
; COMPUTE_PGM_RSRC2:USER_SGPR: 6
; COMPUTE_PGM_RSRC2:TRAP_HANDLER: 0
; COMPUTE_PGM_RSRC2:TGID_X_EN: 1
; COMPUTE_PGM_RSRC2:TGID_Y_EN: 0
; COMPUTE_PGM_RSRC2:TGID_Z_EN: 0
; COMPUTE_PGM_RSRC2:TIDIG_COMP_CNT: 0
; COMPUTE_PGM_RSRC3_GFX90A:ACCUM_OFFSET: 0
; COMPUTE_PGM_RSRC3_GFX90A:TG_SPLIT: 0
	.section	.text._ZN7rocprim17ROCPRIM_400000_NS6detail17trampoline_kernelINS0_14default_configENS1_27scan_by_key_config_selectorIiiEEZZNS1_16scan_by_key_implILNS1_25lookback_scan_determinismE0ELb1ES3_N6thrust23THRUST_200600_302600_NS6detail15normal_iteratorINS9_10device_ptrIiEEEESE_SE_iNS9_4plusIvEENS9_8equal_toIvEEiEE10hipError_tPvRmT2_T3_T4_T5_mT6_T7_P12ihipStream_tbENKUlT_T0_E_clISt17integral_constantIbLb0EESZ_EEDaSU_SV_EUlSU_E_NS1_11comp_targetILNS1_3genE10ELNS1_11target_archE1200ELNS1_3gpuE4ELNS1_3repE0EEENS1_30default_config_static_selectorELNS0_4arch9wavefront6targetE1EEEvT1_,"axG",@progbits,_ZN7rocprim17ROCPRIM_400000_NS6detail17trampoline_kernelINS0_14default_configENS1_27scan_by_key_config_selectorIiiEEZZNS1_16scan_by_key_implILNS1_25lookback_scan_determinismE0ELb1ES3_N6thrust23THRUST_200600_302600_NS6detail15normal_iteratorINS9_10device_ptrIiEEEESE_SE_iNS9_4plusIvEENS9_8equal_toIvEEiEE10hipError_tPvRmT2_T3_T4_T5_mT6_T7_P12ihipStream_tbENKUlT_T0_E_clISt17integral_constantIbLb0EESZ_EEDaSU_SV_EUlSU_E_NS1_11comp_targetILNS1_3genE10ELNS1_11target_archE1200ELNS1_3gpuE4ELNS1_3repE0EEENS1_30default_config_static_selectorELNS0_4arch9wavefront6targetE1EEEvT1_,comdat
	.protected	_ZN7rocprim17ROCPRIM_400000_NS6detail17trampoline_kernelINS0_14default_configENS1_27scan_by_key_config_selectorIiiEEZZNS1_16scan_by_key_implILNS1_25lookback_scan_determinismE0ELb1ES3_N6thrust23THRUST_200600_302600_NS6detail15normal_iteratorINS9_10device_ptrIiEEEESE_SE_iNS9_4plusIvEENS9_8equal_toIvEEiEE10hipError_tPvRmT2_T3_T4_T5_mT6_T7_P12ihipStream_tbENKUlT_T0_E_clISt17integral_constantIbLb0EESZ_EEDaSU_SV_EUlSU_E_NS1_11comp_targetILNS1_3genE10ELNS1_11target_archE1200ELNS1_3gpuE4ELNS1_3repE0EEENS1_30default_config_static_selectorELNS0_4arch9wavefront6targetE1EEEvT1_ ; -- Begin function _ZN7rocprim17ROCPRIM_400000_NS6detail17trampoline_kernelINS0_14default_configENS1_27scan_by_key_config_selectorIiiEEZZNS1_16scan_by_key_implILNS1_25lookback_scan_determinismE0ELb1ES3_N6thrust23THRUST_200600_302600_NS6detail15normal_iteratorINS9_10device_ptrIiEEEESE_SE_iNS9_4plusIvEENS9_8equal_toIvEEiEE10hipError_tPvRmT2_T3_T4_T5_mT6_T7_P12ihipStream_tbENKUlT_T0_E_clISt17integral_constantIbLb0EESZ_EEDaSU_SV_EUlSU_E_NS1_11comp_targetILNS1_3genE10ELNS1_11target_archE1200ELNS1_3gpuE4ELNS1_3repE0EEENS1_30default_config_static_selectorELNS0_4arch9wavefront6targetE1EEEvT1_
	.globl	_ZN7rocprim17ROCPRIM_400000_NS6detail17trampoline_kernelINS0_14default_configENS1_27scan_by_key_config_selectorIiiEEZZNS1_16scan_by_key_implILNS1_25lookback_scan_determinismE0ELb1ES3_N6thrust23THRUST_200600_302600_NS6detail15normal_iteratorINS9_10device_ptrIiEEEESE_SE_iNS9_4plusIvEENS9_8equal_toIvEEiEE10hipError_tPvRmT2_T3_T4_T5_mT6_T7_P12ihipStream_tbENKUlT_T0_E_clISt17integral_constantIbLb0EESZ_EEDaSU_SV_EUlSU_E_NS1_11comp_targetILNS1_3genE10ELNS1_11target_archE1200ELNS1_3gpuE4ELNS1_3repE0EEENS1_30default_config_static_selectorELNS0_4arch9wavefront6targetE1EEEvT1_
	.p2align	8
	.type	_ZN7rocprim17ROCPRIM_400000_NS6detail17trampoline_kernelINS0_14default_configENS1_27scan_by_key_config_selectorIiiEEZZNS1_16scan_by_key_implILNS1_25lookback_scan_determinismE0ELb1ES3_N6thrust23THRUST_200600_302600_NS6detail15normal_iteratorINS9_10device_ptrIiEEEESE_SE_iNS9_4plusIvEENS9_8equal_toIvEEiEE10hipError_tPvRmT2_T3_T4_T5_mT6_T7_P12ihipStream_tbENKUlT_T0_E_clISt17integral_constantIbLb0EESZ_EEDaSU_SV_EUlSU_E_NS1_11comp_targetILNS1_3genE10ELNS1_11target_archE1200ELNS1_3gpuE4ELNS1_3repE0EEENS1_30default_config_static_selectorELNS0_4arch9wavefront6targetE1EEEvT1_,@function
_ZN7rocprim17ROCPRIM_400000_NS6detail17trampoline_kernelINS0_14default_configENS1_27scan_by_key_config_selectorIiiEEZZNS1_16scan_by_key_implILNS1_25lookback_scan_determinismE0ELb1ES3_N6thrust23THRUST_200600_302600_NS6detail15normal_iteratorINS9_10device_ptrIiEEEESE_SE_iNS9_4plusIvEENS9_8equal_toIvEEiEE10hipError_tPvRmT2_T3_T4_T5_mT6_T7_P12ihipStream_tbENKUlT_T0_E_clISt17integral_constantIbLb0EESZ_EEDaSU_SV_EUlSU_E_NS1_11comp_targetILNS1_3genE10ELNS1_11target_archE1200ELNS1_3gpuE4ELNS1_3repE0EEENS1_30default_config_static_selectorELNS0_4arch9wavefront6targetE1EEEvT1_: ; @_ZN7rocprim17ROCPRIM_400000_NS6detail17trampoline_kernelINS0_14default_configENS1_27scan_by_key_config_selectorIiiEEZZNS1_16scan_by_key_implILNS1_25lookback_scan_determinismE0ELb1ES3_N6thrust23THRUST_200600_302600_NS6detail15normal_iteratorINS9_10device_ptrIiEEEESE_SE_iNS9_4plusIvEENS9_8equal_toIvEEiEE10hipError_tPvRmT2_T3_T4_T5_mT6_T7_P12ihipStream_tbENKUlT_T0_E_clISt17integral_constantIbLb0EESZ_EEDaSU_SV_EUlSU_E_NS1_11comp_targetILNS1_3genE10ELNS1_11target_archE1200ELNS1_3gpuE4ELNS1_3repE0EEENS1_30default_config_static_selectorELNS0_4arch9wavefront6targetE1EEEvT1_
; %bb.0:
	.section	.rodata,"a",@progbits
	.p2align	6, 0x0
	.amdhsa_kernel _ZN7rocprim17ROCPRIM_400000_NS6detail17trampoline_kernelINS0_14default_configENS1_27scan_by_key_config_selectorIiiEEZZNS1_16scan_by_key_implILNS1_25lookback_scan_determinismE0ELb1ES3_N6thrust23THRUST_200600_302600_NS6detail15normal_iteratorINS9_10device_ptrIiEEEESE_SE_iNS9_4plusIvEENS9_8equal_toIvEEiEE10hipError_tPvRmT2_T3_T4_T5_mT6_T7_P12ihipStream_tbENKUlT_T0_E_clISt17integral_constantIbLb0EESZ_EEDaSU_SV_EUlSU_E_NS1_11comp_targetILNS1_3genE10ELNS1_11target_archE1200ELNS1_3gpuE4ELNS1_3repE0EEENS1_30default_config_static_selectorELNS0_4arch9wavefront6targetE1EEEvT1_
		.amdhsa_group_segment_fixed_size 0
		.amdhsa_private_segment_fixed_size 0
		.amdhsa_kernarg_size 112
		.amdhsa_user_sgpr_count 6
		.amdhsa_user_sgpr_private_segment_buffer 1
		.amdhsa_user_sgpr_dispatch_ptr 0
		.amdhsa_user_sgpr_queue_ptr 0
		.amdhsa_user_sgpr_kernarg_segment_ptr 1
		.amdhsa_user_sgpr_dispatch_id 0
		.amdhsa_user_sgpr_flat_scratch_init 0
		.amdhsa_user_sgpr_kernarg_preload_length 0
		.amdhsa_user_sgpr_kernarg_preload_offset 0
		.amdhsa_user_sgpr_private_segment_size 0
		.amdhsa_uses_dynamic_stack 0
		.amdhsa_system_sgpr_private_segment_wavefront_offset 0
		.amdhsa_system_sgpr_workgroup_id_x 1
		.amdhsa_system_sgpr_workgroup_id_y 0
		.amdhsa_system_sgpr_workgroup_id_z 0
		.amdhsa_system_sgpr_workgroup_info 0
		.amdhsa_system_vgpr_workitem_id 0
		.amdhsa_next_free_vgpr 1
		.amdhsa_next_free_sgpr 0
		.amdhsa_accum_offset 4
		.amdhsa_reserve_vcc 0
		.amdhsa_reserve_flat_scratch 0
		.amdhsa_float_round_mode_32 0
		.amdhsa_float_round_mode_16_64 0
		.amdhsa_float_denorm_mode_32 3
		.amdhsa_float_denorm_mode_16_64 3
		.amdhsa_dx10_clamp 1
		.amdhsa_ieee_mode 1
		.amdhsa_fp16_overflow 0
		.amdhsa_tg_split 0
		.amdhsa_exception_fp_ieee_invalid_op 0
		.amdhsa_exception_fp_denorm_src 0
		.amdhsa_exception_fp_ieee_div_zero 0
		.amdhsa_exception_fp_ieee_overflow 0
		.amdhsa_exception_fp_ieee_underflow 0
		.amdhsa_exception_fp_ieee_inexact 0
		.amdhsa_exception_int_div_zero 0
	.end_amdhsa_kernel
	.section	.text._ZN7rocprim17ROCPRIM_400000_NS6detail17trampoline_kernelINS0_14default_configENS1_27scan_by_key_config_selectorIiiEEZZNS1_16scan_by_key_implILNS1_25lookback_scan_determinismE0ELb1ES3_N6thrust23THRUST_200600_302600_NS6detail15normal_iteratorINS9_10device_ptrIiEEEESE_SE_iNS9_4plusIvEENS9_8equal_toIvEEiEE10hipError_tPvRmT2_T3_T4_T5_mT6_T7_P12ihipStream_tbENKUlT_T0_E_clISt17integral_constantIbLb0EESZ_EEDaSU_SV_EUlSU_E_NS1_11comp_targetILNS1_3genE10ELNS1_11target_archE1200ELNS1_3gpuE4ELNS1_3repE0EEENS1_30default_config_static_selectorELNS0_4arch9wavefront6targetE1EEEvT1_,"axG",@progbits,_ZN7rocprim17ROCPRIM_400000_NS6detail17trampoline_kernelINS0_14default_configENS1_27scan_by_key_config_selectorIiiEEZZNS1_16scan_by_key_implILNS1_25lookback_scan_determinismE0ELb1ES3_N6thrust23THRUST_200600_302600_NS6detail15normal_iteratorINS9_10device_ptrIiEEEESE_SE_iNS9_4plusIvEENS9_8equal_toIvEEiEE10hipError_tPvRmT2_T3_T4_T5_mT6_T7_P12ihipStream_tbENKUlT_T0_E_clISt17integral_constantIbLb0EESZ_EEDaSU_SV_EUlSU_E_NS1_11comp_targetILNS1_3genE10ELNS1_11target_archE1200ELNS1_3gpuE4ELNS1_3repE0EEENS1_30default_config_static_selectorELNS0_4arch9wavefront6targetE1EEEvT1_,comdat
.Lfunc_end467:
	.size	_ZN7rocprim17ROCPRIM_400000_NS6detail17trampoline_kernelINS0_14default_configENS1_27scan_by_key_config_selectorIiiEEZZNS1_16scan_by_key_implILNS1_25lookback_scan_determinismE0ELb1ES3_N6thrust23THRUST_200600_302600_NS6detail15normal_iteratorINS9_10device_ptrIiEEEESE_SE_iNS9_4plusIvEENS9_8equal_toIvEEiEE10hipError_tPvRmT2_T3_T4_T5_mT6_T7_P12ihipStream_tbENKUlT_T0_E_clISt17integral_constantIbLb0EESZ_EEDaSU_SV_EUlSU_E_NS1_11comp_targetILNS1_3genE10ELNS1_11target_archE1200ELNS1_3gpuE4ELNS1_3repE0EEENS1_30default_config_static_selectorELNS0_4arch9wavefront6targetE1EEEvT1_, .Lfunc_end467-_ZN7rocprim17ROCPRIM_400000_NS6detail17trampoline_kernelINS0_14default_configENS1_27scan_by_key_config_selectorIiiEEZZNS1_16scan_by_key_implILNS1_25lookback_scan_determinismE0ELb1ES3_N6thrust23THRUST_200600_302600_NS6detail15normal_iteratorINS9_10device_ptrIiEEEESE_SE_iNS9_4plusIvEENS9_8equal_toIvEEiEE10hipError_tPvRmT2_T3_T4_T5_mT6_T7_P12ihipStream_tbENKUlT_T0_E_clISt17integral_constantIbLb0EESZ_EEDaSU_SV_EUlSU_E_NS1_11comp_targetILNS1_3genE10ELNS1_11target_archE1200ELNS1_3gpuE4ELNS1_3repE0EEENS1_30default_config_static_selectorELNS0_4arch9wavefront6targetE1EEEvT1_
                                        ; -- End function
	.section	.AMDGPU.csdata,"",@progbits
; Kernel info:
; codeLenInByte = 0
; NumSgprs: 4
; NumVgprs: 0
; NumAgprs: 0
; TotalNumVgprs: 0
; ScratchSize: 0
; MemoryBound: 0
; FloatMode: 240
; IeeeMode: 1
; LDSByteSize: 0 bytes/workgroup (compile time only)
; SGPRBlocks: 0
; VGPRBlocks: 0
; NumSGPRsForWavesPerEU: 4
; NumVGPRsForWavesPerEU: 1
; AccumOffset: 4
; Occupancy: 8
; WaveLimiterHint : 0
; COMPUTE_PGM_RSRC2:SCRATCH_EN: 0
; COMPUTE_PGM_RSRC2:USER_SGPR: 6
; COMPUTE_PGM_RSRC2:TRAP_HANDLER: 0
; COMPUTE_PGM_RSRC2:TGID_X_EN: 1
; COMPUTE_PGM_RSRC2:TGID_Y_EN: 0
; COMPUTE_PGM_RSRC2:TGID_Z_EN: 0
; COMPUTE_PGM_RSRC2:TIDIG_COMP_CNT: 0
; COMPUTE_PGM_RSRC3_GFX90A:ACCUM_OFFSET: 0
; COMPUTE_PGM_RSRC3_GFX90A:TG_SPLIT: 0
	.section	.text._ZN7rocprim17ROCPRIM_400000_NS6detail17trampoline_kernelINS0_14default_configENS1_27scan_by_key_config_selectorIiiEEZZNS1_16scan_by_key_implILNS1_25lookback_scan_determinismE0ELb1ES3_N6thrust23THRUST_200600_302600_NS6detail15normal_iteratorINS9_10device_ptrIiEEEESE_SE_iNS9_4plusIvEENS9_8equal_toIvEEiEE10hipError_tPvRmT2_T3_T4_T5_mT6_T7_P12ihipStream_tbENKUlT_T0_E_clISt17integral_constantIbLb0EESZ_EEDaSU_SV_EUlSU_E_NS1_11comp_targetILNS1_3genE9ELNS1_11target_archE1100ELNS1_3gpuE3ELNS1_3repE0EEENS1_30default_config_static_selectorELNS0_4arch9wavefront6targetE1EEEvT1_,"axG",@progbits,_ZN7rocprim17ROCPRIM_400000_NS6detail17trampoline_kernelINS0_14default_configENS1_27scan_by_key_config_selectorIiiEEZZNS1_16scan_by_key_implILNS1_25lookback_scan_determinismE0ELb1ES3_N6thrust23THRUST_200600_302600_NS6detail15normal_iteratorINS9_10device_ptrIiEEEESE_SE_iNS9_4plusIvEENS9_8equal_toIvEEiEE10hipError_tPvRmT2_T3_T4_T5_mT6_T7_P12ihipStream_tbENKUlT_T0_E_clISt17integral_constantIbLb0EESZ_EEDaSU_SV_EUlSU_E_NS1_11comp_targetILNS1_3genE9ELNS1_11target_archE1100ELNS1_3gpuE3ELNS1_3repE0EEENS1_30default_config_static_selectorELNS0_4arch9wavefront6targetE1EEEvT1_,comdat
	.protected	_ZN7rocprim17ROCPRIM_400000_NS6detail17trampoline_kernelINS0_14default_configENS1_27scan_by_key_config_selectorIiiEEZZNS1_16scan_by_key_implILNS1_25lookback_scan_determinismE0ELb1ES3_N6thrust23THRUST_200600_302600_NS6detail15normal_iteratorINS9_10device_ptrIiEEEESE_SE_iNS9_4plusIvEENS9_8equal_toIvEEiEE10hipError_tPvRmT2_T3_T4_T5_mT6_T7_P12ihipStream_tbENKUlT_T0_E_clISt17integral_constantIbLb0EESZ_EEDaSU_SV_EUlSU_E_NS1_11comp_targetILNS1_3genE9ELNS1_11target_archE1100ELNS1_3gpuE3ELNS1_3repE0EEENS1_30default_config_static_selectorELNS0_4arch9wavefront6targetE1EEEvT1_ ; -- Begin function _ZN7rocprim17ROCPRIM_400000_NS6detail17trampoline_kernelINS0_14default_configENS1_27scan_by_key_config_selectorIiiEEZZNS1_16scan_by_key_implILNS1_25lookback_scan_determinismE0ELb1ES3_N6thrust23THRUST_200600_302600_NS6detail15normal_iteratorINS9_10device_ptrIiEEEESE_SE_iNS9_4plusIvEENS9_8equal_toIvEEiEE10hipError_tPvRmT2_T3_T4_T5_mT6_T7_P12ihipStream_tbENKUlT_T0_E_clISt17integral_constantIbLb0EESZ_EEDaSU_SV_EUlSU_E_NS1_11comp_targetILNS1_3genE9ELNS1_11target_archE1100ELNS1_3gpuE3ELNS1_3repE0EEENS1_30default_config_static_selectorELNS0_4arch9wavefront6targetE1EEEvT1_
	.globl	_ZN7rocprim17ROCPRIM_400000_NS6detail17trampoline_kernelINS0_14default_configENS1_27scan_by_key_config_selectorIiiEEZZNS1_16scan_by_key_implILNS1_25lookback_scan_determinismE0ELb1ES3_N6thrust23THRUST_200600_302600_NS6detail15normal_iteratorINS9_10device_ptrIiEEEESE_SE_iNS9_4plusIvEENS9_8equal_toIvEEiEE10hipError_tPvRmT2_T3_T4_T5_mT6_T7_P12ihipStream_tbENKUlT_T0_E_clISt17integral_constantIbLb0EESZ_EEDaSU_SV_EUlSU_E_NS1_11comp_targetILNS1_3genE9ELNS1_11target_archE1100ELNS1_3gpuE3ELNS1_3repE0EEENS1_30default_config_static_selectorELNS0_4arch9wavefront6targetE1EEEvT1_
	.p2align	8
	.type	_ZN7rocprim17ROCPRIM_400000_NS6detail17trampoline_kernelINS0_14default_configENS1_27scan_by_key_config_selectorIiiEEZZNS1_16scan_by_key_implILNS1_25lookback_scan_determinismE0ELb1ES3_N6thrust23THRUST_200600_302600_NS6detail15normal_iteratorINS9_10device_ptrIiEEEESE_SE_iNS9_4plusIvEENS9_8equal_toIvEEiEE10hipError_tPvRmT2_T3_T4_T5_mT6_T7_P12ihipStream_tbENKUlT_T0_E_clISt17integral_constantIbLb0EESZ_EEDaSU_SV_EUlSU_E_NS1_11comp_targetILNS1_3genE9ELNS1_11target_archE1100ELNS1_3gpuE3ELNS1_3repE0EEENS1_30default_config_static_selectorELNS0_4arch9wavefront6targetE1EEEvT1_,@function
_ZN7rocprim17ROCPRIM_400000_NS6detail17trampoline_kernelINS0_14default_configENS1_27scan_by_key_config_selectorIiiEEZZNS1_16scan_by_key_implILNS1_25lookback_scan_determinismE0ELb1ES3_N6thrust23THRUST_200600_302600_NS6detail15normal_iteratorINS9_10device_ptrIiEEEESE_SE_iNS9_4plusIvEENS9_8equal_toIvEEiEE10hipError_tPvRmT2_T3_T4_T5_mT6_T7_P12ihipStream_tbENKUlT_T0_E_clISt17integral_constantIbLb0EESZ_EEDaSU_SV_EUlSU_E_NS1_11comp_targetILNS1_3genE9ELNS1_11target_archE1100ELNS1_3gpuE3ELNS1_3repE0EEENS1_30default_config_static_selectorELNS0_4arch9wavefront6targetE1EEEvT1_: ; @_ZN7rocprim17ROCPRIM_400000_NS6detail17trampoline_kernelINS0_14default_configENS1_27scan_by_key_config_selectorIiiEEZZNS1_16scan_by_key_implILNS1_25lookback_scan_determinismE0ELb1ES3_N6thrust23THRUST_200600_302600_NS6detail15normal_iteratorINS9_10device_ptrIiEEEESE_SE_iNS9_4plusIvEENS9_8equal_toIvEEiEE10hipError_tPvRmT2_T3_T4_T5_mT6_T7_P12ihipStream_tbENKUlT_T0_E_clISt17integral_constantIbLb0EESZ_EEDaSU_SV_EUlSU_E_NS1_11comp_targetILNS1_3genE9ELNS1_11target_archE1100ELNS1_3gpuE3ELNS1_3repE0EEENS1_30default_config_static_selectorELNS0_4arch9wavefront6targetE1EEEvT1_
; %bb.0:
	.section	.rodata,"a",@progbits
	.p2align	6, 0x0
	.amdhsa_kernel _ZN7rocprim17ROCPRIM_400000_NS6detail17trampoline_kernelINS0_14default_configENS1_27scan_by_key_config_selectorIiiEEZZNS1_16scan_by_key_implILNS1_25lookback_scan_determinismE0ELb1ES3_N6thrust23THRUST_200600_302600_NS6detail15normal_iteratorINS9_10device_ptrIiEEEESE_SE_iNS9_4plusIvEENS9_8equal_toIvEEiEE10hipError_tPvRmT2_T3_T4_T5_mT6_T7_P12ihipStream_tbENKUlT_T0_E_clISt17integral_constantIbLb0EESZ_EEDaSU_SV_EUlSU_E_NS1_11comp_targetILNS1_3genE9ELNS1_11target_archE1100ELNS1_3gpuE3ELNS1_3repE0EEENS1_30default_config_static_selectorELNS0_4arch9wavefront6targetE1EEEvT1_
		.amdhsa_group_segment_fixed_size 0
		.amdhsa_private_segment_fixed_size 0
		.amdhsa_kernarg_size 112
		.amdhsa_user_sgpr_count 6
		.amdhsa_user_sgpr_private_segment_buffer 1
		.amdhsa_user_sgpr_dispatch_ptr 0
		.amdhsa_user_sgpr_queue_ptr 0
		.amdhsa_user_sgpr_kernarg_segment_ptr 1
		.amdhsa_user_sgpr_dispatch_id 0
		.amdhsa_user_sgpr_flat_scratch_init 0
		.amdhsa_user_sgpr_kernarg_preload_length 0
		.amdhsa_user_sgpr_kernarg_preload_offset 0
		.amdhsa_user_sgpr_private_segment_size 0
		.amdhsa_uses_dynamic_stack 0
		.amdhsa_system_sgpr_private_segment_wavefront_offset 0
		.amdhsa_system_sgpr_workgroup_id_x 1
		.amdhsa_system_sgpr_workgroup_id_y 0
		.amdhsa_system_sgpr_workgroup_id_z 0
		.amdhsa_system_sgpr_workgroup_info 0
		.amdhsa_system_vgpr_workitem_id 0
		.amdhsa_next_free_vgpr 1
		.amdhsa_next_free_sgpr 0
		.amdhsa_accum_offset 4
		.amdhsa_reserve_vcc 0
		.amdhsa_reserve_flat_scratch 0
		.amdhsa_float_round_mode_32 0
		.amdhsa_float_round_mode_16_64 0
		.amdhsa_float_denorm_mode_32 3
		.amdhsa_float_denorm_mode_16_64 3
		.amdhsa_dx10_clamp 1
		.amdhsa_ieee_mode 1
		.amdhsa_fp16_overflow 0
		.amdhsa_tg_split 0
		.amdhsa_exception_fp_ieee_invalid_op 0
		.amdhsa_exception_fp_denorm_src 0
		.amdhsa_exception_fp_ieee_div_zero 0
		.amdhsa_exception_fp_ieee_overflow 0
		.amdhsa_exception_fp_ieee_underflow 0
		.amdhsa_exception_fp_ieee_inexact 0
		.amdhsa_exception_int_div_zero 0
	.end_amdhsa_kernel
	.section	.text._ZN7rocprim17ROCPRIM_400000_NS6detail17trampoline_kernelINS0_14default_configENS1_27scan_by_key_config_selectorIiiEEZZNS1_16scan_by_key_implILNS1_25lookback_scan_determinismE0ELb1ES3_N6thrust23THRUST_200600_302600_NS6detail15normal_iteratorINS9_10device_ptrIiEEEESE_SE_iNS9_4plusIvEENS9_8equal_toIvEEiEE10hipError_tPvRmT2_T3_T4_T5_mT6_T7_P12ihipStream_tbENKUlT_T0_E_clISt17integral_constantIbLb0EESZ_EEDaSU_SV_EUlSU_E_NS1_11comp_targetILNS1_3genE9ELNS1_11target_archE1100ELNS1_3gpuE3ELNS1_3repE0EEENS1_30default_config_static_selectorELNS0_4arch9wavefront6targetE1EEEvT1_,"axG",@progbits,_ZN7rocprim17ROCPRIM_400000_NS6detail17trampoline_kernelINS0_14default_configENS1_27scan_by_key_config_selectorIiiEEZZNS1_16scan_by_key_implILNS1_25lookback_scan_determinismE0ELb1ES3_N6thrust23THRUST_200600_302600_NS6detail15normal_iteratorINS9_10device_ptrIiEEEESE_SE_iNS9_4plusIvEENS9_8equal_toIvEEiEE10hipError_tPvRmT2_T3_T4_T5_mT6_T7_P12ihipStream_tbENKUlT_T0_E_clISt17integral_constantIbLb0EESZ_EEDaSU_SV_EUlSU_E_NS1_11comp_targetILNS1_3genE9ELNS1_11target_archE1100ELNS1_3gpuE3ELNS1_3repE0EEENS1_30default_config_static_selectorELNS0_4arch9wavefront6targetE1EEEvT1_,comdat
.Lfunc_end468:
	.size	_ZN7rocprim17ROCPRIM_400000_NS6detail17trampoline_kernelINS0_14default_configENS1_27scan_by_key_config_selectorIiiEEZZNS1_16scan_by_key_implILNS1_25lookback_scan_determinismE0ELb1ES3_N6thrust23THRUST_200600_302600_NS6detail15normal_iteratorINS9_10device_ptrIiEEEESE_SE_iNS9_4plusIvEENS9_8equal_toIvEEiEE10hipError_tPvRmT2_T3_T4_T5_mT6_T7_P12ihipStream_tbENKUlT_T0_E_clISt17integral_constantIbLb0EESZ_EEDaSU_SV_EUlSU_E_NS1_11comp_targetILNS1_3genE9ELNS1_11target_archE1100ELNS1_3gpuE3ELNS1_3repE0EEENS1_30default_config_static_selectorELNS0_4arch9wavefront6targetE1EEEvT1_, .Lfunc_end468-_ZN7rocprim17ROCPRIM_400000_NS6detail17trampoline_kernelINS0_14default_configENS1_27scan_by_key_config_selectorIiiEEZZNS1_16scan_by_key_implILNS1_25lookback_scan_determinismE0ELb1ES3_N6thrust23THRUST_200600_302600_NS6detail15normal_iteratorINS9_10device_ptrIiEEEESE_SE_iNS9_4plusIvEENS9_8equal_toIvEEiEE10hipError_tPvRmT2_T3_T4_T5_mT6_T7_P12ihipStream_tbENKUlT_T0_E_clISt17integral_constantIbLb0EESZ_EEDaSU_SV_EUlSU_E_NS1_11comp_targetILNS1_3genE9ELNS1_11target_archE1100ELNS1_3gpuE3ELNS1_3repE0EEENS1_30default_config_static_selectorELNS0_4arch9wavefront6targetE1EEEvT1_
                                        ; -- End function
	.section	.AMDGPU.csdata,"",@progbits
; Kernel info:
; codeLenInByte = 0
; NumSgprs: 4
; NumVgprs: 0
; NumAgprs: 0
; TotalNumVgprs: 0
; ScratchSize: 0
; MemoryBound: 0
; FloatMode: 240
; IeeeMode: 1
; LDSByteSize: 0 bytes/workgroup (compile time only)
; SGPRBlocks: 0
; VGPRBlocks: 0
; NumSGPRsForWavesPerEU: 4
; NumVGPRsForWavesPerEU: 1
; AccumOffset: 4
; Occupancy: 8
; WaveLimiterHint : 0
; COMPUTE_PGM_RSRC2:SCRATCH_EN: 0
; COMPUTE_PGM_RSRC2:USER_SGPR: 6
; COMPUTE_PGM_RSRC2:TRAP_HANDLER: 0
; COMPUTE_PGM_RSRC2:TGID_X_EN: 1
; COMPUTE_PGM_RSRC2:TGID_Y_EN: 0
; COMPUTE_PGM_RSRC2:TGID_Z_EN: 0
; COMPUTE_PGM_RSRC2:TIDIG_COMP_CNT: 0
; COMPUTE_PGM_RSRC3_GFX90A:ACCUM_OFFSET: 0
; COMPUTE_PGM_RSRC3_GFX90A:TG_SPLIT: 0
	.section	.text._ZN7rocprim17ROCPRIM_400000_NS6detail17trampoline_kernelINS0_14default_configENS1_27scan_by_key_config_selectorIiiEEZZNS1_16scan_by_key_implILNS1_25lookback_scan_determinismE0ELb1ES3_N6thrust23THRUST_200600_302600_NS6detail15normal_iteratorINS9_10device_ptrIiEEEESE_SE_iNS9_4plusIvEENS9_8equal_toIvEEiEE10hipError_tPvRmT2_T3_T4_T5_mT6_T7_P12ihipStream_tbENKUlT_T0_E_clISt17integral_constantIbLb0EESZ_EEDaSU_SV_EUlSU_E_NS1_11comp_targetILNS1_3genE8ELNS1_11target_archE1030ELNS1_3gpuE2ELNS1_3repE0EEENS1_30default_config_static_selectorELNS0_4arch9wavefront6targetE1EEEvT1_,"axG",@progbits,_ZN7rocprim17ROCPRIM_400000_NS6detail17trampoline_kernelINS0_14default_configENS1_27scan_by_key_config_selectorIiiEEZZNS1_16scan_by_key_implILNS1_25lookback_scan_determinismE0ELb1ES3_N6thrust23THRUST_200600_302600_NS6detail15normal_iteratorINS9_10device_ptrIiEEEESE_SE_iNS9_4plusIvEENS9_8equal_toIvEEiEE10hipError_tPvRmT2_T3_T4_T5_mT6_T7_P12ihipStream_tbENKUlT_T0_E_clISt17integral_constantIbLb0EESZ_EEDaSU_SV_EUlSU_E_NS1_11comp_targetILNS1_3genE8ELNS1_11target_archE1030ELNS1_3gpuE2ELNS1_3repE0EEENS1_30default_config_static_selectorELNS0_4arch9wavefront6targetE1EEEvT1_,comdat
	.protected	_ZN7rocprim17ROCPRIM_400000_NS6detail17trampoline_kernelINS0_14default_configENS1_27scan_by_key_config_selectorIiiEEZZNS1_16scan_by_key_implILNS1_25lookback_scan_determinismE0ELb1ES3_N6thrust23THRUST_200600_302600_NS6detail15normal_iteratorINS9_10device_ptrIiEEEESE_SE_iNS9_4plusIvEENS9_8equal_toIvEEiEE10hipError_tPvRmT2_T3_T4_T5_mT6_T7_P12ihipStream_tbENKUlT_T0_E_clISt17integral_constantIbLb0EESZ_EEDaSU_SV_EUlSU_E_NS1_11comp_targetILNS1_3genE8ELNS1_11target_archE1030ELNS1_3gpuE2ELNS1_3repE0EEENS1_30default_config_static_selectorELNS0_4arch9wavefront6targetE1EEEvT1_ ; -- Begin function _ZN7rocprim17ROCPRIM_400000_NS6detail17trampoline_kernelINS0_14default_configENS1_27scan_by_key_config_selectorIiiEEZZNS1_16scan_by_key_implILNS1_25lookback_scan_determinismE0ELb1ES3_N6thrust23THRUST_200600_302600_NS6detail15normal_iteratorINS9_10device_ptrIiEEEESE_SE_iNS9_4plusIvEENS9_8equal_toIvEEiEE10hipError_tPvRmT2_T3_T4_T5_mT6_T7_P12ihipStream_tbENKUlT_T0_E_clISt17integral_constantIbLb0EESZ_EEDaSU_SV_EUlSU_E_NS1_11comp_targetILNS1_3genE8ELNS1_11target_archE1030ELNS1_3gpuE2ELNS1_3repE0EEENS1_30default_config_static_selectorELNS0_4arch9wavefront6targetE1EEEvT1_
	.globl	_ZN7rocprim17ROCPRIM_400000_NS6detail17trampoline_kernelINS0_14default_configENS1_27scan_by_key_config_selectorIiiEEZZNS1_16scan_by_key_implILNS1_25lookback_scan_determinismE0ELb1ES3_N6thrust23THRUST_200600_302600_NS6detail15normal_iteratorINS9_10device_ptrIiEEEESE_SE_iNS9_4plusIvEENS9_8equal_toIvEEiEE10hipError_tPvRmT2_T3_T4_T5_mT6_T7_P12ihipStream_tbENKUlT_T0_E_clISt17integral_constantIbLb0EESZ_EEDaSU_SV_EUlSU_E_NS1_11comp_targetILNS1_3genE8ELNS1_11target_archE1030ELNS1_3gpuE2ELNS1_3repE0EEENS1_30default_config_static_selectorELNS0_4arch9wavefront6targetE1EEEvT1_
	.p2align	8
	.type	_ZN7rocprim17ROCPRIM_400000_NS6detail17trampoline_kernelINS0_14default_configENS1_27scan_by_key_config_selectorIiiEEZZNS1_16scan_by_key_implILNS1_25lookback_scan_determinismE0ELb1ES3_N6thrust23THRUST_200600_302600_NS6detail15normal_iteratorINS9_10device_ptrIiEEEESE_SE_iNS9_4plusIvEENS9_8equal_toIvEEiEE10hipError_tPvRmT2_T3_T4_T5_mT6_T7_P12ihipStream_tbENKUlT_T0_E_clISt17integral_constantIbLb0EESZ_EEDaSU_SV_EUlSU_E_NS1_11comp_targetILNS1_3genE8ELNS1_11target_archE1030ELNS1_3gpuE2ELNS1_3repE0EEENS1_30default_config_static_selectorELNS0_4arch9wavefront6targetE1EEEvT1_,@function
_ZN7rocprim17ROCPRIM_400000_NS6detail17trampoline_kernelINS0_14default_configENS1_27scan_by_key_config_selectorIiiEEZZNS1_16scan_by_key_implILNS1_25lookback_scan_determinismE0ELb1ES3_N6thrust23THRUST_200600_302600_NS6detail15normal_iteratorINS9_10device_ptrIiEEEESE_SE_iNS9_4plusIvEENS9_8equal_toIvEEiEE10hipError_tPvRmT2_T3_T4_T5_mT6_T7_P12ihipStream_tbENKUlT_T0_E_clISt17integral_constantIbLb0EESZ_EEDaSU_SV_EUlSU_E_NS1_11comp_targetILNS1_3genE8ELNS1_11target_archE1030ELNS1_3gpuE2ELNS1_3repE0EEENS1_30default_config_static_selectorELNS0_4arch9wavefront6targetE1EEEvT1_: ; @_ZN7rocprim17ROCPRIM_400000_NS6detail17trampoline_kernelINS0_14default_configENS1_27scan_by_key_config_selectorIiiEEZZNS1_16scan_by_key_implILNS1_25lookback_scan_determinismE0ELb1ES3_N6thrust23THRUST_200600_302600_NS6detail15normal_iteratorINS9_10device_ptrIiEEEESE_SE_iNS9_4plusIvEENS9_8equal_toIvEEiEE10hipError_tPvRmT2_T3_T4_T5_mT6_T7_P12ihipStream_tbENKUlT_T0_E_clISt17integral_constantIbLb0EESZ_EEDaSU_SV_EUlSU_E_NS1_11comp_targetILNS1_3genE8ELNS1_11target_archE1030ELNS1_3gpuE2ELNS1_3repE0EEENS1_30default_config_static_selectorELNS0_4arch9wavefront6targetE1EEEvT1_
; %bb.0:
	.section	.rodata,"a",@progbits
	.p2align	6, 0x0
	.amdhsa_kernel _ZN7rocprim17ROCPRIM_400000_NS6detail17trampoline_kernelINS0_14default_configENS1_27scan_by_key_config_selectorIiiEEZZNS1_16scan_by_key_implILNS1_25lookback_scan_determinismE0ELb1ES3_N6thrust23THRUST_200600_302600_NS6detail15normal_iteratorINS9_10device_ptrIiEEEESE_SE_iNS9_4plusIvEENS9_8equal_toIvEEiEE10hipError_tPvRmT2_T3_T4_T5_mT6_T7_P12ihipStream_tbENKUlT_T0_E_clISt17integral_constantIbLb0EESZ_EEDaSU_SV_EUlSU_E_NS1_11comp_targetILNS1_3genE8ELNS1_11target_archE1030ELNS1_3gpuE2ELNS1_3repE0EEENS1_30default_config_static_selectorELNS0_4arch9wavefront6targetE1EEEvT1_
		.amdhsa_group_segment_fixed_size 0
		.amdhsa_private_segment_fixed_size 0
		.amdhsa_kernarg_size 112
		.amdhsa_user_sgpr_count 6
		.amdhsa_user_sgpr_private_segment_buffer 1
		.amdhsa_user_sgpr_dispatch_ptr 0
		.amdhsa_user_sgpr_queue_ptr 0
		.amdhsa_user_sgpr_kernarg_segment_ptr 1
		.amdhsa_user_sgpr_dispatch_id 0
		.amdhsa_user_sgpr_flat_scratch_init 0
		.amdhsa_user_sgpr_kernarg_preload_length 0
		.amdhsa_user_sgpr_kernarg_preload_offset 0
		.amdhsa_user_sgpr_private_segment_size 0
		.amdhsa_uses_dynamic_stack 0
		.amdhsa_system_sgpr_private_segment_wavefront_offset 0
		.amdhsa_system_sgpr_workgroup_id_x 1
		.amdhsa_system_sgpr_workgroup_id_y 0
		.amdhsa_system_sgpr_workgroup_id_z 0
		.amdhsa_system_sgpr_workgroup_info 0
		.amdhsa_system_vgpr_workitem_id 0
		.amdhsa_next_free_vgpr 1
		.amdhsa_next_free_sgpr 0
		.amdhsa_accum_offset 4
		.amdhsa_reserve_vcc 0
		.amdhsa_reserve_flat_scratch 0
		.amdhsa_float_round_mode_32 0
		.amdhsa_float_round_mode_16_64 0
		.amdhsa_float_denorm_mode_32 3
		.amdhsa_float_denorm_mode_16_64 3
		.amdhsa_dx10_clamp 1
		.amdhsa_ieee_mode 1
		.amdhsa_fp16_overflow 0
		.amdhsa_tg_split 0
		.amdhsa_exception_fp_ieee_invalid_op 0
		.amdhsa_exception_fp_denorm_src 0
		.amdhsa_exception_fp_ieee_div_zero 0
		.amdhsa_exception_fp_ieee_overflow 0
		.amdhsa_exception_fp_ieee_underflow 0
		.amdhsa_exception_fp_ieee_inexact 0
		.amdhsa_exception_int_div_zero 0
	.end_amdhsa_kernel
	.section	.text._ZN7rocprim17ROCPRIM_400000_NS6detail17trampoline_kernelINS0_14default_configENS1_27scan_by_key_config_selectorIiiEEZZNS1_16scan_by_key_implILNS1_25lookback_scan_determinismE0ELb1ES3_N6thrust23THRUST_200600_302600_NS6detail15normal_iteratorINS9_10device_ptrIiEEEESE_SE_iNS9_4plusIvEENS9_8equal_toIvEEiEE10hipError_tPvRmT2_T3_T4_T5_mT6_T7_P12ihipStream_tbENKUlT_T0_E_clISt17integral_constantIbLb0EESZ_EEDaSU_SV_EUlSU_E_NS1_11comp_targetILNS1_3genE8ELNS1_11target_archE1030ELNS1_3gpuE2ELNS1_3repE0EEENS1_30default_config_static_selectorELNS0_4arch9wavefront6targetE1EEEvT1_,"axG",@progbits,_ZN7rocprim17ROCPRIM_400000_NS6detail17trampoline_kernelINS0_14default_configENS1_27scan_by_key_config_selectorIiiEEZZNS1_16scan_by_key_implILNS1_25lookback_scan_determinismE0ELb1ES3_N6thrust23THRUST_200600_302600_NS6detail15normal_iteratorINS9_10device_ptrIiEEEESE_SE_iNS9_4plusIvEENS9_8equal_toIvEEiEE10hipError_tPvRmT2_T3_T4_T5_mT6_T7_P12ihipStream_tbENKUlT_T0_E_clISt17integral_constantIbLb0EESZ_EEDaSU_SV_EUlSU_E_NS1_11comp_targetILNS1_3genE8ELNS1_11target_archE1030ELNS1_3gpuE2ELNS1_3repE0EEENS1_30default_config_static_selectorELNS0_4arch9wavefront6targetE1EEEvT1_,comdat
.Lfunc_end469:
	.size	_ZN7rocprim17ROCPRIM_400000_NS6detail17trampoline_kernelINS0_14default_configENS1_27scan_by_key_config_selectorIiiEEZZNS1_16scan_by_key_implILNS1_25lookback_scan_determinismE0ELb1ES3_N6thrust23THRUST_200600_302600_NS6detail15normal_iteratorINS9_10device_ptrIiEEEESE_SE_iNS9_4plusIvEENS9_8equal_toIvEEiEE10hipError_tPvRmT2_T3_T4_T5_mT6_T7_P12ihipStream_tbENKUlT_T0_E_clISt17integral_constantIbLb0EESZ_EEDaSU_SV_EUlSU_E_NS1_11comp_targetILNS1_3genE8ELNS1_11target_archE1030ELNS1_3gpuE2ELNS1_3repE0EEENS1_30default_config_static_selectorELNS0_4arch9wavefront6targetE1EEEvT1_, .Lfunc_end469-_ZN7rocprim17ROCPRIM_400000_NS6detail17trampoline_kernelINS0_14default_configENS1_27scan_by_key_config_selectorIiiEEZZNS1_16scan_by_key_implILNS1_25lookback_scan_determinismE0ELb1ES3_N6thrust23THRUST_200600_302600_NS6detail15normal_iteratorINS9_10device_ptrIiEEEESE_SE_iNS9_4plusIvEENS9_8equal_toIvEEiEE10hipError_tPvRmT2_T3_T4_T5_mT6_T7_P12ihipStream_tbENKUlT_T0_E_clISt17integral_constantIbLb0EESZ_EEDaSU_SV_EUlSU_E_NS1_11comp_targetILNS1_3genE8ELNS1_11target_archE1030ELNS1_3gpuE2ELNS1_3repE0EEENS1_30default_config_static_selectorELNS0_4arch9wavefront6targetE1EEEvT1_
                                        ; -- End function
	.section	.AMDGPU.csdata,"",@progbits
; Kernel info:
; codeLenInByte = 0
; NumSgprs: 4
; NumVgprs: 0
; NumAgprs: 0
; TotalNumVgprs: 0
; ScratchSize: 0
; MemoryBound: 0
; FloatMode: 240
; IeeeMode: 1
; LDSByteSize: 0 bytes/workgroup (compile time only)
; SGPRBlocks: 0
; VGPRBlocks: 0
; NumSGPRsForWavesPerEU: 4
; NumVGPRsForWavesPerEU: 1
; AccumOffset: 4
; Occupancy: 8
; WaveLimiterHint : 0
; COMPUTE_PGM_RSRC2:SCRATCH_EN: 0
; COMPUTE_PGM_RSRC2:USER_SGPR: 6
; COMPUTE_PGM_RSRC2:TRAP_HANDLER: 0
; COMPUTE_PGM_RSRC2:TGID_X_EN: 1
; COMPUTE_PGM_RSRC2:TGID_Y_EN: 0
; COMPUTE_PGM_RSRC2:TGID_Z_EN: 0
; COMPUTE_PGM_RSRC2:TIDIG_COMP_CNT: 0
; COMPUTE_PGM_RSRC3_GFX90A:ACCUM_OFFSET: 0
; COMPUTE_PGM_RSRC3_GFX90A:TG_SPLIT: 0
	.section	.text._ZN7rocprim17ROCPRIM_400000_NS6detail17trampoline_kernelINS0_14default_configENS1_27scan_by_key_config_selectorIiiEEZZNS1_16scan_by_key_implILNS1_25lookback_scan_determinismE0ELb1ES3_N6thrust23THRUST_200600_302600_NS6detail15normal_iteratorINS9_10device_ptrIiEEEESE_SE_iNS9_4plusIvEENS9_8equal_toIvEEiEE10hipError_tPvRmT2_T3_T4_T5_mT6_T7_P12ihipStream_tbENKUlT_T0_E_clISt17integral_constantIbLb1EESZ_EEDaSU_SV_EUlSU_E_NS1_11comp_targetILNS1_3genE0ELNS1_11target_archE4294967295ELNS1_3gpuE0ELNS1_3repE0EEENS1_30default_config_static_selectorELNS0_4arch9wavefront6targetE1EEEvT1_,"axG",@progbits,_ZN7rocprim17ROCPRIM_400000_NS6detail17trampoline_kernelINS0_14default_configENS1_27scan_by_key_config_selectorIiiEEZZNS1_16scan_by_key_implILNS1_25lookback_scan_determinismE0ELb1ES3_N6thrust23THRUST_200600_302600_NS6detail15normal_iteratorINS9_10device_ptrIiEEEESE_SE_iNS9_4plusIvEENS9_8equal_toIvEEiEE10hipError_tPvRmT2_T3_T4_T5_mT6_T7_P12ihipStream_tbENKUlT_T0_E_clISt17integral_constantIbLb1EESZ_EEDaSU_SV_EUlSU_E_NS1_11comp_targetILNS1_3genE0ELNS1_11target_archE4294967295ELNS1_3gpuE0ELNS1_3repE0EEENS1_30default_config_static_selectorELNS0_4arch9wavefront6targetE1EEEvT1_,comdat
	.protected	_ZN7rocprim17ROCPRIM_400000_NS6detail17trampoline_kernelINS0_14default_configENS1_27scan_by_key_config_selectorIiiEEZZNS1_16scan_by_key_implILNS1_25lookback_scan_determinismE0ELb1ES3_N6thrust23THRUST_200600_302600_NS6detail15normal_iteratorINS9_10device_ptrIiEEEESE_SE_iNS9_4plusIvEENS9_8equal_toIvEEiEE10hipError_tPvRmT2_T3_T4_T5_mT6_T7_P12ihipStream_tbENKUlT_T0_E_clISt17integral_constantIbLb1EESZ_EEDaSU_SV_EUlSU_E_NS1_11comp_targetILNS1_3genE0ELNS1_11target_archE4294967295ELNS1_3gpuE0ELNS1_3repE0EEENS1_30default_config_static_selectorELNS0_4arch9wavefront6targetE1EEEvT1_ ; -- Begin function _ZN7rocprim17ROCPRIM_400000_NS6detail17trampoline_kernelINS0_14default_configENS1_27scan_by_key_config_selectorIiiEEZZNS1_16scan_by_key_implILNS1_25lookback_scan_determinismE0ELb1ES3_N6thrust23THRUST_200600_302600_NS6detail15normal_iteratorINS9_10device_ptrIiEEEESE_SE_iNS9_4plusIvEENS9_8equal_toIvEEiEE10hipError_tPvRmT2_T3_T4_T5_mT6_T7_P12ihipStream_tbENKUlT_T0_E_clISt17integral_constantIbLb1EESZ_EEDaSU_SV_EUlSU_E_NS1_11comp_targetILNS1_3genE0ELNS1_11target_archE4294967295ELNS1_3gpuE0ELNS1_3repE0EEENS1_30default_config_static_selectorELNS0_4arch9wavefront6targetE1EEEvT1_
	.globl	_ZN7rocprim17ROCPRIM_400000_NS6detail17trampoline_kernelINS0_14default_configENS1_27scan_by_key_config_selectorIiiEEZZNS1_16scan_by_key_implILNS1_25lookback_scan_determinismE0ELb1ES3_N6thrust23THRUST_200600_302600_NS6detail15normal_iteratorINS9_10device_ptrIiEEEESE_SE_iNS9_4plusIvEENS9_8equal_toIvEEiEE10hipError_tPvRmT2_T3_T4_T5_mT6_T7_P12ihipStream_tbENKUlT_T0_E_clISt17integral_constantIbLb1EESZ_EEDaSU_SV_EUlSU_E_NS1_11comp_targetILNS1_3genE0ELNS1_11target_archE4294967295ELNS1_3gpuE0ELNS1_3repE0EEENS1_30default_config_static_selectorELNS0_4arch9wavefront6targetE1EEEvT1_
	.p2align	8
	.type	_ZN7rocprim17ROCPRIM_400000_NS6detail17trampoline_kernelINS0_14default_configENS1_27scan_by_key_config_selectorIiiEEZZNS1_16scan_by_key_implILNS1_25lookback_scan_determinismE0ELb1ES3_N6thrust23THRUST_200600_302600_NS6detail15normal_iteratorINS9_10device_ptrIiEEEESE_SE_iNS9_4plusIvEENS9_8equal_toIvEEiEE10hipError_tPvRmT2_T3_T4_T5_mT6_T7_P12ihipStream_tbENKUlT_T0_E_clISt17integral_constantIbLb1EESZ_EEDaSU_SV_EUlSU_E_NS1_11comp_targetILNS1_3genE0ELNS1_11target_archE4294967295ELNS1_3gpuE0ELNS1_3repE0EEENS1_30default_config_static_selectorELNS0_4arch9wavefront6targetE1EEEvT1_,@function
_ZN7rocprim17ROCPRIM_400000_NS6detail17trampoline_kernelINS0_14default_configENS1_27scan_by_key_config_selectorIiiEEZZNS1_16scan_by_key_implILNS1_25lookback_scan_determinismE0ELb1ES3_N6thrust23THRUST_200600_302600_NS6detail15normal_iteratorINS9_10device_ptrIiEEEESE_SE_iNS9_4plusIvEENS9_8equal_toIvEEiEE10hipError_tPvRmT2_T3_T4_T5_mT6_T7_P12ihipStream_tbENKUlT_T0_E_clISt17integral_constantIbLb1EESZ_EEDaSU_SV_EUlSU_E_NS1_11comp_targetILNS1_3genE0ELNS1_11target_archE4294967295ELNS1_3gpuE0ELNS1_3repE0EEENS1_30default_config_static_selectorELNS0_4arch9wavefront6targetE1EEEvT1_: ; @_ZN7rocprim17ROCPRIM_400000_NS6detail17trampoline_kernelINS0_14default_configENS1_27scan_by_key_config_selectorIiiEEZZNS1_16scan_by_key_implILNS1_25lookback_scan_determinismE0ELb1ES3_N6thrust23THRUST_200600_302600_NS6detail15normal_iteratorINS9_10device_ptrIiEEEESE_SE_iNS9_4plusIvEENS9_8equal_toIvEEiEE10hipError_tPvRmT2_T3_T4_T5_mT6_T7_P12ihipStream_tbENKUlT_T0_E_clISt17integral_constantIbLb1EESZ_EEDaSU_SV_EUlSU_E_NS1_11comp_targetILNS1_3genE0ELNS1_11target_archE4294967295ELNS1_3gpuE0ELNS1_3repE0EEENS1_30default_config_static_selectorELNS0_4arch9wavefront6targetE1EEEvT1_
; %bb.0:
	.section	.rodata,"a",@progbits
	.p2align	6, 0x0
	.amdhsa_kernel _ZN7rocprim17ROCPRIM_400000_NS6detail17trampoline_kernelINS0_14default_configENS1_27scan_by_key_config_selectorIiiEEZZNS1_16scan_by_key_implILNS1_25lookback_scan_determinismE0ELb1ES3_N6thrust23THRUST_200600_302600_NS6detail15normal_iteratorINS9_10device_ptrIiEEEESE_SE_iNS9_4plusIvEENS9_8equal_toIvEEiEE10hipError_tPvRmT2_T3_T4_T5_mT6_T7_P12ihipStream_tbENKUlT_T0_E_clISt17integral_constantIbLb1EESZ_EEDaSU_SV_EUlSU_E_NS1_11comp_targetILNS1_3genE0ELNS1_11target_archE4294967295ELNS1_3gpuE0ELNS1_3repE0EEENS1_30default_config_static_selectorELNS0_4arch9wavefront6targetE1EEEvT1_
		.amdhsa_group_segment_fixed_size 0
		.amdhsa_private_segment_fixed_size 0
		.amdhsa_kernarg_size 112
		.amdhsa_user_sgpr_count 6
		.amdhsa_user_sgpr_private_segment_buffer 1
		.amdhsa_user_sgpr_dispatch_ptr 0
		.amdhsa_user_sgpr_queue_ptr 0
		.amdhsa_user_sgpr_kernarg_segment_ptr 1
		.amdhsa_user_sgpr_dispatch_id 0
		.amdhsa_user_sgpr_flat_scratch_init 0
		.amdhsa_user_sgpr_kernarg_preload_length 0
		.amdhsa_user_sgpr_kernarg_preload_offset 0
		.amdhsa_user_sgpr_private_segment_size 0
		.amdhsa_uses_dynamic_stack 0
		.amdhsa_system_sgpr_private_segment_wavefront_offset 0
		.amdhsa_system_sgpr_workgroup_id_x 1
		.amdhsa_system_sgpr_workgroup_id_y 0
		.amdhsa_system_sgpr_workgroup_id_z 0
		.amdhsa_system_sgpr_workgroup_info 0
		.amdhsa_system_vgpr_workitem_id 0
		.amdhsa_next_free_vgpr 1
		.amdhsa_next_free_sgpr 0
		.amdhsa_accum_offset 4
		.amdhsa_reserve_vcc 0
		.amdhsa_reserve_flat_scratch 0
		.amdhsa_float_round_mode_32 0
		.amdhsa_float_round_mode_16_64 0
		.amdhsa_float_denorm_mode_32 3
		.amdhsa_float_denorm_mode_16_64 3
		.amdhsa_dx10_clamp 1
		.amdhsa_ieee_mode 1
		.amdhsa_fp16_overflow 0
		.amdhsa_tg_split 0
		.amdhsa_exception_fp_ieee_invalid_op 0
		.amdhsa_exception_fp_denorm_src 0
		.amdhsa_exception_fp_ieee_div_zero 0
		.amdhsa_exception_fp_ieee_overflow 0
		.amdhsa_exception_fp_ieee_underflow 0
		.amdhsa_exception_fp_ieee_inexact 0
		.amdhsa_exception_int_div_zero 0
	.end_amdhsa_kernel
	.section	.text._ZN7rocprim17ROCPRIM_400000_NS6detail17trampoline_kernelINS0_14default_configENS1_27scan_by_key_config_selectorIiiEEZZNS1_16scan_by_key_implILNS1_25lookback_scan_determinismE0ELb1ES3_N6thrust23THRUST_200600_302600_NS6detail15normal_iteratorINS9_10device_ptrIiEEEESE_SE_iNS9_4plusIvEENS9_8equal_toIvEEiEE10hipError_tPvRmT2_T3_T4_T5_mT6_T7_P12ihipStream_tbENKUlT_T0_E_clISt17integral_constantIbLb1EESZ_EEDaSU_SV_EUlSU_E_NS1_11comp_targetILNS1_3genE0ELNS1_11target_archE4294967295ELNS1_3gpuE0ELNS1_3repE0EEENS1_30default_config_static_selectorELNS0_4arch9wavefront6targetE1EEEvT1_,"axG",@progbits,_ZN7rocprim17ROCPRIM_400000_NS6detail17trampoline_kernelINS0_14default_configENS1_27scan_by_key_config_selectorIiiEEZZNS1_16scan_by_key_implILNS1_25lookback_scan_determinismE0ELb1ES3_N6thrust23THRUST_200600_302600_NS6detail15normal_iteratorINS9_10device_ptrIiEEEESE_SE_iNS9_4plusIvEENS9_8equal_toIvEEiEE10hipError_tPvRmT2_T3_T4_T5_mT6_T7_P12ihipStream_tbENKUlT_T0_E_clISt17integral_constantIbLb1EESZ_EEDaSU_SV_EUlSU_E_NS1_11comp_targetILNS1_3genE0ELNS1_11target_archE4294967295ELNS1_3gpuE0ELNS1_3repE0EEENS1_30default_config_static_selectorELNS0_4arch9wavefront6targetE1EEEvT1_,comdat
.Lfunc_end470:
	.size	_ZN7rocprim17ROCPRIM_400000_NS6detail17trampoline_kernelINS0_14default_configENS1_27scan_by_key_config_selectorIiiEEZZNS1_16scan_by_key_implILNS1_25lookback_scan_determinismE0ELb1ES3_N6thrust23THRUST_200600_302600_NS6detail15normal_iteratorINS9_10device_ptrIiEEEESE_SE_iNS9_4plusIvEENS9_8equal_toIvEEiEE10hipError_tPvRmT2_T3_T4_T5_mT6_T7_P12ihipStream_tbENKUlT_T0_E_clISt17integral_constantIbLb1EESZ_EEDaSU_SV_EUlSU_E_NS1_11comp_targetILNS1_3genE0ELNS1_11target_archE4294967295ELNS1_3gpuE0ELNS1_3repE0EEENS1_30default_config_static_selectorELNS0_4arch9wavefront6targetE1EEEvT1_, .Lfunc_end470-_ZN7rocprim17ROCPRIM_400000_NS6detail17trampoline_kernelINS0_14default_configENS1_27scan_by_key_config_selectorIiiEEZZNS1_16scan_by_key_implILNS1_25lookback_scan_determinismE0ELb1ES3_N6thrust23THRUST_200600_302600_NS6detail15normal_iteratorINS9_10device_ptrIiEEEESE_SE_iNS9_4plusIvEENS9_8equal_toIvEEiEE10hipError_tPvRmT2_T3_T4_T5_mT6_T7_P12ihipStream_tbENKUlT_T0_E_clISt17integral_constantIbLb1EESZ_EEDaSU_SV_EUlSU_E_NS1_11comp_targetILNS1_3genE0ELNS1_11target_archE4294967295ELNS1_3gpuE0ELNS1_3repE0EEENS1_30default_config_static_selectorELNS0_4arch9wavefront6targetE1EEEvT1_
                                        ; -- End function
	.section	.AMDGPU.csdata,"",@progbits
; Kernel info:
; codeLenInByte = 0
; NumSgprs: 4
; NumVgprs: 0
; NumAgprs: 0
; TotalNumVgprs: 0
; ScratchSize: 0
; MemoryBound: 0
; FloatMode: 240
; IeeeMode: 1
; LDSByteSize: 0 bytes/workgroup (compile time only)
; SGPRBlocks: 0
; VGPRBlocks: 0
; NumSGPRsForWavesPerEU: 4
; NumVGPRsForWavesPerEU: 1
; AccumOffset: 4
; Occupancy: 8
; WaveLimiterHint : 0
; COMPUTE_PGM_RSRC2:SCRATCH_EN: 0
; COMPUTE_PGM_RSRC2:USER_SGPR: 6
; COMPUTE_PGM_RSRC2:TRAP_HANDLER: 0
; COMPUTE_PGM_RSRC2:TGID_X_EN: 1
; COMPUTE_PGM_RSRC2:TGID_Y_EN: 0
; COMPUTE_PGM_RSRC2:TGID_Z_EN: 0
; COMPUTE_PGM_RSRC2:TIDIG_COMP_CNT: 0
; COMPUTE_PGM_RSRC3_GFX90A:ACCUM_OFFSET: 0
; COMPUTE_PGM_RSRC3_GFX90A:TG_SPLIT: 0
	.section	.text._ZN7rocprim17ROCPRIM_400000_NS6detail17trampoline_kernelINS0_14default_configENS1_27scan_by_key_config_selectorIiiEEZZNS1_16scan_by_key_implILNS1_25lookback_scan_determinismE0ELb1ES3_N6thrust23THRUST_200600_302600_NS6detail15normal_iteratorINS9_10device_ptrIiEEEESE_SE_iNS9_4plusIvEENS9_8equal_toIvEEiEE10hipError_tPvRmT2_T3_T4_T5_mT6_T7_P12ihipStream_tbENKUlT_T0_E_clISt17integral_constantIbLb1EESZ_EEDaSU_SV_EUlSU_E_NS1_11comp_targetILNS1_3genE10ELNS1_11target_archE1201ELNS1_3gpuE5ELNS1_3repE0EEENS1_30default_config_static_selectorELNS0_4arch9wavefront6targetE1EEEvT1_,"axG",@progbits,_ZN7rocprim17ROCPRIM_400000_NS6detail17trampoline_kernelINS0_14default_configENS1_27scan_by_key_config_selectorIiiEEZZNS1_16scan_by_key_implILNS1_25lookback_scan_determinismE0ELb1ES3_N6thrust23THRUST_200600_302600_NS6detail15normal_iteratorINS9_10device_ptrIiEEEESE_SE_iNS9_4plusIvEENS9_8equal_toIvEEiEE10hipError_tPvRmT2_T3_T4_T5_mT6_T7_P12ihipStream_tbENKUlT_T0_E_clISt17integral_constantIbLb1EESZ_EEDaSU_SV_EUlSU_E_NS1_11comp_targetILNS1_3genE10ELNS1_11target_archE1201ELNS1_3gpuE5ELNS1_3repE0EEENS1_30default_config_static_selectorELNS0_4arch9wavefront6targetE1EEEvT1_,comdat
	.protected	_ZN7rocprim17ROCPRIM_400000_NS6detail17trampoline_kernelINS0_14default_configENS1_27scan_by_key_config_selectorIiiEEZZNS1_16scan_by_key_implILNS1_25lookback_scan_determinismE0ELb1ES3_N6thrust23THRUST_200600_302600_NS6detail15normal_iteratorINS9_10device_ptrIiEEEESE_SE_iNS9_4plusIvEENS9_8equal_toIvEEiEE10hipError_tPvRmT2_T3_T4_T5_mT6_T7_P12ihipStream_tbENKUlT_T0_E_clISt17integral_constantIbLb1EESZ_EEDaSU_SV_EUlSU_E_NS1_11comp_targetILNS1_3genE10ELNS1_11target_archE1201ELNS1_3gpuE5ELNS1_3repE0EEENS1_30default_config_static_selectorELNS0_4arch9wavefront6targetE1EEEvT1_ ; -- Begin function _ZN7rocprim17ROCPRIM_400000_NS6detail17trampoline_kernelINS0_14default_configENS1_27scan_by_key_config_selectorIiiEEZZNS1_16scan_by_key_implILNS1_25lookback_scan_determinismE0ELb1ES3_N6thrust23THRUST_200600_302600_NS6detail15normal_iteratorINS9_10device_ptrIiEEEESE_SE_iNS9_4plusIvEENS9_8equal_toIvEEiEE10hipError_tPvRmT2_T3_T4_T5_mT6_T7_P12ihipStream_tbENKUlT_T0_E_clISt17integral_constantIbLb1EESZ_EEDaSU_SV_EUlSU_E_NS1_11comp_targetILNS1_3genE10ELNS1_11target_archE1201ELNS1_3gpuE5ELNS1_3repE0EEENS1_30default_config_static_selectorELNS0_4arch9wavefront6targetE1EEEvT1_
	.globl	_ZN7rocprim17ROCPRIM_400000_NS6detail17trampoline_kernelINS0_14default_configENS1_27scan_by_key_config_selectorIiiEEZZNS1_16scan_by_key_implILNS1_25lookback_scan_determinismE0ELb1ES3_N6thrust23THRUST_200600_302600_NS6detail15normal_iteratorINS9_10device_ptrIiEEEESE_SE_iNS9_4plusIvEENS9_8equal_toIvEEiEE10hipError_tPvRmT2_T3_T4_T5_mT6_T7_P12ihipStream_tbENKUlT_T0_E_clISt17integral_constantIbLb1EESZ_EEDaSU_SV_EUlSU_E_NS1_11comp_targetILNS1_3genE10ELNS1_11target_archE1201ELNS1_3gpuE5ELNS1_3repE0EEENS1_30default_config_static_selectorELNS0_4arch9wavefront6targetE1EEEvT1_
	.p2align	8
	.type	_ZN7rocprim17ROCPRIM_400000_NS6detail17trampoline_kernelINS0_14default_configENS1_27scan_by_key_config_selectorIiiEEZZNS1_16scan_by_key_implILNS1_25lookback_scan_determinismE0ELb1ES3_N6thrust23THRUST_200600_302600_NS6detail15normal_iteratorINS9_10device_ptrIiEEEESE_SE_iNS9_4plusIvEENS9_8equal_toIvEEiEE10hipError_tPvRmT2_T3_T4_T5_mT6_T7_P12ihipStream_tbENKUlT_T0_E_clISt17integral_constantIbLb1EESZ_EEDaSU_SV_EUlSU_E_NS1_11comp_targetILNS1_3genE10ELNS1_11target_archE1201ELNS1_3gpuE5ELNS1_3repE0EEENS1_30default_config_static_selectorELNS0_4arch9wavefront6targetE1EEEvT1_,@function
_ZN7rocprim17ROCPRIM_400000_NS6detail17trampoline_kernelINS0_14default_configENS1_27scan_by_key_config_selectorIiiEEZZNS1_16scan_by_key_implILNS1_25lookback_scan_determinismE0ELb1ES3_N6thrust23THRUST_200600_302600_NS6detail15normal_iteratorINS9_10device_ptrIiEEEESE_SE_iNS9_4plusIvEENS9_8equal_toIvEEiEE10hipError_tPvRmT2_T3_T4_T5_mT6_T7_P12ihipStream_tbENKUlT_T0_E_clISt17integral_constantIbLb1EESZ_EEDaSU_SV_EUlSU_E_NS1_11comp_targetILNS1_3genE10ELNS1_11target_archE1201ELNS1_3gpuE5ELNS1_3repE0EEENS1_30default_config_static_selectorELNS0_4arch9wavefront6targetE1EEEvT1_: ; @_ZN7rocprim17ROCPRIM_400000_NS6detail17trampoline_kernelINS0_14default_configENS1_27scan_by_key_config_selectorIiiEEZZNS1_16scan_by_key_implILNS1_25lookback_scan_determinismE0ELb1ES3_N6thrust23THRUST_200600_302600_NS6detail15normal_iteratorINS9_10device_ptrIiEEEESE_SE_iNS9_4plusIvEENS9_8equal_toIvEEiEE10hipError_tPvRmT2_T3_T4_T5_mT6_T7_P12ihipStream_tbENKUlT_T0_E_clISt17integral_constantIbLb1EESZ_EEDaSU_SV_EUlSU_E_NS1_11comp_targetILNS1_3genE10ELNS1_11target_archE1201ELNS1_3gpuE5ELNS1_3repE0EEENS1_30default_config_static_selectorELNS0_4arch9wavefront6targetE1EEEvT1_
; %bb.0:
	.section	.rodata,"a",@progbits
	.p2align	6, 0x0
	.amdhsa_kernel _ZN7rocprim17ROCPRIM_400000_NS6detail17trampoline_kernelINS0_14default_configENS1_27scan_by_key_config_selectorIiiEEZZNS1_16scan_by_key_implILNS1_25lookback_scan_determinismE0ELb1ES3_N6thrust23THRUST_200600_302600_NS6detail15normal_iteratorINS9_10device_ptrIiEEEESE_SE_iNS9_4plusIvEENS9_8equal_toIvEEiEE10hipError_tPvRmT2_T3_T4_T5_mT6_T7_P12ihipStream_tbENKUlT_T0_E_clISt17integral_constantIbLb1EESZ_EEDaSU_SV_EUlSU_E_NS1_11comp_targetILNS1_3genE10ELNS1_11target_archE1201ELNS1_3gpuE5ELNS1_3repE0EEENS1_30default_config_static_selectorELNS0_4arch9wavefront6targetE1EEEvT1_
		.amdhsa_group_segment_fixed_size 0
		.amdhsa_private_segment_fixed_size 0
		.amdhsa_kernarg_size 112
		.amdhsa_user_sgpr_count 6
		.amdhsa_user_sgpr_private_segment_buffer 1
		.amdhsa_user_sgpr_dispatch_ptr 0
		.amdhsa_user_sgpr_queue_ptr 0
		.amdhsa_user_sgpr_kernarg_segment_ptr 1
		.amdhsa_user_sgpr_dispatch_id 0
		.amdhsa_user_sgpr_flat_scratch_init 0
		.amdhsa_user_sgpr_kernarg_preload_length 0
		.amdhsa_user_sgpr_kernarg_preload_offset 0
		.amdhsa_user_sgpr_private_segment_size 0
		.amdhsa_uses_dynamic_stack 0
		.amdhsa_system_sgpr_private_segment_wavefront_offset 0
		.amdhsa_system_sgpr_workgroup_id_x 1
		.amdhsa_system_sgpr_workgroup_id_y 0
		.amdhsa_system_sgpr_workgroup_id_z 0
		.amdhsa_system_sgpr_workgroup_info 0
		.amdhsa_system_vgpr_workitem_id 0
		.amdhsa_next_free_vgpr 1
		.amdhsa_next_free_sgpr 0
		.amdhsa_accum_offset 4
		.amdhsa_reserve_vcc 0
		.amdhsa_reserve_flat_scratch 0
		.amdhsa_float_round_mode_32 0
		.amdhsa_float_round_mode_16_64 0
		.amdhsa_float_denorm_mode_32 3
		.amdhsa_float_denorm_mode_16_64 3
		.amdhsa_dx10_clamp 1
		.amdhsa_ieee_mode 1
		.amdhsa_fp16_overflow 0
		.amdhsa_tg_split 0
		.amdhsa_exception_fp_ieee_invalid_op 0
		.amdhsa_exception_fp_denorm_src 0
		.amdhsa_exception_fp_ieee_div_zero 0
		.amdhsa_exception_fp_ieee_overflow 0
		.amdhsa_exception_fp_ieee_underflow 0
		.amdhsa_exception_fp_ieee_inexact 0
		.amdhsa_exception_int_div_zero 0
	.end_amdhsa_kernel
	.section	.text._ZN7rocprim17ROCPRIM_400000_NS6detail17trampoline_kernelINS0_14default_configENS1_27scan_by_key_config_selectorIiiEEZZNS1_16scan_by_key_implILNS1_25lookback_scan_determinismE0ELb1ES3_N6thrust23THRUST_200600_302600_NS6detail15normal_iteratorINS9_10device_ptrIiEEEESE_SE_iNS9_4plusIvEENS9_8equal_toIvEEiEE10hipError_tPvRmT2_T3_T4_T5_mT6_T7_P12ihipStream_tbENKUlT_T0_E_clISt17integral_constantIbLb1EESZ_EEDaSU_SV_EUlSU_E_NS1_11comp_targetILNS1_3genE10ELNS1_11target_archE1201ELNS1_3gpuE5ELNS1_3repE0EEENS1_30default_config_static_selectorELNS0_4arch9wavefront6targetE1EEEvT1_,"axG",@progbits,_ZN7rocprim17ROCPRIM_400000_NS6detail17trampoline_kernelINS0_14default_configENS1_27scan_by_key_config_selectorIiiEEZZNS1_16scan_by_key_implILNS1_25lookback_scan_determinismE0ELb1ES3_N6thrust23THRUST_200600_302600_NS6detail15normal_iteratorINS9_10device_ptrIiEEEESE_SE_iNS9_4plusIvEENS9_8equal_toIvEEiEE10hipError_tPvRmT2_T3_T4_T5_mT6_T7_P12ihipStream_tbENKUlT_T0_E_clISt17integral_constantIbLb1EESZ_EEDaSU_SV_EUlSU_E_NS1_11comp_targetILNS1_3genE10ELNS1_11target_archE1201ELNS1_3gpuE5ELNS1_3repE0EEENS1_30default_config_static_selectorELNS0_4arch9wavefront6targetE1EEEvT1_,comdat
.Lfunc_end471:
	.size	_ZN7rocprim17ROCPRIM_400000_NS6detail17trampoline_kernelINS0_14default_configENS1_27scan_by_key_config_selectorIiiEEZZNS1_16scan_by_key_implILNS1_25lookback_scan_determinismE0ELb1ES3_N6thrust23THRUST_200600_302600_NS6detail15normal_iteratorINS9_10device_ptrIiEEEESE_SE_iNS9_4plusIvEENS9_8equal_toIvEEiEE10hipError_tPvRmT2_T3_T4_T5_mT6_T7_P12ihipStream_tbENKUlT_T0_E_clISt17integral_constantIbLb1EESZ_EEDaSU_SV_EUlSU_E_NS1_11comp_targetILNS1_3genE10ELNS1_11target_archE1201ELNS1_3gpuE5ELNS1_3repE0EEENS1_30default_config_static_selectorELNS0_4arch9wavefront6targetE1EEEvT1_, .Lfunc_end471-_ZN7rocprim17ROCPRIM_400000_NS6detail17trampoline_kernelINS0_14default_configENS1_27scan_by_key_config_selectorIiiEEZZNS1_16scan_by_key_implILNS1_25lookback_scan_determinismE0ELb1ES3_N6thrust23THRUST_200600_302600_NS6detail15normal_iteratorINS9_10device_ptrIiEEEESE_SE_iNS9_4plusIvEENS9_8equal_toIvEEiEE10hipError_tPvRmT2_T3_T4_T5_mT6_T7_P12ihipStream_tbENKUlT_T0_E_clISt17integral_constantIbLb1EESZ_EEDaSU_SV_EUlSU_E_NS1_11comp_targetILNS1_3genE10ELNS1_11target_archE1201ELNS1_3gpuE5ELNS1_3repE0EEENS1_30default_config_static_selectorELNS0_4arch9wavefront6targetE1EEEvT1_
                                        ; -- End function
	.section	.AMDGPU.csdata,"",@progbits
; Kernel info:
; codeLenInByte = 0
; NumSgprs: 4
; NumVgprs: 0
; NumAgprs: 0
; TotalNumVgprs: 0
; ScratchSize: 0
; MemoryBound: 0
; FloatMode: 240
; IeeeMode: 1
; LDSByteSize: 0 bytes/workgroup (compile time only)
; SGPRBlocks: 0
; VGPRBlocks: 0
; NumSGPRsForWavesPerEU: 4
; NumVGPRsForWavesPerEU: 1
; AccumOffset: 4
; Occupancy: 8
; WaveLimiterHint : 0
; COMPUTE_PGM_RSRC2:SCRATCH_EN: 0
; COMPUTE_PGM_RSRC2:USER_SGPR: 6
; COMPUTE_PGM_RSRC2:TRAP_HANDLER: 0
; COMPUTE_PGM_RSRC2:TGID_X_EN: 1
; COMPUTE_PGM_RSRC2:TGID_Y_EN: 0
; COMPUTE_PGM_RSRC2:TGID_Z_EN: 0
; COMPUTE_PGM_RSRC2:TIDIG_COMP_CNT: 0
; COMPUTE_PGM_RSRC3_GFX90A:ACCUM_OFFSET: 0
; COMPUTE_PGM_RSRC3_GFX90A:TG_SPLIT: 0
	.section	.text._ZN7rocprim17ROCPRIM_400000_NS6detail17trampoline_kernelINS0_14default_configENS1_27scan_by_key_config_selectorIiiEEZZNS1_16scan_by_key_implILNS1_25lookback_scan_determinismE0ELb1ES3_N6thrust23THRUST_200600_302600_NS6detail15normal_iteratorINS9_10device_ptrIiEEEESE_SE_iNS9_4plusIvEENS9_8equal_toIvEEiEE10hipError_tPvRmT2_T3_T4_T5_mT6_T7_P12ihipStream_tbENKUlT_T0_E_clISt17integral_constantIbLb1EESZ_EEDaSU_SV_EUlSU_E_NS1_11comp_targetILNS1_3genE5ELNS1_11target_archE942ELNS1_3gpuE9ELNS1_3repE0EEENS1_30default_config_static_selectorELNS0_4arch9wavefront6targetE1EEEvT1_,"axG",@progbits,_ZN7rocprim17ROCPRIM_400000_NS6detail17trampoline_kernelINS0_14default_configENS1_27scan_by_key_config_selectorIiiEEZZNS1_16scan_by_key_implILNS1_25lookback_scan_determinismE0ELb1ES3_N6thrust23THRUST_200600_302600_NS6detail15normal_iteratorINS9_10device_ptrIiEEEESE_SE_iNS9_4plusIvEENS9_8equal_toIvEEiEE10hipError_tPvRmT2_T3_T4_T5_mT6_T7_P12ihipStream_tbENKUlT_T0_E_clISt17integral_constantIbLb1EESZ_EEDaSU_SV_EUlSU_E_NS1_11comp_targetILNS1_3genE5ELNS1_11target_archE942ELNS1_3gpuE9ELNS1_3repE0EEENS1_30default_config_static_selectorELNS0_4arch9wavefront6targetE1EEEvT1_,comdat
	.protected	_ZN7rocprim17ROCPRIM_400000_NS6detail17trampoline_kernelINS0_14default_configENS1_27scan_by_key_config_selectorIiiEEZZNS1_16scan_by_key_implILNS1_25lookback_scan_determinismE0ELb1ES3_N6thrust23THRUST_200600_302600_NS6detail15normal_iteratorINS9_10device_ptrIiEEEESE_SE_iNS9_4plusIvEENS9_8equal_toIvEEiEE10hipError_tPvRmT2_T3_T4_T5_mT6_T7_P12ihipStream_tbENKUlT_T0_E_clISt17integral_constantIbLb1EESZ_EEDaSU_SV_EUlSU_E_NS1_11comp_targetILNS1_3genE5ELNS1_11target_archE942ELNS1_3gpuE9ELNS1_3repE0EEENS1_30default_config_static_selectorELNS0_4arch9wavefront6targetE1EEEvT1_ ; -- Begin function _ZN7rocprim17ROCPRIM_400000_NS6detail17trampoline_kernelINS0_14default_configENS1_27scan_by_key_config_selectorIiiEEZZNS1_16scan_by_key_implILNS1_25lookback_scan_determinismE0ELb1ES3_N6thrust23THRUST_200600_302600_NS6detail15normal_iteratorINS9_10device_ptrIiEEEESE_SE_iNS9_4plusIvEENS9_8equal_toIvEEiEE10hipError_tPvRmT2_T3_T4_T5_mT6_T7_P12ihipStream_tbENKUlT_T0_E_clISt17integral_constantIbLb1EESZ_EEDaSU_SV_EUlSU_E_NS1_11comp_targetILNS1_3genE5ELNS1_11target_archE942ELNS1_3gpuE9ELNS1_3repE0EEENS1_30default_config_static_selectorELNS0_4arch9wavefront6targetE1EEEvT1_
	.globl	_ZN7rocprim17ROCPRIM_400000_NS6detail17trampoline_kernelINS0_14default_configENS1_27scan_by_key_config_selectorIiiEEZZNS1_16scan_by_key_implILNS1_25lookback_scan_determinismE0ELb1ES3_N6thrust23THRUST_200600_302600_NS6detail15normal_iteratorINS9_10device_ptrIiEEEESE_SE_iNS9_4plusIvEENS9_8equal_toIvEEiEE10hipError_tPvRmT2_T3_T4_T5_mT6_T7_P12ihipStream_tbENKUlT_T0_E_clISt17integral_constantIbLb1EESZ_EEDaSU_SV_EUlSU_E_NS1_11comp_targetILNS1_3genE5ELNS1_11target_archE942ELNS1_3gpuE9ELNS1_3repE0EEENS1_30default_config_static_selectorELNS0_4arch9wavefront6targetE1EEEvT1_
	.p2align	8
	.type	_ZN7rocprim17ROCPRIM_400000_NS6detail17trampoline_kernelINS0_14default_configENS1_27scan_by_key_config_selectorIiiEEZZNS1_16scan_by_key_implILNS1_25lookback_scan_determinismE0ELb1ES3_N6thrust23THRUST_200600_302600_NS6detail15normal_iteratorINS9_10device_ptrIiEEEESE_SE_iNS9_4plusIvEENS9_8equal_toIvEEiEE10hipError_tPvRmT2_T3_T4_T5_mT6_T7_P12ihipStream_tbENKUlT_T0_E_clISt17integral_constantIbLb1EESZ_EEDaSU_SV_EUlSU_E_NS1_11comp_targetILNS1_3genE5ELNS1_11target_archE942ELNS1_3gpuE9ELNS1_3repE0EEENS1_30default_config_static_selectorELNS0_4arch9wavefront6targetE1EEEvT1_,@function
_ZN7rocprim17ROCPRIM_400000_NS6detail17trampoline_kernelINS0_14default_configENS1_27scan_by_key_config_selectorIiiEEZZNS1_16scan_by_key_implILNS1_25lookback_scan_determinismE0ELb1ES3_N6thrust23THRUST_200600_302600_NS6detail15normal_iteratorINS9_10device_ptrIiEEEESE_SE_iNS9_4plusIvEENS9_8equal_toIvEEiEE10hipError_tPvRmT2_T3_T4_T5_mT6_T7_P12ihipStream_tbENKUlT_T0_E_clISt17integral_constantIbLb1EESZ_EEDaSU_SV_EUlSU_E_NS1_11comp_targetILNS1_3genE5ELNS1_11target_archE942ELNS1_3gpuE9ELNS1_3repE0EEENS1_30default_config_static_selectorELNS0_4arch9wavefront6targetE1EEEvT1_: ; @_ZN7rocprim17ROCPRIM_400000_NS6detail17trampoline_kernelINS0_14default_configENS1_27scan_by_key_config_selectorIiiEEZZNS1_16scan_by_key_implILNS1_25lookback_scan_determinismE0ELb1ES3_N6thrust23THRUST_200600_302600_NS6detail15normal_iteratorINS9_10device_ptrIiEEEESE_SE_iNS9_4plusIvEENS9_8equal_toIvEEiEE10hipError_tPvRmT2_T3_T4_T5_mT6_T7_P12ihipStream_tbENKUlT_T0_E_clISt17integral_constantIbLb1EESZ_EEDaSU_SV_EUlSU_E_NS1_11comp_targetILNS1_3genE5ELNS1_11target_archE942ELNS1_3gpuE9ELNS1_3repE0EEENS1_30default_config_static_selectorELNS0_4arch9wavefront6targetE1EEEvT1_
; %bb.0:
	.section	.rodata,"a",@progbits
	.p2align	6, 0x0
	.amdhsa_kernel _ZN7rocprim17ROCPRIM_400000_NS6detail17trampoline_kernelINS0_14default_configENS1_27scan_by_key_config_selectorIiiEEZZNS1_16scan_by_key_implILNS1_25lookback_scan_determinismE0ELb1ES3_N6thrust23THRUST_200600_302600_NS6detail15normal_iteratorINS9_10device_ptrIiEEEESE_SE_iNS9_4plusIvEENS9_8equal_toIvEEiEE10hipError_tPvRmT2_T3_T4_T5_mT6_T7_P12ihipStream_tbENKUlT_T0_E_clISt17integral_constantIbLb1EESZ_EEDaSU_SV_EUlSU_E_NS1_11comp_targetILNS1_3genE5ELNS1_11target_archE942ELNS1_3gpuE9ELNS1_3repE0EEENS1_30default_config_static_selectorELNS0_4arch9wavefront6targetE1EEEvT1_
		.amdhsa_group_segment_fixed_size 0
		.amdhsa_private_segment_fixed_size 0
		.amdhsa_kernarg_size 112
		.amdhsa_user_sgpr_count 6
		.amdhsa_user_sgpr_private_segment_buffer 1
		.amdhsa_user_sgpr_dispatch_ptr 0
		.amdhsa_user_sgpr_queue_ptr 0
		.amdhsa_user_sgpr_kernarg_segment_ptr 1
		.amdhsa_user_sgpr_dispatch_id 0
		.amdhsa_user_sgpr_flat_scratch_init 0
		.amdhsa_user_sgpr_kernarg_preload_length 0
		.amdhsa_user_sgpr_kernarg_preload_offset 0
		.amdhsa_user_sgpr_private_segment_size 0
		.amdhsa_uses_dynamic_stack 0
		.amdhsa_system_sgpr_private_segment_wavefront_offset 0
		.amdhsa_system_sgpr_workgroup_id_x 1
		.amdhsa_system_sgpr_workgroup_id_y 0
		.amdhsa_system_sgpr_workgroup_id_z 0
		.amdhsa_system_sgpr_workgroup_info 0
		.amdhsa_system_vgpr_workitem_id 0
		.amdhsa_next_free_vgpr 1
		.amdhsa_next_free_sgpr 0
		.amdhsa_accum_offset 4
		.amdhsa_reserve_vcc 0
		.amdhsa_reserve_flat_scratch 0
		.amdhsa_float_round_mode_32 0
		.amdhsa_float_round_mode_16_64 0
		.amdhsa_float_denorm_mode_32 3
		.amdhsa_float_denorm_mode_16_64 3
		.amdhsa_dx10_clamp 1
		.amdhsa_ieee_mode 1
		.amdhsa_fp16_overflow 0
		.amdhsa_tg_split 0
		.amdhsa_exception_fp_ieee_invalid_op 0
		.amdhsa_exception_fp_denorm_src 0
		.amdhsa_exception_fp_ieee_div_zero 0
		.amdhsa_exception_fp_ieee_overflow 0
		.amdhsa_exception_fp_ieee_underflow 0
		.amdhsa_exception_fp_ieee_inexact 0
		.amdhsa_exception_int_div_zero 0
	.end_amdhsa_kernel
	.section	.text._ZN7rocprim17ROCPRIM_400000_NS6detail17trampoline_kernelINS0_14default_configENS1_27scan_by_key_config_selectorIiiEEZZNS1_16scan_by_key_implILNS1_25lookback_scan_determinismE0ELb1ES3_N6thrust23THRUST_200600_302600_NS6detail15normal_iteratorINS9_10device_ptrIiEEEESE_SE_iNS9_4plusIvEENS9_8equal_toIvEEiEE10hipError_tPvRmT2_T3_T4_T5_mT6_T7_P12ihipStream_tbENKUlT_T0_E_clISt17integral_constantIbLb1EESZ_EEDaSU_SV_EUlSU_E_NS1_11comp_targetILNS1_3genE5ELNS1_11target_archE942ELNS1_3gpuE9ELNS1_3repE0EEENS1_30default_config_static_selectorELNS0_4arch9wavefront6targetE1EEEvT1_,"axG",@progbits,_ZN7rocprim17ROCPRIM_400000_NS6detail17trampoline_kernelINS0_14default_configENS1_27scan_by_key_config_selectorIiiEEZZNS1_16scan_by_key_implILNS1_25lookback_scan_determinismE0ELb1ES3_N6thrust23THRUST_200600_302600_NS6detail15normal_iteratorINS9_10device_ptrIiEEEESE_SE_iNS9_4plusIvEENS9_8equal_toIvEEiEE10hipError_tPvRmT2_T3_T4_T5_mT6_T7_P12ihipStream_tbENKUlT_T0_E_clISt17integral_constantIbLb1EESZ_EEDaSU_SV_EUlSU_E_NS1_11comp_targetILNS1_3genE5ELNS1_11target_archE942ELNS1_3gpuE9ELNS1_3repE0EEENS1_30default_config_static_selectorELNS0_4arch9wavefront6targetE1EEEvT1_,comdat
.Lfunc_end472:
	.size	_ZN7rocprim17ROCPRIM_400000_NS6detail17trampoline_kernelINS0_14default_configENS1_27scan_by_key_config_selectorIiiEEZZNS1_16scan_by_key_implILNS1_25lookback_scan_determinismE0ELb1ES3_N6thrust23THRUST_200600_302600_NS6detail15normal_iteratorINS9_10device_ptrIiEEEESE_SE_iNS9_4plusIvEENS9_8equal_toIvEEiEE10hipError_tPvRmT2_T3_T4_T5_mT6_T7_P12ihipStream_tbENKUlT_T0_E_clISt17integral_constantIbLb1EESZ_EEDaSU_SV_EUlSU_E_NS1_11comp_targetILNS1_3genE5ELNS1_11target_archE942ELNS1_3gpuE9ELNS1_3repE0EEENS1_30default_config_static_selectorELNS0_4arch9wavefront6targetE1EEEvT1_, .Lfunc_end472-_ZN7rocprim17ROCPRIM_400000_NS6detail17trampoline_kernelINS0_14default_configENS1_27scan_by_key_config_selectorIiiEEZZNS1_16scan_by_key_implILNS1_25lookback_scan_determinismE0ELb1ES3_N6thrust23THRUST_200600_302600_NS6detail15normal_iteratorINS9_10device_ptrIiEEEESE_SE_iNS9_4plusIvEENS9_8equal_toIvEEiEE10hipError_tPvRmT2_T3_T4_T5_mT6_T7_P12ihipStream_tbENKUlT_T0_E_clISt17integral_constantIbLb1EESZ_EEDaSU_SV_EUlSU_E_NS1_11comp_targetILNS1_3genE5ELNS1_11target_archE942ELNS1_3gpuE9ELNS1_3repE0EEENS1_30default_config_static_selectorELNS0_4arch9wavefront6targetE1EEEvT1_
                                        ; -- End function
	.section	.AMDGPU.csdata,"",@progbits
; Kernel info:
; codeLenInByte = 0
; NumSgprs: 4
; NumVgprs: 0
; NumAgprs: 0
; TotalNumVgprs: 0
; ScratchSize: 0
; MemoryBound: 0
; FloatMode: 240
; IeeeMode: 1
; LDSByteSize: 0 bytes/workgroup (compile time only)
; SGPRBlocks: 0
; VGPRBlocks: 0
; NumSGPRsForWavesPerEU: 4
; NumVGPRsForWavesPerEU: 1
; AccumOffset: 4
; Occupancy: 8
; WaveLimiterHint : 0
; COMPUTE_PGM_RSRC2:SCRATCH_EN: 0
; COMPUTE_PGM_RSRC2:USER_SGPR: 6
; COMPUTE_PGM_RSRC2:TRAP_HANDLER: 0
; COMPUTE_PGM_RSRC2:TGID_X_EN: 1
; COMPUTE_PGM_RSRC2:TGID_Y_EN: 0
; COMPUTE_PGM_RSRC2:TGID_Z_EN: 0
; COMPUTE_PGM_RSRC2:TIDIG_COMP_CNT: 0
; COMPUTE_PGM_RSRC3_GFX90A:ACCUM_OFFSET: 0
; COMPUTE_PGM_RSRC3_GFX90A:TG_SPLIT: 0
	.section	.text._ZN7rocprim17ROCPRIM_400000_NS6detail17trampoline_kernelINS0_14default_configENS1_27scan_by_key_config_selectorIiiEEZZNS1_16scan_by_key_implILNS1_25lookback_scan_determinismE0ELb1ES3_N6thrust23THRUST_200600_302600_NS6detail15normal_iteratorINS9_10device_ptrIiEEEESE_SE_iNS9_4plusIvEENS9_8equal_toIvEEiEE10hipError_tPvRmT2_T3_T4_T5_mT6_T7_P12ihipStream_tbENKUlT_T0_E_clISt17integral_constantIbLb1EESZ_EEDaSU_SV_EUlSU_E_NS1_11comp_targetILNS1_3genE4ELNS1_11target_archE910ELNS1_3gpuE8ELNS1_3repE0EEENS1_30default_config_static_selectorELNS0_4arch9wavefront6targetE1EEEvT1_,"axG",@progbits,_ZN7rocprim17ROCPRIM_400000_NS6detail17trampoline_kernelINS0_14default_configENS1_27scan_by_key_config_selectorIiiEEZZNS1_16scan_by_key_implILNS1_25lookback_scan_determinismE0ELb1ES3_N6thrust23THRUST_200600_302600_NS6detail15normal_iteratorINS9_10device_ptrIiEEEESE_SE_iNS9_4plusIvEENS9_8equal_toIvEEiEE10hipError_tPvRmT2_T3_T4_T5_mT6_T7_P12ihipStream_tbENKUlT_T0_E_clISt17integral_constantIbLb1EESZ_EEDaSU_SV_EUlSU_E_NS1_11comp_targetILNS1_3genE4ELNS1_11target_archE910ELNS1_3gpuE8ELNS1_3repE0EEENS1_30default_config_static_selectorELNS0_4arch9wavefront6targetE1EEEvT1_,comdat
	.protected	_ZN7rocprim17ROCPRIM_400000_NS6detail17trampoline_kernelINS0_14default_configENS1_27scan_by_key_config_selectorIiiEEZZNS1_16scan_by_key_implILNS1_25lookback_scan_determinismE0ELb1ES3_N6thrust23THRUST_200600_302600_NS6detail15normal_iteratorINS9_10device_ptrIiEEEESE_SE_iNS9_4plusIvEENS9_8equal_toIvEEiEE10hipError_tPvRmT2_T3_T4_T5_mT6_T7_P12ihipStream_tbENKUlT_T0_E_clISt17integral_constantIbLb1EESZ_EEDaSU_SV_EUlSU_E_NS1_11comp_targetILNS1_3genE4ELNS1_11target_archE910ELNS1_3gpuE8ELNS1_3repE0EEENS1_30default_config_static_selectorELNS0_4arch9wavefront6targetE1EEEvT1_ ; -- Begin function _ZN7rocprim17ROCPRIM_400000_NS6detail17trampoline_kernelINS0_14default_configENS1_27scan_by_key_config_selectorIiiEEZZNS1_16scan_by_key_implILNS1_25lookback_scan_determinismE0ELb1ES3_N6thrust23THRUST_200600_302600_NS6detail15normal_iteratorINS9_10device_ptrIiEEEESE_SE_iNS9_4plusIvEENS9_8equal_toIvEEiEE10hipError_tPvRmT2_T3_T4_T5_mT6_T7_P12ihipStream_tbENKUlT_T0_E_clISt17integral_constantIbLb1EESZ_EEDaSU_SV_EUlSU_E_NS1_11comp_targetILNS1_3genE4ELNS1_11target_archE910ELNS1_3gpuE8ELNS1_3repE0EEENS1_30default_config_static_selectorELNS0_4arch9wavefront6targetE1EEEvT1_
	.globl	_ZN7rocprim17ROCPRIM_400000_NS6detail17trampoline_kernelINS0_14default_configENS1_27scan_by_key_config_selectorIiiEEZZNS1_16scan_by_key_implILNS1_25lookback_scan_determinismE0ELb1ES3_N6thrust23THRUST_200600_302600_NS6detail15normal_iteratorINS9_10device_ptrIiEEEESE_SE_iNS9_4plusIvEENS9_8equal_toIvEEiEE10hipError_tPvRmT2_T3_T4_T5_mT6_T7_P12ihipStream_tbENKUlT_T0_E_clISt17integral_constantIbLb1EESZ_EEDaSU_SV_EUlSU_E_NS1_11comp_targetILNS1_3genE4ELNS1_11target_archE910ELNS1_3gpuE8ELNS1_3repE0EEENS1_30default_config_static_selectorELNS0_4arch9wavefront6targetE1EEEvT1_
	.p2align	8
	.type	_ZN7rocprim17ROCPRIM_400000_NS6detail17trampoline_kernelINS0_14default_configENS1_27scan_by_key_config_selectorIiiEEZZNS1_16scan_by_key_implILNS1_25lookback_scan_determinismE0ELb1ES3_N6thrust23THRUST_200600_302600_NS6detail15normal_iteratorINS9_10device_ptrIiEEEESE_SE_iNS9_4plusIvEENS9_8equal_toIvEEiEE10hipError_tPvRmT2_T3_T4_T5_mT6_T7_P12ihipStream_tbENKUlT_T0_E_clISt17integral_constantIbLb1EESZ_EEDaSU_SV_EUlSU_E_NS1_11comp_targetILNS1_3genE4ELNS1_11target_archE910ELNS1_3gpuE8ELNS1_3repE0EEENS1_30default_config_static_selectorELNS0_4arch9wavefront6targetE1EEEvT1_,@function
_ZN7rocprim17ROCPRIM_400000_NS6detail17trampoline_kernelINS0_14default_configENS1_27scan_by_key_config_selectorIiiEEZZNS1_16scan_by_key_implILNS1_25lookback_scan_determinismE0ELb1ES3_N6thrust23THRUST_200600_302600_NS6detail15normal_iteratorINS9_10device_ptrIiEEEESE_SE_iNS9_4plusIvEENS9_8equal_toIvEEiEE10hipError_tPvRmT2_T3_T4_T5_mT6_T7_P12ihipStream_tbENKUlT_T0_E_clISt17integral_constantIbLb1EESZ_EEDaSU_SV_EUlSU_E_NS1_11comp_targetILNS1_3genE4ELNS1_11target_archE910ELNS1_3gpuE8ELNS1_3repE0EEENS1_30default_config_static_selectorELNS0_4arch9wavefront6targetE1EEEvT1_: ; @_ZN7rocprim17ROCPRIM_400000_NS6detail17trampoline_kernelINS0_14default_configENS1_27scan_by_key_config_selectorIiiEEZZNS1_16scan_by_key_implILNS1_25lookback_scan_determinismE0ELb1ES3_N6thrust23THRUST_200600_302600_NS6detail15normal_iteratorINS9_10device_ptrIiEEEESE_SE_iNS9_4plusIvEENS9_8equal_toIvEEiEE10hipError_tPvRmT2_T3_T4_T5_mT6_T7_P12ihipStream_tbENKUlT_T0_E_clISt17integral_constantIbLb1EESZ_EEDaSU_SV_EUlSU_E_NS1_11comp_targetILNS1_3genE4ELNS1_11target_archE910ELNS1_3gpuE8ELNS1_3repE0EEENS1_30default_config_static_selectorELNS0_4arch9wavefront6targetE1EEEvT1_
; %bb.0:
	s_load_dword s54, s[4:5], 0x20
	s_load_dwordx4 s[44:47], s[4:5], 0x28
	s_load_dwordx2 s[52:53], s[4:5], 0x38
	v_cmp_eq_u32_e64 s[0:1], 0, v0
	s_and_saveexec_b64 s[2:3], s[0:1]
	s_cbranch_execz .LBB473_4
; %bb.1:
	s_mov_b64 s[8:9], exec
	v_mbcnt_lo_u32_b32 v1, s8, 0
	v_mbcnt_hi_u32_b32 v1, s9, v1
	v_cmp_eq_u32_e32 vcc, 0, v1
                                        ; implicit-def: $vgpr2
	s_and_saveexec_b64 s[6:7], vcc
	s_cbranch_execz .LBB473_3
; %bb.2:
	s_load_dwordx2 s[10:11], s[4:5], 0x68
	s_bcnt1_i32_b64 s8, s[8:9]
	v_mov_b32_e32 v2, 0
	v_mov_b32_e32 v3, s8
	s_waitcnt lgkmcnt(0)
	global_atomic_add v2, v2, v3, s[10:11] glc
.LBB473_3:
	s_or_b64 exec, exec, s[6:7]
	s_waitcnt vmcnt(0)
	v_readfirstlane_b32 s6, v2
	v_add_u32_e32 v1, s6, v1
	v_mov_b32_e32 v2, 0
	ds_write_b32 v2, v1
.LBB473_4:
	s_or_b64 exec, exec, s[2:3]
	s_load_dwordx8 s[36:43], s[4:5], 0x0
	s_load_dword s2, s[4:5], 0x40
	s_load_dwordx4 s[48:51], s[4:5], 0x48
	v_mov_b32_e32 v3, 0
	s_waitcnt lgkmcnt(0)
	s_lshl_b64 s[34:35], s[38:39], 2
	s_barrier
	ds_read_b32 v4, v3
	s_add_u32 s3, s36, s34
	s_addc_u32 s4, s37, s35
	s_add_u32 s5, s40, s34
	s_mul_i32 s7, s53, s2
	s_mul_hi_u32 s8, s52, s2
	s_addc_u32 s6, s41, s35
	s_add_i32 s7, s8, s7
	s_movk_i32 s8, 0xe00
	s_waitcnt lgkmcnt(0)
	v_mul_lo_u32 v2, v4, s8
	v_lshlrev_b64 v[38:39], 2, v[2:3]
	v_mov_b32_e32 v1, s4
	v_add_co_u32_e32 v42, vcc, s3, v38
	v_addc_co_u32_e32 v43, vcc, v1, v39, vcc
	v_mov_b32_e32 v2, s6
	v_add_co_u32_e32 v1, vcc, s5, v38
	s_mul_i32 s2, s52, s2
	v_addc_co_u32_e32 v48, vcc, v2, v39, vcc
	v_mov_b32_e32 v3, s7
	v_add_co_u32_e32 v2, vcc, s2, v4
	s_add_u32 s4, s48, -1
	v_addc_co_u32_e32 v3, vcc, 0, v3, vcc
	s_addc_u32 s5, s49, -1
	v_cmp_le_u64_e64 s[2:3], s[4:5], v[2:3]
	v_readfirstlane_b32 s47, v4
	s_mov_b64 s[12:13], -1
	s_and_b64 vcc, exec, s[2:3]
	s_mul_i32 s33, s4, 0xfffff200
	s_barrier
	s_barrier
	s_cbranch_vccz .LBB473_80
; %bb.5:
	flat_load_dword v13, v[42:43]
	s_add_i32 s40, s33, s46
	v_cmp_gt_u32_e32 vcc, s40, v0
	s_waitcnt vmcnt(0) lgkmcnt(0)
	v_mov_b32_e32 v14, v13
	s_and_saveexec_b64 s[6:7], vcc
	s_cbranch_execz .LBB473_7
; %bb.6:
	v_lshlrev_b32_e32 v2, 2, v0
	v_add_co_u32_e64 v2, s[4:5], v42, v2
	v_addc_co_u32_e64 v3, s[4:5], 0, v43, s[4:5]
	flat_load_dword v14, v[2:3]
.LBB473_7:
	s_or_b64 exec, exec, s[6:7]
	v_or_b32_e32 v2, 0x100, v0
	v_cmp_gt_u32_e64 s[4:5], s40, v2
	v_mov_b32_e32 v15, v13
	s_and_saveexec_b64 s[8:9], s[4:5]
	s_cbranch_execz .LBB473_9
; %bb.8:
	v_lshlrev_b32_e32 v2, 2, v0
	v_add_co_u32_e64 v2, s[6:7], v42, v2
	v_addc_co_u32_e64 v3, s[6:7], 0, v43, s[6:7]
	flat_load_dword v15, v[2:3] offset:1024
.LBB473_9:
	s_or_b64 exec, exec, s[8:9]
	v_or_b32_e32 v2, 0x200, v0
	v_cmp_gt_u32_e64 s[6:7], s40, v2
	v_mov_b32_e32 v16, v13
	s_and_saveexec_b64 s[10:11], s[6:7]
	s_cbranch_execz .LBB473_11
; %bb.10:
	v_lshlrev_b32_e32 v2, 2, v0
	v_add_co_u32_e64 v2, s[8:9], v42, v2
	v_addc_co_u32_e64 v3, s[8:9], 0, v43, s[8:9]
	flat_load_dword v16, v[2:3] offset:2048
.LBB473_11:
	;; [unrolled: 12-line block ×3, first 2 shown]
	s_or_b64 exec, exec, s[12:13]
	v_or_b32_e32 v2, 0x400, v0
	v_cmp_gt_u32_e64 s[10:11], s40, v2
	v_mov_b32_e32 v18, v13
	s_and_saveexec_b64 s[14:15], s[10:11]
	s_cbranch_execz .LBB473_15
; %bb.14:
	v_lshlrev_b32_e32 v3, 2, v2
	v_add_co_u32_e64 v4, s[12:13], v42, v3
	v_addc_co_u32_e64 v5, s[12:13], 0, v43, s[12:13]
	flat_load_dword v18, v[4:5]
.LBB473_15:
	s_or_b64 exec, exec, s[14:15]
	v_or_b32_e32 v3, 0x500, v0
	v_cmp_gt_u32_e64 s[12:13], s40, v3
	v_mov_b32_e32 v19, v13
	s_and_saveexec_b64 s[16:17], s[12:13]
	s_cbranch_execz .LBB473_17
; %bb.16:
	v_lshlrev_b32_e32 v4, 2, v3
	v_add_co_u32_e64 v4, s[14:15], v42, v4
	v_addc_co_u32_e64 v5, s[14:15], 0, v43, s[14:15]
	flat_load_dword v19, v[4:5]
.LBB473_17:
	;; [unrolled: 12-line block ×9, first 2 shown]
	s_or_b64 exec, exec, s[30:31]
	v_or_b32_e32 v11, 0xd00, v0
	v_cmp_gt_u32_e64 s[28:29], s40, v11
	s_and_saveexec_b64 s[36:37], s[28:29]
	s_cbranch_execz .LBB473_33
; %bb.32:
	v_lshlrev_b32_e32 v12, 2, v11
	v_add_co_u32_e64 v12, s[30:31], v42, v12
	v_addc_co_u32_e64 v13, s[30:31], 0, v43, s[30:31]
	flat_load_dword v13, v[12:13]
.LBB473_33:
	s_or_b64 exec, exec, s[36:37]
	v_lshlrev_b32_e32 v12, 2, v0
	s_waitcnt vmcnt(0) lgkmcnt(0)
	ds_write2st64_b32 v12, v14, v15 offset1:4
	ds_write2st64_b32 v12, v16, v17 offset0:8 offset1:12
	ds_write2st64_b32 v12, v18, v19 offset0:16 offset1:20
	;; [unrolled: 1-line block ×6, first 2 shown]
	s_waitcnt lgkmcnt(0)
	s_barrier
	flat_load_dword v49, v[42:43]
	v_mad_u32_u24 v50, v0, 52, v12
	s_movk_i32 s30, 0xffcc
	ds_read2_b64 v[34:37], v50 offset1:1
	ds_read2_b64 v[30:33], v50 offset0:2 offset1:3
	ds_read2_b64 v[26:29], v50 offset0:4 offset1:5
	ds_read_b64 v[44:45], v50 offset:48
	v_mad_i32_i24 v13, v0, s30, v50
	s_movk_i32 s30, 0xff
	v_cmp_ne_u32_e64 s[30:31], s30, v0
	s_waitcnt lgkmcnt(0)
	ds_write_b32 v13, v34 offset:15360
	s_waitcnt lgkmcnt(0)
	s_barrier
	s_and_saveexec_b64 s[36:37], s[30:31]
	s_cbranch_execz .LBB473_35
; %bb.34:
	s_waitcnt vmcnt(0)
	ds_read_b32 v49, v12 offset:15364
.LBB473_35:
	s_or_b64 exec, exec, s[36:37]
	s_waitcnt lgkmcnt(0)
	s_barrier
	s_waitcnt lgkmcnt(0)
                                        ; implicit-def: $vgpr13
	s_and_saveexec_b64 s[30:31], vcc
	s_cbranch_execz .LBB473_121
; %bb.36:
	v_add_co_u32_e32 v14, vcc, v1, v12
	v_addc_co_u32_e32 v15, vcc, 0, v48, vcc
	flat_load_dword v13, v[14:15]
	s_or_b64 exec, exec, s[30:31]
                                        ; implicit-def: $vgpr14
	s_and_saveexec_b64 s[30:31], s[4:5]
	s_cbranch_execnz .LBB473_122
.LBB473_37:
	s_or_b64 exec, exec, s[30:31]
                                        ; implicit-def: $vgpr15
	s_and_saveexec_b64 s[4:5], s[6:7]
	s_cbranch_execz .LBB473_123
.LBB473_38:
	v_add_co_u32_e32 v16, vcc, v1, v12
	v_addc_co_u32_e32 v17, vcc, 0, v48, vcc
	flat_load_dword v15, v[16:17] offset:2048
	s_or_b64 exec, exec, s[4:5]
                                        ; implicit-def: $vgpr16
	s_and_saveexec_b64 s[4:5], s[8:9]
	s_cbranch_execnz .LBB473_124
.LBB473_39:
	s_or_b64 exec, exec, s[4:5]
                                        ; implicit-def: $vgpr17
	s_and_saveexec_b64 s[4:5], s[10:11]
	s_cbranch_execz .LBB473_125
.LBB473_40:
	v_lshlrev_b32_e32 v2, 2, v2
	v_add_co_u32_e32 v18, vcc, v1, v2
	v_addc_co_u32_e32 v19, vcc, 0, v48, vcc
	flat_load_dword v17, v[18:19]
	s_or_b64 exec, exec, s[4:5]
                                        ; implicit-def: $vgpr2
	s_and_saveexec_b64 s[4:5], s[12:13]
	s_cbranch_execnz .LBB473_126
.LBB473_41:
	s_or_b64 exec, exec, s[4:5]
                                        ; implicit-def: $vgpr3
	s_and_saveexec_b64 s[4:5], s[14:15]
	s_cbranch_execz .LBB473_127
.LBB473_42:
	v_lshlrev_b32_e32 v3, 2, v4
	v_add_co_u32_e32 v18, vcc, v1, v3
	v_addc_co_u32_e32 v19, vcc, 0, v48, vcc
	flat_load_dword v3, v[18:19]
	s_or_b64 exec, exec, s[4:5]
                                        ; implicit-def: $vgpr4
	s_and_saveexec_b64 s[4:5], s[16:17]
	s_cbranch_execnz .LBB473_128
.LBB473_43:
	s_or_b64 exec, exec, s[4:5]
                                        ; implicit-def: $vgpr5
	s_and_saveexec_b64 s[4:5], s[18:19]
	s_cbranch_execz .LBB473_129
.LBB473_44:
	v_lshlrev_b32_e32 v5, 2, v6
	v_add_co_u32_e32 v18, vcc, v1, v5
	v_addc_co_u32_e32 v19, vcc, 0, v48, vcc
	flat_load_dword v5, v[18:19]
	s_or_b64 exec, exec, s[4:5]
                                        ; implicit-def: $vgpr6
	s_and_saveexec_b64 s[4:5], s[20:21]
	s_cbranch_execnz .LBB473_130
.LBB473_45:
	s_or_b64 exec, exec, s[4:5]
                                        ; implicit-def: $vgpr7
	s_and_saveexec_b64 s[4:5], s[22:23]
	s_cbranch_execz .LBB473_131
.LBB473_46:
	v_lshlrev_b32_e32 v7, 2, v8
	v_add_co_u32_e32 v18, vcc, v1, v7
	v_addc_co_u32_e32 v19, vcc, 0, v48, vcc
	flat_load_dword v7, v[18:19]
	s_or_b64 exec, exec, s[4:5]
                                        ; implicit-def: $vgpr8
	s_and_saveexec_b64 s[4:5], s[24:25]
	s_cbranch_execnz .LBB473_132
.LBB473_47:
	s_or_b64 exec, exec, s[4:5]
                                        ; implicit-def: $vgpr9
	s_and_saveexec_b64 s[4:5], s[26:27]
	s_cbranch_execz .LBB473_49
.LBB473_48:
	v_lshlrev_b32_e32 v9, 2, v10
	v_add_co_u32_e32 v18, vcc, v1, v9
	v_addc_co_u32_e32 v19, vcc, 0, v48, vcc
	flat_load_dword v9, v[18:19]
.LBB473_49:
	s_or_b64 exec, exec, s[4:5]
	v_mul_u32_u24_e32 v51, 14, v0
                                        ; implicit-def: $vgpr10
	s_and_saveexec_b64 s[4:5], s[28:29]
	s_cbranch_execz .LBB473_51
; %bb.50:
	v_lshlrev_b32_e32 v10, 2, v11
	v_add_co_u32_e32 v10, vcc, v1, v10
	v_addc_co_u32_e32 v11, vcc, 0, v48, vcc
	flat_load_dword v10, v[10:11]
.LBB473_51:
	s_or_b64 exec, exec, s[4:5]
	s_mov_b32 s4, 0
	s_mov_b32 s5, s4
	s_waitcnt vmcnt(0) lgkmcnt(0)
	ds_write2st64_b32 v12, v13, v14 offset1:4
	ds_write2st64_b32 v12, v15, v16 offset0:8 offset1:12
	ds_write2st64_b32 v12, v17, v2 offset0:16 offset1:20
	;; [unrolled: 1-line block ×6, first 2 shown]
	s_mov_b32 s6, s4
	s_mov_b32 s7, s4
	;; [unrolled: 1-line block ×6, first 2 shown]
	v_pk_mov_b32 v[2:3], s[4:5], s[4:5] op_sel:[0,1]
	v_pk_mov_b32 v[8:9], s[10:11], s[10:11] op_sel:[0,1]
	;; [unrolled: 1-line block ×6, first 2 shown]
	v_cmp_gt_u32_e32 vcc, s40, v51
	s_mov_b64 s[12:13], 0
	v_pk_mov_b32 v[40:41], 0, 0
	s_mov_b64 s[18:19], 0
	v_pk_mov_b32 v[14:15], v[6:7], v[6:7] op_sel:[0,1]
	v_pk_mov_b32 v[12:13], v[4:5], v[4:5] op_sel:[0,1]
	;; [unrolled: 1-line block ×6, first 2 shown]
	s_waitcnt lgkmcnt(0)
	s_barrier
	s_waitcnt lgkmcnt(0)
                                        ; implicit-def: $sgpr16_sgpr17
                                        ; implicit-def: $vgpr46
	s_and_saveexec_b64 s[14:15], vcc
	s_cbranch_execz .LBB473_79
; %bb.52:
	ds_read_b32 v2, v50
	v_mov_b32_e32 v4, s54
	v_cmp_eq_u32_e32 vcc, v34, v35
	v_or_b32_e32 v3, 1, v51
                                        ; implicit-def: $vgpr46
	s_waitcnt lgkmcnt(0)
	v_cndmask_b32_e32 v40, v4, v2, vcc
	v_cmp_ne_u32_e32 vcc, v34, v35
	v_cndmask_b32_e64 v41, 0, 1, vcc
	v_cmp_gt_u32_e32 vcc, s40, v3
	v_pk_mov_b32 v[2:3], s[4:5], s[4:5] op_sel:[0,1]
	v_pk_mov_b32 v[8:9], s[10:11], s[10:11] op_sel:[0,1]
	;; [unrolled: 1-line block ×12, first 2 shown]
                                        ; implicit-def: $sgpr4_sgpr5
	s_and_saveexec_b64 s[16:17], vcc
	s_cbranch_execz .LBB473_78
; %bb.53:
	ds_read2_b32 v[46:47], v50 offset0:1 offset1:2
	s_mov_b32 s4, 0
	v_mov_b32_e32 v3, s54
	v_cmp_eq_u32_e32 vcc, v35, v36
	s_mov_b32 s10, s4
	s_mov_b32 s11, s4
	v_add_u32_e32 v2, 2, v51
	s_waitcnt lgkmcnt(0)
	v_cndmask_b32_e32 v8, v3, v46, vcc
	v_cmp_ne_u32_e32 vcc, v35, v36
	s_mov_b32 s5, s4
	s_mov_b32 s6, s4
	;; [unrolled: 1-line block ×5, first 2 shown]
	v_pk_mov_b32 v[16:17], s[10:11], s[10:11] op_sel:[0,1]
	v_cndmask_b32_e64 v9, 0, 1, vcc
	v_cmp_gt_u32_e32 vcc, s40, v2
	v_mov_b32_e32 v2, 0
	v_pk_mov_b32 v[14:15], s[8:9], s[8:9] op_sel:[0,1]
	v_pk_mov_b32 v[12:13], s[6:7], s[6:7] op_sel:[0,1]
	;; [unrolled: 1-line block ×4, first 2 shown]
	v_mov_b32_e32 v3, v2
	v_mov_b32_e32 v4, v2
	;; [unrolled: 1-line block ×5, first 2 shown]
	s_mov_b64 s[20:21], 0
	v_pk_mov_b32 v[22:23], v[14:15], v[14:15] op_sel:[0,1]
	v_pk_mov_b32 v[20:21], v[12:13], v[12:13] op_sel:[0,1]
	;; [unrolled: 1-line block ×3, first 2 shown]
                                        ; implicit-def: $sgpr24_sgpr25
                                        ; implicit-def: $vgpr46
	s_and_saveexec_b64 s[18:19], vcc
	s_cbranch_execz .LBB473_77
; %bb.54:
	v_mov_b32_e32 v4, s54
	v_cmp_eq_u32_e32 vcc, v36, v37
	v_pk_mov_b32 v[16:17], s[10:11], s[10:11] op_sel:[0,1]
	v_add_u32_e32 v3, 3, v51
	v_cndmask_b32_e32 v6, v4, v47, vcc
	v_cmp_ne_u32_e32 vcc, v36, v37
	v_pk_mov_b32 v[14:15], s[8:9], s[8:9] op_sel:[0,1]
	v_pk_mov_b32 v[12:13], s[6:7], s[6:7] op_sel:[0,1]
	;; [unrolled: 1-line block ×4, first 2 shown]
	v_cndmask_b32_e64 v7, 0, 1, vcc
	v_cmp_gt_u32_e32 vcc, s40, v3
	v_mov_b32_e32 v3, v2
	v_mov_b32_e32 v4, v2
	;; [unrolled: 1-line block ×3, first 2 shown]
	s_mov_b64 s[22:23], 0
	v_pk_mov_b32 v[22:23], v[14:15], v[14:15] op_sel:[0,1]
	v_pk_mov_b32 v[20:21], v[12:13], v[12:13] op_sel:[0,1]
	;; [unrolled: 1-line block ×3, first 2 shown]
                                        ; implicit-def: $sgpr4_sgpr5
                                        ; implicit-def: $vgpr46
	s_and_saveexec_b64 s[20:21], vcc
	s_cbranch_execz .LBB473_76
; %bb.55:
	ds_read2_b32 v[34:35], v50 offset0:3 offset1:4
	s_mov_b32 s4, 0
	s_mov_b32 s10, s4
	;; [unrolled: 1-line block ×3, first 2 shown]
	v_mov_b32_e32 v3, s54
	v_cmp_eq_u32_e32 vcc, v37, v30
	s_mov_b32 s5, s4
	s_mov_b32 s6, s4
	;; [unrolled: 1-line block ×5, first 2 shown]
	v_pk_mov_b32 v[16:17], s[10:11], s[10:11] op_sel:[0,1]
	v_add_u32_e32 v2, 4, v51
	s_waitcnt lgkmcnt(0)
	v_cndmask_b32_e32 v4, v3, v34, vcc
	v_cmp_ne_u32_e32 vcc, v37, v30
	v_pk_mov_b32 v[14:15], s[8:9], s[8:9] op_sel:[0,1]
	v_pk_mov_b32 v[12:13], s[6:7], s[6:7] op_sel:[0,1]
	;; [unrolled: 1-line block ×4, first 2 shown]
	v_cndmask_b32_e64 v5, 0, 1, vcc
	v_cmp_gt_u32_e32 vcc, s40, v2
	v_mov_b32_e32 v2, s4
	v_mov_b32_e32 v3, s4
	s_mov_b64 s[24:25], 0
	v_pk_mov_b32 v[22:23], v[14:15], v[14:15] op_sel:[0,1]
	v_pk_mov_b32 v[20:21], v[12:13], v[12:13] op_sel:[0,1]
	;; [unrolled: 1-line block ×3, first 2 shown]
                                        ; implicit-def: $sgpr26_sgpr27
                                        ; implicit-def: $vgpr46
	s_and_saveexec_b64 s[22:23], vcc
	s_cbranch_execz .LBB473_75
; %bb.56:
	v_mov_b32_e32 v2, s54
	v_cmp_eq_u32_e32 vcc, v30, v31
	v_add_u32_e32 v10, 5, v51
	v_cndmask_b32_e32 v2, v2, v35, vcc
	v_cmp_ne_u32_e32 vcc, v30, v31
	v_cndmask_b32_e64 v3, 0, 1, vcc
	v_cmp_gt_u32_e32 vcc, s40, v10
	v_pk_mov_b32 v[16:17], s[10:11], s[10:11] op_sel:[0,1]
	v_pk_mov_b32 v[14:15], s[8:9], s[8:9] op_sel:[0,1]
	;; [unrolled: 1-line block ×5, first 2 shown]
	s_mov_b64 s[28:29], 0
	v_pk_mov_b32 v[22:23], v[14:15], v[14:15] op_sel:[0,1]
	v_pk_mov_b32 v[20:21], v[12:13], v[12:13] op_sel:[0,1]
	;; [unrolled: 1-line block ×3, first 2 shown]
                                        ; implicit-def: $sgpr4_sgpr5
                                        ; implicit-def: $vgpr46
	s_and_saveexec_b64 s[24:25], vcc
	s_cbranch_execz .LBB473_74
; %bb.57:
	ds_read2_b32 v[34:35], v50 offset0:5 offset1:6
	v_mov_b32_e32 v11, s54
	v_cmp_eq_u32_e32 vcc, v31, v32
	s_mov_b32 s4, 0
	v_add_u32_e32 v10, 6, v51
	s_waitcnt lgkmcnt(0)
	v_cndmask_b32_e32 v16, v11, v34, vcc
	v_cmp_ne_u32_e32 vcc, v31, v32
	s_mov_b32 s10, s4
	s_mov_b32 s11, s4
	v_cndmask_b32_e64 v17, 0, 1, vcc
	v_cmp_gt_u32_e32 vcc, s40, v10
	v_mov_b32_e32 v10, 0
	s_mov_b32 s5, s4
	s_mov_b32 s6, s4
	;; [unrolled: 1-line block ×5, first 2 shown]
	v_pk_mov_b32 v[24:25], s[10:11], s[10:11] op_sel:[0,1]
	v_mov_b32_e32 v11, v10
	v_mov_b32_e32 v12, v10
	;; [unrolled: 1-line block ×5, first 2 shown]
	v_pk_mov_b32 v[22:23], s[8:9], s[8:9] op_sel:[0,1]
	v_pk_mov_b32 v[20:21], s[6:7], s[6:7] op_sel:[0,1]
	v_pk_mov_b32 v[18:19], s[4:5], s[4:5] op_sel:[0,1]
                                        ; implicit-def: $sgpr36_sgpr37
                                        ; implicit-def: $vgpr46
	s_and_saveexec_b64 s[26:27], vcc
	s_cbranch_execz .LBB473_73
; %bb.58:
	v_mov_b32_e32 v12, s54
	v_cmp_eq_u32_e32 vcc, v32, v33
	v_add_u32_e32 v11, 7, v51
	v_cndmask_b32_e32 v14, v12, v35, vcc
	v_cmp_ne_u32_e32 vcc, v32, v33
	v_pk_mov_b32 v[24:25], s[10:11], s[10:11] op_sel:[0,1]
	v_cndmask_b32_e64 v15, 0, 1, vcc
	v_cmp_gt_u32_e32 vcc, s40, v11
	v_mov_b32_e32 v11, v10
	v_mov_b32_e32 v12, v10
	;; [unrolled: 1-line block ×3, first 2 shown]
	s_mov_b64 s[30:31], 0
	v_pk_mov_b32 v[22:23], s[8:9], s[8:9] op_sel:[0,1]
	v_pk_mov_b32 v[20:21], s[6:7], s[6:7] op_sel:[0,1]
	v_pk_mov_b32 v[18:19], s[4:5], s[4:5] op_sel:[0,1]
                                        ; implicit-def: $sgpr4_sgpr5
                                        ; implicit-def: $vgpr46
	s_and_saveexec_b64 s[28:29], vcc
	s_cbranch_execz .LBB473_72
; %bb.59:
	ds_read2_b32 v[30:31], v50 offset0:7 offset1:8
	s_mov_b32 s4, 0
	v_mov_b32_e32 v11, s54
	v_cmp_eq_u32_e32 vcc, v33, v26
	s_mov_b32 s10, s4
	s_mov_b32 s11, s4
	v_add_u32_e32 v10, 8, v51
	s_waitcnt lgkmcnt(0)
	v_cndmask_b32_e32 v12, v11, v30, vcc
	v_cmp_ne_u32_e32 vcc, v33, v26
	s_mov_b32 s5, s4
	s_mov_b32 s6, s4
	;; [unrolled: 1-line block ×5, first 2 shown]
	v_pk_mov_b32 v[24:25], s[10:11], s[10:11] op_sel:[0,1]
	v_cndmask_b32_e64 v13, 0, 1, vcc
	v_cmp_gt_u32_e32 vcc, s40, v10
	v_mov_b32_e32 v10, s4
	v_mov_b32_e32 v11, s4
	s_mov_b64 s[36:37], 0
	v_pk_mov_b32 v[22:23], s[8:9], s[8:9] op_sel:[0,1]
	v_pk_mov_b32 v[20:21], s[6:7], s[6:7] op_sel:[0,1]
	;; [unrolled: 1-line block ×3, first 2 shown]
                                        ; implicit-def: $sgpr38_sgpr39
                                        ; implicit-def: $vgpr46
	s_and_saveexec_b64 s[30:31], vcc
	s_cbranch_execz .LBB473_71
; %bb.60:
	v_mov_b32_e32 v10, s54
	v_cmp_eq_u32_e32 vcc, v26, v27
	v_add_u32_e32 v18, 9, v51
	v_cndmask_b32_e32 v10, v10, v31, vcc
	v_cmp_ne_u32_e32 vcc, v26, v27
	v_cndmask_b32_e64 v11, 0, 1, vcc
	v_cmp_gt_u32_e32 vcc, s40, v18
	v_pk_mov_b32 v[24:25], s[10:11], s[10:11] op_sel:[0,1]
	v_pk_mov_b32 v[22:23], s[8:9], s[8:9] op_sel:[0,1]
	;; [unrolled: 1-line block ×4, first 2 shown]
                                        ; implicit-def: $sgpr6_sgpr7
                                        ; implicit-def: $vgpr46
	s_and_saveexec_b64 s[4:5], vcc
	s_cbranch_execz .LBB473_70
; %bb.61:
	ds_read2_b32 v[30:31], v50 offset0:9 offset1:10
	v_mov_b32_e32 v18, s54
	v_cmp_eq_u32_e32 vcc, v27, v28
	v_add_u32_e32 v20, 10, v51
	v_mov_b32_e32 v22, 0
	s_waitcnt lgkmcnt(0)
	v_cndmask_b32_e32 v18, v18, v30, vcc
	v_cmp_ne_u32_e32 vcc, v27, v28
	v_cndmask_b32_e64 v19, 0, 1, vcc
	v_cmp_gt_u32_e32 vcc, s40, v20
	v_mov_b32_e32 v20, v22
	v_mov_b32_e32 v21, v22
	;; [unrolled: 1-line block ×5, first 2 shown]
	s_mov_b64 s[8:9], 0
                                        ; implicit-def: $sgpr36_sgpr37
                                        ; implicit-def: $vgpr46
	s_and_saveexec_b64 s[6:7], vcc
	s_cbranch_execz .LBB473_69
; %bb.62:
	v_mov_b32_e32 v20, s54
	v_cmp_eq_u32_e32 vcc, v28, v29
	v_add_u32_e32 v23, 11, v51
	v_cndmask_b32_e32 v20, v20, v31, vcc
	v_cmp_ne_u32_e32 vcc, v28, v29
	v_cndmask_b32_e64 v21, 0, 1, vcc
	v_cmp_gt_u32_e32 vcc, s40, v23
	s_mov_b32 s36, 0
	v_mov_b32_e32 v23, v22
	v_mov_b32_e32 v24, v22
	;; [unrolled: 1-line block ×3, first 2 shown]
	s_mov_b64 s[10:11], 0
                                        ; implicit-def: $sgpr38_sgpr39
                                        ; implicit-def: $vgpr46
	s_and_saveexec_b64 s[8:9], vcc
	s_cbranch_execz .LBB473_68
; %bb.63:
	ds_read2_b32 v[26:27], v50 offset0:11 offset1:12
	v_mov_b32_e32 v22, s54
	v_cmp_eq_u32_e32 vcc, v29, v44
	v_add_u32_e32 v24, 12, v51
	v_mov_b32_e32 v25, s36
	s_waitcnt lgkmcnt(0)
	v_cndmask_b32_e32 v22, v22, v26, vcc
	v_cmp_ne_u32_e32 vcc, v29, v44
	v_cndmask_b32_e64 v23, 0, 1, vcc
	v_cmp_gt_u32_e32 vcc, s40, v24
	v_mov_b32_e32 v24, s36
	s_mov_b64 s[36:37], 0
                                        ; implicit-def: $sgpr38_sgpr39
                                        ; implicit-def: $vgpr46
	s_and_saveexec_b64 s[10:11], vcc
	s_cbranch_execz .LBB473_67
; %bb.64:
	v_mov_b32_e32 v24, s54
	v_cmp_eq_u32_e32 vcc, v44, v45
	v_add_u32_e32 v26, 13, v51
	v_cndmask_b32_e32 v24, v24, v27, vcc
	v_cmp_ne_u32_e32 vcc, v44, v45
	v_cndmask_b32_e64 v25, 0, 1, vcc
	v_cmp_gt_u32_e32 vcc, s40, v26
                                        ; implicit-def: $sgpr38_sgpr39
                                        ; implicit-def: $vgpr46
	s_and_saveexec_b64 s[40:41], vcc
	s_xor_b64 s[40:41], exec, s[40:41]
	s_cbranch_execz .LBB473_66
; %bb.65:
	ds_read_b32 v26, v50 offset:52
	v_mov_b32_e32 v27, s54
	v_cmp_ne_u32_e32 vcc, v45, v49
	s_mov_b64 s[36:37], exec
	s_and_b64 s[38:39], vcc, exec
	s_waitcnt lgkmcnt(0)
	v_cndmask_b32_e32 v46, v26, v27, vcc
.LBB473_66:
	s_or_b64 exec, exec, s[40:41]
	s_and_b64 s[38:39], s[38:39], exec
	s_and_b64 s[36:37], s[36:37], exec
.LBB473_67:
	s_or_b64 exec, exec, s[10:11]
	s_and_b64 s[38:39], s[38:39], exec
	s_and_b64 s[10:11], s[36:37], exec
.LBB473_68:
	s_or_b64 exec, exec, s[8:9]
	s_and_b64 s[36:37], s[38:39], exec
	s_and_b64 s[8:9], s[10:11], exec
.LBB473_69:
	s_or_b64 exec, exec, s[6:7]
	s_and_b64 s[6:7], s[36:37], exec
	s_and_b64 s[36:37], s[8:9], exec
.LBB473_70:
	s_or_b64 exec, exec, s[4:5]
	s_and_b64 s[38:39], s[6:7], exec
	s_and_b64 s[36:37], s[36:37], exec
.LBB473_71:
	s_or_b64 exec, exec, s[30:31]
	s_and_b64 s[4:5], s[38:39], exec
	s_and_b64 s[30:31], s[36:37], exec
.LBB473_72:
	s_or_b64 exec, exec, s[28:29]
	s_and_b64 s[36:37], s[4:5], exec
	s_and_b64 s[28:29], s[30:31], exec
.LBB473_73:
	s_or_b64 exec, exec, s[26:27]
	s_and_b64 s[4:5], s[36:37], exec
	s_and_b64 s[28:29], s[28:29], exec
.LBB473_74:
	s_or_b64 exec, exec, s[24:25]
	s_and_b64 s[26:27], s[4:5], exec
	s_and_b64 s[24:25], s[28:29], exec
.LBB473_75:
	s_or_b64 exec, exec, s[22:23]
	s_and_b64 s[4:5], s[26:27], exec
	s_and_b64 s[22:23], s[24:25], exec
.LBB473_76:
	s_or_b64 exec, exec, s[20:21]
	s_and_b64 s[24:25], s[4:5], exec
	s_and_b64 s[20:21], s[22:23], exec
.LBB473_77:
	s_or_b64 exec, exec, s[18:19]
	s_and_b64 s[4:5], s[24:25], exec
	s_and_b64 s[18:19], s[20:21], exec
.LBB473_78:
	s_or_b64 exec, exec, s[16:17]
	s_and_b64 s[16:17], s[4:5], exec
	s_and_b64 s[18:19], s[18:19], exec
.LBB473_79:
	s_or_b64 exec, exec, s[14:15]
	s_and_b64 vcc, exec, s[12:13]
	v_lshlrev_b32_e32 v52, 2, v0
	s_cbranch_vccnz .LBB473_81
	s_branch .LBB473_86
.LBB473_80:
	s_mov_b64 s[18:19], 0
                                        ; implicit-def: $sgpr16_sgpr17
                                        ; implicit-def: $vgpr2_vgpr3_vgpr4_vgpr5_vgpr6_vgpr7_vgpr8_vgpr9
                                        ; implicit-def: $vgpr10_vgpr11_vgpr12_vgpr13_vgpr14_vgpr15_vgpr16_vgpr17
                                        ; implicit-def: $vgpr18_vgpr19_vgpr20_vgpr21_vgpr22_vgpr23_vgpr24_vgpr25
                                        ; implicit-def: $vgpr46
                                        ; implicit-def: $vgpr40_vgpr41
	s_and_b64 vcc, exec, s[12:13]
	v_lshlrev_b32_e32 v52, 2, v0
	s_cbranch_vccz .LBB473_86
.LBB473_81:
	v_add_co_u32_e32 v2, vcc, v42, v52
	v_addc_co_u32_e32 v3, vcc, 0, v43, vcc
	v_add_co_u32_e32 v4, vcc, 0x1000, v2
	v_addc_co_u32_e32 v5, vcc, 0, v3, vcc
	flat_load_dword v6, v[2:3]
	flat_load_dword v7, v[2:3] offset:1024
	flat_load_dword v8, v[2:3] offset:2048
	;; [unrolled: 1-line block ×3, first 2 shown]
	flat_load_dword v10, v[4:5]
	flat_load_dword v11, v[4:5] offset:1024
	flat_load_dword v12, v[4:5] offset:2048
	;; [unrolled: 1-line block ×3, first 2 shown]
	v_add_co_u32_e32 v4, vcc, 0x2000, v2
	v_addc_co_u32_e32 v5, vcc, 0, v3, vcc
	v_add_co_u32_e32 v2, vcc, 0x3000, v2
	v_addc_co_u32_e32 v3, vcc, 0, v3, vcc
	flat_load_dword v14, v[4:5]
	flat_load_dword v15, v[4:5] offset:1024
	flat_load_dword v16, v[4:5] offset:2048
	;; [unrolled: 1-line block ×3, first 2 shown]
	flat_load_dword v18, v[2:3]
	flat_load_dword v19, v[2:3] offset:1024
	v_add_co_u32_e32 v2, vcc, 0x3000, v42
	v_addc_co_u32_e32 v3, vcc, 0, v43, vcc
	s_movk_i32 s6, 0xffcc
	s_movk_i32 s9, 0x1000
	s_mov_b32 s4, 0
	s_movk_i32 s8, 0x2000
	s_movk_i32 s5, 0x3000
	s_waitcnt vmcnt(0) lgkmcnt(0)
	ds_write2st64_b32 v52, v6, v7 offset1:4
	ds_write2st64_b32 v52, v8, v9 offset0:8 offset1:12
	ds_write2st64_b32 v52, v10, v11 offset0:16 offset1:20
	ds_write2st64_b32 v52, v12, v13 offset0:24 offset1:28
	ds_write2st64_b32 v52, v14, v15 offset0:32 offset1:36
	ds_write2st64_b32 v52, v16, v17 offset0:40 offset1:44
	ds_write2st64_b32 v52, v18, v19 offset0:48 offset1:52
	s_waitcnt lgkmcnt(0)
	s_barrier
	flat_load_dword v34, v[2:3] offset:2048
	v_mad_u32_u24 v6, v0, 52, v52
	v_mad_i32_i24 v2, v0, s6, v6
	s_movk_i32 s6, 0xff
	v_cmp_ne_u32_e32 vcc, s6, v0
	ds_read2_b32 v[26:27], v6 offset1:13
	ds_read2_b32 v[18:19], v6 offset0:7 offset1:8
	ds_read2_b32 v[20:21], v6 offset0:5 offset1:6
	;; [unrolled: 1-line block ×6, first 2 shown]
	s_waitcnt lgkmcnt(0)
	ds_write_b32 v2, v26 offset:15360
	s_waitcnt lgkmcnt(0)
	s_barrier
	s_and_saveexec_b64 s[6:7], vcc
	s_cbranch_execz .LBB473_83
; %bb.82:
	s_waitcnt vmcnt(0)
	ds_read_b32 v34, v52 offset:15364
.LBB473_83:
	s_or_b64 exec, exec, s[6:7]
	v_add_co_u32_e32 v2, vcc, v1, v52
	v_addc_co_u32_e32 v3, vcc, 0, v48, vcc
	v_add_co_u32_e32 v4, vcc, s9, v2
	v_addc_co_u32_e32 v5, vcc, 0, v3, vcc
	s_waitcnt lgkmcnt(0)
	s_barrier
	flat_load_dword v1, v[2:3]
	flat_load_dword v7, v[2:3] offset:1024
	flat_load_dword v8, v[2:3] offset:2048
	;; [unrolled: 1-line block ×3, first 2 shown]
	flat_load_dword v14, v[4:5]
	flat_load_dword v15, v[4:5] offset:1024
	flat_load_dword v16, v[4:5] offset:2048
	;; [unrolled: 1-line block ×3, first 2 shown]
	v_add_co_u32_e32 v4, vcc, s8, v2
	v_addc_co_u32_e32 v5, vcc, 0, v3, vcc
	v_add_co_u32_e32 v2, vcc, s5, v2
	v_addc_co_u32_e32 v3, vcc, 0, v3, vcc
	flat_load_dword v22, v[4:5]
	flat_load_dword v23, v[4:5] offset:1024
	flat_load_dword v24, v[4:5] offset:2048
	;; [unrolled: 1-line block ×3, first 2 shown]
	flat_load_dword v32, v[2:3]
	flat_load_dword v33, v[2:3] offset:1024
	s_mov_b32 s5, 1
	v_cmp_eq_u32_e32 vcc, v26, v12
	v_pk_mov_b32 v[40:41], s[4:5], s[4:5] op_sel:[0,1]
	s_waitcnt vmcnt(0) lgkmcnt(0)
	ds_write2st64_b32 v52, v1, v7 offset1:4
	ds_write2st64_b32 v52, v8, v9 offset0:8 offset1:12
	ds_write2st64_b32 v52, v14, v15 offset0:16 offset1:20
	;; [unrolled: 1-line block ×6, first 2 shown]
	s_waitcnt lgkmcnt(0)
	s_barrier
	ds_read2_b32 v[24:25], v6 offset0:7 offset1:8
	ds_read2_b32 v[14:15], v6 offset0:5 offset1:6
	;; [unrolled: 1-line block ×4, first 2 shown]
	ds_read_b32 v1, v6 offset:52
	ds_read2_b32 v[22:23], v6 offset0:11 offset1:12
	ds_read2_b32 v[32:33], v6 offset0:9 offset1:10
	v_mov_b32_e32 v7, s54
	s_and_saveexec_b64 s[4:5], vcc
	s_cbranch_execz .LBB473_85
; %bb.84:
	ds_read_b32 v7, v6
	v_pk_mov_b32 v[40:41], 0, 0
.LBB473_85:
	s_or_b64 exec, exec, s[4:5]
	v_mov_b32_e32 v26, s54
	v_cmp_eq_u32_e32 vcc, v12, v13
	s_waitcnt lgkmcnt(3)
	v_cndmask_b32_e32 v8, v26, v4, vcc
	v_cmp_eq_u32_e32 vcc, v13, v10
	v_cndmask_b32_e32 v6, v26, v5, vcc
	v_cmp_eq_u32_e32 vcc, v10, v11
	;; [unrolled: 2-line block ×3, first 2 shown]
	v_cndmask_b32_e32 v2, v26, v3, vcc
	v_cmp_ne_u32_e32 vcc, v12, v13
	v_cndmask_b32_e64 v9, 0, 1, vcc
	v_cmp_ne_u32_e32 vcc, v13, v10
	s_waitcnt lgkmcnt(0)
	v_or_b32_e32 v40, v40, v7
	v_cndmask_b32_e64 v7, 0, 1, vcc
	v_cmp_ne_u32_e32 vcc, v10, v11
	v_cndmask_b32_e64 v5, 0, 1, vcc
	v_cmp_ne_u32_e32 vcc, v11, v20
	v_cndmask_b32_e64 v3, 0, 1, vcc
	v_cmp_eq_u32_e32 vcc, v20, v21
	v_cndmask_b32_e32 v16, v26, v14, vcc
	v_cmp_eq_u32_e32 vcc, v21, v18
	v_cndmask_b32_e32 v14, v26, v15, vcc
	;; [unrolled: 2-line block ×4, first 2 shown]
	v_cmp_ne_u32_e32 vcc, v20, v21
	v_cndmask_b32_e64 v17, 0, 1, vcc
	v_cmp_ne_u32_e32 vcc, v21, v18
	v_cndmask_b32_e64 v15, 0, 1, vcc
	;; [unrolled: 2-line block ×4, first 2 shown]
	v_cmp_eq_u32_e32 vcc, v31, v27
	v_cndmask_b32_e32 v24, v26, v23, vcc
	v_cmp_eq_u32_e32 vcc, v30, v31
	v_cndmask_b32_e32 v22, v26, v22, vcc
	;; [unrolled: 2-line block ×4, first 2 shown]
	v_cmp_ne_u32_e32 vcc, v31, v27
	v_cndmask_b32_e64 v25, 0, 1, vcc
	v_cmp_ne_u32_e32 vcc, v30, v31
	v_cndmask_b32_e64 v23, 0, 1, vcc
	;; [unrolled: 2-line block ×3, first 2 shown]
	v_cmp_ne_u32_e32 vcc, v28, v29
	v_cmp_ne_u32_e64 s[16:17], v27, v34
	v_cndmask_b32_e64 v19, 0, 1, vcc
	v_cndmask_b32_e64 v46, v1, v26, s[16:17]
	s_mov_b64 s[18:19], -1
                                        ; implicit-def: $sgpr12_sgpr13
.LBB473_86:
	v_pk_mov_b32 v[42:43], s[12:13], s[12:13] op_sel:[0,1]
	s_and_saveexec_b64 s[4:5], s[18:19]
; %bb.87:
	v_cndmask_b32_e64 v47, 0, 1, s[16:17]
	v_pk_mov_b32 v[42:43], v[46:47], v[46:47] op_sel:[0,1]
; %bb.88:
	s_or_b64 exec, exec, s[4:5]
	s_mov_b32 s28, 0
	s_cmp_lg_u32 s47, 0
	v_mbcnt_lo_u32_b32 v54, -1, 0
	v_lshrrev_b32_e32 v1, 6, v0
	v_or_b32_e32 v53, 63, v0
	s_barrier
	s_cbranch_scc0 .LBB473_133
; %bb.89:
	s_mov_b32 s29, 1
	v_cmp_gt_u64_e64 s[4:5], s[28:29], v[8:9]
	v_cndmask_b32_e64 v27, 0, v40, s[4:5]
	v_add_u32_e32 v27, v27, v8
	v_cmp_gt_u64_e64 s[6:7], s[28:29], v[6:7]
	v_cndmask_b32_e64 v27, 0, v27, s[6:7]
	v_add_u32_e32 v27, v27, v6
	;; [unrolled: 3-line block ×12, first 2 shown]
	v_cmp_gt_u64_e32 vcc, s[28:29], v[42:43]
	v_cndmask_b32_e32 v27, 0, v27, vcc
	v_add_u32_e32 v28, v27, v42
	v_or3_b32 v27, v43, v25, v23
	v_or3_b32 v27, v27, v21, v19
	;; [unrolled: 1-line block ×6, first 2 shown]
	v_mov_b32_e32 v26, 0
	v_and_b32_e32 v27, 1, v27
	v_cmp_eq_u64_e32 vcc, 0, v[26:27]
	v_cndmask_b32_e32 v27, 1, v41, vcc
	v_and_b32_e32 v29, 0xff, v27
	v_mov_b32_dpp v31, v28 row_shr:1 row_mask:0xf bank_mask:0xf
	v_cmp_eq_u16_e32 vcc, 0, v29
	v_mov_b32_dpp v32, v29 row_shr:1 row_mask:0xf bank_mask:0xf
	v_and_b32_e32 v33, 1, v27
	v_mbcnt_hi_u32_b32 v48, -1, v54
	v_cndmask_b32_e32 v31, 0, v31, vcc
	v_and_b32_e32 v32, 1, v32
	v_cmp_eq_u32_e32 vcc, 1, v33
	v_and_b32_e32 v30, 15, v48
	v_cndmask_b32_e64 v32, v32, 1, vcc
	v_and_b32_e32 v33, 0xffff, v32
	v_cmp_eq_u32_e32 vcc, 0, v30
	v_cndmask_b32_e32 v27, v32, v27, vcc
	v_cndmask_b32_e32 v29, v33, v29, vcc
	v_and_b32_e32 v33, 1, v27
	v_cndmask_b32_e64 v31, v31, 0, vcc
	v_mov_b32_dpp v32, v29 row_shr:2 row_mask:0xf bank_mask:0xf
	v_and_b32_e32 v32, 1, v32
	v_cmp_eq_u32_e32 vcc, 1, v33
	v_cndmask_b32_e64 v32, v32, 1, vcc
	v_and_b32_e32 v33, 0xffff, v32
	v_cmp_lt_u32_e32 vcc, 1, v30
	v_add_u32_e32 v28, v31, v28
	v_cmp_eq_u16_sdwa s[28:29], v27, v26 src0_sel:BYTE_0 src1_sel:DWORD
	v_cndmask_b32_e32 v27, v27, v32, vcc
	v_cndmask_b32_e32 v29, v29, v33, vcc
	v_mov_b32_dpp v31, v28 row_shr:2 row_mask:0xf bank_mask:0xf
	s_and_b64 vcc, vcc, s[28:29]
	v_mov_b32_dpp v32, v29 row_shr:4 row_mask:0xf bank_mask:0xf
	v_and_b32_e32 v33, 1, v27
	v_cndmask_b32_e32 v31, 0, v31, vcc
	v_and_b32_e32 v32, 1, v32
	v_cmp_eq_u32_e32 vcc, 1, v33
	v_cndmask_b32_e64 v32, v32, 1, vcc
	v_and_b32_e32 v33, 0xffff, v32
	v_cmp_lt_u32_e32 vcc, 3, v30
	v_add_u32_e32 v28, v31, v28
	v_cmp_eq_u16_sdwa s[28:29], v27, v26 src0_sel:BYTE_0 src1_sel:DWORD
	v_cndmask_b32_e32 v27, v27, v32, vcc
	v_cndmask_b32_e32 v29, v29, v33, vcc
	v_mov_b32_dpp v31, v28 row_shr:4 row_mask:0xf bank_mask:0xf
	s_and_b64 vcc, vcc, s[28:29]
	v_mov_b32_dpp v32, v29 row_shr:8 row_mask:0xf bank_mask:0xf
	v_and_b32_e32 v33, 1, v27
	v_cndmask_b32_e32 v31, 0, v31, vcc
	v_and_b32_e32 v32, 1, v32
	v_cmp_eq_u32_e32 vcc, 1, v33
	v_cndmask_b32_e64 v32, v32, 1, vcc
	v_add_u32_e32 v28, v31, v28
	v_cmp_eq_u16_sdwa s[28:29], v27, v26 src0_sel:BYTE_0 src1_sel:DWORD
	v_and_b32_e32 v33, 0xffff, v32
	v_cmp_lt_u32_e32 vcc, 7, v30
	v_mov_b32_dpp v31, v28 row_shr:8 row_mask:0xf bank_mask:0xf
	v_cndmask_b32_e32 v27, v27, v32, vcc
	v_cndmask_b32_e32 v29, v29, v33, vcc
	s_and_b64 vcc, vcc, s[28:29]
	v_cndmask_b32_e32 v30, 0, v31, vcc
	v_add_u32_e32 v28, v30, v28
	v_mov_b32_dpp v31, v29 row_bcast:15 row_mask:0xf bank_mask:0xf
	v_cmp_eq_u16_sdwa vcc, v27, v26 src0_sel:BYTE_0 src1_sel:DWORD
	v_mov_b32_dpp v30, v28 row_bcast:15 row_mask:0xf bank_mask:0xf
	v_and_b32_e32 v34, 1, v27
	v_cndmask_b32_e32 v30, 0, v30, vcc
	v_and_b32_e32 v31, 1, v31
	v_cmp_eq_u32_e32 vcc, 1, v34
	v_and_b32_e32 v33, 16, v48
	v_cndmask_b32_e64 v31, v31, 1, vcc
	v_and_b32_e32 v34, 0xffff, v31
	v_cmp_eq_u32_e32 vcc, 0, v33
	v_cndmask_b32_e32 v27, v31, v27, vcc
	v_cndmask_b32_e32 v29, v34, v29, vcc
	v_bfe_i32 v32, v48, 4, 1
	v_cmp_eq_u16_sdwa s[28:29], v27, v26 src0_sel:BYTE_0 src1_sel:DWORD
	v_mov_b32_dpp v29, v29 row_bcast:31 row_mask:0xf bank_mask:0xf
	v_and_b32_e32 v26, 1, v27
	v_and_b32_e32 v30, v32, v30
	;; [unrolled: 1-line block ×3, first 2 shown]
	v_cmp_eq_u32_e32 vcc, 1, v26
	v_add_u32_e32 v28, v30, v28
	v_cndmask_b32_e64 v26, v29, 1, vcc
	v_cmp_lt_u32_e32 vcc, 31, v48
	v_mov_b32_dpp v30, v28 row_bcast:31 row_mask:0xf bank_mask:0xf
	v_cndmask_b32_e32 v29, v27, v26, vcc
	s_and_b64 vcc, vcc, s[28:29]
	v_cndmask_b32_e32 v26, 0, v30, vcc
	v_add_u32_e32 v28, v26, v28
	v_cmp_eq_u32_e32 vcc, v53, v0
	s_and_saveexec_b64 s[28:29], vcc
	s_cbranch_execz .LBB473_91
; %bb.90:
	v_lshlrev_b32_e32 v26, 3, v1
	ds_write_b32 v26, v28
	ds_write_b8 v26, v29 offset:4
.LBB473_91:
	s_or_b64 exec, exec, s[28:29]
	v_cmp_gt_u32_e32 vcc, 4, v0
	s_waitcnt lgkmcnt(0)
	s_barrier
	s_and_saveexec_b64 s[28:29], vcc
	s_cbranch_execz .LBB473_95
; %bb.92:
	v_lshlrev_b32_e32 v30, 3, v0
	ds_read_b64 v[26:27], v30
	v_and_b32_e32 v31, 3, v48
	v_cmp_ne_u32_e32 vcc, 0, v31
	s_waitcnt lgkmcnt(0)
	v_mov_b32_dpp v32, v26 row_shr:1 row_mask:0xf bank_mask:0xf
	v_mov_b32_dpp v34, v27 row_shr:1 row_mask:0xf bank_mask:0xf
	v_mov_b32_e32 v33, v27
	s_and_saveexec_b64 s[30:31], vcc
	s_cbranch_execz .LBB473_94
; %bb.93:
	v_and_b32_e32 v33, 1, v27
	v_and_b32_e32 v34, 1, v34
	v_cmp_eq_u32_e32 vcc, 1, v33
	v_mov_b32_e32 v33, 0
	v_cndmask_b32_e64 v34, v34, 1, vcc
	v_cmp_eq_u16_sdwa vcc, v27, v33 src0_sel:BYTE_0 src1_sel:DWORD
	v_cndmask_b32_e32 v32, 0, v32, vcc
	v_add_u32_e32 v26, v32, v26
	v_and_b32_e32 v32, 0xffff, v34
	s_movk_i32 s36, 0xff00
	v_and_or_b32 v33, v27, s36, v32
	v_mov_b32_e32 v27, v34
.LBB473_94:
	s_or_b64 exec, exec, s[30:31]
	v_mov_b32_dpp v33, v33 row_shr:2 row_mask:0xf bank_mask:0xf
	v_and_b32_e32 v34, 1, v27
	v_and_b32_e32 v33, 1, v33
	v_cmp_eq_u32_e32 vcc, 1, v34
	v_mov_b32_e32 v34, 0
	v_cndmask_b32_e64 v33, v33, 1, vcc
	v_cmp_eq_u16_sdwa s[30:31], v27, v34 src0_sel:BYTE_0 src1_sel:DWORD
	v_cmp_lt_u32_e32 vcc, 1, v31
	v_mov_b32_dpp v32, v26 row_shr:2 row_mask:0xf bank_mask:0xf
	v_cndmask_b32_e32 v27, v27, v33, vcc
	s_and_b64 vcc, vcc, s[30:31]
	v_cndmask_b32_e32 v31, 0, v32, vcc
	v_add_u32_e32 v26, v31, v26
	ds_write_b32 v30, v26
	ds_write_b8 v30, v27 offset:4
.LBB473_95:
	s_or_b64 exec, exec, s[28:29]
	v_cmp_gt_u32_e32 vcc, 64, v0
	v_cmp_lt_u32_e64 s[28:29], 63, v0
	v_mov_b32_e32 v44, 0
	v_mov_b32_e32 v45, 0
	s_waitcnt lgkmcnt(0)
	s_barrier
	s_and_saveexec_b64 s[30:31], s[28:29]
	s_cbranch_execz .LBB473_97
; %bb.96:
	v_lshl_add_u32 v26, v1, 3, -8
	ds_read_b32 v44, v26
	ds_read_u8 v45, v26 offset:4
	v_mov_b32_e32 v27, 0
	v_and_b32_e32 v30, 1, v29
	v_cmp_eq_u16_sdwa s[28:29], v29, v27 src0_sel:BYTE_0 src1_sel:DWORD
	s_waitcnt lgkmcnt(1)
	v_cndmask_b32_e64 v26, 0, v44, s[28:29]
	v_cmp_eq_u32_e64 s[28:29], 1, v30
	v_add_u32_e32 v28, v26, v28
	s_waitcnt lgkmcnt(0)
	v_cndmask_b32_e64 v29, v45, 1, s[28:29]
.LBB473_97:
	s_or_b64 exec, exec, s[30:31]
	v_and_b32_e32 v26, 0xff, v29
	v_add_u32_e32 v27, -1, v48
	v_and_b32_e32 v29, 64, v48
	v_cmp_lt_i32_e64 s[28:29], v27, v29
	v_cndmask_b32_e64 v27, v27, v48, s[28:29]
	v_lshlrev_b32_e32 v27, 2, v27
	ds_bpermute_b32 v46, v27, v28
	ds_bpermute_b32 v47, v27, v26
	v_cmp_eq_u32_e64 s[28:29], 0, v48
	s_and_saveexec_b64 s[36:37], vcc
	s_cbranch_execz .LBB473_120
; %bb.98:
	v_mov_b32_e32 v29, 0
	ds_read_b64 v[26:27], v29 offset:24
	s_waitcnt lgkmcnt(0)
	v_readfirstlane_b32 s48, v27
	s_and_saveexec_b64 s[30:31], s[28:29]
	s_cbranch_execz .LBB473_100
; %bb.99:
	s_add_i32 s38, s47, 64
	s_mov_b32 s39, 0
	s_lshl_b64 s[40:41], s[38:39], 4
	s_add_u32 s40, s44, s40
	s_addc_u32 s41, s45, s41
	s_and_b32 s57, s48, 0xff000000
	s_mov_b32 s56, s39
	s_and_b32 s59, s48, 0xff0000
	s_mov_b32 s58, s39
	s_or_b64 s[56:57], s[58:59], s[56:57]
	s_and_b32 s59, s48, 0xff00
	s_or_b64 s[56:57], s[56:57], s[58:59]
	s_and_b32 s59, s48, 0xff
	s_or_b64 s[38:39], s[56:57], s[58:59]
	v_mov_b32_e32 v27, s39
	v_mov_b32_e32 v28, 1
	v_pk_mov_b32 v[30:31], s[40:41], s[40:41] op_sel:[0,1]
	;;#ASMSTART
	global_store_dwordx4 v[30:31], v[26:29] off	
s_waitcnt vmcnt(0)
	;;#ASMEND
.LBB473_100:
	s_or_b64 exec, exec, s[30:31]
	v_xad_u32 v34, v48, -1, s47
	v_add_u32_e32 v28, 64, v34
	v_lshlrev_b64 v[30:31], 4, v[28:29]
	v_mov_b32_e32 v27, s45
	v_add_co_u32_e32 v36, vcc, s44, v30
	v_addc_co_u32_e32 v37, vcc, v27, v31, vcc
	;;#ASMSTART
	global_load_dwordx4 v[30:33], v[36:37] off glc	
s_waitcnt vmcnt(0)
	;;#ASMEND
	v_and_b32_e32 v27, 0xff0000, v30
	v_or_b32_sdwa v27, v30, v27 dst_sel:DWORD dst_unused:UNUSED_PAD src0_sel:WORD_0 src1_sel:DWORD
	v_and_b32_e32 v28, 0xff000000, v30
	v_and_b32_e32 v30, 0xff, v31
	v_or3_b32 v31, 0, 0, v30
	v_or3_b32 v30, v27, v28, 0
	v_cmp_eq_u16_sdwa s[38:39], v32, v29 src0_sel:BYTE_0 src1_sel:DWORD
	s_and_saveexec_b64 s[30:31], s[38:39]
	s_cbranch_execz .LBB473_106
; %bb.101:
	s_mov_b32 s40, 1
	s_mov_b64 s[38:39], 0
	v_mov_b32_e32 v27, 0
.LBB473_102:                            ; =>This Loop Header: Depth=1
                                        ;     Child Loop BB473_103 Depth 2
	s_max_u32 s41, s40, 1
.LBB473_103:                            ;   Parent Loop BB473_102 Depth=1
                                        ; =>  This Inner Loop Header: Depth=2
	s_add_i32 s41, s41, -1
	s_cmp_eq_u32 s41, 0
	s_sleep 1
	s_cbranch_scc0 .LBB473_103
; %bb.104:                              ;   in Loop: Header=BB473_102 Depth=1
	s_cmp_lt_u32 s40, 32
	s_cselect_b64 s[56:57], -1, 0
	s_cmp_lg_u64 s[56:57], 0
	s_addc_u32 s40, s40, 0
	;;#ASMSTART
	global_load_dwordx4 v[30:33], v[36:37] off glc	
s_waitcnt vmcnt(0)
	;;#ASMEND
	v_cmp_ne_u16_sdwa s[56:57], v32, v27 src0_sel:BYTE_0 src1_sel:DWORD
	s_or_b64 s[38:39], s[56:57], s[38:39]
	s_andn2_b64 exec, exec, s[38:39]
	s_cbranch_execnz .LBB473_102
; %bb.105:
	s_or_b64 exec, exec, s[38:39]
	v_and_b32_e32 v31, 0xff, v31
.LBB473_106:
	s_or_b64 exec, exec, s[30:31]
	v_mov_b32_e32 v27, 2
	v_cmp_eq_u16_sdwa s[30:31], v32, v27 src0_sel:BYTE_0 src1_sel:DWORD
	v_lshlrev_b64 v[28:29], v48, -1
	v_and_b32_e32 v33, s31, v29
	v_or_b32_e32 v33, 0x80000000, v33
	v_and_b32_e32 v35, s30, v28
	v_ffbl_b32_e32 v33, v33
	v_and_b32_e32 v49, 63, v48
	v_add_u32_e32 v33, 32, v33
	v_ffbl_b32_e32 v35, v35
	v_cmp_ne_u32_e32 vcc, 63, v49
	v_min_u32_e32 v33, v35, v33
	v_addc_co_u32_e32 v35, vcc, 0, v48, vcc
	v_lshlrev_b32_e32 v50, 2, v35
	ds_bpermute_b32 v35, v50, v31
	ds_bpermute_b32 v36, v50, v30
	s_mov_b32 s38, 0
	v_and_b32_e32 v37, 1, v31
	s_mov_b32 s39, 1
	s_waitcnt lgkmcnt(1)
	v_and_b32_e32 v35, 1, v35
	v_cmp_eq_u32_e32 vcc, 1, v37
	v_cndmask_b32_e64 v35, v35, 1, vcc
	v_cmp_gt_u64_e32 vcc, s[38:39], v[30:31]
	v_cmp_lt_u32_e64 s[30:31], v49, v33
	s_and_b64 vcc, s[30:31], vcc
	v_and_b32_e32 v37, 0xffff, v35
	v_cndmask_b32_e64 v56, v31, v35, s[30:31]
	s_waitcnt lgkmcnt(0)
	v_cndmask_b32_e32 v35, 0, v36, vcc
	v_cmp_gt_u32_e32 vcc, 62, v49
	v_cndmask_b32_e64 v36, 0, 1, vcc
	v_lshlrev_b32_e32 v36, 1, v36
	v_cndmask_b32_e64 v31, v31, v37, s[30:31]
	v_add_lshl_u32 v51, v36, v48, 2
	ds_bpermute_b32 v36, v51, v31
	v_add_u32_e32 v30, v35, v30
	ds_bpermute_b32 v37, v51, v30
	v_and_b32_e32 v35, 1, v56
	v_cmp_eq_u32_e32 vcc, 1, v35
	s_waitcnt lgkmcnt(1)
	v_and_b32_e32 v36, 1, v36
	v_mov_b32_e32 v35, 0
	v_add_u32_e32 v55, 2, v49
	v_cndmask_b32_e64 v36, v36, 1, vcc
	v_cmp_eq_u16_sdwa vcc, v56, v35 src0_sel:BYTE_0 src1_sel:DWORD
	v_and_b32_e32 v57, 0xffff, v36
	s_waitcnt lgkmcnt(0)
	v_cndmask_b32_e32 v37, 0, v37, vcc
	v_cmp_gt_u32_e32 vcc, v55, v33
	v_cndmask_b32_e32 v36, v36, v56, vcc
	v_cndmask_b32_e64 v37, v37, 0, vcc
	v_cndmask_b32_e32 v31, v57, v31, vcc
	v_cmp_gt_u32_e32 vcc, 60, v49
	v_cndmask_b32_e64 v56, 0, 1, vcc
	v_lshlrev_b32_e32 v56, 2, v56
	v_add_lshl_u32 v56, v56, v48, 2
	ds_bpermute_b32 v58, v56, v31
	v_add_u32_e32 v30, v37, v30
	ds_bpermute_b32 v37, v56, v30
	v_and_b32_e32 v59, 1, v36
	v_cmp_eq_u32_e32 vcc, 1, v59
	s_waitcnt lgkmcnt(1)
	v_and_b32_e32 v58, 1, v58
	v_add_u32_e32 v57, 4, v49
	v_cndmask_b32_e64 v58, v58, 1, vcc
	v_cmp_eq_u16_sdwa vcc, v36, v35 src0_sel:BYTE_0 src1_sel:DWORD
	v_and_b32_e32 v59, 0xffff, v58
	s_waitcnt lgkmcnt(0)
	v_cndmask_b32_e32 v37, 0, v37, vcc
	v_cmp_gt_u32_e32 vcc, v57, v33
	v_cndmask_b32_e32 v36, v58, v36, vcc
	v_cndmask_b32_e64 v37, v37, 0, vcc
	v_cndmask_b32_e32 v31, v59, v31, vcc
	v_cmp_gt_u32_e32 vcc, 56, v49
	v_cndmask_b32_e64 v58, 0, 1, vcc
	v_lshlrev_b32_e32 v58, 3, v58
	v_add_lshl_u32 v58, v58, v48, 2
	ds_bpermute_b32 v60, v58, v31
	v_add_u32_e32 v30, v37, v30
	ds_bpermute_b32 v37, v58, v30
	v_and_b32_e32 v61, 1, v36
	v_cmp_eq_u32_e32 vcc, 1, v61
	s_waitcnt lgkmcnt(1)
	v_and_b32_e32 v60, 1, v60
	;; [unrolled: 21-line block ×4, first 2 shown]
	v_add_u32_e32 v64, 32, v49
	v_cndmask_b32_e64 v31, v31, 1, vcc
	v_cmp_eq_u16_sdwa vcc, v36, v35 src0_sel:BYTE_0 src1_sel:DWORD
	s_waitcnt lgkmcnt(0)
	v_cndmask_b32_e32 v37, 0, v37, vcc
	v_cmp_gt_u32_e32 vcc, v64, v33
	v_cndmask_b32_e64 v33, v37, 0, vcc
	v_cndmask_b32_e32 v31, v31, v36, vcc
	v_add_u32_e32 v30, v33, v30
	s_branch .LBB473_108
.LBB473_107:                            ;   in Loop: Header=BB473_108 Depth=1
	s_or_b64 exec, exec, s[30:31]
	v_cmp_eq_u16_sdwa s[30:31], v32, v27 src0_sel:BYTE_0 src1_sel:DWORD
	v_and_b32_e32 v33, s31, v29
	ds_bpermute_b32 v37, v50, v31
	v_or_b32_e32 v33, 0x80000000, v33
	v_and_b32_e32 v36, s30, v28
	v_ffbl_b32_e32 v33, v33
	v_add_u32_e32 v33, 32, v33
	v_ffbl_b32_e32 v36, v36
	v_min_u32_e32 v33, v36, v33
	ds_bpermute_b32 v36, v50, v30
	v_and_b32_e32 v65, 1, v31
	s_waitcnt lgkmcnt(1)
	v_and_b32_e32 v37, 1, v37
	v_cmp_eq_u32_e32 vcc, 1, v65
	v_cndmask_b32_e64 v37, v37, 1, vcc
	v_cmp_gt_u64_e32 vcc, s[38:39], v[30:31]
	v_and_b32_e32 v65, 0xffff, v37
	v_cmp_lt_u32_e64 s[30:31], v49, v33
	v_cndmask_b32_e64 v37, v31, v37, s[30:31]
	v_cndmask_b32_e64 v31, v31, v65, s[30:31]
	s_and_b64 vcc, s[30:31], vcc
	ds_bpermute_b32 v65, v51, v31
	s_waitcnt lgkmcnt(1)
	v_cndmask_b32_e32 v36, 0, v36, vcc
	v_add_u32_e32 v30, v36, v30
	ds_bpermute_b32 v36, v51, v30
	v_and_b32_e32 v66, 1, v37
	s_waitcnt lgkmcnt(1)
	v_and_b32_e32 v65, 1, v65
	v_cmp_eq_u32_e32 vcc, 1, v66
	v_cndmask_b32_e64 v65, v65, 1, vcc
	v_cmp_eq_u16_sdwa vcc, v37, v35 src0_sel:BYTE_0 src1_sel:DWORD
	v_and_b32_e32 v66, 0xffff, v65
	s_waitcnt lgkmcnt(0)
	v_cndmask_b32_e32 v36, 0, v36, vcc
	v_cmp_gt_u32_e32 vcc, v55, v33
	v_cndmask_b32_e32 v31, v66, v31, vcc
	v_cndmask_b32_e32 v37, v65, v37, vcc
	ds_bpermute_b32 v65, v56, v31
	v_cndmask_b32_e64 v36, v36, 0, vcc
	v_add_u32_e32 v30, v36, v30
	ds_bpermute_b32 v36, v56, v30
	v_and_b32_e32 v66, 1, v37
	s_waitcnt lgkmcnt(1)
	v_and_b32_e32 v65, 1, v65
	v_cmp_eq_u32_e32 vcc, 1, v66
	v_cndmask_b32_e64 v65, v65, 1, vcc
	v_cmp_eq_u16_sdwa vcc, v37, v35 src0_sel:BYTE_0 src1_sel:DWORD
	v_and_b32_e32 v66, 0xffff, v65
	s_waitcnt lgkmcnt(0)
	v_cndmask_b32_e32 v36, 0, v36, vcc
	v_cmp_gt_u32_e32 vcc, v57, v33
	v_cndmask_b32_e32 v31, v66, v31, vcc
	v_cndmask_b32_e32 v37, v65, v37, vcc
	ds_bpermute_b32 v65, v58, v31
	v_cndmask_b32_e64 v36, v36, 0, vcc
	;; [unrolled: 16-line block ×3, first 2 shown]
	v_add_u32_e32 v30, v36, v30
	ds_bpermute_b32 v36, v60, v30
	v_and_b32_e32 v66, 1, v37
	s_waitcnt lgkmcnt(1)
	v_and_b32_e32 v65, 1, v65
	v_cmp_eq_u32_e32 vcc, 1, v66
	v_cndmask_b32_e64 v65, v65, 1, vcc
	v_cmp_eq_u16_sdwa vcc, v37, v35 src0_sel:BYTE_0 src1_sel:DWORD
	v_and_b32_e32 v66, 0xffff, v65
	s_waitcnt lgkmcnt(0)
	v_cndmask_b32_e32 v36, 0, v36, vcc
	v_cmp_gt_u32_e32 vcc, v61, v33
	v_cndmask_b32_e64 v36, v36, 0, vcc
	v_cndmask_b32_e32 v31, v66, v31, vcc
	ds_bpermute_b32 v31, v63, v31
	v_add_u32_e32 v30, v36, v30
	ds_bpermute_b32 v36, v63, v30
	v_cndmask_b32_e32 v37, v65, v37, vcc
	v_and_b32_e32 v65, 1, v37
	v_cmp_eq_u32_e32 vcc, 1, v65
	s_waitcnt lgkmcnt(1)
	v_cndmask_b32_e64 v31, v31, 1, vcc
	v_cmp_eq_u16_sdwa vcc, v37, v35 src0_sel:BYTE_0 src1_sel:DWORD
	s_waitcnt lgkmcnt(0)
	v_cndmask_b32_e32 v36, 0, v36, vcc
	v_cmp_gt_u32_e32 vcc, v64, v33
	v_cndmask_b32_e64 v33, v36, 0, vcc
	v_cndmask_b32_e32 v31, v31, v37, vcc
	v_add_u32_e32 v30, v33, v30
	v_cmp_eq_u16_sdwa vcc, v48, v35 src0_sel:BYTE_0 src1_sel:DWORD
	v_and_b32_e32 v33, 1, v48
	v_cndmask_b32_e32 v30, 0, v30, vcc
	v_and_b32_e32 v31, 1, v31
	v_cmp_eq_u32_e32 vcc, 1, v33
	v_subrev_u32_e32 v34, 64, v34
	v_add_u32_e32 v30, v30, v62
	v_cndmask_b32_e64 v31, v31, 1, vcc
.LBB473_108:                            ; =>This Loop Header: Depth=1
                                        ;     Child Loop BB473_111 Depth 2
                                        ;       Child Loop BB473_112 Depth 3
	v_cmp_ne_u16_sdwa s[30:31], v32, v27 src0_sel:BYTE_0 src1_sel:DWORD
	v_mov_b32_e32 v48, v31
	v_cndmask_b32_e64 v31, 0, 1, s[30:31]
	;;#ASMSTART
	;;#ASMEND
	v_cmp_ne_u32_e32 vcc, 0, v31
	s_cmp_lg_u64 vcc, exec
	v_mov_b32_e32 v62, v30
	s_cbranch_scc1 .LBB473_115
; %bb.109:                              ;   in Loop: Header=BB473_108 Depth=1
	v_lshlrev_b64 v[30:31], 4, v[34:35]
	v_mov_b32_e32 v32, s45
	v_add_co_u32_e32 v36, vcc, s44, v30
	v_addc_co_u32_e32 v37, vcc, v32, v31, vcc
	;;#ASMSTART
	global_load_dwordx4 v[30:33], v[36:37] off glc	
s_waitcnt vmcnt(0)
	;;#ASMEND
	v_and_b32_e32 v33, 0xff0000, v30
	v_or_b32_sdwa v33, v30, v33 dst_sel:DWORD dst_unused:UNUSED_PAD src0_sel:WORD_0 src1_sel:DWORD
	v_and_b32_e32 v30, 0xff000000, v30
	v_and_b32_e32 v31, 0xff, v31
	v_or3_b32 v31, 0, 0, v31
	v_or3_b32 v30, v33, v30, 0
	v_cmp_eq_u16_sdwa s[40:41], v32, v35 src0_sel:BYTE_0 src1_sel:DWORD
	s_and_saveexec_b64 s[30:31], s[40:41]
	s_cbranch_execz .LBB473_107
; %bb.110:                              ;   in Loop: Header=BB473_108 Depth=1
	s_mov_b32 s49, 1
	s_mov_b64 s[40:41], 0
.LBB473_111:                            ;   Parent Loop BB473_108 Depth=1
                                        ; =>  This Loop Header: Depth=2
                                        ;       Child Loop BB473_112 Depth 3
	s_max_u32 s55, s49, 1
.LBB473_112:                            ;   Parent Loop BB473_108 Depth=1
                                        ;     Parent Loop BB473_111 Depth=2
                                        ; =>    This Inner Loop Header: Depth=3
	s_add_i32 s55, s55, -1
	s_cmp_eq_u32 s55, 0
	s_sleep 1
	s_cbranch_scc0 .LBB473_112
; %bb.113:                              ;   in Loop: Header=BB473_111 Depth=2
	s_cmp_lt_u32 s49, 32
	s_cselect_b64 s[56:57], -1, 0
	s_cmp_lg_u64 s[56:57], 0
	s_addc_u32 s49, s49, 0
	;;#ASMSTART
	global_load_dwordx4 v[30:33], v[36:37] off glc	
s_waitcnt vmcnt(0)
	;;#ASMEND
	v_cmp_ne_u16_sdwa s[56:57], v32, v35 src0_sel:BYTE_0 src1_sel:DWORD
	s_or_b64 s[40:41], s[56:57], s[40:41]
	s_andn2_b64 exec, exec, s[40:41]
	s_cbranch_execnz .LBB473_111
; %bb.114:                              ;   in Loop: Header=BB473_108 Depth=1
	s_or_b64 exec, exec, s[40:41]
	v_and_b32_e32 v31, 0xff, v31
	s_branch .LBB473_107
.LBB473_115:                            ;   in Loop: Header=BB473_108 Depth=1
                                        ; implicit-def: $vgpr31
                                        ; implicit-def: $vgpr30
                                        ; implicit-def: $vgpr32
	s_cbranch_execz .LBB473_108
; %bb.116:
	s_and_saveexec_b64 s[30:31], s[28:29]
	s_cbranch_execz .LBB473_118
; %bb.117:
	s_and_b32 s38, s48, 0xff
	s_cmp_eq_u32 s38, 0
	s_cselect_b64 vcc, -1, 0
	s_bitcmp1_b32 s48, 0
	s_mov_b32 s39, 0
	s_cselect_b64 s[40:41], -1, 0
	s_add_i32 s38, s47, 64
	s_lshl_b64 s[38:39], s[38:39], 4
	v_cndmask_b32_e32 v27, 0, v62, vcc
	s_add_u32 s38, s44, s38
	v_add_u32_e32 v26, v27, v26
	v_and_b32_e32 v27, 1, v48
	s_addc_u32 s39, s45, s39
	v_mov_b32_e32 v29, 0
	v_cndmask_b32_e64 v27, v27, 1, s[40:41]
	v_mov_b32_e32 v28, 2
	v_pk_mov_b32 v[30:31], s[38:39], s[38:39] op_sel:[0,1]
	;;#ASMSTART
	global_store_dwordx4 v[30:31], v[26:29] off	
s_waitcnt vmcnt(0)
	;;#ASMEND
.LBB473_118:
	s_or_b64 exec, exec, s[30:31]
	s_and_b64 exec, exec, s[0:1]
	s_cbranch_execz .LBB473_120
; %bb.119:
	v_mov_b32_e32 v26, 0
	ds_write_b32 v26, v62 offset:24
	ds_write_b8 v26, v48 offset:28
.LBB473_120:
	s_or_b64 exec, exec, s[36:37]
	v_mov_b32_e32 v28, 0
	s_waitcnt lgkmcnt(0)
	s_barrier
	ds_read_b32 v26, v28 offset:24
	v_cndmask_b32_e64 v27, v47, v45, s[28:29]
	v_cmp_eq_u16_sdwa vcc, v27, v28 src0_sel:BYTE_0 src1_sel:DWORD
	v_cndmask_b32_e64 v29, v46, v44, s[28:29]
	s_waitcnt lgkmcnt(0)
	v_cndmask_b32_e32 v27, 0, v26, vcc
	v_add_u32_e32 v27, v27, v29
	v_and_b32_e32 v29, 0xff, v41
	v_cndmask_b32_e64 v26, v27, v26, s[0:1]
	v_cmp_eq_u64_e32 vcc, 0, v[28:29]
	v_cndmask_b32_e32 v27, 0, v26, vcc
	v_add_u32_e32 v27, v27, v40
	v_cndmask_b32_e64 v28, 0, v27, s[4:5]
	v_add_u32_e32 v44, v28, v8
	v_cndmask_b32_e64 v28, 0, v44, s[6:7]
	;; [unrolled: 2-line block ×12, first 2 shown]
	v_add_u32_e32 v51, v28, v24
	s_branch .LBB473_147
.LBB473_121:
	s_or_b64 exec, exec, s[30:31]
                                        ; implicit-def: $vgpr14
	s_and_saveexec_b64 s[30:31], s[4:5]
	s_cbranch_execz .LBB473_37
.LBB473_122:
	v_add_co_u32_e32 v14, vcc, v1, v12
	v_addc_co_u32_e32 v15, vcc, 0, v48, vcc
	flat_load_dword v14, v[14:15] offset:1024
	s_or_b64 exec, exec, s[30:31]
                                        ; implicit-def: $vgpr15
	s_and_saveexec_b64 s[4:5], s[6:7]
	s_cbranch_execnz .LBB473_38
.LBB473_123:
	s_or_b64 exec, exec, s[4:5]
                                        ; implicit-def: $vgpr16
	s_and_saveexec_b64 s[4:5], s[8:9]
	s_cbranch_execz .LBB473_39
.LBB473_124:
	v_add_co_u32_e32 v16, vcc, v1, v12
	v_addc_co_u32_e32 v17, vcc, 0, v48, vcc
	flat_load_dword v16, v[16:17] offset:3072
	s_or_b64 exec, exec, s[4:5]
                                        ; implicit-def: $vgpr17
	s_and_saveexec_b64 s[4:5], s[10:11]
	s_cbranch_execnz .LBB473_40
.LBB473_125:
	s_or_b64 exec, exec, s[4:5]
                                        ; implicit-def: $vgpr2
	s_and_saveexec_b64 s[4:5], s[12:13]
	s_cbranch_execz .LBB473_41
.LBB473_126:
	v_lshlrev_b32_e32 v2, 2, v3
	v_add_co_u32_e32 v2, vcc, v1, v2
	v_addc_co_u32_e32 v3, vcc, 0, v48, vcc
	flat_load_dword v2, v[2:3]
	s_or_b64 exec, exec, s[4:5]
                                        ; implicit-def: $vgpr3
	s_and_saveexec_b64 s[4:5], s[14:15]
	s_cbranch_execnz .LBB473_42
.LBB473_127:
	s_or_b64 exec, exec, s[4:5]
                                        ; implicit-def: $vgpr4
	s_and_saveexec_b64 s[4:5], s[16:17]
	s_cbranch_execz .LBB473_43
.LBB473_128:
	v_lshlrev_b32_e32 v4, 2, v5
	v_add_co_u32_e32 v4, vcc, v1, v4
	v_addc_co_u32_e32 v5, vcc, 0, v48, vcc
	flat_load_dword v4, v[4:5]
	s_or_b64 exec, exec, s[4:5]
                                        ; implicit-def: $vgpr5
	s_and_saveexec_b64 s[4:5], s[18:19]
	s_cbranch_execnz .LBB473_44
.LBB473_129:
	s_or_b64 exec, exec, s[4:5]
                                        ; implicit-def: $vgpr6
	s_and_saveexec_b64 s[4:5], s[20:21]
	s_cbranch_execz .LBB473_45
.LBB473_130:
	v_lshlrev_b32_e32 v6, 2, v7
	v_add_co_u32_e32 v6, vcc, v1, v6
	v_addc_co_u32_e32 v7, vcc, 0, v48, vcc
	flat_load_dword v6, v[6:7]
	s_or_b64 exec, exec, s[4:5]
                                        ; implicit-def: $vgpr7
	s_and_saveexec_b64 s[4:5], s[22:23]
	s_cbranch_execnz .LBB473_46
.LBB473_131:
	s_or_b64 exec, exec, s[4:5]
                                        ; implicit-def: $vgpr8
	s_and_saveexec_b64 s[4:5], s[24:25]
	s_cbranch_execz .LBB473_47
.LBB473_132:
	v_lshlrev_b32_e32 v8, 2, v9
	v_add_co_u32_e32 v8, vcc, v1, v8
	v_addc_co_u32_e32 v9, vcc, 0, v48, vcc
	flat_load_dword v8, v[8:9]
	s_or_b64 exec, exec, s[4:5]
                                        ; implicit-def: $vgpr9
	s_and_saveexec_b64 s[4:5], s[26:27]
	s_cbranch_execz .LBB473_49
	s_branch .LBB473_48
.LBB473_133:
                                        ; implicit-def: $vgpr51
                                        ; implicit-def: $vgpr49
                                        ; implicit-def: $vgpr47
                                        ; implicit-def: $vgpr45
                                        ; implicit-def: $vgpr34_vgpr35_vgpr36_vgpr37
                                        ; implicit-def: $vgpr30_vgpr31_vgpr32_vgpr33
                                        ; implicit-def: $vgpr26_vgpr27_vgpr28_vgpr29
	s_cbranch_execz .LBB473_147
; %bb.134:
	s_cmp_lg_u64 s[52:53], 0
	s_cselect_b32 s5, s51, 0
	s_cselect_b32 s4, s50, 0
	s_mov_b32 s26, 0
	s_cmp_eq_u64 s[4:5], 0
	v_mov_b32_e32 v32, s54
	s_cbranch_scc1 .LBB473_136
; %bb.135:
	v_mov_b32_e32 v26, 0
	global_load_dword v32, v26, s[4:5]
.LBB473_136:
	s_mov_b32 s27, 1
	v_cmp_gt_u64_e32 vcc, s[26:27], v[8:9]
	v_cndmask_b32_e32 v27, 0, v40, vcc
	v_add_u32_e32 v27, v27, v8
	v_cmp_gt_u64_e64 s[4:5], s[26:27], v[6:7]
	v_cndmask_b32_e64 v27, 0, v27, s[4:5]
	v_add_u32_e32 v27, v27, v6
	v_cmp_gt_u64_e64 s[6:7], s[26:27], v[4:5]
	v_cndmask_b32_e64 v27, 0, v27, s[6:7]
	;; [unrolled: 3-line block ×11, first 2 shown]
	v_mov_b32_e32 v26, 0
	v_add_u32_e32 v27, v27, v24
	v_cmp_gt_u64_e64 s[26:27], s[26:27], v[42:43]
	v_or3_b32 v7, v23, v15, v7
	v_cndmask_b32_e64 v27, 0, v27, s[26:27]
	v_or3_b32 v9, v25, v17, v9
	v_and_b32_e32 v35, 1, v7
	v_mov_b32_e32 v34, v26
	v_add_u32_e32 v33, v27, v42
	v_and_b32_e32 v27, 1, v43
	v_or3_b32 v3, v19, v11, v3
	v_and_b32_e32 v31, 1, v9
	v_mov_b32_e32 v30, v26
	v_cmp_ne_u64_e64 s[28:29], 0, v[34:35]
	v_cmp_eq_u32_e64 s[26:27], 1, v27
	v_or3_b32 v5, v21, v13, v5
	v_and_b32_e32 v27, 1, v3
	v_cndmask_b32_e64 v3, 0, 1, s[28:29]
	v_cmp_ne_u64_e64 s[28:29], 0, v[30:31]
	v_and_b32_e32 v29, 1, v5
	v_mov_b32_e32 v28, v26
	v_cndmask_b32_e64 v5, 0, 1, s[28:29]
	v_lshlrev_b16_e32 v3, 2, v3
	v_lshlrev_b16_e32 v5, 3, v5
	v_cmp_ne_u64_e64 s[28:29], 0, v[28:29]
	v_or_b32_e32 v3, v5, v3
	v_cndmask_b32_e64 v5, 0, 1, s[28:29]
	v_cmp_ne_u64_e64 s[28:29], 0, v[26:27]
	v_lshlrev_b16_e32 v5, 1, v5
	v_cndmask_b32_e64 v7, 0, 1, s[28:29]
	v_or_b32_e32 v5, v7, v5
	v_and_b32_e32 v5, 3, v5
	v_or_b32_e32 v3, v5, v3
	v_and_b32_e32 v3, 15, v3
	v_cmp_ne_u16_e64 s[28:29], 0, v3
	s_or_b64 s[26:27], s[26:27], s[28:29]
	v_cndmask_b32_e64 v5, v41, 1, s[26:27]
	v_and_b32_e32 v7, 0xff, v5
	v_mov_b32_dpp v11, v33 row_shr:1 row_mask:0xf bank_mask:0xf
	v_cmp_eq_u16_e64 s[26:27], 0, v7
	v_mov_b32_dpp v13, v7 row_shr:1 row_mask:0xf bank_mask:0xf
	v_and_b32_e32 v15, 1, v5
	v_mbcnt_hi_u32_b32 v3, -1, v54
	v_cndmask_b32_e64 v11, 0, v11, s[26:27]
	v_and_b32_e32 v13, 1, v13
	v_cmp_eq_u32_e64 s[26:27], 1, v15
	v_and_b32_e32 v9, 15, v3
	v_cndmask_b32_e64 v13, v13, 1, s[26:27]
	v_and_b32_e32 v15, 0xffff, v13
	v_cmp_eq_u32_e64 s[26:27], 0, v9
	v_cndmask_b32_e64 v5, v13, v5, s[26:27]
	v_cndmask_b32_e64 v7, v15, v7, s[26:27]
	v_and_b32_e32 v17, 1, v5
	v_cndmask_b32_e64 v11, v11, 0, s[26:27]
	v_mov_b32_dpp v15, v7 row_shr:2 row_mask:0xf bank_mask:0xf
	v_and_b32_e32 v15, 1, v15
	v_cmp_eq_u32_e64 s[26:27], 1, v17
	v_cndmask_b32_e64 v15, v15, 1, s[26:27]
	v_and_b32_e32 v17, 0xffff, v15
	v_cmp_lt_u32_e64 s[26:27], 1, v9
	v_add_u32_e32 v11, v11, v33
	v_cmp_eq_u16_sdwa s[28:29], v5, v26 src0_sel:BYTE_0 src1_sel:DWORD
	v_cndmask_b32_e64 v5, v5, v15, s[26:27]
	v_cndmask_b32_e64 v7, v7, v17, s[26:27]
	v_mov_b32_dpp v13, v11 row_shr:2 row_mask:0xf bank_mask:0xf
	s_and_b64 s[26:27], s[26:27], s[28:29]
	v_mov_b32_dpp v15, v7 row_shr:4 row_mask:0xf bank_mask:0xf
	v_and_b32_e32 v17, 1, v5
	v_cndmask_b32_e64 v13, 0, v13, s[26:27]
	v_and_b32_e32 v15, 1, v15
	v_cmp_eq_u32_e64 s[26:27], 1, v17
	v_cndmask_b32_e64 v15, v15, 1, s[26:27]
	v_and_b32_e32 v17, 0xffff, v15
	v_cmp_lt_u32_e64 s[26:27], 3, v9
	v_add_u32_e32 v11, v13, v11
	v_cmp_eq_u16_sdwa s[28:29], v5, v26 src0_sel:BYTE_0 src1_sel:DWORD
	v_cndmask_b32_e64 v5, v5, v15, s[26:27]
	v_cndmask_b32_e64 v7, v7, v17, s[26:27]
	v_mov_b32_dpp v13, v11 row_shr:4 row_mask:0xf bank_mask:0xf
	s_and_b64 s[26:27], s[26:27], s[28:29]
	v_mov_b32_dpp v15, v7 row_shr:8 row_mask:0xf bank_mask:0xf
	v_and_b32_e32 v17, 1, v5
	v_cndmask_b32_e64 v13, 0, v13, s[26:27]
	v_and_b32_e32 v15, 1, v15
	v_cmp_eq_u32_e64 s[26:27], 1, v17
	v_cndmask_b32_e64 v15, v15, 1, s[26:27]
	v_add_u32_e32 v11, v13, v11
	v_cmp_eq_u16_sdwa s[28:29], v5, v26 src0_sel:BYTE_0 src1_sel:DWORD
	v_and_b32_e32 v17, 0xffff, v15
	v_cmp_lt_u32_e64 s[26:27], 7, v9
	v_mov_b32_dpp v13, v11 row_shr:8 row_mask:0xf bank_mask:0xf
	v_cndmask_b32_e64 v5, v5, v15, s[26:27]
	v_cndmask_b32_e64 v7, v7, v17, s[26:27]
	s_and_b64 s[26:27], s[26:27], s[28:29]
	v_cndmask_b32_e64 v9, 0, v13, s[26:27]
	v_add_u32_e32 v9, v9, v11
	v_mov_b32_dpp v13, v7 row_bcast:15 row_mask:0xf bank_mask:0xf
	v_cmp_eq_u16_sdwa s[26:27], v5, v26 src0_sel:BYTE_0 src1_sel:DWORD
	v_mov_b32_dpp v11, v9 row_bcast:15 row_mask:0xf bank_mask:0xf
	v_and_b32_e32 v19, 1, v5
	v_cndmask_b32_e64 v11, 0, v11, s[26:27]
	v_and_b32_e32 v13, 1, v13
	v_cmp_eq_u32_e64 s[26:27], 1, v19
	v_and_b32_e32 v17, 16, v3
	v_cndmask_b32_e64 v13, v13, 1, s[26:27]
	v_and_b32_e32 v19, 0xffff, v13
	v_cmp_eq_u32_e64 s[26:27], 0, v17
	v_cndmask_b32_e64 v5, v13, v5, s[26:27]
	v_cndmask_b32_e64 v7, v19, v7, s[26:27]
	v_bfe_i32 v15, v3, 4, 1
	v_and_b32_e32 v13, 1, v5
	v_mov_b32_dpp v7, v7 row_bcast:31 row_mask:0xf bank_mask:0xf
	v_and_b32_e32 v11, v15, v11
	v_and_b32_e32 v7, 1, v7
	v_cmp_eq_u32_e64 s[26:27], 1, v13
	v_add_u32_e32 v9, v11, v9
	v_cmp_eq_u16_sdwa s[28:29], v5, v26 src0_sel:BYTE_0 src1_sel:DWORD
	v_cndmask_b32_e64 v7, v7, 1, s[26:27]
	v_cmp_lt_u32_e64 s[26:27], 31, v3
	v_mov_b32_dpp v11, v9 row_bcast:31 row_mask:0xf bank_mask:0xf
	v_cndmask_b32_e64 v5, v5, v7, s[26:27]
	s_and_b64 s[26:27], s[26:27], s[28:29]
	v_cndmask_b32_e64 v7, 0, v11, s[26:27]
	v_add_u32_e32 v7, v7, v9
	v_cmp_eq_u32_e64 s[26:27], v53, v0
	s_and_saveexec_b64 s[28:29], s[26:27]
	s_cbranch_execz .LBB473_138
; %bb.137:
	v_lshlrev_b32_e32 v9, 3, v1
	ds_write_b32 v9, v7
	ds_write_b8 v9, v5 offset:4
.LBB473_138:
	s_or_b64 exec, exec, s[28:29]
	v_cmp_gt_u32_e64 s[26:27], 4, v0
	s_waitcnt lgkmcnt(0)
	s_barrier
	s_and_saveexec_b64 s[28:29], s[26:27]
	s_cbranch_execz .LBB473_142
; %bb.139:
	v_lshlrev_b32_e32 v9, 3, v0
	ds_read_b64 v[26:27], v9
	v_and_b32_e32 v11, 3, v3
	v_cmp_ne_u32_e64 s[26:27], 0, v11
	s_waitcnt lgkmcnt(0)
	v_mov_b32_dpp v13, v26 row_shr:1 row_mask:0xf bank_mask:0xf
	v_mov_b32_dpp v17, v27 row_shr:1 row_mask:0xf bank_mask:0xf
	v_mov_b32_e32 v15, v27
	s_and_saveexec_b64 s[30:31], s[26:27]
	s_cbranch_execz .LBB473_141
; %bb.140:
	v_and_b32_e32 v15, 1, v27
	v_and_b32_e32 v17, 1, v17
	v_cmp_eq_u32_e64 s[26:27], 1, v15
	v_mov_b32_e32 v15, 0
	v_cndmask_b32_e64 v17, v17, 1, s[26:27]
	v_cmp_eq_u16_sdwa s[26:27], v27, v15 src0_sel:BYTE_0 src1_sel:DWORD
	v_cndmask_b32_e64 v13, 0, v13, s[26:27]
	v_add_u32_e32 v26, v13, v26
	v_and_b32_e32 v13, 0xffff, v17
	s_movk_i32 s26, 0xff00
	v_and_or_b32 v15, v27, s26, v13
	v_mov_b32_e32 v27, v17
.LBB473_141:
	s_or_b64 exec, exec, s[30:31]
	v_mov_b32_dpp v15, v15 row_shr:2 row_mask:0xf bank_mask:0xf
	v_and_b32_e32 v17, 1, v27
	v_and_b32_e32 v15, 1, v15
	v_cmp_eq_u32_e64 s[26:27], 1, v17
	v_mov_b32_e32 v17, 0
	v_cndmask_b32_e64 v15, v15, 1, s[26:27]
	v_cmp_eq_u16_sdwa s[30:31], v27, v17 src0_sel:BYTE_0 src1_sel:DWORD
	v_cmp_lt_u32_e64 s[26:27], 1, v11
	v_mov_b32_dpp v13, v26 row_shr:2 row_mask:0xf bank_mask:0xf
	v_cndmask_b32_e64 v11, v27, v15, s[26:27]
	s_and_b64 s[26:27], s[26:27], s[30:31]
	v_cndmask_b32_e64 v13, 0, v13, s[26:27]
	v_add_u32_e32 v13, v13, v26
	ds_write_b32 v9, v13
	ds_write_b8 v9, v11 offset:4
.LBB473_142:
	s_or_b64 exec, exec, s[28:29]
	v_cmp_lt_u32_e64 s[26:27], 63, v0
	s_waitcnt vmcnt(0)
	v_mov_b32_e32 v9, v32
	s_waitcnt lgkmcnt(0)
	s_barrier
	s_and_saveexec_b64 s[28:29], s[26:27]
	s_cbranch_execz .LBB473_144
; %bb.143:
	v_lshl_add_u32 v1, v1, 3, -8
	ds_read_u8 v9, v1 offset:4
	ds_read_b32 v1, v1
	s_waitcnt lgkmcnt(1)
	v_cmp_eq_u16_e64 s[26:27], 0, v9
	v_cndmask_b32_e64 v9, 0, v32, s[26:27]
	s_waitcnt lgkmcnt(0)
	v_add_u32_e32 v9, v9, v1
.LBB473_144:
	s_or_b64 exec, exec, s[28:29]
	v_mov_b32_e32 v28, 0
	v_cmp_eq_u16_sdwa s[26:27], v5, v28 src0_sel:BYTE_0 src1_sel:DWORD
	v_cndmask_b32_e64 v1, 0, v9, s[26:27]
	v_add_u32_e32 v1, v1, v7
	v_add_u32_e32 v5, -1, v3
	v_and_b32_e32 v7, 64, v3
	v_cmp_lt_i32_e64 s[26:27], v5, v7
	v_cndmask_b32_e64 v5, v5, v3, s[26:27]
	v_lshlrev_b32_e32 v5, 2, v5
	ds_bpermute_b32 v1, v5, v1
	v_cmp_eq_u32_e64 s[26:27], 0, v3
	v_and_b32_e32 v29, 0xff, v41
	s_waitcnt lgkmcnt(0)
	v_cndmask_b32_e64 v26, v1, v9, s[26:27]
	v_cndmask_b32_e64 v1, v26, v32, s[0:1]
	v_cmp_eq_u64_e64 s[26:27], 0, v[28:29]
	v_cndmask_b32_e64 v1, 0, v1, s[26:27]
	v_add_u32_e32 v27, v1, v40
	v_cndmask_b32_e32 v1, 0, v27, vcc
	v_add_u32_e32 v44, v1, v8
	v_cndmask_b32_e64 v1, 0, v44, s[4:5]
	v_add_u32_e32 v45, v1, v6
	v_cndmask_b32_e64 v1, 0, v45, s[6:7]
	;; [unrolled: 2-line block ×11, first 2 shown]
	s_and_saveexec_b64 s[4:5], s[0:1]
	s_cbranch_execz .LBB473_146
; %bb.145:
	ds_read_u8 v3, v28 offset:28
	ds_read_b32 v2, v28 offset:24
	s_add_u32 s0, s44, 0x400
	s_addc_u32 s1, s45, 0
	v_mov_b32_e32 v5, v28
	s_waitcnt lgkmcnt(1)
	v_cmp_eq_u16_e32 vcc, 0, v3
	v_cndmask_b32_e32 v4, 0, v32, vcc
	s_waitcnt lgkmcnt(0)
	v_add_u32_e32 v2, v4, v2
	v_and_b32_e32 v3, 0xffff, v3
	v_mov_b32_e32 v4, 2
	v_pk_mov_b32 v[6:7], s[0:1], s[0:1] op_sel:[0,1]
	;;#ASMSTART
	global_store_dwordx4 v[6:7], v[2:5] off	
s_waitcnt vmcnt(0)
	;;#ASMEND
	v_mov_b32_e32 v26, v32
.LBB473_146:
	s_or_b64 exec, exec, s[4:5]
	v_add_u32_e32 v51, v1, v24
.LBB473_147:
	s_add_u32 s0, s42, s34
	s_addc_u32 s1, s43, s35
	v_mov_b32_e32 v1, s1
	v_add_co_u32_e32 v18, vcc, s0, v38
	v_addc_co_u32_e32 v19, vcc, v1, v39, vcc
	v_mul_u32_u24_e32 v1, 14, v0
	s_and_b64 vcc, exec, s[2:3]
	v_lshlrev_b32_e32 v2, 2, v1
	s_cbranch_vccz .LBB473_175
; %bb.148:
	s_movk_i32 s0, 0xffcc
	v_mad_i32_i24 v3, v0, s0, v2
	s_barrier
	ds_write2_b64 v2, v[26:27], v[44:45] offset1:1
	ds_write2_b64 v2, v[30:31], v[46:47] offset0:2 offset1:3
	ds_write2_b64 v2, v[34:35], v[48:49] offset0:4 offset1:5
	ds_write_b64 v2, v[50:51] offset:48
	s_waitcnt lgkmcnt(0)
	s_barrier
	ds_read2st64_b32 v[16:17], v3 offset0:4 offset1:8
	ds_read2st64_b32 v[14:15], v3 offset0:12 offset1:16
	;; [unrolled: 1-line block ×6, first 2 shown]
	ds_read_b32 v3, v3 offset:13312
	v_add_co_u32_e32 v6, vcc, v18, v52
	s_add_i32 s33, s33, s46
	v_addc_co_u32_e32 v7, vcc, 0, v19, vcc
	v_mov_b32_e32 v1, 0
	v_cmp_gt_u32_e32 vcc, s33, v0
	s_and_saveexec_b64 s[0:1], vcc
	s_cbranch_execz .LBB473_150
; %bb.149:
	v_mul_i32_i24_e32 v20, 0xffffffcc, v0
	v_add_u32_e32 v20, v2, v20
	ds_read_b32 v20, v20
	s_waitcnt lgkmcnt(0)
	flat_store_dword v[6:7], v20
.LBB473_150:
	s_or_b64 exec, exec, s[0:1]
	v_or_b32_e32 v20, 0x100, v0
	v_cmp_gt_u32_e32 vcc, s33, v20
	s_and_saveexec_b64 s[0:1], vcc
	s_cbranch_execz .LBB473_152
; %bb.151:
	s_waitcnt lgkmcnt(0)
	flat_store_dword v[6:7], v16 offset:1024
.LBB473_152:
	s_or_b64 exec, exec, s[0:1]
	s_waitcnt lgkmcnt(0)
	v_or_b32_e32 v16, 0x200, v0
	v_cmp_gt_u32_e32 vcc, s33, v16
	s_and_saveexec_b64 s[0:1], vcc
	s_cbranch_execz .LBB473_154
; %bb.153:
	flat_store_dword v[6:7], v17 offset:2048
.LBB473_154:
	s_or_b64 exec, exec, s[0:1]
	v_or_b32_e32 v16, 0x300, v0
	v_cmp_gt_u32_e32 vcc, s33, v16
	s_and_saveexec_b64 s[0:1], vcc
	s_cbranch_execz .LBB473_156
; %bb.155:
	flat_store_dword v[6:7], v14 offset:3072
.LBB473_156:
	s_or_b64 exec, exec, s[0:1]
	v_or_b32_e32 v14, 0x400, v0
	v_cmp_gt_u32_e32 vcc, s33, v14
	s_and_saveexec_b64 s[0:1], vcc
	s_cbranch_execz .LBB473_158
; %bb.157:
	v_add_co_u32_e32 v16, vcc, 0x1000, v6
	v_addc_co_u32_e32 v17, vcc, 0, v7, vcc
	flat_store_dword v[16:17], v15
.LBB473_158:
	s_or_b64 exec, exec, s[0:1]
	v_or_b32_e32 v14, 0x500, v0
	v_cmp_gt_u32_e32 vcc, s33, v14
	s_and_saveexec_b64 s[0:1], vcc
	s_cbranch_execz .LBB473_160
; %bb.159:
	v_add_co_u32_e32 v14, vcc, 0x1000, v6
	v_addc_co_u32_e32 v15, vcc, 0, v7, vcc
	flat_store_dword v[14:15], v12 offset:1024
.LBB473_160:
	s_or_b64 exec, exec, s[0:1]
	v_or_b32_e32 v12, 0x600, v0
	v_cmp_gt_u32_e32 vcc, s33, v12
	s_and_saveexec_b64 s[0:1], vcc
	s_cbranch_execz .LBB473_162
; %bb.161:
	v_add_co_u32_e32 v14, vcc, 0x1000, v6
	v_addc_co_u32_e32 v15, vcc, 0, v7, vcc
	flat_store_dword v[14:15], v13 offset:2048
.LBB473_162:
	;; [unrolled: 10-line block ×3, first 2 shown]
	s_or_b64 exec, exec, s[0:1]
	v_or_b32_e32 v10, 0x800, v0
	v_cmp_gt_u32_e32 vcc, s33, v10
	s_and_saveexec_b64 s[0:1], vcc
	s_cbranch_execz .LBB473_166
; %bb.165:
	v_add_co_u32_e32 v12, vcc, 0x2000, v6
	v_addc_co_u32_e32 v13, vcc, 0, v7, vcc
	flat_store_dword v[12:13], v11
.LBB473_166:
	s_or_b64 exec, exec, s[0:1]
	v_or_b32_e32 v10, 0x900, v0
	v_cmp_gt_u32_e32 vcc, s33, v10
	s_and_saveexec_b64 s[0:1], vcc
	s_cbranch_execz .LBB473_168
; %bb.167:
	v_add_co_u32_e32 v10, vcc, 0x2000, v6
	v_addc_co_u32_e32 v11, vcc, 0, v7, vcc
	flat_store_dword v[10:11], v8 offset:1024
.LBB473_168:
	s_or_b64 exec, exec, s[0:1]
	v_or_b32_e32 v8, 0xa00, v0
	v_cmp_gt_u32_e32 vcc, s33, v8
	s_and_saveexec_b64 s[0:1], vcc
	s_cbranch_execz .LBB473_170
; %bb.169:
	v_add_co_u32_e32 v10, vcc, 0x2000, v6
	v_addc_co_u32_e32 v11, vcc, 0, v7, vcc
	flat_store_dword v[10:11], v9 offset:2048
.LBB473_170:
	;; [unrolled: 10-line block ×3, first 2 shown]
	s_or_b64 exec, exec, s[0:1]
	v_or_b32_e32 v4, 0xc00, v0
	v_cmp_gt_u32_e32 vcc, s33, v4
	s_and_saveexec_b64 s[0:1], vcc
	s_cbranch_execz .LBB473_174
; %bb.173:
	v_add_co_u32_e32 v6, vcc, 0x3000, v6
	v_addc_co_u32_e32 v7, vcc, 0, v7, vcc
	flat_store_dword v[6:7], v5
.LBB473_174:
	s_or_b64 exec, exec, s[0:1]
	v_or_b32_e32 v4, 0xd00, v0
	v_cmp_gt_u32_e64 s[0:1], s33, v4
	s_branch .LBB473_177
.LBB473_175:
	s_mov_b64 s[0:1], 0
                                        ; implicit-def: $vgpr3
	s_cbranch_execz .LBB473_177
; %bb.176:
	s_movk_i32 s2, 0xffcc
	s_waitcnt lgkmcnt(0)
	s_barrier
	ds_write2_b64 v2, v[26:27], v[44:45] offset1:1
	ds_write2_b64 v2, v[30:31], v[46:47] offset0:2 offset1:3
	ds_write2_b64 v2, v[34:35], v[48:49] offset0:4 offset1:5
	ds_write_b64 v2, v[50:51] offset:48
	v_mad_i32_i24 v2, v0, s2, v2
	v_add_co_u32_e32 v16, vcc, v18, v52
	s_waitcnt lgkmcnt(0)
	s_barrier
	ds_read2st64_b32 v[4:5], v2 offset1:4
	ds_read2st64_b32 v[6:7], v2 offset0:8 offset1:12
	ds_read2st64_b32 v[8:9], v2 offset0:16 offset1:20
	;; [unrolled: 1-line block ×6, first 2 shown]
	v_addc_co_u32_e32 v17, vcc, 0, v19, vcc
	s_movk_i32 s2, 0x1000
	s_waitcnt lgkmcnt(0)
	flat_store_dword v[16:17], v4
	flat_store_dword v[16:17], v5 offset:1024
	flat_store_dword v[16:17], v6 offset:2048
	;; [unrolled: 1-line block ×3, first 2 shown]
	v_add_co_u32_e32 v4, vcc, s2, v16
	v_addc_co_u32_e32 v5, vcc, 0, v17, vcc
	flat_store_dword v[4:5], v8
	flat_store_dword v[4:5], v9 offset:1024
	flat_store_dword v[4:5], v10 offset:2048
	;; [unrolled: 1-line block ×3, first 2 shown]
	v_add_co_u32_e32 v4, vcc, 0x2000, v16
	v_addc_co_u32_e32 v5, vcc, 0, v17, vcc
	flat_store_dword v[4:5], v12
	flat_store_dword v[4:5], v13 offset:1024
	flat_store_dword v[4:5], v14 offset:2048
	;; [unrolled: 1-line block ×3, first 2 shown]
	v_add_co_u32_e32 v4, vcc, 0x3000, v16
	v_mov_b32_e32 v1, 0
	v_addc_co_u32_e32 v5, vcc, 0, v17, vcc
	s_or_b64 s[0:1], s[0:1], exec
	flat_store_dword v[4:5], v2
.LBB473_177:
	s_and_saveexec_b64 s[2:3], s[0:1]
	s_cbranch_execz .LBB473_179
; %bb.178:
	v_lshlrev_b64 v[0:1], 2, v[0:1]
	v_add_co_u32_e32 v0, vcc, v18, v0
	v_addc_co_u32_e32 v1, vcc, v19, v1, vcc
	v_add_co_u32_e32 v0, vcc, 0x3000, v0
	v_addc_co_u32_e32 v1, vcc, 0, v1, vcc
	flat_store_dword v[0:1], v3 offset:1024
	s_endpgm
.LBB473_179:
	s_endpgm
	.section	.rodata,"a",@progbits
	.p2align	6, 0x0
	.amdhsa_kernel _ZN7rocprim17ROCPRIM_400000_NS6detail17trampoline_kernelINS0_14default_configENS1_27scan_by_key_config_selectorIiiEEZZNS1_16scan_by_key_implILNS1_25lookback_scan_determinismE0ELb1ES3_N6thrust23THRUST_200600_302600_NS6detail15normal_iteratorINS9_10device_ptrIiEEEESE_SE_iNS9_4plusIvEENS9_8equal_toIvEEiEE10hipError_tPvRmT2_T3_T4_T5_mT6_T7_P12ihipStream_tbENKUlT_T0_E_clISt17integral_constantIbLb1EESZ_EEDaSU_SV_EUlSU_E_NS1_11comp_targetILNS1_3genE4ELNS1_11target_archE910ELNS1_3gpuE8ELNS1_3repE0EEENS1_30default_config_static_selectorELNS0_4arch9wavefront6targetE1EEEvT1_
		.amdhsa_group_segment_fixed_size 16384
		.amdhsa_private_segment_fixed_size 0
		.amdhsa_kernarg_size 112
		.amdhsa_user_sgpr_count 6
		.amdhsa_user_sgpr_private_segment_buffer 1
		.amdhsa_user_sgpr_dispatch_ptr 0
		.amdhsa_user_sgpr_queue_ptr 0
		.amdhsa_user_sgpr_kernarg_segment_ptr 1
		.amdhsa_user_sgpr_dispatch_id 0
		.amdhsa_user_sgpr_flat_scratch_init 0
		.amdhsa_user_sgpr_kernarg_preload_length 0
		.amdhsa_user_sgpr_kernarg_preload_offset 0
		.amdhsa_user_sgpr_private_segment_size 0
		.amdhsa_uses_dynamic_stack 0
		.amdhsa_system_sgpr_private_segment_wavefront_offset 0
		.amdhsa_system_sgpr_workgroup_id_x 1
		.amdhsa_system_sgpr_workgroup_id_y 0
		.amdhsa_system_sgpr_workgroup_id_z 0
		.amdhsa_system_sgpr_workgroup_info 0
		.amdhsa_system_vgpr_workitem_id 0
		.amdhsa_next_free_vgpr 67
		.amdhsa_next_free_sgpr 60
		.amdhsa_accum_offset 68
		.amdhsa_reserve_vcc 1
		.amdhsa_reserve_flat_scratch 0
		.amdhsa_float_round_mode_32 0
		.amdhsa_float_round_mode_16_64 0
		.amdhsa_float_denorm_mode_32 3
		.amdhsa_float_denorm_mode_16_64 3
		.amdhsa_dx10_clamp 1
		.amdhsa_ieee_mode 1
		.amdhsa_fp16_overflow 0
		.amdhsa_tg_split 0
		.amdhsa_exception_fp_ieee_invalid_op 0
		.amdhsa_exception_fp_denorm_src 0
		.amdhsa_exception_fp_ieee_div_zero 0
		.amdhsa_exception_fp_ieee_overflow 0
		.amdhsa_exception_fp_ieee_underflow 0
		.amdhsa_exception_fp_ieee_inexact 0
		.amdhsa_exception_int_div_zero 0
	.end_amdhsa_kernel
	.section	.text._ZN7rocprim17ROCPRIM_400000_NS6detail17trampoline_kernelINS0_14default_configENS1_27scan_by_key_config_selectorIiiEEZZNS1_16scan_by_key_implILNS1_25lookback_scan_determinismE0ELb1ES3_N6thrust23THRUST_200600_302600_NS6detail15normal_iteratorINS9_10device_ptrIiEEEESE_SE_iNS9_4plusIvEENS9_8equal_toIvEEiEE10hipError_tPvRmT2_T3_T4_T5_mT6_T7_P12ihipStream_tbENKUlT_T0_E_clISt17integral_constantIbLb1EESZ_EEDaSU_SV_EUlSU_E_NS1_11comp_targetILNS1_3genE4ELNS1_11target_archE910ELNS1_3gpuE8ELNS1_3repE0EEENS1_30default_config_static_selectorELNS0_4arch9wavefront6targetE1EEEvT1_,"axG",@progbits,_ZN7rocprim17ROCPRIM_400000_NS6detail17trampoline_kernelINS0_14default_configENS1_27scan_by_key_config_selectorIiiEEZZNS1_16scan_by_key_implILNS1_25lookback_scan_determinismE0ELb1ES3_N6thrust23THRUST_200600_302600_NS6detail15normal_iteratorINS9_10device_ptrIiEEEESE_SE_iNS9_4plusIvEENS9_8equal_toIvEEiEE10hipError_tPvRmT2_T3_T4_T5_mT6_T7_P12ihipStream_tbENKUlT_T0_E_clISt17integral_constantIbLb1EESZ_EEDaSU_SV_EUlSU_E_NS1_11comp_targetILNS1_3genE4ELNS1_11target_archE910ELNS1_3gpuE8ELNS1_3repE0EEENS1_30default_config_static_selectorELNS0_4arch9wavefront6targetE1EEEvT1_,comdat
.Lfunc_end473:
	.size	_ZN7rocprim17ROCPRIM_400000_NS6detail17trampoline_kernelINS0_14default_configENS1_27scan_by_key_config_selectorIiiEEZZNS1_16scan_by_key_implILNS1_25lookback_scan_determinismE0ELb1ES3_N6thrust23THRUST_200600_302600_NS6detail15normal_iteratorINS9_10device_ptrIiEEEESE_SE_iNS9_4plusIvEENS9_8equal_toIvEEiEE10hipError_tPvRmT2_T3_T4_T5_mT6_T7_P12ihipStream_tbENKUlT_T0_E_clISt17integral_constantIbLb1EESZ_EEDaSU_SV_EUlSU_E_NS1_11comp_targetILNS1_3genE4ELNS1_11target_archE910ELNS1_3gpuE8ELNS1_3repE0EEENS1_30default_config_static_selectorELNS0_4arch9wavefront6targetE1EEEvT1_, .Lfunc_end473-_ZN7rocprim17ROCPRIM_400000_NS6detail17trampoline_kernelINS0_14default_configENS1_27scan_by_key_config_selectorIiiEEZZNS1_16scan_by_key_implILNS1_25lookback_scan_determinismE0ELb1ES3_N6thrust23THRUST_200600_302600_NS6detail15normal_iteratorINS9_10device_ptrIiEEEESE_SE_iNS9_4plusIvEENS9_8equal_toIvEEiEE10hipError_tPvRmT2_T3_T4_T5_mT6_T7_P12ihipStream_tbENKUlT_T0_E_clISt17integral_constantIbLb1EESZ_EEDaSU_SV_EUlSU_E_NS1_11comp_targetILNS1_3genE4ELNS1_11target_archE910ELNS1_3gpuE8ELNS1_3repE0EEENS1_30default_config_static_selectorELNS0_4arch9wavefront6targetE1EEEvT1_
                                        ; -- End function
	.section	.AMDGPU.csdata,"",@progbits
; Kernel info:
; codeLenInByte = 11288
; NumSgprs: 64
; NumVgprs: 67
; NumAgprs: 0
; TotalNumVgprs: 67
; ScratchSize: 0
; MemoryBound: 0
; FloatMode: 240
; IeeeMode: 1
; LDSByteSize: 16384 bytes/workgroup (compile time only)
; SGPRBlocks: 7
; VGPRBlocks: 8
; NumSGPRsForWavesPerEU: 64
; NumVGPRsForWavesPerEU: 67
; AccumOffset: 68
; Occupancy: 4
; WaveLimiterHint : 1
; COMPUTE_PGM_RSRC2:SCRATCH_EN: 0
; COMPUTE_PGM_RSRC2:USER_SGPR: 6
; COMPUTE_PGM_RSRC2:TRAP_HANDLER: 0
; COMPUTE_PGM_RSRC2:TGID_X_EN: 1
; COMPUTE_PGM_RSRC2:TGID_Y_EN: 0
; COMPUTE_PGM_RSRC2:TGID_Z_EN: 0
; COMPUTE_PGM_RSRC2:TIDIG_COMP_CNT: 0
; COMPUTE_PGM_RSRC3_GFX90A:ACCUM_OFFSET: 16
; COMPUTE_PGM_RSRC3_GFX90A:TG_SPLIT: 0
	.section	.text._ZN7rocprim17ROCPRIM_400000_NS6detail17trampoline_kernelINS0_14default_configENS1_27scan_by_key_config_selectorIiiEEZZNS1_16scan_by_key_implILNS1_25lookback_scan_determinismE0ELb1ES3_N6thrust23THRUST_200600_302600_NS6detail15normal_iteratorINS9_10device_ptrIiEEEESE_SE_iNS9_4plusIvEENS9_8equal_toIvEEiEE10hipError_tPvRmT2_T3_T4_T5_mT6_T7_P12ihipStream_tbENKUlT_T0_E_clISt17integral_constantIbLb1EESZ_EEDaSU_SV_EUlSU_E_NS1_11comp_targetILNS1_3genE3ELNS1_11target_archE908ELNS1_3gpuE7ELNS1_3repE0EEENS1_30default_config_static_selectorELNS0_4arch9wavefront6targetE1EEEvT1_,"axG",@progbits,_ZN7rocprim17ROCPRIM_400000_NS6detail17trampoline_kernelINS0_14default_configENS1_27scan_by_key_config_selectorIiiEEZZNS1_16scan_by_key_implILNS1_25lookback_scan_determinismE0ELb1ES3_N6thrust23THRUST_200600_302600_NS6detail15normal_iteratorINS9_10device_ptrIiEEEESE_SE_iNS9_4plusIvEENS9_8equal_toIvEEiEE10hipError_tPvRmT2_T3_T4_T5_mT6_T7_P12ihipStream_tbENKUlT_T0_E_clISt17integral_constantIbLb1EESZ_EEDaSU_SV_EUlSU_E_NS1_11comp_targetILNS1_3genE3ELNS1_11target_archE908ELNS1_3gpuE7ELNS1_3repE0EEENS1_30default_config_static_selectorELNS0_4arch9wavefront6targetE1EEEvT1_,comdat
	.protected	_ZN7rocprim17ROCPRIM_400000_NS6detail17trampoline_kernelINS0_14default_configENS1_27scan_by_key_config_selectorIiiEEZZNS1_16scan_by_key_implILNS1_25lookback_scan_determinismE0ELb1ES3_N6thrust23THRUST_200600_302600_NS6detail15normal_iteratorINS9_10device_ptrIiEEEESE_SE_iNS9_4plusIvEENS9_8equal_toIvEEiEE10hipError_tPvRmT2_T3_T4_T5_mT6_T7_P12ihipStream_tbENKUlT_T0_E_clISt17integral_constantIbLb1EESZ_EEDaSU_SV_EUlSU_E_NS1_11comp_targetILNS1_3genE3ELNS1_11target_archE908ELNS1_3gpuE7ELNS1_3repE0EEENS1_30default_config_static_selectorELNS0_4arch9wavefront6targetE1EEEvT1_ ; -- Begin function _ZN7rocprim17ROCPRIM_400000_NS6detail17trampoline_kernelINS0_14default_configENS1_27scan_by_key_config_selectorIiiEEZZNS1_16scan_by_key_implILNS1_25lookback_scan_determinismE0ELb1ES3_N6thrust23THRUST_200600_302600_NS6detail15normal_iteratorINS9_10device_ptrIiEEEESE_SE_iNS9_4plusIvEENS9_8equal_toIvEEiEE10hipError_tPvRmT2_T3_T4_T5_mT6_T7_P12ihipStream_tbENKUlT_T0_E_clISt17integral_constantIbLb1EESZ_EEDaSU_SV_EUlSU_E_NS1_11comp_targetILNS1_3genE3ELNS1_11target_archE908ELNS1_3gpuE7ELNS1_3repE0EEENS1_30default_config_static_selectorELNS0_4arch9wavefront6targetE1EEEvT1_
	.globl	_ZN7rocprim17ROCPRIM_400000_NS6detail17trampoline_kernelINS0_14default_configENS1_27scan_by_key_config_selectorIiiEEZZNS1_16scan_by_key_implILNS1_25lookback_scan_determinismE0ELb1ES3_N6thrust23THRUST_200600_302600_NS6detail15normal_iteratorINS9_10device_ptrIiEEEESE_SE_iNS9_4plusIvEENS9_8equal_toIvEEiEE10hipError_tPvRmT2_T3_T4_T5_mT6_T7_P12ihipStream_tbENKUlT_T0_E_clISt17integral_constantIbLb1EESZ_EEDaSU_SV_EUlSU_E_NS1_11comp_targetILNS1_3genE3ELNS1_11target_archE908ELNS1_3gpuE7ELNS1_3repE0EEENS1_30default_config_static_selectorELNS0_4arch9wavefront6targetE1EEEvT1_
	.p2align	8
	.type	_ZN7rocprim17ROCPRIM_400000_NS6detail17trampoline_kernelINS0_14default_configENS1_27scan_by_key_config_selectorIiiEEZZNS1_16scan_by_key_implILNS1_25lookback_scan_determinismE0ELb1ES3_N6thrust23THRUST_200600_302600_NS6detail15normal_iteratorINS9_10device_ptrIiEEEESE_SE_iNS9_4plusIvEENS9_8equal_toIvEEiEE10hipError_tPvRmT2_T3_T4_T5_mT6_T7_P12ihipStream_tbENKUlT_T0_E_clISt17integral_constantIbLb1EESZ_EEDaSU_SV_EUlSU_E_NS1_11comp_targetILNS1_3genE3ELNS1_11target_archE908ELNS1_3gpuE7ELNS1_3repE0EEENS1_30default_config_static_selectorELNS0_4arch9wavefront6targetE1EEEvT1_,@function
_ZN7rocprim17ROCPRIM_400000_NS6detail17trampoline_kernelINS0_14default_configENS1_27scan_by_key_config_selectorIiiEEZZNS1_16scan_by_key_implILNS1_25lookback_scan_determinismE0ELb1ES3_N6thrust23THRUST_200600_302600_NS6detail15normal_iteratorINS9_10device_ptrIiEEEESE_SE_iNS9_4plusIvEENS9_8equal_toIvEEiEE10hipError_tPvRmT2_T3_T4_T5_mT6_T7_P12ihipStream_tbENKUlT_T0_E_clISt17integral_constantIbLb1EESZ_EEDaSU_SV_EUlSU_E_NS1_11comp_targetILNS1_3genE3ELNS1_11target_archE908ELNS1_3gpuE7ELNS1_3repE0EEENS1_30default_config_static_selectorELNS0_4arch9wavefront6targetE1EEEvT1_: ; @_ZN7rocprim17ROCPRIM_400000_NS6detail17trampoline_kernelINS0_14default_configENS1_27scan_by_key_config_selectorIiiEEZZNS1_16scan_by_key_implILNS1_25lookback_scan_determinismE0ELb1ES3_N6thrust23THRUST_200600_302600_NS6detail15normal_iteratorINS9_10device_ptrIiEEEESE_SE_iNS9_4plusIvEENS9_8equal_toIvEEiEE10hipError_tPvRmT2_T3_T4_T5_mT6_T7_P12ihipStream_tbENKUlT_T0_E_clISt17integral_constantIbLb1EESZ_EEDaSU_SV_EUlSU_E_NS1_11comp_targetILNS1_3genE3ELNS1_11target_archE908ELNS1_3gpuE7ELNS1_3repE0EEENS1_30default_config_static_selectorELNS0_4arch9wavefront6targetE1EEEvT1_
; %bb.0:
	.section	.rodata,"a",@progbits
	.p2align	6, 0x0
	.amdhsa_kernel _ZN7rocprim17ROCPRIM_400000_NS6detail17trampoline_kernelINS0_14default_configENS1_27scan_by_key_config_selectorIiiEEZZNS1_16scan_by_key_implILNS1_25lookback_scan_determinismE0ELb1ES3_N6thrust23THRUST_200600_302600_NS6detail15normal_iteratorINS9_10device_ptrIiEEEESE_SE_iNS9_4plusIvEENS9_8equal_toIvEEiEE10hipError_tPvRmT2_T3_T4_T5_mT6_T7_P12ihipStream_tbENKUlT_T0_E_clISt17integral_constantIbLb1EESZ_EEDaSU_SV_EUlSU_E_NS1_11comp_targetILNS1_3genE3ELNS1_11target_archE908ELNS1_3gpuE7ELNS1_3repE0EEENS1_30default_config_static_selectorELNS0_4arch9wavefront6targetE1EEEvT1_
		.amdhsa_group_segment_fixed_size 0
		.amdhsa_private_segment_fixed_size 0
		.amdhsa_kernarg_size 112
		.amdhsa_user_sgpr_count 6
		.amdhsa_user_sgpr_private_segment_buffer 1
		.amdhsa_user_sgpr_dispatch_ptr 0
		.amdhsa_user_sgpr_queue_ptr 0
		.amdhsa_user_sgpr_kernarg_segment_ptr 1
		.amdhsa_user_sgpr_dispatch_id 0
		.amdhsa_user_sgpr_flat_scratch_init 0
		.amdhsa_user_sgpr_kernarg_preload_length 0
		.amdhsa_user_sgpr_kernarg_preload_offset 0
		.amdhsa_user_sgpr_private_segment_size 0
		.amdhsa_uses_dynamic_stack 0
		.amdhsa_system_sgpr_private_segment_wavefront_offset 0
		.amdhsa_system_sgpr_workgroup_id_x 1
		.amdhsa_system_sgpr_workgroup_id_y 0
		.amdhsa_system_sgpr_workgroup_id_z 0
		.amdhsa_system_sgpr_workgroup_info 0
		.amdhsa_system_vgpr_workitem_id 0
		.amdhsa_next_free_vgpr 1
		.amdhsa_next_free_sgpr 0
		.amdhsa_accum_offset 4
		.amdhsa_reserve_vcc 0
		.amdhsa_reserve_flat_scratch 0
		.amdhsa_float_round_mode_32 0
		.amdhsa_float_round_mode_16_64 0
		.amdhsa_float_denorm_mode_32 3
		.amdhsa_float_denorm_mode_16_64 3
		.amdhsa_dx10_clamp 1
		.amdhsa_ieee_mode 1
		.amdhsa_fp16_overflow 0
		.amdhsa_tg_split 0
		.amdhsa_exception_fp_ieee_invalid_op 0
		.amdhsa_exception_fp_denorm_src 0
		.amdhsa_exception_fp_ieee_div_zero 0
		.amdhsa_exception_fp_ieee_overflow 0
		.amdhsa_exception_fp_ieee_underflow 0
		.amdhsa_exception_fp_ieee_inexact 0
		.amdhsa_exception_int_div_zero 0
	.end_amdhsa_kernel
	.section	.text._ZN7rocprim17ROCPRIM_400000_NS6detail17trampoline_kernelINS0_14default_configENS1_27scan_by_key_config_selectorIiiEEZZNS1_16scan_by_key_implILNS1_25lookback_scan_determinismE0ELb1ES3_N6thrust23THRUST_200600_302600_NS6detail15normal_iteratorINS9_10device_ptrIiEEEESE_SE_iNS9_4plusIvEENS9_8equal_toIvEEiEE10hipError_tPvRmT2_T3_T4_T5_mT6_T7_P12ihipStream_tbENKUlT_T0_E_clISt17integral_constantIbLb1EESZ_EEDaSU_SV_EUlSU_E_NS1_11comp_targetILNS1_3genE3ELNS1_11target_archE908ELNS1_3gpuE7ELNS1_3repE0EEENS1_30default_config_static_selectorELNS0_4arch9wavefront6targetE1EEEvT1_,"axG",@progbits,_ZN7rocprim17ROCPRIM_400000_NS6detail17trampoline_kernelINS0_14default_configENS1_27scan_by_key_config_selectorIiiEEZZNS1_16scan_by_key_implILNS1_25lookback_scan_determinismE0ELb1ES3_N6thrust23THRUST_200600_302600_NS6detail15normal_iteratorINS9_10device_ptrIiEEEESE_SE_iNS9_4plusIvEENS9_8equal_toIvEEiEE10hipError_tPvRmT2_T3_T4_T5_mT6_T7_P12ihipStream_tbENKUlT_T0_E_clISt17integral_constantIbLb1EESZ_EEDaSU_SV_EUlSU_E_NS1_11comp_targetILNS1_3genE3ELNS1_11target_archE908ELNS1_3gpuE7ELNS1_3repE0EEENS1_30default_config_static_selectorELNS0_4arch9wavefront6targetE1EEEvT1_,comdat
.Lfunc_end474:
	.size	_ZN7rocprim17ROCPRIM_400000_NS6detail17trampoline_kernelINS0_14default_configENS1_27scan_by_key_config_selectorIiiEEZZNS1_16scan_by_key_implILNS1_25lookback_scan_determinismE0ELb1ES3_N6thrust23THRUST_200600_302600_NS6detail15normal_iteratorINS9_10device_ptrIiEEEESE_SE_iNS9_4plusIvEENS9_8equal_toIvEEiEE10hipError_tPvRmT2_T3_T4_T5_mT6_T7_P12ihipStream_tbENKUlT_T0_E_clISt17integral_constantIbLb1EESZ_EEDaSU_SV_EUlSU_E_NS1_11comp_targetILNS1_3genE3ELNS1_11target_archE908ELNS1_3gpuE7ELNS1_3repE0EEENS1_30default_config_static_selectorELNS0_4arch9wavefront6targetE1EEEvT1_, .Lfunc_end474-_ZN7rocprim17ROCPRIM_400000_NS6detail17trampoline_kernelINS0_14default_configENS1_27scan_by_key_config_selectorIiiEEZZNS1_16scan_by_key_implILNS1_25lookback_scan_determinismE0ELb1ES3_N6thrust23THRUST_200600_302600_NS6detail15normal_iteratorINS9_10device_ptrIiEEEESE_SE_iNS9_4plusIvEENS9_8equal_toIvEEiEE10hipError_tPvRmT2_T3_T4_T5_mT6_T7_P12ihipStream_tbENKUlT_T0_E_clISt17integral_constantIbLb1EESZ_EEDaSU_SV_EUlSU_E_NS1_11comp_targetILNS1_3genE3ELNS1_11target_archE908ELNS1_3gpuE7ELNS1_3repE0EEENS1_30default_config_static_selectorELNS0_4arch9wavefront6targetE1EEEvT1_
                                        ; -- End function
	.section	.AMDGPU.csdata,"",@progbits
; Kernel info:
; codeLenInByte = 0
; NumSgprs: 4
; NumVgprs: 0
; NumAgprs: 0
; TotalNumVgprs: 0
; ScratchSize: 0
; MemoryBound: 0
; FloatMode: 240
; IeeeMode: 1
; LDSByteSize: 0 bytes/workgroup (compile time only)
; SGPRBlocks: 0
; VGPRBlocks: 0
; NumSGPRsForWavesPerEU: 4
; NumVGPRsForWavesPerEU: 1
; AccumOffset: 4
; Occupancy: 8
; WaveLimiterHint : 0
; COMPUTE_PGM_RSRC2:SCRATCH_EN: 0
; COMPUTE_PGM_RSRC2:USER_SGPR: 6
; COMPUTE_PGM_RSRC2:TRAP_HANDLER: 0
; COMPUTE_PGM_RSRC2:TGID_X_EN: 1
; COMPUTE_PGM_RSRC2:TGID_Y_EN: 0
; COMPUTE_PGM_RSRC2:TGID_Z_EN: 0
; COMPUTE_PGM_RSRC2:TIDIG_COMP_CNT: 0
; COMPUTE_PGM_RSRC3_GFX90A:ACCUM_OFFSET: 0
; COMPUTE_PGM_RSRC3_GFX90A:TG_SPLIT: 0
	.section	.text._ZN7rocprim17ROCPRIM_400000_NS6detail17trampoline_kernelINS0_14default_configENS1_27scan_by_key_config_selectorIiiEEZZNS1_16scan_by_key_implILNS1_25lookback_scan_determinismE0ELb1ES3_N6thrust23THRUST_200600_302600_NS6detail15normal_iteratorINS9_10device_ptrIiEEEESE_SE_iNS9_4plusIvEENS9_8equal_toIvEEiEE10hipError_tPvRmT2_T3_T4_T5_mT6_T7_P12ihipStream_tbENKUlT_T0_E_clISt17integral_constantIbLb1EESZ_EEDaSU_SV_EUlSU_E_NS1_11comp_targetILNS1_3genE2ELNS1_11target_archE906ELNS1_3gpuE6ELNS1_3repE0EEENS1_30default_config_static_selectorELNS0_4arch9wavefront6targetE1EEEvT1_,"axG",@progbits,_ZN7rocprim17ROCPRIM_400000_NS6detail17trampoline_kernelINS0_14default_configENS1_27scan_by_key_config_selectorIiiEEZZNS1_16scan_by_key_implILNS1_25lookback_scan_determinismE0ELb1ES3_N6thrust23THRUST_200600_302600_NS6detail15normal_iteratorINS9_10device_ptrIiEEEESE_SE_iNS9_4plusIvEENS9_8equal_toIvEEiEE10hipError_tPvRmT2_T3_T4_T5_mT6_T7_P12ihipStream_tbENKUlT_T0_E_clISt17integral_constantIbLb1EESZ_EEDaSU_SV_EUlSU_E_NS1_11comp_targetILNS1_3genE2ELNS1_11target_archE906ELNS1_3gpuE6ELNS1_3repE0EEENS1_30default_config_static_selectorELNS0_4arch9wavefront6targetE1EEEvT1_,comdat
	.protected	_ZN7rocprim17ROCPRIM_400000_NS6detail17trampoline_kernelINS0_14default_configENS1_27scan_by_key_config_selectorIiiEEZZNS1_16scan_by_key_implILNS1_25lookback_scan_determinismE0ELb1ES3_N6thrust23THRUST_200600_302600_NS6detail15normal_iteratorINS9_10device_ptrIiEEEESE_SE_iNS9_4plusIvEENS9_8equal_toIvEEiEE10hipError_tPvRmT2_T3_T4_T5_mT6_T7_P12ihipStream_tbENKUlT_T0_E_clISt17integral_constantIbLb1EESZ_EEDaSU_SV_EUlSU_E_NS1_11comp_targetILNS1_3genE2ELNS1_11target_archE906ELNS1_3gpuE6ELNS1_3repE0EEENS1_30default_config_static_selectorELNS0_4arch9wavefront6targetE1EEEvT1_ ; -- Begin function _ZN7rocprim17ROCPRIM_400000_NS6detail17trampoline_kernelINS0_14default_configENS1_27scan_by_key_config_selectorIiiEEZZNS1_16scan_by_key_implILNS1_25lookback_scan_determinismE0ELb1ES3_N6thrust23THRUST_200600_302600_NS6detail15normal_iteratorINS9_10device_ptrIiEEEESE_SE_iNS9_4plusIvEENS9_8equal_toIvEEiEE10hipError_tPvRmT2_T3_T4_T5_mT6_T7_P12ihipStream_tbENKUlT_T0_E_clISt17integral_constantIbLb1EESZ_EEDaSU_SV_EUlSU_E_NS1_11comp_targetILNS1_3genE2ELNS1_11target_archE906ELNS1_3gpuE6ELNS1_3repE0EEENS1_30default_config_static_selectorELNS0_4arch9wavefront6targetE1EEEvT1_
	.globl	_ZN7rocprim17ROCPRIM_400000_NS6detail17trampoline_kernelINS0_14default_configENS1_27scan_by_key_config_selectorIiiEEZZNS1_16scan_by_key_implILNS1_25lookback_scan_determinismE0ELb1ES3_N6thrust23THRUST_200600_302600_NS6detail15normal_iteratorINS9_10device_ptrIiEEEESE_SE_iNS9_4plusIvEENS9_8equal_toIvEEiEE10hipError_tPvRmT2_T3_T4_T5_mT6_T7_P12ihipStream_tbENKUlT_T0_E_clISt17integral_constantIbLb1EESZ_EEDaSU_SV_EUlSU_E_NS1_11comp_targetILNS1_3genE2ELNS1_11target_archE906ELNS1_3gpuE6ELNS1_3repE0EEENS1_30default_config_static_selectorELNS0_4arch9wavefront6targetE1EEEvT1_
	.p2align	8
	.type	_ZN7rocprim17ROCPRIM_400000_NS6detail17trampoline_kernelINS0_14default_configENS1_27scan_by_key_config_selectorIiiEEZZNS1_16scan_by_key_implILNS1_25lookback_scan_determinismE0ELb1ES3_N6thrust23THRUST_200600_302600_NS6detail15normal_iteratorINS9_10device_ptrIiEEEESE_SE_iNS9_4plusIvEENS9_8equal_toIvEEiEE10hipError_tPvRmT2_T3_T4_T5_mT6_T7_P12ihipStream_tbENKUlT_T0_E_clISt17integral_constantIbLb1EESZ_EEDaSU_SV_EUlSU_E_NS1_11comp_targetILNS1_3genE2ELNS1_11target_archE906ELNS1_3gpuE6ELNS1_3repE0EEENS1_30default_config_static_selectorELNS0_4arch9wavefront6targetE1EEEvT1_,@function
_ZN7rocprim17ROCPRIM_400000_NS6detail17trampoline_kernelINS0_14default_configENS1_27scan_by_key_config_selectorIiiEEZZNS1_16scan_by_key_implILNS1_25lookback_scan_determinismE0ELb1ES3_N6thrust23THRUST_200600_302600_NS6detail15normal_iteratorINS9_10device_ptrIiEEEESE_SE_iNS9_4plusIvEENS9_8equal_toIvEEiEE10hipError_tPvRmT2_T3_T4_T5_mT6_T7_P12ihipStream_tbENKUlT_T0_E_clISt17integral_constantIbLb1EESZ_EEDaSU_SV_EUlSU_E_NS1_11comp_targetILNS1_3genE2ELNS1_11target_archE906ELNS1_3gpuE6ELNS1_3repE0EEENS1_30default_config_static_selectorELNS0_4arch9wavefront6targetE1EEEvT1_: ; @_ZN7rocprim17ROCPRIM_400000_NS6detail17trampoline_kernelINS0_14default_configENS1_27scan_by_key_config_selectorIiiEEZZNS1_16scan_by_key_implILNS1_25lookback_scan_determinismE0ELb1ES3_N6thrust23THRUST_200600_302600_NS6detail15normal_iteratorINS9_10device_ptrIiEEEESE_SE_iNS9_4plusIvEENS9_8equal_toIvEEiEE10hipError_tPvRmT2_T3_T4_T5_mT6_T7_P12ihipStream_tbENKUlT_T0_E_clISt17integral_constantIbLb1EESZ_EEDaSU_SV_EUlSU_E_NS1_11comp_targetILNS1_3genE2ELNS1_11target_archE906ELNS1_3gpuE6ELNS1_3repE0EEENS1_30default_config_static_selectorELNS0_4arch9wavefront6targetE1EEEvT1_
; %bb.0:
	.section	.rodata,"a",@progbits
	.p2align	6, 0x0
	.amdhsa_kernel _ZN7rocprim17ROCPRIM_400000_NS6detail17trampoline_kernelINS0_14default_configENS1_27scan_by_key_config_selectorIiiEEZZNS1_16scan_by_key_implILNS1_25lookback_scan_determinismE0ELb1ES3_N6thrust23THRUST_200600_302600_NS6detail15normal_iteratorINS9_10device_ptrIiEEEESE_SE_iNS9_4plusIvEENS9_8equal_toIvEEiEE10hipError_tPvRmT2_T3_T4_T5_mT6_T7_P12ihipStream_tbENKUlT_T0_E_clISt17integral_constantIbLb1EESZ_EEDaSU_SV_EUlSU_E_NS1_11comp_targetILNS1_3genE2ELNS1_11target_archE906ELNS1_3gpuE6ELNS1_3repE0EEENS1_30default_config_static_selectorELNS0_4arch9wavefront6targetE1EEEvT1_
		.amdhsa_group_segment_fixed_size 0
		.amdhsa_private_segment_fixed_size 0
		.amdhsa_kernarg_size 112
		.amdhsa_user_sgpr_count 6
		.amdhsa_user_sgpr_private_segment_buffer 1
		.amdhsa_user_sgpr_dispatch_ptr 0
		.amdhsa_user_sgpr_queue_ptr 0
		.amdhsa_user_sgpr_kernarg_segment_ptr 1
		.amdhsa_user_sgpr_dispatch_id 0
		.amdhsa_user_sgpr_flat_scratch_init 0
		.amdhsa_user_sgpr_kernarg_preload_length 0
		.amdhsa_user_sgpr_kernarg_preload_offset 0
		.amdhsa_user_sgpr_private_segment_size 0
		.amdhsa_uses_dynamic_stack 0
		.amdhsa_system_sgpr_private_segment_wavefront_offset 0
		.amdhsa_system_sgpr_workgroup_id_x 1
		.amdhsa_system_sgpr_workgroup_id_y 0
		.amdhsa_system_sgpr_workgroup_id_z 0
		.amdhsa_system_sgpr_workgroup_info 0
		.amdhsa_system_vgpr_workitem_id 0
		.amdhsa_next_free_vgpr 1
		.amdhsa_next_free_sgpr 0
		.amdhsa_accum_offset 4
		.amdhsa_reserve_vcc 0
		.amdhsa_reserve_flat_scratch 0
		.amdhsa_float_round_mode_32 0
		.amdhsa_float_round_mode_16_64 0
		.amdhsa_float_denorm_mode_32 3
		.amdhsa_float_denorm_mode_16_64 3
		.amdhsa_dx10_clamp 1
		.amdhsa_ieee_mode 1
		.amdhsa_fp16_overflow 0
		.amdhsa_tg_split 0
		.amdhsa_exception_fp_ieee_invalid_op 0
		.amdhsa_exception_fp_denorm_src 0
		.amdhsa_exception_fp_ieee_div_zero 0
		.amdhsa_exception_fp_ieee_overflow 0
		.amdhsa_exception_fp_ieee_underflow 0
		.amdhsa_exception_fp_ieee_inexact 0
		.amdhsa_exception_int_div_zero 0
	.end_amdhsa_kernel
	.section	.text._ZN7rocprim17ROCPRIM_400000_NS6detail17trampoline_kernelINS0_14default_configENS1_27scan_by_key_config_selectorIiiEEZZNS1_16scan_by_key_implILNS1_25lookback_scan_determinismE0ELb1ES3_N6thrust23THRUST_200600_302600_NS6detail15normal_iteratorINS9_10device_ptrIiEEEESE_SE_iNS9_4plusIvEENS9_8equal_toIvEEiEE10hipError_tPvRmT2_T3_T4_T5_mT6_T7_P12ihipStream_tbENKUlT_T0_E_clISt17integral_constantIbLb1EESZ_EEDaSU_SV_EUlSU_E_NS1_11comp_targetILNS1_3genE2ELNS1_11target_archE906ELNS1_3gpuE6ELNS1_3repE0EEENS1_30default_config_static_selectorELNS0_4arch9wavefront6targetE1EEEvT1_,"axG",@progbits,_ZN7rocprim17ROCPRIM_400000_NS6detail17trampoline_kernelINS0_14default_configENS1_27scan_by_key_config_selectorIiiEEZZNS1_16scan_by_key_implILNS1_25lookback_scan_determinismE0ELb1ES3_N6thrust23THRUST_200600_302600_NS6detail15normal_iteratorINS9_10device_ptrIiEEEESE_SE_iNS9_4plusIvEENS9_8equal_toIvEEiEE10hipError_tPvRmT2_T3_T4_T5_mT6_T7_P12ihipStream_tbENKUlT_T0_E_clISt17integral_constantIbLb1EESZ_EEDaSU_SV_EUlSU_E_NS1_11comp_targetILNS1_3genE2ELNS1_11target_archE906ELNS1_3gpuE6ELNS1_3repE0EEENS1_30default_config_static_selectorELNS0_4arch9wavefront6targetE1EEEvT1_,comdat
.Lfunc_end475:
	.size	_ZN7rocprim17ROCPRIM_400000_NS6detail17trampoline_kernelINS0_14default_configENS1_27scan_by_key_config_selectorIiiEEZZNS1_16scan_by_key_implILNS1_25lookback_scan_determinismE0ELb1ES3_N6thrust23THRUST_200600_302600_NS6detail15normal_iteratorINS9_10device_ptrIiEEEESE_SE_iNS9_4plusIvEENS9_8equal_toIvEEiEE10hipError_tPvRmT2_T3_T4_T5_mT6_T7_P12ihipStream_tbENKUlT_T0_E_clISt17integral_constantIbLb1EESZ_EEDaSU_SV_EUlSU_E_NS1_11comp_targetILNS1_3genE2ELNS1_11target_archE906ELNS1_3gpuE6ELNS1_3repE0EEENS1_30default_config_static_selectorELNS0_4arch9wavefront6targetE1EEEvT1_, .Lfunc_end475-_ZN7rocprim17ROCPRIM_400000_NS6detail17trampoline_kernelINS0_14default_configENS1_27scan_by_key_config_selectorIiiEEZZNS1_16scan_by_key_implILNS1_25lookback_scan_determinismE0ELb1ES3_N6thrust23THRUST_200600_302600_NS6detail15normal_iteratorINS9_10device_ptrIiEEEESE_SE_iNS9_4plusIvEENS9_8equal_toIvEEiEE10hipError_tPvRmT2_T3_T4_T5_mT6_T7_P12ihipStream_tbENKUlT_T0_E_clISt17integral_constantIbLb1EESZ_EEDaSU_SV_EUlSU_E_NS1_11comp_targetILNS1_3genE2ELNS1_11target_archE906ELNS1_3gpuE6ELNS1_3repE0EEENS1_30default_config_static_selectorELNS0_4arch9wavefront6targetE1EEEvT1_
                                        ; -- End function
	.section	.AMDGPU.csdata,"",@progbits
; Kernel info:
; codeLenInByte = 0
; NumSgprs: 4
; NumVgprs: 0
; NumAgprs: 0
; TotalNumVgprs: 0
; ScratchSize: 0
; MemoryBound: 0
; FloatMode: 240
; IeeeMode: 1
; LDSByteSize: 0 bytes/workgroup (compile time only)
; SGPRBlocks: 0
; VGPRBlocks: 0
; NumSGPRsForWavesPerEU: 4
; NumVGPRsForWavesPerEU: 1
; AccumOffset: 4
; Occupancy: 8
; WaveLimiterHint : 0
; COMPUTE_PGM_RSRC2:SCRATCH_EN: 0
; COMPUTE_PGM_RSRC2:USER_SGPR: 6
; COMPUTE_PGM_RSRC2:TRAP_HANDLER: 0
; COMPUTE_PGM_RSRC2:TGID_X_EN: 1
; COMPUTE_PGM_RSRC2:TGID_Y_EN: 0
; COMPUTE_PGM_RSRC2:TGID_Z_EN: 0
; COMPUTE_PGM_RSRC2:TIDIG_COMP_CNT: 0
; COMPUTE_PGM_RSRC3_GFX90A:ACCUM_OFFSET: 0
; COMPUTE_PGM_RSRC3_GFX90A:TG_SPLIT: 0
	.section	.text._ZN7rocprim17ROCPRIM_400000_NS6detail17trampoline_kernelINS0_14default_configENS1_27scan_by_key_config_selectorIiiEEZZNS1_16scan_by_key_implILNS1_25lookback_scan_determinismE0ELb1ES3_N6thrust23THRUST_200600_302600_NS6detail15normal_iteratorINS9_10device_ptrIiEEEESE_SE_iNS9_4plusIvEENS9_8equal_toIvEEiEE10hipError_tPvRmT2_T3_T4_T5_mT6_T7_P12ihipStream_tbENKUlT_T0_E_clISt17integral_constantIbLb1EESZ_EEDaSU_SV_EUlSU_E_NS1_11comp_targetILNS1_3genE10ELNS1_11target_archE1200ELNS1_3gpuE4ELNS1_3repE0EEENS1_30default_config_static_selectorELNS0_4arch9wavefront6targetE1EEEvT1_,"axG",@progbits,_ZN7rocprim17ROCPRIM_400000_NS6detail17trampoline_kernelINS0_14default_configENS1_27scan_by_key_config_selectorIiiEEZZNS1_16scan_by_key_implILNS1_25lookback_scan_determinismE0ELb1ES3_N6thrust23THRUST_200600_302600_NS6detail15normal_iteratorINS9_10device_ptrIiEEEESE_SE_iNS9_4plusIvEENS9_8equal_toIvEEiEE10hipError_tPvRmT2_T3_T4_T5_mT6_T7_P12ihipStream_tbENKUlT_T0_E_clISt17integral_constantIbLb1EESZ_EEDaSU_SV_EUlSU_E_NS1_11comp_targetILNS1_3genE10ELNS1_11target_archE1200ELNS1_3gpuE4ELNS1_3repE0EEENS1_30default_config_static_selectorELNS0_4arch9wavefront6targetE1EEEvT1_,comdat
	.protected	_ZN7rocprim17ROCPRIM_400000_NS6detail17trampoline_kernelINS0_14default_configENS1_27scan_by_key_config_selectorIiiEEZZNS1_16scan_by_key_implILNS1_25lookback_scan_determinismE0ELb1ES3_N6thrust23THRUST_200600_302600_NS6detail15normal_iteratorINS9_10device_ptrIiEEEESE_SE_iNS9_4plusIvEENS9_8equal_toIvEEiEE10hipError_tPvRmT2_T3_T4_T5_mT6_T7_P12ihipStream_tbENKUlT_T0_E_clISt17integral_constantIbLb1EESZ_EEDaSU_SV_EUlSU_E_NS1_11comp_targetILNS1_3genE10ELNS1_11target_archE1200ELNS1_3gpuE4ELNS1_3repE0EEENS1_30default_config_static_selectorELNS0_4arch9wavefront6targetE1EEEvT1_ ; -- Begin function _ZN7rocprim17ROCPRIM_400000_NS6detail17trampoline_kernelINS0_14default_configENS1_27scan_by_key_config_selectorIiiEEZZNS1_16scan_by_key_implILNS1_25lookback_scan_determinismE0ELb1ES3_N6thrust23THRUST_200600_302600_NS6detail15normal_iteratorINS9_10device_ptrIiEEEESE_SE_iNS9_4plusIvEENS9_8equal_toIvEEiEE10hipError_tPvRmT2_T3_T4_T5_mT6_T7_P12ihipStream_tbENKUlT_T0_E_clISt17integral_constantIbLb1EESZ_EEDaSU_SV_EUlSU_E_NS1_11comp_targetILNS1_3genE10ELNS1_11target_archE1200ELNS1_3gpuE4ELNS1_3repE0EEENS1_30default_config_static_selectorELNS0_4arch9wavefront6targetE1EEEvT1_
	.globl	_ZN7rocprim17ROCPRIM_400000_NS6detail17trampoline_kernelINS0_14default_configENS1_27scan_by_key_config_selectorIiiEEZZNS1_16scan_by_key_implILNS1_25lookback_scan_determinismE0ELb1ES3_N6thrust23THRUST_200600_302600_NS6detail15normal_iteratorINS9_10device_ptrIiEEEESE_SE_iNS9_4plusIvEENS9_8equal_toIvEEiEE10hipError_tPvRmT2_T3_T4_T5_mT6_T7_P12ihipStream_tbENKUlT_T0_E_clISt17integral_constantIbLb1EESZ_EEDaSU_SV_EUlSU_E_NS1_11comp_targetILNS1_3genE10ELNS1_11target_archE1200ELNS1_3gpuE4ELNS1_3repE0EEENS1_30default_config_static_selectorELNS0_4arch9wavefront6targetE1EEEvT1_
	.p2align	8
	.type	_ZN7rocprim17ROCPRIM_400000_NS6detail17trampoline_kernelINS0_14default_configENS1_27scan_by_key_config_selectorIiiEEZZNS1_16scan_by_key_implILNS1_25lookback_scan_determinismE0ELb1ES3_N6thrust23THRUST_200600_302600_NS6detail15normal_iteratorINS9_10device_ptrIiEEEESE_SE_iNS9_4plusIvEENS9_8equal_toIvEEiEE10hipError_tPvRmT2_T3_T4_T5_mT6_T7_P12ihipStream_tbENKUlT_T0_E_clISt17integral_constantIbLb1EESZ_EEDaSU_SV_EUlSU_E_NS1_11comp_targetILNS1_3genE10ELNS1_11target_archE1200ELNS1_3gpuE4ELNS1_3repE0EEENS1_30default_config_static_selectorELNS0_4arch9wavefront6targetE1EEEvT1_,@function
_ZN7rocprim17ROCPRIM_400000_NS6detail17trampoline_kernelINS0_14default_configENS1_27scan_by_key_config_selectorIiiEEZZNS1_16scan_by_key_implILNS1_25lookback_scan_determinismE0ELb1ES3_N6thrust23THRUST_200600_302600_NS6detail15normal_iteratorINS9_10device_ptrIiEEEESE_SE_iNS9_4plusIvEENS9_8equal_toIvEEiEE10hipError_tPvRmT2_T3_T4_T5_mT6_T7_P12ihipStream_tbENKUlT_T0_E_clISt17integral_constantIbLb1EESZ_EEDaSU_SV_EUlSU_E_NS1_11comp_targetILNS1_3genE10ELNS1_11target_archE1200ELNS1_3gpuE4ELNS1_3repE0EEENS1_30default_config_static_selectorELNS0_4arch9wavefront6targetE1EEEvT1_: ; @_ZN7rocprim17ROCPRIM_400000_NS6detail17trampoline_kernelINS0_14default_configENS1_27scan_by_key_config_selectorIiiEEZZNS1_16scan_by_key_implILNS1_25lookback_scan_determinismE0ELb1ES3_N6thrust23THRUST_200600_302600_NS6detail15normal_iteratorINS9_10device_ptrIiEEEESE_SE_iNS9_4plusIvEENS9_8equal_toIvEEiEE10hipError_tPvRmT2_T3_T4_T5_mT6_T7_P12ihipStream_tbENKUlT_T0_E_clISt17integral_constantIbLb1EESZ_EEDaSU_SV_EUlSU_E_NS1_11comp_targetILNS1_3genE10ELNS1_11target_archE1200ELNS1_3gpuE4ELNS1_3repE0EEENS1_30default_config_static_selectorELNS0_4arch9wavefront6targetE1EEEvT1_
; %bb.0:
	.section	.rodata,"a",@progbits
	.p2align	6, 0x0
	.amdhsa_kernel _ZN7rocprim17ROCPRIM_400000_NS6detail17trampoline_kernelINS0_14default_configENS1_27scan_by_key_config_selectorIiiEEZZNS1_16scan_by_key_implILNS1_25lookback_scan_determinismE0ELb1ES3_N6thrust23THRUST_200600_302600_NS6detail15normal_iteratorINS9_10device_ptrIiEEEESE_SE_iNS9_4plusIvEENS9_8equal_toIvEEiEE10hipError_tPvRmT2_T3_T4_T5_mT6_T7_P12ihipStream_tbENKUlT_T0_E_clISt17integral_constantIbLb1EESZ_EEDaSU_SV_EUlSU_E_NS1_11comp_targetILNS1_3genE10ELNS1_11target_archE1200ELNS1_3gpuE4ELNS1_3repE0EEENS1_30default_config_static_selectorELNS0_4arch9wavefront6targetE1EEEvT1_
		.amdhsa_group_segment_fixed_size 0
		.amdhsa_private_segment_fixed_size 0
		.amdhsa_kernarg_size 112
		.amdhsa_user_sgpr_count 6
		.amdhsa_user_sgpr_private_segment_buffer 1
		.amdhsa_user_sgpr_dispatch_ptr 0
		.amdhsa_user_sgpr_queue_ptr 0
		.amdhsa_user_sgpr_kernarg_segment_ptr 1
		.amdhsa_user_sgpr_dispatch_id 0
		.amdhsa_user_sgpr_flat_scratch_init 0
		.amdhsa_user_sgpr_kernarg_preload_length 0
		.amdhsa_user_sgpr_kernarg_preload_offset 0
		.amdhsa_user_sgpr_private_segment_size 0
		.amdhsa_uses_dynamic_stack 0
		.amdhsa_system_sgpr_private_segment_wavefront_offset 0
		.amdhsa_system_sgpr_workgroup_id_x 1
		.amdhsa_system_sgpr_workgroup_id_y 0
		.amdhsa_system_sgpr_workgroup_id_z 0
		.amdhsa_system_sgpr_workgroup_info 0
		.amdhsa_system_vgpr_workitem_id 0
		.amdhsa_next_free_vgpr 1
		.amdhsa_next_free_sgpr 0
		.amdhsa_accum_offset 4
		.amdhsa_reserve_vcc 0
		.amdhsa_reserve_flat_scratch 0
		.amdhsa_float_round_mode_32 0
		.amdhsa_float_round_mode_16_64 0
		.amdhsa_float_denorm_mode_32 3
		.amdhsa_float_denorm_mode_16_64 3
		.amdhsa_dx10_clamp 1
		.amdhsa_ieee_mode 1
		.amdhsa_fp16_overflow 0
		.amdhsa_tg_split 0
		.amdhsa_exception_fp_ieee_invalid_op 0
		.amdhsa_exception_fp_denorm_src 0
		.amdhsa_exception_fp_ieee_div_zero 0
		.amdhsa_exception_fp_ieee_overflow 0
		.amdhsa_exception_fp_ieee_underflow 0
		.amdhsa_exception_fp_ieee_inexact 0
		.amdhsa_exception_int_div_zero 0
	.end_amdhsa_kernel
	.section	.text._ZN7rocprim17ROCPRIM_400000_NS6detail17trampoline_kernelINS0_14default_configENS1_27scan_by_key_config_selectorIiiEEZZNS1_16scan_by_key_implILNS1_25lookback_scan_determinismE0ELb1ES3_N6thrust23THRUST_200600_302600_NS6detail15normal_iteratorINS9_10device_ptrIiEEEESE_SE_iNS9_4plusIvEENS9_8equal_toIvEEiEE10hipError_tPvRmT2_T3_T4_T5_mT6_T7_P12ihipStream_tbENKUlT_T0_E_clISt17integral_constantIbLb1EESZ_EEDaSU_SV_EUlSU_E_NS1_11comp_targetILNS1_3genE10ELNS1_11target_archE1200ELNS1_3gpuE4ELNS1_3repE0EEENS1_30default_config_static_selectorELNS0_4arch9wavefront6targetE1EEEvT1_,"axG",@progbits,_ZN7rocprim17ROCPRIM_400000_NS6detail17trampoline_kernelINS0_14default_configENS1_27scan_by_key_config_selectorIiiEEZZNS1_16scan_by_key_implILNS1_25lookback_scan_determinismE0ELb1ES3_N6thrust23THRUST_200600_302600_NS6detail15normal_iteratorINS9_10device_ptrIiEEEESE_SE_iNS9_4plusIvEENS9_8equal_toIvEEiEE10hipError_tPvRmT2_T3_T4_T5_mT6_T7_P12ihipStream_tbENKUlT_T0_E_clISt17integral_constantIbLb1EESZ_EEDaSU_SV_EUlSU_E_NS1_11comp_targetILNS1_3genE10ELNS1_11target_archE1200ELNS1_3gpuE4ELNS1_3repE0EEENS1_30default_config_static_selectorELNS0_4arch9wavefront6targetE1EEEvT1_,comdat
.Lfunc_end476:
	.size	_ZN7rocprim17ROCPRIM_400000_NS6detail17trampoline_kernelINS0_14default_configENS1_27scan_by_key_config_selectorIiiEEZZNS1_16scan_by_key_implILNS1_25lookback_scan_determinismE0ELb1ES3_N6thrust23THRUST_200600_302600_NS6detail15normal_iteratorINS9_10device_ptrIiEEEESE_SE_iNS9_4plusIvEENS9_8equal_toIvEEiEE10hipError_tPvRmT2_T3_T4_T5_mT6_T7_P12ihipStream_tbENKUlT_T0_E_clISt17integral_constantIbLb1EESZ_EEDaSU_SV_EUlSU_E_NS1_11comp_targetILNS1_3genE10ELNS1_11target_archE1200ELNS1_3gpuE4ELNS1_3repE0EEENS1_30default_config_static_selectorELNS0_4arch9wavefront6targetE1EEEvT1_, .Lfunc_end476-_ZN7rocprim17ROCPRIM_400000_NS6detail17trampoline_kernelINS0_14default_configENS1_27scan_by_key_config_selectorIiiEEZZNS1_16scan_by_key_implILNS1_25lookback_scan_determinismE0ELb1ES3_N6thrust23THRUST_200600_302600_NS6detail15normal_iteratorINS9_10device_ptrIiEEEESE_SE_iNS9_4plusIvEENS9_8equal_toIvEEiEE10hipError_tPvRmT2_T3_T4_T5_mT6_T7_P12ihipStream_tbENKUlT_T0_E_clISt17integral_constantIbLb1EESZ_EEDaSU_SV_EUlSU_E_NS1_11comp_targetILNS1_3genE10ELNS1_11target_archE1200ELNS1_3gpuE4ELNS1_3repE0EEENS1_30default_config_static_selectorELNS0_4arch9wavefront6targetE1EEEvT1_
                                        ; -- End function
	.section	.AMDGPU.csdata,"",@progbits
; Kernel info:
; codeLenInByte = 0
; NumSgprs: 4
; NumVgprs: 0
; NumAgprs: 0
; TotalNumVgprs: 0
; ScratchSize: 0
; MemoryBound: 0
; FloatMode: 240
; IeeeMode: 1
; LDSByteSize: 0 bytes/workgroup (compile time only)
; SGPRBlocks: 0
; VGPRBlocks: 0
; NumSGPRsForWavesPerEU: 4
; NumVGPRsForWavesPerEU: 1
; AccumOffset: 4
; Occupancy: 8
; WaveLimiterHint : 0
; COMPUTE_PGM_RSRC2:SCRATCH_EN: 0
; COMPUTE_PGM_RSRC2:USER_SGPR: 6
; COMPUTE_PGM_RSRC2:TRAP_HANDLER: 0
; COMPUTE_PGM_RSRC2:TGID_X_EN: 1
; COMPUTE_PGM_RSRC2:TGID_Y_EN: 0
; COMPUTE_PGM_RSRC2:TGID_Z_EN: 0
; COMPUTE_PGM_RSRC2:TIDIG_COMP_CNT: 0
; COMPUTE_PGM_RSRC3_GFX90A:ACCUM_OFFSET: 0
; COMPUTE_PGM_RSRC3_GFX90A:TG_SPLIT: 0
	.section	.text._ZN7rocprim17ROCPRIM_400000_NS6detail17trampoline_kernelINS0_14default_configENS1_27scan_by_key_config_selectorIiiEEZZNS1_16scan_by_key_implILNS1_25lookback_scan_determinismE0ELb1ES3_N6thrust23THRUST_200600_302600_NS6detail15normal_iteratorINS9_10device_ptrIiEEEESE_SE_iNS9_4plusIvEENS9_8equal_toIvEEiEE10hipError_tPvRmT2_T3_T4_T5_mT6_T7_P12ihipStream_tbENKUlT_T0_E_clISt17integral_constantIbLb1EESZ_EEDaSU_SV_EUlSU_E_NS1_11comp_targetILNS1_3genE9ELNS1_11target_archE1100ELNS1_3gpuE3ELNS1_3repE0EEENS1_30default_config_static_selectorELNS0_4arch9wavefront6targetE1EEEvT1_,"axG",@progbits,_ZN7rocprim17ROCPRIM_400000_NS6detail17trampoline_kernelINS0_14default_configENS1_27scan_by_key_config_selectorIiiEEZZNS1_16scan_by_key_implILNS1_25lookback_scan_determinismE0ELb1ES3_N6thrust23THRUST_200600_302600_NS6detail15normal_iteratorINS9_10device_ptrIiEEEESE_SE_iNS9_4plusIvEENS9_8equal_toIvEEiEE10hipError_tPvRmT2_T3_T4_T5_mT6_T7_P12ihipStream_tbENKUlT_T0_E_clISt17integral_constantIbLb1EESZ_EEDaSU_SV_EUlSU_E_NS1_11comp_targetILNS1_3genE9ELNS1_11target_archE1100ELNS1_3gpuE3ELNS1_3repE0EEENS1_30default_config_static_selectorELNS0_4arch9wavefront6targetE1EEEvT1_,comdat
	.protected	_ZN7rocprim17ROCPRIM_400000_NS6detail17trampoline_kernelINS0_14default_configENS1_27scan_by_key_config_selectorIiiEEZZNS1_16scan_by_key_implILNS1_25lookback_scan_determinismE0ELb1ES3_N6thrust23THRUST_200600_302600_NS6detail15normal_iteratorINS9_10device_ptrIiEEEESE_SE_iNS9_4plusIvEENS9_8equal_toIvEEiEE10hipError_tPvRmT2_T3_T4_T5_mT6_T7_P12ihipStream_tbENKUlT_T0_E_clISt17integral_constantIbLb1EESZ_EEDaSU_SV_EUlSU_E_NS1_11comp_targetILNS1_3genE9ELNS1_11target_archE1100ELNS1_3gpuE3ELNS1_3repE0EEENS1_30default_config_static_selectorELNS0_4arch9wavefront6targetE1EEEvT1_ ; -- Begin function _ZN7rocprim17ROCPRIM_400000_NS6detail17trampoline_kernelINS0_14default_configENS1_27scan_by_key_config_selectorIiiEEZZNS1_16scan_by_key_implILNS1_25lookback_scan_determinismE0ELb1ES3_N6thrust23THRUST_200600_302600_NS6detail15normal_iteratorINS9_10device_ptrIiEEEESE_SE_iNS9_4plusIvEENS9_8equal_toIvEEiEE10hipError_tPvRmT2_T3_T4_T5_mT6_T7_P12ihipStream_tbENKUlT_T0_E_clISt17integral_constantIbLb1EESZ_EEDaSU_SV_EUlSU_E_NS1_11comp_targetILNS1_3genE9ELNS1_11target_archE1100ELNS1_3gpuE3ELNS1_3repE0EEENS1_30default_config_static_selectorELNS0_4arch9wavefront6targetE1EEEvT1_
	.globl	_ZN7rocprim17ROCPRIM_400000_NS6detail17trampoline_kernelINS0_14default_configENS1_27scan_by_key_config_selectorIiiEEZZNS1_16scan_by_key_implILNS1_25lookback_scan_determinismE0ELb1ES3_N6thrust23THRUST_200600_302600_NS6detail15normal_iteratorINS9_10device_ptrIiEEEESE_SE_iNS9_4plusIvEENS9_8equal_toIvEEiEE10hipError_tPvRmT2_T3_T4_T5_mT6_T7_P12ihipStream_tbENKUlT_T0_E_clISt17integral_constantIbLb1EESZ_EEDaSU_SV_EUlSU_E_NS1_11comp_targetILNS1_3genE9ELNS1_11target_archE1100ELNS1_3gpuE3ELNS1_3repE0EEENS1_30default_config_static_selectorELNS0_4arch9wavefront6targetE1EEEvT1_
	.p2align	8
	.type	_ZN7rocprim17ROCPRIM_400000_NS6detail17trampoline_kernelINS0_14default_configENS1_27scan_by_key_config_selectorIiiEEZZNS1_16scan_by_key_implILNS1_25lookback_scan_determinismE0ELb1ES3_N6thrust23THRUST_200600_302600_NS6detail15normal_iteratorINS9_10device_ptrIiEEEESE_SE_iNS9_4plusIvEENS9_8equal_toIvEEiEE10hipError_tPvRmT2_T3_T4_T5_mT6_T7_P12ihipStream_tbENKUlT_T0_E_clISt17integral_constantIbLb1EESZ_EEDaSU_SV_EUlSU_E_NS1_11comp_targetILNS1_3genE9ELNS1_11target_archE1100ELNS1_3gpuE3ELNS1_3repE0EEENS1_30default_config_static_selectorELNS0_4arch9wavefront6targetE1EEEvT1_,@function
_ZN7rocprim17ROCPRIM_400000_NS6detail17trampoline_kernelINS0_14default_configENS1_27scan_by_key_config_selectorIiiEEZZNS1_16scan_by_key_implILNS1_25lookback_scan_determinismE0ELb1ES3_N6thrust23THRUST_200600_302600_NS6detail15normal_iteratorINS9_10device_ptrIiEEEESE_SE_iNS9_4plusIvEENS9_8equal_toIvEEiEE10hipError_tPvRmT2_T3_T4_T5_mT6_T7_P12ihipStream_tbENKUlT_T0_E_clISt17integral_constantIbLb1EESZ_EEDaSU_SV_EUlSU_E_NS1_11comp_targetILNS1_3genE9ELNS1_11target_archE1100ELNS1_3gpuE3ELNS1_3repE0EEENS1_30default_config_static_selectorELNS0_4arch9wavefront6targetE1EEEvT1_: ; @_ZN7rocprim17ROCPRIM_400000_NS6detail17trampoline_kernelINS0_14default_configENS1_27scan_by_key_config_selectorIiiEEZZNS1_16scan_by_key_implILNS1_25lookback_scan_determinismE0ELb1ES3_N6thrust23THRUST_200600_302600_NS6detail15normal_iteratorINS9_10device_ptrIiEEEESE_SE_iNS9_4plusIvEENS9_8equal_toIvEEiEE10hipError_tPvRmT2_T3_T4_T5_mT6_T7_P12ihipStream_tbENKUlT_T0_E_clISt17integral_constantIbLb1EESZ_EEDaSU_SV_EUlSU_E_NS1_11comp_targetILNS1_3genE9ELNS1_11target_archE1100ELNS1_3gpuE3ELNS1_3repE0EEENS1_30default_config_static_selectorELNS0_4arch9wavefront6targetE1EEEvT1_
; %bb.0:
	.section	.rodata,"a",@progbits
	.p2align	6, 0x0
	.amdhsa_kernel _ZN7rocprim17ROCPRIM_400000_NS6detail17trampoline_kernelINS0_14default_configENS1_27scan_by_key_config_selectorIiiEEZZNS1_16scan_by_key_implILNS1_25lookback_scan_determinismE0ELb1ES3_N6thrust23THRUST_200600_302600_NS6detail15normal_iteratorINS9_10device_ptrIiEEEESE_SE_iNS9_4plusIvEENS9_8equal_toIvEEiEE10hipError_tPvRmT2_T3_T4_T5_mT6_T7_P12ihipStream_tbENKUlT_T0_E_clISt17integral_constantIbLb1EESZ_EEDaSU_SV_EUlSU_E_NS1_11comp_targetILNS1_3genE9ELNS1_11target_archE1100ELNS1_3gpuE3ELNS1_3repE0EEENS1_30default_config_static_selectorELNS0_4arch9wavefront6targetE1EEEvT1_
		.amdhsa_group_segment_fixed_size 0
		.amdhsa_private_segment_fixed_size 0
		.amdhsa_kernarg_size 112
		.amdhsa_user_sgpr_count 6
		.amdhsa_user_sgpr_private_segment_buffer 1
		.amdhsa_user_sgpr_dispatch_ptr 0
		.amdhsa_user_sgpr_queue_ptr 0
		.amdhsa_user_sgpr_kernarg_segment_ptr 1
		.amdhsa_user_sgpr_dispatch_id 0
		.amdhsa_user_sgpr_flat_scratch_init 0
		.amdhsa_user_sgpr_kernarg_preload_length 0
		.amdhsa_user_sgpr_kernarg_preload_offset 0
		.amdhsa_user_sgpr_private_segment_size 0
		.amdhsa_uses_dynamic_stack 0
		.amdhsa_system_sgpr_private_segment_wavefront_offset 0
		.amdhsa_system_sgpr_workgroup_id_x 1
		.amdhsa_system_sgpr_workgroup_id_y 0
		.amdhsa_system_sgpr_workgroup_id_z 0
		.amdhsa_system_sgpr_workgroup_info 0
		.amdhsa_system_vgpr_workitem_id 0
		.amdhsa_next_free_vgpr 1
		.amdhsa_next_free_sgpr 0
		.amdhsa_accum_offset 4
		.amdhsa_reserve_vcc 0
		.amdhsa_reserve_flat_scratch 0
		.amdhsa_float_round_mode_32 0
		.amdhsa_float_round_mode_16_64 0
		.amdhsa_float_denorm_mode_32 3
		.amdhsa_float_denorm_mode_16_64 3
		.amdhsa_dx10_clamp 1
		.amdhsa_ieee_mode 1
		.amdhsa_fp16_overflow 0
		.amdhsa_tg_split 0
		.amdhsa_exception_fp_ieee_invalid_op 0
		.amdhsa_exception_fp_denorm_src 0
		.amdhsa_exception_fp_ieee_div_zero 0
		.amdhsa_exception_fp_ieee_overflow 0
		.amdhsa_exception_fp_ieee_underflow 0
		.amdhsa_exception_fp_ieee_inexact 0
		.amdhsa_exception_int_div_zero 0
	.end_amdhsa_kernel
	.section	.text._ZN7rocprim17ROCPRIM_400000_NS6detail17trampoline_kernelINS0_14default_configENS1_27scan_by_key_config_selectorIiiEEZZNS1_16scan_by_key_implILNS1_25lookback_scan_determinismE0ELb1ES3_N6thrust23THRUST_200600_302600_NS6detail15normal_iteratorINS9_10device_ptrIiEEEESE_SE_iNS9_4plusIvEENS9_8equal_toIvEEiEE10hipError_tPvRmT2_T3_T4_T5_mT6_T7_P12ihipStream_tbENKUlT_T0_E_clISt17integral_constantIbLb1EESZ_EEDaSU_SV_EUlSU_E_NS1_11comp_targetILNS1_3genE9ELNS1_11target_archE1100ELNS1_3gpuE3ELNS1_3repE0EEENS1_30default_config_static_selectorELNS0_4arch9wavefront6targetE1EEEvT1_,"axG",@progbits,_ZN7rocprim17ROCPRIM_400000_NS6detail17trampoline_kernelINS0_14default_configENS1_27scan_by_key_config_selectorIiiEEZZNS1_16scan_by_key_implILNS1_25lookback_scan_determinismE0ELb1ES3_N6thrust23THRUST_200600_302600_NS6detail15normal_iteratorINS9_10device_ptrIiEEEESE_SE_iNS9_4plusIvEENS9_8equal_toIvEEiEE10hipError_tPvRmT2_T3_T4_T5_mT6_T7_P12ihipStream_tbENKUlT_T0_E_clISt17integral_constantIbLb1EESZ_EEDaSU_SV_EUlSU_E_NS1_11comp_targetILNS1_3genE9ELNS1_11target_archE1100ELNS1_3gpuE3ELNS1_3repE0EEENS1_30default_config_static_selectorELNS0_4arch9wavefront6targetE1EEEvT1_,comdat
.Lfunc_end477:
	.size	_ZN7rocprim17ROCPRIM_400000_NS6detail17trampoline_kernelINS0_14default_configENS1_27scan_by_key_config_selectorIiiEEZZNS1_16scan_by_key_implILNS1_25lookback_scan_determinismE0ELb1ES3_N6thrust23THRUST_200600_302600_NS6detail15normal_iteratorINS9_10device_ptrIiEEEESE_SE_iNS9_4plusIvEENS9_8equal_toIvEEiEE10hipError_tPvRmT2_T3_T4_T5_mT6_T7_P12ihipStream_tbENKUlT_T0_E_clISt17integral_constantIbLb1EESZ_EEDaSU_SV_EUlSU_E_NS1_11comp_targetILNS1_3genE9ELNS1_11target_archE1100ELNS1_3gpuE3ELNS1_3repE0EEENS1_30default_config_static_selectorELNS0_4arch9wavefront6targetE1EEEvT1_, .Lfunc_end477-_ZN7rocprim17ROCPRIM_400000_NS6detail17trampoline_kernelINS0_14default_configENS1_27scan_by_key_config_selectorIiiEEZZNS1_16scan_by_key_implILNS1_25lookback_scan_determinismE0ELb1ES3_N6thrust23THRUST_200600_302600_NS6detail15normal_iteratorINS9_10device_ptrIiEEEESE_SE_iNS9_4plusIvEENS9_8equal_toIvEEiEE10hipError_tPvRmT2_T3_T4_T5_mT6_T7_P12ihipStream_tbENKUlT_T0_E_clISt17integral_constantIbLb1EESZ_EEDaSU_SV_EUlSU_E_NS1_11comp_targetILNS1_3genE9ELNS1_11target_archE1100ELNS1_3gpuE3ELNS1_3repE0EEENS1_30default_config_static_selectorELNS0_4arch9wavefront6targetE1EEEvT1_
                                        ; -- End function
	.section	.AMDGPU.csdata,"",@progbits
; Kernel info:
; codeLenInByte = 0
; NumSgprs: 4
; NumVgprs: 0
; NumAgprs: 0
; TotalNumVgprs: 0
; ScratchSize: 0
; MemoryBound: 0
; FloatMode: 240
; IeeeMode: 1
; LDSByteSize: 0 bytes/workgroup (compile time only)
; SGPRBlocks: 0
; VGPRBlocks: 0
; NumSGPRsForWavesPerEU: 4
; NumVGPRsForWavesPerEU: 1
; AccumOffset: 4
; Occupancy: 8
; WaveLimiterHint : 0
; COMPUTE_PGM_RSRC2:SCRATCH_EN: 0
; COMPUTE_PGM_RSRC2:USER_SGPR: 6
; COMPUTE_PGM_RSRC2:TRAP_HANDLER: 0
; COMPUTE_PGM_RSRC2:TGID_X_EN: 1
; COMPUTE_PGM_RSRC2:TGID_Y_EN: 0
; COMPUTE_PGM_RSRC2:TGID_Z_EN: 0
; COMPUTE_PGM_RSRC2:TIDIG_COMP_CNT: 0
; COMPUTE_PGM_RSRC3_GFX90A:ACCUM_OFFSET: 0
; COMPUTE_PGM_RSRC3_GFX90A:TG_SPLIT: 0
	.section	.text._ZN7rocprim17ROCPRIM_400000_NS6detail17trampoline_kernelINS0_14default_configENS1_27scan_by_key_config_selectorIiiEEZZNS1_16scan_by_key_implILNS1_25lookback_scan_determinismE0ELb1ES3_N6thrust23THRUST_200600_302600_NS6detail15normal_iteratorINS9_10device_ptrIiEEEESE_SE_iNS9_4plusIvEENS9_8equal_toIvEEiEE10hipError_tPvRmT2_T3_T4_T5_mT6_T7_P12ihipStream_tbENKUlT_T0_E_clISt17integral_constantIbLb1EESZ_EEDaSU_SV_EUlSU_E_NS1_11comp_targetILNS1_3genE8ELNS1_11target_archE1030ELNS1_3gpuE2ELNS1_3repE0EEENS1_30default_config_static_selectorELNS0_4arch9wavefront6targetE1EEEvT1_,"axG",@progbits,_ZN7rocprim17ROCPRIM_400000_NS6detail17trampoline_kernelINS0_14default_configENS1_27scan_by_key_config_selectorIiiEEZZNS1_16scan_by_key_implILNS1_25lookback_scan_determinismE0ELb1ES3_N6thrust23THRUST_200600_302600_NS6detail15normal_iteratorINS9_10device_ptrIiEEEESE_SE_iNS9_4plusIvEENS9_8equal_toIvEEiEE10hipError_tPvRmT2_T3_T4_T5_mT6_T7_P12ihipStream_tbENKUlT_T0_E_clISt17integral_constantIbLb1EESZ_EEDaSU_SV_EUlSU_E_NS1_11comp_targetILNS1_3genE8ELNS1_11target_archE1030ELNS1_3gpuE2ELNS1_3repE0EEENS1_30default_config_static_selectorELNS0_4arch9wavefront6targetE1EEEvT1_,comdat
	.protected	_ZN7rocprim17ROCPRIM_400000_NS6detail17trampoline_kernelINS0_14default_configENS1_27scan_by_key_config_selectorIiiEEZZNS1_16scan_by_key_implILNS1_25lookback_scan_determinismE0ELb1ES3_N6thrust23THRUST_200600_302600_NS6detail15normal_iteratorINS9_10device_ptrIiEEEESE_SE_iNS9_4plusIvEENS9_8equal_toIvEEiEE10hipError_tPvRmT2_T3_T4_T5_mT6_T7_P12ihipStream_tbENKUlT_T0_E_clISt17integral_constantIbLb1EESZ_EEDaSU_SV_EUlSU_E_NS1_11comp_targetILNS1_3genE8ELNS1_11target_archE1030ELNS1_3gpuE2ELNS1_3repE0EEENS1_30default_config_static_selectorELNS0_4arch9wavefront6targetE1EEEvT1_ ; -- Begin function _ZN7rocprim17ROCPRIM_400000_NS6detail17trampoline_kernelINS0_14default_configENS1_27scan_by_key_config_selectorIiiEEZZNS1_16scan_by_key_implILNS1_25lookback_scan_determinismE0ELb1ES3_N6thrust23THRUST_200600_302600_NS6detail15normal_iteratorINS9_10device_ptrIiEEEESE_SE_iNS9_4plusIvEENS9_8equal_toIvEEiEE10hipError_tPvRmT2_T3_T4_T5_mT6_T7_P12ihipStream_tbENKUlT_T0_E_clISt17integral_constantIbLb1EESZ_EEDaSU_SV_EUlSU_E_NS1_11comp_targetILNS1_3genE8ELNS1_11target_archE1030ELNS1_3gpuE2ELNS1_3repE0EEENS1_30default_config_static_selectorELNS0_4arch9wavefront6targetE1EEEvT1_
	.globl	_ZN7rocprim17ROCPRIM_400000_NS6detail17trampoline_kernelINS0_14default_configENS1_27scan_by_key_config_selectorIiiEEZZNS1_16scan_by_key_implILNS1_25lookback_scan_determinismE0ELb1ES3_N6thrust23THRUST_200600_302600_NS6detail15normal_iteratorINS9_10device_ptrIiEEEESE_SE_iNS9_4plusIvEENS9_8equal_toIvEEiEE10hipError_tPvRmT2_T3_T4_T5_mT6_T7_P12ihipStream_tbENKUlT_T0_E_clISt17integral_constantIbLb1EESZ_EEDaSU_SV_EUlSU_E_NS1_11comp_targetILNS1_3genE8ELNS1_11target_archE1030ELNS1_3gpuE2ELNS1_3repE0EEENS1_30default_config_static_selectorELNS0_4arch9wavefront6targetE1EEEvT1_
	.p2align	8
	.type	_ZN7rocprim17ROCPRIM_400000_NS6detail17trampoline_kernelINS0_14default_configENS1_27scan_by_key_config_selectorIiiEEZZNS1_16scan_by_key_implILNS1_25lookback_scan_determinismE0ELb1ES3_N6thrust23THRUST_200600_302600_NS6detail15normal_iteratorINS9_10device_ptrIiEEEESE_SE_iNS9_4plusIvEENS9_8equal_toIvEEiEE10hipError_tPvRmT2_T3_T4_T5_mT6_T7_P12ihipStream_tbENKUlT_T0_E_clISt17integral_constantIbLb1EESZ_EEDaSU_SV_EUlSU_E_NS1_11comp_targetILNS1_3genE8ELNS1_11target_archE1030ELNS1_3gpuE2ELNS1_3repE0EEENS1_30default_config_static_selectorELNS0_4arch9wavefront6targetE1EEEvT1_,@function
_ZN7rocprim17ROCPRIM_400000_NS6detail17trampoline_kernelINS0_14default_configENS1_27scan_by_key_config_selectorIiiEEZZNS1_16scan_by_key_implILNS1_25lookback_scan_determinismE0ELb1ES3_N6thrust23THRUST_200600_302600_NS6detail15normal_iteratorINS9_10device_ptrIiEEEESE_SE_iNS9_4plusIvEENS9_8equal_toIvEEiEE10hipError_tPvRmT2_T3_T4_T5_mT6_T7_P12ihipStream_tbENKUlT_T0_E_clISt17integral_constantIbLb1EESZ_EEDaSU_SV_EUlSU_E_NS1_11comp_targetILNS1_3genE8ELNS1_11target_archE1030ELNS1_3gpuE2ELNS1_3repE0EEENS1_30default_config_static_selectorELNS0_4arch9wavefront6targetE1EEEvT1_: ; @_ZN7rocprim17ROCPRIM_400000_NS6detail17trampoline_kernelINS0_14default_configENS1_27scan_by_key_config_selectorIiiEEZZNS1_16scan_by_key_implILNS1_25lookback_scan_determinismE0ELb1ES3_N6thrust23THRUST_200600_302600_NS6detail15normal_iteratorINS9_10device_ptrIiEEEESE_SE_iNS9_4plusIvEENS9_8equal_toIvEEiEE10hipError_tPvRmT2_T3_T4_T5_mT6_T7_P12ihipStream_tbENKUlT_T0_E_clISt17integral_constantIbLb1EESZ_EEDaSU_SV_EUlSU_E_NS1_11comp_targetILNS1_3genE8ELNS1_11target_archE1030ELNS1_3gpuE2ELNS1_3repE0EEENS1_30default_config_static_selectorELNS0_4arch9wavefront6targetE1EEEvT1_
; %bb.0:
	.section	.rodata,"a",@progbits
	.p2align	6, 0x0
	.amdhsa_kernel _ZN7rocprim17ROCPRIM_400000_NS6detail17trampoline_kernelINS0_14default_configENS1_27scan_by_key_config_selectorIiiEEZZNS1_16scan_by_key_implILNS1_25lookback_scan_determinismE0ELb1ES3_N6thrust23THRUST_200600_302600_NS6detail15normal_iteratorINS9_10device_ptrIiEEEESE_SE_iNS9_4plusIvEENS9_8equal_toIvEEiEE10hipError_tPvRmT2_T3_T4_T5_mT6_T7_P12ihipStream_tbENKUlT_T0_E_clISt17integral_constantIbLb1EESZ_EEDaSU_SV_EUlSU_E_NS1_11comp_targetILNS1_3genE8ELNS1_11target_archE1030ELNS1_3gpuE2ELNS1_3repE0EEENS1_30default_config_static_selectorELNS0_4arch9wavefront6targetE1EEEvT1_
		.amdhsa_group_segment_fixed_size 0
		.amdhsa_private_segment_fixed_size 0
		.amdhsa_kernarg_size 112
		.amdhsa_user_sgpr_count 6
		.amdhsa_user_sgpr_private_segment_buffer 1
		.amdhsa_user_sgpr_dispatch_ptr 0
		.amdhsa_user_sgpr_queue_ptr 0
		.amdhsa_user_sgpr_kernarg_segment_ptr 1
		.amdhsa_user_sgpr_dispatch_id 0
		.amdhsa_user_sgpr_flat_scratch_init 0
		.amdhsa_user_sgpr_kernarg_preload_length 0
		.amdhsa_user_sgpr_kernarg_preload_offset 0
		.amdhsa_user_sgpr_private_segment_size 0
		.amdhsa_uses_dynamic_stack 0
		.amdhsa_system_sgpr_private_segment_wavefront_offset 0
		.amdhsa_system_sgpr_workgroup_id_x 1
		.amdhsa_system_sgpr_workgroup_id_y 0
		.amdhsa_system_sgpr_workgroup_id_z 0
		.amdhsa_system_sgpr_workgroup_info 0
		.amdhsa_system_vgpr_workitem_id 0
		.amdhsa_next_free_vgpr 1
		.amdhsa_next_free_sgpr 0
		.amdhsa_accum_offset 4
		.amdhsa_reserve_vcc 0
		.amdhsa_reserve_flat_scratch 0
		.amdhsa_float_round_mode_32 0
		.amdhsa_float_round_mode_16_64 0
		.amdhsa_float_denorm_mode_32 3
		.amdhsa_float_denorm_mode_16_64 3
		.amdhsa_dx10_clamp 1
		.amdhsa_ieee_mode 1
		.amdhsa_fp16_overflow 0
		.amdhsa_tg_split 0
		.amdhsa_exception_fp_ieee_invalid_op 0
		.amdhsa_exception_fp_denorm_src 0
		.amdhsa_exception_fp_ieee_div_zero 0
		.amdhsa_exception_fp_ieee_overflow 0
		.amdhsa_exception_fp_ieee_underflow 0
		.amdhsa_exception_fp_ieee_inexact 0
		.amdhsa_exception_int_div_zero 0
	.end_amdhsa_kernel
	.section	.text._ZN7rocprim17ROCPRIM_400000_NS6detail17trampoline_kernelINS0_14default_configENS1_27scan_by_key_config_selectorIiiEEZZNS1_16scan_by_key_implILNS1_25lookback_scan_determinismE0ELb1ES3_N6thrust23THRUST_200600_302600_NS6detail15normal_iteratorINS9_10device_ptrIiEEEESE_SE_iNS9_4plusIvEENS9_8equal_toIvEEiEE10hipError_tPvRmT2_T3_T4_T5_mT6_T7_P12ihipStream_tbENKUlT_T0_E_clISt17integral_constantIbLb1EESZ_EEDaSU_SV_EUlSU_E_NS1_11comp_targetILNS1_3genE8ELNS1_11target_archE1030ELNS1_3gpuE2ELNS1_3repE0EEENS1_30default_config_static_selectorELNS0_4arch9wavefront6targetE1EEEvT1_,"axG",@progbits,_ZN7rocprim17ROCPRIM_400000_NS6detail17trampoline_kernelINS0_14default_configENS1_27scan_by_key_config_selectorIiiEEZZNS1_16scan_by_key_implILNS1_25lookback_scan_determinismE0ELb1ES3_N6thrust23THRUST_200600_302600_NS6detail15normal_iteratorINS9_10device_ptrIiEEEESE_SE_iNS9_4plusIvEENS9_8equal_toIvEEiEE10hipError_tPvRmT2_T3_T4_T5_mT6_T7_P12ihipStream_tbENKUlT_T0_E_clISt17integral_constantIbLb1EESZ_EEDaSU_SV_EUlSU_E_NS1_11comp_targetILNS1_3genE8ELNS1_11target_archE1030ELNS1_3gpuE2ELNS1_3repE0EEENS1_30default_config_static_selectorELNS0_4arch9wavefront6targetE1EEEvT1_,comdat
.Lfunc_end478:
	.size	_ZN7rocprim17ROCPRIM_400000_NS6detail17trampoline_kernelINS0_14default_configENS1_27scan_by_key_config_selectorIiiEEZZNS1_16scan_by_key_implILNS1_25lookback_scan_determinismE0ELb1ES3_N6thrust23THRUST_200600_302600_NS6detail15normal_iteratorINS9_10device_ptrIiEEEESE_SE_iNS9_4plusIvEENS9_8equal_toIvEEiEE10hipError_tPvRmT2_T3_T4_T5_mT6_T7_P12ihipStream_tbENKUlT_T0_E_clISt17integral_constantIbLb1EESZ_EEDaSU_SV_EUlSU_E_NS1_11comp_targetILNS1_3genE8ELNS1_11target_archE1030ELNS1_3gpuE2ELNS1_3repE0EEENS1_30default_config_static_selectorELNS0_4arch9wavefront6targetE1EEEvT1_, .Lfunc_end478-_ZN7rocprim17ROCPRIM_400000_NS6detail17trampoline_kernelINS0_14default_configENS1_27scan_by_key_config_selectorIiiEEZZNS1_16scan_by_key_implILNS1_25lookback_scan_determinismE0ELb1ES3_N6thrust23THRUST_200600_302600_NS6detail15normal_iteratorINS9_10device_ptrIiEEEESE_SE_iNS9_4plusIvEENS9_8equal_toIvEEiEE10hipError_tPvRmT2_T3_T4_T5_mT6_T7_P12ihipStream_tbENKUlT_T0_E_clISt17integral_constantIbLb1EESZ_EEDaSU_SV_EUlSU_E_NS1_11comp_targetILNS1_3genE8ELNS1_11target_archE1030ELNS1_3gpuE2ELNS1_3repE0EEENS1_30default_config_static_selectorELNS0_4arch9wavefront6targetE1EEEvT1_
                                        ; -- End function
	.section	.AMDGPU.csdata,"",@progbits
; Kernel info:
; codeLenInByte = 0
; NumSgprs: 4
; NumVgprs: 0
; NumAgprs: 0
; TotalNumVgprs: 0
; ScratchSize: 0
; MemoryBound: 0
; FloatMode: 240
; IeeeMode: 1
; LDSByteSize: 0 bytes/workgroup (compile time only)
; SGPRBlocks: 0
; VGPRBlocks: 0
; NumSGPRsForWavesPerEU: 4
; NumVGPRsForWavesPerEU: 1
; AccumOffset: 4
; Occupancy: 8
; WaveLimiterHint : 0
; COMPUTE_PGM_RSRC2:SCRATCH_EN: 0
; COMPUTE_PGM_RSRC2:USER_SGPR: 6
; COMPUTE_PGM_RSRC2:TRAP_HANDLER: 0
; COMPUTE_PGM_RSRC2:TGID_X_EN: 1
; COMPUTE_PGM_RSRC2:TGID_Y_EN: 0
; COMPUTE_PGM_RSRC2:TGID_Z_EN: 0
; COMPUTE_PGM_RSRC2:TIDIG_COMP_CNT: 0
; COMPUTE_PGM_RSRC3_GFX90A:ACCUM_OFFSET: 0
; COMPUTE_PGM_RSRC3_GFX90A:TG_SPLIT: 0
	.section	.text._ZN7rocprim17ROCPRIM_400000_NS6detail17trampoline_kernelINS0_14default_configENS1_27scan_by_key_config_selectorIiiEEZZNS1_16scan_by_key_implILNS1_25lookback_scan_determinismE0ELb1ES3_N6thrust23THRUST_200600_302600_NS6detail15normal_iteratorINS9_10device_ptrIiEEEESE_SE_iNS9_4plusIvEENS9_8equal_toIvEEiEE10hipError_tPvRmT2_T3_T4_T5_mT6_T7_P12ihipStream_tbENKUlT_T0_E_clISt17integral_constantIbLb1EESY_IbLb0EEEEDaSU_SV_EUlSU_E_NS1_11comp_targetILNS1_3genE0ELNS1_11target_archE4294967295ELNS1_3gpuE0ELNS1_3repE0EEENS1_30default_config_static_selectorELNS0_4arch9wavefront6targetE1EEEvT1_,"axG",@progbits,_ZN7rocprim17ROCPRIM_400000_NS6detail17trampoline_kernelINS0_14default_configENS1_27scan_by_key_config_selectorIiiEEZZNS1_16scan_by_key_implILNS1_25lookback_scan_determinismE0ELb1ES3_N6thrust23THRUST_200600_302600_NS6detail15normal_iteratorINS9_10device_ptrIiEEEESE_SE_iNS9_4plusIvEENS9_8equal_toIvEEiEE10hipError_tPvRmT2_T3_T4_T5_mT6_T7_P12ihipStream_tbENKUlT_T0_E_clISt17integral_constantIbLb1EESY_IbLb0EEEEDaSU_SV_EUlSU_E_NS1_11comp_targetILNS1_3genE0ELNS1_11target_archE4294967295ELNS1_3gpuE0ELNS1_3repE0EEENS1_30default_config_static_selectorELNS0_4arch9wavefront6targetE1EEEvT1_,comdat
	.protected	_ZN7rocprim17ROCPRIM_400000_NS6detail17trampoline_kernelINS0_14default_configENS1_27scan_by_key_config_selectorIiiEEZZNS1_16scan_by_key_implILNS1_25lookback_scan_determinismE0ELb1ES3_N6thrust23THRUST_200600_302600_NS6detail15normal_iteratorINS9_10device_ptrIiEEEESE_SE_iNS9_4plusIvEENS9_8equal_toIvEEiEE10hipError_tPvRmT2_T3_T4_T5_mT6_T7_P12ihipStream_tbENKUlT_T0_E_clISt17integral_constantIbLb1EESY_IbLb0EEEEDaSU_SV_EUlSU_E_NS1_11comp_targetILNS1_3genE0ELNS1_11target_archE4294967295ELNS1_3gpuE0ELNS1_3repE0EEENS1_30default_config_static_selectorELNS0_4arch9wavefront6targetE1EEEvT1_ ; -- Begin function _ZN7rocprim17ROCPRIM_400000_NS6detail17trampoline_kernelINS0_14default_configENS1_27scan_by_key_config_selectorIiiEEZZNS1_16scan_by_key_implILNS1_25lookback_scan_determinismE0ELb1ES3_N6thrust23THRUST_200600_302600_NS6detail15normal_iteratorINS9_10device_ptrIiEEEESE_SE_iNS9_4plusIvEENS9_8equal_toIvEEiEE10hipError_tPvRmT2_T3_T4_T5_mT6_T7_P12ihipStream_tbENKUlT_T0_E_clISt17integral_constantIbLb1EESY_IbLb0EEEEDaSU_SV_EUlSU_E_NS1_11comp_targetILNS1_3genE0ELNS1_11target_archE4294967295ELNS1_3gpuE0ELNS1_3repE0EEENS1_30default_config_static_selectorELNS0_4arch9wavefront6targetE1EEEvT1_
	.globl	_ZN7rocprim17ROCPRIM_400000_NS6detail17trampoline_kernelINS0_14default_configENS1_27scan_by_key_config_selectorIiiEEZZNS1_16scan_by_key_implILNS1_25lookback_scan_determinismE0ELb1ES3_N6thrust23THRUST_200600_302600_NS6detail15normal_iteratorINS9_10device_ptrIiEEEESE_SE_iNS9_4plusIvEENS9_8equal_toIvEEiEE10hipError_tPvRmT2_T3_T4_T5_mT6_T7_P12ihipStream_tbENKUlT_T0_E_clISt17integral_constantIbLb1EESY_IbLb0EEEEDaSU_SV_EUlSU_E_NS1_11comp_targetILNS1_3genE0ELNS1_11target_archE4294967295ELNS1_3gpuE0ELNS1_3repE0EEENS1_30default_config_static_selectorELNS0_4arch9wavefront6targetE1EEEvT1_
	.p2align	8
	.type	_ZN7rocprim17ROCPRIM_400000_NS6detail17trampoline_kernelINS0_14default_configENS1_27scan_by_key_config_selectorIiiEEZZNS1_16scan_by_key_implILNS1_25lookback_scan_determinismE0ELb1ES3_N6thrust23THRUST_200600_302600_NS6detail15normal_iteratorINS9_10device_ptrIiEEEESE_SE_iNS9_4plusIvEENS9_8equal_toIvEEiEE10hipError_tPvRmT2_T3_T4_T5_mT6_T7_P12ihipStream_tbENKUlT_T0_E_clISt17integral_constantIbLb1EESY_IbLb0EEEEDaSU_SV_EUlSU_E_NS1_11comp_targetILNS1_3genE0ELNS1_11target_archE4294967295ELNS1_3gpuE0ELNS1_3repE0EEENS1_30default_config_static_selectorELNS0_4arch9wavefront6targetE1EEEvT1_,@function
_ZN7rocprim17ROCPRIM_400000_NS6detail17trampoline_kernelINS0_14default_configENS1_27scan_by_key_config_selectorIiiEEZZNS1_16scan_by_key_implILNS1_25lookback_scan_determinismE0ELb1ES3_N6thrust23THRUST_200600_302600_NS6detail15normal_iteratorINS9_10device_ptrIiEEEESE_SE_iNS9_4plusIvEENS9_8equal_toIvEEiEE10hipError_tPvRmT2_T3_T4_T5_mT6_T7_P12ihipStream_tbENKUlT_T0_E_clISt17integral_constantIbLb1EESY_IbLb0EEEEDaSU_SV_EUlSU_E_NS1_11comp_targetILNS1_3genE0ELNS1_11target_archE4294967295ELNS1_3gpuE0ELNS1_3repE0EEENS1_30default_config_static_selectorELNS0_4arch9wavefront6targetE1EEEvT1_: ; @_ZN7rocprim17ROCPRIM_400000_NS6detail17trampoline_kernelINS0_14default_configENS1_27scan_by_key_config_selectorIiiEEZZNS1_16scan_by_key_implILNS1_25lookback_scan_determinismE0ELb1ES3_N6thrust23THRUST_200600_302600_NS6detail15normal_iteratorINS9_10device_ptrIiEEEESE_SE_iNS9_4plusIvEENS9_8equal_toIvEEiEE10hipError_tPvRmT2_T3_T4_T5_mT6_T7_P12ihipStream_tbENKUlT_T0_E_clISt17integral_constantIbLb1EESY_IbLb0EEEEDaSU_SV_EUlSU_E_NS1_11comp_targetILNS1_3genE0ELNS1_11target_archE4294967295ELNS1_3gpuE0ELNS1_3repE0EEENS1_30default_config_static_selectorELNS0_4arch9wavefront6targetE1EEEvT1_
; %bb.0:
	.section	.rodata,"a",@progbits
	.p2align	6, 0x0
	.amdhsa_kernel _ZN7rocprim17ROCPRIM_400000_NS6detail17trampoline_kernelINS0_14default_configENS1_27scan_by_key_config_selectorIiiEEZZNS1_16scan_by_key_implILNS1_25lookback_scan_determinismE0ELb1ES3_N6thrust23THRUST_200600_302600_NS6detail15normal_iteratorINS9_10device_ptrIiEEEESE_SE_iNS9_4plusIvEENS9_8equal_toIvEEiEE10hipError_tPvRmT2_T3_T4_T5_mT6_T7_P12ihipStream_tbENKUlT_T0_E_clISt17integral_constantIbLb1EESY_IbLb0EEEEDaSU_SV_EUlSU_E_NS1_11comp_targetILNS1_3genE0ELNS1_11target_archE4294967295ELNS1_3gpuE0ELNS1_3repE0EEENS1_30default_config_static_selectorELNS0_4arch9wavefront6targetE1EEEvT1_
		.amdhsa_group_segment_fixed_size 0
		.amdhsa_private_segment_fixed_size 0
		.amdhsa_kernarg_size 112
		.amdhsa_user_sgpr_count 6
		.amdhsa_user_sgpr_private_segment_buffer 1
		.amdhsa_user_sgpr_dispatch_ptr 0
		.amdhsa_user_sgpr_queue_ptr 0
		.amdhsa_user_sgpr_kernarg_segment_ptr 1
		.amdhsa_user_sgpr_dispatch_id 0
		.amdhsa_user_sgpr_flat_scratch_init 0
		.amdhsa_user_sgpr_kernarg_preload_length 0
		.amdhsa_user_sgpr_kernarg_preload_offset 0
		.amdhsa_user_sgpr_private_segment_size 0
		.amdhsa_uses_dynamic_stack 0
		.amdhsa_system_sgpr_private_segment_wavefront_offset 0
		.amdhsa_system_sgpr_workgroup_id_x 1
		.amdhsa_system_sgpr_workgroup_id_y 0
		.amdhsa_system_sgpr_workgroup_id_z 0
		.amdhsa_system_sgpr_workgroup_info 0
		.amdhsa_system_vgpr_workitem_id 0
		.amdhsa_next_free_vgpr 1
		.amdhsa_next_free_sgpr 0
		.amdhsa_accum_offset 4
		.amdhsa_reserve_vcc 0
		.amdhsa_reserve_flat_scratch 0
		.amdhsa_float_round_mode_32 0
		.amdhsa_float_round_mode_16_64 0
		.amdhsa_float_denorm_mode_32 3
		.amdhsa_float_denorm_mode_16_64 3
		.amdhsa_dx10_clamp 1
		.amdhsa_ieee_mode 1
		.amdhsa_fp16_overflow 0
		.amdhsa_tg_split 0
		.amdhsa_exception_fp_ieee_invalid_op 0
		.amdhsa_exception_fp_denorm_src 0
		.amdhsa_exception_fp_ieee_div_zero 0
		.amdhsa_exception_fp_ieee_overflow 0
		.amdhsa_exception_fp_ieee_underflow 0
		.amdhsa_exception_fp_ieee_inexact 0
		.amdhsa_exception_int_div_zero 0
	.end_amdhsa_kernel
	.section	.text._ZN7rocprim17ROCPRIM_400000_NS6detail17trampoline_kernelINS0_14default_configENS1_27scan_by_key_config_selectorIiiEEZZNS1_16scan_by_key_implILNS1_25lookback_scan_determinismE0ELb1ES3_N6thrust23THRUST_200600_302600_NS6detail15normal_iteratorINS9_10device_ptrIiEEEESE_SE_iNS9_4plusIvEENS9_8equal_toIvEEiEE10hipError_tPvRmT2_T3_T4_T5_mT6_T7_P12ihipStream_tbENKUlT_T0_E_clISt17integral_constantIbLb1EESY_IbLb0EEEEDaSU_SV_EUlSU_E_NS1_11comp_targetILNS1_3genE0ELNS1_11target_archE4294967295ELNS1_3gpuE0ELNS1_3repE0EEENS1_30default_config_static_selectorELNS0_4arch9wavefront6targetE1EEEvT1_,"axG",@progbits,_ZN7rocprim17ROCPRIM_400000_NS6detail17trampoline_kernelINS0_14default_configENS1_27scan_by_key_config_selectorIiiEEZZNS1_16scan_by_key_implILNS1_25lookback_scan_determinismE0ELb1ES3_N6thrust23THRUST_200600_302600_NS6detail15normal_iteratorINS9_10device_ptrIiEEEESE_SE_iNS9_4plusIvEENS9_8equal_toIvEEiEE10hipError_tPvRmT2_T3_T4_T5_mT6_T7_P12ihipStream_tbENKUlT_T0_E_clISt17integral_constantIbLb1EESY_IbLb0EEEEDaSU_SV_EUlSU_E_NS1_11comp_targetILNS1_3genE0ELNS1_11target_archE4294967295ELNS1_3gpuE0ELNS1_3repE0EEENS1_30default_config_static_selectorELNS0_4arch9wavefront6targetE1EEEvT1_,comdat
.Lfunc_end479:
	.size	_ZN7rocprim17ROCPRIM_400000_NS6detail17trampoline_kernelINS0_14default_configENS1_27scan_by_key_config_selectorIiiEEZZNS1_16scan_by_key_implILNS1_25lookback_scan_determinismE0ELb1ES3_N6thrust23THRUST_200600_302600_NS6detail15normal_iteratorINS9_10device_ptrIiEEEESE_SE_iNS9_4plusIvEENS9_8equal_toIvEEiEE10hipError_tPvRmT2_T3_T4_T5_mT6_T7_P12ihipStream_tbENKUlT_T0_E_clISt17integral_constantIbLb1EESY_IbLb0EEEEDaSU_SV_EUlSU_E_NS1_11comp_targetILNS1_3genE0ELNS1_11target_archE4294967295ELNS1_3gpuE0ELNS1_3repE0EEENS1_30default_config_static_selectorELNS0_4arch9wavefront6targetE1EEEvT1_, .Lfunc_end479-_ZN7rocprim17ROCPRIM_400000_NS6detail17trampoline_kernelINS0_14default_configENS1_27scan_by_key_config_selectorIiiEEZZNS1_16scan_by_key_implILNS1_25lookback_scan_determinismE0ELb1ES3_N6thrust23THRUST_200600_302600_NS6detail15normal_iteratorINS9_10device_ptrIiEEEESE_SE_iNS9_4plusIvEENS9_8equal_toIvEEiEE10hipError_tPvRmT2_T3_T4_T5_mT6_T7_P12ihipStream_tbENKUlT_T0_E_clISt17integral_constantIbLb1EESY_IbLb0EEEEDaSU_SV_EUlSU_E_NS1_11comp_targetILNS1_3genE0ELNS1_11target_archE4294967295ELNS1_3gpuE0ELNS1_3repE0EEENS1_30default_config_static_selectorELNS0_4arch9wavefront6targetE1EEEvT1_
                                        ; -- End function
	.section	.AMDGPU.csdata,"",@progbits
; Kernel info:
; codeLenInByte = 0
; NumSgprs: 4
; NumVgprs: 0
; NumAgprs: 0
; TotalNumVgprs: 0
; ScratchSize: 0
; MemoryBound: 0
; FloatMode: 240
; IeeeMode: 1
; LDSByteSize: 0 bytes/workgroup (compile time only)
; SGPRBlocks: 0
; VGPRBlocks: 0
; NumSGPRsForWavesPerEU: 4
; NumVGPRsForWavesPerEU: 1
; AccumOffset: 4
; Occupancy: 8
; WaveLimiterHint : 0
; COMPUTE_PGM_RSRC2:SCRATCH_EN: 0
; COMPUTE_PGM_RSRC2:USER_SGPR: 6
; COMPUTE_PGM_RSRC2:TRAP_HANDLER: 0
; COMPUTE_PGM_RSRC2:TGID_X_EN: 1
; COMPUTE_PGM_RSRC2:TGID_Y_EN: 0
; COMPUTE_PGM_RSRC2:TGID_Z_EN: 0
; COMPUTE_PGM_RSRC2:TIDIG_COMP_CNT: 0
; COMPUTE_PGM_RSRC3_GFX90A:ACCUM_OFFSET: 0
; COMPUTE_PGM_RSRC3_GFX90A:TG_SPLIT: 0
	.section	.text._ZN7rocprim17ROCPRIM_400000_NS6detail17trampoline_kernelINS0_14default_configENS1_27scan_by_key_config_selectorIiiEEZZNS1_16scan_by_key_implILNS1_25lookback_scan_determinismE0ELb1ES3_N6thrust23THRUST_200600_302600_NS6detail15normal_iteratorINS9_10device_ptrIiEEEESE_SE_iNS9_4plusIvEENS9_8equal_toIvEEiEE10hipError_tPvRmT2_T3_T4_T5_mT6_T7_P12ihipStream_tbENKUlT_T0_E_clISt17integral_constantIbLb1EESY_IbLb0EEEEDaSU_SV_EUlSU_E_NS1_11comp_targetILNS1_3genE10ELNS1_11target_archE1201ELNS1_3gpuE5ELNS1_3repE0EEENS1_30default_config_static_selectorELNS0_4arch9wavefront6targetE1EEEvT1_,"axG",@progbits,_ZN7rocprim17ROCPRIM_400000_NS6detail17trampoline_kernelINS0_14default_configENS1_27scan_by_key_config_selectorIiiEEZZNS1_16scan_by_key_implILNS1_25lookback_scan_determinismE0ELb1ES3_N6thrust23THRUST_200600_302600_NS6detail15normal_iteratorINS9_10device_ptrIiEEEESE_SE_iNS9_4plusIvEENS9_8equal_toIvEEiEE10hipError_tPvRmT2_T3_T4_T5_mT6_T7_P12ihipStream_tbENKUlT_T0_E_clISt17integral_constantIbLb1EESY_IbLb0EEEEDaSU_SV_EUlSU_E_NS1_11comp_targetILNS1_3genE10ELNS1_11target_archE1201ELNS1_3gpuE5ELNS1_3repE0EEENS1_30default_config_static_selectorELNS0_4arch9wavefront6targetE1EEEvT1_,comdat
	.protected	_ZN7rocprim17ROCPRIM_400000_NS6detail17trampoline_kernelINS0_14default_configENS1_27scan_by_key_config_selectorIiiEEZZNS1_16scan_by_key_implILNS1_25lookback_scan_determinismE0ELb1ES3_N6thrust23THRUST_200600_302600_NS6detail15normal_iteratorINS9_10device_ptrIiEEEESE_SE_iNS9_4plusIvEENS9_8equal_toIvEEiEE10hipError_tPvRmT2_T3_T4_T5_mT6_T7_P12ihipStream_tbENKUlT_T0_E_clISt17integral_constantIbLb1EESY_IbLb0EEEEDaSU_SV_EUlSU_E_NS1_11comp_targetILNS1_3genE10ELNS1_11target_archE1201ELNS1_3gpuE5ELNS1_3repE0EEENS1_30default_config_static_selectorELNS0_4arch9wavefront6targetE1EEEvT1_ ; -- Begin function _ZN7rocprim17ROCPRIM_400000_NS6detail17trampoline_kernelINS0_14default_configENS1_27scan_by_key_config_selectorIiiEEZZNS1_16scan_by_key_implILNS1_25lookback_scan_determinismE0ELb1ES3_N6thrust23THRUST_200600_302600_NS6detail15normal_iteratorINS9_10device_ptrIiEEEESE_SE_iNS9_4plusIvEENS9_8equal_toIvEEiEE10hipError_tPvRmT2_T3_T4_T5_mT6_T7_P12ihipStream_tbENKUlT_T0_E_clISt17integral_constantIbLb1EESY_IbLb0EEEEDaSU_SV_EUlSU_E_NS1_11comp_targetILNS1_3genE10ELNS1_11target_archE1201ELNS1_3gpuE5ELNS1_3repE0EEENS1_30default_config_static_selectorELNS0_4arch9wavefront6targetE1EEEvT1_
	.globl	_ZN7rocprim17ROCPRIM_400000_NS6detail17trampoline_kernelINS0_14default_configENS1_27scan_by_key_config_selectorIiiEEZZNS1_16scan_by_key_implILNS1_25lookback_scan_determinismE0ELb1ES3_N6thrust23THRUST_200600_302600_NS6detail15normal_iteratorINS9_10device_ptrIiEEEESE_SE_iNS9_4plusIvEENS9_8equal_toIvEEiEE10hipError_tPvRmT2_T3_T4_T5_mT6_T7_P12ihipStream_tbENKUlT_T0_E_clISt17integral_constantIbLb1EESY_IbLb0EEEEDaSU_SV_EUlSU_E_NS1_11comp_targetILNS1_3genE10ELNS1_11target_archE1201ELNS1_3gpuE5ELNS1_3repE0EEENS1_30default_config_static_selectorELNS0_4arch9wavefront6targetE1EEEvT1_
	.p2align	8
	.type	_ZN7rocprim17ROCPRIM_400000_NS6detail17trampoline_kernelINS0_14default_configENS1_27scan_by_key_config_selectorIiiEEZZNS1_16scan_by_key_implILNS1_25lookback_scan_determinismE0ELb1ES3_N6thrust23THRUST_200600_302600_NS6detail15normal_iteratorINS9_10device_ptrIiEEEESE_SE_iNS9_4plusIvEENS9_8equal_toIvEEiEE10hipError_tPvRmT2_T3_T4_T5_mT6_T7_P12ihipStream_tbENKUlT_T0_E_clISt17integral_constantIbLb1EESY_IbLb0EEEEDaSU_SV_EUlSU_E_NS1_11comp_targetILNS1_3genE10ELNS1_11target_archE1201ELNS1_3gpuE5ELNS1_3repE0EEENS1_30default_config_static_selectorELNS0_4arch9wavefront6targetE1EEEvT1_,@function
_ZN7rocprim17ROCPRIM_400000_NS6detail17trampoline_kernelINS0_14default_configENS1_27scan_by_key_config_selectorIiiEEZZNS1_16scan_by_key_implILNS1_25lookback_scan_determinismE0ELb1ES3_N6thrust23THRUST_200600_302600_NS6detail15normal_iteratorINS9_10device_ptrIiEEEESE_SE_iNS9_4plusIvEENS9_8equal_toIvEEiEE10hipError_tPvRmT2_T3_T4_T5_mT6_T7_P12ihipStream_tbENKUlT_T0_E_clISt17integral_constantIbLb1EESY_IbLb0EEEEDaSU_SV_EUlSU_E_NS1_11comp_targetILNS1_3genE10ELNS1_11target_archE1201ELNS1_3gpuE5ELNS1_3repE0EEENS1_30default_config_static_selectorELNS0_4arch9wavefront6targetE1EEEvT1_: ; @_ZN7rocprim17ROCPRIM_400000_NS6detail17trampoline_kernelINS0_14default_configENS1_27scan_by_key_config_selectorIiiEEZZNS1_16scan_by_key_implILNS1_25lookback_scan_determinismE0ELb1ES3_N6thrust23THRUST_200600_302600_NS6detail15normal_iteratorINS9_10device_ptrIiEEEESE_SE_iNS9_4plusIvEENS9_8equal_toIvEEiEE10hipError_tPvRmT2_T3_T4_T5_mT6_T7_P12ihipStream_tbENKUlT_T0_E_clISt17integral_constantIbLb1EESY_IbLb0EEEEDaSU_SV_EUlSU_E_NS1_11comp_targetILNS1_3genE10ELNS1_11target_archE1201ELNS1_3gpuE5ELNS1_3repE0EEENS1_30default_config_static_selectorELNS0_4arch9wavefront6targetE1EEEvT1_
; %bb.0:
	.section	.rodata,"a",@progbits
	.p2align	6, 0x0
	.amdhsa_kernel _ZN7rocprim17ROCPRIM_400000_NS6detail17trampoline_kernelINS0_14default_configENS1_27scan_by_key_config_selectorIiiEEZZNS1_16scan_by_key_implILNS1_25lookback_scan_determinismE0ELb1ES3_N6thrust23THRUST_200600_302600_NS6detail15normal_iteratorINS9_10device_ptrIiEEEESE_SE_iNS9_4plusIvEENS9_8equal_toIvEEiEE10hipError_tPvRmT2_T3_T4_T5_mT6_T7_P12ihipStream_tbENKUlT_T0_E_clISt17integral_constantIbLb1EESY_IbLb0EEEEDaSU_SV_EUlSU_E_NS1_11comp_targetILNS1_3genE10ELNS1_11target_archE1201ELNS1_3gpuE5ELNS1_3repE0EEENS1_30default_config_static_selectorELNS0_4arch9wavefront6targetE1EEEvT1_
		.amdhsa_group_segment_fixed_size 0
		.amdhsa_private_segment_fixed_size 0
		.amdhsa_kernarg_size 112
		.amdhsa_user_sgpr_count 6
		.amdhsa_user_sgpr_private_segment_buffer 1
		.amdhsa_user_sgpr_dispatch_ptr 0
		.amdhsa_user_sgpr_queue_ptr 0
		.amdhsa_user_sgpr_kernarg_segment_ptr 1
		.amdhsa_user_sgpr_dispatch_id 0
		.amdhsa_user_sgpr_flat_scratch_init 0
		.amdhsa_user_sgpr_kernarg_preload_length 0
		.amdhsa_user_sgpr_kernarg_preload_offset 0
		.amdhsa_user_sgpr_private_segment_size 0
		.amdhsa_uses_dynamic_stack 0
		.amdhsa_system_sgpr_private_segment_wavefront_offset 0
		.amdhsa_system_sgpr_workgroup_id_x 1
		.amdhsa_system_sgpr_workgroup_id_y 0
		.amdhsa_system_sgpr_workgroup_id_z 0
		.amdhsa_system_sgpr_workgroup_info 0
		.amdhsa_system_vgpr_workitem_id 0
		.amdhsa_next_free_vgpr 1
		.amdhsa_next_free_sgpr 0
		.amdhsa_accum_offset 4
		.amdhsa_reserve_vcc 0
		.amdhsa_reserve_flat_scratch 0
		.amdhsa_float_round_mode_32 0
		.amdhsa_float_round_mode_16_64 0
		.amdhsa_float_denorm_mode_32 3
		.amdhsa_float_denorm_mode_16_64 3
		.amdhsa_dx10_clamp 1
		.amdhsa_ieee_mode 1
		.amdhsa_fp16_overflow 0
		.amdhsa_tg_split 0
		.amdhsa_exception_fp_ieee_invalid_op 0
		.amdhsa_exception_fp_denorm_src 0
		.amdhsa_exception_fp_ieee_div_zero 0
		.amdhsa_exception_fp_ieee_overflow 0
		.amdhsa_exception_fp_ieee_underflow 0
		.amdhsa_exception_fp_ieee_inexact 0
		.amdhsa_exception_int_div_zero 0
	.end_amdhsa_kernel
	.section	.text._ZN7rocprim17ROCPRIM_400000_NS6detail17trampoline_kernelINS0_14default_configENS1_27scan_by_key_config_selectorIiiEEZZNS1_16scan_by_key_implILNS1_25lookback_scan_determinismE0ELb1ES3_N6thrust23THRUST_200600_302600_NS6detail15normal_iteratorINS9_10device_ptrIiEEEESE_SE_iNS9_4plusIvEENS9_8equal_toIvEEiEE10hipError_tPvRmT2_T3_T4_T5_mT6_T7_P12ihipStream_tbENKUlT_T0_E_clISt17integral_constantIbLb1EESY_IbLb0EEEEDaSU_SV_EUlSU_E_NS1_11comp_targetILNS1_3genE10ELNS1_11target_archE1201ELNS1_3gpuE5ELNS1_3repE0EEENS1_30default_config_static_selectorELNS0_4arch9wavefront6targetE1EEEvT1_,"axG",@progbits,_ZN7rocprim17ROCPRIM_400000_NS6detail17trampoline_kernelINS0_14default_configENS1_27scan_by_key_config_selectorIiiEEZZNS1_16scan_by_key_implILNS1_25lookback_scan_determinismE0ELb1ES3_N6thrust23THRUST_200600_302600_NS6detail15normal_iteratorINS9_10device_ptrIiEEEESE_SE_iNS9_4plusIvEENS9_8equal_toIvEEiEE10hipError_tPvRmT2_T3_T4_T5_mT6_T7_P12ihipStream_tbENKUlT_T0_E_clISt17integral_constantIbLb1EESY_IbLb0EEEEDaSU_SV_EUlSU_E_NS1_11comp_targetILNS1_3genE10ELNS1_11target_archE1201ELNS1_3gpuE5ELNS1_3repE0EEENS1_30default_config_static_selectorELNS0_4arch9wavefront6targetE1EEEvT1_,comdat
.Lfunc_end480:
	.size	_ZN7rocprim17ROCPRIM_400000_NS6detail17trampoline_kernelINS0_14default_configENS1_27scan_by_key_config_selectorIiiEEZZNS1_16scan_by_key_implILNS1_25lookback_scan_determinismE0ELb1ES3_N6thrust23THRUST_200600_302600_NS6detail15normal_iteratorINS9_10device_ptrIiEEEESE_SE_iNS9_4plusIvEENS9_8equal_toIvEEiEE10hipError_tPvRmT2_T3_T4_T5_mT6_T7_P12ihipStream_tbENKUlT_T0_E_clISt17integral_constantIbLb1EESY_IbLb0EEEEDaSU_SV_EUlSU_E_NS1_11comp_targetILNS1_3genE10ELNS1_11target_archE1201ELNS1_3gpuE5ELNS1_3repE0EEENS1_30default_config_static_selectorELNS0_4arch9wavefront6targetE1EEEvT1_, .Lfunc_end480-_ZN7rocprim17ROCPRIM_400000_NS6detail17trampoline_kernelINS0_14default_configENS1_27scan_by_key_config_selectorIiiEEZZNS1_16scan_by_key_implILNS1_25lookback_scan_determinismE0ELb1ES3_N6thrust23THRUST_200600_302600_NS6detail15normal_iteratorINS9_10device_ptrIiEEEESE_SE_iNS9_4plusIvEENS9_8equal_toIvEEiEE10hipError_tPvRmT2_T3_T4_T5_mT6_T7_P12ihipStream_tbENKUlT_T0_E_clISt17integral_constantIbLb1EESY_IbLb0EEEEDaSU_SV_EUlSU_E_NS1_11comp_targetILNS1_3genE10ELNS1_11target_archE1201ELNS1_3gpuE5ELNS1_3repE0EEENS1_30default_config_static_selectorELNS0_4arch9wavefront6targetE1EEEvT1_
                                        ; -- End function
	.section	.AMDGPU.csdata,"",@progbits
; Kernel info:
; codeLenInByte = 0
; NumSgprs: 4
; NumVgprs: 0
; NumAgprs: 0
; TotalNumVgprs: 0
; ScratchSize: 0
; MemoryBound: 0
; FloatMode: 240
; IeeeMode: 1
; LDSByteSize: 0 bytes/workgroup (compile time only)
; SGPRBlocks: 0
; VGPRBlocks: 0
; NumSGPRsForWavesPerEU: 4
; NumVGPRsForWavesPerEU: 1
; AccumOffset: 4
; Occupancy: 8
; WaveLimiterHint : 0
; COMPUTE_PGM_RSRC2:SCRATCH_EN: 0
; COMPUTE_PGM_RSRC2:USER_SGPR: 6
; COMPUTE_PGM_RSRC2:TRAP_HANDLER: 0
; COMPUTE_PGM_RSRC2:TGID_X_EN: 1
; COMPUTE_PGM_RSRC2:TGID_Y_EN: 0
; COMPUTE_PGM_RSRC2:TGID_Z_EN: 0
; COMPUTE_PGM_RSRC2:TIDIG_COMP_CNT: 0
; COMPUTE_PGM_RSRC3_GFX90A:ACCUM_OFFSET: 0
; COMPUTE_PGM_RSRC3_GFX90A:TG_SPLIT: 0
	.section	.text._ZN7rocprim17ROCPRIM_400000_NS6detail17trampoline_kernelINS0_14default_configENS1_27scan_by_key_config_selectorIiiEEZZNS1_16scan_by_key_implILNS1_25lookback_scan_determinismE0ELb1ES3_N6thrust23THRUST_200600_302600_NS6detail15normal_iteratorINS9_10device_ptrIiEEEESE_SE_iNS9_4plusIvEENS9_8equal_toIvEEiEE10hipError_tPvRmT2_T3_T4_T5_mT6_T7_P12ihipStream_tbENKUlT_T0_E_clISt17integral_constantIbLb1EESY_IbLb0EEEEDaSU_SV_EUlSU_E_NS1_11comp_targetILNS1_3genE5ELNS1_11target_archE942ELNS1_3gpuE9ELNS1_3repE0EEENS1_30default_config_static_selectorELNS0_4arch9wavefront6targetE1EEEvT1_,"axG",@progbits,_ZN7rocprim17ROCPRIM_400000_NS6detail17trampoline_kernelINS0_14default_configENS1_27scan_by_key_config_selectorIiiEEZZNS1_16scan_by_key_implILNS1_25lookback_scan_determinismE0ELb1ES3_N6thrust23THRUST_200600_302600_NS6detail15normal_iteratorINS9_10device_ptrIiEEEESE_SE_iNS9_4plusIvEENS9_8equal_toIvEEiEE10hipError_tPvRmT2_T3_T4_T5_mT6_T7_P12ihipStream_tbENKUlT_T0_E_clISt17integral_constantIbLb1EESY_IbLb0EEEEDaSU_SV_EUlSU_E_NS1_11comp_targetILNS1_3genE5ELNS1_11target_archE942ELNS1_3gpuE9ELNS1_3repE0EEENS1_30default_config_static_selectorELNS0_4arch9wavefront6targetE1EEEvT1_,comdat
	.protected	_ZN7rocprim17ROCPRIM_400000_NS6detail17trampoline_kernelINS0_14default_configENS1_27scan_by_key_config_selectorIiiEEZZNS1_16scan_by_key_implILNS1_25lookback_scan_determinismE0ELb1ES3_N6thrust23THRUST_200600_302600_NS6detail15normal_iteratorINS9_10device_ptrIiEEEESE_SE_iNS9_4plusIvEENS9_8equal_toIvEEiEE10hipError_tPvRmT2_T3_T4_T5_mT6_T7_P12ihipStream_tbENKUlT_T0_E_clISt17integral_constantIbLb1EESY_IbLb0EEEEDaSU_SV_EUlSU_E_NS1_11comp_targetILNS1_3genE5ELNS1_11target_archE942ELNS1_3gpuE9ELNS1_3repE0EEENS1_30default_config_static_selectorELNS0_4arch9wavefront6targetE1EEEvT1_ ; -- Begin function _ZN7rocprim17ROCPRIM_400000_NS6detail17trampoline_kernelINS0_14default_configENS1_27scan_by_key_config_selectorIiiEEZZNS1_16scan_by_key_implILNS1_25lookback_scan_determinismE0ELb1ES3_N6thrust23THRUST_200600_302600_NS6detail15normal_iteratorINS9_10device_ptrIiEEEESE_SE_iNS9_4plusIvEENS9_8equal_toIvEEiEE10hipError_tPvRmT2_T3_T4_T5_mT6_T7_P12ihipStream_tbENKUlT_T0_E_clISt17integral_constantIbLb1EESY_IbLb0EEEEDaSU_SV_EUlSU_E_NS1_11comp_targetILNS1_3genE5ELNS1_11target_archE942ELNS1_3gpuE9ELNS1_3repE0EEENS1_30default_config_static_selectorELNS0_4arch9wavefront6targetE1EEEvT1_
	.globl	_ZN7rocprim17ROCPRIM_400000_NS6detail17trampoline_kernelINS0_14default_configENS1_27scan_by_key_config_selectorIiiEEZZNS1_16scan_by_key_implILNS1_25lookback_scan_determinismE0ELb1ES3_N6thrust23THRUST_200600_302600_NS6detail15normal_iteratorINS9_10device_ptrIiEEEESE_SE_iNS9_4plusIvEENS9_8equal_toIvEEiEE10hipError_tPvRmT2_T3_T4_T5_mT6_T7_P12ihipStream_tbENKUlT_T0_E_clISt17integral_constantIbLb1EESY_IbLb0EEEEDaSU_SV_EUlSU_E_NS1_11comp_targetILNS1_3genE5ELNS1_11target_archE942ELNS1_3gpuE9ELNS1_3repE0EEENS1_30default_config_static_selectorELNS0_4arch9wavefront6targetE1EEEvT1_
	.p2align	8
	.type	_ZN7rocprim17ROCPRIM_400000_NS6detail17trampoline_kernelINS0_14default_configENS1_27scan_by_key_config_selectorIiiEEZZNS1_16scan_by_key_implILNS1_25lookback_scan_determinismE0ELb1ES3_N6thrust23THRUST_200600_302600_NS6detail15normal_iteratorINS9_10device_ptrIiEEEESE_SE_iNS9_4plusIvEENS9_8equal_toIvEEiEE10hipError_tPvRmT2_T3_T4_T5_mT6_T7_P12ihipStream_tbENKUlT_T0_E_clISt17integral_constantIbLb1EESY_IbLb0EEEEDaSU_SV_EUlSU_E_NS1_11comp_targetILNS1_3genE5ELNS1_11target_archE942ELNS1_3gpuE9ELNS1_3repE0EEENS1_30default_config_static_selectorELNS0_4arch9wavefront6targetE1EEEvT1_,@function
_ZN7rocprim17ROCPRIM_400000_NS6detail17trampoline_kernelINS0_14default_configENS1_27scan_by_key_config_selectorIiiEEZZNS1_16scan_by_key_implILNS1_25lookback_scan_determinismE0ELb1ES3_N6thrust23THRUST_200600_302600_NS6detail15normal_iteratorINS9_10device_ptrIiEEEESE_SE_iNS9_4plusIvEENS9_8equal_toIvEEiEE10hipError_tPvRmT2_T3_T4_T5_mT6_T7_P12ihipStream_tbENKUlT_T0_E_clISt17integral_constantIbLb1EESY_IbLb0EEEEDaSU_SV_EUlSU_E_NS1_11comp_targetILNS1_3genE5ELNS1_11target_archE942ELNS1_3gpuE9ELNS1_3repE0EEENS1_30default_config_static_selectorELNS0_4arch9wavefront6targetE1EEEvT1_: ; @_ZN7rocprim17ROCPRIM_400000_NS6detail17trampoline_kernelINS0_14default_configENS1_27scan_by_key_config_selectorIiiEEZZNS1_16scan_by_key_implILNS1_25lookback_scan_determinismE0ELb1ES3_N6thrust23THRUST_200600_302600_NS6detail15normal_iteratorINS9_10device_ptrIiEEEESE_SE_iNS9_4plusIvEENS9_8equal_toIvEEiEE10hipError_tPvRmT2_T3_T4_T5_mT6_T7_P12ihipStream_tbENKUlT_T0_E_clISt17integral_constantIbLb1EESY_IbLb0EEEEDaSU_SV_EUlSU_E_NS1_11comp_targetILNS1_3genE5ELNS1_11target_archE942ELNS1_3gpuE9ELNS1_3repE0EEENS1_30default_config_static_selectorELNS0_4arch9wavefront6targetE1EEEvT1_
; %bb.0:
	.section	.rodata,"a",@progbits
	.p2align	6, 0x0
	.amdhsa_kernel _ZN7rocprim17ROCPRIM_400000_NS6detail17trampoline_kernelINS0_14default_configENS1_27scan_by_key_config_selectorIiiEEZZNS1_16scan_by_key_implILNS1_25lookback_scan_determinismE0ELb1ES3_N6thrust23THRUST_200600_302600_NS6detail15normal_iteratorINS9_10device_ptrIiEEEESE_SE_iNS9_4plusIvEENS9_8equal_toIvEEiEE10hipError_tPvRmT2_T3_T4_T5_mT6_T7_P12ihipStream_tbENKUlT_T0_E_clISt17integral_constantIbLb1EESY_IbLb0EEEEDaSU_SV_EUlSU_E_NS1_11comp_targetILNS1_3genE5ELNS1_11target_archE942ELNS1_3gpuE9ELNS1_3repE0EEENS1_30default_config_static_selectorELNS0_4arch9wavefront6targetE1EEEvT1_
		.amdhsa_group_segment_fixed_size 0
		.amdhsa_private_segment_fixed_size 0
		.amdhsa_kernarg_size 112
		.amdhsa_user_sgpr_count 6
		.amdhsa_user_sgpr_private_segment_buffer 1
		.amdhsa_user_sgpr_dispatch_ptr 0
		.amdhsa_user_sgpr_queue_ptr 0
		.amdhsa_user_sgpr_kernarg_segment_ptr 1
		.amdhsa_user_sgpr_dispatch_id 0
		.amdhsa_user_sgpr_flat_scratch_init 0
		.amdhsa_user_sgpr_kernarg_preload_length 0
		.amdhsa_user_sgpr_kernarg_preload_offset 0
		.amdhsa_user_sgpr_private_segment_size 0
		.amdhsa_uses_dynamic_stack 0
		.amdhsa_system_sgpr_private_segment_wavefront_offset 0
		.amdhsa_system_sgpr_workgroup_id_x 1
		.amdhsa_system_sgpr_workgroup_id_y 0
		.amdhsa_system_sgpr_workgroup_id_z 0
		.amdhsa_system_sgpr_workgroup_info 0
		.amdhsa_system_vgpr_workitem_id 0
		.amdhsa_next_free_vgpr 1
		.amdhsa_next_free_sgpr 0
		.amdhsa_accum_offset 4
		.amdhsa_reserve_vcc 0
		.amdhsa_reserve_flat_scratch 0
		.amdhsa_float_round_mode_32 0
		.amdhsa_float_round_mode_16_64 0
		.amdhsa_float_denorm_mode_32 3
		.amdhsa_float_denorm_mode_16_64 3
		.amdhsa_dx10_clamp 1
		.amdhsa_ieee_mode 1
		.amdhsa_fp16_overflow 0
		.amdhsa_tg_split 0
		.amdhsa_exception_fp_ieee_invalid_op 0
		.amdhsa_exception_fp_denorm_src 0
		.amdhsa_exception_fp_ieee_div_zero 0
		.amdhsa_exception_fp_ieee_overflow 0
		.amdhsa_exception_fp_ieee_underflow 0
		.amdhsa_exception_fp_ieee_inexact 0
		.amdhsa_exception_int_div_zero 0
	.end_amdhsa_kernel
	.section	.text._ZN7rocprim17ROCPRIM_400000_NS6detail17trampoline_kernelINS0_14default_configENS1_27scan_by_key_config_selectorIiiEEZZNS1_16scan_by_key_implILNS1_25lookback_scan_determinismE0ELb1ES3_N6thrust23THRUST_200600_302600_NS6detail15normal_iteratorINS9_10device_ptrIiEEEESE_SE_iNS9_4plusIvEENS9_8equal_toIvEEiEE10hipError_tPvRmT2_T3_T4_T5_mT6_T7_P12ihipStream_tbENKUlT_T0_E_clISt17integral_constantIbLb1EESY_IbLb0EEEEDaSU_SV_EUlSU_E_NS1_11comp_targetILNS1_3genE5ELNS1_11target_archE942ELNS1_3gpuE9ELNS1_3repE0EEENS1_30default_config_static_selectorELNS0_4arch9wavefront6targetE1EEEvT1_,"axG",@progbits,_ZN7rocprim17ROCPRIM_400000_NS6detail17trampoline_kernelINS0_14default_configENS1_27scan_by_key_config_selectorIiiEEZZNS1_16scan_by_key_implILNS1_25lookback_scan_determinismE0ELb1ES3_N6thrust23THRUST_200600_302600_NS6detail15normal_iteratorINS9_10device_ptrIiEEEESE_SE_iNS9_4plusIvEENS9_8equal_toIvEEiEE10hipError_tPvRmT2_T3_T4_T5_mT6_T7_P12ihipStream_tbENKUlT_T0_E_clISt17integral_constantIbLb1EESY_IbLb0EEEEDaSU_SV_EUlSU_E_NS1_11comp_targetILNS1_3genE5ELNS1_11target_archE942ELNS1_3gpuE9ELNS1_3repE0EEENS1_30default_config_static_selectorELNS0_4arch9wavefront6targetE1EEEvT1_,comdat
.Lfunc_end481:
	.size	_ZN7rocprim17ROCPRIM_400000_NS6detail17trampoline_kernelINS0_14default_configENS1_27scan_by_key_config_selectorIiiEEZZNS1_16scan_by_key_implILNS1_25lookback_scan_determinismE0ELb1ES3_N6thrust23THRUST_200600_302600_NS6detail15normal_iteratorINS9_10device_ptrIiEEEESE_SE_iNS9_4plusIvEENS9_8equal_toIvEEiEE10hipError_tPvRmT2_T3_T4_T5_mT6_T7_P12ihipStream_tbENKUlT_T0_E_clISt17integral_constantIbLb1EESY_IbLb0EEEEDaSU_SV_EUlSU_E_NS1_11comp_targetILNS1_3genE5ELNS1_11target_archE942ELNS1_3gpuE9ELNS1_3repE0EEENS1_30default_config_static_selectorELNS0_4arch9wavefront6targetE1EEEvT1_, .Lfunc_end481-_ZN7rocprim17ROCPRIM_400000_NS6detail17trampoline_kernelINS0_14default_configENS1_27scan_by_key_config_selectorIiiEEZZNS1_16scan_by_key_implILNS1_25lookback_scan_determinismE0ELb1ES3_N6thrust23THRUST_200600_302600_NS6detail15normal_iteratorINS9_10device_ptrIiEEEESE_SE_iNS9_4plusIvEENS9_8equal_toIvEEiEE10hipError_tPvRmT2_T3_T4_T5_mT6_T7_P12ihipStream_tbENKUlT_T0_E_clISt17integral_constantIbLb1EESY_IbLb0EEEEDaSU_SV_EUlSU_E_NS1_11comp_targetILNS1_3genE5ELNS1_11target_archE942ELNS1_3gpuE9ELNS1_3repE0EEENS1_30default_config_static_selectorELNS0_4arch9wavefront6targetE1EEEvT1_
                                        ; -- End function
	.section	.AMDGPU.csdata,"",@progbits
; Kernel info:
; codeLenInByte = 0
; NumSgprs: 4
; NumVgprs: 0
; NumAgprs: 0
; TotalNumVgprs: 0
; ScratchSize: 0
; MemoryBound: 0
; FloatMode: 240
; IeeeMode: 1
; LDSByteSize: 0 bytes/workgroup (compile time only)
; SGPRBlocks: 0
; VGPRBlocks: 0
; NumSGPRsForWavesPerEU: 4
; NumVGPRsForWavesPerEU: 1
; AccumOffset: 4
; Occupancy: 8
; WaveLimiterHint : 0
; COMPUTE_PGM_RSRC2:SCRATCH_EN: 0
; COMPUTE_PGM_RSRC2:USER_SGPR: 6
; COMPUTE_PGM_RSRC2:TRAP_HANDLER: 0
; COMPUTE_PGM_RSRC2:TGID_X_EN: 1
; COMPUTE_PGM_RSRC2:TGID_Y_EN: 0
; COMPUTE_PGM_RSRC2:TGID_Z_EN: 0
; COMPUTE_PGM_RSRC2:TIDIG_COMP_CNT: 0
; COMPUTE_PGM_RSRC3_GFX90A:ACCUM_OFFSET: 0
; COMPUTE_PGM_RSRC3_GFX90A:TG_SPLIT: 0
	.section	.text._ZN7rocprim17ROCPRIM_400000_NS6detail17trampoline_kernelINS0_14default_configENS1_27scan_by_key_config_selectorIiiEEZZNS1_16scan_by_key_implILNS1_25lookback_scan_determinismE0ELb1ES3_N6thrust23THRUST_200600_302600_NS6detail15normal_iteratorINS9_10device_ptrIiEEEESE_SE_iNS9_4plusIvEENS9_8equal_toIvEEiEE10hipError_tPvRmT2_T3_T4_T5_mT6_T7_P12ihipStream_tbENKUlT_T0_E_clISt17integral_constantIbLb1EESY_IbLb0EEEEDaSU_SV_EUlSU_E_NS1_11comp_targetILNS1_3genE4ELNS1_11target_archE910ELNS1_3gpuE8ELNS1_3repE0EEENS1_30default_config_static_selectorELNS0_4arch9wavefront6targetE1EEEvT1_,"axG",@progbits,_ZN7rocprim17ROCPRIM_400000_NS6detail17trampoline_kernelINS0_14default_configENS1_27scan_by_key_config_selectorIiiEEZZNS1_16scan_by_key_implILNS1_25lookback_scan_determinismE0ELb1ES3_N6thrust23THRUST_200600_302600_NS6detail15normal_iteratorINS9_10device_ptrIiEEEESE_SE_iNS9_4plusIvEENS9_8equal_toIvEEiEE10hipError_tPvRmT2_T3_T4_T5_mT6_T7_P12ihipStream_tbENKUlT_T0_E_clISt17integral_constantIbLb1EESY_IbLb0EEEEDaSU_SV_EUlSU_E_NS1_11comp_targetILNS1_3genE4ELNS1_11target_archE910ELNS1_3gpuE8ELNS1_3repE0EEENS1_30default_config_static_selectorELNS0_4arch9wavefront6targetE1EEEvT1_,comdat
	.protected	_ZN7rocprim17ROCPRIM_400000_NS6detail17trampoline_kernelINS0_14default_configENS1_27scan_by_key_config_selectorIiiEEZZNS1_16scan_by_key_implILNS1_25lookback_scan_determinismE0ELb1ES3_N6thrust23THRUST_200600_302600_NS6detail15normal_iteratorINS9_10device_ptrIiEEEESE_SE_iNS9_4plusIvEENS9_8equal_toIvEEiEE10hipError_tPvRmT2_T3_T4_T5_mT6_T7_P12ihipStream_tbENKUlT_T0_E_clISt17integral_constantIbLb1EESY_IbLb0EEEEDaSU_SV_EUlSU_E_NS1_11comp_targetILNS1_3genE4ELNS1_11target_archE910ELNS1_3gpuE8ELNS1_3repE0EEENS1_30default_config_static_selectorELNS0_4arch9wavefront6targetE1EEEvT1_ ; -- Begin function _ZN7rocprim17ROCPRIM_400000_NS6detail17trampoline_kernelINS0_14default_configENS1_27scan_by_key_config_selectorIiiEEZZNS1_16scan_by_key_implILNS1_25lookback_scan_determinismE0ELb1ES3_N6thrust23THRUST_200600_302600_NS6detail15normal_iteratorINS9_10device_ptrIiEEEESE_SE_iNS9_4plusIvEENS9_8equal_toIvEEiEE10hipError_tPvRmT2_T3_T4_T5_mT6_T7_P12ihipStream_tbENKUlT_T0_E_clISt17integral_constantIbLb1EESY_IbLb0EEEEDaSU_SV_EUlSU_E_NS1_11comp_targetILNS1_3genE4ELNS1_11target_archE910ELNS1_3gpuE8ELNS1_3repE0EEENS1_30default_config_static_selectorELNS0_4arch9wavefront6targetE1EEEvT1_
	.globl	_ZN7rocprim17ROCPRIM_400000_NS6detail17trampoline_kernelINS0_14default_configENS1_27scan_by_key_config_selectorIiiEEZZNS1_16scan_by_key_implILNS1_25lookback_scan_determinismE0ELb1ES3_N6thrust23THRUST_200600_302600_NS6detail15normal_iteratorINS9_10device_ptrIiEEEESE_SE_iNS9_4plusIvEENS9_8equal_toIvEEiEE10hipError_tPvRmT2_T3_T4_T5_mT6_T7_P12ihipStream_tbENKUlT_T0_E_clISt17integral_constantIbLb1EESY_IbLb0EEEEDaSU_SV_EUlSU_E_NS1_11comp_targetILNS1_3genE4ELNS1_11target_archE910ELNS1_3gpuE8ELNS1_3repE0EEENS1_30default_config_static_selectorELNS0_4arch9wavefront6targetE1EEEvT1_
	.p2align	8
	.type	_ZN7rocprim17ROCPRIM_400000_NS6detail17trampoline_kernelINS0_14default_configENS1_27scan_by_key_config_selectorIiiEEZZNS1_16scan_by_key_implILNS1_25lookback_scan_determinismE0ELb1ES3_N6thrust23THRUST_200600_302600_NS6detail15normal_iteratorINS9_10device_ptrIiEEEESE_SE_iNS9_4plusIvEENS9_8equal_toIvEEiEE10hipError_tPvRmT2_T3_T4_T5_mT6_T7_P12ihipStream_tbENKUlT_T0_E_clISt17integral_constantIbLb1EESY_IbLb0EEEEDaSU_SV_EUlSU_E_NS1_11comp_targetILNS1_3genE4ELNS1_11target_archE910ELNS1_3gpuE8ELNS1_3repE0EEENS1_30default_config_static_selectorELNS0_4arch9wavefront6targetE1EEEvT1_,@function
_ZN7rocprim17ROCPRIM_400000_NS6detail17trampoline_kernelINS0_14default_configENS1_27scan_by_key_config_selectorIiiEEZZNS1_16scan_by_key_implILNS1_25lookback_scan_determinismE0ELb1ES3_N6thrust23THRUST_200600_302600_NS6detail15normal_iteratorINS9_10device_ptrIiEEEESE_SE_iNS9_4plusIvEENS9_8equal_toIvEEiEE10hipError_tPvRmT2_T3_T4_T5_mT6_T7_P12ihipStream_tbENKUlT_T0_E_clISt17integral_constantIbLb1EESY_IbLb0EEEEDaSU_SV_EUlSU_E_NS1_11comp_targetILNS1_3genE4ELNS1_11target_archE910ELNS1_3gpuE8ELNS1_3repE0EEENS1_30default_config_static_selectorELNS0_4arch9wavefront6targetE1EEEvT1_: ; @_ZN7rocprim17ROCPRIM_400000_NS6detail17trampoline_kernelINS0_14default_configENS1_27scan_by_key_config_selectorIiiEEZZNS1_16scan_by_key_implILNS1_25lookback_scan_determinismE0ELb1ES3_N6thrust23THRUST_200600_302600_NS6detail15normal_iteratorINS9_10device_ptrIiEEEESE_SE_iNS9_4plusIvEENS9_8equal_toIvEEiEE10hipError_tPvRmT2_T3_T4_T5_mT6_T7_P12ihipStream_tbENKUlT_T0_E_clISt17integral_constantIbLb1EESY_IbLb0EEEEDaSU_SV_EUlSU_E_NS1_11comp_targetILNS1_3genE4ELNS1_11target_archE910ELNS1_3gpuE8ELNS1_3repE0EEENS1_30default_config_static_selectorELNS0_4arch9wavefront6targetE1EEEvT1_
; %bb.0:
	s_load_dwordx8 s[36:43], s[4:5], 0x0
	s_load_dword s56, s[4:5], 0x20
	s_load_dwordx4 s[44:47], s[4:5], 0x28
	s_load_dwordx2 s[52:53], s[4:5], 0x38
	s_load_dword s0, s[4:5], 0x40
	s_load_dwordx4 s[48:51], s[4:5], 0x48
	s_waitcnt lgkmcnt(0)
	s_lshl_b64 s[34:35], s[38:39], 2
	s_add_u32 s2, s36, s34
	s_addc_u32 s3, s37, s35
	s_add_u32 s4, s40, s34
	s_mul_i32 s1, s53, s0
	s_mul_hi_u32 s7, s52, s0
	s_addc_u32 s5, s41, s35
	s_add_i32 s8, s7, s1
	s_mul_i32 s9, s52, s0
	s_mul_i32 s0, s6, 0xe00
	s_mov_b32 s1, 0
	s_lshl_b64 s[36:37], s[0:1], 2
	s_add_u32 s38, s2, s36
	s_addc_u32 s39, s3, s37
	s_add_u32 s7, s4, s36
	s_addc_u32 s47, s5, s37
	;; [unrolled: 2-line block ×3, first 2 shown]
	s_add_u32 s4, s48, -1
	s_addc_u32 s5, s49, -1
	v_pk_mov_b32 v[2:3], s[4:5], s[4:5] op_sel:[0,1]
	v_cmp_ge_u64_e64 s[0:1], s[0:1], v[2:3]
	s_mov_b64 s[2:3], -1
	s_and_b64 vcc, exec, s[0:1]
	s_mul_i32 s33, s4, 0xfffff200
	s_barrier
	s_cbranch_vccz .LBB482_76
; %bb.1:
	v_pk_mov_b32 v[2:3], s[38:39], s[38:39] op_sel:[0,1]
	flat_load_dword v1, v[2:3]
	s_add_i32 s54, s33, s46
	v_cmp_gt_u32_e32 vcc, s54, v0
	s_waitcnt vmcnt(0) lgkmcnt(0)
	v_mov_b32_e32 v13, v1
	s_and_saveexec_b64 s[4:5], vcc
	s_cbranch_execz .LBB482_3
; %bb.2:
	v_lshlrev_b32_e32 v2, 2, v0
	v_mov_b32_e32 v3, s39
	v_add_co_u32_e64 v2, s[2:3], s38, v2
	v_addc_co_u32_e64 v3, s[2:3], 0, v3, s[2:3]
	flat_load_dword v13, v[2:3]
.LBB482_3:
	s_or_b64 exec, exec, s[4:5]
	v_or_b32_e32 v2, 0x100, v0
	v_cmp_gt_u32_e64 s[2:3], s54, v2
	v_mov_b32_e32 v14, v1
	s_and_saveexec_b64 s[8:9], s[2:3]
	s_cbranch_execz .LBB482_5
; %bb.4:
	v_lshlrev_b32_e32 v2, 2, v0
	v_mov_b32_e32 v3, s39
	v_add_co_u32_e64 v2, s[4:5], s38, v2
	v_addc_co_u32_e64 v3, s[4:5], 0, v3, s[4:5]
	flat_load_dword v14, v[2:3] offset:1024
.LBB482_5:
	s_or_b64 exec, exec, s[8:9]
	v_or_b32_e32 v2, 0x200, v0
	v_cmp_gt_u32_e64 s[4:5], s54, v2
	v_mov_b32_e32 v15, v1
	s_and_saveexec_b64 s[10:11], s[4:5]
	s_cbranch_execz .LBB482_7
; %bb.6:
	v_lshlrev_b32_e32 v2, 2, v0
	v_mov_b32_e32 v3, s39
	v_add_co_u32_e64 v2, s[8:9], s38, v2
	v_addc_co_u32_e64 v3, s[8:9], 0, v3, s[8:9]
	flat_load_dword v15, v[2:3] offset:2048
.LBB482_7:
	;; [unrolled: 13-line block ×3, first 2 shown]
	s_or_b64 exec, exec, s[10:11]
	v_or_b32_e32 v2, 0x400, v0
	v_cmp_gt_u32_e64 s[8:9], s54, v2
	v_mov_b32_e32 v17, v1
	s_and_saveexec_b64 s[12:13], s[8:9]
	s_cbranch_execz .LBB482_11
; %bb.10:
	v_lshlrev_b32_e32 v3, 2, v2
	v_mov_b32_e32 v5, s39
	v_add_co_u32_e64 v4, s[10:11], s38, v3
	v_addc_co_u32_e64 v5, s[10:11], 0, v5, s[10:11]
	flat_load_dword v17, v[4:5]
.LBB482_11:
	s_or_b64 exec, exec, s[12:13]
	v_or_b32_e32 v3, 0x500, v0
	v_cmp_gt_u32_e64 s[10:11], s54, v3
	v_mov_b32_e32 v18, v1
	s_and_saveexec_b64 s[14:15], s[10:11]
	s_cbranch_execz .LBB482_13
; %bb.12:
	v_lshlrev_b32_e32 v4, 2, v3
	v_mov_b32_e32 v5, s39
	v_add_co_u32_e64 v4, s[12:13], s38, v4
	v_addc_co_u32_e64 v5, s[12:13], 0, v5, s[12:13]
	flat_load_dword v18, v[4:5]
.LBB482_13:
	;; [unrolled: 13-line block ×9, first 2 shown]
	s_or_b64 exec, exec, s[30:31]
	v_or_b32_e32 v11, 0xd00, v0
	v_cmp_gt_u32_e64 s[26:27], s54, v11
	s_and_saveexec_b64 s[40:41], s[26:27]
	s_cbranch_execz .LBB482_29
; %bb.28:
	v_lshlrev_b32_e32 v1, 2, v11
	v_mov_b32_e32 v12, s39
	v_add_co_u32_e64 v26, s[30:31], s38, v1
	v_addc_co_u32_e64 v27, s[30:31], 0, v12, s[30:31]
	flat_load_dword v1, v[26:27]
.LBB482_29:
	s_or_b64 exec, exec, s[40:41]
	v_lshlrev_b32_e32 v12, 2, v0
	s_waitcnt vmcnt(0) lgkmcnt(0)
	ds_write2st64_b32 v12, v13, v14 offset1:4
	ds_write2st64_b32 v12, v15, v16 offset0:8 offset1:12
	ds_write2st64_b32 v12, v17, v18 offset0:16 offset1:20
	;; [unrolled: 1-line block ×6, first 2 shown]
	v_pk_mov_b32 v[14:15], s[38:39], s[38:39] op_sel:[0,1]
	s_waitcnt lgkmcnt(0)
	s_barrier
	flat_load_dword v1, v[14:15]
	v_mad_u32_u24 v44, v0, 52, v12
	s_movk_i32 s30, 0xffcc
	ds_read2_b64 v[34:37], v44 offset1:1
	ds_read2_b64 v[30:33], v44 offset0:2 offset1:3
	ds_read2_b64 v[26:29], v44 offset0:4 offset1:5
	ds_read_b64 v[40:41], v44 offset:48
	v_mad_i32_i24 v13, v0, s30, v44
	s_movk_i32 s30, 0xff
	v_cmp_ne_u32_e64 s[30:31], s30, v0
	s_waitcnt lgkmcnt(0)
	ds_write_b32 v13, v34 offset:15360
	s_waitcnt lgkmcnt(0)
	s_barrier
	s_and_saveexec_b64 s[40:41], s[30:31]
	s_cbranch_execz .LBB482_31
; %bb.30:
	s_waitcnt vmcnt(0)
	ds_read_b32 v1, v12 offset:15364
.LBB482_31:
	s_or_b64 exec, exec, s[40:41]
	s_waitcnt lgkmcnt(0)
	s_barrier
	s_waitcnt lgkmcnt(0)
                                        ; implicit-def: $vgpr13
	s_and_saveexec_b64 s[30:31], vcc
	s_cbranch_execz .LBB482_117
; %bb.32:
	v_mov_b32_e32 v13, s47
	v_add_co_u32_e32 v14, vcc, s7, v12
	v_addc_co_u32_e32 v15, vcc, 0, v13, vcc
	flat_load_dword v13, v[14:15]
	s_or_b64 exec, exec, s[30:31]
                                        ; implicit-def: $vgpr14
	s_and_saveexec_b64 s[30:31], s[2:3]
	s_cbranch_execnz .LBB482_118
.LBB482_33:
	s_or_b64 exec, exec, s[30:31]
                                        ; implicit-def: $vgpr15
	s_and_saveexec_b64 s[2:3], s[4:5]
	s_cbranch_execz .LBB482_119
.LBB482_34:
	v_mov_b32_e32 v15, s47
	v_add_co_u32_e32 v16, vcc, s7, v12
	v_addc_co_u32_e32 v17, vcc, 0, v15, vcc
	flat_load_dword v15, v[16:17] offset:2048
	s_or_b64 exec, exec, s[2:3]
                                        ; implicit-def: $vgpr16
	s_and_saveexec_b64 s[2:3], s[28:29]
	s_cbranch_execnz .LBB482_120
.LBB482_35:
	s_or_b64 exec, exec, s[2:3]
                                        ; implicit-def: $vgpr17
	s_and_saveexec_b64 s[2:3], s[8:9]
	s_cbranch_execz .LBB482_121
.LBB482_36:
	v_lshlrev_b32_e32 v2, 2, v2
	v_mov_b32_e32 v17, s47
	v_add_co_u32_e32 v18, vcc, s7, v2
	v_addc_co_u32_e32 v19, vcc, 0, v17, vcc
	flat_load_dword v17, v[18:19]
	s_or_b64 exec, exec, s[2:3]
                                        ; implicit-def: $vgpr2
	s_and_saveexec_b64 s[2:3], s[10:11]
	s_cbranch_execnz .LBB482_122
.LBB482_37:
	s_or_b64 exec, exec, s[2:3]
                                        ; implicit-def: $vgpr3
	s_and_saveexec_b64 s[2:3], s[12:13]
	s_cbranch_execz .LBB482_123
.LBB482_38:
	v_lshlrev_b32_e32 v3, 2, v4
	v_mov_b32_e32 v4, s47
	v_add_co_u32_e32 v18, vcc, s7, v3
	v_addc_co_u32_e32 v19, vcc, 0, v4, vcc
	flat_load_dword v3, v[18:19]
	s_or_b64 exec, exec, s[2:3]
                                        ; implicit-def: $vgpr4
	s_and_saveexec_b64 s[2:3], s[14:15]
	s_cbranch_execnz .LBB482_124
.LBB482_39:
	s_or_b64 exec, exec, s[2:3]
                                        ; implicit-def: $vgpr5
	s_and_saveexec_b64 s[2:3], s[16:17]
	s_cbranch_execz .LBB482_125
.LBB482_40:
	v_lshlrev_b32_e32 v5, 2, v6
	v_mov_b32_e32 v6, s47
	v_add_co_u32_e32 v18, vcc, s7, v5
	v_addc_co_u32_e32 v19, vcc, 0, v6, vcc
	flat_load_dword v5, v[18:19]
	s_or_b64 exec, exec, s[2:3]
                                        ; implicit-def: $vgpr6
	s_and_saveexec_b64 s[2:3], s[18:19]
	s_cbranch_execnz .LBB482_126
.LBB482_41:
	s_or_b64 exec, exec, s[2:3]
                                        ; implicit-def: $vgpr7
	s_and_saveexec_b64 s[2:3], s[20:21]
	s_cbranch_execz .LBB482_127
.LBB482_42:
	v_lshlrev_b32_e32 v7, 2, v8
	v_mov_b32_e32 v8, s47
	v_add_co_u32_e32 v18, vcc, s7, v7
	v_addc_co_u32_e32 v19, vcc, 0, v8, vcc
	flat_load_dword v7, v[18:19]
	s_or_b64 exec, exec, s[2:3]
                                        ; implicit-def: $vgpr8
	s_and_saveexec_b64 s[2:3], s[22:23]
	s_cbranch_execnz .LBB482_128
.LBB482_43:
	s_or_b64 exec, exec, s[2:3]
                                        ; implicit-def: $vgpr9
	s_and_saveexec_b64 s[2:3], s[24:25]
	s_cbranch_execz .LBB482_45
.LBB482_44:
	v_lshlrev_b32_e32 v9, 2, v10
	v_mov_b32_e32 v10, s47
	v_add_co_u32_e32 v18, vcc, s7, v9
	v_addc_co_u32_e32 v19, vcc, 0, v10, vcc
	flat_load_dword v9, v[18:19]
.LBB482_45:
	s_or_b64 exec, exec, s[2:3]
	v_mul_u32_u24_e32 v45, 14, v0
                                        ; implicit-def: $vgpr10
	s_and_saveexec_b64 s[2:3], s[26:27]
	s_cbranch_execz .LBB482_47
; %bb.46:
	v_lshlrev_b32_e32 v10, 2, v11
	v_mov_b32_e32 v11, s47
	v_add_co_u32_e32 v10, vcc, s7, v10
	v_addc_co_u32_e32 v11, vcc, 0, v11, vcc
	flat_load_dword v10, v[10:11]
.LBB482_47:
	s_or_b64 exec, exec, s[2:3]
	s_mov_b32 s8, 0
	s_mov_b32 s9, s8
	s_waitcnt vmcnt(0) lgkmcnt(0)
	ds_write2st64_b32 v12, v13, v14 offset1:4
	ds_write2st64_b32 v12, v15, v16 offset0:8 offset1:12
	ds_write2st64_b32 v12, v17, v2 offset0:16 offset1:20
	ds_write2st64_b32 v12, v3, v4 offset0:24 offset1:28
	ds_write2st64_b32 v12, v5, v6 offset0:32 offset1:36
	ds_write2st64_b32 v12, v7, v8 offset0:40 offset1:44
	ds_write2st64_b32 v12, v9, v10 offset0:48 offset1:52
	s_mov_b32 s10, s8
	s_mov_b32 s11, s8
	;; [unrolled: 1-line block ×6, first 2 shown]
	v_pk_mov_b32 v[2:3], s[8:9], s[8:9] op_sel:[0,1]
	v_pk_mov_b32 v[8:9], s[14:15], s[14:15] op_sel:[0,1]
	;; [unrolled: 1-line block ×6, first 2 shown]
	v_cmp_gt_u32_e32 vcc, s54, v45
	s_mov_b64 s[2:3], 0
	v_pk_mov_b32 v[38:39], 0, 0
	s_mov_b64 s[18:19], 0
	v_pk_mov_b32 v[14:15], v[6:7], v[6:7] op_sel:[0,1]
	v_pk_mov_b32 v[12:13], v[4:5], v[4:5] op_sel:[0,1]
	;; [unrolled: 1-line block ×6, first 2 shown]
	s_waitcnt lgkmcnt(0)
	s_barrier
	s_waitcnt lgkmcnt(0)
                                        ; implicit-def: $sgpr16_sgpr17
                                        ; implicit-def: $vgpr42
	s_and_saveexec_b64 s[4:5], vcc
	s_cbranch_execz .LBB482_75
; %bb.48:
	ds_read_b32 v2, v44
	v_mov_b32_e32 v4, s56
	v_cmp_eq_u32_e32 vcc, v34, v35
	v_or_b32_e32 v3, 1, v45
                                        ; implicit-def: $vgpr42
	s_waitcnt lgkmcnt(0)
	v_cndmask_b32_e32 v38, v4, v2, vcc
	v_cmp_ne_u32_e32 vcc, v34, v35
	v_cndmask_b32_e64 v39, 0, 1, vcc
	v_cmp_gt_u32_e32 vcc, s54, v3
	v_pk_mov_b32 v[2:3], s[8:9], s[8:9] op_sel:[0,1]
	v_pk_mov_b32 v[8:9], s[14:15], s[14:15] op_sel:[0,1]
	;; [unrolled: 1-line block ×12, first 2 shown]
                                        ; implicit-def: $sgpr8_sgpr9
	s_and_saveexec_b64 s[16:17], vcc
	s_cbranch_execz .LBB482_74
; %bb.49:
	ds_read2_b32 v[42:43], v44 offset0:1 offset1:2
	s_mov_b32 s8, 0
	v_mov_b32_e32 v3, s56
	v_cmp_eq_u32_e32 vcc, v35, v36
	s_mov_b32 s14, s8
	s_mov_b32 s15, s8
	v_add_u32_e32 v2, 2, v45
	s_waitcnt lgkmcnt(0)
	v_cndmask_b32_e32 v8, v3, v42, vcc
	v_cmp_ne_u32_e32 vcc, v35, v36
	s_mov_b32 s9, s8
	s_mov_b32 s10, s8
	;; [unrolled: 1-line block ×5, first 2 shown]
	v_pk_mov_b32 v[16:17], s[14:15], s[14:15] op_sel:[0,1]
	v_cndmask_b32_e64 v9, 0, 1, vcc
	v_cmp_gt_u32_e32 vcc, s54, v2
	v_mov_b32_e32 v2, 0
	v_pk_mov_b32 v[14:15], s[12:13], s[12:13] op_sel:[0,1]
	v_pk_mov_b32 v[12:13], s[10:11], s[10:11] op_sel:[0,1]
	;; [unrolled: 1-line block ×4, first 2 shown]
	v_mov_b32_e32 v3, v2
	v_mov_b32_e32 v4, v2
	;; [unrolled: 1-line block ×5, first 2 shown]
	s_mov_b64 s[20:21], 0
	v_pk_mov_b32 v[22:23], v[14:15], v[14:15] op_sel:[0,1]
	v_pk_mov_b32 v[20:21], v[12:13], v[12:13] op_sel:[0,1]
	;; [unrolled: 1-line block ×3, first 2 shown]
                                        ; implicit-def: $sgpr24_sgpr25
                                        ; implicit-def: $vgpr42
	s_and_saveexec_b64 s[18:19], vcc
	s_cbranch_execz .LBB482_73
; %bb.50:
	v_mov_b32_e32 v4, s56
	v_cmp_eq_u32_e32 vcc, v36, v37
	v_pk_mov_b32 v[16:17], s[14:15], s[14:15] op_sel:[0,1]
	v_add_u32_e32 v3, 3, v45
	v_cndmask_b32_e32 v6, v4, v43, vcc
	v_cmp_ne_u32_e32 vcc, v36, v37
	v_pk_mov_b32 v[14:15], s[12:13], s[12:13] op_sel:[0,1]
	v_pk_mov_b32 v[12:13], s[10:11], s[10:11] op_sel:[0,1]
	;; [unrolled: 1-line block ×4, first 2 shown]
	v_cndmask_b32_e64 v7, 0, 1, vcc
	v_cmp_gt_u32_e32 vcc, s54, v3
	v_mov_b32_e32 v3, v2
	v_mov_b32_e32 v4, v2
	;; [unrolled: 1-line block ×3, first 2 shown]
	s_mov_b64 s[22:23], 0
	v_pk_mov_b32 v[22:23], v[14:15], v[14:15] op_sel:[0,1]
	v_pk_mov_b32 v[20:21], v[12:13], v[12:13] op_sel:[0,1]
	;; [unrolled: 1-line block ×3, first 2 shown]
                                        ; implicit-def: $sgpr8_sgpr9
                                        ; implicit-def: $vgpr42
	s_and_saveexec_b64 s[20:21], vcc
	s_cbranch_execz .LBB482_72
; %bb.51:
	ds_read2_b32 v[34:35], v44 offset0:3 offset1:4
	s_mov_b32 s8, 0
	s_mov_b32 s14, s8
	;; [unrolled: 1-line block ×3, first 2 shown]
	v_mov_b32_e32 v3, s56
	v_cmp_eq_u32_e32 vcc, v37, v30
	s_mov_b32 s9, s8
	s_mov_b32 s10, s8
	;; [unrolled: 1-line block ×5, first 2 shown]
	v_pk_mov_b32 v[16:17], s[14:15], s[14:15] op_sel:[0,1]
	v_add_u32_e32 v2, 4, v45
	s_waitcnt lgkmcnt(0)
	v_cndmask_b32_e32 v4, v3, v34, vcc
	v_cmp_ne_u32_e32 vcc, v37, v30
	v_pk_mov_b32 v[14:15], s[12:13], s[12:13] op_sel:[0,1]
	v_pk_mov_b32 v[12:13], s[10:11], s[10:11] op_sel:[0,1]
	;; [unrolled: 1-line block ×4, first 2 shown]
	v_cndmask_b32_e64 v5, 0, 1, vcc
	v_cmp_gt_u32_e32 vcc, s54, v2
	v_mov_b32_e32 v2, s8
	v_mov_b32_e32 v3, s8
	s_mov_b64 s[24:25], 0
	v_pk_mov_b32 v[22:23], v[14:15], v[14:15] op_sel:[0,1]
	v_pk_mov_b32 v[20:21], v[12:13], v[12:13] op_sel:[0,1]
	;; [unrolled: 1-line block ×3, first 2 shown]
                                        ; implicit-def: $sgpr26_sgpr27
                                        ; implicit-def: $vgpr42
	s_and_saveexec_b64 s[22:23], vcc
	s_cbranch_execz .LBB482_71
; %bb.52:
	v_mov_b32_e32 v2, s56
	v_cmp_eq_u32_e32 vcc, v30, v31
	v_add_u32_e32 v10, 5, v45
	v_cndmask_b32_e32 v2, v2, v35, vcc
	v_cmp_ne_u32_e32 vcc, v30, v31
	v_cndmask_b32_e64 v3, 0, 1, vcc
	v_cmp_gt_u32_e32 vcc, s54, v10
	v_pk_mov_b32 v[16:17], s[14:15], s[14:15] op_sel:[0,1]
	v_pk_mov_b32 v[14:15], s[12:13], s[12:13] op_sel:[0,1]
	v_pk_mov_b32 v[12:13], s[10:11], s[10:11] op_sel:[0,1]
	v_pk_mov_b32 v[10:11], s[8:9], s[8:9] op_sel:[0,1]
	v_pk_mov_b32 v[24:25], v[16:17], v[16:17] op_sel:[0,1]
	s_mov_b64 s[28:29], 0
	v_pk_mov_b32 v[22:23], v[14:15], v[14:15] op_sel:[0,1]
	v_pk_mov_b32 v[20:21], v[12:13], v[12:13] op_sel:[0,1]
	;; [unrolled: 1-line block ×3, first 2 shown]
                                        ; implicit-def: $sgpr8_sgpr9
                                        ; implicit-def: $vgpr42
	s_and_saveexec_b64 s[24:25], vcc
	s_cbranch_execz .LBB482_70
; %bb.53:
	ds_read2_b32 v[34:35], v44 offset0:5 offset1:6
	v_mov_b32_e32 v11, s56
	v_cmp_eq_u32_e32 vcc, v31, v32
	s_mov_b32 s8, 0
	v_add_u32_e32 v10, 6, v45
	s_waitcnt lgkmcnt(0)
	v_cndmask_b32_e32 v16, v11, v34, vcc
	v_cmp_ne_u32_e32 vcc, v31, v32
	s_mov_b32 s14, s8
	s_mov_b32 s15, s8
	v_cndmask_b32_e64 v17, 0, 1, vcc
	v_cmp_gt_u32_e32 vcc, s54, v10
	v_mov_b32_e32 v10, 0
	s_mov_b32 s9, s8
	s_mov_b32 s10, s8
	;; [unrolled: 1-line block ×5, first 2 shown]
	v_pk_mov_b32 v[24:25], s[14:15], s[14:15] op_sel:[0,1]
	v_mov_b32_e32 v11, v10
	v_mov_b32_e32 v12, v10
	;; [unrolled: 1-line block ×5, first 2 shown]
	v_pk_mov_b32 v[22:23], s[12:13], s[12:13] op_sel:[0,1]
	v_pk_mov_b32 v[20:21], s[10:11], s[10:11] op_sel:[0,1]
	;; [unrolled: 1-line block ×3, first 2 shown]
                                        ; implicit-def: $sgpr40_sgpr41
                                        ; implicit-def: $vgpr42
	s_and_saveexec_b64 s[26:27], vcc
	s_cbranch_execz .LBB482_69
; %bb.54:
	v_mov_b32_e32 v12, s56
	v_cmp_eq_u32_e32 vcc, v32, v33
	v_add_u32_e32 v11, 7, v45
	v_cndmask_b32_e32 v14, v12, v35, vcc
	v_cmp_ne_u32_e32 vcc, v32, v33
	v_pk_mov_b32 v[24:25], s[14:15], s[14:15] op_sel:[0,1]
	v_cndmask_b32_e64 v15, 0, 1, vcc
	v_cmp_gt_u32_e32 vcc, s54, v11
	v_mov_b32_e32 v11, v10
	v_mov_b32_e32 v12, v10
	;; [unrolled: 1-line block ×3, first 2 shown]
	s_mov_b64 s[30:31], 0
	v_pk_mov_b32 v[22:23], s[12:13], s[12:13] op_sel:[0,1]
	v_pk_mov_b32 v[20:21], s[10:11], s[10:11] op_sel:[0,1]
	;; [unrolled: 1-line block ×3, first 2 shown]
                                        ; implicit-def: $sgpr8_sgpr9
                                        ; implicit-def: $vgpr42
	s_and_saveexec_b64 s[28:29], vcc
	s_cbranch_execz .LBB482_68
; %bb.55:
	ds_read2_b32 v[30:31], v44 offset0:7 offset1:8
	s_mov_b32 s8, 0
	v_mov_b32_e32 v11, s56
	v_cmp_eq_u32_e32 vcc, v33, v26
	s_mov_b32 s14, s8
	s_mov_b32 s15, s8
	v_add_u32_e32 v10, 8, v45
	s_waitcnt lgkmcnt(0)
	v_cndmask_b32_e32 v12, v11, v30, vcc
	v_cmp_ne_u32_e32 vcc, v33, v26
	s_mov_b32 s9, s8
	s_mov_b32 s10, s8
	;; [unrolled: 1-line block ×5, first 2 shown]
	v_pk_mov_b32 v[24:25], s[14:15], s[14:15] op_sel:[0,1]
	v_cndmask_b32_e64 v13, 0, 1, vcc
	v_cmp_gt_u32_e32 vcc, s54, v10
	v_mov_b32_e32 v10, s8
	v_mov_b32_e32 v11, s8
	s_mov_b64 s[40:41], 0
	v_pk_mov_b32 v[22:23], s[12:13], s[12:13] op_sel:[0,1]
	v_pk_mov_b32 v[20:21], s[10:11], s[10:11] op_sel:[0,1]
	;; [unrolled: 1-line block ×3, first 2 shown]
                                        ; implicit-def: $sgpr48_sgpr49
                                        ; implicit-def: $vgpr42
	s_and_saveexec_b64 s[30:31], vcc
	s_cbranch_execz .LBB482_67
; %bb.56:
	v_mov_b32_e32 v10, s56
	v_cmp_eq_u32_e32 vcc, v26, v27
	v_add_u32_e32 v18, 9, v45
	v_cndmask_b32_e32 v10, v10, v31, vcc
	v_cmp_ne_u32_e32 vcc, v26, v27
	v_cndmask_b32_e64 v11, 0, 1, vcc
	v_cmp_gt_u32_e32 vcc, s54, v18
	v_pk_mov_b32 v[24:25], s[14:15], s[14:15] op_sel:[0,1]
	v_pk_mov_b32 v[22:23], s[12:13], s[12:13] op_sel:[0,1]
	;; [unrolled: 1-line block ×4, first 2 shown]
                                        ; implicit-def: $sgpr10_sgpr11
                                        ; implicit-def: $vgpr42
	s_and_saveexec_b64 s[8:9], vcc
	s_cbranch_execz .LBB482_66
; %bb.57:
	ds_read2_b32 v[30:31], v44 offset0:9 offset1:10
	v_mov_b32_e32 v18, s56
	v_cmp_eq_u32_e32 vcc, v27, v28
	v_add_u32_e32 v20, 10, v45
	v_mov_b32_e32 v22, 0
	s_waitcnt lgkmcnt(0)
	v_cndmask_b32_e32 v18, v18, v30, vcc
	v_cmp_ne_u32_e32 vcc, v27, v28
	v_cndmask_b32_e64 v19, 0, 1, vcc
	v_cmp_gt_u32_e32 vcc, s54, v20
	v_mov_b32_e32 v20, v22
	v_mov_b32_e32 v21, v22
	v_mov_b32_e32 v23, v22
	v_mov_b32_e32 v24, v22
	v_mov_b32_e32 v25, v22
	s_mov_b64 s[12:13], 0
                                        ; implicit-def: $sgpr40_sgpr41
                                        ; implicit-def: $vgpr42
	s_and_saveexec_b64 s[10:11], vcc
	s_cbranch_execz .LBB482_65
; %bb.58:
	v_mov_b32_e32 v20, s56
	v_cmp_eq_u32_e32 vcc, v28, v29
	v_add_u32_e32 v23, 11, v45
	v_cndmask_b32_e32 v20, v20, v31, vcc
	v_cmp_ne_u32_e32 vcc, v28, v29
	v_cndmask_b32_e64 v21, 0, 1, vcc
	v_cmp_gt_u32_e32 vcc, s54, v23
	s_mov_b32 s40, 0
	v_mov_b32_e32 v23, v22
	v_mov_b32_e32 v24, v22
	;; [unrolled: 1-line block ×3, first 2 shown]
	s_mov_b64 s[14:15], 0
                                        ; implicit-def: $sgpr48_sgpr49
                                        ; implicit-def: $vgpr42
	s_and_saveexec_b64 s[12:13], vcc
	s_cbranch_execz .LBB482_64
; %bb.59:
	ds_read2_b32 v[26:27], v44 offset0:11 offset1:12
	v_mov_b32_e32 v22, s56
	v_cmp_eq_u32_e32 vcc, v29, v40
	v_add_u32_e32 v24, 12, v45
	v_mov_b32_e32 v25, s40
	s_waitcnt lgkmcnt(0)
	v_cndmask_b32_e32 v22, v22, v26, vcc
	v_cmp_ne_u32_e32 vcc, v29, v40
	v_cndmask_b32_e64 v23, 0, 1, vcc
	v_cmp_gt_u32_e32 vcc, s54, v24
	v_mov_b32_e32 v24, s40
	s_mov_b64 s[40:41], 0
                                        ; implicit-def: $sgpr48_sgpr49
                                        ; implicit-def: $vgpr42
	s_and_saveexec_b64 s[14:15], vcc
	s_cbranch_execz .LBB482_63
; %bb.60:
	v_mov_b32_e32 v24, s56
	v_cmp_eq_u32_e32 vcc, v40, v41
	v_add_u32_e32 v26, 13, v45
	v_cndmask_b32_e32 v24, v24, v27, vcc
	v_cmp_ne_u32_e32 vcc, v40, v41
	v_cndmask_b32_e64 v25, 0, 1, vcc
	v_cmp_gt_u32_e32 vcc, s54, v26
                                        ; implicit-def: $sgpr48_sgpr49
                                        ; implicit-def: $vgpr42
	s_and_saveexec_b64 s[54:55], vcc
	s_xor_b64 s[54:55], exec, s[54:55]
	s_cbranch_execz .LBB482_62
; %bb.61:
	ds_read_b32 v26, v44 offset:52
	v_mov_b32_e32 v27, s56
	v_cmp_ne_u32_e32 vcc, v41, v1
	s_mov_b64 s[40:41], exec
	s_and_b64 s[48:49], vcc, exec
	s_waitcnt lgkmcnt(0)
	v_cndmask_b32_e32 v42, v26, v27, vcc
.LBB482_62:
	s_or_b64 exec, exec, s[54:55]
	s_and_b64 s[48:49], s[48:49], exec
	s_and_b64 s[40:41], s[40:41], exec
.LBB482_63:
	s_or_b64 exec, exec, s[14:15]
	s_and_b64 s[48:49], s[48:49], exec
	s_and_b64 s[14:15], s[40:41], exec
.LBB482_64:
	s_or_b64 exec, exec, s[12:13]
	s_and_b64 s[40:41], s[48:49], exec
	s_and_b64 s[12:13], s[14:15], exec
.LBB482_65:
	s_or_b64 exec, exec, s[10:11]
	s_and_b64 s[10:11], s[40:41], exec
	s_and_b64 s[40:41], s[12:13], exec
.LBB482_66:
	s_or_b64 exec, exec, s[8:9]
	s_and_b64 s[48:49], s[10:11], exec
	s_and_b64 s[40:41], s[40:41], exec
.LBB482_67:
	s_or_b64 exec, exec, s[30:31]
	s_and_b64 s[8:9], s[48:49], exec
	s_and_b64 s[30:31], s[40:41], exec
.LBB482_68:
	s_or_b64 exec, exec, s[28:29]
	s_and_b64 s[40:41], s[8:9], exec
	s_and_b64 s[28:29], s[30:31], exec
.LBB482_69:
	s_or_b64 exec, exec, s[26:27]
	s_and_b64 s[8:9], s[40:41], exec
	s_and_b64 s[28:29], s[28:29], exec
.LBB482_70:
	s_or_b64 exec, exec, s[24:25]
	s_and_b64 s[26:27], s[8:9], exec
	s_and_b64 s[24:25], s[28:29], exec
.LBB482_71:
	s_or_b64 exec, exec, s[22:23]
	s_and_b64 s[8:9], s[26:27], exec
	s_and_b64 s[22:23], s[24:25], exec
.LBB482_72:
	s_or_b64 exec, exec, s[20:21]
	s_and_b64 s[24:25], s[8:9], exec
	s_and_b64 s[20:21], s[22:23], exec
.LBB482_73:
	s_or_b64 exec, exec, s[18:19]
	s_and_b64 s[8:9], s[24:25], exec
	s_and_b64 s[18:19], s[20:21], exec
.LBB482_74:
	s_or_b64 exec, exec, s[16:17]
	s_and_b64 s[16:17], s[8:9], exec
	s_and_b64 s[18:19], s[18:19], exec
.LBB482_75:
	s_or_b64 exec, exec, s[4:5]
	s_and_b64 vcc, exec, s[2:3]
	v_lshlrev_b32_e32 v50, 2, v0
	s_cbranch_vccnz .LBB482_77
	s_branch .LBB482_82
.LBB482_76:
	s_mov_b64 s[18:19], 0
                                        ; implicit-def: $sgpr16_sgpr17
                                        ; implicit-def: $vgpr2_vgpr3_vgpr4_vgpr5_vgpr6_vgpr7_vgpr8_vgpr9
                                        ; implicit-def: $vgpr10_vgpr11_vgpr12_vgpr13_vgpr14_vgpr15_vgpr16_vgpr17
                                        ; implicit-def: $vgpr18_vgpr19_vgpr20_vgpr21_vgpr22_vgpr23_vgpr24_vgpr25
                                        ; implicit-def: $vgpr42
                                        ; implicit-def: $vgpr38_vgpr39
	s_and_b64 vcc, exec, s[2:3]
	v_lshlrev_b32_e32 v50, 2, v0
	s_cbranch_vccz .LBB482_82
.LBB482_77:
	v_mov_b32_e32 v1, s39
	v_add_co_u32_e32 v2, vcc, s38, v50
	v_addc_co_u32_e32 v3, vcc, 0, v1, vcc
	v_add_co_u32_e32 v4, vcc, 0x1000, v2
	v_addc_co_u32_e32 v5, vcc, 0, v3, vcc
	flat_load_dword v1, v[2:3]
	flat_load_dword v6, v[2:3] offset:1024
	flat_load_dword v7, v[2:3] offset:2048
	;; [unrolled: 1-line block ×3, first 2 shown]
	flat_load_dword v9, v[4:5]
	flat_load_dword v10, v[4:5] offset:1024
	flat_load_dword v11, v[4:5] offset:2048
	;; [unrolled: 1-line block ×3, first 2 shown]
	v_add_co_u32_e32 v4, vcc, 0x2000, v2
	v_addc_co_u32_e32 v5, vcc, 0, v3, vcc
	v_add_co_u32_e32 v2, vcc, 0x3000, v2
	v_addc_co_u32_e32 v3, vcc, 0, v3, vcc
	flat_load_dword v13, v[4:5]
	flat_load_dword v14, v[4:5] offset:1024
	flat_load_dword v15, v[4:5] offset:2048
	;; [unrolled: 1-line block ×3, first 2 shown]
	flat_load_dword v17, v[2:3]
	flat_load_dword v18, v[2:3] offset:1024
	v_mov_b32_e32 v2, s38
	v_mov_b32_e32 v3, s39
	v_add_co_u32_e32 v2, vcc, 0x3000, v2
	v_addc_co_u32_e32 v3, vcc, 0, v3, vcc
	s_movk_i32 s4, 0xffcc
	s_movk_i32 s9, 0x1000
	s_mov_b32 s2, 0
	s_movk_i32 s8, 0x2000
	s_movk_i32 s3, 0x3000
	s_waitcnt vmcnt(0) lgkmcnt(0)
	ds_write2st64_b32 v50, v1, v6 offset1:4
	ds_write2st64_b32 v50, v7, v8 offset0:8 offset1:12
	ds_write2st64_b32 v50, v9, v10 offset0:16 offset1:20
	;; [unrolled: 1-line block ×6, first 2 shown]
	s_waitcnt lgkmcnt(0)
	s_barrier
	flat_load_dword v1, v[2:3] offset:2048
	v_mad_u32_u24 v6, v0, 52, v50
	v_mad_i32_i24 v2, v0, s4, v6
	s_movk_i32 s4, 0xff
	v_cmp_ne_u32_e32 vcc, s4, v0
	ds_read2_b32 v[26:27], v6 offset1:13
	ds_read2_b32 v[18:19], v6 offset0:7 offset1:8
	ds_read2_b32 v[20:21], v6 offset0:5 offset1:6
	;; [unrolled: 1-line block ×6, first 2 shown]
	s_waitcnt lgkmcnt(0)
	ds_write_b32 v2, v26 offset:15360
	s_waitcnt lgkmcnt(0)
	s_barrier
	s_and_saveexec_b64 s[4:5], vcc
	s_cbranch_execz .LBB482_79
; %bb.78:
	s_waitcnt vmcnt(0)
	ds_read_b32 v1, v50 offset:15364
.LBB482_79:
	s_or_b64 exec, exec, s[4:5]
	v_mov_b32_e32 v3, s47
	v_add_co_u32_e32 v2, vcc, s7, v50
	v_addc_co_u32_e32 v3, vcc, 0, v3, vcc
	v_add_co_u32_e32 v4, vcc, s9, v2
	v_addc_co_u32_e32 v5, vcc, 0, v3, vcc
	s_waitcnt lgkmcnt(0)
	s_barrier
	flat_load_dword v7, v[2:3]
	flat_load_dword v8, v[2:3] offset:1024
	flat_load_dword v9, v[2:3] offset:2048
	;; [unrolled: 1-line block ×3, first 2 shown]
	flat_load_dword v15, v[4:5]
	flat_load_dword v16, v[4:5] offset:1024
	flat_load_dword v17, v[4:5] offset:2048
	;; [unrolled: 1-line block ×3, first 2 shown]
	v_add_co_u32_e32 v4, vcc, s8, v2
	v_addc_co_u32_e32 v5, vcc, 0, v3, vcc
	v_add_co_u32_e32 v2, vcc, s3, v2
	v_addc_co_u32_e32 v3, vcc, 0, v3, vcc
	flat_load_dword v23, v[4:5]
	flat_load_dword v24, v[4:5] offset:1024
	flat_load_dword v25, v[4:5] offset:2048
	;; [unrolled: 1-line block ×3, first 2 shown]
	flat_load_dword v33, v[2:3]
	flat_load_dword v34, v[2:3] offset:1024
	s_mov_b32 s3, 1
	v_cmp_eq_u32_e32 vcc, v26, v12
	v_pk_mov_b32 v[38:39], s[2:3], s[2:3] op_sel:[0,1]
	s_waitcnt vmcnt(0) lgkmcnt(0)
	ds_write2st64_b32 v50, v7, v8 offset1:4
	ds_write2st64_b32 v50, v9, v14 offset0:8 offset1:12
	ds_write2st64_b32 v50, v15, v16 offset0:16 offset1:20
	;; [unrolled: 1-line block ×6, first 2 shown]
	s_waitcnt lgkmcnt(0)
	s_barrier
	ds_read2_b32 v[24:25], v6 offset0:7 offset1:8
	ds_read2_b32 v[14:15], v6 offset0:5 offset1:6
	;; [unrolled: 1-line block ×4, first 2 shown]
	ds_read_b32 v34, v6 offset:52
	ds_read2_b32 v[22:23], v6 offset0:11 offset1:12
	ds_read2_b32 v[32:33], v6 offset0:9 offset1:10
	v_mov_b32_e32 v7, s56
	s_and_saveexec_b64 s[2:3], vcc
	s_cbranch_execz .LBB482_81
; %bb.80:
	ds_read_b32 v7, v6
	v_pk_mov_b32 v[38:39], 0, 0
.LBB482_81:
	s_or_b64 exec, exec, s[2:3]
	v_mov_b32_e32 v26, s56
	v_cmp_eq_u32_e32 vcc, v12, v13
	s_waitcnt lgkmcnt(3)
	v_cndmask_b32_e32 v8, v26, v4, vcc
	v_cmp_eq_u32_e32 vcc, v13, v10
	v_cndmask_b32_e32 v6, v26, v5, vcc
	v_cmp_eq_u32_e32 vcc, v10, v11
	;; [unrolled: 2-line block ×3, first 2 shown]
	v_cndmask_b32_e32 v2, v26, v3, vcc
	v_cmp_ne_u32_e32 vcc, v12, v13
	v_cndmask_b32_e64 v9, 0, 1, vcc
	v_cmp_ne_u32_e32 vcc, v13, v10
	s_waitcnt lgkmcnt(0)
	v_or_b32_e32 v38, v38, v7
	v_cndmask_b32_e64 v7, 0, 1, vcc
	v_cmp_ne_u32_e32 vcc, v10, v11
	v_cndmask_b32_e64 v5, 0, 1, vcc
	v_cmp_ne_u32_e32 vcc, v11, v20
	v_cndmask_b32_e64 v3, 0, 1, vcc
	v_cmp_eq_u32_e32 vcc, v20, v21
	v_cndmask_b32_e32 v16, v26, v14, vcc
	v_cmp_eq_u32_e32 vcc, v21, v18
	v_cndmask_b32_e32 v14, v26, v15, vcc
	;; [unrolled: 2-line block ×4, first 2 shown]
	v_cmp_ne_u32_e32 vcc, v20, v21
	v_cndmask_b32_e64 v17, 0, 1, vcc
	v_cmp_ne_u32_e32 vcc, v21, v18
	v_cndmask_b32_e64 v15, 0, 1, vcc
	;; [unrolled: 2-line block ×4, first 2 shown]
	v_cmp_eq_u32_e32 vcc, v31, v27
	v_cndmask_b32_e32 v24, v26, v23, vcc
	v_cmp_eq_u32_e32 vcc, v30, v31
	v_cndmask_b32_e32 v22, v26, v22, vcc
	;; [unrolled: 2-line block ×4, first 2 shown]
	v_cmp_ne_u32_e32 vcc, v31, v27
	v_cndmask_b32_e64 v25, 0, 1, vcc
	v_cmp_ne_u32_e32 vcc, v30, v31
	v_cndmask_b32_e64 v23, 0, 1, vcc
	;; [unrolled: 2-line block ×3, first 2 shown]
	v_cmp_ne_u32_e32 vcc, v28, v29
	v_cmp_ne_u32_e64 s[16:17], v27, v1
	v_cndmask_b32_e64 v19, 0, 1, vcc
	v_cndmask_b32_e64 v42, v34, v26, s[16:17]
	s_mov_b64 s[18:19], -1
                                        ; implicit-def: $sgpr2_sgpr3
.LBB482_82:
	v_pk_mov_b32 v[40:41], s[2:3], s[2:3] op_sel:[0,1]
	s_and_saveexec_b64 s[2:3], s[18:19]
; %bb.83:
	v_cndmask_b32_e64 v43, 0, 1, s[16:17]
	v_pk_mov_b32 v[40:41], v[42:43], v[42:43] op_sel:[0,1]
; %bb.84:
	s_or_b64 exec, exec, s[2:3]
	s_mov_b32 s26, 0
	s_cmp_lg_u32 s6, 0
	v_mbcnt_lo_u32_b32 v52, -1, 0
	v_lshrrev_b32_e32 v1, 6, v0
	v_or_b32_e32 v51, 63, v0
	s_barrier
	s_cbranch_scc0 .LBB482_129
; %bb.85:
	s_mov_b32 s27, 1
	v_cmp_gt_u64_e64 s[2:3], s[26:27], v[8:9]
	v_cndmask_b32_e64 v27, 0, v38, s[2:3]
	v_add_u32_e32 v27, v27, v8
	v_cmp_gt_u64_e64 s[4:5], s[26:27], v[6:7]
	v_cndmask_b32_e64 v27, 0, v27, s[4:5]
	v_add_u32_e32 v27, v27, v6
	;; [unrolled: 3-line block ×12, first 2 shown]
	v_cmp_gt_u64_e32 vcc, s[26:27], v[40:41]
	v_cndmask_b32_e32 v27, 0, v27, vcc
	v_add_u32_e32 v28, v27, v40
	v_or3_b32 v27, v41, v25, v23
	v_or3_b32 v27, v27, v21, v19
	;; [unrolled: 1-line block ×6, first 2 shown]
	v_mov_b32_e32 v26, 0
	v_and_b32_e32 v27, 1, v27
	v_cmp_eq_u64_e32 vcc, 0, v[26:27]
	v_cndmask_b32_e32 v27, 1, v39, vcc
	v_and_b32_e32 v29, 0xff, v27
	v_mov_b32_dpp v31, v28 row_shr:1 row_mask:0xf bank_mask:0xf
	v_cmp_eq_u16_e32 vcc, 0, v29
	v_mov_b32_dpp v32, v29 row_shr:1 row_mask:0xf bank_mask:0xf
	v_and_b32_e32 v33, 1, v27
	v_mbcnt_hi_u32_b32 v46, -1, v52
	v_cndmask_b32_e32 v31, 0, v31, vcc
	v_and_b32_e32 v32, 1, v32
	v_cmp_eq_u32_e32 vcc, 1, v33
	v_and_b32_e32 v30, 15, v46
	v_cndmask_b32_e64 v32, v32, 1, vcc
	v_and_b32_e32 v33, 0xffff, v32
	v_cmp_eq_u32_e32 vcc, 0, v30
	v_cndmask_b32_e32 v27, v32, v27, vcc
	v_cndmask_b32_e32 v29, v33, v29, vcc
	v_and_b32_e32 v33, 1, v27
	v_cndmask_b32_e64 v31, v31, 0, vcc
	v_mov_b32_dpp v32, v29 row_shr:2 row_mask:0xf bank_mask:0xf
	v_and_b32_e32 v32, 1, v32
	v_cmp_eq_u32_e32 vcc, 1, v33
	v_cndmask_b32_e64 v32, v32, 1, vcc
	v_and_b32_e32 v33, 0xffff, v32
	v_cmp_lt_u32_e32 vcc, 1, v30
	v_add_u32_e32 v28, v31, v28
	v_cmp_eq_u16_sdwa s[26:27], v27, v26 src0_sel:BYTE_0 src1_sel:DWORD
	v_cndmask_b32_e32 v27, v27, v32, vcc
	v_cndmask_b32_e32 v29, v29, v33, vcc
	v_mov_b32_dpp v31, v28 row_shr:2 row_mask:0xf bank_mask:0xf
	s_and_b64 vcc, vcc, s[26:27]
	v_mov_b32_dpp v32, v29 row_shr:4 row_mask:0xf bank_mask:0xf
	v_and_b32_e32 v33, 1, v27
	v_cndmask_b32_e32 v31, 0, v31, vcc
	v_and_b32_e32 v32, 1, v32
	v_cmp_eq_u32_e32 vcc, 1, v33
	v_cndmask_b32_e64 v32, v32, 1, vcc
	v_and_b32_e32 v33, 0xffff, v32
	v_cmp_lt_u32_e32 vcc, 3, v30
	v_add_u32_e32 v28, v31, v28
	v_cmp_eq_u16_sdwa s[26:27], v27, v26 src0_sel:BYTE_0 src1_sel:DWORD
	v_cndmask_b32_e32 v27, v27, v32, vcc
	v_cndmask_b32_e32 v29, v29, v33, vcc
	v_mov_b32_dpp v31, v28 row_shr:4 row_mask:0xf bank_mask:0xf
	s_and_b64 vcc, vcc, s[26:27]
	v_mov_b32_dpp v32, v29 row_shr:8 row_mask:0xf bank_mask:0xf
	v_and_b32_e32 v33, 1, v27
	v_cndmask_b32_e32 v31, 0, v31, vcc
	v_and_b32_e32 v32, 1, v32
	v_cmp_eq_u32_e32 vcc, 1, v33
	v_cndmask_b32_e64 v32, v32, 1, vcc
	v_add_u32_e32 v28, v31, v28
	v_cmp_eq_u16_sdwa s[26:27], v27, v26 src0_sel:BYTE_0 src1_sel:DWORD
	v_and_b32_e32 v33, 0xffff, v32
	v_cmp_lt_u32_e32 vcc, 7, v30
	v_mov_b32_dpp v31, v28 row_shr:8 row_mask:0xf bank_mask:0xf
	v_cndmask_b32_e32 v27, v27, v32, vcc
	v_cndmask_b32_e32 v29, v29, v33, vcc
	s_and_b64 vcc, vcc, s[26:27]
	v_cndmask_b32_e32 v30, 0, v31, vcc
	v_add_u32_e32 v28, v30, v28
	v_mov_b32_dpp v31, v29 row_bcast:15 row_mask:0xf bank_mask:0xf
	v_cmp_eq_u16_sdwa vcc, v27, v26 src0_sel:BYTE_0 src1_sel:DWORD
	v_mov_b32_dpp v30, v28 row_bcast:15 row_mask:0xf bank_mask:0xf
	v_and_b32_e32 v34, 1, v27
	v_cndmask_b32_e32 v30, 0, v30, vcc
	v_and_b32_e32 v31, 1, v31
	v_cmp_eq_u32_e32 vcc, 1, v34
	v_and_b32_e32 v33, 16, v46
	v_cndmask_b32_e64 v31, v31, 1, vcc
	v_and_b32_e32 v34, 0xffff, v31
	v_cmp_eq_u32_e32 vcc, 0, v33
	v_cndmask_b32_e32 v27, v31, v27, vcc
	v_cndmask_b32_e32 v29, v34, v29, vcc
	v_bfe_i32 v32, v46, 4, 1
	v_cmp_eq_u16_sdwa s[26:27], v27, v26 src0_sel:BYTE_0 src1_sel:DWORD
	v_mov_b32_dpp v29, v29 row_bcast:31 row_mask:0xf bank_mask:0xf
	v_and_b32_e32 v26, 1, v27
	v_and_b32_e32 v30, v32, v30
	;; [unrolled: 1-line block ×3, first 2 shown]
	v_cmp_eq_u32_e32 vcc, 1, v26
	v_add_u32_e32 v28, v30, v28
	v_cndmask_b32_e64 v26, v29, 1, vcc
	v_cmp_lt_u32_e32 vcc, 31, v46
	v_mov_b32_dpp v30, v28 row_bcast:31 row_mask:0xf bank_mask:0xf
	v_cndmask_b32_e32 v29, v27, v26, vcc
	s_and_b64 vcc, vcc, s[26:27]
	v_cndmask_b32_e32 v26, 0, v30, vcc
	v_add_u32_e32 v28, v26, v28
	v_cmp_eq_u32_e32 vcc, v51, v0
	s_and_saveexec_b64 s[26:27], vcc
	s_cbranch_execz .LBB482_87
; %bb.86:
	v_lshlrev_b32_e32 v26, 3, v1
	ds_write_b32 v26, v28
	ds_write_b8 v26, v29 offset:4
.LBB482_87:
	s_or_b64 exec, exec, s[26:27]
	v_cmp_gt_u32_e32 vcc, 4, v0
	s_waitcnt lgkmcnt(0)
	s_barrier
	s_and_saveexec_b64 s[26:27], vcc
	s_cbranch_execz .LBB482_91
; %bb.88:
	v_lshlrev_b32_e32 v30, 3, v0
	ds_read_b64 v[26:27], v30
	v_and_b32_e32 v31, 3, v46
	v_cmp_ne_u32_e32 vcc, 0, v31
	s_waitcnt lgkmcnt(0)
	v_mov_b32_dpp v32, v26 row_shr:1 row_mask:0xf bank_mask:0xf
	v_mov_b32_dpp v34, v27 row_shr:1 row_mask:0xf bank_mask:0xf
	v_mov_b32_e32 v33, v27
	s_and_saveexec_b64 s[30:31], vcc
	s_cbranch_execz .LBB482_90
; %bb.89:
	v_and_b32_e32 v33, 1, v27
	v_and_b32_e32 v34, 1, v34
	v_cmp_eq_u32_e32 vcc, 1, v33
	v_mov_b32_e32 v33, 0
	v_cndmask_b32_e64 v34, v34, 1, vcc
	v_cmp_eq_u16_sdwa vcc, v27, v33 src0_sel:BYTE_0 src1_sel:DWORD
	v_cndmask_b32_e32 v32, 0, v32, vcc
	v_add_u32_e32 v26, v32, v26
	v_and_b32_e32 v32, 0xffff, v34
	s_movk_i32 s7, 0xff00
	v_and_or_b32 v33, v27, s7, v32
	v_mov_b32_e32 v27, v34
.LBB482_90:
	s_or_b64 exec, exec, s[30:31]
	v_mov_b32_dpp v33, v33 row_shr:2 row_mask:0xf bank_mask:0xf
	v_and_b32_e32 v34, 1, v27
	v_and_b32_e32 v33, 1, v33
	v_cmp_eq_u32_e32 vcc, 1, v34
	v_mov_b32_e32 v34, 0
	v_cndmask_b32_e64 v33, v33, 1, vcc
	v_cmp_eq_u16_sdwa s[30:31], v27, v34 src0_sel:BYTE_0 src1_sel:DWORD
	v_cmp_lt_u32_e32 vcc, 1, v31
	v_mov_b32_dpp v32, v26 row_shr:2 row_mask:0xf bank_mask:0xf
	v_cndmask_b32_e32 v27, v27, v33, vcc
	s_and_b64 vcc, vcc, s[30:31]
	v_cndmask_b32_e32 v31, 0, v32, vcc
	v_add_u32_e32 v26, v31, v26
	ds_write_b32 v30, v26
	ds_write_b8 v30, v27 offset:4
.LBB482_91:
	s_or_b64 exec, exec, s[26:27]
	v_cmp_gt_u32_e32 vcc, 64, v0
	v_cmp_lt_u32_e64 s[26:27], 63, v0
	v_mov_b32_e32 v42, 0
	v_mov_b32_e32 v43, 0
	s_waitcnt lgkmcnt(0)
	s_barrier
	s_and_saveexec_b64 s[30:31], s[26:27]
	s_cbranch_execz .LBB482_93
; %bb.92:
	v_lshl_add_u32 v26, v1, 3, -8
	ds_read_b32 v42, v26
	ds_read_u8 v43, v26 offset:4
	v_mov_b32_e32 v27, 0
	v_and_b32_e32 v30, 1, v29
	v_cmp_eq_u16_sdwa s[26:27], v29, v27 src0_sel:BYTE_0 src1_sel:DWORD
	s_waitcnt lgkmcnt(1)
	v_cndmask_b32_e64 v26, 0, v42, s[26:27]
	v_cmp_eq_u32_e64 s[26:27], 1, v30
	v_add_u32_e32 v28, v26, v28
	s_waitcnt lgkmcnt(0)
	v_cndmask_b32_e64 v29, v43, 1, s[26:27]
.LBB482_93:
	s_or_b64 exec, exec, s[30:31]
	v_and_b32_e32 v26, 0xff, v29
	v_add_u32_e32 v27, -1, v46
	v_and_b32_e32 v29, 64, v46
	v_cmp_lt_i32_e64 s[26:27], v27, v29
	v_cndmask_b32_e64 v27, v27, v46, s[26:27]
	v_lshlrev_b32_e32 v27, 2, v27
	ds_bpermute_b32 v44, v27, v28
	ds_bpermute_b32 v45, v27, v26
	v_cmp_eq_u32_e64 s[26:27], 0, v46
	s_and_saveexec_b64 s[38:39], vcc
	s_cbranch_execz .LBB482_116
; %bb.94:
	v_mov_b32_e32 v29, 0
	ds_read_b64 v[26:27], v29 offset:24
	s_waitcnt lgkmcnt(0)
	v_readfirstlane_b32 s7, v27
	s_and_saveexec_b64 s[30:31], s[26:27]
	s_cbranch_execz .LBB482_96
; %bb.95:
	s_add_i32 s40, s6, 64
	s_mov_b32 s41, 0
	s_lshl_b64 s[48:49], s[40:41], 4
	s_add_u32 s48, s44, s48
	s_addc_u32 s49, s45, s49
	s_and_b32 s55, s7, 0xff000000
	s_mov_b32 s54, s41
	s_and_b32 s59, s7, 0xff0000
	s_mov_b32 s58, s41
	s_or_b64 s[54:55], s[58:59], s[54:55]
	s_and_b32 s59, s7, 0xff00
	s_or_b64 s[54:55], s[54:55], s[58:59]
	s_and_b32 s59, s7, 0xff
	s_or_b64 s[40:41], s[54:55], s[58:59]
	v_mov_b32_e32 v27, s41
	v_mov_b32_e32 v28, 1
	v_pk_mov_b32 v[30:31], s[48:49], s[48:49] op_sel:[0,1]
	;;#ASMSTART
	global_store_dwordx4 v[30:31], v[26:29] off	
s_waitcnt vmcnt(0)
	;;#ASMEND
.LBB482_96:
	s_or_b64 exec, exec, s[30:31]
	v_xad_u32 v34, v46, -1, s6
	v_add_u32_e32 v28, 64, v34
	v_lshlrev_b64 v[30:31], 4, v[28:29]
	v_mov_b32_e32 v27, s45
	v_add_co_u32_e32 v36, vcc, s44, v30
	v_addc_co_u32_e32 v37, vcc, v27, v31, vcc
	;;#ASMSTART
	global_load_dwordx4 v[30:33], v[36:37] off glc	
s_waitcnt vmcnt(0)
	;;#ASMEND
	v_and_b32_e32 v27, 0xff0000, v30
	v_or_b32_sdwa v27, v30, v27 dst_sel:DWORD dst_unused:UNUSED_PAD src0_sel:WORD_0 src1_sel:DWORD
	v_and_b32_e32 v28, 0xff000000, v30
	v_and_b32_e32 v30, 0xff, v31
	v_or3_b32 v31, 0, 0, v30
	v_or3_b32 v30, v27, v28, 0
	v_cmp_eq_u16_sdwa s[40:41], v32, v29 src0_sel:BYTE_0 src1_sel:DWORD
	s_and_saveexec_b64 s[30:31], s[40:41]
	s_cbranch_execz .LBB482_102
; %bb.97:
	s_mov_b32 s47, 1
	s_mov_b64 s[40:41], 0
	v_mov_b32_e32 v27, 0
.LBB482_98:                             ; =>This Loop Header: Depth=1
                                        ;     Child Loop BB482_99 Depth 2
	s_max_u32 s48, s47, 1
.LBB482_99:                             ;   Parent Loop BB482_98 Depth=1
                                        ; =>  This Inner Loop Header: Depth=2
	s_add_i32 s48, s48, -1
	s_cmp_eq_u32 s48, 0
	s_sleep 1
	s_cbranch_scc0 .LBB482_99
; %bb.100:                              ;   in Loop: Header=BB482_98 Depth=1
	s_cmp_lt_u32 s47, 32
	s_cselect_b64 s[48:49], -1, 0
	s_cmp_lg_u64 s[48:49], 0
	s_addc_u32 s47, s47, 0
	;;#ASMSTART
	global_load_dwordx4 v[30:33], v[36:37] off glc	
s_waitcnt vmcnt(0)
	;;#ASMEND
	v_cmp_ne_u16_sdwa s[48:49], v32, v27 src0_sel:BYTE_0 src1_sel:DWORD
	s_or_b64 s[40:41], s[48:49], s[40:41]
	s_andn2_b64 exec, exec, s[40:41]
	s_cbranch_execnz .LBB482_98
; %bb.101:
	s_or_b64 exec, exec, s[40:41]
	v_and_b32_e32 v31, 0xff, v31
.LBB482_102:
	s_or_b64 exec, exec, s[30:31]
	v_mov_b32_e32 v27, 2
	v_cmp_eq_u16_sdwa s[30:31], v32, v27 src0_sel:BYTE_0 src1_sel:DWORD
	v_lshlrev_b64 v[28:29], v46, -1
	v_and_b32_e32 v33, s31, v29
	v_or_b32_e32 v33, 0x80000000, v33
	v_and_b32_e32 v35, s30, v28
	v_ffbl_b32_e32 v33, v33
	v_and_b32_e32 v47, 63, v46
	v_add_u32_e32 v33, 32, v33
	v_ffbl_b32_e32 v35, v35
	v_cmp_ne_u32_e32 vcc, 63, v47
	v_min_u32_e32 v33, v35, v33
	v_addc_co_u32_e32 v35, vcc, 0, v46, vcc
	v_lshlrev_b32_e32 v48, 2, v35
	ds_bpermute_b32 v35, v48, v31
	ds_bpermute_b32 v36, v48, v30
	s_mov_b32 s40, 0
	v_and_b32_e32 v37, 1, v31
	s_mov_b32 s41, 1
	s_waitcnt lgkmcnt(1)
	v_and_b32_e32 v35, 1, v35
	v_cmp_eq_u32_e32 vcc, 1, v37
	v_cndmask_b32_e64 v35, v35, 1, vcc
	v_cmp_gt_u64_e32 vcc, s[40:41], v[30:31]
	v_cmp_lt_u32_e64 s[30:31], v47, v33
	s_and_b64 vcc, s[30:31], vcc
	v_and_b32_e32 v37, 0xffff, v35
	v_cndmask_b32_e64 v54, v31, v35, s[30:31]
	s_waitcnt lgkmcnt(0)
	v_cndmask_b32_e32 v35, 0, v36, vcc
	v_cmp_gt_u32_e32 vcc, 62, v47
	v_cndmask_b32_e64 v36, 0, 1, vcc
	v_lshlrev_b32_e32 v36, 1, v36
	v_cndmask_b32_e64 v31, v31, v37, s[30:31]
	v_add_lshl_u32 v49, v36, v46, 2
	ds_bpermute_b32 v36, v49, v31
	v_add_u32_e32 v30, v35, v30
	ds_bpermute_b32 v37, v49, v30
	v_and_b32_e32 v35, 1, v54
	v_cmp_eq_u32_e32 vcc, 1, v35
	s_waitcnt lgkmcnt(1)
	v_and_b32_e32 v36, 1, v36
	v_mov_b32_e32 v35, 0
	v_add_u32_e32 v53, 2, v47
	v_cndmask_b32_e64 v36, v36, 1, vcc
	v_cmp_eq_u16_sdwa vcc, v54, v35 src0_sel:BYTE_0 src1_sel:DWORD
	v_and_b32_e32 v55, 0xffff, v36
	s_waitcnt lgkmcnt(0)
	v_cndmask_b32_e32 v37, 0, v37, vcc
	v_cmp_gt_u32_e32 vcc, v53, v33
	v_cndmask_b32_e32 v36, v36, v54, vcc
	v_cndmask_b32_e64 v37, v37, 0, vcc
	v_cndmask_b32_e32 v31, v55, v31, vcc
	v_cmp_gt_u32_e32 vcc, 60, v47
	v_cndmask_b32_e64 v54, 0, 1, vcc
	v_lshlrev_b32_e32 v54, 2, v54
	v_add_lshl_u32 v54, v54, v46, 2
	ds_bpermute_b32 v56, v54, v31
	v_add_u32_e32 v30, v37, v30
	ds_bpermute_b32 v37, v54, v30
	v_and_b32_e32 v57, 1, v36
	v_cmp_eq_u32_e32 vcc, 1, v57
	s_waitcnt lgkmcnt(1)
	v_and_b32_e32 v56, 1, v56
	v_add_u32_e32 v55, 4, v47
	v_cndmask_b32_e64 v56, v56, 1, vcc
	v_cmp_eq_u16_sdwa vcc, v36, v35 src0_sel:BYTE_0 src1_sel:DWORD
	v_and_b32_e32 v57, 0xffff, v56
	s_waitcnt lgkmcnt(0)
	v_cndmask_b32_e32 v37, 0, v37, vcc
	v_cmp_gt_u32_e32 vcc, v55, v33
	v_cndmask_b32_e32 v36, v56, v36, vcc
	v_cndmask_b32_e64 v37, v37, 0, vcc
	v_cndmask_b32_e32 v31, v57, v31, vcc
	v_cmp_gt_u32_e32 vcc, 56, v47
	v_cndmask_b32_e64 v56, 0, 1, vcc
	v_lshlrev_b32_e32 v56, 3, v56
	v_add_lshl_u32 v56, v56, v46, 2
	ds_bpermute_b32 v58, v56, v31
	v_add_u32_e32 v30, v37, v30
	ds_bpermute_b32 v37, v56, v30
	v_and_b32_e32 v59, 1, v36
	v_cmp_eq_u32_e32 vcc, 1, v59
	s_waitcnt lgkmcnt(1)
	v_and_b32_e32 v58, 1, v58
	;; [unrolled: 21-line block ×4, first 2 shown]
	v_add_u32_e32 v62, 32, v47
	v_cndmask_b32_e64 v31, v31, 1, vcc
	v_cmp_eq_u16_sdwa vcc, v36, v35 src0_sel:BYTE_0 src1_sel:DWORD
	s_waitcnt lgkmcnt(0)
	v_cndmask_b32_e32 v37, 0, v37, vcc
	v_cmp_gt_u32_e32 vcc, v62, v33
	v_cndmask_b32_e64 v33, v37, 0, vcc
	v_cndmask_b32_e32 v31, v31, v36, vcc
	v_add_u32_e32 v30, v33, v30
	s_branch .LBB482_104
.LBB482_103:                            ;   in Loop: Header=BB482_104 Depth=1
	s_or_b64 exec, exec, s[30:31]
	v_cmp_eq_u16_sdwa s[30:31], v32, v27 src0_sel:BYTE_0 src1_sel:DWORD
	v_and_b32_e32 v33, s31, v29
	ds_bpermute_b32 v37, v48, v31
	v_or_b32_e32 v33, 0x80000000, v33
	v_and_b32_e32 v36, s30, v28
	v_ffbl_b32_e32 v33, v33
	v_add_u32_e32 v33, 32, v33
	v_ffbl_b32_e32 v36, v36
	v_min_u32_e32 v33, v36, v33
	ds_bpermute_b32 v36, v48, v30
	v_and_b32_e32 v63, 1, v31
	s_waitcnt lgkmcnt(1)
	v_and_b32_e32 v37, 1, v37
	v_cmp_eq_u32_e32 vcc, 1, v63
	v_cndmask_b32_e64 v37, v37, 1, vcc
	v_cmp_gt_u64_e32 vcc, s[40:41], v[30:31]
	v_and_b32_e32 v63, 0xffff, v37
	v_cmp_lt_u32_e64 s[30:31], v47, v33
	v_cndmask_b32_e64 v37, v31, v37, s[30:31]
	v_cndmask_b32_e64 v31, v31, v63, s[30:31]
	s_and_b64 vcc, s[30:31], vcc
	ds_bpermute_b32 v63, v49, v31
	s_waitcnt lgkmcnt(1)
	v_cndmask_b32_e32 v36, 0, v36, vcc
	v_add_u32_e32 v30, v36, v30
	ds_bpermute_b32 v36, v49, v30
	v_and_b32_e32 v64, 1, v37
	s_waitcnt lgkmcnt(1)
	v_and_b32_e32 v63, 1, v63
	v_cmp_eq_u32_e32 vcc, 1, v64
	v_cndmask_b32_e64 v63, v63, 1, vcc
	v_cmp_eq_u16_sdwa vcc, v37, v35 src0_sel:BYTE_0 src1_sel:DWORD
	v_and_b32_e32 v64, 0xffff, v63
	s_waitcnt lgkmcnt(0)
	v_cndmask_b32_e32 v36, 0, v36, vcc
	v_cmp_gt_u32_e32 vcc, v53, v33
	v_cndmask_b32_e32 v31, v64, v31, vcc
	v_cndmask_b32_e32 v37, v63, v37, vcc
	ds_bpermute_b32 v63, v54, v31
	v_cndmask_b32_e64 v36, v36, 0, vcc
	v_add_u32_e32 v30, v36, v30
	ds_bpermute_b32 v36, v54, v30
	v_and_b32_e32 v64, 1, v37
	s_waitcnt lgkmcnt(1)
	v_and_b32_e32 v63, 1, v63
	v_cmp_eq_u32_e32 vcc, 1, v64
	v_cndmask_b32_e64 v63, v63, 1, vcc
	v_cmp_eq_u16_sdwa vcc, v37, v35 src0_sel:BYTE_0 src1_sel:DWORD
	v_and_b32_e32 v64, 0xffff, v63
	s_waitcnt lgkmcnt(0)
	v_cndmask_b32_e32 v36, 0, v36, vcc
	v_cmp_gt_u32_e32 vcc, v55, v33
	v_cndmask_b32_e32 v31, v64, v31, vcc
	v_cndmask_b32_e32 v37, v63, v37, vcc
	ds_bpermute_b32 v63, v56, v31
	v_cndmask_b32_e64 v36, v36, 0, vcc
	;; [unrolled: 16-line block ×3, first 2 shown]
	v_add_u32_e32 v30, v36, v30
	ds_bpermute_b32 v36, v58, v30
	v_and_b32_e32 v64, 1, v37
	s_waitcnt lgkmcnt(1)
	v_and_b32_e32 v63, 1, v63
	v_cmp_eq_u32_e32 vcc, 1, v64
	v_cndmask_b32_e64 v63, v63, 1, vcc
	v_cmp_eq_u16_sdwa vcc, v37, v35 src0_sel:BYTE_0 src1_sel:DWORD
	v_and_b32_e32 v64, 0xffff, v63
	s_waitcnt lgkmcnt(0)
	v_cndmask_b32_e32 v36, 0, v36, vcc
	v_cmp_gt_u32_e32 vcc, v59, v33
	v_cndmask_b32_e64 v36, v36, 0, vcc
	v_cndmask_b32_e32 v31, v64, v31, vcc
	ds_bpermute_b32 v31, v61, v31
	v_add_u32_e32 v30, v36, v30
	ds_bpermute_b32 v36, v61, v30
	v_cndmask_b32_e32 v37, v63, v37, vcc
	v_and_b32_e32 v63, 1, v37
	v_cmp_eq_u32_e32 vcc, 1, v63
	s_waitcnt lgkmcnt(1)
	v_cndmask_b32_e64 v31, v31, 1, vcc
	v_cmp_eq_u16_sdwa vcc, v37, v35 src0_sel:BYTE_0 src1_sel:DWORD
	s_waitcnt lgkmcnt(0)
	v_cndmask_b32_e32 v36, 0, v36, vcc
	v_cmp_gt_u32_e32 vcc, v62, v33
	v_cndmask_b32_e64 v33, v36, 0, vcc
	v_cndmask_b32_e32 v31, v31, v37, vcc
	v_add_u32_e32 v30, v33, v30
	v_cmp_eq_u16_sdwa vcc, v46, v35 src0_sel:BYTE_0 src1_sel:DWORD
	v_and_b32_e32 v33, 1, v46
	v_cndmask_b32_e32 v30, 0, v30, vcc
	v_and_b32_e32 v31, 1, v31
	v_cmp_eq_u32_e32 vcc, 1, v33
	v_subrev_u32_e32 v34, 64, v34
	v_add_u32_e32 v30, v30, v60
	v_cndmask_b32_e64 v31, v31, 1, vcc
.LBB482_104:                            ; =>This Loop Header: Depth=1
                                        ;     Child Loop BB482_107 Depth 2
                                        ;       Child Loop BB482_108 Depth 3
	v_cmp_ne_u16_sdwa s[30:31], v32, v27 src0_sel:BYTE_0 src1_sel:DWORD
	v_mov_b32_e32 v46, v31
	v_cndmask_b32_e64 v31, 0, 1, s[30:31]
	;;#ASMSTART
	;;#ASMEND
	v_cmp_ne_u32_e32 vcc, 0, v31
	s_cmp_lg_u64 vcc, exec
	v_mov_b32_e32 v60, v30
	s_cbranch_scc1 .LBB482_111
; %bb.105:                              ;   in Loop: Header=BB482_104 Depth=1
	v_lshlrev_b64 v[30:31], 4, v[34:35]
	v_mov_b32_e32 v32, s45
	v_add_co_u32_e32 v36, vcc, s44, v30
	v_addc_co_u32_e32 v37, vcc, v32, v31, vcc
	;;#ASMSTART
	global_load_dwordx4 v[30:33], v[36:37] off glc	
s_waitcnt vmcnt(0)
	;;#ASMEND
	v_and_b32_e32 v33, 0xff0000, v30
	v_or_b32_sdwa v33, v30, v33 dst_sel:DWORD dst_unused:UNUSED_PAD src0_sel:WORD_0 src1_sel:DWORD
	v_and_b32_e32 v30, 0xff000000, v30
	v_and_b32_e32 v31, 0xff, v31
	v_or3_b32 v31, 0, 0, v31
	v_or3_b32 v30, v33, v30, 0
	v_cmp_eq_u16_sdwa s[48:49], v32, v35 src0_sel:BYTE_0 src1_sel:DWORD
	s_and_saveexec_b64 s[30:31], s[48:49]
	s_cbranch_execz .LBB482_103
; %bb.106:                              ;   in Loop: Header=BB482_104 Depth=1
	s_mov_b32 s47, 1
	s_mov_b64 s[48:49], 0
.LBB482_107:                            ;   Parent Loop BB482_104 Depth=1
                                        ; =>  This Loop Header: Depth=2
                                        ;       Child Loop BB482_108 Depth 3
	s_max_u32 s54, s47, 1
.LBB482_108:                            ;   Parent Loop BB482_104 Depth=1
                                        ;     Parent Loop BB482_107 Depth=2
                                        ; =>    This Inner Loop Header: Depth=3
	s_add_i32 s54, s54, -1
	s_cmp_eq_u32 s54, 0
	s_sleep 1
	s_cbranch_scc0 .LBB482_108
; %bb.109:                              ;   in Loop: Header=BB482_107 Depth=2
	s_cmp_lt_u32 s47, 32
	s_cselect_b64 s[54:55], -1, 0
	s_cmp_lg_u64 s[54:55], 0
	s_addc_u32 s47, s47, 0
	;;#ASMSTART
	global_load_dwordx4 v[30:33], v[36:37] off glc	
s_waitcnt vmcnt(0)
	;;#ASMEND
	v_cmp_ne_u16_sdwa s[54:55], v32, v35 src0_sel:BYTE_0 src1_sel:DWORD
	s_or_b64 s[48:49], s[54:55], s[48:49]
	s_andn2_b64 exec, exec, s[48:49]
	s_cbranch_execnz .LBB482_107
; %bb.110:                              ;   in Loop: Header=BB482_104 Depth=1
	s_or_b64 exec, exec, s[48:49]
	v_and_b32_e32 v31, 0xff, v31
	s_branch .LBB482_103
.LBB482_111:                            ;   in Loop: Header=BB482_104 Depth=1
                                        ; implicit-def: $vgpr31
                                        ; implicit-def: $vgpr30
                                        ; implicit-def: $vgpr32
	s_cbranch_execz .LBB482_104
; %bb.112:
	s_and_saveexec_b64 s[30:31], s[26:27]
	s_cbranch_execz .LBB482_114
; %bb.113:
	s_and_b32 s40, s7, 0xff
	s_cmp_eq_u32 s40, 0
	s_cselect_b64 vcc, -1, 0
	s_bitcmp1_b32 s7, 0
	s_mov_b32 s41, 0
	s_cselect_b64 s[48:49], -1, 0
	s_add_i32 s40, s6, 64
	s_lshl_b64 s[6:7], s[40:41], 4
	v_cndmask_b32_e32 v27, 0, v60, vcc
	s_add_u32 s6, s44, s6
	v_add_u32_e32 v26, v27, v26
	v_and_b32_e32 v27, 1, v46
	s_addc_u32 s7, s45, s7
	v_mov_b32_e32 v29, 0
	v_cndmask_b32_e64 v27, v27, 1, s[48:49]
	v_mov_b32_e32 v28, 2
	v_pk_mov_b32 v[30:31], s[6:7], s[6:7] op_sel:[0,1]
	;;#ASMSTART
	global_store_dwordx4 v[30:31], v[26:29] off	
s_waitcnt vmcnt(0)
	;;#ASMEND
.LBB482_114:
	s_or_b64 exec, exec, s[30:31]
	v_cmp_eq_u32_e32 vcc, 0, v0
	s_and_b64 exec, exec, vcc
	s_cbranch_execz .LBB482_116
; %bb.115:
	v_mov_b32_e32 v26, 0
	ds_write_b32 v26, v60 offset:24
	ds_write_b8 v26, v46 offset:28
.LBB482_116:
	s_or_b64 exec, exec, s[38:39]
	v_mov_b32_e32 v28, 0
	s_waitcnt lgkmcnt(0)
	s_barrier
	ds_read_b32 v26, v28 offset:24
	v_cndmask_b32_e64 v27, v45, v43, s[26:27]
	v_cmp_eq_u16_sdwa vcc, v27, v28 src0_sel:BYTE_0 src1_sel:DWORD
	v_cndmask_b32_e64 v29, v44, v42, s[26:27]
	s_waitcnt lgkmcnt(0)
	v_cndmask_b32_e32 v27, 0, v26, vcc
	v_add_u32_e32 v27, v27, v29
	v_cmp_eq_u32_e32 vcc, 0, v0
	v_and_b32_e32 v29, 0xff, v39
	v_cndmask_b32_e32 v26, v27, v26, vcc
	v_cmp_eq_u64_e32 vcc, 0, v[28:29]
	v_cndmask_b32_e32 v27, 0, v26, vcc
	v_add_u32_e32 v27, v27, v38
	v_cndmask_b32_e64 v28, 0, v27, s[2:3]
	v_add_u32_e32 v42, v28, v8
	v_cndmask_b32_e64 v28, 0, v42, s[4:5]
	v_add_u32_e32 v43, v28, v6
	v_cndmask_b32_e64 v28, 0, v43, s[28:29]
	v_add_u32_e32 v30, v28, v4
	v_cndmask_b32_e64 v28, 0, v30, s[8:9]
	v_add_u32_e32 v31, v28, v2
	v_cndmask_b32_e64 v28, 0, v31, s[10:11]
	v_add_u32_e32 v44, v28, v16
	v_cndmask_b32_e64 v28, 0, v44, s[12:13]
	v_add_u32_e32 v45, v28, v14
	v_cndmask_b32_e64 v28, 0, v45, s[14:15]
	v_add_u32_e32 v34, v28, v12
	v_cndmask_b32_e64 v28, 0, v34, s[16:17]
	v_add_u32_e32 v35, v28, v10
	v_cndmask_b32_e64 v28, 0, v35, s[18:19]
	v_add_u32_e32 v46, v28, v18
	v_cndmask_b32_e64 v28, 0, v46, s[20:21]
	v_add_u32_e32 v47, v28, v20
	v_cndmask_b32_e64 v28, 0, v47, s[22:23]
	v_add_u32_e32 v48, v28, v22
	v_cndmask_b32_e64 v28, 0, v48, s[24:25]
	v_add_u32_e32 v49, v28, v24
	s_branch .LBB482_143
.LBB482_117:
	s_or_b64 exec, exec, s[30:31]
                                        ; implicit-def: $vgpr14
	s_and_saveexec_b64 s[30:31], s[2:3]
	s_cbranch_execz .LBB482_33
.LBB482_118:
	v_mov_b32_e32 v15, s47
	v_add_co_u32_e32 v14, vcc, s7, v12
	v_addc_co_u32_e32 v15, vcc, 0, v15, vcc
	flat_load_dword v14, v[14:15] offset:1024
	s_or_b64 exec, exec, s[30:31]
                                        ; implicit-def: $vgpr15
	s_and_saveexec_b64 s[2:3], s[4:5]
	s_cbranch_execnz .LBB482_34
.LBB482_119:
	s_or_b64 exec, exec, s[2:3]
                                        ; implicit-def: $vgpr16
	s_and_saveexec_b64 s[2:3], s[28:29]
	s_cbranch_execz .LBB482_35
.LBB482_120:
	v_mov_b32_e32 v17, s47
	v_add_co_u32_e32 v16, vcc, s7, v12
	v_addc_co_u32_e32 v17, vcc, 0, v17, vcc
	flat_load_dword v16, v[16:17] offset:3072
	s_or_b64 exec, exec, s[2:3]
                                        ; implicit-def: $vgpr17
	s_and_saveexec_b64 s[2:3], s[8:9]
	s_cbranch_execnz .LBB482_36
.LBB482_121:
	s_or_b64 exec, exec, s[2:3]
                                        ; implicit-def: $vgpr2
	s_and_saveexec_b64 s[2:3], s[10:11]
	s_cbranch_execz .LBB482_37
.LBB482_122:
	v_lshlrev_b32_e32 v2, 2, v3
	v_mov_b32_e32 v3, s47
	v_add_co_u32_e32 v2, vcc, s7, v2
	v_addc_co_u32_e32 v3, vcc, 0, v3, vcc
	flat_load_dword v2, v[2:3]
	s_or_b64 exec, exec, s[2:3]
                                        ; implicit-def: $vgpr3
	s_and_saveexec_b64 s[2:3], s[12:13]
	s_cbranch_execnz .LBB482_38
.LBB482_123:
	s_or_b64 exec, exec, s[2:3]
                                        ; implicit-def: $vgpr4
	s_and_saveexec_b64 s[2:3], s[14:15]
	s_cbranch_execz .LBB482_39
.LBB482_124:
	v_lshlrev_b32_e32 v4, 2, v5
	v_mov_b32_e32 v5, s47
	v_add_co_u32_e32 v4, vcc, s7, v4
	v_addc_co_u32_e32 v5, vcc, 0, v5, vcc
	flat_load_dword v4, v[4:5]
	s_or_b64 exec, exec, s[2:3]
                                        ; implicit-def: $vgpr5
	s_and_saveexec_b64 s[2:3], s[16:17]
	s_cbranch_execnz .LBB482_40
.LBB482_125:
	s_or_b64 exec, exec, s[2:3]
                                        ; implicit-def: $vgpr6
	s_and_saveexec_b64 s[2:3], s[18:19]
	s_cbranch_execz .LBB482_41
.LBB482_126:
	v_lshlrev_b32_e32 v6, 2, v7
	v_mov_b32_e32 v7, s47
	v_add_co_u32_e32 v6, vcc, s7, v6
	v_addc_co_u32_e32 v7, vcc, 0, v7, vcc
	flat_load_dword v6, v[6:7]
	s_or_b64 exec, exec, s[2:3]
                                        ; implicit-def: $vgpr7
	s_and_saveexec_b64 s[2:3], s[20:21]
	s_cbranch_execnz .LBB482_42
.LBB482_127:
	s_or_b64 exec, exec, s[2:3]
                                        ; implicit-def: $vgpr8
	s_and_saveexec_b64 s[2:3], s[22:23]
	s_cbranch_execz .LBB482_43
.LBB482_128:
	v_lshlrev_b32_e32 v8, 2, v9
	v_mov_b32_e32 v9, s47
	v_add_co_u32_e32 v8, vcc, s7, v8
	v_addc_co_u32_e32 v9, vcc, 0, v9, vcc
	flat_load_dword v8, v[8:9]
	s_or_b64 exec, exec, s[2:3]
                                        ; implicit-def: $vgpr9
	s_and_saveexec_b64 s[2:3], s[24:25]
	s_cbranch_execz .LBB482_45
	s_branch .LBB482_44
.LBB482_129:
                                        ; implicit-def: $vgpr49
                                        ; implicit-def: $vgpr47
                                        ; implicit-def: $vgpr45
                                        ; implicit-def: $vgpr43
                                        ; implicit-def: $vgpr34_vgpr35_vgpr36_vgpr37
                                        ; implicit-def: $vgpr30_vgpr31_vgpr32_vgpr33
                                        ; implicit-def: $vgpr26_vgpr27_vgpr28_vgpr29
	s_cbranch_execz .LBB482_143
; %bb.130:
	s_cmp_lg_u64 s[52:53], 0
	s_cselect_b32 s3, s51, 0
	s_cselect_b32 s2, s50, 0
	s_mov_b32 s24, 0
	s_cmp_eq_u64 s[2:3], 0
	v_mov_b32_e32 v32, s56
	s_cbranch_scc1 .LBB482_132
; %bb.131:
	v_mov_b32_e32 v26, 0
	global_load_dword v32, v26, s[2:3]
.LBB482_132:
	s_mov_b32 s25, 1
	v_cmp_gt_u64_e32 vcc, s[24:25], v[8:9]
	v_cndmask_b32_e32 v27, 0, v38, vcc
	v_add_u32_e32 v27, v27, v8
	v_cmp_gt_u64_e64 s[2:3], s[24:25], v[6:7]
	v_cndmask_b32_e64 v27, 0, v27, s[2:3]
	v_add_u32_e32 v27, v27, v6
	v_cmp_gt_u64_e64 s[4:5], s[24:25], v[4:5]
	v_cndmask_b32_e64 v27, 0, v27, s[4:5]
	;; [unrolled: 3-line block ×11, first 2 shown]
	v_mov_b32_e32 v26, 0
	v_add_u32_e32 v27, v27, v24
	v_cmp_gt_u64_e64 s[24:25], s[24:25], v[40:41]
	v_or3_b32 v7, v23, v15, v7
	v_cndmask_b32_e64 v27, 0, v27, s[24:25]
	v_or3_b32 v9, v25, v17, v9
	v_and_b32_e32 v35, 1, v7
	v_mov_b32_e32 v34, v26
	v_add_u32_e32 v33, v27, v40
	v_and_b32_e32 v27, 1, v41
	v_or3_b32 v3, v19, v11, v3
	v_and_b32_e32 v31, 1, v9
	v_mov_b32_e32 v30, v26
	v_cmp_ne_u64_e64 s[26:27], 0, v[34:35]
	v_cmp_eq_u32_e64 s[24:25], 1, v27
	v_or3_b32 v5, v21, v13, v5
	v_and_b32_e32 v27, 1, v3
	v_cndmask_b32_e64 v3, 0, 1, s[26:27]
	v_cmp_ne_u64_e64 s[26:27], 0, v[30:31]
	v_and_b32_e32 v29, 1, v5
	v_mov_b32_e32 v28, v26
	v_cndmask_b32_e64 v5, 0, 1, s[26:27]
	v_lshlrev_b16_e32 v3, 2, v3
	v_lshlrev_b16_e32 v5, 3, v5
	v_cmp_ne_u64_e64 s[26:27], 0, v[28:29]
	v_or_b32_e32 v3, v5, v3
	v_cndmask_b32_e64 v5, 0, 1, s[26:27]
	v_cmp_ne_u64_e64 s[26:27], 0, v[26:27]
	v_lshlrev_b16_e32 v5, 1, v5
	v_cndmask_b32_e64 v7, 0, 1, s[26:27]
	v_or_b32_e32 v5, v7, v5
	v_and_b32_e32 v5, 3, v5
	v_or_b32_e32 v3, v5, v3
	v_and_b32_e32 v3, 15, v3
	v_cmp_ne_u16_e64 s[26:27], 0, v3
	s_or_b64 s[24:25], s[24:25], s[26:27]
	v_cndmask_b32_e64 v5, v39, 1, s[24:25]
	v_and_b32_e32 v7, 0xff, v5
	v_mov_b32_dpp v11, v33 row_shr:1 row_mask:0xf bank_mask:0xf
	v_cmp_eq_u16_e64 s[24:25], 0, v7
	v_mov_b32_dpp v13, v7 row_shr:1 row_mask:0xf bank_mask:0xf
	v_and_b32_e32 v15, 1, v5
	v_mbcnt_hi_u32_b32 v3, -1, v52
	v_cndmask_b32_e64 v11, 0, v11, s[24:25]
	v_and_b32_e32 v13, 1, v13
	v_cmp_eq_u32_e64 s[24:25], 1, v15
	v_and_b32_e32 v9, 15, v3
	v_cndmask_b32_e64 v13, v13, 1, s[24:25]
	v_and_b32_e32 v15, 0xffff, v13
	v_cmp_eq_u32_e64 s[24:25], 0, v9
	v_cndmask_b32_e64 v5, v13, v5, s[24:25]
	v_cndmask_b32_e64 v7, v15, v7, s[24:25]
	v_and_b32_e32 v17, 1, v5
	v_cndmask_b32_e64 v11, v11, 0, s[24:25]
	v_mov_b32_dpp v15, v7 row_shr:2 row_mask:0xf bank_mask:0xf
	v_and_b32_e32 v15, 1, v15
	v_cmp_eq_u32_e64 s[24:25], 1, v17
	v_cndmask_b32_e64 v15, v15, 1, s[24:25]
	v_and_b32_e32 v17, 0xffff, v15
	v_cmp_lt_u32_e64 s[24:25], 1, v9
	v_add_u32_e32 v11, v11, v33
	v_cmp_eq_u16_sdwa s[26:27], v5, v26 src0_sel:BYTE_0 src1_sel:DWORD
	v_cndmask_b32_e64 v5, v5, v15, s[24:25]
	v_cndmask_b32_e64 v7, v7, v17, s[24:25]
	v_mov_b32_dpp v13, v11 row_shr:2 row_mask:0xf bank_mask:0xf
	s_and_b64 s[24:25], s[24:25], s[26:27]
	v_mov_b32_dpp v15, v7 row_shr:4 row_mask:0xf bank_mask:0xf
	v_and_b32_e32 v17, 1, v5
	v_cndmask_b32_e64 v13, 0, v13, s[24:25]
	v_and_b32_e32 v15, 1, v15
	v_cmp_eq_u32_e64 s[24:25], 1, v17
	v_cndmask_b32_e64 v15, v15, 1, s[24:25]
	v_and_b32_e32 v17, 0xffff, v15
	v_cmp_lt_u32_e64 s[24:25], 3, v9
	v_add_u32_e32 v11, v13, v11
	v_cmp_eq_u16_sdwa s[26:27], v5, v26 src0_sel:BYTE_0 src1_sel:DWORD
	v_cndmask_b32_e64 v5, v5, v15, s[24:25]
	v_cndmask_b32_e64 v7, v7, v17, s[24:25]
	v_mov_b32_dpp v13, v11 row_shr:4 row_mask:0xf bank_mask:0xf
	s_and_b64 s[24:25], s[24:25], s[26:27]
	v_mov_b32_dpp v15, v7 row_shr:8 row_mask:0xf bank_mask:0xf
	v_and_b32_e32 v17, 1, v5
	v_cndmask_b32_e64 v13, 0, v13, s[24:25]
	v_and_b32_e32 v15, 1, v15
	v_cmp_eq_u32_e64 s[24:25], 1, v17
	v_cndmask_b32_e64 v15, v15, 1, s[24:25]
	v_add_u32_e32 v11, v13, v11
	v_cmp_eq_u16_sdwa s[26:27], v5, v26 src0_sel:BYTE_0 src1_sel:DWORD
	v_and_b32_e32 v17, 0xffff, v15
	v_cmp_lt_u32_e64 s[24:25], 7, v9
	v_mov_b32_dpp v13, v11 row_shr:8 row_mask:0xf bank_mask:0xf
	v_cndmask_b32_e64 v5, v5, v15, s[24:25]
	v_cndmask_b32_e64 v7, v7, v17, s[24:25]
	s_and_b64 s[24:25], s[24:25], s[26:27]
	v_cndmask_b32_e64 v9, 0, v13, s[24:25]
	v_add_u32_e32 v9, v9, v11
	v_mov_b32_dpp v13, v7 row_bcast:15 row_mask:0xf bank_mask:0xf
	v_cmp_eq_u16_sdwa s[24:25], v5, v26 src0_sel:BYTE_0 src1_sel:DWORD
	v_mov_b32_dpp v11, v9 row_bcast:15 row_mask:0xf bank_mask:0xf
	v_and_b32_e32 v19, 1, v5
	v_cndmask_b32_e64 v11, 0, v11, s[24:25]
	v_and_b32_e32 v13, 1, v13
	v_cmp_eq_u32_e64 s[24:25], 1, v19
	v_and_b32_e32 v17, 16, v3
	v_cndmask_b32_e64 v13, v13, 1, s[24:25]
	v_and_b32_e32 v19, 0xffff, v13
	v_cmp_eq_u32_e64 s[24:25], 0, v17
	v_cndmask_b32_e64 v5, v13, v5, s[24:25]
	v_cndmask_b32_e64 v7, v19, v7, s[24:25]
	v_bfe_i32 v15, v3, 4, 1
	v_and_b32_e32 v13, 1, v5
	v_mov_b32_dpp v7, v7 row_bcast:31 row_mask:0xf bank_mask:0xf
	v_and_b32_e32 v11, v15, v11
	v_and_b32_e32 v7, 1, v7
	v_cmp_eq_u32_e64 s[24:25], 1, v13
	v_add_u32_e32 v9, v11, v9
	v_cmp_eq_u16_sdwa s[26:27], v5, v26 src0_sel:BYTE_0 src1_sel:DWORD
	v_cndmask_b32_e64 v7, v7, 1, s[24:25]
	v_cmp_lt_u32_e64 s[24:25], 31, v3
	v_mov_b32_dpp v11, v9 row_bcast:31 row_mask:0xf bank_mask:0xf
	v_cndmask_b32_e64 v5, v5, v7, s[24:25]
	s_and_b64 s[24:25], s[24:25], s[26:27]
	v_cndmask_b32_e64 v7, 0, v11, s[24:25]
	v_add_u32_e32 v7, v7, v9
	v_cmp_eq_u32_e64 s[24:25], v51, v0
	s_and_saveexec_b64 s[26:27], s[24:25]
	s_cbranch_execz .LBB482_134
; %bb.133:
	v_lshlrev_b32_e32 v9, 3, v1
	ds_write_b32 v9, v7
	ds_write_b8 v9, v5 offset:4
.LBB482_134:
	s_or_b64 exec, exec, s[26:27]
	v_cmp_gt_u32_e64 s[24:25], 4, v0
	s_waitcnt lgkmcnt(0)
	s_barrier
	s_and_saveexec_b64 s[26:27], s[24:25]
	s_cbranch_execz .LBB482_138
; %bb.135:
	v_lshlrev_b32_e32 v9, 3, v0
	ds_read_b64 v[26:27], v9
	v_and_b32_e32 v11, 3, v3
	v_cmp_ne_u32_e64 s[24:25], 0, v11
	s_waitcnt lgkmcnt(0)
	v_mov_b32_dpp v13, v26 row_shr:1 row_mask:0xf bank_mask:0xf
	v_mov_b32_dpp v17, v27 row_shr:1 row_mask:0xf bank_mask:0xf
	v_mov_b32_e32 v15, v27
	s_and_saveexec_b64 s[28:29], s[24:25]
	s_cbranch_execz .LBB482_137
; %bb.136:
	v_and_b32_e32 v15, 1, v27
	v_and_b32_e32 v17, 1, v17
	v_cmp_eq_u32_e64 s[24:25], 1, v15
	v_mov_b32_e32 v15, 0
	v_cndmask_b32_e64 v17, v17, 1, s[24:25]
	v_cmp_eq_u16_sdwa s[24:25], v27, v15 src0_sel:BYTE_0 src1_sel:DWORD
	v_cndmask_b32_e64 v13, 0, v13, s[24:25]
	v_add_u32_e32 v26, v13, v26
	v_and_b32_e32 v13, 0xffff, v17
	s_movk_i32 s24, 0xff00
	v_and_or_b32 v15, v27, s24, v13
	v_mov_b32_e32 v27, v17
.LBB482_137:
	s_or_b64 exec, exec, s[28:29]
	v_mov_b32_dpp v15, v15 row_shr:2 row_mask:0xf bank_mask:0xf
	v_and_b32_e32 v17, 1, v27
	v_and_b32_e32 v15, 1, v15
	v_cmp_eq_u32_e64 s[24:25], 1, v17
	v_mov_b32_e32 v17, 0
	v_cndmask_b32_e64 v15, v15, 1, s[24:25]
	v_cmp_eq_u16_sdwa s[28:29], v27, v17 src0_sel:BYTE_0 src1_sel:DWORD
	v_cmp_lt_u32_e64 s[24:25], 1, v11
	v_mov_b32_dpp v13, v26 row_shr:2 row_mask:0xf bank_mask:0xf
	v_cndmask_b32_e64 v11, v27, v15, s[24:25]
	s_and_b64 s[24:25], s[24:25], s[28:29]
	v_cndmask_b32_e64 v13, 0, v13, s[24:25]
	v_add_u32_e32 v13, v13, v26
	ds_write_b32 v9, v13
	ds_write_b8 v9, v11 offset:4
.LBB482_138:
	s_or_b64 exec, exec, s[26:27]
	v_cmp_lt_u32_e64 s[24:25], 63, v0
	s_waitcnt vmcnt(0)
	v_mov_b32_e32 v9, v32
	s_waitcnt lgkmcnt(0)
	s_barrier
	s_and_saveexec_b64 s[26:27], s[24:25]
	s_cbranch_execz .LBB482_140
; %bb.139:
	v_lshl_add_u32 v1, v1, 3, -8
	ds_read_u8 v9, v1 offset:4
	ds_read_b32 v1, v1
	s_waitcnt lgkmcnt(1)
	v_cmp_eq_u16_e64 s[24:25], 0, v9
	v_cndmask_b32_e64 v9, 0, v32, s[24:25]
	s_waitcnt lgkmcnt(0)
	v_add_u32_e32 v9, v9, v1
.LBB482_140:
	s_or_b64 exec, exec, s[26:27]
	v_mov_b32_e32 v28, 0
	v_cmp_eq_u16_sdwa s[24:25], v5, v28 src0_sel:BYTE_0 src1_sel:DWORD
	v_cndmask_b32_e64 v1, 0, v9, s[24:25]
	v_add_u32_e32 v1, v1, v7
	v_add_u32_e32 v5, -1, v3
	v_and_b32_e32 v7, 64, v3
	v_cmp_lt_i32_e64 s[24:25], v5, v7
	v_cndmask_b32_e64 v5, v5, v3, s[24:25]
	v_lshlrev_b32_e32 v5, 2, v5
	ds_bpermute_b32 v1, v5, v1
	v_cmp_eq_u32_e64 s[24:25], 0, v3
	v_and_b32_e32 v29, 0xff, v39
	v_cmp_eq_u64_e64 s[26:27], 0, v[28:29]
	s_waitcnt lgkmcnt(0)
	v_cndmask_b32_e64 v26, v1, v9, s[24:25]
	v_cmp_eq_u32_e64 s[24:25], 0, v0
	v_cndmask_b32_e64 v1, v26, v32, s[24:25]
	v_cndmask_b32_e64 v1, 0, v1, s[26:27]
	v_add_u32_e32 v27, v1, v38
	v_cndmask_b32_e32 v1, 0, v27, vcc
	v_add_u32_e32 v42, v1, v8
	v_cndmask_b32_e64 v1, 0, v42, s[2:3]
	v_add_u32_e32 v43, v1, v6
	v_cndmask_b32_e64 v1, 0, v43, s[4:5]
	;; [unrolled: 2-line block ×11, first 2 shown]
	s_and_saveexec_b64 s[2:3], s[24:25]
	s_cbranch_execz .LBB482_142
; %bb.141:
	ds_read_u8 v3, v28 offset:28
	ds_read_b32 v2, v28 offset:24
	s_add_u32 s4, s44, 0x400
	s_addc_u32 s5, s45, 0
	v_mov_b32_e32 v5, v28
	s_waitcnt lgkmcnt(1)
	v_cmp_eq_u16_e32 vcc, 0, v3
	v_cndmask_b32_e32 v4, 0, v32, vcc
	s_waitcnt lgkmcnt(0)
	v_add_u32_e32 v2, v4, v2
	v_and_b32_e32 v3, 0xffff, v3
	v_mov_b32_e32 v4, 2
	v_pk_mov_b32 v[6:7], s[4:5], s[4:5] op_sel:[0,1]
	;;#ASMSTART
	global_store_dwordx4 v[6:7], v[2:5] off	
s_waitcnt vmcnt(0)
	;;#ASMEND
	v_mov_b32_e32 v26, v32
.LBB482_142:
	s_or_b64 exec, exec, s[2:3]
	v_add_u32_e32 v49, v1, v24
.LBB482_143:
	s_add_u32 s2, s42, s34
	s_addc_u32 s3, s43, s35
	s_add_u32 s4, s2, s36
	v_mul_u32_u24_e32 v1, 14, v0
	s_addc_u32 s5, s3, s37
	s_and_b64 vcc, exec, s[0:1]
	v_lshlrev_b32_e32 v2, 2, v1
	s_cbranch_vccz .LBB482_171
; %bb.144:
	s_movk_i32 s0, 0xffcc
	v_mad_i32_i24 v3, v0, s0, v2
	s_barrier
	ds_write2_b64 v2, v[26:27], v[42:43] offset1:1
	ds_write2_b64 v2, v[30:31], v[44:45] offset0:2 offset1:3
	ds_write2_b64 v2, v[34:35], v[46:47] offset0:4 offset1:5
	ds_write_b64 v2, v[48:49] offset:48
	s_waitcnt lgkmcnt(0)
	s_barrier
	ds_read2st64_b32 v[16:17], v3 offset0:4 offset1:8
	ds_read2st64_b32 v[14:15], v3 offset0:12 offset1:16
	;; [unrolled: 1-line block ×6, first 2 shown]
	ds_read_b32 v3, v3 offset:13312
	v_mov_b32_e32 v7, s5
	v_add_co_u32_e32 v6, vcc, s4, v50
	s_add_i32 s33, s33, s46
	v_addc_co_u32_e32 v7, vcc, 0, v7, vcc
	v_mov_b32_e32 v1, 0
	v_cmp_gt_u32_e32 vcc, s33, v0
	s_and_saveexec_b64 s[0:1], vcc
	s_cbranch_execz .LBB482_146
; %bb.145:
	v_mul_i32_i24_e32 v18, 0xffffffcc, v0
	v_add_u32_e32 v18, v2, v18
	ds_read_b32 v18, v18
	s_waitcnt lgkmcnt(0)
	flat_store_dword v[6:7], v18
.LBB482_146:
	s_or_b64 exec, exec, s[0:1]
	v_or_b32_e32 v18, 0x100, v0
	v_cmp_gt_u32_e32 vcc, s33, v18
	s_and_saveexec_b64 s[0:1], vcc
	s_cbranch_execz .LBB482_148
; %bb.147:
	s_waitcnt lgkmcnt(0)
	flat_store_dword v[6:7], v16 offset:1024
.LBB482_148:
	s_or_b64 exec, exec, s[0:1]
	s_waitcnt lgkmcnt(0)
	v_or_b32_e32 v16, 0x200, v0
	v_cmp_gt_u32_e32 vcc, s33, v16
	s_and_saveexec_b64 s[0:1], vcc
	s_cbranch_execz .LBB482_150
; %bb.149:
	flat_store_dword v[6:7], v17 offset:2048
.LBB482_150:
	s_or_b64 exec, exec, s[0:1]
	v_or_b32_e32 v16, 0x300, v0
	v_cmp_gt_u32_e32 vcc, s33, v16
	s_and_saveexec_b64 s[0:1], vcc
	s_cbranch_execz .LBB482_152
; %bb.151:
	flat_store_dword v[6:7], v14 offset:3072
.LBB482_152:
	s_or_b64 exec, exec, s[0:1]
	v_or_b32_e32 v14, 0x400, v0
	v_cmp_gt_u32_e32 vcc, s33, v14
	s_and_saveexec_b64 s[0:1], vcc
	s_cbranch_execz .LBB482_154
; %bb.153:
	v_add_co_u32_e32 v16, vcc, 0x1000, v6
	v_addc_co_u32_e32 v17, vcc, 0, v7, vcc
	flat_store_dword v[16:17], v15
.LBB482_154:
	s_or_b64 exec, exec, s[0:1]
	v_or_b32_e32 v14, 0x500, v0
	v_cmp_gt_u32_e32 vcc, s33, v14
	s_and_saveexec_b64 s[0:1], vcc
	s_cbranch_execz .LBB482_156
; %bb.155:
	v_add_co_u32_e32 v14, vcc, 0x1000, v6
	v_addc_co_u32_e32 v15, vcc, 0, v7, vcc
	flat_store_dword v[14:15], v12 offset:1024
.LBB482_156:
	s_or_b64 exec, exec, s[0:1]
	v_or_b32_e32 v12, 0x600, v0
	v_cmp_gt_u32_e32 vcc, s33, v12
	s_and_saveexec_b64 s[0:1], vcc
	s_cbranch_execz .LBB482_158
; %bb.157:
	v_add_co_u32_e32 v14, vcc, 0x1000, v6
	v_addc_co_u32_e32 v15, vcc, 0, v7, vcc
	flat_store_dword v[14:15], v13 offset:2048
.LBB482_158:
	s_or_b64 exec, exec, s[0:1]
	v_or_b32_e32 v12, 0x700, v0
	v_cmp_gt_u32_e32 vcc, s33, v12
	s_and_saveexec_b64 s[0:1], vcc
	s_cbranch_execz .LBB482_160
; %bb.159:
	v_add_co_u32_e32 v12, vcc, 0x1000, v6
	v_addc_co_u32_e32 v13, vcc, 0, v7, vcc
	flat_store_dword v[12:13], v10 offset:3072
.LBB482_160:
	s_or_b64 exec, exec, s[0:1]
	v_or_b32_e32 v10, 0x800, v0
	v_cmp_gt_u32_e32 vcc, s33, v10
	s_and_saveexec_b64 s[0:1], vcc
	s_cbranch_execz .LBB482_162
; %bb.161:
	v_add_co_u32_e32 v12, vcc, 0x2000, v6
	v_addc_co_u32_e32 v13, vcc, 0, v7, vcc
	flat_store_dword v[12:13], v11
.LBB482_162:
	s_or_b64 exec, exec, s[0:1]
	v_or_b32_e32 v10, 0x900, v0
	v_cmp_gt_u32_e32 vcc, s33, v10
	s_and_saveexec_b64 s[0:1], vcc
	s_cbranch_execz .LBB482_164
; %bb.163:
	v_add_co_u32_e32 v10, vcc, 0x2000, v6
	v_addc_co_u32_e32 v11, vcc, 0, v7, vcc
	flat_store_dword v[10:11], v8 offset:1024
.LBB482_164:
	s_or_b64 exec, exec, s[0:1]
	v_or_b32_e32 v8, 0xa00, v0
	v_cmp_gt_u32_e32 vcc, s33, v8
	s_and_saveexec_b64 s[0:1], vcc
	s_cbranch_execz .LBB482_166
; %bb.165:
	v_add_co_u32_e32 v10, vcc, 0x2000, v6
	v_addc_co_u32_e32 v11, vcc, 0, v7, vcc
	flat_store_dword v[10:11], v9 offset:2048
.LBB482_166:
	;; [unrolled: 10-line block ×3, first 2 shown]
	s_or_b64 exec, exec, s[0:1]
	v_or_b32_e32 v4, 0xc00, v0
	v_cmp_gt_u32_e32 vcc, s33, v4
	s_and_saveexec_b64 s[0:1], vcc
	s_cbranch_execz .LBB482_170
; %bb.169:
	v_add_co_u32_e32 v6, vcc, 0x3000, v6
	v_addc_co_u32_e32 v7, vcc, 0, v7, vcc
	flat_store_dword v[6:7], v5
.LBB482_170:
	s_or_b64 exec, exec, s[0:1]
	v_or_b32_e32 v4, 0xd00, v0
	v_cmp_gt_u32_e64 s[0:1], s33, v4
	s_branch .LBB482_173
.LBB482_171:
	s_mov_b64 s[0:1], 0
                                        ; implicit-def: $vgpr3
	s_cbranch_execz .LBB482_173
; %bb.172:
	s_movk_i32 s2, 0xffcc
	s_waitcnt lgkmcnt(0)
	s_barrier
	ds_write2_b64 v2, v[26:27], v[42:43] offset1:1
	ds_write2_b64 v2, v[30:31], v[44:45] offset0:2 offset1:3
	ds_write2_b64 v2, v[34:35], v[46:47] offset0:4 offset1:5
	ds_write_b64 v2, v[48:49] offset:48
	v_mad_i32_i24 v2, v0, s2, v2
	v_mov_b32_e32 v17, s5
	v_add_co_u32_e32 v16, vcc, s4, v50
	s_waitcnt lgkmcnt(0)
	s_barrier
	ds_read2st64_b32 v[4:5], v2 offset1:4
	ds_read2st64_b32 v[6:7], v2 offset0:8 offset1:12
	ds_read2st64_b32 v[8:9], v2 offset0:16 offset1:20
	;; [unrolled: 1-line block ×6, first 2 shown]
	v_addc_co_u32_e32 v17, vcc, 0, v17, vcc
	s_movk_i32 s2, 0x1000
	s_waitcnt lgkmcnt(0)
	flat_store_dword v[16:17], v4
	flat_store_dword v[16:17], v5 offset:1024
	flat_store_dword v[16:17], v6 offset:2048
	;; [unrolled: 1-line block ×3, first 2 shown]
	v_add_co_u32_e32 v4, vcc, s2, v16
	v_addc_co_u32_e32 v5, vcc, 0, v17, vcc
	flat_store_dword v[4:5], v8
	flat_store_dword v[4:5], v9 offset:1024
	flat_store_dword v[4:5], v10 offset:2048
	flat_store_dword v[4:5], v11 offset:3072
	v_add_co_u32_e32 v4, vcc, 0x2000, v16
	v_addc_co_u32_e32 v5, vcc, 0, v17, vcc
	flat_store_dword v[4:5], v12
	flat_store_dword v[4:5], v13 offset:1024
	flat_store_dword v[4:5], v14 offset:2048
	;; [unrolled: 1-line block ×3, first 2 shown]
	v_add_co_u32_e32 v4, vcc, 0x3000, v16
	v_mov_b32_e32 v1, 0
	v_addc_co_u32_e32 v5, vcc, 0, v17, vcc
	s_or_b64 s[0:1], s[0:1], exec
	flat_store_dword v[4:5], v2
.LBB482_173:
	s_and_saveexec_b64 s[2:3], s[0:1]
	s_cbranch_execz .LBB482_175
; %bb.174:
	v_lshlrev_b64 v[0:1], 2, v[0:1]
	v_mov_b32_e32 v2, s5
	v_add_co_u32_e32 v0, vcc, s4, v0
	v_addc_co_u32_e32 v1, vcc, v2, v1, vcc
	v_add_co_u32_e32 v0, vcc, 0x3000, v0
	v_addc_co_u32_e32 v1, vcc, 0, v1, vcc
	flat_store_dword v[0:1], v3 offset:1024
	s_endpgm
.LBB482_175:
	s_endpgm
	.section	.rodata,"a",@progbits
	.p2align	6, 0x0
	.amdhsa_kernel _ZN7rocprim17ROCPRIM_400000_NS6detail17trampoline_kernelINS0_14default_configENS1_27scan_by_key_config_selectorIiiEEZZNS1_16scan_by_key_implILNS1_25lookback_scan_determinismE0ELb1ES3_N6thrust23THRUST_200600_302600_NS6detail15normal_iteratorINS9_10device_ptrIiEEEESE_SE_iNS9_4plusIvEENS9_8equal_toIvEEiEE10hipError_tPvRmT2_T3_T4_T5_mT6_T7_P12ihipStream_tbENKUlT_T0_E_clISt17integral_constantIbLb1EESY_IbLb0EEEEDaSU_SV_EUlSU_E_NS1_11comp_targetILNS1_3genE4ELNS1_11target_archE910ELNS1_3gpuE8ELNS1_3repE0EEENS1_30default_config_static_selectorELNS0_4arch9wavefront6targetE1EEEvT1_
		.amdhsa_group_segment_fixed_size 16384
		.amdhsa_private_segment_fixed_size 0
		.amdhsa_kernarg_size 112
		.amdhsa_user_sgpr_count 6
		.amdhsa_user_sgpr_private_segment_buffer 1
		.amdhsa_user_sgpr_dispatch_ptr 0
		.amdhsa_user_sgpr_queue_ptr 0
		.amdhsa_user_sgpr_kernarg_segment_ptr 1
		.amdhsa_user_sgpr_dispatch_id 0
		.amdhsa_user_sgpr_flat_scratch_init 0
		.amdhsa_user_sgpr_kernarg_preload_length 0
		.amdhsa_user_sgpr_kernarg_preload_offset 0
		.amdhsa_user_sgpr_private_segment_size 0
		.amdhsa_uses_dynamic_stack 0
		.amdhsa_system_sgpr_private_segment_wavefront_offset 0
		.amdhsa_system_sgpr_workgroup_id_x 1
		.amdhsa_system_sgpr_workgroup_id_y 0
		.amdhsa_system_sgpr_workgroup_id_z 0
		.amdhsa_system_sgpr_workgroup_info 0
		.amdhsa_system_vgpr_workitem_id 0
		.amdhsa_next_free_vgpr 65
		.amdhsa_next_free_sgpr 60
		.amdhsa_accum_offset 68
		.amdhsa_reserve_vcc 1
		.amdhsa_reserve_flat_scratch 0
		.amdhsa_float_round_mode_32 0
		.amdhsa_float_round_mode_16_64 0
		.amdhsa_float_denorm_mode_32 3
		.amdhsa_float_denorm_mode_16_64 3
		.amdhsa_dx10_clamp 1
		.amdhsa_ieee_mode 1
		.amdhsa_fp16_overflow 0
		.amdhsa_tg_split 0
		.amdhsa_exception_fp_ieee_invalid_op 0
		.amdhsa_exception_fp_denorm_src 0
		.amdhsa_exception_fp_ieee_div_zero 0
		.amdhsa_exception_fp_ieee_overflow 0
		.amdhsa_exception_fp_ieee_underflow 0
		.amdhsa_exception_fp_ieee_inexact 0
		.amdhsa_exception_int_div_zero 0
	.end_amdhsa_kernel
	.section	.text._ZN7rocprim17ROCPRIM_400000_NS6detail17trampoline_kernelINS0_14default_configENS1_27scan_by_key_config_selectorIiiEEZZNS1_16scan_by_key_implILNS1_25lookback_scan_determinismE0ELb1ES3_N6thrust23THRUST_200600_302600_NS6detail15normal_iteratorINS9_10device_ptrIiEEEESE_SE_iNS9_4plusIvEENS9_8equal_toIvEEiEE10hipError_tPvRmT2_T3_T4_T5_mT6_T7_P12ihipStream_tbENKUlT_T0_E_clISt17integral_constantIbLb1EESY_IbLb0EEEEDaSU_SV_EUlSU_E_NS1_11comp_targetILNS1_3genE4ELNS1_11target_archE910ELNS1_3gpuE8ELNS1_3repE0EEENS1_30default_config_static_selectorELNS0_4arch9wavefront6targetE1EEEvT1_,"axG",@progbits,_ZN7rocprim17ROCPRIM_400000_NS6detail17trampoline_kernelINS0_14default_configENS1_27scan_by_key_config_selectorIiiEEZZNS1_16scan_by_key_implILNS1_25lookback_scan_determinismE0ELb1ES3_N6thrust23THRUST_200600_302600_NS6detail15normal_iteratorINS9_10device_ptrIiEEEESE_SE_iNS9_4plusIvEENS9_8equal_toIvEEiEE10hipError_tPvRmT2_T3_T4_T5_mT6_T7_P12ihipStream_tbENKUlT_T0_E_clISt17integral_constantIbLb1EESY_IbLb0EEEEDaSU_SV_EUlSU_E_NS1_11comp_targetILNS1_3genE4ELNS1_11target_archE910ELNS1_3gpuE8ELNS1_3repE0EEENS1_30default_config_static_selectorELNS0_4arch9wavefront6targetE1EEEvT1_,comdat
.Lfunc_end482:
	.size	_ZN7rocprim17ROCPRIM_400000_NS6detail17trampoline_kernelINS0_14default_configENS1_27scan_by_key_config_selectorIiiEEZZNS1_16scan_by_key_implILNS1_25lookback_scan_determinismE0ELb1ES3_N6thrust23THRUST_200600_302600_NS6detail15normal_iteratorINS9_10device_ptrIiEEEESE_SE_iNS9_4plusIvEENS9_8equal_toIvEEiEE10hipError_tPvRmT2_T3_T4_T5_mT6_T7_P12ihipStream_tbENKUlT_T0_E_clISt17integral_constantIbLb1EESY_IbLb0EEEEDaSU_SV_EUlSU_E_NS1_11comp_targetILNS1_3genE4ELNS1_11target_archE910ELNS1_3gpuE8ELNS1_3repE0EEENS1_30default_config_static_selectorELNS0_4arch9wavefront6targetE1EEEvT1_, .Lfunc_end482-_ZN7rocprim17ROCPRIM_400000_NS6detail17trampoline_kernelINS0_14default_configENS1_27scan_by_key_config_selectorIiiEEZZNS1_16scan_by_key_implILNS1_25lookback_scan_determinismE0ELb1ES3_N6thrust23THRUST_200600_302600_NS6detail15normal_iteratorINS9_10device_ptrIiEEEESE_SE_iNS9_4plusIvEENS9_8equal_toIvEEiEE10hipError_tPvRmT2_T3_T4_T5_mT6_T7_P12ihipStream_tbENKUlT_T0_E_clISt17integral_constantIbLb1EESY_IbLb0EEEEDaSU_SV_EUlSU_E_NS1_11comp_targetILNS1_3genE4ELNS1_11target_archE910ELNS1_3gpuE8ELNS1_3repE0EEENS1_30default_config_static_selectorELNS0_4arch9wavefront6targetE1EEEvT1_
                                        ; -- End function
	.section	.AMDGPU.csdata,"",@progbits
; Kernel info:
; codeLenInByte = 11304
; NumSgprs: 64
; NumVgprs: 65
; NumAgprs: 0
; TotalNumVgprs: 65
; ScratchSize: 0
; MemoryBound: 0
; FloatMode: 240
; IeeeMode: 1
; LDSByteSize: 16384 bytes/workgroup (compile time only)
; SGPRBlocks: 7
; VGPRBlocks: 8
; NumSGPRsForWavesPerEU: 64
; NumVGPRsForWavesPerEU: 65
; AccumOffset: 68
; Occupancy: 4
; WaveLimiterHint : 1
; COMPUTE_PGM_RSRC2:SCRATCH_EN: 0
; COMPUTE_PGM_RSRC2:USER_SGPR: 6
; COMPUTE_PGM_RSRC2:TRAP_HANDLER: 0
; COMPUTE_PGM_RSRC2:TGID_X_EN: 1
; COMPUTE_PGM_RSRC2:TGID_Y_EN: 0
; COMPUTE_PGM_RSRC2:TGID_Z_EN: 0
; COMPUTE_PGM_RSRC2:TIDIG_COMP_CNT: 0
; COMPUTE_PGM_RSRC3_GFX90A:ACCUM_OFFSET: 16
; COMPUTE_PGM_RSRC3_GFX90A:TG_SPLIT: 0
	.section	.text._ZN7rocprim17ROCPRIM_400000_NS6detail17trampoline_kernelINS0_14default_configENS1_27scan_by_key_config_selectorIiiEEZZNS1_16scan_by_key_implILNS1_25lookback_scan_determinismE0ELb1ES3_N6thrust23THRUST_200600_302600_NS6detail15normal_iteratorINS9_10device_ptrIiEEEESE_SE_iNS9_4plusIvEENS9_8equal_toIvEEiEE10hipError_tPvRmT2_T3_T4_T5_mT6_T7_P12ihipStream_tbENKUlT_T0_E_clISt17integral_constantIbLb1EESY_IbLb0EEEEDaSU_SV_EUlSU_E_NS1_11comp_targetILNS1_3genE3ELNS1_11target_archE908ELNS1_3gpuE7ELNS1_3repE0EEENS1_30default_config_static_selectorELNS0_4arch9wavefront6targetE1EEEvT1_,"axG",@progbits,_ZN7rocprim17ROCPRIM_400000_NS6detail17trampoline_kernelINS0_14default_configENS1_27scan_by_key_config_selectorIiiEEZZNS1_16scan_by_key_implILNS1_25lookback_scan_determinismE0ELb1ES3_N6thrust23THRUST_200600_302600_NS6detail15normal_iteratorINS9_10device_ptrIiEEEESE_SE_iNS9_4plusIvEENS9_8equal_toIvEEiEE10hipError_tPvRmT2_T3_T4_T5_mT6_T7_P12ihipStream_tbENKUlT_T0_E_clISt17integral_constantIbLb1EESY_IbLb0EEEEDaSU_SV_EUlSU_E_NS1_11comp_targetILNS1_3genE3ELNS1_11target_archE908ELNS1_3gpuE7ELNS1_3repE0EEENS1_30default_config_static_selectorELNS0_4arch9wavefront6targetE1EEEvT1_,comdat
	.protected	_ZN7rocprim17ROCPRIM_400000_NS6detail17trampoline_kernelINS0_14default_configENS1_27scan_by_key_config_selectorIiiEEZZNS1_16scan_by_key_implILNS1_25lookback_scan_determinismE0ELb1ES3_N6thrust23THRUST_200600_302600_NS6detail15normal_iteratorINS9_10device_ptrIiEEEESE_SE_iNS9_4plusIvEENS9_8equal_toIvEEiEE10hipError_tPvRmT2_T3_T4_T5_mT6_T7_P12ihipStream_tbENKUlT_T0_E_clISt17integral_constantIbLb1EESY_IbLb0EEEEDaSU_SV_EUlSU_E_NS1_11comp_targetILNS1_3genE3ELNS1_11target_archE908ELNS1_3gpuE7ELNS1_3repE0EEENS1_30default_config_static_selectorELNS0_4arch9wavefront6targetE1EEEvT1_ ; -- Begin function _ZN7rocprim17ROCPRIM_400000_NS6detail17trampoline_kernelINS0_14default_configENS1_27scan_by_key_config_selectorIiiEEZZNS1_16scan_by_key_implILNS1_25lookback_scan_determinismE0ELb1ES3_N6thrust23THRUST_200600_302600_NS6detail15normal_iteratorINS9_10device_ptrIiEEEESE_SE_iNS9_4plusIvEENS9_8equal_toIvEEiEE10hipError_tPvRmT2_T3_T4_T5_mT6_T7_P12ihipStream_tbENKUlT_T0_E_clISt17integral_constantIbLb1EESY_IbLb0EEEEDaSU_SV_EUlSU_E_NS1_11comp_targetILNS1_3genE3ELNS1_11target_archE908ELNS1_3gpuE7ELNS1_3repE0EEENS1_30default_config_static_selectorELNS0_4arch9wavefront6targetE1EEEvT1_
	.globl	_ZN7rocprim17ROCPRIM_400000_NS6detail17trampoline_kernelINS0_14default_configENS1_27scan_by_key_config_selectorIiiEEZZNS1_16scan_by_key_implILNS1_25lookback_scan_determinismE0ELb1ES3_N6thrust23THRUST_200600_302600_NS6detail15normal_iteratorINS9_10device_ptrIiEEEESE_SE_iNS9_4plusIvEENS9_8equal_toIvEEiEE10hipError_tPvRmT2_T3_T4_T5_mT6_T7_P12ihipStream_tbENKUlT_T0_E_clISt17integral_constantIbLb1EESY_IbLb0EEEEDaSU_SV_EUlSU_E_NS1_11comp_targetILNS1_3genE3ELNS1_11target_archE908ELNS1_3gpuE7ELNS1_3repE0EEENS1_30default_config_static_selectorELNS0_4arch9wavefront6targetE1EEEvT1_
	.p2align	8
	.type	_ZN7rocprim17ROCPRIM_400000_NS6detail17trampoline_kernelINS0_14default_configENS1_27scan_by_key_config_selectorIiiEEZZNS1_16scan_by_key_implILNS1_25lookback_scan_determinismE0ELb1ES3_N6thrust23THRUST_200600_302600_NS6detail15normal_iteratorINS9_10device_ptrIiEEEESE_SE_iNS9_4plusIvEENS9_8equal_toIvEEiEE10hipError_tPvRmT2_T3_T4_T5_mT6_T7_P12ihipStream_tbENKUlT_T0_E_clISt17integral_constantIbLb1EESY_IbLb0EEEEDaSU_SV_EUlSU_E_NS1_11comp_targetILNS1_3genE3ELNS1_11target_archE908ELNS1_3gpuE7ELNS1_3repE0EEENS1_30default_config_static_selectorELNS0_4arch9wavefront6targetE1EEEvT1_,@function
_ZN7rocprim17ROCPRIM_400000_NS6detail17trampoline_kernelINS0_14default_configENS1_27scan_by_key_config_selectorIiiEEZZNS1_16scan_by_key_implILNS1_25lookback_scan_determinismE0ELb1ES3_N6thrust23THRUST_200600_302600_NS6detail15normal_iteratorINS9_10device_ptrIiEEEESE_SE_iNS9_4plusIvEENS9_8equal_toIvEEiEE10hipError_tPvRmT2_T3_T4_T5_mT6_T7_P12ihipStream_tbENKUlT_T0_E_clISt17integral_constantIbLb1EESY_IbLb0EEEEDaSU_SV_EUlSU_E_NS1_11comp_targetILNS1_3genE3ELNS1_11target_archE908ELNS1_3gpuE7ELNS1_3repE0EEENS1_30default_config_static_selectorELNS0_4arch9wavefront6targetE1EEEvT1_: ; @_ZN7rocprim17ROCPRIM_400000_NS6detail17trampoline_kernelINS0_14default_configENS1_27scan_by_key_config_selectorIiiEEZZNS1_16scan_by_key_implILNS1_25lookback_scan_determinismE0ELb1ES3_N6thrust23THRUST_200600_302600_NS6detail15normal_iteratorINS9_10device_ptrIiEEEESE_SE_iNS9_4plusIvEENS9_8equal_toIvEEiEE10hipError_tPvRmT2_T3_T4_T5_mT6_T7_P12ihipStream_tbENKUlT_T0_E_clISt17integral_constantIbLb1EESY_IbLb0EEEEDaSU_SV_EUlSU_E_NS1_11comp_targetILNS1_3genE3ELNS1_11target_archE908ELNS1_3gpuE7ELNS1_3repE0EEENS1_30default_config_static_selectorELNS0_4arch9wavefront6targetE1EEEvT1_
; %bb.0:
	.section	.rodata,"a",@progbits
	.p2align	6, 0x0
	.amdhsa_kernel _ZN7rocprim17ROCPRIM_400000_NS6detail17trampoline_kernelINS0_14default_configENS1_27scan_by_key_config_selectorIiiEEZZNS1_16scan_by_key_implILNS1_25lookback_scan_determinismE0ELb1ES3_N6thrust23THRUST_200600_302600_NS6detail15normal_iteratorINS9_10device_ptrIiEEEESE_SE_iNS9_4plusIvEENS9_8equal_toIvEEiEE10hipError_tPvRmT2_T3_T4_T5_mT6_T7_P12ihipStream_tbENKUlT_T0_E_clISt17integral_constantIbLb1EESY_IbLb0EEEEDaSU_SV_EUlSU_E_NS1_11comp_targetILNS1_3genE3ELNS1_11target_archE908ELNS1_3gpuE7ELNS1_3repE0EEENS1_30default_config_static_selectorELNS0_4arch9wavefront6targetE1EEEvT1_
		.amdhsa_group_segment_fixed_size 0
		.amdhsa_private_segment_fixed_size 0
		.amdhsa_kernarg_size 112
		.amdhsa_user_sgpr_count 6
		.amdhsa_user_sgpr_private_segment_buffer 1
		.amdhsa_user_sgpr_dispatch_ptr 0
		.amdhsa_user_sgpr_queue_ptr 0
		.amdhsa_user_sgpr_kernarg_segment_ptr 1
		.amdhsa_user_sgpr_dispatch_id 0
		.amdhsa_user_sgpr_flat_scratch_init 0
		.amdhsa_user_sgpr_kernarg_preload_length 0
		.amdhsa_user_sgpr_kernarg_preload_offset 0
		.amdhsa_user_sgpr_private_segment_size 0
		.amdhsa_uses_dynamic_stack 0
		.amdhsa_system_sgpr_private_segment_wavefront_offset 0
		.amdhsa_system_sgpr_workgroup_id_x 1
		.amdhsa_system_sgpr_workgroup_id_y 0
		.amdhsa_system_sgpr_workgroup_id_z 0
		.amdhsa_system_sgpr_workgroup_info 0
		.amdhsa_system_vgpr_workitem_id 0
		.amdhsa_next_free_vgpr 1
		.amdhsa_next_free_sgpr 0
		.amdhsa_accum_offset 4
		.amdhsa_reserve_vcc 0
		.amdhsa_reserve_flat_scratch 0
		.amdhsa_float_round_mode_32 0
		.amdhsa_float_round_mode_16_64 0
		.amdhsa_float_denorm_mode_32 3
		.amdhsa_float_denorm_mode_16_64 3
		.amdhsa_dx10_clamp 1
		.amdhsa_ieee_mode 1
		.amdhsa_fp16_overflow 0
		.amdhsa_tg_split 0
		.amdhsa_exception_fp_ieee_invalid_op 0
		.amdhsa_exception_fp_denorm_src 0
		.amdhsa_exception_fp_ieee_div_zero 0
		.amdhsa_exception_fp_ieee_overflow 0
		.amdhsa_exception_fp_ieee_underflow 0
		.amdhsa_exception_fp_ieee_inexact 0
		.amdhsa_exception_int_div_zero 0
	.end_amdhsa_kernel
	.section	.text._ZN7rocprim17ROCPRIM_400000_NS6detail17trampoline_kernelINS0_14default_configENS1_27scan_by_key_config_selectorIiiEEZZNS1_16scan_by_key_implILNS1_25lookback_scan_determinismE0ELb1ES3_N6thrust23THRUST_200600_302600_NS6detail15normal_iteratorINS9_10device_ptrIiEEEESE_SE_iNS9_4plusIvEENS9_8equal_toIvEEiEE10hipError_tPvRmT2_T3_T4_T5_mT6_T7_P12ihipStream_tbENKUlT_T0_E_clISt17integral_constantIbLb1EESY_IbLb0EEEEDaSU_SV_EUlSU_E_NS1_11comp_targetILNS1_3genE3ELNS1_11target_archE908ELNS1_3gpuE7ELNS1_3repE0EEENS1_30default_config_static_selectorELNS0_4arch9wavefront6targetE1EEEvT1_,"axG",@progbits,_ZN7rocprim17ROCPRIM_400000_NS6detail17trampoline_kernelINS0_14default_configENS1_27scan_by_key_config_selectorIiiEEZZNS1_16scan_by_key_implILNS1_25lookback_scan_determinismE0ELb1ES3_N6thrust23THRUST_200600_302600_NS6detail15normal_iteratorINS9_10device_ptrIiEEEESE_SE_iNS9_4plusIvEENS9_8equal_toIvEEiEE10hipError_tPvRmT2_T3_T4_T5_mT6_T7_P12ihipStream_tbENKUlT_T0_E_clISt17integral_constantIbLb1EESY_IbLb0EEEEDaSU_SV_EUlSU_E_NS1_11comp_targetILNS1_3genE3ELNS1_11target_archE908ELNS1_3gpuE7ELNS1_3repE0EEENS1_30default_config_static_selectorELNS0_4arch9wavefront6targetE1EEEvT1_,comdat
.Lfunc_end483:
	.size	_ZN7rocprim17ROCPRIM_400000_NS6detail17trampoline_kernelINS0_14default_configENS1_27scan_by_key_config_selectorIiiEEZZNS1_16scan_by_key_implILNS1_25lookback_scan_determinismE0ELb1ES3_N6thrust23THRUST_200600_302600_NS6detail15normal_iteratorINS9_10device_ptrIiEEEESE_SE_iNS9_4plusIvEENS9_8equal_toIvEEiEE10hipError_tPvRmT2_T3_T4_T5_mT6_T7_P12ihipStream_tbENKUlT_T0_E_clISt17integral_constantIbLb1EESY_IbLb0EEEEDaSU_SV_EUlSU_E_NS1_11comp_targetILNS1_3genE3ELNS1_11target_archE908ELNS1_3gpuE7ELNS1_3repE0EEENS1_30default_config_static_selectorELNS0_4arch9wavefront6targetE1EEEvT1_, .Lfunc_end483-_ZN7rocprim17ROCPRIM_400000_NS6detail17trampoline_kernelINS0_14default_configENS1_27scan_by_key_config_selectorIiiEEZZNS1_16scan_by_key_implILNS1_25lookback_scan_determinismE0ELb1ES3_N6thrust23THRUST_200600_302600_NS6detail15normal_iteratorINS9_10device_ptrIiEEEESE_SE_iNS9_4plusIvEENS9_8equal_toIvEEiEE10hipError_tPvRmT2_T3_T4_T5_mT6_T7_P12ihipStream_tbENKUlT_T0_E_clISt17integral_constantIbLb1EESY_IbLb0EEEEDaSU_SV_EUlSU_E_NS1_11comp_targetILNS1_3genE3ELNS1_11target_archE908ELNS1_3gpuE7ELNS1_3repE0EEENS1_30default_config_static_selectorELNS0_4arch9wavefront6targetE1EEEvT1_
                                        ; -- End function
	.section	.AMDGPU.csdata,"",@progbits
; Kernel info:
; codeLenInByte = 0
; NumSgprs: 4
; NumVgprs: 0
; NumAgprs: 0
; TotalNumVgprs: 0
; ScratchSize: 0
; MemoryBound: 0
; FloatMode: 240
; IeeeMode: 1
; LDSByteSize: 0 bytes/workgroup (compile time only)
; SGPRBlocks: 0
; VGPRBlocks: 0
; NumSGPRsForWavesPerEU: 4
; NumVGPRsForWavesPerEU: 1
; AccumOffset: 4
; Occupancy: 8
; WaveLimiterHint : 0
; COMPUTE_PGM_RSRC2:SCRATCH_EN: 0
; COMPUTE_PGM_RSRC2:USER_SGPR: 6
; COMPUTE_PGM_RSRC2:TRAP_HANDLER: 0
; COMPUTE_PGM_RSRC2:TGID_X_EN: 1
; COMPUTE_PGM_RSRC2:TGID_Y_EN: 0
; COMPUTE_PGM_RSRC2:TGID_Z_EN: 0
; COMPUTE_PGM_RSRC2:TIDIG_COMP_CNT: 0
; COMPUTE_PGM_RSRC3_GFX90A:ACCUM_OFFSET: 0
; COMPUTE_PGM_RSRC3_GFX90A:TG_SPLIT: 0
	.section	.text._ZN7rocprim17ROCPRIM_400000_NS6detail17trampoline_kernelINS0_14default_configENS1_27scan_by_key_config_selectorIiiEEZZNS1_16scan_by_key_implILNS1_25lookback_scan_determinismE0ELb1ES3_N6thrust23THRUST_200600_302600_NS6detail15normal_iteratorINS9_10device_ptrIiEEEESE_SE_iNS9_4plusIvEENS9_8equal_toIvEEiEE10hipError_tPvRmT2_T3_T4_T5_mT6_T7_P12ihipStream_tbENKUlT_T0_E_clISt17integral_constantIbLb1EESY_IbLb0EEEEDaSU_SV_EUlSU_E_NS1_11comp_targetILNS1_3genE2ELNS1_11target_archE906ELNS1_3gpuE6ELNS1_3repE0EEENS1_30default_config_static_selectorELNS0_4arch9wavefront6targetE1EEEvT1_,"axG",@progbits,_ZN7rocprim17ROCPRIM_400000_NS6detail17trampoline_kernelINS0_14default_configENS1_27scan_by_key_config_selectorIiiEEZZNS1_16scan_by_key_implILNS1_25lookback_scan_determinismE0ELb1ES3_N6thrust23THRUST_200600_302600_NS6detail15normal_iteratorINS9_10device_ptrIiEEEESE_SE_iNS9_4plusIvEENS9_8equal_toIvEEiEE10hipError_tPvRmT2_T3_T4_T5_mT6_T7_P12ihipStream_tbENKUlT_T0_E_clISt17integral_constantIbLb1EESY_IbLb0EEEEDaSU_SV_EUlSU_E_NS1_11comp_targetILNS1_3genE2ELNS1_11target_archE906ELNS1_3gpuE6ELNS1_3repE0EEENS1_30default_config_static_selectorELNS0_4arch9wavefront6targetE1EEEvT1_,comdat
	.protected	_ZN7rocprim17ROCPRIM_400000_NS6detail17trampoline_kernelINS0_14default_configENS1_27scan_by_key_config_selectorIiiEEZZNS1_16scan_by_key_implILNS1_25lookback_scan_determinismE0ELb1ES3_N6thrust23THRUST_200600_302600_NS6detail15normal_iteratorINS9_10device_ptrIiEEEESE_SE_iNS9_4plusIvEENS9_8equal_toIvEEiEE10hipError_tPvRmT2_T3_T4_T5_mT6_T7_P12ihipStream_tbENKUlT_T0_E_clISt17integral_constantIbLb1EESY_IbLb0EEEEDaSU_SV_EUlSU_E_NS1_11comp_targetILNS1_3genE2ELNS1_11target_archE906ELNS1_3gpuE6ELNS1_3repE0EEENS1_30default_config_static_selectorELNS0_4arch9wavefront6targetE1EEEvT1_ ; -- Begin function _ZN7rocprim17ROCPRIM_400000_NS6detail17trampoline_kernelINS0_14default_configENS1_27scan_by_key_config_selectorIiiEEZZNS1_16scan_by_key_implILNS1_25lookback_scan_determinismE0ELb1ES3_N6thrust23THRUST_200600_302600_NS6detail15normal_iteratorINS9_10device_ptrIiEEEESE_SE_iNS9_4plusIvEENS9_8equal_toIvEEiEE10hipError_tPvRmT2_T3_T4_T5_mT6_T7_P12ihipStream_tbENKUlT_T0_E_clISt17integral_constantIbLb1EESY_IbLb0EEEEDaSU_SV_EUlSU_E_NS1_11comp_targetILNS1_3genE2ELNS1_11target_archE906ELNS1_3gpuE6ELNS1_3repE0EEENS1_30default_config_static_selectorELNS0_4arch9wavefront6targetE1EEEvT1_
	.globl	_ZN7rocprim17ROCPRIM_400000_NS6detail17trampoline_kernelINS0_14default_configENS1_27scan_by_key_config_selectorIiiEEZZNS1_16scan_by_key_implILNS1_25lookback_scan_determinismE0ELb1ES3_N6thrust23THRUST_200600_302600_NS6detail15normal_iteratorINS9_10device_ptrIiEEEESE_SE_iNS9_4plusIvEENS9_8equal_toIvEEiEE10hipError_tPvRmT2_T3_T4_T5_mT6_T7_P12ihipStream_tbENKUlT_T0_E_clISt17integral_constantIbLb1EESY_IbLb0EEEEDaSU_SV_EUlSU_E_NS1_11comp_targetILNS1_3genE2ELNS1_11target_archE906ELNS1_3gpuE6ELNS1_3repE0EEENS1_30default_config_static_selectorELNS0_4arch9wavefront6targetE1EEEvT1_
	.p2align	8
	.type	_ZN7rocprim17ROCPRIM_400000_NS6detail17trampoline_kernelINS0_14default_configENS1_27scan_by_key_config_selectorIiiEEZZNS1_16scan_by_key_implILNS1_25lookback_scan_determinismE0ELb1ES3_N6thrust23THRUST_200600_302600_NS6detail15normal_iteratorINS9_10device_ptrIiEEEESE_SE_iNS9_4plusIvEENS9_8equal_toIvEEiEE10hipError_tPvRmT2_T3_T4_T5_mT6_T7_P12ihipStream_tbENKUlT_T0_E_clISt17integral_constantIbLb1EESY_IbLb0EEEEDaSU_SV_EUlSU_E_NS1_11comp_targetILNS1_3genE2ELNS1_11target_archE906ELNS1_3gpuE6ELNS1_3repE0EEENS1_30default_config_static_selectorELNS0_4arch9wavefront6targetE1EEEvT1_,@function
_ZN7rocprim17ROCPRIM_400000_NS6detail17trampoline_kernelINS0_14default_configENS1_27scan_by_key_config_selectorIiiEEZZNS1_16scan_by_key_implILNS1_25lookback_scan_determinismE0ELb1ES3_N6thrust23THRUST_200600_302600_NS6detail15normal_iteratorINS9_10device_ptrIiEEEESE_SE_iNS9_4plusIvEENS9_8equal_toIvEEiEE10hipError_tPvRmT2_T3_T4_T5_mT6_T7_P12ihipStream_tbENKUlT_T0_E_clISt17integral_constantIbLb1EESY_IbLb0EEEEDaSU_SV_EUlSU_E_NS1_11comp_targetILNS1_3genE2ELNS1_11target_archE906ELNS1_3gpuE6ELNS1_3repE0EEENS1_30default_config_static_selectorELNS0_4arch9wavefront6targetE1EEEvT1_: ; @_ZN7rocprim17ROCPRIM_400000_NS6detail17trampoline_kernelINS0_14default_configENS1_27scan_by_key_config_selectorIiiEEZZNS1_16scan_by_key_implILNS1_25lookback_scan_determinismE0ELb1ES3_N6thrust23THRUST_200600_302600_NS6detail15normal_iteratorINS9_10device_ptrIiEEEESE_SE_iNS9_4plusIvEENS9_8equal_toIvEEiEE10hipError_tPvRmT2_T3_T4_T5_mT6_T7_P12ihipStream_tbENKUlT_T0_E_clISt17integral_constantIbLb1EESY_IbLb0EEEEDaSU_SV_EUlSU_E_NS1_11comp_targetILNS1_3genE2ELNS1_11target_archE906ELNS1_3gpuE6ELNS1_3repE0EEENS1_30default_config_static_selectorELNS0_4arch9wavefront6targetE1EEEvT1_
; %bb.0:
	.section	.rodata,"a",@progbits
	.p2align	6, 0x0
	.amdhsa_kernel _ZN7rocprim17ROCPRIM_400000_NS6detail17trampoline_kernelINS0_14default_configENS1_27scan_by_key_config_selectorIiiEEZZNS1_16scan_by_key_implILNS1_25lookback_scan_determinismE0ELb1ES3_N6thrust23THRUST_200600_302600_NS6detail15normal_iteratorINS9_10device_ptrIiEEEESE_SE_iNS9_4plusIvEENS9_8equal_toIvEEiEE10hipError_tPvRmT2_T3_T4_T5_mT6_T7_P12ihipStream_tbENKUlT_T0_E_clISt17integral_constantIbLb1EESY_IbLb0EEEEDaSU_SV_EUlSU_E_NS1_11comp_targetILNS1_3genE2ELNS1_11target_archE906ELNS1_3gpuE6ELNS1_3repE0EEENS1_30default_config_static_selectorELNS0_4arch9wavefront6targetE1EEEvT1_
		.amdhsa_group_segment_fixed_size 0
		.amdhsa_private_segment_fixed_size 0
		.amdhsa_kernarg_size 112
		.amdhsa_user_sgpr_count 6
		.amdhsa_user_sgpr_private_segment_buffer 1
		.amdhsa_user_sgpr_dispatch_ptr 0
		.amdhsa_user_sgpr_queue_ptr 0
		.amdhsa_user_sgpr_kernarg_segment_ptr 1
		.amdhsa_user_sgpr_dispatch_id 0
		.amdhsa_user_sgpr_flat_scratch_init 0
		.amdhsa_user_sgpr_kernarg_preload_length 0
		.amdhsa_user_sgpr_kernarg_preload_offset 0
		.amdhsa_user_sgpr_private_segment_size 0
		.amdhsa_uses_dynamic_stack 0
		.amdhsa_system_sgpr_private_segment_wavefront_offset 0
		.amdhsa_system_sgpr_workgroup_id_x 1
		.amdhsa_system_sgpr_workgroup_id_y 0
		.amdhsa_system_sgpr_workgroup_id_z 0
		.amdhsa_system_sgpr_workgroup_info 0
		.amdhsa_system_vgpr_workitem_id 0
		.amdhsa_next_free_vgpr 1
		.amdhsa_next_free_sgpr 0
		.amdhsa_accum_offset 4
		.amdhsa_reserve_vcc 0
		.amdhsa_reserve_flat_scratch 0
		.amdhsa_float_round_mode_32 0
		.amdhsa_float_round_mode_16_64 0
		.amdhsa_float_denorm_mode_32 3
		.amdhsa_float_denorm_mode_16_64 3
		.amdhsa_dx10_clamp 1
		.amdhsa_ieee_mode 1
		.amdhsa_fp16_overflow 0
		.amdhsa_tg_split 0
		.amdhsa_exception_fp_ieee_invalid_op 0
		.amdhsa_exception_fp_denorm_src 0
		.amdhsa_exception_fp_ieee_div_zero 0
		.amdhsa_exception_fp_ieee_overflow 0
		.amdhsa_exception_fp_ieee_underflow 0
		.amdhsa_exception_fp_ieee_inexact 0
		.amdhsa_exception_int_div_zero 0
	.end_amdhsa_kernel
	.section	.text._ZN7rocprim17ROCPRIM_400000_NS6detail17trampoline_kernelINS0_14default_configENS1_27scan_by_key_config_selectorIiiEEZZNS1_16scan_by_key_implILNS1_25lookback_scan_determinismE0ELb1ES3_N6thrust23THRUST_200600_302600_NS6detail15normal_iteratorINS9_10device_ptrIiEEEESE_SE_iNS9_4plusIvEENS9_8equal_toIvEEiEE10hipError_tPvRmT2_T3_T4_T5_mT6_T7_P12ihipStream_tbENKUlT_T0_E_clISt17integral_constantIbLb1EESY_IbLb0EEEEDaSU_SV_EUlSU_E_NS1_11comp_targetILNS1_3genE2ELNS1_11target_archE906ELNS1_3gpuE6ELNS1_3repE0EEENS1_30default_config_static_selectorELNS0_4arch9wavefront6targetE1EEEvT1_,"axG",@progbits,_ZN7rocprim17ROCPRIM_400000_NS6detail17trampoline_kernelINS0_14default_configENS1_27scan_by_key_config_selectorIiiEEZZNS1_16scan_by_key_implILNS1_25lookback_scan_determinismE0ELb1ES3_N6thrust23THRUST_200600_302600_NS6detail15normal_iteratorINS9_10device_ptrIiEEEESE_SE_iNS9_4plusIvEENS9_8equal_toIvEEiEE10hipError_tPvRmT2_T3_T4_T5_mT6_T7_P12ihipStream_tbENKUlT_T0_E_clISt17integral_constantIbLb1EESY_IbLb0EEEEDaSU_SV_EUlSU_E_NS1_11comp_targetILNS1_3genE2ELNS1_11target_archE906ELNS1_3gpuE6ELNS1_3repE0EEENS1_30default_config_static_selectorELNS0_4arch9wavefront6targetE1EEEvT1_,comdat
.Lfunc_end484:
	.size	_ZN7rocprim17ROCPRIM_400000_NS6detail17trampoline_kernelINS0_14default_configENS1_27scan_by_key_config_selectorIiiEEZZNS1_16scan_by_key_implILNS1_25lookback_scan_determinismE0ELb1ES3_N6thrust23THRUST_200600_302600_NS6detail15normal_iteratorINS9_10device_ptrIiEEEESE_SE_iNS9_4plusIvEENS9_8equal_toIvEEiEE10hipError_tPvRmT2_T3_T4_T5_mT6_T7_P12ihipStream_tbENKUlT_T0_E_clISt17integral_constantIbLb1EESY_IbLb0EEEEDaSU_SV_EUlSU_E_NS1_11comp_targetILNS1_3genE2ELNS1_11target_archE906ELNS1_3gpuE6ELNS1_3repE0EEENS1_30default_config_static_selectorELNS0_4arch9wavefront6targetE1EEEvT1_, .Lfunc_end484-_ZN7rocprim17ROCPRIM_400000_NS6detail17trampoline_kernelINS0_14default_configENS1_27scan_by_key_config_selectorIiiEEZZNS1_16scan_by_key_implILNS1_25lookback_scan_determinismE0ELb1ES3_N6thrust23THRUST_200600_302600_NS6detail15normal_iteratorINS9_10device_ptrIiEEEESE_SE_iNS9_4plusIvEENS9_8equal_toIvEEiEE10hipError_tPvRmT2_T3_T4_T5_mT6_T7_P12ihipStream_tbENKUlT_T0_E_clISt17integral_constantIbLb1EESY_IbLb0EEEEDaSU_SV_EUlSU_E_NS1_11comp_targetILNS1_3genE2ELNS1_11target_archE906ELNS1_3gpuE6ELNS1_3repE0EEENS1_30default_config_static_selectorELNS0_4arch9wavefront6targetE1EEEvT1_
                                        ; -- End function
	.section	.AMDGPU.csdata,"",@progbits
; Kernel info:
; codeLenInByte = 0
; NumSgprs: 4
; NumVgprs: 0
; NumAgprs: 0
; TotalNumVgprs: 0
; ScratchSize: 0
; MemoryBound: 0
; FloatMode: 240
; IeeeMode: 1
; LDSByteSize: 0 bytes/workgroup (compile time only)
; SGPRBlocks: 0
; VGPRBlocks: 0
; NumSGPRsForWavesPerEU: 4
; NumVGPRsForWavesPerEU: 1
; AccumOffset: 4
; Occupancy: 8
; WaveLimiterHint : 0
; COMPUTE_PGM_RSRC2:SCRATCH_EN: 0
; COMPUTE_PGM_RSRC2:USER_SGPR: 6
; COMPUTE_PGM_RSRC2:TRAP_HANDLER: 0
; COMPUTE_PGM_RSRC2:TGID_X_EN: 1
; COMPUTE_PGM_RSRC2:TGID_Y_EN: 0
; COMPUTE_PGM_RSRC2:TGID_Z_EN: 0
; COMPUTE_PGM_RSRC2:TIDIG_COMP_CNT: 0
; COMPUTE_PGM_RSRC3_GFX90A:ACCUM_OFFSET: 0
; COMPUTE_PGM_RSRC3_GFX90A:TG_SPLIT: 0
	.section	.text._ZN7rocprim17ROCPRIM_400000_NS6detail17trampoline_kernelINS0_14default_configENS1_27scan_by_key_config_selectorIiiEEZZNS1_16scan_by_key_implILNS1_25lookback_scan_determinismE0ELb1ES3_N6thrust23THRUST_200600_302600_NS6detail15normal_iteratorINS9_10device_ptrIiEEEESE_SE_iNS9_4plusIvEENS9_8equal_toIvEEiEE10hipError_tPvRmT2_T3_T4_T5_mT6_T7_P12ihipStream_tbENKUlT_T0_E_clISt17integral_constantIbLb1EESY_IbLb0EEEEDaSU_SV_EUlSU_E_NS1_11comp_targetILNS1_3genE10ELNS1_11target_archE1200ELNS1_3gpuE4ELNS1_3repE0EEENS1_30default_config_static_selectorELNS0_4arch9wavefront6targetE1EEEvT1_,"axG",@progbits,_ZN7rocprim17ROCPRIM_400000_NS6detail17trampoline_kernelINS0_14default_configENS1_27scan_by_key_config_selectorIiiEEZZNS1_16scan_by_key_implILNS1_25lookback_scan_determinismE0ELb1ES3_N6thrust23THRUST_200600_302600_NS6detail15normal_iteratorINS9_10device_ptrIiEEEESE_SE_iNS9_4plusIvEENS9_8equal_toIvEEiEE10hipError_tPvRmT2_T3_T4_T5_mT6_T7_P12ihipStream_tbENKUlT_T0_E_clISt17integral_constantIbLb1EESY_IbLb0EEEEDaSU_SV_EUlSU_E_NS1_11comp_targetILNS1_3genE10ELNS1_11target_archE1200ELNS1_3gpuE4ELNS1_3repE0EEENS1_30default_config_static_selectorELNS0_4arch9wavefront6targetE1EEEvT1_,comdat
	.protected	_ZN7rocprim17ROCPRIM_400000_NS6detail17trampoline_kernelINS0_14default_configENS1_27scan_by_key_config_selectorIiiEEZZNS1_16scan_by_key_implILNS1_25lookback_scan_determinismE0ELb1ES3_N6thrust23THRUST_200600_302600_NS6detail15normal_iteratorINS9_10device_ptrIiEEEESE_SE_iNS9_4plusIvEENS9_8equal_toIvEEiEE10hipError_tPvRmT2_T3_T4_T5_mT6_T7_P12ihipStream_tbENKUlT_T0_E_clISt17integral_constantIbLb1EESY_IbLb0EEEEDaSU_SV_EUlSU_E_NS1_11comp_targetILNS1_3genE10ELNS1_11target_archE1200ELNS1_3gpuE4ELNS1_3repE0EEENS1_30default_config_static_selectorELNS0_4arch9wavefront6targetE1EEEvT1_ ; -- Begin function _ZN7rocprim17ROCPRIM_400000_NS6detail17trampoline_kernelINS0_14default_configENS1_27scan_by_key_config_selectorIiiEEZZNS1_16scan_by_key_implILNS1_25lookback_scan_determinismE0ELb1ES3_N6thrust23THRUST_200600_302600_NS6detail15normal_iteratorINS9_10device_ptrIiEEEESE_SE_iNS9_4plusIvEENS9_8equal_toIvEEiEE10hipError_tPvRmT2_T3_T4_T5_mT6_T7_P12ihipStream_tbENKUlT_T0_E_clISt17integral_constantIbLb1EESY_IbLb0EEEEDaSU_SV_EUlSU_E_NS1_11comp_targetILNS1_3genE10ELNS1_11target_archE1200ELNS1_3gpuE4ELNS1_3repE0EEENS1_30default_config_static_selectorELNS0_4arch9wavefront6targetE1EEEvT1_
	.globl	_ZN7rocprim17ROCPRIM_400000_NS6detail17trampoline_kernelINS0_14default_configENS1_27scan_by_key_config_selectorIiiEEZZNS1_16scan_by_key_implILNS1_25lookback_scan_determinismE0ELb1ES3_N6thrust23THRUST_200600_302600_NS6detail15normal_iteratorINS9_10device_ptrIiEEEESE_SE_iNS9_4plusIvEENS9_8equal_toIvEEiEE10hipError_tPvRmT2_T3_T4_T5_mT6_T7_P12ihipStream_tbENKUlT_T0_E_clISt17integral_constantIbLb1EESY_IbLb0EEEEDaSU_SV_EUlSU_E_NS1_11comp_targetILNS1_3genE10ELNS1_11target_archE1200ELNS1_3gpuE4ELNS1_3repE0EEENS1_30default_config_static_selectorELNS0_4arch9wavefront6targetE1EEEvT1_
	.p2align	8
	.type	_ZN7rocprim17ROCPRIM_400000_NS6detail17trampoline_kernelINS0_14default_configENS1_27scan_by_key_config_selectorIiiEEZZNS1_16scan_by_key_implILNS1_25lookback_scan_determinismE0ELb1ES3_N6thrust23THRUST_200600_302600_NS6detail15normal_iteratorINS9_10device_ptrIiEEEESE_SE_iNS9_4plusIvEENS9_8equal_toIvEEiEE10hipError_tPvRmT2_T3_T4_T5_mT6_T7_P12ihipStream_tbENKUlT_T0_E_clISt17integral_constantIbLb1EESY_IbLb0EEEEDaSU_SV_EUlSU_E_NS1_11comp_targetILNS1_3genE10ELNS1_11target_archE1200ELNS1_3gpuE4ELNS1_3repE0EEENS1_30default_config_static_selectorELNS0_4arch9wavefront6targetE1EEEvT1_,@function
_ZN7rocprim17ROCPRIM_400000_NS6detail17trampoline_kernelINS0_14default_configENS1_27scan_by_key_config_selectorIiiEEZZNS1_16scan_by_key_implILNS1_25lookback_scan_determinismE0ELb1ES3_N6thrust23THRUST_200600_302600_NS6detail15normal_iteratorINS9_10device_ptrIiEEEESE_SE_iNS9_4plusIvEENS9_8equal_toIvEEiEE10hipError_tPvRmT2_T3_T4_T5_mT6_T7_P12ihipStream_tbENKUlT_T0_E_clISt17integral_constantIbLb1EESY_IbLb0EEEEDaSU_SV_EUlSU_E_NS1_11comp_targetILNS1_3genE10ELNS1_11target_archE1200ELNS1_3gpuE4ELNS1_3repE0EEENS1_30default_config_static_selectorELNS0_4arch9wavefront6targetE1EEEvT1_: ; @_ZN7rocprim17ROCPRIM_400000_NS6detail17trampoline_kernelINS0_14default_configENS1_27scan_by_key_config_selectorIiiEEZZNS1_16scan_by_key_implILNS1_25lookback_scan_determinismE0ELb1ES3_N6thrust23THRUST_200600_302600_NS6detail15normal_iteratorINS9_10device_ptrIiEEEESE_SE_iNS9_4plusIvEENS9_8equal_toIvEEiEE10hipError_tPvRmT2_T3_T4_T5_mT6_T7_P12ihipStream_tbENKUlT_T0_E_clISt17integral_constantIbLb1EESY_IbLb0EEEEDaSU_SV_EUlSU_E_NS1_11comp_targetILNS1_3genE10ELNS1_11target_archE1200ELNS1_3gpuE4ELNS1_3repE0EEENS1_30default_config_static_selectorELNS0_4arch9wavefront6targetE1EEEvT1_
; %bb.0:
	.section	.rodata,"a",@progbits
	.p2align	6, 0x0
	.amdhsa_kernel _ZN7rocprim17ROCPRIM_400000_NS6detail17trampoline_kernelINS0_14default_configENS1_27scan_by_key_config_selectorIiiEEZZNS1_16scan_by_key_implILNS1_25lookback_scan_determinismE0ELb1ES3_N6thrust23THRUST_200600_302600_NS6detail15normal_iteratorINS9_10device_ptrIiEEEESE_SE_iNS9_4plusIvEENS9_8equal_toIvEEiEE10hipError_tPvRmT2_T3_T4_T5_mT6_T7_P12ihipStream_tbENKUlT_T0_E_clISt17integral_constantIbLb1EESY_IbLb0EEEEDaSU_SV_EUlSU_E_NS1_11comp_targetILNS1_3genE10ELNS1_11target_archE1200ELNS1_3gpuE4ELNS1_3repE0EEENS1_30default_config_static_selectorELNS0_4arch9wavefront6targetE1EEEvT1_
		.amdhsa_group_segment_fixed_size 0
		.amdhsa_private_segment_fixed_size 0
		.amdhsa_kernarg_size 112
		.amdhsa_user_sgpr_count 6
		.amdhsa_user_sgpr_private_segment_buffer 1
		.amdhsa_user_sgpr_dispatch_ptr 0
		.amdhsa_user_sgpr_queue_ptr 0
		.amdhsa_user_sgpr_kernarg_segment_ptr 1
		.amdhsa_user_sgpr_dispatch_id 0
		.amdhsa_user_sgpr_flat_scratch_init 0
		.amdhsa_user_sgpr_kernarg_preload_length 0
		.amdhsa_user_sgpr_kernarg_preload_offset 0
		.amdhsa_user_sgpr_private_segment_size 0
		.amdhsa_uses_dynamic_stack 0
		.amdhsa_system_sgpr_private_segment_wavefront_offset 0
		.amdhsa_system_sgpr_workgroup_id_x 1
		.amdhsa_system_sgpr_workgroup_id_y 0
		.amdhsa_system_sgpr_workgroup_id_z 0
		.amdhsa_system_sgpr_workgroup_info 0
		.amdhsa_system_vgpr_workitem_id 0
		.amdhsa_next_free_vgpr 1
		.amdhsa_next_free_sgpr 0
		.amdhsa_accum_offset 4
		.amdhsa_reserve_vcc 0
		.amdhsa_reserve_flat_scratch 0
		.amdhsa_float_round_mode_32 0
		.amdhsa_float_round_mode_16_64 0
		.amdhsa_float_denorm_mode_32 3
		.amdhsa_float_denorm_mode_16_64 3
		.amdhsa_dx10_clamp 1
		.amdhsa_ieee_mode 1
		.amdhsa_fp16_overflow 0
		.amdhsa_tg_split 0
		.amdhsa_exception_fp_ieee_invalid_op 0
		.amdhsa_exception_fp_denorm_src 0
		.amdhsa_exception_fp_ieee_div_zero 0
		.amdhsa_exception_fp_ieee_overflow 0
		.amdhsa_exception_fp_ieee_underflow 0
		.amdhsa_exception_fp_ieee_inexact 0
		.amdhsa_exception_int_div_zero 0
	.end_amdhsa_kernel
	.section	.text._ZN7rocprim17ROCPRIM_400000_NS6detail17trampoline_kernelINS0_14default_configENS1_27scan_by_key_config_selectorIiiEEZZNS1_16scan_by_key_implILNS1_25lookback_scan_determinismE0ELb1ES3_N6thrust23THRUST_200600_302600_NS6detail15normal_iteratorINS9_10device_ptrIiEEEESE_SE_iNS9_4plusIvEENS9_8equal_toIvEEiEE10hipError_tPvRmT2_T3_T4_T5_mT6_T7_P12ihipStream_tbENKUlT_T0_E_clISt17integral_constantIbLb1EESY_IbLb0EEEEDaSU_SV_EUlSU_E_NS1_11comp_targetILNS1_3genE10ELNS1_11target_archE1200ELNS1_3gpuE4ELNS1_3repE0EEENS1_30default_config_static_selectorELNS0_4arch9wavefront6targetE1EEEvT1_,"axG",@progbits,_ZN7rocprim17ROCPRIM_400000_NS6detail17trampoline_kernelINS0_14default_configENS1_27scan_by_key_config_selectorIiiEEZZNS1_16scan_by_key_implILNS1_25lookback_scan_determinismE0ELb1ES3_N6thrust23THRUST_200600_302600_NS6detail15normal_iteratorINS9_10device_ptrIiEEEESE_SE_iNS9_4plusIvEENS9_8equal_toIvEEiEE10hipError_tPvRmT2_T3_T4_T5_mT6_T7_P12ihipStream_tbENKUlT_T0_E_clISt17integral_constantIbLb1EESY_IbLb0EEEEDaSU_SV_EUlSU_E_NS1_11comp_targetILNS1_3genE10ELNS1_11target_archE1200ELNS1_3gpuE4ELNS1_3repE0EEENS1_30default_config_static_selectorELNS0_4arch9wavefront6targetE1EEEvT1_,comdat
.Lfunc_end485:
	.size	_ZN7rocprim17ROCPRIM_400000_NS6detail17trampoline_kernelINS0_14default_configENS1_27scan_by_key_config_selectorIiiEEZZNS1_16scan_by_key_implILNS1_25lookback_scan_determinismE0ELb1ES3_N6thrust23THRUST_200600_302600_NS6detail15normal_iteratorINS9_10device_ptrIiEEEESE_SE_iNS9_4plusIvEENS9_8equal_toIvEEiEE10hipError_tPvRmT2_T3_T4_T5_mT6_T7_P12ihipStream_tbENKUlT_T0_E_clISt17integral_constantIbLb1EESY_IbLb0EEEEDaSU_SV_EUlSU_E_NS1_11comp_targetILNS1_3genE10ELNS1_11target_archE1200ELNS1_3gpuE4ELNS1_3repE0EEENS1_30default_config_static_selectorELNS0_4arch9wavefront6targetE1EEEvT1_, .Lfunc_end485-_ZN7rocprim17ROCPRIM_400000_NS6detail17trampoline_kernelINS0_14default_configENS1_27scan_by_key_config_selectorIiiEEZZNS1_16scan_by_key_implILNS1_25lookback_scan_determinismE0ELb1ES3_N6thrust23THRUST_200600_302600_NS6detail15normal_iteratorINS9_10device_ptrIiEEEESE_SE_iNS9_4plusIvEENS9_8equal_toIvEEiEE10hipError_tPvRmT2_T3_T4_T5_mT6_T7_P12ihipStream_tbENKUlT_T0_E_clISt17integral_constantIbLb1EESY_IbLb0EEEEDaSU_SV_EUlSU_E_NS1_11comp_targetILNS1_3genE10ELNS1_11target_archE1200ELNS1_3gpuE4ELNS1_3repE0EEENS1_30default_config_static_selectorELNS0_4arch9wavefront6targetE1EEEvT1_
                                        ; -- End function
	.section	.AMDGPU.csdata,"",@progbits
; Kernel info:
; codeLenInByte = 0
; NumSgprs: 4
; NumVgprs: 0
; NumAgprs: 0
; TotalNumVgprs: 0
; ScratchSize: 0
; MemoryBound: 0
; FloatMode: 240
; IeeeMode: 1
; LDSByteSize: 0 bytes/workgroup (compile time only)
; SGPRBlocks: 0
; VGPRBlocks: 0
; NumSGPRsForWavesPerEU: 4
; NumVGPRsForWavesPerEU: 1
; AccumOffset: 4
; Occupancy: 8
; WaveLimiterHint : 0
; COMPUTE_PGM_RSRC2:SCRATCH_EN: 0
; COMPUTE_PGM_RSRC2:USER_SGPR: 6
; COMPUTE_PGM_RSRC2:TRAP_HANDLER: 0
; COMPUTE_PGM_RSRC2:TGID_X_EN: 1
; COMPUTE_PGM_RSRC2:TGID_Y_EN: 0
; COMPUTE_PGM_RSRC2:TGID_Z_EN: 0
; COMPUTE_PGM_RSRC2:TIDIG_COMP_CNT: 0
; COMPUTE_PGM_RSRC3_GFX90A:ACCUM_OFFSET: 0
; COMPUTE_PGM_RSRC3_GFX90A:TG_SPLIT: 0
	.section	.text._ZN7rocprim17ROCPRIM_400000_NS6detail17trampoline_kernelINS0_14default_configENS1_27scan_by_key_config_selectorIiiEEZZNS1_16scan_by_key_implILNS1_25lookback_scan_determinismE0ELb1ES3_N6thrust23THRUST_200600_302600_NS6detail15normal_iteratorINS9_10device_ptrIiEEEESE_SE_iNS9_4plusIvEENS9_8equal_toIvEEiEE10hipError_tPvRmT2_T3_T4_T5_mT6_T7_P12ihipStream_tbENKUlT_T0_E_clISt17integral_constantIbLb1EESY_IbLb0EEEEDaSU_SV_EUlSU_E_NS1_11comp_targetILNS1_3genE9ELNS1_11target_archE1100ELNS1_3gpuE3ELNS1_3repE0EEENS1_30default_config_static_selectorELNS0_4arch9wavefront6targetE1EEEvT1_,"axG",@progbits,_ZN7rocprim17ROCPRIM_400000_NS6detail17trampoline_kernelINS0_14default_configENS1_27scan_by_key_config_selectorIiiEEZZNS1_16scan_by_key_implILNS1_25lookback_scan_determinismE0ELb1ES3_N6thrust23THRUST_200600_302600_NS6detail15normal_iteratorINS9_10device_ptrIiEEEESE_SE_iNS9_4plusIvEENS9_8equal_toIvEEiEE10hipError_tPvRmT2_T3_T4_T5_mT6_T7_P12ihipStream_tbENKUlT_T0_E_clISt17integral_constantIbLb1EESY_IbLb0EEEEDaSU_SV_EUlSU_E_NS1_11comp_targetILNS1_3genE9ELNS1_11target_archE1100ELNS1_3gpuE3ELNS1_3repE0EEENS1_30default_config_static_selectorELNS0_4arch9wavefront6targetE1EEEvT1_,comdat
	.protected	_ZN7rocprim17ROCPRIM_400000_NS6detail17trampoline_kernelINS0_14default_configENS1_27scan_by_key_config_selectorIiiEEZZNS1_16scan_by_key_implILNS1_25lookback_scan_determinismE0ELb1ES3_N6thrust23THRUST_200600_302600_NS6detail15normal_iteratorINS9_10device_ptrIiEEEESE_SE_iNS9_4plusIvEENS9_8equal_toIvEEiEE10hipError_tPvRmT2_T3_T4_T5_mT6_T7_P12ihipStream_tbENKUlT_T0_E_clISt17integral_constantIbLb1EESY_IbLb0EEEEDaSU_SV_EUlSU_E_NS1_11comp_targetILNS1_3genE9ELNS1_11target_archE1100ELNS1_3gpuE3ELNS1_3repE0EEENS1_30default_config_static_selectorELNS0_4arch9wavefront6targetE1EEEvT1_ ; -- Begin function _ZN7rocprim17ROCPRIM_400000_NS6detail17trampoline_kernelINS0_14default_configENS1_27scan_by_key_config_selectorIiiEEZZNS1_16scan_by_key_implILNS1_25lookback_scan_determinismE0ELb1ES3_N6thrust23THRUST_200600_302600_NS6detail15normal_iteratorINS9_10device_ptrIiEEEESE_SE_iNS9_4plusIvEENS9_8equal_toIvEEiEE10hipError_tPvRmT2_T3_T4_T5_mT6_T7_P12ihipStream_tbENKUlT_T0_E_clISt17integral_constantIbLb1EESY_IbLb0EEEEDaSU_SV_EUlSU_E_NS1_11comp_targetILNS1_3genE9ELNS1_11target_archE1100ELNS1_3gpuE3ELNS1_3repE0EEENS1_30default_config_static_selectorELNS0_4arch9wavefront6targetE1EEEvT1_
	.globl	_ZN7rocprim17ROCPRIM_400000_NS6detail17trampoline_kernelINS0_14default_configENS1_27scan_by_key_config_selectorIiiEEZZNS1_16scan_by_key_implILNS1_25lookback_scan_determinismE0ELb1ES3_N6thrust23THRUST_200600_302600_NS6detail15normal_iteratorINS9_10device_ptrIiEEEESE_SE_iNS9_4plusIvEENS9_8equal_toIvEEiEE10hipError_tPvRmT2_T3_T4_T5_mT6_T7_P12ihipStream_tbENKUlT_T0_E_clISt17integral_constantIbLb1EESY_IbLb0EEEEDaSU_SV_EUlSU_E_NS1_11comp_targetILNS1_3genE9ELNS1_11target_archE1100ELNS1_3gpuE3ELNS1_3repE0EEENS1_30default_config_static_selectorELNS0_4arch9wavefront6targetE1EEEvT1_
	.p2align	8
	.type	_ZN7rocprim17ROCPRIM_400000_NS6detail17trampoline_kernelINS0_14default_configENS1_27scan_by_key_config_selectorIiiEEZZNS1_16scan_by_key_implILNS1_25lookback_scan_determinismE0ELb1ES3_N6thrust23THRUST_200600_302600_NS6detail15normal_iteratorINS9_10device_ptrIiEEEESE_SE_iNS9_4plusIvEENS9_8equal_toIvEEiEE10hipError_tPvRmT2_T3_T4_T5_mT6_T7_P12ihipStream_tbENKUlT_T0_E_clISt17integral_constantIbLb1EESY_IbLb0EEEEDaSU_SV_EUlSU_E_NS1_11comp_targetILNS1_3genE9ELNS1_11target_archE1100ELNS1_3gpuE3ELNS1_3repE0EEENS1_30default_config_static_selectorELNS0_4arch9wavefront6targetE1EEEvT1_,@function
_ZN7rocprim17ROCPRIM_400000_NS6detail17trampoline_kernelINS0_14default_configENS1_27scan_by_key_config_selectorIiiEEZZNS1_16scan_by_key_implILNS1_25lookback_scan_determinismE0ELb1ES3_N6thrust23THRUST_200600_302600_NS6detail15normal_iteratorINS9_10device_ptrIiEEEESE_SE_iNS9_4plusIvEENS9_8equal_toIvEEiEE10hipError_tPvRmT2_T3_T4_T5_mT6_T7_P12ihipStream_tbENKUlT_T0_E_clISt17integral_constantIbLb1EESY_IbLb0EEEEDaSU_SV_EUlSU_E_NS1_11comp_targetILNS1_3genE9ELNS1_11target_archE1100ELNS1_3gpuE3ELNS1_3repE0EEENS1_30default_config_static_selectorELNS0_4arch9wavefront6targetE1EEEvT1_: ; @_ZN7rocprim17ROCPRIM_400000_NS6detail17trampoline_kernelINS0_14default_configENS1_27scan_by_key_config_selectorIiiEEZZNS1_16scan_by_key_implILNS1_25lookback_scan_determinismE0ELb1ES3_N6thrust23THRUST_200600_302600_NS6detail15normal_iteratorINS9_10device_ptrIiEEEESE_SE_iNS9_4plusIvEENS9_8equal_toIvEEiEE10hipError_tPvRmT2_T3_T4_T5_mT6_T7_P12ihipStream_tbENKUlT_T0_E_clISt17integral_constantIbLb1EESY_IbLb0EEEEDaSU_SV_EUlSU_E_NS1_11comp_targetILNS1_3genE9ELNS1_11target_archE1100ELNS1_3gpuE3ELNS1_3repE0EEENS1_30default_config_static_selectorELNS0_4arch9wavefront6targetE1EEEvT1_
; %bb.0:
	.section	.rodata,"a",@progbits
	.p2align	6, 0x0
	.amdhsa_kernel _ZN7rocprim17ROCPRIM_400000_NS6detail17trampoline_kernelINS0_14default_configENS1_27scan_by_key_config_selectorIiiEEZZNS1_16scan_by_key_implILNS1_25lookback_scan_determinismE0ELb1ES3_N6thrust23THRUST_200600_302600_NS6detail15normal_iteratorINS9_10device_ptrIiEEEESE_SE_iNS9_4plusIvEENS9_8equal_toIvEEiEE10hipError_tPvRmT2_T3_T4_T5_mT6_T7_P12ihipStream_tbENKUlT_T0_E_clISt17integral_constantIbLb1EESY_IbLb0EEEEDaSU_SV_EUlSU_E_NS1_11comp_targetILNS1_3genE9ELNS1_11target_archE1100ELNS1_3gpuE3ELNS1_3repE0EEENS1_30default_config_static_selectorELNS0_4arch9wavefront6targetE1EEEvT1_
		.amdhsa_group_segment_fixed_size 0
		.amdhsa_private_segment_fixed_size 0
		.amdhsa_kernarg_size 112
		.amdhsa_user_sgpr_count 6
		.amdhsa_user_sgpr_private_segment_buffer 1
		.amdhsa_user_sgpr_dispatch_ptr 0
		.amdhsa_user_sgpr_queue_ptr 0
		.amdhsa_user_sgpr_kernarg_segment_ptr 1
		.amdhsa_user_sgpr_dispatch_id 0
		.amdhsa_user_sgpr_flat_scratch_init 0
		.amdhsa_user_sgpr_kernarg_preload_length 0
		.amdhsa_user_sgpr_kernarg_preload_offset 0
		.amdhsa_user_sgpr_private_segment_size 0
		.amdhsa_uses_dynamic_stack 0
		.amdhsa_system_sgpr_private_segment_wavefront_offset 0
		.amdhsa_system_sgpr_workgroup_id_x 1
		.amdhsa_system_sgpr_workgroup_id_y 0
		.amdhsa_system_sgpr_workgroup_id_z 0
		.amdhsa_system_sgpr_workgroup_info 0
		.amdhsa_system_vgpr_workitem_id 0
		.amdhsa_next_free_vgpr 1
		.amdhsa_next_free_sgpr 0
		.amdhsa_accum_offset 4
		.amdhsa_reserve_vcc 0
		.amdhsa_reserve_flat_scratch 0
		.amdhsa_float_round_mode_32 0
		.amdhsa_float_round_mode_16_64 0
		.amdhsa_float_denorm_mode_32 3
		.amdhsa_float_denorm_mode_16_64 3
		.amdhsa_dx10_clamp 1
		.amdhsa_ieee_mode 1
		.amdhsa_fp16_overflow 0
		.amdhsa_tg_split 0
		.amdhsa_exception_fp_ieee_invalid_op 0
		.amdhsa_exception_fp_denorm_src 0
		.amdhsa_exception_fp_ieee_div_zero 0
		.amdhsa_exception_fp_ieee_overflow 0
		.amdhsa_exception_fp_ieee_underflow 0
		.amdhsa_exception_fp_ieee_inexact 0
		.amdhsa_exception_int_div_zero 0
	.end_amdhsa_kernel
	.section	.text._ZN7rocprim17ROCPRIM_400000_NS6detail17trampoline_kernelINS0_14default_configENS1_27scan_by_key_config_selectorIiiEEZZNS1_16scan_by_key_implILNS1_25lookback_scan_determinismE0ELb1ES3_N6thrust23THRUST_200600_302600_NS6detail15normal_iteratorINS9_10device_ptrIiEEEESE_SE_iNS9_4plusIvEENS9_8equal_toIvEEiEE10hipError_tPvRmT2_T3_T4_T5_mT6_T7_P12ihipStream_tbENKUlT_T0_E_clISt17integral_constantIbLb1EESY_IbLb0EEEEDaSU_SV_EUlSU_E_NS1_11comp_targetILNS1_3genE9ELNS1_11target_archE1100ELNS1_3gpuE3ELNS1_3repE0EEENS1_30default_config_static_selectorELNS0_4arch9wavefront6targetE1EEEvT1_,"axG",@progbits,_ZN7rocprim17ROCPRIM_400000_NS6detail17trampoline_kernelINS0_14default_configENS1_27scan_by_key_config_selectorIiiEEZZNS1_16scan_by_key_implILNS1_25lookback_scan_determinismE0ELb1ES3_N6thrust23THRUST_200600_302600_NS6detail15normal_iteratorINS9_10device_ptrIiEEEESE_SE_iNS9_4plusIvEENS9_8equal_toIvEEiEE10hipError_tPvRmT2_T3_T4_T5_mT6_T7_P12ihipStream_tbENKUlT_T0_E_clISt17integral_constantIbLb1EESY_IbLb0EEEEDaSU_SV_EUlSU_E_NS1_11comp_targetILNS1_3genE9ELNS1_11target_archE1100ELNS1_3gpuE3ELNS1_3repE0EEENS1_30default_config_static_selectorELNS0_4arch9wavefront6targetE1EEEvT1_,comdat
.Lfunc_end486:
	.size	_ZN7rocprim17ROCPRIM_400000_NS6detail17trampoline_kernelINS0_14default_configENS1_27scan_by_key_config_selectorIiiEEZZNS1_16scan_by_key_implILNS1_25lookback_scan_determinismE0ELb1ES3_N6thrust23THRUST_200600_302600_NS6detail15normal_iteratorINS9_10device_ptrIiEEEESE_SE_iNS9_4plusIvEENS9_8equal_toIvEEiEE10hipError_tPvRmT2_T3_T4_T5_mT6_T7_P12ihipStream_tbENKUlT_T0_E_clISt17integral_constantIbLb1EESY_IbLb0EEEEDaSU_SV_EUlSU_E_NS1_11comp_targetILNS1_3genE9ELNS1_11target_archE1100ELNS1_3gpuE3ELNS1_3repE0EEENS1_30default_config_static_selectorELNS0_4arch9wavefront6targetE1EEEvT1_, .Lfunc_end486-_ZN7rocprim17ROCPRIM_400000_NS6detail17trampoline_kernelINS0_14default_configENS1_27scan_by_key_config_selectorIiiEEZZNS1_16scan_by_key_implILNS1_25lookback_scan_determinismE0ELb1ES3_N6thrust23THRUST_200600_302600_NS6detail15normal_iteratorINS9_10device_ptrIiEEEESE_SE_iNS9_4plusIvEENS9_8equal_toIvEEiEE10hipError_tPvRmT2_T3_T4_T5_mT6_T7_P12ihipStream_tbENKUlT_T0_E_clISt17integral_constantIbLb1EESY_IbLb0EEEEDaSU_SV_EUlSU_E_NS1_11comp_targetILNS1_3genE9ELNS1_11target_archE1100ELNS1_3gpuE3ELNS1_3repE0EEENS1_30default_config_static_selectorELNS0_4arch9wavefront6targetE1EEEvT1_
                                        ; -- End function
	.section	.AMDGPU.csdata,"",@progbits
; Kernel info:
; codeLenInByte = 0
; NumSgprs: 4
; NumVgprs: 0
; NumAgprs: 0
; TotalNumVgprs: 0
; ScratchSize: 0
; MemoryBound: 0
; FloatMode: 240
; IeeeMode: 1
; LDSByteSize: 0 bytes/workgroup (compile time only)
; SGPRBlocks: 0
; VGPRBlocks: 0
; NumSGPRsForWavesPerEU: 4
; NumVGPRsForWavesPerEU: 1
; AccumOffset: 4
; Occupancy: 8
; WaveLimiterHint : 0
; COMPUTE_PGM_RSRC2:SCRATCH_EN: 0
; COMPUTE_PGM_RSRC2:USER_SGPR: 6
; COMPUTE_PGM_RSRC2:TRAP_HANDLER: 0
; COMPUTE_PGM_RSRC2:TGID_X_EN: 1
; COMPUTE_PGM_RSRC2:TGID_Y_EN: 0
; COMPUTE_PGM_RSRC2:TGID_Z_EN: 0
; COMPUTE_PGM_RSRC2:TIDIG_COMP_CNT: 0
; COMPUTE_PGM_RSRC3_GFX90A:ACCUM_OFFSET: 0
; COMPUTE_PGM_RSRC3_GFX90A:TG_SPLIT: 0
	.section	.text._ZN7rocprim17ROCPRIM_400000_NS6detail17trampoline_kernelINS0_14default_configENS1_27scan_by_key_config_selectorIiiEEZZNS1_16scan_by_key_implILNS1_25lookback_scan_determinismE0ELb1ES3_N6thrust23THRUST_200600_302600_NS6detail15normal_iteratorINS9_10device_ptrIiEEEESE_SE_iNS9_4plusIvEENS9_8equal_toIvEEiEE10hipError_tPvRmT2_T3_T4_T5_mT6_T7_P12ihipStream_tbENKUlT_T0_E_clISt17integral_constantIbLb1EESY_IbLb0EEEEDaSU_SV_EUlSU_E_NS1_11comp_targetILNS1_3genE8ELNS1_11target_archE1030ELNS1_3gpuE2ELNS1_3repE0EEENS1_30default_config_static_selectorELNS0_4arch9wavefront6targetE1EEEvT1_,"axG",@progbits,_ZN7rocprim17ROCPRIM_400000_NS6detail17trampoline_kernelINS0_14default_configENS1_27scan_by_key_config_selectorIiiEEZZNS1_16scan_by_key_implILNS1_25lookback_scan_determinismE0ELb1ES3_N6thrust23THRUST_200600_302600_NS6detail15normal_iteratorINS9_10device_ptrIiEEEESE_SE_iNS9_4plusIvEENS9_8equal_toIvEEiEE10hipError_tPvRmT2_T3_T4_T5_mT6_T7_P12ihipStream_tbENKUlT_T0_E_clISt17integral_constantIbLb1EESY_IbLb0EEEEDaSU_SV_EUlSU_E_NS1_11comp_targetILNS1_3genE8ELNS1_11target_archE1030ELNS1_3gpuE2ELNS1_3repE0EEENS1_30default_config_static_selectorELNS0_4arch9wavefront6targetE1EEEvT1_,comdat
	.protected	_ZN7rocprim17ROCPRIM_400000_NS6detail17trampoline_kernelINS0_14default_configENS1_27scan_by_key_config_selectorIiiEEZZNS1_16scan_by_key_implILNS1_25lookback_scan_determinismE0ELb1ES3_N6thrust23THRUST_200600_302600_NS6detail15normal_iteratorINS9_10device_ptrIiEEEESE_SE_iNS9_4plusIvEENS9_8equal_toIvEEiEE10hipError_tPvRmT2_T3_T4_T5_mT6_T7_P12ihipStream_tbENKUlT_T0_E_clISt17integral_constantIbLb1EESY_IbLb0EEEEDaSU_SV_EUlSU_E_NS1_11comp_targetILNS1_3genE8ELNS1_11target_archE1030ELNS1_3gpuE2ELNS1_3repE0EEENS1_30default_config_static_selectorELNS0_4arch9wavefront6targetE1EEEvT1_ ; -- Begin function _ZN7rocprim17ROCPRIM_400000_NS6detail17trampoline_kernelINS0_14default_configENS1_27scan_by_key_config_selectorIiiEEZZNS1_16scan_by_key_implILNS1_25lookback_scan_determinismE0ELb1ES3_N6thrust23THRUST_200600_302600_NS6detail15normal_iteratorINS9_10device_ptrIiEEEESE_SE_iNS9_4plusIvEENS9_8equal_toIvEEiEE10hipError_tPvRmT2_T3_T4_T5_mT6_T7_P12ihipStream_tbENKUlT_T0_E_clISt17integral_constantIbLb1EESY_IbLb0EEEEDaSU_SV_EUlSU_E_NS1_11comp_targetILNS1_3genE8ELNS1_11target_archE1030ELNS1_3gpuE2ELNS1_3repE0EEENS1_30default_config_static_selectorELNS0_4arch9wavefront6targetE1EEEvT1_
	.globl	_ZN7rocprim17ROCPRIM_400000_NS6detail17trampoline_kernelINS0_14default_configENS1_27scan_by_key_config_selectorIiiEEZZNS1_16scan_by_key_implILNS1_25lookback_scan_determinismE0ELb1ES3_N6thrust23THRUST_200600_302600_NS6detail15normal_iteratorINS9_10device_ptrIiEEEESE_SE_iNS9_4plusIvEENS9_8equal_toIvEEiEE10hipError_tPvRmT2_T3_T4_T5_mT6_T7_P12ihipStream_tbENKUlT_T0_E_clISt17integral_constantIbLb1EESY_IbLb0EEEEDaSU_SV_EUlSU_E_NS1_11comp_targetILNS1_3genE8ELNS1_11target_archE1030ELNS1_3gpuE2ELNS1_3repE0EEENS1_30default_config_static_selectorELNS0_4arch9wavefront6targetE1EEEvT1_
	.p2align	8
	.type	_ZN7rocprim17ROCPRIM_400000_NS6detail17trampoline_kernelINS0_14default_configENS1_27scan_by_key_config_selectorIiiEEZZNS1_16scan_by_key_implILNS1_25lookback_scan_determinismE0ELb1ES3_N6thrust23THRUST_200600_302600_NS6detail15normal_iteratorINS9_10device_ptrIiEEEESE_SE_iNS9_4plusIvEENS9_8equal_toIvEEiEE10hipError_tPvRmT2_T3_T4_T5_mT6_T7_P12ihipStream_tbENKUlT_T0_E_clISt17integral_constantIbLb1EESY_IbLb0EEEEDaSU_SV_EUlSU_E_NS1_11comp_targetILNS1_3genE8ELNS1_11target_archE1030ELNS1_3gpuE2ELNS1_3repE0EEENS1_30default_config_static_selectorELNS0_4arch9wavefront6targetE1EEEvT1_,@function
_ZN7rocprim17ROCPRIM_400000_NS6detail17trampoline_kernelINS0_14default_configENS1_27scan_by_key_config_selectorIiiEEZZNS1_16scan_by_key_implILNS1_25lookback_scan_determinismE0ELb1ES3_N6thrust23THRUST_200600_302600_NS6detail15normal_iteratorINS9_10device_ptrIiEEEESE_SE_iNS9_4plusIvEENS9_8equal_toIvEEiEE10hipError_tPvRmT2_T3_T4_T5_mT6_T7_P12ihipStream_tbENKUlT_T0_E_clISt17integral_constantIbLb1EESY_IbLb0EEEEDaSU_SV_EUlSU_E_NS1_11comp_targetILNS1_3genE8ELNS1_11target_archE1030ELNS1_3gpuE2ELNS1_3repE0EEENS1_30default_config_static_selectorELNS0_4arch9wavefront6targetE1EEEvT1_: ; @_ZN7rocprim17ROCPRIM_400000_NS6detail17trampoline_kernelINS0_14default_configENS1_27scan_by_key_config_selectorIiiEEZZNS1_16scan_by_key_implILNS1_25lookback_scan_determinismE0ELb1ES3_N6thrust23THRUST_200600_302600_NS6detail15normal_iteratorINS9_10device_ptrIiEEEESE_SE_iNS9_4plusIvEENS9_8equal_toIvEEiEE10hipError_tPvRmT2_T3_T4_T5_mT6_T7_P12ihipStream_tbENKUlT_T0_E_clISt17integral_constantIbLb1EESY_IbLb0EEEEDaSU_SV_EUlSU_E_NS1_11comp_targetILNS1_3genE8ELNS1_11target_archE1030ELNS1_3gpuE2ELNS1_3repE0EEENS1_30default_config_static_selectorELNS0_4arch9wavefront6targetE1EEEvT1_
; %bb.0:
	.section	.rodata,"a",@progbits
	.p2align	6, 0x0
	.amdhsa_kernel _ZN7rocprim17ROCPRIM_400000_NS6detail17trampoline_kernelINS0_14default_configENS1_27scan_by_key_config_selectorIiiEEZZNS1_16scan_by_key_implILNS1_25lookback_scan_determinismE0ELb1ES3_N6thrust23THRUST_200600_302600_NS6detail15normal_iteratorINS9_10device_ptrIiEEEESE_SE_iNS9_4plusIvEENS9_8equal_toIvEEiEE10hipError_tPvRmT2_T3_T4_T5_mT6_T7_P12ihipStream_tbENKUlT_T0_E_clISt17integral_constantIbLb1EESY_IbLb0EEEEDaSU_SV_EUlSU_E_NS1_11comp_targetILNS1_3genE8ELNS1_11target_archE1030ELNS1_3gpuE2ELNS1_3repE0EEENS1_30default_config_static_selectorELNS0_4arch9wavefront6targetE1EEEvT1_
		.amdhsa_group_segment_fixed_size 0
		.amdhsa_private_segment_fixed_size 0
		.amdhsa_kernarg_size 112
		.amdhsa_user_sgpr_count 6
		.amdhsa_user_sgpr_private_segment_buffer 1
		.amdhsa_user_sgpr_dispatch_ptr 0
		.amdhsa_user_sgpr_queue_ptr 0
		.amdhsa_user_sgpr_kernarg_segment_ptr 1
		.amdhsa_user_sgpr_dispatch_id 0
		.amdhsa_user_sgpr_flat_scratch_init 0
		.amdhsa_user_sgpr_kernarg_preload_length 0
		.amdhsa_user_sgpr_kernarg_preload_offset 0
		.amdhsa_user_sgpr_private_segment_size 0
		.amdhsa_uses_dynamic_stack 0
		.amdhsa_system_sgpr_private_segment_wavefront_offset 0
		.amdhsa_system_sgpr_workgroup_id_x 1
		.amdhsa_system_sgpr_workgroup_id_y 0
		.amdhsa_system_sgpr_workgroup_id_z 0
		.amdhsa_system_sgpr_workgroup_info 0
		.amdhsa_system_vgpr_workitem_id 0
		.amdhsa_next_free_vgpr 1
		.amdhsa_next_free_sgpr 0
		.amdhsa_accum_offset 4
		.amdhsa_reserve_vcc 0
		.amdhsa_reserve_flat_scratch 0
		.amdhsa_float_round_mode_32 0
		.amdhsa_float_round_mode_16_64 0
		.amdhsa_float_denorm_mode_32 3
		.amdhsa_float_denorm_mode_16_64 3
		.amdhsa_dx10_clamp 1
		.amdhsa_ieee_mode 1
		.amdhsa_fp16_overflow 0
		.amdhsa_tg_split 0
		.amdhsa_exception_fp_ieee_invalid_op 0
		.amdhsa_exception_fp_denorm_src 0
		.amdhsa_exception_fp_ieee_div_zero 0
		.amdhsa_exception_fp_ieee_overflow 0
		.amdhsa_exception_fp_ieee_underflow 0
		.amdhsa_exception_fp_ieee_inexact 0
		.amdhsa_exception_int_div_zero 0
	.end_amdhsa_kernel
	.section	.text._ZN7rocprim17ROCPRIM_400000_NS6detail17trampoline_kernelINS0_14default_configENS1_27scan_by_key_config_selectorIiiEEZZNS1_16scan_by_key_implILNS1_25lookback_scan_determinismE0ELb1ES3_N6thrust23THRUST_200600_302600_NS6detail15normal_iteratorINS9_10device_ptrIiEEEESE_SE_iNS9_4plusIvEENS9_8equal_toIvEEiEE10hipError_tPvRmT2_T3_T4_T5_mT6_T7_P12ihipStream_tbENKUlT_T0_E_clISt17integral_constantIbLb1EESY_IbLb0EEEEDaSU_SV_EUlSU_E_NS1_11comp_targetILNS1_3genE8ELNS1_11target_archE1030ELNS1_3gpuE2ELNS1_3repE0EEENS1_30default_config_static_selectorELNS0_4arch9wavefront6targetE1EEEvT1_,"axG",@progbits,_ZN7rocprim17ROCPRIM_400000_NS6detail17trampoline_kernelINS0_14default_configENS1_27scan_by_key_config_selectorIiiEEZZNS1_16scan_by_key_implILNS1_25lookback_scan_determinismE0ELb1ES3_N6thrust23THRUST_200600_302600_NS6detail15normal_iteratorINS9_10device_ptrIiEEEESE_SE_iNS9_4plusIvEENS9_8equal_toIvEEiEE10hipError_tPvRmT2_T3_T4_T5_mT6_T7_P12ihipStream_tbENKUlT_T0_E_clISt17integral_constantIbLb1EESY_IbLb0EEEEDaSU_SV_EUlSU_E_NS1_11comp_targetILNS1_3genE8ELNS1_11target_archE1030ELNS1_3gpuE2ELNS1_3repE0EEENS1_30default_config_static_selectorELNS0_4arch9wavefront6targetE1EEEvT1_,comdat
.Lfunc_end487:
	.size	_ZN7rocprim17ROCPRIM_400000_NS6detail17trampoline_kernelINS0_14default_configENS1_27scan_by_key_config_selectorIiiEEZZNS1_16scan_by_key_implILNS1_25lookback_scan_determinismE0ELb1ES3_N6thrust23THRUST_200600_302600_NS6detail15normal_iteratorINS9_10device_ptrIiEEEESE_SE_iNS9_4plusIvEENS9_8equal_toIvEEiEE10hipError_tPvRmT2_T3_T4_T5_mT6_T7_P12ihipStream_tbENKUlT_T0_E_clISt17integral_constantIbLb1EESY_IbLb0EEEEDaSU_SV_EUlSU_E_NS1_11comp_targetILNS1_3genE8ELNS1_11target_archE1030ELNS1_3gpuE2ELNS1_3repE0EEENS1_30default_config_static_selectorELNS0_4arch9wavefront6targetE1EEEvT1_, .Lfunc_end487-_ZN7rocprim17ROCPRIM_400000_NS6detail17trampoline_kernelINS0_14default_configENS1_27scan_by_key_config_selectorIiiEEZZNS1_16scan_by_key_implILNS1_25lookback_scan_determinismE0ELb1ES3_N6thrust23THRUST_200600_302600_NS6detail15normal_iteratorINS9_10device_ptrIiEEEESE_SE_iNS9_4plusIvEENS9_8equal_toIvEEiEE10hipError_tPvRmT2_T3_T4_T5_mT6_T7_P12ihipStream_tbENKUlT_T0_E_clISt17integral_constantIbLb1EESY_IbLb0EEEEDaSU_SV_EUlSU_E_NS1_11comp_targetILNS1_3genE8ELNS1_11target_archE1030ELNS1_3gpuE2ELNS1_3repE0EEENS1_30default_config_static_selectorELNS0_4arch9wavefront6targetE1EEEvT1_
                                        ; -- End function
	.section	.AMDGPU.csdata,"",@progbits
; Kernel info:
; codeLenInByte = 0
; NumSgprs: 4
; NumVgprs: 0
; NumAgprs: 0
; TotalNumVgprs: 0
; ScratchSize: 0
; MemoryBound: 0
; FloatMode: 240
; IeeeMode: 1
; LDSByteSize: 0 bytes/workgroup (compile time only)
; SGPRBlocks: 0
; VGPRBlocks: 0
; NumSGPRsForWavesPerEU: 4
; NumVGPRsForWavesPerEU: 1
; AccumOffset: 4
; Occupancy: 8
; WaveLimiterHint : 0
; COMPUTE_PGM_RSRC2:SCRATCH_EN: 0
; COMPUTE_PGM_RSRC2:USER_SGPR: 6
; COMPUTE_PGM_RSRC2:TRAP_HANDLER: 0
; COMPUTE_PGM_RSRC2:TGID_X_EN: 1
; COMPUTE_PGM_RSRC2:TGID_Y_EN: 0
; COMPUTE_PGM_RSRC2:TGID_Z_EN: 0
; COMPUTE_PGM_RSRC2:TIDIG_COMP_CNT: 0
; COMPUTE_PGM_RSRC3_GFX90A:ACCUM_OFFSET: 0
; COMPUTE_PGM_RSRC3_GFX90A:TG_SPLIT: 0
	.section	.text._ZN7rocprim17ROCPRIM_400000_NS6detail17trampoline_kernelINS0_14default_configENS1_27scan_by_key_config_selectorIiiEEZZNS1_16scan_by_key_implILNS1_25lookback_scan_determinismE0ELb1ES3_N6thrust23THRUST_200600_302600_NS6detail15normal_iteratorINS9_10device_ptrIiEEEESE_SE_iNS9_4plusIvEENS9_8equal_toIvEEiEE10hipError_tPvRmT2_T3_T4_T5_mT6_T7_P12ihipStream_tbENKUlT_T0_E_clISt17integral_constantIbLb0EESY_IbLb1EEEEDaSU_SV_EUlSU_E_NS1_11comp_targetILNS1_3genE0ELNS1_11target_archE4294967295ELNS1_3gpuE0ELNS1_3repE0EEENS1_30default_config_static_selectorELNS0_4arch9wavefront6targetE1EEEvT1_,"axG",@progbits,_ZN7rocprim17ROCPRIM_400000_NS6detail17trampoline_kernelINS0_14default_configENS1_27scan_by_key_config_selectorIiiEEZZNS1_16scan_by_key_implILNS1_25lookback_scan_determinismE0ELb1ES3_N6thrust23THRUST_200600_302600_NS6detail15normal_iteratorINS9_10device_ptrIiEEEESE_SE_iNS9_4plusIvEENS9_8equal_toIvEEiEE10hipError_tPvRmT2_T3_T4_T5_mT6_T7_P12ihipStream_tbENKUlT_T0_E_clISt17integral_constantIbLb0EESY_IbLb1EEEEDaSU_SV_EUlSU_E_NS1_11comp_targetILNS1_3genE0ELNS1_11target_archE4294967295ELNS1_3gpuE0ELNS1_3repE0EEENS1_30default_config_static_selectorELNS0_4arch9wavefront6targetE1EEEvT1_,comdat
	.protected	_ZN7rocprim17ROCPRIM_400000_NS6detail17trampoline_kernelINS0_14default_configENS1_27scan_by_key_config_selectorIiiEEZZNS1_16scan_by_key_implILNS1_25lookback_scan_determinismE0ELb1ES3_N6thrust23THRUST_200600_302600_NS6detail15normal_iteratorINS9_10device_ptrIiEEEESE_SE_iNS9_4plusIvEENS9_8equal_toIvEEiEE10hipError_tPvRmT2_T3_T4_T5_mT6_T7_P12ihipStream_tbENKUlT_T0_E_clISt17integral_constantIbLb0EESY_IbLb1EEEEDaSU_SV_EUlSU_E_NS1_11comp_targetILNS1_3genE0ELNS1_11target_archE4294967295ELNS1_3gpuE0ELNS1_3repE0EEENS1_30default_config_static_selectorELNS0_4arch9wavefront6targetE1EEEvT1_ ; -- Begin function _ZN7rocprim17ROCPRIM_400000_NS6detail17trampoline_kernelINS0_14default_configENS1_27scan_by_key_config_selectorIiiEEZZNS1_16scan_by_key_implILNS1_25lookback_scan_determinismE0ELb1ES3_N6thrust23THRUST_200600_302600_NS6detail15normal_iteratorINS9_10device_ptrIiEEEESE_SE_iNS9_4plusIvEENS9_8equal_toIvEEiEE10hipError_tPvRmT2_T3_T4_T5_mT6_T7_P12ihipStream_tbENKUlT_T0_E_clISt17integral_constantIbLb0EESY_IbLb1EEEEDaSU_SV_EUlSU_E_NS1_11comp_targetILNS1_3genE0ELNS1_11target_archE4294967295ELNS1_3gpuE0ELNS1_3repE0EEENS1_30default_config_static_selectorELNS0_4arch9wavefront6targetE1EEEvT1_
	.globl	_ZN7rocprim17ROCPRIM_400000_NS6detail17trampoline_kernelINS0_14default_configENS1_27scan_by_key_config_selectorIiiEEZZNS1_16scan_by_key_implILNS1_25lookback_scan_determinismE0ELb1ES3_N6thrust23THRUST_200600_302600_NS6detail15normal_iteratorINS9_10device_ptrIiEEEESE_SE_iNS9_4plusIvEENS9_8equal_toIvEEiEE10hipError_tPvRmT2_T3_T4_T5_mT6_T7_P12ihipStream_tbENKUlT_T0_E_clISt17integral_constantIbLb0EESY_IbLb1EEEEDaSU_SV_EUlSU_E_NS1_11comp_targetILNS1_3genE0ELNS1_11target_archE4294967295ELNS1_3gpuE0ELNS1_3repE0EEENS1_30default_config_static_selectorELNS0_4arch9wavefront6targetE1EEEvT1_
	.p2align	8
	.type	_ZN7rocprim17ROCPRIM_400000_NS6detail17trampoline_kernelINS0_14default_configENS1_27scan_by_key_config_selectorIiiEEZZNS1_16scan_by_key_implILNS1_25lookback_scan_determinismE0ELb1ES3_N6thrust23THRUST_200600_302600_NS6detail15normal_iteratorINS9_10device_ptrIiEEEESE_SE_iNS9_4plusIvEENS9_8equal_toIvEEiEE10hipError_tPvRmT2_T3_T4_T5_mT6_T7_P12ihipStream_tbENKUlT_T0_E_clISt17integral_constantIbLb0EESY_IbLb1EEEEDaSU_SV_EUlSU_E_NS1_11comp_targetILNS1_3genE0ELNS1_11target_archE4294967295ELNS1_3gpuE0ELNS1_3repE0EEENS1_30default_config_static_selectorELNS0_4arch9wavefront6targetE1EEEvT1_,@function
_ZN7rocprim17ROCPRIM_400000_NS6detail17trampoline_kernelINS0_14default_configENS1_27scan_by_key_config_selectorIiiEEZZNS1_16scan_by_key_implILNS1_25lookback_scan_determinismE0ELb1ES3_N6thrust23THRUST_200600_302600_NS6detail15normal_iteratorINS9_10device_ptrIiEEEESE_SE_iNS9_4plusIvEENS9_8equal_toIvEEiEE10hipError_tPvRmT2_T3_T4_T5_mT6_T7_P12ihipStream_tbENKUlT_T0_E_clISt17integral_constantIbLb0EESY_IbLb1EEEEDaSU_SV_EUlSU_E_NS1_11comp_targetILNS1_3genE0ELNS1_11target_archE4294967295ELNS1_3gpuE0ELNS1_3repE0EEENS1_30default_config_static_selectorELNS0_4arch9wavefront6targetE1EEEvT1_: ; @_ZN7rocprim17ROCPRIM_400000_NS6detail17trampoline_kernelINS0_14default_configENS1_27scan_by_key_config_selectorIiiEEZZNS1_16scan_by_key_implILNS1_25lookback_scan_determinismE0ELb1ES3_N6thrust23THRUST_200600_302600_NS6detail15normal_iteratorINS9_10device_ptrIiEEEESE_SE_iNS9_4plusIvEENS9_8equal_toIvEEiEE10hipError_tPvRmT2_T3_T4_T5_mT6_T7_P12ihipStream_tbENKUlT_T0_E_clISt17integral_constantIbLb0EESY_IbLb1EEEEDaSU_SV_EUlSU_E_NS1_11comp_targetILNS1_3genE0ELNS1_11target_archE4294967295ELNS1_3gpuE0ELNS1_3repE0EEENS1_30default_config_static_selectorELNS0_4arch9wavefront6targetE1EEEvT1_
; %bb.0:
	.section	.rodata,"a",@progbits
	.p2align	6, 0x0
	.amdhsa_kernel _ZN7rocprim17ROCPRIM_400000_NS6detail17trampoline_kernelINS0_14default_configENS1_27scan_by_key_config_selectorIiiEEZZNS1_16scan_by_key_implILNS1_25lookback_scan_determinismE0ELb1ES3_N6thrust23THRUST_200600_302600_NS6detail15normal_iteratorINS9_10device_ptrIiEEEESE_SE_iNS9_4plusIvEENS9_8equal_toIvEEiEE10hipError_tPvRmT2_T3_T4_T5_mT6_T7_P12ihipStream_tbENKUlT_T0_E_clISt17integral_constantIbLb0EESY_IbLb1EEEEDaSU_SV_EUlSU_E_NS1_11comp_targetILNS1_3genE0ELNS1_11target_archE4294967295ELNS1_3gpuE0ELNS1_3repE0EEENS1_30default_config_static_selectorELNS0_4arch9wavefront6targetE1EEEvT1_
		.amdhsa_group_segment_fixed_size 0
		.amdhsa_private_segment_fixed_size 0
		.amdhsa_kernarg_size 112
		.amdhsa_user_sgpr_count 6
		.amdhsa_user_sgpr_private_segment_buffer 1
		.amdhsa_user_sgpr_dispatch_ptr 0
		.amdhsa_user_sgpr_queue_ptr 0
		.amdhsa_user_sgpr_kernarg_segment_ptr 1
		.amdhsa_user_sgpr_dispatch_id 0
		.amdhsa_user_sgpr_flat_scratch_init 0
		.amdhsa_user_sgpr_kernarg_preload_length 0
		.amdhsa_user_sgpr_kernarg_preload_offset 0
		.amdhsa_user_sgpr_private_segment_size 0
		.amdhsa_uses_dynamic_stack 0
		.amdhsa_system_sgpr_private_segment_wavefront_offset 0
		.amdhsa_system_sgpr_workgroup_id_x 1
		.amdhsa_system_sgpr_workgroup_id_y 0
		.amdhsa_system_sgpr_workgroup_id_z 0
		.amdhsa_system_sgpr_workgroup_info 0
		.amdhsa_system_vgpr_workitem_id 0
		.amdhsa_next_free_vgpr 1
		.amdhsa_next_free_sgpr 0
		.amdhsa_accum_offset 4
		.amdhsa_reserve_vcc 0
		.amdhsa_reserve_flat_scratch 0
		.amdhsa_float_round_mode_32 0
		.amdhsa_float_round_mode_16_64 0
		.amdhsa_float_denorm_mode_32 3
		.amdhsa_float_denorm_mode_16_64 3
		.amdhsa_dx10_clamp 1
		.amdhsa_ieee_mode 1
		.amdhsa_fp16_overflow 0
		.amdhsa_tg_split 0
		.amdhsa_exception_fp_ieee_invalid_op 0
		.amdhsa_exception_fp_denorm_src 0
		.amdhsa_exception_fp_ieee_div_zero 0
		.amdhsa_exception_fp_ieee_overflow 0
		.amdhsa_exception_fp_ieee_underflow 0
		.amdhsa_exception_fp_ieee_inexact 0
		.amdhsa_exception_int_div_zero 0
	.end_amdhsa_kernel
	.section	.text._ZN7rocprim17ROCPRIM_400000_NS6detail17trampoline_kernelINS0_14default_configENS1_27scan_by_key_config_selectorIiiEEZZNS1_16scan_by_key_implILNS1_25lookback_scan_determinismE0ELb1ES3_N6thrust23THRUST_200600_302600_NS6detail15normal_iteratorINS9_10device_ptrIiEEEESE_SE_iNS9_4plusIvEENS9_8equal_toIvEEiEE10hipError_tPvRmT2_T3_T4_T5_mT6_T7_P12ihipStream_tbENKUlT_T0_E_clISt17integral_constantIbLb0EESY_IbLb1EEEEDaSU_SV_EUlSU_E_NS1_11comp_targetILNS1_3genE0ELNS1_11target_archE4294967295ELNS1_3gpuE0ELNS1_3repE0EEENS1_30default_config_static_selectorELNS0_4arch9wavefront6targetE1EEEvT1_,"axG",@progbits,_ZN7rocprim17ROCPRIM_400000_NS6detail17trampoline_kernelINS0_14default_configENS1_27scan_by_key_config_selectorIiiEEZZNS1_16scan_by_key_implILNS1_25lookback_scan_determinismE0ELb1ES3_N6thrust23THRUST_200600_302600_NS6detail15normal_iteratorINS9_10device_ptrIiEEEESE_SE_iNS9_4plusIvEENS9_8equal_toIvEEiEE10hipError_tPvRmT2_T3_T4_T5_mT6_T7_P12ihipStream_tbENKUlT_T0_E_clISt17integral_constantIbLb0EESY_IbLb1EEEEDaSU_SV_EUlSU_E_NS1_11comp_targetILNS1_3genE0ELNS1_11target_archE4294967295ELNS1_3gpuE0ELNS1_3repE0EEENS1_30default_config_static_selectorELNS0_4arch9wavefront6targetE1EEEvT1_,comdat
.Lfunc_end488:
	.size	_ZN7rocprim17ROCPRIM_400000_NS6detail17trampoline_kernelINS0_14default_configENS1_27scan_by_key_config_selectorIiiEEZZNS1_16scan_by_key_implILNS1_25lookback_scan_determinismE0ELb1ES3_N6thrust23THRUST_200600_302600_NS6detail15normal_iteratorINS9_10device_ptrIiEEEESE_SE_iNS9_4plusIvEENS9_8equal_toIvEEiEE10hipError_tPvRmT2_T3_T4_T5_mT6_T7_P12ihipStream_tbENKUlT_T0_E_clISt17integral_constantIbLb0EESY_IbLb1EEEEDaSU_SV_EUlSU_E_NS1_11comp_targetILNS1_3genE0ELNS1_11target_archE4294967295ELNS1_3gpuE0ELNS1_3repE0EEENS1_30default_config_static_selectorELNS0_4arch9wavefront6targetE1EEEvT1_, .Lfunc_end488-_ZN7rocprim17ROCPRIM_400000_NS6detail17trampoline_kernelINS0_14default_configENS1_27scan_by_key_config_selectorIiiEEZZNS1_16scan_by_key_implILNS1_25lookback_scan_determinismE0ELb1ES3_N6thrust23THRUST_200600_302600_NS6detail15normal_iteratorINS9_10device_ptrIiEEEESE_SE_iNS9_4plusIvEENS9_8equal_toIvEEiEE10hipError_tPvRmT2_T3_T4_T5_mT6_T7_P12ihipStream_tbENKUlT_T0_E_clISt17integral_constantIbLb0EESY_IbLb1EEEEDaSU_SV_EUlSU_E_NS1_11comp_targetILNS1_3genE0ELNS1_11target_archE4294967295ELNS1_3gpuE0ELNS1_3repE0EEENS1_30default_config_static_selectorELNS0_4arch9wavefront6targetE1EEEvT1_
                                        ; -- End function
	.section	.AMDGPU.csdata,"",@progbits
; Kernel info:
; codeLenInByte = 0
; NumSgprs: 4
; NumVgprs: 0
; NumAgprs: 0
; TotalNumVgprs: 0
; ScratchSize: 0
; MemoryBound: 0
; FloatMode: 240
; IeeeMode: 1
; LDSByteSize: 0 bytes/workgroup (compile time only)
; SGPRBlocks: 0
; VGPRBlocks: 0
; NumSGPRsForWavesPerEU: 4
; NumVGPRsForWavesPerEU: 1
; AccumOffset: 4
; Occupancy: 8
; WaveLimiterHint : 0
; COMPUTE_PGM_RSRC2:SCRATCH_EN: 0
; COMPUTE_PGM_RSRC2:USER_SGPR: 6
; COMPUTE_PGM_RSRC2:TRAP_HANDLER: 0
; COMPUTE_PGM_RSRC2:TGID_X_EN: 1
; COMPUTE_PGM_RSRC2:TGID_Y_EN: 0
; COMPUTE_PGM_RSRC2:TGID_Z_EN: 0
; COMPUTE_PGM_RSRC2:TIDIG_COMP_CNT: 0
; COMPUTE_PGM_RSRC3_GFX90A:ACCUM_OFFSET: 0
; COMPUTE_PGM_RSRC3_GFX90A:TG_SPLIT: 0
	.section	.text._ZN7rocprim17ROCPRIM_400000_NS6detail17trampoline_kernelINS0_14default_configENS1_27scan_by_key_config_selectorIiiEEZZNS1_16scan_by_key_implILNS1_25lookback_scan_determinismE0ELb1ES3_N6thrust23THRUST_200600_302600_NS6detail15normal_iteratorINS9_10device_ptrIiEEEESE_SE_iNS9_4plusIvEENS9_8equal_toIvEEiEE10hipError_tPvRmT2_T3_T4_T5_mT6_T7_P12ihipStream_tbENKUlT_T0_E_clISt17integral_constantIbLb0EESY_IbLb1EEEEDaSU_SV_EUlSU_E_NS1_11comp_targetILNS1_3genE10ELNS1_11target_archE1201ELNS1_3gpuE5ELNS1_3repE0EEENS1_30default_config_static_selectorELNS0_4arch9wavefront6targetE1EEEvT1_,"axG",@progbits,_ZN7rocprim17ROCPRIM_400000_NS6detail17trampoline_kernelINS0_14default_configENS1_27scan_by_key_config_selectorIiiEEZZNS1_16scan_by_key_implILNS1_25lookback_scan_determinismE0ELb1ES3_N6thrust23THRUST_200600_302600_NS6detail15normal_iteratorINS9_10device_ptrIiEEEESE_SE_iNS9_4plusIvEENS9_8equal_toIvEEiEE10hipError_tPvRmT2_T3_T4_T5_mT6_T7_P12ihipStream_tbENKUlT_T0_E_clISt17integral_constantIbLb0EESY_IbLb1EEEEDaSU_SV_EUlSU_E_NS1_11comp_targetILNS1_3genE10ELNS1_11target_archE1201ELNS1_3gpuE5ELNS1_3repE0EEENS1_30default_config_static_selectorELNS0_4arch9wavefront6targetE1EEEvT1_,comdat
	.protected	_ZN7rocprim17ROCPRIM_400000_NS6detail17trampoline_kernelINS0_14default_configENS1_27scan_by_key_config_selectorIiiEEZZNS1_16scan_by_key_implILNS1_25lookback_scan_determinismE0ELb1ES3_N6thrust23THRUST_200600_302600_NS6detail15normal_iteratorINS9_10device_ptrIiEEEESE_SE_iNS9_4plusIvEENS9_8equal_toIvEEiEE10hipError_tPvRmT2_T3_T4_T5_mT6_T7_P12ihipStream_tbENKUlT_T0_E_clISt17integral_constantIbLb0EESY_IbLb1EEEEDaSU_SV_EUlSU_E_NS1_11comp_targetILNS1_3genE10ELNS1_11target_archE1201ELNS1_3gpuE5ELNS1_3repE0EEENS1_30default_config_static_selectorELNS0_4arch9wavefront6targetE1EEEvT1_ ; -- Begin function _ZN7rocprim17ROCPRIM_400000_NS6detail17trampoline_kernelINS0_14default_configENS1_27scan_by_key_config_selectorIiiEEZZNS1_16scan_by_key_implILNS1_25lookback_scan_determinismE0ELb1ES3_N6thrust23THRUST_200600_302600_NS6detail15normal_iteratorINS9_10device_ptrIiEEEESE_SE_iNS9_4plusIvEENS9_8equal_toIvEEiEE10hipError_tPvRmT2_T3_T4_T5_mT6_T7_P12ihipStream_tbENKUlT_T0_E_clISt17integral_constantIbLb0EESY_IbLb1EEEEDaSU_SV_EUlSU_E_NS1_11comp_targetILNS1_3genE10ELNS1_11target_archE1201ELNS1_3gpuE5ELNS1_3repE0EEENS1_30default_config_static_selectorELNS0_4arch9wavefront6targetE1EEEvT1_
	.globl	_ZN7rocprim17ROCPRIM_400000_NS6detail17trampoline_kernelINS0_14default_configENS1_27scan_by_key_config_selectorIiiEEZZNS1_16scan_by_key_implILNS1_25lookback_scan_determinismE0ELb1ES3_N6thrust23THRUST_200600_302600_NS6detail15normal_iteratorINS9_10device_ptrIiEEEESE_SE_iNS9_4plusIvEENS9_8equal_toIvEEiEE10hipError_tPvRmT2_T3_T4_T5_mT6_T7_P12ihipStream_tbENKUlT_T0_E_clISt17integral_constantIbLb0EESY_IbLb1EEEEDaSU_SV_EUlSU_E_NS1_11comp_targetILNS1_3genE10ELNS1_11target_archE1201ELNS1_3gpuE5ELNS1_3repE0EEENS1_30default_config_static_selectorELNS0_4arch9wavefront6targetE1EEEvT1_
	.p2align	8
	.type	_ZN7rocprim17ROCPRIM_400000_NS6detail17trampoline_kernelINS0_14default_configENS1_27scan_by_key_config_selectorIiiEEZZNS1_16scan_by_key_implILNS1_25lookback_scan_determinismE0ELb1ES3_N6thrust23THRUST_200600_302600_NS6detail15normal_iteratorINS9_10device_ptrIiEEEESE_SE_iNS9_4plusIvEENS9_8equal_toIvEEiEE10hipError_tPvRmT2_T3_T4_T5_mT6_T7_P12ihipStream_tbENKUlT_T0_E_clISt17integral_constantIbLb0EESY_IbLb1EEEEDaSU_SV_EUlSU_E_NS1_11comp_targetILNS1_3genE10ELNS1_11target_archE1201ELNS1_3gpuE5ELNS1_3repE0EEENS1_30default_config_static_selectorELNS0_4arch9wavefront6targetE1EEEvT1_,@function
_ZN7rocprim17ROCPRIM_400000_NS6detail17trampoline_kernelINS0_14default_configENS1_27scan_by_key_config_selectorIiiEEZZNS1_16scan_by_key_implILNS1_25lookback_scan_determinismE0ELb1ES3_N6thrust23THRUST_200600_302600_NS6detail15normal_iteratorINS9_10device_ptrIiEEEESE_SE_iNS9_4plusIvEENS9_8equal_toIvEEiEE10hipError_tPvRmT2_T3_T4_T5_mT6_T7_P12ihipStream_tbENKUlT_T0_E_clISt17integral_constantIbLb0EESY_IbLb1EEEEDaSU_SV_EUlSU_E_NS1_11comp_targetILNS1_3genE10ELNS1_11target_archE1201ELNS1_3gpuE5ELNS1_3repE0EEENS1_30default_config_static_selectorELNS0_4arch9wavefront6targetE1EEEvT1_: ; @_ZN7rocprim17ROCPRIM_400000_NS6detail17trampoline_kernelINS0_14default_configENS1_27scan_by_key_config_selectorIiiEEZZNS1_16scan_by_key_implILNS1_25lookback_scan_determinismE0ELb1ES3_N6thrust23THRUST_200600_302600_NS6detail15normal_iteratorINS9_10device_ptrIiEEEESE_SE_iNS9_4plusIvEENS9_8equal_toIvEEiEE10hipError_tPvRmT2_T3_T4_T5_mT6_T7_P12ihipStream_tbENKUlT_T0_E_clISt17integral_constantIbLb0EESY_IbLb1EEEEDaSU_SV_EUlSU_E_NS1_11comp_targetILNS1_3genE10ELNS1_11target_archE1201ELNS1_3gpuE5ELNS1_3repE0EEENS1_30default_config_static_selectorELNS0_4arch9wavefront6targetE1EEEvT1_
; %bb.0:
	.section	.rodata,"a",@progbits
	.p2align	6, 0x0
	.amdhsa_kernel _ZN7rocprim17ROCPRIM_400000_NS6detail17trampoline_kernelINS0_14default_configENS1_27scan_by_key_config_selectorIiiEEZZNS1_16scan_by_key_implILNS1_25lookback_scan_determinismE0ELb1ES3_N6thrust23THRUST_200600_302600_NS6detail15normal_iteratorINS9_10device_ptrIiEEEESE_SE_iNS9_4plusIvEENS9_8equal_toIvEEiEE10hipError_tPvRmT2_T3_T4_T5_mT6_T7_P12ihipStream_tbENKUlT_T0_E_clISt17integral_constantIbLb0EESY_IbLb1EEEEDaSU_SV_EUlSU_E_NS1_11comp_targetILNS1_3genE10ELNS1_11target_archE1201ELNS1_3gpuE5ELNS1_3repE0EEENS1_30default_config_static_selectorELNS0_4arch9wavefront6targetE1EEEvT1_
		.amdhsa_group_segment_fixed_size 0
		.amdhsa_private_segment_fixed_size 0
		.amdhsa_kernarg_size 112
		.amdhsa_user_sgpr_count 6
		.amdhsa_user_sgpr_private_segment_buffer 1
		.amdhsa_user_sgpr_dispatch_ptr 0
		.amdhsa_user_sgpr_queue_ptr 0
		.amdhsa_user_sgpr_kernarg_segment_ptr 1
		.amdhsa_user_sgpr_dispatch_id 0
		.amdhsa_user_sgpr_flat_scratch_init 0
		.amdhsa_user_sgpr_kernarg_preload_length 0
		.amdhsa_user_sgpr_kernarg_preload_offset 0
		.amdhsa_user_sgpr_private_segment_size 0
		.amdhsa_uses_dynamic_stack 0
		.amdhsa_system_sgpr_private_segment_wavefront_offset 0
		.amdhsa_system_sgpr_workgroup_id_x 1
		.amdhsa_system_sgpr_workgroup_id_y 0
		.amdhsa_system_sgpr_workgroup_id_z 0
		.amdhsa_system_sgpr_workgroup_info 0
		.amdhsa_system_vgpr_workitem_id 0
		.amdhsa_next_free_vgpr 1
		.amdhsa_next_free_sgpr 0
		.amdhsa_accum_offset 4
		.amdhsa_reserve_vcc 0
		.amdhsa_reserve_flat_scratch 0
		.amdhsa_float_round_mode_32 0
		.amdhsa_float_round_mode_16_64 0
		.amdhsa_float_denorm_mode_32 3
		.amdhsa_float_denorm_mode_16_64 3
		.amdhsa_dx10_clamp 1
		.amdhsa_ieee_mode 1
		.amdhsa_fp16_overflow 0
		.amdhsa_tg_split 0
		.amdhsa_exception_fp_ieee_invalid_op 0
		.amdhsa_exception_fp_denorm_src 0
		.amdhsa_exception_fp_ieee_div_zero 0
		.amdhsa_exception_fp_ieee_overflow 0
		.amdhsa_exception_fp_ieee_underflow 0
		.amdhsa_exception_fp_ieee_inexact 0
		.amdhsa_exception_int_div_zero 0
	.end_amdhsa_kernel
	.section	.text._ZN7rocprim17ROCPRIM_400000_NS6detail17trampoline_kernelINS0_14default_configENS1_27scan_by_key_config_selectorIiiEEZZNS1_16scan_by_key_implILNS1_25lookback_scan_determinismE0ELb1ES3_N6thrust23THRUST_200600_302600_NS6detail15normal_iteratorINS9_10device_ptrIiEEEESE_SE_iNS9_4plusIvEENS9_8equal_toIvEEiEE10hipError_tPvRmT2_T3_T4_T5_mT6_T7_P12ihipStream_tbENKUlT_T0_E_clISt17integral_constantIbLb0EESY_IbLb1EEEEDaSU_SV_EUlSU_E_NS1_11comp_targetILNS1_3genE10ELNS1_11target_archE1201ELNS1_3gpuE5ELNS1_3repE0EEENS1_30default_config_static_selectorELNS0_4arch9wavefront6targetE1EEEvT1_,"axG",@progbits,_ZN7rocprim17ROCPRIM_400000_NS6detail17trampoline_kernelINS0_14default_configENS1_27scan_by_key_config_selectorIiiEEZZNS1_16scan_by_key_implILNS1_25lookback_scan_determinismE0ELb1ES3_N6thrust23THRUST_200600_302600_NS6detail15normal_iteratorINS9_10device_ptrIiEEEESE_SE_iNS9_4plusIvEENS9_8equal_toIvEEiEE10hipError_tPvRmT2_T3_T4_T5_mT6_T7_P12ihipStream_tbENKUlT_T0_E_clISt17integral_constantIbLb0EESY_IbLb1EEEEDaSU_SV_EUlSU_E_NS1_11comp_targetILNS1_3genE10ELNS1_11target_archE1201ELNS1_3gpuE5ELNS1_3repE0EEENS1_30default_config_static_selectorELNS0_4arch9wavefront6targetE1EEEvT1_,comdat
.Lfunc_end489:
	.size	_ZN7rocprim17ROCPRIM_400000_NS6detail17trampoline_kernelINS0_14default_configENS1_27scan_by_key_config_selectorIiiEEZZNS1_16scan_by_key_implILNS1_25lookback_scan_determinismE0ELb1ES3_N6thrust23THRUST_200600_302600_NS6detail15normal_iteratorINS9_10device_ptrIiEEEESE_SE_iNS9_4plusIvEENS9_8equal_toIvEEiEE10hipError_tPvRmT2_T3_T4_T5_mT6_T7_P12ihipStream_tbENKUlT_T0_E_clISt17integral_constantIbLb0EESY_IbLb1EEEEDaSU_SV_EUlSU_E_NS1_11comp_targetILNS1_3genE10ELNS1_11target_archE1201ELNS1_3gpuE5ELNS1_3repE0EEENS1_30default_config_static_selectorELNS0_4arch9wavefront6targetE1EEEvT1_, .Lfunc_end489-_ZN7rocprim17ROCPRIM_400000_NS6detail17trampoline_kernelINS0_14default_configENS1_27scan_by_key_config_selectorIiiEEZZNS1_16scan_by_key_implILNS1_25lookback_scan_determinismE0ELb1ES3_N6thrust23THRUST_200600_302600_NS6detail15normal_iteratorINS9_10device_ptrIiEEEESE_SE_iNS9_4plusIvEENS9_8equal_toIvEEiEE10hipError_tPvRmT2_T3_T4_T5_mT6_T7_P12ihipStream_tbENKUlT_T0_E_clISt17integral_constantIbLb0EESY_IbLb1EEEEDaSU_SV_EUlSU_E_NS1_11comp_targetILNS1_3genE10ELNS1_11target_archE1201ELNS1_3gpuE5ELNS1_3repE0EEENS1_30default_config_static_selectorELNS0_4arch9wavefront6targetE1EEEvT1_
                                        ; -- End function
	.section	.AMDGPU.csdata,"",@progbits
; Kernel info:
; codeLenInByte = 0
; NumSgprs: 4
; NumVgprs: 0
; NumAgprs: 0
; TotalNumVgprs: 0
; ScratchSize: 0
; MemoryBound: 0
; FloatMode: 240
; IeeeMode: 1
; LDSByteSize: 0 bytes/workgroup (compile time only)
; SGPRBlocks: 0
; VGPRBlocks: 0
; NumSGPRsForWavesPerEU: 4
; NumVGPRsForWavesPerEU: 1
; AccumOffset: 4
; Occupancy: 8
; WaveLimiterHint : 0
; COMPUTE_PGM_RSRC2:SCRATCH_EN: 0
; COMPUTE_PGM_RSRC2:USER_SGPR: 6
; COMPUTE_PGM_RSRC2:TRAP_HANDLER: 0
; COMPUTE_PGM_RSRC2:TGID_X_EN: 1
; COMPUTE_PGM_RSRC2:TGID_Y_EN: 0
; COMPUTE_PGM_RSRC2:TGID_Z_EN: 0
; COMPUTE_PGM_RSRC2:TIDIG_COMP_CNT: 0
; COMPUTE_PGM_RSRC3_GFX90A:ACCUM_OFFSET: 0
; COMPUTE_PGM_RSRC3_GFX90A:TG_SPLIT: 0
	.section	.text._ZN7rocprim17ROCPRIM_400000_NS6detail17trampoline_kernelINS0_14default_configENS1_27scan_by_key_config_selectorIiiEEZZNS1_16scan_by_key_implILNS1_25lookback_scan_determinismE0ELb1ES3_N6thrust23THRUST_200600_302600_NS6detail15normal_iteratorINS9_10device_ptrIiEEEESE_SE_iNS9_4plusIvEENS9_8equal_toIvEEiEE10hipError_tPvRmT2_T3_T4_T5_mT6_T7_P12ihipStream_tbENKUlT_T0_E_clISt17integral_constantIbLb0EESY_IbLb1EEEEDaSU_SV_EUlSU_E_NS1_11comp_targetILNS1_3genE5ELNS1_11target_archE942ELNS1_3gpuE9ELNS1_3repE0EEENS1_30default_config_static_selectorELNS0_4arch9wavefront6targetE1EEEvT1_,"axG",@progbits,_ZN7rocprim17ROCPRIM_400000_NS6detail17trampoline_kernelINS0_14default_configENS1_27scan_by_key_config_selectorIiiEEZZNS1_16scan_by_key_implILNS1_25lookback_scan_determinismE0ELb1ES3_N6thrust23THRUST_200600_302600_NS6detail15normal_iteratorINS9_10device_ptrIiEEEESE_SE_iNS9_4plusIvEENS9_8equal_toIvEEiEE10hipError_tPvRmT2_T3_T4_T5_mT6_T7_P12ihipStream_tbENKUlT_T0_E_clISt17integral_constantIbLb0EESY_IbLb1EEEEDaSU_SV_EUlSU_E_NS1_11comp_targetILNS1_3genE5ELNS1_11target_archE942ELNS1_3gpuE9ELNS1_3repE0EEENS1_30default_config_static_selectorELNS0_4arch9wavefront6targetE1EEEvT1_,comdat
	.protected	_ZN7rocprim17ROCPRIM_400000_NS6detail17trampoline_kernelINS0_14default_configENS1_27scan_by_key_config_selectorIiiEEZZNS1_16scan_by_key_implILNS1_25lookback_scan_determinismE0ELb1ES3_N6thrust23THRUST_200600_302600_NS6detail15normal_iteratorINS9_10device_ptrIiEEEESE_SE_iNS9_4plusIvEENS9_8equal_toIvEEiEE10hipError_tPvRmT2_T3_T4_T5_mT6_T7_P12ihipStream_tbENKUlT_T0_E_clISt17integral_constantIbLb0EESY_IbLb1EEEEDaSU_SV_EUlSU_E_NS1_11comp_targetILNS1_3genE5ELNS1_11target_archE942ELNS1_3gpuE9ELNS1_3repE0EEENS1_30default_config_static_selectorELNS0_4arch9wavefront6targetE1EEEvT1_ ; -- Begin function _ZN7rocprim17ROCPRIM_400000_NS6detail17trampoline_kernelINS0_14default_configENS1_27scan_by_key_config_selectorIiiEEZZNS1_16scan_by_key_implILNS1_25lookback_scan_determinismE0ELb1ES3_N6thrust23THRUST_200600_302600_NS6detail15normal_iteratorINS9_10device_ptrIiEEEESE_SE_iNS9_4plusIvEENS9_8equal_toIvEEiEE10hipError_tPvRmT2_T3_T4_T5_mT6_T7_P12ihipStream_tbENKUlT_T0_E_clISt17integral_constantIbLb0EESY_IbLb1EEEEDaSU_SV_EUlSU_E_NS1_11comp_targetILNS1_3genE5ELNS1_11target_archE942ELNS1_3gpuE9ELNS1_3repE0EEENS1_30default_config_static_selectorELNS0_4arch9wavefront6targetE1EEEvT1_
	.globl	_ZN7rocprim17ROCPRIM_400000_NS6detail17trampoline_kernelINS0_14default_configENS1_27scan_by_key_config_selectorIiiEEZZNS1_16scan_by_key_implILNS1_25lookback_scan_determinismE0ELb1ES3_N6thrust23THRUST_200600_302600_NS6detail15normal_iteratorINS9_10device_ptrIiEEEESE_SE_iNS9_4plusIvEENS9_8equal_toIvEEiEE10hipError_tPvRmT2_T3_T4_T5_mT6_T7_P12ihipStream_tbENKUlT_T0_E_clISt17integral_constantIbLb0EESY_IbLb1EEEEDaSU_SV_EUlSU_E_NS1_11comp_targetILNS1_3genE5ELNS1_11target_archE942ELNS1_3gpuE9ELNS1_3repE0EEENS1_30default_config_static_selectorELNS0_4arch9wavefront6targetE1EEEvT1_
	.p2align	8
	.type	_ZN7rocprim17ROCPRIM_400000_NS6detail17trampoline_kernelINS0_14default_configENS1_27scan_by_key_config_selectorIiiEEZZNS1_16scan_by_key_implILNS1_25lookback_scan_determinismE0ELb1ES3_N6thrust23THRUST_200600_302600_NS6detail15normal_iteratorINS9_10device_ptrIiEEEESE_SE_iNS9_4plusIvEENS9_8equal_toIvEEiEE10hipError_tPvRmT2_T3_T4_T5_mT6_T7_P12ihipStream_tbENKUlT_T0_E_clISt17integral_constantIbLb0EESY_IbLb1EEEEDaSU_SV_EUlSU_E_NS1_11comp_targetILNS1_3genE5ELNS1_11target_archE942ELNS1_3gpuE9ELNS1_3repE0EEENS1_30default_config_static_selectorELNS0_4arch9wavefront6targetE1EEEvT1_,@function
_ZN7rocprim17ROCPRIM_400000_NS6detail17trampoline_kernelINS0_14default_configENS1_27scan_by_key_config_selectorIiiEEZZNS1_16scan_by_key_implILNS1_25lookback_scan_determinismE0ELb1ES3_N6thrust23THRUST_200600_302600_NS6detail15normal_iteratorINS9_10device_ptrIiEEEESE_SE_iNS9_4plusIvEENS9_8equal_toIvEEiEE10hipError_tPvRmT2_T3_T4_T5_mT6_T7_P12ihipStream_tbENKUlT_T0_E_clISt17integral_constantIbLb0EESY_IbLb1EEEEDaSU_SV_EUlSU_E_NS1_11comp_targetILNS1_3genE5ELNS1_11target_archE942ELNS1_3gpuE9ELNS1_3repE0EEENS1_30default_config_static_selectorELNS0_4arch9wavefront6targetE1EEEvT1_: ; @_ZN7rocprim17ROCPRIM_400000_NS6detail17trampoline_kernelINS0_14default_configENS1_27scan_by_key_config_selectorIiiEEZZNS1_16scan_by_key_implILNS1_25lookback_scan_determinismE0ELb1ES3_N6thrust23THRUST_200600_302600_NS6detail15normal_iteratorINS9_10device_ptrIiEEEESE_SE_iNS9_4plusIvEENS9_8equal_toIvEEiEE10hipError_tPvRmT2_T3_T4_T5_mT6_T7_P12ihipStream_tbENKUlT_T0_E_clISt17integral_constantIbLb0EESY_IbLb1EEEEDaSU_SV_EUlSU_E_NS1_11comp_targetILNS1_3genE5ELNS1_11target_archE942ELNS1_3gpuE9ELNS1_3repE0EEENS1_30default_config_static_selectorELNS0_4arch9wavefront6targetE1EEEvT1_
; %bb.0:
	.section	.rodata,"a",@progbits
	.p2align	6, 0x0
	.amdhsa_kernel _ZN7rocprim17ROCPRIM_400000_NS6detail17trampoline_kernelINS0_14default_configENS1_27scan_by_key_config_selectorIiiEEZZNS1_16scan_by_key_implILNS1_25lookback_scan_determinismE0ELb1ES3_N6thrust23THRUST_200600_302600_NS6detail15normal_iteratorINS9_10device_ptrIiEEEESE_SE_iNS9_4plusIvEENS9_8equal_toIvEEiEE10hipError_tPvRmT2_T3_T4_T5_mT6_T7_P12ihipStream_tbENKUlT_T0_E_clISt17integral_constantIbLb0EESY_IbLb1EEEEDaSU_SV_EUlSU_E_NS1_11comp_targetILNS1_3genE5ELNS1_11target_archE942ELNS1_3gpuE9ELNS1_3repE0EEENS1_30default_config_static_selectorELNS0_4arch9wavefront6targetE1EEEvT1_
		.amdhsa_group_segment_fixed_size 0
		.amdhsa_private_segment_fixed_size 0
		.amdhsa_kernarg_size 112
		.amdhsa_user_sgpr_count 6
		.amdhsa_user_sgpr_private_segment_buffer 1
		.amdhsa_user_sgpr_dispatch_ptr 0
		.amdhsa_user_sgpr_queue_ptr 0
		.amdhsa_user_sgpr_kernarg_segment_ptr 1
		.amdhsa_user_sgpr_dispatch_id 0
		.amdhsa_user_sgpr_flat_scratch_init 0
		.amdhsa_user_sgpr_kernarg_preload_length 0
		.amdhsa_user_sgpr_kernarg_preload_offset 0
		.amdhsa_user_sgpr_private_segment_size 0
		.amdhsa_uses_dynamic_stack 0
		.amdhsa_system_sgpr_private_segment_wavefront_offset 0
		.amdhsa_system_sgpr_workgroup_id_x 1
		.amdhsa_system_sgpr_workgroup_id_y 0
		.amdhsa_system_sgpr_workgroup_id_z 0
		.amdhsa_system_sgpr_workgroup_info 0
		.amdhsa_system_vgpr_workitem_id 0
		.amdhsa_next_free_vgpr 1
		.amdhsa_next_free_sgpr 0
		.amdhsa_accum_offset 4
		.amdhsa_reserve_vcc 0
		.amdhsa_reserve_flat_scratch 0
		.amdhsa_float_round_mode_32 0
		.amdhsa_float_round_mode_16_64 0
		.amdhsa_float_denorm_mode_32 3
		.amdhsa_float_denorm_mode_16_64 3
		.amdhsa_dx10_clamp 1
		.amdhsa_ieee_mode 1
		.amdhsa_fp16_overflow 0
		.amdhsa_tg_split 0
		.amdhsa_exception_fp_ieee_invalid_op 0
		.amdhsa_exception_fp_denorm_src 0
		.amdhsa_exception_fp_ieee_div_zero 0
		.amdhsa_exception_fp_ieee_overflow 0
		.amdhsa_exception_fp_ieee_underflow 0
		.amdhsa_exception_fp_ieee_inexact 0
		.amdhsa_exception_int_div_zero 0
	.end_amdhsa_kernel
	.section	.text._ZN7rocprim17ROCPRIM_400000_NS6detail17trampoline_kernelINS0_14default_configENS1_27scan_by_key_config_selectorIiiEEZZNS1_16scan_by_key_implILNS1_25lookback_scan_determinismE0ELb1ES3_N6thrust23THRUST_200600_302600_NS6detail15normal_iteratorINS9_10device_ptrIiEEEESE_SE_iNS9_4plusIvEENS9_8equal_toIvEEiEE10hipError_tPvRmT2_T3_T4_T5_mT6_T7_P12ihipStream_tbENKUlT_T0_E_clISt17integral_constantIbLb0EESY_IbLb1EEEEDaSU_SV_EUlSU_E_NS1_11comp_targetILNS1_3genE5ELNS1_11target_archE942ELNS1_3gpuE9ELNS1_3repE0EEENS1_30default_config_static_selectorELNS0_4arch9wavefront6targetE1EEEvT1_,"axG",@progbits,_ZN7rocprim17ROCPRIM_400000_NS6detail17trampoline_kernelINS0_14default_configENS1_27scan_by_key_config_selectorIiiEEZZNS1_16scan_by_key_implILNS1_25lookback_scan_determinismE0ELb1ES3_N6thrust23THRUST_200600_302600_NS6detail15normal_iteratorINS9_10device_ptrIiEEEESE_SE_iNS9_4plusIvEENS9_8equal_toIvEEiEE10hipError_tPvRmT2_T3_T4_T5_mT6_T7_P12ihipStream_tbENKUlT_T0_E_clISt17integral_constantIbLb0EESY_IbLb1EEEEDaSU_SV_EUlSU_E_NS1_11comp_targetILNS1_3genE5ELNS1_11target_archE942ELNS1_3gpuE9ELNS1_3repE0EEENS1_30default_config_static_selectorELNS0_4arch9wavefront6targetE1EEEvT1_,comdat
.Lfunc_end490:
	.size	_ZN7rocprim17ROCPRIM_400000_NS6detail17trampoline_kernelINS0_14default_configENS1_27scan_by_key_config_selectorIiiEEZZNS1_16scan_by_key_implILNS1_25lookback_scan_determinismE0ELb1ES3_N6thrust23THRUST_200600_302600_NS6detail15normal_iteratorINS9_10device_ptrIiEEEESE_SE_iNS9_4plusIvEENS9_8equal_toIvEEiEE10hipError_tPvRmT2_T3_T4_T5_mT6_T7_P12ihipStream_tbENKUlT_T0_E_clISt17integral_constantIbLb0EESY_IbLb1EEEEDaSU_SV_EUlSU_E_NS1_11comp_targetILNS1_3genE5ELNS1_11target_archE942ELNS1_3gpuE9ELNS1_3repE0EEENS1_30default_config_static_selectorELNS0_4arch9wavefront6targetE1EEEvT1_, .Lfunc_end490-_ZN7rocprim17ROCPRIM_400000_NS6detail17trampoline_kernelINS0_14default_configENS1_27scan_by_key_config_selectorIiiEEZZNS1_16scan_by_key_implILNS1_25lookback_scan_determinismE0ELb1ES3_N6thrust23THRUST_200600_302600_NS6detail15normal_iteratorINS9_10device_ptrIiEEEESE_SE_iNS9_4plusIvEENS9_8equal_toIvEEiEE10hipError_tPvRmT2_T3_T4_T5_mT6_T7_P12ihipStream_tbENKUlT_T0_E_clISt17integral_constantIbLb0EESY_IbLb1EEEEDaSU_SV_EUlSU_E_NS1_11comp_targetILNS1_3genE5ELNS1_11target_archE942ELNS1_3gpuE9ELNS1_3repE0EEENS1_30default_config_static_selectorELNS0_4arch9wavefront6targetE1EEEvT1_
                                        ; -- End function
	.section	.AMDGPU.csdata,"",@progbits
; Kernel info:
; codeLenInByte = 0
; NumSgprs: 4
; NumVgprs: 0
; NumAgprs: 0
; TotalNumVgprs: 0
; ScratchSize: 0
; MemoryBound: 0
; FloatMode: 240
; IeeeMode: 1
; LDSByteSize: 0 bytes/workgroup (compile time only)
; SGPRBlocks: 0
; VGPRBlocks: 0
; NumSGPRsForWavesPerEU: 4
; NumVGPRsForWavesPerEU: 1
; AccumOffset: 4
; Occupancy: 8
; WaveLimiterHint : 0
; COMPUTE_PGM_RSRC2:SCRATCH_EN: 0
; COMPUTE_PGM_RSRC2:USER_SGPR: 6
; COMPUTE_PGM_RSRC2:TRAP_HANDLER: 0
; COMPUTE_PGM_RSRC2:TGID_X_EN: 1
; COMPUTE_PGM_RSRC2:TGID_Y_EN: 0
; COMPUTE_PGM_RSRC2:TGID_Z_EN: 0
; COMPUTE_PGM_RSRC2:TIDIG_COMP_CNT: 0
; COMPUTE_PGM_RSRC3_GFX90A:ACCUM_OFFSET: 0
; COMPUTE_PGM_RSRC3_GFX90A:TG_SPLIT: 0
	.section	.text._ZN7rocprim17ROCPRIM_400000_NS6detail17trampoline_kernelINS0_14default_configENS1_27scan_by_key_config_selectorIiiEEZZNS1_16scan_by_key_implILNS1_25lookback_scan_determinismE0ELb1ES3_N6thrust23THRUST_200600_302600_NS6detail15normal_iteratorINS9_10device_ptrIiEEEESE_SE_iNS9_4plusIvEENS9_8equal_toIvEEiEE10hipError_tPvRmT2_T3_T4_T5_mT6_T7_P12ihipStream_tbENKUlT_T0_E_clISt17integral_constantIbLb0EESY_IbLb1EEEEDaSU_SV_EUlSU_E_NS1_11comp_targetILNS1_3genE4ELNS1_11target_archE910ELNS1_3gpuE8ELNS1_3repE0EEENS1_30default_config_static_selectorELNS0_4arch9wavefront6targetE1EEEvT1_,"axG",@progbits,_ZN7rocprim17ROCPRIM_400000_NS6detail17trampoline_kernelINS0_14default_configENS1_27scan_by_key_config_selectorIiiEEZZNS1_16scan_by_key_implILNS1_25lookback_scan_determinismE0ELb1ES3_N6thrust23THRUST_200600_302600_NS6detail15normal_iteratorINS9_10device_ptrIiEEEESE_SE_iNS9_4plusIvEENS9_8equal_toIvEEiEE10hipError_tPvRmT2_T3_T4_T5_mT6_T7_P12ihipStream_tbENKUlT_T0_E_clISt17integral_constantIbLb0EESY_IbLb1EEEEDaSU_SV_EUlSU_E_NS1_11comp_targetILNS1_3genE4ELNS1_11target_archE910ELNS1_3gpuE8ELNS1_3repE0EEENS1_30default_config_static_selectorELNS0_4arch9wavefront6targetE1EEEvT1_,comdat
	.protected	_ZN7rocprim17ROCPRIM_400000_NS6detail17trampoline_kernelINS0_14default_configENS1_27scan_by_key_config_selectorIiiEEZZNS1_16scan_by_key_implILNS1_25lookback_scan_determinismE0ELb1ES3_N6thrust23THRUST_200600_302600_NS6detail15normal_iteratorINS9_10device_ptrIiEEEESE_SE_iNS9_4plusIvEENS9_8equal_toIvEEiEE10hipError_tPvRmT2_T3_T4_T5_mT6_T7_P12ihipStream_tbENKUlT_T0_E_clISt17integral_constantIbLb0EESY_IbLb1EEEEDaSU_SV_EUlSU_E_NS1_11comp_targetILNS1_3genE4ELNS1_11target_archE910ELNS1_3gpuE8ELNS1_3repE0EEENS1_30default_config_static_selectorELNS0_4arch9wavefront6targetE1EEEvT1_ ; -- Begin function _ZN7rocprim17ROCPRIM_400000_NS6detail17trampoline_kernelINS0_14default_configENS1_27scan_by_key_config_selectorIiiEEZZNS1_16scan_by_key_implILNS1_25lookback_scan_determinismE0ELb1ES3_N6thrust23THRUST_200600_302600_NS6detail15normal_iteratorINS9_10device_ptrIiEEEESE_SE_iNS9_4plusIvEENS9_8equal_toIvEEiEE10hipError_tPvRmT2_T3_T4_T5_mT6_T7_P12ihipStream_tbENKUlT_T0_E_clISt17integral_constantIbLb0EESY_IbLb1EEEEDaSU_SV_EUlSU_E_NS1_11comp_targetILNS1_3genE4ELNS1_11target_archE910ELNS1_3gpuE8ELNS1_3repE0EEENS1_30default_config_static_selectorELNS0_4arch9wavefront6targetE1EEEvT1_
	.globl	_ZN7rocprim17ROCPRIM_400000_NS6detail17trampoline_kernelINS0_14default_configENS1_27scan_by_key_config_selectorIiiEEZZNS1_16scan_by_key_implILNS1_25lookback_scan_determinismE0ELb1ES3_N6thrust23THRUST_200600_302600_NS6detail15normal_iteratorINS9_10device_ptrIiEEEESE_SE_iNS9_4plusIvEENS9_8equal_toIvEEiEE10hipError_tPvRmT2_T3_T4_T5_mT6_T7_P12ihipStream_tbENKUlT_T0_E_clISt17integral_constantIbLb0EESY_IbLb1EEEEDaSU_SV_EUlSU_E_NS1_11comp_targetILNS1_3genE4ELNS1_11target_archE910ELNS1_3gpuE8ELNS1_3repE0EEENS1_30default_config_static_selectorELNS0_4arch9wavefront6targetE1EEEvT1_
	.p2align	8
	.type	_ZN7rocprim17ROCPRIM_400000_NS6detail17trampoline_kernelINS0_14default_configENS1_27scan_by_key_config_selectorIiiEEZZNS1_16scan_by_key_implILNS1_25lookback_scan_determinismE0ELb1ES3_N6thrust23THRUST_200600_302600_NS6detail15normal_iteratorINS9_10device_ptrIiEEEESE_SE_iNS9_4plusIvEENS9_8equal_toIvEEiEE10hipError_tPvRmT2_T3_T4_T5_mT6_T7_P12ihipStream_tbENKUlT_T0_E_clISt17integral_constantIbLb0EESY_IbLb1EEEEDaSU_SV_EUlSU_E_NS1_11comp_targetILNS1_3genE4ELNS1_11target_archE910ELNS1_3gpuE8ELNS1_3repE0EEENS1_30default_config_static_selectorELNS0_4arch9wavefront6targetE1EEEvT1_,@function
_ZN7rocprim17ROCPRIM_400000_NS6detail17trampoline_kernelINS0_14default_configENS1_27scan_by_key_config_selectorIiiEEZZNS1_16scan_by_key_implILNS1_25lookback_scan_determinismE0ELb1ES3_N6thrust23THRUST_200600_302600_NS6detail15normal_iteratorINS9_10device_ptrIiEEEESE_SE_iNS9_4plusIvEENS9_8equal_toIvEEiEE10hipError_tPvRmT2_T3_T4_T5_mT6_T7_P12ihipStream_tbENKUlT_T0_E_clISt17integral_constantIbLb0EESY_IbLb1EEEEDaSU_SV_EUlSU_E_NS1_11comp_targetILNS1_3genE4ELNS1_11target_archE910ELNS1_3gpuE8ELNS1_3repE0EEENS1_30default_config_static_selectorELNS0_4arch9wavefront6targetE1EEEvT1_: ; @_ZN7rocprim17ROCPRIM_400000_NS6detail17trampoline_kernelINS0_14default_configENS1_27scan_by_key_config_selectorIiiEEZZNS1_16scan_by_key_implILNS1_25lookback_scan_determinismE0ELb1ES3_N6thrust23THRUST_200600_302600_NS6detail15normal_iteratorINS9_10device_ptrIiEEEESE_SE_iNS9_4plusIvEENS9_8equal_toIvEEiEE10hipError_tPvRmT2_T3_T4_T5_mT6_T7_P12ihipStream_tbENKUlT_T0_E_clISt17integral_constantIbLb0EESY_IbLb1EEEEDaSU_SV_EUlSU_E_NS1_11comp_targetILNS1_3genE4ELNS1_11target_archE910ELNS1_3gpuE8ELNS1_3repE0EEENS1_30default_config_static_selectorELNS0_4arch9wavefront6targetE1EEEvT1_
; %bb.0:
	s_load_dword s54, s[4:5], 0x20
	s_load_dwordx4 s[44:47], s[4:5], 0x28
	s_load_dwordx2 s[52:53], s[4:5], 0x38
	v_cmp_eq_u32_e64 s[0:1], 0, v0
	s_and_saveexec_b64 s[2:3], s[0:1]
	s_cbranch_execz .LBB491_4
; %bb.1:
	s_mov_b64 s[8:9], exec
	v_mbcnt_lo_u32_b32 v1, s8, 0
	v_mbcnt_hi_u32_b32 v1, s9, v1
	v_cmp_eq_u32_e32 vcc, 0, v1
                                        ; implicit-def: $vgpr2
	s_and_saveexec_b64 s[6:7], vcc
	s_cbranch_execz .LBB491_3
; %bb.2:
	s_load_dwordx2 s[10:11], s[4:5], 0x68
	s_bcnt1_i32_b64 s8, s[8:9]
	v_mov_b32_e32 v2, 0
	v_mov_b32_e32 v3, s8
	s_waitcnt lgkmcnt(0)
	global_atomic_add v2, v2, v3, s[10:11] glc
.LBB491_3:
	s_or_b64 exec, exec, s[6:7]
	s_waitcnt vmcnt(0)
	v_readfirstlane_b32 s6, v2
	v_add_u32_e32 v1, s6, v1
	v_mov_b32_e32 v2, 0
	ds_write_b32 v2, v1
.LBB491_4:
	s_or_b64 exec, exec, s[2:3]
	s_load_dwordx8 s[36:43], s[4:5], 0x0
	s_load_dword s2, s[4:5], 0x40
	s_load_dwordx4 s[48:51], s[4:5], 0x48
	v_mov_b32_e32 v3, 0
	s_waitcnt lgkmcnt(0)
	s_lshl_b64 s[34:35], s[38:39], 2
	s_barrier
	ds_read_b32 v4, v3
	s_add_u32 s3, s36, s34
	s_addc_u32 s4, s37, s35
	s_add_u32 s5, s40, s34
	s_mul_i32 s7, s53, s2
	s_mul_hi_u32 s8, s52, s2
	s_addc_u32 s6, s41, s35
	s_add_i32 s7, s8, s7
	s_movk_i32 s8, 0xe00
	s_waitcnt lgkmcnt(0)
	v_mul_lo_u32 v2, v4, s8
	v_lshlrev_b64 v[38:39], 2, v[2:3]
	v_mov_b32_e32 v1, s4
	v_add_co_u32_e32 v42, vcc, s3, v38
	v_addc_co_u32_e32 v43, vcc, v1, v39, vcc
	v_mov_b32_e32 v2, s6
	v_add_co_u32_e32 v1, vcc, s5, v38
	s_mul_i32 s2, s52, s2
	v_addc_co_u32_e32 v48, vcc, v2, v39, vcc
	v_mov_b32_e32 v3, s7
	v_add_co_u32_e32 v2, vcc, s2, v4
	s_add_u32 s4, s48, -1
	v_addc_co_u32_e32 v3, vcc, 0, v3, vcc
	s_addc_u32 s5, s49, -1
	v_cmp_le_u64_e64 s[2:3], s[4:5], v[2:3]
	v_readfirstlane_b32 s47, v4
	s_mov_b64 s[12:13], -1
	s_and_b64 vcc, exec, s[2:3]
	s_mul_i32 s33, s4, 0xfffff200
	s_barrier
	s_barrier
	s_cbranch_vccz .LBB491_80
; %bb.5:
	flat_load_dword v13, v[42:43]
	s_add_i32 s40, s33, s46
	v_cmp_gt_u32_e32 vcc, s40, v0
	s_waitcnt vmcnt(0) lgkmcnt(0)
	v_mov_b32_e32 v14, v13
	s_and_saveexec_b64 s[6:7], vcc
	s_cbranch_execz .LBB491_7
; %bb.6:
	v_lshlrev_b32_e32 v2, 2, v0
	v_add_co_u32_e64 v2, s[4:5], v42, v2
	v_addc_co_u32_e64 v3, s[4:5], 0, v43, s[4:5]
	flat_load_dword v14, v[2:3]
.LBB491_7:
	s_or_b64 exec, exec, s[6:7]
	v_or_b32_e32 v2, 0x100, v0
	v_cmp_gt_u32_e64 s[4:5], s40, v2
	v_mov_b32_e32 v15, v13
	s_and_saveexec_b64 s[8:9], s[4:5]
	s_cbranch_execz .LBB491_9
; %bb.8:
	v_lshlrev_b32_e32 v2, 2, v0
	v_add_co_u32_e64 v2, s[6:7], v42, v2
	v_addc_co_u32_e64 v3, s[6:7], 0, v43, s[6:7]
	flat_load_dword v15, v[2:3] offset:1024
.LBB491_9:
	s_or_b64 exec, exec, s[8:9]
	v_or_b32_e32 v2, 0x200, v0
	v_cmp_gt_u32_e64 s[6:7], s40, v2
	v_mov_b32_e32 v16, v13
	s_and_saveexec_b64 s[10:11], s[6:7]
	s_cbranch_execz .LBB491_11
; %bb.10:
	v_lshlrev_b32_e32 v2, 2, v0
	v_add_co_u32_e64 v2, s[8:9], v42, v2
	v_addc_co_u32_e64 v3, s[8:9], 0, v43, s[8:9]
	flat_load_dword v16, v[2:3] offset:2048
.LBB491_11:
	;; [unrolled: 12-line block ×3, first 2 shown]
	s_or_b64 exec, exec, s[12:13]
	v_or_b32_e32 v2, 0x400, v0
	v_cmp_gt_u32_e64 s[10:11], s40, v2
	v_lshlrev_b32_e32 v2, 2, v2
	v_mov_b32_e32 v18, v13
	s_and_saveexec_b64 s[14:15], s[10:11]
	s_cbranch_execz .LBB491_15
; %bb.14:
	v_add_co_u32_e64 v4, s[12:13], v42, v2
	v_addc_co_u32_e64 v5, s[12:13], 0, v43, s[12:13]
	flat_load_dword v18, v[4:5]
.LBB491_15:
	s_or_b64 exec, exec, s[14:15]
	v_or_b32_e32 v3, 0x500, v0
	v_cmp_gt_u32_e64 s[12:13], s40, v3
	v_lshlrev_b32_e32 v3, 2, v3
	v_mov_b32_e32 v19, v13
	s_and_saveexec_b64 s[16:17], s[12:13]
	s_cbranch_execz .LBB491_17
; %bb.16:
	v_add_co_u32_e64 v4, s[14:15], v42, v3
	v_addc_co_u32_e64 v5, s[14:15], 0, v43, s[14:15]
	flat_load_dword v19, v[4:5]
.LBB491_17:
	;; [unrolled: 12-line block ×9, first 2 shown]
	s_or_b64 exec, exec, s[30:31]
	v_or_b32_e32 v11, 0xd00, v0
	v_cmp_gt_u32_e64 s[28:29], s40, v11
	v_lshlrev_b32_e32 v11, 2, v11
	s_and_saveexec_b64 s[36:37], s[28:29]
	s_cbranch_execz .LBB491_33
; %bb.32:
	v_add_co_u32_e64 v12, s[30:31], v42, v11
	v_addc_co_u32_e64 v13, s[30:31], 0, v43, s[30:31]
	flat_load_dword v13, v[12:13]
.LBB491_33:
	s_or_b64 exec, exec, s[36:37]
	v_lshlrev_b32_e32 v12, 2, v0
	s_waitcnt vmcnt(0) lgkmcnt(0)
	ds_write2st64_b32 v12, v14, v15 offset1:4
	ds_write2st64_b32 v12, v16, v17 offset0:8 offset1:12
	ds_write2st64_b32 v12, v18, v19 offset0:16 offset1:20
	;; [unrolled: 1-line block ×6, first 2 shown]
	s_waitcnt lgkmcnt(0)
	s_barrier
	flat_load_dword v49, v[42:43]
	v_mad_u32_u24 v50, v0, 52, v12
	s_movk_i32 s30, 0xffcc
	ds_read2_b64 v[34:37], v50 offset1:1
	ds_read2_b64 v[30:33], v50 offset0:2 offset1:3
	ds_read2_b64 v[26:29], v50 offset0:4 offset1:5
	ds_read_b64 v[44:45], v50 offset:48
	v_mad_i32_i24 v13, v0, s30, v50
	s_movk_i32 s30, 0xff
	v_cmp_ne_u32_e64 s[30:31], s30, v0
	s_waitcnt lgkmcnt(0)
	ds_write_b32 v13, v34 offset:15360
	s_waitcnt lgkmcnt(0)
	s_barrier
	s_and_saveexec_b64 s[36:37], s[30:31]
	s_cbranch_execz .LBB491_35
; %bb.34:
	s_waitcnt vmcnt(0)
	ds_read_b32 v49, v12 offset:15364
.LBB491_35:
	s_or_b64 exec, exec, s[36:37]
	s_waitcnt lgkmcnt(0)
	s_barrier
	s_waitcnt lgkmcnt(0)
                                        ; implicit-def: $vgpr13
	s_and_saveexec_b64 s[30:31], vcc
	s_cbranch_execz .LBB491_117
; %bb.36:
	v_add_co_u32_e32 v14, vcc, v1, v12
	v_addc_co_u32_e32 v15, vcc, 0, v48, vcc
	flat_load_dword v13, v[14:15]
	s_or_b64 exec, exec, s[30:31]
                                        ; implicit-def: $vgpr14
	s_and_saveexec_b64 s[30:31], s[4:5]
	s_cbranch_execnz .LBB491_118
.LBB491_37:
	s_or_b64 exec, exec, s[30:31]
                                        ; implicit-def: $vgpr15
	s_and_saveexec_b64 s[4:5], s[6:7]
	s_cbranch_execz .LBB491_119
.LBB491_38:
	v_add_co_u32_e32 v16, vcc, v1, v12
	v_addc_co_u32_e32 v17, vcc, 0, v48, vcc
	flat_load_dword v15, v[16:17] offset:2048
	s_or_b64 exec, exec, s[4:5]
                                        ; implicit-def: $vgpr16
	s_and_saveexec_b64 s[4:5], s[8:9]
	s_cbranch_execnz .LBB491_120
.LBB491_39:
	s_or_b64 exec, exec, s[4:5]
                                        ; implicit-def: $vgpr17
	s_and_saveexec_b64 s[4:5], s[10:11]
	s_cbranch_execz .LBB491_121
.LBB491_40:
	v_add_co_u32_e32 v18, vcc, v1, v2
	v_addc_co_u32_e32 v19, vcc, 0, v48, vcc
	flat_load_dword v17, v[18:19]
	s_or_b64 exec, exec, s[4:5]
                                        ; implicit-def: $vgpr2
	s_and_saveexec_b64 s[4:5], s[12:13]
	s_cbranch_execnz .LBB491_122
.LBB491_41:
	s_or_b64 exec, exec, s[4:5]
                                        ; implicit-def: $vgpr3
	s_and_saveexec_b64 s[4:5], s[14:15]
	s_cbranch_execz .LBB491_123
.LBB491_42:
	v_add_co_u32_e32 v18, vcc, v1, v4
	v_addc_co_u32_e32 v19, vcc, 0, v48, vcc
	flat_load_dword v3, v[18:19]
	s_or_b64 exec, exec, s[4:5]
                                        ; implicit-def: $vgpr4
	s_and_saveexec_b64 s[4:5], s[16:17]
	s_cbranch_execnz .LBB491_124
.LBB491_43:
	s_or_b64 exec, exec, s[4:5]
                                        ; implicit-def: $vgpr5
	s_and_saveexec_b64 s[4:5], s[18:19]
	s_cbranch_execz .LBB491_125
.LBB491_44:
	v_add_co_u32_e32 v18, vcc, v1, v6
	v_addc_co_u32_e32 v19, vcc, 0, v48, vcc
	flat_load_dword v5, v[18:19]
	s_or_b64 exec, exec, s[4:5]
                                        ; implicit-def: $vgpr6
	s_and_saveexec_b64 s[4:5], s[20:21]
	s_cbranch_execnz .LBB491_126
.LBB491_45:
	s_or_b64 exec, exec, s[4:5]
                                        ; implicit-def: $vgpr7
	s_and_saveexec_b64 s[4:5], s[22:23]
	s_cbranch_execz .LBB491_127
.LBB491_46:
	v_add_co_u32_e32 v18, vcc, v1, v8
	v_addc_co_u32_e32 v19, vcc, 0, v48, vcc
	flat_load_dword v7, v[18:19]
	s_or_b64 exec, exec, s[4:5]
                                        ; implicit-def: $vgpr8
	s_and_saveexec_b64 s[4:5], s[24:25]
	s_cbranch_execnz .LBB491_128
.LBB491_47:
	s_or_b64 exec, exec, s[4:5]
                                        ; implicit-def: $vgpr9
	s_and_saveexec_b64 s[4:5], s[26:27]
	s_cbranch_execz .LBB491_49
.LBB491_48:
	v_add_co_u32_e32 v18, vcc, v1, v10
	v_addc_co_u32_e32 v19, vcc, 0, v48, vcc
	flat_load_dword v9, v[18:19]
.LBB491_49:
	s_or_b64 exec, exec, s[4:5]
	v_mul_u32_u24_e32 v51, 14, v0
                                        ; implicit-def: $vgpr10
	s_and_saveexec_b64 s[4:5], s[28:29]
	s_cbranch_execz .LBB491_51
; %bb.50:
	v_add_co_u32_e32 v10, vcc, v1, v11
	v_addc_co_u32_e32 v11, vcc, 0, v48, vcc
	flat_load_dword v10, v[10:11]
.LBB491_51:
	s_or_b64 exec, exec, s[4:5]
	s_mov_b32 s4, 0
	s_mov_b32 s5, s4
	s_waitcnt vmcnt(0) lgkmcnt(0)
	ds_write2st64_b32 v12, v13, v14 offset1:4
	ds_write2st64_b32 v12, v15, v16 offset0:8 offset1:12
	ds_write2st64_b32 v12, v17, v2 offset0:16 offset1:20
	;; [unrolled: 1-line block ×6, first 2 shown]
	s_mov_b32 s6, s4
	s_mov_b32 s7, s4
	s_mov_b32 s8, s4
	s_mov_b32 s9, s4
	s_mov_b32 s10, s4
	s_mov_b32 s11, s4
	v_pk_mov_b32 v[2:3], s[4:5], s[4:5] op_sel:[0,1]
	v_pk_mov_b32 v[8:9], s[10:11], s[10:11] op_sel:[0,1]
	;; [unrolled: 1-line block ×6, first 2 shown]
	v_cmp_gt_u32_e32 vcc, s40, v51
	s_mov_b64 s[12:13], 0
	v_pk_mov_b32 v[40:41], 0, 0
	s_mov_b64 s[18:19], 0
	v_pk_mov_b32 v[14:15], v[6:7], v[6:7] op_sel:[0,1]
	v_pk_mov_b32 v[12:13], v[4:5], v[4:5] op_sel:[0,1]
	;; [unrolled: 1-line block ×6, first 2 shown]
	s_waitcnt lgkmcnt(0)
	s_barrier
	s_waitcnt lgkmcnt(0)
                                        ; implicit-def: $sgpr16_sgpr17
                                        ; implicit-def: $vgpr46
	s_and_saveexec_b64 s[14:15], vcc
	s_cbranch_execz .LBB491_79
; %bb.52:
	ds_read_b32 v2, v50
	v_mov_b32_e32 v4, s54
	v_cmp_eq_u32_e32 vcc, v34, v35
	v_or_b32_e32 v3, 1, v51
                                        ; implicit-def: $vgpr46
	s_waitcnt lgkmcnt(0)
	v_cndmask_b32_e32 v40, v4, v2, vcc
	v_cmp_ne_u32_e32 vcc, v34, v35
	v_cndmask_b32_e64 v41, 0, 1, vcc
	v_cmp_gt_u32_e32 vcc, s40, v3
	v_pk_mov_b32 v[2:3], s[4:5], s[4:5] op_sel:[0,1]
	v_pk_mov_b32 v[8:9], s[10:11], s[10:11] op_sel:[0,1]
	;; [unrolled: 1-line block ×12, first 2 shown]
                                        ; implicit-def: $sgpr4_sgpr5
	s_and_saveexec_b64 s[16:17], vcc
	s_cbranch_execz .LBB491_78
; %bb.53:
	ds_read2_b32 v[46:47], v50 offset0:1 offset1:2
	s_mov_b32 s4, 0
	v_mov_b32_e32 v3, s54
	v_cmp_eq_u32_e32 vcc, v35, v36
	s_mov_b32 s10, s4
	s_mov_b32 s11, s4
	v_add_u32_e32 v2, 2, v51
	s_waitcnt lgkmcnt(0)
	v_cndmask_b32_e32 v8, v3, v46, vcc
	v_cmp_ne_u32_e32 vcc, v35, v36
	s_mov_b32 s5, s4
	s_mov_b32 s6, s4
	;; [unrolled: 1-line block ×5, first 2 shown]
	v_pk_mov_b32 v[16:17], s[10:11], s[10:11] op_sel:[0,1]
	v_cndmask_b32_e64 v9, 0, 1, vcc
	v_cmp_gt_u32_e32 vcc, s40, v2
	v_mov_b32_e32 v2, 0
	v_pk_mov_b32 v[14:15], s[8:9], s[8:9] op_sel:[0,1]
	v_pk_mov_b32 v[12:13], s[6:7], s[6:7] op_sel:[0,1]
	;; [unrolled: 1-line block ×4, first 2 shown]
	v_mov_b32_e32 v3, v2
	v_mov_b32_e32 v4, v2
	;; [unrolled: 1-line block ×5, first 2 shown]
	s_mov_b64 s[20:21], 0
	v_pk_mov_b32 v[22:23], v[14:15], v[14:15] op_sel:[0,1]
	v_pk_mov_b32 v[20:21], v[12:13], v[12:13] op_sel:[0,1]
	v_pk_mov_b32 v[18:19], v[10:11], v[10:11] op_sel:[0,1]
                                        ; implicit-def: $sgpr24_sgpr25
                                        ; implicit-def: $vgpr46
	s_and_saveexec_b64 s[18:19], vcc
	s_cbranch_execz .LBB491_77
; %bb.54:
	v_mov_b32_e32 v4, s54
	v_cmp_eq_u32_e32 vcc, v36, v37
	v_pk_mov_b32 v[16:17], s[10:11], s[10:11] op_sel:[0,1]
	v_add_u32_e32 v3, 3, v51
	v_cndmask_b32_e32 v6, v4, v47, vcc
	v_cmp_ne_u32_e32 vcc, v36, v37
	v_pk_mov_b32 v[14:15], s[8:9], s[8:9] op_sel:[0,1]
	v_pk_mov_b32 v[12:13], s[6:7], s[6:7] op_sel:[0,1]
	;; [unrolled: 1-line block ×4, first 2 shown]
	v_cndmask_b32_e64 v7, 0, 1, vcc
	v_cmp_gt_u32_e32 vcc, s40, v3
	v_mov_b32_e32 v3, v2
	v_mov_b32_e32 v4, v2
	;; [unrolled: 1-line block ×3, first 2 shown]
	s_mov_b64 s[22:23], 0
	v_pk_mov_b32 v[22:23], v[14:15], v[14:15] op_sel:[0,1]
	v_pk_mov_b32 v[20:21], v[12:13], v[12:13] op_sel:[0,1]
	v_pk_mov_b32 v[18:19], v[10:11], v[10:11] op_sel:[0,1]
                                        ; implicit-def: $sgpr4_sgpr5
                                        ; implicit-def: $vgpr46
	s_and_saveexec_b64 s[20:21], vcc
	s_cbranch_execz .LBB491_76
; %bb.55:
	ds_read2_b32 v[34:35], v50 offset0:3 offset1:4
	s_mov_b32 s4, 0
	s_mov_b32 s10, s4
	;; [unrolled: 1-line block ×3, first 2 shown]
	v_mov_b32_e32 v3, s54
	v_cmp_eq_u32_e32 vcc, v37, v30
	s_mov_b32 s5, s4
	s_mov_b32 s6, s4
	;; [unrolled: 1-line block ×5, first 2 shown]
	v_pk_mov_b32 v[16:17], s[10:11], s[10:11] op_sel:[0,1]
	v_add_u32_e32 v2, 4, v51
	s_waitcnt lgkmcnt(0)
	v_cndmask_b32_e32 v4, v3, v34, vcc
	v_cmp_ne_u32_e32 vcc, v37, v30
	v_pk_mov_b32 v[14:15], s[8:9], s[8:9] op_sel:[0,1]
	v_pk_mov_b32 v[12:13], s[6:7], s[6:7] op_sel:[0,1]
	;; [unrolled: 1-line block ×4, first 2 shown]
	v_cndmask_b32_e64 v5, 0, 1, vcc
	v_cmp_gt_u32_e32 vcc, s40, v2
	v_mov_b32_e32 v2, s4
	v_mov_b32_e32 v3, s4
	s_mov_b64 s[24:25], 0
	v_pk_mov_b32 v[22:23], v[14:15], v[14:15] op_sel:[0,1]
	v_pk_mov_b32 v[20:21], v[12:13], v[12:13] op_sel:[0,1]
	;; [unrolled: 1-line block ×3, first 2 shown]
                                        ; implicit-def: $sgpr26_sgpr27
                                        ; implicit-def: $vgpr46
	s_and_saveexec_b64 s[22:23], vcc
	s_cbranch_execz .LBB491_75
; %bb.56:
	v_mov_b32_e32 v2, s54
	v_cmp_eq_u32_e32 vcc, v30, v31
	v_add_u32_e32 v10, 5, v51
	v_cndmask_b32_e32 v2, v2, v35, vcc
	v_cmp_ne_u32_e32 vcc, v30, v31
	v_cndmask_b32_e64 v3, 0, 1, vcc
	v_cmp_gt_u32_e32 vcc, s40, v10
	v_pk_mov_b32 v[16:17], s[10:11], s[10:11] op_sel:[0,1]
	v_pk_mov_b32 v[14:15], s[8:9], s[8:9] op_sel:[0,1]
	;; [unrolled: 1-line block ×5, first 2 shown]
	s_mov_b64 s[28:29], 0
	v_pk_mov_b32 v[22:23], v[14:15], v[14:15] op_sel:[0,1]
	v_pk_mov_b32 v[20:21], v[12:13], v[12:13] op_sel:[0,1]
	v_pk_mov_b32 v[18:19], v[10:11], v[10:11] op_sel:[0,1]
                                        ; implicit-def: $sgpr4_sgpr5
                                        ; implicit-def: $vgpr46
	s_and_saveexec_b64 s[24:25], vcc
	s_cbranch_execz .LBB491_74
; %bb.57:
	ds_read2_b32 v[34:35], v50 offset0:5 offset1:6
	v_mov_b32_e32 v11, s54
	v_cmp_eq_u32_e32 vcc, v31, v32
	s_mov_b32 s4, 0
	v_add_u32_e32 v10, 6, v51
	s_waitcnt lgkmcnt(0)
	v_cndmask_b32_e32 v16, v11, v34, vcc
	v_cmp_ne_u32_e32 vcc, v31, v32
	s_mov_b32 s10, s4
	s_mov_b32 s11, s4
	v_cndmask_b32_e64 v17, 0, 1, vcc
	v_cmp_gt_u32_e32 vcc, s40, v10
	v_mov_b32_e32 v10, 0
	s_mov_b32 s5, s4
	s_mov_b32 s6, s4
	;; [unrolled: 1-line block ×5, first 2 shown]
	v_pk_mov_b32 v[24:25], s[10:11], s[10:11] op_sel:[0,1]
	v_mov_b32_e32 v11, v10
	v_mov_b32_e32 v12, v10
	v_mov_b32_e32 v13, v10
	v_mov_b32_e32 v14, v10
	v_mov_b32_e32 v15, v10
	v_pk_mov_b32 v[22:23], s[8:9], s[8:9] op_sel:[0,1]
	v_pk_mov_b32 v[20:21], s[6:7], s[6:7] op_sel:[0,1]
	;; [unrolled: 1-line block ×3, first 2 shown]
                                        ; implicit-def: $sgpr36_sgpr37
                                        ; implicit-def: $vgpr46
	s_and_saveexec_b64 s[26:27], vcc
	s_cbranch_execz .LBB491_73
; %bb.58:
	v_mov_b32_e32 v12, s54
	v_cmp_eq_u32_e32 vcc, v32, v33
	v_add_u32_e32 v11, 7, v51
	v_cndmask_b32_e32 v14, v12, v35, vcc
	v_cmp_ne_u32_e32 vcc, v32, v33
	v_pk_mov_b32 v[24:25], s[10:11], s[10:11] op_sel:[0,1]
	v_cndmask_b32_e64 v15, 0, 1, vcc
	v_cmp_gt_u32_e32 vcc, s40, v11
	v_mov_b32_e32 v11, v10
	v_mov_b32_e32 v12, v10
	;; [unrolled: 1-line block ×3, first 2 shown]
	s_mov_b64 s[30:31], 0
	v_pk_mov_b32 v[22:23], s[8:9], s[8:9] op_sel:[0,1]
	v_pk_mov_b32 v[20:21], s[6:7], s[6:7] op_sel:[0,1]
	;; [unrolled: 1-line block ×3, first 2 shown]
                                        ; implicit-def: $sgpr4_sgpr5
                                        ; implicit-def: $vgpr46
	s_and_saveexec_b64 s[28:29], vcc
	s_cbranch_execz .LBB491_72
; %bb.59:
	ds_read2_b32 v[30:31], v50 offset0:7 offset1:8
	s_mov_b32 s4, 0
	v_mov_b32_e32 v11, s54
	v_cmp_eq_u32_e32 vcc, v33, v26
	s_mov_b32 s10, s4
	s_mov_b32 s11, s4
	v_add_u32_e32 v10, 8, v51
	s_waitcnt lgkmcnt(0)
	v_cndmask_b32_e32 v12, v11, v30, vcc
	v_cmp_ne_u32_e32 vcc, v33, v26
	s_mov_b32 s5, s4
	s_mov_b32 s6, s4
	;; [unrolled: 1-line block ×5, first 2 shown]
	v_pk_mov_b32 v[24:25], s[10:11], s[10:11] op_sel:[0,1]
	v_cndmask_b32_e64 v13, 0, 1, vcc
	v_cmp_gt_u32_e32 vcc, s40, v10
	v_mov_b32_e32 v10, s4
	v_mov_b32_e32 v11, s4
	s_mov_b64 s[36:37], 0
	v_pk_mov_b32 v[22:23], s[8:9], s[8:9] op_sel:[0,1]
	v_pk_mov_b32 v[20:21], s[6:7], s[6:7] op_sel:[0,1]
	;; [unrolled: 1-line block ×3, first 2 shown]
                                        ; implicit-def: $sgpr38_sgpr39
                                        ; implicit-def: $vgpr46
	s_and_saveexec_b64 s[30:31], vcc
	s_cbranch_execz .LBB491_71
; %bb.60:
	v_mov_b32_e32 v10, s54
	v_cmp_eq_u32_e32 vcc, v26, v27
	v_add_u32_e32 v18, 9, v51
	v_cndmask_b32_e32 v10, v10, v31, vcc
	v_cmp_ne_u32_e32 vcc, v26, v27
	v_cndmask_b32_e64 v11, 0, 1, vcc
	v_cmp_gt_u32_e32 vcc, s40, v18
	v_pk_mov_b32 v[24:25], s[10:11], s[10:11] op_sel:[0,1]
	v_pk_mov_b32 v[22:23], s[8:9], s[8:9] op_sel:[0,1]
	;; [unrolled: 1-line block ×4, first 2 shown]
                                        ; implicit-def: $sgpr6_sgpr7
                                        ; implicit-def: $vgpr46
	s_and_saveexec_b64 s[4:5], vcc
	s_cbranch_execz .LBB491_70
; %bb.61:
	ds_read2_b32 v[30:31], v50 offset0:9 offset1:10
	v_mov_b32_e32 v18, s54
	v_cmp_eq_u32_e32 vcc, v27, v28
	v_add_u32_e32 v20, 10, v51
	v_mov_b32_e32 v22, 0
	s_waitcnt lgkmcnt(0)
	v_cndmask_b32_e32 v18, v18, v30, vcc
	v_cmp_ne_u32_e32 vcc, v27, v28
	v_cndmask_b32_e64 v19, 0, 1, vcc
	v_cmp_gt_u32_e32 vcc, s40, v20
	v_mov_b32_e32 v20, v22
	v_mov_b32_e32 v21, v22
	;; [unrolled: 1-line block ×5, first 2 shown]
	s_mov_b64 s[8:9], 0
                                        ; implicit-def: $sgpr36_sgpr37
                                        ; implicit-def: $vgpr46
	s_and_saveexec_b64 s[6:7], vcc
	s_cbranch_execz .LBB491_69
; %bb.62:
	v_mov_b32_e32 v20, s54
	v_cmp_eq_u32_e32 vcc, v28, v29
	v_add_u32_e32 v23, 11, v51
	v_cndmask_b32_e32 v20, v20, v31, vcc
	v_cmp_ne_u32_e32 vcc, v28, v29
	v_cndmask_b32_e64 v21, 0, 1, vcc
	v_cmp_gt_u32_e32 vcc, s40, v23
	s_mov_b32 s36, 0
	v_mov_b32_e32 v23, v22
	v_mov_b32_e32 v24, v22
	;; [unrolled: 1-line block ×3, first 2 shown]
	s_mov_b64 s[10:11], 0
                                        ; implicit-def: $sgpr38_sgpr39
                                        ; implicit-def: $vgpr46
	s_and_saveexec_b64 s[8:9], vcc
	s_cbranch_execz .LBB491_68
; %bb.63:
	ds_read2_b32 v[26:27], v50 offset0:11 offset1:12
	v_mov_b32_e32 v22, s54
	v_cmp_eq_u32_e32 vcc, v29, v44
	v_add_u32_e32 v24, 12, v51
	v_mov_b32_e32 v25, s36
	s_waitcnt lgkmcnt(0)
	v_cndmask_b32_e32 v22, v22, v26, vcc
	v_cmp_ne_u32_e32 vcc, v29, v44
	v_cndmask_b32_e64 v23, 0, 1, vcc
	v_cmp_gt_u32_e32 vcc, s40, v24
	v_mov_b32_e32 v24, s36
	s_mov_b64 s[36:37], 0
                                        ; implicit-def: $sgpr38_sgpr39
                                        ; implicit-def: $vgpr46
	s_and_saveexec_b64 s[10:11], vcc
	s_cbranch_execz .LBB491_67
; %bb.64:
	v_mov_b32_e32 v24, s54
	v_cmp_eq_u32_e32 vcc, v44, v45
	v_add_u32_e32 v26, 13, v51
	v_cndmask_b32_e32 v24, v24, v27, vcc
	v_cmp_ne_u32_e32 vcc, v44, v45
	v_cndmask_b32_e64 v25, 0, 1, vcc
	v_cmp_gt_u32_e32 vcc, s40, v26
                                        ; implicit-def: $sgpr38_sgpr39
                                        ; implicit-def: $vgpr46
	s_and_saveexec_b64 s[40:41], vcc
	s_xor_b64 s[40:41], exec, s[40:41]
	s_cbranch_execz .LBB491_66
; %bb.65:
	ds_read_b32 v26, v50 offset:52
	v_mov_b32_e32 v27, s54
	v_cmp_ne_u32_e32 vcc, v45, v49
	s_mov_b64 s[36:37], exec
	s_and_b64 s[38:39], vcc, exec
	s_waitcnt lgkmcnt(0)
	v_cndmask_b32_e32 v46, v26, v27, vcc
.LBB491_66:
	s_or_b64 exec, exec, s[40:41]
	s_and_b64 s[38:39], s[38:39], exec
	s_and_b64 s[36:37], s[36:37], exec
.LBB491_67:
	s_or_b64 exec, exec, s[10:11]
	s_and_b64 s[38:39], s[38:39], exec
	s_and_b64 s[10:11], s[36:37], exec
.LBB491_68:
	s_or_b64 exec, exec, s[8:9]
	s_and_b64 s[36:37], s[38:39], exec
	s_and_b64 s[8:9], s[10:11], exec
.LBB491_69:
	s_or_b64 exec, exec, s[6:7]
	s_and_b64 s[6:7], s[36:37], exec
	s_and_b64 s[36:37], s[8:9], exec
.LBB491_70:
	s_or_b64 exec, exec, s[4:5]
	s_and_b64 s[38:39], s[6:7], exec
	s_and_b64 s[36:37], s[36:37], exec
.LBB491_71:
	s_or_b64 exec, exec, s[30:31]
	s_and_b64 s[4:5], s[38:39], exec
	s_and_b64 s[30:31], s[36:37], exec
.LBB491_72:
	s_or_b64 exec, exec, s[28:29]
	s_and_b64 s[36:37], s[4:5], exec
	s_and_b64 s[28:29], s[30:31], exec
.LBB491_73:
	s_or_b64 exec, exec, s[26:27]
	s_and_b64 s[4:5], s[36:37], exec
	s_and_b64 s[28:29], s[28:29], exec
.LBB491_74:
	s_or_b64 exec, exec, s[24:25]
	s_and_b64 s[26:27], s[4:5], exec
	s_and_b64 s[24:25], s[28:29], exec
.LBB491_75:
	s_or_b64 exec, exec, s[22:23]
	s_and_b64 s[4:5], s[26:27], exec
	s_and_b64 s[22:23], s[24:25], exec
.LBB491_76:
	s_or_b64 exec, exec, s[20:21]
	s_and_b64 s[24:25], s[4:5], exec
	s_and_b64 s[20:21], s[22:23], exec
.LBB491_77:
	s_or_b64 exec, exec, s[18:19]
	s_and_b64 s[4:5], s[24:25], exec
	s_and_b64 s[18:19], s[20:21], exec
.LBB491_78:
	s_or_b64 exec, exec, s[16:17]
	s_and_b64 s[16:17], s[4:5], exec
	s_and_b64 s[18:19], s[18:19], exec
.LBB491_79:
	s_or_b64 exec, exec, s[14:15]
	s_and_b64 vcc, exec, s[12:13]
	v_lshlrev_b32_e32 v52, 2, v0
	s_cbranch_vccnz .LBB491_81
	s_branch .LBB491_86
.LBB491_80:
	s_mov_b64 s[18:19], 0
                                        ; implicit-def: $sgpr16_sgpr17
                                        ; implicit-def: $vgpr2_vgpr3_vgpr4_vgpr5_vgpr6_vgpr7_vgpr8_vgpr9
                                        ; implicit-def: $vgpr10_vgpr11_vgpr12_vgpr13_vgpr14_vgpr15_vgpr16_vgpr17
                                        ; implicit-def: $vgpr18_vgpr19_vgpr20_vgpr21_vgpr22_vgpr23_vgpr24_vgpr25
                                        ; implicit-def: $vgpr46
                                        ; implicit-def: $vgpr40_vgpr41
	s_and_b64 vcc, exec, s[12:13]
	v_lshlrev_b32_e32 v52, 2, v0
	s_cbranch_vccz .LBB491_86
.LBB491_81:
	v_add_co_u32_e32 v2, vcc, v42, v52
	v_addc_co_u32_e32 v3, vcc, 0, v43, vcc
	v_add_co_u32_e32 v4, vcc, 0x1000, v2
	v_addc_co_u32_e32 v5, vcc, 0, v3, vcc
	flat_load_dword v6, v[2:3]
	flat_load_dword v7, v[2:3] offset:1024
	flat_load_dword v8, v[2:3] offset:2048
	;; [unrolled: 1-line block ×3, first 2 shown]
	flat_load_dword v10, v[4:5]
	flat_load_dword v11, v[4:5] offset:1024
	flat_load_dword v12, v[4:5] offset:2048
	;; [unrolled: 1-line block ×3, first 2 shown]
	v_add_co_u32_e32 v4, vcc, 0x2000, v2
	v_addc_co_u32_e32 v5, vcc, 0, v3, vcc
	v_add_co_u32_e32 v2, vcc, 0x3000, v2
	v_addc_co_u32_e32 v3, vcc, 0, v3, vcc
	flat_load_dword v14, v[4:5]
	flat_load_dword v15, v[4:5] offset:1024
	flat_load_dword v16, v[4:5] offset:2048
	;; [unrolled: 1-line block ×3, first 2 shown]
	flat_load_dword v18, v[2:3]
	flat_load_dword v19, v[2:3] offset:1024
	v_add_co_u32_e32 v2, vcc, 0x3000, v42
	v_addc_co_u32_e32 v3, vcc, 0, v43, vcc
	s_movk_i32 s6, 0xffcc
	s_movk_i32 s9, 0x1000
	s_mov_b32 s4, 0
	s_movk_i32 s8, 0x2000
	s_movk_i32 s5, 0x3000
	s_waitcnt vmcnt(0) lgkmcnt(0)
	ds_write2st64_b32 v52, v6, v7 offset1:4
	ds_write2st64_b32 v52, v8, v9 offset0:8 offset1:12
	ds_write2st64_b32 v52, v10, v11 offset0:16 offset1:20
	;; [unrolled: 1-line block ×6, first 2 shown]
	s_waitcnt lgkmcnt(0)
	s_barrier
	flat_load_dword v34, v[2:3] offset:2048
	v_mad_u32_u24 v6, v0, 52, v52
	v_mad_i32_i24 v2, v0, s6, v6
	s_movk_i32 s6, 0xff
	v_cmp_ne_u32_e32 vcc, s6, v0
	ds_read2_b32 v[26:27], v6 offset1:13
	ds_read2_b32 v[18:19], v6 offset0:7 offset1:8
	ds_read2_b32 v[20:21], v6 offset0:5 offset1:6
	ds_read2_b32 v[10:11], v6 offset0:3 offset1:4
	ds_read2_b32 v[12:13], v6 offset0:1 offset1:2
	ds_read2_b32 v[30:31], v6 offset0:11 offset1:12
	ds_read2_b32 v[28:29], v6 offset0:9 offset1:10
	s_waitcnt lgkmcnt(0)
	ds_write_b32 v2, v26 offset:15360
	s_waitcnt lgkmcnt(0)
	s_barrier
	s_and_saveexec_b64 s[6:7], vcc
	s_cbranch_execz .LBB491_83
; %bb.82:
	s_waitcnt vmcnt(0)
	ds_read_b32 v34, v52 offset:15364
.LBB491_83:
	s_or_b64 exec, exec, s[6:7]
	v_add_co_u32_e32 v2, vcc, v1, v52
	v_addc_co_u32_e32 v3, vcc, 0, v48, vcc
	v_add_co_u32_e32 v4, vcc, s9, v2
	v_addc_co_u32_e32 v5, vcc, 0, v3, vcc
	s_waitcnt lgkmcnt(0)
	s_barrier
	flat_load_dword v1, v[2:3]
	flat_load_dword v7, v[2:3] offset:1024
	flat_load_dword v8, v[2:3] offset:2048
	;; [unrolled: 1-line block ×3, first 2 shown]
	flat_load_dword v14, v[4:5]
	flat_load_dword v15, v[4:5] offset:1024
	flat_load_dword v16, v[4:5] offset:2048
	;; [unrolled: 1-line block ×3, first 2 shown]
	v_add_co_u32_e32 v4, vcc, s8, v2
	v_addc_co_u32_e32 v5, vcc, 0, v3, vcc
	v_add_co_u32_e32 v2, vcc, s5, v2
	v_addc_co_u32_e32 v3, vcc, 0, v3, vcc
	flat_load_dword v22, v[4:5]
	flat_load_dword v23, v[4:5] offset:1024
	flat_load_dword v24, v[4:5] offset:2048
	;; [unrolled: 1-line block ×3, first 2 shown]
	flat_load_dword v32, v[2:3]
	flat_load_dword v33, v[2:3] offset:1024
	s_mov_b32 s5, 1
	v_cmp_eq_u32_e32 vcc, v26, v12
	v_pk_mov_b32 v[40:41], s[4:5], s[4:5] op_sel:[0,1]
	s_waitcnt vmcnt(0) lgkmcnt(0)
	ds_write2st64_b32 v52, v1, v7 offset1:4
	ds_write2st64_b32 v52, v8, v9 offset0:8 offset1:12
	ds_write2st64_b32 v52, v14, v15 offset0:16 offset1:20
	;; [unrolled: 1-line block ×6, first 2 shown]
	s_waitcnt lgkmcnt(0)
	s_barrier
	ds_read2_b32 v[24:25], v6 offset0:7 offset1:8
	ds_read2_b32 v[14:15], v6 offset0:5 offset1:6
	;; [unrolled: 1-line block ×4, first 2 shown]
	ds_read_b32 v1, v6 offset:52
	ds_read2_b32 v[22:23], v6 offset0:11 offset1:12
	ds_read2_b32 v[32:33], v6 offset0:9 offset1:10
	v_mov_b32_e32 v7, s54
	s_and_saveexec_b64 s[4:5], vcc
	s_cbranch_execz .LBB491_85
; %bb.84:
	ds_read_b32 v7, v6
	v_pk_mov_b32 v[40:41], 0, 0
.LBB491_85:
	s_or_b64 exec, exec, s[4:5]
	v_mov_b32_e32 v26, s54
	v_cmp_eq_u32_e32 vcc, v12, v13
	s_waitcnt lgkmcnt(3)
	v_cndmask_b32_e32 v8, v26, v4, vcc
	v_cmp_eq_u32_e32 vcc, v13, v10
	v_cndmask_b32_e32 v6, v26, v5, vcc
	v_cmp_eq_u32_e32 vcc, v10, v11
	;; [unrolled: 2-line block ×3, first 2 shown]
	v_cndmask_b32_e32 v2, v26, v3, vcc
	v_cmp_ne_u32_e32 vcc, v12, v13
	v_cndmask_b32_e64 v9, 0, 1, vcc
	v_cmp_ne_u32_e32 vcc, v13, v10
	s_waitcnt lgkmcnt(0)
	v_or_b32_e32 v40, v40, v7
	v_cndmask_b32_e64 v7, 0, 1, vcc
	v_cmp_ne_u32_e32 vcc, v10, v11
	v_cndmask_b32_e64 v5, 0, 1, vcc
	v_cmp_ne_u32_e32 vcc, v11, v20
	v_cndmask_b32_e64 v3, 0, 1, vcc
	v_cmp_eq_u32_e32 vcc, v20, v21
	v_cndmask_b32_e32 v16, v26, v14, vcc
	v_cmp_eq_u32_e32 vcc, v21, v18
	v_cndmask_b32_e32 v14, v26, v15, vcc
	;; [unrolled: 2-line block ×4, first 2 shown]
	v_cmp_ne_u32_e32 vcc, v20, v21
	v_cndmask_b32_e64 v17, 0, 1, vcc
	v_cmp_ne_u32_e32 vcc, v21, v18
	v_cndmask_b32_e64 v15, 0, 1, vcc
	;; [unrolled: 2-line block ×4, first 2 shown]
	v_cmp_eq_u32_e32 vcc, v31, v27
	v_cndmask_b32_e32 v24, v26, v23, vcc
	v_cmp_eq_u32_e32 vcc, v30, v31
	v_cndmask_b32_e32 v22, v26, v22, vcc
	;; [unrolled: 2-line block ×4, first 2 shown]
	v_cmp_ne_u32_e32 vcc, v31, v27
	v_cndmask_b32_e64 v25, 0, 1, vcc
	v_cmp_ne_u32_e32 vcc, v30, v31
	v_cndmask_b32_e64 v23, 0, 1, vcc
	;; [unrolled: 2-line block ×3, first 2 shown]
	v_cmp_ne_u32_e32 vcc, v28, v29
	v_cmp_ne_u32_e64 s[16:17], v27, v34
	v_cndmask_b32_e64 v19, 0, 1, vcc
	v_cndmask_b32_e64 v46, v1, v26, s[16:17]
	s_mov_b64 s[18:19], -1
                                        ; implicit-def: $sgpr12_sgpr13
.LBB491_86:
	v_pk_mov_b32 v[42:43], s[12:13], s[12:13] op_sel:[0,1]
	s_and_saveexec_b64 s[4:5], s[18:19]
; %bb.87:
	v_cndmask_b32_e64 v47, 0, 1, s[16:17]
	v_pk_mov_b32 v[42:43], v[46:47], v[46:47] op_sel:[0,1]
; %bb.88:
	s_or_b64 exec, exec, s[4:5]
	s_mov_b32 s28, 0
	s_cmp_lg_u32 s47, 0
	v_mbcnt_lo_u32_b32 v54, -1, 0
	v_lshrrev_b32_e32 v1, 6, v0
	v_or_b32_e32 v53, 63, v0
	s_barrier
	s_cbranch_scc0 .LBB491_129
; %bb.89:
	s_mov_b32 s29, 1
	v_cmp_gt_u64_e64 s[4:5], s[28:29], v[8:9]
	v_cndmask_b32_e64 v27, 0, v40, s[4:5]
	v_add_u32_e32 v27, v27, v8
	v_cmp_gt_u64_e64 s[6:7], s[28:29], v[6:7]
	v_cndmask_b32_e64 v27, 0, v27, s[6:7]
	v_add_u32_e32 v27, v27, v6
	;; [unrolled: 3-line block ×12, first 2 shown]
	v_cmp_gt_u64_e32 vcc, s[28:29], v[42:43]
	v_cndmask_b32_e32 v27, 0, v27, vcc
	v_add_u32_e32 v28, v27, v42
	v_or3_b32 v27, v43, v25, v23
	v_or3_b32 v27, v27, v21, v19
	v_or3_b32 v27, v27, v11, v13
	v_or3_b32 v27, v27, v15, v17
	v_or3_b32 v27, v27, v3, v5
	v_or3_b32 v27, v27, v7, v9
	v_mov_b32_e32 v26, 0
	v_and_b32_e32 v27, 1, v27
	v_cmp_eq_u64_e32 vcc, 0, v[26:27]
	v_cndmask_b32_e32 v27, 1, v41, vcc
	v_and_b32_e32 v29, 0xff, v27
	v_mov_b32_dpp v31, v28 row_shr:1 row_mask:0xf bank_mask:0xf
	v_cmp_eq_u16_e32 vcc, 0, v29
	v_mov_b32_dpp v32, v29 row_shr:1 row_mask:0xf bank_mask:0xf
	v_and_b32_e32 v33, 1, v27
	v_mbcnt_hi_u32_b32 v48, -1, v54
	v_cndmask_b32_e32 v31, 0, v31, vcc
	v_and_b32_e32 v32, 1, v32
	v_cmp_eq_u32_e32 vcc, 1, v33
	v_and_b32_e32 v30, 15, v48
	v_cndmask_b32_e64 v32, v32, 1, vcc
	v_and_b32_e32 v33, 0xffff, v32
	v_cmp_eq_u32_e32 vcc, 0, v30
	v_cndmask_b32_e32 v27, v32, v27, vcc
	v_cndmask_b32_e32 v29, v33, v29, vcc
	v_and_b32_e32 v33, 1, v27
	v_cndmask_b32_e64 v31, v31, 0, vcc
	v_mov_b32_dpp v32, v29 row_shr:2 row_mask:0xf bank_mask:0xf
	v_and_b32_e32 v32, 1, v32
	v_cmp_eq_u32_e32 vcc, 1, v33
	v_cndmask_b32_e64 v32, v32, 1, vcc
	v_and_b32_e32 v33, 0xffff, v32
	v_cmp_lt_u32_e32 vcc, 1, v30
	v_add_u32_e32 v28, v31, v28
	v_cmp_eq_u16_sdwa s[28:29], v27, v26 src0_sel:BYTE_0 src1_sel:DWORD
	v_cndmask_b32_e32 v27, v27, v32, vcc
	v_cndmask_b32_e32 v29, v29, v33, vcc
	v_mov_b32_dpp v31, v28 row_shr:2 row_mask:0xf bank_mask:0xf
	s_and_b64 vcc, vcc, s[28:29]
	v_mov_b32_dpp v32, v29 row_shr:4 row_mask:0xf bank_mask:0xf
	v_and_b32_e32 v33, 1, v27
	v_cndmask_b32_e32 v31, 0, v31, vcc
	v_and_b32_e32 v32, 1, v32
	v_cmp_eq_u32_e32 vcc, 1, v33
	v_cndmask_b32_e64 v32, v32, 1, vcc
	v_and_b32_e32 v33, 0xffff, v32
	v_cmp_lt_u32_e32 vcc, 3, v30
	v_add_u32_e32 v28, v31, v28
	v_cmp_eq_u16_sdwa s[28:29], v27, v26 src0_sel:BYTE_0 src1_sel:DWORD
	v_cndmask_b32_e32 v27, v27, v32, vcc
	v_cndmask_b32_e32 v29, v29, v33, vcc
	v_mov_b32_dpp v31, v28 row_shr:4 row_mask:0xf bank_mask:0xf
	s_and_b64 vcc, vcc, s[28:29]
	v_mov_b32_dpp v32, v29 row_shr:8 row_mask:0xf bank_mask:0xf
	v_and_b32_e32 v33, 1, v27
	v_cndmask_b32_e32 v31, 0, v31, vcc
	v_and_b32_e32 v32, 1, v32
	v_cmp_eq_u32_e32 vcc, 1, v33
	v_cndmask_b32_e64 v32, v32, 1, vcc
	v_add_u32_e32 v28, v31, v28
	v_cmp_eq_u16_sdwa s[28:29], v27, v26 src0_sel:BYTE_0 src1_sel:DWORD
	v_and_b32_e32 v33, 0xffff, v32
	v_cmp_lt_u32_e32 vcc, 7, v30
	v_mov_b32_dpp v31, v28 row_shr:8 row_mask:0xf bank_mask:0xf
	v_cndmask_b32_e32 v27, v27, v32, vcc
	v_cndmask_b32_e32 v29, v29, v33, vcc
	s_and_b64 vcc, vcc, s[28:29]
	v_cndmask_b32_e32 v30, 0, v31, vcc
	v_add_u32_e32 v28, v30, v28
	v_mov_b32_dpp v31, v29 row_bcast:15 row_mask:0xf bank_mask:0xf
	v_cmp_eq_u16_sdwa vcc, v27, v26 src0_sel:BYTE_0 src1_sel:DWORD
	v_mov_b32_dpp v30, v28 row_bcast:15 row_mask:0xf bank_mask:0xf
	v_and_b32_e32 v34, 1, v27
	v_cndmask_b32_e32 v30, 0, v30, vcc
	v_and_b32_e32 v31, 1, v31
	v_cmp_eq_u32_e32 vcc, 1, v34
	v_and_b32_e32 v33, 16, v48
	v_cndmask_b32_e64 v31, v31, 1, vcc
	v_and_b32_e32 v34, 0xffff, v31
	v_cmp_eq_u32_e32 vcc, 0, v33
	v_cndmask_b32_e32 v27, v31, v27, vcc
	v_cndmask_b32_e32 v29, v34, v29, vcc
	v_bfe_i32 v32, v48, 4, 1
	v_cmp_eq_u16_sdwa s[28:29], v27, v26 src0_sel:BYTE_0 src1_sel:DWORD
	v_mov_b32_dpp v29, v29 row_bcast:31 row_mask:0xf bank_mask:0xf
	v_and_b32_e32 v26, 1, v27
	v_and_b32_e32 v30, v32, v30
	;; [unrolled: 1-line block ×3, first 2 shown]
	v_cmp_eq_u32_e32 vcc, 1, v26
	v_add_u32_e32 v28, v30, v28
	v_cndmask_b32_e64 v26, v29, 1, vcc
	v_cmp_lt_u32_e32 vcc, 31, v48
	v_mov_b32_dpp v30, v28 row_bcast:31 row_mask:0xf bank_mask:0xf
	v_cndmask_b32_e32 v29, v27, v26, vcc
	s_and_b64 vcc, vcc, s[28:29]
	v_cndmask_b32_e32 v26, 0, v30, vcc
	v_add_u32_e32 v28, v26, v28
	v_cmp_eq_u32_e32 vcc, v53, v0
	s_and_saveexec_b64 s[28:29], vcc
	s_cbranch_execz .LBB491_91
; %bb.90:
	v_lshlrev_b32_e32 v26, 3, v1
	ds_write_b32 v26, v28
	ds_write_b8 v26, v29 offset:4
.LBB491_91:
	s_or_b64 exec, exec, s[28:29]
	v_cmp_gt_u32_e32 vcc, 4, v0
	s_waitcnt lgkmcnt(0)
	s_barrier
	s_and_saveexec_b64 s[28:29], vcc
	s_cbranch_execz .LBB491_95
; %bb.92:
	v_lshlrev_b32_e32 v30, 3, v0
	ds_read_b64 v[26:27], v30
	v_and_b32_e32 v31, 3, v48
	v_cmp_ne_u32_e32 vcc, 0, v31
	s_waitcnt lgkmcnt(0)
	v_mov_b32_dpp v32, v26 row_shr:1 row_mask:0xf bank_mask:0xf
	v_mov_b32_dpp v34, v27 row_shr:1 row_mask:0xf bank_mask:0xf
	v_mov_b32_e32 v33, v27
	s_and_saveexec_b64 s[30:31], vcc
	s_cbranch_execz .LBB491_94
; %bb.93:
	v_and_b32_e32 v33, 1, v27
	v_and_b32_e32 v34, 1, v34
	v_cmp_eq_u32_e32 vcc, 1, v33
	v_mov_b32_e32 v33, 0
	v_cndmask_b32_e64 v34, v34, 1, vcc
	v_cmp_eq_u16_sdwa vcc, v27, v33 src0_sel:BYTE_0 src1_sel:DWORD
	v_cndmask_b32_e32 v32, 0, v32, vcc
	v_add_u32_e32 v26, v32, v26
	v_and_b32_e32 v32, 0xffff, v34
	s_movk_i32 s36, 0xff00
	v_and_or_b32 v33, v27, s36, v32
	v_mov_b32_e32 v27, v34
.LBB491_94:
	s_or_b64 exec, exec, s[30:31]
	v_mov_b32_dpp v33, v33 row_shr:2 row_mask:0xf bank_mask:0xf
	v_and_b32_e32 v34, 1, v27
	v_and_b32_e32 v33, 1, v33
	v_cmp_eq_u32_e32 vcc, 1, v34
	v_mov_b32_e32 v34, 0
	v_cndmask_b32_e64 v33, v33, 1, vcc
	v_cmp_eq_u16_sdwa s[30:31], v27, v34 src0_sel:BYTE_0 src1_sel:DWORD
	v_cmp_lt_u32_e32 vcc, 1, v31
	v_mov_b32_dpp v32, v26 row_shr:2 row_mask:0xf bank_mask:0xf
	v_cndmask_b32_e32 v27, v27, v33, vcc
	s_and_b64 vcc, vcc, s[30:31]
	v_cndmask_b32_e32 v31, 0, v32, vcc
	v_add_u32_e32 v26, v31, v26
	ds_write_b32 v30, v26
	ds_write_b8 v30, v27 offset:4
.LBB491_95:
	s_or_b64 exec, exec, s[28:29]
	v_cmp_gt_u32_e32 vcc, 64, v0
	v_cmp_lt_u32_e64 s[28:29], 63, v0
	v_mov_b32_e32 v44, 0
	v_mov_b32_e32 v45, 0
	s_waitcnt lgkmcnt(0)
	s_barrier
	s_and_saveexec_b64 s[30:31], s[28:29]
	s_cbranch_execz .LBB491_97
; %bb.96:
	v_lshl_add_u32 v26, v1, 3, -8
	ds_read_b32 v44, v26
	ds_read_u8 v45, v26 offset:4
	v_mov_b32_e32 v27, 0
	v_and_b32_e32 v30, 1, v29
	v_cmp_eq_u16_sdwa s[28:29], v29, v27 src0_sel:BYTE_0 src1_sel:DWORD
	s_waitcnt lgkmcnt(1)
	v_cndmask_b32_e64 v26, 0, v44, s[28:29]
	v_cmp_eq_u32_e64 s[28:29], 1, v30
	v_add_u32_e32 v28, v26, v28
	s_waitcnt lgkmcnt(0)
	v_cndmask_b32_e64 v29, v45, 1, s[28:29]
.LBB491_97:
	s_or_b64 exec, exec, s[30:31]
	v_and_b32_e32 v26, 0xff, v29
	v_add_u32_e32 v27, -1, v48
	v_and_b32_e32 v29, 64, v48
	v_cmp_lt_i32_e64 s[28:29], v27, v29
	v_cndmask_b32_e64 v27, v27, v48, s[28:29]
	v_lshlrev_b32_e32 v27, 2, v27
	ds_bpermute_b32 v46, v27, v28
	ds_bpermute_b32 v47, v27, v26
	v_cmp_eq_u32_e64 s[28:29], 0, v48
	s_and_saveexec_b64 s[36:37], vcc
	s_cbranch_execz .LBB491_116
; %bb.98:
	v_mov_b32_e32 v29, 0
	ds_read_b64 v[26:27], v29 offset:24
	s_waitcnt lgkmcnt(0)
	v_readfirstlane_b32 s48, v27
	s_and_saveexec_b64 s[30:31], s[28:29]
	s_cbranch_execz .LBB491_100
; %bb.99:
	s_add_i32 s38, s47, 64
	s_mov_b32 s39, 0
	s_lshl_b64 s[40:41], s[38:39], 4
	s_add_u32 s40, s44, s40
	s_addc_u32 s41, s45, s41
	s_and_b32 s57, s48, 0xff000000
	s_mov_b32 s56, s39
	s_and_b32 s59, s48, 0xff0000
	s_mov_b32 s58, s39
	s_or_b64 s[56:57], s[58:59], s[56:57]
	s_and_b32 s59, s48, 0xff00
	s_or_b64 s[56:57], s[56:57], s[58:59]
	s_and_b32 s59, s48, 0xff
	s_or_b64 s[38:39], s[56:57], s[58:59]
	v_mov_b32_e32 v27, s39
	v_mov_b32_e32 v28, 1
	v_pk_mov_b32 v[30:31], s[40:41], s[40:41] op_sel:[0,1]
	;;#ASMSTART
	global_store_dwordx4 v[30:31], v[26:29] off	
s_waitcnt vmcnt(0)
	;;#ASMEND
.LBB491_100:
	s_or_b64 exec, exec, s[30:31]
	v_xad_u32 v34, v48, -1, s47
	v_add_u32_e32 v28, 64, v34
	v_lshlrev_b64 v[30:31], 4, v[28:29]
	v_mov_b32_e32 v27, s45
	v_add_co_u32_e32 v36, vcc, s44, v30
	v_addc_co_u32_e32 v37, vcc, v27, v31, vcc
	;;#ASMSTART
	global_load_dwordx4 v[30:33], v[36:37] off glc	
s_waitcnt vmcnt(0)
	;;#ASMEND
	v_and_b32_e32 v27, 0xff0000, v30
	v_or_b32_sdwa v27, v30, v27 dst_sel:DWORD dst_unused:UNUSED_PAD src0_sel:WORD_0 src1_sel:DWORD
	v_and_b32_e32 v28, 0xff000000, v30
	v_and_b32_e32 v30, 0xff, v31
	v_or3_b32 v31, 0, 0, v30
	v_or3_b32 v30, v27, v28, 0
	v_cmp_eq_u16_sdwa s[38:39], v32, v29 src0_sel:BYTE_0 src1_sel:DWORD
	s_and_saveexec_b64 s[30:31], s[38:39]
	s_cbranch_execz .LBB491_104
; %bb.101:
	s_mov_b64 s[38:39], 0
	v_mov_b32_e32 v27, 0
.LBB491_102:                            ; =>This Inner Loop Header: Depth=1
	;;#ASMSTART
	global_load_dwordx4 v[30:33], v[36:37] off glc	
s_waitcnt vmcnt(0)
	;;#ASMEND
	v_cmp_ne_u16_sdwa s[40:41], v32, v27 src0_sel:BYTE_0 src1_sel:DWORD
	s_or_b64 s[38:39], s[40:41], s[38:39]
	s_andn2_b64 exec, exec, s[38:39]
	s_cbranch_execnz .LBB491_102
; %bb.103:
	s_or_b64 exec, exec, s[38:39]
	v_and_b32_e32 v31, 0xff, v31
.LBB491_104:
	s_or_b64 exec, exec, s[30:31]
	v_mov_b32_e32 v27, 2
	v_cmp_eq_u16_sdwa s[30:31], v32, v27 src0_sel:BYTE_0 src1_sel:DWORD
	v_lshlrev_b64 v[28:29], v48, -1
	v_and_b32_e32 v33, s31, v29
	v_or_b32_e32 v33, 0x80000000, v33
	v_and_b32_e32 v35, s30, v28
	v_ffbl_b32_e32 v33, v33
	v_and_b32_e32 v49, 63, v48
	v_add_u32_e32 v33, 32, v33
	v_ffbl_b32_e32 v35, v35
	v_cmp_ne_u32_e32 vcc, 63, v49
	v_min_u32_e32 v33, v35, v33
	v_addc_co_u32_e32 v35, vcc, 0, v48, vcc
	v_lshlrev_b32_e32 v50, 2, v35
	ds_bpermute_b32 v35, v50, v31
	ds_bpermute_b32 v36, v50, v30
	s_mov_b32 s38, 0
	v_and_b32_e32 v37, 1, v31
	s_mov_b32 s39, 1
	s_waitcnt lgkmcnt(1)
	v_and_b32_e32 v35, 1, v35
	v_cmp_eq_u32_e32 vcc, 1, v37
	v_cndmask_b32_e64 v35, v35, 1, vcc
	v_cmp_gt_u64_e32 vcc, s[38:39], v[30:31]
	v_cmp_lt_u32_e64 s[30:31], v49, v33
	s_and_b64 vcc, s[30:31], vcc
	v_and_b32_e32 v37, 0xffff, v35
	v_cndmask_b32_e64 v56, v31, v35, s[30:31]
	s_waitcnt lgkmcnt(0)
	v_cndmask_b32_e32 v35, 0, v36, vcc
	v_cmp_gt_u32_e32 vcc, 62, v49
	v_cndmask_b32_e64 v36, 0, 1, vcc
	v_lshlrev_b32_e32 v36, 1, v36
	v_cndmask_b32_e64 v31, v31, v37, s[30:31]
	v_add_lshl_u32 v51, v36, v48, 2
	ds_bpermute_b32 v36, v51, v31
	v_add_u32_e32 v30, v35, v30
	ds_bpermute_b32 v37, v51, v30
	v_and_b32_e32 v35, 1, v56
	v_cmp_eq_u32_e32 vcc, 1, v35
	s_waitcnt lgkmcnt(1)
	v_and_b32_e32 v36, 1, v36
	v_mov_b32_e32 v35, 0
	v_add_u32_e32 v55, 2, v49
	v_cndmask_b32_e64 v36, v36, 1, vcc
	v_cmp_eq_u16_sdwa vcc, v56, v35 src0_sel:BYTE_0 src1_sel:DWORD
	v_and_b32_e32 v57, 0xffff, v36
	s_waitcnt lgkmcnt(0)
	v_cndmask_b32_e32 v37, 0, v37, vcc
	v_cmp_gt_u32_e32 vcc, v55, v33
	v_cndmask_b32_e32 v36, v36, v56, vcc
	v_cndmask_b32_e64 v37, v37, 0, vcc
	v_cndmask_b32_e32 v31, v57, v31, vcc
	v_cmp_gt_u32_e32 vcc, 60, v49
	v_cndmask_b32_e64 v56, 0, 1, vcc
	v_lshlrev_b32_e32 v56, 2, v56
	v_add_lshl_u32 v56, v56, v48, 2
	ds_bpermute_b32 v58, v56, v31
	v_add_u32_e32 v30, v37, v30
	ds_bpermute_b32 v37, v56, v30
	v_and_b32_e32 v59, 1, v36
	v_cmp_eq_u32_e32 vcc, 1, v59
	s_waitcnt lgkmcnt(1)
	v_and_b32_e32 v58, 1, v58
	v_add_u32_e32 v57, 4, v49
	v_cndmask_b32_e64 v58, v58, 1, vcc
	v_cmp_eq_u16_sdwa vcc, v36, v35 src0_sel:BYTE_0 src1_sel:DWORD
	v_and_b32_e32 v59, 0xffff, v58
	s_waitcnt lgkmcnt(0)
	v_cndmask_b32_e32 v37, 0, v37, vcc
	v_cmp_gt_u32_e32 vcc, v57, v33
	v_cndmask_b32_e32 v36, v58, v36, vcc
	v_cndmask_b32_e64 v37, v37, 0, vcc
	v_cndmask_b32_e32 v31, v59, v31, vcc
	v_cmp_gt_u32_e32 vcc, 56, v49
	v_cndmask_b32_e64 v58, 0, 1, vcc
	v_lshlrev_b32_e32 v58, 3, v58
	v_add_lshl_u32 v58, v58, v48, 2
	ds_bpermute_b32 v60, v58, v31
	v_add_u32_e32 v30, v37, v30
	ds_bpermute_b32 v37, v58, v30
	v_and_b32_e32 v61, 1, v36
	v_cmp_eq_u32_e32 vcc, 1, v61
	s_waitcnt lgkmcnt(1)
	v_and_b32_e32 v60, 1, v60
	v_add_u32_e32 v59, 8, v49
	v_cndmask_b32_e64 v60, v60, 1, vcc
	v_cmp_eq_u16_sdwa vcc, v36, v35 src0_sel:BYTE_0 src1_sel:DWORD
	v_and_b32_e32 v61, 0xffff, v60
	s_waitcnt lgkmcnt(0)
	v_cndmask_b32_e32 v37, 0, v37, vcc
	v_cmp_gt_u32_e32 vcc, v59, v33
	v_cndmask_b32_e32 v36, v60, v36, vcc
	v_cndmask_b32_e64 v37, v37, 0, vcc
	v_cndmask_b32_e32 v31, v61, v31, vcc
	v_cmp_gt_u32_e32 vcc, 48, v49
	v_cndmask_b32_e64 v60, 0, 1, vcc
	v_lshlrev_b32_e32 v60, 4, v60
	v_add_lshl_u32 v60, v60, v48, 2
	ds_bpermute_b32 v62, v60, v31
	v_add_u32_e32 v30, v37, v30
	ds_bpermute_b32 v37, v60, v30
	v_and_b32_e32 v63, 1, v36
	v_cmp_eq_u32_e32 vcc, 1, v63
	s_waitcnt lgkmcnt(1)
	v_and_b32_e32 v62, 1, v62
	v_add_u32_e32 v61, 16, v49
	v_cndmask_b32_e64 v62, v62, 1, vcc
	v_cmp_eq_u16_sdwa vcc, v36, v35 src0_sel:BYTE_0 src1_sel:DWORD
	v_and_b32_e32 v63, 0xffff, v62
	s_waitcnt lgkmcnt(0)
	v_cndmask_b32_e32 v37, 0, v37, vcc
	v_cmp_gt_u32_e32 vcc, v61, v33
	v_cndmask_b32_e32 v36, v62, v36, vcc
	v_cndmask_b32_e64 v37, v37, 0, vcc
	v_cndmask_b32_e32 v31, v63, v31, vcc
	v_cmp_gt_u32_e32 vcc, 32, v49
	v_cndmask_b32_e64 v62, 0, 1, vcc
	v_lshlrev_b32_e32 v62, 5, v62
	v_add_lshl_u32 v63, v62, v48, 2
	ds_bpermute_b32 v31, v63, v31
	v_add_u32_e32 v30, v37, v30
	ds_bpermute_b32 v37, v63, v30
	v_and_b32_e32 v48, 1, v36
	v_cmp_eq_u32_e32 vcc, 1, v48
	s_waitcnt lgkmcnt(1)
	v_and_b32_e32 v31, 1, v31
	v_add_u32_e32 v64, 32, v49
	v_cndmask_b32_e64 v31, v31, 1, vcc
	v_cmp_eq_u16_sdwa vcc, v36, v35 src0_sel:BYTE_0 src1_sel:DWORD
	s_waitcnt lgkmcnt(0)
	v_cndmask_b32_e32 v37, 0, v37, vcc
	v_cmp_gt_u32_e32 vcc, v64, v33
	v_cndmask_b32_e64 v33, v37, 0, vcc
	v_cndmask_b32_e32 v31, v31, v36, vcc
	v_add_u32_e32 v30, v33, v30
	s_branch .LBB491_106
.LBB491_105:                            ;   in Loop: Header=BB491_106 Depth=1
	s_or_b64 exec, exec, s[30:31]
	v_cmp_eq_u16_sdwa s[30:31], v32, v27 src0_sel:BYTE_0 src1_sel:DWORD
	v_and_b32_e32 v33, s31, v29
	ds_bpermute_b32 v37, v50, v31
	v_or_b32_e32 v33, 0x80000000, v33
	v_and_b32_e32 v36, s30, v28
	v_ffbl_b32_e32 v33, v33
	v_add_u32_e32 v33, 32, v33
	v_ffbl_b32_e32 v36, v36
	v_min_u32_e32 v33, v36, v33
	ds_bpermute_b32 v36, v50, v30
	v_and_b32_e32 v65, 1, v31
	s_waitcnt lgkmcnt(1)
	v_and_b32_e32 v37, 1, v37
	v_cmp_eq_u32_e32 vcc, 1, v65
	v_cndmask_b32_e64 v37, v37, 1, vcc
	v_cmp_gt_u64_e32 vcc, s[38:39], v[30:31]
	v_and_b32_e32 v65, 0xffff, v37
	v_cmp_lt_u32_e64 s[30:31], v49, v33
	v_cndmask_b32_e64 v37, v31, v37, s[30:31]
	v_cndmask_b32_e64 v31, v31, v65, s[30:31]
	s_and_b64 vcc, s[30:31], vcc
	ds_bpermute_b32 v65, v51, v31
	s_waitcnt lgkmcnt(1)
	v_cndmask_b32_e32 v36, 0, v36, vcc
	v_add_u32_e32 v30, v36, v30
	ds_bpermute_b32 v36, v51, v30
	v_and_b32_e32 v66, 1, v37
	s_waitcnt lgkmcnt(1)
	v_and_b32_e32 v65, 1, v65
	v_cmp_eq_u32_e32 vcc, 1, v66
	v_cndmask_b32_e64 v65, v65, 1, vcc
	v_cmp_eq_u16_sdwa vcc, v37, v35 src0_sel:BYTE_0 src1_sel:DWORD
	v_and_b32_e32 v66, 0xffff, v65
	s_waitcnt lgkmcnt(0)
	v_cndmask_b32_e32 v36, 0, v36, vcc
	v_cmp_gt_u32_e32 vcc, v55, v33
	v_cndmask_b32_e32 v31, v66, v31, vcc
	v_cndmask_b32_e32 v37, v65, v37, vcc
	ds_bpermute_b32 v65, v56, v31
	v_cndmask_b32_e64 v36, v36, 0, vcc
	v_add_u32_e32 v30, v36, v30
	ds_bpermute_b32 v36, v56, v30
	v_and_b32_e32 v66, 1, v37
	s_waitcnt lgkmcnt(1)
	v_and_b32_e32 v65, 1, v65
	v_cmp_eq_u32_e32 vcc, 1, v66
	v_cndmask_b32_e64 v65, v65, 1, vcc
	v_cmp_eq_u16_sdwa vcc, v37, v35 src0_sel:BYTE_0 src1_sel:DWORD
	v_and_b32_e32 v66, 0xffff, v65
	s_waitcnt lgkmcnt(0)
	v_cndmask_b32_e32 v36, 0, v36, vcc
	v_cmp_gt_u32_e32 vcc, v57, v33
	v_cndmask_b32_e32 v31, v66, v31, vcc
	v_cndmask_b32_e32 v37, v65, v37, vcc
	ds_bpermute_b32 v65, v58, v31
	v_cndmask_b32_e64 v36, v36, 0, vcc
	;; [unrolled: 16-line block ×3, first 2 shown]
	v_add_u32_e32 v30, v36, v30
	ds_bpermute_b32 v36, v60, v30
	v_and_b32_e32 v66, 1, v37
	s_waitcnt lgkmcnt(1)
	v_and_b32_e32 v65, 1, v65
	v_cmp_eq_u32_e32 vcc, 1, v66
	v_cndmask_b32_e64 v65, v65, 1, vcc
	v_cmp_eq_u16_sdwa vcc, v37, v35 src0_sel:BYTE_0 src1_sel:DWORD
	v_and_b32_e32 v66, 0xffff, v65
	s_waitcnt lgkmcnt(0)
	v_cndmask_b32_e32 v36, 0, v36, vcc
	v_cmp_gt_u32_e32 vcc, v61, v33
	v_cndmask_b32_e64 v36, v36, 0, vcc
	v_cndmask_b32_e32 v31, v66, v31, vcc
	ds_bpermute_b32 v31, v63, v31
	v_add_u32_e32 v30, v36, v30
	ds_bpermute_b32 v36, v63, v30
	v_cndmask_b32_e32 v37, v65, v37, vcc
	v_and_b32_e32 v65, 1, v37
	v_cmp_eq_u32_e32 vcc, 1, v65
	s_waitcnt lgkmcnt(1)
	v_cndmask_b32_e64 v31, v31, 1, vcc
	v_cmp_eq_u16_sdwa vcc, v37, v35 src0_sel:BYTE_0 src1_sel:DWORD
	s_waitcnt lgkmcnt(0)
	v_cndmask_b32_e32 v36, 0, v36, vcc
	v_cmp_gt_u32_e32 vcc, v64, v33
	v_cndmask_b32_e64 v33, v36, 0, vcc
	v_cndmask_b32_e32 v31, v31, v37, vcc
	v_add_u32_e32 v30, v33, v30
	v_cmp_eq_u16_sdwa vcc, v48, v35 src0_sel:BYTE_0 src1_sel:DWORD
	v_and_b32_e32 v33, 1, v48
	v_cndmask_b32_e32 v30, 0, v30, vcc
	v_and_b32_e32 v31, 1, v31
	v_cmp_eq_u32_e32 vcc, 1, v33
	v_subrev_u32_e32 v34, 64, v34
	v_add_u32_e32 v30, v30, v62
	v_cndmask_b32_e64 v31, v31, 1, vcc
.LBB491_106:                            ; =>This Loop Header: Depth=1
                                        ;     Child Loop BB491_109 Depth 2
	v_cmp_ne_u16_sdwa s[30:31], v32, v27 src0_sel:BYTE_0 src1_sel:DWORD
	v_mov_b32_e32 v48, v31
	v_cndmask_b32_e64 v31, 0, 1, s[30:31]
	;;#ASMSTART
	;;#ASMEND
	v_cmp_ne_u32_e32 vcc, 0, v31
	s_cmp_lg_u64 vcc, exec
	v_mov_b32_e32 v62, v30
	s_cbranch_scc1 .LBB491_111
; %bb.107:                              ;   in Loop: Header=BB491_106 Depth=1
	v_lshlrev_b64 v[30:31], 4, v[34:35]
	v_mov_b32_e32 v32, s45
	v_add_co_u32_e32 v36, vcc, s44, v30
	v_addc_co_u32_e32 v37, vcc, v32, v31, vcc
	;;#ASMSTART
	global_load_dwordx4 v[30:33], v[36:37] off glc	
s_waitcnt vmcnt(0)
	;;#ASMEND
	v_and_b32_e32 v33, 0xff0000, v30
	v_or_b32_sdwa v33, v30, v33 dst_sel:DWORD dst_unused:UNUSED_PAD src0_sel:WORD_0 src1_sel:DWORD
	v_and_b32_e32 v30, 0xff000000, v30
	v_and_b32_e32 v31, 0xff, v31
	v_or3_b32 v31, 0, 0, v31
	v_or3_b32 v30, v33, v30, 0
	v_cmp_eq_u16_sdwa s[40:41], v32, v35 src0_sel:BYTE_0 src1_sel:DWORD
	s_and_saveexec_b64 s[30:31], s[40:41]
	s_cbranch_execz .LBB491_105
; %bb.108:                              ;   in Loop: Header=BB491_106 Depth=1
	s_mov_b64 s[40:41], 0
.LBB491_109:                            ;   Parent Loop BB491_106 Depth=1
                                        ; =>  This Inner Loop Header: Depth=2
	;;#ASMSTART
	global_load_dwordx4 v[30:33], v[36:37] off glc	
s_waitcnt vmcnt(0)
	;;#ASMEND
	v_cmp_ne_u16_sdwa s[56:57], v32, v35 src0_sel:BYTE_0 src1_sel:DWORD
	s_or_b64 s[40:41], s[56:57], s[40:41]
	s_andn2_b64 exec, exec, s[40:41]
	s_cbranch_execnz .LBB491_109
; %bb.110:                              ;   in Loop: Header=BB491_106 Depth=1
	s_or_b64 exec, exec, s[40:41]
	v_and_b32_e32 v31, 0xff, v31
	s_branch .LBB491_105
.LBB491_111:                            ;   in Loop: Header=BB491_106 Depth=1
                                        ; implicit-def: $vgpr31
                                        ; implicit-def: $vgpr30
                                        ; implicit-def: $vgpr32
	s_cbranch_execz .LBB491_106
; %bb.112:
	s_and_saveexec_b64 s[30:31], s[28:29]
	s_cbranch_execz .LBB491_114
; %bb.113:
	s_and_b32 s38, s48, 0xff
	s_cmp_eq_u32 s38, 0
	s_cselect_b64 vcc, -1, 0
	s_bitcmp1_b32 s48, 0
	s_mov_b32 s39, 0
	s_cselect_b64 s[40:41], -1, 0
	s_add_i32 s38, s47, 64
	s_lshl_b64 s[38:39], s[38:39], 4
	v_cndmask_b32_e32 v27, 0, v62, vcc
	s_add_u32 s38, s44, s38
	v_add_u32_e32 v26, v27, v26
	v_and_b32_e32 v27, 1, v48
	s_addc_u32 s39, s45, s39
	v_mov_b32_e32 v29, 0
	v_cndmask_b32_e64 v27, v27, 1, s[40:41]
	v_mov_b32_e32 v28, 2
	v_pk_mov_b32 v[30:31], s[38:39], s[38:39] op_sel:[0,1]
	;;#ASMSTART
	global_store_dwordx4 v[30:31], v[26:29] off	
s_waitcnt vmcnt(0)
	;;#ASMEND
.LBB491_114:
	s_or_b64 exec, exec, s[30:31]
	s_and_b64 exec, exec, s[0:1]
	s_cbranch_execz .LBB491_116
; %bb.115:
	v_mov_b32_e32 v26, 0
	ds_write_b32 v26, v62 offset:24
	ds_write_b8 v26, v48 offset:28
.LBB491_116:
	s_or_b64 exec, exec, s[36:37]
	v_mov_b32_e32 v28, 0
	s_waitcnt lgkmcnt(0)
	s_barrier
	ds_read_b32 v26, v28 offset:24
	v_cndmask_b32_e64 v27, v47, v45, s[28:29]
	v_cmp_eq_u16_sdwa vcc, v27, v28 src0_sel:BYTE_0 src1_sel:DWORD
	v_cndmask_b32_e64 v29, v46, v44, s[28:29]
	s_waitcnt lgkmcnt(0)
	v_cndmask_b32_e32 v27, 0, v26, vcc
	v_add_u32_e32 v27, v27, v29
	v_and_b32_e32 v29, 0xff, v41
	v_cndmask_b32_e64 v26, v27, v26, s[0:1]
	v_cmp_eq_u64_e32 vcc, 0, v[28:29]
	v_cndmask_b32_e32 v27, 0, v26, vcc
	v_add_u32_e32 v27, v27, v40
	v_cndmask_b32_e64 v28, 0, v27, s[4:5]
	v_add_u32_e32 v44, v28, v8
	v_cndmask_b32_e64 v28, 0, v44, s[6:7]
	;; [unrolled: 2-line block ×12, first 2 shown]
	v_add_u32_e32 v51, v28, v24
	s_branch .LBB491_143
.LBB491_117:
	s_or_b64 exec, exec, s[30:31]
                                        ; implicit-def: $vgpr14
	s_and_saveexec_b64 s[30:31], s[4:5]
	s_cbranch_execz .LBB491_37
.LBB491_118:
	v_add_co_u32_e32 v14, vcc, v1, v12
	v_addc_co_u32_e32 v15, vcc, 0, v48, vcc
	flat_load_dword v14, v[14:15] offset:1024
	s_or_b64 exec, exec, s[30:31]
                                        ; implicit-def: $vgpr15
	s_and_saveexec_b64 s[4:5], s[6:7]
	s_cbranch_execnz .LBB491_38
.LBB491_119:
	s_or_b64 exec, exec, s[4:5]
                                        ; implicit-def: $vgpr16
	s_and_saveexec_b64 s[4:5], s[8:9]
	s_cbranch_execz .LBB491_39
.LBB491_120:
	v_add_co_u32_e32 v16, vcc, v1, v12
	v_addc_co_u32_e32 v17, vcc, 0, v48, vcc
	flat_load_dword v16, v[16:17] offset:3072
	s_or_b64 exec, exec, s[4:5]
                                        ; implicit-def: $vgpr17
	s_and_saveexec_b64 s[4:5], s[10:11]
	s_cbranch_execnz .LBB491_40
.LBB491_121:
	s_or_b64 exec, exec, s[4:5]
                                        ; implicit-def: $vgpr2
	s_and_saveexec_b64 s[4:5], s[12:13]
	s_cbranch_execz .LBB491_41
.LBB491_122:
	v_add_co_u32_e32 v2, vcc, v1, v3
	v_addc_co_u32_e32 v3, vcc, 0, v48, vcc
	flat_load_dword v2, v[2:3]
	s_or_b64 exec, exec, s[4:5]
                                        ; implicit-def: $vgpr3
	s_and_saveexec_b64 s[4:5], s[14:15]
	s_cbranch_execnz .LBB491_42
.LBB491_123:
	s_or_b64 exec, exec, s[4:5]
                                        ; implicit-def: $vgpr4
	s_and_saveexec_b64 s[4:5], s[16:17]
	s_cbranch_execz .LBB491_43
.LBB491_124:
	v_add_co_u32_e32 v4, vcc, v1, v5
	v_addc_co_u32_e32 v5, vcc, 0, v48, vcc
	flat_load_dword v4, v[4:5]
	s_or_b64 exec, exec, s[4:5]
                                        ; implicit-def: $vgpr5
	s_and_saveexec_b64 s[4:5], s[18:19]
	s_cbranch_execnz .LBB491_44
.LBB491_125:
	s_or_b64 exec, exec, s[4:5]
                                        ; implicit-def: $vgpr6
	s_and_saveexec_b64 s[4:5], s[20:21]
	s_cbranch_execz .LBB491_45
.LBB491_126:
	v_add_co_u32_e32 v6, vcc, v1, v7
	v_addc_co_u32_e32 v7, vcc, 0, v48, vcc
	flat_load_dword v6, v[6:7]
	s_or_b64 exec, exec, s[4:5]
                                        ; implicit-def: $vgpr7
	s_and_saveexec_b64 s[4:5], s[22:23]
	s_cbranch_execnz .LBB491_46
.LBB491_127:
	s_or_b64 exec, exec, s[4:5]
                                        ; implicit-def: $vgpr8
	s_and_saveexec_b64 s[4:5], s[24:25]
	s_cbranch_execz .LBB491_47
.LBB491_128:
	v_add_co_u32_e32 v8, vcc, v1, v9
	v_addc_co_u32_e32 v9, vcc, 0, v48, vcc
	flat_load_dword v8, v[8:9]
	s_or_b64 exec, exec, s[4:5]
                                        ; implicit-def: $vgpr9
	s_and_saveexec_b64 s[4:5], s[26:27]
	s_cbranch_execz .LBB491_49
	s_branch .LBB491_48
.LBB491_129:
                                        ; implicit-def: $vgpr51
                                        ; implicit-def: $vgpr49
                                        ; implicit-def: $vgpr47
                                        ; implicit-def: $vgpr45
                                        ; implicit-def: $vgpr34_vgpr35_vgpr36_vgpr37
                                        ; implicit-def: $vgpr30_vgpr31_vgpr32_vgpr33
                                        ; implicit-def: $vgpr26_vgpr27_vgpr28_vgpr29
	s_cbranch_execz .LBB491_143
; %bb.130:
	s_cmp_lg_u64 s[52:53], 0
	s_cselect_b32 s5, s51, 0
	s_cselect_b32 s4, s50, 0
	s_mov_b32 s26, 0
	s_cmp_eq_u64 s[4:5], 0
	v_mov_b32_e32 v32, s54
	s_cbranch_scc1 .LBB491_132
; %bb.131:
	v_mov_b32_e32 v26, 0
	global_load_dword v32, v26, s[4:5]
.LBB491_132:
	s_mov_b32 s27, 1
	v_cmp_gt_u64_e32 vcc, s[26:27], v[8:9]
	v_cndmask_b32_e32 v27, 0, v40, vcc
	v_add_u32_e32 v27, v27, v8
	v_cmp_gt_u64_e64 s[4:5], s[26:27], v[6:7]
	v_cndmask_b32_e64 v27, 0, v27, s[4:5]
	v_add_u32_e32 v27, v27, v6
	v_cmp_gt_u64_e64 s[6:7], s[26:27], v[4:5]
	v_cndmask_b32_e64 v27, 0, v27, s[6:7]
	;; [unrolled: 3-line block ×11, first 2 shown]
	v_mov_b32_e32 v26, 0
	v_add_u32_e32 v27, v27, v24
	v_cmp_gt_u64_e64 s[26:27], s[26:27], v[42:43]
	v_or3_b32 v7, v23, v15, v7
	v_cndmask_b32_e64 v27, 0, v27, s[26:27]
	v_or3_b32 v9, v25, v17, v9
	v_and_b32_e32 v35, 1, v7
	v_mov_b32_e32 v34, v26
	v_add_u32_e32 v33, v27, v42
	v_and_b32_e32 v27, 1, v43
	v_or3_b32 v3, v19, v11, v3
	v_and_b32_e32 v31, 1, v9
	v_mov_b32_e32 v30, v26
	v_cmp_ne_u64_e64 s[28:29], 0, v[34:35]
	v_cmp_eq_u32_e64 s[26:27], 1, v27
	v_or3_b32 v5, v21, v13, v5
	v_and_b32_e32 v27, 1, v3
	v_cndmask_b32_e64 v3, 0, 1, s[28:29]
	v_cmp_ne_u64_e64 s[28:29], 0, v[30:31]
	v_and_b32_e32 v29, 1, v5
	v_mov_b32_e32 v28, v26
	v_cndmask_b32_e64 v5, 0, 1, s[28:29]
	v_lshlrev_b16_e32 v3, 2, v3
	v_lshlrev_b16_e32 v5, 3, v5
	v_cmp_ne_u64_e64 s[28:29], 0, v[28:29]
	v_or_b32_e32 v3, v5, v3
	v_cndmask_b32_e64 v5, 0, 1, s[28:29]
	v_cmp_ne_u64_e64 s[28:29], 0, v[26:27]
	v_lshlrev_b16_e32 v5, 1, v5
	v_cndmask_b32_e64 v7, 0, 1, s[28:29]
	v_or_b32_e32 v5, v7, v5
	v_and_b32_e32 v5, 3, v5
	v_or_b32_e32 v3, v5, v3
	v_and_b32_e32 v3, 15, v3
	v_cmp_ne_u16_e64 s[28:29], 0, v3
	s_or_b64 s[26:27], s[26:27], s[28:29]
	v_cndmask_b32_e64 v5, v41, 1, s[26:27]
	v_and_b32_e32 v7, 0xff, v5
	v_mov_b32_dpp v11, v33 row_shr:1 row_mask:0xf bank_mask:0xf
	v_cmp_eq_u16_e64 s[26:27], 0, v7
	v_mov_b32_dpp v13, v7 row_shr:1 row_mask:0xf bank_mask:0xf
	v_and_b32_e32 v15, 1, v5
	v_mbcnt_hi_u32_b32 v3, -1, v54
	v_cndmask_b32_e64 v11, 0, v11, s[26:27]
	v_and_b32_e32 v13, 1, v13
	v_cmp_eq_u32_e64 s[26:27], 1, v15
	v_and_b32_e32 v9, 15, v3
	v_cndmask_b32_e64 v13, v13, 1, s[26:27]
	v_and_b32_e32 v15, 0xffff, v13
	v_cmp_eq_u32_e64 s[26:27], 0, v9
	v_cndmask_b32_e64 v5, v13, v5, s[26:27]
	v_cndmask_b32_e64 v7, v15, v7, s[26:27]
	v_and_b32_e32 v17, 1, v5
	v_cndmask_b32_e64 v11, v11, 0, s[26:27]
	v_mov_b32_dpp v15, v7 row_shr:2 row_mask:0xf bank_mask:0xf
	v_and_b32_e32 v15, 1, v15
	v_cmp_eq_u32_e64 s[26:27], 1, v17
	v_cndmask_b32_e64 v15, v15, 1, s[26:27]
	v_and_b32_e32 v17, 0xffff, v15
	v_cmp_lt_u32_e64 s[26:27], 1, v9
	v_add_u32_e32 v11, v11, v33
	v_cmp_eq_u16_sdwa s[28:29], v5, v26 src0_sel:BYTE_0 src1_sel:DWORD
	v_cndmask_b32_e64 v5, v5, v15, s[26:27]
	v_cndmask_b32_e64 v7, v7, v17, s[26:27]
	v_mov_b32_dpp v13, v11 row_shr:2 row_mask:0xf bank_mask:0xf
	s_and_b64 s[26:27], s[26:27], s[28:29]
	v_mov_b32_dpp v15, v7 row_shr:4 row_mask:0xf bank_mask:0xf
	v_and_b32_e32 v17, 1, v5
	v_cndmask_b32_e64 v13, 0, v13, s[26:27]
	v_and_b32_e32 v15, 1, v15
	v_cmp_eq_u32_e64 s[26:27], 1, v17
	v_cndmask_b32_e64 v15, v15, 1, s[26:27]
	v_and_b32_e32 v17, 0xffff, v15
	v_cmp_lt_u32_e64 s[26:27], 3, v9
	v_add_u32_e32 v11, v13, v11
	v_cmp_eq_u16_sdwa s[28:29], v5, v26 src0_sel:BYTE_0 src1_sel:DWORD
	v_cndmask_b32_e64 v5, v5, v15, s[26:27]
	v_cndmask_b32_e64 v7, v7, v17, s[26:27]
	v_mov_b32_dpp v13, v11 row_shr:4 row_mask:0xf bank_mask:0xf
	s_and_b64 s[26:27], s[26:27], s[28:29]
	v_mov_b32_dpp v15, v7 row_shr:8 row_mask:0xf bank_mask:0xf
	v_and_b32_e32 v17, 1, v5
	v_cndmask_b32_e64 v13, 0, v13, s[26:27]
	v_and_b32_e32 v15, 1, v15
	v_cmp_eq_u32_e64 s[26:27], 1, v17
	v_cndmask_b32_e64 v15, v15, 1, s[26:27]
	v_add_u32_e32 v11, v13, v11
	v_cmp_eq_u16_sdwa s[28:29], v5, v26 src0_sel:BYTE_0 src1_sel:DWORD
	v_and_b32_e32 v17, 0xffff, v15
	v_cmp_lt_u32_e64 s[26:27], 7, v9
	v_mov_b32_dpp v13, v11 row_shr:8 row_mask:0xf bank_mask:0xf
	v_cndmask_b32_e64 v5, v5, v15, s[26:27]
	v_cndmask_b32_e64 v7, v7, v17, s[26:27]
	s_and_b64 s[26:27], s[26:27], s[28:29]
	v_cndmask_b32_e64 v9, 0, v13, s[26:27]
	v_add_u32_e32 v9, v9, v11
	v_mov_b32_dpp v13, v7 row_bcast:15 row_mask:0xf bank_mask:0xf
	v_cmp_eq_u16_sdwa s[26:27], v5, v26 src0_sel:BYTE_0 src1_sel:DWORD
	v_mov_b32_dpp v11, v9 row_bcast:15 row_mask:0xf bank_mask:0xf
	v_and_b32_e32 v19, 1, v5
	v_cndmask_b32_e64 v11, 0, v11, s[26:27]
	v_and_b32_e32 v13, 1, v13
	v_cmp_eq_u32_e64 s[26:27], 1, v19
	v_and_b32_e32 v17, 16, v3
	v_cndmask_b32_e64 v13, v13, 1, s[26:27]
	v_and_b32_e32 v19, 0xffff, v13
	v_cmp_eq_u32_e64 s[26:27], 0, v17
	v_cndmask_b32_e64 v5, v13, v5, s[26:27]
	v_cndmask_b32_e64 v7, v19, v7, s[26:27]
	v_bfe_i32 v15, v3, 4, 1
	v_and_b32_e32 v13, 1, v5
	v_mov_b32_dpp v7, v7 row_bcast:31 row_mask:0xf bank_mask:0xf
	v_and_b32_e32 v11, v15, v11
	v_and_b32_e32 v7, 1, v7
	v_cmp_eq_u32_e64 s[26:27], 1, v13
	v_add_u32_e32 v9, v11, v9
	v_cmp_eq_u16_sdwa s[28:29], v5, v26 src0_sel:BYTE_0 src1_sel:DWORD
	v_cndmask_b32_e64 v7, v7, 1, s[26:27]
	v_cmp_lt_u32_e64 s[26:27], 31, v3
	v_mov_b32_dpp v11, v9 row_bcast:31 row_mask:0xf bank_mask:0xf
	v_cndmask_b32_e64 v5, v5, v7, s[26:27]
	s_and_b64 s[26:27], s[26:27], s[28:29]
	v_cndmask_b32_e64 v7, 0, v11, s[26:27]
	v_add_u32_e32 v7, v7, v9
	v_cmp_eq_u32_e64 s[26:27], v53, v0
	s_and_saveexec_b64 s[28:29], s[26:27]
	s_cbranch_execz .LBB491_134
; %bb.133:
	v_lshlrev_b32_e32 v9, 3, v1
	ds_write_b32 v9, v7
	ds_write_b8 v9, v5 offset:4
.LBB491_134:
	s_or_b64 exec, exec, s[28:29]
	v_cmp_gt_u32_e64 s[26:27], 4, v0
	s_waitcnt lgkmcnt(0)
	s_barrier
	s_and_saveexec_b64 s[28:29], s[26:27]
	s_cbranch_execz .LBB491_138
; %bb.135:
	v_lshlrev_b32_e32 v9, 3, v0
	ds_read_b64 v[26:27], v9
	v_and_b32_e32 v11, 3, v3
	v_cmp_ne_u32_e64 s[26:27], 0, v11
	s_waitcnt lgkmcnt(0)
	v_mov_b32_dpp v13, v26 row_shr:1 row_mask:0xf bank_mask:0xf
	v_mov_b32_dpp v17, v27 row_shr:1 row_mask:0xf bank_mask:0xf
	v_mov_b32_e32 v15, v27
	s_and_saveexec_b64 s[30:31], s[26:27]
	s_cbranch_execz .LBB491_137
; %bb.136:
	v_and_b32_e32 v15, 1, v27
	v_and_b32_e32 v17, 1, v17
	v_cmp_eq_u32_e64 s[26:27], 1, v15
	v_mov_b32_e32 v15, 0
	v_cndmask_b32_e64 v17, v17, 1, s[26:27]
	v_cmp_eq_u16_sdwa s[26:27], v27, v15 src0_sel:BYTE_0 src1_sel:DWORD
	v_cndmask_b32_e64 v13, 0, v13, s[26:27]
	v_add_u32_e32 v26, v13, v26
	v_and_b32_e32 v13, 0xffff, v17
	s_movk_i32 s26, 0xff00
	v_and_or_b32 v15, v27, s26, v13
	v_mov_b32_e32 v27, v17
.LBB491_137:
	s_or_b64 exec, exec, s[30:31]
	v_mov_b32_dpp v15, v15 row_shr:2 row_mask:0xf bank_mask:0xf
	v_and_b32_e32 v17, 1, v27
	v_and_b32_e32 v15, 1, v15
	v_cmp_eq_u32_e64 s[26:27], 1, v17
	v_mov_b32_e32 v17, 0
	v_cndmask_b32_e64 v15, v15, 1, s[26:27]
	v_cmp_eq_u16_sdwa s[30:31], v27, v17 src0_sel:BYTE_0 src1_sel:DWORD
	v_cmp_lt_u32_e64 s[26:27], 1, v11
	v_mov_b32_dpp v13, v26 row_shr:2 row_mask:0xf bank_mask:0xf
	v_cndmask_b32_e64 v11, v27, v15, s[26:27]
	s_and_b64 s[26:27], s[26:27], s[30:31]
	v_cndmask_b32_e64 v13, 0, v13, s[26:27]
	v_add_u32_e32 v13, v13, v26
	ds_write_b32 v9, v13
	ds_write_b8 v9, v11 offset:4
.LBB491_138:
	s_or_b64 exec, exec, s[28:29]
	v_cmp_lt_u32_e64 s[26:27], 63, v0
	s_waitcnt vmcnt(0)
	v_mov_b32_e32 v9, v32
	s_waitcnt lgkmcnt(0)
	s_barrier
	s_and_saveexec_b64 s[28:29], s[26:27]
	s_cbranch_execz .LBB491_140
; %bb.139:
	v_lshl_add_u32 v1, v1, 3, -8
	ds_read_u8 v9, v1 offset:4
	ds_read_b32 v1, v1
	s_waitcnt lgkmcnt(1)
	v_cmp_eq_u16_e64 s[26:27], 0, v9
	v_cndmask_b32_e64 v9, 0, v32, s[26:27]
	s_waitcnt lgkmcnt(0)
	v_add_u32_e32 v9, v9, v1
.LBB491_140:
	s_or_b64 exec, exec, s[28:29]
	v_mov_b32_e32 v28, 0
	v_cmp_eq_u16_sdwa s[26:27], v5, v28 src0_sel:BYTE_0 src1_sel:DWORD
	v_cndmask_b32_e64 v1, 0, v9, s[26:27]
	v_add_u32_e32 v1, v1, v7
	v_add_u32_e32 v5, -1, v3
	v_and_b32_e32 v7, 64, v3
	v_cmp_lt_i32_e64 s[26:27], v5, v7
	v_cndmask_b32_e64 v5, v5, v3, s[26:27]
	v_lshlrev_b32_e32 v5, 2, v5
	ds_bpermute_b32 v1, v5, v1
	v_cmp_eq_u32_e64 s[26:27], 0, v3
	v_and_b32_e32 v29, 0xff, v41
	s_waitcnt lgkmcnt(0)
	v_cndmask_b32_e64 v26, v1, v9, s[26:27]
	v_cndmask_b32_e64 v1, v26, v32, s[0:1]
	v_cmp_eq_u64_e64 s[26:27], 0, v[28:29]
	v_cndmask_b32_e64 v1, 0, v1, s[26:27]
	v_add_u32_e32 v27, v1, v40
	v_cndmask_b32_e32 v1, 0, v27, vcc
	v_add_u32_e32 v44, v1, v8
	v_cndmask_b32_e64 v1, 0, v44, s[4:5]
	v_add_u32_e32 v45, v1, v6
	v_cndmask_b32_e64 v1, 0, v45, s[6:7]
	;; [unrolled: 2-line block ×11, first 2 shown]
	s_and_saveexec_b64 s[4:5], s[0:1]
	s_cbranch_execz .LBB491_142
; %bb.141:
	ds_read_u8 v3, v28 offset:28
	ds_read_b32 v2, v28 offset:24
	s_add_u32 s0, s44, 0x400
	s_addc_u32 s1, s45, 0
	v_mov_b32_e32 v5, v28
	s_waitcnt lgkmcnt(1)
	v_cmp_eq_u16_e32 vcc, 0, v3
	v_cndmask_b32_e32 v4, 0, v32, vcc
	s_waitcnt lgkmcnt(0)
	v_add_u32_e32 v2, v4, v2
	v_and_b32_e32 v3, 0xffff, v3
	v_mov_b32_e32 v4, 2
	v_pk_mov_b32 v[6:7], s[0:1], s[0:1] op_sel:[0,1]
	;;#ASMSTART
	global_store_dwordx4 v[6:7], v[2:5] off	
s_waitcnt vmcnt(0)
	;;#ASMEND
	v_mov_b32_e32 v26, v32
.LBB491_142:
	s_or_b64 exec, exec, s[4:5]
	v_add_u32_e32 v51, v1, v24
.LBB491_143:
	s_add_u32 s0, s42, s34
	s_addc_u32 s1, s43, s35
	v_mov_b32_e32 v1, s1
	v_add_co_u32_e32 v18, vcc, s0, v38
	v_addc_co_u32_e32 v19, vcc, v1, v39, vcc
	v_mul_u32_u24_e32 v1, 14, v0
	s_and_b64 vcc, exec, s[2:3]
	v_lshlrev_b32_e32 v2, 2, v1
	s_cbranch_vccz .LBB491_171
; %bb.144:
	s_movk_i32 s0, 0xffcc
	v_mad_i32_i24 v3, v0, s0, v2
	s_barrier
	ds_write2_b64 v2, v[26:27], v[44:45] offset1:1
	ds_write2_b64 v2, v[30:31], v[46:47] offset0:2 offset1:3
	ds_write2_b64 v2, v[34:35], v[48:49] offset0:4 offset1:5
	ds_write_b64 v2, v[50:51] offset:48
	s_waitcnt lgkmcnt(0)
	s_barrier
	ds_read2st64_b32 v[16:17], v3 offset0:4 offset1:8
	ds_read2st64_b32 v[14:15], v3 offset0:12 offset1:16
	;; [unrolled: 1-line block ×6, first 2 shown]
	ds_read_b32 v3, v3 offset:13312
	v_add_co_u32_e32 v6, vcc, v18, v52
	s_add_i32 s33, s33, s46
	v_addc_co_u32_e32 v7, vcc, 0, v19, vcc
	v_mov_b32_e32 v1, 0
	v_cmp_gt_u32_e32 vcc, s33, v0
	s_and_saveexec_b64 s[0:1], vcc
	s_cbranch_execz .LBB491_146
; %bb.145:
	v_mul_i32_i24_e32 v20, 0xffffffcc, v0
	v_add_u32_e32 v20, v2, v20
	ds_read_b32 v20, v20
	s_waitcnt lgkmcnt(0)
	flat_store_dword v[6:7], v20
.LBB491_146:
	s_or_b64 exec, exec, s[0:1]
	v_or_b32_e32 v20, 0x100, v0
	v_cmp_gt_u32_e32 vcc, s33, v20
	s_and_saveexec_b64 s[0:1], vcc
	s_cbranch_execz .LBB491_148
; %bb.147:
	s_waitcnt lgkmcnt(0)
	flat_store_dword v[6:7], v16 offset:1024
.LBB491_148:
	s_or_b64 exec, exec, s[0:1]
	s_waitcnt lgkmcnt(0)
	v_or_b32_e32 v16, 0x200, v0
	v_cmp_gt_u32_e32 vcc, s33, v16
	s_and_saveexec_b64 s[0:1], vcc
	s_cbranch_execz .LBB491_150
; %bb.149:
	flat_store_dword v[6:7], v17 offset:2048
.LBB491_150:
	s_or_b64 exec, exec, s[0:1]
	v_or_b32_e32 v16, 0x300, v0
	v_cmp_gt_u32_e32 vcc, s33, v16
	s_and_saveexec_b64 s[0:1], vcc
	s_cbranch_execz .LBB491_152
; %bb.151:
	flat_store_dword v[6:7], v14 offset:3072
.LBB491_152:
	s_or_b64 exec, exec, s[0:1]
	v_or_b32_e32 v14, 0x400, v0
	v_cmp_gt_u32_e32 vcc, s33, v14
	s_and_saveexec_b64 s[0:1], vcc
	s_cbranch_execz .LBB491_154
; %bb.153:
	v_add_co_u32_e32 v16, vcc, 0x1000, v6
	v_addc_co_u32_e32 v17, vcc, 0, v7, vcc
	flat_store_dword v[16:17], v15
.LBB491_154:
	s_or_b64 exec, exec, s[0:1]
	v_or_b32_e32 v14, 0x500, v0
	v_cmp_gt_u32_e32 vcc, s33, v14
	s_and_saveexec_b64 s[0:1], vcc
	s_cbranch_execz .LBB491_156
; %bb.155:
	v_add_co_u32_e32 v14, vcc, 0x1000, v6
	v_addc_co_u32_e32 v15, vcc, 0, v7, vcc
	flat_store_dword v[14:15], v12 offset:1024
.LBB491_156:
	s_or_b64 exec, exec, s[0:1]
	v_or_b32_e32 v12, 0x600, v0
	v_cmp_gt_u32_e32 vcc, s33, v12
	s_and_saveexec_b64 s[0:1], vcc
	s_cbranch_execz .LBB491_158
; %bb.157:
	v_add_co_u32_e32 v14, vcc, 0x1000, v6
	v_addc_co_u32_e32 v15, vcc, 0, v7, vcc
	flat_store_dword v[14:15], v13 offset:2048
.LBB491_158:
	;; [unrolled: 10-line block ×3, first 2 shown]
	s_or_b64 exec, exec, s[0:1]
	v_or_b32_e32 v10, 0x800, v0
	v_cmp_gt_u32_e32 vcc, s33, v10
	s_and_saveexec_b64 s[0:1], vcc
	s_cbranch_execz .LBB491_162
; %bb.161:
	v_add_co_u32_e32 v12, vcc, 0x2000, v6
	v_addc_co_u32_e32 v13, vcc, 0, v7, vcc
	flat_store_dword v[12:13], v11
.LBB491_162:
	s_or_b64 exec, exec, s[0:1]
	v_or_b32_e32 v10, 0x900, v0
	v_cmp_gt_u32_e32 vcc, s33, v10
	s_and_saveexec_b64 s[0:1], vcc
	s_cbranch_execz .LBB491_164
; %bb.163:
	v_add_co_u32_e32 v10, vcc, 0x2000, v6
	v_addc_co_u32_e32 v11, vcc, 0, v7, vcc
	flat_store_dword v[10:11], v8 offset:1024
.LBB491_164:
	s_or_b64 exec, exec, s[0:1]
	v_or_b32_e32 v8, 0xa00, v0
	v_cmp_gt_u32_e32 vcc, s33, v8
	s_and_saveexec_b64 s[0:1], vcc
	s_cbranch_execz .LBB491_166
; %bb.165:
	v_add_co_u32_e32 v10, vcc, 0x2000, v6
	v_addc_co_u32_e32 v11, vcc, 0, v7, vcc
	flat_store_dword v[10:11], v9 offset:2048
.LBB491_166:
	;; [unrolled: 10-line block ×3, first 2 shown]
	s_or_b64 exec, exec, s[0:1]
	v_or_b32_e32 v4, 0xc00, v0
	v_cmp_gt_u32_e32 vcc, s33, v4
	s_and_saveexec_b64 s[0:1], vcc
	s_cbranch_execz .LBB491_170
; %bb.169:
	v_add_co_u32_e32 v6, vcc, 0x3000, v6
	v_addc_co_u32_e32 v7, vcc, 0, v7, vcc
	flat_store_dword v[6:7], v5
.LBB491_170:
	s_or_b64 exec, exec, s[0:1]
	v_or_b32_e32 v4, 0xd00, v0
	v_cmp_gt_u32_e64 s[0:1], s33, v4
	s_branch .LBB491_173
.LBB491_171:
	s_mov_b64 s[0:1], 0
                                        ; implicit-def: $vgpr3
	s_cbranch_execz .LBB491_173
; %bb.172:
	s_movk_i32 s2, 0xffcc
	s_waitcnt lgkmcnt(0)
	s_barrier
	ds_write2_b64 v2, v[26:27], v[44:45] offset1:1
	ds_write2_b64 v2, v[30:31], v[46:47] offset0:2 offset1:3
	ds_write2_b64 v2, v[34:35], v[48:49] offset0:4 offset1:5
	ds_write_b64 v2, v[50:51] offset:48
	v_mad_i32_i24 v2, v0, s2, v2
	v_add_co_u32_e32 v16, vcc, v18, v52
	s_waitcnt lgkmcnt(0)
	s_barrier
	ds_read2st64_b32 v[4:5], v2 offset1:4
	ds_read2st64_b32 v[6:7], v2 offset0:8 offset1:12
	ds_read2st64_b32 v[8:9], v2 offset0:16 offset1:20
	;; [unrolled: 1-line block ×6, first 2 shown]
	v_addc_co_u32_e32 v17, vcc, 0, v19, vcc
	s_movk_i32 s2, 0x1000
	s_waitcnt lgkmcnt(0)
	flat_store_dword v[16:17], v4
	flat_store_dword v[16:17], v5 offset:1024
	flat_store_dword v[16:17], v6 offset:2048
	;; [unrolled: 1-line block ×3, first 2 shown]
	v_add_co_u32_e32 v4, vcc, s2, v16
	v_addc_co_u32_e32 v5, vcc, 0, v17, vcc
	flat_store_dword v[4:5], v8
	flat_store_dword v[4:5], v9 offset:1024
	flat_store_dword v[4:5], v10 offset:2048
	;; [unrolled: 1-line block ×3, first 2 shown]
	v_add_co_u32_e32 v4, vcc, 0x2000, v16
	v_addc_co_u32_e32 v5, vcc, 0, v17, vcc
	flat_store_dword v[4:5], v12
	flat_store_dword v[4:5], v13 offset:1024
	flat_store_dword v[4:5], v14 offset:2048
	;; [unrolled: 1-line block ×3, first 2 shown]
	v_add_co_u32_e32 v4, vcc, 0x3000, v16
	v_mov_b32_e32 v1, 0
	v_addc_co_u32_e32 v5, vcc, 0, v17, vcc
	s_or_b64 s[0:1], s[0:1], exec
	flat_store_dword v[4:5], v2
.LBB491_173:
	s_and_saveexec_b64 s[2:3], s[0:1]
	s_cbranch_execz .LBB491_175
; %bb.174:
	v_lshlrev_b64 v[0:1], 2, v[0:1]
	v_add_co_u32_e32 v0, vcc, v18, v0
	v_addc_co_u32_e32 v1, vcc, v19, v1, vcc
	v_add_co_u32_e32 v0, vcc, 0x3000, v0
	v_addc_co_u32_e32 v1, vcc, 0, v1, vcc
	flat_store_dword v[0:1], v3 offset:1024
	s_endpgm
.LBB491_175:
	s_endpgm
	.section	.rodata,"a",@progbits
	.p2align	6, 0x0
	.amdhsa_kernel _ZN7rocprim17ROCPRIM_400000_NS6detail17trampoline_kernelINS0_14default_configENS1_27scan_by_key_config_selectorIiiEEZZNS1_16scan_by_key_implILNS1_25lookback_scan_determinismE0ELb1ES3_N6thrust23THRUST_200600_302600_NS6detail15normal_iteratorINS9_10device_ptrIiEEEESE_SE_iNS9_4plusIvEENS9_8equal_toIvEEiEE10hipError_tPvRmT2_T3_T4_T5_mT6_T7_P12ihipStream_tbENKUlT_T0_E_clISt17integral_constantIbLb0EESY_IbLb1EEEEDaSU_SV_EUlSU_E_NS1_11comp_targetILNS1_3genE4ELNS1_11target_archE910ELNS1_3gpuE8ELNS1_3repE0EEENS1_30default_config_static_selectorELNS0_4arch9wavefront6targetE1EEEvT1_
		.amdhsa_group_segment_fixed_size 16384
		.amdhsa_private_segment_fixed_size 0
		.amdhsa_kernarg_size 112
		.amdhsa_user_sgpr_count 6
		.amdhsa_user_sgpr_private_segment_buffer 1
		.amdhsa_user_sgpr_dispatch_ptr 0
		.amdhsa_user_sgpr_queue_ptr 0
		.amdhsa_user_sgpr_kernarg_segment_ptr 1
		.amdhsa_user_sgpr_dispatch_id 0
		.amdhsa_user_sgpr_flat_scratch_init 0
		.amdhsa_user_sgpr_kernarg_preload_length 0
		.amdhsa_user_sgpr_kernarg_preload_offset 0
		.amdhsa_user_sgpr_private_segment_size 0
		.amdhsa_uses_dynamic_stack 0
		.amdhsa_system_sgpr_private_segment_wavefront_offset 0
		.amdhsa_system_sgpr_workgroup_id_x 1
		.amdhsa_system_sgpr_workgroup_id_y 0
		.amdhsa_system_sgpr_workgroup_id_z 0
		.amdhsa_system_sgpr_workgroup_info 0
		.amdhsa_system_vgpr_workitem_id 0
		.amdhsa_next_free_vgpr 67
		.amdhsa_next_free_sgpr 60
		.amdhsa_accum_offset 68
		.amdhsa_reserve_vcc 1
		.amdhsa_reserve_flat_scratch 0
		.amdhsa_float_round_mode_32 0
		.amdhsa_float_round_mode_16_64 0
		.amdhsa_float_denorm_mode_32 3
		.amdhsa_float_denorm_mode_16_64 3
		.amdhsa_dx10_clamp 1
		.amdhsa_ieee_mode 1
		.amdhsa_fp16_overflow 0
		.amdhsa_tg_split 0
		.amdhsa_exception_fp_ieee_invalid_op 0
		.amdhsa_exception_fp_denorm_src 0
		.amdhsa_exception_fp_ieee_div_zero 0
		.amdhsa_exception_fp_ieee_overflow 0
		.amdhsa_exception_fp_ieee_underflow 0
		.amdhsa_exception_fp_ieee_inexact 0
		.amdhsa_exception_int_div_zero 0
	.end_amdhsa_kernel
	.section	.text._ZN7rocprim17ROCPRIM_400000_NS6detail17trampoline_kernelINS0_14default_configENS1_27scan_by_key_config_selectorIiiEEZZNS1_16scan_by_key_implILNS1_25lookback_scan_determinismE0ELb1ES3_N6thrust23THRUST_200600_302600_NS6detail15normal_iteratorINS9_10device_ptrIiEEEESE_SE_iNS9_4plusIvEENS9_8equal_toIvEEiEE10hipError_tPvRmT2_T3_T4_T5_mT6_T7_P12ihipStream_tbENKUlT_T0_E_clISt17integral_constantIbLb0EESY_IbLb1EEEEDaSU_SV_EUlSU_E_NS1_11comp_targetILNS1_3genE4ELNS1_11target_archE910ELNS1_3gpuE8ELNS1_3repE0EEENS1_30default_config_static_selectorELNS0_4arch9wavefront6targetE1EEEvT1_,"axG",@progbits,_ZN7rocprim17ROCPRIM_400000_NS6detail17trampoline_kernelINS0_14default_configENS1_27scan_by_key_config_selectorIiiEEZZNS1_16scan_by_key_implILNS1_25lookback_scan_determinismE0ELb1ES3_N6thrust23THRUST_200600_302600_NS6detail15normal_iteratorINS9_10device_ptrIiEEEESE_SE_iNS9_4plusIvEENS9_8equal_toIvEEiEE10hipError_tPvRmT2_T3_T4_T5_mT6_T7_P12ihipStream_tbENKUlT_T0_E_clISt17integral_constantIbLb0EESY_IbLb1EEEEDaSU_SV_EUlSU_E_NS1_11comp_targetILNS1_3genE4ELNS1_11target_archE910ELNS1_3gpuE8ELNS1_3repE0EEENS1_30default_config_static_selectorELNS0_4arch9wavefront6targetE1EEEvT1_,comdat
.Lfunc_end491:
	.size	_ZN7rocprim17ROCPRIM_400000_NS6detail17trampoline_kernelINS0_14default_configENS1_27scan_by_key_config_selectorIiiEEZZNS1_16scan_by_key_implILNS1_25lookback_scan_determinismE0ELb1ES3_N6thrust23THRUST_200600_302600_NS6detail15normal_iteratorINS9_10device_ptrIiEEEESE_SE_iNS9_4plusIvEENS9_8equal_toIvEEiEE10hipError_tPvRmT2_T3_T4_T5_mT6_T7_P12ihipStream_tbENKUlT_T0_E_clISt17integral_constantIbLb0EESY_IbLb1EEEEDaSU_SV_EUlSU_E_NS1_11comp_targetILNS1_3genE4ELNS1_11target_archE910ELNS1_3gpuE8ELNS1_3repE0EEENS1_30default_config_static_selectorELNS0_4arch9wavefront6targetE1EEEvT1_, .Lfunc_end491-_ZN7rocprim17ROCPRIM_400000_NS6detail17trampoline_kernelINS0_14default_configENS1_27scan_by_key_config_selectorIiiEEZZNS1_16scan_by_key_implILNS1_25lookback_scan_determinismE0ELb1ES3_N6thrust23THRUST_200600_302600_NS6detail15normal_iteratorINS9_10device_ptrIiEEEESE_SE_iNS9_4plusIvEENS9_8equal_toIvEEiEE10hipError_tPvRmT2_T3_T4_T5_mT6_T7_P12ihipStream_tbENKUlT_T0_E_clISt17integral_constantIbLb0EESY_IbLb1EEEEDaSU_SV_EUlSU_E_NS1_11comp_targetILNS1_3genE4ELNS1_11target_archE910ELNS1_3gpuE8ELNS1_3repE0EEENS1_30default_config_static_selectorELNS0_4arch9wavefront6targetE1EEEvT1_
                                        ; -- End function
	.section	.AMDGPU.csdata,"",@progbits
; Kernel info:
; codeLenInByte = 11168
; NumSgprs: 64
; NumVgprs: 67
; NumAgprs: 0
; TotalNumVgprs: 67
; ScratchSize: 0
; MemoryBound: 0
; FloatMode: 240
; IeeeMode: 1
; LDSByteSize: 16384 bytes/workgroup (compile time only)
; SGPRBlocks: 7
; VGPRBlocks: 8
; NumSGPRsForWavesPerEU: 64
; NumVGPRsForWavesPerEU: 67
; AccumOffset: 68
; Occupancy: 4
; WaveLimiterHint : 1
; COMPUTE_PGM_RSRC2:SCRATCH_EN: 0
; COMPUTE_PGM_RSRC2:USER_SGPR: 6
; COMPUTE_PGM_RSRC2:TRAP_HANDLER: 0
; COMPUTE_PGM_RSRC2:TGID_X_EN: 1
; COMPUTE_PGM_RSRC2:TGID_Y_EN: 0
; COMPUTE_PGM_RSRC2:TGID_Z_EN: 0
; COMPUTE_PGM_RSRC2:TIDIG_COMP_CNT: 0
; COMPUTE_PGM_RSRC3_GFX90A:ACCUM_OFFSET: 16
; COMPUTE_PGM_RSRC3_GFX90A:TG_SPLIT: 0
	.section	.text._ZN7rocprim17ROCPRIM_400000_NS6detail17trampoline_kernelINS0_14default_configENS1_27scan_by_key_config_selectorIiiEEZZNS1_16scan_by_key_implILNS1_25lookback_scan_determinismE0ELb1ES3_N6thrust23THRUST_200600_302600_NS6detail15normal_iteratorINS9_10device_ptrIiEEEESE_SE_iNS9_4plusIvEENS9_8equal_toIvEEiEE10hipError_tPvRmT2_T3_T4_T5_mT6_T7_P12ihipStream_tbENKUlT_T0_E_clISt17integral_constantIbLb0EESY_IbLb1EEEEDaSU_SV_EUlSU_E_NS1_11comp_targetILNS1_3genE3ELNS1_11target_archE908ELNS1_3gpuE7ELNS1_3repE0EEENS1_30default_config_static_selectorELNS0_4arch9wavefront6targetE1EEEvT1_,"axG",@progbits,_ZN7rocprim17ROCPRIM_400000_NS6detail17trampoline_kernelINS0_14default_configENS1_27scan_by_key_config_selectorIiiEEZZNS1_16scan_by_key_implILNS1_25lookback_scan_determinismE0ELb1ES3_N6thrust23THRUST_200600_302600_NS6detail15normal_iteratorINS9_10device_ptrIiEEEESE_SE_iNS9_4plusIvEENS9_8equal_toIvEEiEE10hipError_tPvRmT2_T3_T4_T5_mT6_T7_P12ihipStream_tbENKUlT_T0_E_clISt17integral_constantIbLb0EESY_IbLb1EEEEDaSU_SV_EUlSU_E_NS1_11comp_targetILNS1_3genE3ELNS1_11target_archE908ELNS1_3gpuE7ELNS1_3repE0EEENS1_30default_config_static_selectorELNS0_4arch9wavefront6targetE1EEEvT1_,comdat
	.protected	_ZN7rocprim17ROCPRIM_400000_NS6detail17trampoline_kernelINS0_14default_configENS1_27scan_by_key_config_selectorIiiEEZZNS1_16scan_by_key_implILNS1_25lookback_scan_determinismE0ELb1ES3_N6thrust23THRUST_200600_302600_NS6detail15normal_iteratorINS9_10device_ptrIiEEEESE_SE_iNS9_4plusIvEENS9_8equal_toIvEEiEE10hipError_tPvRmT2_T3_T4_T5_mT6_T7_P12ihipStream_tbENKUlT_T0_E_clISt17integral_constantIbLb0EESY_IbLb1EEEEDaSU_SV_EUlSU_E_NS1_11comp_targetILNS1_3genE3ELNS1_11target_archE908ELNS1_3gpuE7ELNS1_3repE0EEENS1_30default_config_static_selectorELNS0_4arch9wavefront6targetE1EEEvT1_ ; -- Begin function _ZN7rocprim17ROCPRIM_400000_NS6detail17trampoline_kernelINS0_14default_configENS1_27scan_by_key_config_selectorIiiEEZZNS1_16scan_by_key_implILNS1_25lookback_scan_determinismE0ELb1ES3_N6thrust23THRUST_200600_302600_NS6detail15normal_iteratorINS9_10device_ptrIiEEEESE_SE_iNS9_4plusIvEENS9_8equal_toIvEEiEE10hipError_tPvRmT2_T3_T4_T5_mT6_T7_P12ihipStream_tbENKUlT_T0_E_clISt17integral_constantIbLb0EESY_IbLb1EEEEDaSU_SV_EUlSU_E_NS1_11comp_targetILNS1_3genE3ELNS1_11target_archE908ELNS1_3gpuE7ELNS1_3repE0EEENS1_30default_config_static_selectorELNS0_4arch9wavefront6targetE1EEEvT1_
	.globl	_ZN7rocprim17ROCPRIM_400000_NS6detail17trampoline_kernelINS0_14default_configENS1_27scan_by_key_config_selectorIiiEEZZNS1_16scan_by_key_implILNS1_25lookback_scan_determinismE0ELb1ES3_N6thrust23THRUST_200600_302600_NS6detail15normal_iteratorINS9_10device_ptrIiEEEESE_SE_iNS9_4plusIvEENS9_8equal_toIvEEiEE10hipError_tPvRmT2_T3_T4_T5_mT6_T7_P12ihipStream_tbENKUlT_T0_E_clISt17integral_constantIbLb0EESY_IbLb1EEEEDaSU_SV_EUlSU_E_NS1_11comp_targetILNS1_3genE3ELNS1_11target_archE908ELNS1_3gpuE7ELNS1_3repE0EEENS1_30default_config_static_selectorELNS0_4arch9wavefront6targetE1EEEvT1_
	.p2align	8
	.type	_ZN7rocprim17ROCPRIM_400000_NS6detail17trampoline_kernelINS0_14default_configENS1_27scan_by_key_config_selectorIiiEEZZNS1_16scan_by_key_implILNS1_25lookback_scan_determinismE0ELb1ES3_N6thrust23THRUST_200600_302600_NS6detail15normal_iteratorINS9_10device_ptrIiEEEESE_SE_iNS9_4plusIvEENS9_8equal_toIvEEiEE10hipError_tPvRmT2_T3_T4_T5_mT6_T7_P12ihipStream_tbENKUlT_T0_E_clISt17integral_constantIbLb0EESY_IbLb1EEEEDaSU_SV_EUlSU_E_NS1_11comp_targetILNS1_3genE3ELNS1_11target_archE908ELNS1_3gpuE7ELNS1_3repE0EEENS1_30default_config_static_selectorELNS0_4arch9wavefront6targetE1EEEvT1_,@function
_ZN7rocprim17ROCPRIM_400000_NS6detail17trampoline_kernelINS0_14default_configENS1_27scan_by_key_config_selectorIiiEEZZNS1_16scan_by_key_implILNS1_25lookback_scan_determinismE0ELb1ES3_N6thrust23THRUST_200600_302600_NS6detail15normal_iteratorINS9_10device_ptrIiEEEESE_SE_iNS9_4plusIvEENS9_8equal_toIvEEiEE10hipError_tPvRmT2_T3_T4_T5_mT6_T7_P12ihipStream_tbENKUlT_T0_E_clISt17integral_constantIbLb0EESY_IbLb1EEEEDaSU_SV_EUlSU_E_NS1_11comp_targetILNS1_3genE3ELNS1_11target_archE908ELNS1_3gpuE7ELNS1_3repE0EEENS1_30default_config_static_selectorELNS0_4arch9wavefront6targetE1EEEvT1_: ; @_ZN7rocprim17ROCPRIM_400000_NS6detail17trampoline_kernelINS0_14default_configENS1_27scan_by_key_config_selectorIiiEEZZNS1_16scan_by_key_implILNS1_25lookback_scan_determinismE0ELb1ES3_N6thrust23THRUST_200600_302600_NS6detail15normal_iteratorINS9_10device_ptrIiEEEESE_SE_iNS9_4plusIvEENS9_8equal_toIvEEiEE10hipError_tPvRmT2_T3_T4_T5_mT6_T7_P12ihipStream_tbENKUlT_T0_E_clISt17integral_constantIbLb0EESY_IbLb1EEEEDaSU_SV_EUlSU_E_NS1_11comp_targetILNS1_3genE3ELNS1_11target_archE908ELNS1_3gpuE7ELNS1_3repE0EEENS1_30default_config_static_selectorELNS0_4arch9wavefront6targetE1EEEvT1_
; %bb.0:
	.section	.rodata,"a",@progbits
	.p2align	6, 0x0
	.amdhsa_kernel _ZN7rocprim17ROCPRIM_400000_NS6detail17trampoline_kernelINS0_14default_configENS1_27scan_by_key_config_selectorIiiEEZZNS1_16scan_by_key_implILNS1_25lookback_scan_determinismE0ELb1ES3_N6thrust23THRUST_200600_302600_NS6detail15normal_iteratorINS9_10device_ptrIiEEEESE_SE_iNS9_4plusIvEENS9_8equal_toIvEEiEE10hipError_tPvRmT2_T3_T4_T5_mT6_T7_P12ihipStream_tbENKUlT_T0_E_clISt17integral_constantIbLb0EESY_IbLb1EEEEDaSU_SV_EUlSU_E_NS1_11comp_targetILNS1_3genE3ELNS1_11target_archE908ELNS1_3gpuE7ELNS1_3repE0EEENS1_30default_config_static_selectorELNS0_4arch9wavefront6targetE1EEEvT1_
		.amdhsa_group_segment_fixed_size 0
		.amdhsa_private_segment_fixed_size 0
		.amdhsa_kernarg_size 112
		.amdhsa_user_sgpr_count 6
		.amdhsa_user_sgpr_private_segment_buffer 1
		.amdhsa_user_sgpr_dispatch_ptr 0
		.amdhsa_user_sgpr_queue_ptr 0
		.amdhsa_user_sgpr_kernarg_segment_ptr 1
		.amdhsa_user_sgpr_dispatch_id 0
		.amdhsa_user_sgpr_flat_scratch_init 0
		.amdhsa_user_sgpr_kernarg_preload_length 0
		.amdhsa_user_sgpr_kernarg_preload_offset 0
		.amdhsa_user_sgpr_private_segment_size 0
		.amdhsa_uses_dynamic_stack 0
		.amdhsa_system_sgpr_private_segment_wavefront_offset 0
		.amdhsa_system_sgpr_workgroup_id_x 1
		.amdhsa_system_sgpr_workgroup_id_y 0
		.amdhsa_system_sgpr_workgroup_id_z 0
		.amdhsa_system_sgpr_workgroup_info 0
		.amdhsa_system_vgpr_workitem_id 0
		.amdhsa_next_free_vgpr 1
		.amdhsa_next_free_sgpr 0
		.amdhsa_accum_offset 4
		.amdhsa_reserve_vcc 0
		.amdhsa_reserve_flat_scratch 0
		.amdhsa_float_round_mode_32 0
		.amdhsa_float_round_mode_16_64 0
		.amdhsa_float_denorm_mode_32 3
		.amdhsa_float_denorm_mode_16_64 3
		.amdhsa_dx10_clamp 1
		.amdhsa_ieee_mode 1
		.amdhsa_fp16_overflow 0
		.amdhsa_tg_split 0
		.amdhsa_exception_fp_ieee_invalid_op 0
		.amdhsa_exception_fp_denorm_src 0
		.amdhsa_exception_fp_ieee_div_zero 0
		.amdhsa_exception_fp_ieee_overflow 0
		.amdhsa_exception_fp_ieee_underflow 0
		.amdhsa_exception_fp_ieee_inexact 0
		.amdhsa_exception_int_div_zero 0
	.end_amdhsa_kernel
	.section	.text._ZN7rocprim17ROCPRIM_400000_NS6detail17trampoline_kernelINS0_14default_configENS1_27scan_by_key_config_selectorIiiEEZZNS1_16scan_by_key_implILNS1_25lookback_scan_determinismE0ELb1ES3_N6thrust23THRUST_200600_302600_NS6detail15normal_iteratorINS9_10device_ptrIiEEEESE_SE_iNS9_4plusIvEENS9_8equal_toIvEEiEE10hipError_tPvRmT2_T3_T4_T5_mT6_T7_P12ihipStream_tbENKUlT_T0_E_clISt17integral_constantIbLb0EESY_IbLb1EEEEDaSU_SV_EUlSU_E_NS1_11comp_targetILNS1_3genE3ELNS1_11target_archE908ELNS1_3gpuE7ELNS1_3repE0EEENS1_30default_config_static_selectorELNS0_4arch9wavefront6targetE1EEEvT1_,"axG",@progbits,_ZN7rocprim17ROCPRIM_400000_NS6detail17trampoline_kernelINS0_14default_configENS1_27scan_by_key_config_selectorIiiEEZZNS1_16scan_by_key_implILNS1_25lookback_scan_determinismE0ELb1ES3_N6thrust23THRUST_200600_302600_NS6detail15normal_iteratorINS9_10device_ptrIiEEEESE_SE_iNS9_4plusIvEENS9_8equal_toIvEEiEE10hipError_tPvRmT2_T3_T4_T5_mT6_T7_P12ihipStream_tbENKUlT_T0_E_clISt17integral_constantIbLb0EESY_IbLb1EEEEDaSU_SV_EUlSU_E_NS1_11comp_targetILNS1_3genE3ELNS1_11target_archE908ELNS1_3gpuE7ELNS1_3repE0EEENS1_30default_config_static_selectorELNS0_4arch9wavefront6targetE1EEEvT1_,comdat
.Lfunc_end492:
	.size	_ZN7rocprim17ROCPRIM_400000_NS6detail17trampoline_kernelINS0_14default_configENS1_27scan_by_key_config_selectorIiiEEZZNS1_16scan_by_key_implILNS1_25lookback_scan_determinismE0ELb1ES3_N6thrust23THRUST_200600_302600_NS6detail15normal_iteratorINS9_10device_ptrIiEEEESE_SE_iNS9_4plusIvEENS9_8equal_toIvEEiEE10hipError_tPvRmT2_T3_T4_T5_mT6_T7_P12ihipStream_tbENKUlT_T0_E_clISt17integral_constantIbLb0EESY_IbLb1EEEEDaSU_SV_EUlSU_E_NS1_11comp_targetILNS1_3genE3ELNS1_11target_archE908ELNS1_3gpuE7ELNS1_3repE0EEENS1_30default_config_static_selectorELNS0_4arch9wavefront6targetE1EEEvT1_, .Lfunc_end492-_ZN7rocprim17ROCPRIM_400000_NS6detail17trampoline_kernelINS0_14default_configENS1_27scan_by_key_config_selectorIiiEEZZNS1_16scan_by_key_implILNS1_25lookback_scan_determinismE0ELb1ES3_N6thrust23THRUST_200600_302600_NS6detail15normal_iteratorINS9_10device_ptrIiEEEESE_SE_iNS9_4plusIvEENS9_8equal_toIvEEiEE10hipError_tPvRmT2_T3_T4_T5_mT6_T7_P12ihipStream_tbENKUlT_T0_E_clISt17integral_constantIbLb0EESY_IbLb1EEEEDaSU_SV_EUlSU_E_NS1_11comp_targetILNS1_3genE3ELNS1_11target_archE908ELNS1_3gpuE7ELNS1_3repE0EEENS1_30default_config_static_selectorELNS0_4arch9wavefront6targetE1EEEvT1_
                                        ; -- End function
	.section	.AMDGPU.csdata,"",@progbits
; Kernel info:
; codeLenInByte = 0
; NumSgprs: 4
; NumVgprs: 0
; NumAgprs: 0
; TotalNumVgprs: 0
; ScratchSize: 0
; MemoryBound: 0
; FloatMode: 240
; IeeeMode: 1
; LDSByteSize: 0 bytes/workgroup (compile time only)
; SGPRBlocks: 0
; VGPRBlocks: 0
; NumSGPRsForWavesPerEU: 4
; NumVGPRsForWavesPerEU: 1
; AccumOffset: 4
; Occupancy: 8
; WaveLimiterHint : 0
; COMPUTE_PGM_RSRC2:SCRATCH_EN: 0
; COMPUTE_PGM_RSRC2:USER_SGPR: 6
; COMPUTE_PGM_RSRC2:TRAP_HANDLER: 0
; COMPUTE_PGM_RSRC2:TGID_X_EN: 1
; COMPUTE_PGM_RSRC2:TGID_Y_EN: 0
; COMPUTE_PGM_RSRC2:TGID_Z_EN: 0
; COMPUTE_PGM_RSRC2:TIDIG_COMP_CNT: 0
; COMPUTE_PGM_RSRC3_GFX90A:ACCUM_OFFSET: 0
; COMPUTE_PGM_RSRC3_GFX90A:TG_SPLIT: 0
	.section	.text._ZN7rocprim17ROCPRIM_400000_NS6detail17trampoline_kernelINS0_14default_configENS1_27scan_by_key_config_selectorIiiEEZZNS1_16scan_by_key_implILNS1_25lookback_scan_determinismE0ELb1ES3_N6thrust23THRUST_200600_302600_NS6detail15normal_iteratorINS9_10device_ptrIiEEEESE_SE_iNS9_4plusIvEENS9_8equal_toIvEEiEE10hipError_tPvRmT2_T3_T4_T5_mT6_T7_P12ihipStream_tbENKUlT_T0_E_clISt17integral_constantIbLb0EESY_IbLb1EEEEDaSU_SV_EUlSU_E_NS1_11comp_targetILNS1_3genE2ELNS1_11target_archE906ELNS1_3gpuE6ELNS1_3repE0EEENS1_30default_config_static_selectorELNS0_4arch9wavefront6targetE1EEEvT1_,"axG",@progbits,_ZN7rocprim17ROCPRIM_400000_NS6detail17trampoline_kernelINS0_14default_configENS1_27scan_by_key_config_selectorIiiEEZZNS1_16scan_by_key_implILNS1_25lookback_scan_determinismE0ELb1ES3_N6thrust23THRUST_200600_302600_NS6detail15normal_iteratorINS9_10device_ptrIiEEEESE_SE_iNS9_4plusIvEENS9_8equal_toIvEEiEE10hipError_tPvRmT2_T3_T4_T5_mT6_T7_P12ihipStream_tbENKUlT_T0_E_clISt17integral_constantIbLb0EESY_IbLb1EEEEDaSU_SV_EUlSU_E_NS1_11comp_targetILNS1_3genE2ELNS1_11target_archE906ELNS1_3gpuE6ELNS1_3repE0EEENS1_30default_config_static_selectorELNS0_4arch9wavefront6targetE1EEEvT1_,comdat
	.protected	_ZN7rocprim17ROCPRIM_400000_NS6detail17trampoline_kernelINS0_14default_configENS1_27scan_by_key_config_selectorIiiEEZZNS1_16scan_by_key_implILNS1_25lookback_scan_determinismE0ELb1ES3_N6thrust23THRUST_200600_302600_NS6detail15normal_iteratorINS9_10device_ptrIiEEEESE_SE_iNS9_4plusIvEENS9_8equal_toIvEEiEE10hipError_tPvRmT2_T3_T4_T5_mT6_T7_P12ihipStream_tbENKUlT_T0_E_clISt17integral_constantIbLb0EESY_IbLb1EEEEDaSU_SV_EUlSU_E_NS1_11comp_targetILNS1_3genE2ELNS1_11target_archE906ELNS1_3gpuE6ELNS1_3repE0EEENS1_30default_config_static_selectorELNS0_4arch9wavefront6targetE1EEEvT1_ ; -- Begin function _ZN7rocprim17ROCPRIM_400000_NS6detail17trampoline_kernelINS0_14default_configENS1_27scan_by_key_config_selectorIiiEEZZNS1_16scan_by_key_implILNS1_25lookback_scan_determinismE0ELb1ES3_N6thrust23THRUST_200600_302600_NS6detail15normal_iteratorINS9_10device_ptrIiEEEESE_SE_iNS9_4plusIvEENS9_8equal_toIvEEiEE10hipError_tPvRmT2_T3_T4_T5_mT6_T7_P12ihipStream_tbENKUlT_T0_E_clISt17integral_constantIbLb0EESY_IbLb1EEEEDaSU_SV_EUlSU_E_NS1_11comp_targetILNS1_3genE2ELNS1_11target_archE906ELNS1_3gpuE6ELNS1_3repE0EEENS1_30default_config_static_selectorELNS0_4arch9wavefront6targetE1EEEvT1_
	.globl	_ZN7rocprim17ROCPRIM_400000_NS6detail17trampoline_kernelINS0_14default_configENS1_27scan_by_key_config_selectorIiiEEZZNS1_16scan_by_key_implILNS1_25lookback_scan_determinismE0ELb1ES3_N6thrust23THRUST_200600_302600_NS6detail15normal_iteratorINS9_10device_ptrIiEEEESE_SE_iNS9_4plusIvEENS9_8equal_toIvEEiEE10hipError_tPvRmT2_T3_T4_T5_mT6_T7_P12ihipStream_tbENKUlT_T0_E_clISt17integral_constantIbLb0EESY_IbLb1EEEEDaSU_SV_EUlSU_E_NS1_11comp_targetILNS1_3genE2ELNS1_11target_archE906ELNS1_3gpuE6ELNS1_3repE0EEENS1_30default_config_static_selectorELNS0_4arch9wavefront6targetE1EEEvT1_
	.p2align	8
	.type	_ZN7rocprim17ROCPRIM_400000_NS6detail17trampoline_kernelINS0_14default_configENS1_27scan_by_key_config_selectorIiiEEZZNS1_16scan_by_key_implILNS1_25lookback_scan_determinismE0ELb1ES3_N6thrust23THRUST_200600_302600_NS6detail15normal_iteratorINS9_10device_ptrIiEEEESE_SE_iNS9_4plusIvEENS9_8equal_toIvEEiEE10hipError_tPvRmT2_T3_T4_T5_mT6_T7_P12ihipStream_tbENKUlT_T0_E_clISt17integral_constantIbLb0EESY_IbLb1EEEEDaSU_SV_EUlSU_E_NS1_11comp_targetILNS1_3genE2ELNS1_11target_archE906ELNS1_3gpuE6ELNS1_3repE0EEENS1_30default_config_static_selectorELNS0_4arch9wavefront6targetE1EEEvT1_,@function
_ZN7rocprim17ROCPRIM_400000_NS6detail17trampoline_kernelINS0_14default_configENS1_27scan_by_key_config_selectorIiiEEZZNS1_16scan_by_key_implILNS1_25lookback_scan_determinismE0ELb1ES3_N6thrust23THRUST_200600_302600_NS6detail15normal_iteratorINS9_10device_ptrIiEEEESE_SE_iNS9_4plusIvEENS9_8equal_toIvEEiEE10hipError_tPvRmT2_T3_T4_T5_mT6_T7_P12ihipStream_tbENKUlT_T0_E_clISt17integral_constantIbLb0EESY_IbLb1EEEEDaSU_SV_EUlSU_E_NS1_11comp_targetILNS1_3genE2ELNS1_11target_archE906ELNS1_3gpuE6ELNS1_3repE0EEENS1_30default_config_static_selectorELNS0_4arch9wavefront6targetE1EEEvT1_: ; @_ZN7rocprim17ROCPRIM_400000_NS6detail17trampoline_kernelINS0_14default_configENS1_27scan_by_key_config_selectorIiiEEZZNS1_16scan_by_key_implILNS1_25lookback_scan_determinismE0ELb1ES3_N6thrust23THRUST_200600_302600_NS6detail15normal_iteratorINS9_10device_ptrIiEEEESE_SE_iNS9_4plusIvEENS9_8equal_toIvEEiEE10hipError_tPvRmT2_T3_T4_T5_mT6_T7_P12ihipStream_tbENKUlT_T0_E_clISt17integral_constantIbLb0EESY_IbLb1EEEEDaSU_SV_EUlSU_E_NS1_11comp_targetILNS1_3genE2ELNS1_11target_archE906ELNS1_3gpuE6ELNS1_3repE0EEENS1_30default_config_static_selectorELNS0_4arch9wavefront6targetE1EEEvT1_
; %bb.0:
	.section	.rodata,"a",@progbits
	.p2align	6, 0x0
	.amdhsa_kernel _ZN7rocprim17ROCPRIM_400000_NS6detail17trampoline_kernelINS0_14default_configENS1_27scan_by_key_config_selectorIiiEEZZNS1_16scan_by_key_implILNS1_25lookback_scan_determinismE0ELb1ES3_N6thrust23THRUST_200600_302600_NS6detail15normal_iteratorINS9_10device_ptrIiEEEESE_SE_iNS9_4plusIvEENS9_8equal_toIvEEiEE10hipError_tPvRmT2_T3_T4_T5_mT6_T7_P12ihipStream_tbENKUlT_T0_E_clISt17integral_constantIbLb0EESY_IbLb1EEEEDaSU_SV_EUlSU_E_NS1_11comp_targetILNS1_3genE2ELNS1_11target_archE906ELNS1_3gpuE6ELNS1_3repE0EEENS1_30default_config_static_selectorELNS0_4arch9wavefront6targetE1EEEvT1_
		.amdhsa_group_segment_fixed_size 0
		.amdhsa_private_segment_fixed_size 0
		.amdhsa_kernarg_size 112
		.amdhsa_user_sgpr_count 6
		.amdhsa_user_sgpr_private_segment_buffer 1
		.amdhsa_user_sgpr_dispatch_ptr 0
		.amdhsa_user_sgpr_queue_ptr 0
		.amdhsa_user_sgpr_kernarg_segment_ptr 1
		.amdhsa_user_sgpr_dispatch_id 0
		.amdhsa_user_sgpr_flat_scratch_init 0
		.amdhsa_user_sgpr_kernarg_preload_length 0
		.amdhsa_user_sgpr_kernarg_preload_offset 0
		.amdhsa_user_sgpr_private_segment_size 0
		.amdhsa_uses_dynamic_stack 0
		.amdhsa_system_sgpr_private_segment_wavefront_offset 0
		.amdhsa_system_sgpr_workgroup_id_x 1
		.amdhsa_system_sgpr_workgroup_id_y 0
		.amdhsa_system_sgpr_workgroup_id_z 0
		.amdhsa_system_sgpr_workgroup_info 0
		.amdhsa_system_vgpr_workitem_id 0
		.amdhsa_next_free_vgpr 1
		.amdhsa_next_free_sgpr 0
		.amdhsa_accum_offset 4
		.amdhsa_reserve_vcc 0
		.amdhsa_reserve_flat_scratch 0
		.amdhsa_float_round_mode_32 0
		.amdhsa_float_round_mode_16_64 0
		.amdhsa_float_denorm_mode_32 3
		.amdhsa_float_denorm_mode_16_64 3
		.amdhsa_dx10_clamp 1
		.amdhsa_ieee_mode 1
		.amdhsa_fp16_overflow 0
		.amdhsa_tg_split 0
		.amdhsa_exception_fp_ieee_invalid_op 0
		.amdhsa_exception_fp_denorm_src 0
		.amdhsa_exception_fp_ieee_div_zero 0
		.amdhsa_exception_fp_ieee_overflow 0
		.amdhsa_exception_fp_ieee_underflow 0
		.amdhsa_exception_fp_ieee_inexact 0
		.amdhsa_exception_int_div_zero 0
	.end_amdhsa_kernel
	.section	.text._ZN7rocprim17ROCPRIM_400000_NS6detail17trampoline_kernelINS0_14default_configENS1_27scan_by_key_config_selectorIiiEEZZNS1_16scan_by_key_implILNS1_25lookback_scan_determinismE0ELb1ES3_N6thrust23THRUST_200600_302600_NS6detail15normal_iteratorINS9_10device_ptrIiEEEESE_SE_iNS9_4plusIvEENS9_8equal_toIvEEiEE10hipError_tPvRmT2_T3_T4_T5_mT6_T7_P12ihipStream_tbENKUlT_T0_E_clISt17integral_constantIbLb0EESY_IbLb1EEEEDaSU_SV_EUlSU_E_NS1_11comp_targetILNS1_3genE2ELNS1_11target_archE906ELNS1_3gpuE6ELNS1_3repE0EEENS1_30default_config_static_selectorELNS0_4arch9wavefront6targetE1EEEvT1_,"axG",@progbits,_ZN7rocprim17ROCPRIM_400000_NS6detail17trampoline_kernelINS0_14default_configENS1_27scan_by_key_config_selectorIiiEEZZNS1_16scan_by_key_implILNS1_25lookback_scan_determinismE0ELb1ES3_N6thrust23THRUST_200600_302600_NS6detail15normal_iteratorINS9_10device_ptrIiEEEESE_SE_iNS9_4plusIvEENS9_8equal_toIvEEiEE10hipError_tPvRmT2_T3_T4_T5_mT6_T7_P12ihipStream_tbENKUlT_T0_E_clISt17integral_constantIbLb0EESY_IbLb1EEEEDaSU_SV_EUlSU_E_NS1_11comp_targetILNS1_3genE2ELNS1_11target_archE906ELNS1_3gpuE6ELNS1_3repE0EEENS1_30default_config_static_selectorELNS0_4arch9wavefront6targetE1EEEvT1_,comdat
.Lfunc_end493:
	.size	_ZN7rocprim17ROCPRIM_400000_NS6detail17trampoline_kernelINS0_14default_configENS1_27scan_by_key_config_selectorIiiEEZZNS1_16scan_by_key_implILNS1_25lookback_scan_determinismE0ELb1ES3_N6thrust23THRUST_200600_302600_NS6detail15normal_iteratorINS9_10device_ptrIiEEEESE_SE_iNS9_4plusIvEENS9_8equal_toIvEEiEE10hipError_tPvRmT2_T3_T4_T5_mT6_T7_P12ihipStream_tbENKUlT_T0_E_clISt17integral_constantIbLb0EESY_IbLb1EEEEDaSU_SV_EUlSU_E_NS1_11comp_targetILNS1_3genE2ELNS1_11target_archE906ELNS1_3gpuE6ELNS1_3repE0EEENS1_30default_config_static_selectorELNS0_4arch9wavefront6targetE1EEEvT1_, .Lfunc_end493-_ZN7rocprim17ROCPRIM_400000_NS6detail17trampoline_kernelINS0_14default_configENS1_27scan_by_key_config_selectorIiiEEZZNS1_16scan_by_key_implILNS1_25lookback_scan_determinismE0ELb1ES3_N6thrust23THRUST_200600_302600_NS6detail15normal_iteratorINS9_10device_ptrIiEEEESE_SE_iNS9_4plusIvEENS9_8equal_toIvEEiEE10hipError_tPvRmT2_T3_T4_T5_mT6_T7_P12ihipStream_tbENKUlT_T0_E_clISt17integral_constantIbLb0EESY_IbLb1EEEEDaSU_SV_EUlSU_E_NS1_11comp_targetILNS1_3genE2ELNS1_11target_archE906ELNS1_3gpuE6ELNS1_3repE0EEENS1_30default_config_static_selectorELNS0_4arch9wavefront6targetE1EEEvT1_
                                        ; -- End function
	.section	.AMDGPU.csdata,"",@progbits
; Kernel info:
; codeLenInByte = 0
; NumSgprs: 4
; NumVgprs: 0
; NumAgprs: 0
; TotalNumVgprs: 0
; ScratchSize: 0
; MemoryBound: 0
; FloatMode: 240
; IeeeMode: 1
; LDSByteSize: 0 bytes/workgroup (compile time only)
; SGPRBlocks: 0
; VGPRBlocks: 0
; NumSGPRsForWavesPerEU: 4
; NumVGPRsForWavesPerEU: 1
; AccumOffset: 4
; Occupancy: 8
; WaveLimiterHint : 0
; COMPUTE_PGM_RSRC2:SCRATCH_EN: 0
; COMPUTE_PGM_RSRC2:USER_SGPR: 6
; COMPUTE_PGM_RSRC2:TRAP_HANDLER: 0
; COMPUTE_PGM_RSRC2:TGID_X_EN: 1
; COMPUTE_PGM_RSRC2:TGID_Y_EN: 0
; COMPUTE_PGM_RSRC2:TGID_Z_EN: 0
; COMPUTE_PGM_RSRC2:TIDIG_COMP_CNT: 0
; COMPUTE_PGM_RSRC3_GFX90A:ACCUM_OFFSET: 0
; COMPUTE_PGM_RSRC3_GFX90A:TG_SPLIT: 0
	.section	.text._ZN7rocprim17ROCPRIM_400000_NS6detail17trampoline_kernelINS0_14default_configENS1_27scan_by_key_config_selectorIiiEEZZNS1_16scan_by_key_implILNS1_25lookback_scan_determinismE0ELb1ES3_N6thrust23THRUST_200600_302600_NS6detail15normal_iteratorINS9_10device_ptrIiEEEESE_SE_iNS9_4plusIvEENS9_8equal_toIvEEiEE10hipError_tPvRmT2_T3_T4_T5_mT6_T7_P12ihipStream_tbENKUlT_T0_E_clISt17integral_constantIbLb0EESY_IbLb1EEEEDaSU_SV_EUlSU_E_NS1_11comp_targetILNS1_3genE10ELNS1_11target_archE1200ELNS1_3gpuE4ELNS1_3repE0EEENS1_30default_config_static_selectorELNS0_4arch9wavefront6targetE1EEEvT1_,"axG",@progbits,_ZN7rocprim17ROCPRIM_400000_NS6detail17trampoline_kernelINS0_14default_configENS1_27scan_by_key_config_selectorIiiEEZZNS1_16scan_by_key_implILNS1_25lookback_scan_determinismE0ELb1ES3_N6thrust23THRUST_200600_302600_NS6detail15normal_iteratorINS9_10device_ptrIiEEEESE_SE_iNS9_4plusIvEENS9_8equal_toIvEEiEE10hipError_tPvRmT2_T3_T4_T5_mT6_T7_P12ihipStream_tbENKUlT_T0_E_clISt17integral_constantIbLb0EESY_IbLb1EEEEDaSU_SV_EUlSU_E_NS1_11comp_targetILNS1_3genE10ELNS1_11target_archE1200ELNS1_3gpuE4ELNS1_3repE0EEENS1_30default_config_static_selectorELNS0_4arch9wavefront6targetE1EEEvT1_,comdat
	.protected	_ZN7rocprim17ROCPRIM_400000_NS6detail17trampoline_kernelINS0_14default_configENS1_27scan_by_key_config_selectorIiiEEZZNS1_16scan_by_key_implILNS1_25lookback_scan_determinismE0ELb1ES3_N6thrust23THRUST_200600_302600_NS6detail15normal_iteratorINS9_10device_ptrIiEEEESE_SE_iNS9_4plusIvEENS9_8equal_toIvEEiEE10hipError_tPvRmT2_T3_T4_T5_mT6_T7_P12ihipStream_tbENKUlT_T0_E_clISt17integral_constantIbLb0EESY_IbLb1EEEEDaSU_SV_EUlSU_E_NS1_11comp_targetILNS1_3genE10ELNS1_11target_archE1200ELNS1_3gpuE4ELNS1_3repE0EEENS1_30default_config_static_selectorELNS0_4arch9wavefront6targetE1EEEvT1_ ; -- Begin function _ZN7rocprim17ROCPRIM_400000_NS6detail17trampoline_kernelINS0_14default_configENS1_27scan_by_key_config_selectorIiiEEZZNS1_16scan_by_key_implILNS1_25lookback_scan_determinismE0ELb1ES3_N6thrust23THRUST_200600_302600_NS6detail15normal_iteratorINS9_10device_ptrIiEEEESE_SE_iNS9_4plusIvEENS9_8equal_toIvEEiEE10hipError_tPvRmT2_T3_T4_T5_mT6_T7_P12ihipStream_tbENKUlT_T0_E_clISt17integral_constantIbLb0EESY_IbLb1EEEEDaSU_SV_EUlSU_E_NS1_11comp_targetILNS1_3genE10ELNS1_11target_archE1200ELNS1_3gpuE4ELNS1_3repE0EEENS1_30default_config_static_selectorELNS0_4arch9wavefront6targetE1EEEvT1_
	.globl	_ZN7rocprim17ROCPRIM_400000_NS6detail17trampoline_kernelINS0_14default_configENS1_27scan_by_key_config_selectorIiiEEZZNS1_16scan_by_key_implILNS1_25lookback_scan_determinismE0ELb1ES3_N6thrust23THRUST_200600_302600_NS6detail15normal_iteratorINS9_10device_ptrIiEEEESE_SE_iNS9_4plusIvEENS9_8equal_toIvEEiEE10hipError_tPvRmT2_T3_T4_T5_mT6_T7_P12ihipStream_tbENKUlT_T0_E_clISt17integral_constantIbLb0EESY_IbLb1EEEEDaSU_SV_EUlSU_E_NS1_11comp_targetILNS1_3genE10ELNS1_11target_archE1200ELNS1_3gpuE4ELNS1_3repE0EEENS1_30default_config_static_selectorELNS0_4arch9wavefront6targetE1EEEvT1_
	.p2align	8
	.type	_ZN7rocprim17ROCPRIM_400000_NS6detail17trampoline_kernelINS0_14default_configENS1_27scan_by_key_config_selectorIiiEEZZNS1_16scan_by_key_implILNS1_25lookback_scan_determinismE0ELb1ES3_N6thrust23THRUST_200600_302600_NS6detail15normal_iteratorINS9_10device_ptrIiEEEESE_SE_iNS9_4plusIvEENS9_8equal_toIvEEiEE10hipError_tPvRmT2_T3_T4_T5_mT6_T7_P12ihipStream_tbENKUlT_T0_E_clISt17integral_constantIbLb0EESY_IbLb1EEEEDaSU_SV_EUlSU_E_NS1_11comp_targetILNS1_3genE10ELNS1_11target_archE1200ELNS1_3gpuE4ELNS1_3repE0EEENS1_30default_config_static_selectorELNS0_4arch9wavefront6targetE1EEEvT1_,@function
_ZN7rocprim17ROCPRIM_400000_NS6detail17trampoline_kernelINS0_14default_configENS1_27scan_by_key_config_selectorIiiEEZZNS1_16scan_by_key_implILNS1_25lookback_scan_determinismE0ELb1ES3_N6thrust23THRUST_200600_302600_NS6detail15normal_iteratorINS9_10device_ptrIiEEEESE_SE_iNS9_4plusIvEENS9_8equal_toIvEEiEE10hipError_tPvRmT2_T3_T4_T5_mT6_T7_P12ihipStream_tbENKUlT_T0_E_clISt17integral_constantIbLb0EESY_IbLb1EEEEDaSU_SV_EUlSU_E_NS1_11comp_targetILNS1_3genE10ELNS1_11target_archE1200ELNS1_3gpuE4ELNS1_3repE0EEENS1_30default_config_static_selectorELNS0_4arch9wavefront6targetE1EEEvT1_: ; @_ZN7rocprim17ROCPRIM_400000_NS6detail17trampoline_kernelINS0_14default_configENS1_27scan_by_key_config_selectorIiiEEZZNS1_16scan_by_key_implILNS1_25lookback_scan_determinismE0ELb1ES3_N6thrust23THRUST_200600_302600_NS6detail15normal_iteratorINS9_10device_ptrIiEEEESE_SE_iNS9_4plusIvEENS9_8equal_toIvEEiEE10hipError_tPvRmT2_T3_T4_T5_mT6_T7_P12ihipStream_tbENKUlT_T0_E_clISt17integral_constantIbLb0EESY_IbLb1EEEEDaSU_SV_EUlSU_E_NS1_11comp_targetILNS1_3genE10ELNS1_11target_archE1200ELNS1_3gpuE4ELNS1_3repE0EEENS1_30default_config_static_selectorELNS0_4arch9wavefront6targetE1EEEvT1_
; %bb.0:
	.section	.rodata,"a",@progbits
	.p2align	6, 0x0
	.amdhsa_kernel _ZN7rocprim17ROCPRIM_400000_NS6detail17trampoline_kernelINS0_14default_configENS1_27scan_by_key_config_selectorIiiEEZZNS1_16scan_by_key_implILNS1_25lookback_scan_determinismE0ELb1ES3_N6thrust23THRUST_200600_302600_NS6detail15normal_iteratorINS9_10device_ptrIiEEEESE_SE_iNS9_4plusIvEENS9_8equal_toIvEEiEE10hipError_tPvRmT2_T3_T4_T5_mT6_T7_P12ihipStream_tbENKUlT_T0_E_clISt17integral_constantIbLb0EESY_IbLb1EEEEDaSU_SV_EUlSU_E_NS1_11comp_targetILNS1_3genE10ELNS1_11target_archE1200ELNS1_3gpuE4ELNS1_3repE0EEENS1_30default_config_static_selectorELNS0_4arch9wavefront6targetE1EEEvT1_
		.amdhsa_group_segment_fixed_size 0
		.amdhsa_private_segment_fixed_size 0
		.amdhsa_kernarg_size 112
		.amdhsa_user_sgpr_count 6
		.amdhsa_user_sgpr_private_segment_buffer 1
		.amdhsa_user_sgpr_dispatch_ptr 0
		.amdhsa_user_sgpr_queue_ptr 0
		.amdhsa_user_sgpr_kernarg_segment_ptr 1
		.amdhsa_user_sgpr_dispatch_id 0
		.amdhsa_user_sgpr_flat_scratch_init 0
		.amdhsa_user_sgpr_kernarg_preload_length 0
		.amdhsa_user_sgpr_kernarg_preload_offset 0
		.amdhsa_user_sgpr_private_segment_size 0
		.amdhsa_uses_dynamic_stack 0
		.amdhsa_system_sgpr_private_segment_wavefront_offset 0
		.amdhsa_system_sgpr_workgroup_id_x 1
		.amdhsa_system_sgpr_workgroup_id_y 0
		.amdhsa_system_sgpr_workgroup_id_z 0
		.amdhsa_system_sgpr_workgroup_info 0
		.amdhsa_system_vgpr_workitem_id 0
		.amdhsa_next_free_vgpr 1
		.amdhsa_next_free_sgpr 0
		.amdhsa_accum_offset 4
		.amdhsa_reserve_vcc 0
		.amdhsa_reserve_flat_scratch 0
		.amdhsa_float_round_mode_32 0
		.amdhsa_float_round_mode_16_64 0
		.amdhsa_float_denorm_mode_32 3
		.amdhsa_float_denorm_mode_16_64 3
		.amdhsa_dx10_clamp 1
		.amdhsa_ieee_mode 1
		.amdhsa_fp16_overflow 0
		.amdhsa_tg_split 0
		.amdhsa_exception_fp_ieee_invalid_op 0
		.amdhsa_exception_fp_denorm_src 0
		.amdhsa_exception_fp_ieee_div_zero 0
		.amdhsa_exception_fp_ieee_overflow 0
		.amdhsa_exception_fp_ieee_underflow 0
		.amdhsa_exception_fp_ieee_inexact 0
		.amdhsa_exception_int_div_zero 0
	.end_amdhsa_kernel
	.section	.text._ZN7rocprim17ROCPRIM_400000_NS6detail17trampoline_kernelINS0_14default_configENS1_27scan_by_key_config_selectorIiiEEZZNS1_16scan_by_key_implILNS1_25lookback_scan_determinismE0ELb1ES3_N6thrust23THRUST_200600_302600_NS6detail15normal_iteratorINS9_10device_ptrIiEEEESE_SE_iNS9_4plusIvEENS9_8equal_toIvEEiEE10hipError_tPvRmT2_T3_T4_T5_mT6_T7_P12ihipStream_tbENKUlT_T0_E_clISt17integral_constantIbLb0EESY_IbLb1EEEEDaSU_SV_EUlSU_E_NS1_11comp_targetILNS1_3genE10ELNS1_11target_archE1200ELNS1_3gpuE4ELNS1_3repE0EEENS1_30default_config_static_selectorELNS0_4arch9wavefront6targetE1EEEvT1_,"axG",@progbits,_ZN7rocprim17ROCPRIM_400000_NS6detail17trampoline_kernelINS0_14default_configENS1_27scan_by_key_config_selectorIiiEEZZNS1_16scan_by_key_implILNS1_25lookback_scan_determinismE0ELb1ES3_N6thrust23THRUST_200600_302600_NS6detail15normal_iteratorINS9_10device_ptrIiEEEESE_SE_iNS9_4plusIvEENS9_8equal_toIvEEiEE10hipError_tPvRmT2_T3_T4_T5_mT6_T7_P12ihipStream_tbENKUlT_T0_E_clISt17integral_constantIbLb0EESY_IbLb1EEEEDaSU_SV_EUlSU_E_NS1_11comp_targetILNS1_3genE10ELNS1_11target_archE1200ELNS1_3gpuE4ELNS1_3repE0EEENS1_30default_config_static_selectorELNS0_4arch9wavefront6targetE1EEEvT1_,comdat
.Lfunc_end494:
	.size	_ZN7rocprim17ROCPRIM_400000_NS6detail17trampoline_kernelINS0_14default_configENS1_27scan_by_key_config_selectorIiiEEZZNS1_16scan_by_key_implILNS1_25lookback_scan_determinismE0ELb1ES3_N6thrust23THRUST_200600_302600_NS6detail15normal_iteratorINS9_10device_ptrIiEEEESE_SE_iNS9_4plusIvEENS9_8equal_toIvEEiEE10hipError_tPvRmT2_T3_T4_T5_mT6_T7_P12ihipStream_tbENKUlT_T0_E_clISt17integral_constantIbLb0EESY_IbLb1EEEEDaSU_SV_EUlSU_E_NS1_11comp_targetILNS1_3genE10ELNS1_11target_archE1200ELNS1_3gpuE4ELNS1_3repE0EEENS1_30default_config_static_selectorELNS0_4arch9wavefront6targetE1EEEvT1_, .Lfunc_end494-_ZN7rocprim17ROCPRIM_400000_NS6detail17trampoline_kernelINS0_14default_configENS1_27scan_by_key_config_selectorIiiEEZZNS1_16scan_by_key_implILNS1_25lookback_scan_determinismE0ELb1ES3_N6thrust23THRUST_200600_302600_NS6detail15normal_iteratorINS9_10device_ptrIiEEEESE_SE_iNS9_4plusIvEENS9_8equal_toIvEEiEE10hipError_tPvRmT2_T3_T4_T5_mT6_T7_P12ihipStream_tbENKUlT_T0_E_clISt17integral_constantIbLb0EESY_IbLb1EEEEDaSU_SV_EUlSU_E_NS1_11comp_targetILNS1_3genE10ELNS1_11target_archE1200ELNS1_3gpuE4ELNS1_3repE0EEENS1_30default_config_static_selectorELNS0_4arch9wavefront6targetE1EEEvT1_
                                        ; -- End function
	.section	.AMDGPU.csdata,"",@progbits
; Kernel info:
; codeLenInByte = 0
; NumSgprs: 4
; NumVgprs: 0
; NumAgprs: 0
; TotalNumVgprs: 0
; ScratchSize: 0
; MemoryBound: 0
; FloatMode: 240
; IeeeMode: 1
; LDSByteSize: 0 bytes/workgroup (compile time only)
; SGPRBlocks: 0
; VGPRBlocks: 0
; NumSGPRsForWavesPerEU: 4
; NumVGPRsForWavesPerEU: 1
; AccumOffset: 4
; Occupancy: 8
; WaveLimiterHint : 0
; COMPUTE_PGM_RSRC2:SCRATCH_EN: 0
; COMPUTE_PGM_RSRC2:USER_SGPR: 6
; COMPUTE_PGM_RSRC2:TRAP_HANDLER: 0
; COMPUTE_PGM_RSRC2:TGID_X_EN: 1
; COMPUTE_PGM_RSRC2:TGID_Y_EN: 0
; COMPUTE_PGM_RSRC2:TGID_Z_EN: 0
; COMPUTE_PGM_RSRC2:TIDIG_COMP_CNT: 0
; COMPUTE_PGM_RSRC3_GFX90A:ACCUM_OFFSET: 0
; COMPUTE_PGM_RSRC3_GFX90A:TG_SPLIT: 0
	.section	.text._ZN7rocprim17ROCPRIM_400000_NS6detail17trampoline_kernelINS0_14default_configENS1_27scan_by_key_config_selectorIiiEEZZNS1_16scan_by_key_implILNS1_25lookback_scan_determinismE0ELb1ES3_N6thrust23THRUST_200600_302600_NS6detail15normal_iteratorINS9_10device_ptrIiEEEESE_SE_iNS9_4plusIvEENS9_8equal_toIvEEiEE10hipError_tPvRmT2_T3_T4_T5_mT6_T7_P12ihipStream_tbENKUlT_T0_E_clISt17integral_constantIbLb0EESY_IbLb1EEEEDaSU_SV_EUlSU_E_NS1_11comp_targetILNS1_3genE9ELNS1_11target_archE1100ELNS1_3gpuE3ELNS1_3repE0EEENS1_30default_config_static_selectorELNS0_4arch9wavefront6targetE1EEEvT1_,"axG",@progbits,_ZN7rocprim17ROCPRIM_400000_NS6detail17trampoline_kernelINS0_14default_configENS1_27scan_by_key_config_selectorIiiEEZZNS1_16scan_by_key_implILNS1_25lookback_scan_determinismE0ELb1ES3_N6thrust23THRUST_200600_302600_NS6detail15normal_iteratorINS9_10device_ptrIiEEEESE_SE_iNS9_4plusIvEENS9_8equal_toIvEEiEE10hipError_tPvRmT2_T3_T4_T5_mT6_T7_P12ihipStream_tbENKUlT_T0_E_clISt17integral_constantIbLb0EESY_IbLb1EEEEDaSU_SV_EUlSU_E_NS1_11comp_targetILNS1_3genE9ELNS1_11target_archE1100ELNS1_3gpuE3ELNS1_3repE0EEENS1_30default_config_static_selectorELNS0_4arch9wavefront6targetE1EEEvT1_,comdat
	.protected	_ZN7rocprim17ROCPRIM_400000_NS6detail17trampoline_kernelINS0_14default_configENS1_27scan_by_key_config_selectorIiiEEZZNS1_16scan_by_key_implILNS1_25lookback_scan_determinismE0ELb1ES3_N6thrust23THRUST_200600_302600_NS6detail15normal_iteratorINS9_10device_ptrIiEEEESE_SE_iNS9_4plusIvEENS9_8equal_toIvEEiEE10hipError_tPvRmT2_T3_T4_T5_mT6_T7_P12ihipStream_tbENKUlT_T0_E_clISt17integral_constantIbLb0EESY_IbLb1EEEEDaSU_SV_EUlSU_E_NS1_11comp_targetILNS1_3genE9ELNS1_11target_archE1100ELNS1_3gpuE3ELNS1_3repE0EEENS1_30default_config_static_selectorELNS0_4arch9wavefront6targetE1EEEvT1_ ; -- Begin function _ZN7rocprim17ROCPRIM_400000_NS6detail17trampoline_kernelINS0_14default_configENS1_27scan_by_key_config_selectorIiiEEZZNS1_16scan_by_key_implILNS1_25lookback_scan_determinismE0ELb1ES3_N6thrust23THRUST_200600_302600_NS6detail15normal_iteratorINS9_10device_ptrIiEEEESE_SE_iNS9_4plusIvEENS9_8equal_toIvEEiEE10hipError_tPvRmT2_T3_T4_T5_mT6_T7_P12ihipStream_tbENKUlT_T0_E_clISt17integral_constantIbLb0EESY_IbLb1EEEEDaSU_SV_EUlSU_E_NS1_11comp_targetILNS1_3genE9ELNS1_11target_archE1100ELNS1_3gpuE3ELNS1_3repE0EEENS1_30default_config_static_selectorELNS0_4arch9wavefront6targetE1EEEvT1_
	.globl	_ZN7rocprim17ROCPRIM_400000_NS6detail17trampoline_kernelINS0_14default_configENS1_27scan_by_key_config_selectorIiiEEZZNS1_16scan_by_key_implILNS1_25lookback_scan_determinismE0ELb1ES3_N6thrust23THRUST_200600_302600_NS6detail15normal_iteratorINS9_10device_ptrIiEEEESE_SE_iNS9_4plusIvEENS9_8equal_toIvEEiEE10hipError_tPvRmT2_T3_T4_T5_mT6_T7_P12ihipStream_tbENKUlT_T0_E_clISt17integral_constantIbLb0EESY_IbLb1EEEEDaSU_SV_EUlSU_E_NS1_11comp_targetILNS1_3genE9ELNS1_11target_archE1100ELNS1_3gpuE3ELNS1_3repE0EEENS1_30default_config_static_selectorELNS0_4arch9wavefront6targetE1EEEvT1_
	.p2align	8
	.type	_ZN7rocprim17ROCPRIM_400000_NS6detail17trampoline_kernelINS0_14default_configENS1_27scan_by_key_config_selectorIiiEEZZNS1_16scan_by_key_implILNS1_25lookback_scan_determinismE0ELb1ES3_N6thrust23THRUST_200600_302600_NS6detail15normal_iteratorINS9_10device_ptrIiEEEESE_SE_iNS9_4plusIvEENS9_8equal_toIvEEiEE10hipError_tPvRmT2_T3_T4_T5_mT6_T7_P12ihipStream_tbENKUlT_T0_E_clISt17integral_constantIbLb0EESY_IbLb1EEEEDaSU_SV_EUlSU_E_NS1_11comp_targetILNS1_3genE9ELNS1_11target_archE1100ELNS1_3gpuE3ELNS1_3repE0EEENS1_30default_config_static_selectorELNS0_4arch9wavefront6targetE1EEEvT1_,@function
_ZN7rocprim17ROCPRIM_400000_NS6detail17trampoline_kernelINS0_14default_configENS1_27scan_by_key_config_selectorIiiEEZZNS1_16scan_by_key_implILNS1_25lookback_scan_determinismE0ELb1ES3_N6thrust23THRUST_200600_302600_NS6detail15normal_iteratorINS9_10device_ptrIiEEEESE_SE_iNS9_4plusIvEENS9_8equal_toIvEEiEE10hipError_tPvRmT2_T3_T4_T5_mT6_T7_P12ihipStream_tbENKUlT_T0_E_clISt17integral_constantIbLb0EESY_IbLb1EEEEDaSU_SV_EUlSU_E_NS1_11comp_targetILNS1_3genE9ELNS1_11target_archE1100ELNS1_3gpuE3ELNS1_3repE0EEENS1_30default_config_static_selectorELNS0_4arch9wavefront6targetE1EEEvT1_: ; @_ZN7rocprim17ROCPRIM_400000_NS6detail17trampoline_kernelINS0_14default_configENS1_27scan_by_key_config_selectorIiiEEZZNS1_16scan_by_key_implILNS1_25lookback_scan_determinismE0ELb1ES3_N6thrust23THRUST_200600_302600_NS6detail15normal_iteratorINS9_10device_ptrIiEEEESE_SE_iNS9_4plusIvEENS9_8equal_toIvEEiEE10hipError_tPvRmT2_T3_T4_T5_mT6_T7_P12ihipStream_tbENKUlT_T0_E_clISt17integral_constantIbLb0EESY_IbLb1EEEEDaSU_SV_EUlSU_E_NS1_11comp_targetILNS1_3genE9ELNS1_11target_archE1100ELNS1_3gpuE3ELNS1_3repE0EEENS1_30default_config_static_selectorELNS0_4arch9wavefront6targetE1EEEvT1_
; %bb.0:
	.section	.rodata,"a",@progbits
	.p2align	6, 0x0
	.amdhsa_kernel _ZN7rocprim17ROCPRIM_400000_NS6detail17trampoline_kernelINS0_14default_configENS1_27scan_by_key_config_selectorIiiEEZZNS1_16scan_by_key_implILNS1_25lookback_scan_determinismE0ELb1ES3_N6thrust23THRUST_200600_302600_NS6detail15normal_iteratorINS9_10device_ptrIiEEEESE_SE_iNS9_4plusIvEENS9_8equal_toIvEEiEE10hipError_tPvRmT2_T3_T4_T5_mT6_T7_P12ihipStream_tbENKUlT_T0_E_clISt17integral_constantIbLb0EESY_IbLb1EEEEDaSU_SV_EUlSU_E_NS1_11comp_targetILNS1_3genE9ELNS1_11target_archE1100ELNS1_3gpuE3ELNS1_3repE0EEENS1_30default_config_static_selectorELNS0_4arch9wavefront6targetE1EEEvT1_
		.amdhsa_group_segment_fixed_size 0
		.amdhsa_private_segment_fixed_size 0
		.amdhsa_kernarg_size 112
		.amdhsa_user_sgpr_count 6
		.amdhsa_user_sgpr_private_segment_buffer 1
		.amdhsa_user_sgpr_dispatch_ptr 0
		.amdhsa_user_sgpr_queue_ptr 0
		.amdhsa_user_sgpr_kernarg_segment_ptr 1
		.amdhsa_user_sgpr_dispatch_id 0
		.amdhsa_user_sgpr_flat_scratch_init 0
		.amdhsa_user_sgpr_kernarg_preload_length 0
		.amdhsa_user_sgpr_kernarg_preload_offset 0
		.amdhsa_user_sgpr_private_segment_size 0
		.amdhsa_uses_dynamic_stack 0
		.amdhsa_system_sgpr_private_segment_wavefront_offset 0
		.amdhsa_system_sgpr_workgroup_id_x 1
		.amdhsa_system_sgpr_workgroup_id_y 0
		.amdhsa_system_sgpr_workgroup_id_z 0
		.amdhsa_system_sgpr_workgroup_info 0
		.amdhsa_system_vgpr_workitem_id 0
		.amdhsa_next_free_vgpr 1
		.amdhsa_next_free_sgpr 0
		.amdhsa_accum_offset 4
		.amdhsa_reserve_vcc 0
		.amdhsa_reserve_flat_scratch 0
		.amdhsa_float_round_mode_32 0
		.amdhsa_float_round_mode_16_64 0
		.amdhsa_float_denorm_mode_32 3
		.amdhsa_float_denorm_mode_16_64 3
		.amdhsa_dx10_clamp 1
		.amdhsa_ieee_mode 1
		.amdhsa_fp16_overflow 0
		.amdhsa_tg_split 0
		.amdhsa_exception_fp_ieee_invalid_op 0
		.amdhsa_exception_fp_denorm_src 0
		.amdhsa_exception_fp_ieee_div_zero 0
		.amdhsa_exception_fp_ieee_overflow 0
		.amdhsa_exception_fp_ieee_underflow 0
		.amdhsa_exception_fp_ieee_inexact 0
		.amdhsa_exception_int_div_zero 0
	.end_amdhsa_kernel
	.section	.text._ZN7rocprim17ROCPRIM_400000_NS6detail17trampoline_kernelINS0_14default_configENS1_27scan_by_key_config_selectorIiiEEZZNS1_16scan_by_key_implILNS1_25lookback_scan_determinismE0ELb1ES3_N6thrust23THRUST_200600_302600_NS6detail15normal_iteratorINS9_10device_ptrIiEEEESE_SE_iNS9_4plusIvEENS9_8equal_toIvEEiEE10hipError_tPvRmT2_T3_T4_T5_mT6_T7_P12ihipStream_tbENKUlT_T0_E_clISt17integral_constantIbLb0EESY_IbLb1EEEEDaSU_SV_EUlSU_E_NS1_11comp_targetILNS1_3genE9ELNS1_11target_archE1100ELNS1_3gpuE3ELNS1_3repE0EEENS1_30default_config_static_selectorELNS0_4arch9wavefront6targetE1EEEvT1_,"axG",@progbits,_ZN7rocprim17ROCPRIM_400000_NS6detail17trampoline_kernelINS0_14default_configENS1_27scan_by_key_config_selectorIiiEEZZNS1_16scan_by_key_implILNS1_25lookback_scan_determinismE0ELb1ES3_N6thrust23THRUST_200600_302600_NS6detail15normal_iteratorINS9_10device_ptrIiEEEESE_SE_iNS9_4plusIvEENS9_8equal_toIvEEiEE10hipError_tPvRmT2_T3_T4_T5_mT6_T7_P12ihipStream_tbENKUlT_T0_E_clISt17integral_constantIbLb0EESY_IbLb1EEEEDaSU_SV_EUlSU_E_NS1_11comp_targetILNS1_3genE9ELNS1_11target_archE1100ELNS1_3gpuE3ELNS1_3repE0EEENS1_30default_config_static_selectorELNS0_4arch9wavefront6targetE1EEEvT1_,comdat
.Lfunc_end495:
	.size	_ZN7rocprim17ROCPRIM_400000_NS6detail17trampoline_kernelINS0_14default_configENS1_27scan_by_key_config_selectorIiiEEZZNS1_16scan_by_key_implILNS1_25lookback_scan_determinismE0ELb1ES3_N6thrust23THRUST_200600_302600_NS6detail15normal_iteratorINS9_10device_ptrIiEEEESE_SE_iNS9_4plusIvEENS9_8equal_toIvEEiEE10hipError_tPvRmT2_T3_T4_T5_mT6_T7_P12ihipStream_tbENKUlT_T0_E_clISt17integral_constantIbLb0EESY_IbLb1EEEEDaSU_SV_EUlSU_E_NS1_11comp_targetILNS1_3genE9ELNS1_11target_archE1100ELNS1_3gpuE3ELNS1_3repE0EEENS1_30default_config_static_selectorELNS0_4arch9wavefront6targetE1EEEvT1_, .Lfunc_end495-_ZN7rocprim17ROCPRIM_400000_NS6detail17trampoline_kernelINS0_14default_configENS1_27scan_by_key_config_selectorIiiEEZZNS1_16scan_by_key_implILNS1_25lookback_scan_determinismE0ELb1ES3_N6thrust23THRUST_200600_302600_NS6detail15normal_iteratorINS9_10device_ptrIiEEEESE_SE_iNS9_4plusIvEENS9_8equal_toIvEEiEE10hipError_tPvRmT2_T3_T4_T5_mT6_T7_P12ihipStream_tbENKUlT_T0_E_clISt17integral_constantIbLb0EESY_IbLb1EEEEDaSU_SV_EUlSU_E_NS1_11comp_targetILNS1_3genE9ELNS1_11target_archE1100ELNS1_3gpuE3ELNS1_3repE0EEENS1_30default_config_static_selectorELNS0_4arch9wavefront6targetE1EEEvT1_
                                        ; -- End function
	.section	.AMDGPU.csdata,"",@progbits
; Kernel info:
; codeLenInByte = 0
; NumSgprs: 4
; NumVgprs: 0
; NumAgprs: 0
; TotalNumVgprs: 0
; ScratchSize: 0
; MemoryBound: 0
; FloatMode: 240
; IeeeMode: 1
; LDSByteSize: 0 bytes/workgroup (compile time only)
; SGPRBlocks: 0
; VGPRBlocks: 0
; NumSGPRsForWavesPerEU: 4
; NumVGPRsForWavesPerEU: 1
; AccumOffset: 4
; Occupancy: 8
; WaveLimiterHint : 0
; COMPUTE_PGM_RSRC2:SCRATCH_EN: 0
; COMPUTE_PGM_RSRC2:USER_SGPR: 6
; COMPUTE_PGM_RSRC2:TRAP_HANDLER: 0
; COMPUTE_PGM_RSRC2:TGID_X_EN: 1
; COMPUTE_PGM_RSRC2:TGID_Y_EN: 0
; COMPUTE_PGM_RSRC2:TGID_Z_EN: 0
; COMPUTE_PGM_RSRC2:TIDIG_COMP_CNT: 0
; COMPUTE_PGM_RSRC3_GFX90A:ACCUM_OFFSET: 0
; COMPUTE_PGM_RSRC3_GFX90A:TG_SPLIT: 0
	.section	.text._ZN7rocprim17ROCPRIM_400000_NS6detail17trampoline_kernelINS0_14default_configENS1_27scan_by_key_config_selectorIiiEEZZNS1_16scan_by_key_implILNS1_25lookback_scan_determinismE0ELb1ES3_N6thrust23THRUST_200600_302600_NS6detail15normal_iteratorINS9_10device_ptrIiEEEESE_SE_iNS9_4plusIvEENS9_8equal_toIvEEiEE10hipError_tPvRmT2_T3_T4_T5_mT6_T7_P12ihipStream_tbENKUlT_T0_E_clISt17integral_constantIbLb0EESY_IbLb1EEEEDaSU_SV_EUlSU_E_NS1_11comp_targetILNS1_3genE8ELNS1_11target_archE1030ELNS1_3gpuE2ELNS1_3repE0EEENS1_30default_config_static_selectorELNS0_4arch9wavefront6targetE1EEEvT1_,"axG",@progbits,_ZN7rocprim17ROCPRIM_400000_NS6detail17trampoline_kernelINS0_14default_configENS1_27scan_by_key_config_selectorIiiEEZZNS1_16scan_by_key_implILNS1_25lookback_scan_determinismE0ELb1ES3_N6thrust23THRUST_200600_302600_NS6detail15normal_iteratorINS9_10device_ptrIiEEEESE_SE_iNS9_4plusIvEENS9_8equal_toIvEEiEE10hipError_tPvRmT2_T3_T4_T5_mT6_T7_P12ihipStream_tbENKUlT_T0_E_clISt17integral_constantIbLb0EESY_IbLb1EEEEDaSU_SV_EUlSU_E_NS1_11comp_targetILNS1_3genE8ELNS1_11target_archE1030ELNS1_3gpuE2ELNS1_3repE0EEENS1_30default_config_static_selectorELNS0_4arch9wavefront6targetE1EEEvT1_,comdat
	.protected	_ZN7rocprim17ROCPRIM_400000_NS6detail17trampoline_kernelINS0_14default_configENS1_27scan_by_key_config_selectorIiiEEZZNS1_16scan_by_key_implILNS1_25lookback_scan_determinismE0ELb1ES3_N6thrust23THRUST_200600_302600_NS6detail15normal_iteratorINS9_10device_ptrIiEEEESE_SE_iNS9_4plusIvEENS9_8equal_toIvEEiEE10hipError_tPvRmT2_T3_T4_T5_mT6_T7_P12ihipStream_tbENKUlT_T0_E_clISt17integral_constantIbLb0EESY_IbLb1EEEEDaSU_SV_EUlSU_E_NS1_11comp_targetILNS1_3genE8ELNS1_11target_archE1030ELNS1_3gpuE2ELNS1_3repE0EEENS1_30default_config_static_selectorELNS0_4arch9wavefront6targetE1EEEvT1_ ; -- Begin function _ZN7rocprim17ROCPRIM_400000_NS6detail17trampoline_kernelINS0_14default_configENS1_27scan_by_key_config_selectorIiiEEZZNS1_16scan_by_key_implILNS1_25lookback_scan_determinismE0ELb1ES3_N6thrust23THRUST_200600_302600_NS6detail15normal_iteratorINS9_10device_ptrIiEEEESE_SE_iNS9_4plusIvEENS9_8equal_toIvEEiEE10hipError_tPvRmT2_T3_T4_T5_mT6_T7_P12ihipStream_tbENKUlT_T0_E_clISt17integral_constantIbLb0EESY_IbLb1EEEEDaSU_SV_EUlSU_E_NS1_11comp_targetILNS1_3genE8ELNS1_11target_archE1030ELNS1_3gpuE2ELNS1_3repE0EEENS1_30default_config_static_selectorELNS0_4arch9wavefront6targetE1EEEvT1_
	.globl	_ZN7rocprim17ROCPRIM_400000_NS6detail17trampoline_kernelINS0_14default_configENS1_27scan_by_key_config_selectorIiiEEZZNS1_16scan_by_key_implILNS1_25lookback_scan_determinismE0ELb1ES3_N6thrust23THRUST_200600_302600_NS6detail15normal_iteratorINS9_10device_ptrIiEEEESE_SE_iNS9_4plusIvEENS9_8equal_toIvEEiEE10hipError_tPvRmT2_T3_T4_T5_mT6_T7_P12ihipStream_tbENKUlT_T0_E_clISt17integral_constantIbLb0EESY_IbLb1EEEEDaSU_SV_EUlSU_E_NS1_11comp_targetILNS1_3genE8ELNS1_11target_archE1030ELNS1_3gpuE2ELNS1_3repE0EEENS1_30default_config_static_selectorELNS0_4arch9wavefront6targetE1EEEvT1_
	.p2align	8
	.type	_ZN7rocprim17ROCPRIM_400000_NS6detail17trampoline_kernelINS0_14default_configENS1_27scan_by_key_config_selectorIiiEEZZNS1_16scan_by_key_implILNS1_25lookback_scan_determinismE0ELb1ES3_N6thrust23THRUST_200600_302600_NS6detail15normal_iteratorINS9_10device_ptrIiEEEESE_SE_iNS9_4plusIvEENS9_8equal_toIvEEiEE10hipError_tPvRmT2_T3_T4_T5_mT6_T7_P12ihipStream_tbENKUlT_T0_E_clISt17integral_constantIbLb0EESY_IbLb1EEEEDaSU_SV_EUlSU_E_NS1_11comp_targetILNS1_3genE8ELNS1_11target_archE1030ELNS1_3gpuE2ELNS1_3repE0EEENS1_30default_config_static_selectorELNS0_4arch9wavefront6targetE1EEEvT1_,@function
_ZN7rocprim17ROCPRIM_400000_NS6detail17trampoline_kernelINS0_14default_configENS1_27scan_by_key_config_selectorIiiEEZZNS1_16scan_by_key_implILNS1_25lookback_scan_determinismE0ELb1ES3_N6thrust23THRUST_200600_302600_NS6detail15normal_iteratorINS9_10device_ptrIiEEEESE_SE_iNS9_4plusIvEENS9_8equal_toIvEEiEE10hipError_tPvRmT2_T3_T4_T5_mT6_T7_P12ihipStream_tbENKUlT_T0_E_clISt17integral_constantIbLb0EESY_IbLb1EEEEDaSU_SV_EUlSU_E_NS1_11comp_targetILNS1_3genE8ELNS1_11target_archE1030ELNS1_3gpuE2ELNS1_3repE0EEENS1_30default_config_static_selectorELNS0_4arch9wavefront6targetE1EEEvT1_: ; @_ZN7rocprim17ROCPRIM_400000_NS6detail17trampoline_kernelINS0_14default_configENS1_27scan_by_key_config_selectorIiiEEZZNS1_16scan_by_key_implILNS1_25lookback_scan_determinismE0ELb1ES3_N6thrust23THRUST_200600_302600_NS6detail15normal_iteratorINS9_10device_ptrIiEEEESE_SE_iNS9_4plusIvEENS9_8equal_toIvEEiEE10hipError_tPvRmT2_T3_T4_T5_mT6_T7_P12ihipStream_tbENKUlT_T0_E_clISt17integral_constantIbLb0EESY_IbLb1EEEEDaSU_SV_EUlSU_E_NS1_11comp_targetILNS1_3genE8ELNS1_11target_archE1030ELNS1_3gpuE2ELNS1_3repE0EEENS1_30default_config_static_selectorELNS0_4arch9wavefront6targetE1EEEvT1_
; %bb.0:
	.section	.rodata,"a",@progbits
	.p2align	6, 0x0
	.amdhsa_kernel _ZN7rocprim17ROCPRIM_400000_NS6detail17trampoline_kernelINS0_14default_configENS1_27scan_by_key_config_selectorIiiEEZZNS1_16scan_by_key_implILNS1_25lookback_scan_determinismE0ELb1ES3_N6thrust23THRUST_200600_302600_NS6detail15normal_iteratorINS9_10device_ptrIiEEEESE_SE_iNS9_4plusIvEENS9_8equal_toIvEEiEE10hipError_tPvRmT2_T3_T4_T5_mT6_T7_P12ihipStream_tbENKUlT_T0_E_clISt17integral_constantIbLb0EESY_IbLb1EEEEDaSU_SV_EUlSU_E_NS1_11comp_targetILNS1_3genE8ELNS1_11target_archE1030ELNS1_3gpuE2ELNS1_3repE0EEENS1_30default_config_static_selectorELNS0_4arch9wavefront6targetE1EEEvT1_
		.amdhsa_group_segment_fixed_size 0
		.amdhsa_private_segment_fixed_size 0
		.amdhsa_kernarg_size 112
		.amdhsa_user_sgpr_count 6
		.amdhsa_user_sgpr_private_segment_buffer 1
		.amdhsa_user_sgpr_dispatch_ptr 0
		.amdhsa_user_sgpr_queue_ptr 0
		.amdhsa_user_sgpr_kernarg_segment_ptr 1
		.amdhsa_user_sgpr_dispatch_id 0
		.amdhsa_user_sgpr_flat_scratch_init 0
		.amdhsa_user_sgpr_kernarg_preload_length 0
		.amdhsa_user_sgpr_kernarg_preload_offset 0
		.amdhsa_user_sgpr_private_segment_size 0
		.amdhsa_uses_dynamic_stack 0
		.amdhsa_system_sgpr_private_segment_wavefront_offset 0
		.amdhsa_system_sgpr_workgroup_id_x 1
		.amdhsa_system_sgpr_workgroup_id_y 0
		.amdhsa_system_sgpr_workgroup_id_z 0
		.amdhsa_system_sgpr_workgroup_info 0
		.amdhsa_system_vgpr_workitem_id 0
		.amdhsa_next_free_vgpr 1
		.amdhsa_next_free_sgpr 0
		.amdhsa_accum_offset 4
		.amdhsa_reserve_vcc 0
		.amdhsa_reserve_flat_scratch 0
		.amdhsa_float_round_mode_32 0
		.amdhsa_float_round_mode_16_64 0
		.amdhsa_float_denorm_mode_32 3
		.amdhsa_float_denorm_mode_16_64 3
		.amdhsa_dx10_clamp 1
		.amdhsa_ieee_mode 1
		.amdhsa_fp16_overflow 0
		.amdhsa_tg_split 0
		.amdhsa_exception_fp_ieee_invalid_op 0
		.amdhsa_exception_fp_denorm_src 0
		.amdhsa_exception_fp_ieee_div_zero 0
		.amdhsa_exception_fp_ieee_overflow 0
		.amdhsa_exception_fp_ieee_underflow 0
		.amdhsa_exception_fp_ieee_inexact 0
		.amdhsa_exception_int_div_zero 0
	.end_amdhsa_kernel
	.section	.text._ZN7rocprim17ROCPRIM_400000_NS6detail17trampoline_kernelINS0_14default_configENS1_27scan_by_key_config_selectorIiiEEZZNS1_16scan_by_key_implILNS1_25lookback_scan_determinismE0ELb1ES3_N6thrust23THRUST_200600_302600_NS6detail15normal_iteratorINS9_10device_ptrIiEEEESE_SE_iNS9_4plusIvEENS9_8equal_toIvEEiEE10hipError_tPvRmT2_T3_T4_T5_mT6_T7_P12ihipStream_tbENKUlT_T0_E_clISt17integral_constantIbLb0EESY_IbLb1EEEEDaSU_SV_EUlSU_E_NS1_11comp_targetILNS1_3genE8ELNS1_11target_archE1030ELNS1_3gpuE2ELNS1_3repE0EEENS1_30default_config_static_selectorELNS0_4arch9wavefront6targetE1EEEvT1_,"axG",@progbits,_ZN7rocprim17ROCPRIM_400000_NS6detail17trampoline_kernelINS0_14default_configENS1_27scan_by_key_config_selectorIiiEEZZNS1_16scan_by_key_implILNS1_25lookback_scan_determinismE0ELb1ES3_N6thrust23THRUST_200600_302600_NS6detail15normal_iteratorINS9_10device_ptrIiEEEESE_SE_iNS9_4plusIvEENS9_8equal_toIvEEiEE10hipError_tPvRmT2_T3_T4_T5_mT6_T7_P12ihipStream_tbENKUlT_T0_E_clISt17integral_constantIbLb0EESY_IbLb1EEEEDaSU_SV_EUlSU_E_NS1_11comp_targetILNS1_3genE8ELNS1_11target_archE1030ELNS1_3gpuE2ELNS1_3repE0EEENS1_30default_config_static_selectorELNS0_4arch9wavefront6targetE1EEEvT1_,comdat
.Lfunc_end496:
	.size	_ZN7rocprim17ROCPRIM_400000_NS6detail17trampoline_kernelINS0_14default_configENS1_27scan_by_key_config_selectorIiiEEZZNS1_16scan_by_key_implILNS1_25lookback_scan_determinismE0ELb1ES3_N6thrust23THRUST_200600_302600_NS6detail15normal_iteratorINS9_10device_ptrIiEEEESE_SE_iNS9_4plusIvEENS9_8equal_toIvEEiEE10hipError_tPvRmT2_T3_T4_T5_mT6_T7_P12ihipStream_tbENKUlT_T0_E_clISt17integral_constantIbLb0EESY_IbLb1EEEEDaSU_SV_EUlSU_E_NS1_11comp_targetILNS1_3genE8ELNS1_11target_archE1030ELNS1_3gpuE2ELNS1_3repE0EEENS1_30default_config_static_selectorELNS0_4arch9wavefront6targetE1EEEvT1_, .Lfunc_end496-_ZN7rocprim17ROCPRIM_400000_NS6detail17trampoline_kernelINS0_14default_configENS1_27scan_by_key_config_selectorIiiEEZZNS1_16scan_by_key_implILNS1_25lookback_scan_determinismE0ELb1ES3_N6thrust23THRUST_200600_302600_NS6detail15normal_iteratorINS9_10device_ptrIiEEEESE_SE_iNS9_4plusIvEENS9_8equal_toIvEEiEE10hipError_tPvRmT2_T3_T4_T5_mT6_T7_P12ihipStream_tbENKUlT_T0_E_clISt17integral_constantIbLb0EESY_IbLb1EEEEDaSU_SV_EUlSU_E_NS1_11comp_targetILNS1_3genE8ELNS1_11target_archE1030ELNS1_3gpuE2ELNS1_3repE0EEENS1_30default_config_static_selectorELNS0_4arch9wavefront6targetE1EEEvT1_
                                        ; -- End function
	.section	.AMDGPU.csdata,"",@progbits
; Kernel info:
; codeLenInByte = 0
; NumSgprs: 4
; NumVgprs: 0
; NumAgprs: 0
; TotalNumVgprs: 0
; ScratchSize: 0
; MemoryBound: 0
; FloatMode: 240
; IeeeMode: 1
; LDSByteSize: 0 bytes/workgroup (compile time only)
; SGPRBlocks: 0
; VGPRBlocks: 0
; NumSGPRsForWavesPerEU: 4
; NumVGPRsForWavesPerEU: 1
; AccumOffset: 4
; Occupancy: 8
; WaveLimiterHint : 0
; COMPUTE_PGM_RSRC2:SCRATCH_EN: 0
; COMPUTE_PGM_RSRC2:USER_SGPR: 6
; COMPUTE_PGM_RSRC2:TRAP_HANDLER: 0
; COMPUTE_PGM_RSRC2:TGID_X_EN: 1
; COMPUTE_PGM_RSRC2:TGID_Y_EN: 0
; COMPUTE_PGM_RSRC2:TGID_Z_EN: 0
; COMPUTE_PGM_RSRC2:TIDIG_COMP_CNT: 0
; COMPUTE_PGM_RSRC3_GFX90A:ACCUM_OFFSET: 0
; COMPUTE_PGM_RSRC3_GFX90A:TG_SPLIT: 0
	.section	.text._ZN7rocprim17ROCPRIM_400000_NS6detail17trampoline_kernelINS0_14default_configENS1_27scan_by_key_config_selectorIiiEEZZNS1_16scan_by_key_implILNS1_25lookback_scan_determinismE0ELb1ES3_N6thrust23THRUST_200600_302600_NS6detail15normal_iteratorINS9_10device_ptrIiEEEESE_SE_iNS9_10multipliesIiEENS9_8equal_toIiEEiEE10hipError_tPvRmT2_T3_T4_T5_mT6_T7_P12ihipStream_tbENKUlT_T0_E_clISt17integral_constantIbLb0EESZ_EEDaSU_SV_EUlSU_E_NS1_11comp_targetILNS1_3genE0ELNS1_11target_archE4294967295ELNS1_3gpuE0ELNS1_3repE0EEENS1_30default_config_static_selectorELNS0_4arch9wavefront6targetE1EEEvT1_,"axG",@progbits,_ZN7rocprim17ROCPRIM_400000_NS6detail17trampoline_kernelINS0_14default_configENS1_27scan_by_key_config_selectorIiiEEZZNS1_16scan_by_key_implILNS1_25lookback_scan_determinismE0ELb1ES3_N6thrust23THRUST_200600_302600_NS6detail15normal_iteratorINS9_10device_ptrIiEEEESE_SE_iNS9_10multipliesIiEENS9_8equal_toIiEEiEE10hipError_tPvRmT2_T3_T4_T5_mT6_T7_P12ihipStream_tbENKUlT_T0_E_clISt17integral_constantIbLb0EESZ_EEDaSU_SV_EUlSU_E_NS1_11comp_targetILNS1_3genE0ELNS1_11target_archE4294967295ELNS1_3gpuE0ELNS1_3repE0EEENS1_30default_config_static_selectorELNS0_4arch9wavefront6targetE1EEEvT1_,comdat
	.protected	_ZN7rocprim17ROCPRIM_400000_NS6detail17trampoline_kernelINS0_14default_configENS1_27scan_by_key_config_selectorIiiEEZZNS1_16scan_by_key_implILNS1_25lookback_scan_determinismE0ELb1ES3_N6thrust23THRUST_200600_302600_NS6detail15normal_iteratorINS9_10device_ptrIiEEEESE_SE_iNS9_10multipliesIiEENS9_8equal_toIiEEiEE10hipError_tPvRmT2_T3_T4_T5_mT6_T7_P12ihipStream_tbENKUlT_T0_E_clISt17integral_constantIbLb0EESZ_EEDaSU_SV_EUlSU_E_NS1_11comp_targetILNS1_3genE0ELNS1_11target_archE4294967295ELNS1_3gpuE0ELNS1_3repE0EEENS1_30default_config_static_selectorELNS0_4arch9wavefront6targetE1EEEvT1_ ; -- Begin function _ZN7rocprim17ROCPRIM_400000_NS6detail17trampoline_kernelINS0_14default_configENS1_27scan_by_key_config_selectorIiiEEZZNS1_16scan_by_key_implILNS1_25lookback_scan_determinismE0ELb1ES3_N6thrust23THRUST_200600_302600_NS6detail15normal_iteratorINS9_10device_ptrIiEEEESE_SE_iNS9_10multipliesIiEENS9_8equal_toIiEEiEE10hipError_tPvRmT2_T3_T4_T5_mT6_T7_P12ihipStream_tbENKUlT_T0_E_clISt17integral_constantIbLb0EESZ_EEDaSU_SV_EUlSU_E_NS1_11comp_targetILNS1_3genE0ELNS1_11target_archE4294967295ELNS1_3gpuE0ELNS1_3repE0EEENS1_30default_config_static_selectorELNS0_4arch9wavefront6targetE1EEEvT1_
	.globl	_ZN7rocprim17ROCPRIM_400000_NS6detail17trampoline_kernelINS0_14default_configENS1_27scan_by_key_config_selectorIiiEEZZNS1_16scan_by_key_implILNS1_25lookback_scan_determinismE0ELb1ES3_N6thrust23THRUST_200600_302600_NS6detail15normal_iteratorINS9_10device_ptrIiEEEESE_SE_iNS9_10multipliesIiEENS9_8equal_toIiEEiEE10hipError_tPvRmT2_T3_T4_T5_mT6_T7_P12ihipStream_tbENKUlT_T0_E_clISt17integral_constantIbLb0EESZ_EEDaSU_SV_EUlSU_E_NS1_11comp_targetILNS1_3genE0ELNS1_11target_archE4294967295ELNS1_3gpuE0ELNS1_3repE0EEENS1_30default_config_static_selectorELNS0_4arch9wavefront6targetE1EEEvT1_
	.p2align	8
	.type	_ZN7rocprim17ROCPRIM_400000_NS6detail17trampoline_kernelINS0_14default_configENS1_27scan_by_key_config_selectorIiiEEZZNS1_16scan_by_key_implILNS1_25lookback_scan_determinismE0ELb1ES3_N6thrust23THRUST_200600_302600_NS6detail15normal_iteratorINS9_10device_ptrIiEEEESE_SE_iNS9_10multipliesIiEENS9_8equal_toIiEEiEE10hipError_tPvRmT2_T3_T4_T5_mT6_T7_P12ihipStream_tbENKUlT_T0_E_clISt17integral_constantIbLb0EESZ_EEDaSU_SV_EUlSU_E_NS1_11comp_targetILNS1_3genE0ELNS1_11target_archE4294967295ELNS1_3gpuE0ELNS1_3repE0EEENS1_30default_config_static_selectorELNS0_4arch9wavefront6targetE1EEEvT1_,@function
_ZN7rocprim17ROCPRIM_400000_NS6detail17trampoline_kernelINS0_14default_configENS1_27scan_by_key_config_selectorIiiEEZZNS1_16scan_by_key_implILNS1_25lookback_scan_determinismE0ELb1ES3_N6thrust23THRUST_200600_302600_NS6detail15normal_iteratorINS9_10device_ptrIiEEEESE_SE_iNS9_10multipliesIiEENS9_8equal_toIiEEiEE10hipError_tPvRmT2_T3_T4_T5_mT6_T7_P12ihipStream_tbENKUlT_T0_E_clISt17integral_constantIbLb0EESZ_EEDaSU_SV_EUlSU_E_NS1_11comp_targetILNS1_3genE0ELNS1_11target_archE4294967295ELNS1_3gpuE0ELNS1_3repE0EEENS1_30default_config_static_selectorELNS0_4arch9wavefront6targetE1EEEvT1_: ; @_ZN7rocprim17ROCPRIM_400000_NS6detail17trampoline_kernelINS0_14default_configENS1_27scan_by_key_config_selectorIiiEEZZNS1_16scan_by_key_implILNS1_25lookback_scan_determinismE0ELb1ES3_N6thrust23THRUST_200600_302600_NS6detail15normal_iteratorINS9_10device_ptrIiEEEESE_SE_iNS9_10multipliesIiEENS9_8equal_toIiEEiEE10hipError_tPvRmT2_T3_T4_T5_mT6_T7_P12ihipStream_tbENKUlT_T0_E_clISt17integral_constantIbLb0EESZ_EEDaSU_SV_EUlSU_E_NS1_11comp_targetILNS1_3genE0ELNS1_11target_archE4294967295ELNS1_3gpuE0ELNS1_3repE0EEENS1_30default_config_static_selectorELNS0_4arch9wavefront6targetE1EEEvT1_
; %bb.0:
	.section	.rodata,"a",@progbits
	.p2align	6, 0x0
	.amdhsa_kernel _ZN7rocprim17ROCPRIM_400000_NS6detail17trampoline_kernelINS0_14default_configENS1_27scan_by_key_config_selectorIiiEEZZNS1_16scan_by_key_implILNS1_25lookback_scan_determinismE0ELb1ES3_N6thrust23THRUST_200600_302600_NS6detail15normal_iteratorINS9_10device_ptrIiEEEESE_SE_iNS9_10multipliesIiEENS9_8equal_toIiEEiEE10hipError_tPvRmT2_T3_T4_T5_mT6_T7_P12ihipStream_tbENKUlT_T0_E_clISt17integral_constantIbLb0EESZ_EEDaSU_SV_EUlSU_E_NS1_11comp_targetILNS1_3genE0ELNS1_11target_archE4294967295ELNS1_3gpuE0ELNS1_3repE0EEENS1_30default_config_static_selectorELNS0_4arch9wavefront6targetE1EEEvT1_
		.amdhsa_group_segment_fixed_size 0
		.amdhsa_private_segment_fixed_size 0
		.amdhsa_kernarg_size 112
		.amdhsa_user_sgpr_count 6
		.amdhsa_user_sgpr_private_segment_buffer 1
		.amdhsa_user_sgpr_dispatch_ptr 0
		.amdhsa_user_sgpr_queue_ptr 0
		.amdhsa_user_sgpr_kernarg_segment_ptr 1
		.amdhsa_user_sgpr_dispatch_id 0
		.amdhsa_user_sgpr_flat_scratch_init 0
		.amdhsa_user_sgpr_kernarg_preload_length 0
		.amdhsa_user_sgpr_kernarg_preload_offset 0
		.amdhsa_user_sgpr_private_segment_size 0
		.amdhsa_uses_dynamic_stack 0
		.amdhsa_system_sgpr_private_segment_wavefront_offset 0
		.amdhsa_system_sgpr_workgroup_id_x 1
		.amdhsa_system_sgpr_workgroup_id_y 0
		.amdhsa_system_sgpr_workgroup_id_z 0
		.amdhsa_system_sgpr_workgroup_info 0
		.amdhsa_system_vgpr_workitem_id 0
		.amdhsa_next_free_vgpr 1
		.amdhsa_next_free_sgpr 0
		.amdhsa_accum_offset 4
		.amdhsa_reserve_vcc 0
		.amdhsa_reserve_flat_scratch 0
		.amdhsa_float_round_mode_32 0
		.amdhsa_float_round_mode_16_64 0
		.amdhsa_float_denorm_mode_32 3
		.amdhsa_float_denorm_mode_16_64 3
		.amdhsa_dx10_clamp 1
		.amdhsa_ieee_mode 1
		.amdhsa_fp16_overflow 0
		.amdhsa_tg_split 0
		.amdhsa_exception_fp_ieee_invalid_op 0
		.amdhsa_exception_fp_denorm_src 0
		.amdhsa_exception_fp_ieee_div_zero 0
		.amdhsa_exception_fp_ieee_overflow 0
		.amdhsa_exception_fp_ieee_underflow 0
		.amdhsa_exception_fp_ieee_inexact 0
		.amdhsa_exception_int_div_zero 0
	.end_amdhsa_kernel
	.section	.text._ZN7rocprim17ROCPRIM_400000_NS6detail17trampoline_kernelINS0_14default_configENS1_27scan_by_key_config_selectorIiiEEZZNS1_16scan_by_key_implILNS1_25lookback_scan_determinismE0ELb1ES3_N6thrust23THRUST_200600_302600_NS6detail15normal_iteratorINS9_10device_ptrIiEEEESE_SE_iNS9_10multipliesIiEENS9_8equal_toIiEEiEE10hipError_tPvRmT2_T3_T4_T5_mT6_T7_P12ihipStream_tbENKUlT_T0_E_clISt17integral_constantIbLb0EESZ_EEDaSU_SV_EUlSU_E_NS1_11comp_targetILNS1_3genE0ELNS1_11target_archE4294967295ELNS1_3gpuE0ELNS1_3repE0EEENS1_30default_config_static_selectorELNS0_4arch9wavefront6targetE1EEEvT1_,"axG",@progbits,_ZN7rocprim17ROCPRIM_400000_NS6detail17trampoline_kernelINS0_14default_configENS1_27scan_by_key_config_selectorIiiEEZZNS1_16scan_by_key_implILNS1_25lookback_scan_determinismE0ELb1ES3_N6thrust23THRUST_200600_302600_NS6detail15normal_iteratorINS9_10device_ptrIiEEEESE_SE_iNS9_10multipliesIiEENS9_8equal_toIiEEiEE10hipError_tPvRmT2_T3_T4_T5_mT6_T7_P12ihipStream_tbENKUlT_T0_E_clISt17integral_constantIbLb0EESZ_EEDaSU_SV_EUlSU_E_NS1_11comp_targetILNS1_3genE0ELNS1_11target_archE4294967295ELNS1_3gpuE0ELNS1_3repE0EEENS1_30default_config_static_selectorELNS0_4arch9wavefront6targetE1EEEvT1_,comdat
.Lfunc_end497:
	.size	_ZN7rocprim17ROCPRIM_400000_NS6detail17trampoline_kernelINS0_14default_configENS1_27scan_by_key_config_selectorIiiEEZZNS1_16scan_by_key_implILNS1_25lookback_scan_determinismE0ELb1ES3_N6thrust23THRUST_200600_302600_NS6detail15normal_iteratorINS9_10device_ptrIiEEEESE_SE_iNS9_10multipliesIiEENS9_8equal_toIiEEiEE10hipError_tPvRmT2_T3_T4_T5_mT6_T7_P12ihipStream_tbENKUlT_T0_E_clISt17integral_constantIbLb0EESZ_EEDaSU_SV_EUlSU_E_NS1_11comp_targetILNS1_3genE0ELNS1_11target_archE4294967295ELNS1_3gpuE0ELNS1_3repE0EEENS1_30default_config_static_selectorELNS0_4arch9wavefront6targetE1EEEvT1_, .Lfunc_end497-_ZN7rocprim17ROCPRIM_400000_NS6detail17trampoline_kernelINS0_14default_configENS1_27scan_by_key_config_selectorIiiEEZZNS1_16scan_by_key_implILNS1_25lookback_scan_determinismE0ELb1ES3_N6thrust23THRUST_200600_302600_NS6detail15normal_iteratorINS9_10device_ptrIiEEEESE_SE_iNS9_10multipliesIiEENS9_8equal_toIiEEiEE10hipError_tPvRmT2_T3_T4_T5_mT6_T7_P12ihipStream_tbENKUlT_T0_E_clISt17integral_constantIbLb0EESZ_EEDaSU_SV_EUlSU_E_NS1_11comp_targetILNS1_3genE0ELNS1_11target_archE4294967295ELNS1_3gpuE0ELNS1_3repE0EEENS1_30default_config_static_selectorELNS0_4arch9wavefront6targetE1EEEvT1_
                                        ; -- End function
	.section	.AMDGPU.csdata,"",@progbits
; Kernel info:
; codeLenInByte = 0
; NumSgprs: 4
; NumVgprs: 0
; NumAgprs: 0
; TotalNumVgprs: 0
; ScratchSize: 0
; MemoryBound: 0
; FloatMode: 240
; IeeeMode: 1
; LDSByteSize: 0 bytes/workgroup (compile time only)
; SGPRBlocks: 0
; VGPRBlocks: 0
; NumSGPRsForWavesPerEU: 4
; NumVGPRsForWavesPerEU: 1
; AccumOffset: 4
; Occupancy: 8
; WaveLimiterHint : 0
; COMPUTE_PGM_RSRC2:SCRATCH_EN: 0
; COMPUTE_PGM_RSRC2:USER_SGPR: 6
; COMPUTE_PGM_RSRC2:TRAP_HANDLER: 0
; COMPUTE_PGM_RSRC2:TGID_X_EN: 1
; COMPUTE_PGM_RSRC2:TGID_Y_EN: 0
; COMPUTE_PGM_RSRC2:TGID_Z_EN: 0
; COMPUTE_PGM_RSRC2:TIDIG_COMP_CNT: 0
; COMPUTE_PGM_RSRC3_GFX90A:ACCUM_OFFSET: 0
; COMPUTE_PGM_RSRC3_GFX90A:TG_SPLIT: 0
	.section	.text._ZN7rocprim17ROCPRIM_400000_NS6detail17trampoline_kernelINS0_14default_configENS1_27scan_by_key_config_selectorIiiEEZZNS1_16scan_by_key_implILNS1_25lookback_scan_determinismE0ELb1ES3_N6thrust23THRUST_200600_302600_NS6detail15normal_iteratorINS9_10device_ptrIiEEEESE_SE_iNS9_10multipliesIiEENS9_8equal_toIiEEiEE10hipError_tPvRmT2_T3_T4_T5_mT6_T7_P12ihipStream_tbENKUlT_T0_E_clISt17integral_constantIbLb0EESZ_EEDaSU_SV_EUlSU_E_NS1_11comp_targetILNS1_3genE10ELNS1_11target_archE1201ELNS1_3gpuE5ELNS1_3repE0EEENS1_30default_config_static_selectorELNS0_4arch9wavefront6targetE1EEEvT1_,"axG",@progbits,_ZN7rocprim17ROCPRIM_400000_NS6detail17trampoline_kernelINS0_14default_configENS1_27scan_by_key_config_selectorIiiEEZZNS1_16scan_by_key_implILNS1_25lookback_scan_determinismE0ELb1ES3_N6thrust23THRUST_200600_302600_NS6detail15normal_iteratorINS9_10device_ptrIiEEEESE_SE_iNS9_10multipliesIiEENS9_8equal_toIiEEiEE10hipError_tPvRmT2_T3_T4_T5_mT6_T7_P12ihipStream_tbENKUlT_T0_E_clISt17integral_constantIbLb0EESZ_EEDaSU_SV_EUlSU_E_NS1_11comp_targetILNS1_3genE10ELNS1_11target_archE1201ELNS1_3gpuE5ELNS1_3repE0EEENS1_30default_config_static_selectorELNS0_4arch9wavefront6targetE1EEEvT1_,comdat
	.protected	_ZN7rocprim17ROCPRIM_400000_NS6detail17trampoline_kernelINS0_14default_configENS1_27scan_by_key_config_selectorIiiEEZZNS1_16scan_by_key_implILNS1_25lookback_scan_determinismE0ELb1ES3_N6thrust23THRUST_200600_302600_NS6detail15normal_iteratorINS9_10device_ptrIiEEEESE_SE_iNS9_10multipliesIiEENS9_8equal_toIiEEiEE10hipError_tPvRmT2_T3_T4_T5_mT6_T7_P12ihipStream_tbENKUlT_T0_E_clISt17integral_constantIbLb0EESZ_EEDaSU_SV_EUlSU_E_NS1_11comp_targetILNS1_3genE10ELNS1_11target_archE1201ELNS1_3gpuE5ELNS1_3repE0EEENS1_30default_config_static_selectorELNS0_4arch9wavefront6targetE1EEEvT1_ ; -- Begin function _ZN7rocprim17ROCPRIM_400000_NS6detail17trampoline_kernelINS0_14default_configENS1_27scan_by_key_config_selectorIiiEEZZNS1_16scan_by_key_implILNS1_25lookback_scan_determinismE0ELb1ES3_N6thrust23THRUST_200600_302600_NS6detail15normal_iteratorINS9_10device_ptrIiEEEESE_SE_iNS9_10multipliesIiEENS9_8equal_toIiEEiEE10hipError_tPvRmT2_T3_T4_T5_mT6_T7_P12ihipStream_tbENKUlT_T0_E_clISt17integral_constantIbLb0EESZ_EEDaSU_SV_EUlSU_E_NS1_11comp_targetILNS1_3genE10ELNS1_11target_archE1201ELNS1_3gpuE5ELNS1_3repE0EEENS1_30default_config_static_selectorELNS0_4arch9wavefront6targetE1EEEvT1_
	.globl	_ZN7rocprim17ROCPRIM_400000_NS6detail17trampoline_kernelINS0_14default_configENS1_27scan_by_key_config_selectorIiiEEZZNS1_16scan_by_key_implILNS1_25lookback_scan_determinismE0ELb1ES3_N6thrust23THRUST_200600_302600_NS6detail15normal_iteratorINS9_10device_ptrIiEEEESE_SE_iNS9_10multipliesIiEENS9_8equal_toIiEEiEE10hipError_tPvRmT2_T3_T4_T5_mT6_T7_P12ihipStream_tbENKUlT_T0_E_clISt17integral_constantIbLb0EESZ_EEDaSU_SV_EUlSU_E_NS1_11comp_targetILNS1_3genE10ELNS1_11target_archE1201ELNS1_3gpuE5ELNS1_3repE0EEENS1_30default_config_static_selectorELNS0_4arch9wavefront6targetE1EEEvT1_
	.p2align	8
	.type	_ZN7rocprim17ROCPRIM_400000_NS6detail17trampoline_kernelINS0_14default_configENS1_27scan_by_key_config_selectorIiiEEZZNS1_16scan_by_key_implILNS1_25lookback_scan_determinismE0ELb1ES3_N6thrust23THRUST_200600_302600_NS6detail15normal_iteratorINS9_10device_ptrIiEEEESE_SE_iNS9_10multipliesIiEENS9_8equal_toIiEEiEE10hipError_tPvRmT2_T3_T4_T5_mT6_T7_P12ihipStream_tbENKUlT_T0_E_clISt17integral_constantIbLb0EESZ_EEDaSU_SV_EUlSU_E_NS1_11comp_targetILNS1_3genE10ELNS1_11target_archE1201ELNS1_3gpuE5ELNS1_3repE0EEENS1_30default_config_static_selectorELNS0_4arch9wavefront6targetE1EEEvT1_,@function
_ZN7rocprim17ROCPRIM_400000_NS6detail17trampoline_kernelINS0_14default_configENS1_27scan_by_key_config_selectorIiiEEZZNS1_16scan_by_key_implILNS1_25lookback_scan_determinismE0ELb1ES3_N6thrust23THRUST_200600_302600_NS6detail15normal_iteratorINS9_10device_ptrIiEEEESE_SE_iNS9_10multipliesIiEENS9_8equal_toIiEEiEE10hipError_tPvRmT2_T3_T4_T5_mT6_T7_P12ihipStream_tbENKUlT_T0_E_clISt17integral_constantIbLb0EESZ_EEDaSU_SV_EUlSU_E_NS1_11comp_targetILNS1_3genE10ELNS1_11target_archE1201ELNS1_3gpuE5ELNS1_3repE0EEENS1_30default_config_static_selectorELNS0_4arch9wavefront6targetE1EEEvT1_: ; @_ZN7rocprim17ROCPRIM_400000_NS6detail17trampoline_kernelINS0_14default_configENS1_27scan_by_key_config_selectorIiiEEZZNS1_16scan_by_key_implILNS1_25lookback_scan_determinismE0ELb1ES3_N6thrust23THRUST_200600_302600_NS6detail15normal_iteratorINS9_10device_ptrIiEEEESE_SE_iNS9_10multipliesIiEENS9_8equal_toIiEEiEE10hipError_tPvRmT2_T3_T4_T5_mT6_T7_P12ihipStream_tbENKUlT_T0_E_clISt17integral_constantIbLb0EESZ_EEDaSU_SV_EUlSU_E_NS1_11comp_targetILNS1_3genE10ELNS1_11target_archE1201ELNS1_3gpuE5ELNS1_3repE0EEENS1_30default_config_static_selectorELNS0_4arch9wavefront6targetE1EEEvT1_
; %bb.0:
	.section	.rodata,"a",@progbits
	.p2align	6, 0x0
	.amdhsa_kernel _ZN7rocprim17ROCPRIM_400000_NS6detail17trampoline_kernelINS0_14default_configENS1_27scan_by_key_config_selectorIiiEEZZNS1_16scan_by_key_implILNS1_25lookback_scan_determinismE0ELb1ES3_N6thrust23THRUST_200600_302600_NS6detail15normal_iteratorINS9_10device_ptrIiEEEESE_SE_iNS9_10multipliesIiEENS9_8equal_toIiEEiEE10hipError_tPvRmT2_T3_T4_T5_mT6_T7_P12ihipStream_tbENKUlT_T0_E_clISt17integral_constantIbLb0EESZ_EEDaSU_SV_EUlSU_E_NS1_11comp_targetILNS1_3genE10ELNS1_11target_archE1201ELNS1_3gpuE5ELNS1_3repE0EEENS1_30default_config_static_selectorELNS0_4arch9wavefront6targetE1EEEvT1_
		.amdhsa_group_segment_fixed_size 0
		.amdhsa_private_segment_fixed_size 0
		.amdhsa_kernarg_size 112
		.amdhsa_user_sgpr_count 6
		.amdhsa_user_sgpr_private_segment_buffer 1
		.amdhsa_user_sgpr_dispatch_ptr 0
		.amdhsa_user_sgpr_queue_ptr 0
		.amdhsa_user_sgpr_kernarg_segment_ptr 1
		.amdhsa_user_sgpr_dispatch_id 0
		.amdhsa_user_sgpr_flat_scratch_init 0
		.amdhsa_user_sgpr_kernarg_preload_length 0
		.amdhsa_user_sgpr_kernarg_preload_offset 0
		.amdhsa_user_sgpr_private_segment_size 0
		.amdhsa_uses_dynamic_stack 0
		.amdhsa_system_sgpr_private_segment_wavefront_offset 0
		.amdhsa_system_sgpr_workgroup_id_x 1
		.amdhsa_system_sgpr_workgroup_id_y 0
		.amdhsa_system_sgpr_workgroup_id_z 0
		.amdhsa_system_sgpr_workgroup_info 0
		.amdhsa_system_vgpr_workitem_id 0
		.amdhsa_next_free_vgpr 1
		.amdhsa_next_free_sgpr 0
		.amdhsa_accum_offset 4
		.amdhsa_reserve_vcc 0
		.amdhsa_reserve_flat_scratch 0
		.amdhsa_float_round_mode_32 0
		.amdhsa_float_round_mode_16_64 0
		.amdhsa_float_denorm_mode_32 3
		.amdhsa_float_denorm_mode_16_64 3
		.amdhsa_dx10_clamp 1
		.amdhsa_ieee_mode 1
		.amdhsa_fp16_overflow 0
		.amdhsa_tg_split 0
		.amdhsa_exception_fp_ieee_invalid_op 0
		.amdhsa_exception_fp_denorm_src 0
		.amdhsa_exception_fp_ieee_div_zero 0
		.amdhsa_exception_fp_ieee_overflow 0
		.amdhsa_exception_fp_ieee_underflow 0
		.amdhsa_exception_fp_ieee_inexact 0
		.amdhsa_exception_int_div_zero 0
	.end_amdhsa_kernel
	.section	.text._ZN7rocprim17ROCPRIM_400000_NS6detail17trampoline_kernelINS0_14default_configENS1_27scan_by_key_config_selectorIiiEEZZNS1_16scan_by_key_implILNS1_25lookback_scan_determinismE0ELb1ES3_N6thrust23THRUST_200600_302600_NS6detail15normal_iteratorINS9_10device_ptrIiEEEESE_SE_iNS9_10multipliesIiEENS9_8equal_toIiEEiEE10hipError_tPvRmT2_T3_T4_T5_mT6_T7_P12ihipStream_tbENKUlT_T0_E_clISt17integral_constantIbLb0EESZ_EEDaSU_SV_EUlSU_E_NS1_11comp_targetILNS1_3genE10ELNS1_11target_archE1201ELNS1_3gpuE5ELNS1_3repE0EEENS1_30default_config_static_selectorELNS0_4arch9wavefront6targetE1EEEvT1_,"axG",@progbits,_ZN7rocprim17ROCPRIM_400000_NS6detail17trampoline_kernelINS0_14default_configENS1_27scan_by_key_config_selectorIiiEEZZNS1_16scan_by_key_implILNS1_25lookback_scan_determinismE0ELb1ES3_N6thrust23THRUST_200600_302600_NS6detail15normal_iteratorINS9_10device_ptrIiEEEESE_SE_iNS9_10multipliesIiEENS9_8equal_toIiEEiEE10hipError_tPvRmT2_T3_T4_T5_mT6_T7_P12ihipStream_tbENKUlT_T0_E_clISt17integral_constantIbLb0EESZ_EEDaSU_SV_EUlSU_E_NS1_11comp_targetILNS1_3genE10ELNS1_11target_archE1201ELNS1_3gpuE5ELNS1_3repE0EEENS1_30default_config_static_selectorELNS0_4arch9wavefront6targetE1EEEvT1_,comdat
.Lfunc_end498:
	.size	_ZN7rocprim17ROCPRIM_400000_NS6detail17trampoline_kernelINS0_14default_configENS1_27scan_by_key_config_selectorIiiEEZZNS1_16scan_by_key_implILNS1_25lookback_scan_determinismE0ELb1ES3_N6thrust23THRUST_200600_302600_NS6detail15normal_iteratorINS9_10device_ptrIiEEEESE_SE_iNS9_10multipliesIiEENS9_8equal_toIiEEiEE10hipError_tPvRmT2_T3_T4_T5_mT6_T7_P12ihipStream_tbENKUlT_T0_E_clISt17integral_constantIbLb0EESZ_EEDaSU_SV_EUlSU_E_NS1_11comp_targetILNS1_3genE10ELNS1_11target_archE1201ELNS1_3gpuE5ELNS1_3repE0EEENS1_30default_config_static_selectorELNS0_4arch9wavefront6targetE1EEEvT1_, .Lfunc_end498-_ZN7rocprim17ROCPRIM_400000_NS6detail17trampoline_kernelINS0_14default_configENS1_27scan_by_key_config_selectorIiiEEZZNS1_16scan_by_key_implILNS1_25lookback_scan_determinismE0ELb1ES3_N6thrust23THRUST_200600_302600_NS6detail15normal_iteratorINS9_10device_ptrIiEEEESE_SE_iNS9_10multipliesIiEENS9_8equal_toIiEEiEE10hipError_tPvRmT2_T3_T4_T5_mT6_T7_P12ihipStream_tbENKUlT_T0_E_clISt17integral_constantIbLb0EESZ_EEDaSU_SV_EUlSU_E_NS1_11comp_targetILNS1_3genE10ELNS1_11target_archE1201ELNS1_3gpuE5ELNS1_3repE0EEENS1_30default_config_static_selectorELNS0_4arch9wavefront6targetE1EEEvT1_
                                        ; -- End function
	.section	.AMDGPU.csdata,"",@progbits
; Kernel info:
; codeLenInByte = 0
; NumSgprs: 4
; NumVgprs: 0
; NumAgprs: 0
; TotalNumVgprs: 0
; ScratchSize: 0
; MemoryBound: 0
; FloatMode: 240
; IeeeMode: 1
; LDSByteSize: 0 bytes/workgroup (compile time only)
; SGPRBlocks: 0
; VGPRBlocks: 0
; NumSGPRsForWavesPerEU: 4
; NumVGPRsForWavesPerEU: 1
; AccumOffset: 4
; Occupancy: 8
; WaveLimiterHint : 0
; COMPUTE_PGM_RSRC2:SCRATCH_EN: 0
; COMPUTE_PGM_RSRC2:USER_SGPR: 6
; COMPUTE_PGM_RSRC2:TRAP_HANDLER: 0
; COMPUTE_PGM_RSRC2:TGID_X_EN: 1
; COMPUTE_PGM_RSRC2:TGID_Y_EN: 0
; COMPUTE_PGM_RSRC2:TGID_Z_EN: 0
; COMPUTE_PGM_RSRC2:TIDIG_COMP_CNT: 0
; COMPUTE_PGM_RSRC3_GFX90A:ACCUM_OFFSET: 0
; COMPUTE_PGM_RSRC3_GFX90A:TG_SPLIT: 0
	.section	.text._ZN7rocprim17ROCPRIM_400000_NS6detail17trampoline_kernelINS0_14default_configENS1_27scan_by_key_config_selectorIiiEEZZNS1_16scan_by_key_implILNS1_25lookback_scan_determinismE0ELb1ES3_N6thrust23THRUST_200600_302600_NS6detail15normal_iteratorINS9_10device_ptrIiEEEESE_SE_iNS9_10multipliesIiEENS9_8equal_toIiEEiEE10hipError_tPvRmT2_T3_T4_T5_mT6_T7_P12ihipStream_tbENKUlT_T0_E_clISt17integral_constantIbLb0EESZ_EEDaSU_SV_EUlSU_E_NS1_11comp_targetILNS1_3genE5ELNS1_11target_archE942ELNS1_3gpuE9ELNS1_3repE0EEENS1_30default_config_static_selectorELNS0_4arch9wavefront6targetE1EEEvT1_,"axG",@progbits,_ZN7rocprim17ROCPRIM_400000_NS6detail17trampoline_kernelINS0_14default_configENS1_27scan_by_key_config_selectorIiiEEZZNS1_16scan_by_key_implILNS1_25lookback_scan_determinismE0ELb1ES3_N6thrust23THRUST_200600_302600_NS6detail15normal_iteratorINS9_10device_ptrIiEEEESE_SE_iNS9_10multipliesIiEENS9_8equal_toIiEEiEE10hipError_tPvRmT2_T3_T4_T5_mT6_T7_P12ihipStream_tbENKUlT_T0_E_clISt17integral_constantIbLb0EESZ_EEDaSU_SV_EUlSU_E_NS1_11comp_targetILNS1_3genE5ELNS1_11target_archE942ELNS1_3gpuE9ELNS1_3repE0EEENS1_30default_config_static_selectorELNS0_4arch9wavefront6targetE1EEEvT1_,comdat
	.protected	_ZN7rocprim17ROCPRIM_400000_NS6detail17trampoline_kernelINS0_14default_configENS1_27scan_by_key_config_selectorIiiEEZZNS1_16scan_by_key_implILNS1_25lookback_scan_determinismE0ELb1ES3_N6thrust23THRUST_200600_302600_NS6detail15normal_iteratorINS9_10device_ptrIiEEEESE_SE_iNS9_10multipliesIiEENS9_8equal_toIiEEiEE10hipError_tPvRmT2_T3_T4_T5_mT6_T7_P12ihipStream_tbENKUlT_T0_E_clISt17integral_constantIbLb0EESZ_EEDaSU_SV_EUlSU_E_NS1_11comp_targetILNS1_3genE5ELNS1_11target_archE942ELNS1_3gpuE9ELNS1_3repE0EEENS1_30default_config_static_selectorELNS0_4arch9wavefront6targetE1EEEvT1_ ; -- Begin function _ZN7rocprim17ROCPRIM_400000_NS6detail17trampoline_kernelINS0_14default_configENS1_27scan_by_key_config_selectorIiiEEZZNS1_16scan_by_key_implILNS1_25lookback_scan_determinismE0ELb1ES3_N6thrust23THRUST_200600_302600_NS6detail15normal_iteratorINS9_10device_ptrIiEEEESE_SE_iNS9_10multipliesIiEENS9_8equal_toIiEEiEE10hipError_tPvRmT2_T3_T4_T5_mT6_T7_P12ihipStream_tbENKUlT_T0_E_clISt17integral_constantIbLb0EESZ_EEDaSU_SV_EUlSU_E_NS1_11comp_targetILNS1_3genE5ELNS1_11target_archE942ELNS1_3gpuE9ELNS1_3repE0EEENS1_30default_config_static_selectorELNS0_4arch9wavefront6targetE1EEEvT1_
	.globl	_ZN7rocprim17ROCPRIM_400000_NS6detail17trampoline_kernelINS0_14default_configENS1_27scan_by_key_config_selectorIiiEEZZNS1_16scan_by_key_implILNS1_25lookback_scan_determinismE0ELb1ES3_N6thrust23THRUST_200600_302600_NS6detail15normal_iteratorINS9_10device_ptrIiEEEESE_SE_iNS9_10multipliesIiEENS9_8equal_toIiEEiEE10hipError_tPvRmT2_T3_T4_T5_mT6_T7_P12ihipStream_tbENKUlT_T0_E_clISt17integral_constantIbLb0EESZ_EEDaSU_SV_EUlSU_E_NS1_11comp_targetILNS1_3genE5ELNS1_11target_archE942ELNS1_3gpuE9ELNS1_3repE0EEENS1_30default_config_static_selectorELNS0_4arch9wavefront6targetE1EEEvT1_
	.p2align	8
	.type	_ZN7rocprim17ROCPRIM_400000_NS6detail17trampoline_kernelINS0_14default_configENS1_27scan_by_key_config_selectorIiiEEZZNS1_16scan_by_key_implILNS1_25lookback_scan_determinismE0ELb1ES3_N6thrust23THRUST_200600_302600_NS6detail15normal_iteratorINS9_10device_ptrIiEEEESE_SE_iNS9_10multipliesIiEENS9_8equal_toIiEEiEE10hipError_tPvRmT2_T3_T4_T5_mT6_T7_P12ihipStream_tbENKUlT_T0_E_clISt17integral_constantIbLb0EESZ_EEDaSU_SV_EUlSU_E_NS1_11comp_targetILNS1_3genE5ELNS1_11target_archE942ELNS1_3gpuE9ELNS1_3repE0EEENS1_30default_config_static_selectorELNS0_4arch9wavefront6targetE1EEEvT1_,@function
_ZN7rocprim17ROCPRIM_400000_NS6detail17trampoline_kernelINS0_14default_configENS1_27scan_by_key_config_selectorIiiEEZZNS1_16scan_by_key_implILNS1_25lookback_scan_determinismE0ELb1ES3_N6thrust23THRUST_200600_302600_NS6detail15normal_iteratorINS9_10device_ptrIiEEEESE_SE_iNS9_10multipliesIiEENS9_8equal_toIiEEiEE10hipError_tPvRmT2_T3_T4_T5_mT6_T7_P12ihipStream_tbENKUlT_T0_E_clISt17integral_constantIbLb0EESZ_EEDaSU_SV_EUlSU_E_NS1_11comp_targetILNS1_3genE5ELNS1_11target_archE942ELNS1_3gpuE9ELNS1_3repE0EEENS1_30default_config_static_selectorELNS0_4arch9wavefront6targetE1EEEvT1_: ; @_ZN7rocprim17ROCPRIM_400000_NS6detail17trampoline_kernelINS0_14default_configENS1_27scan_by_key_config_selectorIiiEEZZNS1_16scan_by_key_implILNS1_25lookback_scan_determinismE0ELb1ES3_N6thrust23THRUST_200600_302600_NS6detail15normal_iteratorINS9_10device_ptrIiEEEESE_SE_iNS9_10multipliesIiEENS9_8equal_toIiEEiEE10hipError_tPvRmT2_T3_T4_T5_mT6_T7_P12ihipStream_tbENKUlT_T0_E_clISt17integral_constantIbLb0EESZ_EEDaSU_SV_EUlSU_E_NS1_11comp_targetILNS1_3genE5ELNS1_11target_archE942ELNS1_3gpuE9ELNS1_3repE0EEENS1_30default_config_static_selectorELNS0_4arch9wavefront6targetE1EEEvT1_
; %bb.0:
	.section	.rodata,"a",@progbits
	.p2align	6, 0x0
	.amdhsa_kernel _ZN7rocprim17ROCPRIM_400000_NS6detail17trampoline_kernelINS0_14default_configENS1_27scan_by_key_config_selectorIiiEEZZNS1_16scan_by_key_implILNS1_25lookback_scan_determinismE0ELb1ES3_N6thrust23THRUST_200600_302600_NS6detail15normal_iteratorINS9_10device_ptrIiEEEESE_SE_iNS9_10multipliesIiEENS9_8equal_toIiEEiEE10hipError_tPvRmT2_T3_T4_T5_mT6_T7_P12ihipStream_tbENKUlT_T0_E_clISt17integral_constantIbLb0EESZ_EEDaSU_SV_EUlSU_E_NS1_11comp_targetILNS1_3genE5ELNS1_11target_archE942ELNS1_3gpuE9ELNS1_3repE0EEENS1_30default_config_static_selectorELNS0_4arch9wavefront6targetE1EEEvT1_
		.amdhsa_group_segment_fixed_size 0
		.amdhsa_private_segment_fixed_size 0
		.amdhsa_kernarg_size 112
		.amdhsa_user_sgpr_count 6
		.amdhsa_user_sgpr_private_segment_buffer 1
		.amdhsa_user_sgpr_dispatch_ptr 0
		.amdhsa_user_sgpr_queue_ptr 0
		.amdhsa_user_sgpr_kernarg_segment_ptr 1
		.amdhsa_user_sgpr_dispatch_id 0
		.amdhsa_user_sgpr_flat_scratch_init 0
		.amdhsa_user_sgpr_kernarg_preload_length 0
		.amdhsa_user_sgpr_kernarg_preload_offset 0
		.amdhsa_user_sgpr_private_segment_size 0
		.amdhsa_uses_dynamic_stack 0
		.amdhsa_system_sgpr_private_segment_wavefront_offset 0
		.amdhsa_system_sgpr_workgroup_id_x 1
		.amdhsa_system_sgpr_workgroup_id_y 0
		.amdhsa_system_sgpr_workgroup_id_z 0
		.amdhsa_system_sgpr_workgroup_info 0
		.amdhsa_system_vgpr_workitem_id 0
		.amdhsa_next_free_vgpr 1
		.amdhsa_next_free_sgpr 0
		.amdhsa_accum_offset 4
		.amdhsa_reserve_vcc 0
		.amdhsa_reserve_flat_scratch 0
		.amdhsa_float_round_mode_32 0
		.amdhsa_float_round_mode_16_64 0
		.amdhsa_float_denorm_mode_32 3
		.amdhsa_float_denorm_mode_16_64 3
		.amdhsa_dx10_clamp 1
		.amdhsa_ieee_mode 1
		.amdhsa_fp16_overflow 0
		.amdhsa_tg_split 0
		.amdhsa_exception_fp_ieee_invalid_op 0
		.amdhsa_exception_fp_denorm_src 0
		.amdhsa_exception_fp_ieee_div_zero 0
		.amdhsa_exception_fp_ieee_overflow 0
		.amdhsa_exception_fp_ieee_underflow 0
		.amdhsa_exception_fp_ieee_inexact 0
		.amdhsa_exception_int_div_zero 0
	.end_amdhsa_kernel
	.section	.text._ZN7rocprim17ROCPRIM_400000_NS6detail17trampoline_kernelINS0_14default_configENS1_27scan_by_key_config_selectorIiiEEZZNS1_16scan_by_key_implILNS1_25lookback_scan_determinismE0ELb1ES3_N6thrust23THRUST_200600_302600_NS6detail15normal_iteratorINS9_10device_ptrIiEEEESE_SE_iNS9_10multipliesIiEENS9_8equal_toIiEEiEE10hipError_tPvRmT2_T3_T4_T5_mT6_T7_P12ihipStream_tbENKUlT_T0_E_clISt17integral_constantIbLb0EESZ_EEDaSU_SV_EUlSU_E_NS1_11comp_targetILNS1_3genE5ELNS1_11target_archE942ELNS1_3gpuE9ELNS1_3repE0EEENS1_30default_config_static_selectorELNS0_4arch9wavefront6targetE1EEEvT1_,"axG",@progbits,_ZN7rocprim17ROCPRIM_400000_NS6detail17trampoline_kernelINS0_14default_configENS1_27scan_by_key_config_selectorIiiEEZZNS1_16scan_by_key_implILNS1_25lookback_scan_determinismE0ELb1ES3_N6thrust23THRUST_200600_302600_NS6detail15normal_iteratorINS9_10device_ptrIiEEEESE_SE_iNS9_10multipliesIiEENS9_8equal_toIiEEiEE10hipError_tPvRmT2_T3_T4_T5_mT6_T7_P12ihipStream_tbENKUlT_T0_E_clISt17integral_constantIbLb0EESZ_EEDaSU_SV_EUlSU_E_NS1_11comp_targetILNS1_3genE5ELNS1_11target_archE942ELNS1_3gpuE9ELNS1_3repE0EEENS1_30default_config_static_selectorELNS0_4arch9wavefront6targetE1EEEvT1_,comdat
.Lfunc_end499:
	.size	_ZN7rocprim17ROCPRIM_400000_NS6detail17trampoline_kernelINS0_14default_configENS1_27scan_by_key_config_selectorIiiEEZZNS1_16scan_by_key_implILNS1_25lookback_scan_determinismE0ELb1ES3_N6thrust23THRUST_200600_302600_NS6detail15normal_iteratorINS9_10device_ptrIiEEEESE_SE_iNS9_10multipliesIiEENS9_8equal_toIiEEiEE10hipError_tPvRmT2_T3_T4_T5_mT6_T7_P12ihipStream_tbENKUlT_T0_E_clISt17integral_constantIbLb0EESZ_EEDaSU_SV_EUlSU_E_NS1_11comp_targetILNS1_3genE5ELNS1_11target_archE942ELNS1_3gpuE9ELNS1_3repE0EEENS1_30default_config_static_selectorELNS0_4arch9wavefront6targetE1EEEvT1_, .Lfunc_end499-_ZN7rocprim17ROCPRIM_400000_NS6detail17trampoline_kernelINS0_14default_configENS1_27scan_by_key_config_selectorIiiEEZZNS1_16scan_by_key_implILNS1_25lookback_scan_determinismE0ELb1ES3_N6thrust23THRUST_200600_302600_NS6detail15normal_iteratorINS9_10device_ptrIiEEEESE_SE_iNS9_10multipliesIiEENS9_8equal_toIiEEiEE10hipError_tPvRmT2_T3_T4_T5_mT6_T7_P12ihipStream_tbENKUlT_T0_E_clISt17integral_constantIbLb0EESZ_EEDaSU_SV_EUlSU_E_NS1_11comp_targetILNS1_3genE5ELNS1_11target_archE942ELNS1_3gpuE9ELNS1_3repE0EEENS1_30default_config_static_selectorELNS0_4arch9wavefront6targetE1EEEvT1_
                                        ; -- End function
	.section	.AMDGPU.csdata,"",@progbits
; Kernel info:
; codeLenInByte = 0
; NumSgprs: 4
; NumVgprs: 0
; NumAgprs: 0
; TotalNumVgprs: 0
; ScratchSize: 0
; MemoryBound: 0
; FloatMode: 240
; IeeeMode: 1
; LDSByteSize: 0 bytes/workgroup (compile time only)
; SGPRBlocks: 0
; VGPRBlocks: 0
; NumSGPRsForWavesPerEU: 4
; NumVGPRsForWavesPerEU: 1
; AccumOffset: 4
; Occupancy: 8
; WaveLimiterHint : 0
; COMPUTE_PGM_RSRC2:SCRATCH_EN: 0
; COMPUTE_PGM_RSRC2:USER_SGPR: 6
; COMPUTE_PGM_RSRC2:TRAP_HANDLER: 0
; COMPUTE_PGM_RSRC2:TGID_X_EN: 1
; COMPUTE_PGM_RSRC2:TGID_Y_EN: 0
; COMPUTE_PGM_RSRC2:TGID_Z_EN: 0
; COMPUTE_PGM_RSRC2:TIDIG_COMP_CNT: 0
; COMPUTE_PGM_RSRC3_GFX90A:ACCUM_OFFSET: 0
; COMPUTE_PGM_RSRC3_GFX90A:TG_SPLIT: 0
	.section	.text._ZN7rocprim17ROCPRIM_400000_NS6detail17trampoline_kernelINS0_14default_configENS1_27scan_by_key_config_selectorIiiEEZZNS1_16scan_by_key_implILNS1_25lookback_scan_determinismE0ELb1ES3_N6thrust23THRUST_200600_302600_NS6detail15normal_iteratorINS9_10device_ptrIiEEEESE_SE_iNS9_10multipliesIiEENS9_8equal_toIiEEiEE10hipError_tPvRmT2_T3_T4_T5_mT6_T7_P12ihipStream_tbENKUlT_T0_E_clISt17integral_constantIbLb0EESZ_EEDaSU_SV_EUlSU_E_NS1_11comp_targetILNS1_3genE4ELNS1_11target_archE910ELNS1_3gpuE8ELNS1_3repE0EEENS1_30default_config_static_selectorELNS0_4arch9wavefront6targetE1EEEvT1_,"axG",@progbits,_ZN7rocprim17ROCPRIM_400000_NS6detail17trampoline_kernelINS0_14default_configENS1_27scan_by_key_config_selectorIiiEEZZNS1_16scan_by_key_implILNS1_25lookback_scan_determinismE0ELb1ES3_N6thrust23THRUST_200600_302600_NS6detail15normal_iteratorINS9_10device_ptrIiEEEESE_SE_iNS9_10multipliesIiEENS9_8equal_toIiEEiEE10hipError_tPvRmT2_T3_T4_T5_mT6_T7_P12ihipStream_tbENKUlT_T0_E_clISt17integral_constantIbLb0EESZ_EEDaSU_SV_EUlSU_E_NS1_11comp_targetILNS1_3genE4ELNS1_11target_archE910ELNS1_3gpuE8ELNS1_3repE0EEENS1_30default_config_static_selectorELNS0_4arch9wavefront6targetE1EEEvT1_,comdat
	.protected	_ZN7rocprim17ROCPRIM_400000_NS6detail17trampoline_kernelINS0_14default_configENS1_27scan_by_key_config_selectorIiiEEZZNS1_16scan_by_key_implILNS1_25lookback_scan_determinismE0ELb1ES3_N6thrust23THRUST_200600_302600_NS6detail15normal_iteratorINS9_10device_ptrIiEEEESE_SE_iNS9_10multipliesIiEENS9_8equal_toIiEEiEE10hipError_tPvRmT2_T3_T4_T5_mT6_T7_P12ihipStream_tbENKUlT_T0_E_clISt17integral_constantIbLb0EESZ_EEDaSU_SV_EUlSU_E_NS1_11comp_targetILNS1_3genE4ELNS1_11target_archE910ELNS1_3gpuE8ELNS1_3repE0EEENS1_30default_config_static_selectorELNS0_4arch9wavefront6targetE1EEEvT1_ ; -- Begin function _ZN7rocprim17ROCPRIM_400000_NS6detail17trampoline_kernelINS0_14default_configENS1_27scan_by_key_config_selectorIiiEEZZNS1_16scan_by_key_implILNS1_25lookback_scan_determinismE0ELb1ES3_N6thrust23THRUST_200600_302600_NS6detail15normal_iteratorINS9_10device_ptrIiEEEESE_SE_iNS9_10multipliesIiEENS9_8equal_toIiEEiEE10hipError_tPvRmT2_T3_T4_T5_mT6_T7_P12ihipStream_tbENKUlT_T0_E_clISt17integral_constantIbLb0EESZ_EEDaSU_SV_EUlSU_E_NS1_11comp_targetILNS1_3genE4ELNS1_11target_archE910ELNS1_3gpuE8ELNS1_3repE0EEENS1_30default_config_static_selectorELNS0_4arch9wavefront6targetE1EEEvT1_
	.globl	_ZN7rocprim17ROCPRIM_400000_NS6detail17trampoline_kernelINS0_14default_configENS1_27scan_by_key_config_selectorIiiEEZZNS1_16scan_by_key_implILNS1_25lookback_scan_determinismE0ELb1ES3_N6thrust23THRUST_200600_302600_NS6detail15normal_iteratorINS9_10device_ptrIiEEEESE_SE_iNS9_10multipliesIiEENS9_8equal_toIiEEiEE10hipError_tPvRmT2_T3_T4_T5_mT6_T7_P12ihipStream_tbENKUlT_T0_E_clISt17integral_constantIbLb0EESZ_EEDaSU_SV_EUlSU_E_NS1_11comp_targetILNS1_3genE4ELNS1_11target_archE910ELNS1_3gpuE8ELNS1_3repE0EEENS1_30default_config_static_selectorELNS0_4arch9wavefront6targetE1EEEvT1_
	.p2align	8
	.type	_ZN7rocprim17ROCPRIM_400000_NS6detail17trampoline_kernelINS0_14default_configENS1_27scan_by_key_config_selectorIiiEEZZNS1_16scan_by_key_implILNS1_25lookback_scan_determinismE0ELb1ES3_N6thrust23THRUST_200600_302600_NS6detail15normal_iteratorINS9_10device_ptrIiEEEESE_SE_iNS9_10multipliesIiEENS9_8equal_toIiEEiEE10hipError_tPvRmT2_T3_T4_T5_mT6_T7_P12ihipStream_tbENKUlT_T0_E_clISt17integral_constantIbLb0EESZ_EEDaSU_SV_EUlSU_E_NS1_11comp_targetILNS1_3genE4ELNS1_11target_archE910ELNS1_3gpuE8ELNS1_3repE0EEENS1_30default_config_static_selectorELNS0_4arch9wavefront6targetE1EEEvT1_,@function
_ZN7rocprim17ROCPRIM_400000_NS6detail17trampoline_kernelINS0_14default_configENS1_27scan_by_key_config_selectorIiiEEZZNS1_16scan_by_key_implILNS1_25lookback_scan_determinismE0ELb1ES3_N6thrust23THRUST_200600_302600_NS6detail15normal_iteratorINS9_10device_ptrIiEEEESE_SE_iNS9_10multipliesIiEENS9_8equal_toIiEEiEE10hipError_tPvRmT2_T3_T4_T5_mT6_T7_P12ihipStream_tbENKUlT_T0_E_clISt17integral_constantIbLb0EESZ_EEDaSU_SV_EUlSU_E_NS1_11comp_targetILNS1_3genE4ELNS1_11target_archE910ELNS1_3gpuE8ELNS1_3repE0EEENS1_30default_config_static_selectorELNS0_4arch9wavefront6targetE1EEEvT1_: ; @_ZN7rocprim17ROCPRIM_400000_NS6detail17trampoline_kernelINS0_14default_configENS1_27scan_by_key_config_selectorIiiEEZZNS1_16scan_by_key_implILNS1_25lookback_scan_determinismE0ELb1ES3_N6thrust23THRUST_200600_302600_NS6detail15normal_iteratorINS9_10device_ptrIiEEEESE_SE_iNS9_10multipliesIiEENS9_8equal_toIiEEiEE10hipError_tPvRmT2_T3_T4_T5_mT6_T7_P12ihipStream_tbENKUlT_T0_E_clISt17integral_constantIbLb0EESZ_EEDaSU_SV_EUlSU_E_NS1_11comp_targetILNS1_3genE4ELNS1_11target_archE910ELNS1_3gpuE8ELNS1_3repE0EEENS1_30default_config_static_selectorELNS0_4arch9wavefront6targetE1EEEvT1_
; %bb.0:
	s_load_dwordx8 s[36:43], s[4:5], 0x0
	s_load_dword s56, s[4:5], 0x20
	s_load_dwordx4 s[44:47], s[4:5], 0x28
	s_load_dwordx2 s[52:53], s[4:5], 0x38
	s_load_dword s0, s[4:5], 0x40
	s_load_dwordx4 s[48:51], s[4:5], 0x48
	s_waitcnt lgkmcnt(0)
	s_lshl_b64 s[34:35], s[38:39], 2
	s_add_u32 s2, s36, s34
	s_addc_u32 s3, s37, s35
	s_add_u32 s4, s40, s34
	s_mul_i32 s1, s53, s0
	s_mul_hi_u32 s7, s52, s0
	s_addc_u32 s5, s41, s35
	s_add_i32 s8, s7, s1
	s_mul_i32 s9, s52, s0
	s_mul_i32 s0, s6, 0xe00
	s_mov_b32 s1, 0
	s_lshl_b64 s[36:37], s[0:1], 2
	s_add_u32 s38, s2, s36
	s_addc_u32 s39, s3, s37
	s_add_u32 s7, s4, s36
	s_addc_u32 s47, s5, s37
	;; [unrolled: 2-line block ×3, first 2 shown]
	s_add_u32 s4, s48, -1
	s_addc_u32 s5, s49, -1
	v_pk_mov_b32 v[2:3], s[4:5], s[4:5] op_sel:[0,1]
	v_cmp_ge_u64_e64 s[0:1], s[0:1], v[2:3]
	s_mov_b64 s[2:3], -1
	s_and_b64 vcc, exec, s[0:1]
	s_mul_i32 s33, s4, 0xfffff200
	s_barrier
	s_cbranch_vccz .LBB500_76
; %bb.1:
	v_pk_mov_b32 v[2:3], s[38:39], s[38:39] op_sel:[0,1]
	flat_load_dword v1, v[2:3]
	s_add_i32 s54, s33, s46
	v_cmp_gt_u32_e32 vcc, s54, v0
	s_waitcnt vmcnt(0) lgkmcnt(0)
	v_mov_b32_e32 v13, v1
	s_and_saveexec_b64 s[4:5], vcc
	s_cbranch_execz .LBB500_3
; %bb.2:
	v_lshlrev_b32_e32 v2, 2, v0
	v_mov_b32_e32 v3, s39
	v_add_co_u32_e64 v2, s[2:3], s38, v2
	v_addc_co_u32_e64 v3, s[2:3], 0, v3, s[2:3]
	flat_load_dword v13, v[2:3]
.LBB500_3:
	s_or_b64 exec, exec, s[4:5]
	v_or_b32_e32 v2, 0x100, v0
	v_cmp_gt_u32_e64 s[2:3], s54, v2
	v_mov_b32_e32 v14, v1
	s_and_saveexec_b64 s[8:9], s[2:3]
	s_cbranch_execz .LBB500_5
; %bb.4:
	v_lshlrev_b32_e32 v2, 2, v0
	v_mov_b32_e32 v3, s39
	v_add_co_u32_e64 v2, s[4:5], s38, v2
	v_addc_co_u32_e64 v3, s[4:5], 0, v3, s[4:5]
	flat_load_dword v14, v[2:3] offset:1024
.LBB500_5:
	s_or_b64 exec, exec, s[8:9]
	v_or_b32_e32 v2, 0x200, v0
	v_cmp_gt_u32_e64 s[4:5], s54, v2
	v_mov_b32_e32 v15, v1
	s_and_saveexec_b64 s[10:11], s[4:5]
	s_cbranch_execz .LBB500_7
; %bb.6:
	v_lshlrev_b32_e32 v2, 2, v0
	v_mov_b32_e32 v3, s39
	v_add_co_u32_e64 v2, s[8:9], s38, v2
	v_addc_co_u32_e64 v3, s[8:9], 0, v3, s[8:9]
	flat_load_dword v15, v[2:3] offset:2048
.LBB500_7:
	;; [unrolled: 13-line block ×3, first 2 shown]
	s_or_b64 exec, exec, s[10:11]
	v_or_b32_e32 v2, 0x400, v0
	v_cmp_gt_u32_e64 s[8:9], s54, v2
	v_lshlrev_b32_e32 v2, 2, v2
	v_mov_b32_e32 v17, v1
	s_and_saveexec_b64 s[12:13], s[8:9]
	s_cbranch_execz .LBB500_11
; %bb.10:
	v_mov_b32_e32 v3, s39
	v_add_co_u32_e64 v4, s[10:11], s38, v2
	v_addc_co_u32_e64 v5, s[10:11], 0, v3, s[10:11]
	flat_load_dword v17, v[4:5]
.LBB500_11:
	s_or_b64 exec, exec, s[12:13]
	v_or_b32_e32 v3, 0x500, v0
	v_cmp_gt_u32_e64 s[10:11], s54, v3
	v_lshlrev_b32_e32 v3, 2, v3
	v_mov_b32_e32 v18, v1
	s_and_saveexec_b64 s[14:15], s[10:11]
	s_cbranch_execz .LBB500_13
; %bb.12:
	v_mov_b32_e32 v5, s39
	v_add_co_u32_e64 v4, s[12:13], s38, v3
	v_addc_co_u32_e64 v5, s[12:13], 0, v5, s[12:13]
	flat_load_dword v18, v[4:5]
.LBB500_13:
	;; [unrolled: 13-line block ×9, first 2 shown]
	s_or_b64 exec, exec, s[30:31]
	v_or_b32_e32 v11, 0xd00, v0
	v_cmp_gt_u32_e64 s[26:27], s54, v11
	v_lshlrev_b32_e32 v11, 2, v11
	s_and_saveexec_b64 s[40:41], s[26:27]
	s_cbranch_execz .LBB500_29
; %bb.28:
	v_mov_b32_e32 v1, s39
	v_add_co_u32_e64 v26, s[30:31], s38, v11
	v_addc_co_u32_e64 v27, s[30:31], 0, v1, s[30:31]
	flat_load_dword v1, v[26:27]
.LBB500_29:
	s_or_b64 exec, exec, s[40:41]
	v_lshlrev_b32_e32 v12, 2, v0
	s_waitcnt vmcnt(0) lgkmcnt(0)
	ds_write2st64_b32 v12, v13, v14 offset1:4
	ds_write2st64_b32 v12, v15, v16 offset0:8 offset1:12
	ds_write2st64_b32 v12, v17, v18 offset0:16 offset1:20
	;; [unrolled: 1-line block ×6, first 2 shown]
	v_pk_mov_b32 v[14:15], s[38:39], s[38:39] op_sel:[0,1]
	s_waitcnt lgkmcnt(0)
	s_barrier
	flat_load_dword v1, v[14:15]
	v_mad_u32_u24 v44, v0, 52, v12
	s_movk_i32 s30, 0xffcc
	ds_read2_b64 v[34:37], v44 offset1:1
	ds_read2_b64 v[30:33], v44 offset0:2 offset1:3
	ds_read2_b64 v[26:29], v44 offset0:4 offset1:5
	ds_read_b64 v[40:41], v44 offset:48
	v_mad_i32_i24 v13, v0, s30, v44
	s_movk_i32 s30, 0xff
	v_cmp_ne_u32_e64 s[30:31], s30, v0
	s_waitcnt lgkmcnt(0)
	ds_write_b32 v13, v34 offset:15360
	s_waitcnt lgkmcnt(0)
	s_barrier
	s_and_saveexec_b64 s[40:41], s[30:31]
	s_cbranch_execz .LBB500_31
; %bb.30:
	s_waitcnt vmcnt(0)
	ds_read_b32 v1, v12 offset:15364
.LBB500_31:
	s_or_b64 exec, exec, s[40:41]
	s_waitcnt lgkmcnt(0)
	s_barrier
	s_waitcnt lgkmcnt(0)
                                        ; implicit-def: $vgpr13
	s_and_saveexec_b64 s[30:31], vcc
	s_cbranch_execz .LBB500_151
; %bb.32:
	v_mov_b32_e32 v13, s47
	v_add_co_u32_e32 v14, vcc, s7, v12
	v_addc_co_u32_e32 v15, vcc, 0, v13, vcc
	flat_load_dword v13, v[14:15]
	s_or_b64 exec, exec, s[30:31]
                                        ; implicit-def: $vgpr14
	s_and_saveexec_b64 s[30:31], s[2:3]
	s_cbranch_execnz .LBB500_152
.LBB500_33:
	s_or_b64 exec, exec, s[30:31]
                                        ; implicit-def: $vgpr15
	s_and_saveexec_b64 s[2:3], s[4:5]
	s_cbranch_execz .LBB500_153
.LBB500_34:
	v_mov_b32_e32 v15, s47
	v_add_co_u32_e32 v16, vcc, s7, v12
	v_addc_co_u32_e32 v17, vcc, 0, v15, vcc
	flat_load_dword v15, v[16:17] offset:2048
	s_or_b64 exec, exec, s[2:3]
                                        ; implicit-def: $vgpr16
	s_and_saveexec_b64 s[2:3], s[28:29]
	s_cbranch_execnz .LBB500_154
.LBB500_35:
	s_or_b64 exec, exec, s[2:3]
                                        ; implicit-def: $vgpr17
	s_and_saveexec_b64 s[2:3], s[8:9]
	s_cbranch_execz .LBB500_155
.LBB500_36:
	v_mov_b32_e32 v17, s47
	v_add_co_u32_e32 v18, vcc, s7, v2
	v_addc_co_u32_e32 v19, vcc, 0, v17, vcc
	flat_load_dword v17, v[18:19]
	s_or_b64 exec, exec, s[2:3]
                                        ; implicit-def: $vgpr2
	s_and_saveexec_b64 s[2:3], s[10:11]
	s_cbranch_execnz .LBB500_156
.LBB500_37:
	s_or_b64 exec, exec, s[2:3]
                                        ; implicit-def: $vgpr3
	s_and_saveexec_b64 s[2:3], s[12:13]
	s_cbranch_execz .LBB500_157
.LBB500_38:
	v_mov_b32_e32 v3, s47
	v_add_co_u32_e32 v18, vcc, s7, v4
	v_addc_co_u32_e32 v19, vcc, 0, v3, vcc
	flat_load_dword v3, v[18:19]
	s_or_b64 exec, exec, s[2:3]
                                        ; implicit-def: $vgpr4
	s_and_saveexec_b64 s[2:3], s[14:15]
	s_cbranch_execnz .LBB500_158
.LBB500_39:
	s_or_b64 exec, exec, s[2:3]
                                        ; implicit-def: $vgpr5
	s_and_saveexec_b64 s[2:3], s[16:17]
	s_cbranch_execz .LBB500_159
.LBB500_40:
	v_mov_b32_e32 v5, s47
	v_add_co_u32_e32 v18, vcc, s7, v6
	v_addc_co_u32_e32 v19, vcc, 0, v5, vcc
	flat_load_dword v5, v[18:19]
	s_or_b64 exec, exec, s[2:3]
                                        ; implicit-def: $vgpr6
	s_and_saveexec_b64 s[2:3], s[18:19]
	s_cbranch_execnz .LBB500_160
.LBB500_41:
	s_or_b64 exec, exec, s[2:3]
                                        ; implicit-def: $vgpr7
	s_and_saveexec_b64 s[2:3], s[20:21]
	s_cbranch_execz .LBB500_161
.LBB500_42:
	v_mov_b32_e32 v7, s47
	v_add_co_u32_e32 v18, vcc, s7, v8
	v_addc_co_u32_e32 v19, vcc, 0, v7, vcc
	flat_load_dword v7, v[18:19]
	s_or_b64 exec, exec, s[2:3]
                                        ; implicit-def: $vgpr8
	s_and_saveexec_b64 s[2:3], s[22:23]
	s_cbranch_execnz .LBB500_162
.LBB500_43:
	s_or_b64 exec, exec, s[2:3]
                                        ; implicit-def: $vgpr9
	s_and_saveexec_b64 s[2:3], s[24:25]
	s_cbranch_execz .LBB500_45
.LBB500_44:
	v_mov_b32_e32 v9, s47
	v_add_co_u32_e32 v18, vcc, s7, v10
	v_addc_co_u32_e32 v19, vcc, 0, v9, vcc
	flat_load_dword v9, v[18:19]
.LBB500_45:
	s_or_b64 exec, exec, s[2:3]
	v_mul_u32_u24_e32 v45, 14, v0
                                        ; implicit-def: $vgpr10
	s_and_saveexec_b64 s[2:3], s[26:27]
	s_cbranch_execz .LBB500_47
; %bb.46:
	v_mov_b32_e32 v18, s47
	v_add_co_u32_e32 v10, vcc, s7, v11
	v_addc_co_u32_e32 v11, vcc, 0, v18, vcc
	flat_load_dword v10, v[10:11]
.LBB500_47:
	s_or_b64 exec, exec, s[2:3]
	s_mov_b32 s8, 0
	s_mov_b32 s9, s8
	s_waitcnt vmcnt(0) lgkmcnt(0)
	ds_write2st64_b32 v12, v13, v14 offset1:4
	ds_write2st64_b32 v12, v15, v16 offset0:8 offset1:12
	ds_write2st64_b32 v12, v17, v2 offset0:16 offset1:20
	;; [unrolled: 1-line block ×6, first 2 shown]
	s_mov_b32 s10, s8
	s_mov_b32 s11, s8
	;; [unrolled: 1-line block ×6, first 2 shown]
	v_pk_mov_b32 v[2:3], s[8:9], s[8:9] op_sel:[0,1]
	v_pk_mov_b32 v[8:9], s[14:15], s[14:15] op_sel:[0,1]
	;; [unrolled: 1-line block ×6, first 2 shown]
	v_cmp_gt_u32_e32 vcc, s54, v45
	s_mov_b64 s[2:3], 0
	v_pk_mov_b32 v[38:39], 0, 0
	s_mov_b64 s[18:19], 0
	v_pk_mov_b32 v[14:15], v[6:7], v[6:7] op_sel:[0,1]
	v_pk_mov_b32 v[12:13], v[4:5], v[4:5] op_sel:[0,1]
	;; [unrolled: 1-line block ×6, first 2 shown]
	s_waitcnt lgkmcnt(0)
	s_barrier
	s_waitcnt lgkmcnt(0)
                                        ; implicit-def: $sgpr16_sgpr17
                                        ; implicit-def: $vgpr42
	s_and_saveexec_b64 s[4:5], vcc
	s_cbranch_execz .LBB500_75
; %bb.48:
	ds_read_b32 v2, v44
	v_mov_b32_e32 v4, s56
	v_cmp_eq_u32_e32 vcc, v34, v35
	v_or_b32_e32 v3, 1, v45
                                        ; implicit-def: $vgpr42
	s_waitcnt lgkmcnt(0)
	v_cndmask_b32_e32 v38, v4, v2, vcc
	v_cmp_ne_u32_e32 vcc, v34, v35
	v_cndmask_b32_e64 v39, 0, 1, vcc
	v_cmp_gt_u32_e32 vcc, s54, v3
	v_pk_mov_b32 v[2:3], s[8:9], s[8:9] op_sel:[0,1]
	v_pk_mov_b32 v[8:9], s[14:15], s[14:15] op_sel:[0,1]
	;; [unrolled: 1-line block ×12, first 2 shown]
                                        ; implicit-def: $sgpr8_sgpr9
	s_and_saveexec_b64 s[16:17], vcc
	s_cbranch_execz .LBB500_74
; %bb.49:
	ds_read2_b32 v[42:43], v44 offset0:1 offset1:2
	s_mov_b32 s8, 0
	v_mov_b32_e32 v3, s56
	v_cmp_eq_u32_e32 vcc, v35, v36
	s_mov_b32 s14, s8
	s_mov_b32 s15, s8
	v_add_u32_e32 v2, 2, v45
	s_waitcnt lgkmcnt(0)
	v_cndmask_b32_e32 v8, v3, v42, vcc
	v_cmp_ne_u32_e32 vcc, v35, v36
	s_mov_b32 s9, s8
	s_mov_b32 s10, s8
	;; [unrolled: 1-line block ×5, first 2 shown]
	v_pk_mov_b32 v[16:17], s[14:15], s[14:15] op_sel:[0,1]
	v_cndmask_b32_e64 v9, 0, 1, vcc
	v_cmp_gt_u32_e32 vcc, s54, v2
	v_mov_b32_e32 v2, 0
	v_pk_mov_b32 v[14:15], s[12:13], s[12:13] op_sel:[0,1]
	v_pk_mov_b32 v[12:13], s[10:11], s[10:11] op_sel:[0,1]
	;; [unrolled: 1-line block ×4, first 2 shown]
	v_mov_b32_e32 v3, v2
	v_mov_b32_e32 v4, v2
	v_mov_b32_e32 v5, v2
	v_mov_b32_e32 v6, v2
	v_mov_b32_e32 v7, v2
	s_mov_b64 s[20:21], 0
	v_pk_mov_b32 v[22:23], v[14:15], v[14:15] op_sel:[0,1]
	v_pk_mov_b32 v[20:21], v[12:13], v[12:13] op_sel:[0,1]
	;; [unrolled: 1-line block ×3, first 2 shown]
                                        ; implicit-def: $sgpr24_sgpr25
                                        ; implicit-def: $vgpr42
	s_and_saveexec_b64 s[18:19], vcc
	s_cbranch_execz .LBB500_73
; %bb.50:
	v_mov_b32_e32 v4, s56
	v_cmp_eq_u32_e32 vcc, v36, v37
	v_pk_mov_b32 v[16:17], s[14:15], s[14:15] op_sel:[0,1]
	v_add_u32_e32 v3, 3, v45
	v_cndmask_b32_e32 v6, v4, v43, vcc
	v_cmp_ne_u32_e32 vcc, v36, v37
	v_pk_mov_b32 v[14:15], s[12:13], s[12:13] op_sel:[0,1]
	v_pk_mov_b32 v[12:13], s[10:11], s[10:11] op_sel:[0,1]
	;; [unrolled: 1-line block ×4, first 2 shown]
	v_cndmask_b32_e64 v7, 0, 1, vcc
	v_cmp_gt_u32_e32 vcc, s54, v3
	v_mov_b32_e32 v3, v2
	v_mov_b32_e32 v4, v2
	;; [unrolled: 1-line block ×3, first 2 shown]
	s_mov_b64 s[22:23], 0
	v_pk_mov_b32 v[22:23], v[14:15], v[14:15] op_sel:[0,1]
	v_pk_mov_b32 v[20:21], v[12:13], v[12:13] op_sel:[0,1]
	;; [unrolled: 1-line block ×3, first 2 shown]
                                        ; implicit-def: $sgpr8_sgpr9
                                        ; implicit-def: $vgpr42
	s_and_saveexec_b64 s[20:21], vcc
	s_cbranch_execz .LBB500_72
; %bb.51:
	ds_read2_b32 v[34:35], v44 offset0:3 offset1:4
	s_mov_b32 s8, 0
	s_mov_b32 s14, s8
	s_mov_b32 s15, s8
	v_mov_b32_e32 v3, s56
	v_cmp_eq_u32_e32 vcc, v37, v30
	s_mov_b32 s9, s8
	s_mov_b32 s10, s8
	;; [unrolled: 1-line block ×5, first 2 shown]
	v_pk_mov_b32 v[16:17], s[14:15], s[14:15] op_sel:[0,1]
	v_add_u32_e32 v2, 4, v45
	s_waitcnt lgkmcnt(0)
	v_cndmask_b32_e32 v4, v3, v34, vcc
	v_cmp_ne_u32_e32 vcc, v37, v30
	v_pk_mov_b32 v[14:15], s[12:13], s[12:13] op_sel:[0,1]
	v_pk_mov_b32 v[12:13], s[10:11], s[10:11] op_sel:[0,1]
	;; [unrolled: 1-line block ×4, first 2 shown]
	v_cndmask_b32_e64 v5, 0, 1, vcc
	v_cmp_gt_u32_e32 vcc, s54, v2
	v_mov_b32_e32 v2, s8
	v_mov_b32_e32 v3, s8
	s_mov_b64 s[24:25], 0
	v_pk_mov_b32 v[22:23], v[14:15], v[14:15] op_sel:[0,1]
	v_pk_mov_b32 v[20:21], v[12:13], v[12:13] op_sel:[0,1]
	;; [unrolled: 1-line block ×3, first 2 shown]
                                        ; implicit-def: $sgpr26_sgpr27
                                        ; implicit-def: $vgpr42
	s_and_saveexec_b64 s[22:23], vcc
	s_cbranch_execz .LBB500_71
; %bb.52:
	v_mov_b32_e32 v2, s56
	v_cmp_eq_u32_e32 vcc, v30, v31
	v_add_u32_e32 v10, 5, v45
	v_cndmask_b32_e32 v2, v2, v35, vcc
	v_cmp_ne_u32_e32 vcc, v30, v31
	v_cndmask_b32_e64 v3, 0, 1, vcc
	v_cmp_gt_u32_e32 vcc, s54, v10
	v_pk_mov_b32 v[16:17], s[14:15], s[14:15] op_sel:[0,1]
	v_pk_mov_b32 v[14:15], s[12:13], s[12:13] op_sel:[0,1]
	;; [unrolled: 1-line block ×5, first 2 shown]
	s_mov_b64 s[28:29], 0
	v_pk_mov_b32 v[22:23], v[14:15], v[14:15] op_sel:[0,1]
	v_pk_mov_b32 v[20:21], v[12:13], v[12:13] op_sel:[0,1]
	;; [unrolled: 1-line block ×3, first 2 shown]
                                        ; implicit-def: $sgpr8_sgpr9
                                        ; implicit-def: $vgpr42
	s_and_saveexec_b64 s[24:25], vcc
	s_cbranch_execz .LBB500_70
; %bb.53:
	ds_read2_b32 v[34:35], v44 offset0:5 offset1:6
	v_mov_b32_e32 v11, s56
	v_cmp_eq_u32_e32 vcc, v31, v32
	s_mov_b32 s8, 0
	v_add_u32_e32 v10, 6, v45
	s_waitcnt lgkmcnt(0)
	v_cndmask_b32_e32 v16, v11, v34, vcc
	v_cmp_ne_u32_e32 vcc, v31, v32
	s_mov_b32 s14, s8
	s_mov_b32 s15, s8
	v_cndmask_b32_e64 v17, 0, 1, vcc
	v_cmp_gt_u32_e32 vcc, s54, v10
	v_mov_b32_e32 v10, 0
	s_mov_b32 s9, s8
	s_mov_b32 s10, s8
	;; [unrolled: 1-line block ×5, first 2 shown]
	v_pk_mov_b32 v[24:25], s[14:15], s[14:15] op_sel:[0,1]
	v_mov_b32_e32 v11, v10
	v_mov_b32_e32 v12, v10
	;; [unrolled: 1-line block ×5, first 2 shown]
	v_pk_mov_b32 v[22:23], s[12:13], s[12:13] op_sel:[0,1]
	v_pk_mov_b32 v[20:21], s[10:11], s[10:11] op_sel:[0,1]
	;; [unrolled: 1-line block ×3, first 2 shown]
                                        ; implicit-def: $sgpr40_sgpr41
                                        ; implicit-def: $vgpr42
	s_and_saveexec_b64 s[26:27], vcc
	s_cbranch_execz .LBB500_69
; %bb.54:
	v_mov_b32_e32 v12, s56
	v_cmp_eq_u32_e32 vcc, v32, v33
	v_add_u32_e32 v11, 7, v45
	v_cndmask_b32_e32 v14, v12, v35, vcc
	v_cmp_ne_u32_e32 vcc, v32, v33
	v_pk_mov_b32 v[24:25], s[14:15], s[14:15] op_sel:[0,1]
	v_cndmask_b32_e64 v15, 0, 1, vcc
	v_cmp_gt_u32_e32 vcc, s54, v11
	v_mov_b32_e32 v11, v10
	v_mov_b32_e32 v12, v10
	;; [unrolled: 1-line block ×3, first 2 shown]
	s_mov_b64 s[30:31], 0
	v_pk_mov_b32 v[22:23], s[12:13], s[12:13] op_sel:[0,1]
	v_pk_mov_b32 v[20:21], s[10:11], s[10:11] op_sel:[0,1]
	;; [unrolled: 1-line block ×3, first 2 shown]
                                        ; implicit-def: $sgpr8_sgpr9
                                        ; implicit-def: $vgpr42
	s_and_saveexec_b64 s[28:29], vcc
	s_cbranch_execz .LBB500_68
; %bb.55:
	ds_read2_b32 v[30:31], v44 offset0:7 offset1:8
	s_mov_b32 s8, 0
	v_mov_b32_e32 v11, s56
	v_cmp_eq_u32_e32 vcc, v33, v26
	s_mov_b32 s14, s8
	s_mov_b32 s15, s8
	v_add_u32_e32 v10, 8, v45
	s_waitcnt lgkmcnt(0)
	v_cndmask_b32_e32 v12, v11, v30, vcc
	v_cmp_ne_u32_e32 vcc, v33, v26
	s_mov_b32 s9, s8
	s_mov_b32 s10, s8
	;; [unrolled: 1-line block ×5, first 2 shown]
	v_pk_mov_b32 v[24:25], s[14:15], s[14:15] op_sel:[0,1]
	v_cndmask_b32_e64 v13, 0, 1, vcc
	v_cmp_gt_u32_e32 vcc, s54, v10
	v_mov_b32_e32 v10, s8
	v_mov_b32_e32 v11, s8
	s_mov_b64 s[40:41], 0
	v_pk_mov_b32 v[22:23], s[12:13], s[12:13] op_sel:[0,1]
	v_pk_mov_b32 v[20:21], s[10:11], s[10:11] op_sel:[0,1]
	;; [unrolled: 1-line block ×3, first 2 shown]
                                        ; implicit-def: $sgpr48_sgpr49
                                        ; implicit-def: $vgpr42
	s_and_saveexec_b64 s[30:31], vcc
	s_cbranch_execz .LBB500_67
; %bb.56:
	v_mov_b32_e32 v10, s56
	v_cmp_eq_u32_e32 vcc, v26, v27
	v_add_u32_e32 v18, 9, v45
	v_cndmask_b32_e32 v10, v10, v31, vcc
	v_cmp_ne_u32_e32 vcc, v26, v27
	v_cndmask_b32_e64 v11, 0, 1, vcc
	v_cmp_gt_u32_e32 vcc, s54, v18
	v_pk_mov_b32 v[24:25], s[14:15], s[14:15] op_sel:[0,1]
	v_pk_mov_b32 v[22:23], s[12:13], s[12:13] op_sel:[0,1]
	;; [unrolled: 1-line block ×4, first 2 shown]
                                        ; implicit-def: $sgpr10_sgpr11
                                        ; implicit-def: $vgpr42
	s_and_saveexec_b64 s[8:9], vcc
	s_cbranch_execz .LBB500_66
; %bb.57:
	ds_read2_b32 v[30:31], v44 offset0:9 offset1:10
	v_mov_b32_e32 v18, s56
	v_cmp_eq_u32_e32 vcc, v27, v28
	v_add_u32_e32 v20, 10, v45
	v_mov_b32_e32 v22, 0
	s_waitcnt lgkmcnt(0)
	v_cndmask_b32_e32 v18, v18, v30, vcc
	v_cmp_ne_u32_e32 vcc, v27, v28
	v_cndmask_b32_e64 v19, 0, 1, vcc
	v_cmp_gt_u32_e32 vcc, s54, v20
	v_mov_b32_e32 v20, v22
	v_mov_b32_e32 v21, v22
	;; [unrolled: 1-line block ×5, first 2 shown]
	s_mov_b64 s[12:13], 0
                                        ; implicit-def: $sgpr40_sgpr41
                                        ; implicit-def: $vgpr42
	s_and_saveexec_b64 s[10:11], vcc
	s_cbranch_execz .LBB500_65
; %bb.58:
	v_mov_b32_e32 v20, s56
	v_cmp_eq_u32_e32 vcc, v28, v29
	v_add_u32_e32 v23, 11, v45
	v_cndmask_b32_e32 v20, v20, v31, vcc
	v_cmp_ne_u32_e32 vcc, v28, v29
	v_cndmask_b32_e64 v21, 0, 1, vcc
	v_cmp_gt_u32_e32 vcc, s54, v23
	s_mov_b32 s40, 0
	v_mov_b32_e32 v23, v22
	v_mov_b32_e32 v24, v22
	;; [unrolled: 1-line block ×3, first 2 shown]
	s_mov_b64 s[14:15], 0
                                        ; implicit-def: $sgpr48_sgpr49
                                        ; implicit-def: $vgpr42
	s_and_saveexec_b64 s[12:13], vcc
	s_cbranch_execz .LBB500_64
; %bb.59:
	ds_read2_b32 v[26:27], v44 offset0:11 offset1:12
	v_mov_b32_e32 v22, s56
	v_cmp_eq_u32_e32 vcc, v29, v40
	v_add_u32_e32 v24, 12, v45
	v_mov_b32_e32 v25, s40
	s_waitcnt lgkmcnt(0)
	v_cndmask_b32_e32 v22, v22, v26, vcc
	v_cmp_ne_u32_e32 vcc, v29, v40
	v_cndmask_b32_e64 v23, 0, 1, vcc
	v_cmp_gt_u32_e32 vcc, s54, v24
	v_mov_b32_e32 v24, s40
	s_mov_b64 s[40:41], 0
                                        ; implicit-def: $sgpr48_sgpr49
                                        ; implicit-def: $vgpr42
	s_and_saveexec_b64 s[14:15], vcc
	s_cbranch_execz .LBB500_63
; %bb.60:
	v_mov_b32_e32 v24, s56
	v_cmp_eq_u32_e32 vcc, v40, v41
	v_add_u32_e32 v26, 13, v45
	v_cndmask_b32_e32 v24, v24, v27, vcc
	v_cmp_ne_u32_e32 vcc, v40, v41
	v_cndmask_b32_e64 v25, 0, 1, vcc
	v_cmp_gt_u32_e32 vcc, s54, v26
                                        ; implicit-def: $sgpr48_sgpr49
                                        ; implicit-def: $vgpr42
	s_and_saveexec_b64 s[54:55], vcc
	s_xor_b64 s[54:55], exec, s[54:55]
	s_cbranch_execz .LBB500_62
; %bb.61:
	ds_read_b32 v26, v44 offset:52
	v_mov_b32_e32 v27, s56
	v_cmp_ne_u32_e32 vcc, v41, v1
	s_mov_b64 s[40:41], exec
	s_and_b64 s[48:49], vcc, exec
	s_waitcnt lgkmcnt(0)
	v_cndmask_b32_e32 v42, v26, v27, vcc
.LBB500_62:
	s_or_b64 exec, exec, s[54:55]
	s_and_b64 s[48:49], s[48:49], exec
	s_and_b64 s[40:41], s[40:41], exec
.LBB500_63:
	s_or_b64 exec, exec, s[14:15]
	s_and_b64 s[48:49], s[48:49], exec
	s_and_b64 s[14:15], s[40:41], exec
.LBB500_64:
	s_or_b64 exec, exec, s[12:13]
	s_and_b64 s[40:41], s[48:49], exec
	s_and_b64 s[12:13], s[14:15], exec
.LBB500_65:
	s_or_b64 exec, exec, s[10:11]
	s_and_b64 s[10:11], s[40:41], exec
	s_and_b64 s[40:41], s[12:13], exec
.LBB500_66:
	s_or_b64 exec, exec, s[8:9]
	s_and_b64 s[48:49], s[10:11], exec
	s_and_b64 s[40:41], s[40:41], exec
.LBB500_67:
	s_or_b64 exec, exec, s[30:31]
	s_and_b64 s[8:9], s[48:49], exec
	s_and_b64 s[30:31], s[40:41], exec
.LBB500_68:
	s_or_b64 exec, exec, s[28:29]
	s_and_b64 s[40:41], s[8:9], exec
	s_and_b64 s[28:29], s[30:31], exec
.LBB500_69:
	s_or_b64 exec, exec, s[26:27]
	s_and_b64 s[8:9], s[40:41], exec
	s_and_b64 s[28:29], s[28:29], exec
.LBB500_70:
	s_or_b64 exec, exec, s[24:25]
	s_and_b64 s[26:27], s[8:9], exec
	s_and_b64 s[24:25], s[28:29], exec
.LBB500_71:
	s_or_b64 exec, exec, s[22:23]
	s_and_b64 s[8:9], s[26:27], exec
	s_and_b64 s[22:23], s[24:25], exec
.LBB500_72:
	s_or_b64 exec, exec, s[20:21]
	s_and_b64 s[24:25], s[8:9], exec
	s_and_b64 s[20:21], s[22:23], exec
.LBB500_73:
	s_or_b64 exec, exec, s[18:19]
	s_and_b64 s[8:9], s[24:25], exec
	s_and_b64 s[18:19], s[20:21], exec
.LBB500_74:
	s_or_b64 exec, exec, s[16:17]
	s_and_b64 s[16:17], s[8:9], exec
	s_and_b64 s[18:19], s[18:19], exec
.LBB500_75:
	s_or_b64 exec, exec, s[4:5]
	s_and_b64 vcc, exec, s[2:3]
	v_lshlrev_b32_e32 v50, 2, v0
	s_cbranch_vccnz .LBB500_77
	s_branch .LBB500_82
.LBB500_76:
	s_mov_b64 s[18:19], 0
                                        ; implicit-def: $sgpr16_sgpr17
                                        ; implicit-def: $vgpr2_vgpr3_vgpr4_vgpr5_vgpr6_vgpr7_vgpr8_vgpr9
                                        ; implicit-def: $vgpr10_vgpr11_vgpr12_vgpr13_vgpr14_vgpr15_vgpr16_vgpr17
                                        ; implicit-def: $vgpr18_vgpr19_vgpr20_vgpr21_vgpr22_vgpr23_vgpr24_vgpr25
                                        ; implicit-def: $vgpr42
                                        ; implicit-def: $vgpr38_vgpr39
	s_and_b64 vcc, exec, s[2:3]
	v_lshlrev_b32_e32 v50, 2, v0
	s_cbranch_vccz .LBB500_82
.LBB500_77:
	v_mov_b32_e32 v1, s39
	v_add_co_u32_e32 v2, vcc, s38, v50
	v_addc_co_u32_e32 v3, vcc, 0, v1, vcc
	v_add_co_u32_e32 v4, vcc, 0x1000, v2
	v_addc_co_u32_e32 v5, vcc, 0, v3, vcc
	flat_load_dword v1, v[2:3]
	flat_load_dword v6, v[2:3] offset:1024
	flat_load_dword v7, v[2:3] offset:2048
	;; [unrolled: 1-line block ×3, first 2 shown]
	flat_load_dword v9, v[4:5]
	flat_load_dword v10, v[4:5] offset:1024
	flat_load_dword v11, v[4:5] offset:2048
	;; [unrolled: 1-line block ×3, first 2 shown]
	v_add_co_u32_e32 v4, vcc, 0x2000, v2
	v_addc_co_u32_e32 v5, vcc, 0, v3, vcc
	v_add_co_u32_e32 v2, vcc, 0x3000, v2
	v_addc_co_u32_e32 v3, vcc, 0, v3, vcc
	flat_load_dword v13, v[4:5]
	flat_load_dword v14, v[4:5] offset:1024
	flat_load_dword v15, v[4:5] offset:2048
	;; [unrolled: 1-line block ×3, first 2 shown]
	flat_load_dword v17, v[2:3]
	flat_load_dword v18, v[2:3] offset:1024
	v_mov_b32_e32 v2, s38
	v_mov_b32_e32 v3, s39
	v_add_co_u32_e32 v2, vcc, 0x3000, v2
	v_addc_co_u32_e32 v3, vcc, 0, v3, vcc
	s_movk_i32 s4, 0xffcc
	s_movk_i32 s9, 0x1000
	s_mov_b32 s2, 0
	s_movk_i32 s8, 0x2000
	s_movk_i32 s3, 0x3000
	s_waitcnt vmcnt(0) lgkmcnt(0)
	ds_write2st64_b32 v50, v1, v6 offset1:4
	ds_write2st64_b32 v50, v7, v8 offset0:8 offset1:12
	ds_write2st64_b32 v50, v9, v10 offset0:16 offset1:20
	;; [unrolled: 1-line block ×6, first 2 shown]
	s_waitcnt lgkmcnt(0)
	s_barrier
	flat_load_dword v1, v[2:3] offset:2048
	v_mad_u32_u24 v6, v0, 52, v50
	v_mad_i32_i24 v2, v0, s4, v6
	s_movk_i32 s4, 0xff
	v_cmp_ne_u32_e32 vcc, s4, v0
	ds_read2_b32 v[26:27], v6 offset1:13
	ds_read2_b32 v[18:19], v6 offset0:7 offset1:8
	ds_read2_b32 v[20:21], v6 offset0:5 offset1:6
	;; [unrolled: 1-line block ×6, first 2 shown]
	s_waitcnt lgkmcnt(0)
	ds_write_b32 v2, v26 offset:15360
	s_waitcnt lgkmcnt(0)
	s_barrier
	s_and_saveexec_b64 s[4:5], vcc
	s_cbranch_execz .LBB500_79
; %bb.78:
	s_waitcnt vmcnt(0)
	ds_read_b32 v1, v50 offset:15364
.LBB500_79:
	s_or_b64 exec, exec, s[4:5]
	v_mov_b32_e32 v3, s47
	v_add_co_u32_e32 v2, vcc, s7, v50
	v_addc_co_u32_e32 v3, vcc, 0, v3, vcc
	v_add_co_u32_e32 v4, vcc, s9, v2
	v_addc_co_u32_e32 v5, vcc, 0, v3, vcc
	s_waitcnt lgkmcnt(0)
	s_barrier
	flat_load_dword v7, v[2:3]
	flat_load_dword v8, v[2:3] offset:1024
	flat_load_dword v9, v[2:3] offset:2048
	;; [unrolled: 1-line block ×3, first 2 shown]
	flat_load_dword v15, v[4:5]
	flat_load_dword v16, v[4:5] offset:1024
	flat_load_dword v17, v[4:5] offset:2048
	;; [unrolled: 1-line block ×3, first 2 shown]
	v_add_co_u32_e32 v4, vcc, s8, v2
	v_addc_co_u32_e32 v5, vcc, 0, v3, vcc
	v_add_co_u32_e32 v2, vcc, s3, v2
	v_addc_co_u32_e32 v3, vcc, 0, v3, vcc
	flat_load_dword v23, v[4:5]
	flat_load_dword v24, v[4:5] offset:1024
	flat_load_dword v25, v[4:5] offset:2048
	flat_load_dword v32, v[4:5] offset:3072
	flat_load_dword v33, v[2:3]
	flat_load_dword v34, v[2:3] offset:1024
	s_mov_b32 s3, 1
	v_cmp_eq_u32_e32 vcc, v26, v12
	v_pk_mov_b32 v[38:39], s[2:3], s[2:3] op_sel:[0,1]
	s_waitcnt vmcnt(0) lgkmcnt(0)
	ds_write2st64_b32 v50, v7, v8 offset1:4
	ds_write2st64_b32 v50, v9, v14 offset0:8 offset1:12
	ds_write2st64_b32 v50, v15, v16 offset0:16 offset1:20
	ds_write2st64_b32 v50, v17, v22 offset0:24 offset1:28
	ds_write2st64_b32 v50, v23, v24 offset0:32 offset1:36
	ds_write2st64_b32 v50, v25, v32 offset0:40 offset1:44
	ds_write2st64_b32 v50, v33, v34 offset0:48 offset1:52
	s_waitcnt lgkmcnt(0)
	s_barrier
	ds_read2_b32 v[24:25], v6 offset0:7 offset1:8
	ds_read2_b32 v[14:15], v6 offset0:5 offset1:6
	;; [unrolled: 1-line block ×4, first 2 shown]
	ds_read_b32 v34, v6 offset:52
	ds_read2_b32 v[22:23], v6 offset0:11 offset1:12
	ds_read2_b32 v[32:33], v6 offset0:9 offset1:10
	v_mov_b32_e32 v7, s56
	s_and_saveexec_b64 s[2:3], vcc
	s_cbranch_execz .LBB500_81
; %bb.80:
	ds_read_b32 v7, v6
	v_pk_mov_b32 v[38:39], 0, 0
.LBB500_81:
	s_or_b64 exec, exec, s[2:3]
	v_mov_b32_e32 v26, s56
	v_cmp_eq_u32_e32 vcc, v12, v13
	s_waitcnt lgkmcnt(3)
	v_cndmask_b32_e32 v8, v26, v4, vcc
	v_cmp_eq_u32_e32 vcc, v13, v10
	v_cndmask_b32_e32 v6, v26, v5, vcc
	v_cmp_eq_u32_e32 vcc, v10, v11
	;; [unrolled: 2-line block ×3, first 2 shown]
	v_cndmask_b32_e32 v2, v26, v3, vcc
	v_cmp_ne_u32_e32 vcc, v12, v13
	v_cndmask_b32_e64 v9, 0, 1, vcc
	v_cmp_ne_u32_e32 vcc, v13, v10
	s_waitcnt lgkmcnt(0)
	v_or_b32_e32 v38, v38, v7
	v_cndmask_b32_e64 v7, 0, 1, vcc
	v_cmp_ne_u32_e32 vcc, v10, v11
	v_cndmask_b32_e64 v5, 0, 1, vcc
	v_cmp_ne_u32_e32 vcc, v11, v20
	v_cndmask_b32_e64 v3, 0, 1, vcc
	v_cmp_eq_u32_e32 vcc, v20, v21
	v_cndmask_b32_e32 v16, v26, v14, vcc
	v_cmp_eq_u32_e32 vcc, v21, v18
	v_cndmask_b32_e32 v14, v26, v15, vcc
	;; [unrolled: 2-line block ×4, first 2 shown]
	v_cmp_ne_u32_e32 vcc, v20, v21
	v_cndmask_b32_e64 v17, 0, 1, vcc
	v_cmp_ne_u32_e32 vcc, v21, v18
	v_cndmask_b32_e64 v15, 0, 1, vcc
	;; [unrolled: 2-line block ×4, first 2 shown]
	v_cmp_eq_u32_e32 vcc, v31, v27
	v_cndmask_b32_e32 v24, v26, v23, vcc
	v_cmp_eq_u32_e32 vcc, v30, v31
	v_cndmask_b32_e32 v22, v26, v22, vcc
	;; [unrolled: 2-line block ×4, first 2 shown]
	v_cmp_ne_u32_e32 vcc, v31, v27
	v_cndmask_b32_e64 v25, 0, 1, vcc
	v_cmp_ne_u32_e32 vcc, v30, v31
	v_cndmask_b32_e64 v23, 0, 1, vcc
	;; [unrolled: 2-line block ×3, first 2 shown]
	v_cmp_ne_u32_e32 vcc, v28, v29
	v_cmp_ne_u32_e64 s[16:17], v27, v1
	v_cndmask_b32_e64 v19, 0, 1, vcc
	v_cndmask_b32_e64 v42, v34, v26, s[16:17]
	s_mov_b64 s[18:19], -1
                                        ; implicit-def: $sgpr2_sgpr3
.LBB500_82:
	v_pk_mov_b32 v[40:41], s[2:3], s[2:3] op_sel:[0,1]
	s_and_saveexec_b64 s[2:3], s[18:19]
; %bb.83:
	v_cndmask_b32_e64 v43, 0, 1, s[16:17]
	v_pk_mov_b32 v[40:41], v[42:43], v[42:43] op_sel:[0,1]
; %bb.84:
	s_or_b64 exec, exec, s[2:3]
	s_mov_b32 s26, 0
	s_cmp_lg_u32 s6, 0
	v_mbcnt_lo_u32_b32 v1, -1, 0
	s_barrier
	s_cbranch_scc0 .LBB500_163
; %bb.85:
	s_mov_b32 s27, 1
	v_cmp_gt_u64_e64 s[2:3], s[26:27], v[8:9]
	v_cndmask_b32_e64 v26, 1, v38, s[2:3]
	v_mul_lo_u32 v26, v26, v8
	v_cmp_gt_u64_e64 s[4:5], s[26:27], v[6:7]
	v_cndmask_b32_e64 v26, 1, v26, s[4:5]
	v_mul_lo_u32 v26, v26, v6
	;; [unrolled: 3-line block ×12, first 2 shown]
	v_cmp_gt_u64_e32 vcc, s[26:27], v[40:41]
	v_cndmask_b32_e32 v26, 1, v26, vcc
	v_mul_lo_u32 v28, v26, v40
	v_or3_b32 v26, v41, v25, v23
	v_or3_b32 v26, v26, v21, v19
	;; [unrolled: 1-line block ×6, first 2 shown]
	v_and_b32_e32 v27, 1, v26
	v_mov_b32_e32 v26, 0
	v_cmp_eq_u64_e32 vcc, 0, v[26:27]
	v_cndmask_b32_e32 v29, 1, v39, vcc
	v_mbcnt_hi_u32_b32 v35, -1, v1
	v_and_b32_e32 v30, 15, v35
	v_and_b32_e32 v27, 0xff, v29
	v_mov_b32_dpp v32, v28 row_shr:1 row_mask:0xf bank_mask:0xf
	v_cmp_ne_u32_e32 vcc, 0, v30
	v_mov_b32_dpp v31, v27 row_shr:1 row_mask:0xf bank_mask:0xf
	s_and_saveexec_b64 s[26:27], vcc
; %bb.86:
	v_cmp_eq_u16_sdwa vcc, v29, v26 src0_sel:BYTE_0 src1_sel:DWORD
	v_cndmask_b32_e32 v26, 1, v32, vcc
	v_mul_lo_u32 v28, v26, v28
	v_and_b32_e32 v26, 1, v29
	v_and_b32_e32 v27, 1, v31
	v_cmp_eq_u32_e32 vcc, 1, v26
	v_cndmask_b32_e64 v29, v27, 1, vcc
	v_and_b32_e32 v27, 0xffff, v29
; %bb.87:
	s_or_b64 exec, exec, s[26:27]
	v_mov_b32_dpp v31, v28 row_shr:2 row_mask:0xf bank_mask:0xf
	v_mov_b32_dpp v26, v27 row_shr:2 row_mask:0xf bank_mask:0xf
	v_cmp_lt_u32_e32 vcc, 1, v30
	s_and_saveexec_b64 s[26:27], vcc
; %bb.88:
	v_mov_b32_e32 v27, 0
	v_cmp_eq_u16_sdwa vcc, v29, v27 src0_sel:BYTE_0 src1_sel:DWORD
	v_cndmask_b32_e32 v27, 1, v31, vcc
	v_mul_lo_u32 v28, v27, v28
	v_and_b32_e32 v27, 1, v29
	v_and_b32_e32 v26, 1, v26
	v_cmp_eq_u32_e32 vcc, 1, v27
	v_cndmask_b32_e64 v29, v26, 1, vcc
	v_and_b32_e32 v27, 0xffff, v29
; %bb.89:
	s_or_b64 exec, exec, s[26:27]
	v_mov_b32_dpp v31, v28 row_shr:4 row_mask:0xf bank_mask:0xf
	v_mov_b32_dpp v26, v27 row_shr:4 row_mask:0xf bank_mask:0xf
	v_cmp_lt_u32_e32 vcc, 3, v30
	s_and_saveexec_b64 s[26:27], vcc
; %bb.90:
	v_mov_b32_e32 v27, 0
	;; [unrolled: 16-line block ×3, first 2 shown]
	v_cmp_eq_u16_sdwa vcc, v29, v27 src0_sel:BYTE_0 src1_sel:DWORD
	v_cndmask_b32_e32 v27, 1, v31, vcc
	v_mul_lo_u32 v28, v27, v28
	v_and_b32_e32 v27, 1, v29
	v_and_b32_e32 v26, 1, v26
	v_cmp_eq_u32_e32 vcc, 1, v27
	v_cndmask_b32_e64 v29, v26, 1, vcc
	v_and_b32_e32 v27, 0xffff, v29
; %bb.93:
	s_or_b64 exec, exec, s[26:27]
	v_and_b32_e32 v31, 16, v35
	v_mov_b32_dpp v30, v28 row_bcast:15 row_mask:0xf bank_mask:0xf
	v_mov_b32_dpp v26, v27 row_bcast:15 row_mask:0xf bank_mask:0xf
	v_cmp_ne_u32_e32 vcc, 0, v31
	s_and_saveexec_b64 s[26:27], vcc
; %bb.94:
	v_mov_b32_e32 v27, 0
	v_cmp_eq_u16_sdwa vcc, v29, v27 src0_sel:BYTE_0 src1_sel:DWORD
	v_cndmask_b32_e32 v27, 1, v30, vcc
	v_mul_lo_u32 v28, v27, v28
	v_and_b32_e32 v27, 1, v29
	v_and_b32_e32 v26, 1, v26
	v_cmp_eq_u32_e32 vcc, 1, v27
	v_cndmask_b32_e64 v29, v26, 1, vcc
	v_and_b32_e32 v27, 0xffff, v29
; %bb.95:
	s_or_b64 exec, exec, s[26:27]
	v_mov_b32_dpp v30, v28 row_bcast:31 row_mask:0xf bank_mask:0xf
	v_mov_b32_dpp v26, v27 row_bcast:31 row_mask:0xf bank_mask:0xf
	v_cmp_lt_u32_e32 vcc, 31, v35
	s_and_saveexec_b64 s[26:27], vcc
; %bb.96:
	v_mov_b32_e32 v27, 0
	v_cmp_eq_u16_sdwa vcc, v29, v27 src0_sel:BYTE_0 src1_sel:DWORD
	v_cndmask_b32_e32 v27, 1, v30, vcc
	v_mul_lo_u32 v28, v27, v28
	v_and_b32_e32 v27, 1, v29
	v_and_b32_e32 v26, 1, v26
	v_cmp_eq_u32_e32 vcc, 1, v27
	v_cndmask_b32_e64 v29, v26, 1, vcc
; %bb.97:
	s_or_b64 exec, exec, s[26:27]
	v_or_b32_e32 v26, 63, v0
	v_lshrrev_b32_e32 v30, 6, v0
	v_cmp_eq_u32_e32 vcc, v26, v0
	s_and_saveexec_b64 s[26:27], vcc
	s_cbranch_execz .LBB500_99
; %bb.98:
	v_lshlrev_b32_e32 v26, 3, v30
	ds_write_b32 v26, v28
	ds_write_b8 v26, v29 offset:4
.LBB500_99:
	s_or_b64 exec, exec, s[26:27]
	v_cmp_gt_u32_e32 vcc, 4, v0
	s_waitcnt lgkmcnt(0)
	s_barrier
	s_and_saveexec_b64 s[26:27], vcc
	s_cbranch_execz .LBB500_105
; %bb.100:
	v_lshlrev_b32_e32 v31, 3, v0
	ds_read_b64 v[26:27], v31
	v_and_b32_e32 v32, 3, v35
	v_cmp_ne_u32_e32 vcc, 0, v32
	s_waitcnt lgkmcnt(0)
	v_mov_b32_dpp v36, v26 row_shr:1 row_mask:0xf bank_mask:0xf
	v_mov_b32_dpp v34, v27 row_shr:1 row_mask:0xf bank_mask:0xf
	v_mov_b32_e32 v33, v27
	s_and_saveexec_b64 s[30:31], vcc
	s_cbranch_execz .LBB500_102
; %bb.101:
	v_mov_b32_e32 v33, 0
	v_cmp_eq_u16_sdwa vcc, v27, v33 src0_sel:BYTE_0 src1_sel:DWORD
	v_cndmask_b32_e32 v33, 1, v36, vcc
	v_mul_lo_u32 v26, v33, v26
	v_and_b32_e32 v33, 1, v27
	v_and_b32_e32 v34, 1, v34
	v_cmp_eq_u32_e32 vcc, 1, v33
	v_cndmask_b32_e64 v34, v34, 1, vcc
	v_and_b32_e32 v33, 0xffff, v34
	s_movk_i32 s7, 0xff00
	v_and_or_b32 v33, v27, s7, v33
	v_mov_b32_e32 v27, v34
.LBB500_102:
	s_or_b64 exec, exec, s[30:31]
	v_mov_b32_dpp v34, v26 row_shr:2 row_mask:0xf bank_mask:0xf
	v_mov_b32_dpp v33, v33 row_shr:2 row_mask:0xf bank_mask:0xf
	v_cmp_lt_u32_e32 vcc, 1, v32
	s_and_saveexec_b64 s[30:31], vcc
; %bb.103:
	v_mov_b32_e32 v32, 0
	v_cmp_eq_u16_sdwa vcc, v27, v32 src0_sel:BYTE_0 src1_sel:DWORD
	v_cndmask_b32_e32 v32, 1, v34, vcc
	v_and_b32_e32 v27, 1, v27
	v_mul_lo_u32 v26, v32, v26
	v_and_b32_e32 v32, 1, v33
	v_cmp_eq_u32_e32 vcc, 1, v27
	v_cndmask_b32_e64 v27, v32, 1, vcc
; %bb.104:
	s_or_b64 exec, exec, s[30:31]
	ds_write_b32 v31, v26
	ds_write_b8 v31, v27 offset:4
.LBB500_105:
	s_or_b64 exec, exec, s[26:27]
	v_cmp_gt_u32_e32 vcc, 64, v0
	v_cmp_lt_u32_e64 s[26:27], 63, v0
	v_mov_b32_e32 v42, 0
	v_mov_b32_e32 v43, 0
	s_waitcnt lgkmcnt(0)
	s_barrier
	s_and_saveexec_b64 s[30:31], s[26:27]
	s_cbranch_execz .LBB500_107
; %bb.106:
	v_lshl_add_u32 v26, v30, 3, -8
	ds_read_b32 v42, v26
	ds_read_u8 v43, v26 offset:4
	v_mov_b32_e32 v27, 0
	v_and_b32_e32 v30, 1, v29
	v_cmp_eq_u16_sdwa s[26:27], v29, v27 src0_sel:BYTE_0 src1_sel:DWORD
	s_waitcnt lgkmcnt(1)
	v_cndmask_b32_e64 v26, 1, v42, s[26:27]
	v_cmp_eq_u32_e64 s[26:27], 1, v30
	v_mul_lo_u32 v28, v26, v28
	s_waitcnt lgkmcnt(0)
	v_cndmask_b32_e64 v29, v43, 1, s[26:27]
.LBB500_107:
	s_or_b64 exec, exec, s[30:31]
	v_and_b32_e32 v26, 0xff, v29
	v_add_u32_e32 v27, -1, v35
	v_and_b32_e32 v29, 64, v35
	v_cmp_lt_i32_e64 s[26:27], v27, v29
	v_cndmask_b32_e64 v27, v27, v35, s[26:27]
	v_lshlrev_b32_e32 v27, 2, v27
	ds_bpermute_b32 v44, v27, v28
	ds_bpermute_b32 v45, v27, v26
	v_cmp_eq_u32_e64 s[26:27], 0, v35
	s_and_saveexec_b64 s[30:31], vcc
	s_cbranch_execz .LBB500_150
; %bb.108:
	v_mov_b32_e32 v29, 0
	ds_read_b64 v[26:27], v29 offset:24
	s_waitcnt lgkmcnt(0)
	v_readfirstlane_b32 s7, v27
	s_and_saveexec_b64 s[38:39], s[26:27]
	s_cbranch_execz .LBB500_110
; %bb.109:
	s_add_i32 s40, s6, 64
	s_mov_b32 s41, 0
	s_lshl_b64 s[48:49], s[40:41], 4
	s_add_u32 s48, s44, s48
	s_addc_u32 s49, s45, s49
	s_and_b32 s55, s7, 0xff000000
	s_mov_b32 s54, s41
	s_and_b32 s59, s7, 0xff0000
	s_mov_b32 s58, s41
	s_or_b64 s[54:55], s[58:59], s[54:55]
	s_and_b32 s59, s7, 0xff00
	s_or_b64 s[54:55], s[54:55], s[58:59]
	s_and_b32 s59, s7, 0xff
	s_or_b64 s[40:41], s[54:55], s[58:59]
	v_mov_b32_e32 v27, s41
	v_mov_b32_e32 v28, 1
	v_pk_mov_b32 v[30:31], s[48:49], s[48:49] op_sel:[0,1]
	;;#ASMSTART
	global_store_dwordx4 v[30:31], v[26:29] off	
s_waitcnt vmcnt(0)
	;;#ASMEND
.LBB500_110:
	s_or_b64 exec, exec, s[38:39]
	v_xad_u32 v34, v35, -1, s6
	v_add_u32_e32 v28, 64, v34
	v_lshlrev_b64 v[30:31], 4, v[28:29]
	v_mov_b32_e32 v27, s45
	v_add_co_u32_e32 v36, vcc, s44, v30
	v_addc_co_u32_e32 v37, vcc, v27, v31, vcc
	;;#ASMSTART
	global_load_dwordx4 v[30:33], v[36:37] off glc	
s_waitcnt vmcnt(0)
	;;#ASMEND
	v_and_b32_e32 v27, 0xff0000, v30
	v_or_b32_sdwa v27, v30, v27 dst_sel:DWORD dst_unused:UNUSED_PAD src0_sel:WORD_0 src1_sel:DWORD
	v_and_b32_e32 v28, 0xff000000, v30
	v_and_b32_e32 v30, 0xff, v31
	v_or3_b32 v31, 0, 0, v30
	v_or3_b32 v30, v27, v28, 0
	v_cmp_eq_u16_sdwa s[40:41], v32, v29 src0_sel:BYTE_0 src1_sel:DWORD
	s_and_saveexec_b64 s[38:39], s[40:41]
	s_cbranch_execz .LBB500_114
; %bb.111:
	s_mov_b64 s[40:41], 0
	v_mov_b32_e32 v27, 0
.LBB500_112:                            ; =>This Inner Loop Header: Depth=1
	;;#ASMSTART
	global_load_dwordx4 v[30:33], v[36:37] off glc	
s_waitcnt vmcnt(0)
	;;#ASMEND
	v_cmp_ne_u16_sdwa s[48:49], v32, v27 src0_sel:BYTE_0 src1_sel:DWORD
	s_or_b64 s[40:41], s[48:49], s[40:41]
	s_andn2_b64 exec, exec, s[40:41]
	s_cbranch_execnz .LBB500_112
; %bb.113:
	s_or_b64 exec, exec, s[40:41]
	v_and_b32_e32 v31, 0xff, v31
.LBB500_114:
	s_or_b64 exec, exec, s[38:39]
	v_mov_b32_e32 v27, 2
	v_cmp_eq_u16_sdwa s[38:39], v32, v27 src0_sel:BYTE_0 src1_sel:DWORD
	v_lshlrev_b64 v[28:29], v35, -1
	v_and_b32_e32 v27, s39, v29
	v_or_b32_e32 v27, 0x80000000, v27
	v_ffbl_b32_e32 v27, v27
	v_add_u32_e32 v36, 32, v27
	v_and_b32_e32 v27, 63, v35
	v_cmp_ne_u32_e32 vcc, 63, v27
	v_addc_co_u32_e32 v37, vcc, 0, v35, vcc
	v_lshlrev_b32_e32 v46, 2, v37
	ds_bpermute_b32 v47, v46, v30
	ds_bpermute_b32 v37, v46, v31
	v_and_b32_e32 v33, s38, v28
	v_ffbl_b32_e32 v33, v33
	v_min_u32_e32 v33, v33, v36
	s_mov_b32 s40, 0
	v_cmp_lt_u32_e32 vcc, v27, v33
	v_mov_b32_e32 v36, v31
	s_and_saveexec_b64 s[38:39], vcc
	s_cbranch_execz .LBB500_116
; %bb.115:
	s_mov_b32 s41, 1
	v_cmp_gt_u64_e32 vcc, s[40:41], v[30:31]
	s_waitcnt lgkmcnt(1)
	v_cndmask_b32_e32 v36, 1, v47, vcc
	v_and_b32_e32 v31, 1, v31
	v_mul_lo_u32 v30, v36, v30
	s_waitcnt lgkmcnt(0)
	v_and_b32_e32 v36, 1, v37
	v_cmp_eq_u32_e32 vcc, 1, v31
	v_cndmask_b32_e64 v31, v36, 1, vcc
	v_and_b32_e32 v36, 0xffff, v31
.LBB500_116:
	s_or_b64 exec, exec, s[38:39]
	v_cmp_gt_u32_e32 vcc, 62, v27
	s_waitcnt lgkmcnt(0)
	v_cndmask_b32_e64 v37, 0, 1, vcc
	v_lshlrev_b32_e32 v37, 1, v37
	v_add_lshl_u32 v47, v37, v35, 2
	ds_bpermute_b32 v49, v47, v30
	ds_bpermute_b32 v37, v47, v36
	v_add_u32_e32 v48, 2, v27
	v_cmp_le_u32_e32 vcc, v48, v33
	s_and_saveexec_b64 s[38:39], vcc
	s_cbranch_execz .LBB500_118
; %bb.117:
	v_cmp_eq_u16_e32 vcc, 0, v31
	s_waitcnt lgkmcnt(1)
	v_cndmask_b32_e32 v36, 1, v49, vcc
	v_and_b32_e32 v31, 1, v31
	v_mul_lo_u32 v30, v36, v30
	s_waitcnt lgkmcnt(0)
	v_and_b32_e32 v36, 1, v37
	v_cmp_eq_u32_e32 vcc, 1, v31
	v_cndmask_b32_e64 v31, v36, 1, vcc
	v_and_b32_e32 v36, 0xffff, v31
.LBB500_118:
	s_or_b64 exec, exec, s[38:39]
	v_cmp_gt_u32_e32 vcc, 60, v27
	s_waitcnt lgkmcnt(0)
	v_cndmask_b32_e64 v37, 0, 1, vcc
	v_lshlrev_b32_e32 v37, 2, v37
	v_add_lshl_u32 v49, v37, v35, 2
	ds_bpermute_b32 v52, v49, v30
	ds_bpermute_b32 v37, v49, v36
	v_add_u32_e32 v51, 4, v27
	v_cmp_le_u32_e32 vcc, v51, v33
	s_and_saveexec_b64 s[38:39], vcc
	s_cbranch_execz .LBB500_120
; %bb.119:
	v_cmp_eq_u16_e32 vcc, 0, v31
	s_waitcnt lgkmcnt(1)
	v_cndmask_b32_e32 v36, 1, v52, vcc
	v_and_b32_e32 v31, 1, v31
	v_mul_lo_u32 v30, v36, v30
	s_waitcnt lgkmcnt(0)
	v_and_b32_e32 v36, 1, v37
	v_cmp_eq_u32_e32 vcc, 1, v31
	v_cndmask_b32_e64 v31, v36, 1, vcc
	v_and_b32_e32 v36, 0xffff, v31
.LBB500_120:
	;; [unrolled: 24-line block ×4, first 2 shown]
	s_or_b64 exec, exec, s[38:39]
	v_cmp_gt_u32_e32 vcc, 32, v27
	s_waitcnt lgkmcnt(0)
	v_cndmask_b32_e64 v37, 0, 1, vcc
	v_lshlrev_b32_e32 v37, 5, v37
	v_add_lshl_u32 v57, v37, v35, 2
	ds_bpermute_b32 v37, v57, v30
	ds_bpermute_b32 v35, v57, v36
	v_add_u32_e32 v59, 32, v27
	v_cmp_le_u32_e32 vcc, v59, v33
	s_and_saveexec_b64 s[38:39], vcc
	s_cbranch_execz .LBB500_126
; %bb.125:
	v_cmp_eq_u16_e32 vcc, 0, v31
	s_waitcnt lgkmcnt(1)
	v_cndmask_b32_e32 v33, 1, v37, vcc
	v_and_b32_e32 v31, 1, v31
	v_mul_lo_u32 v30, v33, v30
	s_waitcnt lgkmcnt(0)
	v_and_b32_e32 v33, 1, v35
	v_cmp_eq_u32_e32 vcc, 1, v31
	v_cndmask_b32_e64 v31, v33, 1, vcc
.LBB500_126:
	s_or_b64 exec, exec, s[38:39]
	s_mov_b32 s38, 0
	s_mov_b32 s39, 1
	s_waitcnt lgkmcnt(0)
	v_mov_b32_e32 v35, 0
	v_mov_b32_e32 v60, 2
	s_branch .LBB500_128
.LBB500_127:                            ;   in Loop: Header=BB500_128 Depth=1
	s_or_b64 exec, exec, s[40:41]
	v_cmp_eq_u16_sdwa vcc, v56, v35 src0_sel:BYTE_0 src1_sel:DWORD
	v_and_b32_e32 v33, 1, v56
	v_cndmask_b32_e32 v30, 1, v30, vcc
	v_and_b32_e32 v31, 1, v31
	v_cmp_eq_u32_e32 vcc, 1, v33
	v_subrev_u32_e32 v34, 64, v34
	v_mul_lo_u32 v30, v30, v58
	v_cndmask_b32_e64 v31, v31, 1, vcc
.LBB500_128:                            ; =>This Loop Header: Depth=1
                                        ;     Child Loop BB500_131 Depth 2
	v_cmp_ne_u16_sdwa s[40:41], v32, v60 src0_sel:BYTE_0 src1_sel:DWORD
	v_mov_b32_e32 v56, v31
	v_cndmask_b32_e64 v31, 0, 1, s[40:41]
	;;#ASMSTART
	;;#ASMEND
	v_cmp_ne_u32_e32 vcc, 0, v31
	s_cmp_lg_u64 vcc, exec
	v_mov_b32_e32 v58, v30
	s_cbranch_scc1 .LBB500_145
; %bb.129:                              ;   in Loop: Header=BB500_128 Depth=1
	v_lshlrev_b64 v[30:31], 4, v[34:35]
	v_mov_b32_e32 v32, s45
	s_waitcnt lgkmcnt(0)
	v_add_co_u32_e32 v36, vcc, s44, v30
	v_addc_co_u32_e32 v37, vcc, v32, v31, vcc
	;;#ASMSTART
	global_load_dwordx4 v[30:33], v[36:37] off glc	
s_waitcnt vmcnt(0)
	;;#ASMEND
	v_and_b32_e32 v33, 0xff0000, v30
	v_or_b32_sdwa v33, v30, v33 dst_sel:DWORD dst_unused:UNUSED_PAD src0_sel:WORD_0 src1_sel:DWORD
	v_and_b32_e32 v30, 0xff000000, v30
	v_and_b32_e32 v31, 0xff, v31
	v_or3_b32 v31, 0, 0, v31
	v_or3_b32 v30, v33, v30, 0
	v_cmp_eq_u16_sdwa s[48:49], v32, v35 src0_sel:BYTE_0 src1_sel:DWORD
	s_and_saveexec_b64 s[40:41], s[48:49]
	s_cbranch_execz .LBB500_133
; %bb.130:                              ;   in Loop: Header=BB500_128 Depth=1
	s_mov_b64 s[48:49], 0
.LBB500_131:                            ;   Parent Loop BB500_128 Depth=1
                                        ; =>  This Inner Loop Header: Depth=2
	;;#ASMSTART
	global_load_dwordx4 v[30:33], v[36:37] off glc	
s_waitcnt vmcnt(0)
	;;#ASMEND
	v_cmp_ne_u16_sdwa s[54:55], v32, v35 src0_sel:BYTE_0 src1_sel:DWORD
	s_or_b64 s[48:49], s[54:55], s[48:49]
	s_andn2_b64 exec, exec, s[48:49]
	s_cbranch_execnz .LBB500_131
; %bb.132:                              ;   in Loop: Header=BB500_128 Depth=1
	s_or_b64 exec, exec, s[48:49]
	v_and_b32_e32 v31, 0xff, v31
.LBB500_133:                            ;   in Loop: Header=BB500_128 Depth=1
	s_or_b64 exec, exec, s[40:41]
	v_cmp_eq_u16_sdwa s[40:41], v32, v60 src0_sel:BYTE_0 src1_sel:DWORD
	v_and_b32_e32 v33, s41, v29
	v_or_b32_e32 v33, 0x80000000, v33
	ds_bpermute_b32 v61, v46, v30
	ds_bpermute_b32 v37, v46, v31
	v_and_b32_e32 v36, s40, v28
	v_ffbl_b32_e32 v33, v33
	v_add_u32_e32 v33, 32, v33
	v_ffbl_b32_e32 v36, v36
	v_min_u32_e32 v33, v36, v33
	v_cmp_lt_u32_e32 vcc, v27, v33
	v_mov_b32_e32 v36, v31
	s_and_saveexec_b64 s[40:41], vcc
	s_cbranch_execz .LBB500_135
; %bb.134:                              ;   in Loop: Header=BB500_128 Depth=1
	v_cmp_gt_u64_e32 vcc, s[38:39], v[30:31]
	s_waitcnt lgkmcnt(1)
	v_cndmask_b32_e32 v36, 1, v61, vcc
	v_and_b32_e32 v31, 1, v31
	v_mul_lo_u32 v30, v36, v30
	s_waitcnt lgkmcnt(0)
	v_and_b32_e32 v36, 1, v37
	v_cmp_eq_u32_e32 vcc, 1, v31
	v_cndmask_b32_e64 v31, v36, 1, vcc
	v_and_b32_e32 v36, 0xffff, v31
.LBB500_135:                            ;   in Loop: Header=BB500_128 Depth=1
	s_or_b64 exec, exec, s[40:41]
	s_waitcnt lgkmcnt(1)
	ds_bpermute_b32 v61, v47, v30
	s_waitcnt lgkmcnt(1)
	ds_bpermute_b32 v37, v47, v36
	v_cmp_le_u32_e32 vcc, v48, v33
	s_and_saveexec_b64 s[40:41], vcc
	s_cbranch_execz .LBB500_137
; %bb.136:                              ;   in Loop: Header=BB500_128 Depth=1
	v_cmp_eq_u16_e32 vcc, 0, v31
	s_waitcnt lgkmcnt(1)
	v_cndmask_b32_e32 v36, 1, v61, vcc
	v_and_b32_e32 v31, 1, v31
	v_mul_lo_u32 v30, v36, v30
	s_waitcnt lgkmcnt(0)
	v_and_b32_e32 v36, 1, v37
	v_cmp_eq_u32_e32 vcc, 1, v31
	v_cndmask_b32_e64 v31, v36, 1, vcc
	v_and_b32_e32 v36, 0xffff, v31
.LBB500_137:                            ;   in Loop: Header=BB500_128 Depth=1
	s_or_b64 exec, exec, s[40:41]
	s_waitcnt lgkmcnt(1)
	ds_bpermute_b32 v61, v49, v30
	s_waitcnt lgkmcnt(1)
	ds_bpermute_b32 v37, v49, v36
	v_cmp_le_u32_e32 vcc, v51, v33
	s_and_saveexec_b64 s[40:41], vcc
	s_cbranch_execz .LBB500_139
; %bb.138:                              ;   in Loop: Header=BB500_128 Depth=1
	v_cmp_eq_u16_e32 vcc, 0, v31
	s_waitcnt lgkmcnt(1)
	v_cndmask_b32_e32 v36, 1, v61, vcc
	v_and_b32_e32 v31, 1, v31
	v_mul_lo_u32 v30, v36, v30
	s_waitcnt lgkmcnt(0)
	v_and_b32_e32 v36, 1, v37
	v_cmp_eq_u32_e32 vcc, 1, v31
	v_cndmask_b32_e64 v31, v36, 1, vcc
	v_and_b32_e32 v36, 0xffff, v31
.LBB500_139:                            ;   in Loop: Header=BB500_128 Depth=1
	;; [unrolled: 20-line block ×4, first 2 shown]
	s_or_b64 exec, exec, s[40:41]
	s_waitcnt lgkmcnt(0)
	ds_bpermute_b32 v37, v57, v30
	ds_bpermute_b32 v36, v57, v36
	v_cmp_le_u32_e32 vcc, v59, v33
	s_and_saveexec_b64 s[40:41], vcc
	s_cbranch_execz .LBB500_127
; %bb.144:                              ;   in Loop: Header=BB500_128 Depth=1
	v_cmp_eq_u16_e32 vcc, 0, v31
	v_and_b32_e32 v31, 1, v31
	s_waitcnt lgkmcnt(1)
	v_cndmask_b32_e32 v33, 1, v37, vcc
	v_cmp_eq_u32_e32 vcc, 1, v31
	v_mul_lo_u32 v30, v33, v30
	s_waitcnt lgkmcnt(0)
	v_cndmask_b32_e64 v31, v36, 1, vcc
	s_branch .LBB500_127
.LBB500_145:                            ;   in Loop: Header=BB500_128 Depth=1
                                        ; implicit-def: $vgpr31
	s_cbranch_execz .LBB500_128
; %bb.146:
	s_and_saveexec_b64 s[38:39], s[26:27]
	s_cbranch_execz .LBB500_148
; %bb.147:
	s_and_b32 s40, s7, 0xff
	s_cmp_eq_u32 s40, 0
	s_cselect_b64 vcc, -1, 0
	s_bitcmp1_b32 s7, 0
	s_mov_b32 s41, 0
	s_cselect_b64 s[48:49], -1, 0
	s_add_i32 s40, s6, 64
	s_lshl_b64 s[6:7], s[40:41], 4
	v_cndmask_b32_e32 v27, 1, v58, vcc
	s_add_u32 s6, s44, s6
	v_mul_lo_u32 v26, v27, v26
	v_and_b32_e32 v27, 1, v56
	s_addc_u32 s7, s45, s7
	v_cndmask_b32_e64 v27, v27, 1, s[48:49]
	v_mov_b32_e32 v28, 2
	v_mov_b32_e32 v29, 0
	v_pk_mov_b32 v[30:31], s[6:7], s[6:7] op_sel:[0,1]
	;;#ASMSTART
	global_store_dwordx4 v[30:31], v[26:29] off	
s_waitcnt vmcnt(0)
	;;#ASMEND
.LBB500_148:
	s_or_b64 exec, exec, s[38:39]
	v_cmp_eq_u32_e32 vcc, 0, v0
	s_and_b64 exec, exec, vcc
	s_cbranch_execz .LBB500_150
; %bb.149:
	v_mov_b32_e32 v26, 0
	ds_write_b32 v26, v58 offset:24
	ds_write_b8 v26, v56 offset:28
.LBB500_150:
	s_or_b64 exec, exec, s[30:31]
	v_mov_b32_e32 v28, 0
	s_waitcnt lgkmcnt(0)
	s_barrier
	ds_read_b32 v26, v28 offset:24
	v_cndmask_b32_e64 v29, v45, v43, s[26:27]
	v_cmp_eq_u16_sdwa vcc, v29, v28 src0_sel:BYTE_0 src1_sel:DWORD
	v_cndmask_b32_e64 v27, v44, v42, s[26:27]
	s_waitcnt lgkmcnt(0)
	v_cndmask_b32_e32 v29, 1, v26, vcc
	v_mul_lo_u32 v27, v29, v27
	v_cmp_eq_u32_e32 vcc, 0, v0
	v_and_b32_e32 v29, 0xff, v39
	v_cndmask_b32_e32 v26, v27, v26, vcc
	v_cmp_eq_u64_e32 vcc, 0, v[28:29]
	v_cndmask_b32_e32 v27, 1, v26, vcc
	v_mul_lo_u32 v27, v27, v38
	v_cndmask_b32_e64 v28, 1, v27, s[2:3]
	v_mul_lo_u32 v42, v28, v8
	v_cndmask_b32_e64 v28, 1, v42, s[4:5]
	;; [unrolled: 2-line block ×12, first 2 shown]
	v_mul_lo_u32 v49, v28, v24
	s_branch .LBB500_191
.LBB500_151:
	s_or_b64 exec, exec, s[30:31]
                                        ; implicit-def: $vgpr14
	s_and_saveexec_b64 s[30:31], s[2:3]
	s_cbranch_execz .LBB500_33
.LBB500_152:
	v_mov_b32_e32 v15, s47
	v_add_co_u32_e32 v14, vcc, s7, v12
	v_addc_co_u32_e32 v15, vcc, 0, v15, vcc
	flat_load_dword v14, v[14:15] offset:1024
	s_or_b64 exec, exec, s[30:31]
                                        ; implicit-def: $vgpr15
	s_and_saveexec_b64 s[2:3], s[4:5]
	s_cbranch_execnz .LBB500_34
.LBB500_153:
	s_or_b64 exec, exec, s[2:3]
                                        ; implicit-def: $vgpr16
	s_and_saveexec_b64 s[2:3], s[28:29]
	s_cbranch_execz .LBB500_35
.LBB500_154:
	v_mov_b32_e32 v17, s47
	v_add_co_u32_e32 v16, vcc, s7, v12
	v_addc_co_u32_e32 v17, vcc, 0, v17, vcc
	flat_load_dword v16, v[16:17] offset:3072
	s_or_b64 exec, exec, s[2:3]
                                        ; implicit-def: $vgpr17
	s_and_saveexec_b64 s[2:3], s[8:9]
	s_cbranch_execnz .LBB500_36
.LBB500_155:
	s_or_b64 exec, exec, s[2:3]
                                        ; implicit-def: $vgpr2
	s_and_saveexec_b64 s[2:3], s[10:11]
	s_cbranch_execz .LBB500_37
.LBB500_156:
	v_mov_b32_e32 v18, s47
	v_add_co_u32_e32 v2, vcc, s7, v3
	v_addc_co_u32_e32 v3, vcc, 0, v18, vcc
	flat_load_dword v2, v[2:3]
	s_or_b64 exec, exec, s[2:3]
                                        ; implicit-def: $vgpr3
	s_and_saveexec_b64 s[2:3], s[12:13]
	s_cbranch_execnz .LBB500_38
.LBB500_157:
	s_or_b64 exec, exec, s[2:3]
                                        ; implicit-def: $vgpr4
	s_and_saveexec_b64 s[2:3], s[14:15]
	s_cbranch_execz .LBB500_39
.LBB500_158:
	v_mov_b32_e32 v18, s47
	v_add_co_u32_e32 v4, vcc, s7, v5
	v_addc_co_u32_e32 v5, vcc, 0, v18, vcc
	flat_load_dword v4, v[4:5]
	s_or_b64 exec, exec, s[2:3]
                                        ; implicit-def: $vgpr5
	s_and_saveexec_b64 s[2:3], s[16:17]
	s_cbranch_execnz .LBB500_40
.LBB500_159:
	s_or_b64 exec, exec, s[2:3]
                                        ; implicit-def: $vgpr6
	s_and_saveexec_b64 s[2:3], s[18:19]
	s_cbranch_execz .LBB500_41
.LBB500_160:
	v_mov_b32_e32 v18, s47
	v_add_co_u32_e32 v6, vcc, s7, v7
	v_addc_co_u32_e32 v7, vcc, 0, v18, vcc
	flat_load_dword v6, v[6:7]
	s_or_b64 exec, exec, s[2:3]
                                        ; implicit-def: $vgpr7
	s_and_saveexec_b64 s[2:3], s[20:21]
	s_cbranch_execnz .LBB500_42
.LBB500_161:
	s_or_b64 exec, exec, s[2:3]
                                        ; implicit-def: $vgpr8
	s_and_saveexec_b64 s[2:3], s[22:23]
	s_cbranch_execz .LBB500_43
.LBB500_162:
	v_mov_b32_e32 v18, s47
	v_add_co_u32_e32 v8, vcc, s7, v9
	v_addc_co_u32_e32 v9, vcc, 0, v18, vcc
	flat_load_dword v8, v[8:9]
	s_or_b64 exec, exec, s[2:3]
                                        ; implicit-def: $vgpr9
	s_and_saveexec_b64 s[2:3], s[24:25]
	s_cbranch_execz .LBB500_45
	s_branch .LBB500_44
.LBB500_163:
                                        ; implicit-def: $vgpr49
                                        ; implicit-def: $vgpr47
                                        ; implicit-def: $vgpr45
                                        ; implicit-def: $vgpr43
                                        ; implicit-def: $vgpr34_vgpr35_vgpr36_vgpr37
                                        ; implicit-def: $vgpr30_vgpr31_vgpr32_vgpr33
                                        ; implicit-def: $vgpr26_vgpr27_vgpr28_vgpr29
	s_cbranch_execz .LBB500_191
; %bb.164:
	s_cmp_lg_u64 s[52:53], 0
	s_cselect_b32 s3, s51, 0
	s_cselect_b32 s2, s50, 0
	s_mov_b32 s24, 0
	s_cmp_eq_u64 s[2:3], 0
	v_mov_b32_e32 v32, s56
	s_cbranch_scc1 .LBB500_166
; %bb.165:
	v_mov_b32_e32 v26, 0
	global_load_dword v32, v26, s[2:3]
.LBB500_166:
	s_mov_b32 s25, 1
	v_cmp_gt_u64_e32 vcc, s[24:25], v[8:9]
	v_cndmask_b32_e32 v26, 1, v38, vcc
	v_mul_lo_u32 v26, v26, v8
	v_cmp_gt_u64_e64 s[2:3], s[24:25], v[6:7]
	v_cndmask_b32_e64 v26, 1, v26, s[2:3]
	v_mul_lo_u32 v26, v26, v6
	v_cmp_gt_u64_e64 s[4:5], s[24:25], v[4:5]
	v_cndmask_b32_e64 v26, 1, v26, s[4:5]
	;; [unrolled: 3-line block ×12, first 2 shown]
	v_mul_lo_u32 v29, v26, v40
	v_and_b32_e32 v26, 1, v41
	v_cmp_eq_u32_e64 s[24:25], 1, v26
	v_or3_b32 v7, v23, v15, v7
	v_mov_b32_e32 v26, 0
	v_or3_b32 v9, v25, v17, v9
	v_and_b32_e32 v37, 1, v7
	v_mov_b32_e32 v36, v26
	v_or3_b32 v3, v19, v11, v3
	v_and_b32_e32 v35, 1, v9
	v_mov_b32_e32 v34, v26
	v_cmp_ne_u64_e64 s[26:27], 0, v[36:37]
	v_or3_b32 v5, v21, v13, v5
	v_and_b32_e32 v27, 1, v3
	v_cndmask_b32_e64 v3, 0, 1, s[26:27]
	v_cmp_ne_u64_e64 s[26:27], 0, v[34:35]
	v_and_b32_e32 v31, 1, v5
	v_mov_b32_e32 v30, v26
	v_cndmask_b32_e64 v5, 0, 1, s[26:27]
	v_lshlrev_b16_e32 v3, 2, v3
	v_lshlrev_b16_e32 v5, 3, v5
	v_cmp_ne_u64_e64 s[26:27], 0, v[30:31]
	v_or_b32_e32 v3, v5, v3
	v_cndmask_b32_e64 v5, 0, 1, s[26:27]
	v_cmp_ne_u64_e64 s[26:27], 0, v[26:27]
	v_lshlrev_b16_e32 v5, 1, v5
	v_cndmask_b32_e64 v7, 0, 1, s[26:27]
	v_or_b32_e32 v5, v7, v5
	v_and_b32_e32 v5, 3, v5
	v_or_b32_e32 v3, v5, v3
	v_and_b32_e32 v3, 15, v3
	v_cmp_ne_u16_e64 s[26:27], 0, v3
	s_or_b64 s[24:25], s[24:25], s[26:27]
	v_cndmask_b32_e64 v3, v39, 1, s[24:25]
	v_mbcnt_hi_u32_b32 v1, -1, v1
	v_and_b32_e32 v7, 15, v1
	v_and_b32_e32 v5, 0xff, v3
	v_mov_b32_dpp v11, v29 row_shr:1 row_mask:0xf bank_mask:0xf
	v_cmp_ne_u32_e64 s[24:25], 0, v7
	v_mov_b32_dpp v9, v5 row_shr:1 row_mask:0xf bank_mask:0xf
	s_and_saveexec_b64 s[26:27], s[24:25]
; %bb.167:
	v_cmp_eq_u16_sdwa s[24:25], v3, v26 src0_sel:BYTE_0 src1_sel:DWORD
	v_cndmask_b32_e64 v5, 1, v11, s[24:25]
	v_and_b32_e32 v3, 1, v3
	v_mul_lo_u32 v29, v5, v29
	v_and_b32_e32 v5, 1, v9
	v_cmp_eq_u32_e64 s[24:25], 1, v3
	v_cndmask_b32_e64 v3, v5, 1, s[24:25]
	v_and_b32_e32 v5, 0xffff, v3
; %bb.168:
	s_or_b64 exec, exec, s[26:27]
	v_mov_b32_dpp v11, v29 row_shr:2 row_mask:0xf bank_mask:0xf
	v_mov_b32_dpp v9, v5 row_shr:2 row_mask:0xf bank_mask:0xf
	v_cmp_lt_u32_e64 s[24:25], 1, v7
	s_and_saveexec_b64 s[26:27], s[24:25]
; %bb.169:
	v_mov_b32_e32 v5, 0
	v_cmp_eq_u16_sdwa s[24:25], v3, v5 src0_sel:BYTE_0 src1_sel:DWORD
	v_cndmask_b32_e64 v5, 1, v11, s[24:25]
	v_and_b32_e32 v3, 1, v3
	v_mul_lo_u32 v29, v5, v29
	v_and_b32_e32 v5, 1, v9
	v_cmp_eq_u32_e64 s[24:25], 1, v3
	v_cndmask_b32_e64 v3, v5, 1, s[24:25]
	v_and_b32_e32 v5, 0xffff, v3
; %bb.170:
	s_or_b64 exec, exec, s[26:27]
	v_mov_b32_dpp v11, v29 row_shr:4 row_mask:0xf bank_mask:0xf
	v_mov_b32_dpp v9, v5 row_shr:4 row_mask:0xf bank_mask:0xf
	v_cmp_lt_u32_e64 s[24:25], 3, v7
	s_and_saveexec_b64 s[26:27], s[24:25]
; %bb.171:
	v_mov_b32_e32 v5, 0
	v_cmp_eq_u16_sdwa s[24:25], v3, v5 src0_sel:BYTE_0 src1_sel:DWORD
	v_cndmask_b32_e64 v5, 1, v11, s[24:25]
	v_and_b32_e32 v3, 1, v3
	v_mul_lo_u32 v29, v5, v29
	v_and_b32_e32 v5, 1, v9
	v_cmp_eq_u32_e64 s[24:25], 1, v3
	v_cndmask_b32_e64 v3, v5, 1, s[24:25]
	v_and_b32_e32 v5, 0xffff, v3
; %bb.172:
	s_or_b64 exec, exec, s[26:27]
	v_mov_b32_dpp v11, v29 row_shr:8 row_mask:0xf bank_mask:0xf
	v_mov_b32_dpp v9, v5 row_shr:8 row_mask:0xf bank_mask:0xf
	v_cmp_lt_u32_e64 s[24:25], 7, v7
	s_and_saveexec_b64 s[26:27], s[24:25]
; %bb.173:
	v_mov_b32_e32 v5, 0
	v_cmp_eq_u16_sdwa s[24:25], v3, v5 src0_sel:BYTE_0 src1_sel:DWORD
	v_cndmask_b32_e64 v5, 1, v11, s[24:25]
	v_and_b32_e32 v3, 1, v3
	v_mul_lo_u32 v29, v5, v29
	v_and_b32_e32 v5, 1, v9
	v_cmp_eq_u32_e64 s[24:25], 1, v3
	v_cndmask_b32_e64 v3, v5, 1, s[24:25]
	v_and_b32_e32 v5, 0xffff, v3
; %bb.174:
	s_or_b64 exec, exec, s[26:27]
	v_and_b32_e32 v11, 16, v1
	v_mov_b32_dpp v9, v29 row_bcast:15 row_mask:0xf bank_mask:0xf
	v_mov_b32_dpp v7, v5 row_bcast:15 row_mask:0xf bank_mask:0xf
	v_cmp_ne_u32_e64 s[24:25], 0, v11
	s_and_saveexec_b64 s[26:27], s[24:25]
; %bb.175:
	v_mov_b32_e32 v5, 0
	v_cmp_eq_u16_sdwa s[24:25], v3, v5 src0_sel:BYTE_0 src1_sel:DWORD
	v_cndmask_b32_e64 v5, 1, v9, s[24:25]
	v_and_b32_e32 v3, 1, v3
	v_mul_lo_u32 v29, v5, v29
	v_and_b32_e32 v5, 1, v7
	v_cmp_eq_u32_e64 s[24:25], 1, v3
	v_cndmask_b32_e64 v3, v5, 1, s[24:25]
	v_and_b32_e32 v5, 0xffff, v3
; %bb.176:
	s_or_b64 exec, exec, s[26:27]
	v_mov_b32_dpp v7, v29 row_bcast:31 row_mask:0xf bank_mask:0xf
	v_mov_b32_dpp v5, v5 row_bcast:31 row_mask:0xf bank_mask:0xf
	v_cmp_lt_u32_e64 s[24:25], 31, v1
	s_and_saveexec_b64 s[26:27], s[24:25]
; %bb.177:
	v_mov_b32_e32 v9, 0
	v_cmp_eq_u16_sdwa s[24:25], v3, v9 src0_sel:BYTE_0 src1_sel:DWORD
	v_and_b32_e32 v3, 1, v3
	v_cndmask_b32_e64 v7, 1, v7, s[24:25]
	v_and_b32_e32 v5, 1, v5
	v_cmp_eq_u32_e64 s[24:25], 1, v3
	v_mul_lo_u32 v29, v7, v29
	v_cndmask_b32_e64 v3, v5, 1, s[24:25]
; %bb.178:
	s_or_b64 exec, exec, s[26:27]
	v_or_b32_e32 v7, 63, v0
	v_lshrrev_b32_e32 v5, 6, v0
	v_cmp_eq_u32_e64 s[24:25], v7, v0
	s_and_saveexec_b64 s[26:27], s[24:25]
	s_cbranch_execz .LBB500_180
; %bb.179:
	v_lshlrev_b32_e32 v7, 3, v5
	ds_write_b32 v7, v29
	ds_write_b8 v7, v3 offset:4
.LBB500_180:
	s_or_b64 exec, exec, s[26:27]
	v_cmp_gt_u32_e64 s[24:25], 4, v0
	s_waitcnt lgkmcnt(0)
	s_barrier
	s_and_saveexec_b64 s[26:27], s[24:25]
	s_cbranch_execz .LBB500_186
; %bb.181:
	v_lshlrev_b32_e32 v7, 3, v0
	ds_read_b64 v[26:27], v7
	v_and_b32_e32 v9, 3, v1
	v_cmp_ne_u32_e64 s[24:25], 0, v9
	s_waitcnt lgkmcnt(0)
	v_mov_b32_dpp v15, v26 row_shr:1 row_mask:0xf bank_mask:0xf
	v_mov_b32_dpp v13, v27 row_shr:1 row_mask:0xf bank_mask:0xf
	v_mov_b32_e32 v11, v27
	s_and_saveexec_b64 s[28:29], s[24:25]
	s_cbranch_execz .LBB500_183
; %bb.182:
	v_mov_b32_e32 v11, 0
	v_cmp_eq_u16_sdwa s[24:25], v27, v11 src0_sel:BYTE_0 src1_sel:DWORD
	v_cndmask_b32_e64 v11, 1, v15, s[24:25]
	v_mul_lo_u32 v26, v11, v26
	v_and_b32_e32 v11, 1, v27
	v_and_b32_e32 v13, 1, v13
	v_cmp_eq_u32_e64 s[24:25], 1, v11
	v_cndmask_b32_e64 v13, v13, 1, s[24:25]
	v_and_b32_e32 v11, 0xffff, v13
	s_movk_i32 s24, 0xff00
	v_and_or_b32 v11, v27, s24, v11
	v_mov_b32_e32 v27, v13
.LBB500_183:
	s_or_b64 exec, exec, s[28:29]
	v_mov_b32_dpp v13, v26 row_shr:2 row_mask:0xf bank_mask:0xf
	v_mov_b32_dpp v11, v11 row_shr:2 row_mask:0xf bank_mask:0xf
	v_cmp_lt_u32_e64 s[24:25], 1, v9
	s_and_saveexec_b64 s[28:29], s[24:25]
; %bb.184:
	v_mov_b32_e32 v9, 0
	v_cmp_eq_u16_sdwa s[24:25], v27, v9 src0_sel:BYTE_0 src1_sel:DWORD
	v_cndmask_b32_e64 v9, 1, v13, s[24:25]
	v_mul_lo_u32 v26, v9, v26
	v_and_b32_e32 v9, 1, v27
	v_and_b32_e32 v11, 1, v11
	v_cmp_eq_u32_e64 s[24:25], 1, v9
	v_cndmask_b32_e64 v27, v11, 1, s[24:25]
; %bb.185:
	s_or_b64 exec, exec, s[28:29]
	ds_write_b32 v7, v26
	ds_write_b8 v7, v27 offset:4
.LBB500_186:
	s_or_b64 exec, exec, s[26:27]
	v_cmp_lt_u32_e64 s[24:25], 63, v0
	s_waitcnt vmcnt(0)
	v_mov_b32_e32 v7, v32
	s_waitcnt lgkmcnt(0)
	s_barrier
	s_and_saveexec_b64 s[26:27], s[24:25]
	s_cbranch_execz .LBB500_188
; %bb.187:
	v_lshl_add_u32 v5, v5, 3, -8
	ds_read_u8 v7, v5 offset:4
	ds_read_b32 v5, v5
	s_waitcnt lgkmcnt(1)
	v_cmp_eq_u16_e64 s[24:25], 0, v7
	v_cndmask_b32_e64 v7, 1, v32, s[24:25]
	s_waitcnt lgkmcnt(0)
	v_mul_lo_u32 v7, v7, v5
.LBB500_188:
	s_or_b64 exec, exec, s[26:27]
	v_mov_b32_e32 v28, 0
	v_cmp_eq_u16_sdwa s[24:25], v3, v28 src0_sel:BYTE_0 src1_sel:DWORD
	v_add_u32_e32 v5, -1, v1
	v_and_b32_e32 v9, 64, v1
	v_cndmask_b32_e64 v3, 1, v7, s[24:25]
	v_cmp_lt_i32_e64 s[24:25], v5, v9
	v_cndmask_b32_e64 v5, v5, v1, s[24:25]
	v_mul_lo_u32 v3, v3, v29
	v_lshlrev_b32_e32 v5, 2, v5
	ds_bpermute_b32 v3, v5, v3
	v_cmp_eq_u32_e64 s[24:25], 0, v1
	v_and_b32_e32 v29, 0xff, v39
	v_cmp_eq_u64_e64 s[26:27], 0, v[28:29]
	s_waitcnt lgkmcnt(0)
	v_cndmask_b32_e64 v26, v3, v7, s[24:25]
	v_cmp_eq_u32_e64 s[24:25], 0, v0
	v_cndmask_b32_e64 v1, v26, v32, s[24:25]
	v_cndmask_b32_e64 v1, 1, v1, s[26:27]
	v_mul_lo_u32 v27, v1, v38
	v_cndmask_b32_e32 v1, 1, v27, vcc
	v_mul_lo_u32 v42, v1, v8
	v_cndmask_b32_e64 v1, 1, v42, s[2:3]
	v_mul_lo_u32 v43, v1, v6
	v_cndmask_b32_e64 v1, 1, v43, s[4:5]
	;; [unrolled: 2-line block ×11, first 2 shown]
	s_and_saveexec_b64 s[2:3], s[24:25]
	s_cbranch_execz .LBB500_190
; %bb.189:
	ds_read_u8 v3, v28 offset:28
	ds_read_b32 v2, v28 offset:24
	s_add_u32 s4, s44, 0x400
	s_addc_u32 s5, s45, 0
	v_mov_b32_e32 v5, v28
	s_waitcnt lgkmcnt(1)
	v_cmp_eq_u16_e32 vcc, 0, v3
	v_cndmask_b32_e32 v4, 1, v32, vcc
	s_waitcnt lgkmcnt(0)
	v_mul_lo_u32 v2, v4, v2
	v_and_b32_e32 v3, 0xffff, v3
	v_mov_b32_e32 v4, 2
	v_pk_mov_b32 v[6:7], s[4:5], s[4:5] op_sel:[0,1]
	;;#ASMSTART
	global_store_dwordx4 v[6:7], v[2:5] off	
s_waitcnt vmcnt(0)
	;;#ASMEND
	v_mov_b32_e32 v26, v32
.LBB500_190:
	s_or_b64 exec, exec, s[2:3]
	v_mul_lo_u32 v49, v1, v24
.LBB500_191:
	s_add_u32 s2, s42, s34
	s_addc_u32 s3, s43, s35
	s_add_u32 s4, s2, s36
	v_mul_u32_u24_e32 v1, 14, v0
	s_addc_u32 s5, s3, s37
	s_and_b64 vcc, exec, s[0:1]
	v_lshlrev_b32_e32 v2, 2, v1
	s_cbranch_vccz .LBB500_219
; %bb.192:
	s_movk_i32 s0, 0xffcc
	v_mad_i32_i24 v3, v0, s0, v2
	s_barrier
	ds_write2_b64 v2, v[26:27], v[42:43] offset1:1
	ds_write2_b64 v2, v[30:31], v[44:45] offset0:2 offset1:3
	ds_write2_b64 v2, v[34:35], v[46:47] offset0:4 offset1:5
	ds_write_b64 v2, v[48:49] offset:48
	s_waitcnt lgkmcnt(0)
	s_barrier
	ds_read2st64_b32 v[16:17], v3 offset0:4 offset1:8
	ds_read2st64_b32 v[14:15], v3 offset0:12 offset1:16
	;; [unrolled: 1-line block ×6, first 2 shown]
	ds_read_b32 v3, v3 offset:13312
	v_mov_b32_e32 v7, s5
	v_add_co_u32_e32 v6, vcc, s4, v50
	s_add_i32 s33, s33, s46
	v_addc_co_u32_e32 v7, vcc, 0, v7, vcc
	v_mov_b32_e32 v1, 0
	v_cmp_gt_u32_e32 vcc, s33, v0
	s_and_saveexec_b64 s[0:1], vcc
	s_cbranch_execz .LBB500_194
; %bb.193:
	v_mul_i32_i24_e32 v18, 0xffffffcc, v0
	v_add_u32_e32 v18, v2, v18
	ds_read_b32 v18, v18
	s_waitcnt lgkmcnt(0)
	flat_store_dword v[6:7], v18
.LBB500_194:
	s_or_b64 exec, exec, s[0:1]
	v_or_b32_e32 v18, 0x100, v0
	v_cmp_gt_u32_e32 vcc, s33, v18
	s_and_saveexec_b64 s[0:1], vcc
	s_cbranch_execz .LBB500_196
; %bb.195:
	s_waitcnt lgkmcnt(0)
	flat_store_dword v[6:7], v16 offset:1024
.LBB500_196:
	s_or_b64 exec, exec, s[0:1]
	s_waitcnt lgkmcnt(0)
	v_or_b32_e32 v16, 0x200, v0
	v_cmp_gt_u32_e32 vcc, s33, v16
	s_and_saveexec_b64 s[0:1], vcc
	s_cbranch_execz .LBB500_198
; %bb.197:
	flat_store_dword v[6:7], v17 offset:2048
.LBB500_198:
	s_or_b64 exec, exec, s[0:1]
	v_or_b32_e32 v16, 0x300, v0
	v_cmp_gt_u32_e32 vcc, s33, v16
	s_and_saveexec_b64 s[0:1], vcc
	s_cbranch_execz .LBB500_200
; %bb.199:
	flat_store_dword v[6:7], v14 offset:3072
.LBB500_200:
	s_or_b64 exec, exec, s[0:1]
	v_or_b32_e32 v14, 0x400, v0
	v_cmp_gt_u32_e32 vcc, s33, v14
	s_and_saveexec_b64 s[0:1], vcc
	s_cbranch_execz .LBB500_202
; %bb.201:
	v_add_co_u32_e32 v16, vcc, 0x1000, v6
	v_addc_co_u32_e32 v17, vcc, 0, v7, vcc
	flat_store_dword v[16:17], v15
.LBB500_202:
	s_or_b64 exec, exec, s[0:1]
	v_or_b32_e32 v14, 0x500, v0
	v_cmp_gt_u32_e32 vcc, s33, v14
	s_and_saveexec_b64 s[0:1], vcc
	s_cbranch_execz .LBB500_204
; %bb.203:
	v_add_co_u32_e32 v14, vcc, 0x1000, v6
	v_addc_co_u32_e32 v15, vcc, 0, v7, vcc
	flat_store_dword v[14:15], v12 offset:1024
.LBB500_204:
	s_or_b64 exec, exec, s[0:1]
	v_or_b32_e32 v12, 0x600, v0
	v_cmp_gt_u32_e32 vcc, s33, v12
	s_and_saveexec_b64 s[0:1], vcc
	s_cbranch_execz .LBB500_206
; %bb.205:
	v_add_co_u32_e32 v14, vcc, 0x1000, v6
	v_addc_co_u32_e32 v15, vcc, 0, v7, vcc
	flat_store_dword v[14:15], v13 offset:2048
.LBB500_206:
	;; [unrolled: 10-line block ×3, first 2 shown]
	s_or_b64 exec, exec, s[0:1]
	v_or_b32_e32 v10, 0x800, v0
	v_cmp_gt_u32_e32 vcc, s33, v10
	s_and_saveexec_b64 s[0:1], vcc
	s_cbranch_execz .LBB500_210
; %bb.209:
	v_add_co_u32_e32 v12, vcc, 0x2000, v6
	v_addc_co_u32_e32 v13, vcc, 0, v7, vcc
	flat_store_dword v[12:13], v11
.LBB500_210:
	s_or_b64 exec, exec, s[0:1]
	v_or_b32_e32 v10, 0x900, v0
	v_cmp_gt_u32_e32 vcc, s33, v10
	s_and_saveexec_b64 s[0:1], vcc
	s_cbranch_execz .LBB500_212
; %bb.211:
	v_add_co_u32_e32 v10, vcc, 0x2000, v6
	v_addc_co_u32_e32 v11, vcc, 0, v7, vcc
	flat_store_dword v[10:11], v8 offset:1024
.LBB500_212:
	s_or_b64 exec, exec, s[0:1]
	v_or_b32_e32 v8, 0xa00, v0
	v_cmp_gt_u32_e32 vcc, s33, v8
	s_and_saveexec_b64 s[0:1], vcc
	s_cbranch_execz .LBB500_214
; %bb.213:
	v_add_co_u32_e32 v10, vcc, 0x2000, v6
	v_addc_co_u32_e32 v11, vcc, 0, v7, vcc
	flat_store_dword v[10:11], v9 offset:2048
.LBB500_214:
	;; [unrolled: 10-line block ×3, first 2 shown]
	s_or_b64 exec, exec, s[0:1]
	v_or_b32_e32 v4, 0xc00, v0
	v_cmp_gt_u32_e32 vcc, s33, v4
	s_and_saveexec_b64 s[0:1], vcc
	s_cbranch_execz .LBB500_218
; %bb.217:
	v_add_co_u32_e32 v6, vcc, 0x3000, v6
	v_addc_co_u32_e32 v7, vcc, 0, v7, vcc
	flat_store_dword v[6:7], v5
.LBB500_218:
	s_or_b64 exec, exec, s[0:1]
	v_or_b32_e32 v4, 0xd00, v0
	v_cmp_gt_u32_e64 s[0:1], s33, v4
	s_branch .LBB500_221
.LBB500_219:
	s_mov_b64 s[0:1], 0
                                        ; implicit-def: $vgpr3
	s_cbranch_execz .LBB500_221
; %bb.220:
	s_movk_i32 s2, 0xffcc
	s_waitcnt lgkmcnt(0)
	s_barrier
	ds_write2_b64 v2, v[26:27], v[42:43] offset1:1
	ds_write2_b64 v2, v[30:31], v[44:45] offset0:2 offset1:3
	ds_write2_b64 v2, v[34:35], v[46:47] offset0:4 offset1:5
	ds_write_b64 v2, v[48:49] offset:48
	v_mad_i32_i24 v2, v0, s2, v2
	v_mov_b32_e32 v17, s5
	v_add_co_u32_e32 v16, vcc, s4, v50
	s_waitcnt lgkmcnt(0)
	s_barrier
	ds_read2st64_b32 v[4:5], v2 offset1:4
	ds_read2st64_b32 v[6:7], v2 offset0:8 offset1:12
	ds_read2st64_b32 v[8:9], v2 offset0:16 offset1:20
	;; [unrolled: 1-line block ×6, first 2 shown]
	v_addc_co_u32_e32 v17, vcc, 0, v17, vcc
	s_movk_i32 s2, 0x1000
	s_waitcnt lgkmcnt(0)
	flat_store_dword v[16:17], v4
	flat_store_dword v[16:17], v5 offset:1024
	flat_store_dword v[16:17], v6 offset:2048
	;; [unrolled: 1-line block ×3, first 2 shown]
	v_add_co_u32_e32 v4, vcc, s2, v16
	v_addc_co_u32_e32 v5, vcc, 0, v17, vcc
	flat_store_dword v[4:5], v8
	flat_store_dword v[4:5], v9 offset:1024
	flat_store_dword v[4:5], v10 offset:2048
	;; [unrolled: 1-line block ×3, first 2 shown]
	v_add_co_u32_e32 v4, vcc, 0x2000, v16
	v_addc_co_u32_e32 v5, vcc, 0, v17, vcc
	flat_store_dword v[4:5], v12
	flat_store_dword v[4:5], v13 offset:1024
	flat_store_dword v[4:5], v14 offset:2048
	flat_store_dword v[4:5], v15 offset:3072
	v_add_co_u32_e32 v4, vcc, 0x3000, v16
	v_mov_b32_e32 v1, 0
	v_addc_co_u32_e32 v5, vcc, 0, v17, vcc
	s_or_b64 s[0:1], s[0:1], exec
	flat_store_dword v[4:5], v2
.LBB500_221:
	s_and_saveexec_b64 s[2:3], s[0:1]
	s_cbranch_execz .LBB500_223
; %bb.222:
	v_lshlrev_b64 v[0:1], 2, v[0:1]
	v_mov_b32_e32 v2, s5
	v_add_co_u32_e32 v0, vcc, s4, v0
	v_addc_co_u32_e32 v1, vcc, v2, v1, vcc
	v_add_co_u32_e32 v0, vcc, 0x3000, v0
	v_addc_co_u32_e32 v1, vcc, 0, v1, vcc
	flat_store_dword v[0:1], v3 offset:1024
	s_endpgm
.LBB500_223:
	s_endpgm
	.section	.rodata,"a",@progbits
	.p2align	6, 0x0
	.amdhsa_kernel _ZN7rocprim17ROCPRIM_400000_NS6detail17trampoline_kernelINS0_14default_configENS1_27scan_by_key_config_selectorIiiEEZZNS1_16scan_by_key_implILNS1_25lookback_scan_determinismE0ELb1ES3_N6thrust23THRUST_200600_302600_NS6detail15normal_iteratorINS9_10device_ptrIiEEEESE_SE_iNS9_10multipliesIiEENS9_8equal_toIiEEiEE10hipError_tPvRmT2_T3_T4_T5_mT6_T7_P12ihipStream_tbENKUlT_T0_E_clISt17integral_constantIbLb0EESZ_EEDaSU_SV_EUlSU_E_NS1_11comp_targetILNS1_3genE4ELNS1_11target_archE910ELNS1_3gpuE8ELNS1_3repE0EEENS1_30default_config_static_selectorELNS0_4arch9wavefront6targetE1EEEvT1_
		.amdhsa_group_segment_fixed_size 16384
		.amdhsa_private_segment_fixed_size 0
		.amdhsa_kernarg_size 112
		.amdhsa_user_sgpr_count 6
		.amdhsa_user_sgpr_private_segment_buffer 1
		.amdhsa_user_sgpr_dispatch_ptr 0
		.amdhsa_user_sgpr_queue_ptr 0
		.amdhsa_user_sgpr_kernarg_segment_ptr 1
		.amdhsa_user_sgpr_dispatch_id 0
		.amdhsa_user_sgpr_flat_scratch_init 0
		.amdhsa_user_sgpr_kernarg_preload_length 0
		.amdhsa_user_sgpr_kernarg_preload_offset 0
		.amdhsa_user_sgpr_private_segment_size 0
		.amdhsa_uses_dynamic_stack 0
		.amdhsa_system_sgpr_private_segment_wavefront_offset 0
		.amdhsa_system_sgpr_workgroup_id_x 1
		.amdhsa_system_sgpr_workgroup_id_y 0
		.amdhsa_system_sgpr_workgroup_id_z 0
		.amdhsa_system_sgpr_workgroup_info 0
		.amdhsa_system_vgpr_workitem_id 0
		.amdhsa_next_free_vgpr 62
		.amdhsa_next_free_sgpr 60
		.amdhsa_accum_offset 64
		.amdhsa_reserve_vcc 1
		.amdhsa_reserve_flat_scratch 0
		.amdhsa_float_round_mode_32 0
		.amdhsa_float_round_mode_16_64 0
		.amdhsa_float_denorm_mode_32 3
		.amdhsa_float_denorm_mode_16_64 3
		.amdhsa_dx10_clamp 1
		.amdhsa_ieee_mode 1
		.amdhsa_fp16_overflow 0
		.amdhsa_tg_split 0
		.amdhsa_exception_fp_ieee_invalid_op 0
		.amdhsa_exception_fp_denorm_src 0
		.amdhsa_exception_fp_ieee_div_zero 0
		.amdhsa_exception_fp_ieee_overflow 0
		.amdhsa_exception_fp_ieee_underflow 0
		.amdhsa_exception_fp_ieee_inexact 0
		.amdhsa_exception_int_div_zero 0
	.end_amdhsa_kernel
	.section	.text._ZN7rocprim17ROCPRIM_400000_NS6detail17trampoline_kernelINS0_14default_configENS1_27scan_by_key_config_selectorIiiEEZZNS1_16scan_by_key_implILNS1_25lookback_scan_determinismE0ELb1ES3_N6thrust23THRUST_200600_302600_NS6detail15normal_iteratorINS9_10device_ptrIiEEEESE_SE_iNS9_10multipliesIiEENS9_8equal_toIiEEiEE10hipError_tPvRmT2_T3_T4_T5_mT6_T7_P12ihipStream_tbENKUlT_T0_E_clISt17integral_constantIbLb0EESZ_EEDaSU_SV_EUlSU_E_NS1_11comp_targetILNS1_3genE4ELNS1_11target_archE910ELNS1_3gpuE8ELNS1_3repE0EEENS1_30default_config_static_selectorELNS0_4arch9wavefront6targetE1EEEvT1_,"axG",@progbits,_ZN7rocprim17ROCPRIM_400000_NS6detail17trampoline_kernelINS0_14default_configENS1_27scan_by_key_config_selectorIiiEEZZNS1_16scan_by_key_implILNS1_25lookback_scan_determinismE0ELb1ES3_N6thrust23THRUST_200600_302600_NS6detail15normal_iteratorINS9_10device_ptrIiEEEESE_SE_iNS9_10multipliesIiEENS9_8equal_toIiEEiEE10hipError_tPvRmT2_T3_T4_T5_mT6_T7_P12ihipStream_tbENKUlT_T0_E_clISt17integral_constantIbLb0EESZ_EEDaSU_SV_EUlSU_E_NS1_11comp_targetILNS1_3genE4ELNS1_11target_archE910ELNS1_3gpuE8ELNS1_3repE0EEENS1_30default_config_static_selectorELNS0_4arch9wavefront6targetE1EEEvT1_,comdat
.Lfunc_end500:
	.size	_ZN7rocprim17ROCPRIM_400000_NS6detail17trampoline_kernelINS0_14default_configENS1_27scan_by_key_config_selectorIiiEEZZNS1_16scan_by_key_implILNS1_25lookback_scan_determinismE0ELb1ES3_N6thrust23THRUST_200600_302600_NS6detail15normal_iteratorINS9_10device_ptrIiEEEESE_SE_iNS9_10multipliesIiEENS9_8equal_toIiEEiEE10hipError_tPvRmT2_T3_T4_T5_mT6_T7_P12ihipStream_tbENKUlT_T0_E_clISt17integral_constantIbLb0EESZ_EEDaSU_SV_EUlSU_E_NS1_11comp_targetILNS1_3genE4ELNS1_11target_archE910ELNS1_3gpuE8ELNS1_3repE0EEENS1_30default_config_static_selectorELNS0_4arch9wavefront6targetE1EEEvT1_, .Lfunc_end500-_ZN7rocprim17ROCPRIM_400000_NS6detail17trampoline_kernelINS0_14default_configENS1_27scan_by_key_config_selectorIiiEEZZNS1_16scan_by_key_implILNS1_25lookback_scan_determinismE0ELb1ES3_N6thrust23THRUST_200600_302600_NS6detail15normal_iteratorINS9_10device_ptrIiEEEESE_SE_iNS9_10multipliesIiEENS9_8equal_toIiEEiEE10hipError_tPvRmT2_T3_T4_T5_mT6_T7_P12ihipStream_tbENKUlT_T0_E_clISt17integral_constantIbLb0EESZ_EEDaSU_SV_EUlSU_E_NS1_11comp_targetILNS1_3genE4ELNS1_11target_archE910ELNS1_3gpuE8ELNS1_3repE0EEENS1_30default_config_static_selectorELNS0_4arch9wavefront6targetE1EEEvT1_
                                        ; -- End function
	.section	.AMDGPU.csdata,"",@progbits
; Kernel info:
; codeLenInByte = 11460
; NumSgprs: 64
; NumVgprs: 62
; NumAgprs: 0
; TotalNumVgprs: 62
; ScratchSize: 0
; MemoryBound: 0
; FloatMode: 240
; IeeeMode: 1
; LDSByteSize: 16384 bytes/workgroup (compile time only)
; SGPRBlocks: 7
; VGPRBlocks: 7
; NumSGPRsForWavesPerEU: 64
; NumVGPRsForWavesPerEU: 62
; AccumOffset: 64
; Occupancy: 4
; WaveLimiterHint : 1
; COMPUTE_PGM_RSRC2:SCRATCH_EN: 0
; COMPUTE_PGM_RSRC2:USER_SGPR: 6
; COMPUTE_PGM_RSRC2:TRAP_HANDLER: 0
; COMPUTE_PGM_RSRC2:TGID_X_EN: 1
; COMPUTE_PGM_RSRC2:TGID_Y_EN: 0
; COMPUTE_PGM_RSRC2:TGID_Z_EN: 0
; COMPUTE_PGM_RSRC2:TIDIG_COMP_CNT: 0
; COMPUTE_PGM_RSRC3_GFX90A:ACCUM_OFFSET: 15
; COMPUTE_PGM_RSRC3_GFX90A:TG_SPLIT: 0
	.section	.text._ZN7rocprim17ROCPRIM_400000_NS6detail17trampoline_kernelINS0_14default_configENS1_27scan_by_key_config_selectorIiiEEZZNS1_16scan_by_key_implILNS1_25lookback_scan_determinismE0ELb1ES3_N6thrust23THRUST_200600_302600_NS6detail15normal_iteratorINS9_10device_ptrIiEEEESE_SE_iNS9_10multipliesIiEENS9_8equal_toIiEEiEE10hipError_tPvRmT2_T3_T4_T5_mT6_T7_P12ihipStream_tbENKUlT_T0_E_clISt17integral_constantIbLb0EESZ_EEDaSU_SV_EUlSU_E_NS1_11comp_targetILNS1_3genE3ELNS1_11target_archE908ELNS1_3gpuE7ELNS1_3repE0EEENS1_30default_config_static_selectorELNS0_4arch9wavefront6targetE1EEEvT1_,"axG",@progbits,_ZN7rocprim17ROCPRIM_400000_NS6detail17trampoline_kernelINS0_14default_configENS1_27scan_by_key_config_selectorIiiEEZZNS1_16scan_by_key_implILNS1_25lookback_scan_determinismE0ELb1ES3_N6thrust23THRUST_200600_302600_NS6detail15normal_iteratorINS9_10device_ptrIiEEEESE_SE_iNS9_10multipliesIiEENS9_8equal_toIiEEiEE10hipError_tPvRmT2_T3_T4_T5_mT6_T7_P12ihipStream_tbENKUlT_T0_E_clISt17integral_constantIbLb0EESZ_EEDaSU_SV_EUlSU_E_NS1_11comp_targetILNS1_3genE3ELNS1_11target_archE908ELNS1_3gpuE7ELNS1_3repE0EEENS1_30default_config_static_selectorELNS0_4arch9wavefront6targetE1EEEvT1_,comdat
	.protected	_ZN7rocprim17ROCPRIM_400000_NS6detail17trampoline_kernelINS0_14default_configENS1_27scan_by_key_config_selectorIiiEEZZNS1_16scan_by_key_implILNS1_25lookback_scan_determinismE0ELb1ES3_N6thrust23THRUST_200600_302600_NS6detail15normal_iteratorINS9_10device_ptrIiEEEESE_SE_iNS9_10multipliesIiEENS9_8equal_toIiEEiEE10hipError_tPvRmT2_T3_T4_T5_mT6_T7_P12ihipStream_tbENKUlT_T0_E_clISt17integral_constantIbLb0EESZ_EEDaSU_SV_EUlSU_E_NS1_11comp_targetILNS1_3genE3ELNS1_11target_archE908ELNS1_3gpuE7ELNS1_3repE0EEENS1_30default_config_static_selectorELNS0_4arch9wavefront6targetE1EEEvT1_ ; -- Begin function _ZN7rocprim17ROCPRIM_400000_NS6detail17trampoline_kernelINS0_14default_configENS1_27scan_by_key_config_selectorIiiEEZZNS1_16scan_by_key_implILNS1_25lookback_scan_determinismE0ELb1ES3_N6thrust23THRUST_200600_302600_NS6detail15normal_iteratorINS9_10device_ptrIiEEEESE_SE_iNS9_10multipliesIiEENS9_8equal_toIiEEiEE10hipError_tPvRmT2_T3_T4_T5_mT6_T7_P12ihipStream_tbENKUlT_T0_E_clISt17integral_constantIbLb0EESZ_EEDaSU_SV_EUlSU_E_NS1_11comp_targetILNS1_3genE3ELNS1_11target_archE908ELNS1_3gpuE7ELNS1_3repE0EEENS1_30default_config_static_selectorELNS0_4arch9wavefront6targetE1EEEvT1_
	.globl	_ZN7rocprim17ROCPRIM_400000_NS6detail17trampoline_kernelINS0_14default_configENS1_27scan_by_key_config_selectorIiiEEZZNS1_16scan_by_key_implILNS1_25lookback_scan_determinismE0ELb1ES3_N6thrust23THRUST_200600_302600_NS6detail15normal_iteratorINS9_10device_ptrIiEEEESE_SE_iNS9_10multipliesIiEENS9_8equal_toIiEEiEE10hipError_tPvRmT2_T3_T4_T5_mT6_T7_P12ihipStream_tbENKUlT_T0_E_clISt17integral_constantIbLb0EESZ_EEDaSU_SV_EUlSU_E_NS1_11comp_targetILNS1_3genE3ELNS1_11target_archE908ELNS1_3gpuE7ELNS1_3repE0EEENS1_30default_config_static_selectorELNS0_4arch9wavefront6targetE1EEEvT1_
	.p2align	8
	.type	_ZN7rocprim17ROCPRIM_400000_NS6detail17trampoline_kernelINS0_14default_configENS1_27scan_by_key_config_selectorIiiEEZZNS1_16scan_by_key_implILNS1_25lookback_scan_determinismE0ELb1ES3_N6thrust23THRUST_200600_302600_NS6detail15normal_iteratorINS9_10device_ptrIiEEEESE_SE_iNS9_10multipliesIiEENS9_8equal_toIiEEiEE10hipError_tPvRmT2_T3_T4_T5_mT6_T7_P12ihipStream_tbENKUlT_T0_E_clISt17integral_constantIbLb0EESZ_EEDaSU_SV_EUlSU_E_NS1_11comp_targetILNS1_3genE3ELNS1_11target_archE908ELNS1_3gpuE7ELNS1_3repE0EEENS1_30default_config_static_selectorELNS0_4arch9wavefront6targetE1EEEvT1_,@function
_ZN7rocprim17ROCPRIM_400000_NS6detail17trampoline_kernelINS0_14default_configENS1_27scan_by_key_config_selectorIiiEEZZNS1_16scan_by_key_implILNS1_25lookback_scan_determinismE0ELb1ES3_N6thrust23THRUST_200600_302600_NS6detail15normal_iteratorINS9_10device_ptrIiEEEESE_SE_iNS9_10multipliesIiEENS9_8equal_toIiEEiEE10hipError_tPvRmT2_T3_T4_T5_mT6_T7_P12ihipStream_tbENKUlT_T0_E_clISt17integral_constantIbLb0EESZ_EEDaSU_SV_EUlSU_E_NS1_11comp_targetILNS1_3genE3ELNS1_11target_archE908ELNS1_3gpuE7ELNS1_3repE0EEENS1_30default_config_static_selectorELNS0_4arch9wavefront6targetE1EEEvT1_: ; @_ZN7rocprim17ROCPRIM_400000_NS6detail17trampoline_kernelINS0_14default_configENS1_27scan_by_key_config_selectorIiiEEZZNS1_16scan_by_key_implILNS1_25lookback_scan_determinismE0ELb1ES3_N6thrust23THRUST_200600_302600_NS6detail15normal_iteratorINS9_10device_ptrIiEEEESE_SE_iNS9_10multipliesIiEENS9_8equal_toIiEEiEE10hipError_tPvRmT2_T3_T4_T5_mT6_T7_P12ihipStream_tbENKUlT_T0_E_clISt17integral_constantIbLb0EESZ_EEDaSU_SV_EUlSU_E_NS1_11comp_targetILNS1_3genE3ELNS1_11target_archE908ELNS1_3gpuE7ELNS1_3repE0EEENS1_30default_config_static_selectorELNS0_4arch9wavefront6targetE1EEEvT1_
; %bb.0:
	.section	.rodata,"a",@progbits
	.p2align	6, 0x0
	.amdhsa_kernel _ZN7rocprim17ROCPRIM_400000_NS6detail17trampoline_kernelINS0_14default_configENS1_27scan_by_key_config_selectorIiiEEZZNS1_16scan_by_key_implILNS1_25lookback_scan_determinismE0ELb1ES3_N6thrust23THRUST_200600_302600_NS6detail15normal_iteratorINS9_10device_ptrIiEEEESE_SE_iNS9_10multipliesIiEENS9_8equal_toIiEEiEE10hipError_tPvRmT2_T3_T4_T5_mT6_T7_P12ihipStream_tbENKUlT_T0_E_clISt17integral_constantIbLb0EESZ_EEDaSU_SV_EUlSU_E_NS1_11comp_targetILNS1_3genE3ELNS1_11target_archE908ELNS1_3gpuE7ELNS1_3repE0EEENS1_30default_config_static_selectorELNS0_4arch9wavefront6targetE1EEEvT1_
		.amdhsa_group_segment_fixed_size 0
		.amdhsa_private_segment_fixed_size 0
		.amdhsa_kernarg_size 112
		.amdhsa_user_sgpr_count 6
		.amdhsa_user_sgpr_private_segment_buffer 1
		.amdhsa_user_sgpr_dispatch_ptr 0
		.amdhsa_user_sgpr_queue_ptr 0
		.amdhsa_user_sgpr_kernarg_segment_ptr 1
		.amdhsa_user_sgpr_dispatch_id 0
		.amdhsa_user_sgpr_flat_scratch_init 0
		.amdhsa_user_sgpr_kernarg_preload_length 0
		.amdhsa_user_sgpr_kernarg_preload_offset 0
		.amdhsa_user_sgpr_private_segment_size 0
		.amdhsa_uses_dynamic_stack 0
		.amdhsa_system_sgpr_private_segment_wavefront_offset 0
		.amdhsa_system_sgpr_workgroup_id_x 1
		.amdhsa_system_sgpr_workgroup_id_y 0
		.amdhsa_system_sgpr_workgroup_id_z 0
		.amdhsa_system_sgpr_workgroup_info 0
		.amdhsa_system_vgpr_workitem_id 0
		.amdhsa_next_free_vgpr 1
		.amdhsa_next_free_sgpr 0
		.amdhsa_accum_offset 4
		.amdhsa_reserve_vcc 0
		.amdhsa_reserve_flat_scratch 0
		.amdhsa_float_round_mode_32 0
		.amdhsa_float_round_mode_16_64 0
		.amdhsa_float_denorm_mode_32 3
		.amdhsa_float_denorm_mode_16_64 3
		.amdhsa_dx10_clamp 1
		.amdhsa_ieee_mode 1
		.amdhsa_fp16_overflow 0
		.amdhsa_tg_split 0
		.amdhsa_exception_fp_ieee_invalid_op 0
		.amdhsa_exception_fp_denorm_src 0
		.amdhsa_exception_fp_ieee_div_zero 0
		.amdhsa_exception_fp_ieee_overflow 0
		.amdhsa_exception_fp_ieee_underflow 0
		.amdhsa_exception_fp_ieee_inexact 0
		.amdhsa_exception_int_div_zero 0
	.end_amdhsa_kernel
	.section	.text._ZN7rocprim17ROCPRIM_400000_NS6detail17trampoline_kernelINS0_14default_configENS1_27scan_by_key_config_selectorIiiEEZZNS1_16scan_by_key_implILNS1_25lookback_scan_determinismE0ELb1ES3_N6thrust23THRUST_200600_302600_NS6detail15normal_iteratorINS9_10device_ptrIiEEEESE_SE_iNS9_10multipliesIiEENS9_8equal_toIiEEiEE10hipError_tPvRmT2_T3_T4_T5_mT6_T7_P12ihipStream_tbENKUlT_T0_E_clISt17integral_constantIbLb0EESZ_EEDaSU_SV_EUlSU_E_NS1_11comp_targetILNS1_3genE3ELNS1_11target_archE908ELNS1_3gpuE7ELNS1_3repE0EEENS1_30default_config_static_selectorELNS0_4arch9wavefront6targetE1EEEvT1_,"axG",@progbits,_ZN7rocprim17ROCPRIM_400000_NS6detail17trampoline_kernelINS0_14default_configENS1_27scan_by_key_config_selectorIiiEEZZNS1_16scan_by_key_implILNS1_25lookback_scan_determinismE0ELb1ES3_N6thrust23THRUST_200600_302600_NS6detail15normal_iteratorINS9_10device_ptrIiEEEESE_SE_iNS9_10multipliesIiEENS9_8equal_toIiEEiEE10hipError_tPvRmT2_T3_T4_T5_mT6_T7_P12ihipStream_tbENKUlT_T0_E_clISt17integral_constantIbLb0EESZ_EEDaSU_SV_EUlSU_E_NS1_11comp_targetILNS1_3genE3ELNS1_11target_archE908ELNS1_3gpuE7ELNS1_3repE0EEENS1_30default_config_static_selectorELNS0_4arch9wavefront6targetE1EEEvT1_,comdat
.Lfunc_end501:
	.size	_ZN7rocprim17ROCPRIM_400000_NS6detail17trampoline_kernelINS0_14default_configENS1_27scan_by_key_config_selectorIiiEEZZNS1_16scan_by_key_implILNS1_25lookback_scan_determinismE0ELb1ES3_N6thrust23THRUST_200600_302600_NS6detail15normal_iteratorINS9_10device_ptrIiEEEESE_SE_iNS9_10multipliesIiEENS9_8equal_toIiEEiEE10hipError_tPvRmT2_T3_T4_T5_mT6_T7_P12ihipStream_tbENKUlT_T0_E_clISt17integral_constantIbLb0EESZ_EEDaSU_SV_EUlSU_E_NS1_11comp_targetILNS1_3genE3ELNS1_11target_archE908ELNS1_3gpuE7ELNS1_3repE0EEENS1_30default_config_static_selectorELNS0_4arch9wavefront6targetE1EEEvT1_, .Lfunc_end501-_ZN7rocprim17ROCPRIM_400000_NS6detail17trampoline_kernelINS0_14default_configENS1_27scan_by_key_config_selectorIiiEEZZNS1_16scan_by_key_implILNS1_25lookback_scan_determinismE0ELb1ES3_N6thrust23THRUST_200600_302600_NS6detail15normal_iteratorINS9_10device_ptrIiEEEESE_SE_iNS9_10multipliesIiEENS9_8equal_toIiEEiEE10hipError_tPvRmT2_T3_T4_T5_mT6_T7_P12ihipStream_tbENKUlT_T0_E_clISt17integral_constantIbLb0EESZ_EEDaSU_SV_EUlSU_E_NS1_11comp_targetILNS1_3genE3ELNS1_11target_archE908ELNS1_3gpuE7ELNS1_3repE0EEENS1_30default_config_static_selectorELNS0_4arch9wavefront6targetE1EEEvT1_
                                        ; -- End function
	.section	.AMDGPU.csdata,"",@progbits
; Kernel info:
; codeLenInByte = 0
; NumSgprs: 4
; NumVgprs: 0
; NumAgprs: 0
; TotalNumVgprs: 0
; ScratchSize: 0
; MemoryBound: 0
; FloatMode: 240
; IeeeMode: 1
; LDSByteSize: 0 bytes/workgroup (compile time only)
; SGPRBlocks: 0
; VGPRBlocks: 0
; NumSGPRsForWavesPerEU: 4
; NumVGPRsForWavesPerEU: 1
; AccumOffset: 4
; Occupancy: 8
; WaveLimiterHint : 0
; COMPUTE_PGM_RSRC2:SCRATCH_EN: 0
; COMPUTE_PGM_RSRC2:USER_SGPR: 6
; COMPUTE_PGM_RSRC2:TRAP_HANDLER: 0
; COMPUTE_PGM_RSRC2:TGID_X_EN: 1
; COMPUTE_PGM_RSRC2:TGID_Y_EN: 0
; COMPUTE_PGM_RSRC2:TGID_Z_EN: 0
; COMPUTE_PGM_RSRC2:TIDIG_COMP_CNT: 0
; COMPUTE_PGM_RSRC3_GFX90A:ACCUM_OFFSET: 0
; COMPUTE_PGM_RSRC3_GFX90A:TG_SPLIT: 0
	.section	.text._ZN7rocprim17ROCPRIM_400000_NS6detail17trampoline_kernelINS0_14default_configENS1_27scan_by_key_config_selectorIiiEEZZNS1_16scan_by_key_implILNS1_25lookback_scan_determinismE0ELb1ES3_N6thrust23THRUST_200600_302600_NS6detail15normal_iteratorINS9_10device_ptrIiEEEESE_SE_iNS9_10multipliesIiEENS9_8equal_toIiEEiEE10hipError_tPvRmT2_T3_T4_T5_mT6_T7_P12ihipStream_tbENKUlT_T0_E_clISt17integral_constantIbLb0EESZ_EEDaSU_SV_EUlSU_E_NS1_11comp_targetILNS1_3genE2ELNS1_11target_archE906ELNS1_3gpuE6ELNS1_3repE0EEENS1_30default_config_static_selectorELNS0_4arch9wavefront6targetE1EEEvT1_,"axG",@progbits,_ZN7rocprim17ROCPRIM_400000_NS6detail17trampoline_kernelINS0_14default_configENS1_27scan_by_key_config_selectorIiiEEZZNS1_16scan_by_key_implILNS1_25lookback_scan_determinismE0ELb1ES3_N6thrust23THRUST_200600_302600_NS6detail15normal_iteratorINS9_10device_ptrIiEEEESE_SE_iNS9_10multipliesIiEENS9_8equal_toIiEEiEE10hipError_tPvRmT2_T3_T4_T5_mT6_T7_P12ihipStream_tbENKUlT_T0_E_clISt17integral_constantIbLb0EESZ_EEDaSU_SV_EUlSU_E_NS1_11comp_targetILNS1_3genE2ELNS1_11target_archE906ELNS1_3gpuE6ELNS1_3repE0EEENS1_30default_config_static_selectorELNS0_4arch9wavefront6targetE1EEEvT1_,comdat
	.protected	_ZN7rocprim17ROCPRIM_400000_NS6detail17trampoline_kernelINS0_14default_configENS1_27scan_by_key_config_selectorIiiEEZZNS1_16scan_by_key_implILNS1_25lookback_scan_determinismE0ELb1ES3_N6thrust23THRUST_200600_302600_NS6detail15normal_iteratorINS9_10device_ptrIiEEEESE_SE_iNS9_10multipliesIiEENS9_8equal_toIiEEiEE10hipError_tPvRmT2_T3_T4_T5_mT6_T7_P12ihipStream_tbENKUlT_T0_E_clISt17integral_constantIbLb0EESZ_EEDaSU_SV_EUlSU_E_NS1_11comp_targetILNS1_3genE2ELNS1_11target_archE906ELNS1_3gpuE6ELNS1_3repE0EEENS1_30default_config_static_selectorELNS0_4arch9wavefront6targetE1EEEvT1_ ; -- Begin function _ZN7rocprim17ROCPRIM_400000_NS6detail17trampoline_kernelINS0_14default_configENS1_27scan_by_key_config_selectorIiiEEZZNS1_16scan_by_key_implILNS1_25lookback_scan_determinismE0ELb1ES3_N6thrust23THRUST_200600_302600_NS6detail15normal_iteratorINS9_10device_ptrIiEEEESE_SE_iNS9_10multipliesIiEENS9_8equal_toIiEEiEE10hipError_tPvRmT2_T3_T4_T5_mT6_T7_P12ihipStream_tbENKUlT_T0_E_clISt17integral_constantIbLb0EESZ_EEDaSU_SV_EUlSU_E_NS1_11comp_targetILNS1_3genE2ELNS1_11target_archE906ELNS1_3gpuE6ELNS1_3repE0EEENS1_30default_config_static_selectorELNS0_4arch9wavefront6targetE1EEEvT1_
	.globl	_ZN7rocprim17ROCPRIM_400000_NS6detail17trampoline_kernelINS0_14default_configENS1_27scan_by_key_config_selectorIiiEEZZNS1_16scan_by_key_implILNS1_25lookback_scan_determinismE0ELb1ES3_N6thrust23THRUST_200600_302600_NS6detail15normal_iteratorINS9_10device_ptrIiEEEESE_SE_iNS9_10multipliesIiEENS9_8equal_toIiEEiEE10hipError_tPvRmT2_T3_T4_T5_mT6_T7_P12ihipStream_tbENKUlT_T0_E_clISt17integral_constantIbLb0EESZ_EEDaSU_SV_EUlSU_E_NS1_11comp_targetILNS1_3genE2ELNS1_11target_archE906ELNS1_3gpuE6ELNS1_3repE0EEENS1_30default_config_static_selectorELNS0_4arch9wavefront6targetE1EEEvT1_
	.p2align	8
	.type	_ZN7rocprim17ROCPRIM_400000_NS6detail17trampoline_kernelINS0_14default_configENS1_27scan_by_key_config_selectorIiiEEZZNS1_16scan_by_key_implILNS1_25lookback_scan_determinismE0ELb1ES3_N6thrust23THRUST_200600_302600_NS6detail15normal_iteratorINS9_10device_ptrIiEEEESE_SE_iNS9_10multipliesIiEENS9_8equal_toIiEEiEE10hipError_tPvRmT2_T3_T4_T5_mT6_T7_P12ihipStream_tbENKUlT_T0_E_clISt17integral_constantIbLb0EESZ_EEDaSU_SV_EUlSU_E_NS1_11comp_targetILNS1_3genE2ELNS1_11target_archE906ELNS1_3gpuE6ELNS1_3repE0EEENS1_30default_config_static_selectorELNS0_4arch9wavefront6targetE1EEEvT1_,@function
_ZN7rocprim17ROCPRIM_400000_NS6detail17trampoline_kernelINS0_14default_configENS1_27scan_by_key_config_selectorIiiEEZZNS1_16scan_by_key_implILNS1_25lookback_scan_determinismE0ELb1ES3_N6thrust23THRUST_200600_302600_NS6detail15normal_iteratorINS9_10device_ptrIiEEEESE_SE_iNS9_10multipliesIiEENS9_8equal_toIiEEiEE10hipError_tPvRmT2_T3_T4_T5_mT6_T7_P12ihipStream_tbENKUlT_T0_E_clISt17integral_constantIbLb0EESZ_EEDaSU_SV_EUlSU_E_NS1_11comp_targetILNS1_3genE2ELNS1_11target_archE906ELNS1_3gpuE6ELNS1_3repE0EEENS1_30default_config_static_selectorELNS0_4arch9wavefront6targetE1EEEvT1_: ; @_ZN7rocprim17ROCPRIM_400000_NS6detail17trampoline_kernelINS0_14default_configENS1_27scan_by_key_config_selectorIiiEEZZNS1_16scan_by_key_implILNS1_25lookback_scan_determinismE0ELb1ES3_N6thrust23THRUST_200600_302600_NS6detail15normal_iteratorINS9_10device_ptrIiEEEESE_SE_iNS9_10multipliesIiEENS9_8equal_toIiEEiEE10hipError_tPvRmT2_T3_T4_T5_mT6_T7_P12ihipStream_tbENKUlT_T0_E_clISt17integral_constantIbLb0EESZ_EEDaSU_SV_EUlSU_E_NS1_11comp_targetILNS1_3genE2ELNS1_11target_archE906ELNS1_3gpuE6ELNS1_3repE0EEENS1_30default_config_static_selectorELNS0_4arch9wavefront6targetE1EEEvT1_
; %bb.0:
	.section	.rodata,"a",@progbits
	.p2align	6, 0x0
	.amdhsa_kernel _ZN7rocprim17ROCPRIM_400000_NS6detail17trampoline_kernelINS0_14default_configENS1_27scan_by_key_config_selectorIiiEEZZNS1_16scan_by_key_implILNS1_25lookback_scan_determinismE0ELb1ES3_N6thrust23THRUST_200600_302600_NS6detail15normal_iteratorINS9_10device_ptrIiEEEESE_SE_iNS9_10multipliesIiEENS9_8equal_toIiEEiEE10hipError_tPvRmT2_T3_T4_T5_mT6_T7_P12ihipStream_tbENKUlT_T0_E_clISt17integral_constantIbLb0EESZ_EEDaSU_SV_EUlSU_E_NS1_11comp_targetILNS1_3genE2ELNS1_11target_archE906ELNS1_3gpuE6ELNS1_3repE0EEENS1_30default_config_static_selectorELNS0_4arch9wavefront6targetE1EEEvT1_
		.amdhsa_group_segment_fixed_size 0
		.amdhsa_private_segment_fixed_size 0
		.amdhsa_kernarg_size 112
		.amdhsa_user_sgpr_count 6
		.amdhsa_user_sgpr_private_segment_buffer 1
		.amdhsa_user_sgpr_dispatch_ptr 0
		.amdhsa_user_sgpr_queue_ptr 0
		.amdhsa_user_sgpr_kernarg_segment_ptr 1
		.amdhsa_user_sgpr_dispatch_id 0
		.amdhsa_user_sgpr_flat_scratch_init 0
		.amdhsa_user_sgpr_kernarg_preload_length 0
		.amdhsa_user_sgpr_kernarg_preload_offset 0
		.amdhsa_user_sgpr_private_segment_size 0
		.amdhsa_uses_dynamic_stack 0
		.amdhsa_system_sgpr_private_segment_wavefront_offset 0
		.amdhsa_system_sgpr_workgroup_id_x 1
		.amdhsa_system_sgpr_workgroup_id_y 0
		.amdhsa_system_sgpr_workgroup_id_z 0
		.amdhsa_system_sgpr_workgroup_info 0
		.amdhsa_system_vgpr_workitem_id 0
		.amdhsa_next_free_vgpr 1
		.amdhsa_next_free_sgpr 0
		.amdhsa_accum_offset 4
		.amdhsa_reserve_vcc 0
		.amdhsa_reserve_flat_scratch 0
		.amdhsa_float_round_mode_32 0
		.amdhsa_float_round_mode_16_64 0
		.amdhsa_float_denorm_mode_32 3
		.amdhsa_float_denorm_mode_16_64 3
		.amdhsa_dx10_clamp 1
		.amdhsa_ieee_mode 1
		.amdhsa_fp16_overflow 0
		.amdhsa_tg_split 0
		.amdhsa_exception_fp_ieee_invalid_op 0
		.amdhsa_exception_fp_denorm_src 0
		.amdhsa_exception_fp_ieee_div_zero 0
		.amdhsa_exception_fp_ieee_overflow 0
		.amdhsa_exception_fp_ieee_underflow 0
		.amdhsa_exception_fp_ieee_inexact 0
		.amdhsa_exception_int_div_zero 0
	.end_amdhsa_kernel
	.section	.text._ZN7rocprim17ROCPRIM_400000_NS6detail17trampoline_kernelINS0_14default_configENS1_27scan_by_key_config_selectorIiiEEZZNS1_16scan_by_key_implILNS1_25lookback_scan_determinismE0ELb1ES3_N6thrust23THRUST_200600_302600_NS6detail15normal_iteratorINS9_10device_ptrIiEEEESE_SE_iNS9_10multipliesIiEENS9_8equal_toIiEEiEE10hipError_tPvRmT2_T3_T4_T5_mT6_T7_P12ihipStream_tbENKUlT_T0_E_clISt17integral_constantIbLb0EESZ_EEDaSU_SV_EUlSU_E_NS1_11comp_targetILNS1_3genE2ELNS1_11target_archE906ELNS1_3gpuE6ELNS1_3repE0EEENS1_30default_config_static_selectorELNS0_4arch9wavefront6targetE1EEEvT1_,"axG",@progbits,_ZN7rocprim17ROCPRIM_400000_NS6detail17trampoline_kernelINS0_14default_configENS1_27scan_by_key_config_selectorIiiEEZZNS1_16scan_by_key_implILNS1_25lookback_scan_determinismE0ELb1ES3_N6thrust23THRUST_200600_302600_NS6detail15normal_iteratorINS9_10device_ptrIiEEEESE_SE_iNS9_10multipliesIiEENS9_8equal_toIiEEiEE10hipError_tPvRmT2_T3_T4_T5_mT6_T7_P12ihipStream_tbENKUlT_T0_E_clISt17integral_constantIbLb0EESZ_EEDaSU_SV_EUlSU_E_NS1_11comp_targetILNS1_3genE2ELNS1_11target_archE906ELNS1_3gpuE6ELNS1_3repE0EEENS1_30default_config_static_selectorELNS0_4arch9wavefront6targetE1EEEvT1_,comdat
.Lfunc_end502:
	.size	_ZN7rocprim17ROCPRIM_400000_NS6detail17trampoline_kernelINS0_14default_configENS1_27scan_by_key_config_selectorIiiEEZZNS1_16scan_by_key_implILNS1_25lookback_scan_determinismE0ELb1ES3_N6thrust23THRUST_200600_302600_NS6detail15normal_iteratorINS9_10device_ptrIiEEEESE_SE_iNS9_10multipliesIiEENS9_8equal_toIiEEiEE10hipError_tPvRmT2_T3_T4_T5_mT6_T7_P12ihipStream_tbENKUlT_T0_E_clISt17integral_constantIbLb0EESZ_EEDaSU_SV_EUlSU_E_NS1_11comp_targetILNS1_3genE2ELNS1_11target_archE906ELNS1_3gpuE6ELNS1_3repE0EEENS1_30default_config_static_selectorELNS0_4arch9wavefront6targetE1EEEvT1_, .Lfunc_end502-_ZN7rocprim17ROCPRIM_400000_NS6detail17trampoline_kernelINS0_14default_configENS1_27scan_by_key_config_selectorIiiEEZZNS1_16scan_by_key_implILNS1_25lookback_scan_determinismE0ELb1ES3_N6thrust23THRUST_200600_302600_NS6detail15normal_iteratorINS9_10device_ptrIiEEEESE_SE_iNS9_10multipliesIiEENS9_8equal_toIiEEiEE10hipError_tPvRmT2_T3_T4_T5_mT6_T7_P12ihipStream_tbENKUlT_T0_E_clISt17integral_constantIbLb0EESZ_EEDaSU_SV_EUlSU_E_NS1_11comp_targetILNS1_3genE2ELNS1_11target_archE906ELNS1_3gpuE6ELNS1_3repE0EEENS1_30default_config_static_selectorELNS0_4arch9wavefront6targetE1EEEvT1_
                                        ; -- End function
	.section	.AMDGPU.csdata,"",@progbits
; Kernel info:
; codeLenInByte = 0
; NumSgprs: 4
; NumVgprs: 0
; NumAgprs: 0
; TotalNumVgprs: 0
; ScratchSize: 0
; MemoryBound: 0
; FloatMode: 240
; IeeeMode: 1
; LDSByteSize: 0 bytes/workgroup (compile time only)
; SGPRBlocks: 0
; VGPRBlocks: 0
; NumSGPRsForWavesPerEU: 4
; NumVGPRsForWavesPerEU: 1
; AccumOffset: 4
; Occupancy: 8
; WaveLimiterHint : 0
; COMPUTE_PGM_RSRC2:SCRATCH_EN: 0
; COMPUTE_PGM_RSRC2:USER_SGPR: 6
; COMPUTE_PGM_RSRC2:TRAP_HANDLER: 0
; COMPUTE_PGM_RSRC2:TGID_X_EN: 1
; COMPUTE_PGM_RSRC2:TGID_Y_EN: 0
; COMPUTE_PGM_RSRC2:TGID_Z_EN: 0
; COMPUTE_PGM_RSRC2:TIDIG_COMP_CNT: 0
; COMPUTE_PGM_RSRC3_GFX90A:ACCUM_OFFSET: 0
; COMPUTE_PGM_RSRC3_GFX90A:TG_SPLIT: 0
	.section	.text._ZN7rocprim17ROCPRIM_400000_NS6detail17trampoline_kernelINS0_14default_configENS1_27scan_by_key_config_selectorIiiEEZZNS1_16scan_by_key_implILNS1_25lookback_scan_determinismE0ELb1ES3_N6thrust23THRUST_200600_302600_NS6detail15normal_iteratorINS9_10device_ptrIiEEEESE_SE_iNS9_10multipliesIiEENS9_8equal_toIiEEiEE10hipError_tPvRmT2_T3_T4_T5_mT6_T7_P12ihipStream_tbENKUlT_T0_E_clISt17integral_constantIbLb0EESZ_EEDaSU_SV_EUlSU_E_NS1_11comp_targetILNS1_3genE10ELNS1_11target_archE1200ELNS1_3gpuE4ELNS1_3repE0EEENS1_30default_config_static_selectorELNS0_4arch9wavefront6targetE1EEEvT1_,"axG",@progbits,_ZN7rocprim17ROCPRIM_400000_NS6detail17trampoline_kernelINS0_14default_configENS1_27scan_by_key_config_selectorIiiEEZZNS1_16scan_by_key_implILNS1_25lookback_scan_determinismE0ELb1ES3_N6thrust23THRUST_200600_302600_NS6detail15normal_iteratorINS9_10device_ptrIiEEEESE_SE_iNS9_10multipliesIiEENS9_8equal_toIiEEiEE10hipError_tPvRmT2_T3_T4_T5_mT6_T7_P12ihipStream_tbENKUlT_T0_E_clISt17integral_constantIbLb0EESZ_EEDaSU_SV_EUlSU_E_NS1_11comp_targetILNS1_3genE10ELNS1_11target_archE1200ELNS1_3gpuE4ELNS1_3repE0EEENS1_30default_config_static_selectorELNS0_4arch9wavefront6targetE1EEEvT1_,comdat
	.protected	_ZN7rocprim17ROCPRIM_400000_NS6detail17trampoline_kernelINS0_14default_configENS1_27scan_by_key_config_selectorIiiEEZZNS1_16scan_by_key_implILNS1_25lookback_scan_determinismE0ELb1ES3_N6thrust23THRUST_200600_302600_NS6detail15normal_iteratorINS9_10device_ptrIiEEEESE_SE_iNS9_10multipliesIiEENS9_8equal_toIiEEiEE10hipError_tPvRmT2_T3_T4_T5_mT6_T7_P12ihipStream_tbENKUlT_T0_E_clISt17integral_constantIbLb0EESZ_EEDaSU_SV_EUlSU_E_NS1_11comp_targetILNS1_3genE10ELNS1_11target_archE1200ELNS1_3gpuE4ELNS1_3repE0EEENS1_30default_config_static_selectorELNS0_4arch9wavefront6targetE1EEEvT1_ ; -- Begin function _ZN7rocprim17ROCPRIM_400000_NS6detail17trampoline_kernelINS0_14default_configENS1_27scan_by_key_config_selectorIiiEEZZNS1_16scan_by_key_implILNS1_25lookback_scan_determinismE0ELb1ES3_N6thrust23THRUST_200600_302600_NS6detail15normal_iteratorINS9_10device_ptrIiEEEESE_SE_iNS9_10multipliesIiEENS9_8equal_toIiEEiEE10hipError_tPvRmT2_T3_T4_T5_mT6_T7_P12ihipStream_tbENKUlT_T0_E_clISt17integral_constantIbLb0EESZ_EEDaSU_SV_EUlSU_E_NS1_11comp_targetILNS1_3genE10ELNS1_11target_archE1200ELNS1_3gpuE4ELNS1_3repE0EEENS1_30default_config_static_selectorELNS0_4arch9wavefront6targetE1EEEvT1_
	.globl	_ZN7rocprim17ROCPRIM_400000_NS6detail17trampoline_kernelINS0_14default_configENS1_27scan_by_key_config_selectorIiiEEZZNS1_16scan_by_key_implILNS1_25lookback_scan_determinismE0ELb1ES3_N6thrust23THRUST_200600_302600_NS6detail15normal_iteratorINS9_10device_ptrIiEEEESE_SE_iNS9_10multipliesIiEENS9_8equal_toIiEEiEE10hipError_tPvRmT2_T3_T4_T5_mT6_T7_P12ihipStream_tbENKUlT_T0_E_clISt17integral_constantIbLb0EESZ_EEDaSU_SV_EUlSU_E_NS1_11comp_targetILNS1_3genE10ELNS1_11target_archE1200ELNS1_3gpuE4ELNS1_3repE0EEENS1_30default_config_static_selectorELNS0_4arch9wavefront6targetE1EEEvT1_
	.p2align	8
	.type	_ZN7rocprim17ROCPRIM_400000_NS6detail17trampoline_kernelINS0_14default_configENS1_27scan_by_key_config_selectorIiiEEZZNS1_16scan_by_key_implILNS1_25lookback_scan_determinismE0ELb1ES3_N6thrust23THRUST_200600_302600_NS6detail15normal_iteratorINS9_10device_ptrIiEEEESE_SE_iNS9_10multipliesIiEENS9_8equal_toIiEEiEE10hipError_tPvRmT2_T3_T4_T5_mT6_T7_P12ihipStream_tbENKUlT_T0_E_clISt17integral_constantIbLb0EESZ_EEDaSU_SV_EUlSU_E_NS1_11comp_targetILNS1_3genE10ELNS1_11target_archE1200ELNS1_3gpuE4ELNS1_3repE0EEENS1_30default_config_static_selectorELNS0_4arch9wavefront6targetE1EEEvT1_,@function
_ZN7rocprim17ROCPRIM_400000_NS6detail17trampoline_kernelINS0_14default_configENS1_27scan_by_key_config_selectorIiiEEZZNS1_16scan_by_key_implILNS1_25lookback_scan_determinismE0ELb1ES3_N6thrust23THRUST_200600_302600_NS6detail15normal_iteratorINS9_10device_ptrIiEEEESE_SE_iNS9_10multipliesIiEENS9_8equal_toIiEEiEE10hipError_tPvRmT2_T3_T4_T5_mT6_T7_P12ihipStream_tbENKUlT_T0_E_clISt17integral_constantIbLb0EESZ_EEDaSU_SV_EUlSU_E_NS1_11comp_targetILNS1_3genE10ELNS1_11target_archE1200ELNS1_3gpuE4ELNS1_3repE0EEENS1_30default_config_static_selectorELNS0_4arch9wavefront6targetE1EEEvT1_: ; @_ZN7rocprim17ROCPRIM_400000_NS6detail17trampoline_kernelINS0_14default_configENS1_27scan_by_key_config_selectorIiiEEZZNS1_16scan_by_key_implILNS1_25lookback_scan_determinismE0ELb1ES3_N6thrust23THRUST_200600_302600_NS6detail15normal_iteratorINS9_10device_ptrIiEEEESE_SE_iNS9_10multipliesIiEENS9_8equal_toIiEEiEE10hipError_tPvRmT2_T3_T4_T5_mT6_T7_P12ihipStream_tbENKUlT_T0_E_clISt17integral_constantIbLb0EESZ_EEDaSU_SV_EUlSU_E_NS1_11comp_targetILNS1_3genE10ELNS1_11target_archE1200ELNS1_3gpuE4ELNS1_3repE0EEENS1_30default_config_static_selectorELNS0_4arch9wavefront6targetE1EEEvT1_
; %bb.0:
	.section	.rodata,"a",@progbits
	.p2align	6, 0x0
	.amdhsa_kernel _ZN7rocprim17ROCPRIM_400000_NS6detail17trampoline_kernelINS0_14default_configENS1_27scan_by_key_config_selectorIiiEEZZNS1_16scan_by_key_implILNS1_25lookback_scan_determinismE0ELb1ES3_N6thrust23THRUST_200600_302600_NS6detail15normal_iteratorINS9_10device_ptrIiEEEESE_SE_iNS9_10multipliesIiEENS9_8equal_toIiEEiEE10hipError_tPvRmT2_T3_T4_T5_mT6_T7_P12ihipStream_tbENKUlT_T0_E_clISt17integral_constantIbLb0EESZ_EEDaSU_SV_EUlSU_E_NS1_11comp_targetILNS1_3genE10ELNS1_11target_archE1200ELNS1_3gpuE4ELNS1_3repE0EEENS1_30default_config_static_selectorELNS0_4arch9wavefront6targetE1EEEvT1_
		.amdhsa_group_segment_fixed_size 0
		.amdhsa_private_segment_fixed_size 0
		.amdhsa_kernarg_size 112
		.amdhsa_user_sgpr_count 6
		.amdhsa_user_sgpr_private_segment_buffer 1
		.amdhsa_user_sgpr_dispatch_ptr 0
		.amdhsa_user_sgpr_queue_ptr 0
		.amdhsa_user_sgpr_kernarg_segment_ptr 1
		.amdhsa_user_sgpr_dispatch_id 0
		.amdhsa_user_sgpr_flat_scratch_init 0
		.amdhsa_user_sgpr_kernarg_preload_length 0
		.amdhsa_user_sgpr_kernarg_preload_offset 0
		.amdhsa_user_sgpr_private_segment_size 0
		.amdhsa_uses_dynamic_stack 0
		.amdhsa_system_sgpr_private_segment_wavefront_offset 0
		.amdhsa_system_sgpr_workgroup_id_x 1
		.amdhsa_system_sgpr_workgroup_id_y 0
		.amdhsa_system_sgpr_workgroup_id_z 0
		.amdhsa_system_sgpr_workgroup_info 0
		.amdhsa_system_vgpr_workitem_id 0
		.amdhsa_next_free_vgpr 1
		.amdhsa_next_free_sgpr 0
		.amdhsa_accum_offset 4
		.amdhsa_reserve_vcc 0
		.amdhsa_reserve_flat_scratch 0
		.amdhsa_float_round_mode_32 0
		.amdhsa_float_round_mode_16_64 0
		.amdhsa_float_denorm_mode_32 3
		.amdhsa_float_denorm_mode_16_64 3
		.amdhsa_dx10_clamp 1
		.amdhsa_ieee_mode 1
		.amdhsa_fp16_overflow 0
		.amdhsa_tg_split 0
		.amdhsa_exception_fp_ieee_invalid_op 0
		.amdhsa_exception_fp_denorm_src 0
		.amdhsa_exception_fp_ieee_div_zero 0
		.amdhsa_exception_fp_ieee_overflow 0
		.amdhsa_exception_fp_ieee_underflow 0
		.amdhsa_exception_fp_ieee_inexact 0
		.amdhsa_exception_int_div_zero 0
	.end_amdhsa_kernel
	.section	.text._ZN7rocprim17ROCPRIM_400000_NS6detail17trampoline_kernelINS0_14default_configENS1_27scan_by_key_config_selectorIiiEEZZNS1_16scan_by_key_implILNS1_25lookback_scan_determinismE0ELb1ES3_N6thrust23THRUST_200600_302600_NS6detail15normal_iteratorINS9_10device_ptrIiEEEESE_SE_iNS9_10multipliesIiEENS9_8equal_toIiEEiEE10hipError_tPvRmT2_T3_T4_T5_mT6_T7_P12ihipStream_tbENKUlT_T0_E_clISt17integral_constantIbLb0EESZ_EEDaSU_SV_EUlSU_E_NS1_11comp_targetILNS1_3genE10ELNS1_11target_archE1200ELNS1_3gpuE4ELNS1_3repE0EEENS1_30default_config_static_selectorELNS0_4arch9wavefront6targetE1EEEvT1_,"axG",@progbits,_ZN7rocprim17ROCPRIM_400000_NS6detail17trampoline_kernelINS0_14default_configENS1_27scan_by_key_config_selectorIiiEEZZNS1_16scan_by_key_implILNS1_25lookback_scan_determinismE0ELb1ES3_N6thrust23THRUST_200600_302600_NS6detail15normal_iteratorINS9_10device_ptrIiEEEESE_SE_iNS9_10multipliesIiEENS9_8equal_toIiEEiEE10hipError_tPvRmT2_T3_T4_T5_mT6_T7_P12ihipStream_tbENKUlT_T0_E_clISt17integral_constantIbLb0EESZ_EEDaSU_SV_EUlSU_E_NS1_11comp_targetILNS1_3genE10ELNS1_11target_archE1200ELNS1_3gpuE4ELNS1_3repE0EEENS1_30default_config_static_selectorELNS0_4arch9wavefront6targetE1EEEvT1_,comdat
.Lfunc_end503:
	.size	_ZN7rocprim17ROCPRIM_400000_NS6detail17trampoline_kernelINS0_14default_configENS1_27scan_by_key_config_selectorIiiEEZZNS1_16scan_by_key_implILNS1_25lookback_scan_determinismE0ELb1ES3_N6thrust23THRUST_200600_302600_NS6detail15normal_iteratorINS9_10device_ptrIiEEEESE_SE_iNS9_10multipliesIiEENS9_8equal_toIiEEiEE10hipError_tPvRmT2_T3_T4_T5_mT6_T7_P12ihipStream_tbENKUlT_T0_E_clISt17integral_constantIbLb0EESZ_EEDaSU_SV_EUlSU_E_NS1_11comp_targetILNS1_3genE10ELNS1_11target_archE1200ELNS1_3gpuE4ELNS1_3repE0EEENS1_30default_config_static_selectorELNS0_4arch9wavefront6targetE1EEEvT1_, .Lfunc_end503-_ZN7rocprim17ROCPRIM_400000_NS6detail17trampoline_kernelINS0_14default_configENS1_27scan_by_key_config_selectorIiiEEZZNS1_16scan_by_key_implILNS1_25lookback_scan_determinismE0ELb1ES3_N6thrust23THRUST_200600_302600_NS6detail15normal_iteratorINS9_10device_ptrIiEEEESE_SE_iNS9_10multipliesIiEENS9_8equal_toIiEEiEE10hipError_tPvRmT2_T3_T4_T5_mT6_T7_P12ihipStream_tbENKUlT_T0_E_clISt17integral_constantIbLb0EESZ_EEDaSU_SV_EUlSU_E_NS1_11comp_targetILNS1_3genE10ELNS1_11target_archE1200ELNS1_3gpuE4ELNS1_3repE0EEENS1_30default_config_static_selectorELNS0_4arch9wavefront6targetE1EEEvT1_
                                        ; -- End function
	.section	.AMDGPU.csdata,"",@progbits
; Kernel info:
; codeLenInByte = 0
; NumSgprs: 4
; NumVgprs: 0
; NumAgprs: 0
; TotalNumVgprs: 0
; ScratchSize: 0
; MemoryBound: 0
; FloatMode: 240
; IeeeMode: 1
; LDSByteSize: 0 bytes/workgroup (compile time only)
; SGPRBlocks: 0
; VGPRBlocks: 0
; NumSGPRsForWavesPerEU: 4
; NumVGPRsForWavesPerEU: 1
; AccumOffset: 4
; Occupancy: 8
; WaveLimiterHint : 0
; COMPUTE_PGM_RSRC2:SCRATCH_EN: 0
; COMPUTE_PGM_RSRC2:USER_SGPR: 6
; COMPUTE_PGM_RSRC2:TRAP_HANDLER: 0
; COMPUTE_PGM_RSRC2:TGID_X_EN: 1
; COMPUTE_PGM_RSRC2:TGID_Y_EN: 0
; COMPUTE_PGM_RSRC2:TGID_Z_EN: 0
; COMPUTE_PGM_RSRC2:TIDIG_COMP_CNT: 0
; COMPUTE_PGM_RSRC3_GFX90A:ACCUM_OFFSET: 0
; COMPUTE_PGM_RSRC3_GFX90A:TG_SPLIT: 0
	.section	.text._ZN7rocprim17ROCPRIM_400000_NS6detail17trampoline_kernelINS0_14default_configENS1_27scan_by_key_config_selectorIiiEEZZNS1_16scan_by_key_implILNS1_25lookback_scan_determinismE0ELb1ES3_N6thrust23THRUST_200600_302600_NS6detail15normal_iteratorINS9_10device_ptrIiEEEESE_SE_iNS9_10multipliesIiEENS9_8equal_toIiEEiEE10hipError_tPvRmT2_T3_T4_T5_mT6_T7_P12ihipStream_tbENKUlT_T0_E_clISt17integral_constantIbLb0EESZ_EEDaSU_SV_EUlSU_E_NS1_11comp_targetILNS1_3genE9ELNS1_11target_archE1100ELNS1_3gpuE3ELNS1_3repE0EEENS1_30default_config_static_selectorELNS0_4arch9wavefront6targetE1EEEvT1_,"axG",@progbits,_ZN7rocprim17ROCPRIM_400000_NS6detail17trampoline_kernelINS0_14default_configENS1_27scan_by_key_config_selectorIiiEEZZNS1_16scan_by_key_implILNS1_25lookback_scan_determinismE0ELb1ES3_N6thrust23THRUST_200600_302600_NS6detail15normal_iteratorINS9_10device_ptrIiEEEESE_SE_iNS9_10multipliesIiEENS9_8equal_toIiEEiEE10hipError_tPvRmT2_T3_T4_T5_mT6_T7_P12ihipStream_tbENKUlT_T0_E_clISt17integral_constantIbLb0EESZ_EEDaSU_SV_EUlSU_E_NS1_11comp_targetILNS1_3genE9ELNS1_11target_archE1100ELNS1_3gpuE3ELNS1_3repE0EEENS1_30default_config_static_selectorELNS0_4arch9wavefront6targetE1EEEvT1_,comdat
	.protected	_ZN7rocprim17ROCPRIM_400000_NS6detail17trampoline_kernelINS0_14default_configENS1_27scan_by_key_config_selectorIiiEEZZNS1_16scan_by_key_implILNS1_25lookback_scan_determinismE0ELb1ES3_N6thrust23THRUST_200600_302600_NS6detail15normal_iteratorINS9_10device_ptrIiEEEESE_SE_iNS9_10multipliesIiEENS9_8equal_toIiEEiEE10hipError_tPvRmT2_T3_T4_T5_mT6_T7_P12ihipStream_tbENKUlT_T0_E_clISt17integral_constantIbLb0EESZ_EEDaSU_SV_EUlSU_E_NS1_11comp_targetILNS1_3genE9ELNS1_11target_archE1100ELNS1_3gpuE3ELNS1_3repE0EEENS1_30default_config_static_selectorELNS0_4arch9wavefront6targetE1EEEvT1_ ; -- Begin function _ZN7rocprim17ROCPRIM_400000_NS6detail17trampoline_kernelINS0_14default_configENS1_27scan_by_key_config_selectorIiiEEZZNS1_16scan_by_key_implILNS1_25lookback_scan_determinismE0ELb1ES3_N6thrust23THRUST_200600_302600_NS6detail15normal_iteratorINS9_10device_ptrIiEEEESE_SE_iNS9_10multipliesIiEENS9_8equal_toIiEEiEE10hipError_tPvRmT2_T3_T4_T5_mT6_T7_P12ihipStream_tbENKUlT_T0_E_clISt17integral_constantIbLb0EESZ_EEDaSU_SV_EUlSU_E_NS1_11comp_targetILNS1_3genE9ELNS1_11target_archE1100ELNS1_3gpuE3ELNS1_3repE0EEENS1_30default_config_static_selectorELNS0_4arch9wavefront6targetE1EEEvT1_
	.globl	_ZN7rocprim17ROCPRIM_400000_NS6detail17trampoline_kernelINS0_14default_configENS1_27scan_by_key_config_selectorIiiEEZZNS1_16scan_by_key_implILNS1_25lookback_scan_determinismE0ELb1ES3_N6thrust23THRUST_200600_302600_NS6detail15normal_iteratorINS9_10device_ptrIiEEEESE_SE_iNS9_10multipliesIiEENS9_8equal_toIiEEiEE10hipError_tPvRmT2_T3_T4_T5_mT6_T7_P12ihipStream_tbENKUlT_T0_E_clISt17integral_constantIbLb0EESZ_EEDaSU_SV_EUlSU_E_NS1_11comp_targetILNS1_3genE9ELNS1_11target_archE1100ELNS1_3gpuE3ELNS1_3repE0EEENS1_30default_config_static_selectorELNS0_4arch9wavefront6targetE1EEEvT1_
	.p2align	8
	.type	_ZN7rocprim17ROCPRIM_400000_NS6detail17trampoline_kernelINS0_14default_configENS1_27scan_by_key_config_selectorIiiEEZZNS1_16scan_by_key_implILNS1_25lookback_scan_determinismE0ELb1ES3_N6thrust23THRUST_200600_302600_NS6detail15normal_iteratorINS9_10device_ptrIiEEEESE_SE_iNS9_10multipliesIiEENS9_8equal_toIiEEiEE10hipError_tPvRmT2_T3_T4_T5_mT6_T7_P12ihipStream_tbENKUlT_T0_E_clISt17integral_constantIbLb0EESZ_EEDaSU_SV_EUlSU_E_NS1_11comp_targetILNS1_3genE9ELNS1_11target_archE1100ELNS1_3gpuE3ELNS1_3repE0EEENS1_30default_config_static_selectorELNS0_4arch9wavefront6targetE1EEEvT1_,@function
_ZN7rocprim17ROCPRIM_400000_NS6detail17trampoline_kernelINS0_14default_configENS1_27scan_by_key_config_selectorIiiEEZZNS1_16scan_by_key_implILNS1_25lookback_scan_determinismE0ELb1ES3_N6thrust23THRUST_200600_302600_NS6detail15normal_iteratorINS9_10device_ptrIiEEEESE_SE_iNS9_10multipliesIiEENS9_8equal_toIiEEiEE10hipError_tPvRmT2_T3_T4_T5_mT6_T7_P12ihipStream_tbENKUlT_T0_E_clISt17integral_constantIbLb0EESZ_EEDaSU_SV_EUlSU_E_NS1_11comp_targetILNS1_3genE9ELNS1_11target_archE1100ELNS1_3gpuE3ELNS1_3repE0EEENS1_30default_config_static_selectorELNS0_4arch9wavefront6targetE1EEEvT1_: ; @_ZN7rocprim17ROCPRIM_400000_NS6detail17trampoline_kernelINS0_14default_configENS1_27scan_by_key_config_selectorIiiEEZZNS1_16scan_by_key_implILNS1_25lookback_scan_determinismE0ELb1ES3_N6thrust23THRUST_200600_302600_NS6detail15normal_iteratorINS9_10device_ptrIiEEEESE_SE_iNS9_10multipliesIiEENS9_8equal_toIiEEiEE10hipError_tPvRmT2_T3_T4_T5_mT6_T7_P12ihipStream_tbENKUlT_T0_E_clISt17integral_constantIbLb0EESZ_EEDaSU_SV_EUlSU_E_NS1_11comp_targetILNS1_3genE9ELNS1_11target_archE1100ELNS1_3gpuE3ELNS1_3repE0EEENS1_30default_config_static_selectorELNS0_4arch9wavefront6targetE1EEEvT1_
; %bb.0:
	.section	.rodata,"a",@progbits
	.p2align	6, 0x0
	.amdhsa_kernel _ZN7rocprim17ROCPRIM_400000_NS6detail17trampoline_kernelINS0_14default_configENS1_27scan_by_key_config_selectorIiiEEZZNS1_16scan_by_key_implILNS1_25lookback_scan_determinismE0ELb1ES3_N6thrust23THRUST_200600_302600_NS6detail15normal_iteratorINS9_10device_ptrIiEEEESE_SE_iNS9_10multipliesIiEENS9_8equal_toIiEEiEE10hipError_tPvRmT2_T3_T4_T5_mT6_T7_P12ihipStream_tbENKUlT_T0_E_clISt17integral_constantIbLb0EESZ_EEDaSU_SV_EUlSU_E_NS1_11comp_targetILNS1_3genE9ELNS1_11target_archE1100ELNS1_3gpuE3ELNS1_3repE0EEENS1_30default_config_static_selectorELNS0_4arch9wavefront6targetE1EEEvT1_
		.amdhsa_group_segment_fixed_size 0
		.amdhsa_private_segment_fixed_size 0
		.amdhsa_kernarg_size 112
		.amdhsa_user_sgpr_count 6
		.amdhsa_user_sgpr_private_segment_buffer 1
		.amdhsa_user_sgpr_dispatch_ptr 0
		.amdhsa_user_sgpr_queue_ptr 0
		.amdhsa_user_sgpr_kernarg_segment_ptr 1
		.amdhsa_user_sgpr_dispatch_id 0
		.amdhsa_user_sgpr_flat_scratch_init 0
		.amdhsa_user_sgpr_kernarg_preload_length 0
		.amdhsa_user_sgpr_kernarg_preload_offset 0
		.amdhsa_user_sgpr_private_segment_size 0
		.amdhsa_uses_dynamic_stack 0
		.amdhsa_system_sgpr_private_segment_wavefront_offset 0
		.amdhsa_system_sgpr_workgroup_id_x 1
		.amdhsa_system_sgpr_workgroup_id_y 0
		.amdhsa_system_sgpr_workgroup_id_z 0
		.amdhsa_system_sgpr_workgroup_info 0
		.amdhsa_system_vgpr_workitem_id 0
		.amdhsa_next_free_vgpr 1
		.amdhsa_next_free_sgpr 0
		.amdhsa_accum_offset 4
		.amdhsa_reserve_vcc 0
		.amdhsa_reserve_flat_scratch 0
		.amdhsa_float_round_mode_32 0
		.amdhsa_float_round_mode_16_64 0
		.amdhsa_float_denorm_mode_32 3
		.amdhsa_float_denorm_mode_16_64 3
		.amdhsa_dx10_clamp 1
		.amdhsa_ieee_mode 1
		.amdhsa_fp16_overflow 0
		.amdhsa_tg_split 0
		.amdhsa_exception_fp_ieee_invalid_op 0
		.amdhsa_exception_fp_denorm_src 0
		.amdhsa_exception_fp_ieee_div_zero 0
		.amdhsa_exception_fp_ieee_overflow 0
		.amdhsa_exception_fp_ieee_underflow 0
		.amdhsa_exception_fp_ieee_inexact 0
		.amdhsa_exception_int_div_zero 0
	.end_amdhsa_kernel
	.section	.text._ZN7rocprim17ROCPRIM_400000_NS6detail17trampoline_kernelINS0_14default_configENS1_27scan_by_key_config_selectorIiiEEZZNS1_16scan_by_key_implILNS1_25lookback_scan_determinismE0ELb1ES3_N6thrust23THRUST_200600_302600_NS6detail15normal_iteratorINS9_10device_ptrIiEEEESE_SE_iNS9_10multipliesIiEENS9_8equal_toIiEEiEE10hipError_tPvRmT2_T3_T4_T5_mT6_T7_P12ihipStream_tbENKUlT_T0_E_clISt17integral_constantIbLb0EESZ_EEDaSU_SV_EUlSU_E_NS1_11comp_targetILNS1_3genE9ELNS1_11target_archE1100ELNS1_3gpuE3ELNS1_3repE0EEENS1_30default_config_static_selectorELNS0_4arch9wavefront6targetE1EEEvT1_,"axG",@progbits,_ZN7rocprim17ROCPRIM_400000_NS6detail17trampoline_kernelINS0_14default_configENS1_27scan_by_key_config_selectorIiiEEZZNS1_16scan_by_key_implILNS1_25lookback_scan_determinismE0ELb1ES3_N6thrust23THRUST_200600_302600_NS6detail15normal_iteratorINS9_10device_ptrIiEEEESE_SE_iNS9_10multipliesIiEENS9_8equal_toIiEEiEE10hipError_tPvRmT2_T3_T4_T5_mT6_T7_P12ihipStream_tbENKUlT_T0_E_clISt17integral_constantIbLb0EESZ_EEDaSU_SV_EUlSU_E_NS1_11comp_targetILNS1_3genE9ELNS1_11target_archE1100ELNS1_3gpuE3ELNS1_3repE0EEENS1_30default_config_static_selectorELNS0_4arch9wavefront6targetE1EEEvT1_,comdat
.Lfunc_end504:
	.size	_ZN7rocprim17ROCPRIM_400000_NS6detail17trampoline_kernelINS0_14default_configENS1_27scan_by_key_config_selectorIiiEEZZNS1_16scan_by_key_implILNS1_25lookback_scan_determinismE0ELb1ES3_N6thrust23THRUST_200600_302600_NS6detail15normal_iteratorINS9_10device_ptrIiEEEESE_SE_iNS9_10multipliesIiEENS9_8equal_toIiEEiEE10hipError_tPvRmT2_T3_T4_T5_mT6_T7_P12ihipStream_tbENKUlT_T0_E_clISt17integral_constantIbLb0EESZ_EEDaSU_SV_EUlSU_E_NS1_11comp_targetILNS1_3genE9ELNS1_11target_archE1100ELNS1_3gpuE3ELNS1_3repE0EEENS1_30default_config_static_selectorELNS0_4arch9wavefront6targetE1EEEvT1_, .Lfunc_end504-_ZN7rocprim17ROCPRIM_400000_NS6detail17trampoline_kernelINS0_14default_configENS1_27scan_by_key_config_selectorIiiEEZZNS1_16scan_by_key_implILNS1_25lookback_scan_determinismE0ELb1ES3_N6thrust23THRUST_200600_302600_NS6detail15normal_iteratorINS9_10device_ptrIiEEEESE_SE_iNS9_10multipliesIiEENS9_8equal_toIiEEiEE10hipError_tPvRmT2_T3_T4_T5_mT6_T7_P12ihipStream_tbENKUlT_T0_E_clISt17integral_constantIbLb0EESZ_EEDaSU_SV_EUlSU_E_NS1_11comp_targetILNS1_3genE9ELNS1_11target_archE1100ELNS1_3gpuE3ELNS1_3repE0EEENS1_30default_config_static_selectorELNS0_4arch9wavefront6targetE1EEEvT1_
                                        ; -- End function
	.section	.AMDGPU.csdata,"",@progbits
; Kernel info:
; codeLenInByte = 0
; NumSgprs: 4
; NumVgprs: 0
; NumAgprs: 0
; TotalNumVgprs: 0
; ScratchSize: 0
; MemoryBound: 0
; FloatMode: 240
; IeeeMode: 1
; LDSByteSize: 0 bytes/workgroup (compile time only)
; SGPRBlocks: 0
; VGPRBlocks: 0
; NumSGPRsForWavesPerEU: 4
; NumVGPRsForWavesPerEU: 1
; AccumOffset: 4
; Occupancy: 8
; WaveLimiterHint : 0
; COMPUTE_PGM_RSRC2:SCRATCH_EN: 0
; COMPUTE_PGM_RSRC2:USER_SGPR: 6
; COMPUTE_PGM_RSRC2:TRAP_HANDLER: 0
; COMPUTE_PGM_RSRC2:TGID_X_EN: 1
; COMPUTE_PGM_RSRC2:TGID_Y_EN: 0
; COMPUTE_PGM_RSRC2:TGID_Z_EN: 0
; COMPUTE_PGM_RSRC2:TIDIG_COMP_CNT: 0
; COMPUTE_PGM_RSRC3_GFX90A:ACCUM_OFFSET: 0
; COMPUTE_PGM_RSRC3_GFX90A:TG_SPLIT: 0
	.section	.text._ZN7rocprim17ROCPRIM_400000_NS6detail17trampoline_kernelINS0_14default_configENS1_27scan_by_key_config_selectorIiiEEZZNS1_16scan_by_key_implILNS1_25lookback_scan_determinismE0ELb1ES3_N6thrust23THRUST_200600_302600_NS6detail15normal_iteratorINS9_10device_ptrIiEEEESE_SE_iNS9_10multipliesIiEENS9_8equal_toIiEEiEE10hipError_tPvRmT2_T3_T4_T5_mT6_T7_P12ihipStream_tbENKUlT_T0_E_clISt17integral_constantIbLb0EESZ_EEDaSU_SV_EUlSU_E_NS1_11comp_targetILNS1_3genE8ELNS1_11target_archE1030ELNS1_3gpuE2ELNS1_3repE0EEENS1_30default_config_static_selectorELNS0_4arch9wavefront6targetE1EEEvT1_,"axG",@progbits,_ZN7rocprim17ROCPRIM_400000_NS6detail17trampoline_kernelINS0_14default_configENS1_27scan_by_key_config_selectorIiiEEZZNS1_16scan_by_key_implILNS1_25lookback_scan_determinismE0ELb1ES3_N6thrust23THRUST_200600_302600_NS6detail15normal_iteratorINS9_10device_ptrIiEEEESE_SE_iNS9_10multipliesIiEENS9_8equal_toIiEEiEE10hipError_tPvRmT2_T3_T4_T5_mT6_T7_P12ihipStream_tbENKUlT_T0_E_clISt17integral_constantIbLb0EESZ_EEDaSU_SV_EUlSU_E_NS1_11comp_targetILNS1_3genE8ELNS1_11target_archE1030ELNS1_3gpuE2ELNS1_3repE0EEENS1_30default_config_static_selectorELNS0_4arch9wavefront6targetE1EEEvT1_,comdat
	.protected	_ZN7rocprim17ROCPRIM_400000_NS6detail17trampoline_kernelINS0_14default_configENS1_27scan_by_key_config_selectorIiiEEZZNS1_16scan_by_key_implILNS1_25lookback_scan_determinismE0ELb1ES3_N6thrust23THRUST_200600_302600_NS6detail15normal_iteratorINS9_10device_ptrIiEEEESE_SE_iNS9_10multipliesIiEENS9_8equal_toIiEEiEE10hipError_tPvRmT2_T3_T4_T5_mT6_T7_P12ihipStream_tbENKUlT_T0_E_clISt17integral_constantIbLb0EESZ_EEDaSU_SV_EUlSU_E_NS1_11comp_targetILNS1_3genE8ELNS1_11target_archE1030ELNS1_3gpuE2ELNS1_3repE0EEENS1_30default_config_static_selectorELNS0_4arch9wavefront6targetE1EEEvT1_ ; -- Begin function _ZN7rocprim17ROCPRIM_400000_NS6detail17trampoline_kernelINS0_14default_configENS1_27scan_by_key_config_selectorIiiEEZZNS1_16scan_by_key_implILNS1_25lookback_scan_determinismE0ELb1ES3_N6thrust23THRUST_200600_302600_NS6detail15normal_iteratorINS9_10device_ptrIiEEEESE_SE_iNS9_10multipliesIiEENS9_8equal_toIiEEiEE10hipError_tPvRmT2_T3_T4_T5_mT6_T7_P12ihipStream_tbENKUlT_T0_E_clISt17integral_constantIbLb0EESZ_EEDaSU_SV_EUlSU_E_NS1_11comp_targetILNS1_3genE8ELNS1_11target_archE1030ELNS1_3gpuE2ELNS1_3repE0EEENS1_30default_config_static_selectorELNS0_4arch9wavefront6targetE1EEEvT1_
	.globl	_ZN7rocprim17ROCPRIM_400000_NS6detail17trampoline_kernelINS0_14default_configENS1_27scan_by_key_config_selectorIiiEEZZNS1_16scan_by_key_implILNS1_25lookback_scan_determinismE0ELb1ES3_N6thrust23THRUST_200600_302600_NS6detail15normal_iteratorINS9_10device_ptrIiEEEESE_SE_iNS9_10multipliesIiEENS9_8equal_toIiEEiEE10hipError_tPvRmT2_T3_T4_T5_mT6_T7_P12ihipStream_tbENKUlT_T0_E_clISt17integral_constantIbLb0EESZ_EEDaSU_SV_EUlSU_E_NS1_11comp_targetILNS1_3genE8ELNS1_11target_archE1030ELNS1_3gpuE2ELNS1_3repE0EEENS1_30default_config_static_selectorELNS0_4arch9wavefront6targetE1EEEvT1_
	.p2align	8
	.type	_ZN7rocprim17ROCPRIM_400000_NS6detail17trampoline_kernelINS0_14default_configENS1_27scan_by_key_config_selectorIiiEEZZNS1_16scan_by_key_implILNS1_25lookback_scan_determinismE0ELb1ES3_N6thrust23THRUST_200600_302600_NS6detail15normal_iteratorINS9_10device_ptrIiEEEESE_SE_iNS9_10multipliesIiEENS9_8equal_toIiEEiEE10hipError_tPvRmT2_T3_T4_T5_mT6_T7_P12ihipStream_tbENKUlT_T0_E_clISt17integral_constantIbLb0EESZ_EEDaSU_SV_EUlSU_E_NS1_11comp_targetILNS1_3genE8ELNS1_11target_archE1030ELNS1_3gpuE2ELNS1_3repE0EEENS1_30default_config_static_selectorELNS0_4arch9wavefront6targetE1EEEvT1_,@function
_ZN7rocprim17ROCPRIM_400000_NS6detail17trampoline_kernelINS0_14default_configENS1_27scan_by_key_config_selectorIiiEEZZNS1_16scan_by_key_implILNS1_25lookback_scan_determinismE0ELb1ES3_N6thrust23THRUST_200600_302600_NS6detail15normal_iteratorINS9_10device_ptrIiEEEESE_SE_iNS9_10multipliesIiEENS9_8equal_toIiEEiEE10hipError_tPvRmT2_T3_T4_T5_mT6_T7_P12ihipStream_tbENKUlT_T0_E_clISt17integral_constantIbLb0EESZ_EEDaSU_SV_EUlSU_E_NS1_11comp_targetILNS1_3genE8ELNS1_11target_archE1030ELNS1_3gpuE2ELNS1_3repE0EEENS1_30default_config_static_selectorELNS0_4arch9wavefront6targetE1EEEvT1_: ; @_ZN7rocprim17ROCPRIM_400000_NS6detail17trampoline_kernelINS0_14default_configENS1_27scan_by_key_config_selectorIiiEEZZNS1_16scan_by_key_implILNS1_25lookback_scan_determinismE0ELb1ES3_N6thrust23THRUST_200600_302600_NS6detail15normal_iteratorINS9_10device_ptrIiEEEESE_SE_iNS9_10multipliesIiEENS9_8equal_toIiEEiEE10hipError_tPvRmT2_T3_T4_T5_mT6_T7_P12ihipStream_tbENKUlT_T0_E_clISt17integral_constantIbLb0EESZ_EEDaSU_SV_EUlSU_E_NS1_11comp_targetILNS1_3genE8ELNS1_11target_archE1030ELNS1_3gpuE2ELNS1_3repE0EEENS1_30default_config_static_selectorELNS0_4arch9wavefront6targetE1EEEvT1_
; %bb.0:
	.section	.rodata,"a",@progbits
	.p2align	6, 0x0
	.amdhsa_kernel _ZN7rocprim17ROCPRIM_400000_NS6detail17trampoline_kernelINS0_14default_configENS1_27scan_by_key_config_selectorIiiEEZZNS1_16scan_by_key_implILNS1_25lookback_scan_determinismE0ELb1ES3_N6thrust23THRUST_200600_302600_NS6detail15normal_iteratorINS9_10device_ptrIiEEEESE_SE_iNS9_10multipliesIiEENS9_8equal_toIiEEiEE10hipError_tPvRmT2_T3_T4_T5_mT6_T7_P12ihipStream_tbENKUlT_T0_E_clISt17integral_constantIbLb0EESZ_EEDaSU_SV_EUlSU_E_NS1_11comp_targetILNS1_3genE8ELNS1_11target_archE1030ELNS1_3gpuE2ELNS1_3repE0EEENS1_30default_config_static_selectorELNS0_4arch9wavefront6targetE1EEEvT1_
		.amdhsa_group_segment_fixed_size 0
		.amdhsa_private_segment_fixed_size 0
		.amdhsa_kernarg_size 112
		.amdhsa_user_sgpr_count 6
		.amdhsa_user_sgpr_private_segment_buffer 1
		.amdhsa_user_sgpr_dispatch_ptr 0
		.amdhsa_user_sgpr_queue_ptr 0
		.amdhsa_user_sgpr_kernarg_segment_ptr 1
		.amdhsa_user_sgpr_dispatch_id 0
		.amdhsa_user_sgpr_flat_scratch_init 0
		.amdhsa_user_sgpr_kernarg_preload_length 0
		.amdhsa_user_sgpr_kernarg_preload_offset 0
		.amdhsa_user_sgpr_private_segment_size 0
		.amdhsa_uses_dynamic_stack 0
		.amdhsa_system_sgpr_private_segment_wavefront_offset 0
		.amdhsa_system_sgpr_workgroup_id_x 1
		.amdhsa_system_sgpr_workgroup_id_y 0
		.amdhsa_system_sgpr_workgroup_id_z 0
		.amdhsa_system_sgpr_workgroup_info 0
		.amdhsa_system_vgpr_workitem_id 0
		.amdhsa_next_free_vgpr 1
		.amdhsa_next_free_sgpr 0
		.amdhsa_accum_offset 4
		.amdhsa_reserve_vcc 0
		.amdhsa_reserve_flat_scratch 0
		.amdhsa_float_round_mode_32 0
		.amdhsa_float_round_mode_16_64 0
		.amdhsa_float_denorm_mode_32 3
		.amdhsa_float_denorm_mode_16_64 3
		.amdhsa_dx10_clamp 1
		.amdhsa_ieee_mode 1
		.amdhsa_fp16_overflow 0
		.amdhsa_tg_split 0
		.amdhsa_exception_fp_ieee_invalid_op 0
		.amdhsa_exception_fp_denorm_src 0
		.amdhsa_exception_fp_ieee_div_zero 0
		.amdhsa_exception_fp_ieee_overflow 0
		.amdhsa_exception_fp_ieee_underflow 0
		.amdhsa_exception_fp_ieee_inexact 0
		.amdhsa_exception_int_div_zero 0
	.end_amdhsa_kernel
	.section	.text._ZN7rocprim17ROCPRIM_400000_NS6detail17trampoline_kernelINS0_14default_configENS1_27scan_by_key_config_selectorIiiEEZZNS1_16scan_by_key_implILNS1_25lookback_scan_determinismE0ELb1ES3_N6thrust23THRUST_200600_302600_NS6detail15normal_iteratorINS9_10device_ptrIiEEEESE_SE_iNS9_10multipliesIiEENS9_8equal_toIiEEiEE10hipError_tPvRmT2_T3_T4_T5_mT6_T7_P12ihipStream_tbENKUlT_T0_E_clISt17integral_constantIbLb0EESZ_EEDaSU_SV_EUlSU_E_NS1_11comp_targetILNS1_3genE8ELNS1_11target_archE1030ELNS1_3gpuE2ELNS1_3repE0EEENS1_30default_config_static_selectorELNS0_4arch9wavefront6targetE1EEEvT1_,"axG",@progbits,_ZN7rocprim17ROCPRIM_400000_NS6detail17trampoline_kernelINS0_14default_configENS1_27scan_by_key_config_selectorIiiEEZZNS1_16scan_by_key_implILNS1_25lookback_scan_determinismE0ELb1ES3_N6thrust23THRUST_200600_302600_NS6detail15normal_iteratorINS9_10device_ptrIiEEEESE_SE_iNS9_10multipliesIiEENS9_8equal_toIiEEiEE10hipError_tPvRmT2_T3_T4_T5_mT6_T7_P12ihipStream_tbENKUlT_T0_E_clISt17integral_constantIbLb0EESZ_EEDaSU_SV_EUlSU_E_NS1_11comp_targetILNS1_3genE8ELNS1_11target_archE1030ELNS1_3gpuE2ELNS1_3repE0EEENS1_30default_config_static_selectorELNS0_4arch9wavefront6targetE1EEEvT1_,comdat
.Lfunc_end505:
	.size	_ZN7rocprim17ROCPRIM_400000_NS6detail17trampoline_kernelINS0_14default_configENS1_27scan_by_key_config_selectorIiiEEZZNS1_16scan_by_key_implILNS1_25lookback_scan_determinismE0ELb1ES3_N6thrust23THRUST_200600_302600_NS6detail15normal_iteratorINS9_10device_ptrIiEEEESE_SE_iNS9_10multipliesIiEENS9_8equal_toIiEEiEE10hipError_tPvRmT2_T3_T4_T5_mT6_T7_P12ihipStream_tbENKUlT_T0_E_clISt17integral_constantIbLb0EESZ_EEDaSU_SV_EUlSU_E_NS1_11comp_targetILNS1_3genE8ELNS1_11target_archE1030ELNS1_3gpuE2ELNS1_3repE0EEENS1_30default_config_static_selectorELNS0_4arch9wavefront6targetE1EEEvT1_, .Lfunc_end505-_ZN7rocprim17ROCPRIM_400000_NS6detail17trampoline_kernelINS0_14default_configENS1_27scan_by_key_config_selectorIiiEEZZNS1_16scan_by_key_implILNS1_25lookback_scan_determinismE0ELb1ES3_N6thrust23THRUST_200600_302600_NS6detail15normal_iteratorINS9_10device_ptrIiEEEESE_SE_iNS9_10multipliesIiEENS9_8equal_toIiEEiEE10hipError_tPvRmT2_T3_T4_T5_mT6_T7_P12ihipStream_tbENKUlT_T0_E_clISt17integral_constantIbLb0EESZ_EEDaSU_SV_EUlSU_E_NS1_11comp_targetILNS1_3genE8ELNS1_11target_archE1030ELNS1_3gpuE2ELNS1_3repE0EEENS1_30default_config_static_selectorELNS0_4arch9wavefront6targetE1EEEvT1_
                                        ; -- End function
	.section	.AMDGPU.csdata,"",@progbits
; Kernel info:
; codeLenInByte = 0
; NumSgprs: 4
; NumVgprs: 0
; NumAgprs: 0
; TotalNumVgprs: 0
; ScratchSize: 0
; MemoryBound: 0
; FloatMode: 240
; IeeeMode: 1
; LDSByteSize: 0 bytes/workgroup (compile time only)
; SGPRBlocks: 0
; VGPRBlocks: 0
; NumSGPRsForWavesPerEU: 4
; NumVGPRsForWavesPerEU: 1
; AccumOffset: 4
; Occupancy: 8
; WaveLimiterHint : 0
; COMPUTE_PGM_RSRC2:SCRATCH_EN: 0
; COMPUTE_PGM_RSRC2:USER_SGPR: 6
; COMPUTE_PGM_RSRC2:TRAP_HANDLER: 0
; COMPUTE_PGM_RSRC2:TGID_X_EN: 1
; COMPUTE_PGM_RSRC2:TGID_Y_EN: 0
; COMPUTE_PGM_RSRC2:TGID_Z_EN: 0
; COMPUTE_PGM_RSRC2:TIDIG_COMP_CNT: 0
; COMPUTE_PGM_RSRC3_GFX90A:ACCUM_OFFSET: 0
; COMPUTE_PGM_RSRC3_GFX90A:TG_SPLIT: 0
	.section	.text._ZN7rocprim17ROCPRIM_400000_NS6detail17trampoline_kernelINS0_14default_configENS1_27scan_by_key_config_selectorIiiEEZZNS1_16scan_by_key_implILNS1_25lookback_scan_determinismE0ELb1ES3_N6thrust23THRUST_200600_302600_NS6detail15normal_iteratorINS9_10device_ptrIiEEEESE_SE_iNS9_10multipliesIiEENS9_8equal_toIiEEiEE10hipError_tPvRmT2_T3_T4_T5_mT6_T7_P12ihipStream_tbENKUlT_T0_E_clISt17integral_constantIbLb1EESZ_EEDaSU_SV_EUlSU_E_NS1_11comp_targetILNS1_3genE0ELNS1_11target_archE4294967295ELNS1_3gpuE0ELNS1_3repE0EEENS1_30default_config_static_selectorELNS0_4arch9wavefront6targetE1EEEvT1_,"axG",@progbits,_ZN7rocprim17ROCPRIM_400000_NS6detail17trampoline_kernelINS0_14default_configENS1_27scan_by_key_config_selectorIiiEEZZNS1_16scan_by_key_implILNS1_25lookback_scan_determinismE0ELb1ES3_N6thrust23THRUST_200600_302600_NS6detail15normal_iteratorINS9_10device_ptrIiEEEESE_SE_iNS9_10multipliesIiEENS9_8equal_toIiEEiEE10hipError_tPvRmT2_T3_T4_T5_mT6_T7_P12ihipStream_tbENKUlT_T0_E_clISt17integral_constantIbLb1EESZ_EEDaSU_SV_EUlSU_E_NS1_11comp_targetILNS1_3genE0ELNS1_11target_archE4294967295ELNS1_3gpuE0ELNS1_3repE0EEENS1_30default_config_static_selectorELNS0_4arch9wavefront6targetE1EEEvT1_,comdat
	.protected	_ZN7rocprim17ROCPRIM_400000_NS6detail17trampoline_kernelINS0_14default_configENS1_27scan_by_key_config_selectorIiiEEZZNS1_16scan_by_key_implILNS1_25lookback_scan_determinismE0ELb1ES3_N6thrust23THRUST_200600_302600_NS6detail15normal_iteratorINS9_10device_ptrIiEEEESE_SE_iNS9_10multipliesIiEENS9_8equal_toIiEEiEE10hipError_tPvRmT2_T3_T4_T5_mT6_T7_P12ihipStream_tbENKUlT_T0_E_clISt17integral_constantIbLb1EESZ_EEDaSU_SV_EUlSU_E_NS1_11comp_targetILNS1_3genE0ELNS1_11target_archE4294967295ELNS1_3gpuE0ELNS1_3repE0EEENS1_30default_config_static_selectorELNS0_4arch9wavefront6targetE1EEEvT1_ ; -- Begin function _ZN7rocprim17ROCPRIM_400000_NS6detail17trampoline_kernelINS0_14default_configENS1_27scan_by_key_config_selectorIiiEEZZNS1_16scan_by_key_implILNS1_25lookback_scan_determinismE0ELb1ES3_N6thrust23THRUST_200600_302600_NS6detail15normal_iteratorINS9_10device_ptrIiEEEESE_SE_iNS9_10multipliesIiEENS9_8equal_toIiEEiEE10hipError_tPvRmT2_T3_T4_T5_mT6_T7_P12ihipStream_tbENKUlT_T0_E_clISt17integral_constantIbLb1EESZ_EEDaSU_SV_EUlSU_E_NS1_11comp_targetILNS1_3genE0ELNS1_11target_archE4294967295ELNS1_3gpuE0ELNS1_3repE0EEENS1_30default_config_static_selectorELNS0_4arch9wavefront6targetE1EEEvT1_
	.globl	_ZN7rocprim17ROCPRIM_400000_NS6detail17trampoline_kernelINS0_14default_configENS1_27scan_by_key_config_selectorIiiEEZZNS1_16scan_by_key_implILNS1_25lookback_scan_determinismE0ELb1ES3_N6thrust23THRUST_200600_302600_NS6detail15normal_iteratorINS9_10device_ptrIiEEEESE_SE_iNS9_10multipliesIiEENS9_8equal_toIiEEiEE10hipError_tPvRmT2_T3_T4_T5_mT6_T7_P12ihipStream_tbENKUlT_T0_E_clISt17integral_constantIbLb1EESZ_EEDaSU_SV_EUlSU_E_NS1_11comp_targetILNS1_3genE0ELNS1_11target_archE4294967295ELNS1_3gpuE0ELNS1_3repE0EEENS1_30default_config_static_selectorELNS0_4arch9wavefront6targetE1EEEvT1_
	.p2align	8
	.type	_ZN7rocprim17ROCPRIM_400000_NS6detail17trampoline_kernelINS0_14default_configENS1_27scan_by_key_config_selectorIiiEEZZNS1_16scan_by_key_implILNS1_25lookback_scan_determinismE0ELb1ES3_N6thrust23THRUST_200600_302600_NS6detail15normal_iteratorINS9_10device_ptrIiEEEESE_SE_iNS9_10multipliesIiEENS9_8equal_toIiEEiEE10hipError_tPvRmT2_T3_T4_T5_mT6_T7_P12ihipStream_tbENKUlT_T0_E_clISt17integral_constantIbLb1EESZ_EEDaSU_SV_EUlSU_E_NS1_11comp_targetILNS1_3genE0ELNS1_11target_archE4294967295ELNS1_3gpuE0ELNS1_3repE0EEENS1_30default_config_static_selectorELNS0_4arch9wavefront6targetE1EEEvT1_,@function
_ZN7rocprim17ROCPRIM_400000_NS6detail17trampoline_kernelINS0_14default_configENS1_27scan_by_key_config_selectorIiiEEZZNS1_16scan_by_key_implILNS1_25lookback_scan_determinismE0ELb1ES3_N6thrust23THRUST_200600_302600_NS6detail15normal_iteratorINS9_10device_ptrIiEEEESE_SE_iNS9_10multipliesIiEENS9_8equal_toIiEEiEE10hipError_tPvRmT2_T3_T4_T5_mT6_T7_P12ihipStream_tbENKUlT_T0_E_clISt17integral_constantIbLb1EESZ_EEDaSU_SV_EUlSU_E_NS1_11comp_targetILNS1_3genE0ELNS1_11target_archE4294967295ELNS1_3gpuE0ELNS1_3repE0EEENS1_30default_config_static_selectorELNS0_4arch9wavefront6targetE1EEEvT1_: ; @_ZN7rocprim17ROCPRIM_400000_NS6detail17trampoline_kernelINS0_14default_configENS1_27scan_by_key_config_selectorIiiEEZZNS1_16scan_by_key_implILNS1_25lookback_scan_determinismE0ELb1ES3_N6thrust23THRUST_200600_302600_NS6detail15normal_iteratorINS9_10device_ptrIiEEEESE_SE_iNS9_10multipliesIiEENS9_8equal_toIiEEiEE10hipError_tPvRmT2_T3_T4_T5_mT6_T7_P12ihipStream_tbENKUlT_T0_E_clISt17integral_constantIbLb1EESZ_EEDaSU_SV_EUlSU_E_NS1_11comp_targetILNS1_3genE0ELNS1_11target_archE4294967295ELNS1_3gpuE0ELNS1_3repE0EEENS1_30default_config_static_selectorELNS0_4arch9wavefront6targetE1EEEvT1_
; %bb.0:
	.section	.rodata,"a",@progbits
	.p2align	6, 0x0
	.amdhsa_kernel _ZN7rocprim17ROCPRIM_400000_NS6detail17trampoline_kernelINS0_14default_configENS1_27scan_by_key_config_selectorIiiEEZZNS1_16scan_by_key_implILNS1_25lookback_scan_determinismE0ELb1ES3_N6thrust23THRUST_200600_302600_NS6detail15normal_iteratorINS9_10device_ptrIiEEEESE_SE_iNS9_10multipliesIiEENS9_8equal_toIiEEiEE10hipError_tPvRmT2_T3_T4_T5_mT6_T7_P12ihipStream_tbENKUlT_T0_E_clISt17integral_constantIbLb1EESZ_EEDaSU_SV_EUlSU_E_NS1_11comp_targetILNS1_3genE0ELNS1_11target_archE4294967295ELNS1_3gpuE0ELNS1_3repE0EEENS1_30default_config_static_selectorELNS0_4arch9wavefront6targetE1EEEvT1_
		.amdhsa_group_segment_fixed_size 0
		.amdhsa_private_segment_fixed_size 0
		.amdhsa_kernarg_size 112
		.amdhsa_user_sgpr_count 6
		.amdhsa_user_sgpr_private_segment_buffer 1
		.amdhsa_user_sgpr_dispatch_ptr 0
		.amdhsa_user_sgpr_queue_ptr 0
		.amdhsa_user_sgpr_kernarg_segment_ptr 1
		.amdhsa_user_sgpr_dispatch_id 0
		.amdhsa_user_sgpr_flat_scratch_init 0
		.amdhsa_user_sgpr_kernarg_preload_length 0
		.amdhsa_user_sgpr_kernarg_preload_offset 0
		.amdhsa_user_sgpr_private_segment_size 0
		.amdhsa_uses_dynamic_stack 0
		.amdhsa_system_sgpr_private_segment_wavefront_offset 0
		.amdhsa_system_sgpr_workgroup_id_x 1
		.amdhsa_system_sgpr_workgroup_id_y 0
		.amdhsa_system_sgpr_workgroup_id_z 0
		.amdhsa_system_sgpr_workgroup_info 0
		.amdhsa_system_vgpr_workitem_id 0
		.amdhsa_next_free_vgpr 1
		.amdhsa_next_free_sgpr 0
		.amdhsa_accum_offset 4
		.amdhsa_reserve_vcc 0
		.amdhsa_reserve_flat_scratch 0
		.amdhsa_float_round_mode_32 0
		.amdhsa_float_round_mode_16_64 0
		.amdhsa_float_denorm_mode_32 3
		.amdhsa_float_denorm_mode_16_64 3
		.amdhsa_dx10_clamp 1
		.amdhsa_ieee_mode 1
		.amdhsa_fp16_overflow 0
		.amdhsa_tg_split 0
		.amdhsa_exception_fp_ieee_invalid_op 0
		.amdhsa_exception_fp_denorm_src 0
		.amdhsa_exception_fp_ieee_div_zero 0
		.amdhsa_exception_fp_ieee_overflow 0
		.amdhsa_exception_fp_ieee_underflow 0
		.amdhsa_exception_fp_ieee_inexact 0
		.amdhsa_exception_int_div_zero 0
	.end_amdhsa_kernel
	.section	.text._ZN7rocprim17ROCPRIM_400000_NS6detail17trampoline_kernelINS0_14default_configENS1_27scan_by_key_config_selectorIiiEEZZNS1_16scan_by_key_implILNS1_25lookback_scan_determinismE0ELb1ES3_N6thrust23THRUST_200600_302600_NS6detail15normal_iteratorINS9_10device_ptrIiEEEESE_SE_iNS9_10multipliesIiEENS9_8equal_toIiEEiEE10hipError_tPvRmT2_T3_T4_T5_mT6_T7_P12ihipStream_tbENKUlT_T0_E_clISt17integral_constantIbLb1EESZ_EEDaSU_SV_EUlSU_E_NS1_11comp_targetILNS1_3genE0ELNS1_11target_archE4294967295ELNS1_3gpuE0ELNS1_3repE0EEENS1_30default_config_static_selectorELNS0_4arch9wavefront6targetE1EEEvT1_,"axG",@progbits,_ZN7rocprim17ROCPRIM_400000_NS6detail17trampoline_kernelINS0_14default_configENS1_27scan_by_key_config_selectorIiiEEZZNS1_16scan_by_key_implILNS1_25lookback_scan_determinismE0ELb1ES3_N6thrust23THRUST_200600_302600_NS6detail15normal_iteratorINS9_10device_ptrIiEEEESE_SE_iNS9_10multipliesIiEENS9_8equal_toIiEEiEE10hipError_tPvRmT2_T3_T4_T5_mT6_T7_P12ihipStream_tbENKUlT_T0_E_clISt17integral_constantIbLb1EESZ_EEDaSU_SV_EUlSU_E_NS1_11comp_targetILNS1_3genE0ELNS1_11target_archE4294967295ELNS1_3gpuE0ELNS1_3repE0EEENS1_30default_config_static_selectorELNS0_4arch9wavefront6targetE1EEEvT1_,comdat
.Lfunc_end506:
	.size	_ZN7rocprim17ROCPRIM_400000_NS6detail17trampoline_kernelINS0_14default_configENS1_27scan_by_key_config_selectorIiiEEZZNS1_16scan_by_key_implILNS1_25lookback_scan_determinismE0ELb1ES3_N6thrust23THRUST_200600_302600_NS6detail15normal_iteratorINS9_10device_ptrIiEEEESE_SE_iNS9_10multipliesIiEENS9_8equal_toIiEEiEE10hipError_tPvRmT2_T3_T4_T5_mT6_T7_P12ihipStream_tbENKUlT_T0_E_clISt17integral_constantIbLb1EESZ_EEDaSU_SV_EUlSU_E_NS1_11comp_targetILNS1_3genE0ELNS1_11target_archE4294967295ELNS1_3gpuE0ELNS1_3repE0EEENS1_30default_config_static_selectorELNS0_4arch9wavefront6targetE1EEEvT1_, .Lfunc_end506-_ZN7rocprim17ROCPRIM_400000_NS6detail17trampoline_kernelINS0_14default_configENS1_27scan_by_key_config_selectorIiiEEZZNS1_16scan_by_key_implILNS1_25lookback_scan_determinismE0ELb1ES3_N6thrust23THRUST_200600_302600_NS6detail15normal_iteratorINS9_10device_ptrIiEEEESE_SE_iNS9_10multipliesIiEENS9_8equal_toIiEEiEE10hipError_tPvRmT2_T3_T4_T5_mT6_T7_P12ihipStream_tbENKUlT_T0_E_clISt17integral_constantIbLb1EESZ_EEDaSU_SV_EUlSU_E_NS1_11comp_targetILNS1_3genE0ELNS1_11target_archE4294967295ELNS1_3gpuE0ELNS1_3repE0EEENS1_30default_config_static_selectorELNS0_4arch9wavefront6targetE1EEEvT1_
                                        ; -- End function
	.section	.AMDGPU.csdata,"",@progbits
; Kernel info:
; codeLenInByte = 0
; NumSgprs: 4
; NumVgprs: 0
; NumAgprs: 0
; TotalNumVgprs: 0
; ScratchSize: 0
; MemoryBound: 0
; FloatMode: 240
; IeeeMode: 1
; LDSByteSize: 0 bytes/workgroup (compile time only)
; SGPRBlocks: 0
; VGPRBlocks: 0
; NumSGPRsForWavesPerEU: 4
; NumVGPRsForWavesPerEU: 1
; AccumOffset: 4
; Occupancy: 8
; WaveLimiterHint : 0
; COMPUTE_PGM_RSRC2:SCRATCH_EN: 0
; COMPUTE_PGM_RSRC2:USER_SGPR: 6
; COMPUTE_PGM_RSRC2:TRAP_HANDLER: 0
; COMPUTE_PGM_RSRC2:TGID_X_EN: 1
; COMPUTE_PGM_RSRC2:TGID_Y_EN: 0
; COMPUTE_PGM_RSRC2:TGID_Z_EN: 0
; COMPUTE_PGM_RSRC2:TIDIG_COMP_CNT: 0
; COMPUTE_PGM_RSRC3_GFX90A:ACCUM_OFFSET: 0
; COMPUTE_PGM_RSRC3_GFX90A:TG_SPLIT: 0
	.section	.text._ZN7rocprim17ROCPRIM_400000_NS6detail17trampoline_kernelINS0_14default_configENS1_27scan_by_key_config_selectorIiiEEZZNS1_16scan_by_key_implILNS1_25lookback_scan_determinismE0ELb1ES3_N6thrust23THRUST_200600_302600_NS6detail15normal_iteratorINS9_10device_ptrIiEEEESE_SE_iNS9_10multipliesIiEENS9_8equal_toIiEEiEE10hipError_tPvRmT2_T3_T4_T5_mT6_T7_P12ihipStream_tbENKUlT_T0_E_clISt17integral_constantIbLb1EESZ_EEDaSU_SV_EUlSU_E_NS1_11comp_targetILNS1_3genE10ELNS1_11target_archE1201ELNS1_3gpuE5ELNS1_3repE0EEENS1_30default_config_static_selectorELNS0_4arch9wavefront6targetE1EEEvT1_,"axG",@progbits,_ZN7rocprim17ROCPRIM_400000_NS6detail17trampoline_kernelINS0_14default_configENS1_27scan_by_key_config_selectorIiiEEZZNS1_16scan_by_key_implILNS1_25lookback_scan_determinismE0ELb1ES3_N6thrust23THRUST_200600_302600_NS6detail15normal_iteratorINS9_10device_ptrIiEEEESE_SE_iNS9_10multipliesIiEENS9_8equal_toIiEEiEE10hipError_tPvRmT2_T3_T4_T5_mT6_T7_P12ihipStream_tbENKUlT_T0_E_clISt17integral_constantIbLb1EESZ_EEDaSU_SV_EUlSU_E_NS1_11comp_targetILNS1_3genE10ELNS1_11target_archE1201ELNS1_3gpuE5ELNS1_3repE0EEENS1_30default_config_static_selectorELNS0_4arch9wavefront6targetE1EEEvT1_,comdat
	.protected	_ZN7rocprim17ROCPRIM_400000_NS6detail17trampoline_kernelINS0_14default_configENS1_27scan_by_key_config_selectorIiiEEZZNS1_16scan_by_key_implILNS1_25lookback_scan_determinismE0ELb1ES3_N6thrust23THRUST_200600_302600_NS6detail15normal_iteratorINS9_10device_ptrIiEEEESE_SE_iNS9_10multipliesIiEENS9_8equal_toIiEEiEE10hipError_tPvRmT2_T3_T4_T5_mT6_T7_P12ihipStream_tbENKUlT_T0_E_clISt17integral_constantIbLb1EESZ_EEDaSU_SV_EUlSU_E_NS1_11comp_targetILNS1_3genE10ELNS1_11target_archE1201ELNS1_3gpuE5ELNS1_3repE0EEENS1_30default_config_static_selectorELNS0_4arch9wavefront6targetE1EEEvT1_ ; -- Begin function _ZN7rocprim17ROCPRIM_400000_NS6detail17trampoline_kernelINS0_14default_configENS1_27scan_by_key_config_selectorIiiEEZZNS1_16scan_by_key_implILNS1_25lookback_scan_determinismE0ELb1ES3_N6thrust23THRUST_200600_302600_NS6detail15normal_iteratorINS9_10device_ptrIiEEEESE_SE_iNS9_10multipliesIiEENS9_8equal_toIiEEiEE10hipError_tPvRmT2_T3_T4_T5_mT6_T7_P12ihipStream_tbENKUlT_T0_E_clISt17integral_constantIbLb1EESZ_EEDaSU_SV_EUlSU_E_NS1_11comp_targetILNS1_3genE10ELNS1_11target_archE1201ELNS1_3gpuE5ELNS1_3repE0EEENS1_30default_config_static_selectorELNS0_4arch9wavefront6targetE1EEEvT1_
	.globl	_ZN7rocprim17ROCPRIM_400000_NS6detail17trampoline_kernelINS0_14default_configENS1_27scan_by_key_config_selectorIiiEEZZNS1_16scan_by_key_implILNS1_25lookback_scan_determinismE0ELb1ES3_N6thrust23THRUST_200600_302600_NS6detail15normal_iteratorINS9_10device_ptrIiEEEESE_SE_iNS9_10multipliesIiEENS9_8equal_toIiEEiEE10hipError_tPvRmT2_T3_T4_T5_mT6_T7_P12ihipStream_tbENKUlT_T0_E_clISt17integral_constantIbLb1EESZ_EEDaSU_SV_EUlSU_E_NS1_11comp_targetILNS1_3genE10ELNS1_11target_archE1201ELNS1_3gpuE5ELNS1_3repE0EEENS1_30default_config_static_selectorELNS0_4arch9wavefront6targetE1EEEvT1_
	.p2align	8
	.type	_ZN7rocprim17ROCPRIM_400000_NS6detail17trampoline_kernelINS0_14default_configENS1_27scan_by_key_config_selectorIiiEEZZNS1_16scan_by_key_implILNS1_25lookback_scan_determinismE0ELb1ES3_N6thrust23THRUST_200600_302600_NS6detail15normal_iteratorINS9_10device_ptrIiEEEESE_SE_iNS9_10multipliesIiEENS9_8equal_toIiEEiEE10hipError_tPvRmT2_T3_T4_T5_mT6_T7_P12ihipStream_tbENKUlT_T0_E_clISt17integral_constantIbLb1EESZ_EEDaSU_SV_EUlSU_E_NS1_11comp_targetILNS1_3genE10ELNS1_11target_archE1201ELNS1_3gpuE5ELNS1_3repE0EEENS1_30default_config_static_selectorELNS0_4arch9wavefront6targetE1EEEvT1_,@function
_ZN7rocprim17ROCPRIM_400000_NS6detail17trampoline_kernelINS0_14default_configENS1_27scan_by_key_config_selectorIiiEEZZNS1_16scan_by_key_implILNS1_25lookback_scan_determinismE0ELb1ES3_N6thrust23THRUST_200600_302600_NS6detail15normal_iteratorINS9_10device_ptrIiEEEESE_SE_iNS9_10multipliesIiEENS9_8equal_toIiEEiEE10hipError_tPvRmT2_T3_T4_T5_mT6_T7_P12ihipStream_tbENKUlT_T0_E_clISt17integral_constantIbLb1EESZ_EEDaSU_SV_EUlSU_E_NS1_11comp_targetILNS1_3genE10ELNS1_11target_archE1201ELNS1_3gpuE5ELNS1_3repE0EEENS1_30default_config_static_selectorELNS0_4arch9wavefront6targetE1EEEvT1_: ; @_ZN7rocprim17ROCPRIM_400000_NS6detail17trampoline_kernelINS0_14default_configENS1_27scan_by_key_config_selectorIiiEEZZNS1_16scan_by_key_implILNS1_25lookback_scan_determinismE0ELb1ES3_N6thrust23THRUST_200600_302600_NS6detail15normal_iteratorINS9_10device_ptrIiEEEESE_SE_iNS9_10multipliesIiEENS9_8equal_toIiEEiEE10hipError_tPvRmT2_T3_T4_T5_mT6_T7_P12ihipStream_tbENKUlT_T0_E_clISt17integral_constantIbLb1EESZ_EEDaSU_SV_EUlSU_E_NS1_11comp_targetILNS1_3genE10ELNS1_11target_archE1201ELNS1_3gpuE5ELNS1_3repE0EEENS1_30default_config_static_selectorELNS0_4arch9wavefront6targetE1EEEvT1_
; %bb.0:
	.section	.rodata,"a",@progbits
	.p2align	6, 0x0
	.amdhsa_kernel _ZN7rocprim17ROCPRIM_400000_NS6detail17trampoline_kernelINS0_14default_configENS1_27scan_by_key_config_selectorIiiEEZZNS1_16scan_by_key_implILNS1_25lookback_scan_determinismE0ELb1ES3_N6thrust23THRUST_200600_302600_NS6detail15normal_iteratorINS9_10device_ptrIiEEEESE_SE_iNS9_10multipliesIiEENS9_8equal_toIiEEiEE10hipError_tPvRmT2_T3_T4_T5_mT6_T7_P12ihipStream_tbENKUlT_T0_E_clISt17integral_constantIbLb1EESZ_EEDaSU_SV_EUlSU_E_NS1_11comp_targetILNS1_3genE10ELNS1_11target_archE1201ELNS1_3gpuE5ELNS1_3repE0EEENS1_30default_config_static_selectorELNS0_4arch9wavefront6targetE1EEEvT1_
		.amdhsa_group_segment_fixed_size 0
		.amdhsa_private_segment_fixed_size 0
		.amdhsa_kernarg_size 112
		.amdhsa_user_sgpr_count 6
		.amdhsa_user_sgpr_private_segment_buffer 1
		.amdhsa_user_sgpr_dispatch_ptr 0
		.amdhsa_user_sgpr_queue_ptr 0
		.amdhsa_user_sgpr_kernarg_segment_ptr 1
		.amdhsa_user_sgpr_dispatch_id 0
		.amdhsa_user_sgpr_flat_scratch_init 0
		.amdhsa_user_sgpr_kernarg_preload_length 0
		.amdhsa_user_sgpr_kernarg_preload_offset 0
		.amdhsa_user_sgpr_private_segment_size 0
		.amdhsa_uses_dynamic_stack 0
		.amdhsa_system_sgpr_private_segment_wavefront_offset 0
		.amdhsa_system_sgpr_workgroup_id_x 1
		.amdhsa_system_sgpr_workgroup_id_y 0
		.amdhsa_system_sgpr_workgroup_id_z 0
		.amdhsa_system_sgpr_workgroup_info 0
		.amdhsa_system_vgpr_workitem_id 0
		.amdhsa_next_free_vgpr 1
		.amdhsa_next_free_sgpr 0
		.amdhsa_accum_offset 4
		.amdhsa_reserve_vcc 0
		.amdhsa_reserve_flat_scratch 0
		.amdhsa_float_round_mode_32 0
		.amdhsa_float_round_mode_16_64 0
		.amdhsa_float_denorm_mode_32 3
		.amdhsa_float_denorm_mode_16_64 3
		.amdhsa_dx10_clamp 1
		.amdhsa_ieee_mode 1
		.amdhsa_fp16_overflow 0
		.amdhsa_tg_split 0
		.amdhsa_exception_fp_ieee_invalid_op 0
		.amdhsa_exception_fp_denorm_src 0
		.amdhsa_exception_fp_ieee_div_zero 0
		.amdhsa_exception_fp_ieee_overflow 0
		.amdhsa_exception_fp_ieee_underflow 0
		.amdhsa_exception_fp_ieee_inexact 0
		.amdhsa_exception_int_div_zero 0
	.end_amdhsa_kernel
	.section	.text._ZN7rocprim17ROCPRIM_400000_NS6detail17trampoline_kernelINS0_14default_configENS1_27scan_by_key_config_selectorIiiEEZZNS1_16scan_by_key_implILNS1_25lookback_scan_determinismE0ELb1ES3_N6thrust23THRUST_200600_302600_NS6detail15normal_iteratorINS9_10device_ptrIiEEEESE_SE_iNS9_10multipliesIiEENS9_8equal_toIiEEiEE10hipError_tPvRmT2_T3_T4_T5_mT6_T7_P12ihipStream_tbENKUlT_T0_E_clISt17integral_constantIbLb1EESZ_EEDaSU_SV_EUlSU_E_NS1_11comp_targetILNS1_3genE10ELNS1_11target_archE1201ELNS1_3gpuE5ELNS1_3repE0EEENS1_30default_config_static_selectorELNS0_4arch9wavefront6targetE1EEEvT1_,"axG",@progbits,_ZN7rocprim17ROCPRIM_400000_NS6detail17trampoline_kernelINS0_14default_configENS1_27scan_by_key_config_selectorIiiEEZZNS1_16scan_by_key_implILNS1_25lookback_scan_determinismE0ELb1ES3_N6thrust23THRUST_200600_302600_NS6detail15normal_iteratorINS9_10device_ptrIiEEEESE_SE_iNS9_10multipliesIiEENS9_8equal_toIiEEiEE10hipError_tPvRmT2_T3_T4_T5_mT6_T7_P12ihipStream_tbENKUlT_T0_E_clISt17integral_constantIbLb1EESZ_EEDaSU_SV_EUlSU_E_NS1_11comp_targetILNS1_3genE10ELNS1_11target_archE1201ELNS1_3gpuE5ELNS1_3repE0EEENS1_30default_config_static_selectorELNS0_4arch9wavefront6targetE1EEEvT1_,comdat
.Lfunc_end507:
	.size	_ZN7rocprim17ROCPRIM_400000_NS6detail17trampoline_kernelINS0_14default_configENS1_27scan_by_key_config_selectorIiiEEZZNS1_16scan_by_key_implILNS1_25lookback_scan_determinismE0ELb1ES3_N6thrust23THRUST_200600_302600_NS6detail15normal_iteratorINS9_10device_ptrIiEEEESE_SE_iNS9_10multipliesIiEENS9_8equal_toIiEEiEE10hipError_tPvRmT2_T3_T4_T5_mT6_T7_P12ihipStream_tbENKUlT_T0_E_clISt17integral_constantIbLb1EESZ_EEDaSU_SV_EUlSU_E_NS1_11comp_targetILNS1_3genE10ELNS1_11target_archE1201ELNS1_3gpuE5ELNS1_3repE0EEENS1_30default_config_static_selectorELNS0_4arch9wavefront6targetE1EEEvT1_, .Lfunc_end507-_ZN7rocprim17ROCPRIM_400000_NS6detail17trampoline_kernelINS0_14default_configENS1_27scan_by_key_config_selectorIiiEEZZNS1_16scan_by_key_implILNS1_25lookback_scan_determinismE0ELb1ES3_N6thrust23THRUST_200600_302600_NS6detail15normal_iteratorINS9_10device_ptrIiEEEESE_SE_iNS9_10multipliesIiEENS9_8equal_toIiEEiEE10hipError_tPvRmT2_T3_T4_T5_mT6_T7_P12ihipStream_tbENKUlT_T0_E_clISt17integral_constantIbLb1EESZ_EEDaSU_SV_EUlSU_E_NS1_11comp_targetILNS1_3genE10ELNS1_11target_archE1201ELNS1_3gpuE5ELNS1_3repE0EEENS1_30default_config_static_selectorELNS0_4arch9wavefront6targetE1EEEvT1_
                                        ; -- End function
	.section	.AMDGPU.csdata,"",@progbits
; Kernel info:
; codeLenInByte = 0
; NumSgprs: 4
; NumVgprs: 0
; NumAgprs: 0
; TotalNumVgprs: 0
; ScratchSize: 0
; MemoryBound: 0
; FloatMode: 240
; IeeeMode: 1
; LDSByteSize: 0 bytes/workgroup (compile time only)
; SGPRBlocks: 0
; VGPRBlocks: 0
; NumSGPRsForWavesPerEU: 4
; NumVGPRsForWavesPerEU: 1
; AccumOffset: 4
; Occupancy: 8
; WaveLimiterHint : 0
; COMPUTE_PGM_RSRC2:SCRATCH_EN: 0
; COMPUTE_PGM_RSRC2:USER_SGPR: 6
; COMPUTE_PGM_RSRC2:TRAP_HANDLER: 0
; COMPUTE_PGM_RSRC2:TGID_X_EN: 1
; COMPUTE_PGM_RSRC2:TGID_Y_EN: 0
; COMPUTE_PGM_RSRC2:TGID_Z_EN: 0
; COMPUTE_PGM_RSRC2:TIDIG_COMP_CNT: 0
; COMPUTE_PGM_RSRC3_GFX90A:ACCUM_OFFSET: 0
; COMPUTE_PGM_RSRC3_GFX90A:TG_SPLIT: 0
	.section	.text._ZN7rocprim17ROCPRIM_400000_NS6detail17trampoline_kernelINS0_14default_configENS1_27scan_by_key_config_selectorIiiEEZZNS1_16scan_by_key_implILNS1_25lookback_scan_determinismE0ELb1ES3_N6thrust23THRUST_200600_302600_NS6detail15normal_iteratorINS9_10device_ptrIiEEEESE_SE_iNS9_10multipliesIiEENS9_8equal_toIiEEiEE10hipError_tPvRmT2_T3_T4_T5_mT6_T7_P12ihipStream_tbENKUlT_T0_E_clISt17integral_constantIbLb1EESZ_EEDaSU_SV_EUlSU_E_NS1_11comp_targetILNS1_3genE5ELNS1_11target_archE942ELNS1_3gpuE9ELNS1_3repE0EEENS1_30default_config_static_selectorELNS0_4arch9wavefront6targetE1EEEvT1_,"axG",@progbits,_ZN7rocprim17ROCPRIM_400000_NS6detail17trampoline_kernelINS0_14default_configENS1_27scan_by_key_config_selectorIiiEEZZNS1_16scan_by_key_implILNS1_25lookback_scan_determinismE0ELb1ES3_N6thrust23THRUST_200600_302600_NS6detail15normal_iteratorINS9_10device_ptrIiEEEESE_SE_iNS9_10multipliesIiEENS9_8equal_toIiEEiEE10hipError_tPvRmT2_T3_T4_T5_mT6_T7_P12ihipStream_tbENKUlT_T0_E_clISt17integral_constantIbLb1EESZ_EEDaSU_SV_EUlSU_E_NS1_11comp_targetILNS1_3genE5ELNS1_11target_archE942ELNS1_3gpuE9ELNS1_3repE0EEENS1_30default_config_static_selectorELNS0_4arch9wavefront6targetE1EEEvT1_,comdat
	.protected	_ZN7rocprim17ROCPRIM_400000_NS6detail17trampoline_kernelINS0_14default_configENS1_27scan_by_key_config_selectorIiiEEZZNS1_16scan_by_key_implILNS1_25lookback_scan_determinismE0ELb1ES3_N6thrust23THRUST_200600_302600_NS6detail15normal_iteratorINS9_10device_ptrIiEEEESE_SE_iNS9_10multipliesIiEENS9_8equal_toIiEEiEE10hipError_tPvRmT2_T3_T4_T5_mT6_T7_P12ihipStream_tbENKUlT_T0_E_clISt17integral_constantIbLb1EESZ_EEDaSU_SV_EUlSU_E_NS1_11comp_targetILNS1_3genE5ELNS1_11target_archE942ELNS1_3gpuE9ELNS1_3repE0EEENS1_30default_config_static_selectorELNS0_4arch9wavefront6targetE1EEEvT1_ ; -- Begin function _ZN7rocprim17ROCPRIM_400000_NS6detail17trampoline_kernelINS0_14default_configENS1_27scan_by_key_config_selectorIiiEEZZNS1_16scan_by_key_implILNS1_25lookback_scan_determinismE0ELb1ES3_N6thrust23THRUST_200600_302600_NS6detail15normal_iteratorINS9_10device_ptrIiEEEESE_SE_iNS9_10multipliesIiEENS9_8equal_toIiEEiEE10hipError_tPvRmT2_T3_T4_T5_mT6_T7_P12ihipStream_tbENKUlT_T0_E_clISt17integral_constantIbLb1EESZ_EEDaSU_SV_EUlSU_E_NS1_11comp_targetILNS1_3genE5ELNS1_11target_archE942ELNS1_3gpuE9ELNS1_3repE0EEENS1_30default_config_static_selectorELNS0_4arch9wavefront6targetE1EEEvT1_
	.globl	_ZN7rocprim17ROCPRIM_400000_NS6detail17trampoline_kernelINS0_14default_configENS1_27scan_by_key_config_selectorIiiEEZZNS1_16scan_by_key_implILNS1_25lookback_scan_determinismE0ELb1ES3_N6thrust23THRUST_200600_302600_NS6detail15normal_iteratorINS9_10device_ptrIiEEEESE_SE_iNS9_10multipliesIiEENS9_8equal_toIiEEiEE10hipError_tPvRmT2_T3_T4_T5_mT6_T7_P12ihipStream_tbENKUlT_T0_E_clISt17integral_constantIbLb1EESZ_EEDaSU_SV_EUlSU_E_NS1_11comp_targetILNS1_3genE5ELNS1_11target_archE942ELNS1_3gpuE9ELNS1_3repE0EEENS1_30default_config_static_selectorELNS0_4arch9wavefront6targetE1EEEvT1_
	.p2align	8
	.type	_ZN7rocprim17ROCPRIM_400000_NS6detail17trampoline_kernelINS0_14default_configENS1_27scan_by_key_config_selectorIiiEEZZNS1_16scan_by_key_implILNS1_25lookback_scan_determinismE0ELb1ES3_N6thrust23THRUST_200600_302600_NS6detail15normal_iteratorINS9_10device_ptrIiEEEESE_SE_iNS9_10multipliesIiEENS9_8equal_toIiEEiEE10hipError_tPvRmT2_T3_T4_T5_mT6_T7_P12ihipStream_tbENKUlT_T0_E_clISt17integral_constantIbLb1EESZ_EEDaSU_SV_EUlSU_E_NS1_11comp_targetILNS1_3genE5ELNS1_11target_archE942ELNS1_3gpuE9ELNS1_3repE0EEENS1_30default_config_static_selectorELNS0_4arch9wavefront6targetE1EEEvT1_,@function
_ZN7rocprim17ROCPRIM_400000_NS6detail17trampoline_kernelINS0_14default_configENS1_27scan_by_key_config_selectorIiiEEZZNS1_16scan_by_key_implILNS1_25lookback_scan_determinismE0ELb1ES3_N6thrust23THRUST_200600_302600_NS6detail15normal_iteratorINS9_10device_ptrIiEEEESE_SE_iNS9_10multipliesIiEENS9_8equal_toIiEEiEE10hipError_tPvRmT2_T3_T4_T5_mT6_T7_P12ihipStream_tbENKUlT_T0_E_clISt17integral_constantIbLb1EESZ_EEDaSU_SV_EUlSU_E_NS1_11comp_targetILNS1_3genE5ELNS1_11target_archE942ELNS1_3gpuE9ELNS1_3repE0EEENS1_30default_config_static_selectorELNS0_4arch9wavefront6targetE1EEEvT1_: ; @_ZN7rocprim17ROCPRIM_400000_NS6detail17trampoline_kernelINS0_14default_configENS1_27scan_by_key_config_selectorIiiEEZZNS1_16scan_by_key_implILNS1_25lookback_scan_determinismE0ELb1ES3_N6thrust23THRUST_200600_302600_NS6detail15normal_iteratorINS9_10device_ptrIiEEEESE_SE_iNS9_10multipliesIiEENS9_8equal_toIiEEiEE10hipError_tPvRmT2_T3_T4_T5_mT6_T7_P12ihipStream_tbENKUlT_T0_E_clISt17integral_constantIbLb1EESZ_EEDaSU_SV_EUlSU_E_NS1_11comp_targetILNS1_3genE5ELNS1_11target_archE942ELNS1_3gpuE9ELNS1_3repE0EEENS1_30default_config_static_selectorELNS0_4arch9wavefront6targetE1EEEvT1_
; %bb.0:
	.section	.rodata,"a",@progbits
	.p2align	6, 0x0
	.amdhsa_kernel _ZN7rocprim17ROCPRIM_400000_NS6detail17trampoline_kernelINS0_14default_configENS1_27scan_by_key_config_selectorIiiEEZZNS1_16scan_by_key_implILNS1_25lookback_scan_determinismE0ELb1ES3_N6thrust23THRUST_200600_302600_NS6detail15normal_iteratorINS9_10device_ptrIiEEEESE_SE_iNS9_10multipliesIiEENS9_8equal_toIiEEiEE10hipError_tPvRmT2_T3_T4_T5_mT6_T7_P12ihipStream_tbENKUlT_T0_E_clISt17integral_constantIbLb1EESZ_EEDaSU_SV_EUlSU_E_NS1_11comp_targetILNS1_3genE5ELNS1_11target_archE942ELNS1_3gpuE9ELNS1_3repE0EEENS1_30default_config_static_selectorELNS0_4arch9wavefront6targetE1EEEvT1_
		.amdhsa_group_segment_fixed_size 0
		.amdhsa_private_segment_fixed_size 0
		.amdhsa_kernarg_size 112
		.amdhsa_user_sgpr_count 6
		.amdhsa_user_sgpr_private_segment_buffer 1
		.amdhsa_user_sgpr_dispatch_ptr 0
		.amdhsa_user_sgpr_queue_ptr 0
		.amdhsa_user_sgpr_kernarg_segment_ptr 1
		.amdhsa_user_sgpr_dispatch_id 0
		.amdhsa_user_sgpr_flat_scratch_init 0
		.amdhsa_user_sgpr_kernarg_preload_length 0
		.amdhsa_user_sgpr_kernarg_preload_offset 0
		.amdhsa_user_sgpr_private_segment_size 0
		.amdhsa_uses_dynamic_stack 0
		.amdhsa_system_sgpr_private_segment_wavefront_offset 0
		.amdhsa_system_sgpr_workgroup_id_x 1
		.amdhsa_system_sgpr_workgroup_id_y 0
		.amdhsa_system_sgpr_workgroup_id_z 0
		.amdhsa_system_sgpr_workgroup_info 0
		.amdhsa_system_vgpr_workitem_id 0
		.amdhsa_next_free_vgpr 1
		.amdhsa_next_free_sgpr 0
		.amdhsa_accum_offset 4
		.amdhsa_reserve_vcc 0
		.amdhsa_reserve_flat_scratch 0
		.amdhsa_float_round_mode_32 0
		.amdhsa_float_round_mode_16_64 0
		.amdhsa_float_denorm_mode_32 3
		.amdhsa_float_denorm_mode_16_64 3
		.amdhsa_dx10_clamp 1
		.amdhsa_ieee_mode 1
		.amdhsa_fp16_overflow 0
		.amdhsa_tg_split 0
		.amdhsa_exception_fp_ieee_invalid_op 0
		.amdhsa_exception_fp_denorm_src 0
		.amdhsa_exception_fp_ieee_div_zero 0
		.amdhsa_exception_fp_ieee_overflow 0
		.amdhsa_exception_fp_ieee_underflow 0
		.amdhsa_exception_fp_ieee_inexact 0
		.amdhsa_exception_int_div_zero 0
	.end_amdhsa_kernel
	.section	.text._ZN7rocprim17ROCPRIM_400000_NS6detail17trampoline_kernelINS0_14default_configENS1_27scan_by_key_config_selectorIiiEEZZNS1_16scan_by_key_implILNS1_25lookback_scan_determinismE0ELb1ES3_N6thrust23THRUST_200600_302600_NS6detail15normal_iteratorINS9_10device_ptrIiEEEESE_SE_iNS9_10multipliesIiEENS9_8equal_toIiEEiEE10hipError_tPvRmT2_T3_T4_T5_mT6_T7_P12ihipStream_tbENKUlT_T0_E_clISt17integral_constantIbLb1EESZ_EEDaSU_SV_EUlSU_E_NS1_11comp_targetILNS1_3genE5ELNS1_11target_archE942ELNS1_3gpuE9ELNS1_3repE0EEENS1_30default_config_static_selectorELNS0_4arch9wavefront6targetE1EEEvT1_,"axG",@progbits,_ZN7rocprim17ROCPRIM_400000_NS6detail17trampoline_kernelINS0_14default_configENS1_27scan_by_key_config_selectorIiiEEZZNS1_16scan_by_key_implILNS1_25lookback_scan_determinismE0ELb1ES3_N6thrust23THRUST_200600_302600_NS6detail15normal_iteratorINS9_10device_ptrIiEEEESE_SE_iNS9_10multipliesIiEENS9_8equal_toIiEEiEE10hipError_tPvRmT2_T3_T4_T5_mT6_T7_P12ihipStream_tbENKUlT_T0_E_clISt17integral_constantIbLb1EESZ_EEDaSU_SV_EUlSU_E_NS1_11comp_targetILNS1_3genE5ELNS1_11target_archE942ELNS1_3gpuE9ELNS1_3repE0EEENS1_30default_config_static_selectorELNS0_4arch9wavefront6targetE1EEEvT1_,comdat
.Lfunc_end508:
	.size	_ZN7rocprim17ROCPRIM_400000_NS6detail17trampoline_kernelINS0_14default_configENS1_27scan_by_key_config_selectorIiiEEZZNS1_16scan_by_key_implILNS1_25lookback_scan_determinismE0ELb1ES3_N6thrust23THRUST_200600_302600_NS6detail15normal_iteratorINS9_10device_ptrIiEEEESE_SE_iNS9_10multipliesIiEENS9_8equal_toIiEEiEE10hipError_tPvRmT2_T3_T4_T5_mT6_T7_P12ihipStream_tbENKUlT_T0_E_clISt17integral_constantIbLb1EESZ_EEDaSU_SV_EUlSU_E_NS1_11comp_targetILNS1_3genE5ELNS1_11target_archE942ELNS1_3gpuE9ELNS1_3repE0EEENS1_30default_config_static_selectorELNS0_4arch9wavefront6targetE1EEEvT1_, .Lfunc_end508-_ZN7rocprim17ROCPRIM_400000_NS6detail17trampoline_kernelINS0_14default_configENS1_27scan_by_key_config_selectorIiiEEZZNS1_16scan_by_key_implILNS1_25lookback_scan_determinismE0ELb1ES3_N6thrust23THRUST_200600_302600_NS6detail15normal_iteratorINS9_10device_ptrIiEEEESE_SE_iNS9_10multipliesIiEENS9_8equal_toIiEEiEE10hipError_tPvRmT2_T3_T4_T5_mT6_T7_P12ihipStream_tbENKUlT_T0_E_clISt17integral_constantIbLb1EESZ_EEDaSU_SV_EUlSU_E_NS1_11comp_targetILNS1_3genE5ELNS1_11target_archE942ELNS1_3gpuE9ELNS1_3repE0EEENS1_30default_config_static_selectorELNS0_4arch9wavefront6targetE1EEEvT1_
                                        ; -- End function
	.section	.AMDGPU.csdata,"",@progbits
; Kernel info:
; codeLenInByte = 0
; NumSgprs: 4
; NumVgprs: 0
; NumAgprs: 0
; TotalNumVgprs: 0
; ScratchSize: 0
; MemoryBound: 0
; FloatMode: 240
; IeeeMode: 1
; LDSByteSize: 0 bytes/workgroup (compile time only)
; SGPRBlocks: 0
; VGPRBlocks: 0
; NumSGPRsForWavesPerEU: 4
; NumVGPRsForWavesPerEU: 1
; AccumOffset: 4
; Occupancy: 8
; WaveLimiterHint : 0
; COMPUTE_PGM_RSRC2:SCRATCH_EN: 0
; COMPUTE_PGM_RSRC2:USER_SGPR: 6
; COMPUTE_PGM_RSRC2:TRAP_HANDLER: 0
; COMPUTE_PGM_RSRC2:TGID_X_EN: 1
; COMPUTE_PGM_RSRC2:TGID_Y_EN: 0
; COMPUTE_PGM_RSRC2:TGID_Z_EN: 0
; COMPUTE_PGM_RSRC2:TIDIG_COMP_CNT: 0
; COMPUTE_PGM_RSRC3_GFX90A:ACCUM_OFFSET: 0
; COMPUTE_PGM_RSRC3_GFX90A:TG_SPLIT: 0
	.section	.text._ZN7rocprim17ROCPRIM_400000_NS6detail17trampoline_kernelINS0_14default_configENS1_27scan_by_key_config_selectorIiiEEZZNS1_16scan_by_key_implILNS1_25lookback_scan_determinismE0ELb1ES3_N6thrust23THRUST_200600_302600_NS6detail15normal_iteratorINS9_10device_ptrIiEEEESE_SE_iNS9_10multipliesIiEENS9_8equal_toIiEEiEE10hipError_tPvRmT2_T3_T4_T5_mT6_T7_P12ihipStream_tbENKUlT_T0_E_clISt17integral_constantIbLb1EESZ_EEDaSU_SV_EUlSU_E_NS1_11comp_targetILNS1_3genE4ELNS1_11target_archE910ELNS1_3gpuE8ELNS1_3repE0EEENS1_30default_config_static_selectorELNS0_4arch9wavefront6targetE1EEEvT1_,"axG",@progbits,_ZN7rocprim17ROCPRIM_400000_NS6detail17trampoline_kernelINS0_14default_configENS1_27scan_by_key_config_selectorIiiEEZZNS1_16scan_by_key_implILNS1_25lookback_scan_determinismE0ELb1ES3_N6thrust23THRUST_200600_302600_NS6detail15normal_iteratorINS9_10device_ptrIiEEEESE_SE_iNS9_10multipliesIiEENS9_8equal_toIiEEiEE10hipError_tPvRmT2_T3_T4_T5_mT6_T7_P12ihipStream_tbENKUlT_T0_E_clISt17integral_constantIbLb1EESZ_EEDaSU_SV_EUlSU_E_NS1_11comp_targetILNS1_3genE4ELNS1_11target_archE910ELNS1_3gpuE8ELNS1_3repE0EEENS1_30default_config_static_selectorELNS0_4arch9wavefront6targetE1EEEvT1_,comdat
	.protected	_ZN7rocprim17ROCPRIM_400000_NS6detail17trampoline_kernelINS0_14default_configENS1_27scan_by_key_config_selectorIiiEEZZNS1_16scan_by_key_implILNS1_25lookback_scan_determinismE0ELb1ES3_N6thrust23THRUST_200600_302600_NS6detail15normal_iteratorINS9_10device_ptrIiEEEESE_SE_iNS9_10multipliesIiEENS9_8equal_toIiEEiEE10hipError_tPvRmT2_T3_T4_T5_mT6_T7_P12ihipStream_tbENKUlT_T0_E_clISt17integral_constantIbLb1EESZ_EEDaSU_SV_EUlSU_E_NS1_11comp_targetILNS1_3genE4ELNS1_11target_archE910ELNS1_3gpuE8ELNS1_3repE0EEENS1_30default_config_static_selectorELNS0_4arch9wavefront6targetE1EEEvT1_ ; -- Begin function _ZN7rocprim17ROCPRIM_400000_NS6detail17trampoline_kernelINS0_14default_configENS1_27scan_by_key_config_selectorIiiEEZZNS1_16scan_by_key_implILNS1_25lookback_scan_determinismE0ELb1ES3_N6thrust23THRUST_200600_302600_NS6detail15normal_iteratorINS9_10device_ptrIiEEEESE_SE_iNS9_10multipliesIiEENS9_8equal_toIiEEiEE10hipError_tPvRmT2_T3_T4_T5_mT6_T7_P12ihipStream_tbENKUlT_T0_E_clISt17integral_constantIbLb1EESZ_EEDaSU_SV_EUlSU_E_NS1_11comp_targetILNS1_3genE4ELNS1_11target_archE910ELNS1_3gpuE8ELNS1_3repE0EEENS1_30default_config_static_selectorELNS0_4arch9wavefront6targetE1EEEvT1_
	.globl	_ZN7rocprim17ROCPRIM_400000_NS6detail17trampoline_kernelINS0_14default_configENS1_27scan_by_key_config_selectorIiiEEZZNS1_16scan_by_key_implILNS1_25lookback_scan_determinismE0ELb1ES3_N6thrust23THRUST_200600_302600_NS6detail15normal_iteratorINS9_10device_ptrIiEEEESE_SE_iNS9_10multipliesIiEENS9_8equal_toIiEEiEE10hipError_tPvRmT2_T3_T4_T5_mT6_T7_P12ihipStream_tbENKUlT_T0_E_clISt17integral_constantIbLb1EESZ_EEDaSU_SV_EUlSU_E_NS1_11comp_targetILNS1_3genE4ELNS1_11target_archE910ELNS1_3gpuE8ELNS1_3repE0EEENS1_30default_config_static_selectorELNS0_4arch9wavefront6targetE1EEEvT1_
	.p2align	8
	.type	_ZN7rocprim17ROCPRIM_400000_NS6detail17trampoline_kernelINS0_14default_configENS1_27scan_by_key_config_selectorIiiEEZZNS1_16scan_by_key_implILNS1_25lookback_scan_determinismE0ELb1ES3_N6thrust23THRUST_200600_302600_NS6detail15normal_iteratorINS9_10device_ptrIiEEEESE_SE_iNS9_10multipliesIiEENS9_8equal_toIiEEiEE10hipError_tPvRmT2_T3_T4_T5_mT6_T7_P12ihipStream_tbENKUlT_T0_E_clISt17integral_constantIbLb1EESZ_EEDaSU_SV_EUlSU_E_NS1_11comp_targetILNS1_3genE4ELNS1_11target_archE910ELNS1_3gpuE8ELNS1_3repE0EEENS1_30default_config_static_selectorELNS0_4arch9wavefront6targetE1EEEvT1_,@function
_ZN7rocprim17ROCPRIM_400000_NS6detail17trampoline_kernelINS0_14default_configENS1_27scan_by_key_config_selectorIiiEEZZNS1_16scan_by_key_implILNS1_25lookback_scan_determinismE0ELb1ES3_N6thrust23THRUST_200600_302600_NS6detail15normal_iteratorINS9_10device_ptrIiEEEESE_SE_iNS9_10multipliesIiEENS9_8equal_toIiEEiEE10hipError_tPvRmT2_T3_T4_T5_mT6_T7_P12ihipStream_tbENKUlT_T0_E_clISt17integral_constantIbLb1EESZ_EEDaSU_SV_EUlSU_E_NS1_11comp_targetILNS1_3genE4ELNS1_11target_archE910ELNS1_3gpuE8ELNS1_3repE0EEENS1_30default_config_static_selectorELNS0_4arch9wavefront6targetE1EEEvT1_: ; @_ZN7rocprim17ROCPRIM_400000_NS6detail17trampoline_kernelINS0_14default_configENS1_27scan_by_key_config_selectorIiiEEZZNS1_16scan_by_key_implILNS1_25lookback_scan_determinismE0ELb1ES3_N6thrust23THRUST_200600_302600_NS6detail15normal_iteratorINS9_10device_ptrIiEEEESE_SE_iNS9_10multipliesIiEENS9_8equal_toIiEEiEE10hipError_tPvRmT2_T3_T4_T5_mT6_T7_P12ihipStream_tbENKUlT_T0_E_clISt17integral_constantIbLb1EESZ_EEDaSU_SV_EUlSU_E_NS1_11comp_targetILNS1_3genE4ELNS1_11target_archE910ELNS1_3gpuE8ELNS1_3repE0EEENS1_30default_config_static_selectorELNS0_4arch9wavefront6targetE1EEEvT1_
; %bb.0:
	s_load_dword s54, s[4:5], 0x20
	s_load_dwordx4 s[44:47], s[4:5], 0x28
	s_load_dwordx2 s[52:53], s[4:5], 0x38
	v_cmp_eq_u32_e64 s[0:1], 0, v0
	s_and_saveexec_b64 s[2:3], s[0:1]
	s_cbranch_execz .LBB509_4
; %bb.1:
	s_mov_b64 s[8:9], exec
	v_mbcnt_lo_u32_b32 v1, s8, 0
	v_mbcnt_hi_u32_b32 v1, s9, v1
	v_cmp_eq_u32_e32 vcc, 0, v1
                                        ; implicit-def: $vgpr2
	s_and_saveexec_b64 s[6:7], vcc
	s_cbranch_execz .LBB509_3
; %bb.2:
	s_load_dwordx2 s[10:11], s[4:5], 0x68
	s_bcnt1_i32_b64 s8, s[8:9]
	v_mov_b32_e32 v2, 0
	v_mov_b32_e32 v3, s8
	s_waitcnt lgkmcnt(0)
	global_atomic_add v2, v2, v3, s[10:11] glc
.LBB509_3:
	s_or_b64 exec, exec, s[6:7]
	s_waitcnt vmcnt(0)
	v_readfirstlane_b32 s6, v2
	v_add_u32_e32 v1, s6, v1
	v_mov_b32_e32 v2, 0
	ds_write_b32 v2, v1
.LBB509_4:
	s_or_b64 exec, exec, s[2:3]
	s_load_dwordx8 s[36:43], s[4:5], 0x0
	s_load_dword s2, s[4:5], 0x40
	s_load_dwordx4 s[48:51], s[4:5], 0x48
	v_mov_b32_e32 v3, 0
	s_waitcnt lgkmcnt(0)
	s_lshl_b64 s[34:35], s[38:39], 2
	s_barrier
	ds_read_b32 v4, v3
	s_add_u32 s3, s36, s34
	s_addc_u32 s4, s37, s35
	s_add_u32 s5, s40, s34
	s_mul_i32 s7, s53, s2
	s_mul_hi_u32 s8, s52, s2
	s_addc_u32 s6, s41, s35
	s_add_i32 s7, s8, s7
	s_movk_i32 s8, 0xe00
	s_waitcnt lgkmcnt(0)
	v_mul_lo_u32 v2, v4, s8
	v_lshlrev_b64 v[38:39], 2, v[2:3]
	v_mov_b32_e32 v1, s4
	v_add_co_u32_e32 v42, vcc, s3, v38
	v_addc_co_u32_e32 v43, vcc, v1, v39, vcc
	v_mov_b32_e32 v2, s6
	v_add_co_u32_e32 v1, vcc, s5, v38
	s_mul_i32 s2, s52, s2
	v_addc_co_u32_e32 v48, vcc, v2, v39, vcc
	v_mov_b32_e32 v3, s7
	v_add_co_u32_e32 v2, vcc, s2, v4
	s_add_u32 s4, s48, -1
	v_addc_co_u32_e32 v3, vcc, 0, v3, vcc
	s_addc_u32 s5, s49, -1
	v_cmp_le_u64_e64 s[2:3], s[4:5], v[2:3]
	v_readfirstlane_b32 s47, v4
	s_mov_b64 s[12:13], -1
	s_and_b64 vcc, exec, s[2:3]
	s_mul_i32 s33, s4, 0xfffff200
	s_barrier
	s_barrier
	s_cbranch_vccz .LBB509_80
; %bb.5:
	flat_load_dword v13, v[42:43]
	s_add_i32 s40, s33, s46
	v_cmp_gt_u32_e32 vcc, s40, v0
	s_waitcnt vmcnt(0) lgkmcnt(0)
	v_mov_b32_e32 v14, v13
	s_and_saveexec_b64 s[6:7], vcc
	s_cbranch_execz .LBB509_7
; %bb.6:
	v_lshlrev_b32_e32 v2, 2, v0
	v_add_co_u32_e64 v2, s[4:5], v42, v2
	v_addc_co_u32_e64 v3, s[4:5], 0, v43, s[4:5]
	flat_load_dword v14, v[2:3]
.LBB509_7:
	s_or_b64 exec, exec, s[6:7]
	v_or_b32_e32 v2, 0x100, v0
	v_cmp_gt_u32_e64 s[4:5], s40, v2
	v_mov_b32_e32 v15, v13
	s_and_saveexec_b64 s[8:9], s[4:5]
	s_cbranch_execz .LBB509_9
; %bb.8:
	v_lshlrev_b32_e32 v2, 2, v0
	v_add_co_u32_e64 v2, s[6:7], v42, v2
	v_addc_co_u32_e64 v3, s[6:7], 0, v43, s[6:7]
	flat_load_dword v15, v[2:3] offset:1024
.LBB509_9:
	s_or_b64 exec, exec, s[8:9]
	v_or_b32_e32 v2, 0x200, v0
	v_cmp_gt_u32_e64 s[6:7], s40, v2
	v_mov_b32_e32 v16, v13
	s_and_saveexec_b64 s[10:11], s[6:7]
	s_cbranch_execz .LBB509_11
; %bb.10:
	v_lshlrev_b32_e32 v2, 2, v0
	v_add_co_u32_e64 v2, s[8:9], v42, v2
	v_addc_co_u32_e64 v3, s[8:9], 0, v43, s[8:9]
	flat_load_dword v16, v[2:3] offset:2048
.LBB509_11:
	;; [unrolled: 12-line block ×3, first 2 shown]
	s_or_b64 exec, exec, s[12:13]
	v_or_b32_e32 v2, 0x400, v0
	v_cmp_gt_u32_e64 s[10:11], s40, v2
	v_mov_b32_e32 v18, v13
	s_and_saveexec_b64 s[14:15], s[10:11]
	s_cbranch_execz .LBB509_15
; %bb.14:
	v_lshlrev_b32_e32 v3, 2, v2
	v_add_co_u32_e64 v4, s[12:13], v42, v3
	v_addc_co_u32_e64 v5, s[12:13], 0, v43, s[12:13]
	flat_load_dword v18, v[4:5]
.LBB509_15:
	s_or_b64 exec, exec, s[14:15]
	v_or_b32_e32 v3, 0x500, v0
	v_cmp_gt_u32_e64 s[12:13], s40, v3
	v_mov_b32_e32 v19, v13
	s_and_saveexec_b64 s[16:17], s[12:13]
	s_cbranch_execz .LBB509_17
; %bb.16:
	v_lshlrev_b32_e32 v4, 2, v3
	v_add_co_u32_e64 v4, s[14:15], v42, v4
	v_addc_co_u32_e64 v5, s[14:15], 0, v43, s[14:15]
	flat_load_dword v19, v[4:5]
.LBB509_17:
	;; [unrolled: 12-line block ×9, first 2 shown]
	s_or_b64 exec, exec, s[30:31]
	v_or_b32_e32 v11, 0xd00, v0
	v_cmp_gt_u32_e64 s[28:29], s40, v11
	s_and_saveexec_b64 s[36:37], s[28:29]
	s_cbranch_execz .LBB509_33
; %bb.32:
	v_lshlrev_b32_e32 v12, 2, v11
	v_add_co_u32_e64 v12, s[30:31], v42, v12
	v_addc_co_u32_e64 v13, s[30:31], 0, v43, s[30:31]
	flat_load_dword v13, v[12:13]
.LBB509_33:
	s_or_b64 exec, exec, s[36:37]
	v_lshlrev_b32_e32 v12, 2, v0
	s_waitcnt vmcnt(0) lgkmcnt(0)
	ds_write2st64_b32 v12, v14, v15 offset1:4
	ds_write2st64_b32 v12, v16, v17 offset0:8 offset1:12
	ds_write2st64_b32 v12, v18, v19 offset0:16 offset1:20
	;; [unrolled: 1-line block ×6, first 2 shown]
	s_waitcnt lgkmcnt(0)
	s_barrier
	flat_load_dword v49, v[42:43]
	v_mad_u32_u24 v50, v0, 52, v12
	s_movk_i32 s30, 0xffcc
	ds_read2_b64 v[34:37], v50 offset1:1
	ds_read2_b64 v[30:33], v50 offset0:2 offset1:3
	ds_read2_b64 v[26:29], v50 offset0:4 offset1:5
	ds_read_b64 v[44:45], v50 offset:48
	v_mad_i32_i24 v13, v0, s30, v50
	s_movk_i32 s30, 0xff
	v_cmp_ne_u32_e64 s[30:31], s30, v0
	s_waitcnt lgkmcnt(0)
	ds_write_b32 v13, v34 offset:15360
	s_waitcnt lgkmcnt(0)
	s_barrier
	s_and_saveexec_b64 s[36:37], s[30:31]
	s_cbranch_execz .LBB509_35
; %bb.34:
	s_waitcnt vmcnt(0)
	ds_read_b32 v49, v12 offset:15364
.LBB509_35:
	s_or_b64 exec, exec, s[36:37]
	s_waitcnt lgkmcnt(0)
	s_barrier
	s_waitcnt lgkmcnt(0)
                                        ; implicit-def: $vgpr13
	s_and_saveexec_b64 s[30:31], vcc
	s_cbranch_execz .LBB509_159
; %bb.36:
	v_add_co_u32_e32 v14, vcc, v1, v12
	v_addc_co_u32_e32 v15, vcc, 0, v48, vcc
	flat_load_dword v13, v[14:15]
	s_or_b64 exec, exec, s[30:31]
                                        ; implicit-def: $vgpr14
	s_and_saveexec_b64 s[30:31], s[4:5]
	s_cbranch_execnz .LBB509_160
.LBB509_37:
	s_or_b64 exec, exec, s[30:31]
                                        ; implicit-def: $vgpr15
	s_and_saveexec_b64 s[4:5], s[6:7]
	s_cbranch_execz .LBB509_161
.LBB509_38:
	v_add_co_u32_e32 v16, vcc, v1, v12
	v_addc_co_u32_e32 v17, vcc, 0, v48, vcc
	flat_load_dword v15, v[16:17] offset:2048
	s_or_b64 exec, exec, s[4:5]
                                        ; implicit-def: $vgpr16
	s_and_saveexec_b64 s[4:5], s[8:9]
	s_cbranch_execnz .LBB509_162
.LBB509_39:
	s_or_b64 exec, exec, s[4:5]
                                        ; implicit-def: $vgpr17
	s_and_saveexec_b64 s[4:5], s[10:11]
	s_cbranch_execz .LBB509_163
.LBB509_40:
	v_lshlrev_b32_e32 v2, 2, v2
	v_add_co_u32_e32 v18, vcc, v1, v2
	v_addc_co_u32_e32 v19, vcc, 0, v48, vcc
	flat_load_dword v17, v[18:19]
	s_or_b64 exec, exec, s[4:5]
                                        ; implicit-def: $vgpr2
	s_and_saveexec_b64 s[4:5], s[12:13]
	s_cbranch_execnz .LBB509_164
.LBB509_41:
	s_or_b64 exec, exec, s[4:5]
                                        ; implicit-def: $vgpr3
	s_and_saveexec_b64 s[4:5], s[14:15]
	s_cbranch_execz .LBB509_165
.LBB509_42:
	v_lshlrev_b32_e32 v3, 2, v4
	v_add_co_u32_e32 v18, vcc, v1, v3
	v_addc_co_u32_e32 v19, vcc, 0, v48, vcc
	flat_load_dword v3, v[18:19]
	s_or_b64 exec, exec, s[4:5]
                                        ; implicit-def: $vgpr4
	s_and_saveexec_b64 s[4:5], s[16:17]
	s_cbranch_execnz .LBB509_166
.LBB509_43:
	s_or_b64 exec, exec, s[4:5]
                                        ; implicit-def: $vgpr5
	s_and_saveexec_b64 s[4:5], s[18:19]
	s_cbranch_execz .LBB509_167
.LBB509_44:
	v_lshlrev_b32_e32 v5, 2, v6
	v_add_co_u32_e32 v18, vcc, v1, v5
	v_addc_co_u32_e32 v19, vcc, 0, v48, vcc
	flat_load_dword v5, v[18:19]
	s_or_b64 exec, exec, s[4:5]
                                        ; implicit-def: $vgpr6
	s_and_saveexec_b64 s[4:5], s[20:21]
	s_cbranch_execnz .LBB509_168
.LBB509_45:
	s_or_b64 exec, exec, s[4:5]
                                        ; implicit-def: $vgpr7
	s_and_saveexec_b64 s[4:5], s[22:23]
	s_cbranch_execz .LBB509_169
.LBB509_46:
	v_lshlrev_b32_e32 v7, 2, v8
	v_add_co_u32_e32 v18, vcc, v1, v7
	v_addc_co_u32_e32 v19, vcc, 0, v48, vcc
	flat_load_dword v7, v[18:19]
	s_or_b64 exec, exec, s[4:5]
                                        ; implicit-def: $vgpr8
	s_and_saveexec_b64 s[4:5], s[24:25]
	s_cbranch_execnz .LBB509_170
.LBB509_47:
	s_or_b64 exec, exec, s[4:5]
                                        ; implicit-def: $vgpr9
	s_and_saveexec_b64 s[4:5], s[26:27]
	s_cbranch_execz .LBB509_49
.LBB509_48:
	v_lshlrev_b32_e32 v9, 2, v10
	v_add_co_u32_e32 v18, vcc, v1, v9
	v_addc_co_u32_e32 v19, vcc, 0, v48, vcc
	flat_load_dword v9, v[18:19]
.LBB509_49:
	s_or_b64 exec, exec, s[4:5]
	v_mul_u32_u24_e32 v51, 14, v0
                                        ; implicit-def: $vgpr10
	s_and_saveexec_b64 s[4:5], s[28:29]
	s_cbranch_execz .LBB509_51
; %bb.50:
	v_lshlrev_b32_e32 v10, 2, v11
	v_add_co_u32_e32 v10, vcc, v1, v10
	v_addc_co_u32_e32 v11, vcc, 0, v48, vcc
	flat_load_dword v10, v[10:11]
.LBB509_51:
	s_or_b64 exec, exec, s[4:5]
	s_mov_b32 s4, 0
	s_mov_b32 s5, s4
	s_waitcnt vmcnt(0) lgkmcnt(0)
	ds_write2st64_b32 v12, v13, v14 offset1:4
	ds_write2st64_b32 v12, v15, v16 offset0:8 offset1:12
	ds_write2st64_b32 v12, v17, v2 offset0:16 offset1:20
	;; [unrolled: 1-line block ×6, first 2 shown]
	s_mov_b32 s6, s4
	s_mov_b32 s7, s4
	;; [unrolled: 1-line block ×6, first 2 shown]
	v_pk_mov_b32 v[2:3], s[4:5], s[4:5] op_sel:[0,1]
	v_pk_mov_b32 v[8:9], s[10:11], s[10:11] op_sel:[0,1]
	;; [unrolled: 1-line block ×6, first 2 shown]
	v_cmp_gt_u32_e32 vcc, s40, v51
	s_mov_b64 s[12:13], 0
	v_pk_mov_b32 v[40:41], 0, 0
	s_mov_b64 s[18:19], 0
	v_pk_mov_b32 v[14:15], v[6:7], v[6:7] op_sel:[0,1]
	v_pk_mov_b32 v[12:13], v[4:5], v[4:5] op_sel:[0,1]
	;; [unrolled: 1-line block ×6, first 2 shown]
	s_waitcnt lgkmcnt(0)
	s_barrier
	s_waitcnt lgkmcnt(0)
                                        ; implicit-def: $sgpr16_sgpr17
                                        ; implicit-def: $vgpr46
	s_and_saveexec_b64 s[14:15], vcc
	s_cbranch_execz .LBB509_79
; %bb.52:
	ds_read_b32 v2, v50
	v_mov_b32_e32 v4, s54
	v_cmp_eq_u32_e32 vcc, v34, v35
	v_or_b32_e32 v3, 1, v51
                                        ; implicit-def: $vgpr46
	s_waitcnt lgkmcnt(0)
	v_cndmask_b32_e32 v40, v4, v2, vcc
	v_cmp_ne_u32_e32 vcc, v34, v35
	v_cndmask_b32_e64 v41, 0, 1, vcc
	v_cmp_gt_u32_e32 vcc, s40, v3
	v_pk_mov_b32 v[2:3], s[4:5], s[4:5] op_sel:[0,1]
	v_pk_mov_b32 v[8:9], s[10:11], s[10:11] op_sel:[0,1]
	;; [unrolled: 1-line block ×12, first 2 shown]
                                        ; implicit-def: $sgpr4_sgpr5
	s_and_saveexec_b64 s[16:17], vcc
	s_cbranch_execz .LBB509_78
; %bb.53:
	ds_read2_b32 v[46:47], v50 offset0:1 offset1:2
	s_mov_b32 s4, 0
	v_mov_b32_e32 v3, s54
	v_cmp_eq_u32_e32 vcc, v35, v36
	s_mov_b32 s10, s4
	s_mov_b32 s11, s4
	v_add_u32_e32 v2, 2, v51
	s_waitcnt lgkmcnt(0)
	v_cndmask_b32_e32 v8, v3, v46, vcc
	v_cmp_ne_u32_e32 vcc, v35, v36
	s_mov_b32 s5, s4
	s_mov_b32 s6, s4
	;; [unrolled: 1-line block ×5, first 2 shown]
	v_pk_mov_b32 v[16:17], s[10:11], s[10:11] op_sel:[0,1]
	v_cndmask_b32_e64 v9, 0, 1, vcc
	v_cmp_gt_u32_e32 vcc, s40, v2
	v_mov_b32_e32 v2, 0
	v_pk_mov_b32 v[14:15], s[8:9], s[8:9] op_sel:[0,1]
	v_pk_mov_b32 v[12:13], s[6:7], s[6:7] op_sel:[0,1]
	;; [unrolled: 1-line block ×4, first 2 shown]
	v_mov_b32_e32 v3, v2
	v_mov_b32_e32 v4, v2
	;; [unrolled: 1-line block ×5, first 2 shown]
	s_mov_b64 s[20:21], 0
	v_pk_mov_b32 v[22:23], v[14:15], v[14:15] op_sel:[0,1]
	v_pk_mov_b32 v[20:21], v[12:13], v[12:13] op_sel:[0,1]
	;; [unrolled: 1-line block ×3, first 2 shown]
                                        ; implicit-def: $sgpr24_sgpr25
                                        ; implicit-def: $vgpr46
	s_and_saveexec_b64 s[18:19], vcc
	s_cbranch_execz .LBB509_77
; %bb.54:
	v_mov_b32_e32 v4, s54
	v_cmp_eq_u32_e32 vcc, v36, v37
	v_pk_mov_b32 v[16:17], s[10:11], s[10:11] op_sel:[0,1]
	v_add_u32_e32 v3, 3, v51
	v_cndmask_b32_e32 v6, v4, v47, vcc
	v_cmp_ne_u32_e32 vcc, v36, v37
	v_pk_mov_b32 v[14:15], s[8:9], s[8:9] op_sel:[0,1]
	v_pk_mov_b32 v[12:13], s[6:7], s[6:7] op_sel:[0,1]
	v_pk_mov_b32 v[10:11], s[4:5], s[4:5] op_sel:[0,1]
	v_pk_mov_b32 v[24:25], v[16:17], v[16:17] op_sel:[0,1]
	v_cndmask_b32_e64 v7, 0, 1, vcc
	v_cmp_gt_u32_e32 vcc, s40, v3
	v_mov_b32_e32 v3, v2
	v_mov_b32_e32 v4, v2
	;; [unrolled: 1-line block ×3, first 2 shown]
	s_mov_b64 s[22:23], 0
	v_pk_mov_b32 v[22:23], v[14:15], v[14:15] op_sel:[0,1]
	v_pk_mov_b32 v[20:21], v[12:13], v[12:13] op_sel:[0,1]
	;; [unrolled: 1-line block ×3, first 2 shown]
                                        ; implicit-def: $sgpr4_sgpr5
                                        ; implicit-def: $vgpr46
	s_and_saveexec_b64 s[20:21], vcc
	s_cbranch_execz .LBB509_76
; %bb.55:
	ds_read2_b32 v[34:35], v50 offset0:3 offset1:4
	s_mov_b32 s4, 0
	s_mov_b32 s10, s4
	;; [unrolled: 1-line block ×3, first 2 shown]
	v_mov_b32_e32 v3, s54
	v_cmp_eq_u32_e32 vcc, v37, v30
	s_mov_b32 s5, s4
	s_mov_b32 s6, s4
	;; [unrolled: 1-line block ×5, first 2 shown]
	v_pk_mov_b32 v[16:17], s[10:11], s[10:11] op_sel:[0,1]
	v_add_u32_e32 v2, 4, v51
	s_waitcnt lgkmcnt(0)
	v_cndmask_b32_e32 v4, v3, v34, vcc
	v_cmp_ne_u32_e32 vcc, v37, v30
	v_pk_mov_b32 v[14:15], s[8:9], s[8:9] op_sel:[0,1]
	v_pk_mov_b32 v[12:13], s[6:7], s[6:7] op_sel:[0,1]
	;; [unrolled: 1-line block ×4, first 2 shown]
	v_cndmask_b32_e64 v5, 0, 1, vcc
	v_cmp_gt_u32_e32 vcc, s40, v2
	v_mov_b32_e32 v2, s4
	v_mov_b32_e32 v3, s4
	s_mov_b64 s[24:25], 0
	v_pk_mov_b32 v[22:23], v[14:15], v[14:15] op_sel:[0,1]
	v_pk_mov_b32 v[20:21], v[12:13], v[12:13] op_sel:[0,1]
	;; [unrolled: 1-line block ×3, first 2 shown]
                                        ; implicit-def: $sgpr26_sgpr27
                                        ; implicit-def: $vgpr46
	s_and_saveexec_b64 s[22:23], vcc
	s_cbranch_execz .LBB509_75
; %bb.56:
	v_mov_b32_e32 v2, s54
	v_cmp_eq_u32_e32 vcc, v30, v31
	v_add_u32_e32 v10, 5, v51
	v_cndmask_b32_e32 v2, v2, v35, vcc
	v_cmp_ne_u32_e32 vcc, v30, v31
	v_cndmask_b32_e64 v3, 0, 1, vcc
	v_cmp_gt_u32_e32 vcc, s40, v10
	v_pk_mov_b32 v[16:17], s[10:11], s[10:11] op_sel:[0,1]
	v_pk_mov_b32 v[14:15], s[8:9], s[8:9] op_sel:[0,1]
	;; [unrolled: 1-line block ×5, first 2 shown]
	s_mov_b64 s[28:29], 0
	v_pk_mov_b32 v[22:23], v[14:15], v[14:15] op_sel:[0,1]
	v_pk_mov_b32 v[20:21], v[12:13], v[12:13] op_sel:[0,1]
	;; [unrolled: 1-line block ×3, first 2 shown]
                                        ; implicit-def: $sgpr4_sgpr5
                                        ; implicit-def: $vgpr46
	s_and_saveexec_b64 s[24:25], vcc
	s_cbranch_execz .LBB509_74
; %bb.57:
	ds_read2_b32 v[34:35], v50 offset0:5 offset1:6
	v_mov_b32_e32 v11, s54
	v_cmp_eq_u32_e32 vcc, v31, v32
	s_mov_b32 s4, 0
	v_add_u32_e32 v10, 6, v51
	s_waitcnt lgkmcnt(0)
	v_cndmask_b32_e32 v16, v11, v34, vcc
	v_cmp_ne_u32_e32 vcc, v31, v32
	s_mov_b32 s10, s4
	s_mov_b32 s11, s4
	v_cndmask_b32_e64 v17, 0, 1, vcc
	v_cmp_gt_u32_e32 vcc, s40, v10
	v_mov_b32_e32 v10, 0
	s_mov_b32 s5, s4
	s_mov_b32 s6, s4
	;; [unrolled: 1-line block ×5, first 2 shown]
	v_pk_mov_b32 v[24:25], s[10:11], s[10:11] op_sel:[0,1]
	v_mov_b32_e32 v11, v10
	v_mov_b32_e32 v12, v10
	;; [unrolled: 1-line block ×5, first 2 shown]
	v_pk_mov_b32 v[22:23], s[8:9], s[8:9] op_sel:[0,1]
	v_pk_mov_b32 v[20:21], s[6:7], s[6:7] op_sel:[0,1]
	;; [unrolled: 1-line block ×3, first 2 shown]
                                        ; implicit-def: $sgpr36_sgpr37
                                        ; implicit-def: $vgpr46
	s_and_saveexec_b64 s[26:27], vcc
	s_cbranch_execz .LBB509_73
; %bb.58:
	v_mov_b32_e32 v12, s54
	v_cmp_eq_u32_e32 vcc, v32, v33
	v_add_u32_e32 v11, 7, v51
	v_cndmask_b32_e32 v14, v12, v35, vcc
	v_cmp_ne_u32_e32 vcc, v32, v33
	v_pk_mov_b32 v[24:25], s[10:11], s[10:11] op_sel:[0,1]
	v_cndmask_b32_e64 v15, 0, 1, vcc
	v_cmp_gt_u32_e32 vcc, s40, v11
	v_mov_b32_e32 v11, v10
	v_mov_b32_e32 v12, v10
	;; [unrolled: 1-line block ×3, first 2 shown]
	s_mov_b64 s[30:31], 0
	v_pk_mov_b32 v[22:23], s[8:9], s[8:9] op_sel:[0,1]
	v_pk_mov_b32 v[20:21], s[6:7], s[6:7] op_sel:[0,1]
	v_pk_mov_b32 v[18:19], s[4:5], s[4:5] op_sel:[0,1]
                                        ; implicit-def: $sgpr4_sgpr5
                                        ; implicit-def: $vgpr46
	s_and_saveexec_b64 s[28:29], vcc
	s_cbranch_execz .LBB509_72
; %bb.59:
	ds_read2_b32 v[30:31], v50 offset0:7 offset1:8
	s_mov_b32 s4, 0
	v_mov_b32_e32 v11, s54
	v_cmp_eq_u32_e32 vcc, v33, v26
	s_mov_b32 s10, s4
	s_mov_b32 s11, s4
	v_add_u32_e32 v10, 8, v51
	s_waitcnt lgkmcnt(0)
	v_cndmask_b32_e32 v12, v11, v30, vcc
	v_cmp_ne_u32_e32 vcc, v33, v26
	s_mov_b32 s5, s4
	s_mov_b32 s6, s4
	;; [unrolled: 1-line block ×5, first 2 shown]
	v_pk_mov_b32 v[24:25], s[10:11], s[10:11] op_sel:[0,1]
	v_cndmask_b32_e64 v13, 0, 1, vcc
	v_cmp_gt_u32_e32 vcc, s40, v10
	v_mov_b32_e32 v10, s4
	v_mov_b32_e32 v11, s4
	s_mov_b64 s[36:37], 0
	v_pk_mov_b32 v[22:23], s[8:9], s[8:9] op_sel:[0,1]
	v_pk_mov_b32 v[20:21], s[6:7], s[6:7] op_sel:[0,1]
	;; [unrolled: 1-line block ×3, first 2 shown]
                                        ; implicit-def: $sgpr38_sgpr39
                                        ; implicit-def: $vgpr46
	s_and_saveexec_b64 s[30:31], vcc
	s_cbranch_execz .LBB509_71
; %bb.60:
	v_mov_b32_e32 v10, s54
	v_cmp_eq_u32_e32 vcc, v26, v27
	v_add_u32_e32 v18, 9, v51
	v_cndmask_b32_e32 v10, v10, v31, vcc
	v_cmp_ne_u32_e32 vcc, v26, v27
	v_cndmask_b32_e64 v11, 0, 1, vcc
	v_cmp_gt_u32_e32 vcc, s40, v18
	v_pk_mov_b32 v[24:25], s[10:11], s[10:11] op_sel:[0,1]
	v_pk_mov_b32 v[22:23], s[8:9], s[8:9] op_sel:[0,1]
	;; [unrolled: 1-line block ×4, first 2 shown]
                                        ; implicit-def: $sgpr6_sgpr7
                                        ; implicit-def: $vgpr46
	s_and_saveexec_b64 s[4:5], vcc
	s_cbranch_execz .LBB509_70
; %bb.61:
	ds_read2_b32 v[30:31], v50 offset0:9 offset1:10
	v_mov_b32_e32 v18, s54
	v_cmp_eq_u32_e32 vcc, v27, v28
	v_add_u32_e32 v20, 10, v51
	v_mov_b32_e32 v22, 0
	s_waitcnt lgkmcnt(0)
	v_cndmask_b32_e32 v18, v18, v30, vcc
	v_cmp_ne_u32_e32 vcc, v27, v28
	v_cndmask_b32_e64 v19, 0, 1, vcc
	v_cmp_gt_u32_e32 vcc, s40, v20
	v_mov_b32_e32 v20, v22
	v_mov_b32_e32 v21, v22
	;; [unrolled: 1-line block ×5, first 2 shown]
	s_mov_b64 s[8:9], 0
                                        ; implicit-def: $sgpr36_sgpr37
                                        ; implicit-def: $vgpr46
	s_and_saveexec_b64 s[6:7], vcc
	s_cbranch_execz .LBB509_69
; %bb.62:
	v_mov_b32_e32 v20, s54
	v_cmp_eq_u32_e32 vcc, v28, v29
	v_add_u32_e32 v23, 11, v51
	v_cndmask_b32_e32 v20, v20, v31, vcc
	v_cmp_ne_u32_e32 vcc, v28, v29
	v_cndmask_b32_e64 v21, 0, 1, vcc
	v_cmp_gt_u32_e32 vcc, s40, v23
	s_mov_b32 s36, 0
	v_mov_b32_e32 v23, v22
	v_mov_b32_e32 v24, v22
	;; [unrolled: 1-line block ×3, first 2 shown]
	s_mov_b64 s[10:11], 0
                                        ; implicit-def: $sgpr38_sgpr39
                                        ; implicit-def: $vgpr46
	s_and_saveexec_b64 s[8:9], vcc
	s_cbranch_execz .LBB509_68
; %bb.63:
	ds_read2_b32 v[26:27], v50 offset0:11 offset1:12
	v_mov_b32_e32 v22, s54
	v_cmp_eq_u32_e32 vcc, v29, v44
	v_add_u32_e32 v24, 12, v51
	v_mov_b32_e32 v25, s36
	s_waitcnt lgkmcnt(0)
	v_cndmask_b32_e32 v22, v22, v26, vcc
	v_cmp_ne_u32_e32 vcc, v29, v44
	v_cndmask_b32_e64 v23, 0, 1, vcc
	v_cmp_gt_u32_e32 vcc, s40, v24
	v_mov_b32_e32 v24, s36
	s_mov_b64 s[36:37], 0
                                        ; implicit-def: $sgpr38_sgpr39
                                        ; implicit-def: $vgpr46
	s_and_saveexec_b64 s[10:11], vcc
	s_cbranch_execz .LBB509_67
; %bb.64:
	v_mov_b32_e32 v24, s54
	v_cmp_eq_u32_e32 vcc, v44, v45
	v_add_u32_e32 v26, 13, v51
	v_cndmask_b32_e32 v24, v24, v27, vcc
	v_cmp_ne_u32_e32 vcc, v44, v45
	v_cndmask_b32_e64 v25, 0, 1, vcc
	v_cmp_gt_u32_e32 vcc, s40, v26
                                        ; implicit-def: $sgpr38_sgpr39
                                        ; implicit-def: $vgpr46
	s_and_saveexec_b64 s[40:41], vcc
	s_xor_b64 s[40:41], exec, s[40:41]
	s_cbranch_execz .LBB509_66
; %bb.65:
	ds_read_b32 v26, v50 offset:52
	v_mov_b32_e32 v27, s54
	v_cmp_ne_u32_e32 vcc, v45, v49
	s_mov_b64 s[36:37], exec
	s_and_b64 s[38:39], vcc, exec
	s_waitcnt lgkmcnt(0)
	v_cndmask_b32_e32 v46, v26, v27, vcc
.LBB509_66:
	s_or_b64 exec, exec, s[40:41]
	s_and_b64 s[38:39], s[38:39], exec
	s_and_b64 s[36:37], s[36:37], exec
.LBB509_67:
	s_or_b64 exec, exec, s[10:11]
	s_and_b64 s[38:39], s[38:39], exec
	s_and_b64 s[10:11], s[36:37], exec
.LBB509_68:
	s_or_b64 exec, exec, s[8:9]
	s_and_b64 s[36:37], s[38:39], exec
	s_and_b64 s[8:9], s[10:11], exec
.LBB509_69:
	s_or_b64 exec, exec, s[6:7]
	s_and_b64 s[6:7], s[36:37], exec
	s_and_b64 s[36:37], s[8:9], exec
.LBB509_70:
	s_or_b64 exec, exec, s[4:5]
	s_and_b64 s[38:39], s[6:7], exec
	s_and_b64 s[36:37], s[36:37], exec
.LBB509_71:
	s_or_b64 exec, exec, s[30:31]
	s_and_b64 s[4:5], s[38:39], exec
	s_and_b64 s[30:31], s[36:37], exec
.LBB509_72:
	s_or_b64 exec, exec, s[28:29]
	s_and_b64 s[36:37], s[4:5], exec
	s_and_b64 s[28:29], s[30:31], exec
.LBB509_73:
	s_or_b64 exec, exec, s[26:27]
	s_and_b64 s[4:5], s[36:37], exec
	s_and_b64 s[28:29], s[28:29], exec
.LBB509_74:
	s_or_b64 exec, exec, s[24:25]
	s_and_b64 s[26:27], s[4:5], exec
	s_and_b64 s[24:25], s[28:29], exec
.LBB509_75:
	s_or_b64 exec, exec, s[22:23]
	s_and_b64 s[4:5], s[26:27], exec
	s_and_b64 s[22:23], s[24:25], exec
.LBB509_76:
	s_or_b64 exec, exec, s[20:21]
	s_and_b64 s[24:25], s[4:5], exec
	s_and_b64 s[20:21], s[22:23], exec
.LBB509_77:
	s_or_b64 exec, exec, s[18:19]
	s_and_b64 s[4:5], s[24:25], exec
	s_and_b64 s[18:19], s[20:21], exec
.LBB509_78:
	s_or_b64 exec, exec, s[16:17]
	s_and_b64 s[16:17], s[4:5], exec
	s_and_b64 s[18:19], s[18:19], exec
.LBB509_79:
	s_or_b64 exec, exec, s[14:15]
	s_and_b64 vcc, exec, s[12:13]
	v_lshlrev_b32_e32 v52, 2, v0
	s_cbranch_vccnz .LBB509_81
	s_branch .LBB509_86
.LBB509_80:
	s_mov_b64 s[18:19], 0
                                        ; implicit-def: $sgpr16_sgpr17
                                        ; implicit-def: $vgpr2_vgpr3_vgpr4_vgpr5_vgpr6_vgpr7_vgpr8_vgpr9
                                        ; implicit-def: $vgpr10_vgpr11_vgpr12_vgpr13_vgpr14_vgpr15_vgpr16_vgpr17
                                        ; implicit-def: $vgpr18_vgpr19_vgpr20_vgpr21_vgpr22_vgpr23_vgpr24_vgpr25
                                        ; implicit-def: $vgpr46
                                        ; implicit-def: $vgpr40_vgpr41
	s_and_b64 vcc, exec, s[12:13]
	v_lshlrev_b32_e32 v52, 2, v0
	s_cbranch_vccz .LBB509_86
.LBB509_81:
	v_add_co_u32_e32 v2, vcc, v42, v52
	v_addc_co_u32_e32 v3, vcc, 0, v43, vcc
	v_add_co_u32_e32 v4, vcc, 0x1000, v2
	v_addc_co_u32_e32 v5, vcc, 0, v3, vcc
	flat_load_dword v6, v[2:3]
	flat_load_dword v7, v[2:3] offset:1024
	flat_load_dword v8, v[2:3] offset:2048
	flat_load_dword v9, v[2:3] offset:3072
	flat_load_dword v10, v[4:5]
	flat_load_dword v11, v[4:5] offset:1024
	flat_load_dword v12, v[4:5] offset:2048
	;; [unrolled: 1-line block ×3, first 2 shown]
	v_add_co_u32_e32 v4, vcc, 0x2000, v2
	v_addc_co_u32_e32 v5, vcc, 0, v3, vcc
	v_add_co_u32_e32 v2, vcc, 0x3000, v2
	v_addc_co_u32_e32 v3, vcc, 0, v3, vcc
	flat_load_dword v14, v[4:5]
	flat_load_dword v15, v[4:5] offset:1024
	flat_load_dword v16, v[4:5] offset:2048
	;; [unrolled: 1-line block ×3, first 2 shown]
	flat_load_dword v18, v[2:3]
	flat_load_dword v19, v[2:3] offset:1024
	v_add_co_u32_e32 v2, vcc, 0x3000, v42
	v_addc_co_u32_e32 v3, vcc, 0, v43, vcc
	s_movk_i32 s6, 0xffcc
	s_movk_i32 s9, 0x1000
	s_mov_b32 s4, 0
	s_movk_i32 s8, 0x2000
	s_movk_i32 s5, 0x3000
	s_waitcnt vmcnt(0) lgkmcnt(0)
	ds_write2st64_b32 v52, v6, v7 offset1:4
	ds_write2st64_b32 v52, v8, v9 offset0:8 offset1:12
	ds_write2st64_b32 v52, v10, v11 offset0:16 offset1:20
	;; [unrolled: 1-line block ×6, first 2 shown]
	s_waitcnt lgkmcnt(0)
	s_barrier
	flat_load_dword v34, v[2:3] offset:2048
	v_mad_u32_u24 v6, v0, 52, v52
	v_mad_i32_i24 v2, v0, s6, v6
	s_movk_i32 s6, 0xff
	v_cmp_ne_u32_e32 vcc, s6, v0
	ds_read2_b32 v[26:27], v6 offset1:13
	ds_read2_b32 v[18:19], v6 offset0:7 offset1:8
	ds_read2_b32 v[20:21], v6 offset0:5 offset1:6
	;; [unrolled: 1-line block ×6, first 2 shown]
	s_waitcnt lgkmcnt(0)
	ds_write_b32 v2, v26 offset:15360
	s_waitcnt lgkmcnt(0)
	s_barrier
	s_and_saveexec_b64 s[6:7], vcc
	s_cbranch_execz .LBB509_83
; %bb.82:
	s_waitcnt vmcnt(0)
	ds_read_b32 v34, v52 offset:15364
.LBB509_83:
	s_or_b64 exec, exec, s[6:7]
	v_add_co_u32_e32 v2, vcc, v1, v52
	v_addc_co_u32_e32 v3, vcc, 0, v48, vcc
	v_add_co_u32_e32 v4, vcc, s9, v2
	v_addc_co_u32_e32 v5, vcc, 0, v3, vcc
	s_waitcnt lgkmcnt(0)
	s_barrier
	flat_load_dword v1, v[2:3]
	flat_load_dword v7, v[2:3] offset:1024
	flat_load_dword v8, v[2:3] offset:2048
	;; [unrolled: 1-line block ×3, first 2 shown]
	flat_load_dword v14, v[4:5]
	flat_load_dword v15, v[4:5] offset:1024
	flat_load_dword v16, v[4:5] offset:2048
	;; [unrolled: 1-line block ×3, first 2 shown]
	v_add_co_u32_e32 v4, vcc, s8, v2
	v_addc_co_u32_e32 v5, vcc, 0, v3, vcc
	v_add_co_u32_e32 v2, vcc, s5, v2
	v_addc_co_u32_e32 v3, vcc, 0, v3, vcc
	flat_load_dword v22, v[4:5]
	flat_load_dword v23, v[4:5] offset:1024
	flat_load_dword v24, v[4:5] offset:2048
	;; [unrolled: 1-line block ×3, first 2 shown]
	flat_load_dword v32, v[2:3]
	flat_load_dword v33, v[2:3] offset:1024
	s_mov_b32 s5, 1
	v_cmp_eq_u32_e32 vcc, v26, v12
	v_pk_mov_b32 v[40:41], s[4:5], s[4:5] op_sel:[0,1]
	s_waitcnt vmcnt(0) lgkmcnt(0)
	ds_write2st64_b32 v52, v1, v7 offset1:4
	ds_write2st64_b32 v52, v8, v9 offset0:8 offset1:12
	ds_write2st64_b32 v52, v14, v15 offset0:16 offset1:20
	;; [unrolled: 1-line block ×6, first 2 shown]
	s_waitcnt lgkmcnt(0)
	s_barrier
	ds_read2_b32 v[24:25], v6 offset0:7 offset1:8
	ds_read2_b32 v[14:15], v6 offset0:5 offset1:6
	;; [unrolled: 1-line block ×4, first 2 shown]
	ds_read_b32 v1, v6 offset:52
	ds_read2_b32 v[22:23], v6 offset0:11 offset1:12
	ds_read2_b32 v[32:33], v6 offset0:9 offset1:10
	v_mov_b32_e32 v7, s54
	s_and_saveexec_b64 s[4:5], vcc
	s_cbranch_execz .LBB509_85
; %bb.84:
	ds_read_b32 v7, v6
	v_pk_mov_b32 v[40:41], 0, 0
.LBB509_85:
	s_or_b64 exec, exec, s[4:5]
	v_mov_b32_e32 v26, s54
	v_cmp_eq_u32_e32 vcc, v12, v13
	s_waitcnt lgkmcnt(3)
	v_cndmask_b32_e32 v8, v26, v4, vcc
	v_cmp_eq_u32_e32 vcc, v13, v10
	v_cndmask_b32_e32 v6, v26, v5, vcc
	v_cmp_eq_u32_e32 vcc, v10, v11
	;; [unrolled: 2-line block ×3, first 2 shown]
	v_cndmask_b32_e32 v2, v26, v3, vcc
	v_cmp_ne_u32_e32 vcc, v12, v13
	v_cndmask_b32_e64 v9, 0, 1, vcc
	v_cmp_ne_u32_e32 vcc, v13, v10
	s_waitcnt lgkmcnt(0)
	v_or_b32_e32 v40, v40, v7
	v_cndmask_b32_e64 v7, 0, 1, vcc
	v_cmp_ne_u32_e32 vcc, v10, v11
	v_cndmask_b32_e64 v5, 0, 1, vcc
	v_cmp_ne_u32_e32 vcc, v11, v20
	v_cndmask_b32_e64 v3, 0, 1, vcc
	v_cmp_eq_u32_e32 vcc, v20, v21
	v_cndmask_b32_e32 v16, v26, v14, vcc
	v_cmp_eq_u32_e32 vcc, v21, v18
	v_cndmask_b32_e32 v14, v26, v15, vcc
	;; [unrolled: 2-line block ×4, first 2 shown]
	v_cmp_ne_u32_e32 vcc, v20, v21
	v_cndmask_b32_e64 v17, 0, 1, vcc
	v_cmp_ne_u32_e32 vcc, v21, v18
	v_cndmask_b32_e64 v15, 0, 1, vcc
	v_cmp_ne_u32_e32 vcc, v18, v19
	v_cndmask_b32_e64 v13, 0, 1, vcc
	v_cmp_ne_u32_e32 vcc, v19, v28
	v_cndmask_b32_e64 v11, 0, 1, vcc
	v_cmp_eq_u32_e32 vcc, v31, v27
	v_cndmask_b32_e32 v24, v26, v23, vcc
	v_cmp_eq_u32_e32 vcc, v30, v31
	v_cndmask_b32_e32 v22, v26, v22, vcc
	;; [unrolled: 2-line block ×4, first 2 shown]
	v_cmp_ne_u32_e32 vcc, v31, v27
	v_cndmask_b32_e64 v25, 0, 1, vcc
	v_cmp_ne_u32_e32 vcc, v30, v31
	v_cndmask_b32_e64 v23, 0, 1, vcc
	;; [unrolled: 2-line block ×3, first 2 shown]
	v_cmp_ne_u32_e32 vcc, v28, v29
	v_cmp_ne_u32_e64 s[16:17], v27, v34
	v_cndmask_b32_e64 v19, 0, 1, vcc
	v_cndmask_b32_e64 v46, v1, v26, s[16:17]
	s_mov_b64 s[18:19], -1
                                        ; implicit-def: $sgpr12_sgpr13
.LBB509_86:
	v_pk_mov_b32 v[42:43], s[12:13], s[12:13] op_sel:[0,1]
	s_and_saveexec_b64 s[4:5], s[18:19]
; %bb.87:
	v_cndmask_b32_e64 v47, 0, 1, s[16:17]
	v_pk_mov_b32 v[42:43], v[46:47], v[46:47] op_sel:[0,1]
; %bb.88:
	s_or_b64 exec, exec, s[4:5]
	s_mov_b32 s28, 0
	s_cmp_lg_u32 s47, 0
	v_mbcnt_lo_u32_b32 v1, -1, 0
	s_barrier
	s_cbranch_scc0 .LBB509_171
; %bb.89:
	s_mov_b32 s29, 1
	v_cmp_gt_u64_e64 s[4:5], s[28:29], v[8:9]
	v_cndmask_b32_e64 v26, 1, v40, s[4:5]
	v_mul_lo_u32 v26, v26, v8
	v_cmp_gt_u64_e64 s[6:7], s[28:29], v[6:7]
	v_cndmask_b32_e64 v26, 1, v26, s[6:7]
	v_mul_lo_u32 v26, v26, v6
	;; [unrolled: 3-line block ×12, first 2 shown]
	v_cmp_gt_u64_e32 vcc, s[28:29], v[42:43]
	v_cndmask_b32_e32 v26, 1, v26, vcc
	v_mul_lo_u32 v28, v26, v42
	v_or3_b32 v26, v43, v25, v23
	v_or3_b32 v26, v26, v21, v19
	;; [unrolled: 1-line block ×6, first 2 shown]
	v_and_b32_e32 v27, 1, v26
	v_mov_b32_e32 v26, 0
	v_cmp_eq_u64_e32 vcc, 0, v[26:27]
	v_cndmask_b32_e32 v29, 1, v41, vcc
	v_mbcnt_hi_u32_b32 v35, -1, v1
	v_and_b32_e32 v30, 15, v35
	v_and_b32_e32 v27, 0xff, v29
	v_mov_b32_dpp v32, v28 row_shr:1 row_mask:0xf bank_mask:0xf
	v_cmp_ne_u32_e32 vcc, 0, v30
	v_mov_b32_dpp v31, v27 row_shr:1 row_mask:0xf bank_mask:0xf
	s_and_saveexec_b64 s[28:29], vcc
; %bb.90:
	v_cmp_eq_u16_sdwa vcc, v29, v26 src0_sel:BYTE_0 src1_sel:DWORD
	v_cndmask_b32_e32 v26, 1, v32, vcc
	v_mul_lo_u32 v28, v26, v28
	v_and_b32_e32 v26, 1, v29
	v_and_b32_e32 v27, 1, v31
	v_cmp_eq_u32_e32 vcc, 1, v26
	v_cndmask_b32_e64 v29, v27, 1, vcc
	v_and_b32_e32 v27, 0xffff, v29
; %bb.91:
	s_or_b64 exec, exec, s[28:29]
	v_mov_b32_dpp v31, v28 row_shr:2 row_mask:0xf bank_mask:0xf
	v_mov_b32_dpp v26, v27 row_shr:2 row_mask:0xf bank_mask:0xf
	v_cmp_lt_u32_e32 vcc, 1, v30
	s_and_saveexec_b64 s[28:29], vcc
; %bb.92:
	v_mov_b32_e32 v27, 0
	v_cmp_eq_u16_sdwa vcc, v29, v27 src0_sel:BYTE_0 src1_sel:DWORD
	v_cndmask_b32_e32 v27, 1, v31, vcc
	v_mul_lo_u32 v28, v27, v28
	v_and_b32_e32 v27, 1, v29
	v_and_b32_e32 v26, 1, v26
	v_cmp_eq_u32_e32 vcc, 1, v27
	v_cndmask_b32_e64 v29, v26, 1, vcc
	v_and_b32_e32 v27, 0xffff, v29
; %bb.93:
	s_or_b64 exec, exec, s[28:29]
	v_mov_b32_dpp v31, v28 row_shr:4 row_mask:0xf bank_mask:0xf
	v_mov_b32_dpp v26, v27 row_shr:4 row_mask:0xf bank_mask:0xf
	v_cmp_lt_u32_e32 vcc, 3, v30
	s_and_saveexec_b64 s[28:29], vcc
; %bb.94:
	v_mov_b32_e32 v27, 0
	;; [unrolled: 16-line block ×3, first 2 shown]
	v_cmp_eq_u16_sdwa vcc, v29, v27 src0_sel:BYTE_0 src1_sel:DWORD
	v_cndmask_b32_e32 v27, 1, v31, vcc
	v_mul_lo_u32 v28, v27, v28
	v_and_b32_e32 v27, 1, v29
	v_and_b32_e32 v26, 1, v26
	v_cmp_eq_u32_e32 vcc, 1, v27
	v_cndmask_b32_e64 v29, v26, 1, vcc
	v_and_b32_e32 v27, 0xffff, v29
; %bb.97:
	s_or_b64 exec, exec, s[28:29]
	v_and_b32_e32 v31, 16, v35
	v_mov_b32_dpp v30, v28 row_bcast:15 row_mask:0xf bank_mask:0xf
	v_mov_b32_dpp v26, v27 row_bcast:15 row_mask:0xf bank_mask:0xf
	v_cmp_ne_u32_e32 vcc, 0, v31
	s_and_saveexec_b64 s[28:29], vcc
; %bb.98:
	v_mov_b32_e32 v27, 0
	v_cmp_eq_u16_sdwa vcc, v29, v27 src0_sel:BYTE_0 src1_sel:DWORD
	v_cndmask_b32_e32 v27, 1, v30, vcc
	v_mul_lo_u32 v28, v27, v28
	v_and_b32_e32 v27, 1, v29
	v_and_b32_e32 v26, 1, v26
	v_cmp_eq_u32_e32 vcc, 1, v27
	v_cndmask_b32_e64 v29, v26, 1, vcc
	v_and_b32_e32 v27, 0xffff, v29
; %bb.99:
	s_or_b64 exec, exec, s[28:29]
	v_mov_b32_dpp v30, v28 row_bcast:31 row_mask:0xf bank_mask:0xf
	v_mov_b32_dpp v26, v27 row_bcast:31 row_mask:0xf bank_mask:0xf
	v_cmp_lt_u32_e32 vcc, 31, v35
	s_and_saveexec_b64 s[28:29], vcc
; %bb.100:
	v_mov_b32_e32 v27, 0
	v_cmp_eq_u16_sdwa vcc, v29, v27 src0_sel:BYTE_0 src1_sel:DWORD
	v_cndmask_b32_e32 v27, 1, v30, vcc
	v_mul_lo_u32 v28, v27, v28
	v_and_b32_e32 v27, 1, v29
	v_and_b32_e32 v26, 1, v26
	v_cmp_eq_u32_e32 vcc, 1, v27
	v_cndmask_b32_e64 v29, v26, 1, vcc
; %bb.101:
	s_or_b64 exec, exec, s[28:29]
	v_or_b32_e32 v26, 63, v0
	v_lshrrev_b32_e32 v30, 6, v0
	v_cmp_eq_u32_e32 vcc, v26, v0
	s_and_saveexec_b64 s[28:29], vcc
	s_cbranch_execz .LBB509_103
; %bb.102:
	v_lshlrev_b32_e32 v26, 3, v30
	ds_write_b32 v26, v28
	ds_write_b8 v26, v29 offset:4
.LBB509_103:
	s_or_b64 exec, exec, s[28:29]
	v_cmp_gt_u32_e32 vcc, 4, v0
	s_waitcnt lgkmcnt(0)
	s_barrier
	s_and_saveexec_b64 s[28:29], vcc
	s_cbranch_execz .LBB509_109
; %bb.104:
	v_lshlrev_b32_e32 v31, 3, v0
	ds_read_b64 v[26:27], v31
	v_and_b32_e32 v32, 3, v35
	v_cmp_ne_u32_e32 vcc, 0, v32
	s_waitcnt lgkmcnt(0)
	v_mov_b32_dpp v36, v26 row_shr:1 row_mask:0xf bank_mask:0xf
	v_mov_b32_dpp v34, v27 row_shr:1 row_mask:0xf bank_mask:0xf
	v_mov_b32_e32 v33, v27
	s_and_saveexec_b64 s[30:31], vcc
	s_cbranch_execz .LBB509_106
; %bb.105:
	v_mov_b32_e32 v33, 0
	v_cmp_eq_u16_sdwa vcc, v27, v33 src0_sel:BYTE_0 src1_sel:DWORD
	v_cndmask_b32_e32 v33, 1, v36, vcc
	v_mul_lo_u32 v26, v33, v26
	v_and_b32_e32 v33, 1, v27
	v_and_b32_e32 v34, 1, v34
	v_cmp_eq_u32_e32 vcc, 1, v33
	v_cndmask_b32_e64 v34, v34, 1, vcc
	v_and_b32_e32 v33, 0xffff, v34
	s_movk_i32 s36, 0xff00
	v_and_or_b32 v33, v27, s36, v33
	v_mov_b32_e32 v27, v34
.LBB509_106:
	s_or_b64 exec, exec, s[30:31]
	v_mov_b32_dpp v34, v26 row_shr:2 row_mask:0xf bank_mask:0xf
	v_mov_b32_dpp v33, v33 row_shr:2 row_mask:0xf bank_mask:0xf
	v_cmp_lt_u32_e32 vcc, 1, v32
	s_and_saveexec_b64 s[30:31], vcc
; %bb.107:
	v_mov_b32_e32 v32, 0
	v_cmp_eq_u16_sdwa vcc, v27, v32 src0_sel:BYTE_0 src1_sel:DWORD
	v_cndmask_b32_e32 v32, 1, v34, vcc
	v_and_b32_e32 v27, 1, v27
	v_mul_lo_u32 v26, v32, v26
	v_and_b32_e32 v32, 1, v33
	v_cmp_eq_u32_e32 vcc, 1, v27
	v_cndmask_b32_e64 v27, v32, 1, vcc
; %bb.108:
	s_or_b64 exec, exec, s[30:31]
	ds_write_b32 v31, v26
	ds_write_b8 v31, v27 offset:4
.LBB509_109:
	s_or_b64 exec, exec, s[28:29]
	v_cmp_gt_u32_e32 vcc, 64, v0
	v_cmp_lt_u32_e64 s[28:29], 63, v0
	v_mov_b32_e32 v44, 0
	v_mov_b32_e32 v45, 0
	s_waitcnt lgkmcnt(0)
	s_barrier
	s_and_saveexec_b64 s[30:31], s[28:29]
	s_cbranch_execz .LBB509_111
; %bb.110:
	v_lshl_add_u32 v26, v30, 3, -8
	ds_read_b32 v44, v26
	ds_read_u8 v45, v26 offset:4
	v_mov_b32_e32 v27, 0
	v_and_b32_e32 v30, 1, v29
	v_cmp_eq_u16_sdwa s[28:29], v29, v27 src0_sel:BYTE_0 src1_sel:DWORD
	s_waitcnt lgkmcnt(1)
	v_cndmask_b32_e64 v26, 1, v44, s[28:29]
	v_cmp_eq_u32_e64 s[28:29], 1, v30
	v_mul_lo_u32 v28, v26, v28
	s_waitcnt lgkmcnt(0)
	v_cndmask_b32_e64 v29, v45, 1, s[28:29]
.LBB509_111:
	s_or_b64 exec, exec, s[30:31]
	v_and_b32_e32 v26, 0xff, v29
	v_add_u32_e32 v27, -1, v35
	v_and_b32_e32 v29, 64, v35
	v_cmp_lt_i32_e64 s[28:29], v27, v29
	v_cndmask_b32_e64 v27, v27, v35, s[28:29]
	v_lshlrev_b32_e32 v27, 2, v27
	ds_bpermute_b32 v46, v27, v28
	ds_bpermute_b32 v47, v27, v26
	v_cmp_eq_u32_e64 s[28:29], 0, v35
	s_and_saveexec_b64 s[30:31], vcc
	s_cbranch_execz .LBB509_158
; %bb.112:
	v_mov_b32_e32 v29, 0
	ds_read_b64 v[26:27], v29 offset:24
	s_waitcnt lgkmcnt(0)
	v_readfirstlane_b32 s48, v27
	s_and_saveexec_b64 s[36:37], s[28:29]
	s_cbranch_execz .LBB509_114
; %bb.113:
	s_add_i32 s38, s47, 64
	s_mov_b32 s39, 0
	s_lshl_b64 s[40:41], s[38:39], 4
	s_add_u32 s40, s44, s40
	s_addc_u32 s41, s45, s41
	s_and_b32 s57, s48, 0xff000000
	s_mov_b32 s56, s39
	s_and_b32 s59, s48, 0xff0000
	s_mov_b32 s58, s39
	s_or_b64 s[56:57], s[58:59], s[56:57]
	s_and_b32 s59, s48, 0xff00
	s_or_b64 s[56:57], s[56:57], s[58:59]
	s_and_b32 s59, s48, 0xff
	s_or_b64 s[38:39], s[56:57], s[58:59]
	v_mov_b32_e32 v27, s39
	v_mov_b32_e32 v28, 1
	v_pk_mov_b32 v[30:31], s[40:41], s[40:41] op_sel:[0,1]
	;;#ASMSTART
	global_store_dwordx4 v[30:31], v[26:29] off	
s_waitcnt vmcnt(0)
	;;#ASMEND
.LBB509_114:
	s_or_b64 exec, exec, s[36:37]
	v_xad_u32 v34, v35, -1, s47
	v_add_u32_e32 v28, 64, v34
	v_lshlrev_b64 v[30:31], 4, v[28:29]
	v_mov_b32_e32 v27, s45
	v_add_co_u32_e32 v36, vcc, s44, v30
	v_addc_co_u32_e32 v37, vcc, v27, v31, vcc
	;;#ASMSTART
	global_load_dwordx4 v[30:33], v[36:37] off glc	
s_waitcnt vmcnt(0)
	;;#ASMEND
	v_and_b32_e32 v27, 0xff0000, v30
	v_or_b32_sdwa v27, v30, v27 dst_sel:DWORD dst_unused:UNUSED_PAD src0_sel:WORD_0 src1_sel:DWORD
	v_and_b32_e32 v28, 0xff000000, v30
	v_and_b32_e32 v30, 0xff, v31
	v_or3_b32 v31, 0, 0, v30
	v_or3_b32 v30, v27, v28, 0
	v_cmp_eq_u16_sdwa s[38:39], v32, v29 src0_sel:BYTE_0 src1_sel:DWORD
	s_and_saveexec_b64 s[36:37], s[38:39]
	s_cbranch_execz .LBB509_120
; %bb.115:
	s_mov_b32 s40, 1
	s_mov_b64 s[38:39], 0
	v_mov_b32_e32 v27, 0
.LBB509_116:                            ; =>This Loop Header: Depth=1
                                        ;     Child Loop BB509_117 Depth 2
	s_max_u32 s41, s40, 1
.LBB509_117:                            ;   Parent Loop BB509_116 Depth=1
                                        ; =>  This Inner Loop Header: Depth=2
	s_add_i32 s41, s41, -1
	s_cmp_eq_u32 s41, 0
	s_sleep 1
	s_cbranch_scc0 .LBB509_117
; %bb.118:                              ;   in Loop: Header=BB509_116 Depth=1
	s_cmp_lt_u32 s40, 32
	s_cselect_b64 s[56:57], -1, 0
	s_cmp_lg_u64 s[56:57], 0
	s_addc_u32 s40, s40, 0
	;;#ASMSTART
	global_load_dwordx4 v[30:33], v[36:37] off glc	
s_waitcnt vmcnt(0)
	;;#ASMEND
	v_cmp_ne_u16_sdwa s[56:57], v32, v27 src0_sel:BYTE_0 src1_sel:DWORD
	s_or_b64 s[38:39], s[56:57], s[38:39]
	s_andn2_b64 exec, exec, s[38:39]
	s_cbranch_execnz .LBB509_116
; %bb.119:
	s_or_b64 exec, exec, s[38:39]
	v_and_b32_e32 v31, 0xff, v31
.LBB509_120:
	s_or_b64 exec, exec, s[36:37]
	v_mov_b32_e32 v27, 2
	v_cmp_eq_u16_sdwa s[36:37], v32, v27 src0_sel:BYTE_0 src1_sel:DWORD
	v_lshlrev_b64 v[28:29], v35, -1
	v_and_b32_e32 v27, s37, v29
	v_or_b32_e32 v27, 0x80000000, v27
	v_ffbl_b32_e32 v27, v27
	v_add_u32_e32 v36, 32, v27
	v_and_b32_e32 v27, 63, v35
	v_cmp_ne_u32_e32 vcc, 63, v27
	v_addc_co_u32_e32 v37, vcc, 0, v35, vcc
	v_lshlrev_b32_e32 v48, 2, v37
	ds_bpermute_b32 v49, v48, v30
	ds_bpermute_b32 v37, v48, v31
	v_and_b32_e32 v33, s36, v28
	v_ffbl_b32_e32 v33, v33
	v_min_u32_e32 v33, v33, v36
	s_mov_b32 s38, 0
	v_cmp_lt_u32_e32 vcc, v27, v33
	v_mov_b32_e32 v36, v31
	s_and_saveexec_b64 s[36:37], vcc
	s_cbranch_execz .LBB509_122
; %bb.121:
	s_mov_b32 s39, 1
	v_cmp_gt_u64_e32 vcc, s[38:39], v[30:31]
	s_waitcnt lgkmcnt(1)
	v_cndmask_b32_e32 v36, 1, v49, vcc
	v_and_b32_e32 v31, 1, v31
	v_mul_lo_u32 v30, v36, v30
	s_waitcnt lgkmcnt(0)
	v_and_b32_e32 v36, 1, v37
	v_cmp_eq_u32_e32 vcc, 1, v31
	v_cndmask_b32_e64 v31, v36, 1, vcc
	v_and_b32_e32 v36, 0xffff, v31
.LBB509_122:
	s_or_b64 exec, exec, s[36:37]
	v_cmp_gt_u32_e32 vcc, 62, v27
	s_waitcnt lgkmcnt(0)
	v_cndmask_b32_e64 v37, 0, 1, vcc
	v_lshlrev_b32_e32 v37, 1, v37
	v_add_lshl_u32 v49, v37, v35, 2
	ds_bpermute_b32 v51, v49, v30
	ds_bpermute_b32 v37, v49, v36
	v_add_u32_e32 v50, 2, v27
	v_cmp_le_u32_e32 vcc, v50, v33
	s_and_saveexec_b64 s[36:37], vcc
	s_cbranch_execz .LBB509_124
; %bb.123:
	v_cmp_eq_u16_e32 vcc, 0, v31
	s_waitcnt lgkmcnt(1)
	v_cndmask_b32_e32 v36, 1, v51, vcc
	v_and_b32_e32 v31, 1, v31
	v_mul_lo_u32 v30, v36, v30
	s_waitcnt lgkmcnt(0)
	v_and_b32_e32 v36, 1, v37
	v_cmp_eq_u32_e32 vcc, 1, v31
	v_cndmask_b32_e64 v31, v36, 1, vcc
	v_and_b32_e32 v36, 0xffff, v31
.LBB509_124:
	s_or_b64 exec, exec, s[36:37]
	v_cmp_gt_u32_e32 vcc, 60, v27
	s_waitcnt lgkmcnt(0)
	v_cndmask_b32_e64 v37, 0, 1, vcc
	v_lshlrev_b32_e32 v37, 2, v37
	v_add_lshl_u32 v51, v37, v35, 2
	ds_bpermute_b32 v54, v51, v30
	ds_bpermute_b32 v37, v51, v36
	v_add_u32_e32 v53, 4, v27
	v_cmp_le_u32_e32 vcc, v53, v33
	s_and_saveexec_b64 s[36:37], vcc
	s_cbranch_execz .LBB509_126
; %bb.125:
	v_cmp_eq_u16_e32 vcc, 0, v31
	s_waitcnt lgkmcnt(1)
	v_cndmask_b32_e32 v36, 1, v54, vcc
	v_and_b32_e32 v31, 1, v31
	v_mul_lo_u32 v30, v36, v30
	s_waitcnt lgkmcnt(0)
	v_and_b32_e32 v36, 1, v37
	v_cmp_eq_u32_e32 vcc, 1, v31
	v_cndmask_b32_e64 v31, v36, 1, vcc
	v_and_b32_e32 v36, 0xffff, v31
.LBB509_126:
	;; [unrolled: 24-line block ×4, first 2 shown]
	s_or_b64 exec, exec, s[36:37]
	v_cmp_gt_u32_e32 vcc, 32, v27
	s_waitcnt lgkmcnt(0)
	v_cndmask_b32_e64 v37, 0, 1, vcc
	v_lshlrev_b32_e32 v37, 5, v37
	v_add_lshl_u32 v59, v37, v35, 2
	ds_bpermute_b32 v37, v59, v30
	ds_bpermute_b32 v35, v59, v36
	v_add_u32_e32 v60, 32, v27
	v_cmp_le_u32_e32 vcc, v60, v33
	s_and_saveexec_b64 s[36:37], vcc
	s_cbranch_execz .LBB509_132
; %bb.131:
	v_cmp_eq_u16_e32 vcc, 0, v31
	s_waitcnt lgkmcnt(1)
	v_cndmask_b32_e32 v33, 1, v37, vcc
	v_and_b32_e32 v31, 1, v31
	v_mul_lo_u32 v30, v33, v30
	s_waitcnt lgkmcnt(0)
	v_and_b32_e32 v33, 1, v35
	v_cmp_eq_u32_e32 vcc, 1, v31
	v_cndmask_b32_e64 v31, v33, 1, vcc
.LBB509_132:
	s_or_b64 exec, exec, s[36:37]
	s_mov_b32 s36, 0
	s_mov_b32 s37, 1
	s_waitcnt lgkmcnt(0)
	v_mov_b32_e32 v35, 0
	v_mov_b32_e32 v62, 2
	s_branch .LBB509_134
.LBB509_133:                            ;   in Loop: Header=BB509_134 Depth=1
	s_or_b64 exec, exec, s[38:39]
	v_cmp_eq_u16_sdwa vcc, v58, v35 src0_sel:BYTE_0 src1_sel:DWORD
	v_and_b32_e32 v33, 1, v58
	v_cndmask_b32_e32 v30, 1, v30, vcc
	v_and_b32_e32 v31, 1, v31
	v_cmp_eq_u32_e32 vcc, 1, v33
	v_subrev_u32_e32 v34, 64, v34
	v_mul_lo_u32 v30, v30, v61
	v_cndmask_b32_e64 v31, v31, 1, vcc
.LBB509_134:                            ; =>This Loop Header: Depth=1
                                        ;     Child Loop BB509_137 Depth 2
                                        ;       Child Loop BB509_138 Depth 3
	v_cmp_ne_u16_sdwa s[38:39], v32, v62 src0_sel:BYTE_0 src1_sel:DWORD
	v_mov_b32_e32 v58, v31
	v_cndmask_b32_e64 v31, 0, 1, s[38:39]
	;;#ASMSTART
	;;#ASMEND
	v_cmp_ne_u32_e32 vcc, 0, v31
	s_cmp_lg_u64 vcc, exec
	v_mov_b32_e32 v61, v30
	s_cbranch_scc1 .LBB509_153
; %bb.135:                              ;   in Loop: Header=BB509_134 Depth=1
	v_lshlrev_b64 v[30:31], 4, v[34:35]
	v_mov_b32_e32 v32, s45
	s_waitcnt lgkmcnt(0)
	v_add_co_u32_e32 v36, vcc, s44, v30
	v_addc_co_u32_e32 v37, vcc, v32, v31, vcc
	;;#ASMSTART
	global_load_dwordx4 v[30:33], v[36:37] off glc	
s_waitcnt vmcnt(0)
	;;#ASMEND
	v_and_b32_e32 v33, 0xff0000, v30
	v_or_b32_sdwa v33, v30, v33 dst_sel:DWORD dst_unused:UNUSED_PAD src0_sel:WORD_0 src1_sel:DWORD
	v_and_b32_e32 v30, 0xff000000, v30
	v_and_b32_e32 v31, 0xff, v31
	v_or3_b32 v31, 0, 0, v31
	v_or3_b32 v30, v33, v30, 0
	v_cmp_eq_u16_sdwa s[40:41], v32, v35 src0_sel:BYTE_0 src1_sel:DWORD
	s_and_saveexec_b64 s[38:39], s[40:41]
	s_cbranch_execz .LBB509_141
; %bb.136:                              ;   in Loop: Header=BB509_134 Depth=1
	s_mov_b32 s49, 1
	s_mov_b64 s[40:41], 0
.LBB509_137:                            ;   Parent Loop BB509_134 Depth=1
                                        ; =>  This Loop Header: Depth=2
                                        ;       Child Loop BB509_138 Depth 3
	s_max_u32 s55, s49, 1
.LBB509_138:                            ;   Parent Loop BB509_134 Depth=1
                                        ;     Parent Loop BB509_137 Depth=2
                                        ; =>    This Inner Loop Header: Depth=3
	s_add_i32 s55, s55, -1
	s_cmp_eq_u32 s55, 0
	s_sleep 1
	s_cbranch_scc0 .LBB509_138
; %bb.139:                              ;   in Loop: Header=BB509_137 Depth=2
	s_cmp_lt_u32 s49, 32
	s_cselect_b64 s[56:57], -1, 0
	s_cmp_lg_u64 s[56:57], 0
	s_addc_u32 s49, s49, 0
	;;#ASMSTART
	global_load_dwordx4 v[30:33], v[36:37] off glc	
s_waitcnt vmcnt(0)
	;;#ASMEND
	v_cmp_ne_u16_sdwa s[56:57], v32, v35 src0_sel:BYTE_0 src1_sel:DWORD
	s_or_b64 s[40:41], s[56:57], s[40:41]
	s_andn2_b64 exec, exec, s[40:41]
	s_cbranch_execnz .LBB509_137
; %bb.140:                              ;   in Loop: Header=BB509_134 Depth=1
	s_or_b64 exec, exec, s[40:41]
	v_and_b32_e32 v31, 0xff, v31
.LBB509_141:                            ;   in Loop: Header=BB509_134 Depth=1
	s_or_b64 exec, exec, s[38:39]
	v_cmp_eq_u16_sdwa s[38:39], v32, v62 src0_sel:BYTE_0 src1_sel:DWORD
	v_and_b32_e32 v33, s39, v29
	v_or_b32_e32 v33, 0x80000000, v33
	ds_bpermute_b32 v63, v48, v30
	ds_bpermute_b32 v37, v48, v31
	v_and_b32_e32 v36, s38, v28
	v_ffbl_b32_e32 v33, v33
	v_add_u32_e32 v33, 32, v33
	v_ffbl_b32_e32 v36, v36
	v_min_u32_e32 v33, v36, v33
	v_cmp_lt_u32_e32 vcc, v27, v33
	v_mov_b32_e32 v36, v31
	s_and_saveexec_b64 s[38:39], vcc
	s_cbranch_execz .LBB509_143
; %bb.142:                              ;   in Loop: Header=BB509_134 Depth=1
	v_cmp_gt_u64_e32 vcc, s[36:37], v[30:31]
	s_waitcnt lgkmcnt(1)
	v_cndmask_b32_e32 v36, 1, v63, vcc
	v_and_b32_e32 v31, 1, v31
	v_mul_lo_u32 v30, v36, v30
	s_waitcnt lgkmcnt(0)
	v_and_b32_e32 v36, 1, v37
	v_cmp_eq_u32_e32 vcc, 1, v31
	v_cndmask_b32_e64 v31, v36, 1, vcc
	v_and_b32_e32 v36, 0xffff, v31
.LBB509_143:                            ;   in Loop: Header=BB509_134 Depth=1
	s_or_b64 exec, exec, s[38:39]
	s_waitcnt lgkmcnt(1)
	ds_bpermute_b32 v63, v49, v30
	s_waitcnt lgkmcnt(1)
	ds_bpermute_b32 v37, v49, v36
	v_cmp_le_u32_e32 vcc, v50, v33
	s_and_saveexec_b64 s[38:39], vcc
	s_cbranch_execz .LBB509_145
; %bb.144:                              ;   in Loop: Header=BB509_134 Depth=1
	v_cmp_eq_u16_e32 vcc, 0, v31
	s_waitcnt lgkmcnt(1)
	v_cndmask_b32_e32 v36, 1, v63, vcc
	v_and_b32_e32 v31, 1, v31
	v_mul_lo_u32 v30, v36, v30
	s_waitcnt lgkmcnt(0)
	v_and_b32_e32 v36, 1, v37
	v_cmp_eq_u32_e32 vcc, 1, v31
	v_cndmask_b32_e64 v31, v36, 1, vcc
	v_and_b32_e32 v36, 0xffff, v31
.LBB509_145:                            ;   in Loop: Header=BB509_134 Depth=1
	s_or_b64 exec, exec, s[38:39]
	s_waitcnt lgkmcnt(1)
	ds_bpermute_b32 v63, v51, v30
	s_waitcnt lgkmcnt(1)
	ds_bpermute_b32 v37, v51, v36
	v_cmp_le_u32_e32 vcc, v53, v33
	s_and_saveexec_b64 s[38:39], vcc
	s_cbranch_execz .LBB509_147
; %bb.146:                              ;   in Loop: Header=BB509_134 Depth=1
	v_cmp_eq_u16_e32 vcc, 0, v31
	s_waitcnt lgkmcnt(1)
	v_cndmask_b32_e32 v36, 1, v63, vcc
	v_and_b32_e32 v31, 1, v31
	v_mul_lo_u32 v30, v36, v30
	s_waitcnt lgkmcnt(0)
	v_and_b32_e32 v36, 1, v37
	v_cmp_eq_u32_e32 vcc, 1, v31
	v_cndmask_b32_e64 v31, v36, 1, vcc
	v_and_b32_e32 v36, 0xffff, v31
.LBB509_147:                            ;   in Loop: Header=BB509_134 Depth=1
	;; [unrolled: 20-line block ×4, first 2 shown]
	s_or_b64 exec, exec, s[38:39]
	s_waitcnt lgkmcnt(0)
	ds_bpermute_b32 v37, v59, v30
	ds_bpermute_b32 v36, v59, v36
	v_cmp_le_u32_e32 vcc, v60, v33
	s_and_saveexec_b64 s[38:39], vcc
	s_cbranch_execz .LBB509_133
; %bb.152:                              ;   in Loop: Header=BB509_134 Depth=1
	v_cmp_eq_u16_e32 vcc, 0, v31
	v_and_b32_e32 v31, 1, v31
	s_waitcnt lgkmcnt(1)
	v_cndmask_b32_e32 v33, 1, v37, vcc
	v_cmp_eq_u32_e32 vcc, 1, v31
	v_mul_lo_u32 v30, v33, v30
	s_waitcnt lgkmcnt(0)
	v_cndmask_b32_e64 v31, v36, 1, vcc
	s_branch .LBB509_133
.LBB509_153:                            ;   in Loop: Header=BB509_134 Depth=1
                                        ; implicit-def: $vgpr31
	s_cbranch_execz .LBB509_134
; %bb.154:
	s_and_saveexec_b64 s[36:37], s[28:29]
	s_cbranch_execz .LBB509_156
; %bb.155:
	s_and_b32 s38, s48, 0xff
	s_cmp_eq_u32 s38, 0
	s_cselect_b64 vcc, -1, 0
	s_bitcmp1_b32 s48, 0
	s_mov_b32 s39, 0
	s_cselect_b64 s[40:41], -1, 0
	s_add_i32 s38, s47, 64
	s_lshl_b64 s[38:39], s[38:39], 4
	v_cndmask_b32_e32 v27, 1, v61, vcc
	s_add_u32 s38, s44, s38
	v_mul_lo_u32 v26, v27, v26
	v_and_b32_e32 v27, 1, v58
	s_addc_u32 s39, s45, s39
	v_cndmask_b32_e64 v27, v27, 1, s[40:41]
	v_mov_b32_e32 v28, 2
	v_mov_b32_e32 v29, 0
	v_pk_mov_b32 v[30:31], s[38:39], s[38:39] op_sel:[0,1]
	;;#ASMSTART
	global_store_dwordx4 v[30:31], v[26:29] off	
s_waitcnt vmcnt(0)
	;;#ASMEND
.LBB509_156:
	s_or_b64 exec, exec, s[36:37]
	s_and_b64 exec, exec, s[0:1]
	s_cbranch_execz .LBB509_158
; %bb.157:
	v_mov_b32_e32 v26, 0
	ds_write_b32 v26, v61 offset:24
	ds_write_b8 v26, v58 offset:28
.LBB509_158:
	s_or_b64 exec, exec, s[30:31]
	v_mov_b32_e32 v28, 0
	s_waitcnt lgkmcnt(0)
	s_barrier
	ds_read_b32 v26, v28 offset:24
	v_cndmask_b32_e64 v29, v47, v45, s[28:29]
	v_cmp_eq_u16_sdwa vcc, v29, v28 src0_sel:BYTE_0 src1_sel:DWORD
	v_cndmask_b32_e64 v27, v46, v44, s[28:29]
	s_waitcnt lgkmcnt(0)
	v_cndmask_b32_e32 v29, 1, v26, vcc
	v_mul_lo_u32 v27, v29, v27
	v_and_b32_e32 v29, 0xff, v41
	v_cndmask_b32_e64 v26, v27, v26, s[0:1]
	v_cmp_eq_u64_e32 vcc, 0, v[28:29]
	v_cndmask_b32_e32 v27, 1, v26, vcc
	v_mul_lo_u32 v27, v27, v40
	v_cndmask_b32_e64 v28, 1, v27, s[4:5]
	v_mul_lo_u32 v44, v28, v8
	v_cndmask_b32_e64 v28, 1, v44, s[6:7]
	;; [unrolled: 2-line block ×12, first 2 shown]
	v_mul_lo_u32 v51, v28, v24
	s_branch .LBB509_199
.LBB509_159:
	s_or_b64 exec, exec, s[30:31]
                                        ; implicit-def: $vgpr14
	s_and_saveexec_b64 s[30:31], s[4:5]
	s_cbranch_execz .LBB509_37
.LBB509_160:
	v_add_co_u32_e32 v14, vcc, v1, v12
	v_addc_co_u32_e32 v15, vcc, 0, v48, vcc
	flat_load_dword v14, v[14:15] offset:1024
	s_or_b64 exec, exec, s[30:31]
                                        ; implicit-def: $vgpr15
	s_and_saveexec_b64 s[4:5], s[6:7]
	s_cbranch_execnz .LBB509_38
.LBB509_161:
	s_or_b64 exec, exec, s[4:5]
                                        ; implicit-def: $vgpr16
	s_and_saveexec_b64 s[4:5], s[8:9]
	s_cbranch_execz .LBB509_39
.LBB509_162:
	v_add_co_u32_e32 v16, vcc, v1, v12
	v_addc_co_u32_e32 v17, vcc, 0, v48, vcc
	flat_load_dword v16, v[16:17] offset:3072
	s_or_b64 exec, exec, s[4:5]
                                        ; implicit-def: $vgpr17
	s_and_saveexec_b64 s[4:5], s[10:11]
	s_cbranch_execnz .LBB509_40
.LBB509_163:
	s_or_b64 exec, exec, s[4:5]
                                        ; implicit-def: $vgpr2
	s_and_saveexec_b64 s[4:5], s[12:13]
	s_cbranch_execz .LBB509_41
.LBB509_164:
	v_lshlrev_b32_e32 v2, 2, v3
	v_add_co_u32_e32 v2, vcc, v1, v2
	v_addc_co_u32_e32 v3, vcc, 0, v48, vcc
	flat_load_dword v2, v[2:3]
	s_or_b64 exec, exec, s[4:5]
                                        ; implicit-def: $vgpr3
	s_and_saveexec_b64 s[4:5], s[14:15]
	s_cbranch_execnz .LBB509_42
.LBB509_165:
	s_or_b64 exec, exec, s[4:5]
                                        ; implicit-def: $vgpr4
	s_and_saveexec_b64 s[4:5], s[16:17]
	s_cbranch_execz .LBB509_43
.LBB509_166:
	v_lshlrev_b32_e32 v4, 2, v5
	v_add_co_u32_e32 v4, vcc, v1, v4
	v_addc_co_u32_e32 v5, vcc, 0, v48, vcc
	flat_load_dword v4, v[4:5]
	s_or_b64 exec, exec, s[4:5]
                                        ; implicit-def: $vgpr5
	s_and_saveexec_b64 s[4:5], s[18:19]
	s_cbranch_execnz .LBB509_44
.LBB509_167:
	s_or_b64 exec, exec, s[4:5]
                                        ; implicit-def: $vgpr6
	s_and_saveexec_b64 s[4:5], s[20:21]
	s_cbranch_execz .LBB509_45
.LBB509_168:
	v_lshlrev_b32_e32 v6, 2, v7
	v_add_co_u32_e32 v6, vcc, v1, v6
	v_addc_co_u32_e32 v7, vcc, 0, v48, vcc
	flat_load_dword v6, v[6:7]
	s_or_b64 exec, exec, s[4:5]
                                        ; implicit-def: $vgpr7
	s_and_saveexec_b64 s[4:5], s[22:23]
	s_cbranch_execnz .LBB509_46
.LBB509_169:
	s_or_b64 exec, exec, s[4:5]
                                        ; implicit-def: $vgpr8
	s_and_saveexec_b64 s[4:5], s[24:25]
	s_cbranch_execz .LBB509_47
.LBB509_170:
	v_lshlrev_b32_e32 v8, 2, v9
	v_add_co_u32_e32 v8, vcc, v1, v8
	v_addc_co_u32_e32 v9, vcc, 0, v48, vcc
	flat_load_dword v8, v[8:9]
	s_or_b64 exec, exec, s[4:5]
                                        ; implicit-def: $vgpr9
	s_and_saveexec_b64 s[4:5], s[26:27]
	s_cbranch_execz .LBB509_49
	s_branch .LBB509_48
.LBB509_171:
                                        ; implicit-def: $vgpr51
                                        ; implicit-def: $vgpr49
                                        ; implicit-def: $vgpr47
                                        ; implicit-def: $vgpr45
                                        ; implicit-def: $vgpr34_vgpr35_vgpr36_vgpr37
                                        ; implicit-def: $vgpr30_vgpr31_vgpr32_vgpr33
                                        ; implicit-def: $vgpr26_vgpr27_vgpr28_vgpr29
	s_cbranch_execz .LBB509_199
; %bb.172:
	s_cmp_lg_u64 s[52:53], 0
	s_cselect_b32 s5, s51, 0
	s_cselect_b32 s4, s50, 0
	s_mov_b32 s26, 0
	s_cmp_eq_u64 s[4:5], 0
	v_mov_b32_e32 v32, s54
	s_cbranch_scc1 .LBB509_174
; %bb.173:
	v_mov_b32_e32 v26, 0
	global_load_dword v32, v26, s[4:5]
.LBB509_174:
	s_mov_b32 s27, 1
	v_cmp_gt_u64_e32 vcc, s[26:27], v[8:9]
	v_cndmask_b32_e32 v26, 1, v40, vcc
	v_mul_lo_u32 v26, v26, v8
	v_cmp_gt_u64_e64 s[4:5], s[26:27], v[6:7]
	v_cndmask_b32_e64 v26, 1, v26, s[4:5]
	v_mul_lo_u32 v26, v26, v6
	v_cmp_gt_u64_e64 s[6:7], s[26:27], v[4:5]
	v_cndmask_b32_e64 v26, 1, v26, s[6:7]
	;; [unrolled: 3-line block ×12, first 2 shown]
	v_mul_lo_u32 v29, v26, v42
	v_and_b32_e32 v26, 1, v43
	v_cmp_eq_u32_e64 s[26:27], 1, v26
	v_or3_b32 v7, v23, v15, v7
	v_mov_b32_e32 v26, 0
	v_or3_b32 v9, v25, v17, v9
	v_and_b32_e32 v37, 1, v7
	v_mov_b32_e32 v36, v26
	v_or3_b32 v3, v19, v11, v3
	v_and_b32_e32 v35, 1, v9
	v_mov_b32_e32 v34, v26
	v_cmp_ne_u64_e64 s[28:29], 0, v[36:37]
	v_or3_b32 v5, v21, v13, v5
	v_and_b32_e32 v27, 1, v3
	v_cndmask_b32_e64 v3, 0, 1, s[28:29]
	v_cmp_ne_u64_e64 s[28:29], 0, v[34:35]
	v_and_b32_e32 v31, 1, v5
	v_mov_b32_e32 v30, v26
	v_cndmask_b32_e64 v5, 0, 1, s[28:29]
	v_lshlrev_b16_e32 v3, 2, v3
	v_lshlrev_b16_e32 v5, 3, v5
	v_cmp_ne_u64_e64 s[28:29], 0, v[30:31]
	v_or_b32_e32 v3, v5, v3
	v_cndmask_b32_e64 v5, 0, 1, s[28:29]
	v_cmp_ne_u64_e64 s[28:29], 0, v[26:27]
	v_lshlrev_b16_e32 v5, 1, v5
	v_cndmask_b32_e64 v7, 0, 1, s[28:29]
	v_or_b32_e32 v5, v7, v5
	v_and_b32_e32 v5, 3, v5
	v_or_b32_e32 v3, v5, v3
	v_and_b32_e32 v3, 15, v3
	v_cmp_ne_u16_e64 s[28:29], 0, v3
	s_or_b64 s[26:27], s[26:27], s[28:29]
	v_cndmask_b32_e64 v3, v41, 1, s[26:27]
	v_mbcnt_hi_u32_b32 v1, -1, v1
	v_and_b32_e32 v7, 15, v1
	v_and_b32_e32 v5, 0xff, v3
	v_mov_b32_dpp v11, v29 row_shr:1 row_mask:0xf bank_mask:0xf
	v_cmp_ne_u32_e64 s[26:27], 0, v7
	v_mov_b32_dpp v9, v5 row_shr:1 row_mask:0xf bank_mask:0xf
	s_and_saveexec_b64 s[28:29], s[26:27]
; %bb.175:
	v_cmp_eq_u16_sdwa s[26:27], v3, v26 src0_sel:BYTE_0 src1_sel:DWORD
	v_cndmask_b32_e64 v5, 1, v11, s[26:27]
	v_and_b32_e32 v3, 1, v3
	v_mul_lo_u32 v29, v5, v29
	v_and_b32_e32 v5, 1, v9
	v_cmp_eq_u32_e64 s[26:27], 1, v3
	v_cndmask_b32_e64 v3, v5, 1, s[26:27]
	v_and_b32_e32 v5, 0xffff, v3
; %bb.176:
	s_or_b64 exec, exec, s[28:29]
	v_mov_b32_dpp v11, v29 row_shr:2 row_mask:0xf bank_mask:0xf
	v_mov_b32_dpp v9, v5 row_shr:2 row_mask:0xf bank_mask:0xf
	v_cmp_lt_u32_e64 s[26:27], 1, v7
	s_and_saveexec_b64 s[28:29], s[26:27]
; %bb.177:
	v_mov_b32_e32 v5, 0
	v_cmp_eq_u16_sdwa s[26:27], v3, v5 src0_sel:BYTE_0 src1_sel:DWORD
	v_cndmask_b32_e64 v5, 1, v11, s[26:27]
	v_and_b32_e32 v3, 1, v3
	v_mul_lo_u32 v29, v5, v29
	v_and_b32_e32 v5, 1, v9
	v_cmp_eq_u32_e64 s[26:27], 1, v3
	v_cndmask_b32_e64 v3, v5, 1, s[26:27]
	v_and_b32_e32 v5, 0xffff, v3
; %bb.178:
	s_or_b64 exec, exec, s[28:29]
	v_mov_b32_dpp v11, v29 row_shr:4 row_mask:0xf bank_mask:0xf
	v_mov_b32_dpp v9, v5 row_shr:4 row_mask:0xf bank_mask:0xf
	v_cmp_lt_u32_e64 s[26:27], 3, v7
	s_and_saveexec_b64 s[28:29], s[26:27]
; %bb.179:
	v_mov_b32_e32 v5, 0
	;; [unrolled: 16-line block ×3, first 2 shown]
	v_cmp_eq_u16_sdwa s[26:27], v3, v5 src0_sel:BYTE_0 src1_sel:DWORD
	v_cndmask_b32_e64 v5, 1, v11, s[26:27]
	v_and_b32_e32 v3, 1, v3
	v_mul_lo_u32 v29, v5, v29
	v_and_b32_e32 v5, 1, v9
	v_cmp_eq_u32_e64 s[26:27], 1, v3
	v_cndmask_b32_e64 v3, v5, 1, s[26:27]
	v_and_b32_e32 v5, 0xffff, v3
; %bb.182:
	s_or_b64 exec, exec, s[28:29]
	v_and_b32_e32 v11, 16, v1
	v_mov_b32_dpp v9, v29 row_bcast:15 row_mask:0xf bank_mask:0xf
	v_mov_b32_dpp v7, v5 row_bcast:15 row_mask:0xf bank_mask:0xf
	v_cmp_ne_u32_e64 s[26:27], 0, v11
	s_and_saveexec_b64 s[28:29], s[26:27]
; %bb.183:
	v_mov_b32_e32 v5, 0
	v_cmp_eq_u16_sdwa s[26:27], v3, v5 src0_sel:BYTE_0 src1_sel:DWORD
	v_cndmask_b32_e64 v5, 1, v9, s[26:27]
	v_and_b32_e32 v3, 1, v3
	v_mul_lo_u32 v29, v5, v29
	v_and_b32_e32 v5, 1, v7
	v_cmp_eq_u32_e64 s[26:27], 1, v3
	v_cndmask_b32_e64 v3, v5, 1, s[26:27]
	v_and_b32_e32 v5, 0xffff, v3
; %bb.184:
	s_or_b64 exec, exec, s[28:29]
	v_mov_b32_dpp v7, v29 row_bcast:31 row_mask:0xf bank_mask:0xf
	v_mov_b32_dpp v5, v5 row_bcast:31 row_mask:0xf bank_mask:0xf
	v_cmp_lt_u32_e64 s[26:27], 31, v1
	s_and_saveexec_b64 s[28:29], s[26:27]
; %bb.185:
	v_mov_b32_e32 v9, 0
	v_cmp_eq_u16_sdwa s[26:27], v3, v9 src0_sel:BYTE_0 src1_sel:DWORD
	v_and_b32_e32 v3, 1, v3
	v_cndmask_b32_e64 v7, 1, v7, s[26:27]
	v_and_b32_e32 v5, 1, v5
	v_cmp_eq_u32_e64 s[26:27], 1, v3
	v_mul_lo_u32 v29, v7, v29
	v_cndmask_b32_e64 v3, v5, 1, s[26:27]
; %bb.186:
	s_or_b64 exec, exec, s[28:29]
	v_or_b32_e32 v7, 63, v0
	v_lshrrev_b32_e32 v5, 6, v0
	v_cmp_eq_u32_e64 s[26:27], v7, v0
	s_and_saveexec_b64 s[28:29], s[26:27]
	s_cbranch_execz .LBB509_188
; %bb.187:
	v_lshlrev_b32_e32 v7, 3, v5
	ds_write_b32 v7, v29
	ds_write_b8 v7, v3 offset:4
.LBB509_188:
	s_or_b64 exec, exec, s[28:29]
	v_cmp_gt_u32_e64 s[26:27], 4, v0
	s_waitcnt lgkmcnt(0)
	s_barrier
	s_and_saveexec_b64 s[28:29], s[26:27]
	s_cbranch_execz .LBB509_194
; %bb.189:
	v_lshlrev_b32_e32 v7, 3, v0
	ds_read_b64 v[26:27], v7
	v_and_b32_e32 v9, 3, v1
	v_cmp_ne_u32_e64 s[26:27], 0, v9
	s_waitcnt lgkmcnt(0)
	v_mov_b32_dpp v15, v26 row_shr:1 row_mask:0xf bank_mask:0xf
	v_mov_b32_dpp v13, v27 row_shr:1 row_mask:0xf bank_mask:0xf
	v_mov_b32_e32 v11, v27
	s_and_saveexec_b64 s[30:31], s[26:27]
	s_cbranch_execz .LBB509_191
; %bb.190:
	v_mov_b32_e32 v11, 0
	v_cmp_eq_u16_sdwa s[26:27], v27, v11 src0_sel:BYTE_0 src1_sel:DWORD
	v_cndmask_b32_e64 v11, 1, v15, s[26:27]
	v_mul_lo_u32 v26, v11, v26
	v_and_b32_e32 v11, 1, v27
	v_and_b32_e32 v13, 1, v13
	v_cmp_eq_u32_e64 s[26:27], 1, v11
	v_cndmask_b32_e64 v13, v13, 1, s[26:27]
	v_and_b32_e32 v11, 0xffff, v13
	s_movk_i32 s26, 0xff00
	v_and_or_b32 v11, v27, s26, v11
	v_mov_b32_e32 v27, v13
.LBB509_191:
	s_or_b64 exec, exec, s[30:31]
	v_mov_b32_dpp v13, v26 row_shr:2 row_mask:0xf bank_mask:0xf
	v_mov_b32_dpp v11, v11 row_shr:2 row_mask:0xf bank_mask:0xf
	v_cmp_lt_u32_e64 s[26:27], 1, v9
	s_and_saveexec_b64 s[30:31], s[26:27]
; %bb.192:
	v_mov_b32_e32 v9, 0
	v_cmp_eq_u16_sdwa s[26:27], v27, v9 src0_sel:BYTE_0 src1_sel:DWORD
	v_cndmask_b32_e64 v9, 1, v13, s[26:27]
	v_mul_lo_u32 v26, v9, v26
	v_and_b32_e32 v9, 1, v27
	v_and_b32_e32 v11, 1, v11
	v_cmp_eq_u32_e64 s[26:27], 1, v9
	v_cndmask_b32_e64 v27, v11, 1, s[26:27]
; %bb.193:
	s_or_b64 exec, exec, s[30:31]
	ds_write_b32 v7, v26
	ds_write_b8 v7, v27 offset:4
.LBB509_194:
	s_or_b64 exec, exec, s[28:29]
	v_cmp_lt_u32_e64 s[26:27], 63, v0
	s_waitcnt vmcnt(0)
	v_mov_b32_e32 v7, v32
	s_waitcnt lgkmcnt(0)
	s_barrier
	s_and_saveexec_b64 s[28:29], s[26:27]
	s_cbranch_execz .LBB509_196
; %bb.195:
	v_lshl_add_u32 v5, v5, 3, -8
	ds_read_u8 v7, v5 offset:4
	ds_read_b32 v5, v5
	s_waitcnt lgkmcnt(1)
	v_cmp_eq_u16_e64 s[26:27], 0, v7
	v_cndmask_b32_e64 v7, 1, v32, s[26:27]
	s_waitcnt lgkmcnt(0)
	v_mul_lo_u32 v7, v7, v5
.LBB509_196:
	s_or_b64 exec, exec, s[28:29]
	v_mov_b32_e32 v28, 0
	v_cmp_eq_u16_sdwa s[26:27], v3, v28 src0_sel:BYTE_0 src1_sel:DWORD
	v_add_u32_e32 v5, -1, v1
	v_and_b32_e32 v9, 64, v1
	v_cndmask_b32_e64 v3, 1, v7, s[26:27]
	v_cmp_lt_i32_e64 s[26:27], v5, v9
	v_cndmask_b32_e64 v5, v5, v1, s[26:27]
	v_mul_lo_u32 v3, v3, v29
	v_lshlrev_b32_e32 v5, 2, v5
	ds_bpermute_b32 v3, v5, v3
	v_cmp_eq_u32_e64 s[26:27], 0, v1
	v_and_b32_e32 v29, 0xff, v41
	s_waitcnt lgkmcnt(0)
	v_cndmask_b32_e64 v26, v3, v7, s[26:27]
	v_cndmask_b32_e64 v1, v26, v32, s[0:1]
	v_cmp_eq_u64_e64 s[26:27], 0, v[28:29]
	v_cndmask_b32_e64 v1, 1, v1, s[26:27]
	v_mul_lo_u32 v27, v1, v40
	v_cndmask_b32_e32 v1, 1, v27, vcc
	v_mul_lo_u32 v44, v1, v8
	v_cndmask_b32_e64 v1, 1, v44, s[4:5]
	v_mul_lo_u32 v45, v1, v6
	v_cndmask_b32_e64 v1, 1, v45, s[6:7]
	;; [unrolled: 2-line block ×11, first 2 shown]
	s_and_saveexec_b64 s[4:5], s[0:1]
	s_cbranch_execz .LBB509_198
; %bb.197:
	ds_read_u8 v3, v28 offset:28
	ds_read_b32 v2, v28 offset:24
	s_add_u32 s0, s44, 0x400
	s_addc_u32 s1, s45, 0
	v_mov_b32_e32 v5, v28
	s_waitcnt lgkmcnt(1)
	v_cmp_eq_u16_e32 vcc, 0, v3
	v_cndmask_b32_e32 v4, 1, v32, vcc
	s_waitcnt lgkmcnt(0)
	v_mul_lo_u32 v2, v4, v2
	v_and_b32_e32 v3, 0xffff, v3
	v_mov_b32_e32 v4, 2
	v_pk_mov_b32 v[6:7], s[0:1], s[0:1] op_sel:[0,1]
	;;#ASMSTART
	global_store_dwordx4 v[6:7], v[2:5] off	
s_waitcnt vmcnt(0)
	;;#ASMEND
	v_mov_b32_e32 v26, v32
.LBB509_198:
	s_or_b64 exec, exec, s[4:5]
	v_mul_lo_u32 v51, v1, v24
.LBB509_199:
	s_add_u32 s0, s42, s34
	s_addc_u32 s1, s43, s35
	v_mov_b32_e32 v1, s1
	v_add_co_u32_e32 v18, vcc, s0, v38
	v_addc_co_u32_e32 v19, vcc, v1, v39, vcc
	v_mul_u32_u24_e32 v1, 14, v0
	s_and_b64 vcc, exec, s[2:3]
	v_lshlrev_b32_e32 v2, 2, v1
	s_cbranch_vccz .LBB509_227
; %bb.200:
	s_movk_i32 s0, 0xffcc
	v_mad_i32_i24 v3, v0, s0, v2
	s_barrier
	ds_write2_b64 v2, v[26:27], v[44:45] offset1:1
	ds_write2_b64 v2, v[30:31], v[46:47] offset0:2 offset1:3
	ds_write2_b64 v2, v[34:35], v[48:49] offset0:4 offset1:5
	ds_write_b64 v2, v[50:51] offset:48
	s_waitcnt lgkmcnt(0)
	s_barrier
	ds_read2st64_b32 v[16:17], v3 offset0:4 offset1:8
	ds_read2st64_b32 v[14:15], v3 offset0:12 offset1:16
	ds_read2st64_b32 v[12:13], v3 offset0:20 offset1:24
	ds_read2st64_b32 v[10:11], v3 offset0:28 offset1:32
	ds_read2st64_b32 v[8:9], v3 offset0:36 offset1:40
	ds_read2st64_b32 v[4:5], v3 offset0:44 offset1:48
	ds_read_b32 v3, v3 offset:13312
	v_add_co_u32_e32 v6, vcc, v18, v52
	s_add_i32 s33, s33, s46
	v_addc_co_u32_e32 v7, vcc, 0, v19, vcc
	v_mov_b32_e32 v1, 0
	v_cmp_gt_u32_e32 vcc, s33, v0
	s_and_saveexec_b64 s[0:1], vcc
	s_cbranch_execz .LBB509_202
; %bb.201:
	v_mul_i32_i24_e32 v20, 0xffffffcc, v0
	v_add_u32_e32 v20, v2, v20
	ds_read_b32 v20, v20
	s_waitcnt lgkmcnt(0)
	flat_store_dword v[6:7], v20
.LBB509_202:
	s_or_b64 exec, exec, s[0:1]
	v_or_b32_e32 v20, 0x100, v0
	v_cmp_gt_u32_e32 vcc, s33, v20
	s_and_saveexec_b64 s[0:1], vcc
	s_cbranch_execz .LBB509_204
; %bb.203:
	s_waitcnt lgkmcnt(0)
	flat_store_dword v[6:7], v16 offset:1024
.LBB509_204:
	s_or_b64 exec, exec, s[0:1]
	s_waitcnt lgkmcnt(0)
	v_or_b32_e32 v16, 0x200, v0
	v_cmp_gt_u32_e32 vcc, s33, v16
	s_and_saveexec_b64 s[0:1], vcc
	s_cbranch_execz .LBB509_206
; %bb.205:
	flat_store_dword v[6:7], v17 offset:2048
.LBB509_206:
	s_or_b64 exec, exec, s[0:1]
	v_or_b32_e32 v16, 0x300, v0
	v_cmp_gt_u32_e32 vcc, s33, v16
	s_and_saveexec_b64 s[0:1], vcc
	s_cbranch_execz .LBB509_208
; %bb.207:
	flat_store_dword v[6:7], v14 offset:3072
.LBB509_208:
	s_or_b64 exec, exec, s[0:1]
	v_or_b32_e32 v14, 0x400, v0
	v_cmp_gt_u32_e32 vcc, s33, v14
	s_and_saveexec_b64 s[0:1], vcc
	s_cbranch_execz .LBB509_210
; %bb.209:
	v_add_co_u32_e32 v16, vcc, 0x1000, v6
	v_addc_co_u32_e32 v17, vcc, 0, v7, vcc
	flat_store_dword v[16:17], v15
.LBB509_210:
	s_or_b64 exec, exec, s[0:1]
	v_or_b32_e32 v14, 0x500, v0
	v_cmp_gt_u32_e32 vcc, s33, v14
	s_and_saveexec_b64 s[0:1], vcc
	s_cbranch_execz .LBB509_212
; %bb.211:
	v_add_co_u32_e32 v14, vcc, 0x1000, v6
	v_addc_co_u32_e32 v15, vcc, 0, v7, vcc
	flat_store_dword v[14:15], v12 offset:1024
.LBB509_212:
	s_or_b64 exec, exec, s[0:1]
	v_or_b32_e32 v12, 0x600, v0
	v_cmp_gt_u32_e32 vcc, s33, v12
	s_and_saveexec_b64 s[0:1], vcc
	s_cbranch_execz .LBB509_214
; %bb.213:
	v_add_co_u32_e32 v14, vcc, 0x1000, v6
	v_addc_co_u32_e32 v15, vcc, 0, v7, vcc
	flat_store_dword v[14:15], v13 offset:2048
.LBB509_214:
	;; [unrolled: 10-line block ×3, first 2 shown]
	s_or_b64 exec, exec, s[0:1]
	v_or_b32_e32 v10, 0x800, v0
	v_cmp_gt_u32_e32 vcc, s33, v10
	s_and_saveexec_b64 s[0:1], vcc
	s_cbranch_execz .LBB509_218
; %bb.217:
	v_add_co_u32_e32 v12, vcc, 0x2000, v6
	v_addc_co_u32_e32 v13, vcc, 0, v7, vcc
	flat_store_dword v[12:13], v11
.LBB509_218:
	s_or_b64 exec, exec, s[0:1]
	v_or_b32_e32 v10, 0x900, v0
	v_cmp_gt_u32_e32 vcc, s33, v10
	s_and_saveexec_b64 s[0:1], vcc
	s_cbranch_execz .LBB509_220
; %bb.219:
	v_add_co_u32_e32 v10, vcc, 0x2000, v6
	v_addc_co_u32_e32 v11, vcc, 0, v7, vcc
	flat_store_dword v[10:11], v8 offset:1024
.LBB509_220:
	s_or_b64 exec, exec, s[0:1]
	v_or_b32_e32 v8, 0xa00, v0
	v_cmp_gt_u32_e32 vcc, s33, v8
	s_and_saveexec_b64 s[0:1], vcc
	s_cbranch_execz .LBB509_222
; %bb.221:
	v_add_co_u32_e32 v10, vcc, 0x2000, v6
	v_addc_co_u32_e32 v11, vcc, 0, v7, vcc
	flat_store_dword v[10:11], v9 offset:2048
.LBB509_222:
	;; [unrolled: 10-line block ×3, first 2 shown]
	s_or_b64 exec, exec, s[0:1]
	v_or_b32_e32 v4, 0xc00, v0
	v_cmp_gt_u32_e32 vcc, s33, v4
	s_and_saveexec_b64 s[0:1], vcc
	s_cbranch_execz .LBB509_226
; %bb.225:
	v_add_co_u32_e32 v6, vcc, 0x3000, v6
	v_addc_co_u32_e32 v7, vcc, 0, v7, vcc
	flat_store_dword v[6:7], v5
.LBB509_226:
	s_or_b64 exec, exec, s[0:1]
	v_or_b32_e32 v4, 0xd00, v0
	v_cmp_gt_u32_e64 s[0:1], s33, v4
	s_branch .LBB509_229
.LBB509_227:
	s_mov_b64 s[0:1], 0
                                        ; implicit-def: $vgpr3
	s_cbranch_execz .LBB509_229
; %bb.228:
	s_movk_i32 s2, 0xffcc
	s_waitcnt lgkmcnt(0)
	s_barrier
	ds_write2_b64 v2, v[26:27], v[44:45] offset1:1
	ds_write2_b64 v2, v[30:31], v[46:47] offset0:2 offset1:3
	ds_write2_b64 v2, v[34:35], v[48:49] offset0:4 offset1:5
	ds_write_b64 v2, v[50:51] offset:48
	v_mad_i32_i24 v2, v0, s2, v2
	v_add_co_u32_e32 v16, vcc, v18, v52
	s_waitcnt lgkmcnt(0)
	s_barrier
	ds_read2st64_b32 v[4:5], v2 offset1:4
	ds_read2st64_b32 v[6:7], v2 offset0:8 offset1:12
	ds_read2st64_b32 v[8:9], v2 offset0:16 offset1:20
	;; [unrolled: 1-line block ×6, first 2 shown]
	v_addc_co_u32_e32 v17, vcc, 0, v19, vcc
	s_movk_i32 s2, 0x1000
	s_waitcnt lgkmcnt(0)
	flat_store_dword v[16:17], v4
	flat_store_dword v[16:17], v5 offset:1024
	flat_store_dword v[16:17], v6 offset:2048
	;; [unrolled: 1-line block ×3, first 2 shown]
	v_add_co_u32_e32 v4, vcc, s2, v16
	v_addc_co_u32_e32 v5, vcc, 0, v17, vcc
	flat_store_dword v[4:5], v8
	flat_store_dword v[4:5], v9 offset:1024
	flat_store_dword v[4:5], v10 offset:2048
	;; [unrolled: 1-line block ×3, first 2 shown]
	v_add_co_u32_e32 v4, vcc, 0x2000, v16
	v_addc_co_u32_e32 v5, vcc, 0, v17, vcc
	flat_store_dword v[4:5], v12
	flat_store_dword v[4:5], v13 offset:1024
	flat_store_dword v[4:5], v14 offset:2048
	;; [unrolled: 1-line block ×3, first 2 shown]
	v_add_co_u32_e32 v4, vcc, 0x3000, v16
	v_mov_b32_e32 v1, 0
	v_addc_co_u32_e32 v5, vcc, 0, v17, vcc
	s_or_b64 s[0:1], s[0:1], exec
	flat_store_dword v[4:5], v2
.LBB509_229:
	s_and_saveexec_b64 s[2:3], s[0:1]
	s_cbranch_execz .LBB509_231
; %bb.230:
	v_lshlrev_b64 v[0:1], 2, v[0:1]
	v_add_co_u32_e32 v0, vcc, v18, v0
	v_addc_co_u32_e32 v1, vcc, v19, v1, vcc
	v_add_co_u32_e32 v0, vcc, 0x3000, v0
	v_addc_co_u32_e32 v1, vcc, 0, v1, vcc
	flat_store_dword v[0:1], v3 offset:1024
	s_endpgm
.LBB509_231:
	s_endpgm
	.section	.rodata,"a",@progbits
	.p2align	6, 0x0
	.amdhsa_kernel _ZN7rocprim17ROCPRIM_400000_NS6detail17trampoline_kernelINS0_14default_configENS1_27scan_by_key_config_selectorIiiEEZZNS1_16scan_by_key_implILNS1_25lookback_scan_determinismE0ELb1ES3_N6thrust23THRUST_200600_302600_NS6detail15normal_iteratorINS9_10device_ptrIiEEEESE_SE_iNS9_10multipliesIiEENS9_8equal_toIiEEiEE10hipError_tPvRmT2_T3_T4_T5_mT6_T7_P12ihipStream_tbENKUlT_T0_E_clISt17integral_constantIbLb1EESZ_EEDaSU_SV_EUlSU_E_NS1_11comp_targetILNS1_3genE4ELNS1_11target_archE910ELNS1_3gpuE8ELNS1_3repE0EEENS1_30default_config_static_selectorELNS0_4arch9wavefront6targetE1EEEvT1_
		.amdhsa_group_segment_fixed_size 16384
		.amdhsa_private_segment_fixed_size 0
		.amdhsa_kernarg_size 112
		.amdhsa_user_sgpr_count 6
		.amdhsa_user_sgpr_private_segment_buffer 1
		.amdhsa_user_sgpr_dispatch_ptr 0
		.amdhsa_user_sgpr_queue_ptr 0
		.amdhsa_user_sgpr_kernarg_segment_ptr 1
		.amdhsa_user_sgpr_dispatch_id 0
		.amdhsa_user_sgpr_flat_scratch_init 0
		.amdhsa_user_sgpr_kernarg_preload_length 0
		.amdhsa_user_sgpr_kernarg_preload_offset 0
		.amdhsa_user_sgpr_private_segment_size 0
		.amdhsa_uses_dynamic_stack 0
		.amdhsa_system_sgpr_private_segment_wavefront_offset 0
		.amdhsa_system_sgpr_workgroup_id_x 1
		.amdhsa_system_sgpr_workgroup_id_y 0
		.amdhsa_system_sgpr_workgroup_id_z 0
		.amdhsa_system_sgpr_workgroup_info 0
		.amdhsa_system_vgpr_workitem_id 0
		.amdhsa_next_free_vgpr 64
		.amdhsa_next_free_sgpr 60
		.amdhsa_accum_offset 64
		.amdhsa_reserve_vcc 1
		.amdhsa_reserve_flat_scratch 0
		.amdhsa_float_round_mode_32 0
		.amdhsa_float_round_mode_16_64 0
		.amdhsa_float_denorm_mode_32 3
		.amdhsa_float_denorm_mode_16_64 3
		.amdhsa_dx10_clamp 1
		.amdhsa_ieee_mode 1
		.amdhsa_fp16_overflow 0
		.amdhsa_tg_split 0
		.amdhsa_exception_fp_ieee_invalid_op 0
		.amdhsa_exception_fp_denorm_src 0
		.amdhsa_exception_fp_ieee_div_zero 0
		.amdhsa_exception_fp_ieee_overflow 0
		.amdhsa_exception_fp_ieee_underflow 0
		.amdhsa_exception_fp_ieee_inexact 0
		.amdhsa_exception_int_div_zero 0
	.end_amdhsa_kernel
	.section	.text._ZN7rocprim17ROCPRIM_400000_NS6detail17trampoline_kernelINS0_14default_configENS1_27scan_by_key_config_selectorIiiEEZZNS1_16scan_by_key_implILNS1_25lookback_scan_determinismE0ELb1ES3_N6thrust23THRUST_200600_302600_NS6detail15normal_iteratorINS9_10device_ptrIiEEEESE_SE_iNS9_10multipliesIiEENS9_8equal_toIiEEiEE10hipError_tPvRmT2_T3_T4_T5_mT6_T7_P12ihipStream_tbENKUlT_T0_E_clISt17integral_constantIbLb1EESZ_EEDaSU_SV_EUlSU_E_NS1_11comp_targetILNS1_3genE4ELNS1_11target_archE910ELNS1_3gpuE8ELNS1_3repE0EEENS1_30default_config_static_selectorELNS0_4arch9wavefront6targetE1EEEvT1_,"axG",@progbits,_ZN7rocprim17ROCPRIM_400000_NS6detail17trampoline_kernelINS0_14default_configENS1_27scan_by_key_config_selectorIiiEEZZNS1_16scan_by_key_implILNS1_25lookback_scan_determinismE0ELb1ES3_N6thrust23THRUST_200600_302600_NS6detail15normal_iteratorINS9_10device_ptrIiEEEESE_SE_iNS9_10multipliesIiEENS9_8equal_toIiEEiEE10hipError_tPvRmT2_T3_T4_T5_mT6_T7_P12ihipStream_tbENKUlT_T0_E_clISt17integral_constantIbLb1EESZ_EEDaSU_SV_EUlSU_E_NS1_11comp_targetILNS1_3genE4ELNS1_11target_archE910ELNS1_3gpuE8ELNS1_3repE0EEENS1_30default_config_static_selectorELNS0_4arch9wavefront6targetE1EEEvT1_,comdat
.Lfunc_end509:
	.size	_ZN7rocprim17ROCPRIM_400000_NS6detail17trampoline_kernelINS0_14default_configENS1_27scan_by_key_config_selectorIiiEEZZNS1_16scan_by_key_implILNS1_25lookback_scan_determinismE0ELb1ES3_N6thrust23THRUST_200600_302600_NS6detail15normal_iteratorINS9_10device_ptrIiEEEESE_SE_iNS9_10multipliesIiEENS9_8equal_toIiEEiEE10hipError_tPvRmT2_T3_T4_T5_mT6_T7_P12ihipStream_tbENKUlT_T0_E_clISt17integral_constantIbLb1EESZ_EEDaSU_SV_EUlSU_E_NS1_11comp_targetILNS1_3genE4ELNS1_11target_archE910ELNS1_3gpuE8ELNS1_3repE0EEENS1_30default_config_static_selectorELNS0_4arch9wavefront6targetE1EEEvT1_, .Lfunc_end509-_ZN7rocprim17ROCPRIM_400000_NS6detail17trampoline_kernelINS0_14default_configENS1_27scan_by_key_config_selectorIiiEEZZNS1_16scan_by_key_implILNS1_25lookback_scan_determinismE0ELb1ES3_N6thrust23THRUST_200600_302600_NS6detail15normal_iteratorINS9_10device_ptrIiEEEESE_SE_iNS9_10multipliesIiEENS9_8equal_toIiEEiEE10hipError_tPvRmT2_T3_T4_T5_mT6_T7_P12ihipStream_tbENKUlT_T0_E_clISt17integral_constantIbLb1EESZ_EEDaSU_SV_EUlSU_E_NS1_11comp_targetILNS1_3genE4ELNS1_11target_archE910ELNS1_3gpuE8ELNS1_3repE0EEENS1_30default_config_static_selectorELNS0_4arch9wavefront6targetE1EEEvT1_
                                        ; -- End function
	.section	.AMDGPU.csdata,"",@progbits
; Kernel info:
; codeLenInByte = 11564
; NumSgprs: 64
; NumVgprs: 64
; NumAgprs: 0
; TotalNumVgprs: 64
; ScratchSize: 0
; MemoryBound: 0
; FloatMode: 240
; IeeeMode: 1
; LDSByteSize: 16384 bytes/workgroup (compile time only)
; SGPRBlocks: 7
; VGPRBlocks: 7
; NumSGPRsForWavesPerEU: 64
; NumVGPRsForWavesPerEU: 64
; AccumOffset: 64
; Occupancy: 4
; WaveLimiterHint : 1
; COMPUTE_PGM_RSRC2:SCRATCH_EN: 0
; COMPUTE_PGM_RSRC2:USER_SGPR: 6
; COMPUTE_PGM_RSRC2:TRAP_HANDLER: 0
; COMPUTE_PGM_RSRC2:TGID_X_EN: 1
; COMPUTE_PGM_RSRC2:TGID_Y_EN: 0
; COMPUTE_PGM_RSRC2:TGID_Z_EN: 0
; COMPUTE_PGM_RSRC2:TIDIG_COMP_CNT: 0
; COMPUTE_PGM_RSRC3_GFX90A:ACCUM_OFFSET: 15
; COMPUTE_PGM_RSRC3_GFX90A:TG_SPLIT: 0
	.section	.text._ZN7rocprim17ROCPRIM_400000_NS6detail17trampoline_kernelINS0_14default_configENS1_27scan_by_key_config_selectorIiiEEZZNS1_16scan_by_key_implILNS1_25lookback_scan_determinismE0ELb1ES3_N6thrust23THRUST_200600_302600_NS6detail15normal_iteratorINS9_10device_ptrIiEEEESE_SE_iNS9_10multipliesIiEENS9_8equal_toIiEEiEE10hipError_tPvRmT2_T3_T4_T5_mT6_T7_P12ihipStream_tbENKUlT_T0_E_clISt17integral_constantIbLb1EESZ_EEDaSU_SV_EUlSU_E_NS1_11comp_targetILNS1_3genE3ELNS1_11target_archE908ELNS1_3gpuE7ELNS1_3repE0EEENS1_30default_config_static_selectorELNS0_4arch9wavefront6targetE1EEEvT1_,"axG",@progbits,_ZN7rocprim17ROCPRIM_400000_NS6detail17trampoline_kernelINS0_14default_configENS1_27scan_by_key_config_selectorIiiEEZZNS1_16scan_by_key_implILNS1_25lookback_scan_determinismE0ELb1ES3_N6thrust23THRUST_200600_302600_NS6detail15normal_iteratorINS9_10device_ptrIiEEEESE_SE_iNS9_10multipliesIiEENS9_8equal_toIiEEiEE10hipError_tPvRmT2_T3_T4_T5_mT6_T7_P12ihipStream_tbENKUlT_T0_E_clISt17integral_constantIbLb1EESZ_EEDaSU_SV_EUlSU_E_NS1_11comp_targetILNS1_3genE3ELNS1_11target_archE908ELNS1_3gpuE7ELNS1_3repE0EEENS1_30default_config_static_selectorELNS0_4arch9wavefront6targetE1EEEvT1_,comdat
	.protected	_ZN7rocprim17ROCPRIM_400000_NS6detail17trampoline_kernelINS0_14default_configENS1_27scan_by_key_config_selectorIiiEEZZNS1_16scan_by_key_implILNS1_25lookback_scan_determinismE0ELb1ES3_N6thrust23THRUST_200600_302600_NS6detail15normal_iteratorINS9_10device_ptrIiEEEESE_SE_iNS9_10multipliesIiEENS9_8equal_toIiEEiEE10hipError_tPvRmT2_T3_T4_T5_mT6_T7_P12ihipStream_tbENKUlT_T0_E_clISt17integral_constantIbLb1EESZ_EEDaSU_SV_EUlSU_E_NS1_11comp_targetILNS1_3genE3ELNS1_11target_archE908ELNS1_3gpuE7ELNS1_3repE0EEENS1_30default_config_static_selectorELNS0_4arch9wavefront6targetE1EEEvT1_ ; -- Begin function _ZN7rocprim17ROCPRIM_400000_NS6detail17trampoline_kernelINS0_14default_configENS1_27scan_by_key_config_selectorIiiEEZZNS1_16scan_by_key_implILNS1_25lookback_scan_determinismE0ELb1ES3_N6thrust23THRUST_200600_302600_NS6detail15normal_iteratorINS9_10device_ptrIiEEEESE_SE_iNS9_10multipliesIiEENS9_8equal_toIiEEiEE10hipError_tPvRmT2_T3_T4_T5_mT6_T7_P12ihipStream_tbENKUlT_T0_E_clISt17integral_constantIbLb1EESZ_EEDaSU_SV_EUlSU_E_NS1_11comp_targetILNS1_3genE3ELNS1_11target_archE908ELNS1_3gpuE7ELNS1_3repE0EEENS1_30default_config_static_selectorELNS0_4arch9wavefront6targetE1EEEvT1_
	.globl	_ZN7rocprim17ROCPRIM_400000_NS6detail17trampoline_kernelINS0_14default_configENS1_27scan_by_key_config_selectorIiiEEZZNS1_16scan_by_key_implILNS1_25lookback_scan_determinismE0ELb1ES3_N6thrust23THRUST_200600_302600_NS6detail15normal_iteratorINS9_10device_ptrIiEEEESE_SE_iNS9_10multipliesIiEENS9_8equal_toIiEEiEE10hipError_tPvRmT2_T3_T4_T5_mT6_T7_P12ihipStream_tbENKUlT_T0_E_clISt17integral_constantIbLb1EESZ_EEDaSU_SV_EUlSU_E_NS1_11comp_targetILNS1_3genE3ELNS1_11target_archE908ELNS1_3gpuE7ELNS1_3repE0EEENS1_30default_config_static_selectorELNS0_4arch9wavefront6targetE1EEEvT1_
	.p2align	8
	.type	_ZN7rocprim17ROCPRIM_400000_NS6detail17trampoline_kernelINS0_14default_configENS1_27scan_by_key_config_selectorIiiEEZZNS1_16scan_by_key_implILNS1_25lookback_scan_determinismE0ELb1ES3_N6thrust23THRUST_200600_302600_NS6detail15normal_iteratorINS9_10device_ptrIiEEEESE_SE_iNS9_10multipliesIiEENS9_8equal_toIiEEiEE10hipError_tPvRmT2_T3_T4_T5_mT6_T7_P12ihipStream_tbENKUlT_T0_E_clISt17integral_constantIbLb1EESZ_EEDaSU_SV_EUlSU_E_NS1_11comp_targetILNS1_3genE3ELNS1_11target_archE908ELNS1_3gpuE7ELNS1_3repE0EEENS1_30default_config_static_selectorELNS0_4arch9wavefront6targetE1EEEvT1_,@function
_ZN7rocprim17ROCPRIM_400000_NS6detail17trampoline_kernelINS0_14default_configENS1_27scan_by_key_config_selectorIiiEEZZNS1_16scan_by_key_implILNS1_25lookback_scan_determinismE0ELb1ES3_N6thrust23THRUST_200600_302600_NS6detail15normal_iteratorINS9_10device_ptrIiEEEESE_SE_iNS9_10multipliesIiEENS9_8equal_toIiEEiEE10hipError_tPvRmT2_T3_T4_T5_mT6_T7_P12ihipStream_tbENKUlT_T0_E_clISt17integral_constantIbLb1EESZ_EEDaSU_SV_EUlSU_E_NS1_11comp_targetILNS1_3genE3ELNS1_11target_archE908ELNS1_3gpuE7ELNS1_3repE0EEENS1_30default_config_static_selectorELNS0_4arch9wavefront6targetE1EEEvT1_: ; @_ZN7rocprim17ROCPRIM_400000_NS6detail17trampoline_kernelINS0_14default_configENS1_27scan_by_key_config_selectorIiiEEZZNS1_16scan_by_key_implILNS1_25lookback_scan_determinismE0ELb1ES3_N6thrust23THRUST_200600_302600_NS6detail15normal_iteratorINS9_10device_ptrIiEEEESE_SE_iNS9_10multipliesIiEENS9_8equal_toIiEEiEE10hipError_tPvRmT2_T3_T4_T5_mT6_T7_P12ihipStream_tbENKUlT_T0_E_clISt17integral_constantIbLb1EESZ_EEDaSU_SV_EUlSU_E_NS1_11comp_targetILNS1_3genE3ELNS1_11target_archE908ELNS1_3gpuE7ELNS1_3repE0EEENS1_30default_config_static_selectorELNS0_4arch9wavefront6targetE1EEEvT1_
; %bb.0:
	.section	.rodata,"a",@progbits
	.p2align	6, 0x0
	.amdhsa_kernel _ZN7rocprim17ROCPRIM_400000_NS6detail17trampoline_kernelINS0_14default_configENS1_27scan_by_key_config_selectorIiiEEZZNS1_16scan_by_key_implILNS1_25lookback_scan_determinismE0ELb1ES3_N6thrust23THRUST_200600_302600_NS6detail15normal_iteratorINS9_10device_ptrIiEEEESE_SE_iNS9_10multipliesIiEENS9_8equal_toIiEEiEE10hipError_tPvRmT2_T3_T4_T5_mT6_T7_P12ihipStream_tbENKUlT_T0_E_clISt17integral_constantIbLb1EESZ_EEDaSU_SV_EUlSU_E_NS1_11comp_targetILNS1_3genE3ELNS1_11target_archE908ELNS1_3gpuE7ELNS1_3repE0EEENS1_30default_config_static_selectorELNS0_4arch9wavefront6targetE1EEEvT1_
		.amdhsa_group_segment_fixed_size 0
		.amdhsa_private_segment_fixed_size 0
		.amdhsa_kernarg_size 112
		.amdhsa_user_sgpr_count 6
		.amdhsa_user_sgpr_private_segment_buffer 1
		.amdhsa_user_sgpr_dispatch_ptr 0
		.amdhsa_user_sgpr_queue_ptr 0
		.amdhsa_user_sgpr_kernarg_segment_ptr 1
		.amdhsa_user_sgpr_dispatch_id 0
		.amdhsa_user_sgpr_flat_scratch_init 0
		.amdhsa_user_sgpr_kernarg_preload_length 0
		.amdhsa_user_sgpr_kernarg_preload_offset 0
		.amdhsa_user_sgpr_private_segment_size 0
		.amdhsa_uses_dynamic_stack 0
		.amdhsa_system_sgpr_private_segment_wavefront_offset 0
		.amdhsa_system_sgpr_workgroup_id_x 1
		.amdhsa_system_sgpr_workgroup_id_y 0
		.amdhsa_system_sgpr_workgroup_id_z 0
		.amdhsa_system_sgpr_workgroup_info 0
		.amdhsa_system_vgpr_workitem_id 0
		.amdhsa_next_free_vgpr 1
		.amdhsa_next_free_sgpr 0
		.amdhsa_accum_offset 4
		.amdhsa_reserve_vcc 0
		.amdhsa_reserve_flat_scratch 0
		.amdhsa_float_round_mode_32 0
		.amdhsa_float_round_mode_16_64 0
		.amdhsa_float_denorm_mode_32 3
		.amdhsa_float_denorm_mode_16_64 3
		.amdhsa_dx10_clamp 1
		.amdhsa_ieee_mode 1
		.amdhsa_fp16_overflow 0
		.amdhsa_tg_split 0
		.amdhsa_exception_fp_ieee_invalid_op 0
		.amdhsa_exception_fp_denorm_src 0
		.amdhsa_exception_fp_ieee_div_zero 0
		.amdhsa_exception_fp_ieee_overflow 0
		.amdhsa_exception_fp_ieee_underflow 0
		.amdhsa_exception_fp_ieee_inexact 0
		.amdhsa_exception_int_div_zero 0
	.end_amdhsa_kernel
	.section	.text._ZN7rocprim17ROCPRIM_400000_NS6detail17trampoline_kernelINS0_14default_configENS1_27scan_by_key_config_selectorIiiEEZZNS1_16scan_by_key_implILNS1_25lookback_scan_determinismE0ELb1ES3_N6thrust23THRUST_200600_302600_NS6detail15normal_iteratorINS9_10device_ptrIiEEEESE_SE_iNS9_10multipliesIiEENS9_8equal_toIiEEiEE10hipError_tPvRmT2_T3_T4_T5_mT6_T7_P12ihipStream_tbENKUlT_T0_E_clISt17integral_constantIbLb1EESZ_EEDaSU_SV_EUlSU_E_NS1_11comp_targetILNS1_3genE3ELNS1_11target_archE908ELNS1_3gpuE7ELNS1_3repE0EEENS1_30default_config_static_selectorELNS0_4arch9wavefront6targetE1EEEvT1_,"axG",@progbits,_ZN7rocprim17ROCPRIM_400000_NS6detail17trampoline_kernelINS0_14default_configENS1_27scan_by_key_config_selectorIiiEEZZNS1_16scan_by_key_implILNS1_25lookback_scan_determinismE0ELb1ES3_N6thrust23THRUST_200600_302600_NS6detail15normal_iteratorINS9_10device_ptrIiEEEESE_SE_iNS9_10multipliesIiEENS9_8equal_toIiEEiEE10hipError_tPvRmT2_T3_T4_T5_mT6_T7_P12ihipStream_tbENKUlT_T0_E_clISt17integral_constantIbLb1EESZ_EEDaSU_SV_EUlSU_E_NS1_11comp_targetILNS1_3genE3ELNS1_11target_archE908ELNS1_3gpuE7ELNS1_3repE0EEENS1_30default_config_static_selectorELNS0_4arch9wavefront6targetE1EEEvT1_,comdat
.Lfunc_end510:
	.size	_ZN7rocprim17ROCPRIM_400000_NS6detail17trampoline_kernelINS0_14default_configENS1_27scan_by_key_config_selectorIiiEEZZNS1_16scan_by_key_implILNS1_25lookback_scan_determinismE0ELb1ES3_N6thrust23THRUST_200600_302600_NS6detail15normal_iteratorINS9_10device_ptrIiEEEESE_SE_iNS9_10multipliesIiEENS9_8equal_toIiEEiEE10hipError_tPvRmT2_T3_T4_T5_mT6_T7_P12ihipStream_tbENKUlT_T0_E_clISt17integral_constantIbLb1EESZ_EEDaSU_SV_EUlSU_E_NS1_11comp_targetILNS1_3genE3ELNS1_11target_archE908ELNS1_3gpuE7ELNS1_3repE0EEENS1_30default_config_static_selectorELNS0_4arch9wavefront6targetE1EEEvT1_, .Lfunc_end510-_ZN7rocprim17ROCPRIM_400000_NS6detail17trampoline_kernelINS0_14default_configENS1_27scan_by_key_config_selectorIiiEEZZNS1_16scan_by_key_implILNS1_25lookback_scan_determinismE0ELb1ES3_N6thrust23THRUST_200600_302600_NS6detail15normal_iteratorINS9_10device_ptrIiEEEESE_SE_iNS9_10multipliesIiEENS9_8equal_toIiEEiEE10hipError_tPvRmT2_T3_T4_T5_mT6_T7_P12ihipStream_tbENKUlT_T0_E_clISt17integral_constantIbLb1EESZ_EEDaSU_SV_EUlSU_E_NS1_11comp_targetILNS1_3genE3ELNS1_11target_archE908ELNS1_3gpuE7ELNS1_3repE0EEENS1_30default_config_static_selectorELNS0_4arch9wavefront6targetE1EEEvT1_
                                        ; -- End function
	.section	.AMDGPU.csdata,"",@progbits
; Kernel info:
; codeLenInByte = 0
; NumSgprs: 4
; NumVgprs: 0
; NumAgprs: 0
; TotalNumVgprs: 0
; ScratchSize: 0
; MemoryBound: 0
; FloatMode: 240
; IeeeMode: 1
; LDSByteSize: 0 bytes/workgroup (compile time only)
; SGPRBlocks: 0
; VGPRBlocks: 0
; NumSGPRsForWavesPerEU: 4
; NumVGPRsForWavesPerEU: 1
; AccumOffset: 4
; Occupancy: 8
; WaveLimiterHint : 0
; COMPUTE_PGM_RSRC2:SCRATCH_EN: 0
; COMPUTE_PGM_RSRC2:USER_SGPR: 6
; COMPUTE_PGM_RSRC2:TRAP_HANDLER: 0
; COMPUTE_PGM_RSRC2:TGID_X_EN: 1
; COMPUTE_PGM_RSRC2:TGID_Y_EN: 0
; COMPUTE_PGM_RSRC2:TGID_Z_EN: 0
; COMPUTE_PGM_RSRC2:TIDIG_COMP_CNT: 0
; COMPUTE_PGM_RSRC3_GFX90A:ACCUM_OFFSET: 0
; COMPUTE_PGM_RSRC3_GFX90A:TG_SPLIT: 0
	.section	.text._ZN7rocprim17ROCPRIM_400000_NS6detail17trampoline_kernelINS0_14default_configENS1_27scan_by_key_config_selectorIiiEEZZNS1_16scan_by_key_implILNS1_25lookback_scan_determinismE0ELb1ES3_N6thrust23THRUST_200600_302600_NS6detail15normal_iteratorINS9_10device_ptrIiEEEESE_SE_iNS9_10multipliesIiEENS9_8equal_toIiEEiEE10hipError_tPvRmT2_T3_T4_T5_mT6_T7_P12ihipStream_tbENKUlT_T0_E_clISt17integral_constantIbLb1EESZ_EEDaSU_SV_EUlSU_E_NS1_11comp_targetILNS1_3genE2ELNS1_11target_archE906ELNS1_3gpuE6ELNS1_3repE0EEENS1_30default_config_static_selectorELNS0_4arch9wavefront6targetE1EEEvT1_,"axG",@progbits,_ZN7rocprim17ROCPRIM_400000_NS6detail17trampoline_kernelINS0_14default_configENS1_27scan_by_key_config_selectorIiiEEZZNS1_16scan_by_key_implILNS1_25lookback_scan_determinismE0ELb1ES3_N6thrust23THRUST_200600_302600_NS6detail15normal_iteratorINS9_10device_ptrIiEEEESE_SE_iNS9_10multipliesIiEENS9_8equal_toIiEEiEE10hipError_tPvRmT2_T3_T4_T5_mT6_T7_P12ihipStream_tbENKUlT_T0_E_clISt17integral_constantIbLb1EESZ_EEDaSU_SV_EUlSU_E_NS1_11comp_targetILNS1_3genE2ELNS1_11target_archE906ELNS1_3gpuE6ELNS1_3repE0EEENS1_30default_config_static_selectorELNS0_4arch9wavefront6targetE1EEEvT1_,comdat
	.protected	_ZN7rocprim17ROCPRIM_400000_NS6detail17trampoline_kernelINS0_14default_configENS1_27scan_by_key_config_selectorIiiEEZZNS1_16scan_by_key_implILNS1_25lookback_scan_determinismE0ELb1ES3_N6thrust23THRUST_200600_302600_NS6detail15normal_iteratorINS9_10device_ptrIiEEEESE_SE_iNS9_10multipliesIiEENS9_8equal_toIiEEiEE10hipError_tPvRmT2_T3_T4_T5_mT6_T7_P12ihipStream_tbENKUlT_T0_E_clISt17integral_constantIbLb1EESZ_EEDaSU_SV_EUlSU_E_NS1_11comp_targetILNS1_3genE2ELNS1_11target_archE906ELNS1_3gpuE6ELNS1_3repE0EEENS1_30default_config_static_selectorELNS0_4arch9wavefront6targetE1EEEvT1_ ; -- Begin function _ZN7rocprim17ROCPRIM_400000_NS6detail17trampoline_kernelINS0_14default_configENS1_27scan_by_key_config_selectorIiiEEZZNS1_16scan_by_key_implILNS1_25lookback_scan_determinismE0ELb1ES3_N6thrust23THRUST_200600_302600_NS6detail15normal_iteratorINS9_10device_ptrIiEEEESE_SE_iNS9_10multipliesIiEENS9_8equal_toIiEEiEE10hipError_tPvRmT2_T3_T4_T5_mT6_T7_P12ihipStream_tbENKUlT_T0_E_clISt17integral_constantIbLb1EESZ_EEDaSU_SV_EUlSU_E_NS1_11comp_targetILNS1_3genE2ELNS1_11target_archE906ELNS1_3gpuE6ELNS1_3repE0EEENS1_30default_config_static_selectorELNS0_4arch9wavefront6targetE1EEEvT1_
	.globl	_ZN7rocprim17ROCPRIM_400000_NS6detail17trampoline_kernelINS0_14default_configENS1_27scan_by_key_config_selectorIiiEEZZNS1_16scan_by_key_implILNS1_25lookback_scan_determinismE0ELb1ES3_N6thrust23THRUST_200600_302600_NS6detail15normal_iteratorINS9_10device_ptrIiEEEESE_SE_iNS9_10multipliesIiEENS9_8equal_toIiEEiEE10hipError_tPvRmT2_T3_T4_T5_mT6_T7_P12ihipStream_tbENKUlT_T0_E_clISt17integral_constantIbLb1EESZ_EEDaSU_SV_EUlSU_E_NS1_11comp_targetILNS1_3genE2ELNS1_11target_archE906ELNS1_3gpuE6ELNS1_3repE0EEENS1_30default_config_static_selectorELNS0_4arch9wavefront6targetE1EEEvT1_
	.p2align	8
	.type	_ZN7rocprim17ROCPRIM_400000_NS6detail17trampoline_kernelINS0_14default_configENS1_27scan_by_key_config_selectorIiiEEZZNS1_16scan_by_key_implILNS1_25lookback_scan_determinismE0ELb1ES3_N6thrust23THRUST_200600_302600_NS6detail15normal_iteratorINS9_10device_ptrIiEEEESE_SE_iNS9_10multipliesIiEENS9_8equal_toIiEEiEE10hipError_tPvRmT2_T3_T4_T5_mT6_T7_P12ihipStream_tbENKUlT_T0_E_clISt17integral_constantIbLb1EESZ_EEDaSU_SV_EUlSU_E_NS1_11comp_targetILNS1_3genE2ELNS1_11target_archE906ELNS1_3gpuE6ELNS1_3repE0EEENS1_30default_config_static_selectorELNS0_4arch9wavefront6targetE1EEEvT1_,@function
_ZN7rocprim17ROCPRIM_400000_NS6detail17trampoline_kernelINS0_14default_configENS1_27scan_by_key_config_selectorIiiEEZZNS1_16scan_by_key_implILNS1_25lookback_scan_determinismE0ELb1ES3_N6thrust23THRUST_200600_302600_NS6detail15normal_iteratorINS9_10device_ptrIiEEEESE_SE_iNS9_10multipliesIiEENS9_8equal_toIiEEiEE10hipError_tPvRmT2_T3_T4_T5_mT6_T7_P12ihipStream_tbENKUlT_T0_E_clISt17integral_constantIbLb1EESZ_EEDaSU_SV_EUlSU_E_NS1_11comp_targetILNS1_3genE2ELNS1_11target_archE906ELNS1_3gpuE6ELNS1_3repE0EEENS1_30default_config_static_selectorELNS0_4arch9wavefront6targetE1EEEvT1_: ; @_ZN7rocprim17ROCPRIM_400000_NS6detail17trampoline_kernelINS0_14default_configENS1_27scan_by_key_config_selectorIiiEEZZNS1_16scan_by_key_implILNS1_25lookback_scan_determinismE0ELb1ES3_N6thrust23THRUST_200600_302600_NS6detail15normal_iteratorINS9_10device_ptrIiEEEESE_SE_iNS9_10multipliesIiEENS9_8equal_toIiEEiEE10hipError_tPvRmT2_T3_T4_T5_mT6_T7_P12ihipStream_tbENKUlT_T0_E_clISt17integral_constantIbLb1EESZ_EEDaSU_SV_EUlSU_E_NS1_11comp_targetILNS1_3genE2ELNS1_11target_archE906ELNS1_3gpuE6ELNS1_3repE0EEENS1_30default_config_static_selectorELNS0_4arch9wavefront6targetE1EEEvT1_
; %bb.0:
	.section	.rodata,"a",@progbits
	.p2align	6, 0x0
	.amdhsa_kernel _ZN7rocprim17ROCPRIM_400000_NS6detail17trampoline_kernelINS0_14default_configENS1_27scan_by_key_config_selectorIiiEEZZNS1_16scan_by_key_implILNS1_25lookback_scan_determinismE0ELb1ES3_N6thrust23THRUST_200600_302600_NS6detail15normal_iteratorINS9_10device_ptrIiEEEESE_SE_iNS9_10multipliesIiEENS9_8equal_toIiEEiEE10hipError_tPvRmT2_T3_T4_T5_mT6_T7_P12ihipStream_tbENKUlT_T0_E_clISt17integral_constantIbLb1EESZ_EEDaSU_SV_EUlSU_E_NS1_11comp_targetILNS1_3genE2ELNS1_11target_archE906ELNS1_3gpuE6ELNS1_3repE0EEENS1_30default_config_static_selectorELNS0_4arch9wavefront6targetE1EEEvT1_
		.amdhsa_group_segment_fixed_size 0
		.amdhsa_private_segment_fixed_size 0
		.amdhsa_kernarg_size 112
		.amdhsa_user_sgpr_count 6
		.amdhsa_user_sgpr_private_segment_buffer 1
		.amdhsa_user_sgpr_dispatch_ptr 0
		.amdhsa_user_sgpr_queue_ptr 0
		.amdhsa_user_sgpr_kernarg_segment_ptr 1
		.amdhsa_user_sgpr_dispatch_id 0
		.amdhsa_user_sgpr_flat_scratch_init 0
		.amdhsa_user_sgpr_kernarg_preload_length 0
		.amdhsa_user_sgpr_kernarg_preload_offset 0
		.amdhsa_user_sgpr_private_segment_size 0
		.amdhsa_uses_dynamic_stack 0
		.amdhsa_system_sgpr_private_segment_wavefront_offset 0
		.amdhsa_system_sgpr_workgroup_id_x 1
		.amdhsa_system_sgpr_workgroup_id_y 0
		.amdhsa_system_sgpr_workgroup_id_z 0
		.amdhsa_system_sgpr_workgroup_info 0
		.amdhsa_system_vgpr_workitem_id 0
		.amdhsa_next_free_vgpr 1
		.amdhsa_next_free_sgpr 0
		.amdhsa_accum_offset 4
		.amdhsa_reserve_vcc 0
		.amdhsa_reserve_flat_scratch 0
		.amdhsa_float_round_mode_32 0
		.amdhsa_float_round_mode_16_64 0
		.amdhsa_float_denorm_mode_32 3
		.amdhsa_float_denorm_mode_16_64 3
		.amdhsa_dx10_clamp 1
		.amdhsa_ieee_mode 1
		.amdhsa_fp16_overflow 0
		.amdhsa_tg_split 0
		.amdhsa_exception_fp_ieee_invalid_op 0
		.amdhsa_exception_fp_denorm_src 0
		.amdhsa_exception_fp_ieee_div_zero 0
		.amdhsa_exception_fp_ieee_overflow 0
		.amdhsa_exception_fp_ieee_underflow 0
		.amdhsa_exception_fp_ieee_inexact 0
		.amdhsa_exception_int_div_zero 0
	.end_amdhsa_kernel
	.section	.text._ZN7rocprim17ROCPRIM_400000_NS6detail17trampoline_kernelINS0_14default_configENS1_27scan_by_key_config_selectorIiiEEZZNS1_16scan_by_key_implILNS1_25lookback_scan_determinismE0ELb1ES3_N6thrust23THRUST_200600_302600_NS6detail15normal_iteratorINS9_10device_ptrIiEEEESE_SE_iNS9_10multipliesIiEENS9_8equal_toIiEEiEE10hipError_tPvRmT2_T3_T4_T5_mT6_T7_P12ihipStream_tbENKUlT_T0_E_clISt17integral_constantIbLb1EESZ_EEDaSU_SV_EUlSU_E_NS1_11comp_targetILNS1_3genE2ELNS1_11target_archE906ELNS1_3gpuE6ELNS1_3repE0EEENS1_30default_config_static_selectorELNS0_4arch9wavefront6targetE1EEEvT1_,"axG",@progbits,_ZN7rocprim17ROCPRIM_400000_NS6detail17trampoline_kernelINS0_14default_configENS1_27scan_by_key_config_selectorIiiEEZZNS1_16scan_by_key_implILNS1_25lookback_scan_determinismE0ELb1ES3_N6thrust23THRUST_200600_302600_NS6detail15normal_iteratorINS9_10device_ptrIiEEEESE_SE_iNS9_10multipliesIiEENS9_8equal_toIiEEiEE10hipError_tPvRmT2_T3_T4_T5_mT6_T7_P12ihipStream_tbENKUlT_T0_E_clISt17integral_constantIbLb1EESZ_EEDaSU_SV_EUlSU_E_NS1_11comp_targetILNS1_3genE2ELNS1_11target_archE906ELNS1_3gpuE6ELNS1_3repE0EEENS1_30default_config_static_selectorELNS0_4arch9wavefront6targetE1EEEvT1_,comdat
.Lfunc_end511:
	.size	_ZN7rocprim17ROCPRIM_400000_NS6detail17trampoline_kernelINS0_14default_configENS1_27scan_by_key_config_selectorIiiEEZZNS1_16scan_by_key_implILNS1_25lookback_scan_determinismE0ELb1ES3_N6thrust23THRUST_200600_302600_NS6detail15normal_iteratorINS9_10device_ptrIiEEEESE_SE_iNS9_10multipliesIiEENS9_8equal_toIiEEiEE10hipError_tPvRmT2_T3_T4_T5_mT6_T7_P12ihipStream_tbENKUlT_T0_E_clISt17integral_constantIbLb1EESZ_EEDaSU_SV_EUlSU_E_NS1_11comp_targetILNS1_3genE2ELNS1_11target_archE906ELNS1_3gpuE6ELNS1_3repE0EEENS1_30default_config_static_selectorELNS0_4arch9wavefront6targetE1EEEvT1_, .Lfunc_end511-_ZN7rocprim17ROCPRIM_400000_NS6detail17trampoline_kernelINS0_14default_configENS1_27scan_by_key_config_selectorIiiEEZZNS1_16scan_by_key_implILNS1_25lookback_scan_determinismE0ELb1ES3_N6thrust23THRUST_200600_302600_NS6detail15normal_iteratorINS9_10device_ptrIiEEEESE_SE_iNS9_10multipliesIiEENS9_8equal_toIiEEiEE10hipError_tPvRmT2_T3_T4_T5_mT6_T7_P12ihipStream_tbENKUlT_T0_E_clISt17integral_constantIbLb1EESZ_EEDaSU_SV_EUlSU_E_NS1_11comp_targetILNS1_3genE2ELNS1_11target_archE906ELNS1_3gpuE6ELNS1_3repE0EEENS1_30default_config_static_selectorELNS0_4arch9wavefront6targetE1EEEvT1_
                                        ; -- End function
	.section	.AMDGPU.csdata,"",@progbits
; Kernel info:
; codeLenInByte = 0
; NumSgprs: 4
; NumVgprs: 0
; NumAgprs: 0
; TotalNumVgprs: 0
; ScratchSize: 0
; MemoryBound: 0
; FloatMode: 240
; IeeeMode: 1
; LDSByteSize: 0 bytes/workgroup (compile time only)
; SGPRBlocks: 0
; VGPRBlocks: 0
; NumSGPRsForWavesPerEU: 4
; NumVGPRsForWavesPerEU: 1
; AccumOffset: 4
; Occupancy: 8
; WaveLimiterHint : 0
; COMPUTE_PGM_RSRC2:SCRATCH_EN: 0
; COMPUTE_PGM_RSRC2:USER_SGPR: 6
; COMPUTE_PGM_RSRC2:TRAP_HANDLER: 0
; COMPUTE_PGM_RSRC2:TGID_X_EN: 1
; COMPUTE_PGM_RSRC2:TGID_Y_EN: 0
; COMPUTE_PGM_RSRC2:TGID_Z_EN: 0
; COMPUTE_PGM_RSRC2:TIDIG_COMP_CNT: 0
; COMPUTE_PGM_RSRC3_GFX90A:ACCUM_OFFSET: 0
; COMPUTE_PGM_RSRC3_GFX90A:TG_SPLIT: 0
	.section	.text._ZN7rocprim17ROCPRIM_400000_NS6detail17trampoline_kernelINS0_14default_configENS1_27scan_by_key_config_selectorIiiEEZZNS1_16scan_by_key_implILNS1_25lookback_scan_determinismE0ELb1ES3_N6thrust23THRUST_200600_302600_NS6detail15normal_iteratorINS9_10device_ptrIiEEEESE_SE_iNS9_10multipliesIiEENS9_8equal_toIiEEiEE10hipError_tPvRmT2_T3_T4_T5_mT6_T7_P12ihipStream_tbENKUlT_T0_E_clISt17integral_constantIbLb1EESZ_EEDaSU_SV_EUlSU_E_NS1_11comp_targetILNS1_3genE10ELNS1_11target_archE1200ELNS1_3gpuE4ELNS1_3repE0EEENS1_30default_config_static_selectorELNS0_4arch9wavefront6targetE1EEEvT1_,"axG",@progbits,_ZN7rocprim17ROCPRIM_400000_NS6detail17trampoline_kernelINS0_14default_configENS1_27scan_by_key_config_selectorIiiEEZZNS1_16scan_by_key_implILNS1_25lookback_scan_determinismE0ELb1ES3_N6thrust23THRUST_200600_302600_NS6detail15normal_iteratorINS9_10device_ptrIiEEEESE_SE_iNS9_10multipliesIiEENS9_8equal_toIiEEiEE10hipError_tPvRmT2_T3_T4_T5_mT6_T7_P12ihipStream_tbENKUlT_T0_E_clISt17integral_constantIbLb1EESZ_EEDaSU_SV_EUlSU_E_NS1_11comp_targetILNS1_3genE10ELNS1_11target_archE1200ELNS1_3gpuE4ELNS1_3repE0EEENS1_30default_config_static_selectorELNS0_4arch9wavefront6targetE1EEEvT1_,comdat
	.protected	_ZN7rocprim17ROCPRIM_400000_NS6detail17trampoline_kernelINS0_14default_configENS1_27scan_by_key_config_selectorIiiEEZZNS1_16scan_by_key_implILNS1_25lookback_scan_determinismE0ELb1ES3_N6thrust23THRUST_200600_302600_NS6detail15normal_iteratorINS9_10device_ptrIiEEEESE_SE_iNS9_10multipliesIiEENS9_8equal_toIiEEiEE10hipError_tPvRmT2_T3_T4_T5_mT6_T7_P12ihipStream_tbENKUlT_T0_E_clISt17integral_constantIbLb1EESZ_EEDaSU_SV_EUlSU_E_NS1_11comp_targetILNS1_3genE10ELNS1_11target_archE1200ELNS1_3gpuE4ELNS1_3repE0EEENS1_30default_config_static_selectorELNS0_4arch9wavefront6targetE1EEEvT1_ ; -- Begin function _ZN7rocprim17ROCPRIM_400000_NS6detail17trampoline_kernelINS0_14default_configENS1_27scan_by_key_config_selectorIiiEEZZNS1_16scan_by_key_implILNS1_25lookback_scan_determinismE0ELb1ES3_N6thrust23THRUST_200600_302600_NS6detail15normal_iteratorINS9_10device_ptrIiEEEESE_SE_iNS9_10multipliesIiEENS9_8equal_toIiEEiEE10hipError_tPvRmT2_T3_T4_T5_mT6_T7_P12ihipStream_tbENKUlT_T0_E_clISt17integral_constantIbLb1EESZ_EEDaSU_SV_EUlSU_E_NS1_11comp_targetILNS1_3genE10ELNS1_11target_archE1200ELNS1_3gpuE4ELNS1_3repE0EEENS1_30default_config_static_selectorELNS0_4arch9wavefront6targetE1EEEvT1_
	.globl	_ZN7rocprim17ROCPRIM_400000_NS6detail17trampoline_kernelINS0_14default_configENS1_27scan_by_key_config_selectorIiiEEZZNS1_16scan_by_key_implILNS1_25lookback_scan_determinismE0ELb1ES3_N6thrust23THRUST_200600_302600_NS6detail15normal_iteratorINS9_10device_ptrIiEEEESE_SE_iNS9_10multipliesIiEENS9_8equal_toIiEEiEE10hipError_tPvRmT2_T3_T4_T5_mT6_T7_P12ihipStream_tbENKUlT_T0_E_clISt17integral_constantIbLb1EESZ_EEDaSU_SV_EUlSU_E_NS1_11comp_targetILNS1_3genE10ELNS1_11target_archE1200ELNS1_3gpuE4ELNS1_3repE0EEENS1_30default_config_static_selectorELNS0_4arch9wavefront6targetE1EEEvT1_
	.p2align	8
	.type	_ZN7rocprim17ROCPRIM_400000_NS6detail17trampoline_kernelINS0_14default_configENS1_27scan_by_key_config_selectorIiiEEZZNS1_16scan_by_key_implILNS1_25lookback_scan_determinismE0ELb1ES3_N6thrust23THRUST_200600_302600_NS6detail15normal_iteratorINS9_10device_ptrIiEEEESE_SE_iNS9_10multipliesIiEENS9_8equal_toIiEEiEE10hipError_tPvRmT2_T3_T4_T5_mT6_T7_P12ihipStream_tbENKUlT_T0_E_clISt17integral_constantIbLb1EESZ_EEDaSU_SV_EUlSU_E_NS1_11comp_targetILNS1_3genE10ELNS1_11target_archE1200ELNS1_3gpuE4ELNS1_3repE0EEENS1_30default_config_static_selectorELNS0_4arch9wavefront6targetE1EEEvT1_,@function
_ZN7rocprim17ROCPRIM_400000_NS6detail17trampoline_kernelINS0_14default_configENS1_27scan_by_key_config_selectorIiiEEZZNS1_16scan_by_key_implILNS1_25lookback_scan_determinismE0ELb1ES3_N6thrust23THRUST_200600_302600_NS6detail15normal_iteratorINS9_10device_ptrIiEEEESE_SE_iNS9_10multipliesIiEENS9_8equal_toIiEEiEE10hipError_tPvRmT2_T3_T4_T5_mT6_T7_P12ihipStream_tbENKUlT_T0_E_clISt17integral_constantIbLb1EESZ_EEDaSU_SV_EUlSU_E_NS1_11comp_targetILNS1_3genE10ELNS1_11target_archE1200ELNS1_3gpuE4ELNS1_3repE0EEENS1_30default_config_static_selectorELNS0_4arch9wavefront6targetE1EEEvT1_: ; @_ZN7rocprim17ROCPRIM_400000_NS6detail17trampoline_kernelINS0_14default_configENS1_27scan_by_key_config_selectorIiiEEZZNS1_16scan_by_key_implILNS1_25lookback_scan_determinismE0ELb1ES3_N6thrust23THRUST_200600_302600_NS6detail15normal_iteratorINS9_10device_ptrIiEEEESE_SE_iNS9_10multipliesIiEENS9_8equal_toIiEEiEE10hipError_tPvRmT2_T3_T4_T5_mT6_T7_P12ihipStream_tbENKUlT_T0_E_clISt17integral_constantIbLb1EESZ_EEDaSU_SV_EUlSU_E_NS1_11comp_targetILNS1_3genE10ELNS1_11target_archE1200ELNS1_3gpuE4ELNS1_3repE0EEENS1_30default_config_static_selectorELNS0_4arch9wavefront6targetE1EEEvT1_
; %bb.0:
	.section	.rodata,"a",@progbits
	.p2align	6, 0x0
	.amdhsa_kernel _ZN7rocprim17ROCPRIM_400000_NS6detail17trampoline_kernelINS0_14default_configENS1_27scan_by_key_config_selectorIiiEEZZNS1_16scan_by_key_implILNS1_25lookback_scan_determinismE0ELb1ES3_N6thrust23THRUST_200600_302600_NS6detail15normal_iteratorINS9_10device_ptrIiEEEESE_SE_iNS9_10multipliesIiEENS9_8equal_toIiEEiEE10hipError_tPvRmT2_T3_T4_T5_mT6_T7_P12ihipStream_tbENKUlT_T0_E_clISt17integral_constantIbLb1EESZ_EEDaSU_SV_EUlSU_E_NS1_11comp_targetILNS1_3genE10ELNS1_11target_archE1200ELNS1_3gpuE4ELNS1_3repE0EEENS1_30default_config_static_selectorELNS0_4arch9wavefront6targetE1EEEvT1_
		.amdhsa_group_segment_fixed_size 0
		.amdhsa_private_segment_fixed_size 0
		.amdhsa_kernarg_size 112
		.amdhsa_user_sgpr_count 6
		.amdhsa_user_sgpr_private_segment_buffer 1
		.amdhsa_user_sgpr_dispatch_ptr 0
		.amdhsa_user_sgpr_queue_ptr 0
		.amdhsa_user_sgpr_kernarg_segment_ptr 1
		.amdhsa_user_sgpr_dispatch_id 0
		.amdhsa_user_sgpr_flat_scratch_init 0
		.amdhsa_user_sgpr_kernarg_preload_length 0
		.amdhsa_user_sgpr_kernarg_preload_offset 0
		.amdhsa_user_sgpr_private_segment_size 0
		.amdhsa_uses_dynamic_stack 0
		.amdhsa_system_sgpr_private_segment_wavefront_offset 0
		.amdhsa_system_sgpr_workgroup_id_x 1
		.amdhsa_system_sgpr_workgroup_id_y 0
		.amdhsa_system_sgpr_workgroup_id_z 0
		.amdhsa_system_sgpr_workgroup_info 0
		.amdhsa_system_vgpr_workitem_id 0
		.amdhsa_next_free_vgpr 1
		.amdhsa_next_free_sgpr 0
		.amdhsa_accum_offset 4
		.amdhsa_reserve_vcc 0
		.amdhsa_reserve_flat_scratch 0
		.amdhsa_float_round_mode_32 0
		.amdhsa_float_round_mode_16_64 0
		.amdhsa_float_denorm_mode_32 3
		.amdhsa_float_denorm_mode_16_64 3
		.amdhsa_dx10_clamp 1
		.amdhsa_ieee_mode 1
		.amdhsa_fp16_overflow 0
		.amdhsa_tg_split 0
		.amdhsa_exception_fp_ieee_invalid_op 0
		.amdhsa_exception_fp_denorm_src 0
		.amdhsa_exception_fp_ieee_div_zero 0
		.amdhsa_exception_fp_ieee_overflow 0
		.amdhsa_exception_fp_ieee_underflow 0
		.amdhsa_exception_fp_ieee_inexact 0
		.amdhsa_exception_int_div_zero 0
	.end_amdhsa_kernel
	.section	.text._ZN7rocprim17ROCPRIM_400000_NS6detail17trampoline_kernelINS0_14default_configENS1_27scan_by_key_config_selectorIiiEEZZNS1_16scan_by_key_implILNS1_25lookback_scan_determinismE0ELb1ES3_N6thrust23THRUST_200600_302600_NS6detail15normal_iteratorINS9_10device_ptrIiEEEESE_SE_iNS9_10multipliesIiEENS9_8equal_toIiEEiEE10hipError_tPvRmT2_T3_T4_T5_mT6_T7_P12ihipStream_tbENKUlT_T0_E_clISt17integral_constantIbLb1EESZ_EEDaSU_SV_EUlSU_E_NS1_11comp_targetILNS1_3genE10ELNS1_11target_archE1200ELNS1_3gpuE4ELNS1_3repE0EEENS1_30default_config_static_selectorELNS0_4arch9wavefront6targetE1EEEvT1_,"axG",@progbits,_ZN7rocprim17ROCPRIM_400000_NS6detail17trampoline_kernelINS0_14default_configENS1_27scan_by_key_config_selectorIiiEEZZNS1_16scan_by_key_implILNS1_25lookback_scan_determinismE0ELb1ES3_N6thrust23THRUST_200600_302600_NS6detail15normal_iteratorINS9_10device_ptrIiEEEESE_SE_iNS9_10multipliesIiEENS9_8equal_toIiEEiEE10hipError_tPvRmT2_T3_T4_T5_mT6_T7_P12ihipStream_tbENKUlT_T0_E_clISt17integral_constantIbLb1EESZ_EEDaSU_SV_EUlSU_E_NS1_11comp_targetILNS1_3genE10ELNS1_11target_archE1200ELNS1_3gpuE4ELNS1_3repE0EEENS1_30default_config_static_selectorELNS0_4arch9wavefront6targetE1EEEvT1_,comdat
.Lfunc_end512:
	.size	_ZN7rocprim17ROCPRIM_400000_NS6detail17trampoline_kernelINS0_14default_configENS1_27scan_by_key_config_selectorIiiEEZZNS1_16scan_by_key_implILNS1_25lookback_scan_determinismE0ELb1ES3_N6thrust23THRUST_200600_302600_NS6detail15normal_iteratorINS9_10device_ptrIiEEEESE_SE_iNS9_10multipliesIiEENS9_8equal_toIiEEiEE10hipError_tPvRmT2_T3_T4_T5_mT6_T7_P12ihipStream_tbENKUlT_T0_E_clISt17integral_constantIbLb1EESZ_EEDaSU_SV_EUlSU_E_NS1_11comp_targetILNS1_3genE10ELNS1_11target_archE1200ELNS1_3gpuE4ELNS1_3repE0EEENS1_30default_config_static_selectorELNS0_4arch9wavefront6targetE1EEEvT1_, .Lfunc_end512-_ZN7rocprim17ROCPRIM_400000_NS6detail17trampoline_kernelINS0_14default_configENS1_27scan_by_key_config_selectorIiiEEZZNS1_16scan_by_key_implILNS1_25lookback_scan_determinismE0ELb1ES3_N6thrust23THRUST_200600_302600_NS6detail15normal_iteratorINS9_10device_ptrIiEEEESE_SE_iNS9_10multipliesIiEENS9_8equal_toIiEEiEE10hipError_tPvRmT2_T3_T4_T5_mT6_T7_P12ihipStream_tbENKUlT_T0_E_clISt17integral_constantIbLb1EESZ_EEDaSU_SV_EUlSU_E_NS1_11comp_targetILNS1_3genE10ELNS1_11target_archE1200ELNS1_3gpuE4ELNS1_3repE0EEENS1_30default_config_static_selectorELNS0_4arch9wavefront6targetE1EEEvT1_
                                        ; -- End function
	.section	.AMDGPU.csdata,"",@progbits
; Kernel info:
; codeLenInByte = 0
; NumSgprs: 4
; NumVgprs: 0
; NumAgprs: 0
; TotalNumVgprs: 0
; ScratchSize: 0
; MemoryBound: 0
; FloatMode: 240
; IeeeMode: 1
; LDSByteSize: 0 bytes/workgroup (compile time only)
; SGPRBlocks: 0
; VGPRBlocks: 0
; NumSGPRsForWavesPerEU: 4
; NumVGPRsForWavesPerEU: 1
; AccumOffset: 4
; Occupancy: 8
; WaveLimiterHint : 0
; COMPUTE_PGM_RSRC2:SCRATCH_EN: 0
; COMPUTE_PGM_RSRC2:USER_SGPR: 6
; COMPUTE_PGM_RSRC2:TRAP_HANDLER: 0
; COMPUTE_PGM_RSRC2:TGID_X_EN: 1
; COMPUTE_PGM_RSRC2:TGID_Y_EN: 0
; COMPUTE_PGM_RSRC2:TGID_Z_EN: 0
; COMPUTE_PGM_RSRC2:TIDIG_COMP_CNT: 0
; COMPUTE_PGM_RSRC3_GFX90A:ACCUM_OFFSET: 0
; COMPUTE_PGM_RSRC3_GFX90A:TG_SPLIT: 0
	.section	.text._ZN7rocprim17ROCPRIM_400000_NS6detail17trampoline_kernelINS0_14default_configENS1_27scan_by_key_config_selectorIiiEEZZNS1_16scan_by_key_implILNS1_25lookback_scan_determinismE0ELb1ES3_N6thrust23THRUST_200600_302600_NS6detail15normal_iteratorINS9_10device_ptrIiEEEESE_SE_iNS9_10multipliesIiEENS9_8equal_toIiEEiEE10hipError_tPvRmT2_T3_T4_T5_mT6_T7_P12ihipStream_tbENKUlT_T0_E_clISt17integral_constantIbLb1EESZ_EEDaSU_SV_EUlSU_E_NS1_11comp_targetILNS1_3genE9ELNS1_11target_archE1100ELNS1_3gpuE3ELNS1_3repE0EEENS1_30default_config_static_selectorELNS0_4arch9wavefront6targetE1EEEvT1_,"axG",@progbits,_ZN7rocprim17ROCPRIM_400000_NS6detail17trampoline_kernelINS0_14default_configENS1_27scan_by_key_config_selectorIiiEEZZNS1_16scan_by_key_implILNS1_25lookback_scan_determinismE0ELb1ES3_N6thrust23THRUST_200600_302600_NS6detail15normal_iteratorINS9_10device_ptrIiEEEESE_SE_iNS9_10multipliesIiEENS9_8equal_toIiEEiEE10hipError_tPvRmT2_T3_T4_T5_mT6_T7_P12ihipStream_tbENKUlT_T0_E_clISt17integral_constantIbLb1EESZ_EEDaSU_SV_EUlSU_E_NS1_11comp_targetILNS1_3genE9ELNS1_11target_archE1100ELNS1_3gpuE3ELNS1_3repE0EEENS1_30default_config_static_selectorELNS0_4arch9wavefront6targetE1EEEvT1_,comdat
	.protected	_ZN7rocprim17ROCPRIM_400000_NS6detail17trampoline_kernelINS0_14default_configENS1_27scan_by_key_config_selectorIiiEEZZNS1_16scan_by_key_implILNS1_25lookback_scan_determinismE0ELb1ES3_N6thrust23THRUST_200600_302600_NS6detail15normal_iteratorINS9_10device_ptrIiEEEESE_SE_iNS9_10multipliesIiEENS9_8equal_toIiEEiEE10hipError_tPvRmT2_T3_T4_T5_mT6_T7_P12ihipStream_tbENKUlT_T0_E_clISt17integral_constantIbLb1EESZ_EEDaSU_SV_EUlSU_E_NS1_11comp_targetILNS1_3genE9ELNS1_11target_archE1100ELNS1_3gpuE3ELNS1_3repE0EEENS1_30default_config_static_selectorELNS0_4arch9wavefront6targetE1EEEvT1_ ; -- Begin function _ZN7rocprim17ROCPRIM_400000_NS6detail17trampoline_kernelINS0_14default_configENS1_27scan_by_key_config_selectorIiiEEZZNS1_16scan_by_key_implILNS1_25lookback_scan_determinismE0ELb1ES3_N6thrust23THRUST_200600_302600_NS6detail15normal_iteratorINS9_10device_ptrIiEEEESE_SE_iNS9_10multipliesIiEENS9_8equal_toIiEEiEE10hipError_tPvRmT2_T3_T4_T5_mT6_T7_P12ihipStream_tbENKUlT_T0_E_clISt17integral_constantIbLb1EESZ_EEDaSU_SV_EUlSU_E_NS1_11comp_targetILNS1_3genE9ELNS1_11target_archE1100ELNS1_3gpuE3ELNS1_3repE0EEENS1_30default_config_static_selectorELNS0_4arch9wavefront6targetE1EEEvT1_
	.globl	_ZN7rocprim17ROCPRIM_400000_NS6detail17trampoline_kernelINS0_14default_configENS1_27scan_by_key_config_selectorIiiEEZZNS1_16scan_by_key_implILNS1_25lookback_scan_determinismE0ELb1ES3_N6thrust23THRUST_200600_302600_NS6detail15normal_iteratorINS9_10device_ptrIiEEEESE_SE_iNS9_10multipliesIiEENS9_8equal_toIiEEiEE10hipError_tPvRmT2_T3_T4_T5_mT6_T7_P12ihipStream_tbENKUlT_T0_E_clISt17integral_constantIbLb1EESZ_EEDaSU_SV_EUlSU_E_NS1_11comp_targetILNS1_3genE9ELNS1_11target_archE1100ELNS1_3gpuE3ELNS1_3repE0EEENS1_30default_config_static_selectorELNS0_4arch9wavefront6targetE1EEEvT1_
	.p2align	8
	.type	_ZN7rocprim17ROCPRIM_400000_NS6detail17trampoline_kernelINS0_14default_configENS1_27scan_by_key_config_selectorIiiEEZZNS1_16scan_by_key_implILNS1_25lookback_scan_determinismE0ELb1ES3_N6thrust23THRUST_200600_302600_NS6detail15normal_iteratorINS9_10device_ptrIiEEEESE_SE_iNS9_10multipliesIiEENS9_8equal_toIiEEiEE10hipError_tPvRmT2_T3_T4_T5_mT6_T7_P12ihipStream_tbENKUlT_T0_E_clISt17integral_constantIbLb1EESZ_EEDaSU_SV_EUlSU_E_NS1_11comp_targetILNS1_3genE9ELNS1_11target_archE1100ELNS1_3gpuE3ELNS1_3repE0EEENS1_30default_config_static_selectorELNS0_4arch9wavefront6targetE1EEEvT1_,@function
_ZN7rocprim17ROCPRIM_400000_NS6detail17trampoline_kernelINS0_14default_configENS1_27scan_by_key_config_selectorIiiEEZZNS1_16scan_by_key_implILNS1_25lookback_scan_determinismE0ELb1ES3_N6thrust23THRUST_200600_302600_NS6detail15normal_iteratorINS9_10device_ptrIiEEEESE_SE_iNS9_10multipliesIiEENS9_8equal_toIiEEiEE10hipError_tPvRmT2_T3_T4_T5_mT6_T7_P12ihipStream_tbENKUlT_T0_E_clISt17integral_constantIbLb1EESZ_EEDaSU_SV_EUlSU_E_NS1_11comp_targetILNS1_3genE9ELNS1_11target_archE1100ELNS1_3gpuE3ELNS1_3repE0EEENS1_30default_config_static_selectorELNS0_4arch9wavefront6targetE1EEEvT1_: ; @_ZN7rocprim17ROCPRIM_400000_NS6detail17trampoline_kernelINS0_14default_configENS1_27scan_by_key_config_selectorIiiEEZZNS1_16scan_by_key_implILNS1_25lookback_scan_determinismE0ELb1ES3_N6thrust23THRUST_200600_302600_NS6detail15normal_iteratorINS9_10device_ptrIiEEEESE_SE_iNS9_10multipliesIiEENS9_8equal_toIiEEiEE10hipError_tPvRmT2_T3_T4_T5_mT6_T7_P12ihipStream_tbENKUlT_T0_E_clISt17integral_constantIbLb1EESZ_EEDaSU_SV_EUlSU_E_NS1_11comp_targetILNS1_3genE9ELNS1_11target_archE1100ELNS1_3gpuE3ELNS1_3repE0EEENS1_30default_config_static_selectorELNS0_4arch9wavefront6targetE1EEEvT1_
; %bb.0:
	.section	.rodata,"a",@progbits
	.p2align	6, 0x0
	.amdhsa_kernel _ZN7rocprim17ROCPRIM_400000_NS6detail17trampoline_kernelINS0_14default_configENS1_27scan_by_key_config_selectorIiiEEZZNS1_16scan_by_key_implILNS1_25lookback_scan_determinismE0ELb1ES3_N6thrust23THRUST_200600_302600_NS6detail15normal_iteratorINS9_10device_ptrIiEEEESE_SE_iNS9_10multipliesIiEENS9_8equal_toIiEEiEE10hipError_tPvRmT2_T3_T4_T5_mT6_T7_P12ihipStream_tbENKUlT_T0_E_clISt17integral_constantIbLb1EESZ_EEDaSU_SV_EUlSU_E_NS1_11comp_targetILNS1_3genE9ELNS1_11target_archE1100ELNS1_3gpuE3ELNS1_3repE0EEENS1_30default_config_static_selectorELNS0_4arch9wavefront6targetE1EEEvT1_
		.amdhsa_group_segment_fixed_size 0
		.amdhsa_private_segment_fixed_size 0
		.amdhsa_kernarg_size 112
		.amdhsa_user_sgpr_count 6
		.amdhsa_user_sgpr_private_segment_buffer 1
		.amdhsa_user_sgpr_dispatch_ptr 0
		.amdhsa_user_sgpr_queue_ptr 0
		.amdhsa_user_sgpr_kernarg_segment_ptr 1
		.amdhsa_user_sgpr_dispatch_id 0
		.amdhsa_user_sgpr_flat_scratch_init 0
		.amdhsa_user_sgpr_kernarg_preload_length 0
		.amdhsa_user_sgpr_kernarg_preload_offset 0
		.amdhsa_user_sgpr_private_segment_size 0
		.amdhsa_uses_dynamic_stack 0
		.amdhsa_system_sgpr_private_segment_wavefront_offset 0
		.amdhsa_system_sgpr_workgroup_id_x 1
		.amdhsa_system_sgpr_workgroup_id_y 0
		.amdhsa_system_sgpr_workgroup_id_z 0
		.amdhsa_system_sgpr_workgroup_info 0
		.amdhsa_system_vgpr_workitem_id 0
		.amdhsa_next_free_vgpr 1
		.amdhsa_next_free_sgpr 0
		.amdhsa_accum_offset 4
		.amdhsa_reserve_vcc 0
		.amdhsa_reserve_flat_scratch 0
		.amdhsa_float_round_mode_32 0
		.amdhsa_float_round_mode_16_64 0
		.amdhsa_float_denorm_mode_32 3
		.amdhsa_float_denorm_mode_16_64 3
		.amdhsa_dx10_clamp 1
		.amdhsa_ieee_mode 1
		.amdhsa_fp16_overflow 0
		.amdhsa_tg_split 0
		.amdhsa_exception_fp_ieee_invalid_op 0
		.amdhsa_exception_fp_denorm_src 0
		.amdhsa_exception_fp_ieee_div_zero 0
		.amdhsa_exception_fp_ieee_overflow 0
		.amdhsa_exception_fp_ieee_underflow 0
		.amdhsa_exception_fp_ieee_inexact 0
		.amdhsa_exception_int_div_zero 0
	.end_amdhsa_kernel
	.section	.text._ZN7rocprim17ROCPRIM_400000_NS6detail17trampoline_kernelINS0_14default_configENS1_27scan_by_key_config_selectorIiiEEZZNS1_16scan_by_key_implILNS1_25lookback_scan_determinismE0ELb1ES3_N6thrust23THRUST_200600_302600_NS6detail15normal_iteratorINS9_10device_ptrIiEEEESE_SE_iNS9_10multipliesIiEENS9_8equal_toIiEEiEE10hipError_tPvRmT2_T3_T4_T5_mT6_T7_P12ihipStream_tbENKUlT_T0_E_clISt17integral_constantIbLb1EESZ_EEDaSU_SV_EUlSU_E_NS1_11comp_targetILNS1_3genE9ELNS1_11target_archE1100ELNS1_3gpuE3ELNS1_3repE0EEENS1_30default_config_static_selectorELNS0_4arch9wavefront6targetE1EEEvT1_,"axG",@progbits,_ZN7rocprim17ROCPRIM_400000_NS6detail17trampoline_kernelINS0_14default_configENS1_27scan_by_key_config_selectorIiiEEZZNS1_16scan_by_key_implILNS1_25lookback_scan_determinismE0ELb1ES3_N6thrust23THRUST_200600_302600_NS6detail15normal_iteratorINS9_10device_ptrIiEEEESE_SE_iNS9_10multipliesIiEENS9_8equal_toIiEEiEE10hipError_tPvRmT2_T3_T4_T5_mT6_T7_P12ihipStream_tbENKUlT_T0_E_clISt17integral_constantIbLb1EESZ_EEDaSU_SV_EUlSU_E_NS1_11comp_targetILNS1_3genE9ELNS1_11target_archE1100ELNS1_3gpuE3ELNS1_3repE0EEENS1_30default_config_static_selectorELNS0_4arch9wavefront6targetE1EEEvT1_,comdat
.Lfunc_end513:
	.size	_ZN7rocprim17ROCPRIM_400000_NS6detail17trampoline_kernelINS0_14default_configENS1_27scan_by_key_config_selectorIiiEEZZNS1_16scan_by_key_implILNS1_25lookback_scan_determinismE0ELb1ES3_N6thrust23THRUST_200600_302600_NS6detail15normal_iteratorINS9_10device_ptrIiEEEESE_SE_iNS9_10multipliesIiEENS9_8equal_toIiEEiEE10hipError_tPvRmT2_T3_T4_T5_mT6_T7_P12ihipStream_tbENKUlT_T0_E_clISt17integral_constantIbLb1EESZ_EEDaSU_SV_EUlSU_E_NS1_11comp_targetILNS1_3genE9ELNS1_11target_archE1100ELNS1_3gpuE3ELNS1_3repE0EEENS1_30default_config_static_selectorELNS0_4arch9wavefront6targetE1EEEvT1_, .Lfunc_end513-_ZN7rocprim17ROCPRIM_400000_NS6detail17trampoline_kernelINS0_14default_configENS1_27scan_by_key_config_selectorIiiEEZZNS1_16scan_by_key_implILNS1_25lookback_scan_determinismE0ELb1ES3_N6thrust23THRUST_200600_302600_NS6detail15normal_iteratorINS9_10device_ptrIiEEEESE_SE_iNS9_10multipliesIiEENS9_8equal_toIiEEiEE10hipError_tPvRmT2_T3_T4_T5_mT6_T7_P12ihipStream_tbENKUlT_T0_E_clISt17integral_constantIbLb1EESZ_EEDaSU_SV_EUlSU_E_NS1_11comp_targetILNS1_3genE9ELNS1_11target_archE1100ELNS1_3gpuE3ELNS1_3repE0EEENS1_30default_config_static_selectorELNS0_4arch9wavefront6targetE1EEEvT1_
                                        ; -- End function
	.section	.AMDGPU.csdata,"",@progbits
; Kernel info:
; codeLenInByte = 0
; NumSgprs: 4
; NumVgprs: 0
; NumAgprs: 0
; TotalNumVgprs: 0
; ScratchSize: 0
; MemoryBound: 0
; FloatMode: 240
; IeeeMode: 1
; LDSByteSize: 0 bytes/workgroup (compile time only)
; SGPRBlocks: 0
; VGPRBlocks: 0
; NumSGPRsForWavesPerEU: 4
; NumVGPRsForWavesPerEU: 1
; AccumOffset: 4
; Occupancy: 8
; WaveLimiterHint : 0
; COMPUTE_PGM_RSRC2:SCRATCH_EN: 0
; COMPUTE_PGM_RSRC2:USER_SGPR: 6
; COMPUTE_PGM_RSRC2:TRAP_HANDLER: 0
; COMPUTE_PGM_RSRC2:TGID_X_EN: 1
; COMPUTE_PGM_RSRC2:TGID_Y_EN: 0
; COMPUTE_PGM_RSRC2:TGID_Z_EN: 0
; COMPUTE_PGM_RSRC2:TIDIG_COMP_CNT: 0
; COMPUTE_PGM_RSRC3_GFX90A:ACCUM_OFFSET: 0
; COMPUTE_PGM_RSRC3_GFX90A:TG_SPLIT: 0
	.section	.text._ZN7rocprim17ROCPRIM_400000_NS6detail17trampoline_kernelINS0_14default_configENS1_27scan_by_key_config_selectorIiiEEZZNS1_16scan_by_key_implILNS1_25lookback_scan_determinismE0ELb1ES3_N6thrust23THRUST_200600_302600_NS6detail15normal_iteratorINS9_10device_ptrIiEEEESE_SE_iNS9_10multipliesIiEENS9_8equal_toIiEEiEE10hipError_tPvRmT2_T3_T4_T5_mT6_T7_P12ihipStream_tbENKUlT_T0_E_clISt17integral_constantIbLb1EESZ_EEDaSU_SV_EUlSU_E_NS1_11comp_targetILNS1_3genE8ELNS1_11target_archE1030ELNS1_3gpuE2ELNS1_3repE0EEENS1_30default_config_static_selectorELNS0_4arch9wavefront6targetE1EEEvT1_,"axG",@progbits,_ZN7rocprim17ROCPRIM_400000_NS6detail17trampoline_kernelINS0_14default_configENS1_27scan_by_key_config_selectorIiiEEZZNS1_16scan_by_key_implILNS1_25lookback_scan_determinismE0ELb1ES3_N6thrust23THRUST_200600_302600_NS6detail15normal_iteratorINS9_10device_ptrIiEEEESE_SE_iNS9_10multipliesIiEENS9_8equal_toIiEEiEE10hipError_tPvRmT2_T3_T4_T5_mT6_T7_P12ihipStream_tbENKUlT_T0_E_clISt17integral_constantIbLb1EESZ_EEDaSU_SV_EUlSU_E_NS1_11comp_targetILNS1_3genE8ELNS1_11target_archE1030ELNS1_3gpuE2ELNS1_3repE0EEENS1_30default_config_static_selectorELNS0_4arch9wavefront6targetE1EEEvT1_,comdat
	.protected	_ZN7rocprim17ROCPRIM_400000_NS6detail17trampoline_kernelINS0_14default_configENS1_27scan_by_key_config_selectorIiiEEZZNS1_16scan_by_key_implILNS1_25lookback_scan_determinismE0ELb1ES3_N6thrust23THRUST_200600_302600_NS6detail15normal_iteratorINS9_10device_ptrIiEEEESE_SE_iNS9_10multipliesIiEENS9_8equal_toIiEEiEE10hipError_tPvRmT2_T3_T4_T5_mT6_T7_P12ihipStream_tbENKUlT_T0_E_clISt17integral_constantIbLb1EESZ_EEDaSU_SV_EUlSU_E_NS1_11comp_targetILNS1_3genE8ELNS1_11target_archE1030ELNS1_3gpuE2ELNS1_3repE0EEENS1_30default_config_static_selectorELNS0_4arch9wavefront6targetE1EEEvT1_ ; -- Begin function _ZN7rocprim17ROCPRIM_400000_NS6detail17trampoline_kernelINS0_14default_configENS1_27scan_by_key_config_selectorIiiEEZZNS1_16scan_by_key_implILNS1_25lookback_scan_determinismE0ELb1ES3_N6thrust23THRUST_200600_302600_NS6detail15normal_iteratorINS9_10device_ptrIiEEEESE_SE_iNS9_10multipliesIiEENS9_8equal_toIiEEiEE10hipError_tPvRmT2_T3_T4_T5_mT6_T7_P12ihipStream_tbENKUlT_T0_E_clISt17integral_constantIbLb1EESZ_EEDaSU_SV_EUlSU_E_NS1_11comp_targetILNS1_3genE8ELNS1_11target_archE1030ELNS1_3gpuE2ELNS1_3repE0EEENS1_30default_config_static_selectorELNS0_4arch9wavefront6targetE1EEEvT1_
	.globl	_ZN7rocprim17ROCPRIM_400000_NS6detail17trampoline_kernelINS0_14default_configENS1_27scan_by_key_config_selectorIiiEEZZNS1_16scan_by_key_implILNS1_25lookback_scan_determinismE0ELb1ES3_N6thrust23THRUST_200600_302600_NS6detail15normal_iteratorINS9_10device_ptrIiEEEESE_SE_iNS9_10multipliesIiEENS9_8equal_toIiEEiEE10hipError_tPvRmT2_T3_T4_T5_mT6_T7_P12ihipStream_tbENKUlT_T0_E_clISt17integral_constantIbLb1EESZ_EEDaSU_SV_EUlSU_E_NS1_11comp_targetILNS1_3genE8ELNS1_11target_archE1030ELNS1_3gpuE2ELNS1_3repE0EEENS1_30default_config_static_selectorELNS0_4arch9wavefront6targetE1EEEvT1_
	.p2align	8
	.type	_ZN7rocprim17ROCPRIM_400000_NS6detail17trampoline_kernelINS0_14default_configENS1_27scan_by_key_config_selectorIiiEEZZNS1_16scan_by_key_implILNS1_25lookback_scan_determinismE0ELb1ES3_N6thrust23THRUST_200600_302600_NS6detail15normal_iteratorINS9_10device_ptrIiEEEESE_SE_iNS9_10multipliesIiEENS9_8equal_toIiEEiEE10hipError_tPvRmT2_T3_T4_T5_mT6_T7_P12ihipStream_tbENKUlT_T0_E_clISt17integral_constantIbLb1EESZ_EEDaSU_SV_EUlSU_E_NS1_11comp_targetILNS1_3genE8ELNS1_11target_archE1030ELNS1_3gpuE2ELNS1_3repE0EEENS1_30default_config_static_selectorELNS0_4arch9wavefront6targetE1EEEvT1_,@function
_ZN7rocprim17ROCPRIM_400000_NS6detail17trampoline_kernelINS0_14default_configENS1_27scan_by_key_config_selectorIiiEEZZNS1_16scan_by_key_implILNS1_25lookback_scan_determinismE0ELb1ES3_N6thrust23THRUST_200600_302600_NS6detail15normal_iteratorINS9_10device_ptrIiEEEESE_SE_iNS9_10multipliesIiEENS9_8equal_toIiEEiEE10hipError_tPvRmT2_T3_T4_T5_mT6_T7_P12ihipStream_tbENKUlT_T0_E_clISt17integral_constantIbLb1EESZ_EEDaSU_SV_EUlSU_E_NS1_11comp_targetILNS1_3genE8ELNS1_11target_archE1030ELNS1_3gpuE2ELNS1_3repE0EEENS1_30default_config_static_selectorELNS0_4arch9wavefront6targetE1EEEvT1_: ; @_ZN7rocprim17ROCPRIM_400000_NS6detail17trampoline_kernelINS0_14default_configENS1_27scan_by_key_config_selectorIiiEEZZNS1_16scan_by_key_implILNS1_25lookback_scan_determinismE0ELb1ES3_N6thrust23THRUST_200600_302600_NS6detail15normal_iteratorINS9_10device_ptrIiEEEESE_SE_iNS9_10multipliesIiEENS9_8equal_toIiEEiEE10hipError_tPvRmT2_T3_T4_T5_mT6_T7_P12ihipStream_tbENKUlT_T0_E_clISt17integral_constantIbLb1EESZ_EEDaSU_SV_EUlSU_E_NS1_11comp_targetILNS1_3genE8ELNS1_11target_archE1030ELNS1_3gpuE2ELNS1_3repE0EEENS1_30default_config_static_selectorELNS0_4arch9wavefront6targetE1EEEvT1_
; %bb.0:
	.section	.rodata,"a",@progbits
	.p2align	6, 0x0
	.amdhsa_kernel _ZN7rocprim17ROCPRIM_400000_NS6detail17trampoline_kernelINS0_14default_configENS1_27scan_by_key_config_selectorIiiEEZZNS1_16scan_by_key_implILNS1_25lookback_scan_determinismE0ELb1ES3_N6thrust23THRUST_200600_302600_NS6detail15normal_iteratorINS9_10device_ptrIiEEEESE_SE_iNS9_10multipliesIiEENS9_8equal_toIiEEiEE10hipError_tPvRmT2_T3_T4_T5_mT6_T7_P12ihipStream_tbENKUlT_T0_E_clISt17integral_constantIbLb1EESZ_EEDaSU_SV_EUlSU_E_NS1_11comp_targetILNS1_3genE8ELNS1_11target_archE1030ELNS1_3gpuE2ELNS1_3repE0EEENS1_30default_config_static_selectorELNS0_4arch9wavefront6targetE1EEEvT1_
		.amdhsa_group_segment_fixed_size 0
		.amdhsa_private_segment_fixed_size 0
		.amdhsa_kernarg_size 112
		.amdhsa_user_sgpr_count 6
		.amdhsa_user_sgpr_private_segment_buffer 1
		.amdhsa_user_sgpr_dispatch_ptr 0
		.amdhsa_user_sgpr_queue_ptr 0
		.amdhsa_user_sgpr_kernarg_segment_ptr 1
		.amdhsa_user_sgpr_dispatch_id 0
		.amdhsa_user_sgpr_flat_scratch_init 0
		.amdhsa_user_sgpr_kernarg_preload_length 0
		.amdhsa_user_sgpr_kernarg_preload_offset 0
		.amdhsa_user_sgpr_private_segment_size 0
		.amdhsa_uses_dynamic_stack 0
		.amdhsa_system_sgpr_private_segment_wavefront_offset 0
		.amdhsa_system_sgpr_workgroup_id_x 1
		.amdhsa_system_sgpr_workgroup_id_y 0
		.amdhsa_system_sgpr_workgroup_id_z 0
		.amdhsa_system_sgpr_workgroup_info 0
		.amdhsa_system_vgpr_workitem_id 0
		.amdhsa_next_free_vgpr 1
		.amdhsa_next_free_sgpr 0
		.amdhsa_accum_offset 4
		.amdhsa_reserve_vcc 0
		.amdhsa_reserve_flat_scratch 0
		.amdhsa_float_round_mode_32 0
		.amdhsa_float_round_mode_16_64 0
		.amdhsa_float_denorm_mode_32 3
		.amdhsa_float_denorm_mode_16_64 3
		.amdhsa_dx10_clamp 1
		.amdhsa_ieee_mode 1
		.amdhsa_fp16_overflow 0
		.amdhsa_tg_split 0
		.amdhsa_exception_fp_ieee_invalid_op 0
		.amdhsa_exception_fp_denorm_src 0
		.amdhsa_exception_fp_ieee_div_zero 0
		.amdhsa_exception_fp_ieee_overflow 0
		.amdhsa_exception_fp_ieee_underflow 0
		.amdhsa_exception_fp_ieee_inexact 0
		.amdhsa_exception_int_div_zero 0
	.end_amdhsa_kernel
	.section	.text._ZN7rocprim17ROCPRIM_400000_NS6detail17trampoline_kernelINS0_14default_configENS1_27scan_by_key_config_selectorIiiEEZZNS1_16scan_by_key_implILNS1_25lookback_scan_determinismE0ELb1ES3_N6thrust23THRUST_200600_302600_NS6detail15normal_iteratorINS9_10device_ptrIiEEEESE_SE_iNS9_10multipliesIiEENS9_8equal_toIiEEiEE10hipError_tPvRmT2_T3_T4_T5_mT6_T7_P12ihipStream_tbENKUlT_T0_E_clISt17integral_constantIbLb1EESZ_EEDaSU_SV_EUlSU_E_NS1_11comp_targetILNS1_3genE8ELNS1_11target_archE1030ELNS1_3gpuE2ELNS1_3repE0EEENS1_30default_config_static_selectorELNS0_4arch9wavefront6targetE1EEEvT1_,"axG",@progbits,_ZN7rocprim17ROCPRIM_400000_NS6detail17trampoline_kernelINS0_14default_configENS1_27scan_by_key_config_selectorIiiEEZZNS1_16scan_by_key_implILNS1_25lookback_scan_determinismE0ELb1ES3_N6thrust23THRUST_200600_302600_NS6detail15normal_iteratorINS9_10device_ptrIiEEEESE_SE_iNS9_10multipliesIiEENS9_8equal_toIiEEiEE10hipError_tPvRmT2_T3_T4_T5_mT6_T7_P12ihipStream_tbENKUlT_T0_E_clISt17integral_constantIbLb1EESZ_EEDaSU_SV_EUlSU_E_NS1_11comp_targetILNS1_3genE8ELNS1_11target_archE1030ELNS1_3gpuE2ELNS1_3repE0EEENS1_30default_config_static_selectorELNS0_4arch9wavefront6targetE1EEEvT1_,comdat
.Lfunc_end514:
	.size	_ZN7rocprim17ROCPRIM_400000_NS6detail17trampoline_kernelINS0_14default_configENS1_27scan_by_key_config_selectorIiiEEZZNS1_16scan_by_key_implILNS1_25lookback_scan_determinismE0ELb1ES3_N6thrust23THRUST_200600_302600_NS6detail15normal_iteratorINS9_10device_ptrIiEEEESE_SE_iNS9_10multipliesIiEENS9_8equal_toIiEEiEE10hipError_tPvRmT2_T3_T4_T5_mT6_T7_P12ihipStream_tbENKUlT_T0_E_clISt17integral_constantIbLb1EESZ_EEDaSU_SV_EUlSU_E_NS1_11comp_targetILNS1_3genE8ELNS1_11target_archE1030ELNS1_3gpuE2ELNS1_3repE0EEENS1_30default_config_static_selectorELNS0_4arch9wavefront6targetE1EEEvT1_, .Lfunc_end514-_ZN7rocprim17ROCPRIM_400000_NS6detail17trampoline_kernelINS0_14default_configENS1_27scan_by_key_config_selectorIiiEEZZNS1_16scan_by_key_implILNS1_25lookback_scan_determinismE0ELb1ES3_N6thrust23THRUST_200600_302600_NS6detail15normal_iteratorINS9_10device_ptrIiEEEESE_SE_iNS9_10multipliesIiEENS9_8equal_toIiEEiEE10hipError_tPvRmT2_T3_T4_T5_mT6_T7_P12ihipStream_tbENKUlT_T0_E_clISt17integral_constantIbLb1EESZ_EEDaSU_SV_EUlSU_E_NS1_11comp_targetILNS1_3genE8ELNS1_11target_archE1030ELNS1_3gpuE2ELNS1_3repE0EEENS1_30default_config_static_selectorELNS0_4arch9wavefront6targetE1EEEvT1_
                                        ; -- End function
	.section	.AMDGPU.csdata,"",@progbits
; Kernel info:
; codeLenInByte = 0
; NumSgprs: 4
; NumVgprs: 0
; NumAgprs: 0
; TotalNumVgprs: 0
; ScratchSize: 0
; MemoryBound: 0
; FloatMode: 240
; IeeeMode: 1
; LDSByteSize: 0 bytes/workgroup (compile time only)
; SGPRBlocks: 0
; VGPRBlocks: 0
; NumSGPRsForWavesPerEU: 4
; NumVGPRsForWavesPerEU: 1
; AccumOffset: 4
; Occupancy: 8
; WaveLimiterHint : 0
; COMPUTE_PGM_RSRC2:SCRATCH_EN: 0
; COMPUTE_PGM_RSRC2:USER_SGPR: 6
; COMPUTE_PGM_RSRC2:TRAP_HANDLER: 0
; COMPUTE_PGM_RSRC2:TGID_X_EN: 1
; COMPUTE_PGM_RSRC2:TGID_Y_EN: 0
; COMPUTE_PGM_RSRC2:TGID_Z_EN: 0
; COMPUTE_PGM_RSRC2:TIDIG_COMP_CNT: 0
; COMPUTE_PGM_RSRC3_GFX90A:ACCUM_OFFSET: 0
; COMPUTE_PGM_RSRC3_GFX90A:TG_SPLIT: 0
	.section	.text._ZN7rocprim17ROCPRIM_400000_NS6detail17trampoline_kernelINS0_14default_configENS1_27scan_by_key_config_selectorIiiEEZZNS1_16scan_by_key_implILNS1_25lookback_scan_determinismE0ELb1ES3_N6thrust23THRUST_200600_302600_NS6detail15normal_iteratorINS9_10device_ptrIiEEEESE_SE_iNS9_10multipliesIiEENS9_8equal_toIiEEiEE10hipError_tPvRmT2_T3_T4_T5_mT6_T7_P12ihipStream_tbENKUlT_T0_E_clISt17integral_constantIbLb1EESY_IbLb0EEEEDaSU_SV_EUlSU_E_NS1_11comp_targetILNS1_3genE0ELNS1_11target_archE4294967295ELNS1_3gpuE0ELNS1_3repE0EEENS1_30default_config_static_selectorELNS0_4arch9wavefront6targetE1EEEvT1_,"axG",@progbits,_ZN7rocprim17ROCPRIM_400000_NS6detail17trampoline_kernelINS0_14default_configENS1_27scan_by_key_config_selectorIiiEEZZNS1_16scan_by_key_implILNS1_25lookback_scan_determinismE0ELb1ES3_N6thrust23THRUST_200600_302600_NS6detail15normal_iteratorINS9_10device_ptrIiEEEESE_SE_iNS9_10multipliesIiEENS9_8equal_toIiEEiEE10hipError_tPvRmT2_T3_T4_T5_mT6_T7_P12ihipStream_tbENKUlT_T0_E_clISt17integral_constantIbLb1EESY_IbLb0EEEEDaSU_SV_EUlSU_E_NS1_11comp_targetILNS1_3genE0ELNS1_11target_archE4294967295ELNS1_3gpuE0ELNS1_3repE0EEENS1_30default_config_static_selectorELNS0_4arch9wavefront6targetE1EEEvT1_,comdat
	.protected	_ZN7rocprim17ROCPRIM_400000_NS6detail17trampoline_kernelINS0_14default_configENS1_27scan_by_key_config_selectorIiiEEZZNS1_16scan_by_key_implILNS1_25lookback_scan_determinismE0ELb1ES3_N6thrust23THRUST_200600_302600_NS6detail15normal_iteratorINS9_10device_ptrIiEEEESE_SE_iNS9_10multipliesIiEENS9_8equal_toIiEEiEE10hipError_tPvRmT2_T3_T4_T5_mT6_T7_P12ihipStream_tbENKUlT_T0_E_clISt17integral_constantIbLb1EESY_IbLb0EEEEDaSU_SV_EUlSU_E_NS1_11comp_targetILNS1_3genE0ELNS1_11target_archE4294967295ELNS1_3gpuE0ELNS1_3repE0EEENS1_30default_config_static_selectorELNS0_4arch9wavefront6targetE1EEEvT1_ ; -- Begin function _ZN7rocprim17ROCPRIM_400000_NS6detail17trampoline_kernelINS0_14default_configENS1_27scan_by_key_config_selectorIiiEEZZNS1_16scan_by_key_implILNS1_25lookback_scan_determinismE0ELb1ES3_N6thrust23THRUST_200600_302600_NS6detail15normal_iteratorINS9_10device_ptrIiEEEESE_SE_iNS9_10multipliesIiEENS9_8equal_toIiEEiEE10hipError_tPvRmT2_T3_T4_T5_mT6_T7_P12ihipStream_tbENKUlT_T0_E_clISt17integral_constantIbLb1EESY_IbLb0EEEEDaSU_SV_EUlSU_E_NS1_11comp_targetILNS1_3genE0ELNS1_11target_archE4294967295ELNS1_3gpuE0ELNS1_3repE0EEENS1_30default_config_static_selectorELNS0_4arch9wavefront6targetE1EEEvT1_
	.globl	_ZN7rocprim17ROCPRIM_400000_NS6detail17trampoline_kernelINS0_14default_configENS1_27scan_by_key_config_selectorIiiEEZZNS1_16scan_by_key_implILNS1_25lookback_scan_determinismE0ELb1ES3_N6thrust23THRUST_200600_302600_NS6detail15normal_iteratorINS9_10device_ptrIiEEEESE_SE_iNS9_10multipliesIiEENS9_8equal_toIiEEiEE10hipError_tPvRmT2_T3_T4_T5_mT6_T7_P12ihipStream_tbENKUlT_T0_E_clISt17integral_constantIbLb1EESY_IbLb0EEEEDaSU_SV_EUlSU_E_NS1_11comp_targetILNS1_3genE0ELNS1_11target_archE4294967295ELNS1_3gpuE0ELNS1_3repE0EEENS1_30default_config_static_selectorELNS0_4arch9wavefront6targetE1EEEvT1_
	.p2align	8
	.type	_ZN7rocprim17ROCPRIM_400000_NS6detail17trampoline_kernelINS0_14default_configENS1_27scan_by_key_config_selectorIiiEEZZNS1_16scan_by_key_implILNS1_25lookback_scan_determinismE0ELb1ES3_N6thrust23THRUST_200600_302600_NS6detail15normal_iteratorINS9_10device_ptrIiEEEESE_SE_iNS9_10multipliesIiEENS9_8equal_toIiEEiEE10hipError_tPvRmT2_T3_T4_T5_mT6_T7_P12ihipStream_tbENKUlT_T0_E_clISt17integral_constantIbLb1EESY_IbLb0EEEEDaSU_SV_EUlSU_E_NS1_11comp_targetILNS1_3genE0ELNS1_11target_archE4294967295ELNS1_3gpuE0ELNS1_3repE0EEENS1_30default_config_static_selectorELNS0_4arch9wavefront6targetE1EEEvT1_,@function
_ZN7rocprim17ROCPRIM_400000_NS6detail17trampoline_kernelINS0_14default_configENS1_27scan_by_key_config_selectorIiiEEZZNS1_16scan_by_key_implILNS1_25lookback_scan_determinismE0ELb1ES3_N6thrust23THRUST_200600_302600_NS6detail15normal_iteratorINS9_10device_ptrIiEEEESE_SE_iNS9_10multipliesIiEENS9_8equal_toIiEEiEE10hipError_tPvRmT2_T3_T4_T5_mT6_T7_P12ihipStream_tbENKUlT_T0_E_clISt17integral_constantIbLb1EESY_IbLb0EEEEDaSU_SV_EUlSU_E_NS1_11comp_targetILNS1_3genE0ELNS1_11target_archE4294967295ELNS1_3gpuE0ELNS1_3repE0EEENS1_30default_config_static_selectorELNS0_4arch9wavefront6targetE1EEEvT1_: ; @_ZN7rocprim17ROCPRIM_400000_NS6detail17trampoline_kernelINS0_14default_configENS1_27scan_by_key_config_selectorIiiEEZZNS1_16scan_by_key_implILNS1_25lookback_scan_determinismE0ELb1ES3_N6thrust23THRUST_200600_302600_NS6detail15normal_iteratorINS9_10device_ptrIiEEEESE_SE_iNS9_10multipliesIiEENS9_8equal_toIiEEiEE10hipError_tPvRmT2_T3_T4_T5_mT6_T7_P12ihipStream_tbENKUlT_T0_E_clISt17integral_constantIbLb1EESY_IbLb0EEEEDaSU_SV_EUlSU_E_NS1_11comp_targetILNS1_3genE0ELNS1_11target_archE4294967295ELNS1_3gpuE0ELNS1_3repE0EEENS1_30default_config_static_selectorELNS0_4arch9wavefront6targetE1EEEvT1_
; %bb.0:
	.section	.rodata,"a",@progbits
	.p2align	6, 0x0
	.amdhsa_kernel _ZN7rocprim17ROCPRIM_400000_NS6detail17trampoline_kernelINS0_14default_configENS1_27scan_by_key_config_selectorIiiEEZZNS1_16scan_by_key_implILNS1_25lookback_scan_determinismE0ELb1ES3_N6thrust23THRUST_200600_302600_NS6detail15normal_iteratorINS9_10device_ptrIiEEEESE_SE_iNS9_10multipliesIiEENS9_8equal_toIiEEiEE10hipError_tPvRmT2_T3_T4_T5_mT6_T7_P12ihipStream_tbENKUlT_T0_E_clISt17integral_constantIbLb1EESY_IbLb0EEEEDaSU_SV_EUlSU_E_NS1_11comp_targetILNS1_3genE0ELNS1_11target_archE4294967295ELNS1_3gpuE0ELNS1_3repE0EEENS1_30default_config_static_selectorELNS0_4arch9wavefront6targetE1EEEvT1_
		.amdhsa_group_segment_fixed_size 0
		.amdhsa_private_segment_fixed_size 0
		.amdhsa_kernarg_size 112
		.amdhsa_user_sgpr_count 6
		.amdhsa_user_sgpr_private_segment_buffer 1
		.amdhsa_user_sgpr_dispatch_ptr 0
		.amdhsa_user_sgpr_queue_ptr 0
		.amdhsa_user_sgpr_kernarg_segment_ptr 1
		.amdhsa_user_sgpr_dispatch_id 0
		.amdhsa_user_sgpr_flat_scratch_init 0
		.amdhsa_user_sgpr_kernarg_preload_length 0
		.amdhsa_user_sgpr_kernarg_preload_offset 0
		.amdhsa_user_sgpr_private_segment_size 0
		.amdhsa_uses_dynamic_stack 0
		.amdhsa_system_sgpr_private_segment_wavefront_offset 0
		.amdhsa_system_sgpr_workgroup_id_x 1
		.amdhsa_system_sgpr_workgroup_id_y 0
		.amdhsa_system_sgpr_workgroup_id_z 0
		.amdhsa_system_sgpr_workgroup_info 0
		.amdhsa_system_vgpr_workitem_id 0
		.amdhsa_next_free_vgpr 1
		.amdhsa_next_free_sgpr 0
		.amdhsa_accum_offset 4
		.amdhsa_reserve_vcc 0
		.amdhsa_reserve_flat_scratch 0
		.amdhsa_float_round_mode_32 0
		.amdhsa_float_round_mode_16_64 0
		.amdhsa_float_denorm_mode_32 3
		.amdhsa_float_denorm_mode_16_64 3
		.amdhsa_dx10_clamp 1
		.amdhsa_ieee_mode 1
		.amdhsa_fp16_overflow 0
		.amdhsa_tg_split 0
		.amdhsa_exception_fp_ieee_invalid_op 0
		.amdhsa_exception_fp_denorm_src 0
		.amdhsa_exception_fp_ieee_div_zero 0
		.amdhsa_exception_fp_ieee_overflow 0
		.amdhsa_exception_fp_ieee_underflow 0
		.amdhsa_exception_fp_ieee_inexact 0
		.amdhsa_exception_int_div_zero 0
	.end_amdhsa_kernel
	.section	.text._ZN7rocprim17ROCPRIM_400000_NS6detail17trampoline_kernelINS0_14default_configENS1_27scan_by_key_config_selectorIiiEEZZNS1_16scan_by_key_implILNS1_25lookback_scan_determinismE0ELb1ES3_N6thrust23THRUST_200600_302600_NS6detail15normal_iteratorINS9_10device_ptrIiEEEESE_SE_iNS9_10multipliesIiEENS9_8equal_toIiEEiEE10hipError_tPvRmT2_T3_T4_T5_mT6_T7_P12ihipStream_tbENKUlT_T0_E_clISt17integral_constantIbLb1EESY_IbLb0EEEEDaSU_SV_EUlSU_E_NS1_11comp_targetILNS1_3genE0ELNS1_11target_archE4294967295ELNS1_3gpuE0ELNS1_3repE0EEENS1_30default_config_static_selectorELNS0_4arch9wavefront6targetE1EEEvT1_,"axG",@progbits,_ZN7rocprim17ROCPRIM_400000_NS6detail17trampoline_kernelINS0_14default_configENS1_27scan_by_key_config_selectorIiiEEZZNS1_16scan_by_key_implILNS1_25lookback_scan_determinismE0ELb1ES3_N6thrust23THRUST_200600_302600_NS6detail15normal_iteratorINS9_10device_ptrIiEEEESE_SE_iNS9_10multipliesIiEENS9_8equal_toIiEEiEE10hipError_tPvRmT2_T3_T4_T5_mT6_T7_P12ihipStream_tbENKUlT_T0_E_clISt17integral_constantIbLb1EESY_IbLb0EEEEDaSU_SV_EUlSU_E_NS1_11comp_targetILNS1_3genE0ELNS1_11target_archE4294967295ELNS1_3gpuE0ELNS1_3repE0EEENS1_30default_config_static_selectorELNS0_4arch9wavefront6targetE1EEEvT1_,comdat
.Lfunc_end515:
	.size	_ZN7rocprim17ROCPRIM_400000_NS6detail17trampoline_kernelINS0_14default_configENS1_27scan_by_key_config_selectorIiiEEZZNS1_16scan_by_key_implILNS1_25lookback_scan_determinismE0ELb1ES3_N6thrust23THRUST_200600_302600_NS6detail15normal_iteratorINS9_10device_ptrIiEEEESE_SE_iNS9_10multipliesIiEENS9_8equal_toIiEEiEE10hipError_tPvRmT2_T3_T4_T5_mT6_T7_P12ihipStream_tbENKUlT_T0_E_clISt17integral_constantIbLb1EESY_IbLb0EEEEDaSU_SV_EUlSU_E_NS1_11comp_targetILNS1_3genE0ELNS1_11target_archE4294967295ELNS1_3gpuE0ELNS1_3repE0EEENS1_30default_config_static_selectorELNS0_4arch9wavefront6targetE1EEEvT1_, .Lfunc_end515-_ZN7rocprim17ROCPRIM_400000_NS6detail17trampoline_kernelINS0_14default_configENS1_27scan_by_key_config_selectorIiiEEZZNS1_16scan_by_key_implILNS1_25lookback_scan_determinismE0ELb1ES3_N6thrust23THRUST_200600_302600_NS6detail15normal_iteratorINS9_10device_ptrIiEEEESE_SE_iNS9_10multipliesIiEENS9_8equal_toIiEEiEE10hipError_tPvRmT2_T3_T4_T5_mT6_T7_P12ihipStream_tbENKUlT_T0_E_clISt17integral_constantIbLb1EESY_IbLb0EEEEDaSU_SV_EUlSU_E_NS1_11comp_targetILNS1_3genE0ELNS1_11target_archE4294967295ELNS1_3gpuE0ELNS1_3repE0EEENS1_30default_config_static_selectorELNS0_4arch9wavefront6targetE1EEEvT1_
                                        ; -- End function
	.section	.AMDGPU.csdata,"",@progbits
; Kernel info:
; codeLenInByte = 0
; NumSgprs: 4
; NumVgprs: 0
; NumAgprs: 0
; TotalNumVgprs: 0
; ScratchSize: 0
; MemoryBound: 0
; FloatMode: 240
; IeeeMode: 1
; LDSByteSize: 0 bytes/workgroup (compile time only)
; SGPRBlocks: 0
; VGPRBlocks: 0
; NumSGPRsForWavesPerEU: 4
; NumVGPRsForWavesPerEU: 1
; AccumOffset: 4
; Occupancy: 8
; WaveLimiterHint : 0
; COMPUTE_PGM_RSRC2:SCRATCH_EN: 0
; COMPUTE_PGM_RSRC2:USER_SGPR: 6
; COMPUTE_PGM_RSRC2:TRAP_HANDLER: 0
; COMPUTE_PGM_RSRC2:TGID_X_EN: 1
; COMPUTE_PGM_RSRC2:TGID_Y_EN: 0
; COMPUTE_PGM_RSRC2:TGID_Z_EN: 0
; COMPUTE_PGM_RSRC2:TIDIG_COMP_CNT: 0
; COMPUTE_PGM_RSRC3_GFX90A:ACCUM_OFFSET: 0
; COMPUTE_PGM_RSRC3_GFX90A:TG_SPLIT: 0
	.section	.text._ZN7rocprim17ROCPRIM_400000_NS6detail17trampoline_kernelINS0_14default_configENS1_27scan_by_key_config_selectorIiiEEZZNS1_16scan_by_key_implILNS1_25lookback_scan_determinismE0ELb1ES3_N6thrust23THRUST_200600_302600_NS6detail15normal_iteratorINS9_10device_ptrIiEEEESE_SE_iNS9_10multipliesIiEENS9_8equal_toIiEEiEE10hipError_tPvRmT2_T3_T4_T5_mT6_T7_P12ihipStream_tbENKUlT_T0_E_clISt17integral_constantIbLb1EESY_IbLb0EEEEDaSU_SV_EUlSU_E_NS1_11comp_targetILNS1_3genE10ELNS1_11target_archE1201ELNS1_3gpuE5ELNS1_3repE0EEENS1_30default_config_static_selectorELNS0_4arch9wavefront6targetE1EEEvT1_,"axG",@progbits,_ZN7rocprim17ROCPRIM_400000_NS6detail17trampoline_kernelINS0_14default_configENS1_27scan_by_key_config_selectorIiiEEZZNS1_16scan_by_key_implILNS1_25lookback_scan_determinismE0ELb1ES3_N6thrust23THRUST_200600_302600_NS6detail15normal_iteratorINS9_10device_ptrIiEEEESE_SE_iNS9_10multipliesIiEENS9_8equal_toIiEEiEE10hipError_tPvRmT2_T3_T4_T5_mT6_T7_P12ihipStream_tbENKUlT_T0_E_clISt17integral_constantIbLb1EESY_IbLb0EEEEDaSU_SV_EUlSU_E_NS1_11comp_targetILNS1_3genE10ELNS1_11target_archE1201ELNS1_3gpuE5ELNS1_3repE0EEENS1_30default_config_static_selectorELNS0_4arch9wavefront6targetE1EEEvT1_,comdat
	.protected	_ZN7rocprim17ROCPRIM_400000_NS6detail17trampoline_kernelINS0_14default_configENS1_27scan_by_key_config_selectorIiiEEZZNS1_16scan_by_key_implILNS1_25lookback_scan_determinismE0ELb1ES3_N6thrust23THRUST_200600_302600_NS6detail15normal_iteratorINS9_10device_ptrIiEEEESE_SE_iNS9_10multipliesIiEENS9_8equal_toIiEEiEE10hipError_tPvRmT2_T3_T4_T5_mT6_T7_P12ihipStream_tbENKUlT_T0_E_clISt17integral_constantIbLb1EESY_IbLb0EEEEDaSU_SV_EUlSU_E_NS1_11comp_targetILNS1_3genE10ELNS1_11target_archE1201ELNS1_3gpuE5ELNS1_3repE0EEENS1_30default_config_static_selectorELNS0_4arch9wavefront6targetE1EEEvT1_ ; -- Begin function _ZN7rocprim17ROCPRIM_400000_NS6detail17trampoline_kernelINS0_14default_configENS1_27scan_by_key_config_selectorIiiEEZZNS1_16scan_by_key_implILNS1_25lookback_scan_determinismE0ELb1ES3_N6thrust23THRUST_200600_302600_NS6detail15normal_iteratorINS9_10device_ptrIiEEEESE_SE_iNS9_10multipliesIiEENS9_8equal_toIiEEiEE10hipError_tPvRmT2_T3_T4_T5_mT6_T7_P12ihipStream_tbENKUlT_T0_E_clISt17integral_constantIbLb1EESY_IbLb0EEEEDaSU_SV_EUlSU_E_NS1_11comp_targetILNS1_3genE10ELNS1_11target_archE1201ELNS1_3gpuE5ELNS1_3repE0EEENS1_30default_config_static_selectorELNS0_4arch9wavefront6targetE1EEEvT1_
	.globl	_ZN7rocprim17ROCPRIM_400000_NS6detail17trampoline_kernelINS0_14default_configENS1_27scan_by_key_config_selectorIiiEEZZNS1_16scan_by_key_implILNS1_25lookback_scan_determinismE0ELb1ES3_N6thrust23THRUST_200600_302600_NS6detail15normal_iteratorINS9_10device_ptrIiEEEESE_SE_iNS9_10multipliesIiEENS9_8equal_toIiEEiEE10hipError_tPvRmT2_T3_T4_T5_mT6_T7_P12ihipStream_tbENKUlT_T0_E_clISt17integral_constantIbLb1EESY_IbLb0EEEEDaSU_SV_EUlSU_E_NS1_11comp_targetILNS1_3genE10ELNS1_11target_archE1201ELNS1_3gpuE5ELNS1_3repE0EEENS1_30default_config_static_selectorELNS0_4arch9wavefront6targetE1EEEvT1_
	.p2align	8
	.type	_ZN7rocprim17ROCPRIM_400000_NS6detail17trampoline_kernelINS0_14default_configENS1_27scan_by_key_config_selectorIiiEEZZNS1_16scan_by_key_implILNS1_25lookback_scan_determinismE0ELb1ES3_N6thrust23THRUST_200600_302600_NS6detail15normal_iteratorINS9_10device_ptrIiEEEESE_SE_iNS9_10multipliesIiEENS9_8equal_toIiEEiEE10hipError_tPvRmT2_T3_T4_T5_mT6_T7_P12ihipStream_tbENKUlT_T0_E_clISt17integral_constantIbLb1EESY_IbLb0EEEEDaSU_SV_EUlSU_E_NS1_11comp_targetILNS1_3genE10ELNS1_11target_archE1201ELNS1_3gpuE5ELNS1_3repE0EEENS1_30default_config_static_selectorELNS0_4arch9wavefront6targetE1EEEvT1_,@function
_ZN7rocprim17ROCPRIM_400000_NS6detail17trampoline_kernelINS0_14default_configENS1_27scan_by_key_config_selectorIiiEEZZNS1_16scan_by_key_implILNS1_25lookback_scan_determinismE0ELb1ES3_N6thrust23THRUST_200600_302600_NS6detail15normal_iteratorINS9_10device_ptrIiEEEESE_SE_iNS9_10multipliesIiEENS9_8equal_toIiEEiEE10hipError_tPvRmT2_T3_T4_T5_mT6_T7_P12ihipStream_tbENKUlT_T0_E_clISt17integral_constantIbLb1EESY_IbLb0EEEEDaSU_SV_EUlSU_E_NS1_11comp_targetILNS1_3genE10ELNS1_11target_archE1201ELNS1_3gpuE5ELNS1_3repE0EEENS1_30default_config_static_selectorELNS0_4arch9wavefront6targetE1EEEvT1_: ; @_ZN7rocprim17ROCPRIM_400000_NS6detail17trampoline_kernelINS0_14default_configENS1_27scan_by_key_config_selectorIiiEEZZNS1_16scan_by_key_implILNS1_25lookback_scan_determinismE0ELb1ES3_N6thrust23THRUST_200600_302600_NS6detail15normal_iteratorINS9_10device_ptrIiEEEESE_SE_iNS9_10multipliesIiEENS9_8equal_toIiEEiEE10hipError_tPvRmT2_T3_T4_T5_mT6_T7_P12ihipStream_tbENKUlT_T0_E_clISt17integral_constantIbLb1EESY_IbLb0EEEEDaSU_SV_EUlSU_E_NS1_11comp_targetILNS1_3genE10ELNS1_11target_archE1201ELNS1_3gpuE5ELNS1_3repE0EEENS1_30default_config_static_selectorELNS0_4arch9wavefront6targetE1EEEvT1_
; %bb.0:
	.section	.rodata,"a",@progbits
	.p2align	6, 0x0
	.amdhsa_kernel _ZN7rocprim17ROCPRIM_400000_NS6detail17trampoline_kernelINS0_14default_configENS1_27scan_by_key_config_selectorIiiEEZZNS1_16scan_by_key_implILNS1_25lookback_scan_determinismE0ELb1ES3_N6thrust23THRUST_200600_302600_NS6detail15normal_iteratorINS9_10device_ptrIiEEEESE_SE_iNS9_10multipliesIiEENS9_8equal_toIiEEiEE10hipError_tPvRmT2_T3_T4_T5_mT6_T7_P12ihipStream_tbENKUlT_T0_E_clISt17integral_constantIbLb1EESY_IbLb0EEEEDaSU_SV_EUlSU_E_NS1_11comp_targetILNS1_3genE10ELNS1_11target_archE1201ELNS1_3gpuE5ELNS1_3repE0EEENS1_30default_config_static_selectorELNS0_4arch9wavefront6targetE1EEEvT1_
		.amdhsa_group_segment_fixed_size 0
		.amdhsa_private_segment_fixed_size 0
		.amdhsa_kernarg_size 112
		.amdhsa_user_sgpr_count 6
		.amdhsa_user_sgpr_private_segment_buffer 1
		.amdhsa_user_sgpr_dispatch_ptr 0
		.amdhsa_user_sgpr_queue_ptr 0
		.amdhsa_user_sgpr_kernarg_segment_ptr 1
		.amdhsa_user_sgpr_dispatch_id 0
		.amdhsa_user_sgpr_flat_scratch_init 0
		.amdhsa_user_sgpr_kernarg_preload_length 0
		.amdhsa_user_sgpr_kernarg_preload_offset 0
		.amdhsa_user_sgpr_private_segment_size 0
		.amdhsa_uses_dynamic_stack 0
		.amdhsa_system_sgpr_private_segment_wavefront_offset 0
		.amdhsa_system_sgpr_workgroup_id_x 1
		.amdhsa_system_sgpr_workgroup_id_y 0
		.amdhsa_system_sgpr_workgroup_id_z 0
		.amdhsa_system_sgpr_workgroup_info 0
		.amdhsa_system_vgpr_workitem_id 0
		.amdhsa_next_free_vgpr 1
		.amdhsa_next_free_sgpr 0
		.amdhsa_accum_offset 4
		.amdhsa_reserve_vcc 0
		.amdhsa_reserve_flat_scratch 0
		.amdhsa_float_round_mode_32 0
		.amdhsa_float_round_mode_16_64 0
		.amdhsa_float_denorm_mode_32 3
		.amdhsa_float_denorm_mode_16_64 3
		.amdhsa_dx10_clamp 1
		.amdhsa_ieee_mode 1
		.amdhsa_fp16_overflow 0
		.amdhsa_tg_split 0
		.amdhsa_exception_fp_ieee_invalid_op 0
		.amdhsa_exception_fp_denorm_src 0
		.amdhsa_exception_fp_ieee_div_zero 0
		.amdhsa_exception_fp_ieee_overflow 0
		.amdhsa_exception_fp_ieee_underflow 0
		.amdhsa_exception_fp_ieee_inexact 0
		.amdhsa_exception_int_div_zero 0
	.end_amdhsa_kernel
	.section	.text._ZN7rocprim17ROCPRIM_400000_NS6detail17trampoline_kernelINS0_14default_configENS1_27scan_by_key_config_selectorIiiEEZZNS1_16scan_by_key_implILNS1_25lookback_scan_determinismE0ELb1ES3_N6thrust23THRUST_200600_302600_NS6detail15normal_iteratorINS9_10device_ptrIiEEEESE_SE_iNS9_10multipliesIiEENS9_8equal_toIiEEiEE10hipError_tPvRmT2_T3_T4_T5_mT6_T7_P12ihipStream_tbENKUlT_T0_E_clISt17integral_constantIbLb1EESY_IbLb0EEEEDaSU_SV_EUlSU_E_NS1_11comp_targetILNS1_3genE10ELNS1_11target_archE1201ELNS1_3gpuE5ELNS1_3repE0EEENS1_30default_config_static_selectorELNS0_4arch9wavefront6targetE1EEEvT1_,"axG",@progbits,_ZN7rocprim17ROCPRIM_400000_NS6detail17trampoline_kernelINS0_14default_configENS1_27scan_by_key_config_selectorIiiEEZZNS1_16scan_by_key_implILNS1_25lookback_scan_determinismE0ELb1ES3_N6thrust23THRUST_200600_302600_NS6detail15normal_iteratorINS9_10device_ptrIiEEEESE_SE_iNS9_10multipliesIiEENS9_8equal_toIiEEiEE10hipError_tPvRmT2_T3_T4_T5_mT6_T7_P12ihipStream_tbENKUlT_T0_E_clISt17integral_constantIbLb1EESY_IbLb0EEEEDaSU_SV_EUlSU_E_NS1_11comp_targetILNS1_3genE10ELNS1_11target_archE1201ELNS1_3gpuE5ELNS1_3repE0EEENS1_30default_config_static_selectorELNS0_4arch9wavefront6targetE1EEEvT1_,comdat
.Lfunc_end516:
	.size	_ZN7rocprim17ROCPRIM_400000_NS6detail17trampoline_kernelINS0_14default_configENS1_27scan_by_key_config_selectorIiiEEZZNS1_16scan_by_key_implILNS1_25lookback_scan_determinismE0ELb1ES3_N6thrust23THRUST_200600_302600_NS6detail15normal_iteratorINS9_10device_ptrIiEEEESE_SE_iNS9_10multipliesIiEENS9_8equal_toIiEEiEE10hipError_tPvRmT2_T3_T4_T5_mT6_T7_P12ihipStream_tbENKUlT_T0_E_clISt17integral_constantIbLb1EESY_IbLb0EEEEDaSU_SV_EUlSU_E_NS1_11comp_targetILNS1_3genE10ELNS1_11target_archE1201ELNS1_3gpuE5ELNS1_3repE0EEENS1_30default_config_static_selectorELNS0_4arch9wavefront6targetE1EEEvT1_, .Lfunc_end516-_ZN7rocprim17ROCPRIM_400000_NS6detail17trampoline_kernelINS0_14default_configENS1_27scan_by_key_config_selectorIiiEEZZNS1_16scan_by_key_implILNS1_25lookback_scan_determinismE0ELb1ES3_N6thrust23THRUST_200600_302600_NS6detail15normal_iteratorINS9_10device_ptrIiEEEESE_SE_iNS9_10multipliesIiEENS9_8equal_toIiEEiEE10hipError_tPvRmT2_T3_T4_T5_mT6_T7_P12ihipStream_tbENKUlT_T0_E_clISt17integral_constantIbLb1EESY_IbLb0EEEEDaSU_SV_EUlSU_E_NS1_11comp_targetILNS1_3genE10ELNS1_11target_archE1201ELNS1_3gpuE5ELNS1_3repE0EEENS1_30default_config_static_selectorELNS0_4arch9wavefront6targetE1EEEvT1_
                                        ; -- End function
	.section	.AMDGPU.csdata,"",@progbits
; Kernel info:
; codeLenInByte = 0
; NumSgprs: 4
; NumVgprs: 0
; NumAgprs: 0
; TotalNumVgprs: 0
; ScratchSize: 0
; MemoryBound: 0
; FloatMode: 240
; IeeeMode: 1
; LDSByteSize: 0 bytes/workgroup (compile time only)
; SGPRBlocks: 0
; VGPRBlocks: 0
; NumSGPRsForWavesPerEU: 4
; NumVGPRsForWavesPerEU: 1
; AccumOffset: 4
; Occupancy: 8
; WaveLimiterHint : 0
; COMPUTE_PGM_RSRC2:SCRATCH_EN: 0
; COMPUTE_PGM_RSRC2:USER_SGPR: 6
; COMPUTE_PGM_RSRC2:TRAP_HANDLER: 0
; COMPUTE_PGM_RSRC2:TGID_X_EN: 1
; COMPUTE_PGM_RSRC2:TGID_Y_EN: 0
; COMPUTE_PGM_RSRC2:TGID_Z_EN: 0
; COMPUTE_PGM_RSRC2:TIDIG_COMP_CNT: 0
; COMPUTE_PGM_RSRC3_GFX90A:ACCUM_OFFSET: 0
; COMPUTE_PGM_RSRC3_GFX90A:TG_SPLIT: 0
	.section	.text._ZN7rocprim17ROCPRIM_400000_NS6detail17trampoline_kernelINS0_14default_configENS1_27scan_by_key_config_selectorIiiEEZZNS1_16scan_by_key_implILNS1_25lookback_scan_determinismE0ELb1ES3_N6thrust23THRUST_200600_302600_NS6detail15normal_iteratorINS9_10device_ptrIiEEEESE_SE_iNS9_10multipliesIiEENS9_8equal_toIiEEiEE10hipError_tPvRmT2_T3_T4_T5_mT6_T7_P12ihipStream_tbENKUlT_T0_E_clISt17integral_constantIbLb1EESY_IbLb0EEEEDaSU_SV_EUlSU_E_NS1_11comp_targetILNS1_3genE5ELNS1_11target_archE942ELNS1_3gpuE9ELNS1_3repE0EEENS1_30default_config_static_selectorELNS0_4arch9wavefront6targetE1EEEvT1_,"axG",@progbits,_ZN7rocprim17ROCPRIM_400000_NS6detail17trampoline_kernelINS0_14default_configENS1_27scan_by_key_config_selectorIiiEEZZNS1_16scan_by_key_implILNS1_25lookback_scan_determinismE0ELb1ES3_N6thrust23THRUST_200600_302600_NS6detail15normal_iteratorINS9_10device_ptrIiEEEESE_SE_iNS9_10multipliesIiEENS9_8equal_toIiEEiEE10hipError_tPvRmT2_T3_T4_T5_mT6_T7_P12ihipStream_tbENKUlT_T0_E_clISt17integral_constantIbLb1EESY_IbLb0EEEEDaSU_SV_EUlSU_E_NS1_11comp_targetILNS1_3genE5ELNS1_11target_archE942ELNS1_3gpuE9ELNS1_3repE0EEENS1_30default_config_static_selectorELNS0_4arch9wavefront6targetE1EEEvT1_,comdat
	.protected	_ZN7rocprim17ROCPRIM_400000_NS6detail17trampoline_kernelINS0_14default_configENS1_27scan_by_key_config_selectorIiiEEZZNS1_16scan_by_key_implILNS1_25lookback_scan_determinismE0ELb1ES3_N6thrust23THRUST_200600_302600_NS6detail15normal_iteratorINS9_10device_ptrIiEEEESE_SE_iNS9_10multipliesIiEENS9_8equal_toIiEEiEE10hipError_tPvRmT2_T3_T4_T5_mT6_T7_P12ihipStream_tbENKUlT_T0_E_clISt17integral_constantIbLb1EESY_IbLb0EEEEDaSU_SV_EUlSU_E_NS1_11comp_targetILNS1_3genE5ELNS1_11target_archE942ELNS1_3gpuE9ELNS1_3repE0EEENS1_30default_config_static_selectorELNS0_4arch9wavefront6targetE1EEEvT1_ ; -- Begin function _ZN7rocprim17ROCPRIM_400000_NS6detail17trampoline_kernelINS0_14default_configENS1_27scan_by_key_config_selectorIiiEEZZNS1_16scan_by_key_implILNS1_25lookback_scan_determinismE0ELb1ES3_N6thrust23THRUST_200600_302600_NS6detail15normal_iteratorINS9_10device_ptrIiEEEESE_SE_iNS9_10multipliesIiEENS9_8equal_toIiEEiEE10hipError_tPvRmT2_T3_T4_T5_mT6_T7_P12ihipStream_tbENKUlT_T0_E_clISt17integral_constantIbLb1EESY_IbLb0EEEEDaSU_SV_EUlSU_E_NS1_11comp_targetILNS1_3genE5ELNS1_11target_archE942ELNS1_3gpuE9ELNS1_3repE0EEENS1_30default_config_static_selectorELNS0_4arch9wavefront6targetE1EEEvT1_
	.globl	_ZN7rocprim17ROCPRIM_400000_NS6detail17trampoline_kernelINS0_14default_configENS1_27scan_by_key_config_selectorIiiEEZZNS1_16scan_by_key_implILNS1_25lookback_scan_determinismE0ELb1ES3_N6thrust23THRUST_200600_302600_NS6detail15normal_iteratorINS9_10device_ptrIiEEEESE_SE_iNS9_10multipliesIiEENS9_8equal_toIiEEiEE10hipError_tPvRmT2_T3_T4_T5_mT6_T7_P12ihipStream_tbENKUlT_T0_E_clISt17integral_constantIbLb1EESY_IbLb0EEEEDaSU_SV_EUlSU_E_NS1_11comp_targetILNS1_3genE5ELNS1_11target_archE942ELNS1_3gpuE9ELNS1_3repE0EEENS1_30default_config_static_selectorELNS0_4arch9wavefront6targetE1EEEvT1_
	.p2align	8
	.type	_ZN7rocprim17ROCPRIM_400000_NS6detail17trampoline_kernelINS0_14default_configENS1_27scan_by_key_config_selectorIiiEEZZNS1_16scan_by_key_implILNS1_25lookback_scan_determinismE0ELb1ES3_N6thrust23THRUST_200600_302600_NS6detail15normal_iteratorINS9_10device_ptrIiEEEESE_SE_iNS9_10multipliesIiEENS9_8equal_toIiEEiEE10hipError_tPvRmT2_T3_T4_T5_mT6_T7_P12ihipStream_tbENKUlT_T0_E_clISt17integral_constantIbLb1EESY_IbLb0EEEEDaSU_SV_EUlSU_E_NS1_11comp_targetILNS1_3genE5ELNS1_11target_archE942ELNS1_3gpuE9ELNS1_3repE0EEENS1_30default_config_static_selectorELNS0_4arch9wavefront6targetE1EEEvT1_,@function
_ZN7rocprim17ROCPRIM_400000_NS6detail17trampoline_kernelINS0_14default_configENS1_27scan_by_key_config_selectorIiiEEZZNS1_16scan_by_key_implILNS1_25lookback_scan_determinismE0ELb1ES3_N6thrust23THRUST_200600_302600_NS6detail15normal_iteratorINS9_10device_ptrIiEEEESE_SE_iNS9_10multipliesIiEENS9_8equal_toIiEEiEE10hipError_tPvRmT2_T3_T4_T5_mT6_T7_P12ihipStream_tbENKUlT_T0_E_clISt17integral_constantIbLb1EESY_IbLb0EEEEDaSU_SV_EUlSU_E_NS1_11comp_targetILNS1_3genE5ELNS1_11target_archE942ELNS1_3gpuE9ELNS1_3repE0EEENS1_30default_config_static_selectorELNS0_4arch9wavefront6targetE1EEEvT1_: ; @_ZN7rocprim17ROCPRIM_400000_NS6detail17trampoline_kernelINS0_14default_configENS1_27scan_by_key_config_selectorIiiEEZZNS1_16scan_by_key_implILNS1_25lookback_scan_determinismE0ELb1ES3_N6thrust23THRUST_200600_302600_NS6detail15normal_iteratorINS9_10device_ptrIiEEEESE_SE_iNS9_10multipliesIiEENS9_8equal_toIiEEiEE10hipError_tPvRmT2_T3_T4_T5_mT6_T7_P12ihipStream_tbENKUlT_T0_E_clISt17integral_constantIbLb1EESY_IbLb0EEEEDaSU_SV_EUlSU_E_NS1_11comp_targetILNS1_3genE5ELNS1_11target_archE942ELNS1_3gpuE9ELNS1_3repE0EEENS1_30default_config_static_selectorELNS0_4arch9wavefront6targetE1EEEvT1_
; %bb.0:
	.section	.rodata,"a",@progbits
	.p2align	6, 0x0
	.amdhsa_kernel _ZN7rocprim17ROCPRIM_400000_NS6detail17trampoline_kernelINS0_14default_configENS1_27scan_by_key_config_selectorIiiEEZZNS1_16scan_by_key_implILNS1_25lookback_scan_determinismE0ELb1ES3_N6thrust23THRUST_200600_302600_NS6detail15normal_iteratorINS9_10device_ptrIiEEEESE_SE_iNS9_10multipliesIiEENS9_8equal_toIiEEiEE10hipError_tPvRmT2_T3_T4_T5_mT6_T7_P12ihipStream_tbENKUlT_T0_E_clISt17integral_constantIbLb1EESY_IbLb0EEEEDaSU_SV_EUlSU_E_NS1_11comp_targetILNS1_3genE5ELNS1_11target_archE942ELNS1_3gpuE9ELNS1_3repE0EEENS1_30default_config_static_selectorELNS0_4arch9wavefront6targetE1EEEvT1_
		.amdhsa_group_segment_fixed_size 0
		.amdhsa_private_segment_fixed_size 0
		.amdhsa_kernarg_size 112
		.amdhsa_user_sgpr_count 6
		.amdhsa_user_sgpr_private_segment_buffer 1
		.amdhsa_user_sgpr_dispatch_ptr 0
		.amdhsa_user_sgpr_queue_ptr 0
		.amdhsa_user_sgpr_kernarg_segment_ptr 1
		.amdhsa_user_sgpr_dispatch_id 0
		.amdhsa_user_sgpr_flat_scratch_init 0
		.amdhsa_user_sgpr_kernarg_preload_length 0
		.amdhsa_user_sgpr_kernarg_preload_offset 0
		.amdhsa_user_sgpr_private_segment_size 0
		.amdhsa_uses_dynamic_stack 0
		.amdhsa_system_sgpr_private_segment_wavefront_offset 0
		.amdhsa_system_sgpr_workgroup_id_x 1
		.amdhsa_system_sgpr_workgroup_id_y 0
		.amdhsa_system_sgpr_workgroup_id_z 0
		.amdhsa_system_sgpr_workgroup_info 0
		.amdhsa_system_vgpr_workitem_id 0
		.amdhsa_next_free_vgpr 1
		.amdhsa_next_free_sgpr 0
		.amdhsa_accum_offset 4
		.amdhsa_reserve_vcc 0
		.amdhsa_reserve_flat_scratch 0
		.amdhsa_float_round_mode_32 0
		.amdhsa_float_round_mode_16_64 0
		.amdhsa_float_denorm_mode_32 3
		.amdhsa_float_denorm_mode_16_64 3
		.amdhsa_dx10_clamp 1
		.amdhsa_ieee_mode 1
		.amdhsa_fp16_overflow 0
		.amdhsa_tg_split 0
		.amdhsa_exception_fp_ieee_invalid_op 0
		.amdhsa_exception_fp_denorm_src 0
		.amdhsa_exception_fp_ieee_div_zero 0
		.amdhsa_exception_fp_ieee_overflow 0
		.amdhsa_exception_fp_ieee_underflow 0
		.amdhsa_exception_fp_ieee_inexact 0
		.amdhsa_exception_int_div_zero 0
	.end_amdhsa_kernel
	.section	.text._ZN7rocprim17ROCPRIM_400000_NS6detail17trampoline_kernelINS0_14default_configENS1_27scan_by_key_config_selectorIiiEEZZNS1_16scan_by_key_implILNS1_25lookback_scan_determinismE0ELb1ES3_N6thrust23THRUST_200600_302600_NS6detail15normal_iteratorINS9_10device_ptrIiEEEESE_SE_iNS9_10multipliesIiEENS9_8equal_toIiEEiEE10hipError_tPvRmT2_T3_T4_T5_mT6_T7_P12ihipStream_tbENKUlT_T0_E_clISt17integral_constantIbLb1EESY_IbLb0EEEEDaSU_SV_EUlSU_E_NS1_11comp_targetILNS1_3genE5ELNS1_11target_archE942ELNS1_3gpuE9ELNS1_3repE0EEENS1_30default_config_static_selectorELNS0_4arch9wavefront6targetE1EEEvT1_,"axG",@progbits,_ZN7rocprim17ROCPRIM_400000_NS6detail17trampoline_kernelINS0_14default_configENS1_27scan_by_key_config_selectorIiiEEZZNS1_16scan_by_key_implILNS1_25lookback_scan_determinismE0ELb1ES3_N6thrust23THRUST_200600_302600_NS6detail15normal_iteratorINS9_10device_ptrIiEEEESE_SE_iNS9_10multipliesIiEENS9_8equal_toIiEEiEE10hipError_tPvRmT2_T3_T4_T5_mT6_T7_P12ihipStream_tbENKUlT_T0_E_clISt17integral_constantIbLb1EESY_IbLb0EEEEDaSU_SV_EUlSU_E_NS1_11comp_targetILNS1_3genE5ELNS1_11target_archE942ELNS1_3gpuE9ELNS1_3repE0EEENS1_30default_config_static_selectorELNS0_4arch9wavefront6targetE1EEEvT1_,comdat
.Lfunc_end517:
	.size	_ZN7rocprim17ROCPRIM_400000_NS6detail17trampoline_kernelINS0_14default_configENS1_27scan_by_key_config_selectorIiiEEZZNS1_16scan_by_key_implILNS1_25lookback_scan_determinismE0ELb1ES3_N6thrust23THRUST_200600_302600_NS6detail15normal_iteratorINS9_10device_ptrIiEEEESE_SE_iNS9_10multipliesIiEENS9_8equal_toIiEEiEE10hipError_tPvRmT2_T3_T4_T5_mT6_T7_P12ihipStream_tbENKUlT_T0_E_clISt17integral_constantIbLb1EESY_IbLb0EEEEDaSU_SV_EUlSU_E_NS1_11comp_targetILNS1_3genE5ELNS1_11target_archE942ELNS1_3gpuE9ELNS1_3repE0EEENS1_30default_config_static_selectorELNS0_4arch9wavefront6targetE1EEEvT1_, .Lfunc_end517-_ZN7rocprim17ROCPRIM_400000_NS6detail17trampoline_kernelINS0_14default_configENS1_27scan_by_key_config_selectorIiiEEZZNS1_16scan_by_key_implILNS1_25lookback_scan_determinismE0ELb1ES3_N6thrust23THRUST_200600_302600_NS6detail15normal_iteratorINS9_10device_ptrIiEEEESE_SE_iNS9_10multipliesIiEENS9_8equal_toIiEEiEE10hipError_tPvRmT2_T3_T4_T5_mT6_T7_P12ihipStream_tbENKUlT_T0_E_clISt17integral_constantIbLb1EESY_IbLb0EEEEDaSU_SV_EUlSU_E_NS1_11comp_targetILNS1_3genE5ELNS1_11target_archE942ELNS1_3gpuE9ELNS1_3repE0EEENS1_30default_config_static_selectorELNS0_4arch9wavefront6targetE1EEEvT1_
                                        ; -- End function
	.section	.AMDGPU.csdata,"",@progbits
; Kernel info:
; codeLenInByte = 0
; NumSgprs: 4
; NumVgprs: 0
; NumAgprs: 0
; TotalNumVgprs: 0
; ScratchSize: 0
; MemoryBound: 0
; FloatMode: 240
; IeeeMode: 1
; LDSByteSize: 0 bytes/workgroup (compile time only)
; SGPRBlocks: 0
; VGPRBlocks: 0
; NumSGPRsForWavesPerEU: 4
; NumVGPRsForWavesPerEU: 1
; AccumOffset: 4
; Occupancy: 8
; WaveLimiterHint : 0
; COMPUTE_PGM_RSRC2:SCRATCH_EN: 0
; COMPUTE_PGM_RSRC2:USER_SGPR: 6
; COMPUTE_PGM_RSRC2:TRAP_HANDLER: 0
; COMPUTE_PGM_RSRC2:TGID_X_EN: 1
; COMPUTE_PGM_RSRC2:TGID_Y_EN: 0
; COMPUTE_PGM_RSRC2:TGID_Z_EN: 0
; COMPUTE_PGM_RSRC2:TIDIG_COMP_CNT: 0
; COMPUTE_PGM_RSRC3_GFX90A:ACCUM_OFFSET: 0
; COMPUTE_PGM_RSRC3_GFX90A:TG_SPLIT: 0
	.section	.text._ZN7rocprim17ROCPRIM_400000_NS6detail17trampoline_kernelINS0_14default_configENS1_27scan_by_key_config_selectorIiiEEZZNS1_16scan_by_key_implILNS1_25lookback_scan_determinismE0ELb1ES3_N6thrust23THRUST_200600_302600_NS6detail15normal_iteratorINS9_10device_ptrIiEEEESE_SE_iNS9_10multipliesIiEENS9_8equal_toIiEEiEE10hipError_tPvRmT2_T3_T4_T5_mT6_T7_P12ihipStream_tbENKUlT_T0_E_clISt17integral_constantIbLb1EESY_IbLb0EEEEDaSU_SV_EUlSU_E_NS1_11comp_targetILNS1_3genE4ELNS1_11target_archE910ELNS1_3gpuE8ELNS1_3repE0EEENS1_30default_config_static_selectorELNS0_4arch9wavefront6targetE1EEEvT1_,"axG",@progbits,_ZN7rocprim17ROCPRIM_400000_NS6detail17trampoline_kernelINS0_14default_configENS1_27scan_by_key_config_selectorIiiEEZZNS1_16scan_by_key_implILNS1_25lookback_scan_determinismE0ELb1ES3_N6thrust23THRUST_200600_302600_NS6detail15normal_iteratorINS9_10device_ptrIiEEEESE_SE_iNS9_10multipliesIiEENS9_8equal_toIiEEiEE10hipError_tPvRmT2_T3_T4_T5_mT6_T7_P12ihipStream_tbENKUlT_T0_E_clISt17integral_constantIbLb1EESY_IbLb0EEEEDaSU_SV_EUlSU_E_NS1_11comp_targetILNS1_3genE4ELNS1_11target_archE910ELNS1_3gpuE8ELNS1_3repE0EEENS1_30default_config_static_selectorELNS0_4arch9wavefront6targetE1EEEvT1_,comdat
	.protected	_ZN7rocprim17ROCPRIM_400000_NS6detail17trampoline_kernelINS0_14default_configENS1_27scan_by_key_config_selectorIiiEEZZNS1_16scan_by_key_implILNS1_25lookback_scan_determinismE0ELb1ES3_N6thrust23THRUST_200600_302600_NS6detail15normal_iteratorINS9_10device_ptrIiEEEESE_SE_iNS9_10multipliesIiEENS9_8equal_toIiEEiEE10hipError_tPvRmT2_T3_T4_T5_mT6_T7_P12ihipStream_tbENKUlT_T0_E_clISt17integral_constantIbLb1EESY_IbLb0EEEEDaSU_SV_EUlSU_E_NS1_11comp_targetILNS1_3genE4ELNS1_11target_archE910ELNS1_3gpuE8ELNS1_3repE0EEENS1_30default_config_static_selectorELNS0_4arch9wavefront6targetE1EEEvT1_ ; -- Begin function _ZN7rocprim17ROCPRIM_400000_NS6detail17trampoline_kernelINS0_14default_configENS1_27scan_by_key_config_selectorIiiEEZZNS1_16scan_by_key_implILNS1_25lookback_scan_determinismE0ELb1ES3_N6thrust23THRUST_200600_302600_NS6detail15normal_iteratorINS9_10device_ptrIiEEEESE_SE_iNS9_10multipliesIiEENS9_8equal_toIiEEiEE10hipError_tPvRmT2_T3_T4_T5_mT6_T7_P12ihipStream_tbENKUlT_T0_E_clISt17integral_constantIbLb1EESY_IbLb0EEEEDaSU_SV_EUlSU_E_NS1_11comp_targetILNS1_3genE4ELNS1_11target_archE910ELNS1_3gpuE8ELNS1_3repE0EEENS1_30default_config_static_selectorELNS0_4arch9wavefront6targetE1EEEvT1_
	.globl	_ZN7rocprim17ROCPRIM_400000_NS6detail17trampoline_kernelINS0_14default_configENS1_27scan_by_key_config_selectorIiiEEZZNS1_16scan_by_key_implILNS1_25lookback_scan_determinismE0ELb1ES3_N6thrust23THRUST_200600_302600_NS6detail15normal_iteratorINS9_10device_ptrIiEEEESE_SE_iNS9_10multipliesIiEENS9_8equal_toIiEEiEE10hipError_tPvRmT2_T3_T4_T5_mT6_T7_P12ihipStream_tbENKUlT_T0_E_clISt17integral_constantIbLb1EESY_IbLb0EEEEDaSU_SV_EUlSU_E_NS1_11comp_targetILNS1_3genE4ELNS1_11target_archE910ELNS1_3gpuE8ELNS1_3repE0EEENS1_30default_config_static_selectorELNS0_4arch9wavefront6targetE1EEEvT1_
	.p2align	8
	.type	_ZN7rocprim17ROCPRIM_400000_NS6detail17trampoline_kernelINS0_14default_configENS1_27scan_by_key_config_selectorIiiEEZZNS1_16scan_by_key_implILNS1_25lookback_scan_determinismE0ELb1ES3_N6thrust23THRUST_200600_302600_NS6detail15normal_iteratorINS9_10device_ptrIiEEEESE_SE_iNS9_10multipliesIiEENS9_8equal_toIiEEiEE10hipError_tPvRmT2_T3_T4_T5_mT6_T7_P12ihipStream_tbENKUlT_T0_E_clISt17integral_constantIbLb1EESY_IbLb0EEEEDaSU_SV_EUlSU_E_NS1_11comp_targetILNS1_3genE4ELNS1_11target_archE910ELNS1_3gpuE8ELNS1_3repE0EEENS1_30default_config_static_selectorELNS0_4arch9wavefront6targetE1EEEvT1_,@function
_ZN7rocprim17ROCPRIM_400000_NS6detail17trampoline_kernelINS0_14default_configENS1_27scan_by_key_config_selectorIiiEEZZNS1_16scan_by_key_implILNS1_25lookback_scan_determinismE0ELb1ES3_N6thrust23THRUST_200600_302600_NS6detail15normal_iteratorINS9_10device_ptrIiEEEESE_SE_iNS9_10multipliesIiEENS9_8equal_toIiEEiEE10hipError_tPvRmT2_T3_T4_T5_mT6_T7_P12ihipStream_tbENKUlT_T0_E_clISt17integral_constantIbLb1EESY_IbLb0EEEEDaSU_SV_EUlSU_E_NS1_11comp_targetILNS1_3genE4ELNS1_11target_archE910ELNS1_3gpuE8ELNS1_3repE0EEENS1_30default_config_static_selectorELNS0_4arch9wavefront6targetE1EEEvT1_: ; @_ZN7rocprim17ROCPRIM_400000_NS6detail17trampoline_kernelINS0_14default_configENS1_27scan_by_key_config_selectorIiiEEZZNS1_16scan_by_key_implILNS1_25lookback_scan_determinismE0ELb1ES3_N6thrust23THRUST_200600_302600_NS6detail15normal_iteratorINS9_10device_ptrIiEEEESE_SE_iNS9_10multipliesIiEENS9_8equal_toIiEEiEE10hipError_tPvRmT2_T3_T4_T5_mT6_T7_P12ihipStream_tbENKUlT_T0_E_clISt17integral_constantIbLb1EESY_IbLb0EEEEDaSU_SV_EUlSU_E_NS1_11comp_targetILNS1_3genE4ELNS1_11target_archE910ELNS1_3gpuE8ELNS1_3repE0EEENS1_30default_config_static_selectorELNS0_4arch9wavefront6targetE1EEEvT1_
; %bb.0:
	s_load_dwordx8 s[36:43], s[4:5], 0x0
	s_load_dword s56, s[4:5], 0x20
	s_load_dwordx4 s[44:47], s[4:5], 0x28
	s_load_dwordx2 s[52:53], s[4:5], 0x38
	s_load_dword s0, s[4:5], 0x40
	s_load_dwordx4 s[48:51], s[4:5], 0x48
	s_waitcnt lgkmcnt(0)
	s_lshl_b64 s[34:35], s[38:39], 2
	s_add_u32 s2, s36, s34
	s_addc_u32 s3, s37, s35
	s_add_u32 s4, s40, s34
	s_mul_i32 s1, s53, s0
	s_mul_hi_u32 s7, s52, s0
	s_addc_u32 s5, s41, s35
	s_add_i32 s8, s7, s1
	s_mul_i32 s9, s52, s0
	s_mul_i32 s0, s6, 0xe00
	s_mov_b32 s1, 0
	s_lshl_b64 s[36:37], s[0:1], 2
	s_add_u32 s38, s2, s36
	s_addc_u32 s39, s3, s37
	s_add_u32 s7, s4, s36
	s_addc_u32 s47, s5, s37
	;; [unrolled: 2-line block ×3, first 2 shown]
	s_add_u32 s4, s48, -1
	s_addc_u32 s5, s49, -1
	v_pk_mov_b32 v[2:3], s[4:5], s[4:5] op_sel:[0,1]
	v_cmp_ge_u64_e64 s[0:1], s[0:1], v[2:3]
	s_mov_b64 s[2:3], -1
	s_and_b64 vcc, exec, s[0:1]
	s_mul_i32 s33, s4, 0xfffff200
	s_barrier
	s_cbranch_vccz .LBB518_76
; %bb.1:
	v_pk_mov_b32 v[2:3], s[38:39], s[38:39] op_sel:[0,1]
	flat_load_dword v1, v[2:3]
	s_add_i32 s54, s33, s46
	v_cmp_gt_u32_e32 vcc, s54, v0
	s_waitcnt vmcnt(0) lgkmcnt(0)
	v_mov_b32_e32 v13, v1
	s_and_saveexec_b64 s[4:5], vcc
	s_cbranch_execz .LBB518_3
; %bb.2:
	v_lshlrev_b32_e32 v2, 2, v0
	v_mov_b32_e32 v3, s39
	v_add_co_u32_e64 v2, s[2:3], s38, v2
	v_addc_co_u32_e64 v3, s[2:3], 0, v3, s[2:3]
	flat_load_dword v13, v[2:3]
.LBB518_3:
	s_or_b64 exec, exec, s[4:5]
	v_or_b32_e32 v2, 0x100, v0
	v_cmp_gt_u32_e64 s[2:3], s54, v2
	v_mov_b32_e32 v14, v1
	s_and_saveexec_b64 s[8:9], s[2:3]
	s_cbranch_execz .LBB518_5
; %bb.4:
	v_lshlrev_b32_e32 v2, 2, v0
	v_mov_b32_e32 v3, s39
	v_add_co_u32_e64 v2, s[4:5], s38, v2
	v_addc_co_u32_e64 v3, s[4:5], 0, v3, s[4:5]
	flat_load_dword v14, v[2:3] offset:1024
.LBB518_5:
	s_or_b64 exec, exec, s[8:9]
	v_or_b32_e32 v2, 0x200, v0
	v_cmp_gt_u32_e64 s[4:5], s54, v2
	v_mov_b32_e32 v15, v1
	s_and_saveexec_b64 s[10:11], s[4:5]
	s_cbranch_execz .LBB518_7
; %bb.6:
	v_lshlrev_b32_e32 v2, 2, v0
	v_mov_b32_e32 v3, s39
	v_add_co_u32_e64 v2, s[8:9], s38, v2
	v_addc_co_u32_e64 v3, s[8:9], 0, v3, s[8:9]
	flat_load_dword v15, v[2:3] offset:2048
.LBB518_7:
	;; [unrolled: 13-line block ×3, first 2 shown]
	s_or_b64 exec, exec, s[10:11]
	v_or_b32_e32 v2, 0x400, v0
	v_cmp_gt_u32_e64 s[8:9], s54, v2
	v_mov_b32_e32 v17, v1
	s_and_saveexec_b64 s[12:13], s[8:9]
	s_cbranch_execz .LBB518_11
; %bb.10:
	v_lshlrev_b32_e32 v3, 2, v2
	v_mov_b32_e32 v5, s39
	v_add_co_u32_e64 v4, s[10:11], s38, v3
	v_addc_co_u32_e64 v5, s[10:11], 0, v5, s[10:11]
	flat_load_dword v17, v[4:5]
.LBB518_11:
	s_or_b64 exec, exec, s[12:13]
	v_or_b32_e32 v3, 0x500, v0
	v_cmp_gt_u32_e64 s[10:11], s54, v3
	v_mov_b32_e32 v18, v1
	s_and_saveexec_b64 s[14:15], s[10:11]
	s_cbranch_execz .LBB518_13
; %bb.12:
	v_lshlrev_b32_e32 v4, 2, v3
	v_mov_b32_e32 v5, s39
	v_add_co_u32_e64 v4, s[12:13], s38, v4
	v_addc_co_u32_e64 v5, s[12:13], 0, v5, s[12:13]
	flat_load_dword v18, v[4:5]
.LBB518_13:
	;; [unrolled: 13-line block ×9, first 2 shown]
	s_or_b64 exec, exec, s[30:31]
	v_or_b32_e32 v11, 0xd00, v0
	v_cmp_gt_u32_e64 s[26:27], s54, v11
	s_and_saveexec_b64 s[40:41], s[26:27]
	s_cbranch_execz .LBB518_29
; %bb.28:
	v_lshlrev_b32_e32 v1, 2, v11
	v_mov_b32_e32 v12, s39
	v_add_co_u32_e64 v26, s[30:31], s38, v1
	v_addc_co_u32_e64 v27, s[30:31], 0, v12, s[30:31]
	flat_load_dword v1, v[26:27]
.LBB518_29:
	s_or_b64 exec, exec, s[40:41]
	v_lshlrev_b32_e32 v12, 2, v0
	s_waitcnt vmcnt(0) lgkmcnt(0)
	ds_write2st64_b32 v12, v13, v14 offset1:4
	ds_write2st64_b32 v12, v15, v16 offset0:8 offset1:12
	ds_write2st64_b32 v12, v17, v18 offset0:16 offset1:20
	;; [unrolled: 1-line block ×6, first 2 shown]
	v_pk_mov_b32 v[14:15], s[38:39], s[38:39] op_sel:[0,1]
	s_waitcnt lgkmcnt(0)
	s_barrier
	flat_load_dword v1, v[14:15]
	v_mad_u32_u24 v44, v0, 52, v12
	s_movk_i32 s30, 0xffcc
	ds_read2_b64 v[34:37], v44 offset1:1
	ds_read2_b64 v[30:33], v44 offset0:2 offset1:3
	ds_read2_b64 v[26:29], v44 offset0:4 offset1:5
	ds_read_b64 v[40:41], v44 offset:48
	v_mad_i32_i24 v13, v0, s30, v44
	s_movk_i32 s30, 0xff
	v_cmp_ne_u32_e64 s[30:31], s30, v0
	s_waitcnt lgkmcnt(0)
	ds_write_b32 v13, v34 offset:15360
	s_waitcnt lgkmcnt(0)
	s_barrier
	s_and_saveexec_b64 s[40:41], s[30:31]
	s_cbranch_execz .LBB518_31
; %bb.30:
	s_waitcnt vmcnt(0)
	ds_read_b32 v1, v12 offset:15364
.LBB518_31:
	s_or_b64 exec, exec, s[40:41]
	s_waitcnt lgkmcnt(0)
	s_barrier
	s_waitcnt lgkmcnt(0)
                                        ; implicit-def: $vgpr13
	s_and_saveexec_b64 s[30:31], vcc
	s_cbranch_execz .LBB518_155
; %bb.32:
	v_mov_b32_e32 v13, s47
	v_add_co_u32_e32 v14, vcc, s7, v12
	v_addc_co_u32_e32 v15, vcc, 0, v13, vcc
	flat_load_dword v13, v[14:15]
	s_or_b64 exec, exec, s[30:31]
                                        ; implicit-def: $vgpr14
	s_and_saveexec_b64 s[30:31], s[2:3]
	s_cbranch_execnz .LBB518_156
.LBB518_33:
	s_or_b64 exec, exec, s[30:31]
                                        ; implicit-def: $vgpr15
	s_and_saveexec_b64 s[2:3], s[4:5]
	s_cbranch_execz .LBB518_157
.LBB518_34:
	v_mov_b32_e32 v15, s47
	v_add_co_u32_e32 v16, vcc, s7, v12
	v_addc_co_u32_e32 v17, vcc, 0, v15, vcc
	flat_load_dword v15, v[16:17] offset:2048
	s_or_b64 exec, exec, s[2:3]
                                        ; implicit-def: $vgpr16
	s_and_saveexec_b64 s[2:3], s[28:29]
	s_cbranch_execnz .LBB518_158
.LBB518_35:
	s_or_b64 exec, exec, s[2:3]
                                        ; implicit-def: $vgpr17
	s_and_saveexec_b64 s[2:3], s[8:9]
	s_cbranch_execz .LBB518_159
.LBB518_36:
	v_lshlrev_b32_e32 v2, 2, v2
	v_mov_b32_e32 v17, s47
	v_add_co_u32_e32 v18, vcc, s7, v2
	v_addc_co_u32_e32 v19, vcc, 0, v17, vcc
	flat_load_dword v17, v[18:19]
	s_or_b64 exec, exec, s[2:3]
                                        ; implicit-def: $vgpr2
	s_and_saveexec_b64 s[2:3], s[10:11]
	s_cbranch_execnz .LBB518_160
.LBB518_37:
	s_or_b64 exec, exec, s[2:3]
                                        ; implicit-def: $vgpr3
	s_and_saveexec_b64 s[2:3], s[12:13]
	s_cbranch_execz .LBB518_161
.LBB518_38:
	v_lshlrev_b32_e32 v3, 2, v4
	v_mov_b32_e32 v4, s47
	v_add_co_u32_e32 v18, vcc, s7, v3
	v_addc_co_u32_e32 v19, vcc, 0, v4, vcc
	flat_load_dword v3, v[18:19]
	s_or_b64 exec, exec, s[2:3]
                                        ; implicit-def: $vgpr4
	s_and_saveexec_b64 s[2:3], s[14:15]
	s_cbranch_execnz .LBB518_162
.LBB518_39:
	s_or_b64 exec, exec, s[2:3]
                                        ; implicit-def: $vgpr5
	s_and_saveexec_b64 s[2:3], s[16:17]
	s_cbranch_execz .LBB518_163
.LBB518_40:
	v_lshlrev_b32_e32 v5, 2, v6
	v_mov_b32_e32 v6, s47
	v_add_co_u32_e32 v18, vcc, s7, v5
	v_addc_co_u32_e32 v19, vcc, 0, v6, vcc
	flat_load_dword v5, v[18:19]
	s_or_b64 exec, exec, s[2:3]
                                        ; implicit-def: $vgpr6
	s_and_saveexec_b64 s[2:3], s[18:19]
	s_cbranch_execnz .LBB518_164
.LBB518_41:
	s_or_b64 exec, exec, s[2:3]
                                        ; implicit-def: $vgpr7
	s_and_saveexec_b64 s[2:3], s[20:21]
	s_cbranch_execz .LBB518_165
.LBB518_42:
	v_lshlrev_b32_e32 v7, 2, v8
	v_mov_b32_e32 v8, s47
	v_add_co_u32_e32 v18, vcc, s7, v7
	v_addc_co_u32_e32 v19, vcc, 0, v8, vcc
	flat_load_dword v7, v[18:19]
	s_or_b64 exec, exec, s[2:3]
                                        ; implicit-def: $vgpr8
	s_and_saveexec_b64 s[2:3], s[22:23]
	s_cbranch_execnz .LBB518_166
.LBB518_43:
	s_or_b64 exec, exec, s[2:3]
                                        ; implicit-def: $vgpr9
	s_and_saveexec_b64 s[2:3], s[24:25]
	s_cbranch_execz .LBB518_45
.LBB518_44:
	v_lshlrev_b32_e32 v9, 2, v10
	v_mov_b32_e32 v10, s47
	v_add_co_u32_e32 v18, vcc, s7, v9
	v_addc_co_u32_e32 v19, vcc, 0, v10, vcc
	flat_load_dword v9, v[18:19]
.LBB518_45:
	s_or_b64 exec, exec, s[2:3]
	v_mul_u32_u24_e32 v45, 14, v0
                                        ; implicit-def: $vgpr10
	s_and_saveexec_b64 s[2:3], s[26:27]
	s_cbranch_execz .LBB518_47
; %bb.46:
	v_lshlrev_b32_e32 v10, 2, v11
	v_mov_b32_e32 v11, s47
	v_add_co_u32_e32 v10, vcc, s7, v10
	v_addc_co_u32_e32 v11, vcc, 0, v11, vcc
	flat_load_dword v10, v[10:11]
.LBB518_47:
	s_or_b64 exec, exec, s[2:3]
	s_mov_b32 s8, 0
	s_mov_b32 s9, s8
	s_waitcnt vmcnt(0) lgkmcnt(0)
	ds_write2st64_b32 v12, v13, v14 offset1:4
	ds_write2st64_b32 v12, v15, v16 offset0:8 offset1:12
	ds_write2st64_b32 v12, v17, v2 offset0:16 offset1:20
	;; [unrolled: 1-line block ×6, first 2 shown]
	s_mov_b32 s10, s8
	s_mov_b32 s11, s8
	;; [unrolled: 1-line block ×6, first 2 shown]
	v_pk_mov_b32 v[2:3], s[8:9], s[8:9] op_sel:[0,1]
	v_pk_mov_b32 v[8:9], s[14:15], s[14:15] op_sel:[0,1]
	v_pk_mov_b32 v[4:5], s[10:11], s[10:11] op_sel:[0,1]
	v_pk_mov_b32 v[6:7], s[12:13], s[12:13] op_sel:[0,1]
	v_pk_mov_b32 v[16:17], v[8:9], v[8:9] op_sel:[0,1]
	v_pk_mov_b32 v[24:25], v[8:9], v[8:9] op_sel:[0,1]
	v_cmp_gt_u32_e32 vcc, s54, v45
	s_mov_b64 s[2:3], 0
	v_pk_mov_b32 v[38:39], 0, 0
	s_mov_b64 s[18:19], 0
	v_pk_mov_b32 v[14:15], v[6:7], v[6:7] op_sel:[0,1]
	v_pk_mov_b32 v[12:13], v[4:5], v[4:5] op_sel:[0,1]
	v_pk_mov_b32 v[10:11], v[2:3], v[2:3] op_sel:[0,1]
	v_pk_mov_b32 v[22:23], v[6:7], v[6:7] op_sel:[0,1]
	v_pk_mov_b32 v[20:21], v[4:5], v[4:5] op_sel:[0,1]
	v_pk_mov_b32 v[18:19], v[2:3], v[2:3] op_sel:[0,1]
	s_waitcnt lgkmcnt(0)
	s_barrier
	s_waitcnt lgkmcnt(0)
                                        ; implicit-def: $sgpr16_sgpr17
                                        ; implicit-def: $vgpr42
	s_and_saveexec_b64 s[4:5], vcc
	s_cbranch_execz .LBB518_75
; %bb.48:
	ds_read_b32 v2, v44
	v_mov_b32_e32 v4, s56
	v_cmp_eq_u32_e32 vcc, v34, v35
	v_or_b32_e32 v3, 1, v45
                                        ; implicit-def: $vgpr42
	s_waitcnt lgkmcnt(0)
	v_cndmask_b32_e32 v38, v4, v2, vcc
	v_cmp_ne_u32_e32 vcc, v34, v35
	v_cndmask_b32_e64 v39, 0, 1, vcc
	v_cmp_gt_u32_e32 vcc, s54, v3
	v_pk_mov_b32 v[2:3], s[8:9], s[8:9] op_sel:[0,1]
	v_pk_mov_b32 v[8:9], s[14:15], s[14:15] op_sel:[0,1]
	;; [unrolled: 1-line block ×12, first 2 shown]
                                        ; implicit-def: $sgpr8_sgpr9
	s_and_saveexec_b64 s[16:17], vcc
	s_cbranch_execz .LBB518_74
; %bb.49:
	ds_read2_b32 v[42:43], v44 offset0:1 offset1:2
	s_mov_b32 s8, 0
	v_mov_b32_e32 v3, s56
	v_cmp_eq_u32_e32 vcc, v35, v36
	s_mov_b32 s14, s8
	s_mov_b32 s15, s8
	v_add_u32_e32 v2, 2, v45
	s_waitcnt lgkmcnt(0)
	v_cndmask_b32_e32 v8, v3, v42, vcc
	v_cmp_ne_u32_e32 vcc, v35, v36
	s_mov_b32 s9, s8
	s_mov_b32 s10, s8
	s_mov_b32 s11, s8
	s_mov_b32 s12, s8
	s_mov_b32 s13, s8
	v_pk_mov_b32 v[16:17], s[14:15], s[14:15] op_sel:[0,1]
	v_cndmask_b32_e64 v9, 0, 1, vcc
	v_cmp_gt_u32_e32 vcc, s54, v2
	v_mov_b32_e32 v2, 0
	v_pk_mov_b32 v[14:15], s[12:13], s[12:13] op_sel:[0,1]
	v_pk_mov_b32 v[12:13], s[10:11], s[10:11] op_sel:[0,1]
	;; [unrolled: 1-line block ×4, first 2 shown]
	v_mov_b32_e32 v3, v2
	v_mov_b32_e32 v4, v2
	;; [unrolled: 1-line block ×5, first 2 shown]
	s_mov_b64 s[20:21], 0
	v_pk_mov_b32 v[22:23], v[14:15], v[14:15] op_sel:[0,1]
	v_pk_mov_b32 v[20:21], v[12:13], v[12:13] op_sel:[0,1]
	v_pk_mov_b32 v[18:19], v[10:11], v[10:11] op_sel:[0,1]
                                        ; implicit-def: $sgpr24_sgpr25
                                        ; implicit-def: $vgpr42
	s_and_saveexec_b64 s[18:19], vcc
	s_cbranch_execz .LBB518_73
; %bb.50:
	v_mov_b32_e32 v4, s56
	v_cmp_eq_u32_e32 vcc, v36, v37
	v_pk_mov_b32 v[16:17], s[14:15], s[14:15] op_sel:[0,1]
	v_add_u32_e32 v3, 3, v45
	v_cndmask_b32_e32 v6, v4, v43, vcc
	v_cmp_ne_u32_e32 vcc, v36, v37
	v_pk_mov_b32 v[14:15], s[12:13], s[12:13] op_sel:[0,1]
	v_pk_mov_b32 v[12:13], s[10:11], s[10:11] op_sel:[0,1]
	v_pk_mov_b32 v[10:11], s[8:9], s[8:9] op_sel:[0,1]
	v_pk_mov_b32 v[24:25], v[16:17], v[16:17] op_sel:[0,1]
	v_cndmask_b32_e64 v7, 0, 1, vcc
	v_cmp_gt_u32_e32 vcc, s54, v3
	v_mov_b32_e32 v3, v2
	v_mov_b32_e32 v4, v2
	;; [unrolled: 1-line block ×3, first 2 shown]
	s_mov_b64 s[22:23], 0
	v_pk_mov_b32 v[22:23], v[14:15], v[14:15] op_sel:[0,1]
	v_pk_mov_b32 v[20:21], v[12:13], v[12:13] op_sel:[0,1]
	;; [unrolled: 1-line block ×3, first 2 shown]
                                        ; implicit-def: $sgpr8_sgpr9
                                        ; implicit-def: $vgpr42
	s_and_saveexec_b64 s[20:21], vcc
	s_cbranch_execz .LBB518_72
; %bb.51:
	ds_read2_b32 v[34:35], v44 offset0:3 offset1:4
	s_mov_b32 s8, 0
	s_mov_b32 s14, s8
	;; [unrolled: 1-line block ×3, first 2 shown]
	v_mov_b32_e32 v3, s56
	v_cmp_eq_u32_e32 vcc, v37, v30
	s_mov_b32 s9, s8
	s_mov_b32 s10, s8
	;; [unrolled: 1-line block ×5, first 2 shown]
	v_pk_mov_b32 v[16:17], s[14:15], s[14:15] op_sel:[0,1]
	v_add_u32_e32 v2, 4, v45
	s_waitcnt lgkmcnt(0)
	v_cndmask_b32_e32 v4, v3, v34, vcc
	v_cmp_ne_u32_e32 vcc, v37, v30
	v_pk_mov_b32 v[14:15], s[12:13], s[12:13] op_sel:[0,1]
	v_pk_mov_b32 v[12:13], s[10:11], s[10:11] op_sel:[0,1]
	;; [unrolled: 1-line block ×4, first 2 shown]
	v_cndmask_b32_e64 v5, 0, 1, vcc
	v_cmp_gt_u32_e32 vcc, s54, v2
	v_mov_b32_e32 v2, s8
	v_mov_b32_e32 v3, s8
	s_mov_b64 s[24:25], 0
	v_pk_mov_b32 v[22:23], v[14:15], v[14:15] op_sel:[0,1]
	v_pk_mov_b32 v[20:21], v[12:13], v[12:13] op_sel:[0,1]
	;; [unrolled: 1-line block ×3, first 2 shown]
                                        ; implicit-def: $sgpr26_sgpr27
                                        ; implicit-def: $vgpr42
	s_and_saveexec_b64 s[22:23], vcc
	s_cbranch_execz .LBB518_71
; %bb.52:
	v_mov_b32_e32 v2, s56
	v_cmp_eq_u32_e32 vcc, v30, v31
	v_add_u32_e32 v10, 5, v45
	v_cndmask_b32_e32 v2, v2, v35, vcc
	v_cmp_ne_u32_e32 vcc, v30, v31
	v_cndmask_b32_e64 v3, 0, 1, vcc
	v_cmp_gt_u32_e32 vcc, s54, v10
	v_pk_mov_b32 v[16:17], s[14:15], s[14:15] op_sel:[0,1]
	v_pk_mov_b32 v[14:15], s[12:13], s[12:13] op_sel:[0,1]
	;; [unrolled: 1-line block ×5, first 2 shown]
	s_mov_b64 s[28:29], 0
	v_pk_mov_b32 v[22:23], v[14:15], v[14:15] op_sel:[0,1]
	v_pk_mov_b32 v[20:21], v[12:13], v[12:13] op_sel:[0,1]
	;; [unrolled: 1-line block ×3, first 2 shown]
                                        ; implicit-def: $sgpr8_sgpr9
                                        ; implicit-def: $vgpr42
	s_and_saveexec_b64 s[24:25], vcc
	s_cbranch_execz .LBB518_70
; %bb.53:
	ds_read2_b32 v[34:35], v44 offset0:5 offset1:6
	v_mov_b32_e32 v11, s56
	v_cmp_eq_u32_e32 vcc, v31, v32
	s_mov_b32 s8, 0
	v_add_u32_e32 v10, 6, v45
	s_waitcnt lgkmcnt(0)
	v_cndmask_b32_e32 v16, v11, v34, vcc
	v_cmp_ne_u32_e32 vcc, v31, v32
	s_mov_b32 s14, s8
	s_mov_b32 s15, s8
	v_cndmask_b32_e64 v17, 0, 1, vcc
	v_cmp_gt_u32_e32 vcc, s54, v10
	v_mov_b32_e32 v10, 0
	s_mov_b32 s9, s8
	s_mov_b32 s10, s8
	;; [unrolled: 1-line block ×5, first 2 shown]
	v_pk_mov_b32 v[24:25], s[14:15], s[14:15] op_sel:[0,1]
	v_mov_b32_e32 v11, v10
	v_mov_b32_e32 v12, v10
	;; [unrolled: 1-line block ×5, first 2 shown]
	v_pk_mov_b32 v[22:23], s[12:13], s[12:13] op_sel:[0,1]
	v_pk_mov_b32 v[20:21], s[10:11], s[10:11] op_sel:[0,1]
	;; [unrolled: 1-line block ×3, first 2 shown]
                                        ; implicit-def: $sgpr40_sgpr41
                                        ; implicit-def: $vgpr42
	s_and_saveexec_b64 s[26:27], vcc
	s_cbranch_execz .LBB518_69
; %bb.54:
	v_mov_b32_e32 v12, s56
	v_cmp_eq_u32_e32 vcc, v32, v33
	v_add_u32_e32 v11, 7, v45
	v_cndmask_b32_e32 v14, v12, v35, vcc
	v_cmp_ne_u32_e32 vcc, v32, v33
	v_pk_mov_b32 v[24:25], s[14:15], s[14:15] op_sel:[0,1]
	v_cndmask_b32_e64 v15, 0, 1, vcc
	v_cmp_gt_u32_e32 vcc, s54, v11
	v_mov_b32_e32 v11, v10
	v_mov_b32_e32 v12, v10
	;; [unrolled: 1-line block ×3, first 2 shown]
	s_mov_b64 s[30:31], 0
	v_pk_mov_b32 v[22:23], s[12:13], s[12:13] op_sel:[0,1]
	v_pk_mov_b32 v[20:21], s[10:11], s[10:11] op_sel:[0,1]
	;; [unrolled: 1-line block ×3, first 2 shown]
                                        ; implicit-def: $sgpr8_sgpr9
                                        ; implicit-def: $vgpr42
	s_and_saveexec_b64 s[28:29], vcc
	s_cbranch_execz .LBB518_68
; %bb.55:
	ds_read2_b32 v[30:31], v44 offset0:7 offset1:8
	s_mov_b32 s8, 0
	v_mov_b32_e32 v11, s56
	v_cmp_eq_u32_e32 vcc, v33, v26
	s_mov_b32 s14, s8
	s_mov_b32 s15, s8
	v_add_u32_e32 v10, 8, v45
	s_waitcnt lgkmcnt(0)
	v_cndmask_b32_e32 v12, v11, v30, vcc
	v_cmp_ne_u32_e32 vcc, v33, v26
	s_mov_b32 s9, s8
	s_mov_b32 s10, s8
	;; [unrolled: 1-line block ×5, first 2 shown]
	v_pk_mov_b32 v[24:25], s[14:15], s[14:15] op_sel:[0,1]
	v_cndmask_b32_e64 v13, 0, 1, vcc
	v_cmp_gt_u32_e32 vcc, s54, v10
	v_mov_b32_e32 v10, s8
	v_mov_b32_e32 v11, s8
	s_mov_b64 s[40:41], 0
	v_pk_mov_b32 v[22:23], s[12:13], s[12:13] op_sel:[0,1]
	v_pk_mov_b32 v[20:21], s[10:11], s[10:11] op_sel:[0,1]
	v_pk_mov_b32 v[18:19], s[8:9], s[8:9] op_sel:[0,1]
                                        ; implicit-def: $sgpr48_sgpr49
                                        ; implicit-def: $vgpr42
	s_and_saveexec_b64 s[30:31], vcc
	s_cbranch_execz .LBB518_67
; %bb.56:
	v_mov_b32_e32 v10, s56
	v_cmp_eq_u32_e32 vcc, v26, v27
	v_add_u32_e32 v18, 9, v45
	v_cndmask_b32_e32 v10, v10, v31, vcc
	v_cmp_ne_u32_e32 vcc, v26, v27
	v_cndmask_b32_e64 v11, 0, 1, vcc
	v_cmp_gt_u32_e32 vcc, s54, v18
	v_pk_mov_b32 v[24:25], s[14:15], s[14:15] op_sel:[0,1]
	v_pk_mov_b32 v[22:23], s[12:13], s[12:13] op_sel:[0,1]
	v_pk_mov_b32 v[20:21], s[10:11], s[10:11] op_sel:[0,1]
	v_pk_mov_b32 v[18:19], s[8:9], s[8:9] op_sel:[0,1]
                                        ; implicit-def: $sgpr10_sgpr11
                                        ; implicit-def: $vgpr42
	s_and_saveexec_b64 s[8:9], vcc
	s_cbranch_execz .LBB518_66
; %bb.57:
	ds_read2_b32 v[30:31], v44 offset0:9 offset1:10
	v_mov_b32_e32 v18, s56
	v_cmp_eq_u32_e32 vcc, v27, v28
	v_add_u32_e32 v20, 10, v45
	v_mov_b32_e32 v22, 0
	s_waitcnt lgkmcnt(0)
	v_cndmask_b32_e32 v18, v18, v30, vcc
	v_cmp_ne_u32_e32 vcc, v27, v28
	v_cndmask_b32_e64 v19, 0, 1, vcc
	v_cmp_gt_u32_e32 vcc, s54, v20
	v_mov_b32_e32 v20, v22
	v_mov_b32_e32 v21, v22
	;; [unrolled: 1-line block ×5, first 2 shown]
	s_mov_b64 s[12:13], 0
                                        ; implicit-def: $sgpr40_sgpr41
                                        ; implicit-def: $vgpr42
	s_and_saveexec_b64 s[10:11], vcc
	s_cbranch_execz .LBB518_65
; %bb.58:
	v_mov_b32_e32 v20, s56
	v_cmp_eq_u32_e32 vcc, v28, v29
	v_add_u32_e32 v23, 11, v45
	v_cndmask_b32_e32 v20, v20, v31, vcc
	v_cmp_ne_u32_e32 vcc, v28, v29
	v_cndmask_b32_e64 v21, 0, 1, vcc
	v_cmp_gt_u32_e32 vcc, s54, v23
	s_mov_b32 s40, 0
	v_mov_b32_e32 v23, v22
	v_mov_b32_e32 v24, v22
	;; [unrolled: 1-line block ×3, first 2 shown]
	s_mov_b64 s[14:15], 0
                                        ; implicit-def: $sgpr48_sgpr49
                                        ; implicit-def: $vgpr42
	s_and_saveexec_b64 s[12:13], vcc
	s_cbranch_execz .LBB518_64
; %bb.59:
	ds_read2_b32 v[26:27], v44 offset0:11 offset1:12
	v_mov_b32_e32 v22, s56
	v_cmp_eq_u32_e32 vcc, v29, v40
	v_add_u32_e32 v24, 12, v45
	v_mov_b32_e32 v25, s40
	s_waitcnt lgkmcnt(0)
	v_cndmask_b32_e32 v22, v22, v26, vcc
	v_cmp_ne_u32_e32 vcc, v29, v40
	v_cndmask_b32_e64 v23, 0, 1, vcc
	v_cmp_gt_u32_e32 vcc, s54, v24
	v_mov_b32_e32 v24, s40
	s_mov_b64 s[40:41], 0
                                        ; implicit-def: $sgpr48_sgpr49
                                        ; implicit-def: $vgpr42
	s_and_saveexec_b64 s[14:15], vcc
	s_cbranch_execz .LBB518_63
; %bb.60:
	v_mov_b32_e32 v24, s56
	v_cmp_eq_u32_e32 vcc, v40, v41
	v_add_u32_e32 v26, 13, v45
	v_cndmask_b32_e32 v24, v24, v27, vcc
	v_cmp_ne_u32_e32 vcc, v40, v41
	v_cndmask_b32_e64 v25, 0, 1, vcc
	v_cmp_gt_u32_e32 vcc, s54, v26
                                        ; implicit-def: $sgpr48_sgpr49
                                        ; implicit-def: $vgpr42
	s_and_saveexec_b64 s[54:55], vcc
	s_xor_b64 s[54:55], exec, s[54:55]
	s_cbranch_execz .LBB518_62
; %bb.61:
	ds_read_b32 v26, v44 offset:52
	v_mov_b32_e32 v27, s56
	v_cmp_ne_u32_e32 vcc, v41, v1
	s_mov_b64 s[40:41], exec
	s_and_b64 s[48:49], vcc, exec
	s_waitcnt lgkmcnt(0)
	v_cndmask_b32_e32 v42, v26, v27, vcc
.LBB518_62:
	s_or_b64 exec, exec, s[54:55]
	s_and_b64 s[48:49], s[48:49], exec
	s_and_b64 s[40:41], s[40:41], exec
.LBB518_63:
	s_or_b64 exec, exec, s[14:15]
	s_and_b64 s[48:49], s[48:49], exec
	s_and_b64 s[14:15], s[40:41], exec
.LBB518_64:
	s_or_b64 exec, exec, s[12:13]
	s_and_b64 s[40:41], s[48:49], exec
	s_and_b64 s[12:13], s[14:15], exec
.LBB518_65:
	s_or_b64 exec, exec, s[10:11]
	s_and_b64 s[10:11], s[40:41], exec
	s_and_b64 s[40:41], s[12:13], exec
.LBB518_66:
	s_or_b64 exec, exec, s[8:9]
	s_and_b64 s[48:49], s[10:11], exec
	s_and_b64 s[40:41], s[40:41], exec
.LBB518_67:
	s_or_b64 exec, exec, s[30:31]
	s_and_b64 s[8:9], s[48:49], exec
	s_and_b64 s[30:31], s[40:41], exec
.LBB518_68:
	s_or_b64 exec, exec, s[28:29]
	s_and_b64 s[40:41], s[8:9], exec
	s_and_b64 s[28:29], s[30:31], exec
.LBB518_69:
	s_or_b64 exec, exec, s[26:27]
	s_and_b64 s[8:9], s[40:41], exec
	s_and_b64 s[28:29], s[28:29], exec
.LBB518_70:
	s_or_b64 exec, exec, s[24:25]
	s_and_b64 s[26:27], s[8:9], exec
	s_and_b64 s[24:25], s[28:29], exec
.LBB518_71:
	s_or_b64 exec, exec, s[22:23]
	s_and_b64 s[8:9], s[26:27], exec
	s_and_b64 s[22:23], s[24:25], exec
.LBB518_72:
	s_or_b64 exec, exec, s[20:21]
	s_and_b64 s[24:25], s[8:9], exec
	s_and_b64 s[20:21], s[22:23], exec
.LBB518_73:
	s_or_b64 exec, exec, s[18:19]
	s_and_b64 s[8:9], s[24:25], exec
	s_and_b64 s[18:19], s[20:21], exec
.LBB518_74:
	s_or_b64 exec, exec, s[16:17]
	s_and_b64 s[16:17], s[8:9], exec
	s_and_b64 s[18:19], s[18:19], exec
.LBB518_75:
	s_or_b64 exec, exec, s[4:5]
	s_and_b64 vcc, exec, s[2:3]
	v_lshlrev_b32_e32 v50, 2, v0
	s_cbranch_vccnz .LBB518_77
	s_branch .LBB518_82
.LBB518_76:
	s_mov_b64 s[18:19], 0
                                        ; implicit-def: $sgpr16_sgpr17
                                        ; implicit-def: $vgpr2_vgpr3_vgpr4_vgpr5_vgpr6_vgpr7_vgpr8_vgpr9
                                        ; implicit-def: $vgpr10_vgpr11_vgpr12_vgpr13_vgpr14_vgpr15_vgpr16_vgpr17
                                        ; implicit-def: $vgpr18_vgpr19_vgpr20_vgpr21_vgpr22_vgpr23_vgpr24_vgpr25
                                        ; implicit-def: $vgpr42
                                        ; implicit-def: $vgpr38_vgpr39
	s_and_b64 vcc, exec, s[2:3]
	v_lshlrev_b32_e32 v50, 2, v0
	s_cbranch_vccz .LBB518_82
.LBB518_77:
	v_mov_b32_e32 v1, s39
	v_add_co_u32_e32 v2, vcc, s38, v50
	v_addc_co_u32_e32 v3, vcc, 0, v1, vcc
	v_add_co_u32_e32 v4, vcc, 0x1000, v2
	v_addc_co_u32_e32 v5, vcc, 0, v3, vcc
	flat_load_dword v1, v[2:3]
	flat_load_dword v6, v[2:3] offset:1024
	flat_load_dword v7, v[2:3] offset:2048
	;; [unrolled: 1-line block ×3, first 2 shown]
	flat_load_dword v9, v[4:5]
	flat_load_dword v10, v[4:5] offset:1024
	flat_load_dword v11, v[4:5] offset:2048
	;; [unrolled: 1-line block ×3, first 2 shown]
	v_add_co_u32_e32 v4, vcc, 0x2000, v2
	v_addc_co_u32_e32 v5, vcc, 0, v3, vcc
	v_add_co_u32_e32 v2, vcc, 0x3000, v2
	v_addc_co_u32_e32 v3, vcc, 0, v3, vcc
	flat_load_dword v13, v[4:5]
	flat_load_dword v14, v[4:5] offset:1024
	flat_load_dword v15, v[4:5] offset:2048
	;; [unrolled: 1-line block ×3, first 2 shown]
	flat_load_dword v17, v[2:3]
	flat_load_dword v18, v[2:3] offset:1024
	v_mov_b32_e32 v2, s38
	v_mov_b32_e32 v3, s39
	v_add_co_u32_e32 v2, vcc, 0x3000, v2
	v_addc_co_u32_e32 v3, vcc, 0, v3, vcc
	s_movk_i32 s4, 0xffcc
	s_movk_i32 s9, 0x1000
	s_mov_b32 s2, 0
	s_movk_i32 s8, 0x2000
	s_movk_i32 s3, 0x3000
	s_waitcnt vmcnt(0) lgkmcnt(0)
	ds_write2st64_b32 v50, v1, v6 offset1:4
	ds_write2st64_b32 v50, v7, v8 offset0:8 offset1:12
	ds_write2st64_b32 v50, v9, v10 offset0:16 offset1:20
	ds_write2st64_b32 v50, v11, v12 offset0:24 offset1:28
	ds_write2st64_b32 v50, v13, v14 offset0:32 offset1:36
	ds_write2st64_b32 v50, v15, v16 offset0:40 offset1:44
	ds_write2st64_b32 v50, v17, v18 offset0:48 offset1:52
	s_waitcnt lgkmcnt(0)
	s_barrier
	flat_load_dword v1, v[2:3] offset:2048
	v_mad_u32_u24 v6, v0, 52, v50
	v_mad_i32_i24 v2, v0, s4, v6
	s_movk_i32 s4, 0xff
	v_cmp_ne_u32_e32 vcc, s4, v0
	ds_read2_b32 v[26:27], v6 offset1:13
	ds_read2_b32 v[18:19], v6 offset0:7 offset1:8
	ds_read2_b32 v[20:21], v6 offset0:5 offset1:6
	;; [unrolled: 1-line block ×6, first 2 shown]
	s_waitcnt lgkmcnt(0)
	ds_write_b32 v2, v26 offset:15360
	s_waitcnt lgkmcnt(0)
	s_barrier
	s_and_saveexec_b64 s[4:5], vcc
	s_cbranch_execz .LBB518_79
; %bb.78:
	s_waitcnt vmcnt(0)
	ds_read_b32 v1, v50 offset:15364
.LBB518_79:
	s_or_b64 exec, exec, s[4:5]
	v_mov_b32_e32 v3, s47
	v_add_co_u32_e32 v2, vcc, s7, v50
	v_addc_co_u32_e32 v3, vcc, 0, v3, vcc
	v_add_co_u32_e32 v4, vcc, s9, v2
	v_addc_co_u32_e32 v5, vcc, 0, v3, vcc
	s_waitcnt lgkmcnt(0)
	s_barrier
	flat_load_dword v7, v[2:3]
	flat_load_dword v8, v[2:3] offset:1024
	flat_load_dword v9, v[2:3] offset:2048
	;; [unrolled: 1-line block ×3, first 2 shown]
	flat_load_dword v15, v[4:5]
	flat_load_dword v16, v[4:5] offset:1024
	flat_load_dword v17, v[4:5] offset:2048
	;; [unrolled: 1-line block ×3, first 2 shown]
	v_add_co_u32_e32 v4, vcc, s8, v2
	v_addc_co_u32_e32 v5, vcc, 0, v3, vcc
	v_add_co_u32_e32 v2, vcc, s3, v2
	v_addc_co_u32_e32 v3, vcc, 0, v3, vcc
	flat_load_dword v23, v[4:5]
	flat_load_dword v24, v[4:5] offset:1024
	flat_load_dword v25, v[4:5] offset:2048
	;; [unrolled: 1-line block ×3, first 2 shown]
	flat_load_dword v33, v[2:3]
	flat_load_dword v34, v[2:3] offset:1024
	s_mov_b32 s3, 1
	v_cmp_eq_u32_e32 vcc, v26, v12
	v_pk_mov_b32 v[38:39], s[2:3], s[2:3] op_sel:[0,1]
	s_waitcnt vmcnt(0) lgkmcnt(0)
	ds_write2st64_b32 v50, v7, v8 offset1:4
	ds_write2st64_b32 v50, v9, v14 offset0:8 offset1:12
	ds_write2st64_b32 v50, v15, v16 offset0:16 offset1:20
	ds_write2st64_b32 v50, v17, v22 offset0:24 offset1:28
	ds_write2st64_b32 v50, v23, v24 offset0:32 offset1:36
	ds_write2st64_b32 v50, v25, v32 offset0:40 offset1:44
	ds_write2st64_b32 v50, v33, v34 offset0:48 offset1:52
	s_waitcnt lgkmcnt(0)
	s_barrier
	ds_read2_b32 v[24:25], v6 offset0:7 offset1:8
	ds_read2_b32 v[14:15], v6 offset0:5 offset1:6
	;; [unrolled: 1-line block ×4, first 2 shown]
	ds_read_b32 v34, v6 offset:52
	ds_read2_b32 v[22:23], v6 offset0:11 offset1:12
	ds_read2_b32 v[32:33], v6 offset0:9 offset1:10
	v_mov_b32_e32 v7, s56
	s_and_saveexec_b64 s[2:3], vcc
	s_cbranch_execz .LBB518_81
; %bb.80:
	ds_read_b32 v7, v6
	v_pk_mov_b32 v[38:39], 0, 0
.LBB518_81:
	s_or_b64 exec, exec, s[2:3]
	v_mov_b32_e32 v26, s56
	v_cmp_eq_u32_e32 vcc, v12, v13
	s_waitcnt lgkmcnt(3)
	v_cndmask_b32_e32 v8, v26, v4, vcc
	v_cmp_eq_u32_e32 vcc, v13, v10
	v_cndmask_b32_e32 v6, v26, v5, vcc
	v_cmp_eq_u32_e32 vcc, v10, v11
	;; [unrolled: 2-line block ×3, first 2 shown]
	v_cndmask_b32_e32 v2, v26, v3, vcc
	v_cmp_ne_u32_e32 vcc, v12, v13
	v_cndmask_b32_e64 v9, 0, 1, vcc
	v_cmp_ne_u32_e32 vcc, v13, v10
	s_waitcnt lgkmcnt(0)
	v_or_b32_e32 v38, v38, v7
	v_cndmask_b32_e64 v7, 0, 1, vcc
	v_cmp_ne_u32_e32 vcc, v10, v11
	v_cndmask_b32_e64 v5, 0, 1, vcc
	v_cmp_ne_u32_e32 vcc, v11, v20
	v_cndmask_b32_e64 v3, 0, 1, vcc
	v_cmp_eq_u32_e32 vcc, v20, v21
	v_cndmask_b32_e32 v16, v26, v14, vcc
	v_cmp_eq_u32_e32 vcc, v21, v18
	v_cndmask_b32_e32 v14, v26, v15, vcc
	;; [unrolled: 2-line block ×4, first 2 shown]
	v_cmp_ne_u32_e32 vcc, v20, v21
	v_cndmask_b32_e64 v17, 0, 1, vcc
	v_cmp_ne_u32_e32 vcc, v21, v18
	v_cndmask_b32_e64 v15, 0, 1, vcc
	v_cmp_ne_u32_e32 vcc, v18, v19
	v_cndmask_b32_e64 v13, 0, 1, vcc
	v_cmp_ne_u32_e32 vcc, v19, v28
	v_cndmask_b32_e64 v11, 0, 1, vcc
	v_cmp_eq_u32_e32 vcc, v31, v27
	v_cndmask_b32_e32 v24, v26, v23, vcc
	v_cmp_eq_u32_e32 vcc, v30, v31
	v_cndmask_b32_e32 v22, v26, v22, vcc
	;; [unrolled: 2-line block ×4, first 2 shown]
	v_cmp_ne_u32_e32 vcc, v31, v27
	v_cndmask_b32_e64 v25, 0, 1, vcc
	v_cmp_ne_u32_e32 vcc, v30, v31
	v_cndmask_b32_e64 v23, 0, 1, vcc
	;; [unrolled: 2-line block ×3, first 2 shown]
	v_cmp_ne_u32_e32 vcc, v28, v29
	v_cmp_ne_u32_e64 s[16:17], v27, v1
	v_cndmask_b32_e64 v19, 0, 1, vcc
	v_cndmask_b32_e64 v42, v34, v26, s[16:17]
	s_mov_b64 s[18:19], -1
                                        ; implicit-def: $sgpr2_sgpr3
.LBB518_82:
	v_pk_mov_b32 v[40:41], s[2:3], s[2:3] op_sel:[0,1]
	s_and_saveexec_b64 s[2:3], s[18:19]
; %bb.83:
	v_cndmask_b32_e64 v43, 0, 1, s[16:17]
	v_pk_mov_b32 v[40:41], v[42:43], v[42:43] op_sel:[0,1]
; %bb.84:
	s_or_b64 exec, exec, s[2:3]
	s_mov_b32 s26, 0
	s_cmp_lg_u32 s6, 0
	v_mbcnt_lo_u32_b32 v1, -1, 0
	s_barrier
	s_cbranch_scc0 .LBB518_167
; %bb.85:
	s_mov_b32 s27, 1
	v_cmp_gt_u64_e64 s[2:3], s[26:27], v[8:9]
	v_cndmask_b32_e64 v26, 1, v38, s[2:3]
	v_mul_lo_u32 v26, v26, v8
	v_cmp_gt_u64_e64 s[4:5], s[26:27], v[6:7]
	v_cndmask_b32_e64 v26, 1, v26, s[4:5]
	v_mul_lo_u32 v26, v26, v6
	;; [unrolled: 3-line block ×12, first 2 shown]
	v_cmp_gt_u64_e32 vcc, s[26:27], v[40:41]
	v_cndmask_b32_e32 v26, 1, v26, vcc
	v_mul_lo_u32 v28, v26, v40
	v_or3_b32 v26, v41, v25, v23
	v_or3_b32 v26, v26, v21, v19
	;; [unrolled: 1-line block ×6, first 2 shown]
	v_and_b32_e32 v27, 1, v26
	v_mov_b32_e32 v26, 0
	v_cmp_eq_u64_e32 vcc, 0, v[26:27]
	v_cndmask_b32_e32 v29, 1, v39, vcc
	v_mbcnt_hi_u32_b32 v35, -1, v1
	v_and_b32_e32 v30, 15, v35
	v_and_b32_e32 v27, 0xff, v29
	v_mov_b32_dpp v32, v28 row_shr:1 row_mask:0xf bank_mask:0xf
	v_cmp_ne_u32_e32 vcc, 0, v30
	v_mov_b32_dpp v31, v27 row_shr:1 row_mask:0xf bank_mask:0xf
	s_and_saveexec_b64 s[26:27], vcc
; %bb.86:
	v_cmp_eq_u16_sdwa vcc, v29, v26 src0_sel:BYTE_0 src1_sel:DWORD
	v_cndmask_b32_e32 v26, 1, v32, vcc
	v_mul_lo_u32 v28, v26, v28
	v_and_b32_e32 v26, 1, v29
	v_and_b32_e32 v27, 1, v31
	v_cmp_eq_u32_e32 vcc, 1, v26
	v_cndmask_b32_e64 v29, v27, 1, vcc
	v_and_b32_e32 v27, 0xffff, v29
; %bb.87:
	s_or_b64 exec, exec, s[26:27]
	v_mov_b32_dpp v31, v28 row_shr:2 row_mask:0xf bank_mask:0xf
	v_mov_b32_dpp v26, v27 row_shr:2 row_mask:0xf bank_mask:0xf
	v_cmp_lt_u32_e32 vcc, 1, v30
	s_and_saveexec_b64 s[26:27], vcc
; %bb.88:
	v_mov_b32_e32 v27, 0
	v_cmp_eq_u16_sdwa vcc, v29, v27 src0_sel:BYTE_0 src1_sel:DWORD
	v_cndmask_b32_e32 v27, 1, v31, vcc
	v_mul_lo_u32 v28, v27, v28
	v_and_b32_e32 v27, 1, v29
	v_and_b32_e32 v26, 1, v26
	v_cmp_eq_u32_e32 vcc, 1, v27
	v_cndmask_b32_e64 v29, v26, 1, vcc
	v_and_b32_e32 v27, 0xffff, v29
; %bb.89:
	s_or_b64 exec, exec, s[26:27]
	v_mov_b32_dpp v31, v28 row_shr:4 row_mask:0xf bank_mask:0xf
	v_mov_b32_dpp v26, v27 row_shr:4 row_mask:0xf bank_mask:0xf
	v_cmp_lt_u32_e32 vcc, 3, v30
	s_and_saveexec_b64 s[26:27], vcc
; %bb.90:
	v_mov_b32_e32 v27, 0
	;; [unrolled: 16-line block ×3, first 2 shown]
	v_cmp_eq_u16_sdwa vcc, v29, v27 src0_sel:BYTE_0 src1_sel:DWORD
	v_cndmask_b32_e32 v27, 1, v31, vcc
	v_mul_lo_u32 v28, v27, v28
	v_and_b32_e32 v27, 1, v29
	v_and_b32_e32 v26, 1, v26
	v_cmp_eq_u32_e32 vcc, 1, v27
	v_cndmask_b32_e64 v29, v26, 1, vcc
	v_and_b32_e32 v27, 0xffff, v29
; %bb.93:
	s_or_b64 exec, exec, s[26:27]
	v_and_b32_e32 v31, 16, v35
	v_mov_b32_dpp v30, v28 row_bcast:15 row_mask:0xf bank_mask:0xf
	v_mov_b32_dpp v26, v27 row_bcast:15 row_mask:0xf bank_mask:0xf
	v_cmp_ne_u32_e32 vcc, 0, v31
	s_and_saveexec_b64 s[26:27], vcc
; %bb.94:
	v_mov_b32_e32 v27, 0
	v_cmp_eq_u16_sdwa vcc, v29, v27 src0_sel:BYTE_0 src1_sel:DWORD
	v_cndmask_b32_e32 v27, 1, v30, vcc
	v_mul_lo_u32 v28, v27, v28
	v_and_b32_e32 v27, 1, v29
	v_and_b32_e32 v26, 1, v26
	v_cmp_eq_u32_e32 vcc, 1, v27
	v_cndmask_b32_e64 v29, v26, 1, vcc
	v_and_b32_e32 v27, 0xffff, v29
; %bb.95:
	s_or_b64 exec, exec, s[26:27]
	v_mov_b32_dpp v30, v28 row_bcast:31 row_mask:0xf bank_mask:0xf
	v_mov_b32_dpp v26, v27 row_bcast:31 row_mask:0xf bank_mask:0xf
	v_cmp_lt_u32_e32 vcc, 31, v35
	s_and_saveexec_b64 s[26:27], vcc
; %bb.96:
	v_mov_b32_e32 v27, 0
	v_cmp_eq_u16_sdwa vcc, v29, v27 src0_sel:BYTE_0 src1_sel:DWORD
	v_cndmask_b32_e32 v27, 1, v30, vcc
	v_mul_lo_u32 v28, v27, v28
	v_and_b32_e32 v27, 1, v29
	v_and_b32_e32 v26, 1, v26
	v_cmp_eq_u32_e32 vcc, 1, v27
	v_cndmask_b32_e64 v29, v26, 1, vcc
; %bb.97:
	s_or_b64 exec, exec, s[26:27]
	v_or_b32_e32 v26, 63, v0
	v_lshrrev_b32_e32 v30, 6, v0
	v_cmp_eq_u32_e32 vcc, v26, v0
	s_and_saveexec_b64 s[26:27], vcc
	s_cbranch_execz .LBB518_99
; %bb.98:
	v_lshlrev_b32_e32 v26, 3, v30
	ds_write_b32 v26, v28
	ds_write_b8 v26, v29 offset:4
.LBB518_99:
	s_or_b64 exec, exec, s[26:27]
	v_cmp_gt_u32_e32 vcc, 4, v0
	s_waitcnt lgkmcnt(0)
	s_barrier
	s_and_saveexec_b64 s[26:27], vcc
	s_cbranch_execz .LBB518_105
; %bb.100:
	v_lshlrev_b32_e32 v31, 3, v0
	ds_read_b64 v[26:27], v31
	v_and_b32_e32 v32, 3, v35
	v_cmp_ne_u32_e32 vcc, 0, v32
	s_waitcnt lgkmcnt(0)
	v_mov_b32_dpp v36, v26 row_shr:1 row_mask:0xf bank_mask:0xf
	v_mov_b32_dpp v34, v27 row_shr:1 row_mask:0xf bank_mask:0xf
	v_mov_b32_e32 v33, v27
	s_and_saveexec_b64 s[30:31], vcc
	s_cbranch_execz .LBB518_102
; %bb.101:
	v_mov_b32_e32 v33, 0
	v_cmp_eq_u16_sdwa vcc, v27, v33 src0_sel:BYTE_0 src1_sel:DWORD
	v_cndmask_b32_e32 v33, 1, v36, vcc
	v_mul_lo_u32 v26, v33, v26
	v_and_b32_e32 v33, 1, v27
	v_and_b32_e32 v34, 1, v34
	v_cmp_eq_u32_e32 vcc, 1, v33
	v_cndmask_b32_e64 v34, v34, 1, vcc
	v_and_b32_e32 v33, 0xffff, v34
	s_movk_i32 s7, 0xff00
	v_and_or_b32 v33, v27, s7, v33
	v_mov_b32_e32 v27, v34
.LBB518_102:
	s_or_b64 exec, exec, s[30:31]
	v_mov_b32_dpp v34, v26 row_shr:2 row_mask:0xf bank_mask:0xf
	v_mov_b32_dpp v33, v33 row_shr:2 row_mask:0xf bank_mask:0xf
	v_cmp_lt_u32_e32 vcc, 1, v32
	s_and_saveexec_b64 s[30:31], vcc
; %bb.103:
	v_mov_b32_e32 v32, 0
	v_cmp_eq_u16_sdwa vcc, v27, v32 src0_sel:BYTE_0 src1_sel:DWORD
	v_cndmask_b32_e32 v32, 1, v34, vcc
	v_and_b32_e32 v27, 1, v27
	v_mul_lo_u32 v26, v32, v26
	v_and_b32_e32 v32, 1, v33
	v_cmp_eq_u32_e32 vcc, 1, v27
	v_cndmask_b32_e64 v27, v32, 1, vcc
; %bb.104:
	s_or_b64 exec, exec, s[30:31]
	ds_write_b32 v31, v26
	ds_write_b8 v31, v27 offset:4
.LBB518_105:
	s_or_b64 exec, exec, s[26:27]
	v_cmp_gt_u32_e32 vcc, 64, v0
	v_cmp_lt_u32_e64 s[26:27], 63, v0
	v_mov_b32_e32 v42, 0
	v_mov_b32_e32 v43, 0
	s_waitcnt lgkmcnt(0)
	s_barrier
	s_and_saveexec_b64 s[30:31], s[26:27]
	s_cbranch_execz .LBB518_107
; %bb.106:
	v_lshl_add_u32 v26, v30, 3, -8
	ds_read_b32 v42, v26
	ds_read_u8 v43, v26 offset:4
	v_mov_b32_e32 v27, 0
	v_and_b32_e32 v30, 1, v29
	v_cmp_eq_u16_sdwa s[26:27], v29, v27 src0_sel:BYTE_0 src1_sel:DWORD
	s_waitcnt lgkmcnt(1)
	v_cndmask_b32_e64 v26, 1, v42, s[26:27]
	v_cmp_eq_u32_e64 s[26:27], 1, v30
	v_mul_lo_u32 v28, v26, v28
	s_waitcnt lgkmcnt(0)
	v_cndmask_b32_e64 v29, v43, 1, s[26:27]
.LBB518_107:
	s_or_b64 exec, exec, s[30:31]
	v_and_b32_e32 v26, 0xff, v29
	v_add_u32_e32 v27, -1, v35
	v_and_b32_e32 v29, 64, v35
	v_cmp_lt_i32_e64 s[26:27], v27, v29
	v_cndmask_b32_e64 v27, v27, v35, s[26:27]
	v_lshlrev_b32_e32 v27, 2, v27
	ds_bpermute_b32 v44, v27, v28
	ds_bpermute_b32 v45, v27, v26
	v_cmp_eq_u32_e64 s[26:27], 0, v35
	s_and_saveexec_b64 s[30:31], vcc
	s_cbranch_execz .LBB518_154
; %bb.108:
	v_mov_b32_e32 v29, 0
	ds_read_b64 v[26:27], v29 offset:24
	s_waitcnt lgkmcnt(0)
	v_readfirstlane_b32 s7, v27
	s_and_saveexec_b64 s[38:39], s[26:27]
	s_cbranch_execz .LBB518_110
; %bb.109:
	s_add_i32 s40, s6, 64
	s_mov_b32 s41, 0
	s_lshl_b64 s[48:49], s[40:41], 4
	s_add_u32 s48, s44, s48
	s_addc_u32 s49, s45, s49
	s_and_b32 s55, s7, 0xff000000
	s_mov_b32 s54, s41
	s_and_b32 s59, s7, 0xff0000
	s_mov_b32 s58, s41
	s_or_b64 s[54:55], s[58:59], s[54:55]
	s_and_b32 s59, s7, 0xff00
	s_or_b64 s[54:55], s[54:55], s[58:59]
	s_and_b32 s59, s7, 0xff
	s_or_b64 s[40:41], s[54:55], s[58:59]
	v_mov_b32_e32 v27, s41
	v_mov_b32_e32 v28, 1
	v_pk_mov_b32 v[30:31], s[48:49], s[48:49] op_sel:[0,1]
	;;#ASMSTART
	global_store_dwordx4 v[30:31], v[26:29] off	
s_waitcnt vmcnt(0)
	;;#ASMEND
.LBB518_110:
	s_or_b64 exec, exec, s[38:39]
	v_xad_u32 v34, v35, -1, s6
	v_add_u32_e32 v28, 64, v34
	v_lshlrev_b64 v[30:31], 4, v[28:29]
	v_mov_b32_e32 v27, s45
	v_add_co_u32_e32 v36, vcc, s44, v30
	v_addc_co_u32_e32 v37, vcc, v27, v31, vcc
	;;#ASMSTART
	global_load_dwordx4 v[30:33], v[36:37] off glc	
s_waitcnt vmcnt(0)
	;;#ASMEND
	v_and_b32_e32 v27, 0xff0000, v30
	v_or_b32_sdwa v27, v30, v27 dst_sel:DWORD dst_unused:UNUSED_PAD src0_sel:WORD_0 src1_sel:DWORD
	v_and_b32_e32 v28, 0xff000000, v30
	v_and_b32_e32 v30, 0xff, v31
	v_or3_b32 v31, 0, 0, v30
	v_or3_b32 v30, v27, v28, 0
	v_cmp_eq_u16_sdwa s[40:41], v32, v29 src0_sel:BYTE_0 src1_sel:DWORD
	s_and_saveexec_b64 s[38:39], s[40:41]
	s_cbranch_execz .LBB518_116
; %bb.111:
	s_mov_b32 s47, 1
	s_mov_b64 s[40:41], 0
	v_mov_b32_e32 v27, 0
.LBB518_112:                            ; =>This Loop Header: Depth=1
                                        ;     Child Loop BB518_113 Depth 2
	s_max_u32 s48, s47, 1
.LBB518_113:                            ;   Parent Loop BB518_112 Depth=1
                                        ; =>  This Inner Loop Header: Depth=2
	s_add_i32 s48, s48, -1
	s_cmp_eq_u32 s48, 0
	s_sleep 1
	s_cbranch_scc0 .LBB518_113
; %bb.114:                              ;   in Loop: Header=BB518_112 Depth=1
	s_cmp_lt_u32 s47, 32
	s_cselect_b64 s[48:49], -1, 0
	s_cmp_lg_u64 s[48:49], 0
	s_addc_u32 s47, s47, 0
	;;#ASMSTART
	global_load_dwordx4 v[30:33], v[36:37] off glc	
s_waitcnt vmcnt(0)
	;;#ASMEND
	v_cmp_ne_u16_sdwa s[48:49], v32, v27 src0_sel:BYTE_0 src1_sel:DWORD
	s_or_b64 s[40:41], s[48:49], s[40:41]
	s_andn2_b64 exec, exec, s[40:41]
	s_cbranch_execnz .LBB518_112
; %bb.115:
	s_or_b64 exec, exec, s[40:41]
	v_and_b32_e32 v31, 0xff, v31
.LBB518_116:
	s_or_b64 exec, exec, s[38:39]
	v_mov_b32_e32 v27, 2
	v_cmp_eq_u16_sdwa s[38:39], v32, v27 src0_sel:BYTE_0 src1_sel:DWORD
	v_lshlrev_b64 v[28:29], v35, -1
	v_and_b32_e32 v27, s39, v29
	v_or_b32_e32 v27, 0x80000000, v27
	v_ffbl_b32_e32 v27, v27
	v_add_u32_e32 v36, 32, v27
	v_and_b32_e32 v27, 63, v35
	v_cmp_ne_u32_e32 vcc, 63, v27
	v_addc_co_u32_e32 v37, vcc, 0, v35, vcc
	v_lshlrev_b32_e32 v46, 2, v37
	ds_bpermute_b32 v47, v46, v30
	ds_bpermute_b32 v37, v46, v31
	v_and_b32_e32 v33, s38, v28
	v_ffbl_b32_e32 v33, v33
	v_min_u32_e32 v33, v33, v36
	s_mov_b32 s40, 0
	v_cmp_lt_u32_e32 vcc, v27, v33
	v_mov_b32_e32 v36, v31
	s_and_saveexec_b64 s[38:39], vcc
	s_cbranch_execz .LBB518_118
; %bb.117:
	s_mov_b32 s41, 1
	v_cmp_gt_u64_e32 vcc, s[40:41], v[30:31]
	s_waitcnt lgkmcnt(1)
	v_cndmask_b32_e32 v36, 1, v47, vcc
	v_and_b32_e32 v31, 1, v31
	v_mul_lo_u32 v30, v36, v30
	s_waitcnt lgkmcnt(0)
	v_and_b32_e32 v36, 1, v37
	v_cmp_eq_u32_e32 vcc, 1, v31
	v_cndmask_b32_e64 v31, v36, 1, vcc
	v_and_b32_e32 v36, 0xffff, v31
.LBB518_118:
	s_or_b64 exec, exec, s[38:39]
	v_cmp_gt_u32_e32 vcc, 62, v27
	s_waitcnt lgkmcnt(0)
	v_cndmask_b32_e64 v37, 0, 1, vcc
	v_lshlrev_b32_e32 v37, 1, v37
	v_add_lshl_u32 v47, v37, v35, 2
	ds_bpermute_b32 v49, v47, v30
	ds_bpermute_b32 v37, v47, v36
	v_add_u32_e32 v48, 2, v27
	v_cmp_le_u32_e32 vcc, v48, v33
	s_and_saveexec_b64 s[38:39], vcc
	s_cbranch_execz .LBB518_120
; %bb.119:
	v_cmp_eq_u16_e32 vcc, 0, v31
	s_waitcnt lgkmcnt(1)
	v_cndmask_b32_e32 v36, 1, v49, vcc
	v_and_b32_e32 v31, 1, v31
	v_mul_lo_u32 v30, v36, v30
	s_waitcnt lgkmcnt(0)
	v_and_b32_e32 v36, 1, v37
	v_cmp_eq_u32_e32 vcc, 1, v31
	v_cndmask_b32_e64 v31, v36, 1, vcc
	v_and_b32_e32 v36, 0xffff, v31
.LBB518_120:
	s_or_b64 exec, exec, s[38:39]
	v_cmp_gt_u32_e32 vcc, 60, v27
	s_waitcnt lgkmcnt(0)
	v_cndmask_b32_e64 v37, 0, 1, vcc
	v_lshlrev_b32_e32 v37, 2, v37
	v_add_lshl_u32 v49, v37, v35, 2
	ds_bpermute_b32 v52, v49, v30
	ds_bpermute_b32 v37, v49, v36
	v_add_u32_e32 v51, 4, v27
	v_cmp_le_u32_e32 vcc, v51, v33
	s_and_saveexec_b64 s[38:39], vcc
	s_cbranch_execz .LBB518_122
; %bb.121:
	v_cmp_eq_u16_e32 vcc, 0, v31
	s_waitcnt lgkmcnt(1)
	v_cndmask_b32_e32 v36, 1, v52, vcc
	v_and_b32_e32 v31, 1, v31
	v_mul_lo_u32 v30, v36, v30
	s_waitcnt lgkmcnt(0)
	v_and_b32_e32 v36, 1, v37
	v_cmp_eq_u32_e32 vcc, 1, v31
	v_cndmask_b32_e64 v31, v36, 1, vcc
	v_and_b32_e32 v36, 0xffff, v31
.LBB518_122:
	;; [unrolled: 24-line block ×4, first 2 shown]
	s_or_b64 exec, exec, s[38:39]
	v_cmp_gt_u32_e32 vcc, 32, v27
	s_waitcnt lgkmcnt(0)
	v_cndmask_b32_e64 v37, 0, 1, vcc
	v_lshlrev_b32_e32 v37, 5, v37
	v_add_lshl_u32 v57, v37, v35, 2
	ds_bpermute_b32 v37, v57, v30
	ds_bpermute_b32 v35, v57, v36
	v_add_u32_e32 v59, 32, v27
	v_cmp_le_u32_e32 vcc, v59, v33
	s_and_saveexec_b64 s[38:39], vcc
	s_cbranch_execz .LBB518_128
; %bb.127:
	v_cmp_eq_u16_e32 vcc, 0, v31
	s_waitcnt lgkmcnt(1)
	v_cndmask_b32_e32 v33, 1, v37, vcc
	v_and_b32_e32 v31, 1, v31
	v_mul_lo_u32 v30, v33, v30
	s_waitcnt lgkmcnt(0)
	v_and_b32_e32 v33, 1, v35
	v_cmp_eq_u32_e32 vcc, 1, v31
	v_cndmask_b32_e64 v31, v33, 1, vcc
.LBB518_128:
	s_or_b64 exec, exec, s[38:39]
	s_mov_b32 s38, 0
	s_mov_b32 s39, 1
	s_waitcnt lgkmcnt(0)
	v_mov_b32_e32 v35, 0
	v_mov_b32_e32 v60, 2
	s_branch .LBB518_130
.LBB518_129:                            ;   in Loop: Header=BB518_130 Depth=1
	s_or_b64 exec, exec, s[40:41]
	v_cmp_eq_u16_sdwa vcc, v56, v35 src0_sel:BYTE_0 src1_sel:DWORD
	v_and_b32_e32 v33, 1, v56
	v_cndmask_b32_e32 v30, 1, v30, vcc
	v_and_b32_e32 v31, 1, v31
	v_cmp_eq_u32_e32 vcc, 1, v33
	v_subrev_u32_e32 v34, 64, v34
	v_mul_lo_u32 v30, v30, v58
	v_cndmask_b32_e64 v31, v31, 1, vcc
.LBB518_130:                            ; =>This Loop Header: Depth=1
                                        ;     Child Loop BB518_133 Depth 2
                                        ;       Child Loop BB518_134 Depth 3
	v_cmp_ne_u16_sdwa s[40:41], v32, v60 src0_sel:BYTE_0 src1_sel:DWORD
	v_mov_b32_e32 v56, v31
	v_cndmask_b32_e64 v31, 0, 1, s[40:41]
	;;#ASMSTART
	;;#ASMEND
	v_cmp_ne_u32_e32 vcc, 0, v31
	s_cmp_lg_u64 vcc, exec
	v_mov_b32_e32 v58, v30
	s_cbranch_scc1 .LBB518_149
; %bb.131:                              ;   in Loop: Header=BB518_130 Depth=1
	v_lshlrev_b64 v[30:31], 4, v[34:35]
	v_mov_b32_e32 v32, s45
	s_waitcnt lgkmcnt(0)
	v_add_co_u32_e32 v36, vcc, s44, v30
	v_addc_co_u32_e32 v37, vcc, v32, v31, vcc
	;;#ASMSTART
	global_load_dwordx4 v[30:33], v[36:37] off glc	
s_waitcnt vmcnt(0)
	;;#ASMEND
	v_and_b32_e32 v33, 0xff0000, v30
	v_or_b32_sdwa v33, v30, v33 dst_sel:DWORD dst_unused:UNUSED_PAD src0_sel:WORD_0 src1_sel:DWORD
	v_and_b32_e32 v30, 0xff000000, v30
	v_and_b32_e32 v31, 0xff, v31
	v_or3_b32 v31, 0, 0, v31
	v_or3_b32 v30, v33, v30, 0
	v_cmp_eq_u16_sdwa s[48:49], v32, v35 src0_sel:BYTE_0 src1_sel:DWORD
	s_and_saveexec_b64 s[40:41], s[48:49]
	s_cbranch_execz .LBB518_137
; %bb.132:                              ;   in Loop: Header=BB518_130 Depth=1
	s_mov_b32 s47, 1
	s_mov_b64 s[48:49], 0
.LBB518_133:                            ;   Parent Loop BB518_130 Depth=1
                                        ; =>  This Loop Header: Depth=2
                                        ;       Child Loop BB518_134 Depth 3
	s_max_u32 s54, s47, 1
.LBB518_134:                            ;   Parent Loop BB518_130 Depth=1
                                        ;     Parent Loop BB518_133 Depth=2
                                        ; =>    This Inner Loop Header: Depth=3
	s_add_i32 s54, s54, -1
	s_cmp_eq_u32 s54, 0
	s_sleep 1
	s_cbranch_scc0 .LBB518_134
; %bb.135:                              ;   in Loop: Header=BB518_133 Depth=2
	s_cmp_lt_u32 s47, 32
	s_cselect_b64 s[54:55], -1, 0
	s_cmp_lg_u64 s[54:55], 0
	s_addc_u32 s47, s47, 0
	;;#ASMSTART
	global_load_dwordx4 v[30:33], v[36:37] off glc	
s_waitcnt vmcnt(0)
	;;#ASMEND
	v_cmp_ne_u16_sdwa s[54:55], v32, v35 src0_sel:BYTE_0 src1_sel:DWORD
	s_or_b64 s[48:49], s[54:55], s[48:49]
	s_andn2_b64 exec, exec, s[48:49]
	s_cbranch_execnz .LBB518_133
; %bb.136:                              ;   in Loop: Header=BB518_130 Depth=1
	s_or_b64 exec, exec, s[48:49]
	v_and_b32_e32 v31, 0xff, v31
.LBB518_137:                            ;   in Loop: Header=BB518_130 Depth=1
	s_or_b64 exec, exec, s[40:41]
	v_cmp_eq_u16_sdwa s[40:41], v32, v60 src0_sel:BYTE_0 src1_sel:DWORD
	v_and_b32_e32 v33, s41, v29
	v_or_b32_e32 v33, 0x80000000, v33
	ds_bpermute_b32 v61, v46, v30
	ds_bpermute_b32 v37, v46, v31
	v_and_b32_e32 v36, s40, v28
	v_ffbl_b32_e32 v33, v33
	v_add_u32_e32 v33, 32, v33
	v_ffbl_b32_e32 v36, v36
	v_min_u32_e32 v33, v36, v33
	v_cmp_lt_u32_e32 vcc, v27, v33
	v_mov_b32_e32 v36, v31
	s_and_saveexec_b64 s[40:41], vcc
	s_cbranch_execz .LBB518_139
; %bb.138:                              ;   in Loop: Header=BB518_130 Depth=1
	v_cmp_gt_u64_e32 vcc, s[38:39], v[30:31]
	s_waitcnt lgkmcnt(1)
	v_cndmask_b32_e32 v36, 1, v61, vcc
	v_and_b32_e32 v31, 1, v31
	v_mul_lo_u32 v30, v36, v30
	s_waitcnt lgkmcnt(0)
	v_and_b32_e32 v36, 1, v37
	v_cmp_eq_u32_e32 vcc, 1, v31
	v_cndmask_b32_e64 v31, v36, 1, vcc
	v_and_b32_e32 v36, 0xffff, v31
.LBB518_139:                            ;   in Loop: Header=BB518_130 Depth=1
	s_or_b64 exec, exec, s[40:41]
	s_waitcnt lgkmcnt(1)
	ds_bpermute_b32 v61, v47, v30
	s_waitcnt lgkmcnt(1)
	ds_bpermute_b32 v37, v47, v36
	v_cmp_le_u32_e32 vcc, v48, v33
	s_and_saveexec_b64 s[40:41], vcc
	s_cbranch_execz .LBB518_141
; %bb.140:                              ;   in Loop: Header=BB518_130 Depth=1
	v_cmp_eq_u16_e32 vcc, 0, v31
	s_waitcnt lgkmcnt(1)
	v_cndmask_b32_e32 v36, 1, v61, vcc
	v_and_b32_e32 v31, 1, v31
	v_mul_lo_u32 v30, v36, v30
	s_waitcnt lgkmcnt(0)
	v_and_b32_e32 v36, 1, v37
	v_cmp_eq_u32_e32 vcc, 1, v31
	v_cndmask_b32_e64 v31, v36, 1, vcc
	v_and_b32_e32 v36, 0xffff, v31
.LBB518_141:                            ;   in Loop: Header=BB518_130 Depth=1
	s_or_b64 exec, exec, s[40:41]
	s_waitcnt lgkmcnt(1)
	ds_bpermute_b32 v61, v49, v30
	s_waitcnt lgkmcnt(1)
	ds_bpermute_b32 v37, v49, v36
	v_cmp_le_u32_e32 vcc, v51, v33
	s_and_saveexec_b64 s[40:41], vcc
	s_cbranch_execz .LBB518_143
; %bb.142:                              ;   in Loop: Header=BB518_130 Depth=1
	v_cmp_eq_u16_e32 vcc, 0, v31
	s_waitcnt lgkmcnt(1)
	v_cndmask_b32_e32 v36, 1, v61, vcc
	v_and_b32_e32 v31, 1, v31
	v_mul_lo_u32 v30, v36, v30
	s_waitcnt lgkmcnt(0)
	v_and_b32_e32 v36, 1, v37
	v_cmp_eq_u32_e32 vcc, 1, v31
	v_cndmask_b32_e64 v31, v36, 1, vcc
	v_and_b32_e32 v36, 0xffff, v31
.LBB518_143:                            ;   in Loop: Header=BB518_130 Depth=1
	;; [unrolled: 20-line block ×4, first 2 shown]
	s_or_b64 exec, exec, s[40:41]
	s_waitcnt lgkmcnt(0)
	ds_bpermute_b32 v37, v57, v30
	ds_bpermute_b32 v36, v57, v36
	v_cmp_le_u32_e32 vcc, v59, v33
	s_and_saveexec_b64 s[40:41], vcc
	s_cbranch_execz .LBB518_129
; %bb.148:                              ;   in Loop: Header=BB518_130 Depth=1
	v_cmp_eq_u16_e32 vcc, 0, v31
	v_and_b32_e32 v31, 1, v31
	s_waitcnt lgkmcnt(1)
	v_cndmask_b32_e32 v33, 1, v37, vcc
	v_cmp_eq_u32_e32 vcc, 1, v31
	v_mul_lo_u32 v30, v33, v30
	s_waitcnt lgkmcnt(0)
	v_cndmask_b32_e64 v31, v36, 1, vcc
	s_branch .LBB518_129
.LBB518_149:                            ;   in Loop: Header=BB518_130 Depth=1
                                        ; implicit-def: $vgpr31
	s_cbranch_execz .LBB518_130
; %bb.150:
	s_and_saveexec_b64 s[38:39], s[26:27]
	s_cbranch_execz .LBB518_152
; %bb.151:
	s_and_b32 s40, s7, 0xff
	s_cmp_eq_u32 s40, 0
	s_cselect_b64 vcc, -1, 0
	s_bitcmp1_b32 s7, 0
	s_mov_b32 s41, 0
	s_cselect_b64 s[48:49], -1, 0
	s_add_i32 s40, s6, 64
	s_lshl_b64 s[6:7], s[40:41], 4
	v_cndmask_b32_e32 v27, 1, v58, vcc
	s_add_u32 s6, s44, s6
	v_mul_lo_u32 v26, v27, v26
	v_and_b32_e32 v27, 1, v56
	s_addc_u32 s7, s45, s7
	v_cndmask_b32_e64 v27, v27, 1, s[48:49]
	v_mov_b32_e32 v28, 2
	v_mov_b32_e32 v29, 0
	v_pk_mov_b32 v[30:31], s[6:7], s[6:7] op_sel:[0,1]
	;;#ASMSTART
	global_store_dwordx4 v[30:31], v[26:29] off	
s_waitcnt vmcnt(0)
	;;#ASMEND
.LBB518_152:
	s_or_b64 exec, exec, s[38:39]
	v_cmp_eq_u32_e32 vcc, 0, v0
	s_and_b64 exec, exec, vcc
	s_cbranch_execz .LBB518_154
; %bb.153:
	v_mov_b32_e32 v26, 0
	ds_write_b32 v26, v58 offset:24
	ds_write_b8 v26, v56 offset:28
.LBB518_154:
	s_or_b64 exec, exec, s[30:31]
	v_mov_b32_e32 v28, 0
	s_waitcnt lgkmcnt(0)
	s_barrier
	ds_read_b32 v26, v28 offset:24
	v_cndmask_b32_e64 v29, v45, v43, s[26:27]
	v_cmp_eq_u16_sdwa vcc, v29, v28 src0_sel:BYTE_0 src1_sel:DWORD
	v_cndmask_b32_e64 v27, v44, v42, s[26:27]
	s_waitcnt lgkmcnt(0)
	v_cndmask_b32_e32 v29, 1, v26, vcc
	v_mul_lo_u32 v27, v29, v27
	v_cmp_eq_u32_e32 vcc, 0, v0
	v_and_b32_e32 v29, 0xff, v39
	v_cndmask_b32_e32 v26, v27, v26, vcc
	v_cmp_eq_u64_e32 vcc, 0, v[28:29]
	v_cndmask_b32_e32 v27, 1, v26, vcc
	v_mul_lo_u32 v27, v27, v38
	v_cndmask_b32_e64 v28, 1, v27, s[2:3]
	v_mul_lo_u32 v42, v28, v8
	v_cndmask_b32_e64 v28, 1, v42, s[4:5]
	;; [unrolled: 2-line block ×12, first 2 shown]
	v_mul_lo_u32 v49, v28, v24
	s_branch .LBB518_195
.LBB518_155:
	s_or_b64 exec, exec, s[30:31]
                                        ; implicit-def: $vgpr14
	s_and_saveexec_b64 s[30:31], s[2:3]
	s_cbranch_execz .LBB518_33
.LBB518_156:
	v_mov_b32_e32 v15, s47
	v_add_co_u32_e32 v14, vcc, s7, v12
	v_addc_co_u32_e32 v15, vcc, 0, v15, vcc
	flat_load_dword v14, v[14:15] offset:1024
	s_or_b64 exec, exec, s[30:31]
                                        ; implicit-def: $vgpr15
	s_and_saveexec_b64 s[2:3], s[4:5]
	s_cbranch_execnz .LBB518_34
.LBB518_157:
	s_or_b64 exec, exec, s[2:3]
                                        ; implicit-def: $vgpr16
	s_and_saveexec_b64 s[2:3], s[28:29]
	s_cbranch_execz .LBB518_35
.LBB518_158:
	v_mov_b32_e32 v17, s47
	v_add_co_u32_e32 v16, vcc, s7, v12
	v_addc_co_u32_e32 v17, vcc, 0, v17, vcc
	flat_load_dword v16, v[16:17] offset:3072
	s_or_b64 exec, exec, s[2:3]
                                        ; implicit-def: $vgpr17
	s_and_saveexec_b64 s[2:3], s[8:9]
	s_cbranch_execnz .LBB518_36
.LBB518_159:
	s_or_b64 exec, exec, s[2:3]
                                        ; implicit-def: $vgpr2
	s_and_saveexec_b64 s[2:3], s[10:11]
	s_cbranch_execz .LBB518_37
.LBB518_160:
	v_lshlrev_b32_e32 v2, 2, v3
	v_mov_b32_e32 v3, s47
	v_add_co_u32_e32 v2, vcc, s7, v2
	v_addc_co_u32_e32 v3, vcc, 0, v3, vcc
	flat_load_dword v2, v[2:3]
	s_or_b64 exec, exec, s[2:3]
                                        ; implicit-def: $vgpr3
	s_and_saveexec_b64 s[2:3], s[12:13]
	s_cbranch_execnz .LBB518_38
.LBB518_161:
	s_or_b64 exec, exec, s[2:3]
                                        ; implicit-def: $vgpr4
	s_and_saveexec_b64 s[2:3], s[14:15]
	s_cbranch_execz .LBB518_39
.LBB518_162:
	v_lshlrev_b32_e32 v4, 2, v5
	v_mov_b32_e32 v5, s47
	v_add_co_u32_e32 v4, vcc, s7, v4
	v_addc_co_u32_e32 v5, vcc, 0, v5, vcc
	flat_load_dword v4, v[4:5]
	s_or_b64 exec, exec, s[2:3]
                                        ; implicit-def: $vgpr5
	s_and_saveexec_b64 s[2:3], s[16:17]
	s_cbranch_execnz .LBB518_40
.LBB518_163:
	s_or_b64 exec, exec, s[2:3]
                                        ; implicit-def: $vgpr6
	s_and_saveexec_b64 s[2:3], s[18:19]
	s_cbranch_execz .LBB518_41
.LBB518_164:
	v_lshlrev_b32_e32 v6, 2, v7
	v_mov_b32_e32 v7, s47
	v_add_co_u32_e32 v6, vcc, s7, v6
	v_addc_co_u32_e32 v7, vcc, 0, v7, vcc
	flat_load_dword v6, v[6:7]
	s_or_b64 exec, exec, s[2:3]
                                        ; implicit-def: $vgpr7
	s_and_saveexec_b64 s[2:3], s[20:21]
	s_cbranch_execnz .LBB518_42
.LBB518_165:
	s_or_b64 exec, exec, s[2:3]
                                        ; implicit-def: $vgpr8
	s_and_saveexec_b64 s[2:3], s[22:23]
	s_cbranch_execz .LBB518_43
.LBB518_166:
	v_lshlrev_b32_e32 v8, 2, v9
	v_mov_b32_e32 v9, s47
	v_add_co_u32_e32 v8, vcc, s7, v8
	v_addc_co_u32_e32 v9, vcc, 0, v9, vcc
	flat_load_dword v8, v[8:9]
	s_or_b64 exec, exec, s[2:3]
                                        ; implicit-def: $vgpr9
	s_and_saveexec_b64 s[2:3], s[24:25]
	s_cbranch_execz .LBB518_45
	s_branch .LBB518_44
.LBB518_167:
                                        ; implicit-def: $vgpr49
                                        ; implicit-def: $vgpr47
                                        ; implicit-def: $vgpr45
                                        ; implicit-def: $vgpr43
                                        ; implicit-def: $vgpr34_vgpr35_vgpr36_vgpr37
                                        ; implicit-def: $vgpr30_vgpr31_vgpr32_vgpr33
                                        ; implicit-def: $vgpr26_vgpr27_vgpr28_vgpr29
	s_cbranch_execz .LBB518_195
; %bb.168:
	s_cmp_lg_u64 s[52:53], 0
	s_cselect_b32 s3, s51, 0
	s_cselect_b32 s2, s50, 0
	s_mov_b32 s24, 0
	s_cmp_eq_u64 s[2:3], 0
	v_mov_b32_e32 v32, s56
	s_cbranch_scc1 .LBB518_170
; %bb.169:
	v_mov_b32_e32 v26, 0
	global_load_dword v32, v26, s[2:3]
.LBB518_170:
	s_mov_b32 s25, 1
	v_cmp_gt_u64_e32 vcc, s[24:25], v[8:9]
	v_cndmask_b32_e32 v26, 1, v38, vcc
	v_mul_lo_u32 v26, v26, v8
	v_cmp_gt_u64_e64 s[2:3], s[24:25], v[6:7]
	v_cndmask_b32_e64 v26, 1, v26, s[2:3]
	v_mul_lo_u32 v26, v26, v6
	v_cmp_gt_u64_e64 s[4:5], s[24:25], v[4:5]
	v_cndmask_b32_e64 v26, 1, v26, s[4:5]
	;; [unrolled: 3-line block ×12, first 2 shown]
	v_mul_lo_u32 v29, v26, v40
	v_and_b32_e32 v26, 1, v41
	v_cmp_eq_u32_e64 s[24:25], 1, v26
	v_or3_b32 v7, v23, v15, v7
	v_mov_b32_e32 v26, 0
	v_or3_b32 v9, v25, v17, v9
	v_and_b32_e32 v37, 1, v7
	v_mov_b32_e32 v36, v26
	v_or3_b32 v3, v19, v11, v3
	v_and_b32_e32 v35, 1, v9
	v_mov_b32_e32 v34, v26
	v_cmp_ne_u64_e64 s[26:27], 0, v[36:37]
	v_or3_b32 v5, v21, v13, v5
	v_and_b32_e32 v27, 1, v3
	v_cndmask_b32_e64 v3, 0, 1, s[26:27]
	v_cmp_ne_u64_e64 s[26:27], 0, v[34:35]
	v_and_b32_e32 v31, 1, v5
	v_mov_b32_e32 v30, v26
	v_cndmask_b32_e64 v5, 0, 1, s[26:27]
	v_lshlrev_b16_e32 v3, 2, v3
	v_lshlrev_b16_e32 v5, 3, v5
	v_cmp_ne_u64_e64 s[26:27], 0, v[30:31]
	v_or_b32_e32 v3, v5, v3
	v_cndmask_b32_e64 v5, 0, 1, s[26:27]
	v_cmp_ne_u64_e64 s[26:27], 0, v[26:27]
	v_lshlrev_b16_e32 v5, 1, v5
	v_cndmask_b32_e64 v7, 0, 1, s[26:27]
	v_or_b32_e32 v5, v7, v5
	v_and_b32_e32 v5, 3, v5
	v_or_b32_e32 v3, v5, v3
	v_and_b32_e32 v3, 15, v3
	v_cmp_ne_u16_e64 s[26:27], 0, v3
	s_or_b64 s[24:25], s[24:25], s[26:27]
	v_cndmask_b32_e64 v3, v39, 1, s[24:25]
	v_mbcnt_hi_u32_b32 v1, -1, v1
	v_and_b32_e32 v7, 15, v1
	v_and_b32_e32 v5, 0xff, v3
	v_mov_b32_dpp v11, v29 row_shr:1 row_mask:0xf bank_mask:0xf
	v_cmp_ne_u32_e64 s[24:25], 0, v7
	v_mov_b32_dpp v9, v5 row_shr:1 row_mask:0xf bank_mask:0xf
	s_and_saveexec_b64 s[26:27], s[24:25]
; %bb.171:
	v_cmp_eq_u16_sdwa s[24:25], v3, v26 src0_sel:BYTE_0 src1_sel:DWORD
	v_cndmask_b32_e64 v5, 1, v11, s[24:25]
	v_and_b32_e32 v3, 1, v3
	v_mul_lo_u32 v29, v5, v29
	v_and_b32_e32 v5, 1, v9
	v_cmp_eq_u32_e64 s[24:25], 1, v3
	v_cndmask_b32_e64 v3, v5, 1, s[24:25]
	v_and_b32_e32 v5, 0xffff, v3
; %bb.172:
	s_or_b64 exec, exec, s[26:27]
	v_mov_b32_dpp v11, v29 row_shr:2 row_mask:0xf bank_mask:0xf
	v_mov_b32_dpp v9, v5 row_shr:2 row_mask:0xf bank_mask:0xf
	v_cmp_lt_u32_e64 s[24:25], 1, v7
	s_and_saveexec_b64 s[26:27], s[24:25]
; %bb.173:
	v_mov_b32_e32 v5, 0
	v_cmp_eq_u16_sdwa s[24:25], v3, v5 src0_sel:BYTE_0 src1_sel:DWORD
	v_cndmask_b32_e64 v5, 1, v11, s[24:25]
	v_and_b32_e32 v3, 1, v3
	v_mul_lo_u32 v29, v5, v29
	v_and_b32_e32 v5, 1, v9
	v_cmp_eq_u32_e64 s[24:25], 1, v3
	v_cndmask_b32_e64 v3, v5, 1, s[24:25]
	v_and_b32_e32 v5, 0xffff, v3
; %bb.174:
	s_or_b64 exec, exec, s[26:27]
	v_mov_b32_dpp v11, v29 row_shr:4 row_mask:0xf bank_mask:0xf
	v_mov_b32_dpp v9, v5 row_shr:4 row_mask:0xf bank_mask:0xf
	v_cmp_lt_u32_e64 s[24:25], 3, v7
	s_and_saveexec_b64 s[26:27], s[24:25]
; %bb.175:
	v_mov_b32_e32 v5, 0
	;; [unrolled: 16-line block ×3, first 2 shown]
	v_cmp_eq_u16_sdwa s[24:25], v3, v5 src0_sel:BYTE_0 src1_sel:DWORD
	v_cndmask_b32_e64 v5, 1, v11, s[24:25]
	v_and_b32_e32 v3, 1, v3
	v_mul_lo_u32 v29, v5, v29
	v_and_b32_e32 v5, 1, v9
	v_cmp_eq_u32_e64 s[24:25], 1, v3
	v_cndmask_b32_e64 v3, v5, 1, s[24:25]
	v_and_b32_e32 v5, 0xffff, v3
; %bb.178:
	s_or_b64 exec, exec, s[26:27]
	v_and_b32_e32 v11, 16, v1
	v_mov_b32_dpp v9, v29 row_bcast:15 row_mask:0xf bank_mask:0xf
	v_mov_b32_dpp v7, v5 row_bcast:15 row_mask:0xf bank_mask:0xf
	v_cmp_ne_u32_e64 s[24:25], 0, v11
	s_and_saveexec_b64 s[26:27], s[24:25]
; %bb.179:
	v_mov_b32_e32 v5, 0
	v_cmp_eq_u16_sdwa s[24:25], v3, v5 src0_sel:BYTE_0 src1_sel:DWORD
	v_cndmask_b32_e64 v5, 1, v9, s[24:25]
	v_and_b32_e32 v3, 1, v3
	v_mul_lo_u32 v29, v5, v29
	v_and_b32_e32 v5, 1, v7
	v_cmp_eq_u32_e64 s[24:25], 1, v3
	v_cndmask_b32_e64 v3, v5, 1, s[24:25]
	v_and_b32_e32 v5, 0xffff, v3
; %bb.180:
	s_or_b64 exec, exec, s[26:27]
	v_mov_b32_dpp v7, v29 row_bcast:31 row_mask:0xf bank_mask:0xf
	v_mov_b32_dpp v5, v5 row_bcast:31 row_mask:0xf bank_mask:0xf
	v_cmp_lt_u32_e64 s[24:25], 31, v1
	s_and_saveexec_b64 s[26:27], s[24:25]
; %bb.181:
	v_mov_b32_e32 v9, 0
	v_cmp_eq_u16_sdwa s[24:25], v3, v9 src0_sel:BYTE_0 src1_sel:DWORD
	v_and_b32_e32 v3, 1, v3
	v_cndmask_b32_e64 v7, 1, v7, s[24:25]
	v_and_b32_e32 v5, 1, v5
	v_cmp_eq_u32_e64 s[24:25], 1, v3
	v_mul_lo_u32 v29, v7, v29
	v_cndmask_b32_e64 v3, v5, 1, s[24:25]
; %bb.182:
	s_or_b64 exec, exec, s[26:27]
	v_or_b32_e32 v7, 63, v0
	v_lshrrev_b32_e32 v5, 6, v0
	v_cmp_eq_u32_e64 s[24:25], v7, v0
	s_and_saveexec_b64 s[26:27], s[24:25]
	s_cbranch_execz .LBB518_184
; %bb.183:
	v_lshlrev_b32_e32 v7, 3, v5
	ds_write_b32 v7, v29
	ds_write_b8 v7, v3 offset:4
.LBB518_184:
	s_or_b64 exec, exec, s[26:27]
	v_cmp_gt_u32_e64 s[24:25], 4, v0
	s_waitcnt lgkmcnt(0)
	s_barrier
	s_and_saveexec_b64 s[26:27], s[24:25]
	s_cbranch_execz .LBB518_190
; %bb.185:
	v_lshlrev_b32_e32 v7, 3, v0
	ds_read_b64 v[26:27], v7
	v_and_b32_e32 v9, 3, v1
	v_cmp_ne_u32_e64 s[24:25], 0, v9
	s_waitcnt lgkmcnt(0)
	v_mov_b32_dpp v15, v26 row_shr:1 row_mask:0xf bank_mask:0xf
	v_mov_b32_dpp v13, v27 row_shr:1 row_mask:0xf bank_mask:0xf
	v_mov_b32_e32 v11, v27
	s_and_saveexec_b64 s[28:29], s[24:25]
	s_cbranch_execz .LBB518_187
; %bb.186:
	v_mov_b32_e32 v11, 0
	v_cmp_eq_u16_sdwa s[24:25], v27, v11 src0_sel:BYTE_0 src1_sel:DWORD
	v_cndmask_b32_e64 v11, 1, v15, s[24:25]
	v_mul_lo_u32 v26, v11, v26
	v_and_b32_e32 v11, 1, v27
	v_and_b32_e32 v13, 1, v13
	v_cmp_eq_u32_e64 s[24:25], 1, v11
	v_cndmask_b32_e64 v13, v13, 1, s[24:25]
	v_and_b32_e32 v11, 0xffff, v13
	s_movk_i32 s24, 0xff00
	v_and_or_b32 v11, v27, s24, v11
	v_mov_b32_e32 v27, v13
.LBB518_187:
	s_or_b64 exec, exec, s[28:29]
	v_mov_b32_dpp v13, v26 row_shr:2 row_mask:0xf bank_mask:0xf
	v_mov_b32_dpp v11, v11 row_shr:2 row_mask:0xf bank_mask:0xf
	v_cmp_lt_u32_e64 s[24:25], 1, v9
	s_and_saveexec_b64 s[28:29], s[24:25]
; %bb.188:
	v_mov_b32_e32 v9, 0
	v_cmp_eq_u16_sdwa s[24:25], v27, v9 src0_sel:BYTE_0 src1_sel:DWORD
	v_cndmask_b32_e64 v9, 1, v13, s[24:25]
	v_mul_lo_u32 v26, v9, v26
	v_and_b32_e32 v9, 1, v27
	v_and_b32_e32 v11, 1, v11
	v_cmp_eq_u32_e64 s[24:25], 1, v9
	v_cndmask_b32_e64 v27, v11, 1, s[24:25]
; %bb.189:
	s_or_b64 exec, exec, s[28:29]
	ds_write_b32 v7, v26
	ds_write_b8 v7, v27 offset:4
.LBB518_190:
	s_or_b64 exec, exec, s[26:27]
	v_cmp_lt_u32_e64 s[24:25], 63, v0
	s_waitcnt vmcnt(0)
	v_mov_b32_e32 v7, v32
	s_waitcnt lgkmcnt(0)
	s_barrier
	s_and_saveexec_b64 s[26:27], s[24:25]
	s_cbranch_execz .LBB518_192
; %bb.191:
	v_lshl_add_u32 v5, v5, 3, -8
	ds_read_u8 v7, v5 offset:4
	ds_read_b32 v5, v5
	s_waitcnt lgkmcnt(1)
	v_cmp_eq_u16_e64 s[24:25], 0, v7
	v_cndmask_b32_e64 v7, 1, v32, s[24:25]
	s_waitcnt lgkmcnt(0)
	v_mul_lo_u32 v7, v7, v5
.LBB518_192:
	s_or_b64 exec, exec, s[26:27]
	v_mov_b32_e32 v28, 0
	v_cmp_eq_u16_sdwa s[24:25], v3, v28 src0_sel:BYTE_0 src1_sel:DWORD
	v_add_u32_e32 v5, -1, v1
	v_and_b32_e32 v9, 64, v1
	v_cndmask_b32_e64 v3, 1, v7, s[24:25]
	v_cmp_lt_i32_e64 s[24:25], v5, v9
	v_cndmask_b32_e64 v5, v5, v1, s[24:25]
	v_mul_lo_u32 v3, v3, v29
	v_lshlrev_b32_e32 v5, 2, v5
	ds_bpermute_b32 v3, v5, v3
	v_cmp_eq_u32_e64 s[24:25], 0, v1
	v_and_b32_e32 v29, 0xff, v39
	v_cmp_eq_u64_e64 s[26:27], 0, v[28:29]
	s_waitcnt lgkmcnt(0)
	v_cndmask_b32_e64 v26, v3, v7, s[24:25]
	v_cmp_eq_u32_e64 s[24:25], 0, v0
	v_cndmask_b32_e64 v1, v26, v32, s[24:25]
	v_cndmask_b32_e64 v1, 1, v1, s[26:27]
	v_mul_lo_u32 v27, v1, v38
	v_cndmask_b32_e32 v1, 1, v27, vcc
	v_mul_lo_u32 v42, v1, v8
	v_cndmask_b32_e64 v1, 1, v42, s[2:3]
	v_mul_lo_u32 v43, v1, v6
	v_cndmask_b32_e64 v1, 1, v43, s[4:5]
	;; [unrolled: 2-line block ×11, first 2 shown]
	s_and_saveexec_b64 s[2:3], s[24:25]
	s_cbranch_execz .LBB518_194
; %bb.193:
	ds_read_u8 v3, v28 offset:28
	ds_read_b32 v2, v28 offset:24
	s_add_u32 s4, s44, 0x400
	s_addc_u32 s5, s45, 0
	v_mov_b32_e32 v5, v28
	s_waitcnt lgkmcnt(1)
	v_cmp_eq_u16_e32 vcc, 0, v3
	v_cndmask_b32_e32 v4, 1, v32, vcc
	s_waitcnt lgkmcnt(0)
	v_mul_lo_u32 v2, v4, v2
	v_and_b32_e32 v3, 0xffff, v3
	v_mov_b32_e32 v4, 2
	v_pk_mov_b32 v[6:7], s[4:5], s[4:5] op_sel:[0,1]
	;;#ASMSTART
	global_store_dwordx4 v[6:7], v[2:5] off	
s_waitcnt vmcnt(0)
	;;#ASMEND
	v_mov_b32_e32 v26, v32
.LBB518_194:
	s_or_b64 exec, exec, s[2:3]
	v_mul_lo_u32 v49, v1, v24
.LBB518_195:
	s_add_u32 s2, s42, s34
	s_addc_u32 s3, s43, s35
	s_add_u32 s4, s2, s36
	v_mul_u32_u24_e32 v1, 14, v0
	s_addc_u32 s5, s3, s37
	s_and_b64 vcc, exec, s[0:1]
	v_lshlrev_b32_e32 v2, 2, v1
	s_cbranch_vccz .LBB518_223
; %bb.196:
	s_movk_i32 s0, 0xffcc
	v_mad_i32_i24 v3, v0, s0, v2
	s_barrier
	ds_write2_b64 v2, v[26:27], v[42:43] offset1:1
	ds_write2_b64 v2, v[30:31], v[44:45] offset0:2 offset1:3
	ds_write2_b64 v2, v[34:35], v[46:47] offset0:4 offset1:5
	ds_write_b64 v2, v[48:49] offset:48
	s_waitcnt lgkmcnt(0)
	s_barrier
	ds_read2st64_b32 v[16:17], v3 offset0:4 offset1:8
	ds_read2st64_b32 v[14:15], v3 offset0:12 offset1:16
	;; [unrolled: 1-line block ×6, first 2 shown]
	ds_read_b32 v3, v3 offset:13312
	v_mov_b32_e32 v7, s5
	v_add_co_u32_e32 v6, vcc, s4, v50
	s_add_i32 s33, s33, s46
	v_addc_co_u32_e32 v7, vcc, 0, v7, vcc
	v_mov_b32_e32 v1, 0
	v_cmp_gt_u32_e32 vcc, s33, v0
	s_and_saveexec_b64 s[0:1], vcc
	s_cbranch_execz .LBB518_198
; %bb.197:
	v_mul_i32_i24_e32 v18, 0xffffffcc, v0
	v_add_u32_e32 v18, v2, v18
	ds_read_b32 v18, v18
	s_waitcnt lgkmcnt(0)
	flat_store_dword v[6:7], v18
.LBB518_198:
	s_or_b64 exec, exec, s[0:1]
	v_or_b32_e32 v18, 0x100, v0
	v_cmp_gt_u32_e32 vcc, s33, v18
	s_and_saveexec_b64 s[0:1], vcc
	s_cbranch_execz .LBB518_200
; %bb.199:
	s_waitcnt lgkmcnt(0)
	flat_store_dword v[6:7], v16 offset:1024
.LBB518_200:
	s_or_b64 exec, exec, s[0:1]
	s_waitcnt lgkmcnt(0)
	v_or_b32_e32 v16, 0x200, v0
	v_cmp_gt_u32_e32 vcc, s33, v16
	s_and_saveexec_b64 s[0:1], vcc
	s_cbranch_execz .LBB518_202
; %bb.201:
	flat_store_dword v[6:7], v17 offset:2048
.LBB518_202:
	s_or_b64 exec, exec, s[0:1]
	v_or_b32_e32 v16, 0x300, v0
	v_cmp_gt_u32_e32 vcc, s33, v16
	s_and_saveexec_b64 s[0:1], vcc
	s_cbranch_execz .LBB518_204
; %bb.203:
	flat_store_dword v[6:7], v14 offset:3072
.LBB518_204:
	s_or_b64 exec, exec, s[0:1]
	v_or_b32_e32 v14, 0x400, v0
	v_cmp_gt_u32_e32 vcc, s33, v14
	s_and_saveexec_b64 s[0:1], vcc
	s_cbranch_execz .LBB518_206
; %bb.205:
	v_add_co_u32_e32 v16, vcc, 0x1000, v6
	v_addc_co_u32_e32 v17, vcc, 0, v7, vcc
	flat_store_dword v[16:17], v15
.LBB518_206:
	s_or_b64 exec, exec, s[0:1]
	v_or_b32_e32 v14, 0x500, v0
	v_cmp_gt_u32_e32 vcc, s33, v14
	s_and_saveexec_b64 s[0:1], vcc
	s_cbranch_execz .LBB518_208
; %bb.207:
	v_add_co_u32_e32 v14, vcc, 0x1000, v6
	v_addc_co_u32_e32 v15, vcc, 0, v7, vcc
	flat_store_dword v[14:15], v12 offset:1024
.LBB518_208:
	s_or_b64 exec, exec, s[0:1]
	v_or_b32_e32 v12, 0x600, v0
	v_cmp_gt_u32_e32 vcc, s33, v12
	s_and_saveexec_b64 s[0:1], vcc
	s_cbranch_execz .LBB518_210
; %bb.209:
	v_add_co_u32_e32 v14, vcc, 0x1000, v6
	v_addc_co_u32_e32 v15, vcc, 0, v7, vcc
	flat_store_dword v[14:15], v13 offset:2048
.LBB518_210:
	;; [unrolled: 10-line block ×3, first 2 shown]
	s_or_b64 exec, exec, s[0:1]
	v_or_b32_e32 v10, 0x800, v0
	v_cmp_gt_u32_e32 vcc, s33, v10
	s_and_saveexec_b64 s[0:1], vcc
	s_cbranch_execz .LBB518_214
; %bb.213:
	v_add_co_u32_e32 v12, vcc, 0x2000, v6
	v_addc_co_u32_e32 v13, vcc, 0, v7, vcc
	flat_store_dword v[12:13], v11
.LBB518_214:
	s_or_b64 exec, exec, s[0:1]
	v_or_b32_e32 v10, 0x900, v0
	v_cmp_gt_u32_e32 vcc, s33, v10
	s_and_saveexec_b64 s[0:1], vcc
	s_cbranch_execz .LBB518_216
; %bb.215:
	v_add_co_u32_e32 v10, vcc, 0x2000, v6
	v_addc_co_u32_e32 v11, vcc, 0, v7, vcc
	flat_store_dword v[10:11], v8 offset:1024
.LBB518_216:
	s_or_b64 exec, exec, s[0:1]
	v_or_b32_e32 v8, 0xa00, v0
	v_cmp_gt_u32_e32 vcc, s33, v8
	s_and_saveexec_b64 s[0:1], vcc
	s_cbranch_execz .LBB518_218
; %bb.217:
	v_add_co_u32_e32 v10, vcc, 0x2000, v6
	v_addc_co_u32_e32 v11, vcc, 0, v7, vcc
	flat_store_dword v[10:11], v9 offset:2048
.LBB518_218:
	;; [unrolled: 10-line block ×3, first 2 shown]
	s_or_b64 exec, exec, s[0:1]
	v_or_b32_e32 v4, 0xc00, v0
	v_cmp_gt_u32_e32 vcc, s33, v4
	s_and_saveexec_b64 s[0:1], vcc
	s_cbranch_execz .LBB518_222
; %bb.221:
	v_add_co_u32_e32 v6, vcc, 0x3000, v6
	v_addc_co_u32_e32 v7, vcc, 0, v7, vcc
	flat_store_dword v[6:7], v5
.LBB518_222:
	s_or_b64 exec, exec, s[0:1]
	v_or_b32_e32 v4, 0xd00, v0
	v_cmp_gt_u32_e64 s[0:1], s33, v4
	s_branch .LBB518_225
.LBB518_223:
	s_mov_b64 s[0:1], 0
                                        ; implicit-def: $vgpr3
	s_cbranch_execz .LBB518_225
; %bb.224:
	s_movk_i32 s2, 0xffcc
	s_waitcnt lgkmcnt(0)
	s_barrier
	ds_write2_b64 v2, v[26:27], v[42:43] offset1:1
	ds_write2_b64 v2, v[30:31], v[44:45] offset0:2 offset1:3
	ds_write2_b64 v2, v[34:35], v[46:47] offset0:4 offset1:5
	ds_write_b64 v2, v[48:49] offset:48
	v_mad_i32_i24 v2, v0, s2, v2
	v_mov_b32_e32 v17, s5
	v_add_co_u32_e32 v16, vcc, s4, v50
	s_waitcnt lgkmcnt(0)
	s_barrier
	ds_read2st64_b32 v[4:5], v2 offset1:4
	ds_read2st64_b32 v[6:7], v2 offset0:8 offset1:12
	ds_read2st64_b32 v[8:9], v2 offset0:16 offset1:20
	;; [unrolled: 1-line block ×6, first 2 shown]
	v_addc_co_u32_e32 v17, vcc, 0, v17, vcc
	s_movk_i32 s2, 0x1000
	s_waitcnt lgkmcnt(0)
	flat_store_dword v[16:17], v4
	flat_store_dword v[16:17], v5 offset:1024
	flat_store_dword v[16:17], v6 offset:2048
	;; [unrolled: 1-line block ×3, first 2 shown]
	v_add_co_u32_e32 v4, vcc, s2, v16
	v_addc_co_u32_e32 v5, vcc, 0, v17, vcc
	flat_store_dword v[4:5], v8
	flat_store_dword v[4:5], v9 offset:1024
	flat_store_dword v[4:5], v10 offset:2048
	flat_store_dword v[4:5], v11 offset:3072
	v_add_co_u32_e32 v4, vcc, 0x2000, v16
	v_addc_co_u32_e32 v5, vcc, 0, v17, vcc
	flat_store_dword v[4:5], v12
	flat_store_dword v[4:5], v13 offset:1024
	flat_store_dword v[4:5], v14 offset:2048
	flat_store_dword v[4:5], v15 offset:3072
	v_add_co_u32_e32 v4, vcc, 0x3000, v16
	v_mov_b32_e32 v1, 0
	v_addc_co_u32_e32 v5, vcc, 0, v17, vcc
	s_or_b64 s[0:1], s[0:1], exec
	flat_store_dword v[4:5], v2
.LBB518_225:
	s_and_saveexec_b64 s[2:3], s[0:1]
	s_cbranch_execz .LBB518_227
; %bb.226:
	v_lshlrev_b64 v[0:1], 2, v[0:1]
	v_mov_b32_e32 v2, s5
	v_add_co_u32_e32 v0, vcc, s4, v0
	v_addc_co_u32_e32 v1, vcc, v2, v1, vcc
	v_add_co_u32_e32 v0, vcc, 0x3000, v0
	v_addc_co_u32_e32 v1, vcc, 0, v1, vcc
	flat_store_dword v[0:1], v3 offset:1024
	s_endpgm
.LBB518_227:
	s_endpgm
	.section	.rodata,"a",@progbits
	.p2align	6, 0x0
	.amdhsa_kernel _ZN7rocprim17ROCPRIM_400000_NS6detail17trampoline_kernelINS0_14default_configENS1_27scan_by_key_config_selectorIiiEEZZNS1_16scan_by_key_implILNS1_25lookback_scan_determinismE0ELb1ES3_N6thrust23THRUST_200600_302600_NS6detail15normal_iteratorINS9_10device_ptrIiEEEESE_SE_iNS9_10multipliesIiEENS9_8equal_toIiEEiEE10hipError_tPvRmT2_T3_T4_T5_mT6_T7_P12ihipStream_tbENKUlT_T0_E_clISt17integral_constantIbLb1EESY_IbLb0EEEEDaSU_SV_EUlSU_E_NS1_11comp_targetILNS1_3genE4ELNS1_11target_archE910ELNS1_3gpuE8ELNS1_3repE0EEENS1_30default_config_static_selectorELNS0_4arch9wavefront6targetE1EEEvT1_
		.amdhsa_group_segment_fixed_size 16384
		.amdhsa_private_segment_fixed_size 0
		.amdhsa_kernarg_size 112
		.amdhsa_user_sgpr_count 6
		.amdhsa_user_sgpr_private_segment_buffer 1
		.amdhsa_user_sgpr_dispatch_ptr 0
		.amdhsa_user_sgpr_queue_ptr 0
		.amdhsa_user_sgpr_kernarg_segment_ptr 1
		.amdhsa_user_sgpr_dispatch_id 0
		.amdhsa_user_sgpr_flat_scratch_init 0
		.amdhsa_user_sgpr_kernarg_preload_length 0
		.amdhsa_user_sgpr_kernarg_preload_offset 0
		.amdhsa_user_sgpr_private_segment_size 0
		.amdhsa_uses_dynamic_stack 0
		.amdhsa_system_sgpr_private_segment_wavefront_offset 0
		.amdhsa_system_sgpr_workgroup_id_x 1
		.amdhsa_system_sgpr_workgroup_id_y 0
		.amdhsa_system_sgpr_workgroup_id_z 0
		.amdhsa_system_sgpr_workgroup_info 0
		.amdhsa_system_vgpr_workitem_id 0
		.amdhsa_next_free_vgpr 62
		.amdhsa_next_free_sgpr 60
		.amdhsa_accum_offset 64
		.amdhsa_reserve_vcc 1
		.amdhsa_reserve_flat_scratch 0
		.amdhsa_float_round_mode_32 0
		.amdhsa_float_round_mode_16_64 0
		.amdhsa_float_denorm_mode_32 3
		.amdhsa_float_denorm_mode_16_64 3
		.amdhsa_dx10_clamp 1
		.amdhsa_ieee_mode 1
		.amdhsa_fp16_overflow 0
		.amdhsa_tg_split 0
		.amdhsa_exception_fp_ieee_invalid_op 0
		.amdhsa_exception_fp_denorm_src 0
		.amdhsa_exception_fp_ieee_div_zero 0
		.amdhsa_exception_fp_ieee_overflow 0
		.amdhsa_exception_fp_ieee_underflow 0
		.amdhsa_exception_fp_ieee_inexact 0
		.amdhsa_exception_int_div_zero 0
	.end_amdhsa_kernel
	.section	.text._ZN7rocprim17ROCPRIM_400000_NS6detail17trampoline_kernelINS0_14default_configENS1_27scan_by_key_config_selectorIiiEEZZNS1_16scan_by_key_implILNS1_25lookback_scan_determinismE0ELb1ES3_N6thrust23THRUST_200600_302600_NS6detail15normal_iteratorINS9_10device_ptrIiEEEESE_SE_iNS9_10multipliesIiEENS9_8equal_toIiEEiEE10hipError_tPvRmT2_T3_T4_T5_mT6_T7_P12ihipStream_tbENKUlT_T0_E_clISt17integral_constantIbLb1EESY_IbLb0EEEEDaSU_SV_EUlSU_E_NS1_11comp_targetILNS1_3genE4ELNS1_11target_archE910ELNS1_3gpuE8ELNS1_3repE0EEENS1_30default_config_static_selectorELNS0_4arch9wavefront6targetE1EEEvT1_,"axG",@progbits,_ZN7rocprim17ROCPRIM_400000_NS6detail17trampoline_kernelINS0_14default_configENS1_27scan_by_key_config_selectorIiiEEZZNS1_16scan_by_key_implILNS1_25lookback_scan_determinismE0ELb1ES3_N6thrust23THRUST_200600_302600_NS6detail15normal_iteratorINS9_10device_ptrIiEEEESE_SE_iNS9_10multipliesIiEENS9_8equal_toIiEEiEE10hipError_tPvRmT2_T3_T4_T5_mT6_T7_P12ihipStream_tbENKUlT_T0_E_clISt17integral_constantIbLb1EESY_IbLb0EEEEDaSU_SV_EUlSU_E_NS1_11comp_targetILNS1_3genE4ELNS1_11target_archE910ELNS1_3gpuE8ELNS1_3repE0EEENS1_30default_config_static_selectorELNS0_4arch9wavefront6targetE1EEEvT1_,comdat
.Lfunc_end518:
	.size	_ZN7rocprim17ROCPRIM_400000_NS6detail17trampoline_kernelINS0_14default_configENS1_27scan_by_key_config_selectorIiiEEZZNS1_16scan_by_key_implILNS1_25lookback_scan_determinismE0ELb1ES3_N6thrust23THRUST_200600_302600_NS6detail15normal_iteratorINS9_10device_ptrIiEEEESE_SE_iNS9_10multipliesIiEENS9_8equal_toIiEEiEE10hipError_tPvRmT2_T3_T4_T5_mT6_T7_P12ihipStream_tbENKUlT_T0_E_clISt17integral_constantIbLb1EESY_IbLb0EEEEDaSU_SV_EUlSU_E_NS1_11comp_targetILNS1_3genE4ELNS1_11target_archE910ELNS1_3gpuE8ELNS1_3repE0EEENS1_30default_config_static_selectorELNS0_4arch9wavefront6targetE1EEEvT1_, .Lfunc_end518-_ZN7rocprim17ROCPRIM_400000_NS6detail17trampoline_kernelINS0_14default_configENS1_27scan_by_key_config_selectorIiiEEZZNS1_16scan_by_key_implILNS1_25lookback_scan_determinismE0ELb1ES3_N6thrust23THRUST_200600_302600_NS6detail15normal_iteratorINS9_10device_ptrIiEEEESE_SE_iNS9_10multipliesIiEENS9_8equal_toIiEEiEE10hipError_tPvRmT2_T3_T4_T5_mT6_T7_P12ihipStream_tbENKUlT_T0_E_clISt17integral_constantIbLb1EESY_IbLb0EEEEDaSU_SV_EUlSU_E_NS1_11comp_targetILNS1_3genE4ELNS1_11target_archE910ELNS1_3gpuE8ELNS1_3repE0EEENS1_30default_config_static_selectorELNS0_4arch9wavefront6targetE1EEEvT1_
                                        ; -- End function
	.section	.AMDGPU.csdata,"",@progbits
; Kernel info:
; codeLenInByte = 11580
; NumSgprs: 64
; NumVgprs: 62
; NumAgprs: 0
; TotalNumVgprs: 62
; ScratchSize: 0
; MemoryBound: 0
; FloatMode: 240
; IeeeMode: 1
; LDSByteSize: 16384 bytes/workgroup (compile time only)
; SGPRBlocks: 7
; VGPRBlocks: 7
; NumSGPRsForWavesPerEU: 64
; NumVGPRsForWavesPerEU: 62
; AccumOffset: 64
; Occupancy: 4
; WaveLimiterHint : 1
; COMPUTE_PGM_RSRC2:SCRATCH_EN: 0
; COMPUTE_PGM_RSRC2:USER_SGPR: 6
; COMPUTE_PGM_RSRC2:TRAP_HANDLER: 0
; COMPUTE_PGM_RSRC2:TGID_X_EN: 1
; COMPUTE_PGM_RSRC2:TGID_Y_EN: 0
; COMPUTE_PGM_RSRC2:TGID_Z_EN: 0
; COMPUTE_PGM_RSRC2:TIDIG_COMP_CNT: 0
; COMPUTE_PGM_RSRC3_GFX90A:ACCUM_OFFSET: 15
; COMPUTE_PGM_RSRC3_GFX90A:TG_SPLIT: 0
	.section	.text._ZN7rocprim17ROCPRIM_400000_NS6detail17trampoline_kernelINS0_14default_configENS1_27scan_by_key_config_selectorIiiEEZZNS1_16scan_by_key_implILNS1_25lookback_scan_determinismE0ELb1ES3_N6thrust23THRUST_200600_302600_NS6detail15normal_iteratorINS9_10device_ptrIiEEEESE_SE_iNS9_10multipliesIiEENS9_8equal_toIiEEiEE10hipError_tPvRmT2_T3_T4_T5_mT6_T7_P12ihipStream_tbENKUlT_T0_E_clISt17integral_constantIbLb1EESY_IbLb0EEEEDaSU_SV_EUlSU_E_NS1_11comp_targetILNS1_3genE3ELNS1_11target_archE908ELNS1_3gpuE7ELNS1_3repE0EEENS1_30default_config_static_selectorELNS0_4arch9wavefront6targetE1EEEvT1_,"axG",@progbits,_ZN7rocprim17ROCPRIM_400000_NS6detail17trampoline_kernelINS0_14default_configENS1_27scan_by_key_config_selectorIiiEEZZNS1_16scan_by_key_implILNS1_25lookback_scan_determinismE0ELb1ES3_N6thrust23THRUST_200600_302600_NS6detail15normal_iteratorINS9_10device_ptrIiEEEESE_SE_iNS9_10multipliesIiEENS9_8equal_toIiEEiEE10hipError_tPvRmT2_T3_T4_T5_mT6_T7_P12ihipStream_tbENKUlT_T0_E_clISt17integral_constantIbLb1EESY_IbLb0EEEEDaSU_SV_EUlSU_E_NS1_11comp_targetILNS1_3genE3ELNS1_11target_archE908ELNS1_3gpuE7ELNS1_3repE0EEENS1_30default_config_static_selectorELNS0_4arch9wavefront6targetE1EEEvT1_,comdat
	.protected	_ZN7rocprim17ROCPRIM_400000_NS6detail17trampoline_kernelINS0_14default_configENS1_27scan_by_key_config_selectorIiiEEZZNS1_16scan_by_key_implILNS1_25lookback_scan_determinismE0ELb1ES3_N6thrust23THRUST_200600_302600_NS6detail15normal_iteratorINS9_10device_ptrIiEEEESE_SE_iNS9_10multipliesIiEENS9_8equal_toIiEEiEE10hipError_tPvRmT2_T3_T4_T5_mT6_T7_P12ihipStream_tbENKUlT_T0_E_clISt17integral_constantIbLb1EESY_IbLb0EEEEDaSU_SV_EUlSU_E_NS1_11comp_targetILNS1_3genE3ELNS1_11target_archE908ELNS1_3gpuE7ELNS1_3repE0EEENS1_30default_config_static_selectorELNS0_4arch9wavefront6targetE1EEEvT1_ ; -- Begin function _ZN7rocprim17ROCPRIM_400000_NS6detail17trampoline_kernelINS0_14default_configENS1_27scan_by_key_config_selectorIiiEEZZNS1_16scan_by_key_implILNS1_25lookback_scan_determinismE0ELb1ES3_N6thrust23THRUST_200600_302600_NS6detail15normal_iteratorINS9_10device_ptrIiEEEESE_SE_iNS9_10multipliesIiEENS9_8equal_toIiEEiEE10hipError_tPvRmT2_T3_T4_T5_mT6_T7_P12ihipStream_tbENKUlT_T0_E_clISt17integral_constantIbLb1EESY_IbLb0EEEEDaSU_SV_EUlSU_E_NS1_11comp_targetILNS1_3genE3ELNS1_11target_archE908ELNS1_3gpuE7ELNS1_3repE0EEENS1_30default_config_static_selectorELNS0_4arch9wavefront6targetE1EEEvT1_
	.globl	_ZN7rocprim17ROCPRIM_400000_NS6detail17trampoline_kernelINS0_14default_configENS1_27scan_by_key_config_selectorIiiEEZZNS1_16scan_by_key_implILNS1_25lookback_scan_determinismE0ELb1ES3_N6thrust23THRUST_200600_302600_NS6detail15normal_iteratorINS9_10device_ptrIiEEEESE_SE_iNS9_10multipliesIiEENS9_8equal_toIiEEiEE10hipError_tPvRmT2_T3_T4_T5_mT6_T7_P12ihipStream_tbENKUlT_T0_E_clISt17integral_constantIbLb1EESY_IbLb0EEEEDaSU_SV_EUlSU_E_NS1_11comp_targetILNS1_3genE3ELNS1_11target_archE908ELNS1_3gpuE7ELNS1_3repE0EEENS1_30default_config_static_selectorELNS0_4arch9wavefront6targetE1EEEvT1_
	.p2align	8
	.type	_ZN7rocprim17ROCPRIM_400000_NS6detail17trampoline_kernelINS0_14default_configENS1_27scan_by_key_config_selectorIiiEEZZNS1_16scan_by_key_implILNS1_25lookback_scan_determinismE0ELb1ES3_N6thrust23THRUST_200600_302600_NS6detail15normal_iteratorINS9_10device_ptrIiEEEESE_SE_iNS9_10multipliesIiEENS9_8equal_toIiEEiEE10hipError_tPvRmT2_T3_T4_T5_mT6_T7_P12ihipStream_tbENKUlT_T0_E_clISt17integral_constantIbLb1EESY_IbLb0EEEEDaSU_SV_EUlSU_E_NS1_11comp_targetILNS1_3genE3ELNS1_11target_archE908ELNS1_3gpuE7ELNS1_3repE0EEENS1_30default_config_static_selectorELNS0_4arch9wavefront6targetE1EEEvT1_,@function
_ZN7rocprim17ROCPRIM_400000_NS6detail17trampoline_kernelINS0_14default_configENS1_27scan_by_key_config_selectorIiiEEZZNS1_16scan_by_key_implILNS1_25lookback_scan_determinismE0ELb1ES3_N6thrust23THRUST_200600_302600_NS6detail15normal_iteratorINS9_10device_ptrIiEEEESE_SE_iNS9_10multipliesIiEENS9_8equal_toIiEEiEE10hipError_tPvRmT2_T3_T4_T5_mT6_T7_P12ihipStream_tbENKUlT_T0_E_clISt17integral_constantIbLb1EESY_IbLb0EEEEDaSU_SV_EUlSU_E_NS1_11comp_targetILNS1_3genE3ELNS1_11target_archE908ELNS1_3gpuE7ELNS1_3repE0EEENS1_30default_config_static_selectorELNS0_4arch9wavefront6targetE1EEEvT1_: ; @_ZN7rocprim17ROCPRIM_400000_NS6detail17trampoline_kernelINS0_14default_configENS1_27scan_by_key_config_selectorIiiEEZZNS1_16scan_by_key_implILNS1_25lookback_scan_determinismE0ELb1ES3_N6thrust23THRUST_200600_302600_NS6detail15normal_iteratorINS9_10device_ptrIiEEEESE_SE_iNS9_10multipliesIiEENS9_8equal_toIiEEiEE10hipError_tPvRmT2_T3_T4_T5_mT6_T7_P12ihipStream_tbENKUlT_T0_E_clISt17integral_constantIbLb1EESY_IbLb0EEEEDaSU_SV_EUlSU_E_NS1_11comp_targetILNS1_3genE3ELNS1_11target_archE908ELNS1_3gpuE7ELNS1_3repE0EEENS1_30default_config_static_selectorELNS0_4arch9wavefront6targetE1EEEvT1_
; %bb.0:
	.section	.rodata,"a",@progbits
	.p2align	6, 0x0
	.amdhsa_kernel _ZN7rocprim17ROCPRIM_400000_NS6detail17trampoline_kernelINS0_14default_configENS1_27scan_by_key_config_selectorIiiEEZZNS1_16scan_by_key_implILNS1_25lookback_scan_determinismE0ELb1ES3_N6thrust23THRUST_200600_302600_NS6detail15normal_iteratorINS9_10device_ptrIiEEEESE_SE_iNS9_10multipliesIiEENS9_8equal_toIiEEiEE10hipError_tPvRmT2_T3_T4_T5_mT6_T7_P12ihipStream_tbENKUlT_T0_E_clISt17integral_constantIbLb1EESY_IbLb0EEEEDaSU_SV_EUlSU_E_NS1_11comp_targetILNS1_3genE3ELNS1_11target_archE908ELNS1_3gpuE7ELNS1_3repE0EEENS1_30default_config_static_selectorELNS0_4arch9wavefront6targetE1EEEvT1_
		.amdhsa_group_segment_fixed_size 0
		.amdhsa_private_segment_fixed_size 0
		.amdhsa_kernarg_size 112
		.amdhsa_user_sgpr_count 6
		.amdhsa_user_sgpr_private_segment_buffer 1
		.amdhsa_user_sgpr_dispatch_ptr 0
		.amdhsa_user_sgpr_queue_ptr 0
		.amdhsa_user_sgpr_kernarg_segment_ptr 1
		.amdhsa_user_sgpr_dispatch_id 0
		.amdhsa_user_sgpr_flat_scratch_init 0
		.amdhsa_user_sgpr_kernarg_preload_length 0
		.amdhsa_user_sgpr_kernarg_preload_offset 0
		.amdhsa_user_sgpr_private_segment_size 0
		.amdhsa_uses_dynamic_stack 0
		.amdhsa_system_sgpr_private_segment_wavefront_offset 0
		.amdhsa_system_sgpr_workgroup_id_x 1
		.amdhsa_system_sgpr_workgroup_id_y 0
		.amdhsa_system_sgpr_workgroup_id_z 0
		.amdhsa_system_sgpr_workgroup_info 0
		.amdhsa_system_vgpr_workitem_id 0
		.amdhsa_next_free_vgpr 1
		.amdhsa_next_free_sgpr 0
		.amdhsa_accum_offset 4
		.amdhsa_reserve_vcc 0
		.amdhsa_reserve_flat_scratch 0
		.amdhsa_float_round_mode_32 0
		.amdhsa_float_round_mode_16_64 0
		.amdhsa_float_denorm_mode_32 3
		.amdhsa_float_denorm_mode_16_64 3
		.amdhsa_dx10_clamp 1
		.amdhsa_ieee_mode 1
		.amdhsa_fp16_overflow 0
		.amdhsa_tg_split 0
		.amdhsa_exception_fp_ieee_invalid_op 0
		.amdhsa_exception_fp_denorm_src 0
		.amdhsa_exception_fp_ieee_div_zero 0
		.amdhsa_exception_fp_ieee_overflow 0
		.amdhsa_exception_fp_ieee_underflow 0
		.amdhsa_exception_fp_ieee_inexact 0
		.amdhsa_exception_int_div_zero 0
	.end_amdhsa_kernel
	.section	.text._ZN7rocprim17ROCPRIM_400000_NS6detail17trampoline_kernelINS0_14default_configENS1_27scan_by_key_config_selectorIiiEEZZNS1_16scan_by_key_implILNS1_25lookback_scan_determinismE0ELb1ES3_N6thrust23THRUST_200600_302600_NS6detail15normal_iteratorINS9_10device_ptrIiEEEESE_SE_iNS9_10multipliesIiEENS9_8equal_toIiEEiEE10hipError_tPvRmT2_T3_T4_T5_mT6_T7_P12ihipStream_tbENKUlT_T0_E_clISt17integral_constantIbLb1EESY_IbLb0EEEEDaSU_SV_EUlSU_E_NS1_11comp_targetILNS1_3genE3ELNS1_11target_archE908ELNS1_3gpuE7ELNS1_3repE0EEENS1_30default_config_static_selectorELNS0_4arch9wavefront6targetE1EEEvT1_,"axG",@progbits,_ZN7rocprim17ROCPRIM_400000_NS6detail17trampoline_kernelINS0_14default_configENS1_27scan_by_key_config_selectorIiiEEZZNS1_16scan_by_key_implILNS1_25lookback_scan_determinismE0ELb1ES3_N6thrust23THRUST_200600_302600_NS6detail15normal_iteratorINS9_10device_ptrIiEEEESE_SE_iNS9_10multipliesIiEENS9_8equal_toIiEEiEE10hipError_tPvRmT2_T3_T4_T5_mT6_T7_P12ihipStream_tbENKUlT_T0_E_clISt17integral_constantIbLb1EESY_IbLb0EEEEDaSU_SV_EUlSU_E_NS1_11comp_targetILNS1_3genE3ELNS1_11target_archE908ELNS1_3gpuE7ELNS1_3repE0EEENS1_30default_config_static_selectorELNS0_4arch9wavefront6targetE1EEEvT1_,comdat
.Lfunc_end519:
	.size	_ZN7rocprim17ROCPRIM_400000_NS6detail17trampoline_kernelINS0_14default_configENS1_27scan_by_key_config_selectorIiiEEZZNS1_16scan_by_key_implILNS1_25lookback_scan_determinismE0ELb1ES3_N6thrust23THRUST_200600_302600_NS6detail15normal_iteratorINS9_10device_ptrIiEEEESE_SE_iNS9_10multipliesIiEENS9_8equal_toIiEEiEE10hipError_tPvRmT2_T3_T4_T5_mT6_T7_P12ihipStream_tbENKUlT_T0_E_clISt17integral_constantIbLb1EESY_IbLb0EEEEDaSU_SV_EUlSU_E_NS1_11comp_targetILNS1_3genE3ELNS1_11target_archE908ELNS1_3gpuE7ELNS1_3repE0EEENS1_30default_config_static_selectorELNS0_4arch9wavefront6targetE1EEEvT1_, .Lfunc_end519-_ZN7rocprim17ROCPRIM_400000_NS6detail17trampoline_kernelINS0_14default_configENS1_27scan_by_key_config_selectorIiiEEZZNS1_16scan_by_key_implILNS1_25lookback_scan_determinismE0ELb1ES3_N6thrust23THRUST_200600_302600_NS6detail15normal_iteratorINS9_10device_ptrIiEEEESE_SE_iNS9_10multipliesIiEENS9_8equal_toIiEEiEE10hipError_tPvRmT2_T3_T4_T5_mT6_T7_P12ihipStream_tbENKUlT_T0_E_clISt17integral_constantIbLb1EESY_IbLb0EEEEDaSU_SV_EUlSU_E_NS1_11comp_targetILNS1_3genE3ELNS1_11target_archE908ELNS1_3gpuE7ELNS1_3repE0EEENS1_30default_config_static_selectorELNS0_4arch9wavefront6targetE1EEEvT1_
                                        ; -- End function
	.section	.AMDGPU.csdata,"",@progbits
; Kernel info:
; codeLenInByte = 0
; NumSgprs: 4
; NumVgprs: 0
; NumAgprs: 0
; TotalNumVgprs: 0
; ScratchSize: 0
; MemoryBound: 0
; FloatMode: 240
; IeeeMode: 1
; LDSByteSize: 0 bytes/workgroup (compile time only)
; SGPRBlocks: 0
; VGPRBlocks: 0
; NumSGPRsForWavesPerEU: 4
; NumVGPRsForWavesPerEU: 1
; AccumOffset: 4
; Occupancy: 8
; WaveLimiterHint : 0
; COMPUTE_PGM_RSRC2:SCRATCH_EN: 0
; COMPUTE_PGM_RSRC2:USER_SGPR: 6
; COMPUTE_PGM_RSRC2:TRAP_HANDLER: 0
; COMPUTE_PGM_RSRC2:TGID_X_EN: 1
; COMPUTE_PGM_RSRC2:TGID_Y_EN: 0
; COMPUTE_PGM_RSRC2:TGID_Z_EN: 0
; COMPUTE_PGM_RSRC2:TIDIG_COMP_CNT: 0
; COMPUTE_PGM_RSRC3_GFX90A:ACCUM_OFFSET: 0
; COMPUTE_PGM_RSRC3_GFX90A:TG_SPLIT: 0
	.section	.text._ZN7rocprim17ROCPRIM_400000_NS6detail17trampoline_kernelINS0_14default_configENS1_27scan_by_key_config_selectorIiiEEZZNS1_16scan_by_key_implILNS1_25lookback_scan_determinismE0ELb1ES3_N6thrust23THRUST_200600_302600_NS6detail15normal_iteratorINS9_10device_ptrIiEEEESE_SE_iNS9_10multipliesIiEENS9_8equal_toIiEEiEE10hipError_tPvRmT2_T3_T4_T5_mT6_T7_P12ihipStream_tbENKUlT_T0_E_clISt17integral_constantIbLb1EESY_IbLb0EEEEDaSU_SV_EUlSU_E_NS1_11comp_targetILNS1_3genE2ELNS1_11target_archE906ELNS1_3gpuE6ELNS1_3repE0EEENS1_30default_config_static_selectorELNS0_4arch9wavefront6targetE1EEEvT1_,"axG",@progbits,_ZN7rocprim17ROCPRIM_400000_NS6detail17trampoline_kernelINS0_14default_configENS1_27scan_by_key_config_selectorIiiEEZZNS1_16scan_by_key_implILNS1_25lookback_scan_determinismE0ELb1ES3_N6thrust23THRUST_200600_302600_NS6detail15normal_iteratorINS9_10device_ptrIiEEEESE_SE_iNS9_10multipliesIiEENS9_8equal_toIiEEiEE10hipError_tPvRmT2_T3_T4_T5_mT6_T7_P12ihipStream_tbENKUlT_T0_E_clISt17integral_constantIbLb1EESY_IbLb0EEEEDaSU_SV_EUlSU_E_NS1_11comp_targetILNS1_3genE2ELNS1_11target_archE906ELNS1_3gpuE6ELNS1_3repE0EEENS1_30default_config_static_selectorELNS0_4arch9wavefront6targetE1EEEvT1_,comdat
	.protected	_ZN7rocprim17ROCPRIM_400000_NS6detail17trampoline_kernelINS0_14default_configENS1_27scan_by_key_config_selectorIiiEEZZNS1_16scan_by_key_implILNS1_25lookback_scan_determinismE0ELb1ES3_N6thrust23THRUST_200600_302600_NS6detail15normal_iteratorINS9_10device_ptrIiEEEESE_SE_iNS9_10multipliesIiEENS9_8equal_toIiEEiEE10hipError_tPvRmT2_T3_T4_T5_mT6_T7_P12ihipStream_tbENKUlT_T0_E_clISt17integral_constantIbLb1EESY_IbLb0EEEEDaSU_SV_EUlSU_E_NS1_11comp_targetILNS1_3genE2ELNS1_11target_archE906ELNS1_3gpuE6ELNS1_3repE0EEENS1_30default_config_static_selectorELNS0_4arch9wavefront6targetE1EEEvT1_ ; -- Begin function _ZN7rocprim17ROCPRIM_400000_NS6detail17trampoline_kernelINS0_14default_configENS1_27scan_by_key_config_selectorIiiEEZZNS1_16scan_by_key_implILNS1_25lookback_scan_determinismE0ELb1ES3_N6thrust23THRUST_200600_302600_NS6detail15normal_iteratorINS9_10device_ptrIiEEEESE_SE_iNS9_10multipliesIiEENS9_8equal_toIiEEiEE10hipError_tPvRmT2_T3_T4_T5_mT6_T7_P12ihipStream_tbENKUlT_T0_E_clISt17integral_constantIbLb1EESY_IbLb0EEEEDaSU_SV_EUlSU_E_NS1_11comp_targetILNS1_3genE2ELNS1_11target_archE906ELNS1_3gpuE6ELNS1_3repE0EEENS1_30default_config_static_selectorELNS0_4arch9wavefront6targetE1EEEvT1_
	.globl	_ZN7rocprim17ROCPRIM_400000_NS6detail17trampoline_kernelINS0_14default_configENS1_27scan_by_key_config_selectorIiiEEZZNS1_16scan_by_key_implILNS1_25lookback_scan_determinismE0ELb1ES3_N6thrust23THRUST_200600_302600_NS6detail15normal_iteratorINS9_10device_ptrIiEEEESE_SE_iNS9_10multipliesIiEENS9_8equal_toIiEEiEE10hipError_tPvRmT2_T3_T4_T5_mT6_T7_P12ihipStream_tbENKUlT_T0_E_clISt17integral_constantIbLb1EESY_IbLb0EEEEDaSU_SV_EUlSU_E_NS1_11comp_targetILNS1_3genE2ELNS1_11target_archE906ELNS1_3gpuE6ELNS1_3repE0EEENS1_30default_config_static_selectorELNS0_4arch9wavefront6targetE1EEEvT1_
	.p2align	8
	.type	_ZN7rocprim17ROCPRIM_400000_NS6detail17trampoline_kernelINS0_14default_configENS1_27scan_by_key_config_selectorIiiEEZZNS1_16scan_by_key_implILNS1_25lookback_scan_determinismE0ELb1ES3_N6thrust23THRUST_200600_302600_NS6detail15normal_iteratorINS9_10device_ptrIiEEEESE_SE_iNS9_10multipliesIiEENS9_8equal_toIiEEiEE10hipError_tPvRmT2_T3_T4_T5_mT6_T7_P12ihipStream_tbENKUlT_T0_E_clISt17integral_constantIbLb1EESY_IbLb0EEEEDaSU_SV_EUlSU_E_NS1_11comp_targetILNS1_3genE2ELNS1_11target_archE906ELNS1_3gpuE6ELNS1_3repE0EEENS1_30default_config_static_selectorELNS0_4arch9wavefront6targetE1EEEvT1_,@function
_ZN7rocprim17ROCPRIM_400000_NS6detail17trampoline_kernelINS0_14default_configENS1_27scan_by_key_config_selectorIiiEEZZNS1_16scan_by_key_implILNS1_25lookback_scan_determinismE0ELb1ES3_N6thrust23THRUST_200600_302600_NS6detail15normal_iteratorINS9_10device_ptrIiEEEESE_SE_iNS9_10multipliesIiEENS9_8equal_toIiEEiEE10hipError_tPvRmT2_T3_T4_T5_mT6_T7_P12ihipStream_tbENKUlT_T0_E_clISt17integral_constantIbLb1EESY_IbLb0EEEEDaSU_SV_EUlSU_E_NS1_11comp_targetILNS1_3genE2ELNS1_11target_archE906ELNS1_3gpuE6ELNS1_3repE0EEENS1_30default_config_static_selectorELNS0_4arch9wavefront6targetE1EEEvT1_: ; @_ZN7rocprim17ROCPRIM_400000_NS6detail17trampoline_kernelINS0_14default_configENS1_27scan_by_key_config_selectorIiiEEZZNS1_16scan_by_key_implILNS1_25lookback_scan_determinismE0ELb1ES3_N6thrust23THRUST_200600_302600_NS6detail15normal_iteratorINS9_10device_ptrIiEEEESE_SE_iNS9_10multipliesIiEENS9_8equal_toIiEEiEE10hipError_tPvRmT2_T3_T4_T5_mT6_T7_P12ihipStream_tbENKUlT_T0_E_clISt17integral_constantIbLb1EESY_IbLb0EEEEDaSU_SV_EUlSU_E_NS1_11comp_targetILNS1_3genE2ELNS1_11target_archE906ELNS1_3gpuE6ELNS1_3repE0EEENS1_30default_config_static_selectorELNS0_4arch9wavefront6targetE1EEEvT1_
; %bb.0:
	.section	.rodata,"a",@progbits
	.p2align	6, 0x0
	.amdhsa_kernel _ZN7rocprim17ROCPRIM_400000_NS6detail17trampoline_kernelINS0_14default_configENS1_27scan_by_key_config_selectorIiiEEZZNS1_16scan_by_key_implILNS1_25lookback_scan_determinismE0ELb1ES3_N6thrust23THRUST_200600_302600_NS6detail15normal_iteratorINS9_10device_ptrIiEEEESE_SE_iNS9_10multipliesIiEENS9_8equal_toIiEEiEE10hipError_tPvRmT2_T3_T4_T5_mT6_T7_P12ihipStream_tbENKUlT_T0_E_clISt17integral_constantIbLb1EESY_IbLb0EEEEDaSU_SV_EUlSU_E_NS1_11comp_targetILNS1_3genE2ELNS1_11target_archE906ELNS1_3gpuE6ELNS1_3repE0EEENS1_30default_config_static_selectorELNS0_4arch9wavefront6targetE1EEEvT1_
		.amdhsa_group_segment_fixed_size 0
		.amdhsa_private_segment_fixed_size 0
		.amdhsa_kernarg_size 112
		.amdhsa_user_sgpr_count 6
		.amdhsa_user_sgpr_private_segment_buffer 1
		.amdhsa_user_sgpr_dispatch_ptr 0
		.amdhsa_user_sgpr_queue_ptr 0
		.amdhsa_user_sgpr_kernarg_segment_ptr 1
		.amdhsa_user_sgpr_dispatch_id 0
		.amdhsa_user_sgpr_flat_scratch_init 0
		.amdhsa_user_sgpr_kernarg_preload_length 0
		.amdhsa_user_sgpr_kernarg_preload_offset 0
		.amdhsa_user_sgpr_private_segment_size 0
		.amdhsa_uses_dynamic_stack 0
		.amdhsa_system_sgpr_private_segment_wavefront_offset 0
		.amdhsa_system_sgpr_workgroup_id_x 1
		.amdhsa_system_sgpr_workgroup_id_y 0
		.amdhsa_system_sgpr_workgroup_id_z 0
		.amdhsa_system_sgpr_workgroup_info 0
		.amdhsa_system_vgpr_workitem_id 0
		.amdhsa_next_free_vgpr 1
		.amdhsa_next_free_sgpr 0
		.amdhsa_accum_offset 4
		.amdhsa_reserve_vcc 0
		.amdhsa_reserve_flat_scratch 0
		.amdhsa_float_round_mode_32 0
		.amdhsa_float_round_mode_16_64 0
		.amdhsa_float_denorm_mode_32 3
		.amdhsa_float_denorm_mode_16_64 3
		.amdhsa_dx10_clamp 1
		.amdhsa_ieee_mode 1
		.amdhsa_fp16_overflow 0
		.amdhsa_tg_split 0
		.amdhsa_exception_fp_ieee_invalid_op 0
		.amdhsa_exception_fp_denorm_src 0
		.amdhsa_exception_fp_ieee_div_zero 0
		.amdhsa_exception_fp_ieee_overflow 0
		.amdhsa_exception_fp_ieee_underflow 0
		.amdhsa_exception_fp_ieee_inexact 0
		.amdhsa_exception_int_div_zero 0
	.end_amdhsa_kernel
	.section	.text._ZN7rocprim17ROCPRIM_400000_NS6detail17trampoline_kernelINS0_14default_configENS1_27scan_by_key_config_selectorIiiEEZZNS1_16scan_by_key_implILNS1_25lookback_scan_determinismE0ELb1ES3_N6thrust23THRUST_200600_302600_NS6detail15normal_iteratorINS9_10device_ptrIiEEEESE_SE_iNS9_10multipliesIiEENS9_8equal_toIiEEiEE10hipError_tPvRmT2_T3_T4_T5_mT6_T7_P12ihipStream_tbENKUlT_T0_E_clISt17integral_constantIbLb1EESY_IbLb0EEEEDaSU_SV_EUlSU_E_NS1_11comp_targetILNS1_3genE2ELNS1_11target_archE906ELNS1_3gpuE6ELNS1_3repE0EEENS1_30default_config_static_selectorELNS0_4arch9wavefront6targetE1EEEvT1_,"axG",@progbits,_ZN7rocprim17ROCPRIM_400000_NS6detail17trampoline_kernelINS0_14default_configENS1_27scan_by_key_config_selectorIiiEEZZNS1_16scan_by_key_implILNS1_25lookback_scan_determinismE0ELb1ES3_N6thrust23THRUST_200600_302600_NS6detail15normal_iteratorINS9_10device_ptrIiEEEESE_SE_iNS9_10multipliesIiEENS9_8equal_toIiEEiEE10hipError_tPvRmT2_T3_T4_T5_mT6_T7_P12ihipStream_tbENKUlT_T0_E_clISt17integral_constantIbLb1EESY_IbLb0EEEEDaSU_SV_EUlSU_E_NS1_11comp_targetILNS1_3genE2ELNS1_11target_archE906ELNS1_3gpuE6ELNS1_3repE0EEENS1_30default_config_static_selectorELNS0_4arch9wavefront6targetE1EEEvT1_,comdat
.Lfunc_end520:
	.size	_ZN7rocprim17ROCPRIM_400000_NS6detail17trampoline_kernelINS0_14default_configENS1_27scan_by_key_config_selectorIiiEEZZNS1_16scan_by_key_implILNS1_25lookback_scan_determinismE0ELb1ES3_N6thrust23THRUST_200600_302600_NS6detail15normal_iteratorINS9_10device_ptrIiEEEESE_SE_iNS9_10multipliesIiEENS9_8equal_toIiEEiEE10hipError_tPvRmT2_T3_T4_T5_mT6_T7_P12ihipStream_tbENKUlT_T0_E_clISt17integral_constantIbLb1EESY_IbLb0EEEEDaSU_SV_EUlSU_E_NS1_11comp_targetILNS1_3genE2ELNS1_11target_archE906ELNS1_3gpuE6ELNS1_3repE0EEENS1_30default_config_static_selectorELNS0_4arch9wavefront6targetE1EEEvT1_, .Lfunc_end520-_ZN7rocprim17ROCPRIM_400000_NS6detail17trampoline_kernelINS0_14default_configENS1_27scan_by_key_config_selectorIiiEEZZNS1_16scan_by_key_implILNS1_25lookback_scan_determinismE0ELb1ES3_N6thrust23THRUST_200600_302600_NS6detail15normal_iteratorINS9_10device_ptrIiEEEESE_SE_iNS9_10multipliesIiEENS9_8equal_toIiEEiEE10hipError_tPvRmT2_T3_T4_T5_mT6_T7_P12ihipStream_tbENKUlT_T0_E_clISt17integral_constantIbLb1EESY_IbLb0EEEEDaSU_SV_EUlSU_E_NS1_11comp_targetILNS1_3genE2ELNS1_11target_archE906ELNS1_3gpuE6ELNS1_3repE0EEENS1_30default_config_static_selectorELNS0_4arch9wavefront6targetE1EEEvT1_
                                        ; -- End function
	.section	.AMDGPU.csdata,"",@progbits
; Kernel info:
; codeLenInByte = 0
; NumSgprs: 4
; NumVgprs: 0
; NumAgprs: 0
; TotalNumVgprs: 0
; ScratchSize: 0
; MemoryBound: 0
; FloatMode: 240
; IeeeMode: 1
; LDSByteSize: 0 bytes/workgroup (compile time only)
; SGPRBlocks: 0
; VGPRBlocks: 0
; NumSGPRsForWavesPerEU: 4
; NumVGPRsForWavesPerEU: 1
; AccumOffset: 4
; Occupancy: 8
; WaveLimiterHint : 0
; COMPUTE_PGM_RSRC2:SCRATCH_EN: 0
; COMPUTE_PGM_RSRC2:USER_SGPR: 6
; COMPUTE_PGM_RSRC2:TRAP_HANDLER: 0
; COMPUTE_PGM_RSRC2:TGID_X_EN: 1
; COMPUTE_PGM_RSRC2:TGID_Y_EN: 0
; COMPUTE_PGM_RSRC2:TGID_Z_EN: 0
; COMPUTE_PGM_RSRC2:TIDIG_COMP_CNT: 0
; COMPUTE_PGM_RSRC3_GFX90A:ACCUM_OFFSET: 0
; COMPUTE_PGM_RSRC3_GFX90A:TG_SPLIT: 0
	.section	.text._ZN7rocprim17ROCPRIM_400000_NS6detail17trampoline_kernelINS0_14default_configENS1_27scan_by_key_config_selectorIiiEEZZNS1_16scan_by_key_implILNS1_25lookback_scan_determinismE0ELb1ES3_N6thrust23THRUST_200600_302600_NS6detail15normal_iteratorINS9_10device_ptrIiEEEESE_SE_iNS9_10multipliesIiEENS9_8equal_toIiEEiEE10hipError_tPvRmT2_T3_T4_T5_mT6_T7_P12ihipStream_tbENKUlT_T0_E_clISt17integral_constantIbLb1EESY_IbLb0EEEEDaSU_SV_EUlSU_E_NS1_11comp_targetILNS1_3genE10ELNS1_11target_archE1200ELNS1_3gpuE4ELNS1_3repE0EEENS1_30default_config_static_selectorELNS0_4arch9wavefront6targetE1EEEvT1_,"axG",@progbits,_ZN7rocprim17ROCPRIM_400000_NS6detail17trampoline_kernelINS0_14default_configENS1_27scan_by_key_config_selectorIiiEEZZNS1_16scan_by_key_implILNS1_25lookback_scan_determinismE0ELb1ES3_N6thrust23THRUST_200600_302600_NS6detail15normal_iteratorINS9_10device_ptrIiEEEESE_SE_iNS9_10multipliesIiEENS9_8equal_toIiEEiEE10hipError_tPvRmT2_T3_T4_T5_mT6_T7_P12ihipStream_tbENKUlT_T0_E_clISt17integral_constantIbLb1EESY_IbLb0EEEEDaSU_SV_EUlSU_E_NS1_11comp_targetILNS1_3genE10ELNS1_11target_archE1200ELNS1_3gpuE4ELNS1_3repE0EEENS1_30default_config_static_selectorELNS0_4arch9wavefront6targetE1EEEvT1_,comdat
	.protected	_ZN7rocprim17ROCPRIM_400000_NS6detail17trampoline_kernelINS0_14default_configENS1_27scan_by_key_config_selectorIiiEEZZNS1_16scan_by_key_implILNS1_25lookback_scan_determinismE0ELb1ES3_N6thrust23THRUST_200600_302600_NS6detail15normal_iteratorINS9_10device_ptrIiEEEESE_SE_iNS9_10multipliesIiEENS9_8equal_toIiEEiEE10hipError_tPvRmT2_T3_T4_T5_mT6_T7_P12ihipStream_tbENKUlT_T0_E_clISt17integral_constantIbLb1EESY_IbLb0EEEEDaSU_SV_EUlSU_E_NS1_11comp_targetILNS1_3genE10ELNS1_11target_archE1200ELNS1_3gpuE4ELNS1_3repE0EEENS1_30default_config_static_selectorELNS0_4arch9wavefront6targetE1EEEvT1_ ; -- Begin function _ZN7rocprim17ROCPRIM_400000_NS6detail17trampoline_kernelINS0_14default_configENS1_27scan_by_key_config_selectorIiiEEZZNS1_16scan_by_key_implILNS1_25lookback_scan_determinismE0ELb1ES3_N6thrust23THRUST_200600_302600_NS6detail15normal_iteratorINS9_10device_ptrIiEEEESE_SE_iNS9_10multipliesIiEENS9_8equal_toIiEEiEE10hipError_tPvRmT2_T3_T4_T5_mT6_T7_P12ihipStream_tbENKUlT_T0_E_clISt17integral_constantIbLb1EESY_IbLb0EEEEDaSU_SV_EUlSU_E_NS1_11comp_targetILNS1_3genE10ELNS1_11target_archE1200ELNS1_3gpuE4ELNS1_3repE0EEENS1_30default_config_static_selectorELNS0_4arch9wavefront6targetE1EEEvT1_
	.globl	_ZN7rocprim17ROCPRIM_400000_NS6detail17trampoline_kernelINS0_14default_configENS1_27scan_by_key_config_selectorIiiEEZZNS1_16scan_by_key_implILNS1_25lookback_scan_determinismE0ELb1ES3_N6thrust23THRUST_200600_302600_NS6detail15normal_iteratorINS9_10device_ptrIiEEEESE_SE_iNS9_10multipliesIiEENS9_8equal_toIiEEiEE10hipError_tPvRmT2_T3_T4_T5_mT6_T7_P12ihipStream_tbENKUlT_T0_E_clISt17integral_constantIbLb1EESY_IbLb0EEEEDaSU_SV_EUlSU_E_NS1_11comp_targetILNS1_3genE10ELNS1_11target_archE1200ELNS1_3gpuE4ELNS1_3repE0EEENS1_30default_config_static_selectorELNS0_4arch9wavefront6targetE1EEEvT1_
	.p2align	8
	.type	_ZN7rocprim17ROCPRIM_400000_NS6detail17trampoline_kernelINS0_14default_configENS1_27scan_by_key_config_selectorIiiEEZZNS1_16scan_by_key_implILNS1_25lookback_scan_determinismE0ELb1ES3_N6thrust23THRUST_200600_302600_NS6detail15normal_iteratorINS9_10device_ptrIiEEEESE_SE_iNS9_10multipliesIiEENS9_8equal_toIiEEiEE10hipError_tPvRmT2_T3_T4_T5_mT6_T7_P12ihipStream_tbENKUlT_T0_E_clISt17integral_constantIbLb1EESY_IbLb0EEEEDaSU_SV_EUlSU_E_NS1_11comp_targetILNS1_3genE10ELNS1_11target_archE1200ELNS1_3gpuE4ELNS1_3repE0EEENS1_30default_config_static_selectorELNS0_4arch9wavefront6targetE1EEEvT1_,@function
_ZN7rocprim17ROCPRIM_400000_NS6detail17trampoline_kernelINS0_14default_configENS1_27scan_by_key_config_selectorIiiEEZZNS1_16scan_by_key_implILNS1_25lookback_scan_determinismE0ELb1ES3_N6thrust23THRUST_200600_302600_NS6detail15normal_iteratorINS9_10device_ptrIiEEEESE_SE_iNS9_10multipliesIiEENS9_8equal_toIiEEiEE10hipError_tPvRmT2_T3_T4_T5_mT6_T7_P12ihipStream_tbENKUlT_T0_E_clISt17integral_constantIbLb1EESY_IbLb0EEEEDaSU_SV_EUlSU_E_NS1_11comp_targetILNS1_3genE10ELNS1_11target_archE1200ELNS1_3gpuE4ELNS1_3repE0EEENS1_30default_config_static_selectorELNS0_4arch9wavefront6targetE1EEEvT1_: ; @_ZN7rocprim17ROCPRIM_400000_NS6detail17trampoline_kernelINS0_14default_configENS1_27scan_by_key_config_selectorIiiEEZZNS1_16scan_by_key_implILNS1_25lookback_scan_determinismE0ELb1ES3_N6thrust23THRUST_200600_302600_NS6detail15normal_iteratorINS9_10device_ptrIiEEEESE_SE_iNS9_10multipliesIiEENS9_8equal_toIiEEiEE10hipError_tPvRmT2_T3_T4_T5_mT6_T7_P12ihipStream_tbENKUlT_T0_E_clISt17integral_constantIbLb1EESY_IbLb0EEEEDaSU_SV_EUlSU_E_NS1_11comp_targetILNS1_3genE10ELNS1_11target_archE1200ELNS1_3gpuE4ELNS1_3repE0EEENS1_30default_config_static_selectorELNS0_4arch9wavefront6targetE1EEEvT1_
; %bb.0:
	.section	.rodata,"a",@progbits
	.p2align	6, 0x0
	.amdhsa_kernel _ZN7rocprim17ROCPRIM_400000_NS6detail17trampoline_kernelINS0_14default_configENS1_27scan_by_key_config_selectorIiiEEZZNS1_16scan_by_key_implILNS1_25lookback_scan_determinismE0ELb1ES3_N6thrust23THRUST_200600_302600_NS6detail15normal_iteratorINS9_10device_ptrIiEEEESE_SE_iNS9_10multipliesIiEENS9_8equal_toIiEEiEE10hipError_tPvRmT2_T3_T4_T5_mT6_T7_P12ihipStream_tbENKUlT_T0_E_clISt17integral_constantIbLb1EESY_IbLb0EEEEDaSU_SV_EUlSU_E_NS1_11comp_targetILNS1_3genE10ELNS1_11target_archE1200ELNS1_3gpuE4ELNS1_3repE0EEENS1_30default_config_static_selectorELNS0_4arch9wavefront6targetE1EEEvT1_
		.amdhsa_group_segment_fixed_size 0
		.amdhsa_private_segment_fixed_size 0
		.amdhsa_kernarg_size 112
		.amdhsa_user_sgpr_count 6
		.amdhsa_user_sgpr_private_segment_buffer 1
		.amdhsa_user_sgpr_dispatch_ptr 0
		.amdhsa_user_sgpr_queue_ptr 0
		.amdhsa_user_sgpr_kernarg_segment_ptr 1
		.amdhsa_user_sgpr_dispatch_id 0
		.amdhsa_user_sgpr_flat_scratch_init 0
		.amdhsa_user_sgpr_kernarg_preload_length 0
		.amdhsa_user_sgpr_kernarg_preload_offset 0
		.amdhsa_user_sgpr_private_segment_size 0
		.amdhsa_uses_dynamic_stack 0
		.amdhsa_system_sgpr_private_segment_wavefront_offset 0
		.amdhsa_system_sgpr_workgroup_id_x 1
		.amdhsa_system_sgpr_workgroup_id_y 0
		.amdhsa_system_sgpr_workgroup_id_z 0
		.amdhsa_system_sgpr_workgroup_info 0
		.amdhsa_system_vgpr_workitem_id 0
		.amdhsa_next_free_vgpr 1
		.amdhsa_next_free_sgpr 0
		.amdhsa_accum_offset 4
		.amdhsa_reserve_vcc 0
		.amdhsa_reserve_flat_scratch 0
		.amdhsa_float_round_mode_32 0
		.amdhsa_float_round_mode_16_64 0
		.amdhsa_float_denorm_mode_32 3
		.amdhsa_float_denorm_mode_16_64 3
		.amdhsa_dx10_clamp 1
		.amdhsa_ieee_mode 1
		.amdhsa_fp16_overflow 0
		.amdhsa_tg_split 0
		.amdhsa_exception_fp_ieee_invalid_op 0
		.amdhsa_exception_fp_denorm_src 0
		.amdhsa_exception_fp_ieee_div_zero 0
		.amdhsa_exception_fp_ieee_overflow 0
		.amdhsa_exception_fp_ieee_underflow 0
		.amdhsa_exception_fp_ieee_inexact 0
		.amdhsa_exception_int_div_zero 0
	.end_amdhsa_kernel
	.section	.text._ZN7rocprim17ROCPRIM_400000_NS6detail17trampoline_kernelINS0_14default_configENS1_27scan_by_key_config_selectorIiiEEZZNS1_16scan_by_key_implILNS1_25lookback_scan_determinismE0ELb1ES3_N6thrust23THRUST_200600_302600_NS6detail15normal_iteratorINS9_10device_ptrIiEEEESE_SE_iNS9_10multipliesIiEENS9_8equal_toIiEEiEE10hipError_tPvRmT2_T3_T4_T5_mT6_T7_P12ihipStream_tbENKUlT_T0_E_clISt17integral_constantIbLb1EESY_IbLb0EEEEDaSU_SV_EUlSU_E_NS1_11comp_targetILNS1_3genE10ELNS1_11target_archE1200ELNS1_3gpuE4ELNS1_3repE0EEENS1_30default_config_static_selectorELNS0_4arch9wavefront6targetE1EEEvT1_,"axG",@progbits,_ZN7rocprim17ROCPRIM_400000_NS6detail17trampoline_kernelINS0_14default_configENS1_27scan_by_key_config_selectorIiiEEZZNS1_16scan_by_key_implILNS1_25lookback_scan_determinismE0ELb1ES3_N6thrust23THRUST_200600_302600_NS6detail15normal_iteratorINS9_10device_ptrIiEEEESE_SE_iNS9_10multipliesIiEENS9_8equal_toIiEEiEE10hipError_tPvRmT2_T3_T4_T5_mT6_T7_P12ihipStream_tbENKUlT_T0_E_clISt17integral_constantIbLb1EESY_IbLb0EEEEDaSU_SV_EUlSU_E_NS1_11comp_targetILNS1_3genE10ELNS1_11target_archE1200ELNS1_3gpuE4ELNS1_3repE0EEENS1_30default_config_static_selectorELNS0_4arch9wavefront6targetE1EEEvT1_,comdat
.Lfunc_end521:
	.size	_ZN7rocprim17ROCPRIM_400000_NS6detail17trampoline_kernelINS0_14default_configENS1_27scan_by_key_config_selectorIiiEEZZNS1_16scan_by_key_implILNS1_25lookback_scan_determinismE0ELb1ES3_N6thrust23THRUST_200600_302600_NS6detail15normal_iteratorINS9_10device_ptrIiEEEESE_SE_iNS9_10multipliesIiEENS9_8equal_toIiEEiEE10hipError_tPvRmT2_T3_T4_T5_mT6_T7_P12ihipStream_tbENKUlT_T0_E_clISt17integral_constantIbLb1EESY_IbLb0EEEEDaSU_SV_EUlSU_E_NS1_11comp_targetILNS1_3genE10ELNS1_11target_archE1200ELNS1_3gpuE4ELNS1_3repE0EEENS1_30default_config_static_selectorELNS0_4arch9wavefront6targetE1EEEvT1_, .Lfunc_end521-_ZN7rocprim17ROCPRIM_400000_NS6detail17trampoline_kernelINS0_14default_configENS1_27scan_by_key_config_selectorIiiEEZZNS1_16scan_by_key_implILNS1_25lookback_scan_determinismE0ELb1ES3_N6thrust23THRUST_200600_302600_NS6detail15normal_iteratorINS9_10device_ptrIiEEEESE_SE_iNS9_10multipliesIiEENS9_8equal_toIiEEiEE10hipError_tPvRmT2_T3_T4_T5_mT6_T7_P12ihipStream_tbENKUlT_T0_E_clISt17integral_constantIbLb1EESY_IbLb0EEEEDaSU_SV_EUlSU_E_NS1_11comp_targetILNS1_3genE10ELNS1_11target_archE1200ELNS1_3gpuE4ELNS1_3repE0EEENS1_30default_config_static_selectorELNS0_4arch9wavefront6targetE1EEEvT1_
                                        ; -- End function
	.section	.AMDGPU.csdata,"",@progbits
; Kernel info:
; codeLenInByte = 0
; NumSgprs: 4
; NumVgprs: 0
; NumAgprs: 0
; TotalNumVgprs: 0
; ScratchSize: 0
; MemoryBound: 0
; FloatMode: 240
; IeeeMode: 1
; LDSByteSize: 0 bytes/workgroup (compile time only)
; SGPRBlocks: 0
; VGPRBlocks: 0
; NumSGPRsForWavesPerEU: 4
; NumVGPRsForWavesPerEU: 1
; AccumOffset: 4
; Occupancy: 8
; WaveLimiterHint : 0
; COMPUTE_PGM_RSRC2:SCRATCH_EN: 0
; COMPUTE_PGM_RSRC2:USER_SGPR: 6
; COMPUTE_PGM_RSRC2:TRAP_HANDLER: 0
; COMPUTE_PGM_RSRC2:TGID_X_EN: 1
; COMPUTE_PGM_RSRC2:TGID_Y_EN: 0
; COMPUTE_PGM_RSRC2:TGID_Z_EN: 0
; COMPUTE_PGM_RSRC2:TIDIG_COMP_CNT: 0
; COMPUTE_PGM_RSRC3_GFX90A:ACCUM_OFFSET: 0
; COMPUTE_PGM_RSRC3_GFX90A:TG_SPLIT: 0
	.section	.text._ZN7rocprim17ROCPRIM_400000_NS6detail17trampoline_kernelINS0_14default_configENS1_27scan_by_key_config_selectorIiiEEZZNS1_16scan_by_key_implILNS1_25lookback_scan_determinismE0ELb1ES3_N6thrust23THRUST_200600_302600_NS6detail15normal_iteratorINS9_10device_ptrIiEEEESE_SE_iNS9_10multipliesIiEENS9_8equal_toIiEEiEE10hipError_tPvRmT2_T3_T4_T5_mT6_T7_P12ihipStream_tbENKUlT_T0_E_clISt17integral_constantIbLb1EESY_IbLb0EEEEDaSU_SV_EUlSU_E_NS1_11comp_targetILNS1_3genE9ELNS1_11target_archE1100ELNS1_3gpuE3ELNS1_3repE0EEENS1_30default_config_static_selectorELNS0_4arch9wavefront6targetE1EEEvT1_,"axG",@progbits,_ZN7rocprim17ROCPRIM_400000_NS6detail17trampoline_kernelINS0_14default_configENS1_27scan_by_key_config_selectorIiiEEZZNS1_16scan_by_key_implILNS1_25lookback_scan_determinismE0ELb1ES3_N6thrust23THRUST_200600_302600_NS6detail15normal_iteratorINS9_10device_ptrIiEEEESE_SE_iNS9_10multipliesIiEENS9_8equal_toIiEEiEE10hipError_tPvRmT2_T3_T4_T5_mT6_T7_P12ihipStream_tbENKUlT_T0_E_clISt17integral_constantIbLb1EESY_IbLb0EEEEDaSU_SV_EUlSU_E_NS1_11comp_targetILNS1_3genE9ELNS1_11target_archE1100ELNS1_3gpuE3ELNS1_3repE0EEENS1_30default_config_static_selectorELNS0_4arch9wavefront6targetE1EEEvT1_,comdat
	.protected	_ZN7rocprim17ROCPRIM_400000_NS6detail17trampoline_kernelINS0_14default_configENS1_27scan_by_key_config_selectorIiiEEZZNS1_16scan_by_key_implILNS1_25lookback_scan_determinismE0ELb1ES3_N6thrust23THRUST_200600_302600_NS6detail15normal_iteratorINS9_10device_ptrIiEEEESE_SE_iNS9_10multipliesIiEENS9_8equal_toIiEEiEE10hipError_tPvRmT2_T3_T4_T5_mT6_T7_P12ihipStream_tbENKUlT_T0_E_clISt17integral_constantIbLb1EESY_IbLb0EEEEDaSU_SV_EUlSU_E_NS1_11comp_targetILNS1_3genE9ELNS1_11target_archE1100ELNS1_3gpuE3ELNS1_3repE0EEENS1_30default_config_static_selectorELNS0_4arch9wavefront6targetE1EEEvT1_ ; -- Begin function _ZN7rocprim17ROCPRIM_400000_NS6detail17trampoline_kernelINS0_14default_configENS1_27scan_by_key_config_selectorIiiEEZZNS1_16scan_by_key_implILNS1_25lookback_scan_determinismE0ELb1ES3_N6thrust23THRUST_200600_302600_NS6detail15normal_iteratorINS9_10device_ptrIiEEEESE_SE_iNS9_10multipliesIiEENS9_8equal_toIiEEiEE10hipError_tPvRmT2_T3_T4_T5_mT6_T7_P12ihipStream_tbENKUlT_T0_E_clISt17integral_constantIbLb1EESY_IbLb0EEEEDaSU_SV_EUlSU_E_NS1_11comp_targetILNS1_3genE9ELNS1_11target_archE1100ELNS1_3gpuE3ELNS1_3repE0EEENS1_30default_config_static_selectorELNS0_4arch9wavefront6targetE1EEEvT1_
	.globl	_ZN7rocprim17ROCPRIM_400000_NS6detail17trampoline_kernelINS0_14default_configENS1_27scan_by_key_config_selectorIiiEEZZNS1_16scan_by_key_implILNS1_25lookback_scan_determinismE0ELb1ES3_N6thrust23THRUST_200600_302600_NS6detail15normal_iteratorINS9_10device_ptrIiEEEESE_SE_iNS9_10multipliesIiEENS9_8equal_toIiEEiEE10hipError_tPvRmT2_T3_T4_T5_mT6_T7_P12ihipStream_tbENKUlT_T0_E_clISt17integral_constantIbLb1EESY_IbLb0EEEEDaSU_SV_EUlSU_E_NS1_11comp_targetILNS1_3genE9ELNS1_11target_archE1100ELNS1_3gpuE3ELNS1_3repE0EEENS1_30default_config_static_selectorELNS0_4arch9wavefront6targetE1EEEvT1_
	.p2align	8
	.type	_ZN7rocprim17ROCPRIM_400000_NS6detail17trampoline_kernelINS0_14default_configENS1_27scan_by_key_config_selectorIiiEEZZNS1_16scan_by_key_implILNS1_25lookback_scan_determinismE0ELb1ES3_N6thrust23THRUST_200600_302600_NS6detail15normal_iteratorINS9_10device_ptrIiEEEESE_SE_iNS9_10multipliesIiEENS9_8equal_toIiEEiEE10hipError_tPvRmT2_T3_T4_T5_mT6_T7_P12ihipStream_tbENKUlT_T0_E_clISt17integral_constantIbLb1EESY_IbLb0EEEEDaSU_SV_EUlSU_E_NS1_11comp_targetILNS1_3genE9ELNS1_11target_archE1100ELNS1_3gpuE3ELNS1_3repE0EEENS1_30default_config_static_selectorELNS0_4arch9wavefront6targetE1EEEvT1_,@function
_ZN7rocprim17ROCPRIM_400000_NS6detail17trampoline_kernelINS0_14default_configENS1_27scan_by_key_config_selectorIiiEEZZNS1_16scan_by_key_implILNS1_25lookback_scan_determinismE0ELb1ES3_N6thrust23THRUST_200600_302600_NS6detail15normal_iteratorINS9_10device_ptrIiEEEESE_SE_iNS9_10multipliesIiEENS9_8equal_toIiEEiEE10hipError_tPvRmT2_T3_T4_T5_mT6_T7_P12ihipStream_tbENKUlT_T0_E_clISt17integral_constantIbLb1EESY_IbLb0EEEEDaSU_SV_EUlSU_E_NS1_11comp_targetILNS1_3genE9ELNS1_11target_archE1100ELNS1_3gpuE3ELNS1_3repE0EEENS1_30default_config_static_selectorELNS0_4arch9wavefront6targetE1EEEvT1_: ; @_ZN7rocprim17ROCPRIM_400000_NS6detail17trampoline_kernelINS0_14default_configENS1_27scan_by_key_config_selectorIiiEEZZNS1_16scan_by_key_implILNS1_25lookback_scan_determinismE0ELb1ES3_N6thrust23THRUST_200600_302600_NS6detail15normal_iteratorINS9_10device_ptrIiEEEESE_SE_iNS9_10multipliesIiEENS9_8equal_toIiEEiEE10hipError_tPvRmT2_T3_T4_T5_mT6_T7_P12ihipStream_tbENKUlT_T0_E_clISt17integral_constantIbLb1EESY_IbLb0EEEEDaSU_SV_EUlSU_E_NS1_11comp_targetILNS1_3genE9ELNS1_11target_archE1100ELNS1_3gpuE3ELNS1_3repE0EEENS1_30default_config_static_selectorELNS0_4arch9wavefront6targetE1EEEvT1_
; %bb.0:
	.section	.rodata,"a",@progbits
	.p2align	6, 0x0
	.amdhsa_kernel _ZN7rocprim17ROCPRIM_400000_NS6detail17trampoline_kernelINS0_14default_configENS1_27scan_by_key_config_selectorIiiEEZZNS1_16scan_by_key_implILNS1_25lookback_scan_determinismE0ELb1ES3_N6thrust23THRUST_200600_302600_NS6detail15normal_iteratorINS9_10device_ptrIiEEEESE_SE_iNS9_10multipliesIiEENS9_8equal_toIiEEiEE10hipError_tPvRmT2_T3_T4_T5_mT6_T7_P12ihipStream_tbENKUlT_T0_E_clISt17integral_constantIbLb1EESY_IbLb0EEEEDaSU_SV_EUlSU_E_NS1_11comp_targetILNS1_3genE9ELNS1_11target_archE1100ELNS1_3gpuE3ELNS1_3repE0EEENS1_30default_config_static_selectorELNS0_4arch9wavefront6targetE1EEEvT1_
		.amdhsa_group_segment_fixed_size 0
		.amdhsa_private_segment_fixed_size 0
		.amdhsa_kernarg_size 112
		.amdhsa_user_sgpr_count 6
		.amdhsa_user_sgpr_private_segment_buffer 1
		.amdhsa_user_sgpr_dispatch_ptr 0
		.amdhsa_user_sgpr_queue_ptr 0
		.amdhsa_user_sgpr_kernarg_segment_ptr 1
		.amdhsa_user_sgpr_dispatch_id 0
		.amdhsa_user_sgpr_flat_scratch_init 0
		.amdhsa_user_sgpr_kernarg_preload_length 0
		.amdhsa_user_sgpr_kernarg_preload_offset 0
		.amdhsa_user_sgpr_private_segment_size 0
		.amdhsa_uses_dynamic_stack 0
		.amdhsa_system_sgpr_private_segment_wavefront_offset 0
		.amdhsa_system_sgpr_workgroup_id_x 1
		.amdhsa_system_sgpr_workgroup_id_y 0
		.amdhsa_system_sgpr_workgroup_id_z 0
		.amdhsa_system_sgpr_workgroup_info 0
		.amdhsa_system_vgpr_workitem_id 0
		.amdhsa_next_free_vgpr 1
		.amdhsa_next_free_sgpr 0
		.amdhsa_accum_offset 4
		.amdhsa_reserve_vcc 0
		.amdhsa_reserve_flat_scratch 0
		.amdhsa_float_round_mode_32 0
		.amdhsa_float_round_mode_16_64 0
		.amdhsa_float_denorm_mode_32 3
		.amdhsa_float_denorm_mode_16_64 3
		.amdhsa_dx10_clamp 1
		.amdhsa_ieee_mode 1
		.amdhsa_fp16_overflow 0
		.amdhsa_tg_split 0
		.amdhsa_exception_fp_ieee_invalid_op 0
		.amdhsa_exception_fp_denorm_src 0
		.amdhsa_exception_fp_ieee_div_zero 0
		.amdhsa_exception_fp_ieee_overflow 0
		.amdhsa_exception_fp_ieee_underflow 0
		.amdhsa_exception_fp_ieee_inexact 0
		.amdhsa_exception_int_div_zero 0
	.end_amdhsa_kernel
	.section	.text._ZN7rocprim17ROCPRIM_400000_NS6detail17trampoline_kernelINS0_14default_configENS1_27scan_by_key_config_selectorIiiEEZZNS1_16scan_by_key_implILNS1_25lookback_scan_determinismE0ELb1ES3_N6thrust23THRUST_200600_302600_NS6detail15normal_iteratorINS9_10device_ptrIiEEEESE_SE_iNS9_10multipliesIiEENS9_8equal_toIiEEiEE10hipError_tPvRmT2_T3_T4_T5_mT6_T7_P12ihipStream_tbENKUlT_T0_E_clISt17integral_constantIbLb1EESY_IbLb0EEEEDaSU_SV_EUlSU_E_NS1_11comp_targetILNS1_3genE9ELNS1_11target_archE1100ELNS1_3gpuE3ELNS1_3repE0EEENS1_30default_config_static_selectorELNS0_4arch9wavefront6targetE1EEEvT1_,"axG",@progbits,_ZN7rocprim17ROCPRIM_400000_NS6detail17trampoline_kernelINS0_14default_configENS1_27scan_by_key_config_selectorIiiEEZZNS1_16scan_by_key_implILNS1_25lookback_scan_determinismE0ELb1ES3_N6thrust23THRUST_200600_302600_NS6detail15normal_iteratorINS9_10device_ptrIiEEEESE_SE_iNS9_10multipliesIiEENS9_8equal_toIiEEiEE10hipError_tPvRmT2_T3_T4_T5_mT6_T7_P12ihipStream_tbENKUlT_T0_E_clISt17integral_constantIbLb1EESY_IbLb0EEEEDaSU_SV_EUlSU_E_NS1_11comp_targetILNS1_3genE9ELNS1_11target_archE1100ELNS1_3gpuE3ELNS1_3repE0EEENS1_30default_config_static_selectorELNS0_4arch9wavefront6targetE1EEEvT1_,comdat
.Lfunc_end522:
	.size	_ZN7rocprim17ROCPRIM_400000_NS6detail17trampoline_kernelINS0_14default_configENS1_27scan_by_key_config_selectorIiiEEZZNS1_16scan_by_key_implILNS1_25lookback_scan_determinismE0ELb1ES3_N6thrust23THRUST_200600_302600_NS6detail15normal_iteratorINS9_10device_ptrIiEEEESE_SE_iNS9_10multipliesIiEENS9_8equal_toIiEEiEE10hipError_tPvRmT2_T3_T4_T5_mT6_T7_P12ihipStream_tbENKUlT_T0_E_clISt17integral_constantIbLb1EESY_IbLb0EEEEDaSU_SV_EUlSU_E_NS1_11comp_targetILNS1_3genE9ELNS1_11target_archE1100ELNS1_3gpuE3ELNS1_3repE0EEENS1_30default_config_static_selectorELNS0_4arch9wavefront6targetE1EEEvT1_, .Lfunc_end522-_ZN7rocprim17ROCPRIM_400000_NS6detail17trampoline_kernelINS0_14default_configENS1_27scan_by_key_config_selectorIiiEEZZNS1_16scan_by_key_implILNS1_25lookback_scan_determinismE0ELb1ES3_N6thrust23THRUST_200600_302600_NS6detail15normal_iteratorINS9_10device_ptrIiEEEESE_SE_iNS9_10multipliesIiEENS9_8equal_toIiEEiEE10hipError_tPvRmT2_T3_T4_T5_mT6_T7_P12ihipStream_tbENKUlT_T0_E_clISt17integral_constantIbLb1EESY_IbLb0EEEEDaSU_SV_EUlSU_E_NS1_11comp_targetILNS1_3genE9ELNS1_11target_archE1100ELNS1_3gpuE3ELNS1_3repE0EEENS1_30default_config_static_selectorELNS0_4arch9wavefront6targetE1EEEvT1_
                                        ; -- End function
	.section	.AMDGPU.csdata,"",@progbits
; Kernel info:
; codeLenInByte = 0
; NumSgprs: 4
; NumVgprs: 0
; NumAgprs: 0
; TotalNumVgprs: 0
; ScratchSize: 0
; MemoryBound: 0
; FloatMode: 240
; IeeeMode: 1
; LDSByteSize: 0 bytes/workgroup (compile time only)
; SGPRBlocks: 0
; VGPRBlocks: 0
; NumSGPRsForWavesPerEU: 4
; NumVGPRsForWavesPerEU: 1
; AccumOffset: 4
; Occupancy: 8
; WaveLimiterHint : 0
; COMPUTE_PGM_RSRC2:SCRATCH_EN: 0
; COMPUTE_PGM_RSRC2:USER_SGPR: 6
; COMPUTE_PGM_RSRC2:TRAP_HANDLER: 0
; COMPUTE_PGM_RSRC2:TGID_X_EN: 1
; COMPUTE_PGM_RSRC2:TGID_Y_EN: 0
; COMPUTE_PGM_RSRC2:TGID_Z_EN: 0
; COMPUTE_PGM_RSRC2:TIDIG_COMP_CNT: 0
; COMPUTE_PGM_RSRC3_GFX90A:ACCUM_OFFSET: 0
; COMPUTE_PGM_RSRC3_GFX90A:TG_SPLIT: 0
	.section	.text._ZN7rocprim17ROCPRIM_400000_NS6detail17trampoline_kernelINS0_14default_configENS1_27scan_by_key_config_selectorIiiEEZZNS1_16scan_by_key_implILNS1_25lookback_scan_determinismE0ELb1ES3_N6thrust23THRUST_200600_302600_NS6detail15normal_iteratorINS9_10device_ptrIiEEEESE_SE_iNS9_10multipliesIiEENS9_8equal_toIiEEiEE10hipError_tPvRmT2_T3_T4_T5_mT6_T7_P12ihipStream_tbENKUlT_T0_E_clISt17integral_constantIbLb1EESY_IbLb0EEEEDaSU_SV_EUlSU_E_NS1_11comp_targetILNS1_3genE8ELNS1_11target_archE1030ELNS1_3gpuE2ELNS1_3repE0EEENS1_30default_config_static_selectorELNS0_4arch9wavefront6targetE1EEEvT1_,"axG",@progbits,_ZN7rocprim17ROCPRIM_400000_NS6detail17trampoline_kernelINS0_14default_configENS1_27scan_by_key_config_selectorIiiEEZZNS1_16scan_by_key_implILNS1_25lookback_scan_determinismE0ELb1ES3_N6thrust23THRUST_200600_302600_NS6detail15normal_iteratorINS9_10device_ptrIiEEEESE_SE_iNS9_10multipliesIiEENS9_8equal_toIiEEiEE10hipError_tPvRmT2_T3_T4_T5_mT6_T7_P12ihipStream_tbENKUlT_T0_E_clISt17integral_constantIbLb1EESY_IbLb0EEEEDaSU_SV_EUlSU_E_NS1_11comp_targetILNS1_3genE8ELNS1_11target_archE1030ELNS1_3gpuE2ELNS1_3repE0EEENS1_30default_config_static_selectorELNS0_4arch9wavefront6targetE1EEEvT1_,comdat
	.protected	_ZN7rocprim17ROCPRIM_400000_NS6detail17trampoline_kernelINS0_14default_configENS1_27scan_by_key_config_selectorIiiEEZZNS1_16scan_by_key_implILNS1_25lookback_scan_determinismE0ELb1ES3_N6thrust23THRUST_200600_302600_NS6detail15normal_iteratorINS9_10device_ptrIiEEEESE_SE_iNS9_10multipliesIiEENS9_8equal_toIiEEiEE10hipError_tPvRmT2_T3_T4_T5_mT6_T7_P12ihipStream_tbENKUlT_T0_E_clISt17integral_constantIbLb1EESY_IbLb0EEEEDaSU_SV_EUlSU_E_NS1_11comp_targetILNS1_3genE8ELNS1_11target_archE1030ELNS1_3gpuE2ELNS1_3repE0EEENS1_30default_config_static_selectorELNS0_4arch9wavefront6targetE1EEEvT1_ ; -- Begin function _ZN7rocprim17ROCPRIM_400000_NS6detail17trampoline_kernelINS0_14default_configENS1_27scan_by_key_config_selectorIiiEEZZNS1_16scan_by_key_implILNS1_25lookback_scan_determinismE0ELb1ES3_N6thrust23THRUST_200600_302600_NS6detail15normal_iteratorINS9_10device_ptrIiEEEESE_SE_iNS9_10multipliesIiEENS9_8equal_toIiEEiEE10hipError_tPvRmT2_T3_T4_T5_mT6_T7_P12ihipStream_tbENKUlT_T0_E_clISt17integral_constantIbLb1EESY_IbLb0EEEEDaSU_SV_EUlSU_E_NS1_11comp_targetILNS1_3genE8ELNS1_11target_archE1030ELNS1_3gpuE2ELNS1_3repE0EEENS1_30default_config_static_selectorELNS0_4arch9wavefront6targetE1EEEvT1_
	.globl	_ZN7rocprim17ROCPRIM_400000_NS6detail17trampoline_kernelINS0_14default_configENS1_27scan_by_key_config_selectorIiiEEZZNS1_16scan_by_key_implILNS1_25lookback_scan_determinismE0ELb1ES3_N6thrust23THRUST_200600_302600_NS6detail15normal_iteratorINS9_10device_ptrIiEEEESE_SE_iNS9_10multipliesIiEENS9_8equal_toIiEEiEE10hipError_tPvRmT2_T3_T4_T5_mT6_T7_P12ihipStream_tbENKUlT_T0_E_clISt17integral_constantIbLb1EESY_IbLb0EEEEDaSU_SV_EUlSU_E_NS1_11comp_targetILNS1_3genE8ELNS1_11target_archE1030ELNS1_3gpuE2ELNS1_3repE0EEENS1_30default_config_static_selectorELNS0_4arch9wavefront6targetE1EEEvT1_
	.p2align	8
	.type	_ZN7rocprim17ROCPRIM_400000_NS6detail17trampoline_kernelINS0_14default_configENS1_27scan_by_key_config_selectorIiiEEZZNS1_16scan_by_key_implILNS1_25lookback_scan_determinismE0ELb1ES3_N6thrust23THRUST_200600_302600_NS6detail15normal_iteratorINS9_10device_ptrIiEEEESE_SE_iNS9_10multipliesIiEENS9_8equal_toIiEEiEE10hipError_tPvRmT2_T3_T4_T5_mT6_T7_P12ihipStream_tbENKUlT_T0_E_clISt17integral_constantIbLb1EESY_IbLb0EEEEDaSU_SV_EUlSU_E_NS1_11comp_targetILNS1_3genE8ELNS1_11target_archE1030ELNS1_3gpuE2ELNS1_3repE0EEENS1_30default_config_static_selectorELNS0_4arch9wavefront6targetE1EEEvT1_,@function
_ZN7rocprim17ROCPRIM_400000_NS6detail17trampoline_kernelINS0_14default_configENS1_27scan_by_key_config_selectorIiiEEZZNS1_16scan_by_key_implILNS1_25lookback_scan_determinismE0ELb1ES3_N6thrust23THRUST_200600_302600_NS6detail15normal_iteratorINS9_10device_ptrIiEEEESE_SE_iNS9_10multipliesIiEENS9_8equal_toIiEEiEE10hipError_tPvRmT2_T3_T4_T5_mT6_T7_P12ihipStream_tbENKUlT_T0_E_clISt17integral_constantIbLb1EESY_IbLb0EEEEDaSU_SV_EUlSU_E_NS1_11comp_targetILNS1_3genE8ELNS1_11target_archE1030ELNS1_3gpuE2ELNS1_3repE0EEENS1_30default_config_static_selectorELNS0_4arch9wavefront6targetE1EEEvT1_: ; @_ZN7rocprim17ROCPRIM_400000_NS6detail17trampoline_kernelINS0_14default_configENS1_27scan_by_key_config_selectorIiiEEZZNS1_16scan_by_key_implILNS1_25lookback_scan_determinismE0ELb1ES3_N6thrust23THRUST_200600_302600_NS6detail15normal_iteratorINS9_10device_ptrIiEEEESE_SE_iNS9_10multipliesIiEENS9_8equal_toIiEEiEE10hipError_tPvRmT2_T3_T4_T5_mT6_T7_P12ihipStream_tbENKUlT_T0_E_clISt17integral_constantIbLb1EESY_IbLb0EEEEDaSU_SV_EUlSU_E_NS1_11comp_targetILNS1_3genE8ELNS1_11target_archE1030ELNS1_3gpuE2ELNS1_3repE0EEENS1_30default_config_static_selectorELNS0_4arch9wavefront6targetE1EEEvT1_
; %bb.0:
	.section	.rodata,"a",@progbits
	.p2align	6, 0x0
	.amdhsa_kernel _ZN7rocprim17ROCPRIM_400000_NS6detail17trampoline_kernelINS0_14default_configENS1_27scan_by_key_config_selectorIiiEEZZNS1_16scan_by_key_implILNS1_25lookback_scan_determinismE0ELb1ES3_N6thrust23THRUST_200600_302600_NS6detail15normal_iteratorINS9_10device_ptrIiEEEESE_SE_iNS9_10multipliesIiEENS9_8equal_toIiEEiEE10hipError_tPvRmT2_T3_T4_T5_mT6_T7_P12ihipStream_tbENKUlT_T0_E_clISt17integral_constantIbLb1EESY_IbLb0EEEEDaSU_SV_EUlSU_E_NS1_11comp_targetILNS1_3genE8ELNS1_11target_archE1030ELNS1_3gpuE2ELNS1_3repE0EEENS1_30default_config_static_selectorELNS0_4arch9wavefront6targetE1EEEvT1_
		.amdhsa_group_segment_fixed_size 0
		.amdhsa_private_segment_fixed_size 0
		.amdhsa_kernarg_size 112
		.amdhsa_user_sgpr_count 6
		.amdhsa_user_sgpr_private_segment_buffer 1
		.amdhsa_user_sgpr_dispatch_ptr 0
		.amdhsa_user_sgpr_queue_ptr 0
		.amdhsa_user_sgpr_kernarg_segment_ptr 1
		.amdhsa_user_sgpr_dispatch_id 0
		.amdhsa_user_sgpr_flat_scratch_init 0
		.amdhsa_user_sgpr_kernarg_preload_length 0
		.amdhsa_user_sgpr_kernarg_preload_offset 0
		.amdhsa_user_sgpr_private_segment_size 0
		.amdhsa_uses_dynamic_stack 0
		.amdhsa_system_sgpr_private_segment_wavefront_offset 0
		.amdhsa_system_sgpr_workgroup_id_x 1
		.amdhsa_system_sgpr_workgroup_id_y 0
		.amdhsa_system_sgpr_workgroup_id_z 0
		.amdhsa_system_sgpr_workgroup_info 0
		.amdhsa_system_vgpr_workitem_id 0
		.amdhsa_next_free_vgpr 1
		.amdhsa_next_free_sgpr 0
		.amdhsa_accum_offset 4
		.amdhsa_reserve_vcc 0
		.amdhsa_reserve_flat_scratch 0
		.amdhsa_float_round_mode_32 0
		.amdhsa_float_round_mode_16_64 0
		.amdhsa_float_denorm_mode_32 3
		.amdhsa_float_denorm_mode_16_64 3
		.amdhsa_dx10_clamp 1
		.amdhsa_ieee_mode 1
		.amdhsa_fp16_overflow 0
		.amdhsa_tg_split 0
		.amdhsa_exception_fp_ieee_invalid_op 0
		.amdhsa_exception_fp_denorm_src 0
		.amdhsa_exception_fp_ieee_div_zero 0
		.amdhsa_exception_fp_ieee_overflow 0
		.amdhsa_exception_fp_ieee_underflow 0
		.amdhsa_exception_fp_ieee_inexact 0
		.amdhsa_exception_int_div_zero 0
	.end_amdhsa_kernel
	.section	.text._ZN7rocprim17ROCPRIM_400000_NS6detail17trampoline_kernelINS0_14default_configENS1_27scan_by_key_config_selectorIiiEEZZNS1_16scan_by_key_implILNS1_25lookback_scan_determinismE0ELb1ES3_N6thrust23THRUST_200600_302600_NS6detail15normal_iteratorINS9_10device_ptrIiEEEESE_SE_iNS9_10multipliesIiEENS9_8equal_toIiEEiEE10hipError_tPvRmT2_T3_T4_T5_mT6_T7_P12ihipStream_tbENKUlT_T0_E_clISt17integral_constantIbLb1EESY_IbLb0EEEEDaSU_SV_EUlSU_E_NS1_11comp_targetILNS1_3genE8ELNS1_11target_archE1030ELNS1_3gpuE2ELNS1_3repE0EEENS1_30default_config_static_selectorELNS0_4arch9wavefront6targetE1EEEvT1_,"axG",@progbits,_ZN7rocprim17ROCPRIM_400000_NS6detail17trampoline_kernelINS0_14default_configENS1_27scan_by_key_config_selectorIiiEEZZNS1_16scan_by_key_implILNS1_25lookback_scan_determinismE0ELb1ES3_N6thrust23THRUST_200600_302600_NS6detail15normal_iteratorINS9_10device_ptrIiEEEESE_SE_iNS9_10multipliesIiEENS9_8equal_toIiEEiEE10hipError_tPvRmT2_T3_T4_T5_mT6_T7_P12ihipStream_tbENKUlT_T0_E_clISt17integral_constantIbLb1EESY_IbLb0EEEEDaSU_SV_EUlSU_E_NS1_11comp_targetILNS1_3genE8ELNS1_11target_archE1030ELNS1_3gpuE2ELNS1_3repE0EEENS1_30default_config_static_selectorELNS0_4arch9wavefront6targetE1EEEvT1_,comdat
.Lfunc_end523:
	.size	_ZN7rocprim17ROCPRIM_400000_NS6detail17trampoline_kernelINS0_14default_configENS1_27scan_by_key_config_selectorIiiEEZZNS1_16scan_by_key_implILNS1_25lookback_scan_determinismE0ELb1ES3_N6thrust23THRUST_200600_302600_NS6detail15normal_iteratorINS9_10device_ptrIiEEEESE_SE_iNS9_10multipliesIiEENS9_8equal_toIiEEiEE10hipError_tPvRmT2_T3_T4_T5_mT6_T7_P12ihipStream_tbENKUlT_T0_E_clISt17integral_constantIbLb1EESY_IbLb0EEEEDaSU_SV_EUlSU_E_NS1_11comp_targetILNS1_3genE8ELNS1_11target_archE1030ELNS1_3gpuE2ELNS1_3repE0EEENS1_30default_config_static_selectorELNS0_4arch9wavefront6targetE1EEEvT1_, .Lfunc_end523-_ZN7rocprim17ROCPRIM_400000_NS6detail17trampoline_kernelINS0_14default_configENS1_27scan_by_key_config_selectorIiiEEZZNS1_16scan_by_key_implILNS1_25lookback_scan_determinismE0ELb1ES3_N6thrust23THRUST_200600_302600_NS6detail15normal_iteratorINS9_10device_ptrIiEEEESE_SE_iNS9_10multipliesIiEENS9_8equal_toIiEEiEE10hipError_tPvRmT2_T3_T4_T5_mT6_T7_P12ihipStream_tbENKUlT_T0_E_clISt17integral_constantIbLb1EESY_IbLb0EEEEDaSU_SV_EUlSU_E_NS1_11comp_targetILNS1_3genE8ELNS1_11target_archE1030ELNS1_3gpuE2ELNS1_3repE0EEENS1_30default_config_static_selectorELNS0_4arch9wavefront6targetE1EEEvT1_
                                        ; -- End function
	.section	.AMDGPU.csdata,"",@progbits
; Kernel info:
; codeLenInByte = 0
; NumSgprs: 4
; NumVgprs: 0
; NumAgprs: 0
; TotalNumVgprs: 0
; ScratchSize: 0
; MemoryBound: 0
; FloatMode: 240
; IeeeMode: 1
; LDSByteSize: 0 bytes/workgroup (compile time only)
; SGPRBlocks: 0
; VGPRBlocks: 0
; NumSGPRsForWavesPerEU: 4
; NumVGPRsForWavesPerEU: 1
; AccumOffset: 4
; Occupancy: 8
; WaveLimiterHint : 0
; COMPUTE_PGM_RSRC2:SCRATCH_EN: 0
; COMPUTE_PGM_RSRC2:USER_SGPR: 6
; COMPUTE_PGM_RSRC2:TRAP_HANDLER: 0
; COMPUTE_PGM_RSRC2:TGID_X_EN: 1
; COMPUTE_PGM_RSRC2:TGID_Y_EN: 0
; COMPUTE_PGM_RSRC2:TGID_Z_EN: 0
; COMPUTE_PGM_RSRC2:TIDIG_COMP_CNT: 0
; COMPUTE_PGM_RSRC3_GFX90A:ACCUM_OFFSET: 0
; COMPUTE_PGM_RSRC3_GFX90A:TG_SPLIT: 0
	.section	.text._ZN7rocprim17ROCPRIM_400000_NS6detail17trampoline_kernelINS0_14default_configENS1_27scan_by_key_config_selectorIiiEEZZNS1_16scan_by_key_implILNS1_25lookback_scan_determinismE0ELb1ES3_N6thrust23THRUST_200600_302600_NS6detail15normal_iteratorINS9_10device_ptrIiEEEESE_SE_iNS9_10multipliesIiEENS9_8equal_toIiEEiEE10hipError_tPvRmT2_T3_T4_T5_mT6_T7_P12ihipStream_tbENKUlT_T0_E_clISt17integral_constantIbLb0EESY_IbLb1EEEEDaSU_SV_EUlSU_E_NS1_11comp_targetILNS1_3genE0ELNS1_11target_archE4294967295ELNS1_3gpuE0ELNS1_3repE0EEENS1_30default_config_static_selectorELNS0_4arch9wavefront6targetE1EEEvT1_,"axG",@progbits,_ZN7rocprim17ROCPRIM_400000_NS6detail17trampoline_kernelINS0_14default_configENS1_27scan_by_key_config_selectorIiiEEZZNS1_16scan_by_key_implILNS1_25lookback_scan_determinismE0ELb1ES3_N6thrust23THRUST_200600_302600_NS6detail15normal_iteratorINS9_10device_ptrIiEEEESE_SE_iNS9_10multipliesIiEENS9_8equal_toIiEEiEE10hipError_tPvRmT2_T3_T4_T5_mT6_T7_P12ihipStream_tbENKUlT_T0_E_clISt17integral_constantIbLb0EESY_IbLb1EEEEDaSU_SV_EUlSU_E_NS1_11comp_targetILNS1_3genE0ELNS1_11target_archE4294967295ELNS1_3gpuE0ELNS1_3repE0EEENS1_30default_config_static_selectorELNS0_4arch9wavefront6targetE1EEEvT1_,comdat
	.protected	_ZN7rocprim17ROCPRIM_400000_NS6detail17trampoline_kernelINS0_14default_configENS1_27scan_by_key_config_selectorIiiEEZZNS1_16scan_by_key_implILNS1_25lookback_scan_determinismE0ELb1ES3_N6thrust23THRUST_200600_302600_NS6detail15normal_iteratorINS9_10device_ptrIiEEEESE_SE_iNS9_10multipliesIiEENS9_8equal_toIiEEiEE10hipError_tPvRmT2_T3_T4_T5_mT6_T7_P12ihipStream_tbENKUlT_T0_E_clISt17integral_constantIbLb0EESY_IbLb1EEEEDaSU_SV_EUlSU_E_NS1_11comp_targetILNS1_3genE0ELNS1_11target_archE4294967295ELNS1_3gpuE0ELNS1_3repE0EEENS1_30default_config_static_selectorELNS0_4arch9wavefront6targetE1EEEvT1_ ; -- Begin function _ZN7rocprim17ROCPRIM_400000_NS6detail17trampoline_kernelINS0_14default_configENS1_27scan_by_key_config_selectorIiiEEZZNS1_16scan_by_key_implILNS1_25lookback_scan_determinismE0ELb1ES3_N6thrust23THRUST_200600_302600_NS6detail15normal_iteratorINS9_10device_ptrIiEEEESE_SE_iNS9_10multipliesIiEENS9_8equal_toIiEEiEE10hipError_tPvRmT2_T3_T4_T5_mT6_T7_P12ihipStream_tbENKUlT_T0_E_clISt17integral_constantIbLb0EESY_IbLb1EEEEDaSU_SV_EUlSU_E_NS1_11comp_targetILNS1_3genE0ELNS1_11target_archE4294967295ELNS1_3gpuE0ELNS1_3repE0EEENS1_30default_config_static_selectorELNS0_4arch9wavefront6targetE1EEEvT1_
	.globl	_ZN7rocprim17ROCPRIM_400000_NS6detail17trampoline_kernelINS0_14default_configENS1_27scan_by_key_config_selectorIiiEEZZNS1_16scan_by_key_implILNS1_25lookback_scan_determinismE0ELb1ES3_N6thrust23THRUST_200600_302600_NS6detail15normal_iteratorINS9_10device_ptrIiEEEESE_SE_iNS9_10multipliesIiEENS9_8equal_toIiEEiEE10hipError_tPvRmT2_T3_T4_T5_mT6_T7_P12ihipStream_tbENKUlT_T0_E_clISt17integral_constantIbLb0EESY_IbLb1EEEEDaSU_SV_EUlSU_E_NS1_11comp_targetILNS1_3genE0ELNS1_11target_archE4294967295ELNS1_3gpuE0ELNS1_3repE0EEENS1_30default_config_static_selectorELNS0_4arch9wavefront6targetE1EEEvT1_
	.p2align	8
	.type	_ZN7rocprim17ROCPRIM_400000_NS6detail17trampoline_kernelINS0_14default_configENS1_27scan_by_key_config_selectorIiiEEZZNS1_16scan_by_key_implILNS1_25lookback_scan_determinismE0ELb1ES3_N6thrust23THRUST_200600_302600_NS6detail15normal_iteratorINS9_10device_ptrIiEEEESE_SE_iNS9_10multipliesIiEENS9_8equal_toIiEEiEE10hipError_tPvRmT2_T3_T4_T5_mT6_T7_P12ihipStream_tbENKUlT_T0_E_clISt17integral_constantIbLb0EESY_IbLb1EEEEDaSU_SV_EUlSU_E_NS1_11comp_targetILNS1_3genE0ELNS1_11target_archE4294967295ELNS1_3gpuE0ELNS1_3repE0EEENS1_30default_config_static_selectorELNS0_4arch9wavefront6targetE1EEEvT1_,@function
_ZN7rocprim17ROCPRIM_400000_NS6detail17trampoline_kernelINS0_14default_configENS1_27scan_by_key_config_selectorIiiEEZZNS1_16scan_by_key_implILNS1_25lookback_scan_determinismE0ELb1ES3_N6thrust23THRUST_200600_302600_NS6detail15normal_iteratorINS9_10device_ptrIiEEEESE_SE_iNS9_10multipliesIiEENS9_8equal_toIiEEiEE10hipError_tPvRmT2_T3_T4_T5_mT6_T7_P12ihipStream_tbENKUlT_T0_E_clISt17integral_constantIbLb0EESY_IbLb1EEEEDaSU_SV_EUlSU_E_NS1_11comp_targetILNS1_3genE0ELNS1_11target_archE4294967295ELNS1_3gpuE0ELNS1_3repE0EEENS1_30default_config_static_selectorELNS0_4arch9wavefront6targetE1EEEvT1_: ; @_ZN7rocprim17ROCPRIM_400000_NS6detail17trampoline_kernelINS0_14default_configENS1_27scan_by_key_config_selectorIiiEEZZNS1_16scan_by_key_implILNS1_25lookback_scan_determinismE0ELb1ES3_N6thrust23THRUST_200600_302600_NS6detail15normal_iteratorINS9_10device_ptrIiEEEESE_SE_iNS9_10multipliesIiEENS9_8equal_toIiEEiEE10hipError_tPvRmT2_T3_T4_T5_mT6_T7_P12ihipStream_tbENKUlT_T0_E_clISt17integral_constantIbLb0EESY_IbLb1EEEEDaSU_SV_EUlSU_E_NS1_11comp_targetILNS1_3genE0ELNS1_11target_archE4294967295ELNS1_3gpuE0ELNS1_3repE0EEENS1_30default_config_static_selectorELNS0_4arch9wavefront6targetE1EEEvT1_
; %bb.0:
	.section	.rodata,"a",@progbits
	.p2align	6, 0x0
	.amdhsa_kernel _ZN7rocprim17ROCPRIM_400000_NS6detail17trampoline_kernelINS0_14default_configENS1_27scan_by_key_config_selectorIiiEEZZNS1_16scan_by_key_implILNS1_25lookback_scan_determinismE0ELb1ES3_N6thrust23THRUST_200600_302600_NS6detail15normal_iteratorINS9_10device_ptrIiEEEESE_SE_iNS9_10multipliesIiEENS9_8equal_toIiEEiEE10hipError_tPvRmT2_T3_T4_T5_mT6_T7_P12ihipStream_tbENKUlT_T0_E_clISt17integral_constantIbLb0EESY_IbLb1EEEEDaSU_SV_EUlSU_E_NS1_11comp_targetILNS1_3genE0ELNS1_11target_archE4294967295ELNS1_3gpuE0ELNS1_3repE0EEENS1_30default_config_static_selectorELNS0_4arch9wavefront6targetE1EEEvT1_
		.amdhsa_group_segment_fixed_size 0
		.amdhsa_private_segment_fixed_size 0
		.amdhsa_kernarg_size 112
		.amdhsa_user_sgpr_count 6
		.amdhsa_user_sgpr_private_segment_buffer 1
		.amdhsa_user_sgpr_dispatch_ptr 0
		.amdhsa_user_sgpr_queue_ptr 0
		.amdhsa_user_sgpr_kernarg_segment_ptr 1
		.amdhsa_user_sgpr_dispatch_id 0
		.amdhsa_user_sgpr_flat_scratch_init 0
		.amdhsa_user_sgpr_kernarg_preload_length 0
		.amdhsa_user_sgpr_kernarg_preload_offset 0
		.amdhsa_user_sgpr_private_segment_size 0
		.amdhsa_uses_dynamic_stack 0
		.amdhsa_system_sgpr_private_segment_wavefront_offset 0
		.amdhsa_system_sgpr_workgroup_id_x 1
		.amdhsa_system_sgpr_workgroup_id_y 0
		.amdhsa_system_sgpr_workgroup_id_z 0
		.amdhsa_system_sgpr_workgroup_info 0
		.amdhsa_system_vgpr_workitem_id 0
		.amdhsa_next_free_vgpr 1
		.amdhsa_next_free_sgpr 0
		.amdhsa_accum_offset 4
		.amdhsa_reserve_vcc 0
		.amdhsa_reserve_flat_scratch 0
		.amdhsa_float_round_mode_32 0
		.amdhsa_float_round_mode_16_64 0
		.amdhsa_float_denorm_mode_32 3
		.amdhsa_float_denorm_mode_16_64 3
		.amdhsa_dx10_clamp 1
		.amdhsa_ieee_mode 1
		.amdhsa_fp16_overflow 0
		.amdhsa_tg_split 0
		.amdhsa_exception_fp_ieee_invalid_op 0
		.amdhsa_exception_fp_denorm_src 0
		.amdhsa_exception_fp_ieee_div_zero 0
		.amdhsa_exception_fp_ieee_overflow 0
		.amdhsa_exception_fp_ieee_underflow 0
		.amdhsa_exception_fp_ieee_inexact 0
		.amdhsa_exception_int_div_zero 0
	.end_amdhsa_kernel
	.section	.text._ZN7rocprim17ROCPRIM_400000_NS6detail17trampoline_kernelINS0_14default_configENS1_27scan_by_key_config_selectorIiiEEZZNS1_16scan_by_key_implILNS1_25lookback_scan_determinismE0ELb1ES3_N6thrust23THRUST_200600_302600_NS6detail15normal_iteratorINS9_10device_ptrIiEEEESE_SE_iNS9_10multipliesIiEENS9_8equal_toIiEEiEE10hipError_tPvRmT2_T3_T4_T5_mT6_T7_P12ihipStream_tbENKUlT_T0_E_clISt17integral_constantIbLb0EESY_IbLb1EEEEDaSU_SV_EUlSU_E_NS1_11comp_targetILNS1_3genE0ELNS1_11target_archE4294967295ELNS1_3gpuE0ELNS1_3repE0EEENS1_30default_config_static_selectorELNS0_4arch9wavefront6targetE1EEEvT1_,"axG",@progbits,_ZN7rocprim17ROCPRIM_400000_NS6detail17trampoline_kernelINS0_14default_configENS1_27scan_by_key_config_selectorIiiEEZZNS1_16scan_by_key_implILNS1_25lookback_scan_determinismE0ELb1ES3_N6thrust23THRUST_200600_302600_NS6detail15normal_iteratorINS9_10device_ptrIiEEEESE_SE_iNS9_10multipliesIiEENS9_8equal_toIiEEiEE10hipError_tPvRmT2_T3_T4_T5_mT6_T7_P12ihipStream_tbENKUlT_T0_E_clISt17integral_constantIbLb0EESY_IbLb1EEEEDaSU_SV_EUlSU_E_NS1_11comp_targetILNS1_3genE0ELNS1_11target_archE4294967295ELNS1_3gpuE0ELNS1_3repE0EEENS1_30default_config_static_selectorELNS0_4arch9wavefront6targetE1EEEvT1_,comdat
.Lfunc_end524:
	.size	_ZN7rocprim17ROCPRIM_400000_NS6detail17trampoline_kernelINS0_14default_configENS1_27scan_by_key_config_selectorIiiEEZZNS1_16scan_by_key_implILNS1_25lookback_scan_determinismE0ELb1ES3_N6thrust23THRUST_200600_302600_NS6detail15normal_iteratorINS9_10device_ptrIiEEEESE_SE_iNS9_10multipliesIiEENS9_8equal_toIiEEiEE10hipError_tPvRmT2_T3_T4_T5_mT6_T7_P12ihipStream_tbENKUlT_T0_E_clISt17integral_constantIbLb0EESY_IbLb1EEEEDaSU_SV_EUlSU_E_NS1_11comp_targetILNS1_3genE0ELNS1_11target_archE4294967295ELNS1_3gpuE0ELNS1_3repE0EEENS1_30default_config_static_selectorELNS0_4arch9wavefront6targetE1EEEvT1_, .Lfunc_end524-_ZN7rocprim17ROCPRIM_400000_NS6detail17trampoline_kernelINS0_14default_configENS1_27scan_by_key_config_selectorIiiEEZZNS1_16scan_by_key_implILNS1_25lookback_scan_determinismE0ELb1ES3_N6thrust23THRUST_200600_302600_NS6detail15normal_iteratorINS9_10device_ptrIiEEEESE_SE_iNS9_10multipliesIiEENS9_8equal_toIiEEiEE10hipError_tPvRmT2_T3_T4_T5_mT6_T7_P12ihipStream_tbENKUlT_T0_E_clISt17integral_constantIbLb0EESY_IbLb1EEEEDaSU_SV_EUlSU_E_NS1_11comp_targetILNS1_3genE0ELNS1_11target_archE4294967295ELNS1_3gpuE0ELNS1_3repE0EEENS1_30default_config_static_selectorELNS0_4arch9wavefront6targetE1EEEvT1_
                                        ; -- End function
	.section	.AMDGPU.csdata,"",@progbits
; Kernel info:
; codeLenInByte = 0
; NumSgprs: 4
; NumVgprs: 0
; NumAgprs: 0
; TotalNumVgprs: 0
; ScratchSize: 0
; MemoryBound: 0
; FloatMode: 240
; IeeeMode: 1
; LDSByteSize: 0 bytes/workgroup (compile time only)
; SGPRBlocks: 0
; VGPRBlocks: 0
; NumSGPRsForWavesPerEU: 4
; NumVGPRsForWavesPerEU: 1
; AccumOffset: 4
; Occupancy: 8
; WaveLimiterHint : 0
; COMPUTE_PGM_RSRC2:SCRATCH_EN: 0
; COMPUTE_PGM_RSRC2:USER_SGPR: 6
; COMPUTE_PGM_RSRC2:TRAP_HANDLER: 0
; COMPUTE_PGM_RSRC2:TGID_X_EN: 1
; COMPUTE_PGM_RSRC2:TGID_Y_EN: 0
; COMPUTE_PGM_RSRC2:TGID_Z_EN: 0
; COMPUTE_PGM_RSRC2:TIDIG_COMP_CNT: 0
; COMPUTE_PGM_RSRC3_GFX90A:ACCUM_OFFSET: 0
; COMPUTE_PGM_RSRC3_GFX90A:TG_SPLIT: 0
	.section	.text._ZN7rocprim17ROCPRIM_400000_NS6detail17trampoline_kernelINS0_14default_configENS1_27scan_by_key_config_selectorIiiEEZZNS1_16scan_by_key_implILNS1_25lookback_scan_determinismE0ELb1ES3_N6thrust23THRUST_200600_302600_NS6detail15normal_iteratorINS9_10device_ptrIiEEEESE_SE_iNS9_10multipliesIiEENS9_8equal_toIiEEiEE10hipError_tPvRmT2_T3_T4_T5_mT6_T7_P12ihipStream_tbENKUlT_T0_E_clISt17integral_constantIbLb0EESY_IbLb1EEEEDaSU_SV_EUlSU_E_NS1_11comp_targetILNS1_3genE10ELNS1_11target_archE1201ELNS1_3gpuE5ELNS1_3repE0EEENS1_30default_config_static_selectorELNS0_4arch9wavefront6targetE1EEEvT1_,"axG",@progbits,_ZN7rocprim17ROCPRIM_400000_NS6detail17trampoline_kernelINS0_14default_configENS1_27scan_by_key_config_selectorIiiEEZZNS1_16scan_by_key_implILNS1_25lookback_scan_determinismE0ELb1ES3_N6thrust23THRUST_200600_302600_NS6detail15normal_iteratorINS9_10device_ptrIiEEEESE_SE_iNS9_10multipliesIiEENS9_8equal_toIiEEiEE10hipError_tPvRmT2_T3_T4_T5_mT6_T7_P12ihipStream_tbENKUlT_T0_E_clISt17integral_constantIbLb0EESY_IbLb1EEEEDaSU_SV_EUlSU_E_NS1_11comp_targetILNS1_3genE10ELNS1_11target_archE1201ELNS1_3gpuE5ELNS1_3repE0EEENS1_30default_config_static_selectorELNS0_4arch9wavefront6targetE1EEEvT1_,comdat
	.protected	_ZN7rocprim17ROCPRIM_400000_NS6detail17trampoline_kernelINS0_14default_configENS1_27scan_by_key_config_selectorIiiEEZZNS1_16scan_by_key_implILNS1_25lookback_scan_determinismE0ELb1ES3_N6thrust23THRUST_200600_302600_NS6detail15normal_iteratorINS9_10device_ptrIiEEEESE_SE_iNS9_10multipliesIiEENS9_8equal_toIiEEiEE10hipError_tPvRmT2_T3_T4_T5_mT6_T7_P12ihipStream_tbENKUlT_T0_E_clISt17integral_constantIbLb0EESY_IbLb1EEEEDaSU_SV_EUlSU_E_NS1_11comp_targetILNS1_3genE10ELNS1_11target_archE1201ELNS1_3gpuE5ELNS1_3repE0EEENS1_30default_config_static_selectorELNS0_4arch9wavefront6targetE1EEEvT1_ ; -- Begin function _ZN7rocprim17ROCPRIM_400000_NS6detail17trampoline_kernelINS0_14default_configENS1_27scan_by_key_config_selectorIiiEEZZNS1_16scan_by_key_implILNS1_25lookback_scan_determinismE0ELb1ES3_N6thrust23THRUST_200600_302600_NS6detail15normal_iteratorINS9_10device_ptrIiEEEESE_SE_iNS9_10multipliesIiEENS9_8equal_toIiEEiEE10hipError_tPvRmT2_T3_T4_T5_mT6_T7_P12ihipStream_tbENKUlT_T0_E_clISt17integral_constantIbLb0EESY_IbLb1EEEEDaSU_SV_EUlSU_E_NS1_11comp_targetILNS1_3genE10ELNS1_11target_archE1201ELNS1_3gpuE5ELNS1_3repE0EEENS1_30default_config_static_selectorELNS0_4arch9wavefront6targetE1EEEvT1_
	.globl	_ZN7rocprim17ROCPRIM_400000_NS6detail17trampoline_kernelINS0_14default_configENS1_27scan_by_key_config_selectorIiiEEZZNS1_16scan_by_key_implILNS1_25lookback_scan_determinismE0ELb1ES3_N6thrust23THRUST_200600_302600_NS6detail15normal_iteratorINS9_10device_ptrIiEEEESE_SE_iNS9_10multipliesIiEENS9_8equal_toIiEEiEE10hipError_tPvRmT2_T3_T4_T5_mT6_T7_P12ihipStream_tbENKUlT_T0_E_clISt17integral_constantIbLb0EESY_IbLb1EEEEDaSU_SV_EUlSU_E_NS1_11comp_targetILNS1_3genE10ELNS1_11target_archE1201ELNS1_3gpuE5ELNS1_3repE0EEENS1_30default_config_static_selectorELNS0_4arch9wavefront6targetE1EEEvT1_
	.p2align	8
	.type	_ZN7rocprim17ROCPRIM_400000_NS6detail17trampoline_kernelINS0_14default_configENS1_27scan_by_key_config_selectorIiiEEZZNS1_16scan_by_key_implILNS1_25lookback_scan_determinismE0ELb1ES3_N6thrust23THRUST_200600_302600_NS6detail15normal_iteratorINS9_10device_ptrIiEEEESE_SE_iNS9_10multipliesIiEENS9_8equal_toIiEEiEE10hipError_tPvRmT2_T3_T4_T5_mT6_T7_P12ihipStream_tbENKUlT_T0_E_clISt17integral_constantIbLb0EESY_IbLb1EEEEDaSU_SV_EUlSU_E_NS1_11comp_targetILNS1_3genE10ELNS1_11target_archE1201ELNS1_3gpuE5ELNS1_3repE0EEENS1_30default_config_static_selectorELNS0_4arch9wavefront6targetE1EEEvT1_,@function
_ZN7rocprim17ROCPRIM_400000_NS6detail17trampoline_kernelINS0_14default_configENS1_27scan_by_key_config_selectorIiiEEZZNS1_16scan_by_key_implILNS1_25lookback_scan_determinismE0ELb1ES3_N6thrust23THRUST_200600_302600_NS6detail15normal_iteratorINS9_10device_ptrIiEEEESE_SE_iNS9_10multipliesIiEENS9_8equal_toIiEEiEE10hipError_tPvRmT2_T3_T4_T5_mT6_T7_P12ihipStream_tbENKUlT_T0_E_clISt17integral_constantIbLb0EESY_IbLb1EEEEDaSU_SV_EUlSU_E_NS1_11comp_targetILNS1_3genE10ELNS1_11target_archE1201ELNS1_3gpuE5ELNS1_3repE0EEENS1_30default_config_static_selectorELNS0_4arch9wavefront6targetE1EEEvT1_: ; @_ZN7rocprim17ROCPRIM_400000_NS6detail17trampoline_kernelINS0_14default_configENS1_27scan_by_key_config_selectorIiiEEZZNS1_16scan_by_key_implILNS1_25lookback_scan_determinismE0ELb1ES3_N6thrust23THRUST_200600_302600_NS6detail15normal_iteratorINS9_10device_ptrIiEEEESE_SE_iNS9_10multipliesIiEENS9_8equal_toIiEEiEE10hipError_tPvRmT2_T3_T4_T5_mT6_T7_P12ihipStream_tbENKUlT_T0_E_clISt17integral_constantIbLb0EESY_IbLb1EEEEDaSU_SV_EUlSU_E_NS1_11comp_targetILNS1_3genE10ELNS1_11target_archE1201ELNS1_3gpuE5ELNS1_3repE0EEENS1_30default_config_static_selectorELNS0_4arch9wavefront6targetE1EEEvT1_
; %bb.0:
	.section	.rodata,"a",@progbits
	.p2align	6, 0x0
	.amdhsa_kernel _ZN7rocprim17ROCPRIM_400000_NS6detail17trampoline_kernelINS0_14default_configENS1_27scan_by_key_config_selectorIiiEEZZNS1_16scan_by_key_implILNS1_25lookback_scan_determinismE0ELb1ES3_N6thrust23THRUST_200600_302600_NS6detail15normal_iteratorINS9_10device_ptrIiEEEESE_SE_iNS9_10multipliesIiEENS9_8equal_toIiEEiEE10hipError_tPvRmT2_T3_T4_T5_mT6_T7_P12ihipStream_tbENKUlT_T0_E_clISt17integral_constantIbLb0EESY_IbLb1EEEEDaSU_SV_EUlSU_E_NS1_11comp_targetILNS1_3genE10ELNS1_11target_archE1201ELNS1_3gpuE5ELNS1_3repE0EEENS1_30default_config_static_selectorELNS0_4arch9wavefront6targetE1EEEvT1_
		.amdhsa_group_segment_fixed_size 0
		.amdhsa_private_segment_fixed_size 0
		.amdhsa_kernarg_size 112
		.amdhsa_user_sgpr_count 6
		.amdhsa_user_sgpr_private_segment_buffer 1
		.amdhsa_user_sgpr_dispatch_ptr 0
		.amdhsa_user_sgpr_queue_ptr 0
		.amdhsa_user_sgpr_kernarg_segment_ptr 1
		.amdhsa_user_sgpr_dispatch_id 0
		.amdhsa_user_sgpr_flat_scratch_init 0
		.amdhsa_user_sgpr_kernarg_preload_length 0
		.amdhsa_user_sgpr_kernarg_preload_offset 0
		.amdhsa_user_sgpr_private_segment_size 0
		.amdhsa_uses_dynamic_stack 0
		.amdhsa_system_sgpr_private_segment_wavefront_offset 0
		.amdhsa_system_sgpr_workgroup_id_x 1
		.amdhsa_system_sgpr_workgroup_id_y 0
		.amdhsa_system_sgpr_workgroup_id_z 0
		.amdhsa_system_sgpr_workgroup_info 0
		.amdhsa_system_vgpr_workitem_id 0
		.amdhsa_next_free_vgpr 1
		.amdhsa_next_free_sgpr 0
		.amdhsa_accum_offset 4
		.amdhsa_reserve_vcc 0
		.amdhsa_reserve_flat_scratch 0
		.amdhsa_float_round_mode_32 0
		.amdhsa_float_round_mode_16_64 0
		.amdhsa_float_denorm_mode_32 3
		.amdhsa_float_denorm_mode_16_64 3
		.amdhsa_dx10_clamp 1
		.amdhsa_ieee_mode 1
		.amdhsa_fp16_overflow 0
		.amdhsa_tg_split 0
		.amdhsa_exception_fp_ieee_invalid_op 0
		.amdhsa_exception_fp_denorm_src 0
		.amdhsa_exception_fp_ieee_div_zero 0
		.amdhsa_exception_fp_ieee_overflow 0
		.amdhsa_exception_fp_ieee_underflow 0
		.amdhsa_exception_fp_ieee_inexact 0
		.amdhsa_exception_int_div_zero 0
	.end_amdhsa_kernel
	.section	.text._ZN7rocprim17ROCPRIM_400000_NS6detail17trampoline_kernelINS0_14default_configENS1_27scan_by_key_config_selectorIiiEEZZNS1_16scan_by_key_implILNS1_25lookback_scan_determinismE0ELb1ES3_N6thrust23THRUST_200600_302600_NS6detail15normal_iteratorINS9_10device_ptrIiEEEESE_SE_iNS9_10multipliesIiEENS9_8equal_toIiEEiEE10hipError_tPvRmT2_T3_T4_T5_mT6_T7_P12ihipStream_tbENKUlT_T0_E_clISt17integral_constantIbLb0EESY_IbLb1EEEEDaSU_SV_EUlSU_E_NS1_11comp_targetILNS1_3genE10ELNS1_11target_archE1201ELNS1_3gpuE5ELNS1_3repE0EEENS1_30default_config_static_selectorELNS0_4arch9wavefront6targetE1EEEvT1_,"axG",@progbits,_ZN7rocprim17ROCPRIM_400000_NS6detail17trampoline_kernelINS0_14default_configENS1_27scan_by_key_config_selectorIiiEEZZNS1_16scan_by_key_implILNS1_25lookback_scan_determinismE0ELb1ES3_N6thrust23THRUST_200600_302600_NS6detail15normal_iteratorINS9_10device_ptrIiEEEESE_SE_iNS9_10multipliesIiEENS9_8equal_toIiEEiEE10hipError_tPvRmT2_T3_T4_T5_mT6_T7_P12ihipStream_tbENKUlT_T0_E_clISt17integral_constantIbLb0EESY_IbLb1EEEEDaSU_SV_EUlSU_E_NS1_11comp_targetILNS1_3genE10ELNS1_11target_archE1201ELNS1_3gpuE5ELNS1_3repE0EEENS1_30default_config_static_selectorELNS0_4arch9wavefront6targetE1EEEvT1_,comdat
.Lfunc_end525:
	.size	_ZN7rocprim17ROCPRIM_400000_NS6detail17trampoline_kernelINS0_14default_configENS1_27scan_by_key_config_selectorIiiEEZZNS1_16scan_by_key_implILNS1_25lookback_scan_determinismE0ELb1ES3_N6thrust23THRUST_200600_302600_NS6detail15normal_iteratorINS9_10device_ptrIiEEEESE_SE_iNS9_10multipliesIiEENS9_8equal_toIiEEiEE10hipError_tPvRmT2_T3_T4_T5_mT6_T7_P12ihipStream_tbENKUlT_T0_E_clISt17integral_constantIbLb0EESY_IbLb1EEEEDaSU_SV_EUlSU_E_NS1_11comp_targetILNS1_3genE10ELNS1_11target_archE1201ELNS1_3gpuE5ELNS1_3repE0EEENS1_30default_config_static_selectorELNS0_4arch9wavefront6targetE1EEEvT1_, .Lfunc_end525-_ZN7rocprim17ROCPRIM_400000_NS6detail17trampoline_kernelINS0_14default_configENS1_27scan_by_key_config_selectorIiiEEZZNS1_16scan_by_key_implILNS1_25lookback_scan_determinismE0ELb1ES3_N6thrust23THRUST_200600_302600_NS6detail15normal_iteratorINS9_10device_ptrIiEEEESE_SE_iNS9_10multipliesIiEENS9_8equal_toIiEEiEE10hipError_tPvRmT2_T3_T4_T5_mT6_T7_P12ihipStream_tbENKUlT_T0_E_clISt17integral_constantIbLb0EESY_IbLb1EEEEDaSU_SV_EUlSU_E_NS1_11comp_targetILNS1_3genE10ELNS1_11target_archE1201ELNS1_3gpuE5ELNS1_3repE0EEENS1_30default_config_static_selectorELNS0_4arch9wavefront6targetE1EEEvT1_
                                        ; -- End function
	.section	.AMDGPU.csdata,"",@progbits
; Kernel info:
; codeLenInByte = 0
; NumSgprs: 4
; NumVgprs: 0
; NumAgprs: 0
; TotalNumVgprs: 0
; ScratchSize: 0
; MemoryBound: 0
; FloatMode: 240
; IeeeMode: 1
; LDSByteSize: 0 bytes/workgroup (compile time only)
; SGPRBlocks: 0
; VGPRBlocks: 0
; NumSGPRsForWavesPerEU: 4
; NumVGPRsForWavesPerEU: 1
; AccumOffset: 4
; Occupancy: 8
; WaveLimiterHint : 0
; COMPUTE_PGM_RSRC2:SCRATCH_EN: 0
; COMPUTE_PGM_RSRC2:USER_SGPR: 6
; COMPUTE_PGM_RSRC2:TRAP_HANDLER: 0
; COMPUTE_PGM_RSRC2:TGID_X_EN: 1
; COMPUTE_PGM_RSRC2:TGID_Y_EN: 0
; COMPUTE_PGM_RSRC2:TGID_Z_EN: 0
; COMPUTE_PGM_RSRC2:TIDIG_COMP_CNT: 0
; COMPUTE_PGM_RSRC3_GFX90A:ACCUM_OFFSET: 0
; COMPUTE_PGM_RSRC3_GFX90A:TG_SPLIT: 0
	.section	.text._ZN7rocprim17ROCPRIM_400000_NS6detail17trampoline_kernelINS0_14default_configENS1_27scan_by_key_config_selectorIiiEEZZNS1_16scan_by_key_implILNS1_25lookback_scan_determinismE0ELb1ES3_N6thrust23THRUST_200600_302600_NS6detail15normal_iteratorINS9_10device_ptrIiEEEESE_SE_iNS9_10multipliesIiEENS9_8equal_toIiEEiEE10hipError_tPvRmT2_T3_T4_T5_mT6_T7_P12ihipStream_tbENKUlT_T0_E_clISt17integral_constantIbLb0EESY_IbLb1EEEEDaSU_SV_EUlSU_E_NS1_11comp_targetILNS1_3genE5ELNS1_11target_archE942ELNS1_3gpuE9ELNS1_3repE0EEENS1_30default_config_static_selectorELNS0_4arch9wavefront6targetE1EEEvT1_,"axG",@progbits,_ZN7rocprim17ROCPRIM_400000_NS6detail17trampoline_kernelINS0_14default_configENS1_27scan_by_key_config_selectorIiiEEZZNS1_16scan_by_key_implILNS1_25lookback_scan_determinismE0ELb1ES3_N6thrust23THRUST_200600_302600_NS6detail15normal_iteratorINS9_10device_ptrIiEEEESE_SE_iNS9_10multipliesIiEENS9_8equal_toIiEEiEE10hipError_tPvRmT2_T3_T4_T5_mT6_T7_P12ihipStream_tbENKUlT_T0_E_clISt17integral_constantIbLb0EESY_IbLb1EEEEDaSU_SV_EUlSU_E_NS1_11comp_targetILNS1_3genE5ELNS1_11target_archE942ELNS1_3gpuE9ELNS1_3repE0EEENS1_30default_config_static_selectorELNS0_4arch9wavefront6targetE1EEEvT1_,comdat
	.protected	_ZN7rocprim17ROCPRIM_400000_NS6detail17trampoline_kernelINS0_14default_configENS1_27scan_by_key_config_selectorIiiEEZZNS1_16scan_by_key_implILNS1_25lookback_scan_determinismE0ELb1ES3_N6thrust23THRUST_200600_302600_NS6detail15normal_iteratorINS9_10device_ptrIiEEEESE_SE_iNS9_10multipliesIiEENS9_8equal_toIiEEiEE10hipError_tPvRmT2_T3_T4_T5_mT6_T7_P12ihipStream_tbENKUlT_T0_E_clISt17integral_constantIbLb0EESY_IbLb1EEEEDaSU_SV_EUlSU_E_NS1_11comp_targetILNS1_3genE5ELNS1_11target_archE942ELNS1_3gpuE9ELNS1_3repE0EEENS1_30default_config_static_selectorELNS0_4arch9wavefront6targetE1EEEvT1_ ; -- Begin function _ZN7rocprim17ROCPRIM_400000_NS6detail17trampoline_kernelINS0_14default_configENS1_27scan_by_key_config_selectorIiiEEZZNS1_16scan_by_key_implILNS1_25lookback_scan_determinismE0ELb1ES3_N6thrust23THRUST_200600_302600_NS6detail15normal_iteratorINS9_10device_ptrIiEEEESE_SE_iNS9_10multipliesIiEENS9_8equal_toIiEEiEE10hipError_tPvRmT2_T3_T4_T5_mT6_T7_P12ihipStream_tbENKUlT_T0_E_clISt17integral_constantIbLb0EESY_IbLb1EEEEDaSU_SV_EUlSU_E_NS1_11comp_targetILNS1_3genE5ELNS1_11target_archE942ELNS1_3gpuE9ELNS1_3repE0EEENS1_30default_config_static_selectorELNS0_4arch9wavefront6targetE1EEEvT1_
	.globl	_ZN7rocprim17ROCPRIM_400000_NS6detail17trampoline_kernelINS0_14default_configENS1_27scan_by_key_config_selectorIiiEEZZNS1_16scan_by_key_implILNS1_25lookback_scan_determinismE0ELb1ES3_N6thrust23THRUST_200600_302600_NS6detail15normal_iteratorINS9_10device_ptrIiEEEESE_SE_iNS9_10multipliesIiEENS9_8equal_toIiEEiEE10hipError_tPvRmT2_T3_T4_T5_mT6_T7_P12ihipStream_tbENKUlT_T0_E_clISt17integral_constantIbLb0EESY_IbLb1EEEEDaSU_SV_EUlSU_E_NS1_11comp_targetILNS1_3genE5ELNS1_11target_archE942ELNS1_3gpuE9ELNS1_3repE0EEENS1_30default_config_static_selectorELNS0_4arch9wavefront6targetE1EEEvT1_
	.p2align	8
	.type	_ZN7rocprim17ROCPRIM_400000_NS6detail17trampoline_kernelINS0_14default_configENS1_27scan_by_key_config_selectorIiiEEZZNS1_16scan_by_key_implILNS1_25lookback_scan_determinismE0ELb1ES3_N6thrust23THRUST_200600_302600_NS6detail15normal_iteratorINS9_10device_ptrIiEEEESE_SE_iNS9_10multipliesIiEENS9_8equal_toIiEEiEE10hipError_tPvRmT2_T3_T4_T5_mT6_T7_P12ihipStream_tbENKUlT_T0_E_clISt17integral_constantIbLb0EESY_IbLb1EEEEDaSU_SV_EUlSU_E_NS1_11comp_targetILNS1_3genE5ELNS1_11target_archE942ELNS1_3gpuE9ELNS1_3repE0EEENS1_30default_config_static_selectorELNS0_4arch9wavefront6targetE1EEEvT1_,@function
_ZN7rocprim17ROCPRIM_400000_NS6detail17trampoline_kernelINS0_14default_configENS1_27scan_by_key_config_selectorIiiEEZZNS1_16scan_by_key_implILNS1_25lookback_scan_determinismE0ELb1ES3_N6thrust23THRUST_200600_302600_NS6detail15normal_iteratorINS9_10device_ptrIiEEEESE_SE_iNS9_10multipliesIiEENS9_8equal_toIiEEiEE10hipError_tPvRmT2_T3_T4_T5_mT6_T7_P12ihipStream_tbENKUlT_T0_E_clISt17integral_constantIbLb0EESY_IbLb1EEEEDaSU_SV_EUlSU_E_NS1_11comp_targetILNS1_3genE5ELNS1_11target_archE942ELNS1_3gpuE9ELNS1_3repE0EEENS1_30default_config_static_selectorELNS0_4arch9wavefront6targetE1EEEvT1_: ; @_ZN7rocprim17ROCPRIM_400000_NS6detail17trampoline_kernelINS0_14default_configENS1_27scan_by_key_config_selectorIiiEEZZNS1_16scan_by_key_implILNS1_25lookback_scan_determinismE0ELb1ES3_N6thrust23THRUST_200600_302600_NS6detail15normal_iteratorINS9_10device_ptrIiEEEESE_SE_iNS9_10multipliesIiEENS9_8equal_toIiEEiEE10hipError_tPvRmT2_T3_T4_T5_mT6_T7_P12ihipStream_tbENKUlT_T0_E_clISt17integral_constantIbLb0EESY_IbLb1EEEEDaSU_SV_EUlSU_E_NS1_11comp_targetILNS1_3genE5ELNS1_11target_archE942ELNS1_3gpuE9ELNS1_3repE0EEENS1_30default_config_static_selectorELNS0_4arch9wavefront6targetE1EEEvT1_
; %bb.0:
	.section	.rodata,"a",@progbits
	.p2align	6, 0x0
	.amdhsa_kernel _ZN7rocprim17ROCPRIM_400000_NS6detail17trampoline_kernelINS0_14default_configENS1_27scan_by_key_config_selectorIiiEEZZNS1_16scan_by_key_implILNS1_25lookback_scan_determinismE0ELb1ES3_N6thrust23THRUST_200600_302600_NS6detail15normal_iteratorINS9_10device_ptrIiEEEESE_SE_iNS9_10multipliesIiEENS9_8equal_toIiEEiEE10hipError_tPvRmT2_T3_T4_T5_mT6_T7_P12ihipStream_tbENKUlT_T0_E_clISt17integral_constantIbLb0EESY_IbLb1EEEEDaSU_SV_EUlSU_E_NS1_11comp_targetILNS1_3genE5ELNS1_11target_archE942ELNS1_3gpuE9ELNS1_3repE0EEENS1_30default_config_static_selectorELNS0_4arch9wavefront6targetE1EEEvT1_
		.amdhsa_group_segment_fixed_size 0
		.amdhsa_private_segment_fixed_size 0
		.amdhsa_kernarg_size 112
		.amdhsa_user_sgpr_count 6
		.amdhsa_user_sgpr_private_segment_buffer 1
		.amdhsa_user_sgpr_dispatch_ptr 0
		.amdhsa_user_sgpr_queue_ptr 0
		.amdhsa_user_sgpr_kernarg_segment_ptr 1
		.amdhsa_user_sgpr_dispatch_id 0
		.amdhsa_user_sgpr_flat_scratch_init 0
		.amdhsa_user_sgpr_kernarg_preload_length 0
		.amdhsa_user_sgpr_kernarg_preload_offset 0
		.amdhsa_user_sgpr_private_segment_size 0
		.amdhsa_uses_dynamic_stack 0
		.amdhsa_system_sgpr_private_segment_wavefront_offset 0
		.amdhsa_system_sgpr_workgroup_id_x 1
		.amdhsa_system_sgpr_workgroup_id_y 0
		.amdhsa_system_sgpr_workgroup_id_z 0
		.amdhsa_system_sgpr_workgroup_info 0
		.amdhsa_system_vgpr_workitem_id 0
		.amdhsa_next_free_vgpr 1
		.amdhsa_next_free_sgpr 0
		.amdhsa_accum_offset 4
		.amdhsa_reserve_vcc 0
		.amdhsa_reserve_flat_scratch 0
		.amdhsa_float_round_mode_32 0
		.amdhsa_float_round_mode_16_64 0
		.amdhsa_float_denorm_mode_32 3
		.amdhsa_float_denorm_mode_16_64 3
		.amdhsa_dx10_clamp 1
		.amdhsa_ieee_mode 1
		.amdhsa_fp16_overflow 0
		.amdhsa_tg_split 0
		.amdhsa_exception_fp_ieee_invalid_op 0
		.amdhsa_exception_fp_denorm_src 0
		.amdhsa_exception_fp_ieee_div_zero 0
		.amdhsa_exception_fp_ieee_overflow 0
		.amdhsa_exception_fp_ieee_underflow 0
		.amdhsa_exception_fp_ieee_inexact 0
		.amdhsa_exception_int_div_zero 0
	.end_amdhsa_kernel
	.section	.text._ZN7rocprim17ROCPRIM_400000_NS6detail17trampoline_kernelINS0_14default_configENS1_27scan_by_key_config_selectorIiiEEZZNS1_16scan_by_key_implILNS1_25lookback_scan_determinismE0ELb1ES3_N6thrust23THRUST_200600_302600_NS6detail15normal_iteratorINS9_10device_ptrIiEEEESE_SE_iNS9_10multipliesIiEENS9_8equal_toIiEEiEE10hipError_tPvRmT2_T3_T4_T5_mT6_T7_P12ihipStream_tbENKUlT_T0_E_clISt17integral_constantIbLb0EESY_IbLb1EEEEDaSU_SV_EUlSU_E_NS1_11comp_targetILNS1_3genE5ELNS1_11target_archE942ELNS1_3gpuE9ELNS1_3repE0EEENS1_30default_config_static_selectorELNS0_4arch9wavefront6targetE1EEEvT1_,"axG",@progbits,_ZN7rocprim17ROCPRIM_400000_NS6detail17trampoline_kernelINS0_14default_configENS1_27scan_by_key_config_selectorIiiEEZZNS1_16scan_by_key_implILNS1_25lookback_scan_determinismE0ELb1ES3_N6thrust23THRUST_200600_302600_NS6detail15normal_iteratorINS9_10device_ptrIiEEEESE_SE_iNS9_10multipliesIiEENS9_8equal_toIiEEiEE10hipError_tPvRmT2_T3_T4_T5_mT6_T7_P12ihipStream_tbENKUlT_T0_E_clISt17integral_constantIbLb0EESY_IbLb1EEEEDaSU_SV_EUlSU_E_NS1_11comp_targetILNS1_3genE5ELNS1_11target_archE942ELNS1_3gpuE9ELNS1_3repE0EEENS1_30default_config_static_selectorELNS0_4arch9wavefront6targetE1EEEvT1_,comdat
.Lfunc_end526:
	.size	_ZN7rocprim17ROCPRIM_400000_NS6detail17trampoline_kernelINS0_14default_configENS1_27scan_by_key_config_selectorIiiEEZZNS1_16scan_by_key_implILNS1_25lookback_scan_determinismE0ELb1ES3_N6thrust23THRUST_200600_302600_NS6detail15normal_iteratorINS9_10device_ptrIiEEEESE_SE_iNS9_10multipliesIiEENS9_8equal_toIiEEiEE10hipError_tPvRmT2_T3_T4_T5_mT6_T7_P12ihipStream_tbENKUlT_T0_E_clISt17integral_constantIbLb0EESY_IbLb1EEEEDaSU_SV_EUlSU_E_NS1_11comp_targetILNS1_3genE5ELNS1_11target_archE942ELNS1_3gpuE9ELNS1_3repE0EEENS1_30default_config_static_selectorELNS0_4arch9wavefront6targetE1EEEvT1_, .Lfunc_end526-_ZN7rocprim17ROCPRIM_400000_NS6detail17trampoline_kernelINS0_14default_configENS1_27scan_by_key_config_selectorIiiEEZZNS1_16scan_by_key_implILNS1_25lookback_scan_determinismE0ELb1ES3_N6thrust23THRUST_200600_302600_NS6detail15normal_iteratorINS9_10device_ptrIiEEEESE_SE_iNS9_10multipliesIiEENS9_8equal_toIiEEiEE10hipError_tPvRmT2_T3_T4_T5_mT6_T7_P12ihipStream_tbENKUlT_T0_E_clISt17integral_constantIbLb0EESY_IbLb1EEEEDaSU_SV_EUlSU_E_NS1_11comp_targetILNS1_3genE5ELNS1_11target_archE942ELNS1_3gpuE9ELNS1_3repE0EEENS1_30default_config_static_selectorELNS0_4arch9wavefront6targetE1EEEvT1_
                                        ; -- End function
	.section	.AMDGPU.csdata,"",@progbits
; Kernel info:
; codeLenInByte = 0
; NumSgprs: 4
; NumVgprs: 0
; NumAgprs: 0
; TotalNumVgprs: 0
; ScratchSize: 0
; MemoryBound: 0
; FloatMode: 240
; IeeeMode: 1
; LDSByteSize: 0 bytes/workgroup (compile time only)
; SGPRBlocks: 0
; VGPRBlocks: 0
; NumSGPRsForWavesPerEU: 4
; NumVGPRsForWavesPerEU: 1
; AccumOffset: 4
; Occupancy: 8
; WaveLimiterHint : 0
; COMPUTE_PGM_RSRC2:SCRATCH_EN: 0
; COMPUTE_PGM_RSRC2:USER_SGPR: 6
; COMPUTE_PGM_RSRC2:TRAP_HANDLER: 0
; COMPUTE_PGM_RSRC2:TGID_X_EN: 1
; COMPUTE_PGM_RSRC2:TGID_Y_EN: 0
; COMPUTE_PGM_RSRC2:TGID_Z_EN: 0
; COMPUTE_PGM_RSRC2:TIDIG_COMP_CNT: 0
; COMPUTE_PGM_RSRC3_GFX90A:ACCUM_OFFSET: 0
; COMPUTE_PGM_RSRC3_GFX90A:TG_SPLIT: 0
	.section	.text._ZN7rocprim17ROCPRIM_400000_NS6detail17trampoline_kernelINS0_14default_configENS1_27scan_by_key_config_selectorIiiEEZZNS1_16scan_by_key_implILNS1_25lookback_scan_determinismE0ELb1ES3_N6thrust23THRUST_200600_302600_NS6detail15normal_iteratorINS9_10device_ptrIiEEEESE_SE_iNS9_10multipliesIiEENS9_8equal_toIiEEiEE10hipError_tPvRmT2_T3_T4_T5_mT6_T7_P12ihipStream_tbENKUlT_T0_E_clISt17integral_constantIbLb0EESY_IbLb1EEEEDaSU_SV_EUlSU_E_NS1_11comp_targetILNS1_3genE4ELNS1_11target_archE910ELNS1_3gpuE8ELNS1_3repE0EEENS1_30default_config_static_selectorELNS0_4arch9wavefront6targetE1EEEvT1_,"axG",@progbits,_ZN7rocprim17ROCPRIM_400000_NS6detail17trampoline_kernelINS0_14default_configENS1_27scan_by_key_config_selectorIiiEEZZNS1_16scan_by_key_implILNS1_25lookback_scan_determinismE0ELb1ES3_N6thrust23THRUST_200600_302600_NS6detail15normal_iteratorINS9_10device_ptrIiEEEESE_SE_iNS9_10multipliesIiEENS9_8equal_toIiEEiEE10hipError_tPvRmT2_T3_T4_T5_mT6_T7_P12ihipStream_tbENKUlT_T0_E_clISt17integral_constantIbLb0EESY_IbLb1EEEEDaSU_SV_EUlSU_E_NS1_11comp_targetILNS1_3genE4ELNS1_11target_archE910ELNS1_3gpuE8ELNS1_3repE0EEENS1_30default_config_static_selectorELNS0_4arch9wavefront6targetE1EEEvT1_,comdat
	.protected	_ZN7rocprim17ROCPRIM_400000_NS6detail17trampoline_kernelINS0_14default_configENS1_27scan_by_key_config_selectorIiiEEZZNS1_16scan_by_key_implILNS1_25lookback_scan_determinismE0ELb1ES3_N6thrust23THRUST_200600_302600_NS6detail15normal_iteratorINS9_10device_ptrIiEEEESE_SE_iNS9_10multipliesIiEENS9_8equal_toIiEEiEE10hipError_tPvRmT2_T3_T4_T5_mT6_T7_P12ihipStream_tbENKUlT_T0_E_clISt17integral_constantIbLb0EESY_IbLb1EEEEDaSU_SV_EUlSU_E_NS1_11comp_targetILNS1_3genE4ELNS1_11target_archE910ELNS1_3gpuE8ELNS1_3repE0EEENS1_30default_config_static_selectorELNS0_4arch9wavefront6targetE1EEEvT1_ ; -- Begin function _ZN7rocprim17ROCPRIM_400000_NS6detail17trampoline_kernelINS0_14default_configENS1_27scan_by_key_config_selectorIiiEEZZNS1_16scan_by_key_implILNS1_25lookback_scan_determinismE0ELb1ES3_N6thrust23THRUST_200600_302600_NS6detail15normal_iteratorINS9_10device_ptrIiEEEESE_SE_iNS9_10multipliesIiEENS9_8equal_toIiEEiEE10hipError_tPvRmT2_T3_T4_T5_mT6_T7_P12ihipStream_tbENKUlT_T0_E_clISt17integral_constantIbLb0EESY_IbLb1EEEEDaSU_SV_EUlSU_E_NS1_11comp_targetILNS1_3genE4ELNS1_11target_archE910ELNS1_3gpuE8ELNS1_3repE0EEENS1_30default_config_static_selectorELNS0_4arch9wavefront6targetE1EEEvT1_
	.globl	_ZN7rocprim17ROCPRIM_400000_NS6detail17trampoline_kernelINS0_14default_configENS1_27scan_by_key_config_selectorIiiEEZZNS1_16scan_by_key_implILNS1_25lookback_scan_determinismE0ELb1ES3_N6thrust23THRUST_200600_302600_NS6detail15normal_iteratorINS9_10device_ptrIiEEEESE_SE_iNS9_10multipliesIiEENS9_8equal_toIiEEiEE10hipError_tPvRmT2_T3_T4_T5_mT6_T7_P12ihipStream_tbENKUlT_T0_E_clISt17integral_constantIbLb0EESY_IbLb1EEEEDaSU_SV_EUlSU_E_NS1_11comp_targetILNS1_3genE4ELNS1_11target_archE910ELNS1_3gpuE8ELNS1_3repE0EEENS1_30default_config_static_selectorELNS0_4arch9wavefront6targetE1EEEvT1_
	.p2align	8
	.type	_ZN7rocprim17ROCPRIM_400000_NS6detail17trampoline_kernelINS0_14default_configENS1_27scan_by_key_config_selectorIiiEEZZNS1_16scan_by_key_implILNS1_25lookback_scan_determinismE0ELb1ES3_N6thrust23THRUST_200600_302600_NS6detail15normal_iteratorINS9_10device_ptrIiEEEESE_SE_iNS9_10multipliesIiEENS9_8equal_toIiEEiEE10hipError_tPvRmT2_T3_T4_T5_mT6_T7_P12ihipStream_tbENKUlT_T0_E_clISt17integral_constantIbLb0EESY_IbLb1EEEEDaSU_SV_EUlSU_E_NS1_11comp_targetILNS1_3genE4ELNS1_11target_archE910ELNS1_3gpuE8ELNS1_3repE0EEENS1_30default_config_static_selectorELNS0_4arch9wavefront6targetE1EEEvT1_,@function
_ZN7rocprim17ROCPRIM_400000_NS6detail17trampoline_kernelINS0_14default_configENS1_27scan_by_key_config_selectorIiiEEZZNS1_16scan_by_key_implILNS1_25lookback_scan_determinismE0ELb1ES3_N6thrust23THRUST_200600_302600_NS6detail15normal_iteratorINS9_10device_ptrIiEEEESE_SE_iNS9_10multipliesIiEENS9_8equal_toIiEEiEE10hipError_tPvRmT2_T3_T4_T5_mT6_T7_P12ihipStream_tbENKUlT_T0_E_clISt17integral_constantIbLb0EESY_IbLb1EEEEDaSU_SV_EUlSU_E_NS1_11comp_targetILNS1_3genE4ELNS1_11target_archE910ELNS1_3gpuE8ELNS1_3repE0EEENS1_30default_config_static_selectorELNS0_4arch9wavefront6targetE1EEEvT1_: ; @_ZN7rocprim17ROCPRIM_400000_NS6detail17trampoline_kernelINS0_14default_configENS1_27scan_by_key_config_selectorIiiEEZZNS1_16scan_by_key_implILNS1_25lookback_scan_determinismE0ELb1ES3_N6thrust23THRUST_200600_302600_NS6detail15normal_iteratorINS9_10device_ptrIiEEEESE_SE_iNS9_10multipliesIiEENS9_8equal_toIiEEiEE10hipError_tPvRmT2_T3_T4_T5_mT6_T7_P12ihipStream_tbENKUlT_T0_E_clISt17integral_constantIbLb0EESY_IbLb1EEEEDaSU_SV_EUlSU_E_NS1_11comp_targetILNS1_3genE4ELNS1_11target_archE910ELNS1_3gpuE8ELNS1_3repE0EEENS1_30default_config_static_selectorELNS0_4arch9wavefront6targetE1EEEvT1_
; %bb.0:
	s_load_dword s54, s[4:5], 0x20
	s_load_dwordx4 s[44:47], s[4:5], 0x28
	s_load_dwordx2 s[52:53], s[4:5], 0x38
	v_cmp_eq_u32_e64 s[0:1], 0, v0
	s_and_saveexec_b64 s[2:3], s[0:1]
	s_cbranch_execz .LBB527_4
; %bb.1:
	s_mov_b64 s[8:9], exec
	v_mbcnt_lo_u32_b32 v1, s8, 0
	v_mbcnt_hi_u32_b32 v1, s9, v1
	v_cmp_eq_u32_e32 vcc, 0, v1
                                        ; implicit-def: $vgpr2
	s_and_saveexec_b64 s[6:7], vcc
	s_cbranch_execz .LBB527_3
; %bb.2:
	s_load_dwordx2 s[10:11], s[4:5], 0x68
	s_bcnt1_i32_b64 s8, s[8:9]
	v_mov_b32_e32 v2, 0
	v_mov_b32_e32 v3, s8
	s_waitcnt lgkmcnt(0)
	global_atomic_add v2, v2, v3, s[10:11] glc
.LBB527_3:
	s_or_b64 exec, exec, s[6:7]
	s_waitcnt vmcnt(0)
	v_readfirstlane_b32 s6, v2
	v_add_u32_e32 v1, s6, v1
	v_mov_b32_e32 v2, 0
	ds_write_b32 v2, v1
.LBB527_4:
	s_or_b64 exec, exec, s[2:3]
	s_load_dwordx8 s[36:43], s[4:5], 0x0
	s_load_dword s2, s[4:5], 0x40
	s_load_dwordx4 s[48:51], s[4:5], 0x48
	v_mov_b32_e32 v3, 0
	s_waitcnt lgkmcnt(0)
	s_lshl_b64 s[34:35], s[38:39], 2
	s_barrier
	ds_read_b32 v4, v3
	s_add_u32 s3, s36, s34
	s_addc_u32 s4, s37, s35
	s_add_u32 s5, s40, s34
	s_mul_i32 s7, s53, s2
	s_mul_hi_u32 s8, s52, s2
	s_addc_u32 s6, s41, s35
	s_add_i32 s7, s8, s7
	s_movk_i32 s8, 0xe00
	s_waitcnt lgkmcnt(0)
	v_mul_lo_u32 v2, v4, s8
	v_lshlrev_b64 v[38:39], 2, v[2:3]
	v_mov_b32_e32 v1, s4
	v_add_co_u32_e32 v42, vcc, s3, v38
	v_addc_co_u32_e32 v43, vcc, v1, v39, vcc
	v_mov_b32_e32 v2, s6
	v_add_co_u32_e32 v1, vcc, s5, v38
	s_mul_i32 s2, s52, s2
	v_addc_co_u32_e32 v48, vcc, v2, v39, vcc
	v_mov_b32_e32 v3, s7
	v_add_co_u32_e32 v2, vcc, s2, v4
	s_add_u32 s4, s48, -1
	v_addc_co_u32_e32 v3, vcc, 0, v3, vcc
	s_addc_u32 s5, s49, -1
	v_cmp_le_u64_e64 s[2:3], s[4:5], v[2:3]
	v_readfirstlane_b32 s47, v4
	s_mov_b64 s[12:13], -1
	s_and_b64 vcc, exec, s[2:3]
	s_mul_i32 s33, s4, 0xfffff200
	s_barrier
	s_barrier
	s_cbranch_vccz .LBB527_80
; %bb.5:
	flat_load_dword v13, v[42:43]
	s_add_i32 s40, s33, s46
	v_cmp_gt_u32_e32 vcc, s40, v0
	s_waitcnt vmcnt(0) lgkmcnt(0)
	v_mov_b32_e32 v14, v13
	s_and_saveexec_b64 s[6:7], vcc
	s_cbranch_execz .LBB527_7
; %bb.6:
	v_lshlrev_b32_e32 v2, 2, v0
	v_add_co_u32_e64 v2, s[4:5], v42, v2
	v_addc_co_u32_e64 v3, s[4:5], 0, v43, s[4:5]
	flat_load_dword v14, v[2:3]
.LBB527_7:
	s_or_b64 exec, exec, s[6:7]
	v_or_b32_e32 v2, 0x100, v0
	v_cmp_gt_u32_e64 s[4:5], s40, v2
	v_mov_b32_e32 v15, v13
	s_and_saveexec_b64 s[8:9], s[4:5]
	s_cbranch_execz .LBB527_9
; %bb.8:
	v_lshlrev_b32_e32 v2, 2, v0
	v_add_co_u32_e64 v2, s[6:7], v42, v2
	v_addc_co_u32_e64 v3, s[6:7], 0, v43, s[6:7]
	flat_load_dword v15, v[2:3] offset:1024
.LBB527_9:
	s_or_b64 exec, exec, s[8:9]
	v_or_b32_e32 v2, 0x200, v0
	v_cmp_gt_u32_e64 s[6:7], s40, v2
	v_mov_b32_e32 v16, v13
	s_and_saveexec_b64 s[10:11], s[6:7]
	s_cbranch_execz .LBB527_11
; %bb.10:
	v_lshlrev_b32_e32 v2, 2, v0
	v_add_co_u32_e64 v2, s[8:9], v42, v2
	v_addc_co_u32_e64 v3, s[8:9], 0, v43, s[8:9]
	flat_load_dword v16, v[2:3] offset:2048
.LBB527_11:
	;; [unrolled: 12-line block ×3, first 2 shown]
	s_or_b64 exec, exec, s[12:13]
	v_or_b32_e32 v2, 0x400, v0
	v_cmp_gt_u32_e64 s[10:11], s40, v2
	v_lshlrev_b32_e32 v2, 2, v2
	v_mov_b32_e32 v18, v13
	s_and_saveexec_b64 s[14:15], s[10:11]
	s_cbranch_execz .LBB527_15
; %bb.14:
	v_add_co_u32_e64 v4, s[12:13], v42, v2
	v_addc_co_u32_e64 v5, s[12:13], 0, v43, s[12:13]
	flat_load_dword v18, v[4:5]
.LBB527_15:
	s_or_b64 exec, exec, s[14:15]
	v_or_b32_e32 v3, 0x500, v0
	v_cmp_gt_u32_e64 s[12:13], s40, v3
	v_lshlrev_b32_e32 v3, 2, v3
	v_mov_b32_e32 v19, v13
	s_and_saveexec_b64 s[16:17], s[12:13]
	s_cbranch_execz .LBB527_17
; %bb.16:
	v_add_co_u32_e64 v4, s[14:15], v42, v3
	v_addc_co_u32_e64 v5, s[14:15], 0, v43, s[14:15]
	flat_load_dword v19, v[4:5]
.LBB527_17:
	;; [unrolled: 12-line block ×9, first 2 shown]
	s_or_b64 exec, exec, s[30:31]
	v_or_b32_e32 v11, 0xd00, v0
	v_cmp_gt_u32_e64 s[28:29], s40, v11
	v_lshlrev_b32_e32 v11, 2, v11
	s_and_saveexec_b64 s[36:37], s[28:29]
	s_cbranch_execz .LBB527_33
; %bb.32:
	v_add_co_u32_e64 v12, s[30:31], v42, v11
	v_addc_co_u32_e64 v13, s[30:31], 0, v43, s[30:31]
	flat_load_dword v13, v[12:13]
.LBB527_33:
	s_or_b64 exec, exec, s[36:37]
	v_lshlrev_b32_e32 v12, 2, v0
	s_waitcnt vmcnt(0) lgkmcnt(0)
	ds_write2st64_b32 v12, v14, v15 offset1:4
	ds_write2st64_b32 v12, v16, v17 offset0:8 offset1:12
	ds_write2st64_b32 v12, v18, v19 offset0:16 offset1:20
	;; [unrolled: 1-line block ×6, first 2 shown]
	s_waitcnt lgkmcnt(0)
	s_barrier
	flat_load_dword v49, v[42:43]
	v_mad_u32_u24 v50, v0, 52, v12
	s_movk_i32 s30, 0xffcc
	ds_read2_b64 v[34:37], v50 offset1:1
	ds_read2_b64 v[30:33], v50 offset0:2 offset1:3
	ds_read2_b64 v[26:29], v50 offset0:4 offset1:5
	ds_read_b64 v[44:45], v50 offset:48
	v_mad_i32_i24 v13, v0, s30, v50
	s_movk_i32 s30, 0xff
	v_cmp_ne_u32_e64 s[30:31], s30, v0
	s_waitcnt lgkmcnt(0)
	ds_write_b32 v13, v34 offset:15360
	s_waitcnt lgkmcnt(0)
	s_barrier
	s_and_saveexec_b64 s[36:37], s[30:31]
	s_cbranch_execz .LBB527_35
; %bb.34:
	s_waitcnt vmcnt(0)
	ds_read_b32 v49, v12 offset:15364
.LBB527_35:
	s_or_b64 exec, exec, s[36:37]
	s_waitcnt lgkmcnt(0)
	s_barrier
	s_waitcnt lgkmcnt(0)
                                        ; implicit-def: $vgpr13
	s_and_saveexec_b64 s[30:31], vcc
	s_cbranch_execz .LBB527_155
; %bb.36:
	v_add_co_u32_e32 v14, vcc, v1, v12
	v_addc_co_u32_e32 v15, vcc, 0, v48, vcc
	flat_load_dword v13, v[14:15]
	s_or_b64 exec, exec, s[30:31]
                                        ; implicit-def: $vgpr14
	s_and_saveexec_b64 s[30:31], s[4:5]
	s_cbranch_execnz .LBB527_156
.LBB527_37:
	s_or_b64 exec, exec, s[30:31]
                                        ; implicit-def: $vgpr15
	s_and_saveexec_b64 s[4:5], s[6:7]
	s_cbranch_execz .LBB527_157
.LBB527_38:
	v_add_co_u32_e32 v16, vcc, v1, v12
	v_addc_co_u32_e32 v17, vcc, 0, v48, vcc
	flat_load_dword v15, v[16:17] offset:2048
	s_or_b64 exec, exec, s[4:5]
                                        ; implicit-def: $vgpr16
	s_and_saveexec_b64 s[4:5], s[8:9]
	s_cbranch_execnz .LBB527_158
.LBB527_39:
	s_or_b64 exec, exec, s[4:5]
                                        ; implicit-def: $vgpr17
	s_and_saveexec_b64 s[4:5], s[10:11]
	s_cbranch_execz .LBB527_159
.LBB527_40:
	v_add_co_u32_e32 v18, vcc, v1, v2
	v_addc_co_u32_e32 v19, vcc, 0, v48, vcc
	flat_load_dword v17, v[18:19]
	s_or_b64 exec, exec, s[4:5]
                                        ; implicit-def: $vgpr2
	s_and_saveexec_b64 s[4:5], s[12:13]
	s_cbranch_execnz .LBB527_160
.LBB527_41:
	s_or_b64 exec, exec, s[4:5]
                                        ; implicit-def: $vgpr3
	s_and_saveexec_b64 s[4:5], s[14:15]
	s_cbranch_execz .LBB527_161
.LBB527_42:
	v_add_co_u32_e32 v18, vcc, v1, v4
	v_addc_co_u32_e32 v19, vcc, 0, v48, vcc
	flat_load_dword v3, v[18:19]
	s_or_b64 exec, exec, s[4:5]
                                        ; implicit-def: $vgpr4
	s_and_saveexec_b64 s[4:5], s[16:17]
	s_cbranch_execnz .LBB527_162
.LBB527_43:
	s_or_b64 exec, exec, s[4:5]
                                        ; implicit-def: $vgpr5
	s_and_saveexec_b64 s[4:5], s[18:19]
	s_cbranch_execz .LBB527_163
.LBB527_44:
	v_add_co_u32_e32 v18, vcc, v1, v6
	v_addc_co_u32_e32 v19, vcc, 0, v48, vcc
	flat_load_dword v5, v[18:19]
	s_or_b64 exec, exec, s[4:5]
                                        ; implicit-def: $vgpr6
	s_and_saveexec_b64 s[4:5], s[20:21]
	s_cbranch_execnz .LBB527_164
.LBB527_45:
	s_or_b64 exec, exec, s[4:5]
                                        ; implicit-def: $vgpr7
	s_and_saveexec_b64 s[4:5], s[22:23]
	s_cbranch_execz .LBB527_165
.LBB527_46:
	v_add_co_u32_e32 v18, vcc, v1, v8
	v_addc_co_u32_e32 v19, vcc, 0, v48, vcc
	flat_load_dword v7, v[18:19]
	s_or_b64 exec, exec, s[4:5]
                                        ; implicit-def: $vgpr8
	s_and_saveexec_b64 s[4:5], s[24:25]
	s_cbranch_execnz .LBB527_166
.LBB527_47:
	s_or_b64 exec, exec, s[4:5]
                                        ; implicit-def: $vgpr9
	s_and_saveexec_b64 s[4:5], s[26:27]
	s_cbranch_execz .LBB527_49
.LBB527_48:
	v_add_co_u32_e32 v18, vcc, v1, v10
	v_addc_co_u32_e32 v19, vcc, 0, v48, vcc
	flat_load_dword v9, v[18:19]
.LBB527_49:
	s_or_b64 exec, exec, s[4:5]
	v_mul_u32_u24_e32 v51, 14, v0
                                        ; implicit-def: $vgpr10
	s_and_saveexec_b64 s[4:5], s[28:29]
	s_cbranch_execz .LBB527_51
; %bb.50:
	v_add_co_u32_e32 v10, vcc, v1, v11
	v_addc_co_u32_e32 v11, vcc, 0, v48, vcc
	flat_load_dword v10, v[10:11]
.LBB527_51:
	s_or_b64 exec, exec, s[4:5]
	s_mov_b32 s4, 0
	s_mov_b32 s5, s4
	s_waitcnt vmcnt(0) lgkmcnt(0)
	ds_write2st64_b32 v12, v13, v14 offset1:4
	ds_write2st64_b32 v12, v15, v16 offset0:8 offset1:12
	ds_write2st64_b32 v12, v17, v2 offset0:16 offset1:20
	;; [unrolled: 1-line block ×6, first 2 shown]
	s_mov_b32 s6, s4
	s_mov_b32 s7, s4
	;; [unrolled: 1-line block ×6, first 2 shown]
	v_pk_mov_b32 v[2:3], s[4:5], s[4:5] op_sel:[0,1]
	v_pk_mov_b32 v[8:9], s[10:11], s[10:11] op_sel:[0,1]
	;; [unrolled: 1-line block ×6, first 2 shown]
	v_cmp_gt_u32_e32 vcc, s40, v51
	s_mov_b64 s[12:13], 0
	v_pk_mov_b32 v[40:41], 0, 0
	s_mov_b64 s[18:19], 0
	v_pk_mov_b32 v[14:15], v[6:7], v[6:7] op_sel:[0,1]
	v_pk_mov_b32 v[12:13], v[4:5], v[4:5] op_sel:[0,1]
	;; [unrolled: 1-line block ×6, first 2 shown]
	s_waitcnt lgkmcnt(0)
	s_barrier
	s_waitcnt lgkmcnt(0)
                                        ; implicit-def: $sgpr16_sgpr17
                                        ; implicit-def: $vgpr46
	s_and_saveexec_b64 s[14:15], vcc
	s_cbranch_execz .LBB527_79
; %bb.52:
	ds_read_b32 v2, v50
	v_mov_b32_e32 v4, s54
	v_cmp_eq_u32_e32 vcc, v34, v35
	v_or_b32_e32 v3, 1, v51
                                        ; implicit-def: $vgpr46
	s_waitcnt lgkmcnt(0)
	v_cndmask_b32_e32 v40, v4, v2, vcc
	v_cmp_ne_u32_e32 vcc, v34, v35
	v_cndmask_b32_e64 v41, 0, 1, vcc
	v_cmp_gt_u32_e32 vcc, s40, v3
	v_pk_mov_b32 v[2:3], s[4:5], s[4:5] op_sel:[0,1]
	v_pk_mov_b32 v[8:9], s[10:11], s[10:11] op_sel:[0,1]
	;; [unrolled: 1-line block ×12, first 2 shown]
                                        ; implicit-def: $sgpr4_sgpr5
	s_and_saveexec_b64 s[16:17], vcc
	s_cbranch_execz .LBB527_78
; %bb.53:
	ds_read2_b32 v[46:47], v50 offset0:1 offset1:2
	s_mov_b32 s4, 0
	v_mov_b32_e32 v3, s54
	v_cmp_eq_u32_e32 vcc, v35, v36
	s_mov_b32 s10, s4
	s_mov_b32 s11, s4
	v_add_u32_e32 v2, 2, v51
	s_waitcnt lgkmcnt(0)
	v_cndmask_b32_e32 v8, v3, v46, vcc
	v_cmp_ne_u32_e32 vcc, v35, v36
	s_mov_b32 s5, s4
	s_mov_b32 s6, s4
	s_mov_b32 s7, s4
	s_mov_b32 s8, s4
	s_mov_b32 s9, s4
	v_pk_mov_b32 v[16:17], s[10:11], s[10:11] op_sel:[0,1]
	v_cndmask_b32_e64 v9, 0, 1, vcc
	v_cmp_gt_u32_e32 vcc, s40, v2
	v_mov_b32_e32 v2, 0
	v_pk_mov_b32 v[14:15], s[8:9], s[8:9] op_sel:[0,1]
	v_pk_mov_b32 v[12:13], s[6:7], s[6:7] op_sel:[0,1]
	;; [unrolled: 1-line block ×4, first 2 shown]
	v_mov_b32_e32 v3, v2
	v_mov_b32_e32 v4, v2
	;; [unrolled: 1-line block ×5, first 2 shown]
	s_mov_b64 s[20:21], 0
	v_pk_mov_b32 v[22:23], v[14:15], v[14:15] op_sel:[0,1]
	v_pk_mov_b32 v[20:21], v[12:13], v[12:13] op_sel:[0,1]
	;; [unrolled: 1-line block ×3, first 2 shown]
                                        ; implicit-def: $sgpr24_sgpr25
                                        ; implicit-def: $vgpr46
	s_and_saveexec_b64 s[18:19], vcc
	s_cbranch_execz .LBB527_77
; %bb.54:
	v_mov_b32_e32 v4, s54
	v_cmp_eq_u32_e32 vcc, v36, v37
	v_pk_mov_b32 v[16:17], s[10:11], s[10:11] op_sel:[0,1]
	v_add_u32_e32 v3, 3, v51
	v_cndmask_b32_e32 v6, v4, v47, vcc
	v_cmp_ne_u32_e32 vcc, v36, v37
	v_pk_mov_b32 v[14:15], s[8:9], s[8:9] op_sel:[0,1]
	v_pk_mov_b32 v[12:13], s[6:7], s[6:7] op_sel:[0,1]
	v_pk_mov_b32 v[10:11], s[4:5], s[4:5] op_sel:[0,1]
	v_pk_mov_b32 v[24:25], v[16:17], v[16:17] op_sel:[0,1]
	v_cndmask_b32_e64 v7, 0, 1, vcc
	v_cmp_gt_u32_e32 vcc, s40, v3
	v_mov_b32_e32 v3, v2
	v_mov_b32_e32 v4, v2
	;; [unrolled: 1-line block ×3, first 2 shown]
	s_mov_b64 s[22:23], 0
	v_pk_mov_b32 v[22:23], v[14:15], v[14:15] op_sel:[0,1]
	v_pk_mov_b32 v[20:21], v[12:13], v[12:13] op_sel:[0,1]
	;; [unrolled: 1-line block ×3, first 2 shown]
                                        ; implicit-def: $sgpr4_sgpr5
                                        ; implicit-def: $vgpr46
	s_and_saveexec_b64 s[20:21], vcc
	s_cbranch_execz .LBB527_76
; %bb.55:
	ds_read2_b32 v[34:35], v50 offset0:3 offset1:4
	s_mov_b32 s4, 0
	s_mov_b32 s10, s4
	;; [unrolled: 1-line block ×3, first 2 shown]
	v_mov_b32_e32 v3, s54
	v_cmp_eq_u32_e32 vcc, v37, v30
	s_mov_b32 s5, s4
	s_mov_b32 s6, s4
	;; [unrolled: 1-line block ×5, first 2 shown]
	v_pk_mov_b32 v[16:17], s[10:11], s[10:11] op_sel:[0,1]
	v_add_u32_e32 v2, 4, v51
	s_waitcnt lgkmcnt(0)
	v_cndmask_b32_e32 v4, v3, v34, vcc
	v_cmp_ne_u32_e32 vcc, v37, v30
	v_pk_mov_b32 v[14:15], s[8:9], s[8:9] op_sel:[0,1]
	v_pk_mov_b32 v[12:13], s[6:7], s[6:7] op_sel:[0,1]
	;; [unrolled: 1-line block ×4, first 2 shown]
	v_cndmask_b32_e64 v5, 0, 1, vcc
	v_cmp_gt_u32_e32 vcc, s40, v2
	v_mov_b32_e32 v2, s4
	v_mov_b32_e32 v3, s4
	s_mov_b64 s[24:25], 0
	v_pk_mov_b32 v[22:23], v[14:15], v[14:15] op_sel:[0,1]
	v_pk_mov_b32 v[20:21], v[12:13], v[12:13] op_sel:[0,1]
	;; [unrolled: 1-line block ×3, first 2 shown]
                                        ; implicit-def: $sgpr26_sgpr27
                                        ; implicit-def: $vgpr46
	s_and_saveexec_b64 s[22:23], vcc
	s_cbranch_execz .LBB527_75
; %bb.56:
	v_mov_b32_e32 v2, s54
	v_cmp_eq_u32_e32 vcc, v30, v31
	v_add_u32_e32 v10, 5, v51
	v_cndmask_b32_e32 v2, v2, v35, vcc
	v_cmp_ne_u32_e32 vcc, v30, v31
	v_cndmask_b32_e64 v3, 0, 1, vcc
	v_cmp_gt_u32_e32 vcc, s40, v10
	v_pk_mov_b32 v[16:17], s[10:11], s[10:11] op_sel:[0,1]
	v_pk_mov_b32 v[14:15], s[8:9], s[8:9] op_sel:[0,1]
	;; [unrolled: 1-line block ×5, first 2 shown]
	s_mov_b64 s[28:29], 0
	v_pk_mov_b32 v[22:23], v[14:15], v[14:15] op_sel:[0,1]
	v_pk_mov_b32 v[20:21], v[12:13], v[12:13] op_sel:[0,1]
	;; [unrolled: 1-line block ×3, first 2 shown]
                                        ; implicit-def: $sgpr4_sgpr5
                                        ; implicit-def: $vgpr46
	s_and_saveexec_b64 s[24:25], vcc
	s_cbranch_execz .LBB527_74
; %bb.57:
	ds_read2_b32 v[34:35], v50 offset0:5 offset1:6
	v_mov_b32_e32 v11, s54
	v_cmp_eq_u32_e32 vcc, v31, v32
	s_mov_b32 s4, 0
	v_add_u32_e32 v10, 6, v51
	s_waitcnt lgkmcnt(0)
	v_cndmask_b32_e32 v16, v11, v34, vcc
	v_cmp_ne_u32_e32 vcc, v31, v32
	s_mov_b32 s10, s4
	s_mov_b32 s11, s4
	v_cndmask_b32_e64 v17, 0, 1, vcc
	v_cmp_gt_u32_e32 vcc, s40, v10
	v_mov_b32_e32 v10, 0
	s_mov_b32 s5, s4
	s_mov_b32 s6, s4
	;; [unrolled: 1-line block ×5, first 2 shown]
	v_pk_mov_b32 v[24:25], s[10:11], s[10:11] op_sel:[0,1]
	v_mov_b32_e32 v11, v10
	v_mov_b32_e32 v12, v10
	;; [unrolled: 1-line block ×5, first 2 shown]
	v_pk_mov_b32 v[22:23], s[8:9], s[8:9] op_sel:[0,1]
	v_pk_mov_b32 v[20:21], s[6:7], s[6:7] op_sel:[0,1]
	;; [unrolled: 1-line block ×3, first 2 shown]
                                        ; implicit-def: $sgpr36_sgpr37
                                        ; implicit-def: $vgpr46
	s_and_saveexec_b64 s[26:27], vcc
	s_cbranch_execz .LBB527_73
; %bb.58:
	v_mov_b32_e32 v12, s54
	v_cmp_eq_u32_e32 vcc, v32, v33
	v_add_u32_e32 v11, 7, v51
	v_cndmask_b32_e32 v14, v12, v35, vcc
	v_cmp_ne_u32_e32 vcc, v32, v33
	v_pk_mov_b32 v[24:25], s[10:11], s[10:11] op_sel:[0,1]
	v_cndmask_b32_e64 v15, 0, 1, vcc
	v_cmp_gt_u32_e32 vcc, s40, v11
	v_mov_b32_e32 v11, v10
	v_mov_b32_e32 v12, v10
	;; [unrolled: 1-line block ×3, first 2 shown]
	s_mov_b64 s[30:31], 0
	v_pk_mov_b32 v[22:23], s[8:9], s[8:9] op_sel:[0,1]
	v_pk_mov_b32 v[20:21], s[6:7], s[6:7] op_sel:[0,1]
	;; [unrolled: 1-line block ×3, first 2 shown]
                                        ; implicit-def: $sgpr4_sgpr5
                                        ; implicit-def: $vgpr46
	s_and_saveexec_b64 s[28:29], vcc
	s_cbranch_execz .LBB527_72
; %bb.59:
	ds_read2_b32 v[30:31], v50 offset0:7 offset1:8
	s_mov_b32 s4, 0
	v_mov_b32_e32 v11, s54
	v_cmp_eq_u32_e32 vcc, v33, v26
	s_mov_b32 s10, s4
	s_mov_b32 s11, s4
	v_add_u32_e32 v10, 8, v51
	s_waitcnt lgkmcnt(0)
	v_cndmask_b32_e32 v12, v11, v30, vcc
	v_cmp_ne_u32_e32 vcc, v33, v26
	s_mov_b32 s5, s4
	s_mov_b32 s6, s4
	;; [unrolled: 1-line block ×5, first 2 shown]
	v_pk_mov_b32 v[24:25], s[10:11], s[10:11] op_sel:[0,1]
	v_cndmask_b32_e64 v13, 0, 1, vcc
	v_cmp_gt_u32_e32 vcc, s40, v10
	v_mov_b32_e32 v10, s4
	v_mov_b32_e32 v11, s4
	s_mov_b64 s[36:37], 0
	v_pk_mov_b32 v[22:23], s[8:9], s[8:9] op_sel:[0,1]
	v_pk_mov_b32 v[20:21], s[6:7], s[6:7] op_sel:[0,1]
	;; [unrolled: 1-line block ×3, first 2 shown]
                                        ; implicit-def: $sgpr38_sgpr39
                                        ; implicit-def: $vgpr46
	s_and_saveexec_b64 s[30:31], vcc
	s_cbranch_execz .LBB527_71
; %bb.60:
	v_mov_b32_e32 v10, s54
	v_cmp_eq_u32_e32 vcc, v26, v27
	v_add_u32_e32 v18, 9, v51
	v_cndmask_b32_e32 v10, v10, v31, vcc
	v_cmp_ne_u32_e32 vcc, v26, v27
	v_cndmask_b32_e64 v11, 0, 1, vcc
	v_cmp_gt_u32_e32 vcc, s40, v18
	v_pk_mov_b32 v[24:25], s[10:11], s[10:11] op_sel:[0,1]
	v_pk_mov_b32 v[22:23], s[8:9], s[8:9] op_sel:[0,1]
	;; [unrolled: 1-line block ×4, first 2 shown]
                                        ; implicit-def: $sgpr6_sgpr7
                                        ; implicit-def: $vgpr46
	s_and_saveexec_b64 s[4:5], vcc
	s_cbranch_execz .LBB527_70
; %bb.61:
	ds_read2_b32 v[30:31], v50 offset0:9 offset1:10
	v_mov_b32_e32 v18, s54
	v_cmp_eq_u32_e32 vcc, v27, v28
	v_add_u32_e32 v20, 10, v51
	v_mov_b32_e32 v22, 0
	s_waitcnt lgkmcnt(0)
	v_cndmask_b32_e32 v18, v18, v30, vcc
	v_cmp_ne_u32_e32 vcc, v27, v28
	v_cndmask_b32_e64 v19, 0, 1, vcc
	v_cmp_gt_u32_e32 vcc, s40, v20
	v_mov_b32_e32 v20, v22
	v_mov_b32_e32 v21, v22
	v_mov_b32_e32 v23, v22
	v_mov_b32_e32 v24, v22
	v_mov_b32_e32 v25, v22
	s_mov_b64 s[8:9], 0
                                        ; implicit-def: $sgpr36_sgpr37
                                        ; implicit-def: $vgpr46
	s_and_saveexec_b64 s[6:7], vcc
	s_cbranch_execz .LBB527_69
; %bb.62:
	v_mov_b32_e32 v20, s54
	v_cmp_eq_u32_e32 vcc, v28, v29
	v_add_u32_e32 v23, 11, v51
	v_cndmask_b32_e32 v20, v20, v31, vcc
	v_cmp_ne_u32_e32 vcc, v28, v29
	v_cndmask_b32_e64 v21, 0, 1, vcc
	v_cmp_gt_u32_e32 vcc, s40, v23
	s_mov_b32 s36, 0
	v_mov_b32_e32 v23, v22
	v_mov_b32_e32 v24, v22
	;; [unrolled: 1-line block ×3, first 2 shown]
	s_mov_b64 s[10:11], 0
                                        ; implicit-def: $sgpr38_sgpr39
                                        ; implicit-def: $vgpr46
	s_and_saveexec_b64 s[8:9], vcc
	s_cbranch_execz .LBB527_68
; %bb.63:
	ds_read2_b32 v[26:27], v50 offset0:11 offset1:12
	v_mov_b32_e32 v22, s54
	v_cmp_eq_u32_e32 vcc, v29, v44
	v_add_u32_e32 v24, 12, v51
	v_mov_b32_e32 v25, s36
	s_waitcnt lgkmcnt(0)
	v_cndmask_b32_e32 v22, v22, v26, vcc
	v_cmp_ne_u32_e32 vcc, v29, v44
	v_cndmask_b32_e64 v23, 0, 1, vcc
	v_cmp_gt_u32_e32 vcc, s40, v24
	v_mov_b32_e32 v24, s36
	s_mov_b64 s[36:37], 0
                                        ; implicit-def: $sgpr38_sgpr39
                                        ; implicit-def: $vgpr46
	s_and_saveexec_b64 s[10:11], vcc
	s_cbranch_execz .LBB527_67
; %bb.64:
	v_mov_b32_e32 v24, s54
	v_cmp_eq_u32_e32 vcc, v44, v45
	v_add_u32_e32 v26, 13, v51
	v_cndmask_b32_e32 v24, v24, v27, vcc
	v_cmp_ne_u32_e32 vcc, v44, v45
	v_cndmask_b32_e64 v25, 0, 1, vcc
	v_cmp_gt_u32_e32 vcc, s40, v26
                                        ; implicit-def: $sgpr38_sgpr39
                                        ; implicit-def: $vgpr46
	s_and_saveexec_b64 s[40:41], vcc
	s_xor_b64 s[40:41], exec, s[40:41]
	s_cbranch_execz .LBB527_66
; %bb.65:
	ds_read_b32 v26, v50 offset:52
	v_mov_b32_e32 v27, s54
	v_cmp_ne_u32_e32 vcc, v45, v49
	s_mov_b64 s[36:37], exec
	s_and_b64 s[38:39], vcc, exec
	s_waitcnt lgkmcnt(0)
	v_cndmask_b32_e32 v46, v26, v27, vcc
.LBB527_66:
	s_or_b64 exec, exec, s[40:41]
	s_and_b64 s[38:39], s[38:39], exec
	s_and_b64 s[36:37], s[36:37], exec
.LBB527_67:
	s_or_b64 exec, exec, s[10:11]
	s_and_b64 s[38:39], s[38:39], exec
	s_and_b64 s[10:11], s[36:37], exec
.LBB527_68:
	s_or_b64 exec, exec, s[8:9]
	s_and_b64 s[36:37], s[38:39], exec
	s_and_b64 s[8:9], s[10:11], exec
.LBB527_69:
	s_or_b64 exec, exec, s[6:7]
	s_and_b64 s[6:7], s[36:37], exec
	s_and_b64 s[36:37], s[8:9], exec
.LBB527_70:
	s_or_b64 exec, exec, s[4:5]
	s_and_b64 s[38:39], s[6:7], exec
	s_and_b64 s[36:37], s[36:37], exec
.LBB527_71:
	s_or_b64 exec, exec, s[30:31]
	s_and_b64 s[4:5], s[38:39], exec
	s_and_b64 s[30:31], s[36:37], exec
.LBB527_72:
	s_or_b64 exec, exec, s[28:29]
	s_and_b64 s[36:37], s[4:5], exec
	s_and_b64 s[28:29], s[30:31], exec
.LBB527_73:
	s_or_b64 exec, exec, s[26:27]
	s_and_b64 s[4:5], s[36:37], exec
	s_and_b64 s[28:29], s[28:29], exec
.LBB527_74:
	s_or_b64 exec, exec, s[24:25]
	s_and_b64 s[26:27], s[4:5], exec
	s_and_b64 s[24:25], s[28:29], exec
.LBB527_75:
	s_or_b64 exec, exec, s[22:23]
	s_and_b64 s[4:5], s[26:27], exec
	s_and_b64 s[22:23], s[24:25], exec
.LBB527_76:
	s_or_b64 exec, exec, s[20:21]
	s_and_b64 s[24:25], s[4:5], exec
	s_and_b64 s[20:21], s[22:23], exec
.LBB527_77:
	s_or_b64 exec, exec, s[18:19]
	s_and_b64 s[4:5], s[24:25], exec
	s_and_b64 s[18:19], s[20:21], exec
.LBB527_78:
	s_or_b64 exec, exec, s[16:17]
	s_and_b64 s[16:17], s[4:5], exec
	s_and_b64 s[18:19], s[18:19], exec
.LBB527_79:
	s_or_b64 exec, exec, s[14:15]
	s_and_b64 vcc, exec, s[12:13]
	v_lshlrev_b32_e32 v52, 2, v0
	s_cbranch_vccnz .LBB527_81
	s_branch .LBB527_86
.LBB527_80:
	s_mov_b64 s[18:19], 0
                                        ; implicit-def: $sgpr16_sgpr17
                                        ; implicit-def: $vgpr2_vgpr3_vgpr4_vgpr5_vgpr6_vgpr7_vgpr8_vgpr9
                                        ; implicit-def: $vgpr10_vgpr11_vgpr12_vgpr13_vgpr14_vgpr15_vgpr16_vgpr17
                                        ; implicit-def: $vgpr18_vgpr19_vgpr20_vgpr21_vgpr22_vgpr23_vgpr24_vgpr25
                                        ; implicit-def: $vgpr46
                                        ; implicit-def: $vgpr40_vgpr41
	s_and_b64 vcc, exec, s[12:13]
	v_lshlrev_b32_e32 v52, 2, v0
	s_cbranch_vccz .LBB527_86
.LBB527_81:
	v_add_co_u32_e32 v2, vcc, v42, v52
	v_addc_co_u32_e32 v3, vcc, 0, v43, vcc
	v_add_co_u32_e32 v4, vcc, 0x1000, v2
	v_addc_co_u32_e32 v5, vcc, 0, v3, vcc
	flat_load_dword v6, v[2:3]
	flat_load_dword v7, v[2:3] offset:1024
	flat_load_dword v8, v[2:3] offset:2048
	;; [unrolled: 1-line block ×3, first 2 shown]
	flat_load_dword v10, v[4:5]
	flat_load_dword v11, v[4:5] offset:1024
	flat_load_dword v12, v[4:5] offset:2048
	;; [unrolled: 1-line block ×3, first 2 shown]
	v_add_co_u32_e32 v4, vcc, 0x2000, v2
	v_addc_co_u32_e32 v5, vcc, 0, v3, vcc
	v_add_co_u32_e32 v2, vcc, 0x3000, v2
	v_addc_co_u32_e32 v3, vcc, 0, v3, vcc
	flat_load_dword v14, v[4:5]
	flat_load_dword v15, v[4:5] offset:1024
	flat_load_dword v16, v[4:5] offset:2048
	;; [unrolled: 1-line block ×3, first 2 shown]
	flat_load_dword v18, v[2:3]
	flat_load_dword v19, v[2:3] offset:1024
	v_add_co_u32_e32 v2, vcc, 0x3000, v42
	v_addc_co_u32_e32 v3, vcc, 0, v43, vcc
	s_movk_i32 s6, 0xffcc
	s_movk_i32 s9, 0x1000
	s_mov_b32 s4, 0
	s_movk_i32 s8, 0x2000
	s_movk_i32 s5, 0x3000
	s_waitcnt vmcnt(0) lgkmcnt(0)
	ds_write2st64_b32 v52, v6, v7 offset1:4
	ds_write2st64_b32 v52, v8, v9 offset0:8 offset1:12
	ds_write2st64_b32 v52, v10, v11 offset0:16 offset1:20
	;; [unrolled: 1-line block ×6, first 2 shown]
	s_waitcnt lgkmcnt(0)
	s_barrier
	flat_load_dword v34, v[2:3] offset:2048
	v_mad_u32_u24 v6, v0, 52, v52
	v_mad_i32_i24 v2, v0, s6, v6
	s_movk_i32 s6, 0xff
	v_cmp_ne_u32_e32 vcc, s6, v0
	ds_read2_b32 v[26:27], v6 offset1:13
	ds_read2_b32 v[18:19], v6 offset0:7 offset1:8
	ds_read2_b32 v[20:21], v6 offset0:5 offset1:6
	;; [unrolled: 1-line block ×6, first 2 shown]
	s_waitcnt lgkmcnt(0)
	ds_write_b32 v2, v26 offset:15360
	s_waitcnt lgkmcnt(0)
	s_barrier
	s_and_saveexec_b64 s[6:7], vcc
	s_cbranch_execz .LBB527_83
; %bb.82:
	s_waitcnt vmcnt(0)
	ds_read_b32 v34, v52 offset:15364
.LBB527_83:
	s_or_b64 exec, exec, s[6:7]
	v_add_co_u32_e32 v2, vcc, v1, v52
	v_addc_co_u32_e32 v3, vcc, 0, v48, vcc
	v_add_co_u32_e32 v4, vcc, s9, v2
	v_addc_co_u32_e32 v5, vcc, 0, v3, vcc
	s_waitcnt lgkmcnt(0)
	s_barrier
	flat_load_dword v1, v[2:3]
	flat_load_dword v7, v[2:3] offset:1024
	flat_load_dword v8, v[2:3] offset:2048
	;; [unrolled: 1-line block ×3, first 2 shown]
	flat_load_dword v14, v[4:5]
	flat_load_dword v15, v[4:5] offset:1024
	flat_load_dword v16, v[4:5] offset:2048
	;; [unrolled: 1-line block ×3, first 2 shown]
	v_add_co_u32_e32 v4, vcc, s8, v2
	v_addc_co_u32_e32 v5, vcc, 0, v3, vcc
	v_add_co_u32_e32 v2, vcc, s5, v2
	v_addc_co_u32_e32 v3, vcc, 0, v3, vcc
	flat_load_dword v22, v[4:5]
	flat_load_dword v23, v[4:5] offset:1024
	flat_load_dword v24, v[4:5] offset:2048
	;; [unrolled: 1-line block ×3, first 2 shown]
	flat_load_dword v32, v[2:3]
	flat_load_dword v33, v[2:3] offset:1024
	s_mov_b32 s5, 1
	v_cmp_eq_u32_e32 vcc, v26, v12
	v_pk_mov_b32 v[40:41], s[4:5], s[4:5] op_sel:[0,1]
	s_waitcnt vmcnt(0) lgkmcnt(0)
	ds_write2st64_b32 v52, v1, v7 offset1:4
	ds_write2st64_b32 v52, v8, v9 offset0:8 offset1:12
	ds_write2st64_b32 v52, v14, v15 offset0:16 offset1:20
	ds_write2st64_b32 v52, v16, v17 offset0:24 offset1:28
	ds_write2st64_b32 v52, v22, v23 offset0:32 offset1:36
	ds_write2st64_b32 v52, v24, v25 offset0:40 offset1:44
	ds_write2st64_b32 v52, v32, v33 offset0:48 offset1:52
	s_waitcnt lgkmcnt(0)
	s_barrier
	ds_read2_b32 v[24:25], v6 offset0:7 offset1:8
	ds_read2_b32 v[14:15], v6 offset0:5 offset1:6
	;; [unrolled: 1-line block ×4, first 2 shown]
	ds_read_b32 v1, v6 offset:52
	ds_read2_b32 v[22:23], v6 offset0:11 offset1:12
	ds_read2_b32 v[32:33], v6 offset0:9 offset1:10
	v_mov_b32_e32 v7, s54
	s_and_saveexec_b64 s[4:5], vcc
	s_cbranch_execz .LBB527_85
; %bb.84:
	ds_read_b32 v7, v6
	v_pk_mov_b32 v[40:41], 0, 0
.LBB527_85:
	s_or_b64 exec, exec, s[4:5]
	v_mov_b32_e32 v26, s54
	v_cmp_eq_u32_e32 vcc, v12, v13
	s_waitcnt lgkmcnt(3)
	v_cndmask_b32_e32 v8, v26, v4, vcc
	v_cmp_eq_u32_e32 vcc, v13, v10
	v_cndmask_b32_e32 v6, v26, v5, vcc
	v_cmp_eq_u32_e32 vcc, v10, v11
	;; [unrolled: 2-line block ×3, first 2 shown]
	v_cndmask_b32_e32 v2, v26, v3, vcc
	v_cmp_ne_u32_e32 vcc, v12, v13
	v_cndmask_b32_e64 v9, 0, 1, vcc
	v_cmp_ne_u32_e32 vcc, v13, v10
	s_waitcnt lgkmcnt(0)
	v_or_b32_e32 v40, v40, v7
	v_cndmask_b32_e64 v7, 0, 1, vcc
	v_cmp_ne_u32_e32 vcc, v10, v11
	v_cndmask_b32_e64 v5, 0, 1, vcc
	v_cmp_ne_u32_e32 vcc, v11, v20
	v_cndmask_b32_e64 v3, 0, 1, vcc
	v_cmp_eq_u32_e32 vcc, v20, v21
	v_cndmask_b32_e32 v16, v26, v14, vcc
	v_cmp_eq_u32_e32 vcc, v21, v18
	v_cndmask_b32_e32 v14, v26, v15, vcc
	;; [unrolled: 2-line block ×4, first 2 shown]
	v_cmp_ne_u32_e32 vcc, v20, v21
	v_cndmask_b32_e64 v17, 0, 1, vcc
	v_cmp_ne_u32_e32 vcc, v21, v18
	v_cndmask_b32_e64 v15, 0, 1, vcc
	;; [unrolled: 2-line block ×4, first 2 shown]
	v_cmp_eq_u32_e32 vcc, v31, v27
	v_cndmask_b32_e32 v24, v26, v23, vcc
	v_cmp_eq_u32_e32 vcc, v30, v31
	v_cndmask_b32_e32 v22, v26, v22, vcc
	;; [unrolled: 2-line block ×4, first 2 shown]
	v_cmp_ne_u32_e32 vcc, v31, v27
	v_cndmask_b32_e64 v25, 0, 1, vcc
	v_cmp_ne_u32_e32 vcc, v30, v31
	v_cndmask_b32_e64 v23, 0, 1, vcc
	;; [unrolled: 2-line block ×3, first 2 shown]
	v_cmp_ne_u32_e32 vcc, v28, v29
	v_cmp_ne_u32_e64 s[16:17], v27, v34
	v_cndmask_b32_e64 v19, 0, 1, vcc
	v_cndmask_b32_e64 v46, v1, v26, s[16:17]
	s_mov_b64 s[18:19], -1
                                        ; implicit-def: $sgpr12_sgpr13
.LBB527_86:
	v_pk_mov_b32 v[42:43], s[12:13], s[12:13] op_sel:[0,1]
	s_and_saveexec_b64 s[4:5], s[18:19]
; %bb.87:
	v_cndmask_b32_e64 v47, 0, 1, s[16:17]
	v_pk_mov_b32 v[42:43], v[46:47], v[46:47] op_sel:[0,1]
; %bb.88:
	s_or_b64 exec, exec, s[4:5]
	s_mov_b32 s28, 0
	s_cmp_lg_u32 s47, 0
	v_mbcnt_lo_u32_b32 v1, -1, 0
	s_barrier
	s_cbranch_scc0 .LBB527_167
; %bb.89:
	s_mov_b32 s29, 1
	v_cmp_gt_u64_e64 s[4:5], s[28:29], v[8:9]
	v_cndmask_b32_e64 v26, 1, v40, s[4:5]
	v_mul_lo_u32 v26, v26, v8
	v_cmp_gt_u64_e64 s[6:7], s[28:29], v[6:7]
	v_cndmask_b32_e64 v26, 1, v26, s[6:7]
	v_mul_lo_u32 v26, v26, v6
	;; [unrolled: 3-line block ×12, first 2 shown]
	v_cmp_gt_u64_e32 vcc, s[28:29], v[42:43]
	v_cndmask_b32_e32 v26, 1, v26, vcc
	v_mul_lo_u32 v28, v26, v42
	v_or3_b32 v26, v43, v25, v23
	v_or3_b32 v26, v26, v21, v19
	;; [unrolled: 1-line block ×6, first 2 shown]
	v_and_b32_e32 v27, 1, v26
	v_mov_b32_e32 v26, 0
	v_cmp_eq_u64_e32 vcc, 0, v[26:27]
	v_cndmask_b32_e32 v29, 1, v41, vcc
	v_mbcnt_hi_u32_b32 v35, -1, v1
	v_and_b32_e32 v30, 15, v35
	v_and_b32_e32 v27, 0xff, v29
	v_mov_b32_dpp v32, v28 row_shr:1 row_mask:0xf bank_mask:0xf
	v_cmp_ne_u32_e32 vcc, 0, v30
	v_mov_b32_dpp v31, v27 row_shr:1 row_mask:0xf bank_mask:0xf
	s_and_saveexec_b64 s[28:29], vcc
; %bb.90:
	v_cmp_eq_u16_sdwa vcc, v29, v26 src0_sel:BYTE_0 src1_sel:DWORD
	v_cndmask_b32_e32 v26, 1, v32, vcc
	v_mul_lo_u32 v28, v26, v28
	v_and_b32_e32 v26, 1, v29
	v_and_b32_e32 v27, 1, v31
	v_cmp_eq_u32_e32 vcc, 1, v26
	v_cndmask_b32_e64 v29, v27, 1, vcc
	v_and_b32_e32 v27, 0xffff, v29
; %bb.91:
	s_or_b64 exec, exec, s[28:29]
	v_mov_b32_dpp v31, v28 row_shr:2 row_mask:0xf bank_mask:0xf
	v_mov_b32_dpp v26, v27 row_shr:2 row_mask:0xf bank_mask:0xf
	v_cmp_lt_u32_e32 vcc, 1, v30
	s_and_saveexec_b64 s[28:29], vcc
; %bb.92:
	v_mov_b32_e32 v27, 0
	v_cmp_eq_u16_sdwa vcc, v29, v27 src0_sel:BYTE_0 src1_sel:DWORD
	v_cndmask_b32_e32 v27, 1, v31, vcc
	v_mul_lo_u32 v28, v27, v28
	v_and_b32_e32 v27, 1, v29
	v_and_b32_e32 v26, 1, v26
	v_cmp_eq_u32_e32 vcc, 1, v27
	v_cndmask_b32_e64 v29, v26, 1, vcc
	v_and_b32_e32 v27, 0xffff, v29
; %bb.93:
	s_or_b64 exec, exec, s[28:29]
	v_mov_b32_dpp v31, v28 row_shr:4 row_mask:0xf bank_mask:0xf
	v_mov_b32_dpp v26, v27 row_shr:4 row_mask:0xf bank_mask:0xf
	v_cmp_lt_u32_e32 vcc, 3, v30
	s_and_saveexec_b64 s[28:29], vcc
; %bb.94:
	v_mov_b32_e32 v27, 0
	;; [unrolled: 16-line block ×3, first 2 shown]
	v_cmp_eq_u16_sdwa vcc, v29, v27 src0_sel:BYTE_0 src1_sel:DWORD
	v_cndmask_b32_e32 v27, 1, v31, vcc
	v_mul_lo_u32 v28, v27, v28
	v_and_b32_e32 v27, 1, v29
	v_and_b32_e32 v26, 1, v26
	v_cmp_eq_u32_e32 vcc, 1, v27
	v_cndmask_b32_e64 v29, v26, 1, vcc
	v_and_b32_e32 v27, 0xffff, v29
; %bb.97:
	s_or_b64 exec, exec, s[28:29]
	v_and_b32_e32 v31, 16, v35
	v_mov_b32_dpp v30, v28 row_bcast:15 row_mask:0xf bank_mask:0xf
	v_mov_b32_dpp v26, v27 row_bcast:15 row_mask:0xf bank_mask:0xf
	v_cmp_ne_u32_e32 vcc, 0, v31
	s_and_saveexec_b64 s[28:29], vcc
; %bb.98:
	v_mov_b32_e32 v27, 0
	v_cmp_eq_u16_sdwa vcc, v29, v27 src0_sel:BYTE_0 src1_sel:DWORD
	v_cndmask_b32_e32 v27, 1, v30, vcc
	v_mul_lo_u32 v28, v27, v28
	v_and_b32_e32 v27, 1, v29
	v_and_b32_e32 v26, 1, v26
	v_cmp_eq_u32_e32 vcc, 1, v27
	v_cndmask_b32_e64 v29, v26, 1, vcc
	v_and_b32_e32 v27, 0xffff, v29
; %bb.99:
	s_or_b64 exec, exec, s[28:29]
	v_mov_b32_dpp v30, v28 row_bcast:31 row_mask:0xf bank_mask:0xf
	v_mov_b32_dpp v26, v27 row_bcast:31 row_mask:0xf bank_mask:0xf
	v_cmp_lt_u32_e32 vcc, 31, v35
	s_and_saveexec_b64 s[28:29], vcc
; %bb.100:
	v_mov_b32_e32 v27, 0
	v_cmp_eq_u16_sdwa vcc, v29, v27 src0_sel:BYTE_0 src1_sel:DWORD
	v_cndmask_b32_e32 v27, 1, v30, vcc
	v_mul_lo_u32 v28, v27, v28
	v_and_b32_e32 v27, 1, v29
	v_and_b32_e32 v26, 1, v26
	v_cmp_eq_u32_e32 vcc, 1, v27
	v_cndmask_b32_e64 v29, v26, 1, vcc
; %bb.101:
	s_or_b64 exec, exec, s[28:29]
	v_or_b32_e32 v26, 63, v0
	v_lshrrev_b32_e32 v30, 6, v0
	v_cmp_eq_u32_e32 vcc, v26, v0
	s_and_saveexec_b64 s[28:29], vcc
	s_cbranch_execz .LBB527_103
; %bb.102:
	v_lshlrev_b32_e32 v26, 3, v30
	ds_write_b32 v26, v28
	ds_write_b8 v26, v29 offset:4
.LBB527_103:
	s_or_b64 exec, exec, s[28:29]
	v_cmp_gt_u32_e32 vcc, 4, v0
	s_waitcnt lgkmcnt(0)
	s_barrier
	s_and_saveexec_b64 s[28:29], vcc
	s_cbranch_execz .LBB527_109
; %bb.104:
	v_lshlrev_b32_e32 v31, 3, v0
	ds_read_b64 v[26:27], v31
	v_and_b32_e32 v32, 3, v35
	v_cmp_ne_u32_e32 vcc, 0, v32
	s_waitcnt lgkmcnt(0)
	v_mov_b32_dpp v36, v26 row_shr:1 row_mask:0xf bank_mask:0xf
	v_mov_b32_dpp v34, v27 row_shr:1 row_mask:0xf bank_mask:0xf
	v_mov_b32_e32 v33, v27
	s_and_saveexec_b64 s[30:31], vcc
	s_cbranch_execz .LBB527_106
; %bb.105:
	v_mov_b32_e32 v33, 0
	v_cmp_eq_u16_sdwa vcc, v27, v33 src0_sel:BYTE_0 src1_sel:DWORD
	v_cndmask_b32_e32 v33, 1, v36, vcc
	v_mul_lo_u32 v26, v33, v26
	v_and_b32_e32 v33, 1, v27
	v_and_b32_e32 v34, 1, v34
	v_cmp_eq_u32_e32 vcc, 1, v33
	v_cndmask_b32_e64 v34, v34, 1, vcc
	v_and_b32_e32 v33, 0xffff, v34
	s_movk_i32 s36, 0xff00
	v_and_or_b32 v33, v27, s36, v33
	v_mov_b32_e32 v27, v34
.LBB527_106:
	s_or_b64 exec, exec, s[30:31]
	v_mov_b32_dpp v34, v26 row_shr:2 row_mask:0xf bank_mask:0xf
	v_mov_b32_dpp v33, v33 row_shr:2 row_mask:0xf bank_mask:0xf
	v_cmp_lt_u32_e32 vcc, 1, v32
	s_and_saveexec_b64 s[30:31], vcc
; %bb.107:
	v_mov_b32_e32 v32, 0
	v_cmp_eq_u16_sdwa vcc, v27, v32 src0_sel:BYTE_0 src1_sel:DWORD
	v_cndmask_b32_e32 v32, 1, v34, vcc
	v_and_b32_e32 v27, 1, v27
	v_mul_lo_u32 v26, v32, v26
	v_and_b32_e32 v32, 1, v33
	v_cmp_eq_u32_e32 vcc, 1, v27
	v_cndmask_b32_e64 v27, v32, 1, vcc
; %bb.108:
	s_or_b64 exec, exec, s[30:31]
	ds_write_b32 v31, v26
	ds_write_b8 v31, v27 offset:4
.LBB527_109:
	s_or_b64 exec, exec, s[28:29]
	v_cmp_gt_u32_e32 vcc, 64, v0
	v_cmp_lt_u32_e64 s[28:29], 63, v0
	v_mov_b32_e32 v44, 0
	v_mov_b32_e32 v45, 0
	s_waitcnt lgkmcnt(0)
	s_barrier
	s_and_saveexec_b64 s[30:31], s[28:29]
	s_cbranch_execz .LBB527_111
; %bb.110:
	v_lshl_add_u32 v26, v30, 3, -8
	ds_read_b32 v44, v26
	ds_read_u8 v45, v26 offset:4
	v_mov_b32_e32 v27, 0
	v_and_b32_e32 v30, 1, v29
	v_cmp_eq_u16_sdwa s[28:29], v29, v27 src0_sel:BYTE_0 src1_sel:DWORD
	s_waitcnt lgkmcnt(1)
	v_cndmask_b32_e64 v26, 1, v44, s[28:29]
	v_cmp_eq_u32_e64 s[28:29], 1, v30
	v_mul_lo_u32 v28, v26, v28
	s_waitcnt lgkmcnt(0)
	v_cndmask_b32_e64 v29, v45, 1, s[28:29]
.LBB527_111:
	s_or_b64 exec, exec, s[30:31]
	v_and_b32_e32 v26, 0xff, v29
	v_add_u32_e32 v27, -1, v35
	v_and_b32_e32 v29, 64, v35
	v_cmp_lt_i32_e64 s[28:29], v27, v29
	v_cndmask_b32_e64 v27, v27, v35, s[28:29]
	v_lshlrev_b32_e32 v27, 2, v27
	ds_bpermute_b32 v46, v27, v28
	ds_bpermute_b32 v47, v27, v26
	v_cmp_eq_u32_e64 s[28:29], 0, v35
	s_and_saveexec_b64 s[30:31], vcc
	s_cbranch_execz .LBB527_154
; %bb.112:
	v_mov_b32_e32 v29, 0
	ds_read_b64 v[26:27], v29 offset:24
	s_waitcnt lgkmcnt(0)
	v_readfirstlane_b32 s48, v27
	s_and_saveexec_b64 s[36:37], s[28:29]
	s_cbranch_execz .LBB527_114
; %bb.113:
	s_add_i32 s38, s47, 64
	s_mov_b32 s39, 0
	s_lshl_b64 s[40:41], s[38:39], 4
	s_add_u32 s40, s44, s40
	s_addc_u32 s41, s45, s41
	s_and_b32 s57, s48, 0xff000000
	s_mov_b32 s56, s39
	s_and_b32 s59, s48, 0xff0000
	s_mov_b32 s58, s39
	s_or_b64 s[56:57], s[58:59], s[56:57]
	s_and_b32 s59, s48, 0xff00
	s_or_b64 s[56:57], s[56:57], s[58:59]
	s_and_b32 s59, s48, 0xff
	s_or_b64 s[38:39], s[56:57], s[58:59]
	v_mov_b32_e32 v27, s39
	v_mov_b32_e32 v28, 1
	v_pk_mov_b32 v[30:31], s[40:41], s[40:41] op_sel:[0,1]
	;;#ASMSTART
	global_store_dwordx4 v[30:31], v[26:29] off	
s_waitcnt vmcnt(0)
	;;#ASMEND
.LBB527_114:
	s_or_b64 exec, exec, s[36:37]
	v_xad_u32 v34, v35, -1, s47
	v_add_u32_e32 v28, 64, v34
	v_lshlrev_b64 v[30:31], 4, v[28:29]
	v_mov_b32_e32 v27, s45
	v_add_co_u32_e32 v36, vcc, s44, v30
	v_addc_co_u32_e32 v37, vcc, v27, v31, vcc
	;;#ASMSTART
	global_load_dwordx4 v[30:33], v[36:37] off glc	
s_waitcnt vmcnt(0)
	;;#ASMEND
	v_and_b32_e32 v27, 0xff0000, v30
	v_or_b32_sdwa v27, v30, v27 dst_sel:DWORD dst_unused:UNUSED_PAD src0_sel:WORD_0 src1_sel:DWORD
	v_and_b32_e32 v28, 0xff000000, v30
	v_and_b32_e32 v30, 0xff, v31
	v_or3_b32 v31, 0, 0, v30
	v_or3_b32 v30, v27, v28, 0
	v_cmp_eq_u16_sdwa s[38:39], v32, v29 src0_sel:BYTE_0 src1_sel:DWORD
	s_and_saveexec_b64 s[36:37], s[38:39]
	s_cbranch_execz .LBB527_118
; %bb.115:
	s_mov_b64 s[38:39], 0
	v_mov_b32_e32 v27, 0
.LBB527_116:                            ; =>This Inner Loop Header: Depth=1
	;;#ASMSTART
	global_load_dwordx4 v[30:33], v[36:37] off glc	
s_waitcnt vmcnt(0)
	;;#ASMEND
	v_cmp_ne_u16_sdwa s[40:41], v32, v27 src0_sel:BYTE_0 src1_sel:DWORD
	s_or_b64 s[38:39], s[40:41], s[38:39]
	s_andn2_b64 exec, exec, s[38:39]
	s_cbranch_execnz .LBB527_116
; %bb.117:
	s_or_b64 exec, exec, s[38:39]
	v_and_b32_e32 v31, 0xff, v31
.LBB527_118:
	s_or_b64 exec, exec, s[36:37]
	v_mov_b32_e32 v27, 2
	v_cmp_eq_u16_sdwa s[36:37], v32, v27 src0_sel:BYTE_0 src1_sel:DWORD
	v_lshlrev_b64 v[28:29], v35, -1
	v_and_b32_e32 v27, s37, v29
	v_or_b32_e32 v27, 0x80000000, v27
	v_ffbl_b32_e32 v27, v27
	v_add_u32_e32 v36, 32, v27
	v_and_b32_e32 v27, 63, v35
	v_cmp_ne_u32_e32 vcc, 63, v27
	v_addc_co_u32_e32 v37, vcc, 0, v35, vcc
	v_lshlrev_b32_e32 v48, 2, v37
	ds_bpermute_b32 v49, v48, v30
	ds_bpermute_b32 v37, v48, v31
	v_and_b32_e32 v33, s36, v28
	v_ffbl_b32_e32 v33, v33
	v_min_u32_e32 v33, v33, v36
	s_mov_b32 s38, 0
	v_cmp_lt_u32_e32 vcc, v27, v33
	v_mov_b32_e32 v36, v31
	s_and_saveexec_b64 s[36:37], vcc
	s_cbranch_execz .LBB527_120
; %bb.119:
	s_mov_b32 s39, 1
	v_cmp_gt_u64_e32 vcc, s[38:39], v[30:31]
	s_waitcnt lgkmcnt(1)
	v_cndmask_b32_e32 v36, 1, v49, vcc
	v_and_b32_e32 v31, 1, v31
	v_mul_lo_u32 v30, v36, v30
	s_waitcnt lgkmcnt(0)
	v_and_b32_e32 v36, 1, v37
	v_cmp_eq_u32_e32 vcc, 1, v31
	v_cndmask_b32_e64 v31, v36, 1, vcc
	v_and_b32_e32 v36, 0xffff, v31
.LBB527_120:
	s_or_b64 exec, exec, s[36:37]
	v_cmp_gt_u32_e32 vcc, 62, v27
	s_waitcnt lgkmcnt(0)
	v_cndmask_b32_e64 v37, 0, 1, vcc
	v_lshlrev_b32_e32 v37, 1, v37
	v_add_lshl_u32 v49, v37, v35, 2
	ds_bpermute_b32 v51, v49, v30
	ds_bpermute_b32 v37, v49, v36
	v_add_u32_e32 v50, 2, v27
	v_cmp_le_u32_e32 vcc, v50, v33
	s_and_saveexec_b64 s[36:37], vcc
	s_cbranch_execz .LBB527_122
; %bb.121:
	v_cmp_eq_u16_e32 vcc, 0, v31
	s_waitcnt lgkmcnt(1)
	v_cndmask_b32_e32 v36, 1, v51, vcc
	v_and_b32_e32 v31, 1, v31
	v_mul_lo_u32 v30, v36, v30
	s_waitcnt lgkmcnt(0)
	v_and_b32_e32 v36, 1, v37
	v_cmp_eq_u32_e32 vcc, 1, v31
	v_cndmask_b32_e64 v31, v36, 1, vcc
	v_and_b32_e32 v36, 0xffff, v31
.LBB527_122:
	s_or_b64 exec, exec, s[36:37]
	v_cmp_gt_u32_e32 vcc, 60, v27
	s_waitcnt lgkmcnt(0)
	v_cndmask_b32_e64 v37, 0, 1, vcc
	v_lshlrev_b32_e32 v37, 2, v37
	v_add_lshl_u32 v51, v37, v35, 2
	ds_bpermute_b32 v54, v51, v30
	ds_bpermute_b32 v37, v51, v36
	v_add_u32_e32 v53, 4, v27
	v_cmp_le_u32_e32 vcc, v53, v33
	s_and_saveexec_b64 s[36:37], vcc
	s_cbranch_execz .LBB527_124
; %bb.123:
	v_cmp_eq_u16_e32 vcc, 0, v31
	s_waitcnt lgkmcnt(1)
	v_cndmask_b32_e32 v36, 1, v54, vcc
	v_and_b32_e32 v31, 1, v31
	v_mul_lo_u32 v30, v36, v30
	s_waitcnt lgkmcnt(0)
	v_and_b32_e32 v36, 1, v37
	v_cmp_eq_u32_e32 vcc, 1, v31
	v_cndmask_b32_e64 v31, v36, 1, vcc
	v_and_b32_e32 v36, 0xffff, v31
.LBB527_124:
	;; [unrolled: 24-line block ×4, first 2 shown]
	s_or_b64 exec, exec, s[36:37]
	v_cmp_gt_u32_e32 vcc, 32, v27
	s_waitcnt lgkmcnt(0)
	v_cndmask_b32_e64 v37, 0, 1, vcc
	v_lshlrev_b32_e32 v37, 5, v37
	v_add_lshl_u32 v59, v37, v35, 2
	ds_bpermute_b32 v37, v59, v30
	ds_bpermute_b32 v35, v59, v36
	v_add_u32_e32 v60, 32, v27
	v_cmp_le_u32_e32 vcc, v60, v33
	s_and_saveexec_b64 s[36:37], vcc
	s_cbranch_execz .LBB527_130
; %bb.129:
	v_cmp_eq_u16_e32 vcc, 0, v31
	s_waitcnt lgkmcnt(1)
	v_cndmask_b32_e32 v33, 1, v37, vcc
	v_and_b32_e32 v31, 1, v31
	v_mul_lo_u32 v30, v33, v30
	s_waitcnt lgkmcnt(0)
	v_and_b32_e32 v33, 1, v35
	v_cmp_eq_u32_e32 vcc, 1, v31
	v_cndmask_b32_e64 v31, v33, 1, vcc
.LBB527_130:
	s_or_b64 exec, exec, s[36:37]
	s_mov_b32 s36, 0
	s_mov_b32 s37, 1
	s_waitcnt lgkmcnt(0)
	v_mov_b32_e32 v35, 0
	v_mov_b32_e32 v62, 2
	s_branch .LBB527_132
.LBB527_131:                            ;   in Loop: Header=BB527_132 Depth=1
	s_or_b64 exec, exec, s[38:39]
	v_cmp_eq_u16_sdwa vcc, v58, v35 src0_sel:BYTE_0 src1_sel:DWORD
	v_and_b32_e32 v33, 1, v58
	v_cndmask_b32_e32 v30, 1, v30, vcc
	v_and_b32_e32 v31, 1, v31
	v_cmp_eq_u32_e32 vcc, 1, v33
	v_subrev_u32_e32 v34, 64, v34
	v_mul_lo_u32 v30, v30, v61
	v_cndmask_b32_e64 v31, v31, 1, vcc
.LBB527_132:                            ; =>This Loop Header: Depth=1
                                        ;     Child Loop BB527_135 Depth 2
	v_cmp_ne_u16_sdwa s[38:39], v32, v62 src0_sel:BYTE_0 src1_sel:DWORD
	v_mov_b32_e32 v58, v31
	v_cndmask_b32_e64 v31, 0, 1, s[38:39]
	;;#ASMSTART
	;;#ASMEND
	v_cmp_ne_u32_e32 vcc, 0, v31
	s_cmp_lg_u64 vcc, exec
	v_mov_b32_e32 v61, v30
	s_cbranch_scc1 .LBB527_149
; %bb.133:                              ;   in Loop: Header=BB527_132 Depth=1
	v_lshlrev_b64 v[30:31], 4, v[34:35]
	v_mov_b32_e32 v32, s45
	s_waitcnt lgkmcnt(0)
	v_add_co_u32_e32 v36, vcc, s44, v30
	v_addc_co_u32_e32 v37, vcc, v32, v31, vcc
	;;#ASMSTART
	global_load_dwordx4 v[30:33], v[36:37] off glc	
s_waitcnt vmcnt(0)
	;;#ASMEND
	v_and_b32_e32 v33, 0xff0000, v30
	v_or_b32_sdwa v33, v30, v33 dst_sel:DWORD dst_unused:UNUSED_PAD src0_sel:WORD_0 src1_sel:DWORD
	v_and_b32_e32 v30, 0xff000000, v30
	v_and_b32_e32 v31, 0xff, v31
	v_or3_b32 v31, 0, 0, v31
	v_or3_b32 v30, v33, v30, 0
	v_cmp_eq_u16_sdwa s[40:41], v32, v35 src0_sel:BYTE_0 src1_sel:DWORD
	s_and_saveexec_b64 s[38:39], s[40:41]
	s_cbranch_execz .LBB527_137
; %bb.134:                              ;   in Loop: Header=BB527_132 Depth=1
	s_mov_b64 s[40:41], 0
.LBB527_135:                            ;   Parent Loop BB527_132 Depth=1
                                        ; =>  This Inner Loop Header: Depth=2
	;;#ASMSTART
	global_load_dwordx4 v[30:33], v[36:37] off glc	
s_waitcnt vmcnt(0)
	;;#ASMEND
	v_cmp_ne_u16_sdwa s[56:57], v32, v35 src0_sel:BYTE_0 src1_sel:DWORD
	s_or_b64 s[40:41], s[56:57], s[40:41]
	s_andn2_b64 exec, exec, s[40:41]
	s_cbranch_execnz .LBB527_135
; %bb.136:                              ;   in Loop: Header=BB527_132 Depth=1
	s_or_b64 exec, exec, s[40:41]
	v_and_b32_e32 v31, 0xff, v31
.LBB527_137:                            ;   in Loop: Header=BB527_132 Depth=1
	s_or_b64 exec, exec, s[38:39]
	v_cmp_eq_u16_sdwa s[38:39], v32, v62 src0_sel:BYTE_0 src1_sel:DWORD
	v_and_b32_e32 v33, s39, v29
	v_or_b32_e32 v33, 0x80000000, v33
	ds_bpermute_b32 v63, v48, v30
	ds_bpermute_b32 v37, v48, v31
	v_and_b32_e32 v36, s38, v28
	v_ffbl_b32_e32 v33, v33
	v_add_u32_e32 v33, 32, v33
	v_ffbl_b32_e32 v36, v36
	v_min_u32_e32 v33, v36, v33
	v_cmp_lt_u32_e32 vcc, v27, v33
	v_mov_b32_e32 v36, v31
	s_and_saveexec_b64 s[38:39], vcc
	s_cbranch_execz .LBB527_139
; %bb.138:                              ;   in Loop: Header=BB527_132 Depth=1
	v_cmp_gt_u64_e32 vcc, s[36:37], v[30:31]
	s_waitcnt lgkmcnt(1)
	v_cndmask_b32_e32 v36, 1, v63, vcc
	v_and_b32_e32 v31, 1, v31
	v_mul_lo_u32 v30, v36, v30
	s_waitcnt lgkmcnt(0)
	v_and_b32_e32 v36, 1, v37
	v_cmp_eq_u32_e32 vcc, 1, v31
	v_cndmask_b32_e64 v31, v36, 1, vcc
	v_and_b32_e32 v36, 0xffff, v31
.LBB527_139:                            ;   in Loop: Header=BB527_132 Depth=1
	s_or_b64 exec, exec, s[38:39]
	s_waitcnt lgkmcnt(1)
	ds_bpermute_b32 v63, v49, v30
	s_waitcnt lgkmcnt(1)
	ds_bpermute_b32 v37, v49, v36
	v_cmp_le_u32_e32 vcc, v50, v33
	s_and_saveexec_b64 s[38:39], vcc
	s_cbranch_execz .LBB527_141
; %bb.140:                              ;   in Loop: Header=BB527_132 Depth=1
	v_cmp_eq_u16_e32 vcc, 0, v31
	s_waitcnt lgkmcnt(1)
	v_cndmask_b32_e32 v36, 1, v63, vcc
	v_and_b32_e32 v31, 1, v31
	v_mul_lo_u32 v30, v36, v30
	s_waitcnt lgkmcnt(0)
	v_and_b32_e32 v36, 1, v37
	v_cmp_eq_u32_e32 vcc, 1, v31
	v_cndmask_b32_e64 v31, v36, 1, vcc
	v_and_b32_e32 v36, 0xffff, v31
.LBB527_141:                            ;   in Loop: Header=BB527_132 Depth=1
	s_or_b64 exec, exec, s[38:39]
	s_waitcnt lgkmcnt(1)
	ds_bpermute_b32 v63, v51, v30
	s_waitcnt lgkmcnt(1)
	ds_bpermute_b32 v37, v51, v36
	v_cmp_le_u32_e32 vcc, v53, v33
	s_and_saveexec_b64 s[38:39], vcc
	s_cbranch_execz .LBB527_143
; %bb.142:                              ;   in Loop: Header=BB527_132 Depth=1
	v_cmp_eq_u16_e32 vcc, 0, v31
	s_waitcnt lgkmcnt(1)
	v_cndmask_b32_e32 v36, 1, v63, vcc
	v_and_b32_e32 v31, 1, v31
	v_mul_lo_u32 v30, v36, v30
	s_waitcnt lgkmcnt(0)
	v_and_b32_e32 v36, 1, v37
	v_cmp_eq_u32_e32 vcc, 1, v31
	v_cndmask_b32_e64 v31, v36, 1, vcc
	v_and_b32_e32 v36, 0xffff, v31
.LBB527_143:                            ;   in Loop: Header=BB527_132 Depth=1
	;; [unrolled: 20-line block ×4, first 2 shown]
	s_or_b64 exec, exec, s[38:39]
	s_waitcnt lgkmcnt(0)
	ds_bpermute_b32 v37, v59, v30
	ds_bpermute_b32 v36, v59, v36
	v_cmp_le_u32_e32 vcc, v60, v33
	s_and_saveexec_b64 s[38:39], vcc
	s_cbranch_execz .LBB527_131
; %bb.148:                              ;   in Loop: Header=BB527_132 Depth=1
	v_cmp_eq_u16_e32 vcc, 0, v31
	v_and_b32_e32 v31, 1, v31
	s_waitcnt lgkmcnt(1)
	v_cndmask_b32_e32 v33, 1, v37, vcc
	v_cmp_eq_u32_e32 vcc, 1, v31
	v_mul_lo_u32 v30, v33, v30
	s_waitcnt lgkmcnt(0)
	v_cndmask_b32_e64 v31, v36, 1, vcc
	s_branch .LBB527_131
.LBB527_149:                            ;   in Loop: Header=BB527_132 Depth=1
                                        ; implicit-def: $vgpr31
	s_cbranch_execz .LBB527_132
; %bb.150:
	s_and_saveexec_b64 s[36:37], s[28:29]
	s_cbranch_execz .LBB527_152
; %bb.151:
	s_and_b32 s38, s48, 0xff
	s_cmp_eq_u32 s38, 0
	s_cselect_b64 vcc, -1, 0
	s_bitcmp1_b32 s48, 0
	s_mov_b32 s39, 0
	s_cselect_b64 s[40:41], -1, 0
	s_add_i32 s38, s47, 64
	s_lshl_b64 s[38:39], s[38:39], 4
	v_cndmask_b32_e32 v27, 1, v61, vcc
	s_add_u32 s38, s44, s38
	v_mul_lo_u32 v26, v27, v26
	v_and_b32_e32 v27, 1, v58
	s_addc_u32 s39, s45, s39
	v_cndmask_b32_e64 v27, v27, 1, s[40:41]
	v_mov_b32_e32 v28, 2
	v_mov_b32_e32 v29, 0
	v_pk_mov_b32 v[30:31], s[38:39], s[38:39] op_sel:[0,1]
	;;#ASMSTART
	global_store_dwordx4 v[30:31], v[26:29] off	
s_waitcnt vmcnt(0)
	;;#ASMEND
.LBB527_152:
	s_or_b64 exec, exec, s[36:37]
	s_and_b64 exec, exec, s[0:1]
	s_cbranch_execz .LBB527_154
; %bb.153:
	v_mov_b32_e32 v26, 0
	ds_write_b32 v26, v61 offset:24
	ds_write_b8 v26, v58 offset:28
.LBB527_154:
	s_or_b64 exec, exec, s[30:31]
	v_mov_b32_e32 v28, 0
	s_waitcnt lgkmcnt(0)
	s_barrier
	ds_read_b32 v26, v28 offset:24
	v_cndmask_b32_e64 v29, v47, v45, s[28:29]
	v_cmp_eq_u16_sdwa vcc, v29, v28 src0_sel:BYTE_0 src1_sel:DWORD
	v_cndmask_b32_e64 v27, v46, v44, s[28:29]
	s_waitcnt lgkmcnt(0)
	v_cndmask_b32_e32 v29, 1, v26, vcc
	v_mul_lo_u32 v27, v29, v27
	v_and_b32_e32 v29, 0xff, v41
	v_cndmask_b32_e64 v26, v27, v26, s[0:1]
	v_cmp_eq_u64_e32 vcc, 0, v[28:29]
	v_cndmask_b32_e32 v27, 1, v26, vcc
	v_mul_lo_u32 v27, v27, v40
	v_cndmask_b32_e64 v28, 1, v27, s[4:5]
	v_mul_lo_u32 v44, v28, v8
	v_cndmask_b32_e64 v28, 1, v44, s[6:7]
	;; [unrolled: 2-line block ×12, first 2 shown]
	v_mul_lo_u32 v51, v28, v24
	s_branch .LBB527_195
.LBB527_155:
	s_or_b64 exec, exec, s[30:31]
                                        ; implicit-def: $vgpr14
	s_and_saveexec_b64 s[30:31], s[4:5]
	s_cbranch_execz .LBB527_37
.LBB527_156:
	v_add_co_u32_e32 v14, vcc, v1, v12
	v_addc_co_u32_e32 v15, vcc, 0, v48, vcc
	flat_load_dword v14, v[14:15] offset:1024
	s_or_b64 exec, exec, s[30:31]
                                        ; implicit-def: $vgpr15
	s_and_saveexec_b64 s[4:5], s[6:7]
	s_cbranch_execnz .LBB527_38
.LBB527_157:
	s_or_b64 exec, exec, s[4:5]
                                        ; implicit-def: $vgpr16
	s_and_saveexec_b64 s[4:5], s[8:9]
	s_cbranch_execz .LBB527_39
.LBB527_158:
	v_add_co_u32_e32 v16, vcc, v1, v12
	v_addc_co_u32_e32 v17, vcc, 0, v48, vcc
	flat_load_dword v16, v[16:17] offset:3072
	s_or_b64 exec, exec, s[4:5]
                                        ; implicit-def: $vgpr17
	s_and_saveexec_b64 s[4:5], s[10:11]
	s_cbranch_execnz .LBB527_40
.LBB527_159:
	s_or_b64 exec, exec, s[4:5]
                                        ; implicit-def: $vgpr2
	s_and_saveexec_b64 s[4:5], s[12:13]
	s_cbranch_execz .LBB527_41
.LBB527_160:
	v_add_co_u32_e32 v2, vcc, v1, v3
	v_addc_co_u32_e32 v3, vcc, 0, v48, vcc
	flat_load_dword v2, v[2:3]
	s_or_b64 exec, exec, s[4:5]
                                        ; implicit-def: $vgpr3
	s_and_saveexec_b64 s[4:5], s[14:15]
	s_cbranch_execnz .LBB527_42
.LBB527_161:
	s_or_b64 exec, exec, s[4:5]
                                        ; implicit-def: $vgpr4
	s_and_saveexec_b64 s[4:5], s[16:17]
	s_cbranch_execz .LBB527_43
.LBB527_162:
	v_add_co_u32_e32 v4, vcc, v1, v5
	v_addc_co_u32_e32 v5, vcc, 0, v48, vcc
	flat_load_dword v4, v[4:5]
	s_or_b64 exec, exec, s[4:5]
                                        ; implicit-def: $vgpr5
	s_and_saveexec_b64 s[4:5], s[18:19]
	s_cbranch_execnz .LBB527_44
.LBB527_163:
	s_or_b64 exec, exec, s[4:5]
                                        ; implicit-def: $vgpr6
	s_and_saveexec_b64 s[4:5], s[20:21]
	s_cbranch_execz .LBB527_45
.LBB527_164:
	v_add_co_u32_e32 v6, vcc, v1, v7
	v_addc_co_u32_e32 v7, vcc, 0, v48, vcc
	flat_load_dword v6, v[6:7]
	s_or_b64 exec, exec, s[4:5]
                                        ; implicit-def: $vgpr7
	s_and_saveexec_b64 s[4:5], s[22:23]
	s_cbranch_execnz .LBB527_46
.LBB527_165:
	s_or_b64 exec, exec, s[4:5]
                                        ; implicit-def: $vgpr8
	s_and_saveexec_b64 s[4:5], s[24:25]
	s_cbranch_execz .LBB527_47
.LBB527_166:
	v_add_co_u32_e32 v8, vcc, v1, v9
	v_addc_co_u32_e32 v9, vcc, 0, v48, vcc
	flat_load_dword v8, v[8:9]
	s_or_b64 exec, exec, s[4:5]
                                        ; implicit-def: $vgpr9
	s_and_saveexec_b64 s[4:5], s[26:27]
	s_cbranch_execz .LBB527_49
	s_branch .LBB527_48
.LBB527_167:
                                        ; implicit-def: $vgpr51
                                        ; implicit-def: $vgpr49
                                        ; implicit-def: $vgpr47
                                        ; implicit-def: $vgpr45
                                        ; implicit-def: $vgpr34_vgpr35_vgpr36_vgpr37
                                        ; implicit-def: $vgpr30_vgpr31_vgpr32_vgpr33
                                        ; implicit-def: $vgpr26_vgpr27_vgpr28_vgpr29
	s_cbranch_execz .LBB527_195
; %bb.168:
	s_cmp_lg_u64 s[52:53], 0
	s_cselect_b32 s5, s51, 0
	s_cselect_b32 s4, s50, 0
	s_mov_b32 s26, 0
	s_cmp_eq_u64 s[4:5], 0
	v_mov_b32_e32 v32, s54
	s_cbranch_scc1 .LBB527_170
; %bb.169:
	v_mov_b32_e32 v26, 0
	global_load_dword v32, v26, s[4:5]
.LBB527_170:
	s_mov_b32 s27, 1
	v_cmp_gt_u64_e32 vcc, s[26:27], v[8:9]
	v_cndmask_b32_e32 v26, 1, v40, vcc
	v_mul_lo_u32 v26, v26, v8
	v_cmp_gt_u64_e64 s[4:5], s[26:27], v[6:7]
	v_cndmask_b32_e64 v26, 1, v26, s[4:5]
	v_mul_lo_u32 v26, v26, v6
	v_cmp_gt_u64_e64 s[6:7], s[26:27], v[4:5]
	v_cndmask_b32_e64 v26, 1, v26, s[6:7]
	;; [unrolled: 3-line block ×12, first 2 shown]
	v_mul_lo_u32 v29, v26, v42
	v_and_b32_e32 v26, 1, v43
	v_cmp_eq_u32_e64 s[26:27], 1, v26
	v_or3_b32 v7, v23, v15, v7
	v_mov_b32_e32 v26, 0
	v_or3_b32 v9, v25, v17, v9
	v_and_b32_e32 v37, 1, v7
	v_mov_b32_e32 v36, v26
	v_or3_b32 v3, v19, v11, v3
	v_and_b32_e32 v35, 1, v9
	v_mov_b32_e32 v34, v26
	v_cmp_ne_u64_e64 s[28:29], 0, v[36:37]
	v_or3_b32 v5, v21, v13, v5
	v_and_b32_e32 v27, 1, v3
	v_cndmask_b32_e64 v3, 0, 1, s[28:29]
	v_cmp_ne_u64_e64 s[28:29], 0, v[34:35]
	v_and_b32_e32 v31, 1, v5
	v_mov_b32_e32 v30, v26
	v_cndmask_b32_e64 v5, 0, 1, s[28:29]
	v_lshlrev_b16_e32 v3, 2, v3
	v_lshlrev_b16_e32 v5, 3, v5
	v_cmp_ne_u64_e64 s[28:29], 0, v[30:31]
	v_or_b32_e32 v3, v5, v3
	v_cndmask_b32_e64 v5, 0, 1, s[28:29]
	v_cmp_ne_u64_e64 s[28:29], 0, v[26:27]
	v_lshlrev_b16_e32 v5, 1, v5
	v_cndmask_b32_e64 v7, 0, 1, s[28:29]
	v_or_b32_e32 v5, v7, v5
	v_and_b32_e32 v5, 3, v5
	v_or_b32_e32 v3, v5, v3
	v_and_b32_e32 v3, 15, v3
	v_cmp_ne_u16_e64 s[28:29], 0, v3
	s_or_b64 s[26:27], s[26:27], s[28:29]
	v_cndmask_b32_e64 v3, v41, 1, s[26:27]
	v_mbcnt_hi_u32_b32 v1, -1, v1
	v_and_b32_e32 v7, 15, v1
	v_and_b32_e32 v5, 0xff, v3
	v_mov_b32_dpp v11, v29 row_shr:1 row_mask:0xf bank_mask:0xf
	v_cmp_ne_u32_e64 s[26:27], 0, v7
	v_mov_b32_dpp v9, v5 row_shr:1 row_mask:0xf bank_mask:0xf
	s_and_saveexec_b64 s[28:29], s[26:27]
; %bb.171:
	v_cmp_eq_u16_sdwa s[26:27], v3, v26 src0_sel:BYTE_0 src1_sel:DWORD
	v_cndmask_b32_e64 v5, 1, v11, s[26:27]
	v_and_b32_e32 v3, 1, v3
	v_mul_lo_u32 v29, v5, v29
	v_and_b32_e32 v5, 1, v9
	v_cmp_eq_u32_e64 s[26:27], 1, v3
	v_cndmask_b32_e64 v3, v5, 1, s[26:27]
	v_and_b32_e32 v5, 0xffff, v3
; %bb.172:
	s_or_b64 exec, exec, s[28:29]
	v_mov_b32_dpp v11, v29 row_shr:2 row_mask:0xf bank_mask:0xf
	v_mov_b32_dpp v9, v5 row_shr:2 row_mask:0xf bank_mask:0xf
	v_cmp_lt_u32_e64 s[26:27], 1, v7
	s_and_saveexec_b64 s[28:29], s[26:27]
; %bb.173:
	v_mov_b32_e32 v5, 0
	v_cmp_eq_u16_sdwa s[26:27], v3, v5 src0_sel:BYTE_0 src1_sel:DWORD
	v_cndmask_b32_e64 v5, 1, v11, s[26:27]
	v_and_b32_e32 v3, 1, v3
	v_mul_lo_u32 v29, v5, v29
	v_and_b32_e32 v5, 1, v9
	v_cmp_eq_u32_e64 s[26:27], 1, v3
	v_cndmask_b32_e64 v3, v5, 1, s[26:27]
	v_and_b32_e32 v5, 0xffff, v3
; %bb.174:
	s_or_b64 exec, exec, s[28:29]
	v_mov_b32_dpp v11, v29 row_shr:4 row_mask:0xf bank_mask:0xf
	v_mov_b32_dpp v9, v5 row_shr:4 row_mask:0xf bank_mask:0xf
	v_cmp_lt_u32_e64 s[26:27], 3, v7
	s_and_saveexec_b64 s[28:29], s[26:27]
; %bb.175:
	v_mov_b32_e32 v5, 0
	;; [unrolled: 16-line block ×3, first 2 shown]
	v_cmp_eq_u16_sdwa s[26:27], v3, v5 src0_sel:BYTE_0 src1_sel:DWORD
	v_cndmask_b32_e64 v5, 1, v11, s[26:27]
	v_and_b32_e32 v3, 1, v3
	v_mul_lo_u32 v29, v5, v29
	v_and_b32_e32 v5, 1, v9
	v_cmp_eq_u32_e64 s[26:27], 1, v3
	v_cndmask_b32_e64 v3, v5, 1, s[26:27]
	v_and_b32_e32 v5, 0xffff, v3
; %bb.178:
	s_or_b64 exec, exec, s[28:29]
	v_and_b32_e32 v11, 16, v1
	v_mov_b32_dpp v9, v29 row_bcast:15 row_mask:0xf bank_mask:0xf
	v_mov_b32_dpp v7, v5 row_bcast:15 row_mask:0xf bank_mask:0xf
	v_cmp_ne_u32_e64 s[26:27], 0, v11
	s_and_saveexec_b64 s[28:29], s[26:27]
; %bb.179:
	v_mov_b32_e32 v5, 0
	v_cmp_eq_u16_sdwa s[26:27], v3, v5 src0_sel:BYTE_0 src1_sel:DWORD
	v_cndmask_b32_e64 v5, 1, v9, s[26:27]
	v_and_b32_e32 v3, 1, v3
	v_mul_lo_u32 v29, v5, v29
	v_and_b32_e32 v5, 1, v7
	v_cmp_eq_u32_e64 s[26:27], 1, v3
	v_cndmask_b32_e64 v3, v5, 1, s[26:27]
	v_and_b32_e32 v5, 0xffff, v3
; %bb.180:
	s_or_b64 exec, exec, s[28:29]
	v_mov_b32_dpp v7, v29 row_bcast:31 row_mask:0xf bank_mask:0xf
	v_mov_b32_dpp v5, v5 row_bcast:31 row_mask:0xf bank_mask:0xf
	v_cmp_lt_u32_e64 s[26:27], 31, v1
	s_and_saveexec_b64 s[28:29], s[26:27]
; %bb.181:
	v_mov_b32_e32 v9, 0
	v_cmp_eq_u16_sdwa s[26:27], v3, v9 src0_sel:BYTE_0 src1_sel:DWORD
	v_and_b32_e32 v3, 1, v3
	v_cndmask_b32_e64 v7, 1, v7, s[26:27]
	v_and_b32_e32 v5, 1, v5
	v_cmp_eq_u32_e64 s[26:27], 1, v3
	v_mul_lo_u32 v29, v7, v29
	v_cndmask_b32_e64 v3, v5, 1, s[26:27]
; %bb.182:
	s_or_b64 exec, exec, s[28:29]
	v_or_b32_e32 v7, 63, v0
	v_lshrrev_b32_e32 v5, 6, v0
	v_cmp_eq_u32_e64 s[26:27], v7, v0
	s_and_saveexec_b64 s[28:29], s[26:27]
	s_cbranch_execz .LBB527_184
; %bb.183:
	v_lshlrev_b32_e32 v7, 3, v5
	ds_write_b32 v7, v29
	ds_write_b8 v7, v3 offset:4
.LBB527_184:
	s_or_b64 exec, exec, s[28:29]
	v_cmp_gt_u32_e64 s[26:27], 4, v0
	s_waitcnt lgkmcnt(0)
	s_barrier
	s_and_saveexec_b64 s[28:29], s[26:27]
	s_cbranch_execz .LBB527_190
; %bb.185:
	v_lshlrev_b32_e32 v7, 3, v0
	ds_read_b64 v[26:27], v7
	v_and_b32_e32 v9, 3, v1
	v_cmp_ne_u32_e64 s[26:27], 0, v9
	s_waitcnt lgkmcnt(0)
	v_mov_b32_dpp v15, v26 row_shr:1 row_mask:0xf bank_mask:0xf
	v_mov_b32_dpp v13, v27 row_shr:1 row_mask:0xf bank_mask:0xf
	v_mov_b32_e32 v11, v27
	s_and_saveexec_b64 s[30:31], s[26:27]
	s_cbranch_execz .LBB527_187
; %bb.186:
	v_mov_b32_e32 v11, 0
	v_cmp_eq_u16_sdwa s[26:27], v27, v11 src0_sel:BYTE_0 src1_sel:DWORD
	v_cndmask_b32_e64 v11, 1, v15, s[26:27]
	v_mul_lo_u32 v26, v11, v26
	v_and_b32_e32 v11, 1, v27
	v_and_b32_e32 v13, 1, v13
	v_cmp_eq_u32_e64 s[26:27], 1, v11
	v_cndmask_b32_e64 v13, v13, 1, s[26:27]
	v_and_b32_e32 v11, 0xffff, v13
	s_movk_i32 s26, 0xff00
	v_and_or_b32 v11, v27, s26, v11
	v_mov_b32_e32 v27, v13
.LBB527_187:
	s_or_b64 exec, exec, s[30:31]
	v_mov_b32_dpp v13, v26 row_shr:2 row_mask:0xf bank_mask:0xf
	v_mov_b32_dpp v11, v11 row_shr:2 row_mask:0xf bank_mask:0xf
	v_cmp_lt_u32_e64 s[26:27], 1, v9
	s_and_saveexec_b64 s[30:31], s[26:27]
; %bb.188:
	v_mov_b32_e32 v9, 0
	v_cmp_eq_u16_sdwa s[26:27], v27, v9 src0_sel:BYTE_0 src1_sel:DWORD
	v_cndmask_b32_e64 v9, 1, v13, s[26:27]
	v_mul_lo_u32 v26, v9, v26
	v_and_b32_e32 v9, 1, v27
	v_and_b32_e32 v11, 1, v11
	v_cmp_eq_u32_e64 s[26:27], 1, v9
	v_cndmask_b32_e64 v27, v11, 1, s[26:27]
; %bb.189:
	s_or_b64 exec, exec, s[30:31]
	ds_write_b32 v7, v26
	ds_write_b8 v7, v27 offset:4
.LBB527_190:
	s_or_b64 exec, exec, s[28:29]
	v_cmp_lt_u32_e64 s[26:27], 63, v0
	s_waitcnt vmcnt(0)
	v_mov_b32_e32 v7, v32
	s_waitcnt lgkmcnt(0)
	s_barrier
	s_and_saveexec_b64 s[28:29], s[26:27]
	s_cbranch_execz .LBB527_192
; %bb.191:
	v_lshl_add_u32 v5, v5, 3, -8
	ds_read_u8 v7, v5 offset:4
	ds_read_b32 v5, v5
	s_waitcnt lgkmcnt(1)
	v_cmp_eq_u16_e64 s[26:27], 0, v7
	v_cndmask_b32_e64 v7, 1, v32, s[26:27]
	s_waitcnt lgkmcnt(0)
	v_mul_lo_u32 v7, v7, v5
.LBB527_192:
	s_or_b64 exec, exec, s[28:29]
	v_mov_b32_e32 v28, 0
	v_cmp_eq_u16_sdwa s[26:27], v3, v28 src0_sel:BYTE_0 src1_sel:DWORD
	v_add_u32_e32 v5, -1, v1
	v_and_b32_e32 v9, 64, v1
	v_cndmask_b32_e64 v3, 1, v7, s[26:27]
	v_cmp_lt_i32_e64 s[26:27], v5, v9
	v_cndmask_b32_e64 v5, v5, v1, s[26:27]
	v_mul_lo_u32 v3, v3, v29
	v_lshlrev_b32_e32 v5, 2, v5
	ds_bpermute_b32 v3, v5, v3
	v_cmp_eq_u32_e64 s[26:27], 0, v1
	v_and_b32_e32 v29, 0xff, v41
	s_waitcnt lgkmcnt(0)
	v_cndmask_b32_e64 v26, v3, v7, s[26:27]
	v_cndmask_b32_e64 v1, v26, v32, s[0:1]
	v_cmp_eq_u64_e64 s[26:27], 0, v[28:29]
	v_cndmask_b32_e64 v1, 1, v1, s[26:27]
	v_mul_lo_u32 v27, v1, v40
	v_cndmask_b32_e32 v1, 1, v27, vcc
	v_mul_lo_u32 v44, v1, v8
	v_cndmask_b32_e64 v1, 1, v44, s[4:5]
	v_mul_lo_u32 v45, v1, v6
	v_cndmask_b32_e64 v1, 1, v45, s[6:7]
	v_mul_lo_u32 v30, v1, v4
	v_cndmask_b32_e64 v1, 1, v30, s[8:9]
	v_mul_lo_u32 v31, v1, v2
	v_cndmask_b32_e64 v1, 1, v31, s[10:11]
	v_mul_lo_u32 v46, v1, v16
	v_cndmask_b32_e64 v1, 1, v46, s[12:13]
	v_mul_lo_u32 v47, v1, v14
	v_cndmask_b32_e64 v1, 1, v47, s[14:15]
	v_mul_lo_u32 v34, v1, v12
	v_cndmask_b32_e64 v1, 1, v34, s[16:17]
	v_mul_lo_u32 v35, v1, v10
	v_cndmask_b32_e64 v1, 1, v35, s[18:19]
	v_mul_lo_u32 v48, v1, v18
	v_cndmask_b32_e64 v1, 1, v48, s[20:21]
	v_mul_lo_u32 v49, v1, v20
	v_cndmask_b32_e64 v1, 1, v49, s[22:23]
	v_mul_lo_u32 v50, v1, v22
	v_cndmask_b32_e64 v1, 1, v50, s[24:25]
	s_and_saveexec_b64 s[4:5], s[0:1]
	s_cbranch_execz .LBB527_194
; %bb.193:
	ds_read_u8 v3, v28 offset:28
	ds_read_b32 v2, v28 offset:24
	s_add_u32 s0, s44, 0x400
	s_addc_u32 s1, s45, 0
	v_mov_b32_e32 v5, v28
	s_waitcnt lgkmcnt(1)
	v_cmp_eq_u16_e32 vcc, 0, v3
	v_cndmask_b32_e32 v4, 1, v32, vcc
	s_waitcnt lgkmcnt(0)
	v_mul_lo_u32 v2, v4, v2
	v_and_b32_e32 v3, 0xffff, v3
	v_mov_b32_e32 v4, 2
	v_pk_mov_b32 v[6:7], s[0:1], s[0:1] op_sel:[0,1]
	;;#ASMSTART
	global_store_dwordx4 v[6:7], v[2:5] off	
s_waitcnt vmcnt(0)
	;;#ASMEND
	v_mov_b32_e32 v26, v32
.LBB527_194:
	s_or_b64 exec, exec, s[4:5]
	v_mul_lo_u32 v51, v1, v24
.LBB527_195:
	s_add_u32 s0, s42, s34
	s_addc_u32 s1, s43, s35
	v_mov_b32_e32 v1, s1
	v_add_co_u32_e32 v18, vcc, s0, v38
	v_addc_co_u32_e32 v19, vcc, v1, v39, vcc
	v_mul_u32_u24_e32 v1, 14, v0
	s_and_b64 vcc, exec, s[2:3]
	v_lshlrev_b32_e32 v2, 2, v1
	s_cbranch_vccz .LBB527_223
; %bb.196:
	s_movk_i32 s0, 0xffcc
	v_mad_i32_i24 v3, v0, s0, v2
	s_barrier
	ds_write2_b64 v2, v[26:27], v[44:45] offset1:1
	ds_write2_b64 v2, v[30:31], v[46:47] offset0:2 offset1:3
	ds_write2_b64 v2, v[34:35], v[48:49] offset0:4 offset1:5
	ds_write_b64 v2, v[50:51] offset:48
	s_waitcnt lgkmcnt(0)
	s_barrier
	ds_read2st64_b32 v[16:17], v3 offset0:4 offset1:8
	ds_read2st64_b32 v[14:15], v3 offset0:12 offset1:16
	;; [unrolled: 1-line block ×6, first 2 shown]
	ds_read_b32 v3, v3 offset:13312
	v_add_co_u32_e32 v6, vcc, v18, v52
	s_add_i32 s33, s33, s46
	v_addc_co_u32_e32 v7, vcc, 0, v19, vcc
	v_mov_b32_e32 v1, 0
	v_cmp_gt_u32_e32 vcc, s33, v0
	s_and_saveexec_b64 s[0:1], vcc
	s_cbranch_execz .LBB527_198
; %bb.197:
	v_mul_i32_i24_e32 v20, 0xffffffcc, v0
	v_add_u32_e32 v20, v2, v20
	ds_read_b32 v20, v20
	s_waitcnt lgkmcnt(0)
	flat_store_dword v[6:7], v20
.LBB527_198:
	s_or_b64 exec, exec, s[0:1]
	v_or_b32_e32 v20, 0x100, v0
	v_cmp_gt_u32_e32 vcc, s33, v20
	s_and_saveexec_b64 s[0:1], vcc
	s_cbranch_execz .LBB527_200
; %bb.199:
	s_waitcnt lgkmcnt(0)
	flat_store_dword v[6:7], v16 offset:1024
.LBB527_200:
	s_or_b64 exec, exec, s[0:1]
	s_waitcnt lgkmcnt(0)
	v_or_b32_e32 v16, 0x200, v0
	v_cmp_gt_u32_e32 vcc, s33, v16
	s_and_saveexec_b64 s[0:1], vcc
	s_cbranch_execz .LBB527_202
; %bb.201:
	flat_store_dword v[6:7], v17 offset:2048
.LBB527_202:
	s_or_b64 exec, exec, s[0:1]
	v_or_b32_e32 v16, 0x300, v0
	v_cmp_gt_u32_e32 vcc, s33, v16
	s_and_saveexec_b64 s[0:1], vcc
	s_cbranch_execz .LBB527_204
; %bb.203:
	flat_store_dword v[6:7], v14 offset:3072
.LBB527_204:
	s_or_b64 exec, exec, s[0:1]
	v_or_b32_e32 v14, 0x400, v0
	v_cmp_gt_u32_e32 vcc, s33, v14
	s_and_saveexec_b64 s[0:1], vcc
	s_cbranch_execz .LBB527_206
; %bb.205:
	v_add_co_u32_e32 v16, vcc, 0x1000, v6
	v_addc_co_u32_e32 v17, vcc, 0, v7, vcc
	flat_store_dword v[16:17], v15
.LBB527_206:
	s_or_b64 exec, exec, s[0:1]
	v_or_b32_e32 v14, 0x500, v0
	v_cmp_gt_u32_e32 vcc, s33, v14
	s_and_saveexec_b64 s[0:1], vcc
	s_cbranch_execz .LBB527_208
; %bb.207:
	v_add_co_u32_e32 v14, vcc, 0x1000, v6
	v_addc_co_u32_e32 v15, vcc, 0, v7, vcc
	flat_store_dword v[14:15], v12 offset:1024
.LBB527_208:
	s_or_b64 exec, exec, s[0:1]
	v_or_b32_e32 v12, 0x600, v0
	v_cmp_gt_u32_e32 vcc, s33, v12
	s_and_saveexec_b64 s[0:1], vcc
	s_cbranch_execz .LBB527_210
; %bb.209:
	v_add_co_u32_e32 v14, vcc, 0x1000, v6
	v_addc_co_u32_e32 v15, vcc, 0, v7, vcc
	flat_store_dword v[14:15], v13 offset:2048
.LBB527_210:
	;; [unrolled: 10-line block ×3, first 2 shown]
	s_or_b64 exec, exec, s[0:1]
	v_or_b32_e32 v10, 0x800, v0
	v_cmp_gt_u32_e32 vcc, s33, v10
	s_and_saveexec_b64 s[0:1], vcc
	s_cbranch_execz .LBB527_214
; %bb.213:
	v_add_co_u32_e32 v12, vcc, 0x2000, v6
	v_addc_co_u32_e32 v13, vcc, 0, v7, vcc
	flat_store_dword v[12:13], v11
.LBB527_214:
	s_or_b64 exec, exec, s[0:1]
	v_or_b32_e32 v10, 0x900, v0
	v_cmp_gt_u32_e32 vcc, s33, v10
	s_and_saveexec_b64 s[0:1], vcc
	s_cbranch_execz .LBB527_216
; %bb.215:
	v_add_co_u32_e32 v10, vcc, 0x2000, v6
	v_addc_co_u32_e32 v11, vcc, 0, v7, vcc
	flat_store_dword v[10:11], v8 offset:1024
.LBB527_216:
	s_or_b64 exec, exec, s[0:1]
	v_or_b32_e32 v8, 0xa00, v0
	v_cmp_gt_u32_e32 vcc, s33, v8
	s_and_saveexec_b64 s[0:1], vcc
	s_cbranch_execz .LBB527_218
; %bb.217:
	v_add_co_u32_e32 v10, vcc, 0x2000, v6
	v_addc_co_u32_e32 v11, vcc, 0, v7, vcc
	flat_store_dword v[10:11], v9 offset:2048
.LBB527_218:
	;; [unrolled: 10-line block ×3, first 2 shown]
	s_or_b64 exec, exec, s[0:1]
	v_or_b32_e32 v4, 0xc00, v0
	v_cmp_gt_u32_e32 vcc, s33, v4
	s_and_saveexec_b64 s[0:1], vcc
	s_cbranch_execz .LBB527_222
; %bb.221:
	v_add_co_u32_e32 v6, vcc, 0x3000, v6
	v_addc_co_u32_e32 v7, vcc, 0, v7, vcc
	flat_store_dword v[6:7], v5
.LBB527_222:
	s_or_b64 exec, exec, s[0:1]
	v_or_b32_e32 v4, 0xd00, v0
	v_cmp_gt_u32_e64 s[0:1], s33, v4
	s_branch .LBB527_225
.LBB527_223:
	s_mov_b64 s[0:1], 0
                                        ; implicit-def: $vgpr3
	s_cbranch_execz .LBB527_225
; %bb.224:
	s_movk_i32 s2, 0xffcc
	s_waitcnt lgkmcnt(0)
	s_barrier
	ds_write2_b64 v2, v[26:27], v[44:45] offset1:1
	ds_write2_b64 v2, v[30:31], v[46:47] offset0:2 offset1:3
	ds_write2_b64 v2, v[34:35], v[48:49] offset0:4 offset1:5
	ds_write_b64 v2, v[50:51] offset:48
	v_mad_i32_i24 v2, v0, s2, v2
	v_add_co_u32_e32 v16, vcc, v18, v52
	s_waitcnt lgkmcnt(0)
	s_barrier
	ds_read2st64_b32 v[4:5], v2 offset1:4
	ds_read2st64_b32 v[6:7], v2 offset0:8 offset1:12
	ds_read2st64_b32 v[8:9], v2 offset0:16 offset1:20
	;; [unrolled: 1-line block ×6, first 2 shown]
	v_addc_co_u32_e32 v17, vcc, 0, v19, vcc
	s_movk_i32 s2, 0x1000
	s_waitcnt lgkmcnt(0)
	flat_store_dword v[16:17], v4
	flat_store_dword v[16:17], v5 offset:1024
	flat_store_dword v[16:17], v6 offset:2048
	;; [unrolled: 1-line block ×3, first 2 shown]
	v_add_co_u32_e32 v4, vcc, s2, v16
	v_addc_co_u32_e32 v5, vcc, 0, v17, vcc
	flat_store_dword v[4:5], v8
	flat_store_dword v[4:5], v9 offset:1024
	flat_store_dword v[4:5], v10 offset:2048
	;; [unrolled: 1-line block ×3, first 2 shown]
	v_add_co_u32_e32 v4, vcc, 0x2000, v16
	v_addc_co_u32_e32 v5, vcc, 0, v17, vcc
	flat_store_dword v[4:5], v12
	flat_store_dword v[4:5], v13 offset:1024
	flat_store_dword v[4:5], v14 offset:2048
	;; [unrolled: 1-line block ×3, first 2 shown]
	v_add_co_u32_e32 v4, vcc, 0x3000, v16
	v_mov_b32_e32 v1, 0
	v_addc_co_u32_e32 v5, vcc, 0, v17, vcc
	s_or_b64 s[0:1], s[0:1], exec
	flat_store_dword v[4:5], v2
.LBB527_225:
	s_and_saveexec_b64 s[2:3], s[0:1]
	s_cbranch_execz .LBB527_227
; %bb.226:
	v_lshlrev_b64 v[0:1], 2, v[0:1]
	v_add_co_u32_e32 v0, vcc, v18, v0
	v_addc_co_u32_e32 v1, vcc, v19, v1, vcc
	v_add_co_u32_e32 v0, vcc, 0x3000, v0
	v_addc_co_u32_e32 v1, vcc, 0, v1, vcc
	flat_store_dword v[0:1], v3 offset:1024
	s_endpgm
.LBB527_227:
	s_endpgm
	.section	.rodata,"a",@progbits
	.p2align	6, 0x0
	.amdhsa_kernel _ZN7rocprim17ROCPRIM_400000_NS6detail17trampoline_kernelINS0_14default_configENS1_27scan_by_key_config_selectorIiiEEZZNS1_16scan_by_key_implILNS1_25lookback_scan_determinismE0ELb1ES3_N6thrust23THRUST_200600_302600_NS6detail15normal_iteratorINS9_10device_ptrIiEEEESE_SE_iNS9_10multipliesIiEENS9_8equal_toIiEEiEE10hipError_tPvRmT2_T3_T4_T5_mT6_T7_P12ihipStream_tbENKUlT_T0_E_clISt17integral_constantIbLb0EESY_IbLb1EEEEDaSU_SV_EUlSU_E_NS1_11comp_targetILNS1_3genE4ELNS1_11target_archE910ELNS1_3gpuE8ELNS1_3repE0EEENS1_30default_config_static_selectorELNS0_4arch9wavefront6targetE1EEEvT1_
		.amdhsa_group_segment_fixed_size 16384
		.amdhsa_private_segment_fixed_size 0
		.amdhsa_kernarg_size 112
		.amdhsa_user_sgpr_count 6
		.amdhsa_user_sgpr_private_segment_buffer 1
		.amdhsa_user_sgpr_dispatch_ptr 0
		.amdhsa_user_sgpr_queue_ptr 0
		.amdhsa_user_sgpr_kernarg_segment_ptr 1
		.amdhsa_user_sgpr_dispatch_id 0
		.amdhsa_user_sgpr_flat_scratch_init 0
		.amdhsa_user_sgpr_kernarg_preload_length 0
		.amdhsa_user_sgpr_kernarg_preload_offset 0
		.amdhsa_user_sgpr_private_segment_size 0
		.amdhsa_uses_dynamic_stack 0
		.amdhsa_system_sgpr_private_segment_wavefront_offset 0
		.amdhsa_system_sgpr_workgroup_id_x 1
		.amdhsa_system_sgpr_workgroup_id_y 0
		.amdhsa_system_sgpr_workgroup_id_z 0
		.amdhsa_system_sgpr_workgroup_info 0
		.amdhsa_system_vgpr_workitem_id 0
		.amdhsa_next_free_vgpr 64
		.amdhsa_next_free_sgpr 60
		.amdhsa_accum_offset 64
		.amdhsa_reserve_vcc 1
		.amdhsa_reserve_flat_scratch 0
		.amdhsa_float_round_mode_32 0
		.amdhsa_float_round_mode_16_64 0
		.amdhsa_float_denorm_mode_32 3
		.amdhsa_float_denorm_mode_16_64 3
		.amdhsa_dx10_clamp 1
		.amdhsa_ieee_mode 1
		.amdhsa_fp16_overflow 0
		.amdhsa_tg_split 0
		.amdhsa_exception_fp_ieee_invalid_op 0
		.amdhsa_exception_fp_denorm_src 0
		.amdhsa_exception_fp_ieee_div_zero 0
		.amdhsa_exception_fp_ieee_overflow 0
		.amdhsa_exception_fp_ieee_underflow 0
		.amdhsa_exception_fp_ieee_inexact 0
		.amdhsa_exception_int_div_zero 0
	.end_amdhsa_kernel
	.section	.text._ZN7rocprim17ROCPRIM_400000_NS6detail17trampoline_kernelINS0_14default_configENS1_27scan_by_key_config_selectorIiiEEZZNS1_16scan_by_key_implILNS1_25lookback_scan_determinismE0ELb1ES3_N6thrust23THRUST_200600_302600_NS6detail15normal_iteratorINS9_10device_ptrIiEEEESE_SE_iNS9_10multipliesIiEENS9_8equal_toIiEEiEE10hipError_tPvRmT2_T3_T4_T5_mT6_T7_P12ihipStream_tbENKUlT_T0_E_clISt17integral_constantIbLb0EESY_IbLb1EEEEDaSU_SV_EUlSU_E_NS1_11comp_targetILNS1_3genE4ELNS1_11target_archE910ELNS1_3gpuE8ELNS1_3repE0EEENS1_30default_config_static_selectorELNS0_4arch9wavefront6targetE1EEEvT1_,"axG",@progbits,_ZN7rocprim17ROCPRIM_400000_NS6detail17trampoline_kernelINS0_14default_configENS1_27scan_by_key_config_selectorIiiEEZZNS1_16scan_by_key_implILNS1_25lookback_scan_determinismE0ELb1ES3_N6thrust23THRUST_200600_302600_NS6detail15normal_iteratorINS9_10device_ptrIiEEEESE_SE_iNS9_10multipliesIiEENS9_8equal_toIiEEiEE10hipError_tPvRmT2_T3_T4_T5_mT6_T7_P12ihipStream_tbENKUlT_T0_E_clISt17integral_constantIbLb0EESY_IbLb1EEEEDaSU_SV_EUlSU_E_NS1_11comp_targetILNS1_3genE4ELNS1_11target_archE910ELNS1_3gpuE8ELNS1_3repE0EEENS1_30default_config_static_selectorELNS0_4arch9wavefront6targetE1EEEvT1_,comdat
.Lfunc_end527:
	.size	_ZN7rocprim17ROCPRIM_400000_NS6detail17trampoline_kernelINS0_14default_configENS1_27scan_by_key_config_selectorIiiEEZZNS1_16scan_by_key_implILNS1_25lookback_scan_determinismE0ELb1ES3_N6thrust23THRUST_200600_302600_NS6detail15normal_iteratorINS9_10device_ptrIiEEEESE_SE_iNS9_10multipliesIiEENS9_8equal_toIiEEiEE10hipError_tPvRmT2_T3_T4_T5_mT6_T7_P12ihipStream_tbENKUlT_T0_E_clISt17integral_constantIbLb0EESY_IbLb1EEEEDaSU_SV_EUlSU_E_NS1_11comp_targetILNS1_3genE4ELNS1_11target_archE910ELNS1_3gpuE8ELNS1_3repE0EEENS1_30default_config_static_selectorELNS0_4arch9wavefront6targetE1EEEvT1_, .Lfunc_end527-_ZN7rocprim17ROCPRIM_400000_NS6detail17trampoline_kernelINS0_14default_configENS1_27scan_by_key_config_selectorIiiEEZZNS1_16scan_by_key_implILNS1_25lookback_scan_determinismE0ELb1ES3_N6thrust23THRUST_200600_302600_NS6detail15normal_iteratorINS9_10device_ptrIiEEEESE_SE_iNS9_10multipliesIiEENS9_8equal_toIiEEiEE10hipError_tPvRmT2_T3_T4_T5_mT6_T7_P12ihipStream_tbENKUlT_T0_E_clISt17integral_constantIbLb0EESY_IbLb1EEEEDaSU_SV_EUlSU_E_NS1_11comp_targetILNS1_3genE4ELNS1_11target_archE910ELNS1_3gpuE8ELNS1_3repE0EEENS1_30default_config_static_selectorELNS0_4arch9wavefront6targetE1EEEvT1_
                                        ; -- End function
	.section	.AMDGPU.csdata,"",@progbits
; Kernel info:
; codeLenInByte = 11444
; NumSgprs: 64
; NumVgprs: 64
; NumAgprs: 0
; TotalNumVgprs: 64
; ScratchSize: 0
; MemoryBound: 0
; FloatMode: 240
; IeeeMode: 1
; LDSByteSize: 16384 bytes/workgroup (compile time only)
; SGPRBlocks: 7
; VGPRBlocks: 7
; NumSGPRsForWavesPerEU: 64
; NumVGPRsForWavesPerEU: 64
; AccumOffset: 64
; Occupancy: 4
; WaveLimiterHint : 1
; COMPUTE_PGM_RSRC2:SCRATCH_EN: 0
; COMPUTE_PGM_RSRC2:USER_SGPR: 6
; COMPUTE_PGM_RSRC2:TRAP_HANDLER: 0
; COMPUTE_PGM_RSRC2:TGID_X_EN: 1
; COMPUTE_PGM_RSRC2:TGID_Y_EN: 0
; COMPUTE_PGM_RSRC2:TGID_Z_EN: 0
; COMPUTE_PGM_RSRC2:TIDIG_COMP_CNT: 0
; COMPUTE_PGM_RSRC3_GFX90A:ACCUM_OFFSET: 15
; COMPUTE_PGM_RSRC3_GFX90A:TG_SPLIT: 0
	.section	.text._ZN7rocprim17ROCPRIM_400000_NS6detail17trampoline_kernelINS0_14default_configENS1_27scan_by_key_config_selectorIiiEEZZNS1_16scan_by_key_implILNS1_25lookback_scan_determinismE0ELb1ES3_N6thrust23THRUST_200600_302600_NS6detail15normal_iteratorINS9_10device_ptrIiEEEESE_SE_iNS9_10multipliesIiEENS9_8equal_toIiEEiEE10hipError_tPvRmT2_T3_T4_T5_mT6_T7_P12ihipStream_tbENKUlT_T0_E_clISt17integral_constantIbLb0EESY_IbLb1EEEEDaSU_SV_EUlSU_E_NS1_11comp_targetILNS1_3genE3ELNS1_11target_archE908ELNS1_3gpuE7ELNS1_3repE0EEENS1_30default_config_static_selectorELNS0_4arch9wavefront6targetE1EEEvT1_,"axG",@progbits,_ZN7rocprim17ROCPRIM_400000_NS6detail17trampoline_kernelINS0_14default_configENS1_27scan_by_key_config_selectorIiiEEZZNS1_16scan_by_key_implILNS1_25lookback_scan_determinismE0ELb1ES3_N6thrust23THRUST_200600_302600_NS6detail15normal_iteratorINS9_10device_ptrIiEEEESE_SE_iNS9_10multipliesIiEENS9_8equal_toIiEEiEE10hipError_tPvRmT2_T3_T4_T5_mT6_T7_P12ihipStream_tbENKUlT_T0_E_clISt17integral_constantIbLb0EESY_IbLb1EEEEDaSU_SV_EUlSU_E_NS1_11comp_targetILNS1_3genE3ELNS1_11target_archE908ELNS1_3gpuE7ELNS1_3repE0EEENS1_30default_config_static_selectorELNS0_4arch9wavefront6targetE1EEEvT1_,comdat
	.protected	_ZN7rocprim17ROCPRIM_400000_NS6detail17trampoline_kernelINS0_14default_configENS1_27scan_by_key_config_selectorIiiEEZZNS1_16scan_by_key_implILNS1_25lookback_scan_determinismE0ELb1ES3_N6thrust23THRUST_200600_302600_NS6detail15normal_iteratorINS9_10device_ptrIiEEEESE_SE_iNS9_10multipliesIiEENS9_8equal_toIiEEiEE10hipError_tPvRmT2_T3_T4_T5_mT6_T7_P12ihipStream_tbENKUlT_T0_E_clISt17integral_constantIbLb0EESY_IbLb1EEEEDaSU_SV_EUlSU_E_NS1_11comp_targetILNS1_3genE3ELNS1_11target_archE908ELNS1_3gpuE7ELNS1_3repE0EEENS1_30default_config_static_selectorELNS0_4arch9wavefront6targetE1EEEvT1_ ; -- Begin function _ZN7rocprim17ROCPRIM_400000_NS6detail17trampoline_kernelINS0_14default_configENS1_27scan_by_key_config_selectorIiiEEZZNS1_16scan_by_key_implILNS1_25lookback_scan_determinismE0ELb1ES3_N6thrust23THRUST_200600_302600_NS6detail15normal_iteratorINS9_10device_ptrIiEEEESE_SE_iNS9_10multipliesIiEENS9_8equal_toIiEEiEE10hipError_tPvRmT2_T3_T4_T5_mT6_T7_P12ihipStream_tbENKUlT_T0_E_clISt17integral_constantIbLb0EESY_IbLb1EEEEDaSU_SV_EUlSU_E_NS1_11comp_targetILNS1_3genE3ELNS1_11target_archE908ELNS1_3gpuE7ELNS1_3repE0EEENS1_30default_config_static_selectorELNS0_4arch9wavefront6targetE1EEEvT1_
	.globl	_ZN7rocprim17ROCPRIM_400000_NS6detail17trampoline_kernelINS0_14default_configENS1_27scan_by_key_config_selectorIiiEEZZNS1_16scan_by_key_implILNS1_25lookback_scan_determinismE0ELb1ES3_N6thrust23THRUST_200600_302600_NS6detail15normal_iteratorINS9_10device_ptrIiEEEESE_SE_iNS9_10multipliesIiEENS9_8equal_toIiEEiEE10hipError_tPvRmT2_T3_T4_T5_mT6_T7_P12ihipStream_tbENKUlT_T0_E_clISt17integral_constantIbLb0EESY_IbLb1EEEEDaSU_SV_EUlSU_E_NS1_11comp_targetILNS1_3genE3ELNS1_11target_archE908ELNS1_3gpuE7ELNS1_3repE0EEENS1_30default_config_static_selectorELNS0_4arch9wavefront6targetE1EEEvT1_
	.p2align	8
	.type	_ZN7rocprim17ROCPRIM_400000_NS6detail17trampoline_kernelINS0_14default_configENS1_27scan_by_key_config_selectorIiiEEZZNS1_16scan_by_key_implILNS1_25lookback_scan_determinismE0ELb1ES3_N6thrust23THRUST_200600_302600_NS6detail15normal_iteratorINS9_10device_ptrIiEEEESE_SE_iNS9_10multipliesIiEENS9_8equal_toIiEEiEE10hipError_tPvRmT2_T3_T4_T5_mT6_T7_P12ihipStream_tbENKUlT_T0_E_clISt17integral_constantIbLb0EESY_IbLb1EEEEDaSU_SV_EUlSU_E_NS1_11comp_targetILNS1_3genE3ELNS1_11target_archE908ELNS1_3gpuE7ELNS1_3repE0EEENS1_30default_config_static_selectorELNS0_4arch9wavefront6targetE1EEEvT1_,@function
_ZN7rocprim17ROCPRIM_400000_NS6detail17trampoline_kernelINS0_14default_configENS1_27scan_by_key_config_selectorIiiEEZZNS1_16scan_by_key_implILNS1_25lookback_scan_determinismE0ELb1ES3_N6thrust23THRUST_200600_302600_NS6detail15normal_iteratorINS9_10device_ptrIiEEEESE_SE_iNS9_10multipliesIiEENS9_8equal_toIiEEiEE10hipError_tPvRmT2_T3_T4_T5_mT6_T7_P12ihipStream_tbENKUlT_T0_E_clISt17integral_constantIbLb0EESY_IbLb1EEEEDaSU_SV_EUlSU_E_NS1_11comp_targetILNS1_3genE3ELNS1_11target_archE908ELNS1_3gpuE7ELNS1_3repE0EEENS1_30default_config_static_selectorELNS0_4arch9wavefront6targetE1EEEvT1_: ; @_ZN7rocprim17ROCPRIM_400000_NS6detail17trampoline_kernelINS0_14default_configENS1_27scan_by_key_config_selectorIiiEEZZNS1_16scan_by_key_implILNS1_25lookback_scan_determinismE0ELb1ES3_N6thrust23THRUST_200600_302600_NS6detail15normal_iteratorINS9_10device_ptrIiEEEESE_SE_iNS9_10multipliesIiEENS9_8equal_toIiEEiEE10hipError_tPvRmT2_T3_T4_T5_mT6_T7_P12ihipStream_tbENKUlT_T0_E_clISt17integral_constantIbLb0EESY_IbLb1EEEEDaSU_SV_EUlSU_E_NS1_11comp_targetILNS1_3genE3ELNS1_11target_archE908ELNS1_3gpuE7ELNS1_3repE0EEENS1_30default_config_static_selectorELNS0_4arch9wavefront6targetE1EEEvT1_
; %bb.0:
	.section	.rodata,"a",@progbits
	.p2align	6, 0x0
	.amdhsa_kernel _ZN7rocprim17ROCPRIM_400000_NS6detail17trampoline_kernelINS0_14default_configENS1_27scan_by_key_config_selectorIiiEEZZNS1_16scan_by_key_implILNS1_25lookback_scan_determinismE0ELb1ES3_N6thrust23THRUST_200600_302600_NS6detail15normal_iteratorINS9_10device_ptrIiEEEESE_SE_iNS9_10multipliesIiEENS9_8equal_toIiEEiEE10hipError_tPvRmT2_T3_T4_T5_mT6_T7_P12ihipStream_tbENKUlT_T0_E_clISt17integral_constantIbLb0EESY_IbLb1EEEEDaSU_SV_EUlSU_E_NS1_11comp_targetILNS1_3genE3ELNS1_11target_archE908ELNS1_3gpuE7ELNS1_3repE0EEENS1_30default_config_static_selectorELNS0_4arch9wavefront6targetE1EEEvT1_
		.amdhsa_group_segment_fixed_size 0
		.amdhsa_private_segment_fixed_size 0
		.amdhsa_kernarg_size 112
		.amdhsa_user_sgpr_count 6
		.amdhsa_user_sgpr_private_segment_buffer 1
		.amdhsa_user_sgpr_dispatch_ptr 0
		.amdhsa_user_sgpr_queue_ptr 0
		.amdhsa_user_sgpr_kernarg_segment_ptr 1
		.amdhsa_user_sgpr_dispatch_id 0
		.amdhsa_user_sgpr_flat_scratch_init 0
		.amdhsa_user_sgpr_kernarg_preload_length 0
		.amdhsa_user_sgpr_kernarg_preload_offset 0
		.amdhsa_user_sgpr_private_segment_size 0
		.amdhsa_uses_dynamic_stack 0
		.amdhsa_system_sgpr_private_segment_wavefront_offset 0
		.amdhsa_system_sgpr_workgroup_id_x 1
		.amdhsa_system_sgpr_workgroup_id_y 0
		.amdhsa_system_sgpr_workgroup_id_z 0
		.amdhsa_system_sgpr_workgroup_info 0
		.amdhsa_system_vgpr_workitem_id 0
		.amdhsa_next_free_vgpr 1
		.amdhsa_next_free_sgpr 0
		.amdhsa_accum_offset 4
		.amdhsa_reserve_vcc 0
		.amdhsa_reserve_flat_scratch 0
		.amdhsa_float_round_mode_32 0
		.amdhsa_float_round_mode_16_64 0
		.amdhsa_float_denorm_mode_32 3
		.amdhsa_float_denorm_mode_16_64 3
		.amdhsa_dx10_clamp 1
		.amdhsa_ieee_mode 1
		.amdhsa_fp16_overflow 0
		.amdhsa_tg_split 0
		.amdhsa_exception_fp_ieee_invalid_op 0
		.amdhsa_exception_fp_denorm_src 0
		.amdhsa_exception_fp_ieee_div_zero 0
		.amdhsa_exception_fp_ieee_overflow 0
		.amdhsa_exception_fp_ieee_underflow 0
		.amdhsa_exception_fp_ieee_inexact 0
		.amdhsa_exception_int_div_zero 0
	.end_amdhsa_kernel
	.section	.text._ZN7rocprim17ROCPRIM_400000_NS6detail17trampoline_kernelINS0_14default_configENS1_27scan_by_key_config_selectorIiiEEZZNS1_16scan_by_key_implILNS1_25lookback_scan_determinismE0ELb1ES3_N6thrust23THRUST_200600_302600_NS6detail15normal_iteratorINS9_10device_ptrIiEEEESE_SE_iNS9_10multipliesIiEENS9_8equal_toIiEEiEE10hipError_tPvRmT2_T3_T4_T5_mT6_T7_P12ihipStream_tbENKUlT_T0_E_clISt17integral_constantIbLb0EESY_IbLb1EEEEDaSU_SV_EUlSU_E_NS1_11comp_targetILNS1_3genE3ELNS1_11target_archE908ELNS1_3gpuE7ELNS1_3repE0EEENS1_30default_config_static_selectorELNS0_4arch9wavefront6targetE1EEEvT1_,"axG",@progbits,_ZN7rocprim17ROCPRIM_400000_NS6detail17trampoline_kernelINS0_14default_configENS1_27scan_by_key_config_selectorIiiEEZZNS1_16scan_by_key_implILNS1_25lookback_scan_determinismE0ELb1ES3_N6thrust23THRUST_200600_302600_NS6detail15normal_iteratorINS9_10device_ptrIiEEEESE_SE_iNS9_10multipliesIiEENS9_8equal_toIiEEiEE10hipError_tPvRmT2_T3_T4_T5_mT6_T7_P12ihipStream_tbENKUlT_T0_E_clISt17integral_constantIbLb0EESY_IbLb1EEEEDaSU_SV_EUlSU_E_NS1_11comp_targetILNS1_3genE3ELNS1_11target_archE908ELNS1_3gpuE7ELNS1_3repE0EEENS1_30default_config_static_selectorELNS0_4arch9wavefront6targetE1EEEvT1_,comdat
.Lfunc_end528:
	.size	_ZN7rocprim17ROCPRIM_400000_NS6detail17trampoline_kernelINS0_14default_configENS1_27scan_by_key_config_selectorIiiEEZZNS1_16scan_by_key_implILNS1_25lookback_scan_determinismE0ELb1ES3_N6thrust23THRUST_200600_302600_NS6detail15normal_iteratorINS9_10device_ptrIiEEEESE_SE_iNS9_10multipliesIiEENS9_8equal_toIiEEiEE10hipError_tPvRmT2_T3_T4_T5_mT6_T7_P12ihipStream_tbENKUlT_T0_E_clISt17integral_constantIbLb0EESY_IbLb1EEEEDaSU_SV_EUlSU_E_NS1_11comp_targetILNS1_3genE3ELNS1_11target_archE908ELNS1_3gpuE7ELNS1_3repE0EEENS1_30default_config_static_selectorELNS0_4arch9wavefront6targetE1EEEvT1_, .Lfunc_end528-_ZN7rocprim17ROCPRIM_400000_NS6detail17trampoline_kernelINS0_14default_configENS1_27scan_by_key_config_selectorIiiEEZZNS1_16scan_by_key_implILNS1_25lookback_scan_determinismE0ELb1ES3_N6thrust23THRUST_200600_302600_NS6detail15normal_iteratorINS9_10device_ptrIiEEEESE_SE_iNS9_10multipliesIiEENS9_8equal_toIiEEiEE10hipError_tPvRmT2_T3_T4_T5_mT6_T7_P12ihipStream_tbENKUlT_T0_E_clISt17integral_constantIbLb0EESY_IbLb1EEEEDaSU_SV_EUlSU_E_NS1_11comp_targetILNS1_3genE3ELNS1_11target_archE908ELNS1_3gpuE7ELNS1_3repE0EEENS1_30default_config_static_selectorELNS0_4arch9wavefront6targetE1EEEvT1_
                                        ; -- End function
	.section	.AMDGPU.csdata,"",@progbits
; Kernel info:
; codeLenInByte = 0
; NumSgprs: 4
; NumVgprs: 0
; NumAgprs: 0
; TotalNumVgprs: 0
; ScratchSize: 0
; MemoryBound: 0
; FloatMode: 240
; IeeeMode: 1
; LDSByteSize: 0 bytes/workgroup (compile time only)
; SGPRBlocks: 0
; VGPRBlocks: 0
; NumSGPRsForWavesPerEU: 4
; NumVGPRsForWavesPerEU: 1
; AccumOffset: 4
; Occupancy: 8
; WaveLimiterHint : 0
; COMPUTE_PGM_RSRC2:SCRATCH_EN: 0
; COMPUTE_PGM_RSRC2:USER_SGPR: 6
; COMPUTE_PGM_RSRC2:TRAP_HANDLER: 0
; COMPUTE_PGM_RSRC2:TGID_X_EN: 1
; COMPUTE_PGM_RSRC2:TGID_Y_EN: 0
; COMPUTE_PGM_RSRC2:TGID_Z_EN: 0
; COMPUTE_PGM_RSRC2:TIDIG_COMP_CNT: 0
; COMPUTE_PGM_RSRC3_GFX90A:ACCUM_OFFSET: 0
; COMPUTE_PGM_RSRC3_GFX90A:TG_SPLIT: 0
	.section	.text._ZN7rocprim17ROCPRIM_400000_NS6detail17trampoline_kernelINS0_14default_configENS1_27scan_by_key_config_selectorIiiEEZZNS1_16scan_by_key_implILNS1_25lookback_scan_determinismE0ELb1ES3_N6thrust23THRUST_200600_302600_NS6detail15normal_iteratorINS9_10device_ptrIiEEEESE_SE_iNS9_10multipliesIiEENS9_8equal_toIiEEiEE10hipError_tPvRmT2_T3_T4_T5_mT6_T7_P12ihipStream_tbENKUlT_T0_E_clISt17integral_constantIbLb0EESY_IbLb1EEEEDaSU_SV_EUlSU_E_NS1_11comp_targetILNS1_3genE2ELNS1_11target_archE906ELNS1_3gpuE6ELNS1_3repE0EEENS1_30default_config_static_selectorELNS0_4arch9wavefront6targetE1EEEvT1_,"axG",@progbits,_ZN7rocprim17ROCPRIM_400000_NS6detail17trampoline_kernelINS0_14default_configENS1_27scan_by_key_config_selectorIiiEEZZNS1_16scan_by_key_implILNS1_25lookback_scan_determinismE0ELb1ES3_N6thrust23THRUST_200600_302600_NS6detail15normal_iteratorINS9_10device_ptrIiEEEESE_SE_iNS9_10multipliesIiEENS9_8equal_toIiEEiEE10hipError_tPvRmT2_T3_T4_T5_mT6_T7_P12ihipStream_tbENKUlT_T0_E_clISt17integral_constantIbLb0EESY_IbLb1EEEEDaSU_SV_EUlSU_E_NS1_11comp_targetILNS1_3genE2ELNS1_11target_archE906ELNS1_3gpuE6ELNS1_3repE0EEENS1_30default_config_static_selectorELNS0_4arch9wavefront6targetE1EEEvT1_,comdat
	.protected	_ZN7rocprim17ROCPRIM_400000_NS6detail17trampoline_kernelINS0_14default_configENS1_27scan_by_key_config_selectorIiiEEZZNS1_16scan_by_key_implILNS1_25lookback_scan_determinismE0ELb1ES3_N6thrust23THRUST_200600_302600_NS6detail15normal_iteratorINS9_10device_ptrIiEEEESE_SE_iNS9_10multipliesIiEENS9_8equal_toIiEEiEE10hipError_tPvRmT2_T3_T4_T5_mT6_T7_P12ihipStream_tbENKUlT_T0_E_clISt17integral_constantIbLb0EESY_IbLb1EEEEDaSU_SV_EUlSU_E_NS1_11comp_targetILNS1_3genE2ELNS1_11target_archE906ELNS1_3gpuE6ELNS1_3repE0EEENS1_30default_config_static_selectorELNS0_4arch9wavefront6targetE1EEEvT1_ ; -- Begin function _ZN7rocprim17ROCPRIM_400000_NS6detail17trampoline_kernelINS0_14default_configENS1_27scan_by_key_config_selectorIiiEEZZNS1_16scan_by_key_implILNS1_25lookback_scan_determinismE0ELb1ES3_N6thrust23THRUST_200600_302600_NS6detail15normal_iteratorINS9_10device_ptrIiEEEESE_SE_iNS9_10multipliesIiEENS9_8equal_toIiEEiEE10hipError_tPvRmT2_T3_T4_T5_mT6_T7_P12ihipStream_tbENKUlT_T0_E_clISt17integral_constantIbLb0EESY_IbLb1EEEEDaSU_SV_EUlSU_E_NS1_11comp_targetILNS1_3genE2ELNS1_11target_archE906ELNS1_3gpuE6ELNS1_3repE0EEENS1_30default_config_static_selectorELNS0_4arch9wavefront6targetE1EEEvT1_
	.globl	_ZN7rocprim17ROCPRIM_400000_NS6detail17trampoline_kernelINS0_14default_configENS1_27scan_by_key_config_selectorIiiEEZZNS1_16scan_by_key_implILNS1_25lookback_scan_determinismE0ELb1ES3_N6thrust23THRUST_200600_302600_NS6detail15normal_iteratorINS9_10device_ptrIiEEEESE_SE_iNS9_10multipliesIiEENS9_8equal_toIiEEiEE10hipError_tPvRmT2_T3_T4_T5_mT6_T7_P12ihipStream_tbENKUlT_T0_E_clISt17integral_constantIbLb0EESY_IbLb1EEEEDaSU_SV_EUlSU_E_NS1_11comp_targetILNS1_3genE2ELNS1_11target_archE906ELNS1_3gpuE6ELNS1_3repE0EEENS1_30default_config_static_selectorELNS0_4arch9wavefront6targetE1EEEvT1_
	.p2align	8
	.type	_ZN7rocprim17ROCPRIM_400000_NS6detail17trampoline_kernelINS0_14default_configENS1_27scan_by_key_config_selectorIiiEEZZNS1_16scan_by_key_implILNS1_25lookback_scan_determinismE0ELb1ES3_N6thrust23THRUST_200600_302600_NS6detail15normal_iteratorINS9_10device_ptrIiEEEESE_SE_iNS9_10multipliesIiEENS9_8equal_toIiEEiEE10hipError_tPvRmT2_T3_T4_T5_mT6_T7_P12ihipStream_tbENKUlT_T0_E_clISt17integral_constantIbLb0EESY_IbLb1EEEEDaSU_SV_EUlSU_E_NS1_11comp_targetILNS1_3genE2ELNS1_11target_archE906ELNS1_3gpuE6ELNS1_3repE0EEENS1_30default_config_static_selectorELNS0_4arch9wavefront6targetE1EEEvT1_,@function
_ZN7rocprim17ROCPRIM_400000_NS6detail17trampoline_kernelINS0_14default_configENS1_27scan_by_key_config_selectorIiiEEZZNS1_16scan_by_key_implILNS1_25lookback_scan_determinismE0ELb1ES3_N6thrust23THRUST_200600_302600_NS6detail15normal_iteratorINS9_10device_ptrIiEEEESE_SE_iNS9_10multipliesIiEENS9_8equal_toIiEEiEE10hipError_tPvRmT2_T3_T4_T5_mT6_T7_P12ihipStream_tbENKUlT_T0_E_clISt17integral_constantIbLb0EESY_IbLb1EEEEDaSU_SV_EUlSU_E_NS1_11comp_targetILNS1_3genE2ELNS1_11target_archE906ELNS1_3gpuE6ELNS1_3repE0EEENS1_30default_config_static_selectorELNS0_4arch9wavefront6targetE1EEEvT1_: ; @_ZN7rocprim17ROCPRIM_400000_NS6detail17trampoline_kernelINS0_14default_configENS1_27scan_by_key_config_selectorIiiEEZZNS1_16scan_by_key_implILNS1_25lookback_scan_determinismE0ELb1ES3_N6thrust23THRUST_200600_302600_NS6detail15normal_iteratorINS9_10device_ptrIiEEEESE_SE_iNS9_10multipliesIiEENS9_8equal_toIiEEiEE10hipError_tPvRmT2_T3_T4_T5_mT6_T7_P12ihipStream_tbENKUlT_T0_E_clISt17integral_constantIbLb0EESY_IbLb1EEEEDaSU_SV_EUlSU_E_NS1_11comp_targetILNS1_3genE2ELNS1_11target_archE906ELNS1_3gpuE6ELNS1_3repE0EEENS1_30default_config_static_selectorELNS0_4arch9wavefront6targetE1EEEvT1_
; %bb.0:
	.section	.rodata,"a",@progbits
	.p2align	6, 0x0
	.amdhsa_kernel _ZN7rocprim17ROCPRIM_400000_NS6detail17trampoline_kernelINS0_14default_configENS1_27scan_by_key_config_selectorIiiEEZZNS1_16scan_by_key_implILNS1_25lookback_scan_determinismE0ELb1ES3_N6thrust23THRUST_200600_302600_NS6detail15normal_iteratorINS9_10device_ptrIiEEEESE_SE_iNS9_10multipliesIiEENS9_8equal_toIiEEiEE10hipError_tPvRmT2_T3_T4_T5_mT6_T7_P12ihipStream_tbENKUlT_T0_E_clISt17integral_constantIbLb0EESY_IbLb1EEEEDaSU_SV_EUlSU_E_NS1_11comp_targetILNS1_3genE2ELNS1_11target_archE906ELNS1_3gpuE6ELNS1_3repE0EEENS1_30default_config_static_selectorELNS0_4arch9wavefront6targetE1EEEvT1_
		.amdhsa_group_segment_fixed_size 0
		.amdhsa_private_segment_fixed_size 0
		.amdhsa_kernarg_size 112
		.amdhsa_user_sgpr_count 6
		.amdhsa_user_sgpr_private_segment_buffer 1
		.amdhsa_user_sgpr_dispatch_ptr 0
		.amdhsa_user_sgpr_queue_ptr 0
		.amdhsa_user_sgpr_kernarg_segment_ptr 1
		.amdhsa_user_sgpr_dispatch_id 0
		.amdhsa_user_sgpr_flat_scratch_init 0
		.amdhsa_user_sgpr_kernarg_preload_length 0
		.amdhsa_user_sgpr_kernarg_preload_offset 0
		.amdhsa_user_sgpr_private_segment_size 0
		.amdhsa_uses_dynamic_stack 0
		.amdhsa_system_sgpr_private_segment_wavefront_offset 0
		.amdhsa_system_sgpr_workgroup_id_x 1
		.amdhsa_system_sgpr_workgroup_id_y 0
		.amdhsa_system_sgpr_workgroup_id_z 0
		.amdhsa_system_sgpr_workgroup_info 0
		.amdhsa_system_vgpr_workitem_id 0
		.amdhsa_next_free_vgpr 1
		.amdhsa_next_free_sgpr 0
		.amdhsa_accum_offset 4
		.amdhsa_reserve_vcc 0
		.amdhsa_reserve_flat_scratch 0
		.amdhsa_float_round_mode_32 0
		.amdhsa_float_round_mode_16_64 0
		.amdhsa_float_denorm_mode_32 3
		.amdhsa_float_denorm_mode_16_64 3
		.amdhsa_dx10_clamp 1
		.amdhsa_ieee_mode 1
		.amdhsa_fp16_overflow 0
		.amdhsa_tg_split 0
		.amdhsa_exception_fp_ieee_invalid_op 0
		.amdhsa_exception_fp_denorm_src 0
		.amdhsa_exception_fp_ieee_div_zero 0
		.amdhsa_exception_fp_ieee_overflow 0
		.amdhsa_exception_fp_ieee_underflow 0
		.amdhsa_exception_fp_ieee_inexact 0
		.amdhsa_exception_int_div_zero 0
	.end_amdhsa_kernel
	.section	.text._ZN7rocprim17ROCPRIM_400000_NS6detail17trampoline_kernelINS0_14default_configENS1_27scan_by_key_config_selectorIiiEEZZNS1_16scan_by_key_implILNS1_25lookback_scan_determinismE0ELb1ES3_N6thrust23THRUST_200600_302600_NS6detail15normal_iteratorINS9_10device_ptrIiEEEESE_SE_iNS9_10multipliesIiEENS9_8equal_toIiEEiEE10hipError_tPvRmT2_T3_T4_T5_mT6_T7_P12ihipStream_tbENKUlT_T0_E_clISt17integral_constantIbLb0EESY_IbLb1EEEEDaSU_SV_EUlSU_E_NS1_11comp_targetILNS1_3genE2ELNS1_11target_archE906ELNS1_3gpuE6ELNS1_3repE0EEENS1_30default_config_static_selectorELNS0_4arch9wavefront6targetE1EEEvT1_,"axG",@progbits,_ZN7rocprim17ROCPRIM_400000_NS6detail17trampoline_kernelINS0_14default_configENS1_27scan_by_key_config_selectorIiiEEZZNS1_16scan_by_key_implILNS1_25lookback_scan_determinismE0ELb1ES3_N6thrust23THRUST_200600_302600_NS6detail15normal_iteratorINS9_10device_ptrIiEEEESE_SE_iNS9_10multipliesIiEENS9_8equal_toIiEEiEE10hipError_tPvRmT2_T3_T4_T5_mT6_T7_P12ihipStream_tbENKUlT_T0_E_clISt17integral_constantIbLb0EESY_IbLb1EEEEDaSU_SV_EUlSU_E_NS1_11comp_targetILNS1_3genE2ELNS1_11target_archE906ELNS1_3gpuE6ELNS1_3repE0EEENS1_30default_config_static_selectorELNS0_4arch9wavefront6targetE1EEEvT1_,comdat
.Lfunc_end529:
	.size	_ZN7rocprim17ROCPRIM_400000_NS6detail17trampoline_kernelINS0_14default_configENS1_27scan_by_key_config_selectorIiiEEZZNS1_16scan_by_key_implILNS1_25lookback_scan_determinismE0ELb1ES3_N6thrust23THRUST_200600_302600_NS6detail15normal_iteratorINS9_10device_ptrIiEEEESE_SE_iNS9_10multipliesIiEENS9_8equal_toIiEEiEE10hipError_tPvRmT2_T3_T4_T5_mT6_T7_P12ihipStream_tbENKUlT_T0_E_clISt17integral_constantIbLb0EESY_IbLb1EEEEDaSU_SV_EUlSU_E_NS1_11comp_targetILNS1_3genE2ELNS1_11target_archE906ELNS1_3gpuE6ELNS1_3repE0EEENS1_30default_config_static_selectorELNS0_4arch9wavefront6targetE1EEEvT1_, .Lfunc_end529-_ZN7rocprim17ROCPRIM_400000_NS6detail17trampoline_kernelINS0_14default_configENS1_27scan_by_key_config_selectorIiiEEZZNS1_16scan_by_key_implILNS1_25lookback_scan_determinismE0ELb1ES3_N6thrust23THRUST_200600_302600_NS6detail15normal_iteratorINS9_10device_ptrIiEEEESE_SE_iNS9_10multipliesIiEENS9_8equal_toIiEEiEE10hipError_tPvRmT2_T3_T4_T5_mT6_T7_P12ihipStream_tbENKUlT_T0_E_clISt17integral_constantIbLb0EESY_IbLb1EEEEDaSU_SV_EUlSU_E_NS1_11comp_targetILNS1_3genE2ELNS1_11target_archE906ELNS1_3gpuE6ELNS1_3repE0EEENS1_30default_config_static_selectorELNS0_4arch9wavefront6targetE1EEEvT1_
                                        ; -- End function
	.section	.AMDGPU.csdata,"",@progbits
; Kernel info:
; codeLenInByte = 0
; NumSgprs: 4
; NumVgprs: 0
; NumAgprs: 0
; TotalNumVgprs: 0
; ScratchSize: 0
; MemoryBound: 0
; FloatMode: 240
; IeeeMode: 1
; LDSByteSize: 0 bytes/workgroup (compile time only)
; SGPRBlocks: 0
; VGPRBlocks: 0
; NumSGPRsForWavesPerEU: 4
; NumVGPRsForWavesPerEU: 1
; AccumOffset: 4
; Occupancy: 8
; WaveLimiterHint : 0
; COMPUTE_PGM_RSRC2:SCRATCH_EN: 0
; COMPUTE_PGM_RSRC2:USER_SGPR: 6
; COMPUTE_PGM_RSRC2:TRAP_HANDLER: 0
; COMPUTE_PGM_RSRC2:TGID_X_EN: 1
; COMPUTE_PGM_RSRC2:TGID_Y_EN: 0
; COMPUTE_PGM_RSRC2:TGID_Z_EN: 0
; COMPUTE_PGM_RSRC2:TIDIG_COMP_CNT: 0
; COMPUTE_PGM_RSRC3_GFX90A:ACCUM_OFFSET: 0
; COMPUTE_PGM_RSRC3_GFX90A:TG_SPLIT: 0
	.section	.text._ZN7rocprim17ROCPRIM_400000_NS6detail17trampoline_kernelINS0_14default_configENS1_27scan_by_key_config_selectorIiiEEZZNS1_16scan_by_key_implILNS1_25lookback_scan_determinismE0ELb1ES3_N6thrust23THRUST_200600_302600_NS6detail15normal_iteratorINS9_10device_ptrIiEEEESE_SE_iNS9_10multipliesIiEENS9_8equal_toIiEEiEE10hipError_tPvRmT2_T3_T4_T5_mT6_T7_P12ihipStream_tbENKUlT_T0_E_clISt17integral_constantIbLb0EESY_IbLb1EEEEDaSU_SV_EUlSU_E_NS1_11comp_targetILNS1_3genE10ELNS1_11target_archE1200ELNS1_3gpuE4ELNS1_3repE0EEENS1_30default_config_static_selectorELNS0_4arch9wavefront6targetE1EEEvT1_,"axG",@progbits,_ZN7rocprim17ROCPRIM_400000_NS6detail17trampoline_kernelINS0_14default_configENS1_27scan_by_key_config_selectorIiiEEZZNS1_16scan_by_key_implILNS1_25lookback_scan_determinismE0ELb1ES3_N6thrust23THRUST_200600_302600_NS6detail15normal_iteratorINS9_10device_ptrIiEEEESE_SE_iNS9_10multipliesIiEENS9_8equal_toIiEEiEE10hipError_tPvRmT2_T3_T4_T5_mT6_T7_P12ihipStream_tbENKUlT_T0_E_clISt17integral_constantIbLb0EESY_IbLb1EEEEDaSU_SV_EUlSU_E_NS1_11comp_targetILNS1_3genE10ELNS1_11target_archE1200ELNS1_3gpuE4ELNS1_3repE0EEENS1_30default_config_static_selectorELNS0_4arch9wavefront6targetE1EEEvT1_,comdat
	.protected	_ZN7rocprim17ROCPRIM_400000_NS6detail17trampoline_kernelINS0_14default_configENS1_27scan_by_key_config_selectorIiiEEZZNS1_16scan_by_key_implILNS1_25lookback_scan_determinismE0ELb1ES3_N6thrust23THRUST_200600_302600_NS6detail15normal_iteratorINS9_10device_ptrIiEEEESE_SE_iNS9_10multipliesIiEENS9_8equal_toIiEEiEE10hipError_tPvRmT2_T3_T4_T5_mT6_T7_P12ihipStream_tbENKUlT_T0_E_clISt17integral_constantIbLb0EESY_IbLb1EEEEDaSU_SV_EUlSU_E_NS1_11comp_targetILNS1_3genE10ELNS1_11target_archE1200ELNS1_3gpuE4ELNS1_3repE0EEENS1_30default_config_static_selectorELNS0_4arch9wavefront6targetE1EEEvT1_ ; -- Begin function _ZN7rocprim17ROCPRIM_400000_NS6detail17trampoline_kernelINS0_14default_configENS1_27scan_by_key_config_selectorIiiEEZZNS1_16scan_by_key_implILNS1_25lookback_scan_determinismE0ELb1ES3_N6thrust23THRUST_200600_302600_NS6detail15normal_iteratorINS9_10device_ptrIiEEEESE_SE_iNS9_10multipliesIiEENS9_8equal_toIiEEiEE10hipError_tPvRmT2_T3_T4_T5_mT6_T7_P12ihipStream_tbENKUlT_T0_E_clISt17integral_constantIbLb0EESY_IbLb1EEEEDaSU_SV_EUlSU_E_NS1_11comp_targetILNS1_3genE10ELNS1_11target_archE1200ELNS1_3gpuE4ELNS1_3repE0EEENS1_30default_config_static_selectorELNS0_4arch9wavefront6targetE1EEEvT1_
	.globl	_ZN7rocprim17ROCPRIM_400000_NS6detail17trampoline_kernelINS0_14default_configENS1_27scan_by_key_config_selectorIiiEEZZNS1_16scan_by_key_implILNS1_25lookback_scan_determinismE0ELb1ES3_N6thrust23THRUST_200600_302600_NS6detail15normal_iteratorINS9_10device_ptrIiEEEESE_SE_iNS9_10multipliesIiEENS9_8equal_toIiEEiEE10hipError_tPvRmT2_T3_T4_T5_mT6_T7_P12ihipStream_tbENKUlT_T0_E_clISt17integral_constantIbLb0EESY_IbLb1EEEEDaSU_SV_EUlSU_E_NS1_11comp_targetILNS1_3genE10ELNS1_11target_archE1200ELNS1_3gpuE4ELNS1_3repE0EEENS1_30default_config_static_selectorELNS0_4arch9wavefront6targetE1EEEvT1_
	.p2align	8
	.type	_ZN7rocprim17ROCPRIM_400000_NS6detail17trampoline_kernelINS0_14default_configENS1_27scan_by_key_config_selectorIiiEEZZNS1_16scan_by_key_implILNS1_25lookback_scan_determinismE0ELb1ES3_N6thrust23THRUST_200600_302600_NS6detail15normal_iteratorINS9_10device_ptrIiEEEESE_SE_iNS9_10multipliesIiEENS9_8equal_toIiEEiEE10hipError_tPvRmT2_T3_T4_T5_mT6_T7_P12ihipStream_tbENKUlT_T0_E_clISt17integral_constantIbLb0EESY_IbLb1EEEEDaSU_SV_EUlSU_E_NS1_11comp_targetILNS1_3genE10ELNS1_11target_archE1200ELNS1_3gpuE4ELNS1_3repE0EEENS1_30default_config_static_selectorELNS0_4arch9wavefront6targetE1EEEvT1_,@function
_ZN7rocprim17ROCPRIM_400000_NS6detail17trampoline_kernelINS0_14default_configENS1_27scan_by_key_config_selectorIiiEEZZNS1_16scan_by_key_implILNS1_25lookback_scan_determinismE0ELb1ES3_N6thrust23THRUST_200600_302600_NS6detail15normal_iteratorINS9_10device_ptrIiEEEESE_SE_iNS9_10multipliesIiEENS9_8equal_toIiEEiEE10hipError_tPvRmT2_T3_T4_T5_mT6_T7_P12ihipStream_tbENKUlT_T0_E_clISt17integral_constantIbLb0EESY_IbLb1EEEEDaSU_SV_EUlSU_E_NS1_11comp_targetILNS1_3genE10ELNS1_11target_archE1200ELNS1_3gpuE4ELNS1_3repE0EEENS1_30default_config_static_selectorELNS0_4arch9wavefront6targetE1EEEvT1_: ; @_ZN7rocprim17ROCPRIM_400000_NS6detail17trampoline_kernelINS0_14default_configENS1_27scan_by_key_config_selectorIiiEEZZNS1_16scan_by_key_implILNS1_25lookback_scan_determinismE0ELb1ES3_N6thrust23THRUST_200600_302600_NS6detail15normal_iteratorINS9_10device_ptrIiEEEESE_SE_iNS9_10multipliesIiEENS9_8equal_toIiEEiEE10hipError_tPvRmT2_T3_T4_T5_mT6_T7_P12ihipStream_tbENKUlT_T0_E_clISt17integral_constantIbLb0EESY_IbLb1EEEEDaSU_SV_EUlSU_E_NS1_11comp_targetILNS1_3genE10ELNS1_11target_archE1200ELNS1_3gpuE4ELNS1_3repE0EEENS1_30default_config_static_selectorELNS0_4arch9wavefront6targetE1EEEvT1_
; %bb.0:
	.section	.rodata,"a",@progbits
	.p2align	6, 0x0
	.amdhsa_kernel _ZN7rocprim17ROCPRIM_400000_NS6detail17trampoline_kernelINS0_14default_configENS1_27scan_by_key_config_selectorIiiEEZZNS1_16scan_by_key_implILNS1_25lookback_scan_determinismE0ELb1ES3_N6thrust23THRUST_200600_302600_NS6detail15normal_iteratorINS9_10device_ptrIiEEEESE_SE_iNS9_10multipliesIiEENS9_8equal_toIiEEiEE10hipError_tPvRmT2_T3_T4_T5_mT6_T7_P12ihipStream_tbENKUlT_T0_E_clISt17integral_constantIbLb0EESY_IbLb1EEEEDaSU_SV_EUlSU_E_NS1_11comp_targetILNS1_3genE10ELNS1_11target_archE1200ELNS1_3gpuE4ELNS1_3repE0EEENS1_30default_config_static_selectorELNS0_4arch9wavefront6targetE1EEEvT1_
		.amdhsa_group_segment_fixed_size 0
		.amdhsa_private_segment_fixed_size 0
		.amdhsa_kernarg_size 112
		.amdhsa_user_sgpr_count 6
		.amdhsa_user_sgpr_private_segment_buffer 1
		.amdhsa_user_sgpr_dispatch_ptr 0
		.amdhsa_user_sgpr_queue_ptr 0
		.amdhsa_user_sgpr_kernarg_segment_ptr 1
		.amdhsa_user_sgpr_dispatch_id 0
		.amdhsa_user_sgpr_flat_scratch_init 0
		.amdhsa_user_sgpr_kernarg_preload_length 0
		.amdhsa_user_sgpr_kernarg_preload_offset 0
		.amdhsa_user_sgpr_private_segment_size 0
		.amdhsa_uses_dynamic_stack 0
		.amdhsa_system_sgpr_private_segment_wavefront_offset 0
		.amdhsa_system_sgpr_workgroup_id_x 1
		.amdhsa_system_sgpr_workgroup_id_y 0
		.amdhsa_system_sgpr_workgroup_id_z 0
		.amdhsa_system_sgpr_workgroup_info 0
		.amdhsa_system_vgpr_workitem_id 0
		.amdhsa_next_free_vgpr 1
		.amdhsa_next_free_sgpr 0
		.amdhsa_accum_offset 4
		.amdhsa_reserve_vcc 0
		.amdhsa_reserve_flat_scratch 0
		.amdhsa_float_round_mode_32 0
		.amdhsa_float_round_mode_16_64 0
		.amdhsa_float_denorm_mode_32 3
		.amdhsa_float_denorm_mode_16_64 3
		.amdhsa_dx10_clamp 1
		.amdhsa_ieee_mode 1
		.amdhsa_fp16_overflow 0
		.amdhsa_tg_split 0
		.amdhsa_exception_fp_ieee_invalid_op 0
		.amdhsa_exception_fp_denorm_src 0
		.amdhsa_exception_fp_ieee_div_zero 0
		.amdhsa_exception_fp_ieee_overflow 0
		.amdhsa_exception_fp_ieee_underflow 0
		.amdhsa_exception_fp_ieee_inexact 0
		.amdhsa_exception_int_div_zero 0
	.end_amdhsa_kernel
	.section	.text._ZN7rocprim17ROCPRIM_400000_NS6detail17trampoline_kernelINS0_14default_configENS1_27scan_by_key_config_selectorIiiEEZZNS1_16scan_by_key_implILNS1_25lookback_scan_determinismE0ELb1ES3_N6thrust23THRUST_200600_302600_NS6detail15normal_iteratorINS9_10device_ptrIiEEEESE_SE_iNS9_10multipliesIiEENS9_8equal_toIiEEiEE10hipError_tPvRmT2_T3_T4_T5_mT6_T7_P12ihipStream_tbENKUlT_T0_E_clISt17integral_constantIbLb0EESY_IbLb1EEEEDaSU_SV_EUlSU_E_NS1_11comp_targetILNS1_3genE10ELNS1_11target_archE1200ELNS1_3gpuE4ELNS1_3repE0EEENS1_30default_config_static_selectorELNS0_4arch9wavefront6targetE1EEEvT1_,"axG",@progbits,_ZN7rocprim17ROCPRIM_400000_NS6detail17trampoline_kernelINS0_14default_configENS1_27scan_by_key_config_selectorIiiEEZZNS1_16scan_by_key_implILNS1_25lookback_scan_determinismE0ELb1ES3_N6thrust23THRUST_200600_302600_NS6detail15normal_iteratorINS9_10device_ptrIiEEEESE_SE_iNS9_10multipliesIiEENS9_8equal_toIiEEiEE10hipError_tPvRmT2_T3_T4_T5_mT6_T7_P12ihipStream_tbENKUlT_T0_E_clISt17integral_constantIbLb0EESY_IbLb1EEEEDaSU_SV_EUlSU_E_NS1_11comp_targetILNS1_3genE10ELNS1_11target_archE1200ELNS1_3gpuE4ELNS1_3repE0EEENS1_30default_config_static_selectorELNS0_4arch9wavefront6targetE1EEEvT1_,comdat
.Lfunc_end530:
	.size	_ZN7rocprim17ROCPRIM_400000_NS6detail17trampoline_kernelINS0_14default_configENS1_27scan_by_key_config_selectorIiiEEZZNS1_16scan_by_key_implILNS1_25lookback_scan_determinismE0ELb1ES3_N6thrust23THRUST_200600_302600_NS6detail15normal_iteratorINS9_10device_ptrIiEEEESE_SE_iNS9_10multipliesIiEENS9_8equal_toIiEEiEE10hipError_tPvRmT2_T3_T4_T5_mT6_T7_P12ihipStream_tbENKUlT_T0_E_clISt17integral_constantIbLb0EESY_IbLb1EEEEDaSU_SV_EUlSU_E_NS1_11comp_targetILNS1_3genE10ELNS1_11target_archE1200ELNS1_3gpuE4ELNS1_3repE0EEENS1_30default_config_static_selectorELNS0_4arch9wavefront6targetE1EEEvT1_, .Lfunc_end530-_ZN7rocprim17ROCPRIM_400000_NS6detail17trampoline_kernelINS0_14default_configENS1_27scan_by_key_config_selectorIiiEEZZNS1_16scan_by_key_implILNS1_25lookback_scan_determinismE0ELb1ES3_N6thrust23THRUST_200600_302600_NS6detail15normal_iteratorINS9_10device_ptrIiEEEESE_SE_iNS9_10multipliesIiEENS9_8equal_toIiEEiEE10hipError_tPvRmT2_T3_T4_T5_mT6_T7_P12ihipStream_tbENKUlT_T0_E_clISt17integral_constantIbLb0EESY_IbLb1EEEEDaSU_SV_EUlSU_E_NS1_11comp_targetILNS1_3genE10ELNS1_11target_archE1200ELNS1_3gpuE4ELNS1_3repE0EEENS1_30default_config_static_selectorELNS0_4arch9wavefront6targetE1EEEvT1_
                                        ; -- End function
	.section	.AMDGPU.csdata,"",@progbits
; Kernel info:
; codeLenInByte = 0
; NumSgprs: 4
; NumVgprs: 0
; NumAgprs: 0
; TotalNumVgprs: 0
; ScratchSize: 0
; MemoryBound: 0
; FloatMode: 240
; IeeeMode: 1
; LDSByteSize: 0 bytes/workgroup (compile time only)
; SGPRBlocks: 0
; VGPRBlocks: 0
; NumSGPRsForWavesPerEU: 4
; NumVGPRsForWavesPerEU: 1
; AccumOffset: 4
; Occupancy: 8
; WaveLimiterHint : 0
; COMPUTE_PGM_RSRC2:SCRATCH_EN: 0
; COMPUTE_PGM_RSRC2:USER_SGPR: 6
; COMPUTE_PGM_RSRC2:TRAP_HANDLER: 0
; COMPUTE_PGM_RSRC2:TGID_X_EN: 1
; COMPUTE_PGM_RSRC2:TGID_Y_EN: 0
; COMPUTE_PGM_RSRC2:TGID_Z_EN: 0
; COMPUTE_PGM_RSRC2:TIDIG_COMP_CNT: 0
; COMPUTE_PGM_RSRC3_GFX90A:ACCUM_OFFSET: 0
; COMPUTE_PGM_RSRC3_GFX90A:TG_SPLIT: 0
	.section	.text._ZN7rocprim17ROCPRIM_400000_NS6detail17trampoline_kernelINS0_14default_configENS1_27scan_by_key_config_selectorIiiEEZZNS1_16scan_by_key_implILNS1_25lookback_scan_determinismE0ELb1ES3_N6thrust23THRUST_200600_302600_NS6detail15normal_iteratorINS9_10device_ptrIiEEEESE_SE_iNS9_10multipliesIiEENS9_8equal_toIiEEiEE10hipError_tPvRmT2_T3_T4_T5_mT6_T7_P12ihipStream_tbENKUlT_T0_E_clISt17integral_constantIbLb0EESY_IbLb1EEEEDaSU_SV_EUlSU_E_NS1_11comp_targetILNS1_3genE9ELNS1_11target_archE1100ELNS1_3gpuE3ELNS1_3repE0EEENS1_30default_config_static_selectorELNS0_4arch9wavefront6targetE1EEEvT1_,"axG",@progbits,_ZN7rocprim17ROCPRIM_400000_NS6detail17trampoline_kernelINS0_14default_configENS1_27scan_by_key_config_selectorIiiEEZZNS1_16scan_by_key_implILNS1_25lookback_scan_determinismE0ELb1ES3_N6thrust23THRUST_200600_302600_NS6detail15normal_iteratorINS9_10device_ptrIiEEEESE_SE_iNS9_10multipliesIiEENS9_8equal_toIiEEiEE10hipError_tPvRmT2_T3_T4_T5_mT6_T7_P12ihipStream_tbENKUlT_T0_E_clISt17integral_constantIbLb0EESY_IbLb1EEEEDaSU_SV_EUlSU_E_NS1_11comp_targetILNS1_3genE9ELNS1_11target_archE1100ELNS1_3gpuE3ELNS1_3repE0EEENS1_30default_config_static_selectorELNS0_4arch9wavefront6targetE1EEEvT1_,comdat
	.protected	_ZN7rocprim17ROCPRIM_400000_NS6detail17trampoline_kernelINS0_14default_configENS1_27scan_by_key_config_selectorIiiEEZZNS1_16scan_by_key_implILNS1_25lookback_scan_determinismE0ELb1ES3_N6thrust23THRUST_200600_302600_NS6detail15normal_iteratorINS9_10device_ptrIiEEEESE_SE_iNS9_10multipliesIiEENS9_8equal_toIiEEiEE10hipError_tPvRmT2_T3_T4_T5_mT6_T7_P12ihipStream_tbENKUlT_T0_E_clISt17integral_constantIbLb0EESY_IbLb1EEEEDaSU_SV_EUlSU_E_NS1_11comp_targetILNS1_3genE9ELNS1_11target_archE1100ELNS1_3gpuE3ELNS1_3repE0EEENS1_30default_config_static_selectorELNS0_4arch9wavefront6targetE1EEEvT1_ ; -- Begin function _ZN7rocprim17ROCPRIM_400000_NS6detail17trampoline_kernelINS0_14default_configENS1_27scan_by_key_config_selectorIiiEEZZNS1_16scan_by_key_implILNS1_25lookback_scan_determinismE0ELb1ES3_N6thrust23THRUST_200600_302600_NS6detail15normal_iteratorINS9_10device_ptrIiEEEESE_SE_iNS9_10multipliesIiEENS9_8equal_toIiEEiEE10hipError_tPvRmT2_T3_T4_T5_mT6_T7_P12ihipStream_tbENKUlT_T0_E_clISt17integral_constantIbLb0EESY_IbLb1EEEEDaSU_SV_EUlSU_E_NS1_11comp_targetILNS1_3genE9ELNS1_11target_archE1100ELNS1_3gpuE3ELNS1_3repE0EEENS1_30default_config_static_selectorELNS0_4arch9wavefront6targetE1EEEvT1_
	.globl	_ZN7rocprim17ROCPRIM_400000_NS6detail17trampoline_kernelINS0_14default_configENS1_27scan_by_key_config_selectorIiiEEZZNS1_16scan_by_key_implILNS1_25lookback_scan_determinismE0ELb1ES3_N6thrust23THRUST_200600_302600_NS6detail15normal_iteratorINS9_10device_ptrIiEEEESE_SE_iNS9_10multipliesIiEENS9_8equal_toIiEEiEE10hipError_tPvRmT2_T3_T4_T5_mT6_T7_P12ihipStream_tbENKUlT_T0_E_clISt17integral_constantIbLb0EESY_IbLb1EEEEDaSU_SV_EUlSU_E_NS1_11comp_targetILNS1_3genE9ELNS1_11target_archE1100ELNS1_3gpuE3ELNS1_3repE0EEENS1_30default_config_static_selectorELNS0_4arch9wavefront6targetE1EEEvT1_
	.p2align	8
	.type	_ZN7rocprim17ROCPRIM_400000_NS6detail17trampoline_kernelINS0_14default_configENS1_27scan_by_key_config_selectorIiiEEZZNS1_16scan_by_key_implILNS1_25lookback_scan_determinismE0ELb1ES3_N6thrust23THRUST_200600_302600_NS6detail15normal_iteratorINS9_10device_ptrIiEEEESE_SE_iNS9_10multipliesIiEENS9_8equal_toIiEEiEE10hipError_tPvRmT2_T3_T4_T5_mT6_T7_P12ihipStream_tbENKUlT_T0_E_clISt17integral_constantIbLb0EESY_IbLb1EEEEDaSU_SV_EUlSU_E_NS1_11comp_targetILNS1_3genE9ELNS1_11target_archE1100ELNS1_3gpuE3ELNS1_3repE0EEENS1_30default_config_static_selectorELNS0_4arch9wavefront6targetE1EEEvT1_,@function
_ZN7rocprim17ROCPRIM_400000_NS6detail17trampoline_kernelINS0_14default_configENS1_27scan_by_key_config_selectorIiiEEZZNS1_16scan_by_key_implILNS1_25lookback_scan_determinismE0ELb1ES3_N6thrust23THRUST_200600_302600_NS6detail15normal_iteratorINS9_10device_ptrIiEEEESE_SE_iNS9_10multipliesIiEENS9_8equal_toIiEEiEE10hipError_tPvRmT2_T3_T4_T5_mT6_T7_P12ihipStream_tbENKUlT_T0_E_clISt17integral_constantIbLb0EESY_IbLb1EEEEDaSU_SV_EUlSU_E_NS1_11comp_targetILNS1_3genE9ELNS1_11target_archE1100ELNS1_3gpuE3ELNS1_3repE0EEENS1_30default_config_static_selectorELNS0_4arch9wavefront6targetE1EEEvT1_: ; @_ZN7rocprim17ROCPRIM_400000_NS6detail17trampoline_kernelINS0_14default_configENS1_27scan_by_key_config_selectorIiiEEZZNS1_16scan_by_key_implILNS1_25lookback_scan_determinismE0ELb1ES3_N6thrust23THRUST_200600_302600_NS6detail15normal_iteratorINS9_10device_ptrIiEEEESE_SE_iNS9_10multipliesIiEENS9_8equal_toIiEEiEE10hipError_tPvRmT2_T3_T4_T5_mT6_T7_P12ihipStream_tbENKUlT_T0_E_clISt17integral_constantIbLb0EESY_IbLb1EEEEDaSU_SV_EUlSU_E_NS1_11comp_targetILNS1_3genE9ELNS1_11target_archE1100ELNS1_3gpuE3ELNS1_3repE0EEENS1_30default_config_static_selectorELNS0_4arch9wavefront6targetE1EEEvT1_
; %bb.0:
	.section	.rodata,"a",@progbits
	.p2align	6, 0x0
	.amdhsa_kernel _ZN7rocprim17ROCPRIM_400000_NS6detail17trampoline_kernelINS0_14default_configENS1_27scan_by_key_config_selectorIiiEEZZNS1_16scan_by_key_implILNS1_25lookback_scan_determinismE0ELb1ES3_N6thrust23THRUST_200600_302600_NS6detail15normal_iteratorINS9_10device_ptrIiEEEESE_SE_iNS9_10multipliesIiEENS9_8equal_toIiEEiEE10hipError_tPvRmT2_T3_T4_T5_mT6_T7_P12ihipStream_tbENKUlT_T0_E_clISt17integral_constantIbLb0EESY_IbLb1EEEEDaSU_SV_EUlSU_E_NS1_11comp_targetILNS1_3genE9ELNS1_11target_archE1100ELNS1_3gpuE3ELNS1_3repE0EEENS1_30default_config_static_selectorELNS0_4arch9wavefront6targetE1EEEvT1_
		.amdhsa_group_segment_fixed_size 0
		.amdhsa_private_segment_fixed_size 0
		.amdhsa_kernarg_size 112
		.amdhsa_user_sgpr_count 6
		.amdhsa_user_sgpr_private_segment_buffer 1
		.amdhsa_user_sgpr_dispatch_ptr 0
		.amdhsa_user_sgpr_queue_ptr 0
		.amdhsa_user_sgpr_kernarg_segment_ptr 1
		.amdhsa_user_sgpr_dispatch_id 0
		.amdhsa_user_sgpr_flat_scratch_init 0
		.amdhsa_user_sgpr_kernarg_preload_length 0
		.amdhsa_user_sgpr_kernarg_preload_offset 0
		.amdhsa_user_sgpr_private_segment_size 0
		.amdhsa_uses_dynamic_stack 0
		.amdhsa_system_sgpr_private_segment_wavefront_offset 0
		.amdhsa_system_sgpr_workgroup_id_x 1
		.amdhsa_system_sgpr_workgroup_id_y 0
		.amdhsa_system_sgpr_workgroup_id_z 0
		.amdhsa_system_sgpr_workgroup_info 0
		.amdhsa_system_vgpr_workitem_id 0
		.amdhsa_next_free_vgpr 1
		.amdhsa_next_free_sgpr 0
		.amdhsa_accum_offset 4
		.amdhsa_reserve_vcc 0
		.amdhsa_reserve_flat_scratch 0
		.amdhsa_float_round_mode_32 0
		.amdhsa_float_round_mode_16_64 0
		.amdhsa_float_denorm_mode_32 3
		.amdhsa_float_denorm_mode_16_64 3
		.amdhsa_dx10_clamp 1
		.amdhsa_ieee_mode 1
		.amdhsa_fp16_overflow 0
		.amdhsa_tg_split 0
		.amdhsa_exception_fp_ieee_invalid_op 0
		.amdhsa_exception_fp_denorm_src 0
		.amdhsa_exception_fp_ieee_div_zero 0
		.amdhsa_exception_fp_ieee_overflow 0
		.amdhsa_exception_fp_ieee_underflow 0
		.amdhsa_exception_fp_ieee_inexact 0
		.amdhsa_exception_int_div_zero 0
	.end_amdhsa_kernel
	.section	.text._ZN7rocprim17ROCPRIM_400000_NS6detail17trampoline_kernelINS0_14default_configENS1_27scan_by_key_config_selectorIiiEEZZNS1_16scan_by_key_implILNS1_25lookback_scan_determinismE0ELb1ES3_N6thrust23THRUST_200600_302600_NS6detail15normal_iteratorINS9_10device_ptrIiEEEESE_SE_iNS9_10multipliesIiEENS9_8equal_toIiEEiEE10hipError_tPvRmT2_T3_T4_T5_mT6_T7_P12ihipStream_tbENKUlT_T0_E_clISt17integral_constantIbLb0EESY_IbLb1EEEEDaSU_SV_EUlSU_E_NS1_11comp_targetILNS1_3genE9ELNS1_11target_archE1100ELNS1_3gpuE3ELNS1_3repE0EEENS1_30default_config_static_selectorELNS0_4arch9wavefront6targetE1EEEvT1_,"axG",@progbits,_ZN7rocprim17ROCPRIM_400000_NS6detail17trampoline_kernelINS0_14default_configENS1_27scan_by_key_config_selectorIiiEEZZNS1_16scan_by_key_implILNS1_25lookback_scan_determinismE0ELb1ES3_N6thrust23THRUST_200600_302600_NS6detail15normal_iteratorINS9_10device_ptrIiEEEESE_SE_iNS9_10multipliesIiEENS9_8equal_toIiEEiEE10hipError_tPvRmT2_T3_T4_T5_mT6_T7_P12ihipStream_tbENKUlT_T0_E_clISt17integral_constantIbLb0EESY_IbLb1EEEEDaSU_SV_EUlSU_E_NS1_11comp_targetILNS1_3genE9ELNS1_11target_archE1100ELNS1_3gpuE3ELNS1_3repE0EEENS1_30default_config_static_selectorELNS0_4arch9wavefront6targetE1EEEvT1_,comdat
.Lfunc_end531:
	.size	_ZN7rocprim17ROCPRIM_400000_NS6detail17trampoline_kernelINS0_14default_configENS1_27scan_by_key_config_selectorIiiEEZZNS1_16scan_by_key_implILNS1_25lookback_scan_determinismE0ELb1ES3_N6thrust23THRUST_200600_302600_NS6detail15normal_iteratorINS9_10device_ptrIiEEEESE_SE_iNS9_10multipliesIiEENS9_8equal_toIiEEiEE10hipError_tPvRmT2_T3_T4_T5_mT6_T7_P12ihipStream_tbENKUlT_T0_E_clISt17integral_constantIbLb0EESY_IbLb1EEEEDaSU_SV_EUlSU_E_NS1_11comp_targetILNS1_3genE9ELNS1_11target_archE1100ELNS1_3gpuE3ELNS1_3repE0EEENS1_30default_config_static_selectorELNS0_4arch9wavefront6targetE1EEEvT1_, .Lfunc_end531-_ZN7rocprim17ROCPRIM_400000_NS6detail17trampoline_kernelINS0_14default_configENS1_27scan_by_key_config_selectorIiiEEZZNS1_16scan_by_key_implILNS1_25lookback_scan_determinismE0ELb1ES3_N6thrust23THRUST_200600_302600_NS6detail15normal_iteratorINS9_10device_ptrIiEEEESE_SE_iNS9_10multipliesIiEENS9_8equal_toIiEEiEE10hipError_tPvRmT2_T3_T4_T5_mT6_T7_P12ihipStream_tbENKUlT_T0_E_clISt17integral_constantIbLb0EESY_IbLb1EEEEDaSU_SV_EUlSU_E_NS1_11comp_targetILNS1_3genE9ELNS1_11target_archE1100ELNS1_3gpuE3ELNS1_3repE0EEENS1_30default_config_static_selectorELNS0_4arch9wavefront6targetE1EEEvT1_
                                        ; -- End function
	.section	.AMDGPU.csdata,"",@progbits
; Kernel info:
; codeLenInByte = 0
; NumSgprs: 4
; NumVgprs: 0
; NumAgprs: 0
; TotalNumVgprs: 0
; ScratchSize: 0
; MemoryBound: 0
; FloatMode: 240
; IeeeMode: 1
; LDSByteSize: 0 bytes/workgroup (compile time only)
; SGPRBlocks: 0
; VGPRBlocks: 0
; NumSGPRsForWavesPerEU: 4
; NumVGPRsForWavesPerEU: 1
; AccumOffset: 4
; Occupancy: 8
; WaveLimiterHint : 0
; COMPUTE_PGM_RSRC2:SCRATCH_EN: 0
; COMPUTE_PGM_RSRC2:USER_SGPR: 6
; COMPUTE_PGM_RSRC2:TRAP_HANDLER: 0
; COMPUTE_PGM_RSRC2:TGID_X_EN: 1
; COMPUTE_PGM_RSRC2:TGID_Y_EN: 0
; COMPUTE_PGM_RSRC2:TGID_Z_EN: 0
; COMPUTE_PGM_RSRC2:TIDIG_COMP_CNT: 0
; COMPUTE_PGM_RSRC3_GFX90A:ACCUM_OFFSET: 0
; COMPUTE_PGM_RSRC3_GFX90A:TG_SPLIT: 0
	.section	.text._ZN7rocprim17ROCPRIM_400000_NS6detail17trampoline_kernelINS0_14default_configENS1_27scan_by_key_config_selectorIiiEEZZNS1_16scan_by_key_implILNS1_25lookback_scan_determinismE0ELb1ES3_N6thrust23THRUST_200600_302600_NS6detail15normal_iteratorINS9_10device_ptrIiEEEESE_SE_iNS9_10multipliesIiEENS9_8equal_toIiEEiEE10hipError_tPvRmT2_T3_T4_T5_mT6_T7_P12ihipStream_tbENKUlT_T0_E_clISt17integral_constantIbLb0EESY_IbLb1EEEEDaSU_SV_EUlSU_E_NS1_11comp_targetILNS1_3genE8ELNS1_11target_archE1030ELNS1_3gpuE2ELNS1_3repE0EEENS1_30default_config_static_selectorELNS0_4arch9wavefront6targetE1EEEvT1_,"axG",@progbits,_ZN7rocprim17ROCPRIM_400000_NS6detail17trampoline_kernelINS0_14default_configENS1_27scan_by_key_config_selectorIiiEEZZNS1_16scan_by_key_implILNS1_25lookback_scan_determinismE0ELb1ES3_N6thrust23THRUST_200600_302600_NS6detail15normal_iteratorINS9_10device_ptrIiEEEESE_SE_iNS9_10multipliesIiEENS9_8equal_toIiEEiEE10hipError_tPvRmT2_T3_T4_T5_mT6_T7_P12ihipStream_tbENKUlT_T0_E_clISt17integral_constantIbLb0EESY_IbLb1EEEEDaSU_SV_EUlSU_E_NS1_11comp_targetILNS1_3genE8ELNS1_11target_archE1030ELNS1_3gpuE2ELNS1_3repE0EEENS1_30default_config_static_selectorELNS0_4arch9wavefront6targetE1EEEvT1_,comdat
	.protected	_ZN7rocprim17ROCPRIM_400000_NS6detail17trampoline_kernelINS0_14default_configENS1_27scan_by_key_config_selectorIiiEEZZNS1_16scan_by_key_implILNS1_25lookback_scan_determinismE0ELb1ES3_N6thrust23THRUST_200600_302600_NS6detail15normal_iteratorINS9_10device_ptrIiEEEESE_SE_iNS9_10multipliesIiEENS9_8equal_toIiEEiEE10hipError_tPvRmT2_T3_T4_T5_mT6_T7_P12ihipStream_tbENKUlT_T0_E_clISt17integral_constantIbLb0EESY_IbLb1EEEEDaSU_SV_EUlSU_E_NS1_11comp_targetILNS1_3genE8ELNS1_11target_archE1030ELNS1_3gpuE2ELNS1_3repE0EEENS1_30default_config_static_selectorELNS0_4arch9wavefront6targetE1EEEvT1_ ; -- Begin function _ZN7rocprim17ROCPRIM_400000_NS6detail17trampoline_kernelINS0_14default_configENS1_27scan_by_key_config_selectorIiiEEZZNS1_16scan_by_key_implILNS1_25lookback_scan_determinismE0ELb1ES3_N6thrust23THRUST_200600_302600_NS6detail15normal_iteratorINS9_10device_ptrIiEEEESE_SE_iNS9_10multipliesIiEENS9_8equal_toIiEEiEE10hipError_tPvRmT2_T3_T4_T5_mT6_T7_P12ihipStream_tbENKUlT_T0_E_clISt17integral_constantIbLb0EESY_IbLb1EEEEDaSU_SV_EUlSU_E_NS1_11comp_targetILNS1_3genE8ELNS1_11target_archE1030ELNS1_3gpuE2ELNS1_3repE0EEENS1_30default_config_static_selectorELNS0_4arch9wavefront6targetE1EEEvT1_
	.globl	_ZN7rocprim17ROCPRIM_400000_NS6detail17trampoline_kernelINS0_14default_configENS1_27scan_by_key_config_selectorIiiEEZZNS1_16scan_by_key_implILNS1_25lookback_scan_determinismE0ELb1ES3_N6thrust23THRUST_200600_302600_NS6detail15normal_iteratorINS9_10device_ptrIiEEEESE_SE_iNS9_10multipliesIiEENS9_8equal_toIiEEiEE10hipError_tPvRmT2_T3_T4_T5_mT6_T7_P12ihipStream_tbENKUlT_T0_E_clISt17integral_constantIbLb0EESY_IbLb1EEEEDaSU_SV_EUlSU_E_NS1_11comp_targetILNS1_3genE8ELNS1_11target_archE1030ELNS1_3gpuE2ELNS1_3repE0EEENS1_30default_config_static_selectorELNS0_4arch9wavefront6targetE1EEEvT1_
	.p2align	8
	.type	_ZN7rocprim17ROCPRIM_400000_NS6detail17trampoline_kernelINS0_14default_configENS1_27scan_by_key_config_selectorIiiEEZZNS1_16scan_by_key_implILNS1_25lookback_scan_determinismE0ELb1ES3_N6thrust23THRUST_200600_302600_NS6detail15normal_iteratorINS9_10device_ptrIiEEEESE_SE_iNS9_10multipliesIiEENS9_8equal_toIiEEiEE10hipError_tPvRmT2_T3_T4_T5_mT6_T7_P12ihipStream_tbENKUlT_T0_E_clISt17integral_constantIbLb0EESY_IbLb1EEEEDaSU_SV_EUlSU_E_NS1_11comp_targetILNS1_3genE8ELNS1_11target_archE1030ELNS1_3gpuE2ELNS1_3repE0EEENS1_30default_config_static_selectorELNS0_4arch9wavefront6targetE1EEEvT1_,@function
_ZN7rocprim17ROCPRIM_400000_NS6detail17trampoline_kernelINS0_14default_configENS1_27scan_by_key_config_selectorIiiEEZZNS1_16scan_by_key_implILNS1_25lookback_scan_determinismE0ELb1ES3_N6thrust23THRUST_200600_302600_NS6detail15normal_iteratorINS9_10device_ptrIiEEEESE_SE_iNS9_10multipliesIiEENS9_8equal_toIiEEiEE10hipError_tPvRmT2_T3_T4_T5_mT6_T7_P12ihipStream_tbENKUlT_T0_E_clISt17integral_constantIbLb0EESY_IbLb1EEEEDaSU_SV_EUlSU_E_NS1_11comp_targetILNS1_3genE8ELNS1_11target_archE1030ELNS1_3gpuE2ELNS1_3repE0EEENS1_30default_config_static_selectorELNS0_4arch9wavefront6targetE1EEEvT1_: ; @_ZN7rocprim17ROCPRIM_400000_NS6detail17trampoline_kernelINS0_14default_configENS1_27scan_by_key_config_selectorIiiEEZZNS1_16scan_by_key_implILNS1_25lookback_scan_determinismE0ELb1ES3_N6thrust23THRUST_200600_302600_NS6detail15normal_iteratorINS9_10device_ptrIiEEEESE_SE_iNS9_10multipliesIiEENS9_8equal_toIiEEiEE10hipError_tPvRmT2_T3_T4_T5_mT6_T7_P12ihipStream_tbENKUlT_T0_E_clISt17integral_constantIbLb0EESY_IbLb1EEEEDaSU_SV_EUlSU_E_NS1_11comp_targetILNS1_3genE8ELNS1_11target_archE1030ELNS1_3gpuE2ELNS1_3repE0EEENS1_30default_config_static_selectorELNS0_4arch9wavefront6targetE1EEEvT1_
; %bb.0:
	.section	.rodata,"a",@progbits
	.p2align	6, 0x0
	.amdhsa_kernel _ZN7rocprim17ROCPRIM_400000_NS6detail17trampoline_kernelINS0_14default_configENS1_27scan_by_key_config_selectorIiiEEZZNS1_16scan_by_key_implILNS1_25lookback_scan_determinismE0ELb1ES3_N6thrust23THRUST_200600_302600_NS6detail15normal_iteratorINS9_10device_ptrIiEEEESE_SE_iNS9_10multipliesIiEENS9_8equal_toIiEEiEE10hipError_tPvRmT2_T3_T4_T5_mT6_T7_P12ihipStream_tbENKUlT_T0_E_clISt17integral_constantIbLb0EESY_IbLb1EEEEDaSU_SV_EUlSU_E_NS1_11comp_targetILNS1_3genE8ELNS1_11target_archE1030ELNS1_3gpuE2ELNS1_3repE0EEENS1_30default_config_static_selectorELNS0_4arch9wavefront6targetE1EEEvT1_
		.amdhsa_group_segment_fixed_size 0
		.amdhsa_private_segment_fixed_size 0
		.amdhsa_kernarg_size 112
		.amdhsa_user_sgpr_count 6
		.amdhsa_user_sgpr_private_segment_buffer 1
		.amdhsa_user_sgpr_dispatch_ptr 0
		.amdhsa_user_sgpr_queue_ptr 0
		.amdhsa_user_sgpr_kernarg_segment_ptr 1
		.amdhsa_user_sgpr_dispatch_id 0
		.amdhsa_user_sgpr_flat_scratch_init 0
		.amdhsa_user_sgpr_kernarg_preload_length 0
		.amdhsa_user_sgpr_kernarg_preload_offset 0
		.amdhsa_user_sgpr_private_segment_size 0
		.amdhsa_uses_dynamic_stack 0
		.amdhsa_system_sgpr_private_segment_wavefront_offset 0
		.amdhsa_system_sgpr_workgroup_id_x 1
		.amdhsa_system_sgpr_workgroup_id_y 0
		.amdhsa_system_sgpr_workgroup_id_z 0
		.amdhsa_system_sgpr_workgroup_info 0
		.amdhsa_system_vgpr_workitem_id 0
		.amdhsa_next_free_vgpr 1
		.amdhsa_next_free_sgpr 0
		.amdhsa_accum_offset 4
		.amdhsa_reserve_vcc 0
		.amdhsa_reserve_flat_scratch 0
		.amdhsa_float_round_mode_32 0
		.amdhsa_float_round_mode_16_64 0
		.amdhsa_float_denorm_mode_32 3
		.amdhsa_float_denorm_mode_16_64 3
		.amdhsa_dx10_clamp 1
		.amdhsa_ieee_mode 1
		.amdhsa_fp16_overflow 0
		.amdhsa_tg_split 0
		.amdhsa_exception_fp_ieee_invalid_op 0
		.amdhsa_exception_fp_denorm_src 0
		.amdhsa_exception_fp_ieee_div_zero 0
		.amdhsa_exception_fp_ieee_overflow 0
		.amdhsa_exception_fp_ieee_underflow 0
		.amdhsa_exception_fp_ieee_inexact 0
		.amdhsa_exception_int_div_zero 0
	.end_amdhsa_kernel
	.section	.text._ZN7rocprim17ROCPRIM_400000_NS6detail17trampoline_kernelINS0_14default_configENS1_27scan_by_key_config_selectorIiiEEZZNS1_16scan_by_key_implILNS1_25lookback_scan_determinismE0ELb1ES3_N6thrust23THRUST_200600_302600_NS6detail15normal_iteratorINS9_10device_ptrIiEEEESE_SE_iNS9_10multipliesIiEENS9_8equal_toIiEEiEE10hipError_tPvRmT2_T3_T4_T5_mT6_T7_P12ihipStream_tbENKUlT_T0_E_clISt17integral_constantIbLb0EESY_IbLb1EEEEDaSU_SV_EUlSU_E_NS1_11comp_targetILNS1_3genE8ELNS1_11target_archE1030ELNS1_3gpuE2ELNS1_3repE0EEENS1_30default_config_static_selectorELNS0_4arch9wavefront6targetE1EEEvT1_,"axG",@progbits,_ZN7rocprim17ROCPRIM_400000_NS6detail17trampoline_kernelINS0_14default_configENS1_27scan_by_key_config_selectorIiiEEZZNS1_16scan_by_key_implILNS1_25lookback_scan_determinismE0ELb1ES3_N6thrust23THRUST_200600_302600_NS6detail15normal_iteratorINS9_10device_ptrIiEEEESE_SE_iNS9_10multipliesIiEENS9_8equal_toIiEEiEE10hipError_tPvRmT2_T3_T4_T5_mT6_T7_P12ihipStream_tbENKUlT_T0_E_clISt17integral_constantIbLb0EESY_IbLb1EEEEDaSU_SV_EUlSU_E_NS1_11comp_targetILNS1_3genE8ELNS1_11target_archE1030ELNS1_3gpuE2ELNS1_3repE0EEENS1_30default_config_static_selectorELNS0_4arch9wavefront6targetE1EEEvT1_,comdat
.Lfunc_end532:
	.size	_ZN7rocprim17ROCPRIM_400000_NS6detail17trampoline_kernelINS0_14default_configENS1_27scan_by_key_config_selectorIiiEEZZNS1_16scan_by_key_implILNS1_25lookback_scan_determinismE0ELb1ES3_N6thrust23THRUST_200600_302600_NS6detail15normal_iteratorINS9_10device_ptrIiEEEESE_SE_iNS9_10multipliesIiEENS9_8equal_toIiEEiEE10hipError_tPvRmT2_T3_T4_T5_mT6_T7_P12ihipStream_tbENKUlT_T0_E_clISt17integral_constantIbLb0EESY_IbLb1EEEEDaSU_SV_EUlSU_E_NS1_11comp_targetILNS1_3genE8ELNS1_11target_archE1030ELNS1_3gpuE2ELNS1_3repE0EEENS1_30default_config_static_selectorELNS0_4arch9wavefront6targetE1EEEvT1_, .Lfunc_end532-_ZN7rocprim17ROCPRIM_400000_NS6detail17trampoline_kernelINS0_14default_configENS1_27scan_by_key_config_selectorIiiEEZZNS1_16scan_by_key_implILNS1_25lookback_scan_determinismE0ELb1ES3_N6thrust23THRUST_200600_302600_NS6detail15normal_iteratorINS9_10device_ptrIiEEEESE_SE_iNS9_10multipliesIiEENS9_8equal_toIiEEiEE10hipError_tPvRmT2_T3_T4_T5_mT6_T7_P12ihipStream_tbENKUlT_T0_E_clISt17integral_constantIbLb0EESY_IbLb1EEEEDaSU_SV_EUlSU_E_NS1_11comp_targetILNS1_3genE8ELNS1_11target_archE1030ELNS1_3gpuE2ELNS1_3repE0EEENS1_30default_config_static_selectorELNS0_4arch9wavefront6targetE1EEEvT1_
                                        ; -- End function
	.section	.AMDGPU.csdata,"",@progbits
; Kernel info:
; codeLenInByte = 0
; NumSgprs: 4
; NumVgprs: 0
; NumAgprs: 0
; TotalNumVgprs: 0
; ScratchSize: 0
; MemoryBound: 0
; FloatMode: 240
; IeeeMode: 1
; LDSByteSize: 0 bytes/workgroup (compile time only)
; SGPRBlocks: 0
; VGPRBlocks: 0
; NumSGPRsForWavesPerEU: 4
; NumVGPRsForWavesPerEU: 1
; AccumOffset: 4
; Occupancy: 8
; WaveLimiterHint : 0
; COMPUTE_PGM_RSRC2:SCRATCH_EN: 0
; COMPUTE_PGM_RSRC2:USER_SGPR: 6
; COMPUTE_PGM_RSRC2:TRAP_HANDLER: 0
; COMPUTE_PGM_RSRC2:TGID_X_EN: 1
; COMPUTE_PGM_RSRC2:TGID_Y_EN: 0
; COMPUTE_PGM_RSRC2:TGID_Z_EN: 0
; COMPUTE_PGM_RSRC2:TIDIG_COMP_CNT: 0
; COMPUTE_PGM_RSRC3_GFX90A:ACCUM_OFFSET: 0
; COMPUTE_PGM_RSRC3_GFX90A:TG_SPLIT: 0
	.section	.text._ZN7rocprim17ROCPRIM_400000_NS6detail17trampoline_kernelINS0_14default_configENS1_27scan_by_key_config_selectorIiiEEZZNS1_16scan_by_key_implILNS1_25lookback_scan_determinismE0ELb1ES3_N6thrust23THRUST_200600_302600_NS6detail15normal_iteratorINS9_10device_ptrIiEEEESE_SE_iNS9_4plusIvEENS9_8equal_toIiEEiEE10hipError_tPvRmT2_T3_T4_T5_mT6_T7_P12ihipStream_tbENKUlT_T0_E_clISt17integral_constantIbLb0EESZ_EEDaSU_SV_EUlSU_E_NS1_11comp_targetILNS1_3genE0ELNS1_11target_archE4294967295ELNS1_3gpuE0ELNS1_3repE0EEENS1_30default_config_static_selectorELNS0_4arch9wavefront6targetE1EEEvT1_,"axG",@progbits,_ZN7rocprim17ROCPRIM_400000_NS6detail17trampoline_kernelINS0_14default_configENS1_27scan_by_key_config_selectorIiiEEZZNS1_16scan_by_key_implILNS1_25lookback_scan_determinismE0ELb1ES3_N6thrust23THRUST_200600_302600_NS6detail15normal_iteratorINS9_10device_ptrIiEEEESE_SE_iNS9_4plusIvEENS9_8equal_toIiEEiEE10hipError_tPvRmT2_T3_T4_T5_mT6_T7_P12ihipStream_tbENKUlT_T0_E_clISt17integral_constantIbLb0EESZ_EEDaSU_SV_EUlSU_E_NS1_11comp_targetILNS1_3genE0ELNS1_11target_archE4294967295ELNS1_3gpuE0ELNS1_3repE0EEENS1_30default_config_static_selectorELNS0_4arch9wavefront6targetE1EEEvT1_,comdat
	.protected	_ZN7rocprim17ROCPRIM_400000_NS6detail17trampoline_kernelINS0_14default_configENS1_27scan_by_key_config_selectorIiiEEZZNS1_16scan_by_key_implILNS1_25lookback_scan_determinismE0ELb1ES3_N6thrust23THRUST_200600_302600_NS6detail15normal_iteratorINS9_10device_ptrIiEEEESE_SE_iNS9_4plusIvEENS9_8equal_toIiEEiEE10hipError_tPvRmT2_T3_T4_T5_mT6_T7_P12ihipStream_tbENKUlT_T0_E_clISt17integral_constantIbLb0EESZ_EEDaSU_SV_EUlSU_E_NS1_11comp_targetILNS1_3genE0ELNS1_11target_archE4294967295ELNS1_3gpuE0ELNS1_3repE0EEENS1_30default_config_static_selectorELNS0_4arch9wavefront6targetE1EEEvT1_ ; -- Begin function _ZN7rocprim17ROCPRIM_400000_NS6detail17trampoline_kernelINS0_14default_configENS1_27scan_by_key_config_selectorIiiEEZZNS1_16scan_by_key_implILNS1_25lookback_scan_determinismE0ELb1ES3_N6thrust23THRUST_200600_302600_NS6detail15normal_iteratorINS9_10device_ptrIiEEEESE_SE_iNS9_4plusIvEENS9_8equal_toIiEEiEE10hipError_tPvRmT2_T3_T4_T5_mT6_T7_P12ihipStream_tbENKUlT_T0_E_clISt17integral_constantIbLb0EESZ_EEDaSU_SV_EUlSU_E_NS1_11comp_targetILNS1_3genE0ELNS1_11target_archE4294967295ELNS1_3gpuE0ELNS1_3repE0EEENS1_30default_config_static_selectorELNS0_4arch9wavefront6targetE1EEEvT1_
	.globl	_ZN7rocprim17ROCPRIM_400000_NS6detail17trampoline_kernelINS0_14default_configENS1_27scan_by_key_config_selectorIiiEEZZNS1_16scan_by_key_implILNS1_25lookback_scan_determinismE0ELb1ES3_N6thrust23THRUST_200600_302600_NS6detail15normal_iteratorINS9_10device_ptrIiEEEESE_SE_iNS9_4plusIvEENS9_8equal_toIiEEiEE10hipError_tPvRmT2_T3_T4_T5_mT6_T7_P12ihipStream_tbENKUlT_T0_E_clISt17integral_constantIbLb0EESZ_EEDaSU_SV_EUlSU_E_NS1_11comp_targetILNS1_3genE0ELNS1_11target_archE4294967295ELNS1_3gpuE0ELNS1_3repE0EEENS1_30default_config_static_selectorELNS0_4arch9wavefront6targetE1EEEvT1_
	.p2align	8
	.type	_ZN7rocprim17ROCPRIM_400000_NS6detail17trampoline_kernelINS0_14default_configENS1_27scan_by_key_config_selectorIiiEEZZNS1_16scan_by_key_implILNS1_25lookback_scan_determinismE0ELb1ES3_N6thrust23THRUST_200600_302600_NS6detail15normal_iteratorINS9_10device_ptrIiEEEESE_SE_iNS9_4plusIvEENS9_8equal_toIiEEiEE10hipError_tPvRmT2_T3_T4_T5_mT6_T7_P12ihipStream_tbENKUlT_T0_E_clISt17integral_constantIbLb0EESZ_EEDaSU_SV_EUlSU_E_NS1_11comp_targetILNS1_3genE0ELNS1_11target_archE4294967295ELNS1_3gpuE0ELNS1_3repE0EEENS1_30default_config_static_selectorELNS0_4arch9wavefront6targetE1EEEvT1_,@function
_ZN7rocprim17ROCPRIM_400000_NS6detail17trampoline_kernelINS0_14default_configENS1_27scan_by_key_config_selectorIiiEEZZNS1_16scan_by_key_implILNS1_25lookback_scan_determinismE0ELb1ES3_N6thrust23THRUST_200600_302600_NS6detail15normal_iteratorINS9_10device_ptrIiEEEESE_SE_iNS9_4plusIvEENS9_8equal_toIiEEiEE10hipError_tPvRmT2_T3_T4_T5_mT6_T7_P12ihipStream_tbENKUlT_T0_E_clISt17integral_constantIbLb0EESZ_EEDaSU_SV_EUlSU_E_NS1_11comp_targetILNS1_3genE0ELNS1_11target_archE4294967295ELNS1_3gpuE0ELNS1_3repE0EEENS1_30default_config_static_selectorELNS0_4arch9wavefront6targetE1EEEvT1_: ; @_ZN7rocprim17ROCPRIM_400000_NS6detail17trampoline_kernelINS0_14default_configENS1_27scan_by_key_config_selectorIiiEEZZNS1_16scan_by_key_implILNS1_25lookback_scan_determinismE0ELb1ES3_N6thrust23THRUST_200600_302600_NS6detail15normal_iteratorINS9_10device_ptrIiEEEESE_SE_iNS9_4plusIvEENS9_8equal_toIiEEiEE10hipError_tPvRmT2_T3_T4_T5_mT6_T7_P12ihipStream_tbENKUlT_T0_E_clISt17integral_constantIbLb0EESZ_EEDaSU_SV_EUlSU_E_NS1_11comp_targetILNS1_3genE0ELNS1_11target_archE4294967295ELNS1_3gpuE0ELNS1_3repE0EEENS1_30default_config_static_selectorELNS0_4arch9wavefront6targetE1EEEvT1_
; %bb.0:
	.section	.rodata,"a",@progbits
	.p2align	6, 0x0
	.amdhsa_kernel _ZN7rocprim17ROCPRIM_400000_NS6detail17trampoline_kernelINS0_14default_configENS1_27scan_by_key_config_selectorIiiEEZZNS1_16scan_by_key_implILNS1_25lookback_scan_determinismE0ELb1ES3_N6thrust23THRUST_200600_302600_NS6detail15normal_iteratorINS9_10device_ptrIiEEEESE_SE_iNS9_4plusIvEENS9_8equal_toIiEEiEE10hipError_tPvRmT2_T3_T4_T5_mT6_T7_P12ihipStream_tbENKUlT_T0_E_clISt17integral_constantIbLb0EESZ_EEDaSU_SV_EUlSU_E_NS1_11comp_targetILNS1_3genE0ELNS1_11target_archE4294967295ELNS1_3gpuE0ELNS1_3repE0EEENS1_30default_config_static_selectorELNS0_4arch9wavefront6targetE1EEEvT1_
		.amdhsa_group_segment_fixed_size 0
		.amdhsa_private_segment_fixed_size 0
		.amdhsa_kernarg_size 112
		.amdhsa_user_sgpr_count 6
		.amdhsa_user_sgpr_private_segment_buffer 1
		.amdhsa_user_sgpr_dispatch_ptr 0
		.amdhsa_user_sgpr_queue_ptr 0
		.amdhsa_user_sgpr_kernarg_segment_ptr 1
		.amdhsa_user_sgpr_dispatch_id 0
		.amdhsa_user_sgpr_flat_scratch_init 0
		.amdhsa_user_sgpr_kernarg_preload_length 0
		.amdhsa_user_sgpr_kernarg_preload_offset 0
		.amdhsa_user_sgpr_private_segment_size 0
		.amdhsa_uses_dynamic_stack 0
		.amdhsa_system_sgpr_private_segment_wavefront_offset 0
		.amdhsa_system_sgpr_workgroup_id_x 1
		.amdhsa_system_sgpr_workgroup_id_y 0
		.amdhsa_system_sgpr_workgroup_id_z 0
		.amdhsa_system_sgpr_workgroup_info 0
		.amdhsa_system_vgpr_workitem_id 0
		.amdhsa_next_free_vgpr 1
		.amdhsa_next_free_sgpr 0
		.amdhsa_accum_offset 4
		.amdhsa_reserve_vcc 0
		.amdhsa_reserve_flat_scratch 0
		.amdhsa_float_round_mode_32 0
		.amdhsa_float_round_mode_16_64 0
		.amdhsa_float_denorm_mode_32 3
		.amdhsa_float_denorm_mode_16_64 3
		.amdhsa_dx10_clamp 1
		.amdhsa_ieee_mode 1
		.amdhsa_fp16_overflow 0
		.amdhsa_tg_split 0
		.amdhsa_exception_fp_ieee_invalid_op 0
		.amdhsa_exception_fp_denorm_src 0
		.amdhsa_exception_fp_ieee_div_zero 0
		.amdhsa_exception_fp_ieee_overflow 0
		.amdhsa_exception_fp_ieee_underflow 0
		.amdhsa_exception_fp_ieee_inexact 0
		.amdhsa_exception_int_div_zero 0
	.end_amdhsa_kernel
	.section	.text._ZN7rocprim17ROCPRIM_400000_NS6detail17trampoline_kernelINS0_14default_configENS1_27scan_by_key_config_selectorIiiEEZZNS1_16scan_by_key_implILNS1_25lookback_scan_determinismE0ELb1ES3_N6thrust23THRUST_200600_302600_NS6detail15normal_iteratorINS9_10device_ptrIiEEEESE_SE_iNS9_4plusIvEENS9_8equal_toIiEEiEE10hipError_tPvRmT2_T3_T4_T5_mT6_T7_P12ihipStream_tbENKUlT_T0_E_clISt17integral_constantIbLb0EESZ_EEDaSU_SV_EUlSU_E_NS1_11comp_targetILNS1_3genE0ELNS1_11target_archE4294967295ELNS1_3gpuE0ELNS1_3repE0EEENS1_30default_config_static_selectorELNS0_4arch9wavefront6targetE1EEEvT1_,"axG",@progbits,_ZN7rocprim17ROCPRIM_400000_NS6detail17trampoline_kernelINS0_14default_configENS1_27scan_by_key_config_selectorIiiEEZZNS1_16scan_by_key_implILNS1_25lookback_scan_determinismE0ELb1ES3_N6thrust23THRUST_200600_302600_NS6detail15normal_iteratorINS9_10device_ptrIiEEEESE_SE_iNS9_4plusIvEENS9_8equal_toIiEEiEE10hipError_tPvRmT2_T3_T4_T5_mT6_T7_P12ihipStream_tbENKUlT_T0_E_clISt17integral_constantIbLb0EESZ_EEDaSU_SV_EUlSU_E_NS1_11comp_targetILNS1_3genE0ELNS1_11target_archE4294967295ELNS1_3gpuE0ELNS1_3repE0EEENS1_30default_config_static_selectorELNS0_4arch9wavefront6targetE1EEEvT1_,comdat
.Lfunc_end533:
	.size	_ZN7rocprim17ROCPRIM_400000_NS6detail17trampoline_kernelINS0_14default_configENS1_27scan_by_key_config_selectorIiiEEZZNS1_16scan_by_key_implILNS1_25lookback_scan_determinismE0ELb1ES3_N6thrust23THRUST_200600_302600_NS6detail15normal_iteratorINS9_10device_ptrIiEEEESE_SE_iNS9_4plusIvEENS9_8equal_toIiEEiEE10hipError_tPvRmT2_T3_T4_T5_mT6_T7_P12ihipStream_tbENKUlT_T0_E_clISt17integral_constantIbLb0EESZ_EEDaSU_SV_EUlSU_E_NS1_11comp_targetILNS1_3genE0ELNS1_11target_archE4294967295ELNS1_3gpuE0ELNS1_3repE0EEENS1_30default_config_static_selectorELNS0_4arch9wavefront6targetE1EEEvT1_, .Lfunc_end533-_ZN7rocprim17ROCPRIM_400000_NS6detail17trampoline_kernelINS0_14default_configENS1_27scan_by_key_config_selectorIiiEEZZNS1_16scan_by_key_implILNS1_25lookback_scan_determinismE0ELb1ES3_N6thrust23THRUST_200600_302600_NS6detail15normal_iteratorINS9_10device_ptrIiEEEESE_SE_iNS9_4plusIvEENS9_8equal_toIiEEiEE10hipError_tPvRmT2_T3_T4_T5_mT6_T7_P12ihipStream_tbENKUlT_T0_E_clISt17integral_constantIbLb0EESZ_EEDaSU_SV_EUlSU_E_NS1_11comp_targetILNS1_3genE0ELNS1_11target_archE4294967295ELNS1_3gpuE0ELNS1_3repE0EEENS1_30default_config_static_selectorELNS0_4arch9wavefront6targetE1EEEvT1_
                                        ; -- End function
	.section	.AMDGPU.csdata,"",@progbits
; Kernel info:
; codeLenInByte = 0
; NumSgprs: 4
; NumVgprs: 0
; NumAgprs: 0
; TotalNumVgprs: 0
; ScratchSize: 0
; MemoryBound: 0
; FloatMode: 240
; IeeeMode: 1
; LDSByteSize: 0 bytes/workgroup (compile time only)
; SGPRBlocks: 0
; VGPRBlocks: 0
; NumSGPRsForWavesPerEU: 4
; NumVGPRsForWavesPerEU: 1
; AccumOffset: 4
; Occupancy: 8
; WaveLimiterHint : 0
; COMPUTE_PGM_RSRC2:SCRATCH_EN: 0
; COMPUTE_PGM_RSRC2:USER_SGPR: 6
; COMPUTE_PGM_RSRC2:TRAP_HANDLER: 0
; COMPUTE_PGM_RSRC2:TGID_X_EN: 1
; COMPUTE_PGM_RSRC2:TGID_Y_EN: 0
; COMPUTE_PGM_RSRC2:TGID_Z_EN: 0
; COMPUTE_PGM_RSRC2:TIDIG_COMP_CNT: 0
; COMPUTE_PGM_RSRC3_GFX90A:ACCUM_OFFSET: 0
; COMPUTE_PGM_RSRC3_GFX90A:TG_SPLIT: 0
	.section	.text._ZN7rocprim17ROCPRIM_400000_NS6detail17trampoline_kernelINS0_14default_configENS1_27scan_by_key_config_selectorIiiEEZZNS1_16scan_by_key_implILNS1_25lookback_scan_determinismE0ELb1ES3_N6thrust23THRUST_200600_302600_NS6detail15normal_iteratorINS9_10device_ptrIiEEEESE_SE_iNS9_4plusIvEENS9_8equal_toIiEEiEE10hipError_tPvRmT2_T3_T4_T5_mT6_T7_P12ihipStream_tbENKUlT_T0_E_clISt17integral_constantIbLb0EESZ_EEDaSU_SV_EUlSU_E_NS1_11comp_targetILNS1_3genE10ELNS1_11target_archE1201ELNS1_3gpuE5ELNS1_3repE0EEENS1_30default_config_static_selectorELNS0_4arch9wavefront6targetE1EEEvT1_,"axG",@progbits,_ZN7rocprim17ROCPRIM_400000_NS6detail17trampoline_kernelINS0_14default_configENS1_27scan_by_key_config_selectorIiiEEZZNS1_16scan_by_key_implILNS1_25lookback_scan_determinismE0ELb1ES3_N6thrust23THRUST_200600_302600_NS6detail15normal_iteratorINS9_10device_ptrIiEEEESE_SE_iNS9_4plusIvEENS9_8equal_toIiEEiEE10hipError_tPvRmT2_T3_T4_T5_mT6_T7_P12ihipStream_tbENKUlT_T0_E_clISt17integral_constantIbLb0EESZ_EEDaSU_SV_EUlSU_E_NS1_11comp_targetILNS1_3genE10ELNS1_11target_archE1201ELNS1_3gpuE5ELNS1_3repE0EEENS1_30default_config_static_selectorELNS0_4arch9wavefront6targetE1EEEvT1_,comdat
	.protected	_ZN7rocprim17ROCPRIM_400000_NS6detail17trampoline_kernelINS0_14default_configENS1_27scan_by_key_config_selectorIiiEEZZNS1_16scan_by_key_implILNS1_25lookback_scan_determinismE0ELb1ES3_N6thrust23THRUST_200600_302600_NS6detail15normal_iteratorINS9_10device_ptrIiEEEESE_SE_iNS9_4plusIvEENS9_8equal_toIiEEiEE10hipError_tPvRmT2_T3_T4_T5_mT6_T7_P12ihipStream_tbENKUlT_T0_E_clISt17integral_constantIbLb0EESZ_EEDaSU_SV_EUlSU_E_NS1_11comp_targetILNS1_3genE10ELNS1_11target_archE1201ELNS1_3gpuE5ELNS1_3repE0EEENS1_30default_config_static_selectorELNS0_4arch9wavefront6targetE1EEEvT1_ ; -- Begin function _ZN7rocprim17ROCPRIM_400000_NS6detail17trampoline_kernelINS0_14default_configENS1_27scan_by_key_config_selectorIiiEEZZNS1_16scan_by_key_implILNS1_25lookback_scan_determinismE0ELb1ES3_N6thrust23THRUST_200600_302600_NS6detail15normal_iteratorINS9_10device_ptrIiEEEESE_SE_iNS9_4plusIvEENS9_8equal_toIiEEiEE10hipError_tPvRmT2_T3_T4_T5_mT6_T7_P12ihipStream_tbENKUlT_T0_E_clISt17integral_constantIbLb0EESZ_EEDaSU_SV_EUlSU_E_NS1_11comp_targetILNS1_3genE10ELNS1_11target_archE1201ELNS1_3gpuE5ELNS1_3repE0EEENS1_30default_config_static_selectorELNS0_4arch9wavefront6targetE1EEEvT1_
	.globl	_ZN7rocprim17ROCPRIM_400000_NS6detail17trampoline_kernelINS0_14default_configENS1_27scan_by_key_config_selectorIiiEEZZNS1_16scan_by_key_implILNS1_25lookback_scan_determinismE0ELb1ES3_N6thrust23THRUST_200600_302600_NS6detail15normal_iteratorINS9_10device_ptrIiEEEESE_SE_iNS9_4plusIvEENS9_8equal_toIiEEiEE10hipError_tPvRmT2_T3_T4_T5_mT6_T7_P12ihipStream_tbENKUlT_T0_E_clISt17integral_constantIbLb0EESZ_EEDaSU_SV_EUlSU_E_NS1_11comp_targetILNS1_3genE10ELNS1_11target_archE1201ELNS1_3gpuE5ELNS1_3repE0EEENS1_30default_config_static_selectorELNS0_4arch9wavefront6targetE1EEEvT1_
	.p2align	8
	.type	_ZN7rocprim17ROCPRIM_400000_NS6detail17trampoline_kernelINS0_14default_configENS1_27scan_by_key_config_selectorIiiEEZZNS1_16scan_by_key_implILNS1_25lookback_scan_determinismE0ELb1ES3_N6thrust23THRUST_200600_302600_NS6detail15normal_iteratorINS9_10device_ptrIiEEEESE_SE_iNS9_4plusIvEENS9_8equal_toIiEEiEE10hipError_tPvRmT2_T3_T4_T5_mT6_T7_P12ihipStream_tbENKUlT_T0_E_clISt17integral_constantIbLb0EESZ_EEDaSU_SV_EUlSU_E_NS1_11comp_targetILNS1_3genE10ELNS1_11target_archE1201ELNS1_3gpuE5ELNS1_3repE0EEENS1_30default_config_static_selectorELNS0_4arch9wavefront6targetE1EEEvT1_,@function
_ZN7rocprim17ROCPRIM_400000_NS6detail17trampoline_kernelINS0_14default_configENS1_27scan_by_key_config_selectorIiiEEZZNS1_16scan_by_key_implILNS1_25lookback_scan_determinismE0ELb1ES3_N6thrust23THRUST_200600_302600_NS6detail15normal_iteratorINS9_10device_ptrIiEEEESE_SE_iNS9_4plusIvEENS9_8equal_toIiEEiEE10hipError_tPvRmT2_T3_T4_T5_mT6_T7_P12ihipStream_tbENKUlT_T0_E_clISt17integral_constantIbLb0EESZ_EEDaSU_SV_EUlSU_E_NS1_11comp_targetILNS1_3genE10ELNS1_11target_archE1201ELNS1_3gpuE5ELNS1_3repE0EEENS1_30default_config_static_selectorELNS0_4arch9wavefront6targetE1EEEvT1_: ; @_ZN7rocprim17ROCPRIM_400000_NS6detail17trampoline_kernelINS0_14default_configENS1_27scan_by_key_config_selectorIiiEEZZNS1_16scan_by_key_implILNS1_25lookback_scan_determinismE0ELb1ES3_N6thrust23THRUST_200600_302600_NS6detail15normal_iteratorINS9_10device_ptrIiEEEESE_SE_iNS9_4plusIvEENS9_8equal_toIiEEiEE10hipError_tPvRmT2_T3_T4_T5_mT6_T7_P12ihipStream_tbENKUlT_T0_E_clISt17integral_constantIbLb0EESZ_EEDaSU_SV_EUlSU_E_NS1_11comp_targetILNS1_3genE10ELNS1_11target_archE1201ELNS1_3gpuE5ELNS1_3repE0EEENS1_30default_config_static_selectorELNS0_4arch9wavefront6targetE1EEEvT1_
; %bb.0:
	.section	.rodata,"a",@progbits
	.p2align	6, 0x0
	.amdhsa_kernel _ZN7rocprim17ROCPRIM_400000_NS6detail17trampoline_kernelINS0_14default_configENS1_27scan_by_key_config_selectorIiiEEZZNS1_16scan_by_key_implILNS1_25lookback_scan_determinismE0ELb1ES3_N6thrust23THRUST_200600_302600_NS6detail15normal_iteratorINS9_10device_ptrIiEEEESE_SE_iNS9_4plusIvEENS9_8equal_toIiEEiEE10hipError_tPvRmT2_T3_T4_T5_mT6_T7_P12ihipStream_tbENKUlT_T0_E_clISt17integral_constantIbLb0EESZ_EEDaSU_SV_EUlSU_E_NS1_11comp_targetILNS1_3genE10ELNS1_11target_archE1201ELNS1_3gpuE5ELNS1_3repE0EEENS1_30default_config_static_selectorELNS0_4arch9wavefront6targetE1EEEvT1_
		.amdhsa_group_segment_fixed_size 0
		.amdhsa_private_segment_fixed_size 0
		.amdhsa_kernarg_size 112
		.amdhsa_user_sgpr_count 6
		.amdhsa_user_sgpr_private_segment_buffer 1
		.amdhsa_user_sgpr_dispatch_ptr 0
		.amdhsa_user_sgpr_queue_ptr 0
		.amdhsa_user_sgpr_kernarg_segment_ptr 1
		.amdhsa_user_sgpr_dispatch_id 0
		.amdhsa_user_sgpr_flat_scratch_init 0
		.amdhsa_user_sgpr_kernarg_preload_length 0
		.amdhsa_user_sgpr_kernarg_preload_offset 0
		.amdhsa_user_sgpr_private_segment_size 0
		.amdhsa_uses_dynamic_stack 0
		.amdhsa_system_sgpr_private_segment_wavefront_offset 0
		.amdhsa_system_sgpr_workgroup_id_x 1
		.amdhsa_system_sgpr_workgroup_id_y 0
		.amdhsa_system_sgpr_workgroup_id_z 0
		.amdhsa_system_sgpr_workgroup_info 0
		.amdhsa_system_vgpr_workitem_id 0
		.amdhsa_next_free_vgpr 1
		.amdhsa_next_free_sgpr 0
		.amdhsa_accum_offset 4
		.amdhsa_reserve_vcc 0
		.amdhsa_reserve_flat_scratch 0
		.amdhsa_float_round_mode_32 0
		.amdhsa_float_round_mode_16_64 0
		.amdhsa_float_denorm_mode_32 3
		.amdhsa_float_denorm_mode_16_64 3
		.amdhsa_dx10_clamp 1
		.amdhsa_ieee_mode 1
		.amdhsa_fp16_overflow 0
		.amdhsa_tg_split 0
		.amdhsa_exception_fp_ieee_invalid_op 0
		.amdhsa_exception_fp_denorm_src 0
		.amdhsa_exception_fp_ieee_div_zero 0
		.amdhsa_exception_fp_ieee_overflow 0
		.amdhsa_exception_fp_ieee_underflow 0
		.amdhsa_exception_fp_ieee_inexact 0
		.amdhsa_exception_int_div_zero 0
	.end_amdhsa_kernel
	.section	.text._ZN7rocprim17ROCPRIM_400000_NS6detail17trampoline_kernelINS0_14default_configENS1_27scan_by_key_config_selectorIiiEEZZNS1_16scan_by_key_implILNS1_25lookback_scan_determinismE0ELb1ES3_N6thrust23THRUST_200600_302600_NS6detail15normal_iteratorINS9_10device_ptrIiEEEESE_SE_iNS9_4plusIvEENS9_8equal_toIiEEiEE10hipError_tPvRmT2_T3_T4_T5_mT6_T7_P12ihipStream_tbENKUlT_T0_E_clISt17integral_constantIbLb0EESZ_EEDaSU_SV_EUlSU_E_NS1_11comp_targetILNS1_3genE10ELNS1_11target_archE1201ELNS1_3gpuE5ELNS1_3repE0EEENS1_30default_config_static_selectorELNS0_4arch9wavefront6targetE1EEEvT1_,"axG",@progbits,_ZN7rocprim17ROCPRIM_400000_NS6detail17trampoline_kernelINS0_14default_configENS1_27scan_by_key_config_selectorIiiEEZZNS1_16scan_by_key_implILNS1_25lookback_scan_determinismE0ELb1ES3_N6thrust23THRUST_200600_302600_NS6detail15normal_iteratorINS9_10device_ptrIiEEEESE_SE_iNS9_4plusIvEENS9_8equal_toIiEEiEE10hipError_tPvRmT2_T3_T4_T5_mT6_T7_P12ihipStream_tbENKUlT_T0_E_clISt17integral_constantIbLb0EESZ_EEDaSU_SV_EUlSU_E_NS1_11comp_targetILNS1_3genE10ELNS1_11target_archE1201ELNS1_3gpuE5ELNS1_3repE0EEENS1_30default_config_static_selectorELNS0_4arch9wavefront6targetE1EEEvT1_,comdat
.Lfunc_end534:
	.size	_ZN7rocprim17ROCPRIM_400000_NS6detail17trampoline_kernelINS0_14default_configENS1_27scan_by_key_config_selectorIiiEEZZNS1_16scan_by_key_implILNS1_25lookback_scan_determinismE0ELb1ES3_N6thrust23THRUST_200600_302600_NS6detail15normal_iteratorINS9_10device_ptrIiEEEESE_SE_iNS9_4plusIvEENS9_8equal_toIiEEiEE10hipError_tPvRmT2_T3_T4_T5_mT6_T7_P12ihipStream_tbENKUlT_T0_E_clISt17integral_constantIbLb0EESZ_EEDaSU_SV_EUlSU_E_NS1_11comp_targetILNS1_3genE10ELNS1_11target_archE1201ELNS1_3gpuE5ELNS1_3repE0EEENS1_30default_config_static_selectorELNS0_4arch9wavefront6targetE1EEEvT1_, .Lfunc_end534-_ZN7rocprim17ROCPRIM_400000_NS6detail17trampoline_kernelINS0_14default_configENS1_27scan_by_key_config_selectorIiiEEZZNS1_16scan_by_key_implILNS1_25lookback_scan_determinismE0ELb1ES3_N6thrust23THRUST_200600_302600_NS6detail15normal_iteratorINS9_10device_ptrIiEEEESE_SE_iNS9_4plusIvEENS9_8equal_toIiEEiEE10hipError_tPvRmT2_T3_T4_T5_mT6_T7_P12ihipStream_tbENKUlT_T0_E_clISt17integral_constantIbLb0EESZ_EEDaSU_SV_EUlSU_E_NS1_11comp_targetILNS1_3genE10ELNS1_11target_archE1201ELNS1_3gpuE5ELNS1_3repE0EEENS1_30default_config_static_selectorELNS0_4arch9wavefront6targetE1EEEvT1_
                                        ; -- End function
	.section	.AMDGPU.csdata,"",@progbits
; Kernel info:
; codeLenInByte = 0
; NumSgprs: 4
; NumVgprs: 0
; NumAgprs: 0
; TotalNumVgprs: 0
; ScratchSize: 0
; MemoryBound: 0
; FloatMode: 240
; IeeeMode: 1
; LDSByteSize: 0 bytes/workgroup (compile time only)
; SGPRBlocks: 0
; VGPRBlocks: 0
; NumSGPRsForWavesPerEU: 4
; NumVGPRsForWavesPerEU: 1
; AccumOffset: 4
; Occupancy: 8
; WaveLimiterHint : 0
; COMPUTE_PGM_RSRC2:SCRATCH_EN: 0
; COMPUTE_PGM_RSRC2:USER_SGPR: 6
; COMPUTE_PGM_RSRC2:TRAP_HANDLER: 0
; COMPUTE_PGM_RSRC2:TGID_X_EN: 1
; COMPUTE_PGM_RSRC2:TGID_Y_EN: 0
; COMPUTE_PGM_RSRC2:TGID_Z_EN: 0
; COMPUTE_PGM_RSRC2:TIDIG_COMP_CNT: 0
; COMPUTE_PGM_RSRC3_GFX90A:ACCUM_OFFSET: 0
; COMPUTE_PGM_RSRC3_GFX90A:TG_SPLIT: 0
	.section	.text._ZN7rocprim17ROCPRIM_400000_NS6detail17trampoline_kernelINS0_14default_configENS1_27scan_by_key_config_selectorIiiEEZZNS1_16scan_by_key_implILNS1_25lookback_scan_determinismE0ELb1ES3_N6thrust23THRUST_200600_302600_NS6detail15normal_iteratorINS9_10device_ptrIiEEEESE_SE_iNS9_4plusIvEENS9_8equal_toIiEEiEE10hipError_tPvRmT2_T3_T4_T5_mT6_T7_P12ihipStream_tbENKUlT_T0_E_clISt17integral_constantIbLb0EESZ_EEDaSU_SV_EUlSU_E_NS1_11comp_targetILNS1_3genE5ELNS1_11target_archE942ELNS1_3gpuE9ELNS1_3repE0EEENS1_30default_config_static_selectorELNS0_4arch9wavefront6targetE1EEEvT1_,"axG",@progbits,_ZN7rocprim17ROCPRIM_400000_NS6detail17trampoline_kernelINS0_14default_configENS1_27scan_by_key_config_selectorIiiEEZZNS1_16scan_by_key_implILNS1_25lookback_scan_determinismE0ELb1ES3_N6thrust23THRUST_200600_302600_NS6detail15normal_iteratorINS9_10device_ptrIiEEEESE_SE_iNS9_4plusIvEENS9_8equal_toIiEEiEE10hipError_tPvRmT2_T3_T4_T5_mT6_T7_P12ihipStream_tbENKUlT_T0_E_clISt17integral_constantIbLb0EESZ_EEDaSU_SV_EUlSU_E_NS1_11comp_targetILNS1_3genE5ELNS1_11target_archE942ELNS1_3gpuE9ELNS1_3repE0EEENS1_30default_config_static_selectorELNS0_4arch9wavefront6targetE1EEEvT1_,comdat
	.protected	_ZN7rocprim17ROCPRIM_400000_NS6detail17trampoline_kernelINS0_14default_configENS1_27scan_by_key_config_selectorIiiEEZZNS1_16scan_by_key_implILNS1_25lookback_scan_determinismE0ELb1ES3_N6thrust23THRUST_200600_302600_NS6detail15normal_iteratorINS9_10device_ptrIiEEEESE_SE_iNS9_4plusIvEENS9_8equal_toIiEEiEE10hipError_tPvRmT2_T3_T4_T5_mT6_T7_P12ihipStream_tbENKUlT_T0_E_clISt17integral_constantIbLb0EESZ_EEDaSU_SV_EUlSU_E_NS1_11comp_targetILNS1_3genE5ELNS1_11target_archE942ELNS1_3gpuE9ELNS1_3repE0EEENS1_30default_config_static_selectorELNS0_4arch9wavefront6targetE1EEEvT1_ ; -- Begin function _ZN7rocprim17ROCPRIM_400000_NS6detail17trampoline_kernelINS0_14default_configENS1_27scan_by_key_config_selectorIiiEEZZNS1_16scan_by_key_implILNS1_25lookback_scan_determinismE0ELb1ES3_N6thrust23THRUST_200600_302600_NS6detail15normal_iteratorINS9_10device_ptrIiEEEESE_SE_iNS9_4plusIvEENS9_8equal_toIiEEiEE10hipError_tPvRmT2_T3_T4_T5_mT6_T7_P12ihipStream_tbENKUlT_T0_E_clISt17integral_constantIbLb0EESZ_EEDaSU_SV_EUlSU_E_NS1_11comp_targetILNS1_3genE5ELNS1_11target_archE942ELNS1_3gpuE9ELNS1_3repE0EEENS1_30default_config_static_selectorELNS0_4arch9wavefront6targetE1EEEvT1_
	.globl	_ZN7rocprim17ROCPRIM_400000_NS6detail17trampoline_kernelINS0_14default_configENS1_27scan_by_key_config_selectorIiiEEZZNS1_16scan_by_key_implILNS1_25lookback_scan_determinismE0ELb1ES3_N6thrust23THRUST_200600_302600_NS6detail15normal_iteratorINS9_10device_ptrIiEEEESE_SE_iNS9_4plusIvEENS9_8equal_toIiEEiEE10hipError_tPvRmT2_T3_T4_T5_mT6_T7_P12ihipStream_tbENKUlT_T0_E_clISt17integral_constantIbLb0EESZ_EEDaSU_SV_EUlSU_E_NS1_11comp_targetILNS1_3genE5ELNS1_11target_archE942ELNS1_3gpuE9ELNS1_3repE0EEENS1_30default_config_static_selectorELNS0_4arch9wavefront6targetE1EEEvT1_
	.p2align	8
	.type	_ZN7rocprim17ROCPRIM_400000_NS6detail17trampoline_kernelINS0_14default_configENS1_27scan_by_key_config_selectorIiiEEZZNS1_16scan_by_key_implILNS1_25lookback_scan_determinismE0ELb1ES3_N6thrust23THRUST_200600_302600_NS6detail15normal_iteratorINS9_10device_ptrIiEEEESE_SE_iNS9_4plusIvEENS9_8equal_toIiEEiEE10hipError_tPvRmT2_T3_T4_T5_mT6_T7_P12ihipStream_tbENKUlT_T0_E_clISt17integral_constantIbLb0EESZ_EEDaSU_SV_EUlSU_E_NS1_11comp_targetILNS1_3genE5ELNS1_11target_archE942ELNS1_3gpuE9ELNS1_3repE0EEENS1_30default_config_static_selectorELNS0_4arch9wavefront6targetE1EEEvT1_,@function
_ZN7rocprim17ROCPRIM_400000_NS6detail17trampoline_kernelINS0_14default_configENS1_27scan_by_key_config_selectorIiiEEZZNS1_16scan_by_key_implILNS1_25lookback_scan_determinismE0ELb1ES3_N6thrust23THRUST_200600_302600_NS6detail15normal_iteratorINS9_10device_ptrIiEEEESE_SE_iNS9_4plusIvEENS9_8equal_toIiEEiEE10hipError_tPvRmT2_T3_T4_T5_mT6_T7_P12ihipStream_tbENKUlT_T0_E_clISt17integral_constantIbLb0EESZ_EEDaSU_SV_EUlSU_E_NS1_11comp_targetILNS1_3genE5ELNS1_11target_archE942ELNS1_3gpuE9ELNS1_3repE0EEENS1_30default_config_static_selectorELNS0_4arch9wavefront6targetE1EEEvT1_: ; @_ZN7rocprim17ROCPRIM_400000_NS6detail17trampoline_kernelINS0_14default_configENS1_27scan_by_key_config_selectorIiiEEZZNS1_16scan_by_key_implILNS1_25lookback_scan_determinismE0ELb1ES3_N6thrust23THRUST_200600_302600_NS6detail15normal_iteratorINS9_10device_ptrIiEEEESE_SE_iNS9_4plusIvEENS9_8equal_toIiEEiEE10hipError_tPvRmT2_T3_T4_T5_mT6_T7_P12ihipStream_tbENKUlT_T0_E_clISt17integral_constantIbLb0EESZ_EEDaSU_SV_EUlSU_E_NS1_11comp_targetILNS1_3genE5ELNS1_11target_archE942ELNS1_3gpuE9ELNS1_3repE0EEENS1_30default_config_static_selectorELNS0_4arch9wavefront6targetE1EEEvT1_
; %bb.0:
	.section	.rodata,"a",@progbits
	.p2align	6, 0x0
	.amdhsa_kernel _ZN7rocprim17ROCPRIM_400000_NS6detail17trampoline_kernelINS0_14default_configENS1_27scan_by_key_config_selectorIiiEEZZNS1_16scan_by_key_implILNS1_25lookback_scan_determinismE0ELb1ES3_N6thrust23THRUST_200600_302600_NS6detail15normal_iteratorINS9_10device_ptrIiEEEESE_SE_iNS9_4plusIvEENS9_8equal_toIiEEiEE10hipError_tPvRmT2_T3_T4_T5_mT6_T7_P12ihipStream_tbENKUlT_T0_E_clISt17integral_constantIbLb0EESZ_EEDaSU_SV_EUlSU_E_NS1_11comp_targetILNS1_3genE5ELNS1_11target_archE942ELNS1_3gpuE9ELNS1_3repE0EEENS1_30default_config_static_selectorELNS0_4arch9wavefront6targetE1EEEvT1_
		.amdhsa_group_segment_fixed_size 0
		.amdhsa_private_segment_fixed_size 0
		.amdhsa_kernarg_size 112
		.amdhsa_user_sgpr_count 6
		.amdhsa_user_sgpr_private_segment_buffer 1
		.amdhsa_user_sgpr_dispatch_ptr 0
		.amdhsa_user_sgpr_queue_ptr 0
		.amdhsa_user_sgpr_kernarg_segment_ptr 1
		.amdhsa_user_sgpr_dispatch_id 0
		.amdhsa_user_sgpr_flat_scratch_init 0
		.amdhsa_user_sgpr_kernarg_preload_length 0
		.amdhsa_user_sgpr_kernarg_preload_offset 0
		.amdhsa_user_sgpr_private_segment_size 0
		.amdhsa_uses_dynamic_stack 0
		.amdhsa_system_sgpr_private_segment_wavefront_offset 0
		.amdhsa_system_sgpr_workgroup_id_x 1
		.amdhsa_system_sgpr_workgroup_id_y 0
		.amdhsa_system_sgpr_workgroup_id_z 0
		.amdhsa_system_sgpr_workgroup_info 0
		.amdhsa_system_vgpr_workitem_id 0
		.amdhsa_next_free_vgpr 1
		.amdhsa_next_free_sgpr 0
		.amdhsa_accum_offset 4
		.amdhsa_reserve_vcc 0
		.amdhsa_reserve_flat_scratch 0
		.amdhsa_float_round_mode_32 0
		.amdhsa_float_round_mode_16_64 0
		.amdhsa_float_denorm_mode_32 3
		.amdhsa_float_denorm_mode_16_64 3
		.amdhsa_dx10_clamp 1
		.amdhsa_ieee_mode 1
		.amdhsa_fp16_overflow 0
		.amdhsa_tg_split 0
		.amdhsa_exception_fp_ieee_invalid_op 0
		.amdhsa_exception_fp_denorm_src 0
		.amdhsa_exception_fp_ieee_div_zero 0
		.amdhsa_exception_fp_ieee_overflow 0
		.amdhsa_exception_fp_ieee_underflow 0
		.amdhsa_exception_fp_ieee_inexact 0
		.amdhsa_exception_int_div_zero 0
	.end_amdhsa_kernel
	.section	.text._ZN7rocprim17ROCPRIM_400000_NS6detail17trampoline_kernelINS0_14default_configENS1_27scan_by_key_config_selectorIiiEEZZNS1_16scan_by_key_implILNS1_25lookback_scan_determinismE0ELb1ES3_N6thrust23THRUST_200600_302600_NS6detail15normal_iteratorINS9_10device_ptrIiEEEESE_SE_iNS9_4plusIvEENS9_8equal_toIiEEiEE10hipError_tPvRmT2_T3_T4_T5_mT6_T7_P12ihipStream_tbENKUlT_T0_E_clISt17integral_constantIbLb0EESZ_EEDaSU_SV_EUlSU_E_NS1_11comp_targetILNS1_3genE5ELNS1_11target_archE942ELNS1_3gpuE9ELNS1_3repE0EEENS1_30default_config_static_selectorELNS0_4arch9wavefront6targetE1EEEvT1_,"axG",@progbits,_ZN7rocprim17ROCPRIM_400000_NS6detail17trampoline_kernelINS0_14default_configENS1_27scan_by_key_config_selectorIiiEEZZNS1_16scan_by_key_implILNS1_25lookback_scan_determinismE0ELb1ES3_N6thrust23THRUST_200600_302600_NS6detail15normal_iteratorINS9_10device_ptrIiEEEESE_SE_iNS9_4plusIvEENS9_8equal_toIiEEiEE10hipError_tPvRmT2_T3_T4_T5_mT6_T7_P12ihipStream_tbENKUlT_T0_E_clISt17integral_constantIbLb0EESZ_EEDaSU_SV_EUlSU_E_NS1_11comp_targetILNS1_3genE5ELNS1_11target_archE942ELNS1_3gpuE9ELNS1_3repE0EEENS1_30default_config_static_selectorELNS0_4arch9wavefront6targetE1EEEvT1_,comdat
.Lfunc_end535:
	.size	_ZN7rocprim17ROCPRIM_400000_NS6detail17trampoline_kernelINS0_14default_configENS1_27scan_by_key_config_selectorIiiEEZZNS1_16scan_by_key_implILNS1_25lookback_scan_determinismE0ELb1ES3_N6thrust23THRUST_200600_302600_NS6detail15normal_iteratorINS9_10device_ptrIiEEEESE_SE_iNS9_4plusIvEENS9_8equal_toIiEEiEE10hipError_tPvRmT2_T3_T4_T5_mT6_T7_P12ihipStream_tbENKUlT_T0_E_clISt17integral_constantIbLb0EESZ_EEDaSU_SV_EUlSU_E_NS1_11comp_targetILNS1_3genE5ELNS1_11target_archE942ELNS1_3gpuE9ELNS1_3repE0EEENS1_30default_config_static_selectorELNS0_4arch9wavefront6targetE1EEEvT1_, .Lfunc_end535-_ZN7rocprim17ROCPRIM_400000_NS6detail17trampoline_kernelINS0_14default_configENS1_27scan_by_key_config_selectorIiiEEZZNS1_16scan_by_key_implILNS1_25lookback_scan_determinismE0ELb1ES3_N6thrust23THRUST_200600_302600_NS6detail15normal_iteratorINS9_10device_ptrIiEEEESE_SE_iNS9_4plusIvEENS9_8equal_toIiEEiEE10hipError_tPvRmT2_T3_T4_T5_mT6_T7_P12ihipStream_tbENKUlT_T0_E_clISt17integral_constantIbLb0EESZ_EEDaSU_SV_EUlSU_E_NS1_11comp_targetILNS1_3genE5ELNS1_11target_archE942ELNS1_3gpuE9ELNS1_3repE0EEENS1_30default_config_static_selectorELNS0_4arch9wavefront6targetE1EEEvT1_
                                        ; -- End function
	.section	.AMDGPU.csdata,"",@progbits
; Kernel info:
; codeLenInByte = 0
; NumSgprs: 4
; NumVgprs: 0
; NumAgprs: 0
; TotalNumVgprs: 0
; ScratchSize: 0
; MemoryBound: 0
; FloatMode: 240
; IeeeMode: 1
; LDSByteSize: 0 bytes/workgroup (compile time only)
; SGPRBlocks: 0
; VGPRBlocks: 0
; NumSGPRsForWavesPerEU: 4
; NumVGPRsForWavesPerEU: 1
; AccumOffset: 4
; Occupancy: 8
; WaveLimiterHint : 0
; COMPUTE_PGM_RSRC2:SCRATCH_EN: 0
; COMPUTE_PGM_RSRC2:USER_SGPR: 6
; COMPUTE_PGM_RSRC2:TRAP_HANDLER: 0
; COMPUTE_PGM_RSRC2:TGID_X_EN: 1
; COMPUTE_PGM_RSRC2:TGID_Y_EN: 0
; COMPUTE_PGM_RSRC2:TGID_Z_EN: 0
; COMPUTE_PGM_RSRC2:TIDIG_COMP_CNT: 0
; COMPUTE_PGM_RSRC3_GFX90A:ACCUM_OFFSET: 0
; COMPUTE_PGM_RSRC3_GFX90A:TG_SPLIT: 0
	.section	.text._ZN7rocprim17ROCPRIM_400000_NS6detail17trampoline_kernelINS0_14default_configENS1_27scan_by_key_config_selectorIiiEEZZNS1_16scan_by_key_implILNS1_25lookback_scan_determinismE0ELb1ES3_N6thrust23THRUST_200600_302600_NS6detail15normal_iteratorINS9_10device_ptrIiEEEESE_SE_iNS9_4plusIvEENS9_8equal_toIiEEiEE10hipError_tPvRmT2_T3_T4_T5_mT6_T7_P12ihipStream_tbENKUlT_T0_E_clISt17integral_constantIbLb0EESZ_EEDaSU_SV_EUlSU_E_NS1_11comp_targetILNS1_3genE4ELNS1_11target_archE910ELNS1_3gpuE8ELNS1_3repE0EEENS1_30default_config_static_selectorELNS0_4arch9wavefront6targetE1EEEvT1_,"axG",@progbits,_ZN7rocprim17ROCPRIM_400000_NS6detail17trampoline_kernelINS0_14default_configENS1_27scan_by_key_config_selectorIiiEEZZNS1_16scan_by_key_implILNS1_25lookback_scan_determinismE0ELb1ES3_N6thrust23THRUST_200600_302600_NS6detail15normal_iteratorINS9_10device_ptrIiEEEESE_SE_iNS9_4plusIvEENS9_8equal_toIiEEiEE10hipError_tPvRmT2_T3_T4_T5_mT6_T7_P12ihipStream_tbENKUlT_T0_E_clISt17integral_constantIbLb0EESZ_EEDaSU_SV_EUlSU_E_NS1_11comp_targetILNS1_3genE4ELNS1_11target_archE910ELNS1_3gpuE8ELNS1_3repE0EEENS1_30default_config_static_selectorELNS0_4arch9wavefront6targetE1EEEvT1_,comdat
	.protected	_ZN7rocprim17ROCPRIM_400000_NS6detail17trampoline_kernelINS0_14default_configENS1_27scan_by_key_config_selectorIiiEEZZNS1_16scan_by_key_implILNS1_25lookback_scan_determinismE0ELb1ES3_N6thrust23THRUST_200600_302600_NS6detail15normal_iteratorINS9_10device_ptrIiEEEESE_SE_iNS9_4plusIvEENS9_8equal_toIiEEiEE10hipError_tPvRmT2_T3_T4_T5_mT6_T7_P12ihipStream_tbENKUlT_T0_E_clISt17integral_constantIbLb0EESZ_EEDaSU_SV_EUlSU_E_NS1_11comp_targetILNS1_3genE4ELNS1_11target_archE910ELNS1_3gpuE8ELNS1_3repE0EEENS1_30default_config_static_selectorELNS0_4arch9wavefront6targetE1EEEvT1_ ; -- Begin function _ZN7rocprim17ROCPRIM_400000_NS6detail17trampoline_kernelINS0_14default_configENS1_27scan_by_key_config_selectorIiiEEZZNS1_16scan_by_key_implILNS1_25lookback_scan_determinismE0ELb1ES3_N6thrust23THRUST_200600_302600_NS6detail15normal_iteratorINS9_10device_ptrIiEEEESE_SE_iNS9_4plusIvEENS9_8equal_toIiEEiEE10hipError_tPvRmT2_T3_T4_T5_mT6_T7_P12ihipStream_tbENKUlT_T0_E_clISt17integral_constantIbLb0EESZ_EEDaSU_SV_EUlSU_E_NS1_11comp_targetILNS1_3genE4ELNS1_11target_archE910ELNS1_3gpuE8ELNS1_3repE0EEENS1_30default_config_static_selectorELNS0_4arch9wavefront6targetE1EEEvT1_
	.globl	_ZN7rocprim17ROCPRIM_400000_NS6detail17trampoline_kernelINS0_14default_configENS1_27scan_by_key_config_selectorIiiEEZZNS1_16scan_by_key_implILNS1_25lookback_scan_determinismE0ELb1ES3_N6thrust23THRUST_200600_302600_NS6detail15normal_iteratorINS9_10device_ptrIiEEEESE_SE_iNS9_4plusIvEENS9_8equal_toIiEEiEE10hipError_tPvRmT2_T3_T4_T5_mT6_T7_P12ihipStream_tbENKUlT_T0_E_clISt17integral_constantIbLb0EESZ_EEDaSU_SV_EUlSU_E_NS1_11comp_targetILNS1_3genE4ELNS1_11target_archE910ELNS1_3gpuE8ELNS1_3repE0EEENS1_30default_config_static_selectorELNS0_4arch9wavefront6targetE1EEEvT1_
	.p2align	8
	.type	_ZN7rocprim17ROCPRIM_400000_NS6detail17trampoline_kernelINS0_14default_configENS1_27scan_by_key_config_selectorIiiEEZZNS1_16scan_by_key_implILNS1_25lookback_scan_determinismE0ELb1ES3_N6thrust23THRUST_200600_302600_NS6detail15normal_iteratorINS9_10device_ptrIiEEEESE_SE_iNS9_4plusIvEENS9_8equal_toIiEEiEE10hipError_tPvRmT2_T3_T4_T5_mT6_T7_P12ihipStream_tbENKUlT_T0_E_clISt17integral_constantIbLb0EESZ_EEDaSU_SV_EUlSU_E_NS1_11comp_targetILNS1_3genE4ELNS1_11target_archE910ELNS1_3gpuE8ELNS1_3repE0EEENS1_30default_config_static_selectorELNS0_4arch9wavefront6targetE1EEEvT1_,@function
_ZN7rocprim17ROCPRIM_400000_NS6detail17trampoline_kernelINS0_14default_configENS1_27scan_by_key_config_selectorIiiEEZZNS1_16scan_by_key_implILNS1_25lookback_scan_determinismE0ELb1ES3_N6thrust23THRUST_200600_302600_NS6detail15normal_iteratorINS9_10device_ptrIiEEEESE_SE_iNS9_4plusIvEENS9_8equal_toIiEEiEE10hipError_tPvRmT2_T3_T4_T5_mT6_T7_P12ihipStream_tbENKUlT_T0_E_clISt17integral_constantIbLb0EESZ_EEDaSU_SV_EUlSU_E_NS1_11comp_targetILNS1_3genE4ELNS1_11target_archE910ELNS1_3gpuE8ELNS1_3repE0EEENS1_30default_config_static_selectorELNS0_4arch9wavefront6targetE1EEEvT1_: ; @_ZN7rocprim17ROCPRIM_400000_NS6detail17trampoline_kernelINS0_14default_configENS1_27scan_by_key_config_selectorIiiEEZZNS1_16scan_by_key_implILNS1_25lookback_scan_determinismE0ELb1ES3_N6thrust23THRUST_200600_302600_NS6detail15normal_iteratorINS9_10device_ptrIiEEEESE_SE_iNS9_4plusIvEENS9_8equal_toIiEEiEE10hipError_tPvRmT2_T3_T4_T5_mT6_T7_P12ihipStream_tbENKUlT_T0_E_clISt17integral_constantIbLb0EESZ_EEDaSU_SV_EUlSU_E_NS1_11comp_targetILNS1_3genE4ELNS1_11target_archE910ELNS1_3gpuE8ELNS1_3repE0EEENS1_30default_config_static_selectorELNS0_4arch9wavefront6targetE1EEEvT1_
; %bb.0:
	s_load_dwordx8 s[36:43], s[4:5], 0x0
	s_load_dword s56, s[4:5], 0x20
	s_load_dwordx4 s[44:47], s[4:5], 0x28
	s_load_dwordx2 s[52:53], s[4:5], 0x38
	s_load_dword s0, s[4:5], 0x40
	s_load_dwordx4 s[48:51], s[4:5], 0x48
	s_waitcnt lgkmcnt(0)
	s_lshl_b64 s[34:35], s[38:39], 2
	s_add_u32 s2, s36, s34
	s_addc_u32 s3, s37, s35
	s_add_u32 s4, s40, s34
	s_mul_i32 s1, s53, s0
	s_mul_hi_u32 s7, s52, s0
	s_addc_u32 s5, s41, s35
	s_add_i32 s8, s7, s1
	s_mul_i32 s9, s52, s0
	s_mul_i32 s0, s6, 0xe00
	s_mov_b32 s1, 0
	s_lshl_b64 s[36:37], s[0:1], 2
	s_add_u32 s38, s2, s36
	s_addc_u32 s39, s3, s37
	s_add_u32 s7, s4, s36
	s_addc_u32 s47, s5, s37
	;; [unrolled: 2-line block ×3, first 2 shown]
	s_add_u32 s4, s48, -1
	s_addc_u32 s5, s49, -1
	v_pk_mov_b32 v[2:3], s[4:5], s[4:5] op_sel:[0,1]
	v_cmp_ge_u64_e64 s[0:1], s[0:1], v[2:3]
	s_mov_b64 s[2:3], -1
	s_and_b64 vcc, exec, s[0:1]
	s_mul_i32 s33, s4, 0xfffff200
	s_barrier
	s_cbranch_vccz .LBB536_76
; %bb.1:
	v_pk_mov_b32 v[2:3], s[38:39], s[38:39] op_sel:[0,1]
	flat_load_dword v1, v[2:3]
	s_add_i32 s54, s33, s46
	v_cmp_gt_u32_e32 vcc, s54, v0
	s_waitcnt vmcnt(0) lgkmcnt(0)
	v_mov_b32_e32 v13, v1
	s_and_saveexec_b64 s[4:5], vcc
	s_cbranch_execz .LBB536_3
; %bb.2:
	v_lshlrev_b32_e32 v2, 2, v0
	v_mov_b32_e32 v3, s39
	v_add_co_u32_e64 v2, s[2:3], s38, v2
	v_addc_co_u32_e64 v3, s[2:3], 0, v3, s[2:3]
	flat_load_dword v13, v[2:3]
.LBB536_3:
	s_or_b64 exec, exec, s[4:5]
	v_or_b32_e32 v2, 0x100, v0
	v_cmp_gt_u32_e64 s[2:3], s54, v2
	v_mov_b32_e32 v14, v1
	s_and_saveexec_b64 s[8:9], s[2:3]
	s_cbranch_execz .LBB536_5
; %bb.4:
	v_lshlrev_b32_e32 v2, 2, v0
	v_mov_b32_e32 v3, s39
	v_add_co_u32_e64 v2, s[4:5], s38, v2
	v_addc_co_u32_e64 v3, s[4:5], 0, v3, s[4:5]
	flat_load_dword v14, v[2:3] offset:1024
.LBB536_5:
	s_or_b64 exec, exec, s[8:9]
	v_or_b32_e32 v2, 0x200, v0
	v_cmp_gt_u32_e64 s[4:5], s54, v2
	v_mov_b32_e32 v15, v1
	s_and_saveexec_b64 s[10:11], s[4:5]
	s_cbranch_execz .LBB536_7
; %bb.6:
	v_lshlrev_b32_e32 v2, 2, v0
	v_mov_b32_e32 v3, s39
	v_add_co_u32_e64 v2, s[8:9], s38, v2
	v_addc_co_u32_e64 v3, s[8:9], 0, v3, s[8:9]
	flat_load_dword v15, v[2:3] offset:2048
.LBB536_7:
	;; [unrolled: 13-line block ×3, first 2 shown]
	s_or_b64 exec, exec, s[10:11]
	v_or_b32_e32 v2, 0x400, v0
	v_cmp_gt_u32_e64 s[8:9], s54, v2
	v_lshlrev_b32_e32 v2, 2, v2
	v_mov_b32_e32 v17, v1
	s_and_saveexec_b64 s[12:13], s[8:9]
	s_cbranch_execz .LBB536_11
; %bb.10:
	v_mov_b32_e32 v3, s39
	v_add_co_u32_e64 v4, s[10:11], s38, v2
	v_addc_co_u32_e64 v5, s[10:11], 0, v3, s[10:11]
	flat_load_dword v17, v[4:5]
.LBB536_11:
	s_or_b64 exec, exec, s[12:13]
	v_or_b32_e32 v3, 0x500, v0
	v_cmp_gt_u32_e64 s[10:11], s54, v3
	v_lshlrev_b32_e32 v3, 2, v3
	v_mov_b32_e32 v18, v1
	s_and_saveexec_b64 s[14:15], s[10:11]
	s_cbranch_execz .LBB536_13
; %bb.12:
	v_mov_b32_e32 v5, s39
	v_add_co_u32_e64 v4, s[12:13], s38, v3
	v_addc_co_u32_e64 v5, s[12:13], 0, v5, s[12:13]
	flat_load_dword v18, v[4:5]
.LBB536_13:
	;; [unrolled: 13-line block ×9, first 2 shown]
	s_or_b64 exec, exec, s[30:31]
	v_or_b32_e32 v11, 0xd00, v0
	v_cmp_gt_u32_e64 s[26:27], s54, v11
	v_lshlrev_b32_e32 v11, 2, v11
	s_and_saveexec_b64 s[40:41], s[26:27]
	s_cbranch_execz .LBB536_29
; %bb.28:
	v_mov_b32_e32 v1, s39
	v_add_co_u32_e64 v26, s[30:31], s38, v11
	v_addc_co_u32_e64 v27, s[30:31], 0, v1, s[30:31]
	flat_load_dword v1, v[26:27]
.LBB536_29:
	s_or_b64 exec, exec, s[40:41]
	v_lshlrev_b32_e32 v12, 2, v0
	s_waitcnt vmcnt(0) lgkmcnt(0)
	ds_write2st64_b32 v12, v13, v14 offset1:4
	ds_write2st64_b32 v12, v15, v16 offset0:8 offset1:12
	ds_write2st64_b32 v12, v17, v18 offset0:16 offset1:20
	;; [unrolled: 1-line block ×6, first 2 shown]
	v_pk_mov_b32 v[14:15], s[38:39], s[38:39] op_sel:[0,1]
	s_waitcnt lgkmcnt(0)
	s_barrier
	flat_load_dword v1, v[14:15]
	v_mad_u32_u24 v44, v0, 52, v12
	s_movk_i32 s30, 0xffcc
	ds_read2_b64 v[34:37], v44 offset1:1
	ds_read2_b64 v[30:33], v44 offset0:2 offset1:3
	ds_read2_b64 v[26:29], v44 offset0:4 offset1:5
	ds_read_b64 v[40:41], v44 offset:48
	v_mad_i32_i24 v13, v0, s30, v44
	s_movk_i32 s30, 0xff
	v_cmp_ne_u32_e64 s[30:31], s30, v0
	s_waitcnt lgkmcnt(0)
	ds_write_b32 v13, v34 offset:15360
	s_waitcnt lgkmcnt(0)
	s_barrier
	s_and_saveexec_b64 s[40:41], s[30:31]
	s_cbranch_execz .LBB536_31
; %bb.30:
	s_waitcnt vmcnt(0)
	ds_read_b32 v1, v12 offset:15364
.LBB536_31:
	s_or_b64 exec, exec, s[40:41]
	s_waitcnt lgkmcnt(0)
	s_barrier
	s_waitcnt lgkmcnt(0)
                                        ; implicit-def: $vgpr13
	s_and_saveexec_b64 s[30:31], vcc
	s_cbranch_execz .LBB536_113
; %bb.32:
	v_mov_b32_e32 v13, s47
	v_add_co_u32_e32 v14, vcc, s7, v12
	v_addc_co_u32_e32 v15, vcc, 0, v13, vcc
	flat_load_dword v13, v[14:15]
	s_or_b64 exec, exec, s[30:31]
                                        ; implicit-def: $vgpr14
	s_and_saveexec_b64 s[30:31], s[2:3]
	s_cbranch_execnz .LBB536_114
.LBB536_33:
	s_or_b64 exec, exec, s[30:31]
                                        ; implicit-def: $vgpr15
	s_and_saveexec_b64 s[2:3], s[4:5]
	s_cbranch_execz .LBB536_115
.LBB536_34:
	v_mov_b32_e32 v15, s47
	v_add_co_u32_e32 v16, vcc, s7, v12
	v_addc_co_u32_e32 v17, vcc, 0, v15, vcc
	flat_load_dword v15, v[16:17] offset:2048
	s_or_b64 exec, exec, s[2:3]
                                        ; implicit-def: $vgpr16
	s_and_saveexec_b64 s[2:3], s[28:29]
	s_cbranch_execnz .LBB536_116
.LBB536_35:
	s_or_b64 exec, exec, s[2:3]
                                        ; implicit-def: $vgpr17
	s_and_saveexec_b64 s[2:3], s[8:9]
	s_cbranch_execz .LBB536_117
.LBB536_36:
	v_mov_b32_e32 v17, s47
	v_add_co_u32_e32 v18, vcc, s7, v2
	v_addc_co_u32_e32 v19, vcc, 0, v17, vcc
	flat_load_dword v17, v[18:19]
	s_or_b64 exec, exec, s[2:3]
                                        ; implicit-def: $vgpr2
	s_and_saveexec_b64 s[2:3], s[10:11]
	s_cbranch_execnz .LBB536_118
.LBB536_37:
	s_or_b64 exec, exec, s[2:3]
                                        ; implicit-def: $vgpr3
	s_and_saveexec_b64 s[2:3], s[12:13]
	s_cbranch_execz .LBB536_119
.LBB536_38:
	v_mov_b32_e32 v3, s47
	v_add_co_u32_e32 v18, vcc, s7, v4
	v_addc_co_u32_e32 v19, vcc, 0, v3, vcc
	flat_load_dword v3, v[18:19]
	s_or_b64 exec, exec, s[2:3]
                                        ; implicit-def: $vgpr4
	s_and_saveexec_b64 s[2:3], s[14:15]
	s_cbranch_execnz .LBB536_120
.LBB536_39:
	s_or_b64 exec, exec, s[2:3]
                                        ; implicit-def: $vgpr5
	s_and_saveexec_b64 s[2:3], s[16:17]
	s_cbranch_execz .LBB536_121
.LBB536_40:
	v_mov_b32_e32 v5, s47
	v_add_co_u32_e32 v18, vcc, s7, v6
	v_addc_co_u32_e32 v19, vcc, 0, v5, vcc
	flat_load_dword v5, v[18:19]
	s_or_b64 exec, exec, s[2:3]
                                        ; implicit-def: $vgpr6
	s_and_saveexec_b64 s[2:3], s[18:19]
	s_cbranch_execnz .LBB536_122
.LBB536_41:
	s_or_b64 exec, exec, s[2:3]
                                        ; implicit-def: $vgpr7
	s_and_saveexec_b64 s[2:3], s[20:21]
	s_cbranch_execz .LBB536_123
.LBB536_42:
	v_mov_b32_e32 v7, s47
	v_add_co_u32_e32 v18, vcc, s7, v8
	v_addc_co_u32_e32 v19, vcc, 0, v7, vcc
	flat_load_dword v7, v[18:19]
	s_or_b64 exec, exec, s[2:3]
                                        ; implicit-def: $vgpr8
	s_and_saveexec_b64 s[2:3], s[22:23]
	s_cbranch_execnz .LBB536_124
.LBB536_43:
	s_or_b64 exec, exec, s[2:3]
                                        ; implicit-def: $vgpr9
	s_and_saveexec_b64 s[2:3], s[24:25]
	s_cbranch_execz .LBB536_45
.LBB536_44:
	v_mov_b32_e32 v9, s47
	v_add_co_u32_e32 v18, vcc, s7, v10
	v_addc_co_u32_e32 v19, vcc, 0, v9, vcc
	flat_load_dword v9, v[18:19]
.LBB536_45:
	s_or_b64 exec, exec, s[2:3]
	v_mul_u32_u24_e32 v45, 14, v0
                                        ; implicit-def: $vgpr10
	s_and_saveexec_b64 s[2:3], s[26:27]
	s_cbranch_execz .LBB536_47
; %bb.46:
	v_mov_b32_e32 v18, s47
	v_add_co_u32_e32 v10, vcc, s7, v11
	v_addc_co_u32_e32 v11, vcc, 0, v18, vcc
	flat_load_dword v10, v[10:11]
.LBB536_47:
	s_or_b64 exec, exec, s[2:3]
	s_mov_b32 s8, 0
	s_mov_b32 s9, s8
	s_waitcnt vmcnt(0) lgkmcnt(0)
	ds_write2st64_b32 v12, v13, v14 offset1:4
	ds_write2st64_b32 v12, v15, v16 offset0:8 offset1:12
	ds_write2st64_b32 v12, v17, v2 offset0:16 offset1:20
	;; [unrolled: 1-line block ×6, first 2 shown]
	s_mov_b32 s10, s8
	s_mov_b32 s11, s8
	;; [unrolled: 1-line block ×6, first 2 shown]
	v_pk_mov_b32 v[2:3], s[8:9], s[8:9] op_sel:[0,1]
	v_pk_mov_b32 v[8:9], s[14:15], s[14:15] op_sel:[0,1]
	;; [unrolled: 1-line block ×6, first 2 shown]
	v_cmp_gt_u32_e32 vcc, s54, v45
	s_mov_b64 s[2:3], 0
	v_pk_mov_b32 v[38:39], 0, 0
	s_mov_b64 s[18:19], 0
	v_pk_mov_b32 v[14:15], v[6:7], v[6:7] op_sel:[0,1]
	v_pk_mov_b32 v[12:13], v[4:5], v[4:5] op_sel:[0,1]
	;; [unrolled: 1-line block ×6, first 2 shown]
	s_waitcnt lgkmcnt(0)
	s_barrier
	s_waitcnt lgkmcnt(0)
                                        ; implicit-def: $sgpr16_sgpr17
                                        ; implicit-def: $vgpr42
	s_and_saveexec_b64 s[4:5], vcc
	s_cbranch_execz .LBB536_75
; %bb.48:
	ds_read_b32 v2, v44
	v_mov_b32_e32 v4, s56
	v_cmp_eq_u32_e32 vcc, v34, v35
	v_or_b32_e32 v3, 1, v45
                                        ; implicit-def: $vgpr42
	s_waitcnt lgkmcnt(0)
	v_cndmask_b32_e32 v38, v4, v2, vcc
	v_cmp_ne_u32_e32 vcc, v34, v35
	v_cndmask_b32_e64 v39, 0, 1, vcc
	v_cmp_gt_u32_e32 vcc, s54, v3
	v_pk_mov_b32 v[2:3], s[8:9], s[8:9] op_sel:[0,1]
	v_pk_mov_b32 v[8:9], s[14:15], s[14:15] op_sel:[0,1]
	;; [unrolled: 1-line block ×12, first 2 shown]
                                        ; implicit-def: $sgpr8_sgpr9
	s_and_saveexec_b64 s[16:17], vcc
	s_cbranch_execz .LBB536_74
; %bb.49:
	ds_read2_b32 v[42:43], v44 offset0:1 offset1:2
	s_mov_b32 s8, 0
	v_mov_b32_e32 v3, s56
	v_cmp_eq_u32_e32 vcc, v35, v36
	s_mov_b32 s14, s8
	s_mov_b32 s15, s8
	v_add_u32_e32 v2, 2, v45
	s_waitcnt lgkmcnt(0)
	v_cndmask_b32_e32 v8, v3, v42, vcc
	v_cmp_ne_u32_e32 vcc, v35, v36
	s_mov_b32 s9, s8
	s_mov_b32 s10, s8
	;; [unrolled: 1-line block ×5, first 2 shown]
	v_pk_mov_b32 v[16:17], s[14:15], s[14:15] op_sel:[0,1]
	v_cndmask_b32_e64 v9, 0, 1, vcc
	v_cmp_gt_u32_e32 vcc, s54, v2
	v_mov_b32_e32 v2, 0
	v_pk_mov_b32 v[14:15], s[12:13], s[12:13] op_sel:[0,1]
	v_pk_mov_b32 v[12:13], s[10:11], s[10:11] op_sel:[0,1]
	;; [unrolled: 1-line block ×4, first 2 shown]
	v_mov_b32_e32 v3, v2
	v_mov_b32_e32 v4, v2
	;; [unrolled: 1-line block ×5, first 2 shown]
	s_mov_b64 s[20:21], 0
	v_pk_mov_b32 v[22:23], v[14:15], v[14:15] op_sel:[0,1]
	v_pk_mov_b32 v[20:21], v[12:13], v[12:13] op_sel:[0,1]
	;; [unrolled: 1-line block ×3, first 2 shown]
                                        ; implicit-def: $sgpr24_sgpr25
                                        ; implicit-def: $vgpr42
	s_and_saveexec_b64 s[18:19], vcc
	s_cbranch_execz .LBB536_73
; %bb.50:
	v_mov_b32_e32 v4, s56
	v_cmp_eq_u32_e32 vcc, v36, v37
	v_pk_mov_b32 v[16:17], s[14:15], s[14:15] op_sel:[0,1]
	v_add_u32_e32 v3, 3, v45
	v_cndmask_b32_e32 v6, v4, v43, vcc
	v_cmp_ne_u32_e32 vcc, v36, v37
	v_pk_mov_b32 v[14:15], s[12:13], s[12:13] op_sel:[0,1]
	v_pk_mov_b32 v[12:13], s[10:11], s[10:11] op_sel:[0,1]
	;; [unrolled: 1-line block ×4, first 2 shown]
	v_cndmask_b32_e64 v7, 0, 1, vcc
	v_cmp_gt_u32_e32 vcc, s54, v3
	v_mov_b32_e32 v3, v2
	v_mov_b32_e32 v4, v2
	;; [unrolled: 1-line block ×3, first 2 shown]
	s_mov_b64 s[22:23], 0
	v_pk_mov_b32 v[22:23], v[14:15], v[14:15] op_sel:[0,1]
	v_pk_mov_b32 v[20:21], v[12:13], v[12:13] op_sel:[0,1]
	;; [unrolled: 1-line block ×3, first 2 shown]
                                        ; implicit-def: $sgpr8_sgpr9
                                        ; implicit-def: $vgpr42
	s_and_saveexec_b64 s[20:21], vcc
	s_cbranch_execz .LBB536_72
; %bb.51:
	ds_read2_b32 v[34:35], v44 offset0:3 offset1:4
	s_mov_b32 s8, 0
	s_mov_b32 s14, s8
	;; [unrolled: 1-line block ×3, first 2 shown]
	v_mov_b32_e32 v3, s56
	v_cmp_eq_u32_e32 vcc, v37, v30
	s_mov_b32 s9, s8
	s_mov_b32 s10, s8
	;; [unrolled: 1-line block ×5, first 2 shown]
	v_pk_mov_b32 v[16:17], s[14:15], s[14:15] op_sel:[0,1]
	v_add_u32_e32 v2, 4, v45
	s_waitcnt lgkmcnt(0)
	v_cndmask_b32_e32 v4, v3, v34, vcc
	v_cmp_ne_u32_e32 vcc, v37, v30
	v_pk_mov_b32 v[14:15], s[12:13], s[12:13] op_sel:[0,1]
	v_pk_mov_b32 v[12:13], s[10:11], s[10:11] op_sel:[0,1]
	;; [unrolled: 1-line block ×4, first 2 shown]
	v_cndmask_b32_e64 v5, 0, 1, vcc
	v_cmp_gt_u32_e32 vcc, s54, v2
	v_mov_b32_e32 v2, s8
	v_mov_b32_e32 v3, s8
	s_mov_b64 s[24:25], 0
	v_pk_mov_b32 v[22:23], v[14:15], v[14:15] op_sel:[0,1]
	v_pk_mov_b32 v[20:21], v[12:13], v[12:13] op_sel:[0,1]
	v_pk_mov_b32 v[18:19], v[10:11], v[10:11] op_sel:[0,1]
                                        ; implicit-def: $sgpr26_sgpr27
                                        ; implicit-def: $vgpr42
	s_and_saveexec_b64 s[22:23], vcc
	s_cbranch_execz .LBB536_71
; %bb.52:
	v_mov_b32_e32 v2, s56
	v_cmp_eq_u32_e32 vcc, v30, v31
	v_add_u32_e32 v10, 5, v45
	v_cndmask_b32_e32 v2, v2, v35, vcc
	v_cmp_ne_u32_e32 vcc, v30, v31
	v_cndmask_b32_e64 v3, 0, 1, vcc
	v_cmp_gt_u32_e32 vcc, s54, v10
	v_pk_mov_b32 v[16:17], s[14:15], s[14:15] op_sel:[0,1]
	v_pk_mov_b32 v[14:15], s[12:13], s[12:13] op_sel:[0,1]
	;; [unrolled: 1-line block ×5, first 2 shown]
	s_mov_b64 s[28:29], 0
	v_pk_mov_b32 v[22:23], v[14:15], v[14:15] op_sel:[0,1]
	v_pk_mov_b32 v[20:21], v[12:13], v[12:13] op_sel:[0,1]
	;; [unrolled: 1-line block ×3, first 2 shown]
                                        ; implicit-def: $sgpr8_sgpr9
                                        ; implicit-def: $vgpr42
	s_and_saveexec_b64 s[24:25], vcc
	s_cbranch_execz .LBB536_70
; %bb.53:
	ds_read2_b32 v[34:35], v44 offset0:5 offset1:6
	v_mov_b32_e32 v11, s56
	v_cmp_eq_u32_e32 vcc, v31, v32
	s_mov_b32 s8, 0
	v_add_u32_e32 v10, 6, v45
	s_waitcnt lgkmcnt(0)
	v_cndmask_b32_e32 v16, v11, v34, vcc
	v_cmp_ne_u32_e32 vcc, v31, v32
	s_mov_b32 s14, s8
	s_mov_b32 s15, s8
	v_cndmask_b32_e64 v17, 0, 1, vcc
	v_cmp_gt_u32_e32 vcc, s54, v10
	v_mov_b32_e32 v10, 0
	s_mov_b32 s9, s8
	s_mov_b32 s10, s8
	;; [unrolled: 1-line block ×5, first 2 shown]
	v_pk_mov_b32 v[24:25], s[14:15], s[14:15] op_sel:[0,1]
	v_mov_b32_e32 v11, v10
	v_mov_b32_e32 v12, v10
	;; [unrolled: 1-line block ×5, first 2 shown]
	v_pk_mov_b32 v[22:23], s[12:13], s[12:13] op_sel:[0,1]
	v_pk_mov_b32 v[20:21], s[10:11], s[10:11] op_sel:[0,1]
	;; [unrolled: 1-line block ×3, first 2 shown]
                                        ; implicit-def: $sgpr40_sgpr41
                                        ; implicit-def: $vgpr42
	s_and_saveexec_b64 s[26:27], vcc
	s_cbranch_execz .LBB536_69
; %bb.54:
	v_mov_b32_e32 v12, s56
	v_cmp_eq_u32_e32 vcc, v32, v33
	v_add_u32_e32 v11, 7, v45
	v_cndmask_b32_e32 v14, v12, v35, vcc
	v_cmp_ne_u32_e32 vcc, v32, v33
	v_pk_mov_b32 v[24:25], s[14:15], s[14:15] op_sel:[0,1]
	v_cndmask_b32_e64 v15, 0, 1, vcc
	v_cmp_gt_u32_e32 vcc, s54, v11
	v_mov_b32_e32 v11, v10
	v_mov_b32_e32 v12, v10
	v_mov_b32_e32 v13, v10
	s_mov_b64 s[30:31], 0
	v_pk_mov_b32 v[22:23], s[12:13], s[12:13] op_sel:[0,1]
	v_pk_mov_b32 v[20:21], s[10:11], s[10:11] op_sel:[0,1]
	;; [unrolled: 1-line block ×3, first 2 shown]
                                        ; implicit-def: $sgpr8_sgpr9
                                        ; implicit-def: $vgpr42
	s_and_saveexec_b64 s[28:29], vcc
	s_cbranch_execz .LBB536_68
; %bb.55:
	ds_read2_b32 v[30:31], v44 offset0:7 offset1:8
	s_mov_b32 s8, 0
	v_mov_b32_e32 v11, s56
	v_cmp_eq_u32_e32 vcc, v33, v26
	s_mov_b32 s14, s8
	s_mov_b32 s15, s8
	v_add_u32_e32 v10, 8, v45
	s_waitcnt lgkmcnt(0)
	v_cndmask_b32_e32 v12, v11, v30, vcc
	v_cmp_ne_u32_e32 vcc, v33, v26
	s_mov_b32 s9, s8
	s_mov_b32 s10, s8
	;; [unrolled: 1-line block ×5, first 2 shown]
	v_pk_mov_b32 v[24:25], s[14:15], s[14:15] op_sel:[0,1]
	v_cndmask_b32_e64 v13, 0, 1, vcc
	v_cmp_gt_u32_e32 vcc, s54, v10
	v_mov_b32_e32 v10, s8
	v_mov_b32_e32 v11, s8
	s_mov_b64 s[40:41], 0
	v_pk_mov_b32 v[22:23], s[12:13], s[12:13] op_sel:[0,1]
	v_pk_mov_b32 v[20:21], s[10:11], s[10:11] op_sel:[0,1]
	;; [unrolled: 1-line block ×3, first 2 shown]
                                        ; implicit-def: $sgpr48_sgpr49
                                        ; implicit-def: $vgpr42
	s_and_saveexec_b64 s[30:31], vcc
	s_cbranch_execz .LBB536_67
; %bb.56:
	v_mov_b32_e32 v10, s56
	v_cmp_eq_u32_e32 vcc, v26, v27
	v_add_u32_e32 v18, 9, v45
	v_cndmask_b32_e32 v10, v10, v31, vcc
	v_cmp_ne_u32_e32 vcc, v26, v27
	v_cndmask_b32_e64 v11, 0, 1, vcc
	v_cmp_gt_u32_e32 vcc, s54, v18
	v_pk_mov_b32 v[24:25], s[14:15], s[14:15] op_sel:[0,1]
	v_pk_mov_b32 v[22:23], s[12:13], s[12:13] op_sel:[0,1]
	;; [unrolled: 1-line block ×4, first 2 shown]
                                        ; implicit-def: $sgpr10_sgpr11
                                        ; implicit-def: $vgpr42
	s_and_saveexec_b64 s[8:9], vcc
	s_cbranch_execz .LBB536_66
; %bb.57:
	ds_read2_b32 v[30:31], v44 offset0:9 offset1:10
	v_mov_b32_e32 v18, s56
	v_cmp_eq_u32_e32 vcc, v27, v28
	v_add_u32_e32 v20, 10, v45
	v_mov_b32_e32 v22, 0
	s_waitcnt lgkmcnt(0)
	v_cndmask_b32_e32 v18, v18, v30, vcc
	v_cmp_ne_u32_e32 vcc, v27, v28
	v_cndmask_b32_e64 v19, 0, 1, vcc
	v_cmp_gt_u32_e32 vcc, s54, v20
	v_mov_b32_e32 v20, v22
	v_mov_b32_e32 v21, v22
	;; [unrolled: 1-line block ×5, first 2 shown]
	s_mov_b64 s[12:13], 0
                                        ; implicit-def: $sgpr40_sgpr41
                                        ; implicit-def: $vgpr42
	s_and_saveexec_b64 s[10:11], vcc
	s_cbranch_execz .LBB536_65
; %bb.58:
	v_mov_b32_e32 v20, s56
	v_cmp_eq_u32_e32 vcc, v28, v29
	v_add_u32_e32 v23, 11, v45
	v_cndmask_b32_e32 v20, v20, v31, vcc
	v_cmp_ne_u32_e32 vcc, v28, v29
	v_cndmask_b32_e64 v21, 0, 1, vcc
	v_cmp_gt_u32_e32 vcc, s54, v23
	s_mov_b32 s40, 0
	v_mov_b32_e32 v23, v22
	v_mov_b32_e32 v24, v22
	;; [unrolled: 1-line block ×3, first 2 shown]
	s_mov_b64 s[14:15], 0
                                        ; implicit-def: $sgpr48_sgpr49
                                        ; implicit-def: $vgpr42
	s_and_saveexec_b64 s[12:13], vcc
	s_cbranch_execz .LBB536_64
; %bb.59:
	ds_read2_b32 v[26:27], v44 offset0:11 offset1:12
	v_mov_b32_e32 v22, s56
	v_cmp_eq_u32_e32 vcc, v29, v40
	v_add_u32_e32 v24, 12, v45
	v_mov_b32_e32 v25, s40
	s_waitcnt lgkmcnt(0)
	v_cndmask_b32_e32 v22, v22, v26, vcc
	v_cmp_ne_u32_e32 vcc, v29, v40
	v_cndmask_b32_e64 v23, 0, 1, vcc
	v_cmp_gt_u32_e32 vcc, s54, v24
	v_mov_b32_e32 v24, s40
	s_mov_b64 s[40:41], 0
                                        ; implicit-def: $sgpr48_sgpr49
                                        ; implicit-def: $vgpr42
	s_and_saveexec_b64 s[14:15], vcc
	s_cbranch_execz .LBB536_63
; %bb.60:
	v_mov_b32_e32 v24, s56
	v_cmp_eq_u32_e32 vcc, v40, v41
	v_add_u32_e32 v26, 13, v45
	v_cndmask_b32_e32 v24, v24, v27, vcc
	v_cmp_ne_u32_e32 vcc, v40, v41
	v_cndmask_b32_e64 v25, 0, 1, vcc
	v_cmp_gt_u32_e32 vcc, s54, v26
                                        ; implicit-def: $sgpr48_sgpr49
                                        ; implicit-def: $vgpr42
	s_and_saveexec_b64 s[54:55], vcc
	s_xor_b64 s[54:55], exec, s[54:55]
	s_cbranch_execz .LBB536_62
; %bb.61:
	ds_read_b32 v26, v44 offset:52
	v_mov_b32_e32 v27, s56
	v_cmp_ne_u32_e32 vcc, v41, v1
	s_mov_b64 s[40:41], exec
	s_and_b64 s[48:49], vcc, exec
	s_waitcnt lgkmcnt(0)
	v_cndmask_b32_e32 v42, v26, v27, vcc
.LBB536_62:
	s_or_b64 exec, exec, s[54:55]
	s_and_b64 s[48:49], s[48:49], exec
	s_and_b64 s[40:41], s[40:41], exec
.LBB536_63:
	s_or_b64 exec, exec, s[14:15]
	s_and_b64 s[48:49], s[48:49], exec
	s_and_b64 s[14:15], s[40:41], exec
.LBB536_64:
	s_or_b64 exec, exec, s[12:13]
	s_and_b64 s[40:41], s[48:49], exec
	s_and_b64 s[12:13], s[14:15], exec
.LBB536_65:
	s_or_b64 exec, exec, s[10:11]
	s_and_b64 s[10:11], s[40:41], exec
	s_and_b64 s[40:41], s[12:13], exec
.LBB536_66:
	s_or_b64 exec, exec, s[8:9]
	s_and_b64 s[48:49], s[10:11], exec
	s_and_b64 s[40:41], s[40:41], exec
.LBB536_67:
	s_or_b64 exec, exec, s[30:31]
	s_and_b64 s[8:9], s[48:49], exec
	s_and_b64 s[30:31], s[40:41], exec
.LBB536_68:
	s_or_b64 exec, exec, s[28:29]
	s_and_b64 s[40:41], s[8:9], exec
	s_and_b64 s[28:29], s[30:31], exec
.LBB536_69:
	s_or_b64 exec, exec, s[26:27]
	s_and_b64 s[8:9], s[40:41], exec
	s_and_b64 s[28:29], s[28:29], exec
.LBB536_70:
	s_or_b64 exec, exec, s[24:25]
	s_and_b64 s[26:27], s[8:9], exec
	s_and_b64 s[24:25], s[28:29], exec
.LBB536_71:
	s_or_b64 exec, exec, s[22:23]
	s_and_b64 s[8:9], s[26:27], exec
	s_and_b64 s[22:23], s[24:25], exec
.LBB536_72:
	s_or_b64 exec, exec, s[20:21]
	s_and_b64 s[24:25], s[8:9], exec
	s_and_b64 s[20:21], s[22:23], exec
.LBB536_73:
	s_or_b64 exec, exec, s[18:19]
	s_and_b64 s[8:9], s[24:25], exec
	s_and_b64 s[18:19], s[20:21], exec
.LBB536_74:
	s_or_b64 exec, exec, s[16:17]
	s_and_b64 s[16:17], s[8:9], exec
	s_and_b64 s[18:19], s[18:19], exec
.LBB536_75:
	s_or_b64 exec, exec, s[4:5]
	s_and_b64 vcc, exec, s[2:3]
	v_lshlrev_b32_e32 v50, 2, v0
	s_cbranch_vccnz .LBB536_77
	s_branch .LBB536_82
.LBB536_76:
	s_mov_b64 s[18:19], 0
                                        ; implicit-def: $sgpr16_sgpr17
                                        ; implicit-def: $vgpr2_vgpr3_vgpr4_vgpr5_vgpr6_vgpr7_vgpr8_vgpr9
                                        ; implicit-def: $vgpr10_vgpr11_vgpr12_vgpr13_vgpr14_vgpr15_vgpr16_vgpr17
                                        ; implicit-def: $vgpr18_vgpr19_vgpr20_vgpr21_vgpr22_vgpr23_vgpr24_vgpr25
                                        ; implicit-def: $vgpr42
                                        ; implicit-def: $vgpr38_vgpr39
	s_and_b64 vcc, exec, s[2:3]
	v_lshlrev_b32_e32 v50, 2, v0
	s_cbranch_vccz .LBB536_82
.LBB536_77:
	v_mov_b32_e32 v1, s39
	v_add_co_u32_e32 v2, vcc, s38, v50
	v_addc_co_u32_e32 v3, vcc, 0, v1, vcc
	v_add_co_u32_e32 v4, vcc, 0x1000, v2
	v_addc_co_u32_e32 v5, vcc, 0, v3, vcc
	flat_load_dword v1, v[2:3]
	flat_load_dword v6, v[2:3] offset:1024
	flat_load_dword v7, v[2:3] offset:2048
	;; [unrolled: 1-line block ×3, first 2 shown]
	flat_load_dword v9, v[4:5]
	flat_load_dword v10, v[4:5] offset:1024
	flat_load_dword v11, v[4:5] offset:2048
	;; [unrolled: 1-line block ×3, first 2 shown]
	v_add_co_u32_e32 v4, vcc, 0x2000, v2
	v_addc_co_u32_e32 v5, vcc, 0, v3, vcc
	v_add_co_u32_e32 v2, vcc, 0x3000, v2
	v_addc_co_u32_e32 v3, vcc, 0, v3, vcc
	flat_load_dword v13, v[4:5]
	flat_load_dword v14, v[4:5] offset:1024
	flat_load_dword v15, v[4:5] offset:2048
	;; [unrolled: 1-line block ×3, first 2 shown]
	flat_load_dword v17, v[2:3]
	flat_load_dword v18, v[2:3] offset:1024
	v_mov_b32_e32 v2, s38
	v_mov_b32_e32 v3, s39
	v_add_co_u32_e32 v2, vcc, 0x3000, v2
	v_addc_co_u32_e32 v3, vcc, 0, v3, vcc
	s_movk_i32 s4, 0xffcc
	s_movk_i32 s9, 0x1000
	s_mov_b32 s2, 0
	s_movk_i32 s8, 0x2000
	s_movk_i32 s3, 0x3000
	s_waitcnt vmcnt(0) lgkmcnt(0)
	ds_write2st64_b32 v50, v1, v6 offset1:4
	ds_write2st64_b32 v50, v7, v8 offset0:8 offset1:12
	ds_write2st64_b32 v50, v9, v10 offset0:16 offset1:20
	;; [unrolled: 1-line block ×6, first 2 shown]
	s_waitcnt lgkmcnt(0)
	s_barrier
	flat_load_dword v1, v[2:3] offset:2048
	v_mad_u32_u24 v6, v0, 52, v50
	v_mad_i32_i24 v2, v0, s4, v6
	s_movk_i32 s4, 0xff
	v_cmp_ne_u32_e32 vcc, s4, v0
	ds_read2_b32 v[26:27], v6 offset1:13
	ds_read2_b32 v[18:19], v6 offset0:7 offset1:8
	ds_read2_b32 v[20:21], v6 offset0:5 offset1:6
	;; [unrolled: 1-line block ×6, first 2 shown]
	s_waitcnt lgkmcnt(0)
	ds_write_b32 v2, v26 offset:15360
	s_waitcnt lgkmcnt(0)
	s_barrier
	s_and_saveexec_b64 s[4:5], vcc
	s_cbranch_execz .LBB536_79
; %bb.78:
	s_waitcnt vmcnt(0)
	ds_read_b32 v1, v50 offset:15364
.LBB536_79:
	s_or_b64 exec, exec, s[4:5]
	v_mov_b32_e32 v3, s47
	v_add_co_u32_e32 v2, vcc, s7, v50
	v_addc_co_u32_e32 v3, vcc, 0, v3, vcc
	v_add_co_u32_e32 v4, vcc, s9, v2
	v_addc_co_u32_e32 v5, vcc, 0, v3, vcc
	s_waitcnt lgkmcnt(0)
	s_barrier
	flat_load_dword v7, v[2:3]
	flat_load_dword v8, v[2:3] offset:1024
	flat_load_dword v9, v[2:3] offset:2048
	;; [unrolled: 1-line block ×3, first 2 shown]
	flat_load_dword v15, v[4:5]
	flat_load_dword v16, v[4:5] offset:1024
	flat_load_dword v17, v[4:5] offset:2048
	;; [unrolled: 1-line block ×3, first 2 shown]
	v_add_co_u32_e32 v4, vcc, s8, v2
	v_addc_co_u32_e32 v5, vcc, 0, v3, vcc
	v_add_co_u32_e32 v2, vcc, s3, v2
	v_addc_co_u32_e32 v3, vcc, 0, v3, vcc
	flat_load_dword v23, v[4:5]
	flat_load_dword v24, v[4:5] offset:1024
	flat_load_dword v25, v[4:5] offset:2048
	;; [unrolled: 1-line block ×3, first 2 shown]
	flat_load_dword v33, v[2:3]
	flat_load_dword v34, v[2:3] offset:1024
	s_mov_b32 s3, 1
	v_cmp_eq_u32_e32 vcc, v26, v12
	v_pk_mov_b32 v[38:39], s[2:3], s[2:3] op_sel:[0,1]
	s_waitcnt vmcnt(0) lgkmcnt(0)
	ds_write2st64_b32 v50, v7, v8 offset1:4
	ds_write2st64_b32 v50, v9, v14 offset0:8 offset1:12
	ds_write2st64_b32 v50, v15, v16 offset0:16 offset1:20
	ds_write2st64_b32 v50, v17, v22 offset0:24 offset1:28
	ds_write2st64_b32 v50, v23, v24 offset0:32 offset1:36
	ds_write2st64_b32 v50, v25, v32 offset0:40 offset1:44
	ds_write2st64_b32 v50, v33, v34 offset0:48 offset1:52
	s_waitcnt lgkmcnt(0)
	s_barrier
	ds_read2_b32 v[24:25], v6 offset0:7 offset1:8
	ds_read2_b32 v[14:15], v6 offset0:5 offset1:6
	;; [unrolled: 1-line block ×4, first 2 shown]
	ds_read_b32 v34, v6 offset:52
	ds_read2_b32 v[22:23], v6 offset0:11 offset1:12
	ds_read2_b32 v[32:33], v6 offset0:9 offset1:10
	v_mov_b32_e32 v7, s56
	s_and_saveexec_b64 s[2:3], vcc
	s_cbranch_execz .LBB536_81
; %bb.80:
	ds_read_b32 v7, v6
	v_pk_mov_b32 v[38:39], 0, 0
.LBB536_81:
	s_or_b64 exec, exec, s[2:3]
	v_mov_b32_e32 v26, s56
	v_cmp_eq_u32_e32 vcc, v12, v13
	s_waitcnt lgkmcnt(3)
	v_cndmask_b32_e32 v8, v26, v4, vcc
	v_cmp_eq_u32_e32 vcc, v13, v10
	v_cndmask_b32_e32 v6, v26, v5, vcc
	v_cmp_eq_u32_e32 vcc, v10, v11
	;; [unrolled: 2-line block ×3, first 2 shown]
	v_cndmask_b32_e32 v2, v26, v3, vcc
	v_cmp_ne_u32_e32 vcc, v12, v13
	v_cndmask_b32_e64 v9, 0, 1, vcc
	v_cmp_ne_u32_e32 vcc, v13, v10
	s_waitcnt lgkmcnt(0)
	v_or_b32_e32 v38, v38, v7
	v_cndmask_b32_e64 v7, 0, 1, vcc
	v_cmp_ne_u32_e32 vcc, v10, v11
	v_cndmask_b32_e64 v5, 0, 1, vcc
	v_cmp_ne_u32_e32 vcc, v11, v20
	v_cndmask_b32_e64 v3, 0, 1, vcc
	v_cmp_eq_u32_e32 vcc, v20, v21
	v_cndmask_b32_e32 v16, v26, v14, vcc
	v_cmp_eq_u32_e32 vcc, v21, v18
	v_cndmask_b32_e32 v14, v26, v15, vcc
	v_cmp_eq_u32_e32 vcc, v18, v19
	v_cndmask_b32_e32 v12, v26, v24, vcc
	v_cmp_eq_u32_e32 vcc, v19, v28
	v_cndmask_b32_e32 v10, v26, v25, vcc
	v_cmp_ne_u32_e32 vcc, v20, v21
	v_cndmask_b32_e64 v17, 0, 1, vcc
	v_cmp_ne_u32_e32 vcc, v21, v18
	v_cndmask_b32_e64 v15, 0, 1, vcc
	;; [unrolled: 2-line block ×4, first 2 shown]
	v_cmp_eq_u32_e32 vcc, v31, v27
	v_cndmask_b32_e32 v24, v26, v23, vcc
	v_cmp_eq_u32_e32 vcc, v30, v31
	v_cndmask_b32_e32 v22, v26, v22, vcc
	;; [unrolled: 2-line block ×4, first 2 shown]
	v_cmp_ne_u32_e32 vcc, v31, v27
	v_cndmask_b32_e64 v25, 0, 1, vcc
	v_cmp_ne_u32_e32 vcc, v30, v31
	v_cndmask_b32_e64 v23, 0, 1, vcc
	;; [unrolled: 2-line block ×3, first 2 shown]
	v_cmp_ne_u32_e32 vcc, v28, v29
	v_cmp_ne_u32_e64 s[16:17], v27, v1
	v_cndmask_b32_e64 v19, 0, 1, vcc
	v_cndmask_b32_e64 v42, v34, v26, s[16:17]
	s_mov_b64 s[18:19], -1
                                        ; implicit-def: $sgpr2_sgpr3
.LBB536_82:
	v_pk_mov_b32 v[40:41], s[2:3], s[2:3] op_sel:[0,1]
	s_and_saveexec_b64 s[2:3], s[18:19]
; %bb.83:
	v_cndmask_b32_e64 v43, 0, 1, s[16:17]
	v_pk_mov_b32 v[40:41], v[42:43], v[42:43] op_sel:[0,1]
; %bb.84:
	s_or_b64 exec, exec, s[2:3]
	s_mov_b32 s26, 0
	s_cmp_lg_u32 s6, 0
	v_mbcnt_lo_u32_b32 v52, -1, 0
	v_lshrrev_b32_e32 v1, 6, v0
	v_or_b32_e32 v51, 63, v0
	s_barrier
	s_cbranch_scc0 .LBB536_125
; %bb.85:
	s_mov_b32 s27, 1
	v_cmp_gt_u64_e64 s[2:3], s[26:27], v[8:9]
	v_cndmask_b32_e64 v27, 0, v38, s[2:3]
	v_add_u32_e32 v27, v27, v8
	v_cmp_gt_u64_e64 s[4:5], s[26:27], v[6:7]
	v_cndmask_b32_e64 v27, 0, v27, s[4:5]
	v_add_u32_e32 v27, v27, v6
	;; [unrolled: 3-line block ×12, first 2 shown]
	v_cmp_gt_u64_e32 vcc, s[26:27], v[40:41]
	v_cndmask_b32_e32 v27, 0, v27, vcc
	v_add_u32_e32 v28, v27, v40
	v_or3_b32 v27, v41, v25, v23
	v_or3_b32 v27, v27, v21, v19
	;; [unrolled: 1-line block ×6, first 2 shown]
	v_mov_b32_e32 v26, 0
	v_and_b32_e32 v27, 1, v27
	v_cmp_eq_u64_e32 vcc, 0, v[26:27]
	v_cndmask_b32_e32 v27, 1, v39, vcc
	v_and_b32_e32 v29, 0xff, v27
	v_mov_b32_dpp v31, v28 row_shr:1 row_mask:0xf bank_mask:0xf
	v_cmp_eq_u16_e32 vcc, 0, v29
	v_mov_b32_dpp v32, v29 row_shr:1 row_mask:0xf bank_mask:0xf
	v_and_b32_e32 v33, 1, v27
	v_mbcnt_hi_u32_b32 v46, -1, v52
	v_cndmask_b32_e32 v31, 0, v31, vcc
	v_and_b32_e32 v32, 1, v32
	v_cmp_eq_u32_e32 vcc, 1, v33
	v_and_b32_e32 v30, 15, v46
	v_cndmask_b32_e64 v32, v32, 1, vcc
	v_and_b32_e32 v33, 0xffff, v32
	v_cmp_eq_u32_e32 vcc, 0, v30
	v_cndmask_b32_e32 v27, v32, v27, vcc
	v_cndmask_b32_e32 v29, v33, v29, vcc
	v_and_b32_e32 v33, 1, v27
	v_cndmask_b32_e64 v31, v31, 0, vcc
	v_mov_b32_dpp v32, v29 row_shr:2 row_mask:0xf bank_mask:0xf
	v_and_b32_e32 v32, 1, v32
	v_cmp_eq_u32_e32 vcc, 1, v33
	v_cndmask_b32_e64 v32, v32, 1, vcc
	v_and_b32_e32 v33, 0xffff, v32
	v_cmp_lt_u32_e32 vcc, 1, v30
	v_add_u32_e32 v28, v31, v28
	v_cmp_eq_u16_sdwa s[26:27], v27, v26 src0_sel:BYTE_0 src1_sel:DWORD
	v_cndmask_b32_e32 v27, v27, v32, vcc
	v_cndmask_b32_e32 v29, v29, v33, vcc
	v_mov_b32_dpp v31, v28 row_shr:2 row_mask:0xf bank_mask:0xf
	s_and_b64 vcc, vcc, s[26:27]
	v_mov_b32_dpp v32, v29 row_shr:4 row_mask:0xf bank_mask:0xf
	v_and_b32_e32 v33, 1, v27
	v_cndmask_b32_e32 v31, 0, v31, vcc
	v_and_b32_e32 v32, 1, v32
	v_cmp_eq_u32_e32 vcc, 1, v33
	v_cndmask_b32_e64 v32, v32, 1, vcc
	v_and_b32_e32 v33, 0xffff, v32
	v_cmp_lt_u32_e32 vcc, 3, v30
	v_add_u32_e32 v28, v31, v28
	v_cmp_eq_u16_sdwa s[26:27], v27, v26 src0_sel:BYTE_0 src1_sel:DWORD
	v_cndmask_b32_e32 v27, v27, v32, vcc
	v_cndmask_b32_e32 v29, v29, v33, vcc
	v_mov_b32_dpp v31, v28 row_shr:4 row_mask:0xf bank_mask:0xf
	s_and_b64 vcc, vcc, s[26:27]
	v_mov_b32_dpp v32, v29 row_shr:8 row_mask:0xf bank_mask:0xf
	v_and_b32_e32 v33, 1, v27
	v_cndmask_b32_e32 v31, 0, v31, vcc
	v_and_b32_e32 v32, 1, v32
	v_cmp_eq_u32_e32 vcc, 1, v33
	v_cndmask_b32_e64 v32, v32, 1, vcc
	v_add_u32_e32 v28, v31, v28
	v_cmp_eq_u16_sdwa s[26:27], v27, v26 src0_sel:BYTE_0 src1_sel:DWORD
	v_and_b32_e32 v33, 0xffff, v32
	v_cmp_lt_u32_e32 vcc, 7, v30
	v_mov_b32_dpp v31, v28 row_shr:8 row_mask:0xf bank_mask:0xf
	v_cndmask_b32_e32 v27, v27, v32, vcc
	v_cndmask_b32_e32 v29, v29, v33, vcc
	s_and_b64 vcc, vcc, s[26:27]
	v_cndmask_b32_e32 v30, 0, v31, vcc
	v_add_u32_e32 v28, v30, v28
	v_mov_b32_dpp v31, v29 row_bcast:15 row_mask:0xf bank_mask:0xf
	v_cmp_eq_u16_sdwa vcc, v27, v26 src0_sel:BYTE_0 src1_sel:DWORD
	v_mov_b32_dpp v30, v28 row_bcast:15 row_mask:0xf bank_mask:0xf
	v_and_b32_e32 v34, 1, v27
	v_cndmask_b32_e32 v30, 0, v30, vcc
	v_and_b32_e32 v31, 1, v31
	v_cmp_eq_u32_e32 vcc, 1, v34
	v_and_b32_e32 v33, 16, v46
	v_cndmask_b32_e64 v31, v31, 1, vcc
	v_and_b32_e32 v34, 0xffff, v31
	v_cmp_eq_u32_e32 vcc, 0, v33
	v_cndmask_b32_e32 v27, v31, v27, vcc
	v_cndmask_b32_e32 v29, v34, v29, vcc
	v_bfe_i32 v32, v46, 4, 1
	v_cmp_eq_u16_sdwa s[26:27], v27, v26 src0_sel:BYTE_0 src1_sel:DWORD
	v_mov_b32_dpp v29, v29 row_bcast:31 row_mask:0xf bank_mask:0xf
	v_and_b32_e32 v26, 1, v27
	v_and_b32_e32 v30, v32, v30
	;; [unrolled: 1-line block ×3, first 2 shown]
	v_cmp_eq_u32_e32 vcc, 1, v26
	v_add_u32_e32 v28, v30, v28
	v_cndmask_b32_e64 v26, v29, 1, vcc
	v_cmp_lt_u32_e32 vcc, 31, v46
	v_mov_b32_dpp v30, v28 row_bcast:31 row_mask:0xf bank_mask:0xf
	v_cndmask_b32_e32 v29, v27, v26, vcc
	s_and_b64 vcc, vcc, s[26:27]
	v_cndmask_b32_e32 v26, 0, v30, vcc
	v_add_u32_e32 v28, v26, v28
	v_cmp_eq_u32_e32 vcc, v51, v0
	s_and_saveexec_b64 s[26:27], vcc
	s_cbranch_execz .LBB536_87
; %bb.86:
	v_lshlrev_b32_e32 v26, 3, v1
	ds_write_b32 v26, v28
	ds_write_b8 v26, v29 offset:4
.LBB536_87:
	s_or_b64 exec, exec, s[26:27]
	v_cmp_gt_u32_e32 vcc, 4, v0
	s_waitcnt lgkmcnt(0)
	s_barrier
	s_and_saveexec_b64 s[26:27], vcc
	s_cbranch_execz .LBB536_91
; %bb.88:
	v_lshlrev_b32_e32 v30, 3, v0
	ds_read_b64 v[26:27], v30
	v_and_b32_e32 v31, 3, v46
	v_cmp_ne_u32_e32 vcc, 0, v31
	s_waitcnt lgkmcnt(0)
	v_mov_b32_dpp v32, v26 row_shr:1 row_mask:0xf bank_mask:0xf
	v_mov_b32_dpp v34, v27 row_shr:1 row_mask:0xf bank_mask:0xf
	v_mov_b32_e32 v33, v27
	s_and_saveexec_b64 s[30:31], vcc
	s_cbranch_execz .LBB536_90
; %bb.89:
	v_and_b32_e32 v33, 1, v27
	v_and_b32_e32 v34, 1, v34
	v_cmp_eq_u32_e32 vcc, 1, v33
	v_mov_b32_e32 v33, 0
	v_cndmask_b32_e64 v34, v34, 1, vcc
	v_cmp_eq_u16_sdwa vcc, v27, v33 src0_sel:BYTE_0 src1_sel:DWORD
	v_cndmask_b32_e32 v32, 0, v32, vcc
	v_add_u32_e32 v26, v32, v26
	v_and_b32_e32 v32, 0xffff, v34
	s_movk_i32 s7, 0xff00
	v_and_or_b32 v33, v27, s7, v32
	v_mov_b32_e32 v27, v34
.LBB536_90:
	s_or_b64 exec, exec, s[30:31]
	v_mov_b32_dpp v33, v33 row_shr:2 row_mask:0xf bank_mask:0xf
	v_and_b32_e32 v34, 1, v27
	v_and_b32_e32 v33, 1, v33
	v_cmp_eq_u32_e32 vcc, 1, v34
	v_mov_b32_e32 v34, 0
	v_cndmask_b32_e64 v33, v33, 1, vcc
	v_cmp_eq_u16_sdwa s[30:31], v27, v34 src0_sel:BYTE_0 src1_sel:DWORD
	v_cmp_lt_u32_e32 vcc, 1, v31
	v_mov_b32_dpp v32, v26 row_shr:2 row_mask:0xf bank_mask:0xf
	v_cndmask_b32_e32 v27, v27, v33, vcc
	s_and_b64 vcc, vcc, s[30:31]
	v_cndmask_b32_e32 v31, 0, v32, vcc
	v_add_u32_e32 v26, v31, v26
	ds_write_b32 v30, v26
	ds_write_b8 v30, v27 offset:4
.LBB536_91:
	s_or_b64 exec, exec, s[26:27]
	v_cmp_gt_u32_e32 vcc, 64, v0
	v_cmp_lt_u32_e64 s[26:27], 63, v0
	v_mov_b32_e32 v42, 0
	v_mov_b32_e32 v43, 0
	s_waitcnt lgkmcnt(0)
	s_barrier
	s_and_saveexec_b64 s[30:31], s[26:27]
	s_cbranch_execz .LBB536_93
; %bb.92:
	v_lshl_add_u32 v26, v1, 3, -8
	ds_read_b32 v42, v26
	ds_read_u8 v43, v26 offset:4
	v_mov_b32_e32 v27, 0
	v_and_b32_e32 v30, 1, v29
	v_cmp_eq_u16_sdwa s[26:27], v29, v27 src0_sel:BYTE_0 src1_sel:DWORD
	s_waitcnt lgkmcnt(1)
	v_cndmask_b32_e64 v26, 0, v42, s[26:27]
	v_cmp_eq_u32_e64 s[26:27], 1, v30
	v_add_u32_e32 v28, v26, v28
	s_waitcnt lgkmcnt(0)
	v_cndmask_b32_e64 v29, v43, 1, s[26:27]
.LBB536_93:
	s_or_b64 exec, exec, s[30:31]
	v_and_b32_e32 v26, 0xff, v29
	v_add_u32_e32 v27, -1, v46
	v_and_b32_e32 v29, 64, v46
	v_cmp_lt_i32_e64 s[26:27], v27, v29
	v_cndmask_b32_e64 v27, v27, v46, s[26:27]
	v_lshlrev_b32_e32 v27, 2, v27
	ds_bpermute_b32 v44, v27, v28
	ds_bpermute_b32 v45, v27, v26
	v_cmp_eq_u32_e64 s[26:27], 0, v46
	s_and_saveexec_b64 s[38:39], vcc
	s_cbranch_execz .LBB536_112
; %bb.94:
	v_mov_b32_e32 v29, 0
	ds_read_b64 v[26:27], v29 offset:24
	s_waitcnt lgkmcnt(0)
	v_readfirstlane_b32 s7, v27
	s_and_saveexec_b64 s[30:31], s[26:27]
	s_cbranch_execz .LBB536_96
; %bb.95:
	s_add_i32 s40, s6, 64
	s_mov_b32 s41, 0
	s_lshl_b64 s[48:49], s[40:41], 4
	s_add_u32 s48, s44, s48
	s_addc_u32 s49, s45, s49
	s_and_b32 s55, s7, 0xff000000
	s_mov_b32 s54, s41
	s_and_b32 s59, s7, 0xff0000
	s_mov_b32 s58, s41
	s_or_b64 s[54:55], s[58:59], s[54:55]
	s_and_b32 s59, s7, 0xff00
	s_or_b64 s[54:55], s[54:55], s[58:59]
	s_and_b32 s59, s7, 0xff
	s_or_b64 s[40:41], s[54:55], s[58:59]
	v_mov_b32_e32 v27, s41
	v_mov_b32_e32 v28, 1
	v_pk_mov_b32 v[30:31], s[48:49], s[48:49] op_sel:[0,1]
	;;#ASMSTART
	global_store_dwordx4 v[30:31], v[26:29] off	
s_waitcnt vmcnt(0)
	;;#ASMEND
.LBB536_96:
	s_or_b64 exec, exec, s[30:31]
	v_xad_u32 v34, v46, -1, s6
	v_add_u32_e32 v28, 64, v34
	v_lshlrev_b64 v[30:31], 4, v[28:29]
	v_mov_b32_e32 v27, s45
	v_add_co_u32_e32 v36, vcc, s44, v30
	v_addc_co_u32_e32 v37, vcc, v27, v31, vcc
	;;#ASMSTART
	global_load_dwordx4 v[30:33], v[36:37] off glc	
s_waitcnt vmcnt(0)
	;;#ASMEND
	v_and_b32_e32 v27, 0xff0000, v30
	v_or_b32_sdwa v27, v30, v27 dst_sel:DWORD dst_unused:UNUSED_PAD src0_sel:WORD_0 src1_sel:DWORD
	v_and_b32_e32 v28, 0xff000000, v30
	v_and_b32_e32 v30, 0xff, v31
	v_or3_b32 v31, 0, 0, v30
	v_or3_b32 v30, v27, v28, 0
	v_cmp_eq_u16_sdwa s[40:41], v32, v29 src0_sel:BYTE_0 src1_sel:DWORD
	s_and_saveexec_b64 s[30:31], s[40:41]
	s_cbranch_execz .LBB536_100
; %bb.97:
	s_mov_b64 s[40:41], 0
	v_mov_b32_e32 v27, 0
.LBB536_98:                             ; =>This Inner Loop Header: Depth=1
	;;#ASMSTART
	global_load_dwordx4 v[30:33], v[36:37] off glc	
s_waitcnt vmcnt(0)
	;;#ASMEND
	v_cmp_ne_u16_sdwa s[48:49], v32, v27 src0_sel:BYTE_0 src1_sel:DWORD
	s_or_b64 s[40:41], s[48:49], s[40:41]
	s_andn2_b64 exec, exec, s[40:41]
	s_cbranch_execnz .LBB536_98
; %bb.99:
	s_or_b64 exec, exec, s[40:41]
	v_and_b32_e32 v31, 0xff, v31
.LBB536_100:
	s_or_b64 exec, exec, s[30:31]
	v_mov_b32_e32 v27, 2
	v_cmp_eq_u16_sdwa s[30:31], v32, v27 src0_sel:BYTE_0 src1_sel:DWORD
	v_lshlrev_b64 v[28:29], v46, -1
	v_and_b32_e32 v33, s31, v29
	v_or_b32_e32 v33, 0x80000000, v33
	v_and_b32_e32 v35, s30, v28
	v_ffbl_b32_e32 v33, v33
	v_and_b32_e32 v47, 63, v46
	v_add_u32_e32 v33, 32, v33
	v_ffbl_b32_e32 v35, v35
	v_cmp_ne_u32_e32 vcc, 63, v47
	v_min_u32_e32 v33, v35, v33
	v_addc_co_u32_e32 v35, vcc, 0, v46, vcc
	v_lshlrev_b32_e32 v48, 2, v35
	ds_bpermute_b32 v35, v48, v31
	ds_bpermute_b32 v36, v48, v30
	s_mov_b32 s40, 0
	v_and_b32_e32 v37, 1, v31
	s_mov_b32 s41, 1
	s_waitcnt lgkmcnt(1)
	v_and_b32_e32 v35, 1, v35
	v_cmp_eq_u32_e32 vcc, 1, v37
	v_cndmask_b32_e64 v35, v35, 1, vcc
	v_cmp_gt_u64_e32 vcc, s[40:41], v[30:31]
	v_cmp_lt_u32_e64 s[30:31], v47, v33
	s_and_b64 vcc, s[30:31], vcc
	v_and_b32_e32 v37, 0xffff, v35
	v_cndmask_b32_e64 v54, v31, v35, s[30:31]
	s_waitcnt lgkmcnt(0)
	v_cndmask_b32_e32 v35, 0, v36, vcc
	v_cmp_gt_u32_e32 vcc, 62, v47
	v_cndmask_b32_e64 v36, 0, 1, vcc
	v_lshlrev_b32_e32 v36, 1, v36
	v_cndmask_b32_e64 v31, v31, v37, s[30:31]
	v_add_lshl_u32 v49, v36, v46, 2
	ds_bpermute_b32 v36, v49, v31
	v_add_u32_e32 v30, v35, v30
	ds_bpermute_b32 v37, v49, v30
	v_and_b32_e32 v35, 1, v54
	v_cmp_eq_u32_e32 vcc, 1, v35
	s_waitcnt lgkmcnt(1)
	v_and_b32_e32 v36, 1, v36
	v_mov_b32_e32 v35, 0
	v_add_u32_e32 v53, 2, v47
	v_cndmask_b32_e64 v36, v36, 1, vcc
	v_cmp_eq_u16_sdwa vcc, v54, v35 src0_sel:BYTE_0 src1_sel:DWORD
	v_and_b32_e32 v55, 0xffff, v36
	s_waitcnt lgkmcnt(0)
	v_cndmask_b32_e32 v37, 0, v37, vcc
	v_cmp_gt_u32_e32 vcc, v53, v33
	v_cndmask_b32_e32 v36, v36, v54, vcc
	v_cndmask_b32_e64 v37, v37, 0, vcc
	v_cndmask_b32_e32 v31, v55, v31, vcc
	v_cmp_gt_u32_e32 vcc, 60, v47
	v_cndmask_b32_e64 v54, 0, 1, vcc
	v_lshlrev_b32_e32 v54, 2, v54
	v_add_lshl_u32 v54, v54, v46, 2
	ds_bpermute_b32 v56, v54, v31
	v_add_u32_e32 v30, v37, v30
	ds_bpermute_b32 v37, v54, v30
	v_and_b32_e32 v57, 1, v36
	v_cmp_eq_u32_e32 vcc, 1, v57
	s_waitcnt lgkmcnt(1)
	v_and_b32_e32 v56, 1, v56
	v_add_u32_e32 v55, 4, v47
	v_cndmask_b32_e64 v56, v56, 1, vcc
	v_cmp_eq_u16_sdwa vcc, v36, v35 src0_sel:BYTE_0 src1_sel:DWORD
	v_and_b32_e32 v57, 0xffff, v56
	s_waitcnt lgkmcnt(0)
	v_cndmask_b32_e32 v37, 0, v37, vcc
	v_cmp_gt_u32_e32 vcc, v55, v33
	v_cndmask_b32_e32 v36, v56, v36, vcc
	v_cndmask_b32_e64 v37, v37, 0, vcc
	v_cndmask_b32_e32 v31, v57, v31, vcc
	v_cmp_gt_u32_e32 vcc, 56, v47
	v_cndmask_b32_e64 v56, 0, 1, vcc
	v_lshlrev_b32_e32 v56, 3, v56
	v_add_lshl_u32 v56, v56, v46, 2
	ds_bpermute_b32 v58, v56, v31
	v_add_u32_e32 v30, v37, v30
	ds_bpermute_b32 v37, v56, v30
	v_and_b32_e32 v59, 1, v36
	v_cmp_eq_u32_e32 vcc, 1, v59
	s_waitcnt lgkmcnt(1)
	v_and_b32_e32 v58, 1, v58
	;; [unrolled: 21-line block ×4, first 2 shown]
	v_add_u32_e32 v62, 32, v47
	v_cndmask_b32_e64 v31, v31, 1, vcc
	v_cmp_eq_u16_sdwa vcc, v36, v35 src0_sel:BYTE_0 src1_sel:DWORD
	s_waitcnt lgkmcnt(0)
	v_cndmask_b32_e32 v37, 0, v37, vcc
	v_cmp_gt_u32_e32 vcc, v62, v33
	v_cndmask_b32_e64 v33, v37, 0, vcc
	v_cndmask_b32_e32 v31, v31, v36, vcc
	v_add_u32_e32 v30, v33, v30
	s_branch .LBB536_102
.LBB536_101:                            ;   in Loop: Header=BB536_102 Depth=1
	s_or_b64 exec, exec, s[30:31]
	v_cmp_eq_u16_sdwa s[30:31], v32, v27 src0_sel:BYTE_0 src1_sel:DWORD
	v_and_b32_e32 v33, s31, v29
	ds_bpermute_b32 v37, v48, v31
	v_or_b32_e32 v33, 0x80000000, v33
	v_and_b32_e32 v36, s30, v28
	v_ffbl_b32_e32 v33, v33
	v_add_u32_e32 v33, 32, v33
	v_ffbl_b32_e32 v36, v36
	v_min_u32_e32 v33, v36, v33
	ds_bpermute_b32 v36, v48, v30
	v_and_b32_e32 v63, 1, v31
	s_waitcnt lgkmcnt(1)
	v_and_b32_e32 v37, 1, v37
	v_cmp_eq_u32_e32 vcc, 1, v63
	v_cndmask_b32_e64 v37, v37, 1, vcc
	v_cmp_gt_u64_e32 vcc, s[40:41], v[30:31]
	v_and_b32_e32 v63, 0xffff, v37
	v_cmp_lt_u32_e64 s[30:31], v47, v33
	v_cndmask_b32_e64 v37, v31, v37, s[30:31]
	v_cndmask_b32_e64 v31, v31, v63, s[30:31]
	s_and_b64 vcc, s[30:31], vcc
	ds_bpermute_b32 v63, v49, v31
	s_waitcnt lgkmcnt(1)
	v_cndmask_b32_e32 v36, 0, v36, vcc
	v_add_u32_e32 v30, v36, v30
	ds_bpermute_b32 v36, v49, v30
	v_and_b32_e32 v64, 1, v37
	s_waitcnt lgkmcnt(1)
	v_and_b32_e32 v63, 1, v63
	v_cmp_eq_u32_e32 vcc, 1, v64
	v_cndmask_b32_e64 v63, v63, 1, vcc
	v_cmp_eq_u16_sdwa vcc, v37, v35 src0_sel:BYTE_0 src1_sel:DWORD
	v_and_b32_e32 v64, 0xffff, v63
	s_waitcnt lgkmcnt(0)
	v_cndmask_b32_e32 v36, 0, v36, vcc
	v_cmp_gt_u32_e32 vcc, v53, v33
	v_cndmask_b32_e32 v31, v64, v31, vcc
	v_cndmask_b32_e32 v37, v63, v37, vcc
	ds_bpermute_b32 v63, v54, v31
	v_cndmask_b32_e64 v36, v36, 0, vcc
	v_add_u32_e32 v30, v36, v30
	ds_bpermute_b32 v36, v54, v30
	v_and_b32_e32 v64, 1, v37
	s_waitcnt lgkmcnt(1)
	v_and_b32_e32 v63, 1, v63
	v_cmp_eq_u32_e32 vcc, 1, v64
	v_cndmask_b32_e64 v63, v63, 1, vcc
	v_cmp_eq_u16_sdwa vcc, v37, v35 src0_sel:BYTE_0 src1_sel:DWORD
	v_and_b32_e32 v64, 0xffff, v63
	s_waitcnt lgkmcnt(0)
	v_cndmask_b32_e32 v36, 0, v36, vcc
	v_cmp_gt_u32_e32 vcc, v55, v33
	v_cndmask_b32_e32 v31, v64, v31, vcc
	v_cndmask_b32_e32 v37, v63, v37, vcc
	ds_bpermute_b32 v63, v56, v31
	v_cndmask_b32_e64 v36, v36, 0, vcc
	;; [unrolled: 16-line block ×3, first 2 shown]
	v_add_u32_e32 v30, v36, v30
	ds_bpermute_b32 v36, v58, v30
	v_and_b32_e32 v64, 1, v37
	s_waitcnt lgkmcnt(1)
	v_and_b32_e32 v63, 1, v63
	v_cmp_eq_u32_e32 vcc, 1, v64
	v_cndmask_b32_e64 v63, v63, 1, vcc
	v_cmp_eq_u16_sdwa vcc, v37, v35 src0_sel:BYTE_0 src1_sel:DWORD
	v_and_b32_e32 v64, 0xffff, v63
	s_waitcnt lgkmcnt(0)
	v_cndmask_b32_e32 v36, 0, v36, vcc
	v_cmp_gt_u32_e32 vcc, v59, v33
	v_cndmask_b32_e64 v36, v36, 0, vcc
	v_cndmask_b32_e32 v31, v64, v31, vcc
	ds_bpermute_b32 v31, v61, v31
	v_add_u32_e32 v30, v36, v30
	ds_bpermute_b32 v36, v61, v30
	v_cndmask_b32_e32 v37, v63, v37, vcc
	v_and_b32_e32 v63, 1, v37
	v_cmp_eq_u32_e32 vcc, 1, v63
	s_waitcnt lgkmcnt(1)
	v_cndmask_b32_e64 v31, v31, 1, vcc
	v_cmp_eq_u16_sdwa vcc, v37, v35 src0_sel:BYTE_0 src1_sel:DWORD
	s_waitcnt lgkmcnt(0)
	v_cndmask_b32_e32 v36, 0, v36, vcc
	v_cmp_gt_u32_e32 vcc, v62, v33
	v_cndmask_b32_e64 v33, v36, 0, vcc
	v_cndmask_b32_e32 v31, v31, v37, vcc
	v_add_u32_e32 v30, v33, v30
	v_cmp_eq_u16_sdwa vcc, v46, v35 src0_sel:BYTE_0 src1_sel:DWORD
	v_and_b32_e32 v33, 1, v46
	v_cndmask_b32_e32 v30, 0, v30, vcc
	v_and_b32_e32 v31, 1, v31
	v_cmp_eq_u32_e32 vcc, 1, v33
	v_subrev_u32_e32 v34, 64, v34
	v_add_u32_e32 v30, v30, v60
	v_cndmask_b32_e64 v31, v31, 1, vcc
.LBB536_102:                            ; =>This Loop Header: Depth=1
                                        ;     Child Loop BB536_105 Depth 2
	v_cmp_ne_u16_sdwa s[30:31], v32, v27 src0_sel:BYTE_0 src1_sel:DWORD
	v_mov_b32_e32 v46, v31
	v_cndmask_b32_e64 v31, 0, 1, s[30:31]
	;;#ASMSTART
	;;#ASMEND
	v_cmp_ne_u32_e32 vcc, 0, v31
	s_cmp_lg_u64 vcc, exec
	v_mov_b32_e32 v60, v30
	s_cbranch_scc1 .LBB536_107
; %bb.103:                              ;   in Loop: Header=BB536_102 Depth=1
	v_lshlrev_b64 v[30:31], 4, v[34:35]
	v_mov_b32_e32 v32, s45
	v_add_co_u32_e32 v36, vcc, s44, v30
	v_addc_co_u32_e32 v37, vcc, v32, v31, vcc
	;;#ASMSTART
	global_load_dwordx4 v[30:33], v[36:37] off glc	
s_waitcnt vmcnt(0)
	;;#ASMEND
	v_and_b32_e32 v33, 0xff0000, v30
	v_or_b32_sdwa v33, v30, v33 dst_sel:DWORD dst_unused:UNUSED_PAD src0_sel:WORD_0 src1_sel:DWORD
	v_and_b32_e32 v30, 0xff000000, v30
	v_and_b32_e32 v31, 0xff, v31
	v_or3_b32 v31, 0, 0, v31
	v_or3_b32 v30, v33, v30, 0
	v_cmp_eq_u16_sdwa s[48:49], v32, v35 src0_sel:BYTE_0 src1_sel:DWORD
	s_and_saveexec_b64 s[30:31], s[48:49]
	s_cbranch_execz .LBB536_101
; %bb.104:                              ;   in Loop: Header=BB536_102 Depth=1
	s_mov_b64 s[48:49], 0
.LBB536_105:                            ;   Parent Loop BB536_102 Depth=1
                                        ; =>  This Inner Loop Header: Depth=2
	;;#ASMSTART
	global_load_dwordx4 v[30:33], v[36:37] off glc	
s_waitcnt vmcnt(0)
	;;#ASMEND
	v_cmp_ne_u16_sdwa s[54:55], v32, v35 src0_sel:BYTE_0 src1_sel:DWORD
	s_or_b64 s[48:49], s[54:55], s[48:49]
	s_andn2_b64 exec, exec, s[48:49]
	s_cbranch_execnz .LBB536_105
; %bb.106:                              ;   in Loop: Header=BB536_102 Depth=1
	s_or_b64 exec, exec, s[48:49]
	v_and_b32_e32 v31, 0xff, v31
	s_branch .LBB536_101
.LBB536_107:                            ;   in Loop: Header=BB536_102 Depth=1
                                        ; implicit-def: $vgpr31
                                        ; implicit-def: $vgpr30
                                        ; implicit-def: $vgpr32
	s_cbranch_execz .LBB536_102
; %bb.108:
	s_and_saveexec_b64 s[30:31], s[26:27]
	s_cbranch_execz .LBB536_110
; %bb.109:
	s_and_b32 s40, s7, 0xff
	s_cmp_eq_u32 s40, 0
	s_cselect_b64 vcc, -1, 0
	s_bitcmp1_b32 s7, 0
	s_mov_b32 s41, 0
	s_cselect_b64 s[48:49], -1, 0
	s_add_i32 s40, s6, 64
	s_lshl_b64 s[6:7], s[40:41], 4
	v_cndmask_b32_e32 v27, 0, v60, vcc
	s_add_u32 s6, s44, s6
	v_add_u32_e32 v26, v27, v26
	v_and_b32_e32 v27, 1, v46
	s_addc_u32 s7, s45, s7
	v_mov_b32_e32 v29, 0
	v_cndmask_b32_e64 v27, v27, 1, s[48:49]
	v_mov_b32_e32 v28, 2
	v_pk_mov_b32 v[30:31], s[6:7], s[6:7] op_sel:[0,1]
	;;#ASMSTART
	global_store_dwordx4 v[30:31], v[26:29] off	
s_waitcnt vmcnt(0)
	;;#ASMEND
.LBB536_110:
	s_or_b64 exec, exec, s[30:31]
	v_cmp_eq_u32_e32 vcc, 0, v0
	s_and_b64 exec, exec, vcc
	s_cbranch_execz .LBB536_112
; %bb.111:
	v_mov_b32_e32 v26, 0
	ds_write_b32 v26, v60 offset:24
	ds_write_b8 v26, v46 offset:28
.LBB536_112:
	s_or_b64 exec, exec, s[38:39]
	v_mov_b32_e32 v28, 0
	s_waitcnt lgkmcnt(0)
	s_barrier
	ds_read_b32 v26, v28 offset:24
	v_cndmask_b32_e64 v27, v45, v43, s[26:27]
	v_cmp_eq_u16_sdwa vcc, v27, v28 src0_sel:BYTE_0 src1_sel:DWORD
	v_cndmask_b32_e64 v29, v44, v42, s[26:27]
	s_waitcnt lgkmcnt(0)
	v_cndmask_b32_e32 v27, 0, v26, vcc
	v_add_u32_e32 v27, v27, v29
	v_cmp_eq_u32_e32 vcc, 0, v0
	v_and_b32_e32 v29, 0xff, v39
	v_cndmask_b32_e32 v26, v27, v26, vcc
	v_cmp_eq_u64_e32 vcc, 0, v[28:29]
	v_cndmask_b32_e32 v27, 0, v26, vcc
	v_add_u32_e32 v27, v27, v38
	v_cndmask_b32_e64 v28, 0, v27, s[2:3]
	v_add_u32_e32 v42, v28, v8
	v_cndmask_b32_e64 v28, 0, v42, s[4:5]
	;; [unrolled: 2-line block ×12, first 2 shown]
	v_add_u32_e32 v49, v28, v24
	s_branch .LBB536_139
.LBB536_113:
	s_or_b64 exec, exec, s[30:31]
                                        ; implicit-def: $vgpr14
	s_and_saveexec_b64 s[30:31], s[2:3]
	s_cbranch_execz .LBB536_33
.LBB536_114:
	v_mov_b32_e32 v15, s47
	v_add_co_u32_e32 v14, vcc, s7, v12
	v_addc_co_u32_e32 v15, vcc, 0, v15, vcc
	flat_load_dword v14, v[14:15] offset:1024
	s_or_b64 exec, exec, s[30:31]
                                        ; implicit-def: $vgpr15
	s_and_saveexec_b64 s[2:3], s[4:5]
	s_cbranch_execnz .LBB536_34
.LBB536_115:
	s_or_b64 exec, exec, s[2:3]
                                        ; implicit-def: $vgpr16
	s_and_saveexec_b64 s[2:3], s[28:29]
	s_cbranch_execz .LBB536_35
.LBB536_116:
	v_mov_b32_e32 v17, s47
	v_add_co_u32_e32 v16, vcc, s7, v12
	v_addc_co_u32_e32 v17, vcc, 0, v17, vcc
	flat_load_dword v16, v[16:17] offset:3072
	s_or_b64 exec, exec, s[2:3]
                                        ; implicit-def: $vgpr17
	s_and_saveexec_b64 s[2:3], s[8:9]
	s_cbranch_execnz .LBB536_36
.LBB536_117:
	s_or_b64 exec, exec, s[2:3]
                                        ; implicit-def: $vgpr2
	s_and_saveexec_b64 s[2:3], s[10:11]
	s_cbranch_execz .LBB536_37
.LBB536_118:
	v_mov_b32_e32 v18, s47
	v_add_co_u32_e32 v2, vcc, s7, v3
	v_addc_co_u32_e32 v3, vcc, 0, v18, vcc
	flat_load_dword v2, v[2:3]
	s_or_b64 exec, exec, s[2:3]
                                        ; implicit-def: $vgpr3
	s_and_saveexec_b64 s[2:3], s[12:13]
	s_cbranch_execnz .LBB536_38
.LBB536_119:
	s_or_b64 exec, exec, s[2:3]
                                        ; implicit-def: $vgpr4
	s_and_saveexec_b64 s[2:3], s[14:15]
	s_cbranch_execz .LBB536_39
.LBB536_120:
	v_mov_b32_e32 v18, s47
	v_add_co_u32_e32 v4, vcc, s7, v5
	v_addc_co_u32_e32 v5, vcc, 0, v18, vcc
	flat_load_dword v4, v[4:5]
	s_or_b64 exec, exec, s[2:3]
                                        ; implicit-def: $vgpr5
	s_and_saveexec_b64 s[2:3], s[16:17]
	s_cbranch_execnz .LBB536_40
.LBB536_121:
	s_or_b64 exec, exec, s[2:3]
                                        ; implicit-def: $vgpr6
	s_and_saveexec_b64 s[2:3], s[18:19]
	s_cbranch_execz .LBB536_41
.LBB536_122:
	v_mov_b32_e32 v18, s47
	v_add_co_u32_e32 v6, vcc, s7, v7
	v_addc_co_u32_e32 v7, vcc, 0, v18, vcc
	flat_load_dword v6, v[6:7]
	s_or_b64 exec, exec, s[2:3]
                                        ; implicit-def: $vgpr7
	s_and_saveexec_b64 s[2:3], s[20:21]
	s_cbranch_execnz .LBB536_42
.LBB536_123:
	s_or_b64 exec, exec, s[2:3]
                                        ; implicit-def: $vgpr8
	s_and_saveexec_b64 s[2:3], s[22:23]
	s_cbranch_execz .LBB536_43
.LBB536_124:
	v_mov_b32_e32 v18, s47
	v_add_co_u32_e32 v8, vcc, s7, v9
	v_addc_co_u32_e32 v9, vcc, 0, v18, vcc
	flat_load_dword v8, v[8:9]
	s_or_b64 exec, exec, s[2:3]
                                        ; implicit-def: $vgpr9
	s_and_saveexec_b64 s[2:3], s[24:25]
	s_cbranch_execz .LBB536_45
	s_branch .LBB536_44
.LBB536_125:
                                        ; implicit-def: $vgpr49
                                        ; implicit-def: $vgpr47
                                        ; implicit-def: $vgpr45
                                        ; implicit-def: $vgpr43
                                        ; implicit-def: $vgpr34_vgpr35_vgpr36_vgpr37
                                        ; implicit-def: $vgpr30_vgpr31_vgpr32_vgpr33
                                        ; implicit-def: $vgpr26_vgpr27_vgpr28_vgpr29
	s_cbranch_execz .LBB536_139
; %bb.126:
	s_cmp_lg_u64 s[52:53], 0
	s_cselect_b32 s3, s51, 0
	s_cselect_b32 s2, s50, 0
	s_mov_b32 s24, 0
	s_cmp_eq_u64 s[2:3], 0
	v_mov_b32_e32 v32, s56
	s_cbranch_scc1 .LBB536_128
; %bb.127:
	v_mov_b32_e32 v26, 0
	global_load_dword v32, v26, s[2:3]
.LBB536_128:
	s_mov_b32 s25, 1
	v_cmp_gt_u64_e32 vcc, s[24:25], v[8:9]
	v_cndmask_b32_e32 v27, 0, v38, vcc
	v_add_u32_e32 v27, v27, v8
	v_cmp_gt_u64_e64 s[2:3], s[24:25], v[6:7]
	v_cndmask_b32_e64 v27, 0, v27, s[2:3]
	v_add_u32_e32 v27, v27, v6
	v_cmp_gt_u64_e64 s[4:5], s[24:25], v[4:5]
	v_cndmask_b32_e64 v27, 0, v27, s[4:5]
	;; [unrolled: 3-line block ×11, first 2 shown]
	v_mov_b32_e32 v26, 0
	v_add_u32_e32 v27, v27, v24
	v_cmp_gt_u64_e64 s[24:25], s[24:25], v[40:41]
	v_or3_b32 v7, v23, v15, v7
	v_cndmask_b32_e64 v27, 0, v27, s[24:25]
	v_or3_b32 v9, v25, v17, v9
	v_and_b32_e32 v35, 1, v7
	v_mov_b32_e32 v34, v26
	v_add_u32_e32 v33, v27, v40
	v_and_b32_e32 v27, 1, v41
	v_or3_b32 v3, v19, v11, v3
	v_and_b32_e32 v31, 1, v9
	v_mov_b32_e32 v30, v26
	v_cmp_ne_u64_e64 s[26:27], 0, v[34:35]
	v_cmp_eq_u32_e64 s[24:25], 1, v27
	v_or3_b32 v5, v21, v13, v5
	v_and_b32_e32 v27, 1, v3
	v_cndmask_b32_e64 v3, 0, 1, s[26:27]
	v_cmp_ne_u64_e64 s[26:27], 0, v[30:31]
	v_and_b32_e32 v29, 1, v5
	v_mov_b32_e32 v28, v26
	v_cndmask_b32_e64 v5, 0, 1, s[26:27]
	v_lshlrev_b16_e32 v3, 2, v3
	v_lshlrev_b16_e32 v5, 3, v5
	v_cmp_ne_u64_e64 s[26:27], 0, v[28:29]
	v_or_b32_e32 v3, v5, v3
	v_cndmask_b32_e64 v5, 0, 1, s[26:27]
	v_cmp_ne_u64_e64 s[26:27], 0, v[26:27]
	v_lshlrev_b16_e32 v5, 1, v5
	v_cndmask_b32_e64 v7, 0, 1, s[26:27]
	v_or_b32_e32 v5, v7, v5
	v_and_b32_e32 v5, 3, v5
	v_or_b32_e32 v3, v5, v3
	v_and_b32_e32 v3, 15, v3
	v_cmp_ne_u16_e64 s[26:27], 0, v3
	s_or_b64 s[24:25], s[24:25], s[26:27]
	v_cndmask_b32_e64 v5, v39, 1, s[24:25]
	v_and_b32_e32 v7, 0xff, v5
	v_mov_b32_dpp v11, v33 row_shr:1 row_mask:0xf bank_mask:0xf
	v_cmp_eq_u16_e64 s[24:25], 0, v7
	v_mov_b32_dpp v13, v7 row_shr:1 row_mask:0xf bank_mask:0xf
	v_and_b32_e32 v15, 1, v5
	v_mbcnt_hi_u32_b32 v3, -1, v52
	v_cndmask_b32_e64 v11, 0, v11, s[24:25]
	v_and_b32_e32 v13, 1, v13
	v_cmp_eq_u32_e64 s[24:25], 1, v15
	v_and_b32_e32 v9, 15, v3
	v_cndmask_b32_e64 v13, v13, 1, s[24:25]
	v_and_b32_e32 v15, 0xffff, v13
	v_cmp_eq_u32_e64 s[24:25], 0, v9
	v_cndmask_b32_e64 v5, v13, v5, s[24:25]
	v_cndmask_b32_e64 v7, v15, v7, s[24:25]
	v_and_b32_e32 v17, 1, v5
	v_cndmask_b32_e64 v11, v11, 0, s[24:25]
	v_mov_b32_dpp v15, v7 row_shr:2 row_mask:0xf bank_mask:0xf
	v_and_b32_e32 v15, 1, v15
	v_cmp_eq_u32_e64 s[24:25], 1, v17
	v_cndmask_b32_e64 v15, v15, 1, s[24:25]
	v_and_b32_e32 v17, 0xffff, v15
	v_cmp_lt_u32_e64 s[24:25], 1, v9
	v_add_u32_e32 v11, v11, v33
	v_cmp_eq_u16_sdwa s[26:27], v5, v26 src0_sel:BYTE_0 src1_sel:DWORD
	v_cndmask_b32_e64 v5, v5, v15, s[24:25]
	v_cndmask_b32_e64 v7, v7, v17, s[24:25]
	v_mov_b32_dpp v13, v11 row_shr:2 row_mask:0xf bank_mask:0xf
	s_and_b64 s[24:25], s[24:25], s[26:27]
	v_mov_b32_dpp v15, v7 row_shr:4 row_mask:0xf bank_mask:0xf
	v_and_b32_e32 v17, 1, v5
	v_cndmask_b32_e64 v13, 0, v13, s[24:25]
	v_and_b32_e32 v15, 1, v15
	v_cmp_eq_u32_e64 s[24:25], 1, v17
	v_cndmask_b32_e64 v15, v15, 1, s[24:25]
	v_and_b32_e32 v17, 0xffff, v15
	v_cmp_lt_u32_e64 s[24:25], 3, v9
	v_add_u32_e32 v11, v13, v11
	v_cmp_eq_u16_sdwa s[26:27], v5, v26 src0_sel:BYTE_0 src1_sel:DWORD
	v_cndmask_b32_e64 v5, v5, v15, s[24:25]
	v_cndmask_b32_e64 v7, v7, v17, s[24:25]
	v_mov_b32_dpp v13, v11 row_shr:4 row_mask:0xf bank_mask:0xf
	s_and_b64 s[24:25], s[24:25], s[26:27]
	v_mov_b32_dpp v15, v7 row_shr:8 row_mask:0xf bank_mask:0xf
	v_and_b32_e32 v17, 1, v5
	v_cndmask_b32_e64 v13, 0, v13, s[24:25]
	v_and_b32_e32 v15, 1, v15
	v_cmp_eq_u32_e64 s[24:25], 1, v17
	v_cndmask_b32_e64 v15, v15, 1, s[24:25]
	v_add_u32_e32 v11, v13, v11
	v_cmp_eq_u16_sdwa s[26:27], v5, v26 src0_sel:BYTE_0 src1_sel:DWORD
	v_and_b32_e32 v17, 0xffff, v15
	v_cmp_lt_u32_e64 s[24:25], 7, v9
	v_mov_b32_dpp v13, v11 row_shr:8 row_mask:0xf bank_mask:0xf
	v_cndmask_b32_e64 v5, v5, v15, s[24:25]
	v_cndmask_b32_e64 v7, v7, v17, s[24:25]
	s_and_b64 s[24:25], s[24:25], s[26:27]
	v_cndmask_b32_e64 v9, 0, v13, s[24:25]
	v_add_u32_e32 v9, v9, v11
	v_mov_b32_dpp v13, v7 row_bcast:15 row_mask:0xf bank_mask:0xf
	v_cmp_eq_u16_sdwa s[24:25], v5, v26 src0_sel:BYTE_0 src1_sel:DWORD
	v_mov_b32_dpp v11, v9 row_bcast:15 row_mask:0xf bank_mask:0xf
	v_and_b32_e32 v19, 1, v5
	v_cndmask_b32_e64 v11, 0, v11, s[24:25]
	v_and_b32_e32 v13, 1, v13
	v_cmp_eq_u32_e64 s[24:25], 1, v19
	v_and_b32_e32 v17, 16, v3
	v_cndmask_b32_e64 v13, v13, 1, s[24:25]
	v_and_b32_e32 v19, 0xffff, v13
	v_cmp_eq_u32_e64 s[24:25], 0, v17
	v_cndmask_b32_e64 v5, v13, v5, s[24:25]
	v_cndmask_b32_e64 v7, v19, v7, s[24:25]
	v_bfe_i32 v15, v3, 4, 1
	v_and_b32_e32 v13, 1, v5
	v_mov_b32_dpp v7, v7 row_bcast:31 row_mask:0xf bank_mask:0xf
	v_and_b32_e32 v11, v15, v11
	v_and_b32_e32 v7, 1, v7
	v_cmp_eq_u32_e64 s[24:25], 1, v13
	v_add_u32_e32 v9, v11, v9
	v_cmp_eq_u16_sdwa s[26:27], v5, v26 src0_sel:BYTE_0 src1_sel:DWORD
	v_cndmask_b32_e64 v7, v7, 1, s[24:25]
	v_cmp_lt_u32_e64 s[24:25], 31, v3
	v_mov_b32_dpp v11, v9 row_bcast:31 row_mask:0xf bank_mask:0xf
	v_cndmask_b32_e64 v5, v5, v7, s[24:25]
	s_and_b64 s[24:25], s[24:25], s[26:27]
	v_cndmask_b32_e64 v7, 0, v11, s[24:25]
	v_add_u32_e32 v7, v7, v9
	v_cmp_eq_u32_e64 s[24:25], v51, v0
	s_and_saveexec_b64 s[26:27], s[24:25]
	s_cbranch_execz .LBB536_130
; %bb.129:
	v_lshlrev_b32_e32 v9, 3, v1
	ds_write_b32 v9, v7
	ds_write_b8 v9, v5 offset:4
.LBB536_130:
	s_or_b64 exec, exec, s[26:27]
	v_cmp_gt_u32_e64 s[24:25], 4, v0
	s_waitcnt lgkmcnt(0)
	s_barrier
	s_and_saveexec_b64 s[26:27], s[24:25]
	s_cbranch_execz .LBB536_134
; %bb.131:
	v_lshlrev_b32_e32 v9, 3, v0
	ds_read_b64 v[26:27], v9
	v_and_b32_e32 v11, 3, v3
	v_cmp_ne_u32_e64 s[24:25], 0, v11
	s_waitcnt lgkmcnt(0)
	v_mov_b32_dpp v13, v26 row_shr:1 row_mask:0xf bank_mask:0xf
	v_mov_b32_dpp v17, v27 row_shr:1 row_mask:0xf bank_mask:0xf
	v_mov_b32_e32 v15, v27
	s_and_saveexec_b64 s[28:29], s[24:25]
	s_cbranch_execz .LBB536_133
; %bb.132:
	v_and_b32_e32 v15, 1, v27
	v_and_b32_e32 v17, 1, v17
	v_cmp_eq_u32_e64 s[24:25], 1, v15
	v_mov_b32_e32 v15, 0
	v_cndmask_b32_e64 v17, v17, 1, s[24:25]
	v_cmp_eq_u16_sdwa s[24:25], v27, v15 src0_sel:BYTE_0 src1_sel:DWORD
	v_cndmask_b32_e64 v13, 0, v13, s[24:25]
	v_add_u32_e32 v26, v13, v26
	v_and_b32_e32 v13, 0xffff, v17
	s_movk_i32 s24, 0xff00
	v_and_or_b32 v15, v27, s24, v13
	v_mov_b32_e32 v27, v17
.LBB536_133:
	s_or_b64 exec, exec, s[28:29]
	v_mov_b32_dpp v15, v15 row_shr:2 row_mask:0xf bank_mask:0xf
	v_and_b32_e32 v17, 1, v27
	v_and_b32_e32 v15, 1, v15
	v_cmp_eq_u32_e64 s[24:25], 1, v17
	v_mov_b32_e32 v17, 0
	v_cndmask_b32_e64 v15, v15, 1, s[24:25]
	v_cmp_eq_u16_sdwa s[28:29], v27, v17 src0_sel:BYTE_0 src1_sel:DWORD
	v_cmp_lt_u32_e64 s[24:25], 1, v11
	v_mov_b32_dpp v13, v26 row_shr:2 row_mask:0xf bank_mask:0xf
	v_cndmask_b32_e64 v11, v27, v15, s[24:25]
	s_and_b64 s[24:25], s[24:25], s[28:29]
	v_cndmask_b32_e64 v13, 0, v13, s[24:25]
	v_add_u32_e32 v13, v13, v26
	ds_write_b32 v9, v13
	ds_write_b8 v9, v11 offset:4
.LBB536_134:
	s_or_b64 exec, exec, s[26:27]
	v_cmp_lt_u32_e64 s[24:25], 63, v0
	s_waitcnt vmcnt(0)
	v_mov_b32_e32 v9, v32
	s_waitcnt lgkmcnt(0)
	s_barrier
	s_and_saveexec_b64 s[26:27], s[24:25]
	s_cbranch_execz .LBB536_136
; %bb.135:
	v_lshl_add_u32 v1, v1, 3, -8
	ds_read_u8 v9, v1 offset:4
	ds_read_b32 v1, v1
	s_waitcnt lgkmcnt(1)
	v_cmp_eq_u16_e64 s[24:25], 0, v9
	v_cndmask_b32_e64 v9, 0, v32, s[24:25]
	s_waitcnt lgkmcnt(0)
	v_add_u32_e32 v9, v9, v1
.LBB536_136:
	s_or_b64 exec, exec, s[26:27]
	v_mov_b32_e32 v28, 0
	v_cmp_eq_u16_sdwa s[24:25], v5, v28 src0_sel:BYTE_0 src1_sel:DWORD
	v_cndmask_b32_e64 v1, 0, v9, s[24:25]
	v_add_u32_e32 v1, v1, v7
	v_add_u32_e32 v5, -1, v3
	v_and_b32_e32 v7, 64, v3
	v_cmp_lt_i32_e64 s[24:25], v5, v7
	v_cndmask_b32_e64 v5, v5, v3, s[24:25]
	v_lshlrev_b32_e32 v5, 2, v5
	ds_bpermute_b32 v1, v5, v1
	v_cmp_eq_u32_e64 s[24:25], 0, v3
	v_and_b32_e32 v29, 0xff, v39
	v_cmp_eq_u64_e64 s[26:27], 0, v[28:29]
	s_waitcnt lgkmcnt(0)
	v_cndmask_b32_e64 v26, v1, v9, s[24:25]
	v_cmp_eq_u32_e64 s[24:25], 0, v0
	v_cndmask_b32_e64 v1, v26, v32, s[24:25]
	v_cndmask_b32_e64 v1, 0, v1, s[26:27]
	v_add_u32_e32 v27, v1, v38
	v_cndmask_b32_e32 v1, 0, v27, vcc
	v_add_u32_e32 v42, v1, v8
	v_cndmask_b32_e64 v1, 0, v42, s[2:3]
	v_add_u32_e32 v43, v1, v6
	v_cndmask_b32_e64 v1, 0, v43, s[4:5]
	v_add_u32_e32 v30, v1, v4
	v_cndmask_b32_e64 v1, 0, v30, s[6:7]
	v_add_u32_e32 v31, v1, v2
	v_cndmask_b32_e64 v1, 0, v31, s[8:9]
	v_add_u32_e32 v44, v1, v16
	v_cndmask_b32_e64 v1, 0, v44, s[10:11]
	v_add_u32_e32 v45, v1, v14
	v_cndmask_b32_e64 v1, 0, v45, s[12:13]
	v_add_u32_e32 v34, v1, v12
	v_cndmask_b32_e64 v1, 0, v34, s[14:15]
	v_add_u32_e32 v35, v1, v10
	v_cndmask_b32_e64 v1, 0, v35, s[16:17]
	v_add_u32_e32 v46, v1, v18
	v_cndmask_b32_e64 v1, 0, v46, s[18:19]
	v_add_u32_e32 v47, v1, v20
	v_cndmask_b32_e64 v1, 0, v47, s[20:21]
	v_add_u32_e32 v48, v1, v22
	v_cndmask_b32_e64 v1, 0, v48, s[22:23]
	s_and_saveexec_b64 s[2:3], s[24:25]
	s_cbranch_execz .LBB536_138
; %bb.137:
	ds_read_u8 v3, v28 offset:28
	ds_read_b32 v2, v28 offset:24
	s_add_u32 s4, s44, 0x400
	s_addc_u32 s5, s45, 0
	v_mov_b32_e32 v5, v28
	s_waitcnt lgkmcnt(1)
	v_cmp_eq_u16_e32 vcc, 0, v3
	v_cndmask_b32_e32 v4, 0, v32, vcc
	s_waitcnt lgkmcnt(0)
	v_add_u32_e32 v2, v4, v2
	v_and_b32_e32 v3, 0xffff, v3
	v_mov_b32_e32 v4, 2
	v_pk_mov_b32 v[6:7], s[4:5], s[4:5] op_sel:[0,1]
	;;#ASMSTART
	global_store_dwordx4 v[6:7], v[2:5] off	
s_waitcnt vmcnt(0)
	;;#ASMEND
	v_mov_b32_e32 v26, v32
.LBB536_138:
	s_or_b64 exec, exec, s[2:3]
	v_add_u32_e32 v49, v1, v24
.LBB536_139:
	s_add_u32 s2, s42, s34
	s_addc_u32 s3, s43, s35
	s_add_u32 s4, s2, s36
	v_mul_u32_u24_e32 v1, 14, v0
	s_addc_u32 s5, s3, s37
	s_and_b64 vcc, exec, s[0:1]
	v_lshlrev_b32_e32 v2, 2, v1
	s_cbranch_vccz .LBB536_167
; %bb.140:
	s_movk_i32 s0, 0xffcc
	v_mad_i32_i24 v3, v0, s0, v2
	s_barrier
	ds_write2_b64 v2, v[26:27], v[42:43] offset1:1
	ds_write2_b64 v2, v[30:31], v[44:45] offset0:2 offset1:3
	ds_write2_b64 v2, v[34:35], v[46:47] offset0:4 offset1:5
	ds_write_b64 v2, v[48:49] offset:48
	s_waitcnt lgkmcnt(0)
	s_barrier
	ds_read2st64_b32 v[16:17], v3 offset0:4 offset1:8
	ds_read2st64_b32 v[14:15], v3 offset0:12 offset1:16
	;; [unrolled: 1-line block ×6, first 2 shown]
	ds_read_b32 v3, v3 offset:13312
	v_mov_b32_e32 v7, s5
	v_add_co_u32_e32 v6, vcc, s4, v50
	s_add_i32 s33, s33, s46
	v_addc_co_u32_e32 v7, vcc, 0, v7, vcc
	v_mov_b32_e32 v1, 0
	v_cmp_gt_u32_e32 vcc, s33, v0
	s_and_saveexec_b64 s[0:1], vcc
	s_cbranch_execz .LBB536_142
; %bb.141:
	v_mul_i32_i24_e32 v18, 0xffffffcc, v0
	v_add_u32_e32 v18, v2, v18
	ds_read_b32 v18, v18
	s_waitcnt lgkmcnt(0)
	flat_store_dword v[6:7], v18
.LBB536_142:
	s_or_b64 exec, exec, s[0:1]
	v_or_b32_e32 v18, 0x100, v0
	v_cmp_gt_u32_e32 vcc, s33, v18
	s_and_saveexec_b64 s[0:1], vcc
	s_cbranch_execz .LBB536_144
; %bb.143:
	s_waitcnt lgkmcnt(0)
	flat_store_dword v[6:7], v16 offset:1024
.LBB536_144:
	s_or_b64 exec, exec, s[0:1]
	s_waitcnt lgkmcnt(0)
	v_or_b32_e32 v16, 0x200, v0
	v_cmp_gt_u32_e32 vcc, s33, v16
	s_and_saveexec_b64 s[0:1], vcc
	s_cbranch_execz .LBB536_146
; %bb.145:
	flat_store_dword v[6:7], v17 offset:2048
.LBB536_146:
	s_or_b64 exec, exec, s[0:1]
	v_or_b32_e32 v16, 0x300, v0
	v_cmp_gt_u32_e32 vcc, s33, v16
	s_and_saveexec_b64 s[0:1], vcc
	s_cbranch_execz .LBB536_148
; %bb.147:
	flat_store_dword v[6:7], v14 offset:3072
.LBB536_148:
	s_or_b64 exec, exec, s[0:1]
	v_or_b32_e32 v14, 0x400, v0
	v_cmp_gt_u32_e32 vcc, s33, v14
	s_and_saveexec_b64 s[0:1], vcc
	s_cbranch_execz .LBB536_150
; %bb.149:
	v_add_co_u32_e32 v16, vcc, 0x1000, v6
	v_addc_co_u32_e32 v17, vcc, 0, v7, vcc
	flat_store_dword v[16:17], v15
.LBB536_150:
	s_or_b64 exec, exec, s[0:1]
	v_or_b32_e32 v14, 0x500, v0
	v_cmp_gt_u32_e32 vcc, s33, v14
	s_and_saveexec_b64 s[0:1], vcc
	s_cbranch_execz .LBB536_152
; %bb.151:
	v_add_co_u32_e32 v14, vcc, 0x1000, v6
	v_addc_co_u32_e32 v15, vcc, 0, v7, vcc
	flat_store_dword v[14:15], v12 offset:1024
.LBB536_152:
	s_or_b64 exec, exec, s[0:1]
	v_or_b32_e32 v12, 0x600, v0
	v_cmp_gt_u32_e32 vcc, s33, v12
	s_and_saveexec_b64 s[0:1], vcc
	s_cbranch_execz .LBB536_154
; %bb.153:
	v_add_co_u32_e32 v14, vcc, 0x1000, v6
	v_addc_co_u32_e32 v15, vcc, 0, v7, vcc
	flat_store_dword v[14:15], v13 offset:2048
.LBB536_154:
	;; [unrolled: 10-line block ×3, first 2 shown]
	s_or_b64 exec, exec, s[0:1]
	v_or_b32_e32 v10, 0x800, v0
	v_cmp_gt_u32_e32 vcc, s33, v10
	s_and_saveexec_b64 s[0:1], vcc
	s_cbranch_execz .LBB536_158
; %bb.157:
	v_add_co_u32_e32 v12, vcc, 0x2000, v6
	v_addc_co_u32_e32 v13, vcc, 0, v7, vcc
	flat_store_dword v[12:13], v11
.LBB536_158:
	s_or_b64 exec, exec, s[0:1]
	v_or_b32_e32 v10, 0x900, v0
	v_cmp_gt_u32_e32 vcc, s33, v10
	s_and_saveexec_b64 s[0:1], vcc
	s_cbranch_execz .LBB536_160
; %bb.159:
	v_add_co_u32_e32 v10, vcc, 0x2000, v6
	v_addc_co_u32_e32 v11, vcc, 0, v7, vcc
	flat_store_dword v[10:11], v8 offset:1024
.LBB536_160:
	s_or_b64 exec, exec, s[0:1]
	v_or_b32_e32 v8, 0xa00, v0
	v_cmp_gt_u32_e32 vcc, s33, v8
	s_and_saveexec_b64 s[0:1], vcc
	s_cbranch_execz .LBB536_162
; %bb.161:
	v_add_co_u32_e32 v10, vcc, 0x2000, v6
	v_addc_co_u32_e32 v11, vcc, 0, v7, vcc
	flat_store_dword v[10:11], v9 offset:2048
.LBB536_162:
	;; [unrolled: 10-line block ×3, first 2 shown]
	s_or_b64 exec, exec, s[0:1]
	v_or_b32_e32 v4, 0xc00, v0
	v_cmp_gt_u32_e32 vcc, s33, v4
	s_and_saveexec_b64 s[0:1], vcc
	s_cbranch_execz .LBB536_166
; %bb.165:
	v_add_co_u32_e32 v6, vcc, 0x3000, v6
	v_addc_co_u32_e32 v7, vcc, 0, v7, vcc
	flat_store_dword v[6:7], v5
.LBB536_166:
	s_or_b64 exec, exec, s[0:1]
	v_or_b32_e32 v4, 0xd00, v0
	v_cmp_gt_u32_e64 s[0:1], s33, v4
	s_branch .LBB536_169
.LBB536_167:
	s_mov_b64 s[0:1], 0
                                        ; implicit-def: $vgpr3
	s_cbranch_execz .LBB536_169
; %bb.168:
	s_movk_i32 s2, 0xffcc
	s_waitcnt lgkmcnt(0)
	s_barrier
	ds_write2_b64 v2, v[26:27], v[42:43] offset1:1
	ds_write2_b64 v2, v[30:31], v[44:45] offset0:2 offset1:3
	ds_write2_b64 v2, v[34:35], v[46:47] offset0:4 offset1:5
	ds_write_b64 v2, v[48:49] offset:48
	v_mad_i32_i24 v2, v0, s2, v2
	v_mov_b32_e32 v17, s5
	v_add_co_u32_e32 v16, vcc, s4, v50
	s_waitcnt lgkmcnt(0)
	s_barrier
	ds_read2st64_b32 v[4:5], v2 offset1:4
	ds_read2st64_b32 v[6:7], v2 offset0:8 offset1:12
	ds_read2st64_b32 v[8:9], v2 offset0:16 offset1:20
	;; [unrolled: 1-line block ×6, first 2 shown]
	v_addc_co_u32_e32 v17, vcc, 0, v17, vcc
	s_movk_i32 s2, 0x1000
	s_waitcnt lgkmcnt(0)
	flat_store_dword v[16:17], v4
	flat_store_dword v[16:17], v5 offset:1024
	flat_store_dword v[16:17], v6 offset:2048
	;; [unrolled: 1-line block ×3, first 2 shown]
	v_add_co_u32_e32 v4, vcc, s2, v16
	v_addc_co_u32_e32 v5, vcc, 0, v17, vcc
	flat_store_dword v[4:5], v8
	flat_store_dword v[4:5], v9 offset:1024
	flat_store_dword v[4:5], v10 offset:2048
	;; [unrolled: 1-line block ×3, first 2 shown]
	v_add_co_u32_e32 v4, vcc, 0x2000, v16
	v_addc_co_u32_e32 v5, vcc, 0, v17, vcc
	flat_store_dword v[4:5], v12
	flat_store_dword v[4:5], v13 offset:1024
	flat_store_dword v[4:5], v14 offset:2048
	;; [unrolled: 1-line block ×3, first 2 shown]
	v_add_co_u32_e32 v4, vcc, 0x3000, v16
	v_mov_b32_e32 v1, 0
	v_addc_co_u32_e32 v5, vcc, 0, v17, vcc
	s_or_b64 s[0:1], s[0:1], exec
	flat_store_dword v[4:5], v2
.LBB536_169:
	s_and_saveexec_b64 s[2:3], s[0:1]
	s_cbranch_execz .LBB536_171
; %bb.170:
	v_lshlrev_b64 v[0:1], 2, v[0:1]
	v_mov_b32_e32 v2, s5
	v_add_co_u32_e32 v0, vcc, s4, v0
	v_addc_co_u32_e32 v1, vcc, v2, v1, vcc
	v_add_co_u32_e32 v0, vcc, 0x3000, v0
	v_addc_co_u32_e32 v1, vcc, 0, v1, vcc
	flat_store_dword v[0:1], v3 offset:1024
	s_endpgm
.LBB536_171:
	s_endpgm
	.section	.rodata,"a",@progbits
	.p2align	6, 0x0
	.amdhsa_kernel _ZN7rocprim17ROCPRIM_400000_NS6detail17trampoline_kernelINS0_14default_configENS1_27scan_by_key_config_selectorIiiEEZZNS1_16scan_by_key_implILNS1_25lookback_scan_determinismE0ELb1ES3_N6thrust23THRUST_200600_302600_NS6detail15normal_iteratorINS9_10device_ptrIiEEEESE_SE_iNS9_4plusIvEENS9_8equal_toIiEEiEE10hipError_tPvRmT2_T3_T4_T5_mT6_T7_P12ihipStream_tbENKUlT_T0_E_clISt17integral_constantIbLb0EESZ_EEDaSU_SV_EUlSU_E_NS1_11comp_targetILNS1_3genE4ELNS1_11target_archE910ELNS1_3gpuE8ELNS1_3repE0EEENS1_30default_config_static_selectorELNS0_4arch9wavefront6targetE1EEEvT1_
		.amdhsa_group_segment_fixed_size 16384
		.amdhsa_private_segment_fixed_size 0
		.amdhsa_kernarg_size 112
		.amdhsa_user_sgpr_count 6
		.amdhsa_user_sgpr_private_segment_buffer 1
		.amdhsa_user_sgpr_dispatch_ptr 0
		.amdhsa_user_sgpr_queue_ptr 0
		.amdhsa_user_sgpr_kernarg_segment_ptr 1
		.amdhsa_user_sgpr_dispatch_id 0
		.amdhsa_user_sgpr_flat_scratch_init 0
		.amdhsa_user_sgpr_kernarg_preload_length 0
		.amdhsa_user_sgpr_kernarg_preload_offset 0
		.amdhsa_user_sgpr_private_segment_size 0
		.amdhsa_uses_dynamic_stack 0
		.amdhsa_system_sgpr_private_segment_wavefront_offset 0
		.amdhsa_system_sgpr_workgroup_id_x 1
		.amdhsa_system_sgpr_workgroup_id_y 0
		.amdhsa_system_sgpr_workgroup_id_z 0
		.amdhsa_system_sgpr_workgroup_info 0
		.amdhsa_system_vgpr_workitem_id 0
		.amdhsa_next_free_vgpr 65
		.amdhsa_next_free_sgpr 60
		.amdhsa_accum_offset 68
		.amdhsa_reserve_vcc 1
		.amdhsa_reserve_flat_scratch 0
		.amdhsa_float_round_mode_32 0
		.amdhsa_float_round_mode_16_64 0
		.amdhsa_float_denorm_mode_32 3
		.amdhsa_float_denorm_mode_16_64 3
		.amdhsa_dx10_clamp 1
		.amdhsa_ieee_mode 1
		.amdhsa_fp16_overflow 0
		.amdhsa_tg_split 0
		.amdhsa_exception_fp_ieee_invalid_op 0
		.amdhsa_exception_fp_denorm_src 0
		.amdhsa_exception_fp_ieee_div_zero 0
		.amdhsa_exception_fp_ieee_overflow 0
		.amdhsa_exception_fp_ieee_underflow 0
		.amdhsa_exception_fp_ieee_inexact 0
		.amdhsa_exception_int_div_zero 0
	.end_amdhsa_kernel
	.section	.text._ZN7rocprim17ROCPRIM_400000_NS6detail17trampoline_kernelINS0_14default_configENS1_27scan_by_key_config_selectorIiiEEZZNS1_16scan_by_key_implILNS1_25lookback_scan_determinismE0ELb1ES3_N6thrust23THRUST_200600_302600_NS6detail15normal_iteratorINS9_10device_ptrIiEEEESE_SE_iNS9_4plusIvEENS9_8equal_toIiEEiEE10hipError_tPvRmT2_T3_T4_T5_mT6_T7_P12ihipStream_tbENKUlT_T0_E_clISt17integral_constantIbLb0EESZ_EEDaSU_SV_EUlSU_E_NS1_11comp_targetILNS1_3genE4ELNS1_11target_archE910ELNS1_3gpuE8ELNS1_3repE0EEENS1_30default_config_static_selectorELNS0_4arch9wavefront6targetE1EEEvT1_,"axG",@progbits,_ZN7rocprim17ROCPRIM_400000_NS6detail17trampoline_kernelINS0_14default_configENS1_27scan_by_key_config_selectorIiiEEZZNS1_16scan_by_key_implILNS1_25lookback_scan_determinismE0ELb1ES3_N6thrust23THRUST_200600_302600_NS6detail15normal_iteratorINS9_10device_ptrIiEEEESE_SE_iNS9_4plusIvEENS9_8equal_toIiEEiEE10hipError_tPvRmT2_T3_T4_T5_mT6_T7_P12ihipStream_tbENKUlT_T0_E_clISt17integral_constantIbLb0EESZ_EEDaSU_SV_EUlSU_E_NS1_11comp_targetILNS1_3genE4ELNS1_11target_archE910ELNS1_3gpuE8ELNS1_3repE0EEENS1_30default_config_static_selectorELNS0_4arch9wavefront6targetE1EEEvT1_,comdat
.Lfunc_end536:
	.size	_ZN7rocprim17ROCPRIM_400000_NS6detail17trampoline_kernelINS0_14default_configENS1_27scan_by_key_config_selectorIiiEEZZNS1_16scan_by_key_implILNS1_25lookback_scan_determinismE0ELb1ES3_N6thrust23THRUST_200600_302600_NS6detail15normal_iteratorINS9_10device_ptrIiEEEESE_SE_iNS9_4plusIvEENS9_8equal_toIiEEiEE10hipError_tPvRmT2_T3_T4_T5_mT6_T7_P12ihipStream_tbENKUlT_T0_E_clISt17integral_constantIbLb0EESZ_EEDaSU_SV_EUlSU_E_NS1_11comp_targetILNS1_3genE4ELNS1_11target_archE910ELNS1_3gpuE8ELNS1_3repE0EEENS1_30default_config_static_selectorELNS0_4arch9wavefront6targetE1EEEvT1_, .Lfunc_end536-_ZN7rocprim17ROCPRIM_400000_NS6detail17trampoline_kernelINS0_14default_configENS1_27scan_by_key_config_selectorIiiEEZZNS1_16scan_by_key_implILNS1_25lookback_scan_determinismE0ELb1ES3_N6thrust23THRUST_200600_302600_NS6detail15normal_iteratorINS9_10device_ptrIiEEEESE_SE_iNS9_4plusIvEENS9_8equal_toIiEEiEE10hipError_tPvRmT2_T3_T4_T5_mT6_T7_P12ihipStream_tbENKUlT_T0_E_clISt17integral_constantIbLb0EESZ_EEDaSU_SV_EUlSU_E_NS1_11comp_targetILNS1_3genE4ELNS1_11target_archE910ELNS1_3gpuE8ELNS1_3repE0EEENS1_30default_config_static_selectorELNS0_4arch9wavefront6targetE1EEEvT1_
                                        ; -- End function
	.section	.AMDGPU.csdata,"",@progbits
; Kernel info:
; codeLenInByte = 11184
; NumSgprs: 64
; NumVgprs: 65
; NumAgprs: 0
; TotalNumVgprs: 65
; ScratchSize: 0
; MemoryBound: 0
; FloatMode: 240
; IeeeMode: 1
; LDSByteSize: 16384 bytes/workgroup (compile time only)
; SGPRBlocks: 7
; VGPRBlocks: 8
; NumSGPRsForWavesPerEU: 64
; NumVGPRsForWavesPerEU: 65
; AccumOffset: 68
; Occupancy: 4
; WaveLimiterHint : 1
; COMPUTE_PGM_RSRC2:SCRATCH_EN: 0
; COMPUTE_PGM_RSRC2:USER_SGPR: 6
; COMPUTE_PGM_RSRC2:TRAP_HANDLER: 0
; COMPUTE_PGM_RSRC2:TGID_X_EN: 1
; COMPUTE_PGM_RSRC2:TGID_Y_EN: 0
; COMPUTE_PGM_RSRC2:TGID_Z_EN: 0
; COMPUTE_PGM_RSRC2:TIDIG_COMP_CNT: 0
; COMPUTE_PGM_RSRC3_GFX90A:ACCUM_OFFSET: 16
; COMPUTE_PGM_RSRC3_GFX90A:TG_SPLIT: 0
	.section	.text._ZN7rocprim17ROCPRIM_400000_NS6detail17trampoline_kernelINS0_14default_configENS1_27scan_by_key_config_selectorIiiEEZZNS1_16scan_by_key_implILNS1_25lookback_scan_determinismE0ELb1ES3_N6thrust23THRUST_200600_302600_NS6detail15normal_iteratorINS9_10device_ptrIiEEEESE_SE_iNS9_4plusIvEENS9_8equal_toIiEEiEE10hipError_tPvRmT2_T3_T4_T5_mT6_T7_P12ihipStream_tbENKUlT_T0_E_clISt17integral_constantIbLb0EESZ_EEDaSU_SV_EUlSU_E_NS1_11comp_targetILNS1_3genE3ELNS1_11target_archE908ELNS1_3gpuE7ELNS1_3repE0EEENS1_30default_config_static_selectorELNS0_4arch9wavefront6targetE1EEEvT1_,"axG",@progbits,_ZN7rocprim17ROCPRIM_400000_NS6detail17trampoline_kernelINS0_14default_configENS1_27scan_by_key_config_selectorIiiEEZZNS1_16scan_by_key_implILNS1_25lookback_scan_determinismE0ELb1ES3_N6thrust23THRUST_200600_302600_NS6detail15normal_iteratorINS9_10device_ptrIiEEEESE_SE_iNS9_4plusIvEENS9_8equal_toIiEEiEE10hipError_tPvRmT2_T3_T4_T5_mT6_T7_P12ihipStream_tbENKUlT_T0_E_clISt17integral_constantIbLb0EESZ_EEDaSU_SV_EUlSU_E_NS1_11comp_targetILNS1_3genE3ELNS1_11target_archE908ELNS1_3gpuE7ELNS1_3repE0EEENS1_30default_config_static_selectorELNS0_4arch9wavefront6targetE1EEEvT1_,comdat
	.protected	_ZN7rocprim17ROCPRIM_400000_NS6detail17trampoline_kernelINS0_14default_configENS1_27scan_by_key_config_selectorIiiEEZZNS1_16scan_by_key_implILNS1_25lookback_scan_determinismE0ELb1ES3_N6thrust23THRUST_200600_302600_NS6detail15normal_iteratorINS9_10device_ptrIiEEEESE_SE_iNS9_4plusIvEENS9_8equal_toIiEEiEE10hipError_tPvRmT2_T3_T4_T5_mT6_T7_P12ihipStream_tbENKUlT_T0_E_clISt17integral_constantIbLb0EESZ_EEDaSU_SV_EUlSU_E_NS1_11comp_targetILNS1_3genE3ELNS1_11target_archE908ELNS1_3gpuE7ELNS1_3repE0EEENS1_30default_config_static_selectorELNS0_4arch9wavefront6targetE1EEEvT1_ ; -- Begin function _ZN7rocprim17ROCPRIM_400000_NS6detail17trampoline_kernelINS0_14default_configENS1_27scan_by_key_config_selectorIiiEEZZNS1_16scan_by_key_implILNS1_25lookback_scan_determinismE0ELb1ES3_N6thrust23THRUST_200600_302600_NS6detail15normal_iteratorINS9_10device_ptrIiEEEESE_SE_iNS9_4plusIvEENS9_8equal_toIiEEiEE10hipError_tPvRmT2_T3_T4_T5_mT6_T7_P12ihipStream_tbENKUlT_T0_E_clISt17integral_constantIbLb0EESZ_EEDaSU_SV_EUlSU_E_NS1_11comp_targetILNS1_3genE3ELNS1_11target_archE908ELNS1_3gpuE7ELNS1_3repE0EEENS1_30default_config_static_selectorELNS0_4arch9wavefront6targetE1EEEvT1_
	.globl	_ZN7rocprim17ROCPRIM_400000_NS6detail17trampoline_kernelINS0_14default_configENS1_27scan_by_key_config_selectorIiiEEZZNS1_16scan_by_key_implILNS1_25lookback_scan_determinismE0ELb1ES3_N6thrust23THRUST_200600_302600_NS6detail15normal_iteratorINS9_10device_ptrIiEEEESE_SE_iNS9_4plusIvEENS9_8equal_toIiEEiEE10hipError_tPvRmT2_T3_T4_T5_mT6_T7_P12ihipStream_tbENKUlT_T0_E_clISt17integral_constantIbLb0EESZ_EEDaSU_SV_EUlSU_E_NS1_11comp_targetILNS1_3genE3ELNS1_11target_archE908ELNS1_3gpuE7ELNS1_3repE0EEENS1_30default_config_static_selectorELNS0_4arch9wavefront6targetE1EEEvT1_
	.p2align	8
	.type	_ZN7rocprim17ROCPRIM_400000_NS6detail17trampoline_kernelINS0_14default_configENS1_27scan_by_key_config_selectorIiiEEZZNS1_16scan_by_key_implILNS1_25lookback_scan_determinismE0ELb1ES3_N6thrust23THRUST_200600_302600_NS6detail15normal_iteratorINS9_10device_ptrIiEEEESE_SE_iNS9_4plusIvEENS9_8equal_toIiEEiEE10hipError_tPvRmT2_T3_T4_T5_mT6_T7_P12ihipStream_tbENKUlT_T0_E_clISt17integral_constantIbLb0EESZ_EEDaSU_SV_EUlSU_E_NS1_11comp_targetILNS1_3genE3ELNS1_11target_archE908ELNS1_3gpuE7ELNS1_3repE0EEENS1_30default_config_static_selectorELNS0_4arch9wavefront6targetE1EEEvT1_,@function
_ZN7rocprim17ROCPRIM_400000_NS6detail17trampoline_kernelINS0_14default_configENS1_27scan_by_key_config_selectorIiiEEZZNS1_16scan_by_key_implILNS1_25lookback_scan_determinismE0ELb1ES3_N6thrust23THRUST_200600_302600_NS6detail15normal_iteratorINS9_10device_ptrIiEEEESE_SE_iNS9_4plusIvEENS9_8equal_toIiEEiEE10hipError_tPvRmT2_T3_T4_T5_mT6_T7_P12ihipStream_tbENKUlT_T0_E_clISt17integral_constantIbLb0EESZ_EEDaSU_SV_EUlSU_E_NS1_11comp_targetILNS1_3genE3ELNS1_11target_archE908ELNS1_3gpuE7ELNS1_3repE0EEENS1_30default_config_static_selectorELNS0_4arch9wavefront6targetE1EEEvT1_: ; @_ZN7rocprim17ROCPRIM_400000_NS6detail17trampoline_kernelINS0_14default_configENS1_27scan_by_key_config_selectorIiiEEZZNS1_16scan_by_key_implILNS1_25lookback_scan_determinismE0ELb1ES3_N6thrust23THRUST_200600_302600_NS6detail15normal_iteratorINS9_10device_ptrIiEEEESE_SE_iNS9_4plusIvEENS9_8equal_toIiEEiEE10hipError_tPvRmT2_T3_T4_T5_mT6_T7_P12ihipStream_tbENKUlT_T0_E_clISt17integral_constantIbLb0EESZ_EEDaSU_SV_EUlSU_E_NS1_11comp_targetILNS1_3genE3ELNS1_11target_archE908ELNS1_3gpuE7ELNS1_3repE0EEENS1_30default_config_static_selectorELNS0_4arch9wavefront6targetE1EEEvT1_
; %bb.0:
	.section	.rodata,"a",@progbits
	.p2align	6, 0x0
	.amdhsa_kernel _ZN7rocprim17ROCPRIM_400000_NS6detail17trampoline_kernelINS0_14default_configENS1_27scan_by_key_config_selectorIiiEEZZNS1_16scan_by_key_implILNS1_25lookback_scan_determinismE0ELb1ES3_N6thrust23THRUST_200600_302600_NS6detail15normal_iteratorINS9_10device_ptrIiEEEESE_SE_iNS9_4plusIvEENS9_8equal_toIiEEiEE10hipError_tPvRmT2_T3_T4_T5_mT6_T7_P12ihipStream_tbENKUlT_T0_E_clISt17integral_constantIbLb0EESZ_EEDaSU_SV_EUlSU_E_NS1_11comp_targetILNS1_3genE3ELNS1_11target_archE908ELNS1_3gpuE7ELNS1_3repE0EEENS1_30default_config_static_selectorELNS0_4arch9wavefront6targetE1EEEvT1_
		.amdhsa_group_segment_fixed_size 0
		.amdhsa_private_segment_fixed_size 0
		.amdhsa_kernarg_size 112
		.amdhsa_user_sgpr_count 6
		.amdhsa_user_sgpr_private_segment_buffer 1
		.amdhsa_user_sgpr_dispatch_ptr 0
		.amdhsa_user_sgpr_queue_ptr 0
		.amdhsa_user_sgpr_kernarg_segment_ptr 1
		.amdhsa_user_sgpr_dispatch_id 0
		.amdhsa_user_sgpr_flat_scratch_init 0
		.amdhsa_user_sgpr_kernarg_preload_length 0
		.amdhsa_user_sgpr_kernarg_preload_offset 0
		.amdhsa_user_sgpr_private_segment_size 0
		.amdhsa_uses_dynamic_stack 0
		.amdhsa_system_sgpr_private_segment_wavefront_offset 0
		.amdhsa_system_sgpr_workgroup_id_x 1
		.amdhsa_system_sgpr_workgroup_id_y 0
		.amdhsa_system_sgpr_workgroup_id_z 0
		.amdhsa_system_sgpr_workgroup_info 0
		.amdhsa_system_vgpr_workitem_id 0
		.amdhsa_next_free_vgpr 1
		.amdhsa_next_free_sgpr 0
		.amdhsa_accum_offset 4
		.amdhsa_reserve_vcc 0
		.amdhsa_reserve_flat_scratch 0
		.amdhsa_float_round_mode_32 0
		.amdhsa_float_round_mode_16_64 0
		.amdhsa_float_denorm_mode_32 3
		.amdhsa_float_denorm_mode_16_64 3
		.amdhsa_dx10_clamp 1
		.amdhsa_ieee_mode 1
		.amdhsa_fp16_overflow 0
		.amdhsa_tg_split 0
		.amdhsa_exception_fp_ieee_invalid_op 0
		.amdhsa_exception_fp_denorm_src 0
		.amdhsa_exception_fp_ieee_div_zero 0
		.amdhsa_exception_fp_ieee_overflow 0
		.amdhsa_exception_fp_ieee_underflow 0
		.amdhsa_exception_fp_ieee_inexact 0
		.amdhsa_exception_int_div_zero 0
	.end_amdhsa_kernel
	.section	.text._ZN7rocprim17ROCPRIM_400000_NS6detail17trampoline_kernelINS0_14default_configENS1_27scan_by_key_config_selectorIiiEEZZNS1_16scan_by_key_implILNS1_25lookback_scan_determinismE0ELb1ES3_N6thrust23THRUST_200600_302600_NS6detail15normal_iteratorINS9_10device_ptrIiEEEESE_SE_iNS9_4plusIvEENS9_8equal_toIiEEiEE10hipError_tPvRmT2_T3_T4_T5_mT6_T7_P12ihipStream_tbENKUlT_T0_E_clISt17integral_constantIbLb0EESZ_EEDaSU_SV_EUlSU_E_NS1_11comp_targetILNS1_3genE3ELNS1_11target_archE908ELNS1_3gpuE7ELNS1_3repE0EEENS1_30default_config_static_selectorELNS0_4arch9wavefront6targetE1EEEvT1_,"axG",@progbits,_ZN7rocprim17ROCPRIM_400000_NS6detail17trampoline_kernelINS0_14default_configENS1_27scan_by_key_config_selectorIiiEEZZNS1_16scan_by_key_implILNS1_25lookback_scan_determinismE0ELb1ES3_N6thrust23THRUST_200600_302600_NS6detail15normal_iteratorINS9_10device_ptrIiEEEESE_SE_iNS9_4plusIvEENS9_8equal_toIiEEiEE10hipError_tPvRmT2_T3_T4_T5_mT6_T7_P12ihipStream_tbENKUlT_T0_E_clISt17integral_constantIbLb0EESZ_EEDaSU_SV_EUlSU_E_NS1_11comp_targetILNS1_3genE3ELNS1_11target_archE908ELNS1_3gpuE7ELNS1_3repE0EEENS1_30default_config_static_selectorELNS0_4arch9wavefront6targetE1EEEvT1_,comdat
.Lfunc_end537:
	.size	_ZN7rocprim17ROCPRIM_400000_NS6detail17trampoline_kernelINS0_14default_configENS1_27scan_by_key_config_selectorIiiEEZZNS1_16scan_by_key_implILNS1_25lookback_scan_determinismE0ELb1ES3_N6thrust23THRUST_200600_302600_NS6detail15normal_iteratorINS9_10device_ptrIiEEEESE_SE_iNS9_4plusIvEENS9_8equal_toIiEEiEE10hipError_tPvRmT2_T3_T4_T5_mT6_T7_P12ihipStream_tbENKUlT_T0_E_clISt17integral_constantIbLb0EESZ_EEDaSU_SV_EUlSU_E_NS1_11comp_targetILNS1_3genE3ELNS1_11target_archE908ELNS1_3gpuE7ELNS1_3repE0EEENS1_30default_config_static_selectorELNS0_4arch9wavefront6targetE1EEEvT1_, .Lfunc_end537-_ZN7rocprim17ROCPRIM_400000_NS6detail17trampoline_kernelINS0_14default_configENS1_27scan_by_key_config_selectorIiiEEZZNS1_16scan_by_key_implILNS1_25lookback_scan_determinismE0ELb1ES3_N6thrust23THRUST_200600_302600_NS6detail15normal_iteratorINS9_10device_ptrIiEEEESE_SE_iNS9_4plusIvEENS9_8equal_toIiEEiEE10hipError_tPvRmT2_T3_T4_T5_mT6_T7_P12ihipStream_tbENKUlT_T0_E_clISt17integral_constantIbLb0EESZ_EEDaSU_SV_EUlSU_E_NS1_11comp_targetILNS1_3genE3ELNS1_11target_archE908ELNS1_3gpuE7ELNS1_3repE0EEENS1_30default_config_static_selectorELNS0_4arch9wavefront6targetE1EEEvT1_
                                        ; -- End function
	.section	.AMDGPU.csdata,"",@progbits
; Kernel info:
; codeLenInByte = 0
; NumSgprs: 4
; NumVgprs: 0
; NumAgprs: 0
; TotalNumVgprs: 0
; ScratchSize: 0
; MemoryBound: 0
; FloatMode: 240
; IeeeMode: 1
; LDSByteSize: 0 bytes/workgroup (compile time only)
; SGPRBlocks: 0
; VGPRBlocks: 0
; NumSGPRsForWavesPerEU: 4
; NumVGPRsForWavesPerEU: 1
; AccumOffset: 4
; Occupancy: 8
; WaveLimiterHint : 0
; COMPUTE_PGM_RSRC2:SCRATCH_EN: 0
; COMPUTE_PGM_RSRC2:USER_SGPR: 6
; COMPUTE_PGM_RSRC2:TRAP_HANDLER: 0
; COMPUTE_PGM_RSRC2:TGID_X_EN: 1
; COMPUTE_PGM_RSRC2:TGID_Y_EN: 0
; COMPUTE_PGM_RSRC2:TGID_Z_EN: 0
; COMPUTE_PGM_RSRC2:TIDIG_COMP_CNT: 0
; COMPUTE_PGM_RSRC3_GFX90A:ACCUM_OFFSET: 0
; COMPUTE_PGM_RSRC3_GFX90A:TG_SPLIT: 0
	.section	.text._ZN7rocprim17ROCPRIM_400000_NS6detail17trampoline_kernelINS0_14default_configENS1_27scan_by_key_config_selectorIiiEEZZNS1_16scan_by_key_implILNS1_25lookback_scan_determinismE0ELb1ES3_N6thrust23THRUST_200600_302600_NS6detail15normal_iteratorINS9_10device_ptrIiEEEESE_SE_iNS9_4plusIvEENS9_8equal_toIiEEiEE10hipError_tPvRmT2_T3_T4_T5_mT6_T7_P12ihipStream_tbENKUlT_T0_E_clISt17integral_constantIbLb0EESZ_EEDaSU_SV_EUlSU_E_NS1_11comp_targetILNS1_3genE2ELNS1_11target_archE906ELNS1_3gpuE6ELNS1_3repE0EEENS1_30default_config_static_selectorELNS0_4arch9wavefront6targetE1EEEvT1_,"axG",@progbits,_ZN7rocprim17ROCPRIM_400000_NS6detail17trampoline_kernelINS0_14default_configENS1_27scan_by_key_config_selectorIiiEEZZNS1_16scan_by_key_implILNS1_25lookback_scan_determinismE0ELb1ES3_N6thrust23THRUST_200600_302600_NS6detail15normal_iteratorINS9_10device_ptrIiEEEESE_SE_iNS9_4plusIvEENS9_8equal_toIiEEiEE10hipError_tPvRmT2_T3_T4_T5_mT6_T7_P12ihipStream_tbENKUlT_T0_E_clISt17integral_constantIbLb0EESZ_EEDaSU_SV_EUlSU_E_NS1_11comp_targetILNS1_3genE2ELNS1_11target_archE906ELNS1_3gpuE6ELNS1_3repE0EEENS1_30default_config_static_selectorELNS0_4arch9wavefront6targetE1EEEvT1_,comdat
	.protected	_ZN7rocprim17ROCPRIM_400000_NS6detail17trampoline_kernelINS0_14default_configENS1_27scan_by_key_config_selectorIiiEEZZNS1_16scan_by_key_implILNS1_25lookback_scan_determinismE0ELb1ES3_N6thrust23THRUST_200600_302600_NS6detail15normal_iteratorINS9_10device_ptrIiEEEESE_SE_iNS9_4plusIvEENS9_8equal_toIiEEiEE10hipError_tPvRmT2_T3_T4_T5_mT6_T7_P12ihipStream_tbENKUlT_T0_E_clISt17integral_constantIbLb0EESZ_EEDaSU_SV_EUlSU_E_NS1_11comp_targetILNS1_3genE2ELNS1_11target_archE906ELNS1_3gpuE6ELNS1_3repE0EEENS1_30default_config_static_selectorELNS0_4arch9wavefront6targetE1EEEvT1_ ; -- Begin function _ZN7rocprim17ROCPRIM_400000_NS6detail17trampoline_kernelINS0_14default_configENS1_27scan_by_key_config_selectorIiiEEZZNS1_16scan_by_key_implILNS1_25lookback_scan_determinismE0ELb1ES3_N6thrust23THRUST_200600_302600_NS6detail15normal_iteratorINS9_10device_ptrIiEEEESE_SE_iNS9_4plusIvEENS9_8equal_toIiEEiEE10hipError_tPvRmT2_T3_T4_T5_mT6_T7_P12ihipStream_tbENKUlT_T0_E_clISt17integral_constantIbLb0EESZ_EEDaSU_SV_EUlSU_E_NS1_11comp_targetILNS1_3genE2ELNS1_11target_archE906ELNS1_3gpuE6ELNS1_3repE0EEENS1_30default_config_static_selectorELNS0_4arch9wavefront6targetE1EEEvT1_
	.globl	_ZN7rocprim17ROCPRIM_400000_NS6detail17trampoline_kernelINS0_14default_configENS1_27scan_by_key_config_selectorIiiEEZZNS1_16scan_by_key_implILNS1_25lookback_scan_determinismE0ELb1ES3_N6thrust23THRUST_200600_302600_NS6detail15normal_iteratorINS9_10device_ptrIiEEEESE_SE_iNS9_4plusIvEENS9_8equal_toIiEEiEE10hipError_tPvRmT2_T3_T4_T5_mT6_T7_P12ihipStream_tbENKUlT_T0_E_clISt17integral_constantIbLb0EESZ_EEDaSU_SV_EUlSU_E_NS1_11comp_targetILNS1_3genE2ELNS1_11target_archE906ELNS1_3gpuE6ELNS1_3repE0EEENS1_30default_config_static_selectorELNS0_4arch9wavefront6targetE1EEEvT1_
	.p2align	8
	.type	_ZN7rocprim17ROCPRIM_400000_NS6detail17trampoline_kernelINS0_14default_configENS1_27scan_by_key_config_selectorIiiEEZZNS1_16scan_by_key_implILNS1_25lookback_scan_determinismE0ELb1ES3_N6thrust23THRUST_200600_302600_NS6detail15normal_iteratorINS9_10device_ptrIiEEEESE_SE_iNS9_4plusIvEENS9_8equal_toIiEEiEE10hipError_tPvRmT2_T3_T4_T5_mT6_T7_P12ihipStream_tbENKUlT_T0_E_clISt17integral_constantIbLb0EESZ_EEDaSU_SV_EUlSU_E_NS1_11comp_targetILNS1_3genE2ELNS1_11target_archE906ELNS1_3gpuE6ELNS1_3repE0EEENS1_30default_config_static_selectorELNS0_4arch9wavefront6targetE1EEEvT1_,@function
_ZN7rocprim17ROCPRIM_400000_NS6detail17trampoline_kernelINS0_14default_configENS1_27scan_by_key_config_selectorIiiEEZZNS1_16scan_by_key_implILNS1_25lookback_scan_determinismE0ELb1ES3_N6thrust23THRUST_200600_302600_NS6detail15normal_iteratorINS9_10device_ptrIiEEEESE_SE_iNS9_4plusIvEENS9_8equal_toIiEEiEE10hipError_tPvRmT2_T3_T4_T5_mT6_T7_P12ihipStream_tbENKUlT_T0_E_clISt17integral_constantIbLb0EESZ_EEDaSU_SV_EUlSU_E_NS1_11comp_targetILNS1_3genE2ELNS1_11target_archE906ELNS1_3gpuE6ELNS1_3repE0EEENS1_30default_config_static_selectorELNS0_4arch9wavefront6targetE1EEEvT1_: ; @_ZN7rocprim17ROCPRIM_400000_NS6detail17trampoline_kernelINS0_14default_configENS1_27scan_by_key_config_selectorIiiEEZZNS1_16scan_by_key_implILNS1_25lookback_scan_determinismE0ELb1ES3_N6thrust23THRUST_200600_302600_NS6detail15normal_iteratorINS9_10device_ptrIiEEEESE_SE_iNS9_4plusIvEENS9_8equal_toIiEEiEE10hipError_tPvRmT2_T3_T4_T5_mT6_T7_P12ihipStream_tbENKUlT_T0_E_clISt17integral_constantIbLb0EESZ_EEDaSU_SV_EUlSU_E_NS1_11comp_targetILNS1_3genE2ELNS1_11target_archE906ELNS1_3gpuE6ELNS1_3repE0EEENS1_30default_config_static_selectorELNS0_4arch9wavefront6targetE1EEEvT1_
; %bb.0:
	.section	.rodata,"a",@progbits
	.p2align	6, 0x0
	.amdhsa_kernel _ZN7rocprim17ROCPRIM_400000_NS6detail17trampoline_kernelINS0_14default_configENS1_27scan_by_key_config_selectorIiiEEZZNS1_16scan_by_key_implILNS1_25lookback_scan_determinismE0ELb1ES3_N6thrust23THRUST_200600_302600_NS6detail15normal_iteratorINS9_10device_ptrIiEEEESE_SE_iNS9_4plusIvEENS9_8equal_toIiEEiEE10hipError_tPvRmT2_T3_T4_T5_mT6_T7_P12ihipStream_tbENKUlT_T0_E_clISt17integral_constantIbLb0EESZ_EEDaSU_SV_EUlSU_E_NS1_11comp_targetILNS1_3genE2ELNS1_11target_archE906ELNS1_3gpuE6ELNS1_3repE0EEENS1_30default_config_static_selectorELNS0_4arch9wavefront6targetE1EEEvT1_
		.amdhsa_group_segment_fixed_size 0
		.amdhsa_private_segment_fixed_size 0
		.amdhsa_kernarg_size 112
		.amdhsa_user_sgpr_count 6
		.amdhsa_user_sgpr_private_segment_buffer 1
		.amdhsa_user_sgpr_dispatch_ptr 0
		.amdhsa_user_sgpr_queue_ptr 0
		.amdhsa_user_sgpr_kernarg_segment_ptr 1
		.amdhsa_user_sgpr_dispatch_id 0
		.amdhsa_user_sgpr_flat_scratch_init 0
		.amdhsa_user_sgpr_kernarg_preload_length 0
		.amdhsa_user_sgpr_kernarg_preload_offset 0
		.amdhsa_user_sgpr_private_segment_size 0
		.amdhsa_uses_dynamic_stack 0
		.amdhsa_system_sgpr_private_segment_wavefront_offset 0
		.amdhsa_system_sgpr_workgroup_id_x 1
		.amdhsa_system_sgpr_workgroup_id_y 0
		.amdhsa_system_sgpr_workgroup_id_z 0
		.amdhsa_system_sgpr_workgroup_info 0
		.amdhsa_system_vgpr_workitem_id 0
		.amdhsa_next_free_vgpr 1
		.amdhsa_next_free_sgpr 0
		.amdhsa_accum_offset 4
		.amdhsa_reserve_vcc 0
		.amdhsa_reserve_flat_scratch 0
		.amdhsa_float_round_mode_32 0
		.amdhsa_float_round_mode_16_64 0
		.amdhsa_float_denorm_mode_32 3
		.amdhsa_float_denorm_mode_16_64 3
		.amdhsa_dx10_clamp 1
		.amdhsa_ieee_mode 1
		.amdhsa_fp16_overflow 0
		.amdhsa_tg_split 0
		.amdhsa_exception_fp_ieee_invalid_op 0
		.amdhsa_exception_fp_denorm_src 0
		.amdhsa_exception_fp_ieee_div_zero 0
		.amdhsa_exception_fp_ieee_overflow 0
		.amdhsa_exception_fp_ieee_underflow 0
		.amdhsa_exception_fp_ieee_inexact 0
		.amdhsa_exception_int_div_zero 0
	.end_amdhsa_kernel
	.section	.text._ZN7rocprim17ROCPRIM_400000_NS6detail17trampoline_kernelINS0_14default_configENS1_27scan_by_key_config_selectorIiiEEZZNS1_16scan_by_key_implILNS1_25lookback_scan_determinismE0ELb1ES3_N6thrust23THRUST_200600_302600_NS6detail15normal_iteratorINS9_10device_ptrIiEEEESE_SE_iNS9_4plusIvEENS9_8equal_toIiEEiEE10hipError_tPvRmT2_T3_T4_T5_mT6_T7_P12ihipStream_tbENKUlT_T0_E_clISt17integral_constantIbLb0EESZ_EEDaSU_SV_EUlSU_E_NS1_11comp_targetILNS1_3genE2ELNS1_11target_archE906ELNS1_3gpuE6ELNS1_3repE0EEENS1_30default_config_static_selectorELNS0_4arch9wavefront6targetE1EEEvT1_,"axG",@progbits,_ZN7rocprim17ROCPRIM_400000_NS6detail17trampoline_kernelINS0_14default_configENS1_27scan_by_key_config_selectorIiiEEZZNS1_16scan_by_key_implILNS1_25lookback_scan_determinismE0ELb1ES3_N6thrust23THRUST_200600_302600_NS6detail15normal_iteratorINS9_10device_ptrIiEEEESE_SE_iNS9_4plusIvEENS9_8equal_toIiEEiEE10hipError_tPvRmT2_T3_T4_T5_mT6_T7_P12ihipStream_tbENKUlT_T0_E_clISt17integral_constantIbLb0EESZ_EEDaSU_SV_EUlSU_E_NS1_11comp_targetILNS1_3genE2ELNS1_11target_archE906ELNS1_3gpuE6ELNS1_3repE0EEENS1_30default_config_static_selectorELNS0_4arch9wavefront6targetE1EEEvT1_,comdat
.Lfunc_end538:
	.size	_ZN7rocprim17ROCPRIM_400000_NS6detail17trampoline_kernelINS0_14default_configENS1_27scan_by_key_config_selectorIiiEEZZNS1_16scan_by_key_implILNS1_25lookback_scan_determinismE0ELb1ES3_N6thrust23THRUST_200600_302600_NS6detail15normal_iteratorINS9_10device_ptrIiEEEESE_SE_iNS9_4plusIvEENS9_8equal_toIiEEiEE10hipError_tPvRmT2_T3_T4_T5_mT6_T7_P12ihipStream_tbENKUlT_T0_E_clISt17integral_constantIbLb0EESZ_EEDaSU_SV_EUlSU_E_NS1_11comp_targetILNS1_3genE2ELNS1_11target_archE906ELNS1_3gpuE6ELNS1_3repE0EEENS1_30default_config_static_selectorELNS0_4arch9wavefront6targetE1EEEvT1_, .Lfunc_end538-_ZN7rocprim17ROCPRIM_400000_NS6detail17trampoline_kernelINS0_14default_configENS1_27scan_by_key_config_selectorIiiEEZZNS1_16scan_by_key_implILNS1_25lookback_scan_determinismE0ELb1ES3_N6thrust23THRUST_200600_302600_NS6detail15normal_iteratorINS9_10device_ptrIiEEEESE_SE_iNS9_4plusIvEENS9_8equal_toIiEEiEE10hipError_tPvRmT2_T3_T4_T5_mT6_T7_P12ihipStream_tbENKUlT_T0_E_clISt17integral_constantIbLb0EESZ_EEDaSU_SV_EUlSU_E_NS1_11comp_targetILNS1_3genE2ELNS1_11target_archE906ELNS1_3gpuE6ELNS1_3repE0EEENS1_30default_config_static_selectorELNS0_4arch9wavefront6targetE1EEEvT1_
                                        ; -- End function
	.section	.AMDGPU.csdata,"",@progbits
; Kernel info:
; codeLenInByte = 0
; NumSgprs: 4
; NumVgprs: 0
; NumAgprs: 0
; TotalNumVgprs: 0
; ScratchSize: 0
; MemoryBound: 0
; FloatMode: 240
; IeeeMode: 1
; LDSByteSize: 0 bytes/workgroup (compile time only)
; SGPRBlocks: 0
; VGPRBlocks: 0
; NumSGPRsForWavesPerEU: 4
; NumVGPRsForWavesPerEU: 1
; AccumOffset: 4
; Occupancy: 8
; WaveLimiterHint : 0
; COMPUTE_PGM_RSRC2:SCRATCH_EN: 0
; COMPUTE_PGM_RSRC2:USER_SGPR: 6
; COMPUTE_PGM_RSRC2:TRAP_HANDLER: 0
; COMPUTE_PGM_RSRC2:TGID_X_EN: 1
; COMPUTE_PGM_RSRC2:TGID_Y_EN: 0
; COMPUTE_PGM_RSRC2:TGID_Z_EN: 0
; COMPUTE_PGM_RSRC2:TIDIG_COMP_CNT: 0
; COMPUTE_PGM_RSRC3_GFX90A:ACCUM_OFFSET: 0
; COMPUTE_PGM_RSRC3_GFX90A:TG_SPLIT: 0
	.section	.text._ZN7rocprim17ROCPRIM_400000_NS6detail17trampoline_kernelINS0_14default_configENS1_27scan_by_key_config_selectorIiiEEZZNS1_16scan_by_key_implILNS1_25lookback_scan_determinismE0ELb1ES3_N6thrust23THRUST_200600_302600_NS6detail15normal_iteratorINS9_10device_ptrIiEEEESE_SE_iNS9_4plusIvEENS9_8equal_toIiEEiEE10hipError_tPvRmT2_T3_T4_T5_mT6_T7_P12ihipStream_tbENKUlT_T0_E_clISt17integral_constantIbLb0EESZ_EEDaSU_SV_EUlSU_E_NS1_11comp_targetILNS1_3genE10ELNS1_11target_archE1200ELNS1_3gpuE4ELNS1_3repE0EEENS1_30default_config_static_selectorELNS0_4arch9wavefront6targetE1EEEvT1_,"axG",@progbits,_ZN7rocprim17ROCPRIM_400000_NS6detail17trampoline_kernelINS0_14default_configENS1_27scan_by_key_config_selectorIiiEEZZNS1_16scan_by_key_implILNS1_25lookback_scan_determinismE0ELb1ES3_N6thrust23THRUST_200600_302600_NS6detail15normal_iteratorINS9_10device_ptrIiEEEESE_SE_iNS9_4plusIvEENS9_8equal_toIiEEiEE10hipError_tPvRmT2_T3_T4_T5_mT6_T7_P12ihipStream_tbENKUlT_T0_E_clISt17integral_constantIbLb0EESZ_EEDaSU_SV_EUlSU_E_NS1_11comp_targetILNS1_3genE10ELNS1_11target_archE1200ELNS1_3gpuE4ELNS1_3repE0EEENS1_30default_config_static_selectorELNS0_4arch9wavefront6targetE1EEEvT1_,comdat
	.protected	_ZN7rocprim17ROCPRIM_400000_NS6detail17trampoline_kernelINS0_14default_configENS1_27scan_by_key_config_selectorIiiEEZZNS1_16scan_by_key_implILNS1_25lookback_scan_determinismE0ELb1ES3_N6thrust23THRUST_200600_302600_NS6detail15normal_iteratorINS9_10device_ptrIiEEEESE_SE_iNS9_4plusIvEENS9_8equal_toIiEEiEE10hipError_tPvRmT2_T3_T4_T5_mT6_T7_P12ihipStream_tbENKUlT_T0_E_clISt17integral_constantIbLb0EESZ_EEDaSU_SV_EUlSU_E_NS1_11comp_targetILNS1_3genE10ELNS1_11target_archE1200ELNS1_3gpuE4ELNS1_3repE0EEENS1_30default_config_static_selectorELNS0_4arch9wavefront6targetE1EEEvT1_ ; -- Begin function _ZN7rocprim17ROCPRIM_400000_NS6detail17trampoline_kernelINS0_14default_configENS1_27scan_by_key_config_selectorIiiEEZZNS1_16scan_by_key_implILNS1_25lookback_scan_determinismE0ELb1ES3_N6thrust23THRUST_200600_302600_NS6detail15normal_iteratorINS9_10device_ptrIiEEEESE_SE_iNS9_4plusIvEENS9_8equal_toIiEEiEE10hipError_tPvRmT2_T3_T4_T5_mT6_T7_P12ihipStream_tbENKUlT_T0_E_clISt17integral_constantIbLb0EESZ_EEDaSU_SV_EUlSU_E_NS1_11comp_targetILNS1_3genE10ELNS1_11target_archE1200ELNS1_3gpuE4ELNS1_3repE0EEENS1_30default_config_static_selectorELNS0_4arch9wavefront6targetE1EEEvT1_
	.globl	_ZN7rocprim17ROCPRIM_400000_NS6detail17trampoline_kernelINS0_14default_configENS1_27scan_by_key_config_selectorIiiEEZZNS1_16scan_by_key_implILNS1_25lookback_scan_determinismE0ELb1ES3_N6thrust23THRUST_200600_302600_NS6detail15normal_iteratorINS9_10device_ptrIiEEEESE_SE_iNS9_4plusIvEENS9_8equal_toIiEEiEE10hipError_tPvRmT2_T3_T4_T5_mT6_T7_P12ihipStream_tbENKUlT_T0_E_clISt17integral_constantIbLb0EESZ_EEDaSU_SV_EUlSU_E_NS1_11comp_targetILNS1_3genE10ELNS1_11target_archE1200ELNS1_3gpuE4ELNS1_3repE0EEENS1_30default_config_static_selectorELNS0_4arch9wavefront6targetE1EEEvT1_
	.p2align	8
	.type	_ZN7rocprim17ROCPRIM_400000_NS6detail17trampoline_kernelINS0_14default_configENS1_27scan_by_key_config_selectorIiiEEZZNS1_16scan_by_key_implILNS1_25lookback_scan_determinismE0ELb1ES3_N6thrust23THRUST_200600_302600_NS6detail15normal_iteratorINS9_10device_ptrIiEEEESE_SE_iNS9_4plusIvEENS9_8equal_toIiEEiEE10hipError_tPvRmT2_T3_T4_T5_mT6_T7_P12ihipStream_tbENKUlT_T0_E_clISt17integral_constantIbLb0EESZ_EEDaSU_SV_EUlSU_E_NS1_11comp_targetILNS1_3genE10ELNS1_11target_archE1200ELNS1_3gpuE4ELNS1_3repE0EEENS1_30default_config_static_selectorELNS0_4arch9wavefront6targetE1EEEvT1_,@function
_ZN7rocprim17ROCPRIM_400000_NS6detail17trampoline_kernelINS0_14default_configENS1_27scan_by_key_config_selectorIiiEEZZNS1_16scan_by_key_implILNS1_25lookback_scan_determinismE0ELb1ES3_N6thrust23THRUST_200600_302600_NS6detail15normal_iteratorINS9_10device_ptrIiEEEESE_SE_iNS9_4plusIvEENS9_8equal_toIiEEiEE10hipError_tPvRmT2_T3_T4_T5_mT6_T7_P12ihipStream_tbENKUlT_T0_E_clISt17integral_constantIbLb0EESZ_EEDaSU_SV_EUlSU_E_NS1_11comp_targetILNS1_3genE10ELNS1_11target_archE1200ELNS1_3gpuE4ELNS1_3repE0EEENS1_30default_config_static_selectorELNS0_4arch9wavefront6targetE1EEEvT1_: ; @_ZN7rocprim17ROCPRIM_400000_NS6detail17trampoline_kernelINS0_14default_configENS1_27scan_by_key_config_selectorIiiEEZZNS1_16scan_by_key_implILNS1_25lookback_scan_determinismE0ELb1ES3_N6thrust23THRUST_200600_302600_NS6detail15normal_iteratorINS9_10device_ptrIiEEEESE_SE_iNS9_4plusIvEENS9_8equal_toIiEEiEE10hipError_tPvRmT2_T3_T4_T5_mT6_T7_P12ihipStream_tbENKUlT_T0_E_clISt17integral_constantIbLb0EESZ_EEDaSU_SV_EUlSU_E_NS1_11comp_targetILNS1_3genE10ELNS1_11target_archE1200ELNS1_3gpuE4ELNS1_3repE0EEENS1_30default_config_static_selectorELNS0_4arch9wavefront6targetE1EEEvT1_
; %bb.0:
	.section	.rodata,"a",@progbits
	.p2align	6, 0x0
	.amdhsa_kernel _ZN7rocprim17ROCPRIM_400000_NS6detail17trampoline_kernelINS0_14default_configENS1_27scan_by_key_config_selectorIiiEEZZNS1_16scan_by_key_implILNS1_25lookback_scan_determinismE0ELb1ES3_N6thrust23THRUST_200600_302600_NS6detail15normal_iteratorINS9_10device_ptrIiEEEESE_SE_iNS9_4plusIvEENS9_8equal_toIiEEiEE10hipError_tPvRmT2_T3_T4_T5_mT6_T7_P12ihipStream_tbENKUlT_T0_E_clISt17integral_constantIbLb0EESZ_EEDaSU_SV_EUlSU_E_NS1_11comp_targetILNS1_3genE10ELNS1_11target_archE1200ELNS1_3gpuE4ELNS1_3repE0EEENS1_30default_config_static_selectorELNS0_4arch9wavefront6targetE1EEEvT1_
		.amdhsa_group_segment_fixed_size 0
		.amdhsa_private_segment_fixed_size 0
		.amdhsa_kernarg_size 112
		.amdhsa_user_sgpr_count 6
		.amdhsa_user_sgpr_private_segment_buffer 1
		.amdhsa_user_sgpr_dispatch_ptr 0
		.amdhsa_user_sgpr_queue_ptr 0
		.amdhsa_user_sgpr_kernarg_segment_ptr 1
		.amdhsa_user_sgpr_dispatch_id 0
		.amdhsa_user_sgpr_flat_scratch_init 0
		.amdhsa_user_sgpr_kernarg_preload_length 0
		.amdhsa_user_sgpr_kernarg_preload_offset 0
		.amdhsa_user_sgpr_private_segment_size 0
		.amdhsa_uses_dynamic_stack 0
		.amdhsa_system_sgpr_private_segment_wavefront_offset 0
		.amdhsa_system_sgpr_workgroup_id_x 1
		.amdhsa_system_sgpr_workgroup_id_y 0
		.amdhsa_system_sgpr_workgroup_id_z 0
		.amdhsa_system_sgpr_workgroup_info 0
		.amdhsa_system_vgpr_workitem_id 0
		.amdhsa_next_free_vgpr 1
		.amdhsa_next_free_sgpr 0
		.amdhsa_accum_offset 4
		.amdhsa_reserve_vcc 0
		.amdhsa_reserve_flat_scratch 0
		.amdhsa_float_round_mode_32 0
		.amdhsa_float_round_mode_16_64 0
		.amdhsa_float_denorm_mode_32 3
		.amdhsa_float_denorm_mode_16_64 3
		.amdhsa_dx10_clamp 1
		.amdhsa_ieee_mode 1
		.amdhsa_fp16_overflow 0
		.amdhsa_tg_split 0
		.amdhsa_exception_fp_ieee_invalid_op 0
		.amdhsa_exception_fp_denorm_src 0
		.amdhsa_exception_fp_ieee_div_zero 0
		.amdhsa_exception_fp_ieee_overflow 0
		.amdhsa_exception_fp_ieee_underflow 0
		.amdhsa_exception_fp_ieee_inexact 0
		.amdhsa_exception_int_div_zero 0
	.end_amdhsa_kernel
	.section	.text._ZN7rocprim17ROCPRIM_400000_NS6detail17trampoline_kernelINS0_14default_configENS1_27scan_by_key_config_selectorIiiEEZZNS1_16scan_by_key_implILNS1_25lookback_scan_determinismE0ELb1ES3_N6thrust23THRUST_200600_302600_NS6detail15normal_iteratorINS9_10device_ptrIiEEEESE_SE_iNS9_4plusIvEENS9_8equal_toIiEEiEE10hipError_tPvRmT2_T3_T4_T5_mT6_T7_P12ihipStream_tbENKUlT_T0_E_clISt17integral_constantIbLb0EESZ_EEDaSU_SV_EUlSU_E_NS1_11comp_targetILNS1_3genE10ELNS1_11target_archE1200ELNS1_3gpuE4ELNS1_3repE0EEENS1_30default_config_static_selectorELNS0_4arch9wavefront6targetE1EEEvT1_,"axG",@progbits,_ZN7rocprim17ROCPRIM_400000_NS6detail17trampoline_kernelINS0_14default_configENS1_27scan_by_key_config_selectorIiiEEZZNS1_16scan_by_key_implILNS1_25lookback_scan_determinismE0ELb1ES3_N6thrust23THRUST_200600_302600_NS6detail15normal_iteratorINS9_10device_ptrIiEEEESE_SE_iNS9_4plusIvEENS9_8equal_toIiEEiEE10hipError_tPvRmT2_T3_T4_T5_mT6_T7_P12ihipStream_tbENKUlT_T0_E_clISt17integral_constantIbLb0EESZ_EEDaSU_SV_EUlSU_E_NS1_11comp_targetILNS1_3genE10ELNS1_11target_archE1200ELNS1_3gpuE4ELNS1_3repE0EEENS1_30default_config_static_selectorELNS0_4arch9wavefront6targetE1EEEvT1_,comdat
.Lfunc_end539:
	.size	_ZN7rocprim17ROCPRIM_400000_NS6detail17trampoline_kernelINS0_14default_configENS1_27scan_by_key_config_selectorIiiEEZZNS1_16scan_by_key_implILNS1_25lookback_scan_determinismE0ELb1ES3_N6thrust23THRUST_200600_302600_NS6detail15normal_iteratorINS9_10device_ptrIiEEEESE_SE_iNS9_4plusIvEENS9_8equal_toIiEEiEE10hipError_tPvRmT2_T3_T4_T5_mT6_T7_P12ihipStream_tbENKUlT_T0_E_clISt17integral_constantIbLb0EESZ_EEDaSU_SV_EUlSU_E_NS1_11comp_targetILNS1_3genE10ELNS1_11target_archE1200ELNS1_3gpuE4ELNS1_3repE0EEENS1_30default_config_static_selectorELNS0_4arch9wavefront6targetE1EEEvT1_, .Lfunc_end539-_ZN7rocprim17ROCPRIM_400000_NS6detail17trampoline_kernelINS0_14default_configENS1_27scan_by_key_config_selectorIiiEEZZNS1_16scan_by_key_implILNS1_25lookback_scan_determinismE0ELb1ES3_N6thrust23THRUST_200600_302600_NS6detail15normal_iteratorINS9_10device_ptrIiEEEESE_SE_iNS9_4plusIvEENS9_8equal_toIiEEiEE10hipError_tPvRmT2_T3_T4_T5_mT6_T7_P12ihipStream_tbENKUlT_T0_E_clISt17integral_constantIbLb0EESZ_EEDaSU_SV_EUlSU_E_NS1_11comp_targetILNS1_3genE10ELNS1_11target_archE1200ELNS1_3gpuE4ELNS1_3repE0EEENS1_30default_config_static_selectorELNS0_4arch9wavefront6targetE1EEEvT1_
                                        ; -- End function
	.section	.AMDGPU.csdata,"",@progbits
; Kernel info:
; codeLenInByte = 0
; NumSgprs: 4
; NumVgprs: 0
; NumAgprs: 0
; TotalNumVgprs: 0
; ScratchSize: 0
; MemoryBound: 0
; FloatMode: 240
; IeeeMode: 1
; LDSByteSize: 0 bytes/workgroup (compile time only)
; SGPRBlocks: 0
; VGPRBlocks: 0
; NumSGPRsForWavesPerEU: 4
; NumVGPRsForWavesPerEU: 1
; AccumOffset: 4
; Occupancy: 8
; WaveLimiterHint : 0
; COMPUTE_PGM_RSRC2:SCRATCH_EN: 0
; COMPUTE_PGM_RSRC2:USER_SGPR: 6
; COMPUTE_PGM_RSRC2:TRAP_HANDLER: 0
; COMPUTE_PGM_RSRC2:TGID_X_EN: 1
; COMPUTE_PGM_RSRC2:TGID_Y_EN: 0
; COMPUTE_PGM_RSRC2:TGID_Z_EN: 0
; COMPUTE_PGM_RSRC2:TIDIG_COMP_CNT: 0
; COMPUTE_PGM_RSRC3_GFX90A:ACCUM_OFFSET: 0
; COMPUTE_PGM_RSRC3_GFX90A:TG_SPLIT: 0
	.section	.text._ZN7rocprim17ROCPRIM_400000_NS6detail17trampoline_kernelINS0_14default_configENS1_27scan_by_key_config_selectorIiiEEZZNS1_16scan_by_key_implILNS1_25lookback_scan_determinismE0ELb1ES3_N6thrust23THRUST_200600_302600_NS6detail15normal_iteratorINS9_10device_ptrIiEEEESE_SE_iNS9_4plusIvEENS9_8equal_toIiEEiEE10hipError_tPvRmT2_T3_T4_T5_mT6_T7_P12ihipStream_tbENKUlT_T0_E_clISt17integral_constantIbLb0EESZ_EEDaSU_SV_EUlSU_E_NS1_11comp_targetILNS1_3genE9ELNS1_11target_archE1100ELNS1_3gpuE3ELNS1_3repE0EEENS1_30default_config_static_selectorELNS0_4arch9wavefront6targetE1EEEvT1_,"axG",@progbits,_ZN7rocprim17ROCPRIM_400000_NS6detail17trampoline_kernelINS0_14default_configENS1_27scan_by_key_config_selectorIiiEEZZNS1_16scan_by_key_implILNS1_25lookback_scan_determinismE0ELb1ES3_N6thrust23THRUST_200600_302600_NS6detail15normal_iteratorINS9_10device_ptrIiEEEESE_SE_iNS9_4plusIvEENS9_8equal_toIiEEiEE10hipError_tPvRmT2_T3_T4_T5_mT6_T7_P12ihipStream_tbENKUlT_T0_E_clISt17integral_constantIbLb0EESZ_EEDaSU_SV_EUlSU_E_NS1_11comp_targetILNS1_3genE9ELNS1_11target_archE1100ELNS1_3gpuE3ELNS1_3repE0EEENS1_30default_config_static_selectorELNS0_4arch9wavefront6targetE1EEEvT1_,comdat
	.protected	_ZN7rocprim17ROCPRIM_400000_NS6detail17trampoline_kernelINS0_14default_configENS1_27scan_by_key_config_selectorIiiEEZZNS1_16scan_by_key_implILNS1_25lookback_scan_determinismE0ELb1ES3_N6thrust23THRUST_200600_302600_NS6detail15normal_iteratorINS9_10device_ptrIiEEEESE_SE_iNS9_4plusIvEENS9_8equal_toIiEEiEE10hipError_tPvRmT2_T3_T4_T5_mT6_T7_P12ihipStream_tbENKUlT_T0_E_clISt17integral_constantIbLb0EESZ_EEDaSU_SV_EUlSU_E_NS1_11comp_targetILNS1_3genE9ELNS1_11target_archE1100ELNS1_3gpuE3ELNS1_3repE0EEENS1_30default_config_static_selectorELNS0_4arch9wavefront6targetE1EEEvT1_ ; -- Begin function _ZN7rocprim17ROCPRIM_400000_NS6detail17trampoline_kernelINS0_14default_configENS1_27scan_by_key_config_selectorIiiEEZZNS1_16scan_by_key_implILNS1_25lookback_scan_determinismE0ELb1ES3_N6thrust23THRUST_200600_302600_NS6detail15normal_iteratorINS9_10device_ptrIiEEEESE_SE_iNS9_4plusIvEENS9_8equal_toIiEEiEE10hipError_tPvRmT2_T3_T4_T5_mT6_T7_P12ihipStream_tbENKUlT_T0_E_clISt17integral_constantIbLb0EESZ_EEDaSU_SV_EUlSU_E_NS1_11comp_targetILNS1_3genE9ELNS1_11target_archE1100ELNS1_3gpuE3ELNS1_3repE0EEENS1_30default_config_static_selectorELNS0_4arch9wavefront6targetE1EEEvT1_
	.globl	_ZN7rocprim17ROCPRIM_400000_NS6detail17trampoline_kernelINS0_14default_configENS1_27scan_by_key_config_selectorIiiEEZZNS1_16scan_by_key_implILNS1_25lookback_scan_determinismE0ELb1ES3_N6thrust23THRUST_200600_302600_NS6detail15normal_iteratorINS9_10device_ptrIiEEEESE_SE_iNS9_4plusIvEENS9_8equal_toIiEEiEE10hipError_tPvRmT2_T3_T4_T5_mT6_T7_P12ihipStream_tbENKUlT_T0_E_clISt17integral_constantIbLb0EESZ_EEDaSU_SV_EUlSU_E_NS1_11comp_targetILNS1_3genE9ELNS1_11target_archE1100ELNS1_3gpuE3ELNS1_3repE0EEENS1_30default_config_static_selectorELNS0_4arch9wavefront6targetE1EEEvT1_
	.p2align	8
	.type	_ZN7rocprim17ROCPRIM_400000_NS6detail17trampoline_kernelINS0_14default_configENS1_27scan_by_key_config_selectorIiiEEZZNS1_16scan_by_key_implILNS1_25lookback_scan_determinismE0ELb1ES3_N6thrust23THRUST_200600_302600_NS6detail15normal_iteratorINS9_10device_ptrIiEEEESE_SE_iNS9_4plusIvEENS9_8equal_toIiEEiEE10hipError_tPvRmT2_T3_T4_T5_mT6_T7_P12ihipStream_tbENKUlT_T0_E_clISt17integral_constantIbLb0EESZ_EEDaSU_SV_EUlSU_E_NS1_11comp_targetILNS1_3genE9ELNS1_11target_archE1100ELNS1_3gpuE3ELNS1_3repE0EEENS1_30default_config_static_selectorELNS0_4arch9wavefront6targetE1EEEvT1_,@function
_ZN7rocprim17ROCPRIM_400000_NS6detail17trampoline_kernelINS0_14default_configENS1_27scan_by_key_config_selectorIiiEEZZNS1_16scan_by_key_implILNS1_25lookback_scan_determinismE0ELb1ES3_N6thrust23THRUST_200600_302600_NS6detail15normal_iteratorINS9_10device_ptrIiEEEESE_SE_iNS9_4plusIvEENS9_8equal_toIiEEiEE10hipError_tPvRmT2_T3_T4_T5_mT6_T7_P12ihipStream_tbENKUlT_T0_E_clISt17integral_constantIbLb0EESZ_EEDaSU_SV_EUlSU_E_NS1_11comp_targetILNS1_3genE9ELNS1_11target_archE1100ELNS1_3gpuE3ELNS1_3repE0EEENS1_30default_config_static_selectorELNS0_4arch9wavefront6targetE1EEEvT1_: ; @_ZN7rocprim17ROCPRIM_400000_NS6detail17trampoline_kernelINS0_14default_configENS1_27scan_by_key_config_selectorIiiEEZZNS1_16scan_by_key_implILNS1_25lookback_scan_determinismE0ELb1ES3_N6thrust23THRUST_200600_302600_NS6detail15normal_iteratorINS9_10device_ptrIiEEEESE_SE_iNS9_4plusIvEENS9_8equal_toIiEEiEE10hipError_tPvRmT2_T3_T4_T5_mT6_T7_P12ihipStream_tbENKUlT_T0_E_clISt17integral_constantIbLb0EESZ_EEDaSU_SV_EUlSU_E_NS1_11comp_targetILNS1_3genE9ELNS1_11target_archE1100ELNS1_3gpuE3ELNS1_3repE0EEENS1_30default_config_static_selectorELNS0_4arch9wavefront6targetE1EEEvT1_
; %bb.0:
	.section	.rodata,"a",@progbits
	.p2align	6, 0x0
	.amdhsa_kernel _ZN7rocprim17ROCPRIM_400000_NS6detail17trampoline_kernelINS0_14default_configENS1_27scan_by_key_config_selectorIiiEEZZNS1_16scan_by_key_implILNS1_25lookback_scan_determinismE0ELb1ES3_N6thrust23THRUST_200600_302600_NS6detail15normal_iteratorINS9_10device_ptrIiEEEESE_SE_iNS9_4plusIvEENS9_8equal_toIiEEiEE10hipError_tPvRmT2_T3_T4_T5_mT6_T7_P12ihipStream_tbENKUlT_T0_E_clISt17integral_constantIbLb0EESZ_EEDaSU_SV_EUlSU_E_NS1_11comp_targetILNS1_3genE9ELNS1_11target_archE1100ELNS1_3gpuE3ELNS1_3repE0EEENS1_30default_config_static_selectorELNS0_4arch9wavefront6targetE1EEEvT1_
		.amdhsa_group_segment_fixed_size 0
		.amdhsa_private_segment_fixed_size 0
		.amdhsa_kernarg_size 112
		.amdhsa_user_sgpr_count 6
		.amdhsa_user_sgpr_private_segment_buffer 1
		.amdhsa_user_sgpr_dispatch_ptr 0
		.amdhsa_user_sgpr_queue_ptr 0
		.amdhsa_user_sgpr_kernarg_segment_ptr 1
		.amdhsa_user_sgpr_dispatch_id 0
		.amdhsa_user_sgpr_flat_scratch_init 0
		.amdhsa_user_sgpr_kernarg_preload_length 0
		.amdhsa_user_sgpr_kernarg_preload_offset 0
		.amdhsa_user_sgpr_private_segment_size 0
		.amdhsa_uses_dynamic_stack 0
		.amdhsa_system_sgpr_private_segment_wavefront_offset 0
		.amdhsa_system_sgpr_workgroup_id_x 1
		.amdhsa_system_sgpr_workgroup_id_y 0
		.amdhsa_system_sgpr_workgroup_id_z 0
		.amdhsa_system_sgpr_workgroup_info 0
		.amdhsa_system_vgpr_workitem_id 0
		.amdhsa_next_free_vgpr 1
		.amdhsa_next_free_sgpr 0
		.amdhsa_accum_offset 4
		.amdhsa_reserve_vcc 0
		.amdhsa_reserve_flat_scratch 0
		.amdhsa_float_round_mode_32 0
		.amdhsa_float_round_mode_16_64 0
		.amdhsa_float_denorm_mode_32 3
		.amdhsa_float_denorm_mode_16_64 3
		.amdhsa_dx10_clamp 1
		.amdhsa_ieee_mode 1
		.amdhsa_fp16_overflow 0
		.amdhsa_tg_split 0
		.amdhsa_exception_fp_ieee_invalid_op 0
		.amdhsa_exception_fp_denorm_src 0
		.amdhsa_exception_fp_ieee_div_zero 0
		.amdhsa_exception_fp_ieee_overflow 0
		.amdhsa_exception_fp_ieee_underflow 0
		.amdhsa_exception_fp_ieee_inexact 0
		.amdhsa_exception_int_div_zero 0
	.end_amdhsa_kernel
	.section	.text._ZN7rocprim17ROCPRIM_400000_NS6detail17trampoline_kernelINS0_14default_configENS1_27scan_by_key_config_selectorIiiEEZZNS1_16scan_by_key_implILNS1_25lookback_scan_determinismE0ELb1ES3_N6thrust23THRUST_200600_302600_NS6detail15normal_iteratorINS9_10device_ptrIiEEEESE_SE_iNS9_4plusIvEENS9_8equal_toIiEEiEE10hipError_tPvRmT2_T3_T4_T5_mT6_T7_P12ihipStream_tbENKUlT_T0_E_clISt17integral_constantIbLb0EESZ_EEDaSU_SV_EUlSU_E_NS1_11comp_targetILNS1_3genE9ELNS1_11target_archE1100ELNS1_3gpuE3ELNS1_3repE0EEENS1_30default_config_static_selectorELNS0_4arch9wavefront6targetE1EEEvT1_,"axG",@progbits,_ZN7rocprim17ROCPRIM_400000_NS6detail17trampoline_kernelINS0_14default_configENS1_27scan_by_key_config_selectorIiiEEZZNS1_16scan_by_key_implILNS1_25lookback_scan_determinismE0ELb1ES3_N6thrust23THRUST_200600_302600_NS6detail15normal_iteratorINS9_10device_ptrIiEEEESE_SE_iNS9_4plusIvEENS9_8equal_toIiEEiEE10hipError_tPvRmT2_T3_T4_T5_mT6_T7_P12ihipStream_tbENKUlT_T0_E_clISt17integral_constantIbLb0EESZ_EEDaSU_SV_EUlSU_E_NS1_11comp_targetILNS1_3genE9ELNS1_11target_archE1100ELNS1_3gpuE3ELNS1_3repE0EEENS1_30default_config_static_selectorELNS0_4arch9wavefront6targetE1EEEvT1_,comdat
.Lfunc_end540:
	.size	_ZN7rocprim17ROCPRIM_400000_NS6detail17trampoline_kernelINS0_14default_configENS1_27scan_by_key_config_selectorIiiEEZZNS1_16scan_by_key_implILNS1_25lookback_scan_determinismE0ELb1ES3_N6thrust23THRUST_200600_302600_NS6detail15normal_iteratorINS9_10device_ptrIiEEEESE_SE_iNS9_4plusIvEENS9_8equal_toIiEEiEE10hipError_tPvRmT2_T3_T4_T5_mT6_T7_P12ihipStream_tbENKUlT_T0_E_clISt17integral_constantIbLb0EESZ_EEDaSU_SV_EUlSU_E_NS1_11comp_targetILNS1_3genE9ELNS1_11target_archE1100ELNS1_3gpuE3ELNS1_3repE0EEENS1_30default_config_static_selectorELNS0_4arch9wavefront6targetE1EEEvT1_, .Lfunc_end540-_ZN7rocprim17ROCPRIM_400000_NS6detail17trampoline_kernelINS0_14default_configENS1_27scan_by_key_config_selectorIiiEEZZNS1_16scan_by_key_implILNS1_25lookback_scan_determinismE0ELb1ES3_N6thrust23THRUST_200600_302600_NS6detail15normal_iteratorINS9_10device_ptrIiEEEESE_SE_iNS9_4plusIvEENS9_8equal_toIiEEiEE10hipError_tPvRmT2_T3_T4_T5_mT6_T7_P12ihipStream_tbENKUlT_T0_E_clISt17integral_constantIbLb0EESZ_EEDaSU_SV_EUlSU_E_NS1_11comp_targetILNS1_3genE9ELNS1_11target_archE1100ELNS1_3gpuE3ELNS1_3repE0EEENS1_30default_config_static_selectorELNS0_4arch9wavefront6targetE1EEEvT1_
                                        ; -- End function
	.section	.AMDGPU.csdata,"",@progbits
; Kernel info:
; codeLenInByte = 0
; NumSgprs: 4
; NumVgprs: 0
; NumAgprs: 0
; TotalNumVgprs: 0
; ScratchSize: 0
; MemoryBound: 0
; FloatMode: 240
; IeeeMode: 1
; LDSByteSize: 0 bytes/workgroup (compile time only)
; SGPRBlocks: 0
; VGPRBlocks: 0
; NumSGPRsForWavesPerEU: 4
; NumVGPRsForWavesPerEU: 1
; AccumOffset: 4
; Occupancy: 8
; WaveLimiterHint : 0
; COMPUTE_PGM_RSRC2:SCRATCH_EN: 0
; COMPUTE_PGM_RSRC2:USER_SGPR: 6
; COMPUTE_PGM_RSRC2:TRAP_HANDLER: 0
; COMPUTE_PGM_RSRC2:TGID_X_EN: 1
; COMPUTE_PGM_RSRC2:TGID_Y_EN: 0
; COMPUTE_PGM_RSRC2:TGID_Z_EN: 0
; COMPUTE_PGM_RSRC2:TIDIG_COMP_CNT: 0
; COMPUTE_PGM_RSRC3_GFX90A:ACCUM_OFFSET: 0
; COMPUTE_PGM_RSRC3_GFX90A:TG_SPLIT: 0
	.section	.text._ZN7rocprim17ROCPRIM_400000_NS6detail17trampoline_kernelINS0_14default_configENS1_27scan_by_key_config_selectorIiiEEZZNS1_16scan_by_key_implILNS1_25lookback_scan_determinismE0ELb1ES3_N6thrust23THRUST_200600_302600_NS6detail15normal_iteratorINS9_10device_ptrIiEEEESE_SE_iNS9_4plusIvEENS9_8equal_toIiEEiEE10hipError_tPvRmT2_T3_T4_T5_mT6_T7_P12ihipStream_tbENKUlT_T0_E_clISt17integral_constantIbLb0EESZ_EEDaSU_SV_EUlSU_E_NS1_11comp_targetILNS1_3genE8ELNS1_11target_archE1030ELNS1_3gpuE2ELNS1_3repE0EEENS1_30default_config_static_selectorELNS0_4arch9wavefront6targetE1EEEvT1_,"axG",@progbits,_ZN7rocprim17ROCPRIM_400000_NS6detail17trampoline_kernelINS0_14default_configENS1_27scan_by_key_config_selectorIiiEEZZNS1_16scan_by_key_implILNS1_25lookback_scan_determinismE0ELb1ES3_N6thrust23THRUST_200600_302600_NS6detail15normal_iteratorINS9_10device_ptrIiEEEESE_SE_iNS9_4plusIvEENS9_8equal_toIiEEiEE10hipError_tPvRmT2_T3_T4_T5_mT6_T7_P12ihipStream_tbENKUlT_T0_E_clISt17integral_constantIbLb0EESZ_EEDaSU_SV_EUlSU_E_NS1_11comp_targetILNS1_3genE8ELNS1_11target_archE1030ELNS1_3gpuE2ELNS1_3repE0EEENS1_30default_config_static_selectorELNS0_4arch9wavefront6targetE1EEEvT1_,comdat
	.protected	_ZN7rocprim17ROCPRIM_400000_NS6detail17trampoline_kernelINS0_14default_configENS1_27scan_by_key_config_selectorIiiEEZZNS1_16scan_by_key_implILNS1_25lookback_scan_determinismE0ELb1ES3_N6thrust23THRUST_200600_302600_NS6detail15normal_iteratorINS9_10device_ptrIiEEEESE_SE_iNS9_4plusIvEENS9_8equal_toIiEEiEE10hipError_tPvRmT2_T3_T4_T5_mT6_T7_P12ihipStream_tbENKUlT_T0_E_clISt17integral_constantIbLb0EESZ_EEDaSU_SV_EUlSU_E_NS1_11comp_targetILNS1_3genE8ELNS1_11target_archE1030ELNS1_3gpuE2ELNS1_3repE0EEENS1_30default_config_static_selectorELNS0_4arch9wavefront6targetE1EEEvT1_ ; -- Begin function _ZN7rocprim17ROCPRIM_400000_NS6detail17trampoline_kernelINS0_14default_configENS1_27scan_by_key_config_selectorIiiEEZZNS1_16scan_by_key_implILNS1_25lookback_scan_determinismE0ELb1ES3_N6thrust23THRUST_200600_302600_NS6detail15normal_iteratorINS9_10device_ptrIiEEEESE_SE_iNS9_4plusIvEENS9_8equal_toIiEEiEE10hipError_tPvRmT2_T3_T4_T5_mT6_T7_P12ihipStream_tbENKUlT_T0_E_clISt17integral_constantIbLb0EESZ_EEDaSU_SV_EUlSU_E_NS1_11comp_targetILNS1_3genE8ELNS1_11target_archE1030ELNS1_3gpuE2ELNS1_3repE0EEENS1_30default_config_static_selectorELNS0_4arch9wavefront6targetE1EEEvT1_
	.globl	_ZN7rocprim17ROCPRIM_400000_NS6detail17trampoline_kernelINS0_14default_configENS1_27scan_by_key_config_selectorIiiEEZZNS1_16scan_by_key_implILNS1_25lookback_scan_determinismE0ELb1ES3_N6thrust23THRUST_200600_302600_NS6detail15normal_iteratorINS9_10device_ptrIiEEEESE_SE_iNS9_4plusIvEENS9_8equal_toIiEEiEE10hipError_tPvRmT2_T3_T4_T5_mT6_T7_P12ihipStream_tbENKUlT_T0_E_clISt17integral_constantIbLb0EESZ_EEDaSU_SV_EUlSU_E_NS1_11comp_targetILNS1_3genE8ELNS1_11target_archE1030ELNS1_3gpuE2ELNS1_3repE0EEENS1_30default_config_static_selectorELNS0_4arch9wavefront6targetE1EEEvT1_
	.p2align	8
	.type	_ZN7rocprim17ROCPRIM_400000_NS6detail17trampoline_kernelINS0_14default_configENS1_27scan_by_key_config_selectorIiiEEZZNS1_16scan_by_key_implILNS1_25lookback_scan_determinismE0ELb1ES3_N6thrust23THRUST_200600_302600_NS6detail15normal_iteratorINS9_10device_ptrIiEEEESE_SE_iNS9_4plusIvEENS9_8equal_toIiEEiEE10hipError_tPvRmT2_T3_T4_T5_mT6_T7_P12ihipStream_tbENKUlT_T0_E_clISt17integral_constantIbLb0EESZ_EEDaSU_SV_EUlSU_E_NS1_11comp_targetILNS1_3genE8ELNS1_11target_archE1030ELNS1_3gpuE2ELNS1_3repE0EEENS1_30default_config_static_selectorELNS0_4arch9wavefront6targetE1EEEvT1_,@function
_ZN7rocprim17ROCPRIM_400000_NS6detail17trampoline_kernelINS0_14default_configENS1_27scan_by_key_config_selectorIiiEEZZNS1_16scan_by_key_implILNS1_25lookback_scan_determinismE0ELb1ES3_N6thrust23THRUST_200600_302600_NS6detail15normal_iteratorINS9_10device_ptrIiEEEESE_SE_iNS9_4plusIvEENS9_8equal_toIiEEiEE10hipError_tPvRmT2_T3_T4_T5_mT6_T7_P12ihipStream_tbENKUlT_T0_E_clISt17integral_constantIbLb0EESZ_EEDaSU_SV_EUlSU_E_NS1_11comp_targetILNS1_3genE8ELNS1_11target_archE1030ELNS1_3gpuE2ELNS1_3repE0EEENS1_30default_config_static_selectorELNS0_4arch9wavefront6targetE1EEEvT1_: ; @_ZN7rocprim17ROCPRIM_400000_NS6detail17trampoline_kernelINS0_14default_configENS1_27scan_by_key_config_selectorIiiEEZZNS1_16scan_by_key_implILNS1_25lookback_scan_determinismE0ELb1ES3_N6thrust23THRUST_200600_302600_NS6detail15normal_iteratorINS9_10device_ptrIiEEEESE_SE_iNS9_4plusIvEENS9_8equal_toIiEEiEE10hipError_tPvRmT2_T3_T4_T5_mT6_T7_P12ihipStream_tbENKUlT_T0_E_clISt17integral_constantIbLb0EESZ_EEDaSU_SV_EUlSU_E_NS1_11comp_targetILNS1_3genE8ELNS1_11target_archE1030ELNS1_3gpuE2ELNS1_3repE0EEENS1_30default_config_static_selectorELNS0_4arch9wavefront6targetE1EEEvT1_
; %bb.0:
	.section	.rodata,"a",@progbits
	.p2align	6, 0x0
	.amdhsa_kernel _ZN7rocprim17ROCPRIM_400000_NS6detail17trampoline_kernelINS0_14default_configENS1_27scan_by_key_config_selectorIiiEEZZNS1_16scan_by_key_implILNS1_25lookback_scan_determinismE0ELb1ES3_N6thrust23THRUST_200600_302600_NS6detail15normal_iteratorINS9_10device_ptrIiEEEESE_SE_iNS9_4plusIvEENS9_8equal_toIiEEiEE10hipError_tPvRmT2_T3_T4_T5_mT6_T7_P12ihipStream_tbENKUlT_T0_E_clISt17integral_constantIbLb0EESZ_EEDaSU_SV_EUlSU_E_NS1_11comp_targetILNS1_3genE8ELNS1_11target_archE1030ELNS1_3gpuE2ELNS1_3repE0EEENS1_30default_config_static_selectorELNS0_4arch9wavefront6targetE1EEEvT1_
		.amdhsa_group_segment_fixed_size 0
		.amdhsa_private_segment_fixed_size 0
		.amdhsa_kernarg_size 112
		.amdhsa_user_sgpr_count 6
		.amdhsa_user_sgpr_private_segment_buffer 1
		.amdhsa_user_sgpr_dispatch_ptr 0
		.amdhsa_user_sgpr_queue_ptr 0
		.amdhsa_user_sgpr_kernarg_segment_ptr 1
		.amdhsa_user_sgpr_dispatch_id 0
		.amdhsa_user_sgpr_flat_scratch_init 0
		.amdhsa_user_sgpr_kernarg_preload_length 0
		.amdhsa_user_sgpr_kernarg_preload_offset 0
		.amdhsa_user_sgpr_private_segment_size 0
		.amdhsa_uses_dynamic_stack 0
		.amdhsa_system_sgpr_private_segment_wavefront_offset 0
		.amdhsa_system_sgpr_workgroup_id_x 1
		.amdhsa_system_sgpr_workgroup_id_y 0
		.amdhsa_system_sgpr_workgroup_id_z 0
		.amdhsa_system_sgpr_workgroup_info 0
		.amdhsa_system_vgpr_workitem_id 0
		.amdhsa_next_free_vgpr 1
		.amdhsa_next_free_sgpr 0
		.amdhsa_accum_offset 4
		.amdhsa_reserve_vcc 0
		.amdhsa_reserve_flat_scratch 0
		.amdhsa_float_round_mode_32 0
		.amdhsa_float_round_mode_16_64 0
		.amdhsa_float_denorm_mode_32 3
		.amdhsa_float_denorm_mode_16_64 3
		.amdhsa_dx10_clamp 1
		.amdhsa_ieee_mode 1
		.amdhsa_fp16_overflow 0
		.amdhsa_tg_split 0
		.amdhsa_exception_fp_ieee_invalid_op 0
		.amdhsa_exception_fp_denorm_src 0
		.amdhsa_exception_fp_ieee_div_zero 0
		.amdhsa_exception_fp_ieee_overflow 0
		.amdhsa_exception_fp_ieee_underflow 0
		.amdhsa_exception_fp_ieee_inexact 0
		.amdhsa_exception_int_div_zero 0
	.end_amdhsa_kernel
	.section	.text._ZN7rocprim17ROCPRIM_400000_NS6detail17trampoline_kernelINS0_14default_configENS1_27scan_by_key_config_selectorIiiEEZZNS1_16scan_by_key_implILNS1_25lookback_scan_determinismE0ELb1ES3_N6thrust23THRUST_200600_302600_NS6detail15normal_iteratorINS9_10device_ptrIiEEEESE_SE_iNS9_4plusIvEENS9_8equal_toIiEEiEE10hipError_tPvRmT2_T3_T4_T5_mT6_T7_P12ihipStream_tbENKUlT_T0_E_clISt17integral_constantIbLb0EESZ_EEDaSU_SV_EUlSU_E_NS1_11comp_targetILNS1_3genE8ELNS1_11target_archE1030ELNS1_3gpuE2ELNS1_3repE0EEENS1_30default_config_static_selectorELNS0_4arch9wavefront6targetE1EEEvT1_,"axG",@progbits,_ZN7rocprim17ROCPRIM_400000_NS6detail17trampoline_kernelINS0_14default_configENS1_27scan_by_key_config_selectorIiiEEZZNS1_16scan_by_key_implILNS1_25lookback_scan_determinismE0ELb1ES3_N6thrust23THRUST_200600_302600_NS6detail15normal_iteratorINS9_10device_ptrIiEEEESE_SE_iNS9_4plusIvEENS9_8equal_toIiEEiEE10hipError_tPvRmT2_T3_T4_T5_mT6_T7_P12ihipStream_tbENKUlT_T0_E_clISt17integral_constantIbLb0EESZ_EEDaSU_SV_EUlSU_E_NS1_11comp_targetILNS1_3genE8ELNS1_11target_archE1030ELNS1_3gpuE2ELNS1_3repE0EEENS1_30default_config_static_selectorELNS0_4arch9wavefront6targetE1EEEvT1_,comdat
.Lfunc_end541:
	.size	_ZN7rocprim17ROCPRIM_400000_NS6detail17trampoline_kernelINS0_14default_configENS1_27scan_by_key_config_selectorIiiEEZZNS1_16scan_by_key_implILNS1_25lookback_scan_determinismE0ELb1ES3_N6thrust23THRUST_200600_302600_NS6detail15normal_iteratorINS9_10device_ptrIiEEEESE_SE_iNS9_4plusIvEENS9_8equal_toIiEEiEE10hipError_tPvRmT2_T3_T4_T5_mT6_T7_P12ihipStream_tbENKUlT_T0_E_clISt17integral_constantIbLb0EESZ_EEDaSU_SV_EUlSU_E_NS1_11comp_targetILNS1_3genE8ELNS1_11target_archE1030ELNS1_3gpuE2ELNS1_3repE0EEENS1_30default_config_static_selectorELNS0_4arch9wavefront6targetE1EEEvT1_, .Lfunc_end541-_ZN7rocprim17ROCPRIM_400000_NS6detail17trampoline_kernelINS0_14default_configENS1_27scan_by_key_config_selectorIiiEEZZNS1_16scan_by_key_implILNS1_25lookback_scan_determinismE0ELb1ES3_N6thrust23THRUST_200600_302600_NS6detail15normal_iteratorINS9_10device_ptrIiEEEESE_SE_iNS9_4plusIvEENS9_8equal_toIiEEiEE10hipError_tPvRmT2_T3_T4_T5_mT6_T7_P12ihipStream_tbENKUlT_T0_E_clISt17integral_constantIbLb0EESZ_EEDaSU_SV_EUlSU_E_NS1_11comp_targetILNS1_3genE8ELNS1_11target_archE1030ELNS1_3gpuE2ELNS1_3repE0EEENS1_30default_config_static_selectorELNS0_4arch9wavefront6targetE1EEEvT1_
                                        ; -- End function
	.section	.AMDGPU.csdata,"",@progbits
; Kernel info:
; codeLenInByte = 0
; NumSgprs: 4
; NumVgprs: 0
; NumAgprs: 0
; TotalNumVgprs: 0
; ScratchSize: 0
; MemoryBound: 0
; FloatMode: 240
; IeeeMode: 1
; LDSByteSize: 0 bytes/workgroup (compile time only)
; SGPRBlocks: 0
; VGPRBlocks: 0
; NumSGPRsForWavesPerEU: 4
; NumVGPRsForWavesPerEU: 1
; AccumOffset: 4
; Occupancy: 8
; WaveLimiterHint : 0
; COMPUTE_PGM_RSRC2:SCRATCH_EN: 0
; COMPUTE_PGM_RSRC2:USER_SGPR: 6
; COMPUTE_PGM_RSRC2:TRAP_HANDLER: 0
; COMPUTE_PGM_RSRC2:TGID_X_EN: 1
; COMPUTE_PGM_RSRC2:TGID_Y_EN: 0
; COMPUTE_PGM_RSRC2:TGID_Z_EN: 0
; COMPUTE_PGM_RSRC2:TIDIG_COMP_CNT: 0
; COMPUTE_PGM_RSRC3_GFX90A:ACCUM_OFFSET: 0
; COMPUTE_PGM_RSRC3_GFX90A:TG_SPLIT: 0
	.section	.text._ZN7rocprim17ROCPRIM_400000_NS6detail17trampoline_kernelINS0_14default_configENS1_27scan_by_key_config_selectorIiiEEZZNS1_16scan_by_key_implILNS1_25lookback_scan_determinismE0ELb1ES3_N6thrust23THRUST_200600_302600_NS6detail15normal_iteratorINS9_10device_ptrIiEEEESE_SE_iNS9_4plusIvEENS9_8equal_toIiEEiEE10hipError_tPvRmT2_T3_T4_T5_mT6_T7_P12ihipStream_tbENKUlT_T0_E_clISt17integral_constantIbLb1EESZ_EEDaSU_SV_EUlSU_E_NS1_11comp_targetILNS1_3genE0ELNS1_11target_archE4294967295ELNS1_3gpuE0ELNS1_3repE0EEENS1_30default_config_static_selectorELNS0_4arch9wavefront6targetE1EEEvT1_,"axG",@progbits,_ZN7rocprim17ROCPRIM_400000_NS6detail17trampoline_kernelINS0_14default_configENS1_27scan_by_key_config_selectorIiiEEZZNS1_16scan_by_key_implILNS1_25lookback_scan_determinismE0ELb1ES3_N6thrust23THRUST_200600_302600_NS6detail15normal_iteratorINS9_10device_ptrIiEEEESE_SE_iNS9_4plusIvEENS9_8equal_toIiEEiEE10hipError_tPvRmT2_T3_T4_T5_mT6_T7_P12ihipStream_tbENKUlT_T0_E_clISt17integral_constantIbLb1EESZ_EEDaSU_SV_EUlSU_E_NS1_11comp_targetILNS1_3genE0ELNS1_11target_archE4294967295ELNS1_3gpuE0ELNS1_3repE0EEENS1_30default_config_static_selectorELNS0_4arch9wavefront6targetE1EEEvT1_,comdat
	.protected	_ZN7rocprim17ROCPRIM_400000_NS6detail17trampoline_kernelINS0_14default_configENS1_27scan_by_key_config_selectorIiiEEZZNS1_16scan_by_key_implILNS1_25lookback_scan_determinismE0ELb1ES3_N6thrust23THRUST_200600_302600_NS6detail15normal_iteratorINS9_10device_ptrIiEEEESE_SE_iNS9_4plusIvEENS9_8equal_toIiEEiEE10hipError_tPvRmT2_T3_T4_T5_mT6_T7_P12ihipStream_tbENKUlT_T0_E_clISt17integral_constantIbLb1EESZ_EEDaSU_SV_EUlSU_E_NS1_11comp_targetILNS1_3genE0ELNS1_11target_archE4294967295ELNS1_3gpuE0ELNS1_3repE0EEENS1_30default_config_static_selectorELNS0_4arch9wavefront6targetE1EEEvT1_ ; -- Begin function _ZN7rocprim17ROCPRIM_400000_NS6detail17trampoline_kernelINS0_14default_configENS1_27scan_by_key_config_selectorIiiEEZZNS1_16scan_by_key_implILNS1_25lookback_scan_determinismE0ELb1ES3_N6thrust23THRUST_200600_302600_NS6detail15normal_iteratorINS9_10device_ptrIiEEEESE_SE_iNS9_4plusIvEENS9_8equal_toIiEEiEE10hipError_tPvRmT2_T3_T4_T5_mT6_T7_P12ihipStream_tbENKUlT_T0_E_clISt17integral_constantIbLb1EESZ_EEDaSU_SV_EUlSU_E_NS1_11comp_targetILNS1_3genE0ELNS1_11target_archE4294967295ELNS1_3gpuE0ELNS1_3repE0EEENS1_30default_config_static_selectorELNS0_4arch9wavefront6targetE1EEEvT1_
	.globl	_ZN7rocprim17ROCPRIM_400000_NS6detail17trampoline_kernelINS0_14default_configENS1_27scan_by_key_config_selectorIiiEEZZNS1_16scan_by_key_implILNS1_25lookback_scan_determinismE0ELb1ES3_N6thrust23THRUST_200600_302600_NS6detail15normal_iteratorINS9_10device_ptrIiEEEESE_SE_iNS9_4plusIvEENS9_8equal_toIiEEiEE10hipError_tPvRmT2_T3_T4_T5_mT6_T7_P12ihipStream_tbENKUlT_T0_E_clISt17integral_constantIbLb1EESZ_EEDaSU_SV_EUlSU_E_NS1_11comp_targetILNS1_3genE0ELNS1_11target_archE4294967295ELNS1_3gpuE0ELNS1_3repE0EEENS1_30default_config_static_selectorELNS0_4arch9wavefront6targetE1EEEvT1_
	.p2align	8
	.type	_ZN7rocprim17ROCPRIM_400000_NS6detail17trampoline_kernelINS0_14default_configENS1_27scan_by_key_config_selectorIiiEEZZNS1_16scan_by_key_implILNS1_25lookback_scan_determinismE0ELb1ES3_N6thrust23THRUST_200600_302600_NS6detail15normal_iteratorINS9_10device_ptrIiEEEESE_SE_iNS9_4plusIvEENS9_8equal_toIiEEiEE10hipError_tPvRmT2_T3_T4_T5_mT6_T7_P12ihipStream_tbENKUlT_T0_E_clISt17integral_constantIbLb1EESZ_EEDaSU_SV_EUlSU_E_NS1_11comp_targetILNS1_3genE0ELNS1_11target_archE4294967295ELNS1_3gpuE0ELNS1_3repE0EEENS1_30default_config_static_selectorELNS0_4arch9wavefront6targetE1EEEvT1_,@function
_ZN7rocprim17ROCPRIM_400000_NS6detail17trampoline_kernelINS0_14default_configENS1_27scan_by_key_config_selectorIiiEEZZNS1_16scan_by_key_implILNS1_25lookback_scan_determinismE0ELb1ES3_N6thrust23THRUST_200600_302600_NS6detail15normal_iteratorINS9_10device_ptrIiEEEESE_SE_iNS9_4plusIvEENS9_8equal_toIiEEiEE10hipError_tPvRmT2_T3_T4_T5_mT6_T7_P12ihipStream_tbENKUlT_T0_E_clISt17integral_constantIbLb1EESZ_EEDaSU_SV_EUlSU_E_NS1_11comp_targetILNS1_3genE0ELNS1_11target_archE4294967295ELNS1_3gpuE0ELNS1_3repE0EEENS1_30default_config_static_selectorELNS0_4arch9wavefront6targetE1EEEvT1_: ; @_ZN7rocprim17ROCPRIM_400000_NS6detail17trampoline_kernelINS0_14default_configENS1_27scan_by_key_config_selectorIiiEEZZNS1_16scan_by_key_implILNS1_25lookback_scan_determinismE0ELb1ES3_N6thrust23THRUST_200600_302600_NS6detail15normal_iteratorINS9_10device_ptrIiEEEESE_SE_iNS9_4plusIvEENS9_8equal_toIiEEiEE10hipError_tPvRmT2_T3_T4_T5_mT6_T7_P12ihipStream_tbENKUlT_T0_E_clISt17integral_constantIbLb1EESZ_EEDaSU_SV_EUlSU_E_NS1_11comp_targetILNS1_3genE0ELNS1_11target_archE4294967295ELNS1_3gpuE0ELNS1_3repE0EEENS1_30default_config_static_selectorELNS0_4arch9wavefront6targetE1EEEvT1_
; %bb.0:
	.section	.rodata,"a",@progbits
	.p2align	6, 0x0
	.amdhsa_kernel _ZN7rocprim17ROCPRIM_400000_NS6detail17trampoline_kernelINS0_14default_configENS1_27scan_by_key_config_selectorIiiEEZZNS1_16scan_by_key_implILNS1_25lookback_scan_determinismE0ELb1ES3_N6thrust23THRUST_200600_302600_NS6detail15normal_iteratorINS9_10device_ptrIiEEEESE_SE_iNS9_4plusIvEENS9_8equal_toIiEEiEE10hipError_tPvRmT2_T3_T4_T5_mT6_T7_P12ihipStream_tbENKUlT_T0_E_clISt17integral_constantIbLb1EESZ_EEDaSU_SV_EUlSU_E_NS1_11comp_targetILNS1_3genE0ELNS1_11target_archE4294967295ELNS1_3gpuE0ELNS1_3repE0EEENS1_30default_config_static_selectorELNS0_4arch9wavefront6targetE1EEEvT1_
		.amdhsa_group_segment_fixed_size 0
		.amdhsa_private_segment_fixed_size 0
		.amdhsa_kernarg_size 112
		.amdhsa_user_sgpr_count 6
		.amdhsa_user_sgpr_private_segment_buffer 1
		.amdhsa_user_sgpr_dispatch_ptr 0
		.amdhsa_user_sgpr_queue_ptr 0
		.amdhsa_user_sgpr_kernarg_segment_ptr 1
		.amdhsa_user_sgpr_dispatch_id 0
		.amdhsa_user_sgpr_flat_scratch_init 0
		.amdhsa_user_sgpr_kernarg_preload_length 0
		.amdhsa_user_sgpr_kernarg_preload_offset 0
		.amdhsa_user_sgpr_private_segment_size 0
		.amdhsa_uses_dynamic_stack 0
		.amdhsa_system_sgpr_private_segment_wavefront_offset 0
		.amdhsa_system_sgpr_workgroup_id_x 1
		.amdhsa_system_sgpr_workgroup_id_y 0
		.amdhsa_system_sgpr_workgroup_id_z 0
		.amdhsa_system_sgpr_workgroup_info 0
		.amdhsa_system_vgpr_workitem_id 0
		.amdhsa_next_free_vgpr 1
		.amdhsa_next_free_sgpr 0
		.amdhsa_accum_offset 4
		.amdhsa_reserve_vcc 0
		.amdhsa_reserve_flat_scratch 0
		.amdhsa_float_round_mode_32 0
		.amdhsa_float_round_mode_16_64 0
		.amdhsa_float_denorm_mode_32 3
		.amdhsa_float_denorm_mode_16_64 3
		.amdhsa_dx10_clamp 1
		.amdhsa_ieee_mode 1
		.amdhsa_fp16_overflow 0
		.amdhsa_tg_split 0
		.amdhsa_exception_fp_ieee_invalid_op 0
		.amdhsa_exception_fp_denorm_src 0
		.amdhsa_exception_fp_ieee_div_zero 0
		.amdhsa_exception_fp_ieee_overflow 0
		.amdhsa_exception_fp_ieee_underflow 0
		.amdhsa_exception_fp_ieee_inexact 0
		.amdhsa_exception_int_div_zero 0
	.end_amdhsa_kernel
	.section	.text._ZN7rocprim17ROCPRIM_400000_NS6detail17trampoline_kernelINS0_14default_configENS1_27scan_by_key_config_selectorIiiEEZZNS1_16scan_by_key_implILNS1_25lookback_scan_determinismE0ELb1ES3_N6thrust23THRUST_200600_302600_NS6detail15normal_iteratorINS9_10device_ptrIiEEEESE_SE_iNS9_4plusIvEENS9_8equal_toIiEEiEE10hipError_tPvRmT2_T3_T4_T5_mT6_T7_P12ihipStream_tbENKUlT_T0_E_clISt17integral_constantIbLb1EESZ_EEDaSU_SV_EUlSU_E_NS1_11comp_targetILNS1_3genE0ELNS1_11target_archE4294967295ELNS1_3gpuE0ELNS1_3repE0EEENS1_30default_config_static_selectorELNS0_4arch9wavefront6targetE1EEEvT1_,"axG",@progbits,_ZN7rocprim17ROCPRIM_400000_NS6detail17trampoline_kernelINS0_14default_configENS1_27scan_by_key_config_selectorIiiEEZZNS1_16scan_by_key_implILNS1_25lookback_scan_determinismE0ELb1ES3_N6thrust23THRUST_200600_302600_NS6detail15normal_iteratorINS9_10device_ptrIiEEEESE_SE_iNS9_4plusIvEENS9_8equal_toIiEEiEE10hipError_tPvRmT2_T3_T4_T5_mT6_T7_P12ihipStream_tbENKUlT_T0_E_clISt17integral_constantIbLb1EESZ_EEDaSU_SV_EUlSU_E_NS1_11comp_targetILNS1_3genE0ELNS1_11target_archE4294967295ELNS1_3gpuE0ELNS1_3repE0EEENS1_30default_config_static_selectorELNS0_4arch9wavefront6targetE1EEEvT1_,comdat
.Lfunc_end542:
	.size	_ZN7rocprim17ROCPRIM_400000_NS6detail17trampoline_kernelINS0_14default_configENS1_27scan_by_key_config_selectorIiiEEZZNS1_16scan_by_key_implILNS1_25lookback_scan_determinismE0ELb1ES3_N6thrust23THRUST_200600_302600_NS6detail15normal_iteratorINS9_10device_ptrIiEEEESE_SE_iNS9_4plusIvEENS9_8equal_toIiEEiEE10hipError_tPvRmT2_T3_T4_T5_mT6_T7_P12ihipStream_tbENKUlT_T0_E_clISt17integral_constantIbLb1EESZ_EEDaSU_SV_EUlSU_E_NS1_11comp_targetILNS1_3genE0ELNS1_11target_archE4294967295ELNS1_3gpuE0ELNS1_3repE0EEENS1_30default_config_static_selectorELNS0_4arch9wavefront6targetE1EEEvT1_, .Lfunc_end542-_ZN7rocprim17ROCPRIM_400000_NS6detail17trampoline_kernelINS0_14default_configENS1_27scan_by_key_config_selectorIiiEEZZNS1_16scan_by_key_implILNS1_25lookback_scan_determinismE0ELb1ES3_N6thrust23THRUST_200600_302600_NS6detail15normal_iteratorINS9_10device_ptrIiEEEESE_SE_iNS9_4plusIvEENS9_8equal_toIiEEiEE10hipError_tPvRmT2_T3_T4_T5_mT6_T7_P12ihipStream_tbENKUlT_T0_E_clISt17integral_constantIbLb1EESZ_EEDaSU_SV_EUlSU_E_NS1_11comp_targetILNS1_3genE0ELNS1_11target_archE4294967295ELNS1_3gpuE0ELNS1_3repE0EEENS1_30default_config_static_selectorELNS0_4arch9wavefront6targetE1EEEvT1_
                                        ; -- End function
	.section	.AMDGPU.csdata,"",@progbits
; Kernel info:
; codeLenInByte = 0
; NumSgprs: 4
; NumVgprs: 0
; NumAgprs: 0
; TotalNumVgprs: 0
; ScratchSize: 0
; MemoryBound: 0
; FloatMode: 240
; IeeeMode: 1
; LDSByteSize: 0 bytes/workgroup (compile time only)
; SGPRBlocks: 0
; VGPRBlocks: 0
; NumSGPRsForWavesPerEU: 4
; NumVGPRsForWavesPerEU: 1
; AccumOffset: 4
; Occupancy: 8
; WaveLimiterHint : 0
; COMPUTE_PGM_RSRC2:SCRATCH_EN: 0
; COMPUTE_PGM_RSRC2:USER_SGPR: 6
; COMPUTE_PGM_RSRC2:TRAP_HANDLER: 0
; COMPUTE_PGM_RSRC2:TGID_X_EN: 1
; COMPUTE_PGM_RSRC2:TGID_Y_EN: 0
; COMPUTE_PGM_RSRC2:TGID_Z_EN: 0
; COMPUTE_PGM_RSRC2:TIDIG_COMP_CNT: 0
; COMPUTE_PGM_RSRC3_GFX90A:ACCUM_OFFSET: 0
; COMPUTE_PGM_RSRC3_GFX90A:TG_SPLIT: 0
	.section	.text._ZN7rocprim17ROCPRIM_400000_NS6detail17trampoline_kernelINS0_14default_configENS1_27scan_by_key_config_selectorIiiEEZZNS1_16scan_by_key_implILNS1_25lookback_scan_determinismE0ELb1ES3_N6thrust23THRUST_200600_302600_NS6detail15normal_iteratorINS9_10device_ptrIiEEEESE_SE_iNS9_4plusIvEENS9_8equal_toIiEEiEE10hipError_tPvRmT2_T3_T4_T5_mT6_T7_P12ihipStream_tbENKUlT_T0_E_clISt17integral_constantIbLb1EESZ_EEDaSU_SV_EUlSU_E_NS1_11comp_targetILNS1_3genE10ELNS1_11target_archE1201ELNS1_3gpuE5ELNS1_3repE0EEENS1_30default_config_static_selectorELNS0_4arch9wavefront6targetE1EEEvT1_,"axG",@progbits,_ZN7rocprim17ROCPRIM_400000_NS6detail17trampoline_kernelINS0_14default_configENS1_27scan_by_key_config_selectorIiiEEZZNS1_16scan_by_key_implILNS1_25lookback_scan_determinismE0ELb1ES3_N6thrust23THRUST_200600_302600_NS6detail15normal_iteratorINS9_10device_ptrIiEEEESE_SE_iNS9_4plusIvEENS9_8equal_toIiEEiEE10hipError_tPvRmT2_T3_T4_T5_mT6_T7_P12ihipStream_tbENKUlT_T0_E_clISt17integral_constantIbLb1EESZ_EEDaSU_SV_EUlSU_E_NS1_11comp_targetILNS1_3genE10ELNS1_11target_archE1201ELNS1_3gpuE5ELNS1_3repE0EEENS1_30default_config_static_selectorELNS0_4arch9wavefront6targetE1EEEvT1_,comdat
	.protected	_ZN7rocprim17ROCPRIM_400000_NS6detail17trampoline_kernelINS0_14default_configENS1_27scan_by_key_config_selectorIiiEEZZNS1_16scan_by_key_implILNS1_25lookback_scan_determinismE0ELb1ES3_N6thrust23THRUST_200600_302600_NS6detail15normal_iteratorINS9_10device_ptrIiEEEESE_SE_iNS9_4plusIvEENS9_8equal_toIiEEiEE10hipError_tPvRmT2_T3_T4_T5_mT6_T7_P12ihipStream_tbENKUlT_T0_E_clISt17integral_constantIbLb1EESZ_EEDaSU_SV_EUlSU_E_NS1_11comp_targetILNS1_3genE10ELNS1_11target_archE1201ELNS1_3gpuE5ELNS1_3repE0EEENS1_30default_config_static_selectorELNS0_4arch9wavefront6targetE1EEEvT1_ ; -- Begin function _ZN7rocprim17ROCPRIM_400000_NS6detail17trampoline_kernelINS0_14default_configENS1_27scan_by_key_config_selectorIiiEEZZNS1_16scan_by_key_implILNS1_25lookback_scan_determinismE0ELb1ES3_N6thrust23THRUST_200600_302600_NS6detail15normal_iteratorINS9_10device_ptrIiEEEESE_SE_iNS9_4plusIvEENS9_8equal_toIiEEiEE10hipError_tPvRmT2_T3_T4_T5_mT6_T7_P12ihipStream_tbENKUlT_T0_E_clISt17integral_constantIbLb1EESZ_EEDaSU_SV_EUlSU_E_NS1_11comp_targetILNS1_3genE10ELNS1_11target_archE1201ELNS1_3gpuE5ELNS1_3repE0EEENS1_30default_config_static_selectorELNS0_4arch9wavefront6targetE1EEEvT1_
	.globl	_ZN7rocprim17ROCPRIM_400000_NS6detail17trampoline_kernelINS0_14default_configENS1_27scan_by_key_config_selectorIiiEEZZNS1_16scan_by_key_implILNS1_25lookback_scan_determinismE0ELb1ES3_N6thrust23THRUST_200600_302600_NS6detail15normal_iteratorINS9_10device_ptrIiEEEESE_SE_iNS9_4plusIvEENS9_8equal_toIiEEiEE10hipError_tPvRmT2_T3_T4_T5_mT6_T7_P12ihipStream_tbENKUlT_T0_E_clISt17integral_constantIbLb1EESZ_EEDaSU_SV_EUlSU_E_NS1_11comp_targetILNS1_3genE10ELNS1_11target_archE1201ELNS1_3gpuE5ELNS1_3repE0EEENS1_30default_config_static_selectorELNS0_4arch9wavefront6targetE1EEEvT1_
	.p2align	8
	.type	_ZN7rocprim17ROCPRIM_400000_NS6detail17trampoline_kernelINS0_14default_configENS1_27scan_by_key_config_selectorIiiEEZZNS1_16scan_by_key_implILNS1_25lookback_scan_determinismE0ELb1ES3_N6thrust23THRUST_200600_302600_NS6detail15normal_iteratorINS9_10device_ptrIiEEEESE_SE_iNS9_4plusIvEENS9_8equal_toIiEEiEE10hipError_tPvRmT2_T3_T4_T5_mT6_T7_P12ihipStream_tbENKUlT_T0_E_clISt17integral_constantIbLb1EESZ_EEDaSU_SV_EUlSU_E_NS1_11comp_targetILNS1_3genE10ELNS1_11target_archE1201ELNS1_3gpuE5ELNS1_3repE0EEENS1_30default_config_static_selectorELNS0_4arch9wavefront6targetE1EEEvT1_,@function
_ZN7rocprim17ROCPRIM_400000_NS6detail17trampoline_kernelINS0_14default_configENS1_27scan_by_key_config_selectorIiiEEZZNS1_16scan_by_key_implILNS1_25lookback_scan_determinismE0ELb1ES3_N6thrust23THRUST_200600_302600_NS6detail15normal_iteratorINS9_10device_ptrIiEEEESE_SE_iNS9_4plusIvEENS9_8equal_toIiEEiEE10hipError_tPvRmT2_T3_T4_T5_mT6_T7_P12ihipStream_tbENKUlT_T0_E_clISt17integral_constantIbLb1EESZ_EEDaSU_SV_EUlSU_E_NS1_11comp_targetILNS1_3genE10ELNS1_11target_archE1201ELNS1_3gpuE5ELNS1_3repE0EEENS1_30default_config_static_selectorELNS0_4arch9wavefront6targetE1EEEvT1_: ; @_ZN7rocprim17ROCPRIM_400000_NS6detail17trampoline_kernelINS0_14default_configENS1_27scan_by_key_config_selectorIiiEEZZNS1_16scan_by_key_implILNS1_25lookback_scan_determinismE0ELb1ES3_N6thrust23THRUST_200600_302600_NS6detail15normal_iteratorINS9_10device_ptrIiEEEESE_SE_iNS9_4plusIvEENS9_8equal_toIiEEiEE10hipError_tPvRmT2_T3_T4_T5_mT6_T7_P12ihipStream_tbENKUlT_T0_E_clISt17integral_constantIbLb1EESZ_EEDaSU_SV_EUlSU_E_NS1_11comp_targetILNS1_3genE10ELNS1_11target_archE1201ELNS1_3gpuE5ELNS1_3repE0EEENS1_30default_config_static_selectorELNS0_4arch9wavefront6targetE1EEEvT1_
; %bb.0:
	.section	.rodata,"a",@progbits
	.p2align	6, 0x0
	.amdhsa_kernel _ZN7rocprim17ROCPRIM_400000_NS6detail17trampoline_kernelINS0_14default_configENS1_27scan_by_key_config_selectorIiiEEZZNS1_16scan_by_key_implILNS1_25lookback_scan_determinismE0ELb1ES3_N6thrust23THRUST_200600_302600_NS6detail15normal_iteratorINS9_10device_ptrIiEEEESE_SE_iNS9_4plusIvEENS9_8equal_toIiEEiEE10hipError_tPvRmT2_T3_T4_T5_mT6_T7_P12ihipStream_tbENKUlT_T0_E_clISt17integral_constantIbLb1EESZ_EEDaSU_SV_EUlSU_E_NS1_11comp_targetILNS1_3genE10ELNS1_11target_archE1201ELNS1_3gpuE5ELNS1_3repE0EEENS1_30default_config_static_selectorELNS0_4arch9wavefront6targetE1EEEvT1_
		.amdhsa_group_segment_fixed_size 0
		.amdhsa_private_segment_fixed_size 0
		.amdhsa_kernarg_size 112
		.amdhsa_user_sgpr_count 6
		.amdhsa_user_sgpr_private_segment_buffer 1
		.amdhsa_user_sgpr_dispatch_ptr 0
		.amdhsa_user_sgpr_queue_ptr 0
		.amdhsa_user_sgpr_kernarg_segment_ptr 1
		.amdhsa_user_sgpr_dispatch_id 0
		.amdhsa_user_sgpr_flat_scratch_init 0
		.amdhsa_user_sgpr_kernarg_preload_length 0
		.amdhsa_user_sgpr_kernarg_preload_offset 0
		.amdhsa_user_sgpr_private_segment_size 0
		.amdhsa_uses_dynamic_stack 0
		.amdhsa_system_sgpr_private_segment_wavefront_offset 0
		.amdhsa_system_sgpr_workgroup_id_x 1
		.amdhsa_system_sgpr_workgroup_id_y 0
		.amdhsa_system_sgpr_workgroup_id_z 0
		.amdhsa_system_sgpr_workgroup_info 0
		.amdhsa_system_vgpr_workitem_id 0
		.amdhsa_next_free_vgpr 1
		.amdhsa_next_free_sgpr 0
		.amdhsa_accum_offset 4
		.amdhsa_reserve_vcc 0
		.amdhsa_reserve_flat_scratch 0
		.amdhsa_float_round_mode_32 0
		.amdhsa_float_round_mode_16_64 0
		.amdhsa_float_denorm_mode_32 3
		.amdhsa_float_denorm_mode_16_64 3
		.amdhsa_dx10_clamp 1
		.amdhsa_ieee_mode 1
		.amdhsa_fp16_overflow 0
		.amdhsa_tg_split 0
		.amdhsa_exception_fp_ieee_invalid_op 0
		.amdhsa_exception_fp_denorm_src 0
		.amdhsa_exception_fp_ieee_div_zero 0
		.amdhsa_exception_fp_ieee_overflow 0
		.amdhsa_exception_fp_ieee_underflow 0
		.amdhsa_exception_fp_ieee_inexact 0
		.amdhsa_exception_int_div_zero 0
	.end_amdhsa_kernel
	.section	.text._ZN7rocprim17ROCPRIM_400000_NS6detail17trampoline_kernelINS0_14default_configENS1_27scan_by_key_config_selectorIiiEEZZNS1_16scan_by_key_implILNS1_25lookback_scan_determinismE0ELb1ES3_N6thrust23THRUST_200600_302600_NS6detail15normal_iteratorINS9_10device_ptrIiEEEESE_SE_iNS9_4plusIvEENS9_8equal_toIiEEiEE10hipError_tPvRmT2_T3_T4_T5_mT6_T7_P12ihipStream_tbENKUlT_T0_E_clISt17integral_constantIbLb1EESZ_EEDaSU_SV_EUlSU_E_NS1_11comp_targetILNS1_3genE10ELNS1_11target_archE1201ELNS1_3gpuE5ELNS1_3repE0EEENS1_30default_config_static_selectorELNS0_4arch9wavefront6targetE1EEEvT1_,"axG",@progbits,_ZN7rocprim17ROCPRIM_400000_NS6detail17trampoline_kernelINS0_14default_configENS1_27scan_by_key_config_selectorIiiEEZZNS1_16scan_by_key_implILNS1_25lookback_scan_determinismE0ELb1ES3_N6thrust23THRUST_200600_302600_NS6detail15normal_iteratorINS9_10device_ptrIiEEEESE_SE_iNS9_4plusIvEENS9_8equal_toIiEEiEE10hipError_tPvRmT2_T3_T4_T5_mT6_T7_P12ihipStream_tbENKUlT_T0_E_clISt17integral_constantIbLb1EESZ_EEDaSU_SV_EUlSU_E_NS1_11comp_targetILNS1_3genE10ELNS1_11target_archE1201ELNS1_3gpuE5ELNS1_3repE0EEENS1_30default_config_static_selectorELNS0_4arch9wavefront6targetE1EEEvT1_,comdat
.Lfunc_end543:
	.size	_ZN7rocprim17ROCPRIM_400000_NS6detail17trampoline_kernelINS0_14default_configENS1_27scan_by_key_config_selectorIiiEEZZNS1_16scan_by_key_implILNS1_25lookback_scan_determinismE0ELb1ES3_N6thrust23THRUST_200600_302600_NS6detail15normal_iteratorINS9_10device_ptrIiEEEESE_SE_iNS9_4plusIvEENS9_8equal_toIiEEiEE10hipError_tPvRmT2_T3_T4_T5_mT6_T7_P12ihipStream_tbENKUlT_T0_E_clISt17integral_constantIbLb1EESZ_EEDaSU_SV_EUlSU_E_NS1_11comp_targetILNS1_3genE10ELNS1_11target_archE1201ELNS1_3gpuE5ELNS1_3repE0EEENS1_30default_config_static_selectorELNS0_4arch9wavefront6targetE1EEEvT1_, .Lfunc_end543-_ZN7rocprim17ROCPRIM_400000_NS6detail17trampoline_kernelINS0_14default_configENS1_27scan_by_key_config_selectorIiiEEZZNS1_16scan_by_key_implILNS1_25lookback_scan_determinismE0ELb1ES3_N6thrust23THRUST_200600_302600_NS6detail15normal_iteratorINS9_10device_ptrIiEEEESE_SE_iNS9_4plusIvEENS9_8equal_toIiEEiEE10hipError_tPvRmT2_T3_T4_T5_mT6_T7_P12ihipStream_tbENKUlT_T0_E_clISt17integral_constantIbLb1EESZ_EEDaSU_SV_EUlSU_E_NS1_11comp_targetILNS1_3genE10ELNS1_11target_archE1201ELNS1_3gpuE5ELNS1_3repE0EEENS1_30default_config_static_selectorELNS0_4arch9wavefront6targetE1EEEvT1_
                                        ; -- End function
	.section	.AMDGPU.csdata,"",@progbits
; Kernel info:
; codeLenInByte = 0
; NumSgprs: 4
; NumVgprs: 0
; NumAgprs: 0
; TotalNumVgprs: 0
; ScratchSize: 0
; MemoryBound: 0
; FloatMode: 240
; IeeeMode: 1
; LDSByteSize: 0 bytes/workgroup (compile time only)
; SGPRBlocks: 0
; VGPRBlocks: 0
; NumSGPRsForWavesPerEU: 4
; NumVGPRsForWavesPerEU: 1
; AccumOffset: 4
; Occupancy: 8
; WaveLimiterHint : 0
; COMPUTE_PGM_RSRC2:SCRATCH_EN: 0
; COMPUTE_PGM_RSRC2:USER_SGPR: 6
; COMPUTE_PGM_RSRC2:TRAP_HANDLER: 0
; COMPUTE_PGM_RSRC2:TGID_X_EN: 1
; COMPUTE_PGM_RSRC2:TGID_Y_EN: 0
; COMPUTE_PGM_RSRC2:TGID_Z_EN: 0
; COMPUTE_PGM_RSRC2:TIDIG_COMP_CNT: 0
; COMPUTE_PGM_RSRC3_GFX90A:ACCUM_OFFSET: 0
; COMPUTE_PGM_RSRC3_GFX90A:TG_SPLIT: 0
	.section	.text._ZN7rocprim17ROCPRIM_400000_NS6detail17trampoline_kernelINS0_14default_configENS1_27scan_by_key_config_selectorIiiEEZZNS1_16scan_by_key_implILNS1_25lookback_scan_determinismE0ELb1ES3_N6thrust23THRUST_200600_302600_NS6detail15normal_iteratorINS9_10device_ptrIiEEEESE_SE_iNS9_4plusIvEENS9_8equal_toIiEEiEE10hipError_tPvRmT2_T3_T4_T5_mT6_T7_P12ihipStream_tbENKUlT_T0_E_clISt17integral_constantIbLb1EESZ_EEDaSU_SV_EUlSU_E_NS1_11comp_targetILNS1_3genE5ELNS1_11target_archE942ELNS1_3gpuE9ELNS1_3repE0EEENS1_30default_config_static_selectorELNS0_4arch9wavefront6targetE1EEEvT1_,"axG",@progbits,_ZN7rocprim17ROCPRIM_400000_NS6detail17trampoline_kernelINS0_14default_configENS1_27scan_by_key_config_selectorIiiEEZZNS1_16scan_by_key_implILNS1_25lookback_scan_determinismE0ELb1ES3_N6thrust23THRUST_200600_302600_NS6detail15normal_iteratorINS9_10device_ptrIiEEEESE_SE_iNS9_4plusIvEENS9_8equal_toIiEEiEE10hipError_tPvRmT2_T3_T4_T5_mT6_T7_P12ihipStream_tbENKUlT_T0_E_clISt17integral_constantIbLb1EESZ_EEDaSU_SV_EUlSU_E_NS1_11comp_targetILNS1_3genE5ELNS1_11target_archE942ELNS1_3gpuE9ELNS1_3repE0EEENS1_30default_config_static_selectorELNS0_4arch9wavefront6targetE1EEEvT1_,comdat
	.protected	_ZN7rocprim17ROCPRIM_400000_NS6detail17trampoline_kernelINS0_14default_configENS1_27scan_by_key_config_selectorIiiEEZZNS1_16scan_by_key_implILNS1_25lookback_scan_determinismE0ELb1ES3_N6thrust23THRUST_200600_302600_NS6detail15normal_iteratorINS9_10device_ptrIiEEEESE_SE_iNS9_4plusIvEENS9_8equal_toIiEEiEE10hipError_tPvRmT2_T3_T4_T5_mT6_T7_P12ihipStream_tbENKUlT_T0_E_clISt17integral_constantIbLb1EESZ_EEDaSU_SV_EUlSU_E_NS1_11comp_targetILNS1_3genE5ELNS1_11target_archE942ELNS1_3gpuE9ELNS1_3repE0EEENS1_30default_config_static_selectorELNS0_4arch9wavefront6targetE1EEEvT1_ ; -- Begin function _ZN7rocprim17ROCPRIM_400000_NS6detail17trampoline_kernelINS0_14default_configENS1_27scan_by_key_config_selectorIiiEEZZNS1_16scan_by_key_implILNS1_25lookback_scan_determinismE0ELb1ES3_N6thrust23THRUST_200600_302600_NS6detail15normal_iteratorINS9_10device_ptrIiEEEESE_SE_iNS9_4plusIvEENS9_8equal_toIiEEiEE10hipError_tPvRmT2_T3_T4_T5_mT6_T7_P12ihipStream_tbENKUlT_T0_E_clISt17integral_constantIbLb1EESZ_EEDaSU_SV_EUlSU_E_NS1_11comp_targetILNS1_3genE5ELNS1_11target_archE942ELNS1_3gpuE9ELNS1_3repE0EEENS1_30default_config_static_selectorELNS0_4arch9wavefront6targetE1EEEvT1_
	.globl	_ZN7rocprim17ROCPRIM_400000_NS6detail17trampoline_kernelINS0_14default_configENS1_27scan_by_key_config_selectorIiiEEZZNS1_16scan_by_key_implILNS1_25lookback_scan_determinismE0ELb1ES3_N6thrust23THRUST_200600_302600_NS6detail15normal_iteratorINS9_10device_ptrIiEEEESE_SE_iNS9_4plusIvEENS9_8equal_toIiEEiEE10hipError_tPvRmT2_T3_T4_T5_mT6_T7_P12ihipStream_tbENKUlT_T0_E_clISt17integral_constantIbLb1EESZ_EEDaSU_SV_EUlSU_E_NS1_11comp_targetILNS1_3genE5ELNS1_11target_archE942ELNS1_3gpuE9ELNS1_3repE0EEENS1_30default_config_static_selectorELNS0_4arch9wavefront6targetE1EEEvT1_
	.p2align	8
	.type	_ZN7rocprim17ROCPRIM_400000_NS6detail17trampoline_kernelINS0_14default_configENS1_27scan_by_key_config_selectorIiiEEZZNS1_16scan_by_key_implILNS1_25lookback_scan_determinismE0ELb1ES3_N6thrust23THRUST_200600_302600_NS6detail15normal_iteratorINS9_10device_ptrIiEEEESE_SE_iNS9_4plusIvEENS9_8equal_toIiEEiEE10hipError_tPvRmT2_T3_T4_T5_mT6_T7_P12ihipStream_tbENKUlT_T0_E_clISt17integral_constantIbLb1EESZ_EEDaSU_SV_EUlSU_E_NS1_11comp_targetILNS1_3genE5ELNS1_11target_archE942ELNS1_3gpuE9ELNS1_3repE0EEENS1_30default_config_static_selectorELNS0_4arch9wavefront6targetE1EEEvT1_,@function
_ZN7rocprim17ROCPRIM_400000_NS6detail17trampoline_kernelINS0_14default_configENS1_27scan_by_key_config_selectorIiiEEZZNS1_16scan_by_key_implILNS1_25lookback_scan_determinismE0ELb1ES3_N6thrust23THRUST_200600_302600_NS6detail15normal_iteratorINS9_10device_ptrIiEEEESE_SE_iNS9_4plusIvEENS9_8equal_toIiEEiEE10hipError_tPvRmT2_T3_T4_T5_mT6_T7_P12ihipStream_tbENKUlT_T0_E_clISt17integral_constantIbLb1EESZ_EEDaSU_SV_EUlSU_E_NS1_11comp_targetILNS1_3genE5ELNS1_11target_archE942ELNS1_3gpuE9ELNS1_3repE0EEENS1_30default_config_static_selectorELNS0_4arch9wavefront6targetE1EEEvT1_: ; @_ZN7rocprim17ROCPRIM_400000_NS6detail17trampoline_kernelINS0_14default_configENS1_27scan_by_key_config_selectorIiiEEZZNS1_16scan_by_key_implILNS1_25lookback_scan_determinismE0ELb1ES3_N6thrust23THRUST_200600_302600_NS6detail15normal_iteratorINS9_10device_ptrIiEEEESE_SE_iNS9_4plusIvEENS9_8equal_toIiEEiEE10hipError_tPvRmT2_T3_T4_T5_mT6_T7_P12ihipStream_tbENKUlT_T0_E_clISt17integral_constantIbLb1EESZ_EEDaSU_SV_EUlSU_E_NS1_11comp_targetILNS1_3genE5ELNS1_11target_archE942ELNS1_3gpuE9ELNS1_3repE0EEENS1_30default_config_static_selectorELNS0_4arch9wavefront6targetE1EEEvT1_
; %bb.0:
	.section	.rodata,"a",@progbits
	.p2align	6, 0x0
	.amdhsa_kernel _ZN7rocprim17ROCPRIM_400000_NS6detail17trampoline_kernelINS0_14default_configENS1_27scan_by_key_config_selectorIiiEEZZNS1_16scan_by_key_implILNS1_25lookback_scan_determinismE0ELb1ES3_N6thrust23THRUST_200600_302600_NS6detail15normal_iteratorINS9_10device_ptrIiEEEESE_SE_iNS9_4plusIvEENS9_8equal_toIiEEiEE10hipError_tPvRmT2_T3_T4_T5_mT6_T7_P12ihipStream_tbENKUlT_T0_E_clISt17integral_constantIbLb1EESZ_EEDaSU_SV_EUlSU_E_NS1_11comp_targetILNS1_3genE5ELNS1_11target_archE942ELNS1_3gpuE9ELNS1_3repE0EEENS1_30default_config_static_selectorELNS0_4arch9wavefront6targetE1EEEvT1_
		.amdhsa_group_segment_fixed_size 0
		.amdhsa_private_segment_fixed_size 0
		.amdhsa_kernarg_size 112
		.amdhsa_user_sgpr_count 6
		.amdhsa_user_sgpr_private_segment_buffer 1
		.amdhsa_user_sgpr_dispatch_ptr 0
		.amdhsa_user_sgpr_queue_ptr 0
		.amdhsa_user_sgpr_kernarg_segment_ptr 1
		.amdhsa_user_sgpr_dispatch_id 0
		.amdhsa_user_sgpr_flat_scratch_init 0
		.amdhsa_user_sgpr_kernarg_preload_length 0
		.amdhsa_user_sgpr_kernarg_preload_offset 0
		.amdhsa_user_sgpr_private_segment_size 0
		.amdhsa_uses_dynamic_stack 0
		.amdhsa_system_sgpr_private_segment_wavefront_offset 0
		.amdhsa_system_sgpr_workgroup_id_x 1
		.amdhsa_system_sgpr_workgroup_id_y 0
		.amdhsa_system_sgpr_workgroup_id_z 0
		.amdhsa_system_sgpr_workgroup_info 0
		.amdhsa_system_vgpr_workitem_id 0
		.amdhsa_next_free_vgpr 1
		.amdhsa_next_free_sgpr 0
		.amdhsa_accum_offset 4
		.amdhsa_reserve_vcc 0
		.amdhsa_reserve_flat_scratch 0
		.amdhsa_float_round_mode_32 0
		.amdhsa_float_round_mode_16_64 0
		.amdhsa_float_denorm_mode_32 3
		.amdhsa_float_denorm_mode_16_64 3
		.amdhsa_dx10_clamp 1
		.amdhsa_ieee_mode 1
		.amdhsa_fp16_overflow 0
		.amdhsa_tg_split 0
		.amdhsa_exception_fp_ieee_invalid_op 0
		.amdhsa_exception_fp_denorm_src 0
		.amdhsa_exception_fp_ieee_div_zero 0
		.amdhsa_exception_fp_ieee_overflow 0
		.amdhsa_exception_fp_ieee_underflow 0
		.amdhsa_exception_fp_ieee_inexact 0
		.amdhsa_exception_int_div_zero 0
	.end_amdhsa_kernel
	.section	.text._ZN7rocprim17ROCPRIM_400000_NS6detail17trampoline_kernelINS0_14default_configENS1_27scan_by_key_config_selectorIiiEEZZNS1_16scan_by_key_implILNS1_25lookback_scan_determinismE0ELb1ES3_N6thrust23THRUST_200600_302600_NS6detail15normal_iteratorINS9_10device_ptrIiEEEESE_SE_iNS9_4plusIvEENS9_8equal_toIiEEiEE10hipError_tPvRmT2_T3_T4_T5_mT6_T7_P12ihipStream_tbENKUlT_T0_E_clISt17integral_constantIbLb1EESZ_EEDaSU_SV_EUlSU_E_NS1_11comp_targetILNS1_3genE5ELNS1_11target_archE942ELNS1_3gpuE9ELNS1_3repE0EEENS1_30default_config_static_selectorELNS0_4arch9wavefront6targetE1EEEvT1_,"axG",@progbits,_ZN7rocprim17ROCPRIM_400000_NS6detail17trampoline_kernelINS0_14default_configENS1_27scan_by_key_config_selectorIiiEEZZNS1_16scan_by_key_implILNS1_25lookback_scan_determinismE0ELb1ES3_N6thrust23THRUST_200600_302600_NS6detail15normal_iteratorINS9_10device_ptrIiEEEESE_SE_iNS9_4plusIvEENS9_8equal_toIiEEiEE10hipError_tPvRmT2_T3_T4_T5_mT6_T7_P12ihipStream_tbENKUlT_T0_E_clISt17integral_constantIbLb1EESZ_EEDaSU_SV_EUlSU_E_NS1_11comp_targetILNS1_3genE5ELNS1_11target_archE942ELNS1_3gpuE9ELNS1_3repE0EEENS1_30default_config_static_selectorELNS0_4arch9wavefront6targetE1EEEvT1_,comdat
.Lfunc_end544:
	.size	_ZN7rocprim17ROCPRIM_400000_NS6detail17trampoline_kernelINS0_14default_configENS1_27scan_by_key_config_selectorIiiEEZZNS1_16scan_by_key_implILNS1_25lookback_scan_determinismE0ELb1ES3_N6thrust23THRUST_200600_302600_NS6detail15normal_iteratorINS9_10device_ptrIiEEEESE_SE_iNS9_4plusIvEENS9_8equal_toIiEEiEE10hipError_tPvRmT2_T3_T4_T5_mT6_T7_P12ihipStream_tbENKUlT_T0_E_clISt17integral_constantIbLb1EESZ_EEDaSU_SV_EUlSU_E_NS1_11comp_targetILNS1_3genE5ELNS1_11target_archE942ELNS1_3gpuE9ELNS1_3repE0EEENS1_30default_config_static_selectorELNS0_4arch9wavefront6targetE1EEEvT1_, .Lfunc_end544-_ZN7rocprim17ROCPRIM_400000_NS6detail17trampoline_kernelINS0_14default_configENS1_27scan_by_key_config_selectorIiiEEZZNS1_16scan_by_key_implILNS1_25lookback_scan_determinismE0ELb1ES3_N6thrust23THRUST_200600_302600_NS6detail15normal_iteratorINS9_10device_ptrIiEEEESE_SE_iNS9_4plusIvEENS9_8equal_toIiEEiEE10hipError_tPvRmT2_T3_T4_T5_mT6_T7_P12ihipStream_tbENKUlT_T0_E_clISt17integral_constantIbLb1EESZ_EEDaSU_SV_EUlSU_E_NS1_11comp_targetILNS1_3genE5ELNS1_11target_archE942ELNS1_3gpuE9ELNS1_3repE0EEENS1_30default_config_static_selectorELNS0_4arch9wavefront6targetE1EEEvT1_
                                        ; -- End function
	.section	.AMDGPU.csdata,"",@progbits
; Kernel info:
; codeLenInByte = 0
; NumSgprs: 4
; NumVgprs: 0
; NumAgprs: 0
; TotalNumVgprs: 0
; ScratchSize: 0
; MemoryBound: 0
; FloatMode: 240
; IeeeMode: 1
; LDSByteSize: 0 bytes/workgroup (compile time only)
; SGPRBlocks: 0
; VGPRBlocks: 0
; NumSGPRsForWavesPerEU: 4
; NumVGPRsForWavesPerEU: 1
; AccumOffset: 4
; Occupancy: 8
; WaveLimiterHint : 0
; COMPUTE_PGM_RSRC2:SCRATCH_EN: 0
; COMPUTE_PGM_RSRC2:USER_SGPR: 6
; COMPUTE_PGM_RSRC2:TRAP_HANDLER: 0
; COMPUTE_PGM_RSRC2:TGID_X_EN: 1
; COMPUTE_PGM_RSRC2:TGID_Y_EN: 0
; COMPUTE_PGM_RSRC2:TGID_Z_EN: 0
; COMPUTE_PGM_RSRC2:TIDIG_COMP_CNT: 0
; COMPUTE_PGM_RSRC3_GFX90A:ACCUM_OFFSET: 0
; COMPUTE_PGM_RSRC3_GFX90A:TG_SPLIT: 0
	.section	.text._ZN7rocprim17ROCPRIM_400000_NS6detail17trampoline_kernelINS0_14default_configENS1_27scan_by_key_config_selectorIiiEEZZNS1_16scan_by_key_implILNS1_25lookback_scan_determinismE0ELb1ES3_N6thrust23THRUST_200600_302600_NS6detail15normal_iteratorINS9_10device_ptrIiEEEESE_SE_iNS9_4plusIvEENS9_8equal_toIiEEiEE10hipError_tPvRmT2_T3_T4_T5_mT6_T7_P12ihipStream_tbENKUlT_T0_E_clISt17integral_constantIbLb1EESZ_EEDaSU_SV_EUlSU_E_NS1_11comp_targetILNS1_3genE4ELNS1_11target_archE910ELNS1_3gpuE8ELNS1_3repE0EEENS1_30default_config_static_selectorELNS0_4arch9wavefront6targetE1EEEvT1_,"axG",@progbits,_ZN7rocprim17ROCPRIM_400000_NS6detail17trampoline_kernelINS0_14default_configENS1_27scan_by_key_config_selectorIiiEEZZNS1_16scan_by_key_implILNS1_25lookback_scan_determinismE0ELb1ES3_N6thrust23THRUST_200600_302600_NS6detail15normal_iteratorINS9_10device_ptrIiEEEESE_SE_iNS9_4plusIvEENS9_8equal_toIiEEiEE10hipError_tPvRmT2_T3_T4_T5_mT6_T7_P12ihipStream_tbENKUlT_T0_E_clISt17integral_constantIbLb1EESZ_EEDaSU_SV_EUlSU_E_NS1_11comp_targetILNS1_3genE4ELNS1_11target_archE910ELNS1_3gpuE8ELNS1_3repE0EEENS1_30default_config_static_selectorELNS0_4arch9wavefront6targetE1EEEvT1_,comdat
	.protected	_ZN7rocprim17ROCPRIM_400000_NS6detail17trampoline_kernelINS0_14default_configENS1_27scan_by_key_config_selectorIiiEEZZNS1_16scan_by_key_implILNS1_25lookback_scan_determinismE0ELb1ES3_N6thrust23THRUST_200600_302600_NS6detail15normal_iteratorINS9_10device_ptrIiEEEESE_SE_iNS9_4plusIvEENS9_8equal_toIiEEiEE10hipError_tPvRmT2_T3_T4_T5_mT6_T7_P12ihipStream_tbENKUlT_T0_E_clISt17integral_constantIbLb1EESZ_EEDaSU_SV_EUlSU_E_NS1_11comp_targetILNS1_3genE4ELNS1_11target_archE910ELNS1_3gpuE8ELNS1_3repE0EEENS1_30default_config_static_selectorELNS0_4arch9wavefront6targetE1EEEvT1_ ; -- Begin function _ZN7rocprim17ROCPRIM_400000_NS6detail17trampoline_kernelINS0_14default_configENS1_27scan_by_key_config_selectorIiiEEZZNS1_16scan_by_key_implILNS1_25lookback_scan_determinismE0ELb1ES3_N6thrust23THRUST_200600_302600_NS6detail15normal_iteratorINS9_10device_ptrIiEEEESE_SE_iNS9_4plusIvEENS9_8equal_toIiEEiEE10hipError_tPvRmT2_T3_T4_T5_mT6_T7_P12ihipStream_tbENKUlT_T0_E_clISt17integral_constantIbLb1EESZ_EEDaSU_SV_EUlSU_E_NS1_11comp_targetILNS1_3genE4ELNS1_11target_archE910ELNS1_3gpuE8ELNS1_3repE0EEENS1_30default_config_static_selectorELNS0_4arch9wavefront6targetE1EEEvT1_
	.globl	_ZN7rocprim17ROCPRIM_400000_NS6detail17trampoline_kernelINS0_14default_configENS1_27scan_by_key_config_selectorIiiEEZZNS1_16scan_by_key_implILNS1_25lookback_scan_determinismE0ELb1ES3_N6thrust23THRUST_200600_302600_NS6detail15normal_iteratorINS9_10device_ptrIiEEEESE_SE_iNS9_4plusIvEENS9_8equal_toIiEEiEE10hipError_tPvRmT2_T3_T4_T5_mT6_T7_P12ihipStream_tbENKUlT_T0_E_clISt17integral_constantIbLb1EESZ_EEDaSU_SV_EUlSU_E_NS1_11comp_targetILNS1_3genE4ELNS1_11target_archE910ELNS1_3gpuE8ELNS1_3repE0EEENS1_30default_config_static_selectorELNS0_4arch9wavefront6targetE1EEEvT1_
	.p2align	8
	.type	_ZN7rocprim17ROCPRIM_400000_NS6detail17trampoline_kernelINS0_14default_configENS1_27scan_by_key_config_selectorIiiEEZZNS1_16scan_by_key_implILNS1_25lookback_scan_determinismE0ELb1ES3_N6thrust23THRUST_200600_302600_NS6detail15normal_iteratorINS9_10device_ptrIiEEEESE_SE_iNS9_4plusIvEENS9_8equal_toIiEEiEE10hipError_tPvRmT2_T3_T4_T5_mT6_T7_P12ihipStream_tbENKUlT_T0_E_clISt17integral_constantIbLb1EESZ_EEDaSU_SV_EUlSU_E_NS1_11comp_targetILNS1_3genE4ELNS1_11target_archE910ELNS1_3gpuE8ELNS1_3repE0EEENS1_30default_config_static_selectorELNS0_4arch9wavefront6targetE1EEEvT1_,@function
_ZN7rocprim17ROCPRIM_400000_NS6detail17trampoline_kernelINS0_14default_configENS1_27scan_by_key_config_selectorIiiEEZZNS1_16scan_by_key_implILNS1_25lookback_scan_determinismE0ELb1ES3_N6thrust23THRUST_200600_302600_NS6detail15normal_iteratorINS9_10device_ptrIiEEEESE_SE_iNS9_4plusIvEENS9_8equal_toIiEEiEE10hipError_tPvRmT2_T3_T4_T5_mT6_T7_P12ihipStream_tbENKUlT_T0_E_clISt17integral_constantIbLb1EESZ_EEDaSU_SV_EUlSU_E_NS1_11comp_targetILNS1_3genE4ELNS1_11target_archE910ELNS1_3gpuE8ELNS1_3repE0EEENS1_30default_config_static_selectorELNS0_4arch9wavefront6targetE1EEEvT1_: ; @_ZN7rocprim17ROCPRIM_400000_NS6detail17trampoline_kernelINS0_14default_configENS1_27scan_by_key_config_selectorIiiEEZZNS1_16scan_by_key_implILNS1_25lookback_scan_determinismE0ELb1ES3_N6thrust23THRUST_200600_302600_NS6detail15normal_iteratorINS9_10device_ptrIiEEEESE_SE_iNS9_4plusIvEENS9_8equal_toIiEEiEE10hipError_tPvRmT2_T3_T4_T5_mT6_T7_P12ihipStream_tbENKUlT_T0_E_clISt17integral_constantIbLb1EESZ_EEDaSU_SV_EUlSU_E_NS1_11comp_targetILNS1_3genE4ELNS1_11target_archE910ELNS1_3gpuE8ELNS1_3repE0EEENS1_30default_config_static_selectorELNS0_4arch9wavefront6targetE1EEEvT1_
; %bb.0:
	s_load_dword s54, s[4:5], 0x20
	s_load_dwordx4 s[44:47], s[4:5], 0x28
	s_load_dwordx2 s[52:53], s[4:5], 0x38
	v_cmp_eq_u32_e64 s[0:1], 0, v0
	s_and_saveexec_b64 s[2:3], s[0:1]
	s_cbranch_execz .LBB545_4
; %bb.1:
	s_mov_b64 s[8:9], exec
	v_mbcnt_lo_u32_b32 v1, s8, 0
	v_mbcnt_hi_u32_b32 v1, s9, v1
	v_cmp_eq_u32_e32 vcc, 0, v1
                                        ; implicit-def: $vgpr2
	s_and_saveexec_b64 s[6:7], vcc
	s_cbranch_execz .LBB545_3
; %bb.2:
	s_load_dwordx2 s[10:11], s[4:5], 0x68
	s_bcnt1_i32_b64 s8, s[8:9]
	v_mov_b32_e32 v2, 0
	v_mov_b32_e32 v3, s8
	s_waitcnt lgkmcnt(0)
	global_atomic_add v2, v2, v3, s[10:11] glc
.LBB545_3:
	s_or_b64 exec, exec, s[6:7]
	s_waitcnt vmcnt(0)
	v_readfirstlane_b32 s6, v2
	v_add_u32_e32 v1, s6, v1
	v_mov_b32_e32 v2, 0
	ds_write_b32 v2, v1
.LBB545_4:
	s_or_b64 exec, exec, s[2:3]
	s_load_dwordx8 s[36:43], s[4:5], 0x0
	s_load_dword s2, s[4:5], 0x40
	s_load_dwordx4 s[48:51], s[4:5], 0x48
	v_mov_b32_e32 v3, 0
	s_waitcnt lgkmcnt(0)
	s_lshl_b64 s[34:35], s[38:39], 2
	s_barrier
	ds_read_b32 v4, v3
	s_add_u32 s3, s36, s34
	s_addc_u32 s4, s37, s35
	s_add_u32 s5, s40, s34
	s_mul_i32 s7, s53, s2
	s_mul_hi_u32 s8, s52, s2
	s_addc_u32 s6, s41, s35
	s_add_i32 s7, s8, s7
	s_movk_i32 s8, 0xe00
	s_waitcnt lgkmcnt(0)
	v_mul_lo_u32 v2, v4, s8
	v_lshlrev_b64 v[38:39], 2, v[2:3]
	v_mov_b32_e32 v1, s4
	v_add_co_u32_e32 v42, vcc, s3, v38
	v_addc_co_u32_e32 v43, vcc, v1, v39, vcc
	v_mov_b32_e32 v2, s6
	v_add_co_u32_e32 v1, vcc, s5, v38
	s_mul_i32 s2, s52, s2
	v_addc_co_u32_e32 v48, vcc, v2, v39, vcc
	v_mov_b32_e32 v3, s7
	v_add_co_u32_e32 v2, vcc, s2, v4
	s_add_u32 s4, s48, -1
	v_addc_co_u32_e32 v3, vcc, 0, v3, vcc
	s_addc_u32 s5, s49, -1
	v_cmp_le_u64_e64 s[2:3], s[4:5], v[2:3]
	v_readfirstlane_b32 s47, v4
	s_mov_b64 s[12:13], -1
	s_and_b64 vcc, exec, s[2:3]
	s_mul_i32 s33, s4, 0xfffff200
	s_barrier
	s_barrier
	s_cbranch_vccz .LBB545_80
; %bb.5:
	flat_load_dword v13, v[42:43]
	s_add_i32 s40, s33, s46
	v_cmp_gt_u32_e32 vcc, s40, v0
	s_waitcnt vmcnt(0) lgkmcnt(0)
	v_mov_b32_e32 v14, v13
	s_and_saveexec_b64 s[6:7], vcc
	s_cbranch_execz .LBB545_7
; %bb.6:
	v_lshlrev_b32_e32 v2, 2, v0
	v_add_co_u32_e64 v2, s[4:5], v42, v2
	v_addc_co_u32_e64 v3, s[4:5], 0, v43, s[4:5]
	flat_load_dword v14, v[2:3]
.LBB545_7:
	s_or_b64 exec, exec, s[6:7]
	v_or_b32_e32 v2, 0x100, v0
	v_cmp_gt_u32_e64 s[4:5], s40, v2
	v_mov_b32_e32 v15, v13
	s_and_saveexec_b64 s[8:9], s[4:5]
	s_cbranch_execz .LBB545_9
; %bb.8:
	v_lshlrev_b32_e32 v2, 2, v0
	v_add_co_u32_e64 v2, s[6:7], v42, v2
	v_addc_co_u32_e64 v3, s[6:7], 0, v43, s[6:7]
	flat_load_dword v15, v[2:3] offset:1024
.LBB545_9:
	s_or_b64 exec, exec, s[8:9]
	v_or_b32_e32 v2, 0x200, v0
	v_cmp_gt_u32_e64 s[6:7], s40, v2
	v_mov_b32_e32 v16, v13
	s_and_saveexec_b64 s[10:11], s[6:7]
	s_cbranch_execz .LBB545_11
; %bb.10:
	v_lshlrev_b32_e32 v2, 2, v0
	v_add_co_u32_e64 v2, s[8:9], v42, v2
	v_addc_co_u32_e64 v3, s[8:9], 0, v43, s[8:9]
	flat_load_dword v16, v[2:3] offset:2048
.LBB545_11:
	;; [unrolled: 12-line block ×3, first 2 shown]
	s_or_b64 exec, exec, s[12:13]
	v_or_b32_e32 v2, 0x400, v0
	v_cmp_gt_u32_e64 s[10:11], s40, v2
	v_mov_b32_e32 v18, v13
	s_and_saveexec_b64 s[14:15], s[10:11]
	s_cbranch_execz .LBB545_15
; %bb.14:
	v_lshlrev_b32_e32 v3, 2, v2
	v_add_co_u32_e64 v4, s[12:13], v42, v3
	v_addc_co_u32_e64 v5, s[12:13], 0, v43, s[12:13]
	flat_load_dword v18, v[4:5]
.LBB545_15:
	s_or_b64 exec, exec, s[14:15]
	v_or_b32_e32 v3, 0x500, v0
	v_cmp_gt_u32_e64 s[12:13], s40, v3
	v_mov_b32_e32 v19, v13
	s_and_saveexec_b64 s[16:17], s[12:13]
	s_cbranch_execz .LBB545_17
; %bb.16:
	v_lshlrev_b32_e32 v4, 2, v3
	v_add_co_u32_e64 v4, s[14:15], v42, v4
	v_addc_co_u32_e64 v5, s[14:15], 0, v43, s[14:15]
	flat_load_dword v19, v[4:5]
.LBB545_17:
	;; [unrolled: 12-line block ×9, first 2 shown]
	s_or_b64 exec, exec, s[30:31]
	v_or_b32_e32 v11, 0xd00, v0
	v_cmp_gt_u32_e64 s[28:29], s40, v11
	s_and_saveexec_b64 s[36:37], s[28:29]
	s_cbranch_execz .LBB545_33
; %bb.32:
	v_lshlrev_b32_e32 v12, 2, v11
	v_add_co_u32_e64 v12, s[30:31], v42, v12
	v_addc_co_u32_e64 v13, s[30:31], 0, v43, s[30:31]
	flat_load_dword v13, v[12:13]
.LBB545_33:
	s_or_b64 exec, exec, s[36:37]
	v_lshlrev_b32_e32 v12, 2, v0
	s_waitcnt vmcnt(0) lgkmcnt(0)
	ds_write2st64_b32 v12, v14, v15 offset1:4
	ds_write2st64_b32 v12, v16, v17 offset0:8 offset1:12
	ds_write2st64_b32 v12, v18, v19 offset0:16 offset1:20
	;; [unrolled: 1-line block ×6, first 2 shown]
	s_waitcnt lgkmcnt(0)
	s_barrier
	flat_load_dword v49, v[42:43]
	v_mad_u32_u24 v50, v0, 52, v12
	s_movk_i32 s30, 0xffcc
	ds_read2_b64 v[34:37], v50 offset1:1
	ds_read2_b64 v[30:33], v50 offset0:2 offset1:3
	ds_read2_b64 v[26:29], v50 offset0:4 offset1:5
	ds_read_b64 v[44:45], v50 offset:48
	v_mad_i32_i24 v13, v0, s30, v50
	s_movk_i32 s30, 0xff
	v_cmp_ne_u32_e64 s[30:31], s30, v0
	s_waitcnt lgkmcnt(0)
	ds_write_b32 v13, v34 offset:15360
	s_waitcnt lgkmcnt(0)
	s_barrier
	s_and_saveexec_b64 s[36:37], s[30:31]
	s_cbranch_execz .LBB545_35
; %bb.34:
	s_waitcnt vmcnt(0)
	ds_read_b32 v49, v12 offset:15364
.LBB545_35:
	s_or_b64 exec, exec, s[36:37]
	s_waitcnt lgkmcnt(0)
	s_barrier
	s_waitcnt lgkmcnt(0)
                                        ; implicit-def: $vgpr13
	s_and_saveexec_b64 s[30:31], vcc
	s_cbranch_execz .LBB545_121
; %bb.36:
	v_add_co_u32_e32 v14, vcc, v1, v12
	v_addc_co_u32_e32 v15, vcc, 0, v48, vcc
	flat_load_dword v13, v[14:15]
	s_or_b64 exec, exec, s[30:31]
                                        ; implicit-def: $vgpr14
	s_and_saveexec_b64 s[30:31], s[4:5]
	s_cbranch_execnz .LBB545_122
.LBB545_37:
	s_or_b64 exec, exec, s[30:31]
                                        ; implicit-def: $vgpr15
	s_and_saveexec_b64 s[4:5], s[6:7]
	s_cbranch_execz .LBB545_123
.LBB545_38:
	v_add_co_u32_e32 v16, vcc, v1, v12
	v_addc_co_u32_e32 v17, vcc, 0, v48, vcc
	flat_load_dword v15, v[16:17] offset:2048
	s_or_b64 exec, exec, s[4:5]
                                        ; implicit-def: $vgpr16
	s_and_saveexec_b64 s[4:5], s[8:9]
	s_cbranch_execnz .LBB545_124
.LBB545_39:
	s_or_b64 exec, exec, s[4:5]
                                        ; implicit-def: $vgpr17
	s_and_saveexec_b64 s[4:5], s[10:11]
	s_cbranch_execz .LBB545_125
.LBB545_40:
	v_lshlrev_b32_e32 v2, 2, v2
	v_add_co_u32_e32 v18, vcc, v1, v2
	v_addc_co_u32_e32 v19, vcc, 0, v48, vcc
	flat_load_dword v17, v[18:19]
	s_or_b64 exec, exec, s[4:5]
                                        ; implicit-def: $vgpr2
	s_and_saveexec_b64 s[4:5], s[12:13]
	s_cbranch_execnz .LBB545_126
.LBB545_41:
	s_or_b64 exec, exec, s[4:5]
                                        ; implicit-def: $vgpr3
	s_and_saveexec_b64 s[4:5], s[14:15]
	s_cbranch_execz .LBB545_127
.LBB545_42:
	v_lshlrev_b32_e32 v3, 2, v4
	v_add_co_u32_e32 v18, vcc, v1, v3
	v_addc_co_u32_e32 v19, vcc, 0, v48, vcc
	flat_load_dword v3, v[18:19]
	s_or_b64 exec, exec, s[4:5]
                                        ; implicit-def: $vgpr4
	s_and_saveexec_b64 s[4:5], s[16:17]
	s_cbranch_execnz .LBB545_128
.LBB545_43:
	s_or_b64 exec, exec, s[4:5]
                                        ; implicit-def: $vgpr5
	s_and_saveexec_b64 s[4:5], s[18:19]
	s_cbranch_execz .LBB545_129
.LBB545_44:
	v_lshlrev_b32_e32 v5, 2, v6
	v_add_co_u32_e32 v18, vcc, v1, v5
	v_addc_co_u32_e32 v19, vcc, 0, v48, vcc
	flat_load_dword v5, v[18:19]
	s_or_b64 exec, exec, s[4:5]
                                        ; implicit-def: $vgpr6
	s_and_saveexec_b64 s[4:5], s[20:21]
	s_cbranch_execnz .LBB545_130
.LBB545_45:
	s_or_b64 exec, exec, s[4:5]
                                        ; implicit-def: $vgpr7
	s_and_saveexec_b64 s[4:5], s[22:23]
	s_cbranch_execz .LBB545_131
.LBB545_46:
	v_lshlrev_b32_e32 v7, 2, v8
	v_add_co_u32_e32 v18, vcc, v1, v7
	v_addc_co_u32_e32 v19, vcc, 0, v48, vcc
	flat_load_dword v7, v[18:19]
	s_or_b64 exec, exec, s[4:5]
                                        ; implicit-def: $vgpr8
	s_and_saveexec_b64 s[4:5], s[24:25]
	s_cbranch_execnz .LBB545_132
.LBB545_47:
	s_or_b64 exec, exec, s[4:5]
                                        ; implicit-def: $vgpr9
	s_and_saveexec_b64 s[4:5], s[26:27]
	s_cbranch_execz .LBB545_49
.LBB545_48:
	v_lshlrev_b32_e32 v9, 2, v10
	v_add_co_u32_e32 v18, vcc, v1, v9
	v_addc_co_u32_e32 v19, vcc, 0, v48, vcc
	flat_load_dword v9, v[18:19]
.LBB545_49:
	s_or_b64 exec, exec, s[4:5]
	v_mul_u32_u24_e32 v51, 14, v0
                                        ; implicit-def: $vgpr10
	s_and_saveexec_b64 s[4:5], s[28:29]
	s_cbranch_execz .LBB545_51
; %bb.50:
	v_lshlrev_b32_e32 v10, 2, v11
	v_add_co_u32_e32 v10, vcc, v1, v10
	v_addc_co_u32_e32 v11, vcc, 0, v48, vcc
	flat_load_dword v10, v[10:11]
.LBB545_51:
	s_or_b64 exec, exec, s[4:5]
	s_mov_b32 s4, 0
	s_mov_b32 s5, s4
	s_waitcnt vmcnt(0) lgkmcnt(0)
	ds_write2st64_b32 v12, v13, v14 offset1:4
	ds_write2st64_b32 v12, v15, v16 offset0:8 offset1:12
	ds_write2st64_b32 v12, v17, v2 offset0:16 offset1:20
	;; [unrolled: 1-line block ×6, first 2 shown]
	s_mov_b32 s6, s4
	s_mov_b32 s7, s4
	;; [unrolled: 1-line block ×6, first 2 shown]
	v_pk_mov_b32 v[2:3], s[4:5], s[4:5] op_sel:[0,1]
	v_pk_mov_b32 v[8:9], s[10:11], s[10:11] op_sel:[0,1]
	;; [unrolled: 1-line block ×6, first 2 shown]
	v_cmp_gt_u32_e32 vcc, s40, v51
	s_mov_b64 s[12:13], 0
	v_pk_mov_b32 v[40:41], 0, 0
	s_mov_b64 s[18:19], 0
	v_pk_mov_b32 v[14:15], v[6:7], v[6:7] op_sel:[0,1]
	v_pk_mov_b32 v[12:13], v[4:5], v[4:5] op_sel:[0,1]
	;; [unrolled: 1-line block ×6, first 2 shown]
	s_waitcnt lgkmcnt(0)
	s_barrier
	s_waitcnt lgkmcnt(0)
                                        ; implicit-def: $sgpr16_sgpr17
                                        ; implicit-def: $vgpr46
	s_and_saveexec_b64 s[14:15], vcc
	s_cbranch_execz .LBB545_79
; %bb.52:
	ds_read_b32 v2, v50
	v_mov_b32_e32 v4, s54
	v_cmp_eq_u32_e32 vcc, v34, v35
	v_or_b32_e32 v3, 1, v51
                                        ; implicit-def: $vgpr46
	s_waitcnt lgkmcnt(0)
	v_cndmask_b32_e32 v40, v4, v2, vcc
	v_cmp_ne_u32_e32 vcc, v34, v35
	v_cndmask_b32_e64 v41, 0, 1, vcc
	v_cmp_gt_u32_e32 vcc, s40, v3
	v_pk_mov_b32 v[2:3], s[4:5], s[4:5] op_sel:[0,1]
	v_pk_mov_b32 v[8:9], s[10:11], s[10:11] op_sel:[0,1]
	;; [unrolled: 1-line block ×12, first 2 shown]
                                        ; implicit-def: $sgpr4_sgpr5
	s_and_saveexec_b64 s[16:17], vcc
	s_cbranch_execz .LBB545_78
; %bb.53:
	ds_read2_b32 v[46:47], v50 offset0:1 offset1:2
	s_mov_b32 s4, 0
	v_mov_b32_e32 v3, s54
	v_cmp_eq_u32_e32 vcc, v35, v36
	s_mov_b32 s10, s4
	s_mov_b32 s11, s4
	v_add_u32_e32 v2, 2, v51
	s_waitcnt lgkmcnt(0)
	v_cndmask_b32_e32 v8, v3, v46, vcc
	v_cmp_ne_u32_e32 vcc, v35, v36
	s_mov_b32 s5, s4
	s_mov_b32 s6, s4
	s_mov_b32 s7, s4
	s_mov_b32 s8, s4
	s_mov_b32 s9, s4
	v_pk_mov_b32 v[16:17], s[10:11], s[10:11] op_sel:[0,1]
	v_cndmask_b32_e64 v9, 0, 1, vcc
	v_cmp_gt_u32_e32 vcc, s40, v2
	v_mov_b32_e32 v2, 0
	v_pk_mov_b32 v[14:15], s[8:9], s[8:9] op_sel:[0,1]
	v_pk_mov_b32 v[12:13], s[6:7], s[6:7] op_sel:[0,1]
	;; [unrolled: 1-line block ×4, first 2 shown]
	v_mov_b32_e32 v3, v2
	v_mov_b32_e32 v4, v2
	;; [unrolled: 1-line block ×5, first 2 shown]
	s_mov_b64 s[20:21], 0
	v_pk_mov_b32 v[22:23], v[14:15], v[14:15] op_sel:[0,1]
	v_pk_mov_b32 v[20:21], v[12:13], v[12:13] op_sel:[0,1]
	;; [unrolled: 1-line block ×3, first 2 shown]
                                        ; implicit-def: $sgpr24_sgpr25
                                        ; implicit-def: $vgpr46
	s_and_saveexec_b64 s[18:19], vcc
	s_cbranch_execz .LBB545_77
; %bb.54:
	v_mov_b32_e32 v4, s54
	v_cmp_eq_u32_e32 vcc, v36, v37
	v_pk_mov_b32 v[16:17], s[10:11], s[10:11] op_sel:[0,1]
	v_add_u32_e32 v3, 3, v51
	v_cndmask_b32_e32 v6, v4, v47, vcc
	v_cmp_ne_u32_e32 vcc, v36, v37
	v_pk_mov_b32 v[14:15], s[8:9], s[8:9] op_sel:[0,1]
	v_pk_mov_b32 v[12:13], s[6:7], s[6:7] op_sel:[0,1]
	;; [unrolled: 1-line block ×4, first 2 shown]
	v_cndmask_b32_e64 v7, 0, 1, vcc
	v_cmp_gt_u32_e32 vcc, s40, v3
	v_mov_b32_e32 v3, v2
	v_mov_b32_e32 v4, v2
	;; [unrolled: 1-line block ×3, first 2 shown]
	s_mov_b64 s[22:23], 0
	v_pk_mov_b32 v[22:23], v[14:15], v[14:15] op_sel:[0,1]
	v_pk_mov_b32 v[20:21], v[12:13], v[12:13] op_sel:[0,1]
	;; [unrolled: 1-line block ×3, first 2 shown]
                                        ; implicit-def: $sgpr4_sgpr5
                                        ; implicit-def: $vgpr46
	s_and_saveexec_b64 s[20:21], vcc
	s_cbranch_execz .LBB545_76
; %bb.55:
	ds_read2_b32 v[34:35], v50 offset0:3 offset1:4
	s_mov_b32 s4, 0
	s_mov_b32 s10, s4
	;; [unrolled: 1-line block ×3, first 2 shown]
	v_mov_b32_e32 v3, s54
	v_cmp_eq_u32_e32 vcc, v37, v30
	s_mov_b32 s5, s4
	s_mov_b32 s6, s4
	;; [unrolled: 1-line block ×5, first 2 shown]
	v_pk_mov_b32 v[16:17], s[10:11], s[10:11] op_sel:[0,1]
	v_add_u32_e32 v2, 4, v51
	s_waitcnt lgkmcnt(0)
	v_cndmask_b32_e32 v4, v3, v34, vcc
	v_cmp_ne_u32_e32 vcc, v37, v30
	v_pk_mov_b32 v[14:15], s[8:9], s[8:9] op_sel:[0,1]
	v_pk_mov_b32 v[12:13], s[6:7], s[6:7] op_sel:[0,1]
	;; [unrolled: 1-line block ×4, first 2 shown]
	v_cndmask_b32_e64 v5, 0, 1, vcc
	v_cmp_gt_u32_e32 vcc, s40, v2
	v_mov_b32_e32 v2, s4
	v_mov_b32_e32 v3, s4
	s_mov_b64 s[24:25], 0
	v_pk_mov_b32 v[22:23], v[14:15], v[14:15] op_sel:[0,1]
	v_pk_mov_b32 v[20:21], v[12:13], v[12:13] op_sel:[0,1]
	;; [unrolled: 1-line block ×3, first 2 shown]
                                        ; implicit-def: $sgpr26_sgpr27
                                        ; implicit-def: $vgpr46
	s_and_saveexec_b64 s[22:23], vcc
	s_cbranch_execz .LBB545_75
; %bb.56:
	v_mov_b32_e32 v2, s54
	v_cmp_eq_u32_e32 vcc, v30, v31
	v_add_u32_e32 v10, 5, v51
	v_cndmask_b32_e32 v2, v2, v35, vcc
	v_cmp_ne_u32_e32 vcc, v30, v31
	v_cndmask_b32_e64 v3, 0, 1, vcc
	v_cmp_gt_u32_e32 vcc, s40, v10
	v_pk_mov_b32 v[16:17], s[10:11], s[10:11] op_sel:[0,1]
	v_pk_mov_b32 v[14:15], s[8:9], s[8:9] op_sel:[0,1]
	;; [unrolled: 1-line block ×5, first 2 shown]
	s_mov_b64 s[28:29], 0
	v_pk_mov_b32 v[22:23], v[14:15], v[14:15] op_sel:[0,1]
	v_pk_mov_b32 v[20:21], v[12:13], v[12:13] op_sel:[0,1]
	;; [unrolled: 1-line block ×3, first 2 shown]
                                        ; implicit-def: $sgpr4_sgpr5
                                        ; implicit-def: $vgpr46
	s_and_saveexec_b64 s[24:25], vcc
	s_cbranch_execz .LBB545_74
; %bb.57:
	ds_read2_b32 v[34:35], v50 offset0:5 offset1:6
	v_mov_b32_e32 v11, s54
	v_cmp_eq_u32_e32 vcc, v31, v32
	s_mov_b32 s4, 0
	v_add_u32_e32 v10, 6, v51
	s_waitcnt lgkmcnt(0)
	v_cndmask_b32_e32 v16, v11, v34, vcc
	v_cmp_ne_u32_e32 vcc, v31, v32
	s_mov_b32 s10, s4
	s_mov_b32 s11, s4
	v_cndmask_b32_e64 v17, 0, 1, vcc
	v_cmp_gt_u32_e32 vcc, s40, v10
	v_mov_b32_e32 v10, 0
	s_mov_b32 s5, s4
	s_mov_b32 s6, s4
	s_mov_b32 s7, s4
	s_mov_b32 s8, s4
	s_mov_b32 s9, s4
	v_pk_mov_b32 v[24:25], s[10:11], s[10:11] op_sel:[0,1]
	v_mov_b32_e32 v11, v10
	v_mov_b32_e32 v12, v10
	;; [unrolled: 1-line block ×5, first 2 shown]
	v_pk_mov_b32 v[22:23], s[8:9], s[8:9] op_sel:[0,1]
	v_pk_mov_b32 v[20:21], s[6:7], s[6:7] op_sel:[0,1]
	;; [unrolled: 1-line block ×3, first 2 shown]
                                        ; implicit-def: $sgpr36_sgpr37
                                        ; implicit-def: $vgpr46
	s_and_saveexec_b64 s[26:27], vcc
	s_cbranch_execz .LBB545_73
; %bb.58:
	v_mov_b32_e32 v12, s54
	v_cmp_eq_u32_e32 vcc, v32, v33
	v_add_u32_e32 v11, 7, v51
	v_cndmask_b32_e32 v14, v12, v35, vcc
	v_cmp_ne_u32_e32 vcc, v32, v33
	v_pk_mov_b32 v[24:25], s[10:11], s[10:11] op_sel:[0,1]
	v_cndmask_b32_e64 v15, 0, 1, vcc
	v_cmp_gt_u32_e32 vcc, s40, v11
	v_mov_b32_e32 v11, v10
	v_mov_b32_e32 v12, v10
	;; [unrolled: 1-line block ×3, first 2 shown]
	s_mov_b64 s[30:31], 0
	v_pk_mov_b32 v[22:23], s[8:9], s[8:9] op_sel:[0,1]
	v_pk_mov_b32 v[20:21], s[6:7], s[6:7] op_sel:[0,1]
	;; [unrolled: 1-line block ×3, first 2 shown]
                                        ; implicit-def: $sgpr4_sgpr5
                                        ; implicit-def: $vgpr46
	s_and_saveexec_b64 s[28:29], vcc
	s_cbranch_execz .LBB545_72
; %bb.59:
	ds_read2_b32 v[30:31], v50 offset0:7 offset1:8
	s_mov_b32 s4, 0
	v_mov_b32_e32 v11, s54
	v_cmp_eq_u32_e32 vcc, v33, v26
	s_mov_b32 s10, s4
	s_mov_b32 s11, s4
	v_add_u32_e32 v10, 8, v51
	s_waitcnt lgkmcnt(0)
	v_cndmask_b32_e32 v12, v11, v30, vcc
	v_cmp_ne_u32_e32 vcc, v33, v26
	s_mov_b32 s5, s4
	s_mov_b32 s6, s4
	;; [unrolled: 1-line block ×5, first 2 shown]
	v_pk_mov_b32 v[24:25], s[10:11], s[10:11] op_sel:[0,1]
	v_cndmask_b32_e64 v13, 0, 1, vcc
	v_cmp_gt_u32_e32 vcc, s40, v10
	v_mov_b32_e32 v10, s4
	v_mov_b32_e32 v11, s4
	s_mov_b64 s[36:37], 0
	v_pk_mov_b32 v[22:23], s[8:9], s[8:9] op_sel:[0,1]
	v_pk_mov_b32 v[20:21], s[6:7], s[6:7] op_sel:[0,1]
	;; [unrolled: 1-line block ×3, first 2 shown]
                                        ; implicit-def: $sgpr38_sgpr39
                                        ; implicit-def: $vgpr46
	s_and_saveexec_b64 s[30:31], vcc
	s_cbranch_execz .LBB545_71
; %bb.60:
	v_mov_b32_e32 v10, s54
	v_cmp_eq_u32_e32 vcc, v26, v27
	v_add_u32_e32 v18, 9, v51
	v_cndmask_b32_e32 v10, v10, v31, vcc
	v_cmp_ne_u32_e32 vcc, v26, v27
	v_cndmask_b32_e64 v11, 0, 1, vcc
	v_cmp_gt_u32_e32 vcc, s40, v18
	v_pk_mov_b32 v[24:25], s[10:11], s[10:11] op_sel:[0,1]
	v_pk_mov_b32 v[22:23], s[8:9], s[8:9] op_sel:[0,1]
	;; [unrolled: 1-line block ×4, first 2 shown]
                                        ; implicit-def: $sgpr6_sgpr7
                                        ; implicit-def: $vgpr46
	s_and_saveexec_b64 s[4:5], vcc
	s_cbranch_execz .LBB545_70
; %bb.61:
	ds_read2_b32 v[30:31], v50 offset0:9 offset1:10
	v_mov_b32_e32 v18, s54
	v_cmp_eq_u32_e32 vcc, v27, v28
	v_add_u32_e32 v20, 10, v51
	v_mov_b32_e32 v22, 0
	s_waitcnt lgkmcnt(0)
	v_cndmask_b32_e32 v18, v18, v30, vcc
	v_cmp_ne_u32_e32 vcc, v27, v28
	v_cndmask_b32_e64 v19, 0, 1, vcc
	v_cmp_gt_u32_e32 vcc, s40, v20
	v_mov_b32_e32 v20, v22
	v_mov_b32_e32 v21, v22
	;; [unrolled: 1-line block ×5, first 2 shown]
	s_mov_b64 s[8:9], 0
                                        ; implicit-def: $sgpr36_sgpr37
                                        ; implicit-def: $vgpr46
	s_and_saveexec_b64 s[6:7], vcc
	s_cbranch_execz .LBB545_69
; %bb.62:
	v_mov_b32_e32 v20, s54
	v_cmp_eq_u32_e32 vcc, v28, v29
	v_add_u32_e32 v23, 11, v51
	v_cndmask_b32_e32 v20, v20, v31, vcc
	v_cmp_ne_u32_e32 vcc, v28, v29
	v_cndmask_b32_e64 v21, 0, 1, vcc
	v_cmp_gt_u32_e32 vcc, s40, v23
	s_mov_b32 s36, 0
	v_mov_b32_e32 v23, v22
	v_mov_b32_e32 v24, v22
	v_mov_b32_e32 v25, v22
	s_mov_b64 s[10:11], 0
                                        ; implicit-def: $sgpr38_sgpr39
                                        ; implicit-def: $vgpr46
	s_and_saveexec_b64 s[8:9], vcc
	s_cbranch_execz .LBB545_68
; %bb.63:
	ds_read2_b32 v[26:27], v50 offset0:11 offset1:12
	v_mov_b32_e32 v22, s54
	v_cmp_eq_u32_e32 vcc, v29, v44
	v_add_u32_e32 v24, 12, v51
	v_mov_b32_e32 v25, s36
	s_waitcnt lgkmcnt(0)
	v_cndmask_b32_e32 v22, v22, v26, vcc
	v_cmp_ne_u32_e32 vcc, v29, v44
	v_cndmask_b32_e64 v23, 0, 1, vcc
	v_cmp_gt_u32_e32 vcc, s40, v24
	v_mov_b32_e32 v24, s36
	s_mov_b64 s[36:37], 0
                                        ; implicit-def: $sgpr38_sgpr39
                                        ; implicit-def: $vgpr46
	s_and_saveexec_b64 s[10:11], vcc
	s_cbranch_execz .LBB545_67
; %bb.64:
	v_mov_b32_e32 v24, s54
	v_cmp_eq_u32_e32 vcc, v44, v45
	v_add_u32_e32 v26, 13, v51
	v_cndmask_b32_e32 v24, v24, v27, vcc
	v_cmp_ne_u32_e32 vcc, v44, v45
	v_cndmask_b32_e64 v25, 0, 1, vcc
	v_cmp_gt_u32_e32 vcc, s40, v26
                                        ; implicit-def: $sgpr38_sgpr39
                                        ; implicit-def: $vgpr46
	s_and_saveexec_b64 s[40:41], vcc
	s_xor_b64 s[40:41], exec, s[40:41]
	s_cbranch_execz .LBB545_66
; %bb.65:
	ds_read_b32 v26, v50 offset:52
	v_mov_b32_e32 v27, s54
	v_cmp_ne_u32_e32 vcc, v45, v49
	s_mov_b64 s[36:37], exec
	s_and_b64 s[38:39], vcc, exec
	s_waitcnt lgkmcnt(0)
	v_cndmask_b32_e32 v46, v26, v27, vcc
.LBB545_66:
	s_or_b64 exec, exec, s[40:41]
	s_and_b64 s[38:39], s[38:39], exec
	s_and_b64 s[36:37], s[36:37], exec
.LBB545_67:
	s_or_b64 exec, exec, s[10:11]
	s_and_b64 s[38:39], s[38:39], exec
	s_and_b64 s[10:11], s[36:37], exec
.LBB545_68:
	s_or_b64 exec, exec, s[8:9]
	s_and_b64 s[36:37], s[38:39], exec
	s_and_b64 s[8:9], s[10:11], exec
.LBB545_69:
	s_or_b64 exec, exec, s[6:7]
	s_and_b64 s[6:7], s[36:37], exec
	s_and_b64 s[36:37], s[8:9], exec
.LBB545_70:
	s_or_b64 exec, exec, s[4:5]
	s_and_b64 s[38:39], s[6:7], exec
	s_and_b64 s[36:37], s[36:37], exec
.LBB545_71:
	s_or_b64 exec, exec, s[30:31]
	s_and_b64 s[4:5], s[38:39], exec
	s_and_b64 s[30:31], s[36:37], exec
.LBB545_72:
	s_or_b64 exec, exec, s[28:29]
	s_and_b64 s[36:37], s[4:5], exec
	s_and_b64 s[28:29], s[30:31], exec
.LBB545_73:
	s_or_b64 exec, exec, s[26:27]
	s_and_b64 s[4:5], s[36:37], exec
	s_and_b64 s[28:29], s[28:29], exec
.LBB545_74:
	s_or_b64 exec, exec, s[24:25]
	s_and_b64 s[26:27], s[4:5], exec
	s_and_b64 s[24:25], s[28:29], exec
.LBB545_75:
	s_or_b64 exec, exec, s[22:23]
	s_and_b64 s[4:5], s[26:27], exec
	s_and_b64 s[22:23], s[24:25], exec
.LBB545_76:
	s_or_b64 exec, exec, s[20:21]
	s_and_b64 s[24:25], s[4:5], exec
	s_and_b64 s[20:21], s[22:23], exec
.LBB545_77:
	s_or_b64 exec, exec, s[18:19]
	s_and_b64 s[4:5], s[24:25], exec
	s_and_b64 s[18:19], s[20:21], exec
.LBB545_78:
	s_or_b64 exec, exec, s[16:17]
	s_and_b64 s[16:17], s[4:5], exec
	s_and_b64 s[18:19], s[18:19], exec
.LBB545_79:
	s_or_b64 exec, exec, s[14:15]
	s_and_b64 vcc, exec, s[12:13]
	v_lshlrev_b32_e32 v52, 2, v0
	s_cbranch_vccnz .LBB545_81
	s_branch .LBB545_86
.LBB545_80:
	s_mov_b64 s[18:19], 0
                                        ; implicit-def: $sgpr16_sgpr17
                                        ; implicit-def: $vgpr2_vgpr3_vgpr4_vgpr5_vgpr6_vgpr7_vgpr8_vgpr9
                                        ; implicit-def: $vgpr10_vgpr11_vgpr12_vgpr13_vgpr14_vgpr15_vgpr16_vgpr17
                                        ; implicit-def: $vgpr18_vgpr19_vgpr20_vgpr21_vgpr22_vgpr23_vgpr24_vgpr25
                                        ; implicit-def: $vgpr46
                                        ; implicit-def: $vgpr40_vgpr41
	s_and_b64 vcc, exec, s[12:13]
	v_lshlrev_b32_e32 v52, 2, v0
	s_cbranch_vccz .LBB545_86
.LBB545_81:
	v_add_co_u32_e32 v2, vcc, v42, v52
	v_addc_co_u32_e32 v3, vcc, 0, v43, vcc
	v_add_co_u32_e32 v4, vcc, 0x1000, v2
	v_addc_co_u32_e32 v5, vcc, 0, v3, vcc
	flat_load_dword v6, v[2:3]
	flat_load_dword v7, v[2:3] offset:1024
	flat_load_dword v8, v[2:3] offset:2048
	flat_load_dword v9, v[2:3] offset:3072
	flat_load_dword v10, v[4:5]
	flat_load_dword v11, v[4:5] offset:1024
	flat_load_dword v12, v[4:5] offset:2048
	;; [unrolled: 1-line block ×3, first 2 shown]
	v_add_co_u32_e32 v4, vcc, 0x2000, v2
	v_addc_co_u32_e32 v5, vcc, 0, v3, vcc
	v_add_co_u32_e32 v2, vcc, 0x3000, v2
	v_addc_co_u32_e32 v3, vcc, 0, v3, vcc
	flat_load_dword v14, v[4:5]
	flat_load_dword v15, v[4:5] offset:1024
	flat_load_dword v16, v[4:5] offset:2048
	;; [unrolled: 1-line block ×3, first 2 shown]
	flat_load_dword v18, v[2:3]
	flat_load_dword v19, v[2:3] offset:1024
	v_add_co_u32_e32 v2, vcc, 0x3000, v42
	v_addc_co_u32_e32 v3, vcc, 0, v43, vcc
	s_movk_i32 s6, 0xffcc
	s_movk_i32 s9, 0x1000
	s_mov_b32 s4, 0
	s_movk_i32 s8, 0x2000
	s_movk_i32 s5, 0x3000
	s_waitcnt vmcnt(0) lgkmcnt(0)
	ds_write2st64_b32 v52, v6, v7 offset1:4
	ds_write2st64_b32 v52, v8, v9 offset0:8 offset1:12
	ds_write2st64_b32 v52, v10, v11 offset0:16 offset1:20
	;; [unrolled: 1-line block ×6, first 2 shown]
	s_waitcnt lgkmcnt(0)
	s_barrier
	flat_load_dword v34, v[2:3] offset:2048
	v_mad_u32_u24 v6, v0, 52, v52
	v_mad_i32_i24 v2, v0, s6, v6
	s_movk_i32 s6, 0xff
	v_cmp_ne_u32_e32 vcc, s6, v0
	ds_read2_b32 v[26:27], v6 offset1:13
	ds_read2_b32 v[18:19], v6 offset0:7 offset1:8
	ds_read2_b32 v[20:21], v6 offset0:5 offset1:6
	;; [unrolled: 1-line block ×6, first 2 shown]
	s_waitcnt lgkmcnt(0)
	ds_write_b32 v2, v26 offset:15360
	s_waitcnt lgkmcnt(0)
	s_barrier
	s_and_saveexec_b64 s[6:7], vcc
	s_cbranch_execz .LBB545_83
; %bb.82:
	s_waitcnt vmcnt(0)
	ds_read_b32 v34, v52 offset:15364
.LBB545_83:
	s_or_b64 exec, exec, s[6:7]
	v_add_co_u32_e32 v2, vcc, v1, v52
	v_addc_co_u32_e32 v3, vcc, 0, v48, vcc
	v_add_co_u32_e32 v4, vcc, s9, v2
	v_addc_co_u32_e32 v5, vcc, 0, v3, vcc
	s_waitcnt lgkmcnt(0)
	s_barrier
	flat_load_dword v1, v[2:3]
	flat_load_dword v7, v[2:3] offset:1024
	flat_load_dword v8, v[2:3] offset:2048
	;; [unrolled: 1-line block ×3, first 2 shown]
	flat_load_dword v14, v[4:5]
	flat_load_dword v15, v[4:5] offset:1024
	flat_load_dword v16, v[4:5] offset:2048
	;; [unrolled: 1-line block ×3, first 2 shown]
	v_add_co_u32_e32 v4, vcc, s8, v2
	v_addc_co_u32_e32 v5, vcc, 0, v3, vcc
	v_add_co_u32_e32 v2, vcc, s5, v2
	v_addc_co_u32_e32 v3, vcc, 0, v3, vcc
	flat_load_dword v22, v[4:5]
	flat_load_dword v23, v[4:5] offset:1024
	flat_load_dword v24, v[4:5] offset:2048
	;; [unrolled: 1-line block ×3, first 2 shown]
	flat_load_dword v32, v[2:3]
	flat_load_dword v33, v[2:3] offset:1024
	s_mov_b32 s5, 1
	v_cmp_eq_u32_e32 vcc, v26, v12
	v_pk_mov_b32 v[40:41], s[4:5], s[4:5] op_sel:[0,1]
	s_waitcnt vmcnt(0) lgkmcnt(0)
	ds_write2st64_b32 v52, v1, v7 offset1:4
	ds_write2st64_b32 v52, v8, v9 offset0:8 offset1:12
	ds_write2st64_b32 v52, v14, v15 offset0:16 offset1:20
	;; [unrolled: 1-line block ×6, first 2 shown]
	s_waitcnt lgkmcnt(0)
	s_barrier
	ds_read2_b32 v[24:25], v6 offset0:7 offset1:8
	ds_read2_b32 v[14:15], v6 offset0:5 offset1:6
	;; [unrolled: 1-line block ×4, first 2 shown]
	ds_read_b32 v1, v6 offset:52
	ds_read2_b32 v[22:23], v6 offset0:11 offset1:12
	ds_read2_b32 v[32:33], v6 offset0:9 offset1:10
	v_mov_b32_e32 v7, s54
	s_and_saveexec_b64 s[4:5], vcc
	s_cbranch_execz .LBB545_85
; %bb.84:
	ds_read_b32 v7, v6
	v_pk_mov_b32 v[40:41], 0, 0
.LBB545_85:
	s_or_b64 exec, exec, s[4:5]
	v_mov_b32_e32 v26, s54
	v_cmp_eq_u32_e32 vcc, v12, v13
	s_waitcnt lgkmcnt(3)
	v_cndmask_b32_e32 v8, v26, v4, vcc
	v_cmp_eq_u32_e32 vcc, v13, v10
	v_cndmask_b32_e32 v6, v26, v5, vcc
	v_cmp_eq_u32_e32 vcc, v10, v11
	;; [unrolled: 2-line block ×3, first 2 shown]
	v_cndmask_b32_e32 v2, v26, v3, vcc
	v_cmp_ne_u32_e32 vcc, v12, v13
	v_cndmask_b32_e64 v9, 0, 1, vcc
	v_cmp_ne_u32_e32 vcc, v13, v10
	s_waitcnt lgkmcnt(0)
	v_or_b32_e32 v40, v40, v7
	v_cndmask_b32_e64 v7, 0, 1, vcc
	v_cmp_ne_u32_e32 vcc, v10, v11
	v_cndmask_b32_e64 v5, 0, 1, vcc
	v_cmp_ne_u32_e32 vcc, v11, v20
	v_cndmask_b32_e64 v3, 0, 1, vcc
	v_cmp_eq_u32_e32 vcc, v20, v21
	v_cndmask_b32_e32 v16, v26, v14, vcc
	v_cmp_eq_u32_e32 vcc, v21, v18
	v_cndmask_b32_e32 v14, v26, v15, vcc
	;; [unrolled: 2-line block ×4, first 2 shown]
	v_cmp_ne_u32_e32 vcc, v20, v21
	v_cndmask_b32_e64 v17, 0, 1, vcc
	v_cmp_ne_u32_e32 vcc, v21, v18
	v_cndmask_b32_e64 v15, 0, 1, vcc
	;; [unrolled: 2-line block ×4, first 2 shown]
	v_cmp_eq_u32_e32 vcc, v31, v27
	v_cndmask_b32_e32 v24, v26, v23, vcc
	v_cmp_eq_u32_e32 vcc, v30, v31
	v_cndmask_b32_e32 v22, v26, v22, vcc
	;; [unrolled: 2-line block ×4, first 2 shown]
	v_cmp_ne_u32_e32 vcc, v31, v27
	v_cndmask_b32_e64 v25, 0, 1, vcc
	v_cmp_ne_u32_e32 vcc, v30, v31
	v_cndmask_b32_e64 v23, 0, 1, vcc
	;; [unrolled: 2-line block ×3, first 2 shown]
	v_cmp_ne_u32_e32 vcc, v28, v29
	v_cmp_ne_u32_e64 s[16:17], v27, v34
	v_cndmask_b32_e64 v19, 0, 1, vcc
	v_cndmask_b32_e64 v46, v1, v26, s[16:17]
	s_mov_b64 s[18:19], -1
                                        ; implicit-def: $sgpr12_sgpr13
.LBB545_86:
	v_pk_mov_b32 v[42:43], s[12:13], s[12:13] op_sel:[0,1]
	s_and_saveexec_b64 s[4:5], s[18:19]
; %bb.87:
	v_cndmask_b32_e64 v47, 0, 1, s[16:17]
	v_pk_mov_b32 v[42:43], v[46:47], v[46:47] op_sel:[0,1]
; %bb.88:
	s_or_b64 exec, exec, s[4:5]
	s_mov_b32 s28, 0
	s_cmp_lg_u32 s47, 0
	v_mbcnt_lo_u32_b32 v54, -1, 0
	v_lshrrev_b32_e32 v1, 6, v0
	v_or_b32_e32 v53, 63, v0
	s_barrier
	s_cbranch_scc0 .LBB545_133
; %bb.89:
	s_mov_b32 s29, 1
	v_cmp_gt_u64_e64 s[4:5], s[28:29], v[8:9]
	v_cndmask_b32_e64 v27, 0, v40, s[4:5]
	v_add_u32_e32 v27, v27, v8
	v_cmp_gt_u64_e64 s[6:7], s[28:29], v[6:7]
	v_cndmask_b32_e64 v27, 0, v27, s[6:7]
	v_add_u32_e32 v27, v27, v6
	;; [unrolled: 3-line block ×12, first 2 shown]
	v_cmp_gt_u64_e32 vcc, s[28:29], v[42:43]
	v_cndmask_b32_e32 v27, 0, v27, vcc
	v_add_u32_e32 v28, v27, v42
	v_or3_b32 v27, v43, v25, v23
	v_or3_b32 v27, v27, v21, v19
	;; [unrolled: 1-line block ×6, first 2 shown]
	v_mov_b32_e32 v26, 0
	v_and_b32_e32 v27, 1, v27
	v_cmp_eq_u64_e32 vcc, 0, v[26:27]
	v_cndmask_b32_e32 v27, 1, v41, vcc
	v_and_b32_e32 v29, 0xff, v27
	v_mov_b32_dpp v31, v28 row_shr:1 row_mask:0xf bank_mask:0xf
	v_cmp_eq_u16_e32 vcc, 0, v29
	v_mov_b32_dpp v32, v29 row_shr:1 row_mask:0xf bank_mask:0xf
	v_and_b32_e32 v33, 1, v27
	v_mbcnt_hi_u32_b32 v48, -1, v54
	v_cndmask_b32_e32 v31, 0, v31, vcc
	v_and_b32_e32 v32, 1, v32
	v_cmp_eq_u32_e32 vcc, 1, v33
	v_and_b32_e32 v30, 15, v48
	v_cndmask_b32_e64 v32, v32, 1, vcc
	v_and_b32_e32 v33, 0xffff, v32
	v_cmp_eq_u32_e32 vcc, 0, v30
	v_cndmask_b32_e32 v27, v32, v27, vcc
	v_cndmask_b32_e32 v29, v33, v29, vcc
	v_and_b32_e32 v33, 1, v27
	v_cndmask_b32_e64 v31, v31, 0, vcc
	v_mov_b32_dpp v32, v29 row_shr:2 row_mask:0xf bank_mask:0xf
	v_and_b32_e32 v32, 1, v32
	v_cmp_eq_u32_e32 vcc, 1, v33
	v_cndmask_b32_e64 v32, v32, 1, vcc
	v_and_b32_e32 v33, 0xffff, v32
	v_cmp_lt_u32_e32 vcc, 1, v30
	v_add_u32_e32 v28, v31, v28
	v_cmp_eq_u16_sdwa s[28:29], v27, v26 src0_sel:BYTE_0 src1_sel:DWORD
	v_cndmask_b32_e32 v27, v27, v32, vcc
	v_cndmask_b32_e32 v29, v29, v33, vcc
	v_mov_b32_dpp v31, v28 row_shr:2 row_mask:0xf bank_mask:0xf
	s_and_b64 vcc, vcc, s[28:29]
	v_mov_b32_dpp v32, v29 row_shr:4 row_mask:0xf bank_mask:0xf
	v_and_b32_e32 v33, 1, v27
	v_cndmask_b32_e32 v31, 0, v31, vcc
	v_and_b32_e32 v32, 1, v32
	v_cmp_eq_u32_e32 vcc, 1, v33
	v_cndmask_b32_e64 v32, v32, 1, vcc
	v_and_b32_e32 v33, 0xffff, v32
	v_cmp_lt_u32_e32 vcc, 3, v30
	v_add_u32_e32 v28, v31, v28
	v_cmp_eq_u16_sdwa s[28:29], v27, v26 src0_sel:BYTE_0 src1_sel:DWORD
	v_cndmask_b32_e32 v27, v27, v32, vcc
	v_cndmask_b32_e32 v29, v29, v33, vcc
	v_mov_b32_dpp v31, v28 row_shr:4 row_mask:0xf bank_mask:0xf
	s_and_b64 vcc, vcc, s[28:29]
	v_mov_b32_dpp v32, v29 row_shr:8 row_mask:0xf bank_mask:0xf
	v_and_b32_e32 v33, 1, v27
	v_cndmask_b32_e32 v31, 0, v31, vcc
	v_and_b32_e32 v32, 1, v32
	v_cmp_eq_u32_e32 vcc, 1, v33
	v_cndmask_b32_e64 v32, v32, 1, vcc
	v_add_u32_e32 v28, v31, v28
	v_cmp_eq_u16_sdwa s[28:29], v27, v26 src0_sel:BYTE_0 src1_sel:DWORD
	v_and_b32_e32 v33, 0xffff, v32
	v_cmp_lt_u32_e32 vcc, 7, v30
	v_mov_b32_dpp v31, v28 row_shr:8 row_mask:0xf bank_mask:0xf
	v_cndmask_b32_e32 v27, v27, v32, vcc
	v_cndmask_b32_e32 v29, v29, v33, vcc
	s_and_b64 vcc, vcc, s[28:29]
	v_cndmask_b32_e32 v30, 0, v31, vcc
	v_add_u32_e32 v28, v30, v28
	v_mov_b32_dpp v31, v29 row_bcast:15 row_mask:0xf bank_mask:0xf
	v_cmp_eq_u16_sdwa vcc, v27, v26 src0_sel:BYTE_0 src1_sel:DWORD
	v_mov_b32_dpp v30, v28 row_bcast:15 row_mask:0xf bank_mask:0xf
	v_and_b32_e32 v34, 1, v27
	v_cndmask_b32_e32 v30, 0, v30, vcc
	v_and_b32_e32 v31, 1, v31
	v_cmp_eq_u32_e32 vcc, 1, v34
	v_and_b32_e32 v33, 16, v48
	v_cndmask_b32_e64 v31, v31, 1, vcc
	v_and_b32_e32 v34, 0xffff, v31
	v_cmp_eq_u32_e32 vcc, 0, v33
	v_cndmask_b32_e32 v27, v31, v27, vcc
	v_cndmask_b32_e32 v29, v34, v29, vcc
	v_bfe_i32 v32, v48, 4, 1
	v_cmp_eq_u16_sdwa s[28:29], v27, v26 src0_sel:BYTE_0 src1_sel:DWORD
	v_mov_b32_dpp v29, v29 row_bcast:31 row_mask:0xf bank_mask:0xf
	v_and_b32_e32 v26, 1, v27
	v_and_b32_e32 v30, v32, v30
	;; [unrolled: 1-line block ×3, first 2 shown]
	v_cmp_eq_u32_e32 vcc, 1, v26
	v_add_u32_e32 v28, v30, v28
	v_cndmask_b32_e64 v26, v29, 1, vcc
	v_cmp_lt_u32_e32 vcc, 31, v48
	v_mov_b32_dpp v30, v28 row_bcast:31 row_mask:0xf bank_mask:0xf
	v_cndmask_b32_e32 v29, v27, v26, vcc
	s_and_b64 vcc, vcc, s[28:29]
	v_cndmask_b32_e32 v26, 0, v30, vcc
	v_add_u32_e32 v28, v26, v28
	v_cmp_eq_u32_e32 vcc, v53, v0
	s_and_saveexec_b64 s[28:29], vcc
	s_cbranch_execz .LBB545_91
; %bb.90:
	v_lshlrev_b32_e32 v26, 3, v1
	ds_write_b32 v26, v28
	ds_write_b8 v26, v29 offset:4
.LBB545_91:
	s_or_b64 exec, exec, s[28:29]
	v_cmp_gt_u32_e32 vcc, 4, v0
	s_waitcnt lgkmcnt(0)
	s_barrier
	s_and_saveexec_b64 s[28:29], vcc
	s_cbranch_execz .LBB545_95
; %bb.92:
	v_lshlrev_b32_e32 v30, 3, v0
	ds_read_b64 v[26:27], v30
	v_and_b32_e32 v31, 3, v48
	v_cmp_ne_u32_e32 vcc, 0, v31
	s_waitcnt lgkmcnt(0)
	v_mov_b32_dpp v32, v26 row_shr:1 row_mask:0xf bank_mask:0xf
	v_mov_b32_dpp v34, v27 row_shr:1 row_mask:0xf bank_mask:0xf
	v_mov_b32_e32 v33, v27
	s_and_saveexec_b64 s[30:31], vcc
	s_cbranch_execz .LBB545_94
; %bb.93:
	v_and_b32_e32 v33, 1, v27
	v_and_b32_e32 v34, 1, v34
	v_cmp_eq_u32_e32 vcc, 1, v33
	v_mov_b32_e32 v33, 0
	v_cndmask_b32_e64 v34, v34, 1, vcc
	v_cmp_eq_u16_sdwa vcc, v27, v33 src0_sel:BYTE_0 src1_sel:DWORD
	v_cndmask_b32_e32 v32, 0, v32, vcc
	v_add_u32_e32 v26, v32, v26
	v_and_b32_e32 v32, 0xffff, v34
	s_movk_i32 s36, 0xff00
	v_and_or_b32 v33, v27, s36, v32
	v_mov_b32_e32 v27, v34
.LBB545_94:
	s_or_b64 exec, exec, s[30:31]
	v_mov_b32_dpp v33, v33 row_shr:2 row_mask:0xf bank_mask:0xf
	v_and_b32_e32 v34, 1, v27
	v_and_b32_e32 v33, 1, v33
	v_cmp_eq_u32_e32 vcc, 1, v34
	v_mov_b32_e32 v34, 0
	v_cndmask_b32_e64 v33, v33, 1, vcc
	v_cmp_eq_u16_sdwa s[30:31], v27, v34 src0_sel:BYTE_0 src1_sel:DWORD
	v_cmp_lt_u32_e32 vcc, 1, v31
	v_mov_b32_dpp v32, v26 row_shr:2 row_mask:0xf bank_mask:0xf
	v_cndmask_b32_e32 v27, v27, v33, vcc
	s_and_b64 vcc, vcc, s[30:31]
	v_cndmask_b32_e32 v31, 0, v32, vcc
	v_add_u32_e32 v26, v31, v26
	ds_write_b32 v30, v26
	ds_write_b8 v30, v27 offset:4
.LBB545_95:
	s_or_b64 exec, exec, s[28:29]
	v_cmp_gt_u32_e32 vcc, 64, v0
	v_cmp_lt_u32_e64 s[28:29], 63, v0
	v_mov_b32_e32 v44, 0
	v_mov_b32_e32 v45, 0
	s_waitcnt lgkmcnt(0)
	s_barrier
	s_and_saveexec_b64 s[30:31], s[28:29]
	s_cbranch_execz .LBB545_97
; %bb.96:
	v_lshl_add_u32 v26, v1, 3, -8
	ds_read_b32 v44, v26
	ds_read_u8 v45, v26 offset:4
	v_mov_b32_e32 v27, 0
	v_and_b32_e32 v30, 1, v29
	v_cmp_eq_u16_sdwa s[28:29], v29, v27 src0_sel:BYTE_0 src1_sel:DWORD
	s_waitcnt lgkmcnt(1)
	v_cndmask_b32_e64 v26, 0, v44, s[28:29]
	v_cmp_eq_u32_e64 s[28:29], 1, v30
	v_add_u32_e32 v28, v26, v28
	s_waitcnt lgkmcnt(0)
	v_cndmask_b32_e64 v29, v45, 1, s[28:29]
.LBB545_97:
	s_or_b64 exec, exec, s[30:31]
	v_and_b32_e32 v26, 0xff, v29
	v_add_u32_e32 v27, -1, v48
	v_and_b32_e32 v29, 64, v48
	v_cmp_lt_i32_e64 s[28:29], v27, v29
	v_cndmask_b32_e64 v27, v27, v48, s[28:29]
	v_lshlrev_b32_e32 v27, 2, v27
	ds_bpermute_b32 v46, v27, v28
	ds_bpermute_b32 v47, v27, v26
	v_cmp_eq_u32_e64 s[28:29], 0, v48
	s_and_saveexec_b64 s[36:37], vcc
	s_cbranch_execz .LBB545_120
; %bb.98:
	v_mov_b32_e32 v29, 0
	ds_read_b64 v[26:27], v29 offset:24
	s_waitcnt lgkmcnt(0)
	v_readfirstlane_b32 s48, v27
	s_and_saveexec_b64 s[30:31], s[28:29]
	s_cbranch_execz .LBB545_100
; %bb.99:
	s_add_i32 s38, s47, 64
	s_mov_b32 s39, 0
	s_lshl_b64 s[40:41], s[38:39], 4
	s_add_u32 s40, s44, s40
	s_addc_u32 s41, s45, s41
	s_and_b32 s57, s48, 0xff000000
	s_mov_b32 s56, s39
	s_and_b32 s59, s48, 0xff0000
	s_mov_b32 s58, s39
	s_or_b64 s[56:57], s[58:59], s[56:57]
	s_and_b32 s59, s48, 0xff00
	s_or_b64 s[56:57], s[56:57], s[58:59]
	s_and_b32 s59, s48, 0xff
	s_or_b64 s[38:39], s[56:57], s[58:59]
	v_mov_b32_e32 v27, s39
	v_mov_b32_e32 v28, 1
	v_pk_mov_b32 v[30:31], s[40:41], s[40:41] op_sel:[0,1]
	;;#ASMSTART
	global_store_dwordx4 v[30:31], v[26:29] off	
s_waitcnt vmcnt(0)
	;;#ASMEND
.LBB545_100:
	s_or_b64 exec, exec, s[30:31]
	v_xad_u32 v34, v48, -1, s47
	v_add_u32_e32 v28, 64, v34
	v_lshlrev_b64 v[30:31], 4, v[28:29]
	v_mov_b32_e32 v27, s45
	v_add_co_u32_e32 v36, vcc, s44, v30
	v_addc_co_u32_e32 v37, vcc, v27, v31, vcc
	;;#ASMSTART
	global_load_dwordx4 v[30:33], v[36:37] off glc	
s_waitcnt vmcnt(0)
	;;#ASMEND
	v_and_b32_e32 v27, 0xff0000, v30
	v_or_b32_sdwa v27, v30, v27 dst_sel:DWORD dst_unused:UNUSED_PAD src0_sel:WORD_0 src1_sel:DWORD
	v_and_b32_e32 v28, 0xff000000, v30
	v_and_b32_e32 v30, 0xff, v31
	v_or3_b32 v31, 0, 0, v30
	v_or3_b32 v30, v27, v28, 0
	v_cmp_eq_u16_sdwa s[38:39], v32, v29 src0_sel:BYTE_0 src1_sel:DWORD
	s_and_saveexec_b64 s[30:31], s[38:39]
	s_cbranch_execz .LBB545_106
; %bb.101:
	s_mov_b32 s40, 1
	s_mov_b64 s[38:39], 0
	v_mov_b32_e32 v27, 0
.LBB545_102:                            ; =>This Loop Header: Depth=1
                                        ;     Child Loop BB545_103 Depth 2
	s_max_u32 s41, s40, 1
.LBB545_103:                            ;   Parent Loop BB545_102 Depth=1
                                        ; =>  This Inner Loop Header: Depth=2
	s_add_i32 s41, s41, -1
	s_cmp_eq_u32 s41, 0
	s_sleep 1
	s_cbranch_scc0 .LBB545_103
; %bb.104:                              ;   in Loop: Header=BB545_102 Depth=1
	s_cmp_lt_u32 s40, 32
	s_cselect_b64 s[56:57], -1, 0
	s_cmp_lg_u64 s[56:57], 0
	s_addc_u32 s40, s40, 0
	;;#ASMSTART
	global_load_dwordx4 v[30:33], v[36:37] off glc	
s_waitcnt vmcnt(0)
	;;#ASMEND
	v_cmp_ne_u16_sdwa s[56:57], v32, v27 src0_sel:BYTE_0 src1_sel:DWORD
	s_or_b64 s[38:39], s[56:57], s[38:39]
	s_andn2_b64 exec, exec, s[38:39]
	s_cbranch_execnz .LBB545_102
; %bb.105:
	s_or_b64 exec, exec, s[38:39]
	v_and_b32_e32 v31, 0xff, v31
.LBB545_106:
	s_or_b64 exec, exec, s[30:31]
	v_mov_b32_e32 v27, 2
	v_cmp_eq_u16_sdwa s[30:31], v32, v27 src0_sel:BYTE_0 src1_sel:DWORD
	v_lshlrev_b64 v[28:29], v48, -1
	v_and_b32_e32 v33, s31, v29
	v_or_b32_e32 v33, 0x80000000, v33
	v_and_b32_e32 v35, s30, v28
	v_ffbl_b32_e32 v33, v33
	v_and_b32_e32 v49, 63, v48
	v_add_u32_e32 v33, 32, v33
	v_ffbl_b32_e32 v35, v35
	v_cmp_ne_u32_e32 vcc, 63, v49
	v_min_u32_e32 v33, v35, v33
	v_addc_co_u32_e32 v35, vcc, 0, v48, vcc
	v_lshlrev_b32_e32 v50, 2, v35
	ds_bpermute_b32 v35, v50, v31
	ds_bpermute_b32 v36, v50, v30
	s_mov_b32 s38, 0
	v_and_b32_e32 v37, 1, v31
	s_mov_b32 s39, 1
	s_waitcnt lgkmcnt(1)
	v_and_b32_e32 v35, 1, v35
	v_cmp_eq_u32_e32 vcc, 1, v37
	v_cndmask_b32_e64 v35, v35, 1, vcc
	v_cmp_gt_u64_e32 vcc, s[38:39], v[30:31]
	v_cmp_lt_u32_e64 s[30:31], v49, v33
	s_and_b64 vcc, s[30:31], vcc
	v_and_b32_e32 v37, 0xffff, v35
	v_cndmask_b32_e64 v56, v31, v35, s[30:31]
	s_waitcnt lgkmcnt(0)
	v_cndmask_b32_e32 v35, 0, v36, vcc
	v_cmp_gt_u32_e32 vcc, 62, v49
	v_cndmask_b32_e64 v36, 0, 1, vcc
	v_lshlrev_b32_e32 v36, 1, v36
	v_cndmask_b32_e64 v31, v31, v37, s[30:31]
	v_add_lshl_u32 v51, v36, v48, 2
	ds_bpermute_b32 v36, v51, v31
	v_add_u32_e32 v30, v35, v30
	ds_bpermute_b32 v37, v51, v30
	v_and_b32_e32 v35, 1, v56
	v_cmp_eq_u32_e32 vcc, 1, v35
	s_waitcnt lgkmcnt(1)
	v_and_b32_e32 v36, 1, v36
	v_mov_b32_e32 v35, 0
	v_add_u32_e32 v55, 2, v49
	v_cndmask_b32_e64 v36, v36, 1, vcc
	v_cmp_eq_u16_sdwa vcc, v56, v35 src0_sel:BYTE_0 src1_sel:DWORD
	v_and_b32_e32 v57, 0xffff, v36
	s_waitcnt lgkmcnt(0)
	v_cndmask_b32_e32 v37, 0, v37, vcc
	v_cmp_gt_u32_e32 vcc, v55, v33
	v_cndmask_b32_e32 v36, v36, v56, vcc
	v_cndmask_b32_e64 v37, v37, 0, vcc
	v_cndmask_b32_e32 v31, v57, v31, vcc
	v_cmp_gt_u32_e32 vcc, 60, v49
	v_cndmask_b32_e64 v56, 0, 1, vcc
	v_lshlrev_b32_e32 v56, 2, v56
	v_add_lshl_u32 v56, v56, v48, 2
	ds_bpermute_b32 v58, v56, v31
	v_add_u32_e32 v30, v37, v30
	ds_bpermute_b32 v37, v56, v30
	v_and_b32_e32 v59, 1, v36
	v_cmp_eq_u32_e32 vcc, 1, v59
	s_waitcnt lgkmcnt(1)
	v_and_b32_e32 v58, 1, v58
	v_add_u32_e32 v57, 4, v49
	v_cndmask_b32_e64 v58, v58, 1, vcc
	v_cmp_eq_u16_sdwa vcc, v36, v35 src0_sel:BYTE_0 src1_sel:DWORD
	v_and_b32_e32 v59, 0xffff, v58
	s_waitcnt lgkmcnt(0)
	v_cndmask_b32_e32 v37, 0, v37, vcc
	v_cmp_gt_u32_e32 vcc, v57, v33
	v_cndmask_b32_e32 v36, v58, v36, vcc
	v_cndmask_b32_e64 v37, v37, 0, vcc
	v_cndmask_b32_e32 v31, v59, v31, vcc
	v_cmp_gt_u32_e32 vcc, 56, v49
	v_cndmask_b32_e64 v58, 0, 1, vcc
	v_lshlrev_b32_e32 v58, 3, v58
	v_add_lshl_u32 v58, v58, v48, 2
	ds_bpermute_b32 v60, v58, v31
	v_add_u32_e32 v30, v37, v30
	ds_bpermute_b32 v37, v58, v30
	v_and_b32_e32 v61, 1, v36
	v_cmp_eq_u32_e32 vcc, 1, v61
	s_waitcnt lgkmcnt(1)
	v_and_b32_e32 v60, 1, v60
	;; [unrolled: 21-line block ×4, first 2 shown]
	v_add_u32_e32 v64, 32, v49
	v_cndmask_b32_e64 v31, v31, 1, vcc
	v_cmp_eq_u16_sdwa vcc, v36, v35 src0_sel:BYTE_0 src1_sel:DWORD
	s_waitcnt lgkmcnt(0)
	v_cndmask_b32_e32 v37, 0, v37, vcc
	v_cmp_gt_u32_e32 vcc, v64, v33
	v_cndmask_b32_e64 v33, v37, 0, vcc
	v_cndmask_b32_e32 v31, v31, v36, vcc
	v_add_u32_e32 v30, v33, v30
	s_branch .LBB545_108
.LBB545_107:                            ;   in Loop: Header=BB545_108 Depth=1
	s_or_b64 exec, exec, s[30:31]
	v_cmp_eq_u16_sdwa s[30:31], v32, v27 src0_sel:BYTE_0 src1_sel:DWORD
	v_and_b32_e32 v33, s31, v29
	ds_bpermute_b32 v37, v50, v31
	v_or_b32_e32 v33, 0x80000000, v33
	v_and_b32_e32 v36, s30, v28
	v_ffbl_b32_e32 v33, v33
	v_add_u32_e32 v33, 32, v33
	v_ffbl_b32_e32 v36, v36
	v_min_u32_e32 v33, v36, v33
	ds_bpermute_b32 v36, v50, v30
	v_and_b32_e32 v65, 1, v31
	s_waitcnt lgkmcnt(1)
	v_and_b32_e32 v37, 1, v37
	v_cmp_eq_u32_e32 vcc, 1, v65
	v_cndmask_b32_e64 v37, v37, 1, vcc
	v_cmp_gt_u64_e32 vcc, s[38:39], v[30:31]
	v_and_b32_e32 v65, 0xffff, v37
	v_cmp_lt_u32_e64 s[30:31], v49, v33
	v_cndmask_b32_e64 v37, v31, v37, s[30:31]
	v_cndmask_b32_e64 v31, v31, v65, s[30:31]
	s_and_b64 vcc, s[30:31], vcc
	ds_bpermute_b32 v65, v51, v31
	s_waitcnt lgkmcnt(1)
	v_cndmask_b32_e32 v36, 0, v36, vcc
	v_add_u32_e32 v30, v36, v30
	ds_bpermute_b32 v36, v51, v30
	v_and_b32_e32 v66, 1, v37
	s_waitcnt lgkmcnt(1)
	v_and_b32_e32 v65, 1, v65
	v_cmp_eq_u32_e32 vcc, 1, v66
	v_cndmask_b32_e64 v65, v65, 1, vcc
	v_cmp_eq_u16_sdwa vcc, v37, v35 src0_sel:BYTE_0 src1_sel:DWORD
	v_and_b32_e32 v66, 0xffff, v65
	s_waitcnt lgkmcnt(0)
	v_cndmask_b32_e32 v36, 0, v36, vcc
	v_cmp_gt_u32_e32 vcc, v55, v33
	v_cndmask_b32_e32 v31, v66, v31, vcc
	v_cndmask_b32_e32 v37, v65, v37, vcc
	ds_bpermute_b32 v65, v56, v31
	v_cndmask_b32_e64 v36, v36, 0, vcc
	v_add_u32_e32 v30, v36, v30
	ds_bpermute_b32 v36, v56, v30
	v_and_b32_e32 v66, 1, v37
	s_waitcnt lgkmcnt(1)
	v_and_b32_e32 v65, 1, v65
	v_cmp_eq_u32_e32 vcc, 1, v66
	v_cndmask_b32_e64 v65, v65, 1, vcc
	v_cmp_eq_u16_sdwa vcc, v37, v35 src0_sel:BYTE_0 src1_sel:DWORD
	v_and_b32_e32 v66, 0xffff, v65
	s_waitcnt lgkmcnt(0)
	v_cndmask_b32_e32 v36, 0, v36, vcc
	v_cmp_gt_u32_e32 vcc, v57, v33
	v_cndmask_b32_e32 v31, v66, v31, vcc
	v_cndmask_b32_e32 v37, v65, v37, vcc
	ds_bpermute_b32 v65, v58, v31
	v_cndmask_b32_e64 v36, v36, 0, vcc
	;; [unrolled: 16-line block ×3, first 2 shown]
	v_add_u32_e32 v30, v36, v30
	ds_bpermute_b32 v36, v60, v30
	v_and_b32_e32 v66, 1, v37
	s_waitcnt lgkmcnt(1)
	v_and_b32_e32 v65, 1, v65
	v_cmp_eq_u32_e32 vcc, 1, v66
	v_cndmask_b32_e64 v65, v65, 1, vcc
	v_cmp_eq_u16_sdwa vcc, v37, v35 src0_sel:BYTE_0 src1_sel:DWORD
	v_and_b32_e32 v66, 0xffff, v65
	s_waitcnt lgkmcnt(0)
	v_cndmask_b32_e32 v36, 0, v36, vcc
	v_cmp_gt_u32_e32 vcc, v61, v33
	v_cndmask_b32_e64 v36, v36, 0, vcc
	v_cndmask_b32_e32 v31, v66, v31, vcc
	ds_bpermute_b32 v31, v63, v31
	v_add_u32_e32 v30, v36, v30
	ds_bpermute_b32 v36, v63, v30
	v_cndmask_b32_e32 v37, v65, v37, vcc
	v_and_b32_e32 v65, 1, v37
	v_cmp_eq_u32_e32 vcc, 1, v65
	s_waitcnt lgkmcnt(1)
	v_cndmask_b32_e64 v31, v31, 1, vcc
	v_cmp_eq_u16_sdwa vcc, v37, v35 src0_sel:BYTE_0 src1_sel:DWORD
	s_waitcnt lgkmcnt(0)
	v_cndmask_b32_e32 v36, 0, v36, vcc
	v_cmp_gt_u32_e32 vcc, v64, v33
	v_cndmask_b32_e64 v33, v36, 0, vcc
	v_cndmask_b32_e32 v31, v31, v37, vcc
	v_add_u32_e32 v30, v33, v30
	v_cmp_eq_u16_sdwa vcc, v48, v35 src0_sel:BYTE_0 src1_sel:DWORD
	v_and_b32_e32 v33, 1, v48
	v_cndmask_b32_e32 v30, 0, v30, vcc
	v_and_b32_e32 v31, 1, v31
	v_cmp_eq_u32_e32 vcc, 1, v33
	v_subrev_u32_e32 v34, 64, v34
	v_add_u32_e32 v30, v30, v62
	v_cndmask_b32_e64 v31, v31, 1, vcc
.LBB545_108:                            ; =>This Loop Header: Depth=1
                                        ;     Child Loop BB545_111 Depth 2
                                        ;       Child Loop BB545_112 Depth 3
	v_cmp_ne_u16_sdwa s[30:31], v32, v27 src0_sel:BYTE_0 src1_sel:DWORD
	v_mov_b32_e32 v48, v31
	v_cndmask_b32_e64 v31, 0, 1, s[30:31]
	;;#ASMSTART
	;;#ASMEND
	v_cmp_ne_u32_e32 vcc, 0, v31
	s_cmp_lg_u64 vcc, exec
	v_mov_b32_e32 v62, v30
	s_cbranch_scc1 .LBB545_115
; %bb.109:                              ;   in Loop: Header=BB545_108 Depth=1
	v_lshlrev_b64 v[30:31], 4, v[34:35]
	v_mov_b32_e32 v32, s45
	v_add_co_u32_e32 v36, vcc, s44, v30
	v_addc_co_u32_e32 v37, vcc, v32, v31, vcc
	;;#ASMSTART
	global_load_dwordx4 v[30:33], v[36:37] off glc	
s_waitcnt vmcnt(0)
	;;#ASMEND
	v_and_b32_e32 v33, 0xff0000, v30
	v_or_b32_sdwa v33, v30, v33 dst_sel:DWORD dst_unused:UNUSED_PAD src0_sel:WORD_0 src1_sel:DWORD
	v_and_b32_e32 v30, 0xff000000, v30
	v_and_b32_e32 v31, 0xff, v31
	v_or3_b32 v31, 0, 0, v31
	v_or3_b32 v30, v33, v30, 0
	v_cmp_eq_u16_sdwa s[40:41], v32, v35 src0_sel:BYTE_0 src1_sel:DWORD
	s_and_saveexec_b64 s[30:31], s[40:41]
	s_cbranch_execz .LBB545_107
; %bb.110:                              ;   in Loop: Header=BB545_108 Depth=1
	s_mov_b32 s49, 1
	s_mov_b64 s[40:41], 0
.LBB545_111:                            ;   Parent Loop BB545_108 Depth=1
                                        ; =>  This Loop Header: Depth=2
                                        ;       Child Loop BB545_112 Depth 3
	s_max_u32 s55, s49, 1
.LBB545_112:                            ;   Parent Loop BB545_108 Depth=1
                                        ;     Parent Loop BB545_111 Depth=2
                                        ; =>    This Inner Loop Header: Depth=3
	s_add_i32 s55, s55, -1
	s_cmp_eq_u32 s55, 0
	s_sleep 1
	s_cbranch_scc0 .LBB545_112
; %bb.113:                              ;   in Loop: Header=BB545_111 Depth=2
	s_cmp_lt_u32 s49, 32
	s_cselect_b64 s[56:57], -1, 0
	s_cmp_lg_u64 s[56:57], 0
	s_addc_u32 s49, s49, 0
	;;#ASMSTART
	global_load_dwordx4 v[30:33], v[36:37] off glc	
s_waitcnt vmcnt(0)
	;;#ASMEND
	v_cmp_ne_u16_sdwa s[56:57], v32, v35 src0_sel:BYTE_0 src1_sel:DWORD
	s_or_b64 s[40:41], s[56:57], s[40:41]
	s_andn2_b64 exec, exec, s[40:41]
	s_cbranch_execnz .LBB545_111
; %bb.114:                              ;   in Loop: Header=BB545_108 Depth=1
	s_or_b64 exec, exec, s[40:41]
	v_and_b32_e32 v31, 0xff, v31
	s_branch .LBB545_107
.LBB545_115:                            ;   in Loop: Header=BB545_108 Depth=1
                                        ; implicit-def: $vgpr31
                                        ; implicit-def: $vgpr30
                                        ; implicit-def: $vgpr32
	s_cbranch_execz .LBB545_108
; %bb.116:
	s_and_saveexec_b64 s[30:31], s[28:29]
	s_cbranch_execz .LBB545_118
; %bb.117:
	s_and_b32 s38, s48, 0xff
	s_cmp_eq_u32 s38, 0
	s_cselect_b64 vcc, -1, 0
	s_bitcmp1_b32 s48, 0
	s_mov_b32 s39, 0
	s_cselect_b64 s[40:41], -1, 0
	s_add_i32 s38, s47, 64
	s_lshl_b64 s[38:39], s[38:39], 4
	v_cndmask_b32_e32 v27, 0, v62, vcc
	s_add_u32 s38, s44, s38
	v_add_u32_e32 v26, v27, v26
	v_and_b32_e32 v27, 1, v48
	s_addc_u32 s39, s45, s39
	v_mov_b32_e32 v29, 0
	v_cndmask_b32_e64 v27, v27, 1, s[40:41]
	v_mov_b32_e32 v28, 2
	v_pk_mov_b32 v[30:31], s[38:39], s[38:39] op_sel:[0,1]
	;;#ASMSTART
	global_store_dwordx4 v[30:31], v[26:29] off	
s_waitcnt vmcnt(0)
	;;#ASMEND
.LBB545_118:
	s_or_b64 exec, exec, s[30:31]
	s_and_b64 exec, exec, s[0:1]
	s_cbranch_execz .LBB545_120
; %bb.119:
	v_mov_b32_e32 v26, 0
	ds_write_b32 v26, v62 offset:24
	ds_write_b8 v26, v48 offset:28
.LBB545_120:
	s_or_b64 exec, exec, s[36:37]
	v_mov_b32_e32 v28, 0
	s_waitcnt lgkmcnt(0)
	s_barrier
	ds_read_b32 v26, v28 offset:24
	v_cndmask_b32_e64 v27, v47, v45, s[28:29]
	v_cmp_eq_u16_sdwa vcc, v27, v28 src0_sel:BYTE_0 src1_sel:DWORD
	v_cndmask_b32_e64 v29, v46, v44, s[28:29]
	s_waitcnt lgkmcnt(0)
	v_cndmask_b32_e32 v27, 0, v26, vcc
	v_add_u32_e32 v27, v27, v29
	v_and_b32_e32 v29, 0xff, v41
	v_cndmask_b32_e64 v26, v27, v26, s[0:1]
	v_cmp_eq_u64_e32 vcc, 0, v[28:29]
	v_cndmask_b32_e32 v27, 0, v26, vcc
	v_add_u32_e32 v27, v27, v40
	v_cndmask_b32_e64 v28, 0, v27, s[4:5]
	v_add_u32_e32 v44, v28, v8
	v_cndmask_b32_e64 v28, 0, v44, s[6:7]
	;; [unrolled: 2-line block ×12, first 2 shown]
	v_add_u32_e32 v51, v28, v24
	s_branch .LBB545_147
.LBB545_121:
	s_or_b64 exec, exec, s[30:31]
                                        ; implicit-def: $vgpr14
	s_and_saveexec_b64 s[30:31], s[4:5]
	s_cbranch_execz .LBB545_37
.LBB545_122:
	v_add_co_u32_e32 v14, vcc, v1, v12
	v_addc_co_u32_e32 v15, vcc, 0, v48, vcc
	flat_load_dword v14, v[14:15] offset:1024
	s_or_b64 exec, exec, s[30:31]
                                        ; implicit-def: $vgpr15
	s_and_saveexec_b64 s[4:5], s[6:7]
	s_cbranch_execnz .LBB545_38
.LBB545_123:
	s_or_b64 exec, exec, s[4:5]
                                        ; implicit-def: $vgpr16
	s_and_saveexec_b64 s[4:5], s[8:9]
	s_cbranch_execz .LBB545_39
.LBB545_124:
	v_add_co_u32_e32 v16, vcc, v1, v12
	v_addc_co_u32_e32 v17, vcc, 0, v48, vcc
	flat_load_dword v16, v[16:17] offset:3072
	s_or_b64 exec, exec, s[4:5]
                                        ; implicit-def: $vgpr17
	s_and_saveexec_b64 s[4:5], s[10:11]
	s_cbranch_execnz .LBB545_40
.LBB545_125:
	s_or_b64 exec, exec, s[4:5]
                                        ; implicit-def: $vgpr2
	s_and_saveexec_b64 s[4:5], s[12:13]
	s_cbranch_execz .LBB545_41
.LBB545_126:
	v_lshlrev_b32_e32 v2, 2, v3
	v_add_co_u32_e32 v2, vcc, v1, v2
	v_addc_co_u32_e32 v3, vcc, 0, v48, vcc
	flat_load_dword v2, v[2:3]
	s_or_b64 exec, exec, s[4:5]
                                        ; implicit-def: $vgpr3
	s_and_saveexec_b64 s[4:5], s[14:15]
	s_cbranch_execnz .LBB545_42
.LBB545_127:
	s_or_b64 exec, exec, s[4:5]
                                        ; implicit-def: $vgpr4
	s_and_saveexec_b64 s[4:5], s[16:17]
	s_cbranch_execz .LBB545_43
.LBB545_128:
	v_lshlrev_b32_e32 v4, 2, v5
	v_add_co_u32_e32 v4, vcc, v1, v4
	v_addc_co_u32_e32 v5, vcc, 0, v48, vcc
	flat_load_dword v4, v[4:5]
	s_or_b64 exec, exec, s[4:5]
                                        ; implicit-def: $vgpr5
	s_and_saveexec_b64 s[4:5], s[18:19]
	s_cbranch_execnz .LBB545_44
.LBB545_129:
	s_or_b64 exec, exec, s[4:5]
                                        ; implicit-def: $vgpr6
	s_and_saveexec_b64 s[4:5], s[20:21]
	s_cbranch_execz .LBB545_45
.LBB545_130:
	v_lshlrev_b32_e32 v6, 2, v7
	v_add_co_u32_e32 v6, vcc, v1, v6
	v_addc_co_u32_e32 v7, vcc, 0, v48, vcc
	flat_load_dword v6, v[6:7]
	s_or_b64 exec, exec, s[4:5]
                                        ; implicit-def: $vgpr7
	s_and_saveexec_b64 s[4:5], s[22:23]
	s_cbranch_execnz .LBB545_46
.LBB545_131:
	s_or_b64 exec, exec, s[4:5]
                                        ; implicit-def: $vgpr8
	s_and_saveexec_b64 s[4:5], s[24:25]
	s_cbranch_execz .LBB545_47
.LBB545_132:
	v_lshlrev_b32_e32 v8, 2, v9
	v_add_co_u32_e32 v8, vcc, v1, v8
	v_addc_co_u32_e32 v9, vcc, 0, v48, vcc
	flat_load_dword v8, v[8:9]
	s_or_b64 exec, exec, s[4:5]
                                        ; implicit-def: $vgpr9
	s_and_saveexec_b64 s[4:5], s[26:27]
	s_cbranch_execz .LBB545_49
	s_branch .LBB545_48
.LBB545_133:
                                        ; implicit-def: $vgpr51
                                        ; implicit-def: $vgpr49
                                        ; implicit-def: $vgpr47
                                        ; implicit-def: $vgpr45
                                        ; implicit-def: $vgpr34_vgpr35_vgpr36_vgpr37
                                        ; implicit-def: $vgpr30_vgpr31_vgpr32_vgpr33
                                        ; implicit-def: $vgpr26_vgpr27_vgpr28_vgpr29
	s_cbranch_execz .LBB545_147
; %bb.134:
	s_cmp_lg_u64 s[52:53], 0
	s_cselect_b32 s5, s51, 0
	s_cselect_b32 s4, s50, 0
	s_mov_b32 s26, 0
	s_cmp_eq_u64 s[4:5], 0
	v_mov_b32_e32 v32, s54
	s_cbranch_scc1 .LBB545_136
; %bb.135:
	v_mov_b32_e32 v26, 0
	global_load_dword v32, v26, s[4:5]
.LBB545_136:
	s_mov_b32 s27, 1
	v_cmp_gt_u64_e32 vcc, s[26:27], v[8:9]
	v_cndmask_b32_e32 v27, 0, v40, vcc
	v_add_u32_e32 v27, v27, v8
	v_cmp_gt_u64_e64 s[4:5], s[26:27], v[6:7]
	v_cndmask_b32_e64 v27, 0, v27, s[4:5]
	v_add_u32_e32 v27, v27, v6
	v_cmp_gt_u64_e64 s[6:7], s[26:27], v[4:5]
	v_cndmask_b32_e64 v27, 0, v27, s[6:7]
	;; [unrolled: 3-line block ×11, first 2 shown]
	v_mov_b32_e32 v26, 0
	v_add_u32_e32 v27, v27, v24
	v_cmp_gt_u64_e64 s[26:27], s[26:27], v[42:43]
	v_or3_b32 v7, v23, v15, v7
	v_cndmask_b32_e64 v27, 0, v27, s[26:27]
	v_or3_b32 v9, v25, v17, v9
	v_and_b32_e32 v35, 1, v7
	v_mov_b32_e32 v34, v26
	v_add_u32_e32 v33, v27, v42
	v_and_b32_e32 v27, 1, v43
	v_or3_b32 v3, v19, v11, v3
	v_and_b32_e32 v31, 1, v9
	v_mov_b32_e32 v30, v26
	v_cmp_ne_u64_e64 s[28:29], 0, v[34:35]
	v_cmp_eq_u32_e64 s[26:27], 1, v27
	v_or3_b32 v5, v21, v13, v5
	v_and_b32_e32 v27, 1, v3
	v_cndmask_b32_e64 v3, 0, 1, s[28:29]
	v_cmp_ne_u64_e64 s[28:29], 0, v[30:31]
	v_and_b32_e32 v29, 1, v5
	v_mov_b32_e32 v28, v26
	v_cndmask_b32_e64 v5, 0, 1, s[28:29]
	v_lshlrev_b16_e32 v3, 2, v3
	v_lshlrev_b16_e32 v5, 3, v5
	v_cmp_ne_u64_e64 s[28:29], 0, v[28:29]
	v_or_b32_e32 v3, v5, v3
	v_cndmask_b32_e64 v5, 0, 1, s[28:29]
	v_cmp_ne_u64_e64 s[28:29], 0, v[26:27]
	v_lshlrev_b16_e32 v5, 1, v5
	v_cndmask_b32_e64 v7, 0, 1, s[28:29]
	v_or_b32_e32 v5, v7, v5
	v_and_b32_e32 v5, 3, v5
	v_or_b32_e32 v3, v5, v3
	v_and_b32_e32 v3, 15, v3
	v_cmp_ne_u16_e64 s[28:29], 0, v3
	s_or_b64 s[26:27], s[26:27], s[28:29]
	v_cndmask_b32_e64 v5, v41, 1, s[26:27]
	v_and_b32_e32 v7, 0xff, v5
	v_mov_b32_dpp v11, v33 row_shr:1 row_mask:0xf bank_mask:0xf
	v_cmp_eq_u16_e64 s[26:27], 0, v7
	v_mov_b32_dpp v13, v7 row_shr:1 row_mask:0xf bank_mask:0xf
	v_and_b32_e32 v15, 1, v5
	v_mbcnt_hi_u32_b32 v3, -1, v54
	v_cndmask_b32_e64 v11, 0, v11, s[26:27]
	v_and_b32_e32 v13, 1, v13
	v_cmp_eq_u32_e64 s[26:27], 1, v15
	v_and_b32_e32 v9, 15, v3
	v_cndmask_b32_e64 v13, v13, 1, s[26:27]
	v_and_b32_e32 v15, 0xffff, v13
	v_cmp_eq_u32_e64 s[26:27], 0, v9
	v_cndmask_b32_e64 v5, v13, v5, s[26:27]
	v_cndmask_b32_e64 v7, v15, v7, s[26:27]
	v_and_b32_e32 v17, 1, v5
	v_cndmask_b32_e64 v11, v11, 0, s[26:27]
	v_mov_b32_dpp v15, v7 row_shr:2 row_mask:0xf bank_mask:0xf
	v_and_b32_e32 v15, 1, v15
	v_cmp_eq_u32_e64 s[26:27], 1, v17
	v_cndmask_b32_e64 v15, v15, 1, s[26:27]
	v_and_b32_e32 v17, 0xffff, v15
	v_cmp_lt_u32_e64 s[26:27], 1, v9
	v_add_u32_e32 v11, v11, v33
	v_cmp_eq_u16_sdwa s[28:29], v5, v26 src0_sel:BYTE_0 src1_sel:DWORD
	v_cndmask_b32_e64 v5, v5, v15, s[26:27]
	v_cndmask_b32_e64 v7, v7, v17, s[26:27]
	v_mov_b32_dpp v13, v11 row_shr:2 row_mask:0xf bank_mask:0xf
	s_and_b64 s[26:27], s[26:27], s[28:29]
	v_mov_b32_dpp v15, v7 row_shr:4 row_mask:0xf bank_mask:0xf
	v_and_b32_e32 v17, 1, v5
	v_cndmask_b32_e64 v13, 0, v13, s[26:27]
	v_and_b32_e32 v15, 1, v15
	v_cmp_eq_u32_e64 s[26:27], 1, v17
	v_cndmask_b32_e64 v15, v15, 1, s[26:27]
	v_and_b32_e32 v17, 0xffff, v15
	v_cmp_lt_u32_e64 s[26:27], 3, v9
	v_add_u32_e32 v11, v13, v11
	v_cmp_eq_u16_sdwa s[28:29], v5, v26 src0_sel:BYTE_0 src1_sel:DWORD
	v_cndmask_b32_e64 v5, v5, v15, s[26:27]
	v_cndmask_b32_e64 v7, v7, v17, s[26:27]
	v_mov_b32_dpp v13, v11 row_shr:4 row_mask:0xf bank_mask:0xf
	s_and_b64 s[26:27], s[26:27], s[28:29]
	v_mov_b32_dpp v15, v7 row_shr:8 row_mask:0xf bank_mask:0xf
	v_and_b32_e32 v17, 1, v5
	v_cndmask_b32_e64 v13, 0, v13, s[26:27]
	v_and_b32_e32 v15, 1, v15
	v_cmp_eq_u32_e64 s[26:27], 1, v17
	v_cndmask_b32_e64 v15, v15, 1, s[26:27]
	v_add_u32_e32 v11, v13, v11
	v_cmp_eq_u16_sdwa s[28:29], v5, v26 src0_sel:BYTE_0 src1_sel:DWORD
	v_and_b32_e32 v17, 0xffff, v15
	v_cmp_lt_u32_e64 s[26:27], 7, v9
	v_mov_b32_dpp v13, v11 row_shr:8 row_mask:0xf bank_mask:0xf
	v_cndmask_b32_e64 v5, v5, v15, s[26:27]
	v_cndmask_b32_e64 v7, v7, v17, s[26:27]
	s_and_b64 s[26:27], s[26:27], s[28:29]
	v_cndmask_b32_e64 v9, 0, v13, s[26:27]
	v_add_u32_e32 v9, v9, v11
	v_mov_b32_dpp v13, v7 row_bcast:15 row_mask:0xf bank_mask:0xf
	v_cmp_eq_u16_sdwa s[26:27], v5, v26 src0_sel:BYTE_0 src1_sel:DWORD
	v_mov_b32_dpp v11, v9 row_bcast:15 row_mask:0xf bank_mask:0xf
	v_and_b32_e32 v19, 1, v5
	v_cndmask_b32_e64 v11, 0, v11, s[26:27]
	v_and_b32_e32 v13, 1, v13
	v_cmp_eq_u32_e64 s[26:27], 1, v19
	v_and_b32_e32 v17, 16, v3
	v_cndmask_b32_e64 v13, v13, 1, s[26:27]
	v_and_b32_e32 v19, 0xffff, v13
	v_cmp_eq_u32_e64 s[26:27], 0, v17
	v_cndmask_b32_e64 v5, v13, v5, s[26:27]
	v_cndmask_b32_e64 v7, v19, v7, s[26:27]
	v_bfe_i32 v15, v3, 4, 1
	v_and_b32_e32 v13, 1, v5
	v_mov_b32_dpp v7, v7 row_bcast:31 row_mask:0xf bank_mask:0xf
	v_and_b32_e32 v11, v15, v11
	v_and_b32_e32 v7, 1, v7
	v_cmp_eq_u32_e64 s[26:27], 1, v13
	v_add_u32_e32 v9, v11, v9
	v_cmp_eq_u16_sdwa s[28:29], v5, v26 src0_sel:BYTE_0 src1_sel:DWORD
	v_cndmask_b32_e64 v7, v7, 1, s[26:27]
	v_cmp_lt_u32_e64 s[26:27], 31, v3
	v_mov_b32_dpp v11, v9 row_bcast:31 row_mask:0xf bank_mask:0xf
	v_cndmask_b32_e64 v5, v5, v7, s[26:27]
	s_and_b64 s[26:27], s[26:27], s[28:29]
	v_cndmask_b32_e64 v7, 0, v11, s[26:27]
	v_add_u32_e32 v7, v7, v9
	v_cmp_eq_u32_e64 s[26:27], v53, v0
	s_and_saveexec_b64 s[28:29], s[26:27]
	s_cbranch_execz .LBB545_138
; %bb.137:
	v_lshlrev_b32_e32 v9, 3, v1
	ds_write_b32 v9, v7
	ds_write_b8 v9, v5 offset:4
.LBB545_138:
	s_or_b64 exec, exec, s[28:29]
	v_cmp_gt_u32_e64 s[26:27], 4, v0
	s_waitcnt lgkmcnt(0)
	s_barrier
	s_and_saveexec_b64 s[28:29], s[26:27]
	s_cbranch_execz .LBB545_142
; %bb.139:
	v_lshlrev_b32_e32 v9, 3, v0
	ds_read_b64 v[26:27], v9
	v_and_b32_e32 v11, 3, v3
	v_cmp_ne_u32_e64 s[26:27], 0, v11
	s_waitcnt lgkmcnt(0)
	v_mov_b32_dpp v13, v26 row_shr:1 row_mask:0xf bank_mask:0xf
	v_mov_b32_dpp v17, v27 row_shr:1 row_mask:0xf bank_mask:0xf
	v_mov_b32_e32 v15, v27
	s_and_saveexec_b64 s[30:31], s[26:27]
	s_cbranch_execz .LBB545_141
; %bb.140:
	v_and_b32_e32 v15, 1, v27
	v_and_b32_e32 v17, 1, v17
	v_cmp_eq_u32_e64 s[26:27], 1, v15
	v_mov_b32_e32 v15, 0
	v_cndmask_b32_e64 v17, v17, 1, s[26:27]
	v_cmp_eq_u16_sdwa s[26:27], v27, v15 src0_sel:BYTE_0 src1_sel:DWORD
	v_cndmask_b32_e64 v13, 0, v13, s[26:27]
	v_add_u32_e32 v26, v13, v26
	v_and_b32_e32 v13, 0xffff, v17
	s_movk_i32 s26, 0xff00
	v_and_or_b32 v15, v27, s26, v13
	v_mov_b32_e32 v27, v17
.LBB545_141:
	s_or_b64 exec, exec, s[30:31]
	v_mov_b32_dpp v15, v15 row_shr:2 row_mask:0xf bank_mask:0xf
	v_and_b32_e32 v17, 1, v27
	v_and_b32_e32 v15, 1, v15
	v_cmp_eq_u32_e64 s[26:27], 1, v17
	v_mov_b32_e32 v17, 0
	v_cndmask_b32_e64 v15, v15, 1, s[26:27]
	v_cmp_eq_u16_sdwa s[30:31], v27, v17 src0_sel:BYTE_0 src1_sel:DWORD
	v_cmp_lt_u32_e64 s[26:27], 1, v11
	v_mov_b32_dpp v13, v26 row_shr:2 row_mask:0xf bank_mask:0xf
	v_cndmask_b32_e64 v11, v27, v15, s[26:27]
	s_and_b64 s[26:27], s[26:27], s[30:31]
	v_cndmask_b32_e64 v13, 0, v13, s[26:27]
	v_add_u32_e32 v13, v13, v26
	ds_write_b32 v9, v13
	ds_write_b8 v9, v11 offset:4
.LBB545_142:
	s_or_b64 exec, exec, s[28:29]
	v_cmp_lt_u32_e64 s[26:27], 63, v0
	s_waitcnt vmcnt(0)
	v_mov_b32_e32 v9, v32
	s_waitcnt lgkmcnt(0)
	s_barrier
	s_and_saveexec_b64 s[28:29], s[26:27]
	s_cbranch_execz .LBB545_144
; %bb.143:
	v_lshl_add_u32 v1, v1, 3, -8
	ds_read_u8 v9, v1 offset:4
	ds_read_b32 v1, v1
	s_waitcnt lgkmcnt(1)
	v_cmp_eq_u16_e64 s[26:27], 0, v9
	v_cndmask_b32_e64 v9, 0, v32, s[26:27]
	s_waitcnt lgkmcnt(0)
	v_add_u32_e32 v9, v9, v1
.LBB545_144:
	s_or_b64 exec, exec, s[28:29]
	v_mov_b32_e32 v28, 0
	v_cmp_eq_u16_sdwa s[26:27], v5, v28 src0_sel:BYTE_0 src1_sel:DWORD
	v_cndmask_b32_e64 v1, 0, v9, s[26:27]
	v_add_u32_e32 v1, v1, v7
	v_add_u32_e32 v5, -1, v3
	v_and_b32_e32 v7, 64, v3
	v_cmp_lt_i32_e64 s[26:27], v5, v7
	v_cndmask_b32_e64 v5, v5, v3, s[26:27]
	v_lshlrev_b32_e32 v5, 2, v5
	ds_bpermute_b32 v1, v5, v1
	v_cmp_eq_u32_e64 s[26:27], 0, v3
	v_and_b32_e32 v29, 0xff, v41
	s_waitcnt lgkmcnt(0)
	v_cndmask_b32_e64 v26, v1, v9, s[26:27]
	v_cndmask_b32_e64 v1, v26, v32, s[0:1]
	v_cmp_eq_u64_e64 s[26:27], 0, v[28:29]
	v_cndmask_b32_e64 v1, 0, v1, s[26:27]
	v_add_u32_e32 v27, v1, v40
	v_cndmask_b32_e32 v1, 0, v27, vcc
	v_add_u32_e32 v44, v1, v8
	v_cndmask_b32_e64 v1, 0, v44, s[4:5]
	v_add_u32_e32 v45, v1, v6
	v_cndmask_b32_e64 v1, 0, v45, s[6:7]
	;; [unrolled: 2-line block ×11, first 2 shown]
	s_and_saveexec_b64 s[4:5], s[0:1]
	s_cbranch_execz .LBB545_146
; %bb.145:
	ds_read_u8 v3, v28 offset:28
	ds_read_b32 v2, v28 offset:24
	s_add_u32 s0, s44, 0x400
	s_addc_u32 s1, s45, 0
	v_mov_b32_e32 v5, v28
	s_waitcnt lgkmcnt(1)
	v_cmp_eq_u16_e32 vcc, 0, v3
	v_cndmask_b32_e32 v4, 0, v32, vcc
	s_waitcnt lgkmcnt(0)
	v_add_u32_e32 v2, v4, v2
	v_and_b32_e32 v3, 0xffff, v3
	v_mov_b32_e32 v4, 2
	v_pk_mov_b32 v[6:7], s[0:1], s[0:1] op_sel:[0,1]
	;;#ASMSTART
	global_store_dwordx4 v[6:7], v[2:5] off	
s_waitcnt vmcnt(0)
	;;#ASMEND
	v_mov_b32_e32 v26, v32
.LBB545_146:
	s_or_b64 exec, exec, s[4:5]
	v_add_u32_e32 v51, v1, v24
.LBB545_147:
	s_add_u32 s0, s42, s34
	s_addc_u32 s1, s43, s35
	v_mov_b32_e32 v1, s1
	v_add_co_u32_e32 v18, vcc, s0, v38
	v_addc_co_u32_e32 v19, vcc, v1, v39, vcc
	v_mul_u32_u24_e32 v1, 14, v0
	s_and_b64 vcc, exec, s[2:3]
	v_lshlrev_b32_e32 v2, 2, v1
	s_cbranch_vccz .LBB545_175
; %bb.148:
	s_movk_i32 s0, 0xffcc
	v_mad_i32_i24 v3, v0, s0, v2
	s_barrier
	ds_write2_b64 v2, v[26:27], v[44:45] offset1:1
	ds_write2_b64 v2, v[30:31], v[46:47] offset0:2 offset1:3
	ds_write2_b64 v2, v[34:35], v[48:49] offset0:4 offset1:5
	ds_write_b64 v2, v[50:51] offset:48
	s_waitcnt lgkmcnt(0)
	s_barrier
	ds_read2st64_b32 v[16:17], v3 offset0:4 offset1:8
	ds_read2st64_b32 v[14:15], v3 offset0:12 offset1:16
	;; [unrolled: 1-line block ×6, first 2 shown]
	ds_read_b32 v3, v3 offset:13312
	v_add_co_u32_e32 v6, vcc, v18, v52
	s_add_i32 s33, s33, s46
	v_addc_co_u32_e32 v7, vcc, 0, v19, vcc
	v_mov_b32_e32 v1, 0
	v_cmp_gt_u32_e32 vcc, s33, v0
	s_and_saveexec_b64 s[0:1], vcc
	s_cbranch_execz .LBB545_150
; %bb.149:
	v_mul_i32_i24_e32 v20, 0xffffffcc, v0
	v_add_u32_e32 v20, v2, v20
	ds_read_b32 v20, v20
	s_waitcnt lgkmcnt(0)
	flat_store_dword v[6:7], v20
.LBB545_150:
	s_or_b64 exec, exec, s[0:1]
	v_or_b32_e32 v20, 0x100, v0
	v_cmp_gt_u32_e32 vcc, s33, v20
	s_and_saveexec_b64 s[0:1], vcc
	s_cbranch_execz .LBB545_152
; %bb.151:
	s_waitcnt lgkmcnt(0)
	flat_store_dword v[6:7], v16 offset:1024
.LBB545_152:
	s_or_b64 exec, exec, s[0:1]
	s_waitcnt lgkmcnt(0)
	v_or_b32_e32 v16, 0x200, v0
	v_cmp_gt_u32_e32 vcc, s33, v16
	s_and_saveexec_b64 s[0:1], vcc
	s_cbranch_execz .LBB545_154
; %bb.153:
	flat_store_dword v[6:7], v17 offset:2048
.LBB545_154:
	s_or_b64 exec, exec, s[0:1]
	v_or_b32_e32 v16, 0x300, v0
	v_cmp_gt_u32_e32 vcc, s33, v16
	s_and_saveexec_b64 s[0:1], vcc
	s_cbranch_execz .LBB545_156
; %bb.155:
	flat_store_dword v[6:7], v14 offset:3072
.LBB545_156:
	s_or_b64 exec, exec, s[0:1]
	v_or_b32_e32 v14, 0x400, v0
	v_cmp_gt_u32_e32 vcc, s33, v14
	s_and_saveexec_b64 s[0:1], vcc
	s_cbranch_execz .LBB545_158
; %bb.157:
	v_add_co_u32_e32 v16, vcc, 0x1000, v6
	v_addc_co_u32_e32 v17, vcc, 0, v7, vcc
	flat_store_dword v[16:17], v15
.LBB545_158:
	s_or_b64 exec, exec, s[0:1]
	v_or_b32_e32 v14, 0x500, v0
	v_cmp_gt_u32_e32 vcc, s33, v14
	s_and_saveexec_b64 s[0:1], vcc
	s_cbranch_execz .LBB545_160
; %bb.159:
	v_add_co_u32_e32 v14, vcc, 0x1000, v6
	v_addc_co_u32_e32 v15, vcc, 0, v7, vcc
	flat_store_dword v[14:15], v12 offset:1024
.LBB545_160:
	s_or_b64 exec, exec, s[0:1]
	v_or_b32_e32 v12, 0x600, v0
	v_cmp_gt_u32_e32 vcc, s33, v12
	s_and_saveexec_b64 s[0:1], vcc
	s_cbranch_execz .LBB545_162
; %bb.161:
	v_add_co_u32_e32 v14, vcc, 0x1000, v6
	v_addc_co_u32_e32 v15, vcc, 0, v7, vcc
	flat_store_dword v[14:15], v13 offset:2048
.LBB545_162:
	;; [unrolled: 10-line block ×3, first 2 shown]
	s_or_b64 exec, exec, s[0:1]
	v_or_b32_e32 v10, 0x800, v0
	v_cmp_gt_u32_e32 vcc, s33, v10
	s_and_saveexec_b64 s[0:1], vcc
	s_cbranch_execz .LBB545_166
; %bb.165:
	v_add_co_u32_e32 v12, vcc, 0x2000, v6
	v_addc_co_u32_e32 v13, vcc, 0, v7, vcc
	flat_store_dword v[12:13], v11
.LBB545_166:
	s_or_b64 exec, exec, s[0:1]
	v_or_b32_e32 v10, 0x900, v0
	v_cmp_gt_u32_e32 vcc, s33, v10
	s_and_saveexec_b64 s[0:1], vcc
	s_cbranch_execz .LBB545_168
; %bb.167:
	v_add_co_u32_e32 v10, vcc, 0x2000, v6
	v_addc_co_u32_e32 v11, vcc, 0, v7, vcc
	flat_store_dword v[10:11], v8 offset:1024
.LBB545_168:
	s_or_b64 exec, exec, s[0:1]
	v_or_b32_e32 v8, 0xa00, v0
	v_cmp_gt_u32_e32 vcc, s33, v8
	s_and_saveexec_b64 s[0:1], vcc
	s_cbranch_execz .LBB545_170
; %bb.169:
	v_add_co_u32_e32 v10, vcc, 0x2000, v6
	v_addc_co_u32_e32 v11, vcc, 0, v7, vcc
	flat_store_dword v[10:11], v9 offset:2048
.LBB545_170:
	;; [unrolled: 10-line block ×3, first 2 shown]
	s_or_b64 exec, exec, s[0:1]
	v_or_b32_e32 v4, 0xc00, v0
	v_cmp_gt_u32_e32 vcc, s33, v4
	s_and_saveexec_b64 s[0:1], vcc
	s_cbranch_execz .LBB545_174
; %bb.173:
	v_add_co_u32_e32 v6, vcc, 0x3000, v6
	v_addc_co_u32_e32 v7, vcc, 0, v7, vcc
	flat_store_dword v[6:7], v5
.LBB545_174:
	s_or_b64 exec, exec, s[0:1]
	v_or_b32_e32 v4, 0xd00, v0
	v_cmp_gt_u32_e64 s[0:1], s33, v4
	s_branch .LBB545_177
.LBB545_175:
	s_mov_b64 s[0:1], 0
                                        ; implicit-def: $vgpr3
	s_cbranch_execz .LBB545_177
; %bb.176:
	s_movk_i32 s2, 0xffcc
	s_waitcnt lgkmcnt(0)
	s_barrier
	ds_write2_b64 v2, v[26:27], v[44:45] offset1:1
	ds_write2_b64 v2, v[30:31], v[46:47] offset0:2 offset1:3
	ds_write2_b64 v2, v[34:35], v[48:49] offset0:4 offset1:5
	ds_write_b64 v2, v[50:51] offset:48
	v_mad_i32_i24 v2, v0, s2, v2
	v_add_co_u32_e32 v16, vcc, v18, v52
	s_waitcnt lgkmcnt(0)
	s_barrier
	ds_read2st64_b32 v[4:5], v2 offset1:4
	ds_read2st64_b32 v[6:7], v2 offset0:8 offset1:12
	ds_read2st64_b32 v[8:9], v2 offset0:16 offset1:20
	;; [unrolled: 1-line block ×6, first 2 shown]
	v_addc_co_u32_e32 v17, vcc, 0, v19, vcc
	s_movk_i32 s2, 0x1000
	s_waitcnt lgkmcnt(0)
	flat_store_dword v[16:17], v4
	flat_store_dword v[16:17], v5 offset:1024
	flat_store_dword v[16:17], v6 offset:2048
	;; [unrolled: 1-line block ×3, first 2 shown]
	v_add_co_u32_e32 v4, vcc, s2, v16
	v_addc_co_u32_e32 v5, vcc, 0, v17, vcc
	flat_store_dword v[4:5], v8
	flat_store_dword v[4:5], v9 offset:1024
	flat_store_dword v[4:5], v10 offset:2048
	;; [unrolled: 1-line block ×3, first 2 shown]
	v_add_co_u32_e32 v4, vcc, 0x2000, v16
	v_addc_co_u32_e32 v5, vcc, 0, v17, vcc
	flat_store_dword v[4:5], v12
	flat_store_dword v[4:5], v13 offset:1024
	flat_store_dword v[4:5], v14 offset:2048
	;; [unrolled: 1-line block ×3, first 2 shown]
	v_add_co_u32_e32 v4, vcc, 0x3000, v16
	v_mov_b32_e32 v1, 0
	v_addc_co_u32_e32 v5, vcc, 0, v17, vcc
	s_or_b64 s[0:1], s[0:1], exec
	flat_store_dword v[4:5], v2
.LBB545_177:
	s_and_saveexec_b64 s[2:3], s[0:1]
	s_cbranch_execz .LBB545_179
; %bb.178:
	v_lshlrev_b64 v[0:1], 2, v[0:1]
	v_add_co_u32_e32 v0, vcc, v18, v0
	v_addc_co_u32_e32 v1, vcc, v19, v1, vcc
	v_add_co_u32_e32 v0, vcc, 0x3000, v0
	v_addc_co_u32_e32 v1, vcc, 0, v1, vcc
	flat_store_dword v[0:1], v3 offset:1024
	s_endpgm
.LBB545_179:
	s_endpgm
	.section	.rodata,"a",@progbits
	.p2align	6, 0x0
	.amdhsa_kernel _ZN7rocprim17ROCPRIM_400000_NS6detail17trampoline_kernelINS0_14default_configENS1_27scan_by_key_config_selectorIiiEEZZNS1_16scan_by_key_implILNS1_25lookback_scan_determinismE0ELb1ES3_N6thrust23THRUST_200600_302600_NS6detail15normal_iteratorINS9_10device_ptrIiEEEESE_SE_iNS9_4plusIvEENS9_8equal_toIiEEiEE10hipError_tPvRmT2_T3_T4_T5_mT6_T7_P12ihipStream_tbENKUlT_T0_E_clISt17integral_constantIbLb1EESZ_EEDaSU_SV_EUlSU_E_NS1_11comp_targetILNS1_3genE4ELNS1_11target_archE910ELNS1_3gpuE8ELNS1_3repE0EEENS1_30default_config_static_selectorELNS0_4arch9wavefront6targetE1EEEvT1_
		.amdhsa_group_segment_fixed_size 16384
		.amdhsa_private_segment_fixed_size 0
		.amdhsa_kernarg_size 112
		.amdhsa_user_sgpr_count 6
		.amdhsa_user_sgpr_private_segment_buffer 1
		.amdhsa_user_sgpr_dispatch_ptr 0
		.amdhsa_user_sgpr_queue_ptr 0
		.amdhsa_user_sgpr_kernarg_segment_ptr 1
		.amdhsa_user_sgpr_dispatch_id 0
		.amdhsa_user_sgpr_flat_scratch_init 0
		.amdhsa_user_sgpr_kernarg_preload_length 0
		.amdhsa_user_sgpr_kernarg_preload_offset 0
		.amdhsa_user_sgpr_private_segment_size 0
		.amdhsa_uses_dynamic_stack 0
		.amdhsa_system_sgpr_private_segment_wavefront_offset 0
		.amdhsa_system_sgpr_workgroup_id_x 1
		.amdhsa_system_sgpr_workgroup_id_y 0
		.amdhsa_system_sgpr_workgroup_id_z 0
		.amdhsa_system_sgpr_workgroup_info 0
		.amdhsa_system_vgpr_workitem_id 0
		.amdhsa_next_free_vgpr 67
		.amdhsa_next_free_sgpr 60
		.amdhsa_accum_offset 68
		.amdhsa_reserve_vcc 1
		.amdhsa_reserve_flat_scratch 0
		.amdhsa_float_round_mode_32 0
		.amdhsa_float_round_mode_16_64 0
		.amdhsa_float_denorm_mode_32 3
		.amdhsa_float_denorm_mode_16_64 3
		.amdhsa_dx10_clamp 1
		.amdhsa_ieee_mode 1
		.amdhsa_fp16_overflow 0
		.amdhsa_tg_split 0
		.amdhsa_exception_fp_ieee_invalid_op 0
		.amdhsa_exception_fp_denorm_src 0
		.amdhsa_exception_fp_ieee_div_zero 0
		.amdhsa_exception_fp_ieee_overflow 0
		.amdhsa_exception_fp_ieee_underflow 0
		.amdhsa_exception_fp_ieee_inexact 0
		.amdhsa_exception_int_div_zero 0
	.end_amdhsa_kernel
	.section	.text._ZN7rocprim17ROCPRIM_400000_NS6detail17trampoline_kernelINS0_14default_configENS1_27scan_by_key_config_selectorIiiEEZZNS1_16scan_by_key_implILNS1_25lookback_scan_determinismE0ELb1ES3_N6thrust23THRUST_200600_302600_NS6detail15normal_iteratorINS9_10device_ptrIiEEEESE_SE_iNS9_4plusIvEENS9_8equal_toIiEEiEE10hipError_tPvRmT2_T3_T4_T5_mT6_T7_P12ihipStream_tbENKUlT_T0_E_clISt17integral_constantIbLb1EESZ_EEDaSU_SV_EUlSU_E_NS1_11comp_targetILNS1_3genE4ELNS1_11target_archE910ELNS1_3gpuE8ELNS1_3repE0EEENS1_30default_config_static_selectorELNS0_4arch9wavefront6targetE1EEEvT1_,"axG",@progbits,_ZN7rocprim17ROCPRIM_400000_NS6detail17trampoline_kernelINS0_14default_configENS1_27scan_by_key_config_selectorIiiEEZZNS1_16scan_by_key_implILNS1_25lookback_scan_determinismE0ELb1ES3_N6thrust23THRUST_200600_302600_NS6detail15normal_iteratorINS9_10device_ptrIiEEEESE_SE_iNS9_4plusIvEENS9_8equal_toIiEEiEE10hipError_tPvRmT2_T3_T4_T5_mT6_T7_P12ihipStream_tbENKUlT_T0_E_clISt17integral_constantIbLb1EESZ_EEDaSU_SV_EUlSU_E_NS1_11comp_targetILNS1_3genE4ELNS1_11target_archE910ELNS1_3gpuE8ELNS1_3repE0EEENS1_30default_config_static_selectorELNS0_4arch9wavefront6targetE1EEEvT1_,comdat
.Lfunc_end545:
	.size	_ZN7rocprim17ROCPRIM_400000_NS6detail17trampoline_kernelINS0_14default_configENS1_27scan_by_key_config_selectorIiiEEZZNS1_16scan_by_key_implILNS1_25lookback_scan_determinismE0ELb1ES3_N6thrust23THRUST_200600_302600_NS6detail15normal_iteratorINS9_10device_ptrIiEEEESE_SE_iNS9_4plusIvEENS9_8equal_toIiEEiEE10hipError_tPvRmT2_T3_T4_T5_mT6_T7_P12ihipStream_tbENKUlT_T0_E_clISt17integral_constantIbLb1EESZ_EEDaSU_SV_EUlSU_E_NS1_11comp_targetILNS1_3genE4ELNS1_11target_archE910ELNS1_3gpuE8ELNS1_3repE0EEENS1_30default_config_static_selectorELNS0_4arch9wavefront6targetE1EEEvT1_, .Lfunc_end545-_ZN7rocprim17ROCPRIM_400000_NS6detail17trampoline_kernelINS0_14default_configENS1_27scan_by_key_config_selectorIiiEEZZNS1_16scan_by_key_implILNS1_25lookback_scan_determinismE0ELb1ES3_N6thrust23THRUST_200600_302600_NS6detail15normal_iteratorINS9_10device_ptrIiEEEESE_SE_iNS9_4plusIvEENS9_8equal_toIiEEiEE10hipError_tPvRmT2_T3_T4_T5_mT6_T7_P12ihipStream_tbENKUlT_T0_E_clISt17integral_constantIbLb1EESZ_EEDaSU_SV_EUlSU_E_NS1_11comp_targetILNS1_3genE4ELNS1_11target_archE910ELNS1_3gpuE8ELNS1_3repE0EEENS1_30default_config_static_selectorELNS0_4arch9wavefront6targetE1EEEvT1_
                                        ; -- End function
	.section	.AMDGPU.csdata,"",@progbits
; Kernel info:
; codeLenInByte = 11288
; NumSgprs: 64
; NumVgprs: 67
; NumAgprs: 0
; TotalNumVgprs: 67
; ScratchSize: 0
; MemoryBound: 0
; FloatMode: 240
; IeeeMode: 1
; LDSByteSize: 16384 bytes/workgroup (compile time only)
; SGPRBlocks: 7
; VGPRBlocks: 8
; NumSGPRsForWavesPerEU: 64
; NumVGPRsForWavesPerEU: 67
; AccumOffset: 68
; Occupancy: 4
; WaveLimiterHint : 1
; COMPUTE_PGM_RSRC2:SCRATCH_EN: 0
; COMPUTE_PGM_RSRC2:USER_SGPR: 6
; COMPUTE_PGM_RSRC2:TRAP_HANDLER: 0
; COMPUTE_PGM_RSRC2:TGID_X_EN: 1
; COMPUTE_PGM_RSRC2:TGID_Y_EN: 0
; COMPUTE_PGM_RSRC2:TGID_Z_EN: 0
; COMPUTE_PGM_RSRC2:TIDIG_COMP_CNT: 0
; COMPUTE_PGM_RSRC3_GFX90A:ACCUM_OFFSET: 16
; COMPUTE_PGM_RSRC3_GFX90A:TG_SPLIT: 0
	.section	.text._ZN7rocprim17ROCPRIM_400000_NS6detail17trampoline_kernelINS0_14default_configENS1_27scan_by_key_config_selectorIiiEEZZNS1_16scan_by_key_implILNS1_25lookback_scan_determinismE0ELb1ES3_N6thrust23THRUST_200600_302600_NS6detail15normal_iteratorINS9_10device_ptrIiEEEESE_SE_iNS9_4plusIvEENS9_8equal_toIiEEiEE10hipError_tPvRmT2_T3_T4_T5_mT6_T7_P12ihipStream_tbENKUlT_T0_E_clISt17integral_constantIbLb1EESZ_EEDaSU_SV_EUlSU_E_NS1_11comp_targetILNS1_3genE3ELNS1_11target_archE908ELNS1_3gpuE7ELNS1_3repE0EEENS1_30default_config_static_selectorELNS0_4arch9wavefront6targetE1EEEvT1_,"axG",@progbits,_ZN7rocprim17ROCPRIM_400000_NS6detail17trampoline_kernelINS0_14default_configENS1_27scan_by_key_config_selectorIiiEEZZNS1_16scan_by_key_implILNS1_25lookback_scan_determinismE0ELb1ES3_N6thrust23THRUST_200600_302600_NS6detail15normal_iteratorINS9_10device_ptrIiEEEESE_SE_iNS9_4plusIvEENS9_8equal_toIiEEiEE10hipError_tPvRmT2_T3_T4_T5_mT6_T7_P12ihipStream_tbENKUlT_T0_E_clISt17integral_constantIbLb1EESZ_EEDaSU_SV_EUlSU_E_NS1_11comp_targetILNS1_3genE3ELNS1_11target_archE908ELNS1_3gpuE7ELNS1_3repE0EEENS1_30default_config_static_selectorELNS0_4arch9wavefront6targetE1EEEvT1_,comdat
	.protected	_ZN7rocprim17ROCPRIM_400000_NS6detail17trampoline_kernelINS0_14default_configENS1_27scan_by_key_config_selectorIiiEEZZNS1_16scan_by_key_implILNS1_25lookback_scan_determinismE0ELb1ES3_N6thrust23THRUST_200600_302600_NS6detail15normal_iteratorINS9_10device_ptrIiEEEESE_SE_iNS9_4plusIvEENS9_8equal_toIiEEiEE10hipError_tPvRmT2_T3_T4_T5_mT6_T7_P12ihipStream_tbENKUlT_T0_E_clISt17integral_constantIbLb1EESZ_EEDaSU_SV_EUlSU_E_NS1_11comp_targetILNS1_3genE3ELNS1_11target_archE908ELNS1_3gpuE7ELNS1_3repE0EEENS1_30default_config_static_selectorELNS0_4arch9wavefront6targetE1EEEvT1_ ; -- Begin function _ZN7rocprim17ROCPRIM_400000_NS6detail17trampoline_kernelINS0_14default_configENS1_27scan_by_key_config_selectorIiiEEZZNS1_16scan_by_key_implILNS1_25lookback_scan_determinismE0ELb1ES3_N6thrust23THRUST_200600_302600_NS6detail15normal_iteratorINS9_10device_ptrIiEEEESE_SE_iNS9_4plusIvEENS9_8equal_toIiEEiEE10hipError_tPvRmT2_T3_T4_T5_mT6_T7_P12ihipStream_tbENKUlT_T0_E_clISt17integral_constantIbLb1EESZ_EEDaSU_SV_EUlSU_E_NS1_11comp_targetILNS1_3genE3ELNS1_11target_archE908ELNS1_3gpuE7ELNS1_3repE0EEENS1_30default_config_static_selectorELNS0_4arch9wavefront6targetE1EEEvT1_
	.globl	_ZN7rocprim17ROCPRIM_400000_NS6detail17trampoline_kernelINS0_14default_configENS1_27scan_by_key_config_selectorIiiEEZZNS1_16scan_by_key_implILNS1_25lookback_scan_determinismE0ELb1ES3_N6thrust23THRUST_200600_302600_NS6detail15normal_iteratorINS9_10device_ptrIiEEEESE_SE_iNS9_4plusIvEENS9_8equal_toIiEEiEE10hipError_tPvRmT2_T3_T4_T5_mT6_T7_P12ihipStream_tbENKUlT_T0_E_clISt17integral_constantIbLb1EESZ_EEDaSU_SV_EUlSU_E_NS1_11comp_targetILNS1_3genE3ELNS1_11target_archE908ELNS1_3gpuE7ELNS1_3repE0EEENS1_30default_config_static_selectorELNS0_4arch9wavefront6targetE1EEEvT1_
	.p2align	8
	.type	_ZN7rocprim17ROCPRIM_400000_NS6detail17trampoline_kernelINS0_14default_configENS1_27scan_by_key_config_selectorIiiEEZZNS1_16scan_by_key_implILNS1_25lookback_scan_determinismE0ELb1ES3_N6thrust23THRUST_200600_302600_NS6detail15normal_iteratorINS9_10device_ptrIiEEEESE_SE_iNS9_4plusIvEENS9_8equal_toIiEEiEE10hipError_tPvRmT2_T3_T4_T5_mT6_T7_P12ihipStream_tbENKUlT_T0_E_clISt17integral_constantIbLb1EESZ_EEDaSU_SV_EUlSU_E_NS1_11comp_targetILNS1_3genE3ELNS1_11target_archE908ELNS1_3gpuE7ELNS1_3repE0EEENS1_30default_config_static_selectorELNS0_4arch9wavefront6targetE1EEEvT1_,@function
_ZN7rocprim17ROCPRIM_400000_NS6detail17trampoline_kernelINS0_14default_configENS1_27scan_by_key_config_selectorIiiEEZZNS1_16scan_by_key_implILNS1_25lookback_scan_determinismE0ELb1ES3_N6thrust23THRUST_200600_302600_NS6detail15normal_iteratorINS9_10device_ptrIiEEEESE_SE_iNS9_4plusIvEENS9_8equal_toIiEEiEE10hipError_tPvRmT2_T3_T4_T5_mT6_T7_P12ihipStream_tbENKUlT_T0_E_clISt17integral_constantIbLb1EESZ_EEDaSU_SV_EUlSU_E_NS1_11comp_targetILNS1_3genE3ELNS1_11target_archE908ELNS1_3gpuE7ELNS1_3repE0EEENS1_30default_config_static_selectorELNS0_4arch9wavefront6targetE1EEEvT1_: ; @_ZN7rocprim17ROCPRIM_400000_NS6detail17trampoline_kernelINS0_14default_configENS1_27scan_by_key_config_selectorIiiEEZZNS1_16scan_by_key_implILNS1_25lookback_scan_determinismE0ELb1ES3_N6thrust23THRUST_200600_302600_NS6detail15normal_iteratorINS9_10device_ptrIiEEEESE_SE_iNS9_4plusIvEENS9_8equal_toIiEEiEE10hipError_tPvRmT2_T3_T4_T5_mT6_T7_P12ihipStream_tbENKUlT_T0_E_clISt17integral_constantIbLb1EESZ_EEDaSU_SV_EUlSU_E_NS1_11comp_targetILNS1_3genE3ELNS1_11target_archE908ELNS1_3gpuE7ELNS1_3repE0EEENS1_30default_config_static_selectorELNS0_4arch9wavefront6targetE1EEEvT1_
; %bb.0:
	.section	.rodata,"a",@progbits
	.p2align	6, 0x0
	.amdhsa_kernel _ZN7rocprim17ROCPRIM_400000_NS6detail17trampoline_kernelINS0_14default_configENS1_27scan_by_key_config_selectorIiiEEZZNS1_16scan_by_key_implILNS1_25lookback_scan_determinismE0ELb1ES3_N6thrust23THRUST_200600_302600_NS6detail15normal_iteratorINS9_10device_ptrIiEEEESE_SE_iNS9_4plusIvEENS9_8equal_toIiEEiEE10hipError_tPvRmT2_T3_T4_T5_mT6_T7_P12ihipStream_tbENKUlT_T0_E_clISt17integral_constantIbLb1EESZ_EEDaSU_SV_EUlSU_E_NS1_11comp_targetILNS1_3genE3ELNS1_11target_archE908ELNS1_3gpuE7ELNS1_3repE0EEENS1_30default_config_static_selectorELNS0_4arch9wavefront6targetE1EEEvT1_
		.amdhsa_group_segment_fixed_size 0
		.amdhsa_private_segment_fixed_size 0
		.amdhsa_kernarg_size 112
		.amdhsa_user_sgpr_count 6
		.amdhsa_user_sgpr_private_segment_buffer 1
		.amdhsa_user_sgpr_dispatch_ptr 0
		.amdhsa_user_sgpr_queue_ptr 0
		.amdhsa_user_sgpr_kernarg_segment_ptr 1
		.amdhsa_user_sgpr_dispatch_id 0
		.amdhsa_user_sgpr_flat_scratch_init 0
		.amdhsa_user_sgpr_kernarg_preload_length 0
		.amdhsa_user_sgpr_kernarg_preload_offset 0
		.amdhsa_user_sgpr_private_segment_size 0
		.amdhsa_uses_dynamic_stack 0
		.amdhsa_system_sgpr_private_segment_wavefront_offset 0
		.amdhsa_system_sgpr_workgroup_id_x 1
		.amdhsa_system_sgpr_workgroup_id_y 0
		.amdhsa_system_sgpr_workgroup_id_z 0
		.amdhsa_system_sgpr_workgroup_info 0
		.amdhsa_system_vgpr_workitem_id 0
		.amdhsa_next_free_vgpr 1
		.amdhsa_next_free_sgpr 0
		.amdhsa_accum_offset 4
		.amdhsa_reserve_vcc 0
		.amdhsa_reserve_flat_scratch 0
		.amdhsa_float_round_mode_32 0
		.amdhsa_float_round_mode_16_64 0
		.amdhsa_float_denorm_mode_32 3
		.amdhsa_float_denorm_mode_16_64 3
		.amdhsa_dx10_clamp 1
		.amdhsa_ieee_mode 1
		.amdhsa_fp16_overflow 0
		.amdhsa_tg_split 0
		.amdhsa_exception_fp_ieee_invalid_op 0
		.amdhsa_exception_fp_denorm_src 0
		.amdhsa_exception_fp_ieee_div_zero 0
		.amdhsa_exception_fp_ieee_overflow 0
		.amdhsa_exception_fp_ieee_underflow 0
		.amdhsa_exception_fp_ieee_inexact 0
		.amdhsa_exception_int_div_zero 0
	.end_amdhsa_kernel
	.section	.text._ZN7rocprim17ROCPRIM_400000_NS6detail17trampoline_kernelINS0_14default_configENS1_27scan_by_key_config_selectorIiiEEZZNS1_16scan_by_key_implILNS1_25lookback_scan_determinismE0ELb1ES3_N6thrust23THRUST_200600_302600_NS6detail15normal_iteratorINS9_10device_ptrIiEEEESE_SE_iNS9_4plusIvEENS9_8equal_toIiEEiEE10hipError_tPvRmT2_T3_T4_T5_mT6_T7_P12ihipStream_tbENKUlT_T0_E_clISt17integral_constantIbLb1EESZ_EEDaSU_SV_EUlSU_E_NS1_11comp_targetILNS1_3genE3ELNS1_11target_archE908ELNS1_3gpuE7ELNS1_3repE0EEENS1_30default_config_static_selectorELNS0_4arch9wavefront6targetE1EEEvT1_,"axG",@progbits,_ZN7rocprim17ROCPRIM_400000_NS6detail17trampoline_kernelINS0_14default_configENS1_27scan_by_key_config_selectorIiiEEZZNS1_16scan_by_key_implILNS1_25lookback_scan_determinismE0ELb1ES3_N6thrust23THRUST_200600_302600_NS6detail15normal_iteratorINS9_10device_ptrIiEEEESE_SE_iNS9_4plusIvEENS9_8equal_toIiEEiEE10hipError_tPvRmT2_T3_T4_T5_mT6_T7_P12ihipStream_tbENKUlT_T0_E_clISt17integral_constantIbLb1EESZ_EEDaSU_SV_EUlSU_E_NS1_11comp_targetILNS1_3genE3ELNS1_11target_archE908ELNS1_3gpuE7ELNS1_3repE0EEENS1_30default_config_static_selectorELNS0_4arch9wavefront6targetE1EEEvT1_,comdat
.Lfunc_end546:
	.size	_ZN7rocprim17ROCPRIM_400000_NS6detail17trampoline_kernelINS0_14default_configENS1_27scan_by_key_config_selectorIiiEEZZNS1_16scan_by_key_implILNS1_25lookback_scan_determinismE0ELb1ES3_N6thrust23THRUST_200600_302600_NS6detail15normal_iteratorINS9_10device_ptrIiEEEESE_SE_iNS9_4plusIvEENS9_8equal_toIiEEiEE10hipError_tPvRmT2_T3_T4_T5_mT6_T7_P12ihipStream_tbENKUlT_T0_E_clISt17integral_constantIbLb1EESZ_EEDaSU_SV_EUlSU_E_NS1_11comp_targetILNS1_3genE3ELNS1_11target_archE908ELNS1_3gpuE7ELNS1_3repE0EEENS1_30default_config_static_selectorELNS0_4arch9wavefront6targetE1EEEvT1_, .Lfunc_end546-_ZN7rocprim17ROCPRIM_400000_NS6detail17trampoline_kernelINS0_14default_configENS1_27scan_by_key_config_selectorIiiEEZZNS1_16scan_by_key_implILNS1_25lookback_scan_determinismE0ELb1ES3_N6thrust23THRUST_200600_302600_NS6detail15normal_iteratorINS9_10device_ptrIiEEEESE_SE_iNS9_4plusIvEENS9_8equal_toIiEEiEE10hipError_tPvRmT2_T3_T4_T5_mT6_T7_P12ihipStream_tbENKUlT_T0_E_clISt17integral_constantIbLb1EESZ_EEDaSU_SV_EUlSU_E_NS1_11comp_targetILNS1_3genE3ELNS1_11target_archE908ELNS1_3gpuE7ELNS1_3repE0EEENS1_30default_config_static_selectorELNS0_4arch9wavefront6targetE1EEEvT1_
                                        ; -- End function
	.section	.AMDGPU.csdata,"",@progbits
; Kernel info:
; codeLenInByte = 0
; NumSgprs: 4
; NumVgprs: 0
; NumAgprs: 0
; TotalNumVgprs: 0
; ScratchSize: 0
; MemoryBound: 0
; FloatMode: 240
; IeeeMode: 1
; LDSByteSize: 0 bytes/workgroup (compile time only)
; SGPRBlocks: 0
; VGPRBlocks: 0
; NumSGPRsForWavesPerEU: 4
; NumVGPRsForWavesPerEU: 1
; AccumOffset: 4
; Occupancy: 8
; WaveLimiterHint : 0
; COMPUTE_PGM_RSRC2:SCRATCH_EN: 0
; COMPUTE_PGM_RSRC2:USER_SGPR: 6
; COMPUTE_PGM_RSRC2:TRAP_HANDLER: 0
; COMPUTE_PGM_RSRC2:TGID_X_EN: 1
; COMPUTE_PGM_RSRC2:TGID_Y_EN: 0
; COMPUTE_PGM_RSRC2:TGID_Z_EN: 0
; COMPUTE_PGM_RSRC2:TIDIG_COMP_CNT: 0
; COMPUTE_PGM_RSRC3_GFX90A:ACCUM_OFFSET: 0
; COMPUTE_PGM_RSRC3_GFX90A:TG_SPLIT: 0
	.section	.text._ZN7rocprim17ROCPRIM_400000_NS6detail17trampoline_kernelINS0_14default_configENS1_27scan_by_key_config_selectorIiiEEZZNS1_16scan_by_key_implILNS1_25lookback_scan_determinismE0ELb1ES3_N6thrust23THRUST_200600_302600_NS6detail15normal_iteratorINS9_10device_ptrIiEEEESE_SE_iNS9_4plusIvEENS9_8equal_toIiEEiEE10hipError_tPvRmT2_T3_T4_T5_mT6_T7_P12ihipStream_tbENKUlT_T0_E_clISt17integral_constantIbLb1EESZ_EEDaSU_SV_EUlSU_E_NS1_11comp_targetILNS1_3genE2ELNS1_11target_archE906ELNS1_3gpuE6ELNS1_3repE0EEENS1_30default_config_static_selectorELNS0_4arch9wavefront6targetE1EEEvT1_,"axG",@progbits,_ZN7rocprim17ROCPRIM_400000_NS6detail17trampoline_kernelINS0_14default_configENS1_27scan_by_key_config_selectorIiiEEZZNS1_16scan_by_key_implILNS1_25lookback_scan_determinismE0ELb1ES3_N6thrust23THRUST_200600_302600_NS6detail15normal_iteratorINS9_10device_ptrIiEEEESE_SE_iNS9_4plusIvEENS9_8equal_toIiEEiEE10hipError_tPvRmT2_T3_T4_T5_mT6_T7_P12ihipStream_tbENKUlT_T0_E_clISt17integral_constantIbLb1EESZ_EEDaSU_SV_EUlSU_E_NS1_11comp_targetILNS1_3genE2ELNS1_11target_archE906ELNS1_3gpuE6ELNS1_3repE0EEENS1_30default_config_static_selectorELNS0_4arch9wavefront6targetE1EEEvT1_,comdat
	.protected	_ZN7rocprim17ROCPRIM_400000_NS6detail17trampoline_kernelINS0_14default_configENS1_27scan_by_key_config_selectorIiiEEZZNS1_16scan_by_key_implILNS1_25lookback_scan_determinismE0ELb1ES3_N6thrust23THRUST_200600_302600_NS6detail15normal_iteratorINS9_10device_ptrIiEEEESE_SE_iNS9_4plusIvEENS9_8equal_toIiEEiEE10hipError_tPvRmT2_T3_T4_T5_mT6_T7_P12ihipStream_tbENKUlT_T0_E_clISt17integral_constantIbLb1EESZ_EEDaSU_SV_EUlSU_E_NS1_11comp_targetILNS1_3genE2ELNS1_11target_archE906ELNS1_3gpuE6ELNS1_3repE0EEENS1_30default_config_static_selectorELNS0_4arch9wavefront6targetE1EEEvT1_ ; -- Begin function _ZN7rocprim17ROCPRIM_400000_NS6detail17trampoline_kernelINS0_14default_configENS1_27scan_by_key_config_selectorIiiEEZZNS1_16scan_by_key_implILNS1_25lookback_scan_determinismE0ELb1ES3_N6thrust23THRUST_200600_302600_NS6detail15normal_iteratorINS9_10device_ptrIiEEEESE_SE_iNS9_4plusIvEENS9_8equal_toIiEEiEE10hipError_tPvRmT2_T3_T4_T5_mT6_T7_P12ihipStream_tbENKUlT_T0_E_clISt17integral_constantIbLb1EESZ_EEDaSU_SV_EUlSU_E_NS1_11comp_targetILNS1_3genE2ELNS1_11target_archE906ELNS1_3gpuE6ELNS1_3repE0EEENS1_30default_config_static_selectorELNS0_4arch9wavefront6targetE1EEEvT1_
	.globl	_ZN7rocprim17ROCPRIM_400000_NS6detail17trampoline_kernelINS0_14default_configENS1_27scan_by_key_config_selectorIiiEEZZNS1_16scan_by_key_implILNS1_25lookback_scan_determinismE0ELb1ES3_N6thrust23THRUST_200600_302600_NS6detail15normal_iteratorINS9_10device_ptrIiEEEESE_SE_iNS9_4plusIvEENS9_8equal_toIiEEiEE10hipError_tPvRmT2_T3_T4_T5_mT6_T7_P12ihipStream_tbENKUlT_T0_E_clISt17integral_constantIbLb1EESZ_EEDaSU_SV_EUlSU_E_NS1_11comp_targetILNS1_3genE2ELNS1_11target_archE906ELNS1_3gpuE6ELNS1_3repE0EEENS1_30default_config_static_selectorELNS0_4arch9wavefront6targetE1EEEvT1_
	.p2align	8
	.type	_ZN7rocprim17ROCPRIM_400000_NS6detail17trampoline_kernelINS0_14default_configENS1_27scan_by_key_config_selectorIiiEEZZNS1_16scan_by_key_implILNS1_25lookback_scan_determinismE0ELb1ES3_N6thrust23THRUST_200600_302600_NS6detail15normal_iteratorINS9_10device_ptrIiEEEESE_SE_iNS9_4plusIvEENS9_8equal_toIiEEiEE10hipError_tPvRmT2_T3_T4_T5_mT6_T7_P12ihipStream_tbENKUlT_T0_E_clISt17integral_constantIbLb1EESZ_EEDaSU_SV_EUlSU_E_NS1_11comp_targetILNS1_3genE2ELNS1_11target_archE906ELNS1_3gpuE6ELNS1_3repE0EEENS1_30default_config_static_selectorELNS0_4arch9wavefront6targetE1EEEvT1_,@function
_ZN7rocprim17ROCPRIM_400000_NS6detail17trampoline_kernelINS0_14default_configENS1_27scan_by_key_config_selectorIiiEEZZNS1_16scan_by_key_implILNS1_25lookback_scan_determinismE0ELb1ES3_N6thrust23THRUST_200600_302600_NS6detail15normal_iteratorINS9_10device_ptrIiEEEESE_SE_iNS9_4plusIvEENS9_8equal_toIiEEiEE10hipError_tPvRmT2_T3_T4_T5_mT6_T7_P12ihipStream_tbENKUlT_T0_E_clISt17integral_constantIbLb1EESZ_EEDaSU_SV_EUlSU_E_NS1_11comp_targetILNS1_3genE2ELNS1_11target_archE906ELNS1_3gpuE6ELNS1_3repE0EEENS1_30default_config_static_selectorELNS0_4arch9wavefront6targetE1EEEvT1_: ; @_ZN7rocprim17ROCPRIM_400000_NS6detail17trampoline_kernelINS0_14default_configENS1_27scan_by_key_config_selectorIiiEEZZNS1_16scan_by_key_implILNS1_25lookback_scan_determinismE0ELb1ES3_N6thrust23THRUST_200600_302600_NS6detail15normal_iteratorINS9_10device_ptrIiEEEESE_SE_iNS9_4plusIvEENS9_8equal_toIiEEiEE10hipError_tPvRmT2_T3_T4_T5_mT6_T7_P12ihipStream_tbENKUlT_T0_E_clISt17integral_constantIbLb1EESZ_EEDaSU_SV_EUlSU_E_NS1_11comp_targetILNS1_3genE2ELNS1_11target_archE906ELNS1_3gpuE6ELNS1_3repE0EEENS1_30default_config_static_selectorELNS0_4arch9wavefront6targetE1EEEvT1_
; %bb.0:
	.section	.rodata,"a",@progbits
	.p2align	6, 0x0
	.amdhsa_kernel _ZN7rocprim17ROCPRIM_400000_NS6detail17trampoline_kernelINS0_14default_configENS1_27scan_by_key_config_selectorIiiEEZZNS1_16scan_by_key_implILNS1_25lookback_scan_determinismE0ELb1ES3_N6thrust23THRUST_200600_302600_NS6detail15normal_iteratorINS9_10device_ptrIiEEEESE_SE_iNS9_4plusIvEENS9_8equal_toIiEEiEE10hipError_tPvRmT2_T3_T4_T5_mT6_T7_P12ihipStream_tbENKUlT_T0_E_clISt17integral_constantIbLb1EESZ_EEDaSU_SV_EUlSU_E_NS1_11comp_targetILNS1_3genE2ELNS1_11target_archE906ELNS1_3gpuE6ELNS1_3repE0EEENS1_30default_config_static_selectorELNS0_4arch9wavefront6targetE1EEEvT1_
		.amdhsa_group_segment_fixed_size 0
		.amdhsa_private_segment_fixed_size 0
		.amdhsa_kernarg_size 112
		.amdhsa_user_sgpr_count 6
		.amdhsa_user_sgpr_private_segment_buffer 1
		.amdhsa_user_sgpr_dispatch_ptr 0
		.amdhsa_user_sgpr_queue_ptr 0
		.amdhsa_user_sgpr_kernarg_segment_ptr 1
		.amdhsa_user_sgpr_dispatch_id 0
		.amdhsa_user_sgpr_flat_scratch_init 0
		.amdhsa_user_sgpr_kernarg_preload_length 0
		.amdhsa_user_sgpr_kernarg_preload_offset 0
		.amdhsa_user_sgpr_private_segment_size 0
		.amdhsa_uses_dynamic_stack 0
		.amdhsa_system_sgpr_private_segment_wavefront_offset 0
		.amdhsa_system_sgpr_workgroup_id_x 1
		.amdhsa_system_sgpr_workgroup_id_y 0
		.amdhsa_system_sgpr_workgroup_id_z 0
		.amdhsa_system_sgpr_workgroup_info 0
		.amdhsa_system_vgpr_workitem_id 0
		.amdhsa_next_free_vgpr 1
		.amdhsa_next_free_sgpr 0
		.amdhsa_accum_offset 4
		.amdhsa_reserve_vcc 0
		.amdhsa_reserve_flat_scratch 0
		.amdhsa_float_round_mode_32 0
		.amdhsa_float_round_mode_16_64 0
		.amdhsa_float_denorm_mode_32 3
		.amdhsa_float_denorm_mode_16_64 3
		.amdhsa_dx10_clamp 1
		.amdhsa_ieee_mode 1
		.amdhsa_fp16_overflow 0
		.amdhsa_tg_split 0
		.amdhsa_exception_fp_ieee_invalid_op 0
		.amdhsa_exception_fp_denorm_src 0
		.amdhsa_exception_fp_ieee_div_zero 0
		.amdhsa_exception_fp_ieee_overflow 0
		.amdhsa_exception_fp_ieee_underflow 0
		.amdhsa_exception_fp_ieee_inexact 0
		.amdhsa_exception_int_div_zero 0
	.end_amdhsa_kernel
	.section	.text._ZN7rocprim17ROCPRIM_400000_NS6detail17trampoline_kernelINS0_14default_configENS1_27scan_by_key_config_selectorIiiEEZZNS1_16scan_by_key_implILNS1_25lookback_scan_determinismE0ELb1ES3_N6thrust23THRUST_200600_302600_NS6detail15normal_iteratorINS9_10device_ptrIiEEEESE_SE_iNS9_4plusIvEENS9_8equal_toIiEEiEE10hipError_tPvRmT2_T3_T4_T5_mT6_T7_P12ihipStream_tbENKUlT_T0_E_clISt17integral_constantIbLb1EESZ_EEDaSU_SV_EUlSU_E_NS1_11comp_targetILNS1_3genE2ELNS1_11target_archE906ELNS1_3gpuE6ELNS1_3repE0EEENS1_30default_config_static_selectorELNS0_4arch9wavefront6targetE1EEEvT1_,"axG",@progbits,_ZN7rocprim17ROCPRIM_400000_NS6detail17trampoline_kernelINS0_14default_configENS1_27scan_by_key_config_selectorIiiEEZZNS1_16scan_by_key_implILNS1_25lookback_scan_determinismE0ELb1ES3_N6thrust23THRUST_200600_302600_NS6detail15normal_iteratorINS9_10device_ptrIiEEEESE_SE_iNS9_4plusIvEENS9_8equal_toIiEEiEE10hipError_tPvRmT2_T3_T4_T5_mT6_T7_P12ihipStream_tbENKUlT_T0_E_clISt17integral_constantIbLb1EESZ_EEDaSU_SV_EUlSU_E_NS1_11comp_targetILNS1_3genE2ELNS1_11target_archE906ELNS1_3gpuE6ELNS1_3repE0EEENS1_30default_config_static_selectorELNS0_4arch9wavefront6targetE1EEEvT1_,comdat
.Lfunc_end547:
	.size	_ZN7rocprim17ROCPRIM_400000_NS6detail17trampoline_kernelINS0_14default_configENS1_27scan_by_key_config_selectorIiiEEZZNS1_16scan_by_key_implILNS1_25lookback_scan_determinismE0ELb1ES3_N6thrust23THRUST_200600_302600_NS6detail15normal_iteratorINS9_10device_ptrIiEEEESE_SE_iNS9_4plusIvEENS9_8equal_toIiEEiEE10hipError_tPvRmT2_T3_T4_T5_mT6_T7_P12ihipStream_tbENKUlT_T0_E_clISt17integral_constantIbLb1EESZ_EEDaSU_SV_EUlSU_E_NS1_11comp_targetILNS1_3genE2ELNS1_11target_archE906ELNS1_3gpuE6ELNS1_3repE0EEENS1_30default_config_static_selectorELNS0_4arch9wavefront6targetE1EEEvT1_, .Lfunc_end547-_ZN7rocprim17ROCPRIM_400000_NS6detail17trampoline_kernelINS0_14default_configENS1_27scan_by_key_config_selectorIiiEEZZNS1_16scan_by_key_implILNS1_25lookback_scan_determinismE0ELb1ES3_N6thrust23THRUST_200600_302600_NS6detail15normal_iteratorINS9_10device_ptrIiEEEESE_SE_iNS9_4plusIvEENS9_8equal_toIiEEiEE10hipError_tPvRmT2_T3_T4_T5_mT6_T7_P12ihipStream_tbENKUlT_T0_E_clISt17integral_constantIbLb1EESZ_EEDaSU_SV_EUlSU_E_NS1_11comp_targetILNS1_3genE2ELNS1_11target_archE906ELNS1_3gpuE6ELNS1_3repE0EEENS1_30default_config_static_selectorELNS0_4arch9wavefront6targetE1EEEvT1_
                                        ; -- End function
	.section	.AMDGPU.csdata,"",@progbits
; Kernel info:
; codeLenInByte = 0
; NumSgprs: 4
; NumVgprs: 0
; NumAgprs: 0
; TotalNumVgprs: 0
; ScratchSize: 0
; MemoryBound: 0
; FloatMode: 240
; IeeeMode: 1
; LDSByteSize: 0 bytes/workgroup (compile time only)
; SGPRBlocks: 0
; VGPRBlocks: 0
; NumSGPRsForWavesPerEU: 4
; NumVGPRsForWavesPerEU: 1
; AccumOffset: 4
; Occupancy: 8
; WaveLimiterHint : 0
; COMPUTE_PGM_RSRC2:SCRATCH_EN: 0
; COMPUTE_PGM_RSRC2:USER_SGPR: 6
; COMPUTE_PGM_RSRC2:TRAP_HANDLER: 0
; COMPUTE_PGM_RSRC2:TGID_X_EN: 1
; COMPUTE_PGM_RSRC2:TGID_Y_EN: 0
; COMPUTE_PGM_RSRC2:TGID_Z_EN: 0
; COMPUTE_PGM_RSRC2:TIDIG_COMP_CNT: 0
; COMPUTE_PGM_RSRC3_GFX90A:ACCUM_OFFSET: 0
; COMPUTE_PGM_RSRC3_GFX90A:TG_SPLIT: 0
	.section	.text._ZN7rocprim17ROCPRIM_400000_NS6detail17trampoline_kernelINS0_14default_configENS1_27scan_by_key_config_selectorIiiEEZZNS1_16scan_by_key_implILNS1_25lookback_scan_determinismE0ELb1ES3_N6thrust23THRUST_200600_302600_NS6detail15normal_iteratorINS9_10device_ptrIiEEEESE_SE_iNS9_4plusIvEENS9_8equal_toIiEEiEE10hipError_tPvRmT2_T3_T4_T5_mT6_T7_P12ihipStream_tbENKUlT_T0_E_clISt17integral_constantIbLb1EESZ_EEDaSU_SV_EUlSU_E_NS1_11comp_targetILNS1_3genE10ELNS1_11target_archE1200ELNS1_3gpuE4ELNS1_3repE0EEENS1_30default_config_static_selectorELNS0_4arch9wavefront6targetE1EEEvT1_,"axG",@progbits,_ZN7rocprim17ROCPRIM_400000_NS6detail17trampoline_kernelINS0_14default_configENS1_27scan_by_key_config_selectorIiiEEZZNS1_16scan_by_key_implILNS1_25lookback_scan_determinismE0ELb1ES3_N6thrust23THRUST_200600_302600_NS6detail15normal_iteratorINS9_10device_ptrIiEEEESE_SE_iNS9_4plusIvEENS9_8equal_toIiEEiEE10hipError_tPvRmT2_T3_T4_T5_mT6_T7_P12ihipStream_tbENKUlT_T0_E_clISt17integral_constantIbLb1EESZ_EEDaSU_SV_EUlSU_E_NS1_11comp_targetILNS1_3genE10ELNS1_11target_archE1200ELNS1_3gpuE4ELNS1_3repE0EEENS1_30default_config_static_selectorELNS0_4arch9wavefront6targetE1EEEvT1_,comdat
	.protected	_ZN7rocprim17ROCPRIM_400000_NS6detail17trampoline_kernelINS0_14default_configENS1_27scan_by_key_config_selectorIiiEEZZNS1_16scan_by_key_implILNS1_25lookback_scan_determinismE0ELb1ES3_N6thrust23THRUST_200600_302600_NS6detail15normal_iteratorINS9_10device_ptrIiEEEESE_SE_iNS9_4plusIvEENS9_8equal_toIiEEiEE10hipError_tPvRmT2_T3_T4_T5_mT6_T7_P12ihipStream_tbENKUlT_T0_E_clISt17integral_constantIbLb1EESZ_EEDaSU_SV_EUlSU_E_NS1_11comp_targetILNS1_3genE10ELNS1_11target_archE1200ELNS1_3gpuE4ELNS1_3repE0EEENS1_30default_config_static_selectorELNS0_4arch9wavefront6targetE1EEEvT1_ ; -- Begin function _ZN7rocprim17ROCPRIM_400000_NS6detail17trampoline_kernelINS0_14default_configENS1_27scan_by_key_config_selectorIiiEEZZNS1_16scan_by_key_implILNS1_25lookback_scan_determinismE0ELb1ES3_N6thrust23THRUST_200600_302600_NS6detail15normal_iteratorINS9_10device_ptrIiEEEESE_SE_iNS9_4plusIvEENS9_8equal_toIiEEiEE10hipError_tPvRmT2_T3_T4_T5_mT6_T7_P12ihipStream_tbENKUlT_T0_E_clISt17integral_constantIbLb1EESZ_EEDaSU_SV_EUlSU_E_NS1_11comp_targetILNS1_3genE10ELNS1_11target_archE1200ELNS1_3gpuE4ELNS1_3repE0EEENS1_30default_config_static_selectorELNS0_4arch9wavefront6targetE1EEEvT1_
	.globl	_ZN7rocprim17ROCPRIM_400000_NS6detail17trampoline_kernelINS0_14default_configENS1_27scan_by_key_config_selectorIiiEEZZNS1_16scan_by_key_implILNS1_25lookback_scan_determinismE0ELb1ES3_N6thrust23THRUST_200600_302600_NS6detail15normal_iteratorINS9_10device_ptrIiEEEESE_SE_iNS9_4plusIvEENS9_8equal_toIiEEiEE10hipError_tPvRmT2_T3_T4_T5_mT6_T7_P12ihipStream_tbENKUlT_T0_E_clISt17integral_constantIbLb1EESZ_EEDaSU_SV_EUlSU_E_NS1_11comp_targetILNS1_3genE10ELNS1_11target_archE1200ELNS1_3gpuE4ELNS1_3repE0EEENS1_30default_config_static_selectorELNS0_4arch9wavefront6targetE1EEEvT1_
	.p2align	8
	.type	_ZN7rocprim17ROCPRIM_400000_NS6detail17trampoline_kernelINS0_14default_configENS1_27scan_by_key_config_selectorIiiEEZZNS1_16scan_by_key_implILNS1_25lookback_scan_determinismE0ELb1ES3_N6thrust23THRUST_200600_302600_NS6detail15normal_iteratorINS9_10device_ptrIiEEEESE_SE_iNS9_4plusIvEENS9_8equal_toIiEEiEE10hipError_tPvRmT2_T3_T4_T5_mT6_T7_P12ihipStream_tbENKUlT_T0_E_clISt17integral_constantIbLb1EESZ_EEDaSU_SV_EUlSU_E_NS1_11comp_targetILNS1_3genE10ELNS1_11target_archE1200ELNS1_3gpuE4ELNS1_3repE0EEENS1_30default_config_static_selectorELNS0_4arch9wavefront6targetE1EEEvT1_,@function
_ZN7rocprim17ROCPRIM_400000_NS6detail17trampoline_kernelINS0_14default_configENS1_27scan_by_key_config_selectorIiiEEZZNS1_16scan_by_key_implILNS1_25lookback_scan_determinismE0ELb1ES3_N6thrust23THRUST_200600_302600_NS6detail15normal_iteratorINS9_10device_ptrIiEEEESE_SE_iNS9_4plusIvEENS9_8equal_toIiEEiEE10hipError_tPvRmT2_T3_T4_T5_mT6_T7_P12ihipStream_tbENKUlT_T0_E_clISt17integral_constantIbLb1EESZ_EEDaSU_SV_EUlSU_E_NS1_11comp_targetILNS1_3genE10ELNS1_11target_archE1200ELNS1_3gpuE4ELNS1_3repE0EEENS1_30default_config_static_selectorELNS0_4arch9wavefront6targetE1EEEvT1_: ; @_ZN7rocprim17ROCPRIM_400000_NS6detail17trampoline_kernelINS0_14default_configENS1_27scan_by_key_config_selectorIiiEEZZNS1_16scan_by_key_implILNS1_25lookback_scan_determinismE0ELb1ES3_N6thrust23THRUST_200600_302600_NS6detail15normal_iteratorINS9_10device_ptrIiEEEESE_SE_iNS9_4plusIvEENS9_8equal_toIiEEiEE10hipError_tPvRmT2_T3_T4_T5_mT6_T7_P12ihipStream_tbENKUlT_T0_E_clISt17integral_constantIbLb1EESZ_EEDaSU_SV_EUlSU_E_NS1_11comp_targetILNS1_3genE10ELNS1_11target_archE1200ELNS1_3gpuE4ELNS1_3repE0EEENS1_30default_config_static_selectorELNS0_4arch9wavefront6targetE1EEEvT1_
; %bb.0:
	.section	.rodata,"a",@progbits
	.p2align	6, 0x0
	.amdhsa_kernel _ZN7rocprim17ROCPRIM_400000_NS6detail17trampoline_kernelINS0_14default_configENS1_27scan_by_key_config_selectorIiiEEZZNS1_16scan_by_key_implILNS1_25lookback_scan_determinismE0ELb1ES3_N6thrust23THRUST_200600_302600_NS6detail15normal_iteratorINS9_10device_ptrIiEEEESE_SE_iNS9_4plusIvEENS9_8equal_toIiEEiEE10hipError_tPvRmT2_T3_T4_T5_mT6_T7_P12ihipStream_tbENKUlT_T0_E_clISt17integral_constantIbLb1EESZ_EEDaSU_SV_EUlSU_E_NS1_11comp_targetILNS1_3genE10ELNS1_11target_archE1200ELNS1_3gpuE4ELNS1_3repE0EEENS1_30default_config_static_selectorELNS0_4arch9wavefront6targetE1EEEvT1_
		.amdhsa_group_segment_fixed_size 0
		.amdhsa_private_segment_fixed_size 0
		.amdhsa_kernarg_size 112
		.amdhsa_user_sgpr_count 6
		.amdhsa_user_sgpr_private_segment_buffer 1
		.amdhsa_user_sgpr_dispatch_ptr 0
		.amdhsa_user_sgpr_queue_ptr 0
		.amdhsa_user_sgpr_kernarg_segment_ptr 1
		.amdhsa_user_sgpr_dispatch_id 0
		.amdhsa_user_sgpr_flat_scratch_init 0
		.amdhsa_user_sgpr_kernarg_preload_length 0
		.amdhsa_user_sgpr_kernarg_preload_offset 0
		.amdhsa_user_sgpr_private_segment_size 0
		.amdhsa_uses_dynamic_stack 0
		.amdhsa_system_sgpr_private_segment_wavefront_offset 0
		.amdhsa_system_sgpr_workgroup_id_x 1
		.amdhsa_system_sgpr_workgroup_id_y 0
		.amdhsa_system_sgpr_workgroup_id_z 0
		.amdhsa_system_sgpr_workgroup_info 0
		.amdhsa_system_vgpr_workitem_id 0
		.amdhsa_next_free_vgpr 1
		.amdhsa_next_free_sgpr 0
		.amdhsa_accum_offset 4
		.amdhsa_reserve_vcc 0
		.amdhsa_reserve_flat_scratch 0
		.amdhsa_float_round_mode_32 0
		.amdhsa_float_round_mode_16_64 0
		.amdhsa_float_denorm_mode_32 3
		.amdhsa_float_denorm_mode_16_64 3
		.amdhsa_dx10_clamp 1
		.amdhsa_ieee_mode 1
		.amdhsa_fp16_overflow 0
		.amdhsa_tg_split 0
		.amdhsa_exception_fp_ieee_invalid_op 0
		.amdhsa_exception_fp_denorm_src 0
		.amdhsa_exception_fp_ieee_div_zero 0
		.amdhsa_exception_fp_ieee_overflow 0
		.amdhsa_exception_fp_ieee_underflow 0
		.amdhsa_exception_fp_ieee_inexact 0
		.amdhsa_exception_int_div_zero 0
	.end_amdhsa_kernel
	.section	.text._ZN7rocprim17ROCPRIM_400000_NS6detail17trampoline_kernelINS0_14default_configENS1_27scan_by_key_config_selectorIiiEEZZNS1_16scan_by_key_implILNS1_25lookback_scan_determinismE0ELb1ES3_N6thrust23THRUST_200600_302600_NS6detail15normal_iteratorINS9_10device_ptrIiEEEESE_SE_iNS9_4plusIvEENS9_8equal_toIiEEiEE10hipError_tPvRmT2_T3_T4_T5_mT6_T7_P12ihipStream_tbENKUlT_T0_E_clISt17integral_constantIbLb1EESZ_EEDaSU_SV_EUlSU_E_NS1_11comp_targetILNS1_3genE10ELNS1_11target_archE1200ELNS1_3gpuE4ELNS1_3repE0EEENS1_30default_config_static_selectorELNS0_4arch9wavefront6targetE1EEEvT1_,"axG",@progbits,_ZN7rocprim17ROCPRIM_400000_NS6detail17trampoline_kernelINS0_14default_configENS1_27scan_by_key_config_selectorIiiEEZZNS1_16scan_by_key_implILNS1_25lookback_scan_determinismE0ELb1ES3_N6thrust23THRUST_200600_302600_NS6detail15normal_iteratorINS9_10device_ptrIiEEEESE_SE_iNS9_4plusIvEENS9_8equal_toIiEEiEE10hipError_tPvRmT2_T3_T4_T5_mT6_T7_P12ihipStream_tbENKUlT_T0_E_clISt17integral_constantIbLb1EESZ_EEDaSU_SV_EUlSU_E_NS1_11comp_targetILNS1_3genE10ELNS1_11target_archE1200ELNS1_3gpuE4ELNS1_3repE0EEENS1_30default_config_static_selectorELNS0_4arch9wavefront6targetE1EEEvT1_,comdat
.Lfunc_end548:
	.size	_ZN7rocprim17ROCPRIM_400000_NS6detail17trampoline_kernelINS0_14default_configENS1_27scan_by_key_config_selectorIiiEEZZNS1_16scan_by_key_implILNS1_25lookback_scan_determinismE0ELb1ES3_N6thrust23THRUST_200600_302600_NS6detail15normal_iteratorINS9_10device_ptrIiEEEESE_SE_iNS9_4plusIvEENS9_8equal_toIiEEiEE10hipError_tPvRmT2_T3_T4_T5_mT6_T7_P12ihipStream_tbENKUlT_T0_E_clISt17integral_constantIbLb1EESZ_EEDaSU_SV_EUlSU_E_NS1_11comp_targetILNS1_3genE10ELNS1_11target_archE1200ELNS1_3gpuE4ELNS1_3repE0EEENS1_30default_config_static_selectorELNS0_4arch9wavefront6targetE1EEEvT1_, .Lfunc_end548-_ZN7rocprim17ROCPRIM_400000_NS6detail17trampoline_kernelINS0_14default_configENS1_27scan_by_key_config_selectorIiiEEZZNS1_16scan_by_key_implILNS1_25lookback_scan_determinismE0ELb1ES3_N6thrust23THRUST_200600_302600_NS6detail15normal_iteratorINS9_10device_ptrIiEEEESE_SE_iNS9_4plusIvEENS9_8equal_toIiEEiEE10hipError_tPvRmT2_T3_T4_T5_mT6_T7_P12ihipStream_tbENKUlT_T0_E_clISt17integral_constantIbLb1EESZ_EEDaSU_SV_EUlSU_E_NS1_11comp_targetILNS1_3genE10ELNS1_11target_archE1200ELNS1_3gpuE4ELNS1_3repE0EEENS1_30default_config_static_selectorELNS0_4arch9wavefront6targetE1EEEvT1_
                                        ; -- End function
	.section	.AMDGPU.csdata,"",@progbits
; Kernel info:
; codeLenInByte = 0
; NumSgprs: 4
; NumVgprs: 0
; NumAgprs: 0
; TotalNumVgprs: 0
; ScratchSize: 0
; MemoryBound: 0
; FloatMode: 240
; IeeeMode: 1
; LDSByteSize: 0 bytes/workgroup (compile time only)
; SGPRBlocks: 0
; VGPRBlocks: 0
; NumSGPRsForWavesPerEU: 4
; NumVGPRsForWavesPerEU: 1
; AccumOffset: 4
; Occupancy: 8
; WaveLimiterHint : 0
; COMPUTE_PGM_RSRC2:SCRATCH_EN: 0
; COMPUTE_PGM_RSRC2:USER_SGPR: 6
; COMPUTE_PGM_RSRC2:TRAP_HANDLER: 0
; COMPUTE_PGM_RSRC2:TGID_X_EN: 1
; COMPUTE_PGM_RSRC2:TGID_Y_EN: 0
; COMPUTE_PGM_RSRC2:TGID_Z_EN: 0
; COMPUTE_PGM_RSRC2:TIDIG_COMP_CNT: 0
; COMPUTE_PGM_RSRC3_GFX90A:ACCUM_OFFSET: 0
; COMPUTE_PGM_RSRC3_GFX90A:TG_SPLIT: 0
	.section	.text._ZN7rocprim17ROCPRIM_400000_NS6detail17trampoline_kernelINS0_14default_configENS1_27scan_by_key_config_selectorIiiEEZZNS1_16scan_by_key_implILNS1_25lookback_scan_determinismE0ELb1ES3_N6thrust23THRUST_200600_302600_NS6detail15normal_iteratorINS9_10device_ptrIiEEEESE_SE_iNS9_4plusIvEENS9_8equal_toIiEEiEE10hipError_tPvRmT2_T3_T4_T5_mT6_T7_P12ihipStream_tbENKUlT_T0_E_clISt17integral_constantIbLb1EESZ_EEDaSU_SV_EUlSU_E_NS1_11comp_targetILNS1_3genE9ELNS1_11target_archE1100ELNS1_3gpuE3ELNS1_3repE0EEENS1_30default_config_static_selectorELNS0_4arch9wavefront6targetE1EEEvT1_,"axG",@progbits,_ZN7rocprim17ROCPRIM_400000_NS6detail17trampoline_kernelINS0_14default_configENS1_27scan_by_key_config_selectorIiiEEZZNS1_16scan_by_key_implILNS1_25lookback_scan_determinismE0ELb1ES3_N6thrust23THRUST_200600_302600_NS6detail15normal_iteratorINS9_10device_ptrIiEEEESE_SE_iNS9_4plusIvEENS9_8equal_toIiEEiEE10hipError_tPvRmT2_T3_T4_T5_mT6_T7_P12ihipStream_tbENKUlT_T0_E_clISt17integral_constantIbLb1EESZ_EEDaSU_SV_EUlSU_E_NS1_11comp_targetILNS1_3genE9ELNS1_11target_archE1100ELNS1_3gpuE3ELNS1_3repE0EEENS1_30default_config_static_selectorELNS0_4arch9wavefront6targetE1EEEvT1_,comdat
	.protected	_ZN7rocprim17ROCPRIM_400000_NS6detail17trampoline_kernelINS0_14default_configENS1_27scan_by_key_config_selectorIiiEEZZNS1_16scan_by_key_implILNS1_25lookback_scan_determinismE0ELb1ES3_N6thrust23THRUST_200600_302600_NS6detail15normal_iteratorINS9_10device_ptrIiEEEESE_SE_iNS9_4plusIvEENS9_8equal_toIiEEiEE10hipError_tPvRmT2_T3_T4_T5_mT6_T7_P12ihipStream_tbENKUlT_T0_E_clISt17integral_constantIbLb1EESZ_EEDaSU_SV_EUlSU_E_NS1_11comp_targetILNS1_3genE9ELNS1_11target_archE1100ELNS1_3gpuE3ELNS1_3repE0EEENS1_30default_config_static_selectorELNS0_4arch9wavefront6targetE1EEEvT1_ ; -- Begin function _ZN7rocprim17ROCPRIM_400000_NS6detail17trampoline_kernelINS0_14default_configENS1_27scan_by_key_config_selectorIiiEEZZNS1_16scan_by_key_implILNS1_25lookback_scan_determinismE0ELb1ES3_N6thrust23THRUST_200600_302600_NS6detail15normal_iteratorINS9_10device_ptrIiEEEESE_SE_iNS9_4plusIvEENS9_8equal_toIiEEiEE10hipError_tPvRmT2_T3_T4_T5_mT6_T7_P12ihipStream_tbENKUlT_T0_E_clISt17integral_constantIbLb1EESZ_EEDaSU_SV_EUlSU_E_NS1_11comp_targetILNS1_3genE9ELNS1_11target_archE1100ELNS1_3gpuE3ELNS1_3repE0EEENS1_30default_config_static_selectorELNS0_4arch9wavefront6targetE1EEEvT1_
	.globl	_ZN7rocprim17ROCPRIM_400000_NS6detail17trampoline_kernelINS0_14default_configENS1_27scan_by_key_config_selectorIiiEEZZNS1_16scan_by_key_implILNS1_25lookback_scan_determinismE0ELb1ES3_N6thrust23THRUST_200600_302600_NS6detail15normal_iteratorINS9_10device_ptrIiEEEESE_SE_iNS9_4plusIvEENS9_8equal_toIiEEiEE10hipError_tPvRmT2_T3_T4_T5_mT6_T7_P12ihipStream_tbENKUlT_T0_E_clISt17integral_constantIbLb1EESZ_EEDaSU_SV_EUlSU_E_NS1_11comp_targetILNS1_3genE9ELNS1_11target_archE1100ELNS1_3gpuE3ELNS1_3repE0EEENS1_30default_config_static_selectorELNS0_4arch9wavefront6targetE1EEEvT1_
	.p2align	8
	.type	_ZN7rocprim17ROCPRIM_400000_NS6detail17trampoline_kernelINS0_14default_configENS1_27scan_by_key_config_selectorIiiEEZZNS1_16scan_by_key_implILNS1_25lookback_scan_determinismE0ELb1ES3_N6thrust23THRUST_200600_302600_NS6detail15normal_iteratorINS9_10device_ptrIiEEEESE_SE_iNS9_4plusIvEENS9_8equal_toIiEEiEE10hipError_tPvRmT2_T3_T4_T5_mT6_T7_P12ihipStream_tbENKUlT_T0_E_clISt17integral_constantIbLb1EESZ_EEDaSU_SV_EUlSU_E_NS1_11comp_targetILNS1_3genE9ELNS1_11target_archE1100ELNS1_3gpuE3ELNS1_3repE0EEENS1_30default_config_static_selectorELNS0_4arch9wavefront6targetE1EEEvT1_,@function
_ZN7rocprim17ROCPRIM_400000_NS6detail17trampoline_kernelINS0_14default_configENS1_27scan_by_key_config_selectorIiiEEZZNS1_16scan_by_key_implILNS1_25lookback_scan_determinismE0ELb1ES3_N6thrust23THRUST_200600_302600_NS6detail15normal_iteratorINS9_10device_ptrIiEEEESE_SE_iNS9_4plusIvEENS9_8equal_toIiEEiEE10hipError_tPvRmT2_T3_T4_T5_mT6_T7_P12ihipStream_tbENKUlT_T0_E_clISt17integral_constantIbLb1EESZ_EEDaSU_SV_EUlSU_E_NS1_11comp_targetILNS1_3genE9ELNS1_11target_archE1100ELNS1_3gpuE3ELNS1_3repE0EEENS1_30default_config_static_selectorELNS0_4arch9wavefront6targetE1EEEvT1_: ; @_ZN7rocprim17ROCPRIM_400000_NS6detail17trampoline_kernelINS0_14default_configENS1_27scan_by_key_config_selectorIiiEEZZNS1_16scan_by_key_implILNS1_25lookback_scan_determinismE0ELb1ES3_N6thrust23THRUST_200600_302600_NS6detail15normal_iteratorINS9_10device_ptrIiEEEESE_SE_iNS9_4plusIvEENS9_8equal_toIiEEiEE10hipError_tPvRmT2_T3_T4_T5_mT6_T7_P12ihipStream_tbENKUlT_T0_E_clISt17integral_constantIbLb1EESZ_EEDaSU_SV_EUlSU_E_NS1_11comp_targetILNS1_3genE9ELNS1_11target_archE1100ELNS1_3gpuE3ELNS1_3repE0EEENS1_30default_config_static_selectorELNS0_4arch9wavefront6targetE1EEEvT1_
; %bb.0:
	.section	.rodata,"a",@progbits
	.p2align	6, 0x0
	.amdhsa_kernel _ZN7rocprim17ROCPRIM_400000_NS6detail17trampoline_kernelINS0_14default_configENS1_27scan_by_key_config_selectorIiiEEZZNS1_16scan_by_key_implILNS1_25lookback_scan_determinismE0ELb1ES3_N6thrust23THRUST_200600_302600_NS6detail15normal_iteratorINS9_10device_ptrIiEEEESE_SE_iNS9_4plusIvEENS9_8equal_toIiEEiEE10hipError_tPvRmT2_T3_T4_T5_mT6_T7_P12ihipStream_tbENKUlT_T0_E_clISt17integral_constantIbLb1EESZ_EEDaSU_SV_EUlSU_E_NS1_11comp_targetILNS1_3genE9ELNS1_11target_archE1100ELNS1_3gpuE3ELNS1_3repE0EEENS1_30default_config_static_selectorELNS0_4arch9wavefront6targetE1EEEvT1_
		.amdhsa_group_segment_fixed_size 0
		.amdhsa_private_segment_fixed_size 0
		.amdhsa_kernarg_size 112
		.amdhsa_user_sgpr_count 6
		.amdhsa_user_sgpr_private_segment_buffer 1
		.amdhsa_user_sgpr_dispatch_ptr 0
		.amdhsa_user_sgpr_queue_ptr 0
		.amdhsa_user_sgpr_kernarg_segment_ptr 1
		.amdhsa_user_sgpr_dispatch_id 0
		.amdhsa_user_sgpr_flat_scratch_init 0
		.amdhsa_user_sgpr_kernarg_preload_length 0
		.amdhsa_user_sgpr_kernarg_preload_offset 0
		.amdhsa_user_sgpr_private_segment_size 0
		.amdhsa_uses_dynamic_stack 0
		.amdhsa_system_sgpr_private_segment_wavefront_offset 0
		.amdhsa_system_sgpr_workgroup_id_x 1
		.amdhsa_system_sgpr_workgroup_id_y 0
		.amdhsa_system_sgpr_workgroup_id_z 0
		.amdhsa_system_sgpr_workgroup_info 0
		.amdhsa_system_vgpr_workitem_id 0
		.amdhsa_next_free_vgpr 1
		.amdhsa_next_free_sgpr 0
		.amdhsa_accum_offset 4
		.amdhsa_reserve_vcc 0
		.amdhsa_reserve_flat_scratch 0
		.amdhsa_float_round_mode_32 0
		.amdhsa_float_round_mode_16_64 0
		.amdhsa_float_denorm_mode_32 3
		.amdhsa_float_denorm_mode_16_64 3
		.amdhsa_dx10_clamp 1
		.amdhsa_ieee_mode 1
		.amdhsa_fp16_overflow 0
		.amdhsa_tg_split 0
		.amdhsa_exception_fp_ieee_invalid_op 0
		.amdhsa_exception_fp_denorm_src 0
		.amdhsa_exception_fp_ieee_div_zero 0
		.amdhsa_exception_fp_ieee_overflow 0
		.amdhsa_exception_fp_ieee_underflow 0
		.amdhsa_exception_fp_ieee_inexact 0
		.amdhsa_exception_int_div_zero 0
	.end_amdhsa_kernel
	.section	.text._ZN7rocprim17ROCPRIM_400000_NS6detail17trampoline_kernelINS0_14default_configENS1_27scan_by_key_config_selectorIiiEEZZNS1_16scan_by_key_implILNS1_25lookback_scan_determinismE0ELb1ES3_N6thrust23THRUST_200600_302600_NS6detail15normal_iteratorINS9_10device_ptrIiEEEESE_SE_iNS9_4plusIvEENS9_8equal_toIiEEiEE10hipError_tPvRmT2_T3_T4_T5_mT6_T7_P12ihipStream_tbENKUlT_T0_E_clISt17integral_constantIbLb1EESZ_EEDaSU_SV_EUlSU_E_NS1_11comp_targetILNS1_3genE9ELNS1_11target_archE1100ELNS1_3gpuE3ELNS1_3repE0EEENS1_30default_config_static_selectorELNS0_4arch9wavefront6targetE1EEEvT1_,"axG",@progbits,_ZN7rocprim17ROCPRIM_400000_NS6detail17trampoline_kernelINS0_14default_configENS1_27scan_by_key_config_selectorIiiEEZZNS1_16scan_by_key_implILNS1_25lookback_scan_determinismE0ELb1ES3_N6thrust23THRUST_200600_302600_NS6detail15normal_iteratorINS9_10device_ptrIiEEEESE_SE_iNS9_4plusIvEENS9_8equal_toIiEEiEE10hipError_tPvRmT2_T3_T4_T5_mT6_T7_P12ihipStream_tbENKUlT_T0_E_clISt17integral_constantIbLb1EESZ_EEDaSU_SV_EUlSU_E_NS1_11comp_targetILNS1_3genE9ELNS1_11target_archE1100ELNS1_3gpuE3ELNS1_3repE0EEENS1_30default_config_static_selectorELNS0_4arch9wavefront6targetE1EEEvT1_,comdat
.Lfunc_end549:
	.size	_ZN7rocprim17ROCPRIM_400000_NS6detail17trampoline_kernelINS0_14default_configENS1_27scan_by_key_config_selectorIiiEEZZNS1_16scan_by_key_implILNS1_25lookback_scan_determinismE0ELb1ES3_N6thrust23THRUST_200600_302600_NS6detail15normal_iteratorINS9_10device_ptrIiEEEESE_SE_iNS9_4plusIvEENS9_8equal_toIiEEiEE10hipError_tPvRmT2_T3_T4_T5_mT6_T7_P12ihipStream_tbENKUlT_T0_E_clISt17integral_constantIbLb1EESZ_EEDaSU_SV_EUlSU_E_NS1_11comp_targetILNS1_3genE9ELNS1_11target_archE1100ELNS1_3gpuE3ELNS1_3repE0EEENS1_30default_config_static_selectorELNS0_4arch9wavefront6targetE1EEEvT1_, .Lfunc_end549-_ZN7rocprim17ROCPRIM_400000_NS6detail17trampoline_kernelINS0_14default_configENS1_27scan_by_key_config_selectorIiiEEZZNS1_16scan_by_key_implILNS1_25lookback_scan_determinismE0ELb1ES3_N6thrust23THRUST_200600_302600_NS6detail15normal_iteratorINS9_10device_ptrIiEEEESE_SE_iNS9_4plusIvEENS9_8equal_toIiEEiEE10hipError_tPvRmT2_T3_T4_T5_mT6_T7_P12ihipStream_tbENKUlT_T0_E_clISt17integral_constantIbLb1EESZ_EEDaSU_SV_EUlSU_E_NS1_11comp_targetILNS1_3genE9ELNS1_11target_archE1100ELNS1_3gpuE3ELNS1_3repE0EEENS1_30default_config_static_selectorELNS0_4arch9wavefront6targetE1EEEvT1_
                                        ; -- End function
	.section	.AMDGPU.csdata,"",@progbits
; Kernel info:
; codeLenInByte = 0
; NumSgprs: 4
; NumVgprs: 0
; NumAgprs: 0
; TotalNumVgprs: 0
; ScratchSize: 0
; MemoryBound: 0
; FloatMode: 240
; IeeeMode: 1
; LDSByteSize: 0 bytes/workgroup (compile time only)
; SGPRBlocks: 0
; VGPRBlocks: 0
; NumSGPRsForWavesPerEU: 4
; NumVGPRsForWavesPerEU: 1
; AccumOffset: 4
; Occupancy: 8
; WaveLimiterHint : 0
; COMPUTE_PGM_RSRC2:SCRATCH_EN: 0
; COMPUTE_PGM_RSRC2:USER_SGPR: 6
; COMPUTE_PGM_RSRC2:TRAP_HANDLER: 0
; COMPUTE_PGM_RSRC2:TGID_X_EN: 1
; COMPUTE_PGM_RSRC2:TGID_Y_EN: 0
; COMPUTE_PGM_RSRC2:TGID_Z_EN: 0
; COMPUTE_PGM_RSRC2:TIDIG_COMP_CNT: 0
; COMPUTE_PGM_RSRC3_GFX90A:ACCUM_OFFSET: 0
; COMPUTE_PGM_RSRC3_GFX90A:TG_SPLIT: 0
	.section	.text._ZN7rocprim17ROCPRIM_400000_NS6detail17trampoline_kernelINS0_14default_configENS1_27scan_by_key_config_selectorIiiEEZZNS1_16scan_by_key_implILNS1_25lookback_scan_determinismE0ELb1ES3_N6thrust23THRUST_200600_302600_NS6detail15normal_iteratorINS9_10device_ptrIiEEEESE_SE_iNS9_4plusIvEENS9_8equal_toIiEEiEE10hipError_tPvRmT2_T3_T4_T5_mT6_T7_P12ihipStream_tbENKUlT_T0_E_clISt17integral_constantIbLb1EESZ_EEDaSU_SV_EUlSU_E_NS1_11comp_targetILNS1_3genE8ELNS1_11target_archE1030ELNS1_3gpuE2ELNS1_3repE0EEENS1_30default_config_static_selectorELNS0_4arch9wavefront6targetE1EEEvT1_,"axG",@progbits,_ZN7rocprim17ROCPRIM_400000_NS6detail17trampoline_kernelINS0_14default_configENS1_27scan_by_key_config_selectorIiiEEZZNS1_16scan_by_key_implILNS1_25lookback_scan_determinismE0ELb1ES3_N6thrust23THRUST_200600_302600_NS6detail15normal_iteratorINS9_10device_ptrIiEEEESE_SE_iNS9_4plusIvEENS9_8equal_toIiEEiEE10hipError_tPvRmT2_T3_T4_T5_mT6_T7_P12ihipStream_tbENKUlT_T0_E_clISt17integral_constantIbLb1EESZ_EEDaSU_SV_EUlSU_E_NS1_11comp_targetILNS1_3genE8ELNS1_11target_archE1030ELNS1_3gpuE2ELNS1_3repE0EEENS1_30default_config_static_selectorELNS0_4arch9wavefront6targetE1EEEvT1_,comdat
	.protected	_ZN7rocprim17ROCPRIM_400000_NS6detail17trampoline_kernelINS0_14default_configENS1_27scan_by_key_config_selectorIiiEEZZNS1_16scan_by_key_implILNS1_25lookback_scan_determinismE0ELb1ES3_N6thrust23THRUST_200600_302600_NS6detail15normal_iteratorINS9_10device_ptrIiEEEESE_SE_iNS9_4plusIvEENS9_8equal_toIiEEiEE10hipError_tPvRmT2_T3_T4_T5_mT6_T7_P12ihipStream_tbENKUlT_T0_E_clISt17integral_constantIbLb1EESZ_EEDaSU_SV_EUlSU_E_NS1_11comp_targetILNS1_3genE8ELNS1_11target_archE1030ELNS1_3gpuE2ELNS1_3repE0EEENS1_30default_config_static_selectorELNS0_4arch9wavefront6targetE1EEEvT1_ ; -- Begin function _ZN7rocprim17ROCPRIM_400000_NS6detail17trampoline_kernelINS0_14default_configENS1_27scan_by_key_config_selectorIiiEEZZNS1_16scan_by_key_implILNS1_25lookback_scan_determinismE0ELb1ES3_N6thrust23THRUST_200600_302600_NS6detail15normal_iteratorINS9_10device_ptrIiEEEESE_SE_iNS9_4plusIvEENS9_8equal_toIiEEiEE10hipError_tPvRmT2_T3_T4_T5_mT6_T7_P12ihipStream_tbENKUlT_T0_E_clISt17integral_constantIbLb1EESZ_EEDaSU_SV_EUlSU_E_NS1_11comp_targetILNS1_3genE8ELNS1_11target_archE1030ELNS1_3gpuE2ELNS1_3repE0EEENS1_30default_config_static_selectorELNS0_4arch9wavefront6targetE1EEEvT1_
	.globl	_ZN7rocprim17ROCPRIM_400000_NS6detail17trampoline_kernelINS0_14default_configENS1_27scan_by_key_config_selectorIiiEEZZNS1_16scan_by_key_implILNS1_25lookback_scan_determinismE0ELb1ES3_N6thrust23THRUST_200600_302600_NS6detail15normal_iteratorINS9_10device_ptrIiEEEESE_SE_iNS9_4plusIvEENS9_8equal_toIiEEiEE10hipError_tPvRmT2_T3_T4_T5_mT6_T7_P12ihipStream_tbENKUlT_T0_E_clISt17integral_constantIbLb1EESZ_EEDaSU_SV_EUlSU_E_NS1_11comp_targetILNS1_3genE8ELNS1_11target_archE1030ELNS1_3gpuE2ELNS1_3repE0EEENS1_30default_config_static_selectorELNS0_4arch9wavefront6targetE1EEEvT1_
	.p2align	8
	.type	_ZN7rocprim17ROCPRIM_400000_NS6detail17trampoline_kernelINS0_14default_configENS1_27scan_by_key_config_selectorIiiEEZZNS1_16scan_by_key_implILNS1_25lookback_scan_determinismE0ELb1ES3_N6thrust23THRUST_200600_302600_NS6detail15normal_iteratorINS9_10device_ptrIiEEEESE_SE_iNS9_4plusIvEENS9_8equal_toIiEEiEE10hipError_tPvRmT2_T3_T4_T5_mT6_T7_P12ihipStream_tbENKUlT_T0_E_clISt17integral_constantIbLb1EESZ_EEDaSU_SV_EUlSU_E_NS1_11comp_targetILNS1_3genE8ELNS1_11target_archE1030ELNS1_3gpuE2ELNS1_3repE0EEENS1_30default_config_static_selectorELNS0_4arch9wavefront6targetE1EEEvT1_,@function
_ZN7rocprim17ROCPRIM_400000_NS6detail17trampoline_kernelINS0_14default_configENS1_27scan_by_key_config_selectorIiiEEZZNS1_16scan_by_key_implILNS1_25lookback_scan_determinismE0ELb1ES3_N6thrust23THRUST_200600_302600_NS6detail15normal_iteratorINS9_10device_ptrIiEEEESE_SE_iNS9_4plusIvEENS9_8equal_toIiEEiEE10hipError_tPvRmT2_T3_T4_T5_mT6_T7_P12ihipStream_tbENKUlT_T0_E_clISt17integral_constantIbLb1EESZ_EEDaSU_SV_EUlSU_E_NS1_11comp_targetILNS1_3genE8ELNS1_11target_archE1030ELNS1_3gpuE2ELNS1_3repE0EEENS1_30default_config_static_selectorELNS0_4arch9wavefront6targetE1EEEvT1_: ; @_ZN7rocprim17ROCPRIM_400000_NS6detail17trampoline_kernelINS0_14default_configENS1_27scan_by_key_config_selectorIiiEEZZNS1_16scan_by_key_implILNS1_25lookback_scan_determinismE0ELb1ES3_N6thrust23THRUST_200600_302600_NS6detail15normal_iteratorINS9_10device_ptrIiEEEESE_SE_iNS9_4plusIvEENS9_8equal_toIiEEiEE10hipError_tPvRmT2_T3_T4_T5_mT6_T7_P12ihipStream_tbENKUlT_T0_E_clISt17integral_constantIbLb1EESZ_EEDaSU_SV_EUlSU_E_NS1_11comp_targetILNS1_3genE8ELNS1_11target_archE1030ELNS1_3gpuE2ELNS1_3repE0EEENS1_30default_config_static_selectorELNS0_4arch9wavefront6targetE1EEEvT1_
; %bb.0:
	.section	.rodata,"a",@progbits
	.p2align	6, 0x0
	.amdhsa_kernel _ZN7rocprim17ROCPRIM_400000_NS6detail17trampoline_kernelINS0_14default_configENS1_27scan_by_key_config_selectorIiiEEZZNS1_16scan_by_key_implILNS1_25lookback_scan_determinismE0ELb1ES3_N6thrust23THRUST_200600_302600_NS6detail15normal_iteratorINS9_10device_ptrIiEEEESE_SE_iNS9_4plusIvEENS9_8equal_toIiEEiEE10hipError_tPvRmT2_T3_T4_T5_mT6_T7_P12ihipStream_tbENKUlT_T0_E_clISt17integral_constantIbLb1EESZ_EEDaSU_SV_EUlSU_E_NS1_11comp_targetILNS1_3genE8ELNS1_11target_archE1030ELNS1_3gpuE2ELNS1_3repE0EEENS1_30default_config_static_selectorELNS0_4arch9wavefront6targetE1EEEvT1_
		.amdhsa_group_segment_fixed_size 0
		.amdhsa_private_segment_fixed_size 0
		.amdhsa_kernarg_size 112
		.amdhsa_user_sgpr_count 6
		.amdhsa_user_sgpr_private_segment_buffer 1
		.amdhsa_user_sgpr_dispatch_ptr 0
		.amdhsa_user_sgpr_queue_ptr 0
		.amdhsa_user_sgpr_kernarg_segment_ptr 1
		.amdhsa_user_sgpr_dispatch_id 0
		.amdhsa_user_sgpr_flat_scratch_init 0
		.amdhsa_user_sgpr_kernarg_preload_length 0
		.amdhsa_user_sgpr_kernarg_preload_offset 0
		.amdhsa_user_sgpr_private_segment_size 0
		.amdhsa_uses_dynamic_stack 0
		.amdhsa_system_sgpr_private_segment_wavefront_offset 0
		.amdhsa_system_sgpr_workgroup_id_x 1
		.amdhsa_system_sgpr_workgroup_id_y 0
		.amdhsa_system_sgpr_workgroup_id_z 0
		.amdhsa_system_sgpr_workgroup_info 0
		.amdhsa_system_vgpr_workitem_id 0
		.amdhsa_next_free_vgpr 1
		.amdhsa_next_free_sgpr 0
		.amdhsa_accum_offset 4
		.amdhsa_reserve_vcc 0
		.amdhsa_reserve_flat_scratch 0
		.amdhsa_float_round_mode_32 0
		.amdhsa_float_round_mode_16_64 0
		.amdhsa_float_denorm_mode_32 3
		.amdhsa_float_denorm_mode_16_64 3
		.amdhsa_dx10_clamp 1
		.amdhsa_ieee_mode 1
		.amdhsa_fp16_overflow 0
		.amdhsa_tg_split 0
		.amdhsa_exception_fp_ieee_invalid_op 0
		.amdhsa_exception_fp_denorm_src 0
		.amdhsa_exception_fp_ieee_div_zero 0
		.amdhsa_exception_fp_ieee_overflow 0
		.amdhsa_exception_fp_ieee_underflow 0
		.amdhsa_exception_fp_ieee_inexact 0
		.amdhsa_exception_int_div_zero 0
	.end_amdhsa_kernel
	.section	.text._ZN7rocprim17ROCPRIM_400000_NS6detail17trampoline_kernelINS0_14default_configENS1_27scan_by_key_config_selectorIiiEEZZNS1_16scan_by_key_implILNS1_25lookback_scan_determinismE0ELb1ES3_N6thrust23THRUST_200600_302600_NS6detail15normal_iteratorINS9_10device_ptrIiEEEESE_SE_iNS9_4plusIvEENS9_8equal_toIiEEiEE10hipError_tPvRmT2_T3_T4_T5_mT6_T7_P12ihipStream_tbENKUlT_T0_E_clISt17integral_constantIbLb1EESZ_EEDaSU_SV_EUlSU_E_NS1_11comp_targetILNS1_3genE8ELNS1_11target_archE1030ELNS1_3gpuE2ELNS1_3repE0EEENS1_30default_config_static_selectorELNS0_4arch9wavefront6targetE1EEEvT1_,"axG",@progbits,_ZN7rocprim17ROCPRIM_400000_NS6detail17trampoline_kernelINS0_14default_configENS1_27scan_by_key_config_selectorIiiEEZZNS1_16scan_by_key_implILNS1_25lookback_scan_determinismE0ELb1ES3_N6thrust23THRUST_200600_302600_NS6detail15normal_iteratorINS9_10device_ptrIiEEEESE_SE_iNS9_4plusIvEENS9_8equal_toIiEEiEE10hipError_tPvRmT2_T3_T4_T5_mT6_T7_P12ihipStream_tbENKUlT_T0_E_clISt17integral_constantIbLb1EESZ_EEDaSU_SV_EUlSU_E_NS1_11comp_targetILNS1_3genE8ELNS1_11target_archE1030ELNS1_3gpuE2ELNS1_3repE0EEENS1_30default_config_static_selectorELNS0_4arch9wavefront6targetE1EEEvT1_,comdat
.Lfunc_end550:
	.size	_ZN7rocprim17ROCPRIM_400000_NS6detail17trampoline_kernelINS0_14default_configENS1_27scan_by_key_config_selectorIiiEEZZNS1_16scan_by_key_implILNS1_25lookback_scan_determinismE0ELb1ES3_N6thrust23THRUST_200600_302600_NS6detail15normal_iteratorINS9_10device_ptrIiEEEESE_SE_iNS9_4plusIvEENS9_8equal_toIiEEiEE10hipError_tPvRmT2_T3_T4_T5_mT6_T7_P12ihipStream_tbENKUlT_T0_E_clISt17integral_constantIbLb1EESZ_EEDaSU_SV_EUlSU_E_NS1_11comp_targetILNS1_3genE8ELNS1_11target_archE1030ELNS1_3gpuE2ELNS1_3repE0EEENS1_30default_config_static_selectorELNS0_4arch9wavefront6targetE1EEEvT1_, .Lfunc_end550-_ZN7rocprim17ROCPRIM_400000_NS6detail17trampoline_kernelINS0_14default_configENS1_27scan_by_key_config_selectorIiiEEZZNS1_16scan_by_key_implILNS1_25lookback_scan_determinismE0ELb1ES3_N6thrust23THRUST_200600_302600_NS6detail15normal_iteratorINS9_10device_ptrIiEEEESE_SE_iNS9_4plusIvEENS9_8equal_toIiEEiEE10hipError_tPvRmT2_T3_T4_T5_mT6_T7_P12ihipStream_tbENKUlT_T0_E_clISt17integral_constantIbLb1EESZ_EEDaSU_SV_EUlSU_E_NS1_11comp_targetILNS1_3genE8ELNS1_11target_archE1030ELNS1_3gpuE2ELNS1_3repE0EEENS1_30default_config_static_selectorELNS0_4arch9wavefront6targetE1EEEvT1_
                                        ; -- End function
	.section	.AMDGPU.csdata,"",@progbits
; Kernel info:
; codeLenInByte = 0
; NumSgprs: 4
; NumVgprs: 0
; NumAgprs: 0
; TotalNumVgprs: 0
; ScratchSize: 0
; MemoryBound: 0
; FloatMode: 240
; IeeeMode: 1
; LDSByteSize: 0 bytes/workgroup (compile time only)
; SGPRBlocks: 0
; VGPRBlocks: 0
; NumSGPRsForWavesPerEU: 4
; NumVGPRsForWavesPerEU: 1
; AccumOffset: 4
; Occupancy: 8
; WaveLimiterHint : 0
; COMPUTE_PGM_RSRC2:SCRATCH_EN: 0
; COMPUTE_PGM_RSRC2:USER_SGPR: 6
; COMPUTE_PGM_RSRC2:TRAP_HANDLER: 0
; COMPUTE_PGM_RSRC2:TGID_X_EN: 1
; COMPUTE_PGM_RSRC2:TGID_Y_EN: 0
; COMPUTE_PGM_RSRC2:TGID_Z_EN: 0
; COMPUTE_PGM_RSRC2:TIDIG_COMP_CNT: 0
; COMPUTE_PGM_RSRC3_GFX90A:ACCUM_OFFSET: 0
; COMPUTE_PGM_RSRC3_GFX90A:TG_SPLIT: 0
	.section	.text._ZN7rocprim17ROCPRIM_400000_NS6detail17trampoline_kernelINS0_14default_configENS1_27scan_by_key_config_selectorIiiEEZZNS1_16scan_by_key_implILNS1_25lookback_scan_determinismE0ELb1ES3_N6thrust23THRUST_200600_302600_NS6detail15normal_iteratorINS9_10device_ptrIiEEEESE_SE_iNS9_4plusIvEENS9_8equal_toIiEEiEE10hipError_tPvRmT2_T3_T4_T5_mT6_T7_P12ihipStream_tbENKUlT_T0_E_clISt17integral_constantIbLb1EESY_IbLb0EEEEDaSU_SV_EUlSU_E_NS1_11comp_targetILNS1_3genE0ELNS1_11target_archE4294967295ELNS1_3gpuE0ELNS1_3repE0EEENS1_30default_config_static_selectorELNS0_4arch9wavefront6targetE1EEEvT1_,"axG",@progbits,_ZN7rocprim17ROCPRIM_400000_NS6detail17trampoline_kernelINS0_14default_configENS1_27scan_by_key_config_selectorIiiEEZZNS1_16scan_by_key_implILNS1_25lookback_scan_determinismE0ELb1ES3_N6thrust23THRUST_200600_302600_NS6detail15normal_iteratorINS9_10device_ptrIiEEEESE_SE_iNS9_4plusIvEENS9_8equal_toIiEEiEE10hipError_tPvRmT2_T3_T4_T5_mT6_T7_P12ihipStream_tbENKUlT_T0_E_clISt17integral_constantIbLb1EESY_IbLb0EEEEDaSU_SV_EUlSU_E_NS1_11comp_targetILNS1_3genE0ELNS1_11target_archE4294967295ELNS1_3gpuE0ELNS1_3repE0EEENS1_30default_config_static_selectorELNS0_4arch9wavefront6targetE1EEEvT1_,comdat
	.protected	_ZN7rocprim17ROCPRIM_400000_NS6detail17trampoline_kernelINS0_14default_configENS1_27scan_by_key_config_selectorIiiEEZZNS1_16scan_by_key_implILNS1_25lookback_scan_determinismE0ELb1ES3_N6thrust23THRUST_200600_302600_NS6detail15normal_iteratorINS9_10device_ptrIiEEEESE_SE_iNS9_4plusIvEENS9_8equal_toIiEEiEE10hipError_tPvRmT2_T3_T4_T5_mT6_T7_P12ihipStream_tbENKUlT_T0_E_clISt17integral_constantIbLb1EESY_IbLb0EEEEDaSU_SV_EUlSU_E_NS1_11comp_targetILNS1_3genE0ELNS1_11target_archE4294967295ELNS1_3gpuE0ELNS1_3repE0EEENS1_30default_config_static_selectorELNS0_4arch9wavefront6targetE1EEEvT1_ ; -- Begin function _ZN7rocprim17ROCPRIM_400000_NS6detail17trampoline_kernelINS0_14default_configENS1_27scan_by_key_config_selectorIiiEEZZNS1_16scan_by_key_implILNS1_25lookback_scan_determinismE0ELb1ES3_N6thrust23THRUST_200600_302600_NS6detail15normal_iteratorINS9_10device_ptrIiEEEESE_SE_iNS9_4plusIvEENS9_8equal_toIiEEiEE10hipError_tPvRmT2_T3_T4_T5_mT6_T7_P12ihipStream_tbENKUlT_T0_E_clISt17integral_constantIbLb1EESY_IbLb0EEEEDaSU_SV_EUlSU_E_NS1_11comp_targetILNS1_3genE0ELNS1_11target_archE4294967295ELNS1_3gpuE0ELNS1_3repE0EEENS1_30default_config_static_selectorELNS0_4arch9wavefront6targetE1EEEvT1_
	.globl	_ZN7rocprim17ROCPRIM_400000_NS6detail17trampoline_kernelINS0_14default_configENS1_27scan_by_key_config_selectorIiiEEZZNS1_16scan_by_key_implILNS1_25lookback_scan_determinismE0ELb1ES3_N6thrust23THRUST_200600_302600_NS6detail15normal_iteratorINS9_10device_ptrIiEEEESE_SE_iNS9_4plusIvEENS9_8equal_toIiEEiEE10hipError_tPvRmT2_T3_T4_T5_mT6_T7_P12ihipStream_tbENKUlT_T0_E_clISt17integral_constantIbLb1EESY_IbLb0EEEEDaSU_SV_EUlSU_E_NS1_11comp_targetILNS1_3genE0ELNS1_11target_archE4294967295ELNS1_3gpuE0ELNS1_3repE0EEENS1_30default_config_static_selectorELNS0_4arch9wavefront6targetE1EEEvT1_
	.p2align	8
	.type	_ZN7rocprim17ROCPRIM_400000_NS6detail17trampoline_kernelINS0_14default_configENS1_27scan_by_key_config_selectorIiiEEZZNS1_16scan_by_key_implILNS1_25lookback_scan_determinismE0ELb1ES3_N6thrust23THRUST_200600_302600_NS6detail15normal_iteratorINS9_10device_ptrIiEEEESE_SE_iNS9_4plusIvEENS9_8equal_toIiEEiEE10hipError_tPvRmT2_T3_T4_T5_mT6_T7_P12ihipStream_tbENKUlT_T0_E_clISt17integral_constantIbLb1EESY_IbLb0EEEEDaSU_SV_EUlSU_E_NS1_11comp_targetILNS1_3genE0ELNS1_11target_archE4294967295ELNS1_3gpuE0ELNS1_3repE0EEENS1_30default_config_static_selectorELNS0_4arch9wavefront6targetE1EEEvT1_,@function
_ZN7rocprim17ROCPRIM_400000_NS6detail17trampoline_kernelINS0_14default_configENS1_27scan_by_key_config_selectorIiiEEZZNS1_16scan_by_key_implILNS1_25lookback_scan_determinismE0ELb1ES3_N6thrust23THRUST_200600_302600_NS6detail15normal_iteratorINS9_10device_ptrIiEEEESE_SE_iNS9_4plusIvEENS9_8equal_toIiEEiEE10hipError_tPvRmT2_T3_T4_T5_mT6_T7_P12ihipStream_tbENKUlT_T0_E_clISt17integral_constantIbLb1EESY_IbLb0EEEEDaSU_SV_EUlSU_E_NS1_11comp_targetILNS1_3genE0ELNS1_11target_archE4294967295ELNS1_3gpuE0ELNS1_3repE0EEENS1_30default_config_static_selectorELNS0_4arch9wavefront6targetE1EEEvT1_: ; @_ZN7rocprim17ROCPRIM_400000_NS6detail17trampoline_kernelINS0_14default_configENS1_27scan_by_key_config_selectorIiiEEZZNS1_16scan_by_key_implILNS1_25lookback_scan_determinismE0ELb1ES3_N6thrust23THRUST_200600_302600_NS6detail15normal_iteratorINS9_10device_ptrIiEEEESE_SE_iNS9_4plusIvEENS9_8equal_toIiEEiEE10hipError_tPvRmT2_T3_T4_T5_mT6_T7_P12ihipStream_tbENKUlT_T0_E_clISt17integral_constantIbLb1EESY_IbLb0EEEEDaSU_SV_EUlSU_E_NS1_11comp_targetILNS1_3genE0ELNS1_11target_archE4294967295ELNS1_3gpuE0ELNS1_3repE0EEENS1_30default_config_static_selectorELNS0_4arch9wavefront6targetE1EEEvT1_
; %bb.0:
	.section	.rodata,"a",@progbits
	.p2align	6, 0x0
	.amdhsa_kernel _ZN7rocprim17ROCPRIM_400000_NS6detail17trampoline_kernelINS0_14default_configENS1_27scan_by_key_config_selectorIiiEEZZNS1_16scan_by_key_implILNS1_25lookback_scan_determinismE0ELb1ES3_N6thrust23THRUST_200600_302600_NS6detail15normal_iteratorINS9_10device_ptrIiEEEESE_SE_iNS9_4plusIvEENS9_8equal_toIiEEiEE10hipError_tPvRmT2_T3_T4_T5_mT6_T7_P12ihipStream_tbENKUlT_T0_E_clISt17integral_constantIbLb1EESY_IbLb0EEEEDaSU_SV_EUlSU_E_NS1_11comp_targetILNS1_3genE0ELNS1_11target_archE4294967295ELNS1_3gpuE0ELNS1_3repE0EEENS1_30default_config_static_selectorELNS0_4arch9wavefront6targetE1EEEvT1_
		.amdhsa_group_segment_fixed_size 0
		.amdhsa_private_segment_fixed_size 0
		.amdhsa_kernarg_size 112
		.amdhsa_user_sgpr_count 6
		.amdhsa_user_sgpr_private_segment_buffer 1
		.amdhsa_user_sgpr_dispatch_ptr 0
		.amdhsa_user_sgpr_queue_ptr 0
		.amdhsa_user_sgpr_kernarg_segment_ptr 1
		.amdhsa_user_sgpr_dispatch_id 0
		.amdhsa_user_sgpr_flat_scratch_init 0
		.amdhsa_user_sgpr_kernarg_preload_length 0
		.amdhsa_user_sgpr_kernarg_preload_offset 0
		.amdhsa_user_sgpr_private_segment_size 0
		.amdhsa_uses_dynamic_stack 0
		.amdhsa_system_sgpr_private_segment_wavefront_offset 0
		.amdhsa_system_sgpr_workgroup_id_x 1
		.amdhsa_system_sgpr_workgroup_id_y 0
		.amdhsa_system_sgpr_workgroup_id_z 0
		.amdhsa_system_sgpr_workgroup_info 0
		.amdhsa_system_vgpr_workitem_id 0
		.amdhsa_next_free_vgpr 1
		.amdhsa_next_free_sgpr 0
		.amdhsa_accum_offset 4
		.amdhsa_reserve_vcc 0
		.amdhsa_reserve_flat_scratch 0
		.amdhsa_float_round_mode_32 0
		.amdhsa_float_round_mode_16_64 0
		.amdhsa_float_denorm_mode_32 3
		.amdhsa_float_denorm_mode_16_64 3
		.amdhsa_dx10_clamp 1
		.amdhsa_ieee_mode 1
		.amdhsa_fp16_overflow 0
		.amdhsa_tg_split 0
		.amdhsa_exception_fp_ieee_invalid_op 0
		.amdhsa_exception_fp_denorm_src 0
		.amdhsa_exception_fp_ieee_div_zero 0
		.amdhsa_exception_fp_ieee_overflow 0
		.amdhsa_exception_fp_ieee_underflow 0
		.amdhsa_exception_fp_ieee_inexact 0
		.amdhsa_exception_int_div_zero 0
	.end_amdhsa_kernel
	.section	.text._ZN7rocprim17ROCPRIM_400000_NS6detail17trampoline_kernelINS0_14default_configENS1_27scan_by_key_config_selectorIiiEEZZNS1_16scan_by_key_implILNS1_25lookback_scan_determinismE0ELb1ES3_N6thrust23THRUST_200600_302600_NS6detail15normal_iteratorINS9_10device_ptrIiEEEESE_SE_iNS9_4plusIvEENS9_8equal_toIiEEiEE10hipError_tPvRmT2_T3_T4_T5_mT6_T7_P12ihipStream_tbENKUlT_T0_E_clISt17integral_constantIbLb1EESY_IbLb0EEEEDaSU_SV_EUlSU_E_NS1_11comp_targetILNS1_3genE0ELNS1_11target_archE4294967295ELNS1_3gpuE0ELNS1_3repE0EEENS1_30default_config_static_selectorELNS0_4arch9wavefront6targetE1EEEvT1_,"axG",@progbits,_ZN7rocprim17ROCPRIM_400000_NS6detail17trampoline_kernelINS0_14default_configENS1_27scan_by_key_config_selectorIiiEEZZNS1_16scan_by_key_implILNS1_25lookback_scan_determinismE0ELb1ES3_N6thrust23THRUST_200600_302600_NS6detail15normal_iteratorINS9_10device_ptrIiEEEESE_SE_iNS9_4plusIvEENS9_8equal_toIiEEiEE10hipError_tPvRmT2_T3_T4_T5_mT6_T7_P12ihipStream_tbENKUlT_T0_E_clISt17integral_constantIbLb1EESY_IbLb0EEEEDaSU_SV_EUlSU_E_NS1_11comp_targetILNS1_3genE0ELNS1_11target_archE4294967295ELNS1_3gpuE0ELNS1_3repE0EEENS1_30default_config_static_selectorELNS0_4arch9wavefront6targetE1EEEvT1_,comdat
.Lfunc_end551:
	.size	_ZN7rocprim17ROCPRIM_400000_NS6detail17trampoline_kernelINS0_14default_configENS1_27scan_by_key_config_selectorIiiEEZZNS1_16scan_by_key_implILNS1_25lookback_scan_determinismE0ELb1ES3_N6thrust23THRUST_200600_302600_NS6detail15normal_iteratorINS9_10device_ptrIiEEEESE_SE_iNS9_4plusIvEENS9_8equal_toIiEEiEE10hipError_tPvRmT2_T3_T4_T5_mT6_T7_P12ihipStream_tbENKUlT_T0_E_clISt17integral_constantIbLb1EESY_IbLb0EEEEDaSU_SV_EUlSU_E_NS1_11comp_targetILNS1_3genE0ELNS1_11target_archE4294967295ELNS1_3gpuE0ELNS1_3repE0EEENS1_30default_config_static_selectorELNS0_4arch9wavefront6targetE1EEEvT1_, .Lfunc_end551-_ZN7rocprim17ROCPRIM_400000_NS6detail17trampoline_kernelINS0_14default_configENS1_27scan_by_key_config_selectorIiiEEZZNS1_16scan_by_key_implILNS1_25lookback_scan_determinismE0ELb1ES3_N6thrust23THRUST_200600_302600_NS6detail15normal_iteratorINS9_10device_ptrIiEEEESE_SE_iNS9_4plusIvEENS9_8equal_toIiEEiEE10hipError_tPvRmT2_T3_T4_T5_mT6_T7_P12ihipStream_tbENKUlT_T0_E_clISt17integral_constantIbLb1EESY_IbLb0EEEEDaSU_SV_EUlSU_E_NS1_11comp_targetILNS1_3genE0ELNS1_11target_archE4294967295ELNS1_3gpuE0ELNS1_3repE0EEENS1_30default_config_static_selectorELNS0_4arch9wavefront6targetE1EEEvT1_
                                        ; -- End function
	.section	.AMDGPU.csdata,"",@progbits
; Kernel info:
; codeLenInByte = 0
; NumSgprs: 4
; NumVgprs: 0
; NumAgprs: 0
; TotalNumVgprs: 0
; ScratchSize: 0
; MemoryBound: 0
; FloatMode: 240
; IeeeMode: 1
; LDSByteSize: 0 bytes/workgroup (compile time only)
; SGPRBlocks: 0
; VGPRBlocks: 0
; NumSGPRsForWavesPerEU: 4
; NumVGPRsForWavesPerEU: 1
; AccumOffset: 4
; Occupancy: 8
; WaveLimiterHint : 0
; COMPUTE_PGM_RSRC2:SCRATCH_EN: 0
; COMPUTE_PGM_RSRC2:USER_SGPR: 6
; COMPUTE_PGM_RSRC2:TRAP_HANDLER: 0
; COMPUTE_PGM_RSRC2:TGID_X_EN: 1
; COMPUTE_PGM_RSRC2:TGID_Y_EN: 0
; COMPUTE_PGM_RSRC2:TGID_Z_EN: 0
; COMPUTE_PGM_RSRC2:TIDIG_COMP_CNT: 0
; COMPUTE_PGM_RSRC3_GFX90A:ACCUM_OFFSET: 0
; COMPUTE_PGM_RSRC3_GFX90A:TG_SPLIT: 0
	.section	.text._ZN7rocprim17ROCPRIM_400000_NS6detail17trampoline_kernelINS0_14default_configENS1_27scan_by_key_config_selectorIiiEEZZNS1_16scan_by_key_implILNS1_25lookback_scan_determinismE0ELb1ES3_N6thrust23THRUST_200600_302600_NS6detail15normal_iteratorINS9_10device_ptrIiEEEESE_SE_iNS9_4plusIvEENS9_8equal_toIiEEiEE10hipError_tPvRmT2_T3_T4_T5_mT6_T7_P12ihipStream_tbENKUlT_T0_E_clISt17integral_constantIbLb1EESY_IbLb0EEEEDaSU_SV_EUlSU_E_NS1_11comp_targetILNS1_3genE10ELNS1_11target_archE1201ELNS1_3gpuE5ELNS1_3repE0EEENS1_30default_config_static_selectorELNS0_4arch9wavefront6targetE1EEEvT1_,"axG",@progbits,_ZN7rocprim17ROCPRIM_400000_NS6detail17trampoline_kernelINS0_14default_configENS1_27scan_by_key_config_selectorIiiEEZZNS1_16scan_by_key_implILNS1_25lookback_scan_determinismE0ELb1ES3_N6thrust23THRUST_200600_302600_NS6detail15normal_iteratorINS9_10device_ptrIiEEEESE_SE_iNS9_4plusIvEENS9_8equal_toIiEEiEE10hipError_tPvRmT2_T3_T4_T5_mT6_T7_P12ihipStream_tbENKUlT_T0_E_clISt17integral_constantIbLb1EESY_IbLb0EEEEDaSU_SV_EUlSU_E_NS1_11comp_targetILNS1_3genE10ELNS1_11target_archE1201ELNS1_3gpuE5ELNS1_3repE0EEENS1_30default_config_static_selectorELNS0_4arch9wavefront6targetE1EEEvT1_,comdat
	.protected	_ZN7rocprim17ROCPRIM_400000_NS6detail17trampoline_kernelINS0_14default_configENS1_27scan_by_key_config_selectorIiiEEZZNS1_16scan_by_key_implILNS1_25lookback_scan_determinismE0ELb1ES3_N6thrust23THRUST_200600_302600_NS6detail15normal_iteratorINS9_10device_ptrIiEEEESE_SE_iNS9_4plusIvEENS9_8equal_toIiEEiEE10hipError_tPvRmT2_T3_T4_T5_mT6_T7_P12ihipStream_tbENKUlT_T0_E_clISt17integral_constantIbLb1EESY_IbLb0EEEEDaSU_SV_EUlSU_E_NS1_11comp_targetILNS1_3genE10ELNS1_11target_archE1201ELNS1_3gpuE5ELNS1_3repE0EEENS1_30default_config_static_selectorELNS0_4arch9wavefront6targetE1EEEvT1_ ; -- Begin function _ZN7rocprim17ROCPRIM_400000_NS6detail17trampoline_kernelINS0_14default_configENS1_27scan_by_key_config_selectorIiiEEZZNS1_16scan_by_key_implILNS1_25lookback_scan_determinismE0ELb1ES3_N6thrust23THRUST_200600_302600_NS6detail15normal_iteratorINS9_10device_ptrIiEEEESE_SE_iNS9_4plusIvEENS9_8equal_toIiEEiEE10hipError_tPvRmT2_T3_T4_T5_mT6_T7_P12ihipStream_tbENKUlT_T0_E_clISt17integral_constantIbLb1EESY_IbLb0EEEEDaSU_SV_EUlSU_E_NS1_11comp_targetILNS1_3genE10ELNS1_11target_archE1201ELNS1_3gpuE5ELNS1_3repE0EEENS1_30default_config_static_selectorELNS0_4arch9wavefront6targetE1EEEvT1_
	.globl	_ZN7rocprim17ROCPRIM_400000_NS6detail17trampoline_kernelINS0_14default_configENS1_27scan_by_key_config_selectorIiiEEZZNS1_16scan_by_key_implILNS1_25lookback_scan_determinismE0ELb1ES3_N6thrust23THRUST_200600_302600_NS6detail15normal_iteratorINS9_10device_ptrIiEEEESE_SE_iNS9_4plusIvEENS9_8equal_toIiEEiEE10hipError_tPvRmT2_T3_T4_T5_mT6_T7_P12ihipStream_tbENKUlT_T0_E_clISt17integral_constantIbLb1EESY_IbLb0EEEEDaSU_SV_EUlSU_E_NS1_11comp_targetILNS1_3genE10ELNS1_11target_archE1201ELNS1_3gpuE5ELNS1_3repE0EEENS1_30default_config_static_selectorELNS0_4arch9wavefront6targetE1EEEvT1_
	.p2align	8
	.type	_ZN7rocprim17ROCPRIM_400000_NS6detail17trampoline_kernelINS0_14default_configENS1_27scan_by_key_config_selectorIiiEEZZNS1_16scan_by_key_implILNS1_25lookback_scan_determinismE0ELb1ES3_N6thrust23THRUST_200600_302600_NS6detail15normal_iteratorINS9_10device_ptrIiEEEESE_SE_iNS9_4plusIvEENS9_8equal_toIiEEiEE10hipError_tPvRmT2_T3_T4_T5_mT6_T7_P12ihipStream_tbENKUlT_T0_E_clISt17integral_constantIbLb1EESY_IbLb0EEEEDaSU_SV_EUlSU_E_NS1_11comp_targetILNS1_3genE10ELNS1_11target_archE1201ELNS1_3gpuE5ELNS1_3repE0EEENS1_30default_config_static_selectorELNS0_4arch9wavefront6targetE1EEEvT1_,@function
_ZN7rocprim17ROCPRIM_400000_NS6detail17trampoline_kernelINS0_14default_configENS1_27scan_by_key_config_selectorIiiEEZZNS1_16scan_by_key_implILNS1_25lookback_scan_determinismE0ELb1ES3_N6thrust23THRUST_200600_302600_NS6detail15normal_iteratorINS9_10device_ptrIiEEEESE_SE_iNS9_4plusIvEENS9_8equal_toIiEEiEE10hipError_tPvRmT2_T3_T4_T5_mT6_T7_P12ihipStream_tbENKUlT_T0_E_clISt17integral_constantIbLb1EESY_IbLb0EEEEDaSU_SV_EUlSU_E_NS1_11comp_targetILNS1_3genE10ELNS1_11target_archE1201ELNS1_3gpuE5ELNS1_3repE0EEENS1_30default_config_static_selectorELNS0_4arch9wavefront6targetE1EEEvT1_: ; @_ZN7rocprim17ROCPRIM_400000_NS6detail17trampoline_kernelINS0_14default_configENS1_27scan_by_key_config_selectorIiiEEZZNS1_16scan_by_key_implILNS1_25lookback_scan_determinismE0ELb1ES3_N6thrust23THRUST_200600_302600_NS6detail15normal_iteratorINS9_10device_ptrIiEEEESE_SE_iNS9_4plusIvEENS9_8equal_toIiEEiEE10hipError_tPvRmT2_T3_T4_T5_mT6_T7_P12ihipStream_tbENKUlT_T0_E_clISt17integral_constantIbLb1EESY_IbLb0EEEEDaSU_SV_EUlSU_E_NS1_11comp_targetILNS1_3genE10ELNS1_11target_archE1201ELNS1_3gpuE5ELNS1_3repE0EEENS1_30default_config_static_selectorELNS0_4arch9wavefront6targetE1EEEvT1_
; %bb.0:
	.section	.rodata,"a",@progbits
	.p2align	6, 0x0
	.amdhsa_kernel _ZN7rocprim17ROCPRIM_400000_NS6detail17trampoline_kernelINS0_14default_configENS1_27scan_by_key_config_selectorIiiEEZZNS1_16scan_by_key_implILNS1_25lookback_scan_determinismE0ELb1ES3_N6thrust23THRUST_200600_302600_NS6detail15normal_iteratorINS9_10device_ptrIiEEEESE_SE_iNS9_4plusIvEENS9_8equal_toIiEEiEE10hipError_tPvRmT2_T3_T4_T5_mT6_T7_P12ihipStream_tbENKUlT_T0_E_clISt17integral_constantIbLb1EESY_IbLb0EEEEDaSU_SV_EUlSU_E_NS1_11comp_targetILNS1_3genE10ELNS1_11target_archE1201ELNS1_3gpuE5ELNS1_3repE0EEENS1_30default_config_static_selectorELNS0_4arch9wavefront6targetE1EEEvT1_
		.amdhsa_group_segment_fixed_size 0
		.amdhsa_private_segment_fixed_size 0
		.amdhsa_kernarg_size 112
		.amdhsa_user_sgpr_count 6
		.amdhsa_user_sgpr_private_segment_buffer 1
		.amdhsa_user_sgpr_dispatch_ptr 0
		.amdhsa_user_sgpr_queue_ptr 0
		.amdhsa_user_sgpr_kernarg_segment_ptr 1
		.amdhsa_user_sgpr_dispatch_id 0
		.amdhsa_user_sgpr_flat_scratch_init 0
		.amdhsa_user_sgpr_kernarg_preload_length 0
		.amdhsa_user_sgpr_kernarg_preload_offset 0
		.amdhsa_user_sgpr_private_segment_size 0
		.amdhsa_uses_dynamic_stack 0
		.amdhsa_system_sgpr_private_segment_wavefront_offset 0
		.amdhsa_system_sgpr_workgroup_id_x 1
		.amdhsa_system_sgpr_workgroup_id_y 0
		.amdhsa_system_sgpr_workgroup_id_z 0
		.amdhsa_system_sgpr_workgroup_info 0
		.amdhsa_system_vgpr_workitem_id 0
		.amdhsa_next_free_vgpr 1
		.amdhsa_next_free_sgpr 0
		.amdhsa_accum_offset 4
		.amdhsa_reserve_vcc 0
		.amdhsa_reserve_flat_scratch 0
		.amdhsa_float_round_mode_32 0
		.amdhsa_float_round_mode_16_64 0
		.amdhsa_float_denorm_mode_32 3
		.amdhsa_float_denorm_mode_16_64 3
		.amdhsa_dx10_clamp 1
		.amdhsa_ieee_mode 1
		.amdhsa_fp16_overflow 0
		.amdhsa_tg_split 0
		.amdhsa_exception_fp_ieee_invalid_op 0
		.amdhsa_exception_fp_denorm_src 0
		.amdhsa_exception_fp_ieee_div_zero 0
		.amdhsa_exception_fp_ieee_overflow 0
		.amdhsa_exception_fp_ieee_underflow 0
		.amdhsa_exception_fp_ieee_inexact 0
		.amdhsa_exception_int_div_zero 0
	.end_amdhsa_kernel
	.section	.text._ZN7rocprim17ROCPRIM_400000_NS6detail17trampoline_kernelINS0_14default_configENS1_27scan_by_key_config_selectorIiiEEZZNS1_16scan_by_key_implILNS1_25lookback_scan_determinismE0ELb1ES3_N6thrust23THRUST_200600_302600_NS6detail15normal_iteratorINS9_10device_ptrIiEEEESE_SE_iNS9_4plusIvEENS9_8equal_toIiEEiEE10hipError_tPvRmT2_T3_T4_T5_mT6_T7_P12ihipStream_tbENKUlT_T0_E_clISt17integral_constantIbLb1EESY_IbLb0EEEEDaSU_SV_EUlSU_E_NS1_11comp_targetILNS1_3genE10ELNS1_11target_archE1201ELNS1_3gpuE5ELNS1_3repE0EEENS1_30default_config_static_selectorELNS0_4arch9wavefront6targetE1EEEvT1_,"axG",@progbits,_ZN7rocprim17ROCPRIM_400000_NS6detail17trampoline_kernelINS0_14default_configENS1_27scan_by_key_config_selectorIiiEEZZNS1_16scan_by_key_implILNS1_25lookback_scan_determinismE0ELb1ES3_N6thrust23THRUST_200600_302600_NS6detail15normal_iteratorINS9_10device_ptrIiEEEESE_SE_iNS9_4plusIvEENS9_8equal_toIiEEiEE10hipError_tPvRmT2_T3_T4_T5_mT6_T7_P12ihipStream_tbENKUlT_T0_E_clISt17integral_constantIbLb1EESY_IbLb0EEEEDaSU_SV_EUlSU_E_NS1_11comp_targetILNS1_3genE10ELNS1_11target_archE1201ELNS1_3gpuE5ELNS1_3repE0EEENS1_30default_config_static_selectorELNS0_4arch9wavefront6targetE1EEEvT1_,comdat
.Lfunc_end552:
	.size	_ZN7rocprim17ROCPRIM_400000_NS6detail17trampoline_kernelINS0_14default_configENS1_27scan_by_key_config_selectorIiiEEZZNS1_16scan_by_key_implILNS1_25lookback_scan_determinismE0ELb1ES3_N6thrust23THRUST_200600_302600_NS6detail15normal_iteratorINS9_10device_ptrIiEEEESE_SE_iNS9_4plusIvEENS9_8equal_toIiEEiEE10hipError_tPvRmT2_T3_T4_T5_mT6_T7_P12ihipStream_tbENKUlT_T0_E_clISt17integral_constantIbLb1EESY_IbLb0EEEEDaSU_SV_EUlSU_E_NS1_11comp_targetILNS1_3genE10ELNS1_11target_archE1201ELNS1_3gpuE5ELNS1_3repE0EEENS1_30default_config_static_selectorELNS0_4arch9wavefront6targetE1EEEvT1_, .Lfunc_end552-_ZN7rocprim17ROCPRIM_400000_NS6detail17trampoline_kernelINS0_14default_configENS1_27scan_by_key_config_selectorIiiEEZZNS1_16scan_by_key_implILNS1_25lookback_scan_determinismE0ELb1ES3_N6thrust23THRUST_200600_302600_NS6detail15normal_iteratorINS9_10device_ptrIiEEEESE_SE_iNS9_4plusIvEENS9_8equal_toIiEEiEE10hipError_tPvRmT2_T3_T4_T5_mT6_T7_P12ihipStream_tbENKUlT_T0_E_clISt17integral_constantIbLb1EESY_IbLb0EEEEDaSU_SV_EUlSU_E_NS1_11comp_targetILNS1_3genE10ELNS1_11target_archE1201ELNS1_3gpuE5ELNS1_3repE0EEENS1_30default_config_static_selectorELNS0_4arch9wavefront6targetE1EEEvT1_
                                        ; -- End function
	.section	.AMDGPU.csdata,"",@progbits
; Kernel info:
; codeLenInByte = 0
; NumSgprs: 4
; NumVgprs: 0
; NumAgprs: 0
; TotalNumVgprs: 0
; ScratchSize: 0
; MemoryBound: 0
; FloatMode: 240
; IeeeMode: 1
; LDSByteSize: 0 bytes/workgroup (compile time only)
; SGPRBlocks: 0
; VGPRBlocks: 0
; NumSGPRsForWavesPerEU: 4
; NumVGPRsForWavesPerEU: 1
; AccumOffset: 4
; Occupancy: 8
; WaveLimiterHint : 0
; COMPUTE_PGM_RSRC2:SCRATCH_EN: 0
; COMPUTE_PGM_RSRC2:USER_SGPR: 6
; COMPUTE_PGM_RSRC2:TRAP_HANDLER: 0
; COMPUTE_PGM_RSRC2:TGID_X_EN: 1
; COMPUTE_PGM_RSRC2:TGID_Y_EN: 0
; COMPUTE_PGM_RSRC2:TGID_Z_EN: 0
; COMPUTE_PGM_RSRC2:TIDIG_COMP_CNT: 0
; COMPUTE_PGM_RSRC3_GFX90A:ACCUM_OFFSET: 0
; COMPUTE_PGM_RSRC3_GFX90A:TG_SPLIT: 0
	.section	.text._ZN7rocprim17ROCPRIM_400000_NS6detail17trampoline_kernelINS0_14default_configENS1_27scan_by_key_config_selectorIiiEEZZNS1_16scan_by_key_implILNS1_25lookback_scan_determinismE0ELb1ES3_N6thrust23THRUST_200600_302600_NS6detail15normal_iteratorINS9_10device_ptrIiEEEESE_SE_iNS9_4plusIvEENS9_8equal_toIiEEiEE10hipError_tPvRmT2_T3_T4_T5_mT6_T7_P12ihipStream_tbENKUlT_T0_E_clISt17integral_constantIbLb1EESY_IbLb0EEEEDaSU_SV_EUlSU_E_NS1_11comp_targetILNS1_3genE5ELNS1_11target_archE942ELNS1_3gpuE9ELNS1_3repE0EEENS1_30default_config_static_selectorELNS0_4arch9wavefront6targetE1EEEvT1_,"axG",@progbits,_ZN7rocprim17ROCPRIM_400000_NS6detail17trampoline_kernelINS0_14default_configENS1_27scan_by_key_config_selectorIiiEEZZNS1_16scan_by_key_implILNS1_25lookback_scan_determinismE0ELb1ES3_N6thrust23THRUST_200600_302600_NS6detail15normal_iteratorINS9_10device_ptrIiEEEESE_SE_iNS9_4plusIvEENS9_8equal_toIiEEiEE10hipError_tPvRmT2_T3_T4_T5_mT6_T7_P12ihipStream_tbENKUlT_T0_E_clISt17integral_constantIbLb1EESY_IbLb0EEEEDaSU_SV_EUlSU_E_NS1_11comp_targetILNS1_3genE5ELNS1_11target_archE942ELNS1_3gpuE9ELNS1_3repE0EEENS1_30default_config_static_selectorELNS0_4arch9wavefront6targetE1EEEvT1_,comdat
	.protected	_ZN7rocprim17ROCPRIM_400000_NS6detail17trampoline_kernelINS0_14default_configENS1_27scan_by_key_config_selectorIiiEEZZNS1_16scan_by_key_implILNS1_25lookback_scan_determinismE0ELb1ES3_N6thrust23THRUST_200600_302600_NS6detail15normal_iteratorINS9_10device_ptrIiEEEESE_SE_iNS9_4plusIvEENS9_8equal_toIiEEiEE10hipError_tPvRmT2_T3_T4_T5_mT6_T7_P12ihipStream_tbENKUlT_T0_E_clISt17integral_constantIbLb1EESY_IbLb0EEEEDaSU_SV_EUlSU_E_NS1_11comp_targetILNS1_3genE5ELNS1_11target_archE942ELNS1_3gpuE9ELNS1_3repE0EEENS1_30default_config_static_selectorELNS0_4arch9wavefront6targetE1EEEvT1_ ; -- Begin function _ZN7rocprim17ROCPRIM_400000_NS6detail17trampoline_kernelINS0_14default_configENS1_27scan_by_key_config_selectorIiiEEZZNS1_16scan_by_key_implILNS1_25lookback_scan_determinismE0ELb1ES3_N6thrust23THRUST_200600_302600_NS6detail15normal_iteratorINS9_10device_ptrIiEEEESE_SE_iNS9_4plusIvEENS9_8equal_toIiEEiEE10hipError_tPvRmT2_T3_T4_T5_mT6_T7_P12ihipStream_tbENKUlT_T0_E_clISt17integral_constantIbLb1EESY_IbLb0EEEEDaSU_SV_EUlSU_E_NS1_11comp_targetILNS1_3genE5ELNS1_11target_archE942ELNS1_3gpuE9ELNS1_3repE0EEENS1_30default_config_static_selectorELNS0_4arch9wavefront6targetE1EEEvT1_
	.globl	_ZN7rocprim17ROCPRIM_400000_NS6detail17trampoline_kernelINS0_14default_configENS1_27scan_by_key_config_selectorIiiEEZZNS1_16scan_by_key_implILNS1_25lookback_scan_determinismE0ELb1ES3_N6thrust23THRUST_200600_302600_NS6detail15normal_iteratorINS9_10device_ptrIiEEEESE_SE_iNS9_4plusIvEENS9_8equal_toIiEEiEE10hipError_tPvRmT2_T3_T4_T5_mT6_T7_P12ihipStream_tbENKUlT_T0_E_clISt17integral_constantIbLb1EESY_IbLb0EEEEDaSU_SV_EUlSU_E_NS1_11comp_targetILNS1_3genE5ELNS1_11target_archE942ELNS1_3gpuE9ELNS1_3repE0EEENS1_30default_config_static_selectorELNS0_4arch9wavefront6targetE1EEEvT1_
	.p2align	8
	.type	_ZN7rocprim17ROCPRIM_400000_NS6detail17trampoline_kernelINS0_14default_configENS1_27scan_by_key_config_selectorIiiEEZZNS1_16scan_by_key_implILNS1_25lookback_scan_determinismE0ELb1ES3_N6thrust23THRUST_200600_302600_NS6detail15normal_iteratorINS9_10device_ptrIiEEEESE_SE_iNS9_4plusIvEENS9_8equal_toIiEEiEE10hipError_tPvRmT2_T3_T4_T5_mT6_T7_P12ihipStream_tbENKUlT_T0_E_clISt17integral_constantIbLb1EESY_IbLb0EEEEDaSU_SV_EUlSU_E_NS1_11comp_targetILNS1_3genE5ELNS1_11target_archE942ELNS1_3gpuE9ELNS1_3repE0EEENS1_30default_config_static_selectorELNS0_4arch9wavefront6targetE1EEEvT1_,@function
_ZN7rocprim17ROCPRIM_400000_NS6detail17trampoline_kernelINS0_14default_configENS1_27scan_by_key_config_selectorIiiEEZZNS1_16scan_by_key_implILNS1_25lookback_scan_determinismE0ELb1ES3_N6thrust23THRUST_200600_302600_NS6detail15normal_iteratorINS9_10device_ptrIiEEEESE_SE_iNS9_4plusIvEENS9_8equal_toIiEEiEE10hipError_tPvRmT2_T3_T4_T5_mT6_T7_P12ihipStream_tbENKUlT_T0_E_clISt17integral_constantIbLb1EESY_IbLb0EEEEDaSU_SV_EUlSU_E_NS1_11comp_targetILNS1_3genE5ELNS1_11target_archE942ELNS1_3gpuE9ELNS1_3repE0EEENS1_30default_config_static_selectorELNS0_4arch9wavefront6targetE1EEEvT1_: ; @_ZN7rocprim17ROCPRIM_400000_NS6detail17trampoline_kernelINS0_14default_configENS1_27scan_by_key_config_selectorIiiEEZZNS1_16scan_by_key_implILNS1_25lookback_scan_determinismE0ELb1ES3_N6thrust23THRUST_200600_302600_NS6detail15normal_iteratorINS9_10device_ptrIiEEEESE_SE_iNS9_4plusIvEENS9_8equal_toIiEEiEE10hipError_tPvRmT2_T3_T4_T5_mT6_T7_P12ihipStream_tbENKUlT_T0_E_clISt17integral_constantIbLb1EESY_IbLb0EEEEDaSU_SV_EUlSU_E_NS1_11comp_targetILNS1_3genE5ELNS1_11target_archE942ELNS1_3gpuE9ELNS1_3repE0EEENS1_30default_config_static_selectorELNS0_4arch9wavefront6targetE1EEEvT1_
; %bb.0:
	.section	.rodata,"a",@progbits
	.p2align	6, 0x0
	.amdhsa_kernel _ZN7rocprim17ROCPRIM_400000_NS6detail17trampoline_kernelINS0_14default_configENS1_27scan_by_key_config_selectorIiiEEZZNS1_16scan_by_key_implILNS1_25lookback_scan_determinismE0ELb1ES3_N6thrust23THRUST_200600_302600_NS6detail15normal_iteratorINS9_10device_ptrIiEEEESE_SE_iNS9_4plusIvEENS9_8equal_toIiEEiEE10hipError_tPvRmT2_T3_T4_T5_mT6_T7_P12ihipStream_tbENKUlT_T0_E_clISt17integral_constantIbLb1EESY_IbLb0EEEEDaSU_SV_EUlSU_E_NS1_11comp_targetILNS1_3genE5ELNS1_11target_archE942ELNS1_3gpuE9ELNS1_3repE0EEENS1_30default_config_static_selectorELNS0_4arch9wavefront6targetE1EEEvT1_
		.amdhsa_group_segment_fixed_size 0
		.amdhsa_private_segment_fixed_size 0
		.amdhsa_kernarg_size 112
		.amdhsa_user_sgpr_count 6
		.amdhsa_user_sgpr_private_segment_buffer 1
		.amdhsa_user_sgpr_dispatch_ptr 0
		.amdhsa_user_sgpr_queue_ptr 0
		.amdhsa_user_sgpr_kernarg_segment_ptr 1
		.amdhsa_user_sgpr_dispatch_id 0
		.amdhsa_user_sgpr_flat_scratch_init 0
		.amdhsa_user_sgpr_kernarg_preload_length 0
		.amdhsa_user_sgpr_kernarg_preload_offset 0
		.amdhsa_user_sgpr_private_segment_size 0
		.amdhsa_uses_dynamic_stack 0
		.amdhsa_system_sgpr_private_segment_wavefront_offset 0
		.amdhsa_system_sgpr_workgroup_id_x 1
		.amdhsa_system_sgpr_workgroup_id_y 0
		.amdhsa_system_sgpr_workgroup_id_z 0
		.amdhsa_system_sgpr_workgroup_info 0
		.amdhsa_system_vgpr_workitem_id 0
		.amdhsa_next_free_vgpr 1
		.amdhsa_next_free_sgpr 0
		.amdhsa_accum_offset 4
		.amdhsa_reserve_vcc 0
		.amdhsa_reserve_flat_scratch 0
		.amdhsa_float_round_mode_32 0
		.amdhsa_float_round_mode_16_64 0
		.amdhsa_float_denorm_mode_32 3
		.amdhsa_float_denorm_mode_16_64 3
		.amdhsa_dx10_clamp 1
		.amdhsa_ieee_mode 1
		.amdhsa_fp16_overflow 0
		.amdhsa_tg_split 0
		.amdhsa_exception_fp_ieee_invalid_op 0
		.amdhsa_exception_fp_denorm_src 0
		.amdhsa_exception_fp_ieee_div_zero 0
		.amdhsa_exception_fp_ieee_overflow 0
		.amdhsa_exception_fp_ieee_underflow 0
		.amdhsa_exception_fp_ieee_inexact 0
		.amdhsa_exception_int_div_zero 0
	.end_amdhsa_kernel
	.section	.text._ZN7rocprim17ROCPRIM_400000_NS6detail17trampoline_kernelINS0_14default_configENS1_27scan_by_key_config_selectorIiiEEZZNS1_16scan_by_key_implILNS1_25lookback_scan_determinismE0ELb1ES3_N6thrust23THRUST_200600_302600_NS6detail15normal_iteratorINS9_10device_ptrIiEEEESE_SE_iNS9_4plusIvEENS9_8equal_toIiEEiEE10hipError_tPvRmT2_T3_T4_T5_mT6_T7_P12ihipStream_tbENKUlT_T0_E_clISt17integral_constantIbLb1EESY_IbLb0EEEEDaSU_SV_EUlSU_E_NS1_11comp_targetILNS1_3genE5ELNS1_11target_archE942ELNS1_3gpuE9ELNS1_3repE0EEENS1_30default_config_static_selectorELNS0_4arch9wavefront6targetE1EEEvT1_,"axG",@progbits,_ZN7rocprim17ROCPRIM_400000_NS6detail17trampoline_kernelINS0_14default_configENS1_27scan_by_key_config_selectorIiiEEZZNS1_16scan_by_key_implILNS1_25lookback_scan_determinismE0ELb1ES3_N6thrust23THRUST_200600_302600_NS6detail15normal_iteratorINS9_10device_ptrIiEEEESE_SE_iNS9_4plusIvEENS9_8equal_toIiEEiEE10hipError_tPvRmT2_T3_T4_T5_mT6_T7_P12ihipStream_tbENKUlT_T0_E_clISt17integral_constantIbLb1EESY_IbLb0EEEEDaSU_SV_EUlSU_E_NS1_11comp_targetILNS1_3genE5ELNS1_11target_archE942ELNS1_3gpuE9ELNS1_3repE0EEENS1_30default_config_static_selectorELNS0_4arch9wavefront6targetE1EEEvT1_,comdat
.Lfunc_end553:
	.size	_ZN7rocprim17ROCPRIM_400000_NS6detail17trampoline_kernelINS0_14default_configENS1_27scan_by_key_config_selectorIiiEEZZNS1_16scan_by_key_implILNS1_25lookback_scan_determinismE0ELb1ES3_N6thrust23THRUST_200600_302600_NS6detail15normal_iteratorINS9_10device_ptrIiEEEESE_SE_iNS9_4plusIvEENS9_8equal_toIiEEiEE10hipError_tPvRmT2_T3_T4_T5_mT6_T7_P12ihipStream_tbENKUlT_T0_E_clISt17integral_constantIbLb1EESY_IbLb0EEEEDaSU_SV_EUlSU_E_NS1_11comp_targetILNS1_3genE5ELNS1_11target_archE942ELNS1_3gpuE9ELNS1_3repE0EEENS1_30default_config_static_selectorELNS0_4arch9wavefront6targetE1EEEvT1_, .Lfunc_end553-_ZN7rocprim17ROCPRIM_400000_NS6detail17trampoline_kernelINS0_14default_configENS1_27scan_by_key_config_selectorIiiEEZZNS1_16scan_by_key_implILNS1_25lookback_scan_determinismE0ELb1ES3_N6thrust23THRUST_200600_302600_NS6detail15normal_iteratorINS9_10device_ptrIiEEEESE_SE_iNS9_4plusIvEENS9_8equal_toIiEEiEE10hipError_tPvRmT2_T3_T4_T5_mT6_T7_P12ihipStream_tbENKUlT_T0_E_clISt17integral_constantIbLb1EESY_IbLb0EEEEDaSU_SV_EUlSU_E_NS1_11comp_targetILNS1_3genE5ELNS1_11target_archE942ELNS1_3gpuE9ELNS1_3repE0EEENS1_30default_config_static_selectorELNS0_4arch9wavefront6targetE1EEEvT1_
                                        ; -- End function
	.section	.AMDGPU.csdata,"",@progbits
; Kernel info:
; codeLenInByte = 0
; NumSgprs: 4
; NumVgprs: 0
; NumAgprs: 0
; TotalNumVgprs: 0
; ScratchSize: 0
; MemoryBound: 0
; FloatMode: 240
; IeeeMode: 1
; LDSByteSize: 0 bytes/workgroup (compile time only)
; SGPRBlocks: 0
; VGPRBlocks: 0
; NumSGPRsForWavesPerEU: 4
; NumVGPRsForWavesPerEU: 1
; AccumOffset: 4
; Occupancy: 8
; WaveLimiterHint : 0
; COMPUTE_PGM_RSRC2:SCRATCH_EN: 0
; COMPUTE_PGM_RSRC2:USER_SGPR: 6
; COMPUTE_PGM_RSRC2:TRAP_HANDLER: 0
; COMPUTE_PGM_RSRC2:TGID_X_EN: 1
; COMPUTE_PGM_RSRC2:TGID_Y_EN: 0
; COMPUTE_PGM_RSRC2:TGID_Z_EN: 0
; COMPUTE_PGM_RSRC2:TIDIG_COMP_CNT: 0
; COMPUTE_PGM_RSRC3_GFX90A:ACCUM_OFFSET: 0
; COMPUTE_PGM_RSRC3_GFX90A:TG_SPLIT: 0
	.section	.text._ZN7rocprim17ROCPRIM_400000_NS6detail17trampoline_kernelINS0_14default_configENS1_27scan_by_key_config_selectorIiiEEZZNS1_16scan_by_key_implILNS1_25lookback_scan_determinismE0ELb1ES3_N6thrust23THRUST_200600_302600_NS6detail15normal_iteratorINS9_10device_ptrIiEEEESE_SE_iNS9_4plusIvEENS9_8equal_toIiEEiEE10hipError_tPvRmT2_T3_T4_T5_mT6_T7_P12ihipStream_tbENKUlT_T0_E_clISt17integral_constantIbLb1EESY_IbLb0EEEEDaSU_SV_EUlSU_E_NS1_11comp_targetILNS1_3genE4ELNS1_11target_archE910ELNS1_3gpuE8ELNS1_3repE0EEENS1_30default_config_static_selectorELNS0_4arch9wavefront6targetE1EEEvT1_,"axG",@progbits,_ZN7rocprim17ROCPRIM_400000_NS6detail17trampoline_kernelINS0_14default_configENS1_27scan_by_key_config_selectorIiiEEZZNS1_16scan_by_key_implILNS1_25lookback_scan_determinismE0ELb1ES3_N6thrust23THRUST_200600_302600_NS6detail15normal_iteratorINS9_10device_ptrIiEEEESE_SE_iNS9_4plusIvEENS9_8equal_toIiEEiEE10hipError_tPvRmT2_T3_T4_T5_mT6_T7_P12ihipStream_tbENKUlT_T0_E_clISt17integral_constantIbLb1EESY_IbLb0EEEEDaSU_SV_EUlSU_E_NS1_11comp_targetILNS1_3genE4ELNS1_11target_archE910ELNS1_3gpuE8ELNS1_3repE0EEENS1_30default_config_static_selectorELNS0_4arch9wavefront6targetE1EEEvT1_,comdat
	.protected	_ZN7rocprim17ROCPRIM_400000_NS6detail17trampoline_kernelINS0_14default_configENS1_27scan_by_key_config_selectorIiiEEZZNS1_16scan_by_key_implILNS1_25lookback_scan_determinismE0ELb1ES3_N6thrust23THRUST_200600_302600_NS6detail15normal_iteratorINS9_10device_ptrIiEEEESE_SE_iNS9_4plusIvEENS9_8equal_toIiEEiEE10hipError_tPvRmT2_T3_T4_T5_mT6_T7_P12ihipStream_tbENKUlT_T0_E_clISt17integral_constantIbLb1EESY_IbLb0EEEEDaSU_SV_EUlSU_E_NS1_11comp_targetILNS1_3genE4ELNS1_11target_archE910ELNS1_3gpuE8ELNS1_3repE0EEENS1_30default_config_static_selectorELNS0_4arch9wavefront6targetE1EEEvT1_ ; -- Begin function _ZN7rocprim17ROCPRIM_400000_NS6detail17trampoline_kernelINS0_14default_configENS1_27scan_by_key_config_selectorIiiEEZZNS1_16scan_by_key_implILNS1_25lookback_scan_determinismE0ELb1ES3_N6thrust23THRUST_200600_302600_NS6detail15normal_iteratorINS9_10device_ptrIiEEEESE_SE_iNS9_4plusIvEENS9_8equal_toIiEEiEE10hipError_tPvRmT2_T3_T4_T5_mT6_T7_P12ihipStream_tbENKUlT_T0_E_clISt17integral_constantIbLb1EESY_IbLb0EEEEDaSU_SV_EUlSU_E_NS1_11comp_targetILNS1_3genE4ELNS1_11target_archE910ELNS1_3gpuE8ELNS1_3repE0EEENS1_30default_config_static_selectorELNS0_4arch9wavefront6targetE1EEEvT1_
	.globl	_ZN7rocprim17ROCPRIM_400000_NS6detail17trampoline_kernelINS0_14default_configENS1_27scan_by_key_config_selectorIiiEEZZNS1_16scan_by_key_implILNS1_25lookback_scan_determinismE0ELb1ES3_N6thrust23THRUST_200600_302600_NS6detail15normal_iteratorINS9_10device_ptrIiEEEESE_SE_iNS9_4plusIvEENS9_8equal_toIiEEiEE10hipError_tPvRmT2_T3_T4_T5_mT6_T7_P12ihipStream_tbENKUlT_T0_E_clISt17integral_constantIbLb1EESY_IbLb0EEEEDaSU_SV_EUlSU_E_NS1_11comp_targetILNS1_3genE4ELNS1_11target_archE910ELNS1_3gpuE8ELNS1_3repE0EEENS1_30default_config_static_selectorELNS0_4arch9wavefront6targetE1EEEvT1_
	.p2align	8
	.type	_ZN7rocprim17ROCPRIM_400000_NS6detail17trampoline_kernelINS0_14default_configENS1_27scan_by_key_config_selectorIiiEEZZNS1_16scan_by_key_implILNS1_25lookback_scan_determinismE0ELb1ES3_N6thrust23THRUST_200600_302600_NS6detail15normal_iteratorINS9_10device_ptrIiEEEESE_SE_iNS9_4plusIvEENS9_8equal_toIiEEiEE10hipError_tPvRmT2_T3_T4_T5_mT6_T7_P12ihipStream_tbENKUlT_T0_E_clISt17integral_constantIbLb1EESY_IbLb0EEEEDaSU_SV_EUlSU_E_NS1_11comp_targetILNS1_3genE4ELNS1_11target_archE910ELNS1_3gpuE8ELNS1_3repE0EEENS1_30default_config_static_selectorELNS0_4arch9wavefront6targetE1EEEvT1_,@function
_ZN7rocprim17ROCPRIM_400000_NS6detail17trampoline_kernelINS0_14default_configENS1_27scan_by_key_config_selectorIiiEEZZNS1_16scan_by_key_implILNS1_25lookback_scan_determinismE0ELb1ES3_N6thrust23THRUST_200600_302600_NS6detail15normal_iteratorINS9_10device_ptrIiEEEESE_SE_iNS9_4plusIvEENS9_8equal_toIiEEiEE10hipError_tPvRmT2_T3_T4_T5_mT6_T7_P12ihipStream_tbENKUlT_T0_E_clISt17integral_constantIbLb1EESY_IbLb0EEEEDaSU_SV_EUlSU_E_NS1_11comp_targetILNS1_3genE4ELNS1_11target_archE910ELNS1_3gpuE8ELNS1_3repE0EEENS1_30default_config_static_selectorELNS0_4arch9wavefront6targetE1EEEvT1_: ; @_ZN7rocprim17ROCPRIM_400000_NS6detail17trampoline_kernelINS0_14default_configENS1_27scan_by_key_config_selectorIiiEEZZNS1_16scan_by_key_implILNS1_25lookback_scan_determinismE0ELb1ES3_N6thrust23THRUST_200600_302600_NS6detail15normal_iteratorINS9_10device_ptrIiEEEESE_SE_iNS9_4plusIvEENS9_8equal_toIiEEiEE10hipError_tPvRmT2_T3_T4_T5_mT6_T7_P12ihipStream_tbENKUlT_T0_E_clISt17integral_constantIbLb1EESY_IbLb0EEEEDaSU_SV_EUlSU_E_NS1_11comp_targetILNS1_3genE4ELNS1_11target_archE910ELNS1_3gpuE8ELNS1_3repE0EEENS1_30default_config_static_selectorELNS0_4arch9wavefront6targetE1EEEvT1_
; %bb.0:
	s_load_dwordx8 s[36:43], s[4:5], 0x0
	s_load_dword s56, s[4:5], 0x20
	s_load_dwordx4 s[44:47], s[4:5], 0x28
	s_load_dwordx2 s[52:53], s[4:5], 0x38
	s_load_dword s0, s[4:5], 0x40
	s_load_dwordx4 s[48:51], s[4:5], 0x48
	s_waitcnt lgkmcnt(0)
	s_lshl_b64 s[34:35], s[38:39], 2
	s_add_u32 s2, s36, s34
	s_addc_u32 s3, s37, s35
	s_add_u32 s4, s40, s34
	s_mul_i32 s1, s53, s0
	s_mul_hi_u32 s7, s52, s0
	s_addc_u32 s5, s41, s35
	s_add_i32 s8, s7, s1
	s_mul_i32 s9, s52, s0
	s_mul_i32 s0, s6, 0xe00
	s_mov_b32 s1, 0
	s_lshl_b64 s[36:37], s[0:1], 2
	s_add_u32 s38, s2, s36
	s_addc_u32 s39, s3, s37
	s_add_u32 s7, s4, s36
	s_addc_u32 s47, s5, s37
	;; [unrolled: 2-line block ×3, first 2 shown]
	s_add_u32 s4, s48, -1
	s_addc_u32 s5, s49, -1
	v_pk_mov_b32 v[2:3], s[4:5], s[4:5] op_sel:[0,1]
	v_cmp_ge_u64_e64 s[0:1], s[0:1], v[2:3]
	s_mov_b64 s[2:3], -1
	s_and_b64 vcc, exec, s[0:1]
	s_mul_i32 s33, s4, 0xfffff200
	s_barrier
	s_cbranch_vccz .LBB554_76
; %bb.1:
	v_pk_mov_b32 v[2:3], s[38:39], s[38:39] op_sel:[0,1]
	flat_load_dword v1, v[2:3]
	s_add_i32 s54, s33, s46
	v_cmp_gt_u32_e32 vcc, s54, v0
	s_waitcnt vmcnt(0) lgkmcnt(0)
	v_mov_b32_e32 v13, v1
	s_and_saveexec_b64 s[4:5], vcc
	s_cbranch_execz .LBB554_3
; %bb.2:
	v_lshlrev_b32_e32 v2, 2, v0
	v_mov_b32_e32 v3, s39
	v_add_co_u32_e64 v2, s[2:3], s38, v2
	v_addc_co_u32_e64 v3, s[2:3], 0, v3, s[2:3]
	flat_load_dword v13, v[2:3]
.LBB554_3:
	s_or_b64 exec, exec, s[4:5]
	v_or_b32_e32 v2, 0x100, v0
	v_cmp_gt_u32_e64 s[2:3], s54, v2
	v_mov_b32_e32 v14, v1
	s_and_saveexec_b64 s[8:9], s[2:3]
	s_cbranch_execz .LBB554_5
; %bb.4:
	v_lshlrev_b32_e32 v2, 2, v0
	v_mov_b32_e32 v3, s39
	v_add_co_u32_e64 v2, s[4:5], s38, v2
	v_addc_co_u32_e64 v3, s[4:5], 0, v3, s[4:5]
	flat_load_dword v14, v[2:3] offset:1024
.LBB554_5:
	s_or_b64 exec, exec, s[8:9]
	v_or_b32_e32 v2, 0x200, v0
	v_cmp_gt_u32_e64 s[4:5], s54, v2
	v_mov_b32_e32 v15, v1
	s_and_saveexec_b64 s[10:11], s[4:5]
	s_cbranch_execz .LBB554_7
; %bb.6:
	v_lshlrev_b32_e32 v2, 2, v0
	v_mov_b32_e32 v3, s39
	v_add_co_u32_e64 v2, s[8:9], s38, v2
	v_addc_co_u32_e64 v3, s[8:9], 0, v3, s[8:9]
	flat_load_dword v15, v[2:3] offset:2048
.LBB554_7:
	;; [unrolled: 13-line block ×3, first 2 shown]
	s_or_b64 exec, exec, s[10:11]
	v_or_b32_e32 v2, 0x400, v0
	v_cmp_gt_u32_e64 s[8:9], s54, v2
	v_mov_b32_e32 v17, v1
	s_and_saveexec_b64 s[12:13], s[8:9]
	s_cbranch_execz .LBB554_11
; %bb.10:
	v_lshlrev_b32_e32 v3, 2, v2
	v_mov_b32_e32 v5, s39
	v_add_co_u32_e64 v4, s[10:11], s38, v3
	v_addc_co_u32_e64 v5, s[10:11], 0, v5, s[10:11]
	flat_load_dword v17, v[4:5]
.LBB554_11:
	s_or_b64 exec, exec, s[12:13]
	v_or_b32_e32 v3, 0x500, v0
	v_cmp_gt_u32_e64 s[10:11], s54, v3
	v_mov_b32_e32 v18, v1
	s_and_saveexec_b64 s[14:15], s[10:11]
	s_cbranch_execz .LBB554_13
; %bb.12:
	v_lshlrev_b32_e32 v4, 2, v3
	v_mov_b32_e32 v5, s39
	v_add_co_u32_e64 v4, s[12:13], s38, v4
	v_addc_co_u32_e64 v5, s[12:13], 0, v5, s[12:13]
	flat_load_dword v18, v[4:5]
.LBB554_13:
	;; [unrolled: 13-line block ×9, first 2 shown]
	s_or_b64 exec, exec, s[30:31]
	v_or_b32_e32 v11, 0xd00, v0
	v_cmp_gt_u32_e64 s[26:27], s54, v11
	s_and_saveexec_b64 s[40:41], s[26:27]
	s_cbranch_execz .LBB554_29
; %bb.28:
	v_lshlrev_b32_e32 v1, 2, v11
	v_mov_b32_e32 v12, s39
	v_add_co_u32_e64 v26, s[30:31], s38, v1
	v_addc_co_u32_e64 v27, s[30:31], 0, v12, s[30:31]
	flat_load_dword v1, v[26:27]
.LBB554_29:
	s_or_b64 exec, exec, s[40:41]
	v_lshlrev_b32_e32 v12, 2, v0
	s_waitcnt vmcnt(0) lgkmcnt(0)
	ds_write2st64_b32 v12, v13, v14 offset1:4
	ds_write2st64_b32 v12, v15, v16 offset0:8 offset1:12
	ds_write2st64_b32 v12, v17, v18 offset0:16 offset1:20
	;; [unrolled: 1-line block ×6, first 2 shown]
	v_pk_mov_b32 v[14:15], s[38:39], s[38:39] op_sel:[0,1]
	s_waitcnt lgkmcnt(0)
	s_barrier
	flat_load_dword v1, v[14:15]
	v_mad_u32_u24 v44, v0, 52, v12
	s_movk_i32 s30, 0xffcc
	ds_read2_b64 v[34:37], v44 offset1:1
	ds_read2_b64 v[30:33], v44 offset0:2 offset1:3
	ds_read2_b64 v[26:29], v44 offset0:4 offset1:5
	ds_read_b64 v[40:41], v44 offset:48
	v_mad_i32_i24 v13, v0, s30, v44
	s_movk_i32 s30, 0xff
	v_cmp_ne_u32_e64 s[30:31], s30, v0
	s_waitcnt lgkmcnt(0)
	ds_write_b32 v13, v34 offset:15360
	s_waitcnt lgkmcnt(0)
	s_barrier
	s_and_saveexec_b64 s[40:41], s[30:31]
	s_cbranch_execz .LBB554_31
; %bb.30:
	s_waitcnt vmcnt(0)
	ds_read_b32 v1, v12 offset:15364
.LBB554_31:
	s_or_b64 exec, exec, s[40:41]
	s_waitcnt lgkmcnt(0)
	s_barrier
	s_waitcnt lgkmcnt(0)
                                        ; implicit-def: $vgpr13
	s_and_saveexec_b64 s[30:31], vcc
	s_cbranch_execz .LBB554_117
; %bb.32:
	v_mov_b32_e32 v13, s47
	v_add_co_u32_e32 v14, vcc, s7, v12
	v_addc_co_u32_e32 v15, vcc, 0, v13, vcc
	flat_load_dword v13, v[14:15]
	s_or_b64 exec, exec, s[30:31]
                                        ; implicit-def: $vgpr14
	s_and_saveexec_b64 s[30:31], s[2:3]
	s_cbranch_execnz .LBB554_118
.LBB554_33:
	s_or_b64 exec, exec, s[30:31]
                                        ; implicit-def: $vgpr15
	s_and_saveexec_b64 s[2:3], s[4:5]
	s_cbranch_execz .LBB554_119
.LBB554_34:
	v_mov_b32_e32 v15, s47
	v_add_co_u32_e32 v16, vcc, s7, v12
	v_addc_co_u32_e32 v17, vcc, 0, v15, vcc
	flat_load_dword v15, v[16:17] offset:2048
	s_or_b64 exec, exec, s[2:3]
                                        ; implicit-def: $vgpr16
	s_and_saveexec_b64 s[2:3], s[28:29]
	s_cbranch_execnz .LBB554_120
.LBB554_35:
	s_or_b64 exec, exec, s[2:3]
                                        ; implicit-def: $vgpr17
	s_and_saveexec_b64 s[2:3], s[8:9]
	s_cbranch_execz .LBB554_121
.LBB554_36:
	v_lshlrev_b32_e32 v2, 2, v2
	v_mov_b32_e32 v17, s47
	v_add_co_u32_e32 v18, vcc, s7, v2
	v_addc_co_u32_e32 v19, vcc, 0, v17, vcc
	flat_load_dword v17, v[18:19]
	s_or_b64 exec, exec, s[2:3]
                                        ; implicit-def: $vgpr2
	s_and_saveexec_b64 s[2:3], s[10:11]
	s_cbranch_execnz .LBB554_122
.LBB554_37:
	s_or_b64 exec, exec, s[2:3]
                                        ; implicit-def: $vgpr3
	s_and_saveexec_b64 s[2:3], s[12:13]
	s_cbranch_execz .LBB554_123
.LBB554_38:
	v_lshlrev_b32_e32 v3, 2, v4
	v_mov_b32_e32 v4, s47
	v_add_co_u32_e32 v18, vcc, s7, v3
	v_addc_co_u32_e32 v19, vcc, 0, v4, vcc
	flat_load_dword v3, v[18:19]
	s_or_b64 exec, exec, s[2:3]
                                        ; implicit-def: $vgpr4
	s_and_saveexec_b64 s[2:3], s[14:15]
	s_cbranch_execnz .LBB554_124
.LBB554_39:
	s_or_b64 exec, exec, s[2:3]
                                        ; implicit-def: $vgpr5
	s_and_saveexec_b64 s[2:3], s[16:17]
	s_cbranch_execz .LBB554_125
.LBB554_40:
	v_lshlrev_b32_e32 v5, 2, v6
	v_mov_b32_e32 v6, s47
	v_add_co_u32_e32 v18, vcc, s7, v5
	v_addc_co_u32_e32 v19, vcc, 0, v6, vcc
	flat_load_dword v5, v[18:19]
	s_or_b64 exec, exec, s[2:3]
                                        ; implicit-def: $vgpr6
	s_and_saveexec_b64 s[2:3], s[18:19]
	s_cbranch_execnz .LBB554_126
.LBB554_41:
	s_or_b64 exec, exec, s[2:3]
                                        ; implicit-def: $vgpr7
	s_and_saveexec_b64 s[2:3], s[20:21]
	s_cbranch_execz .LBB554_127
.LBB554_42:
	v_lshlrev_b32_e32 v7, 2, v8
	v_mov_b32_e32 v8, s47
	v_add_co_u32_e32 v18, vcc, s7, v7
	v_addc_co_u32_e32 v19, vcc, 0, v8, vcc
	flat_load_dword v7, v[18:19]
	s_or_b64 exec, exec, s[2:3]
                                        ; implicit-def: $vgpr8
	s_and_saveexec_b64 s[2:3], s[22:23]
	s_cbranch_execnz .LBB554_128
.LBB554_43:
	s_or_b64 exec, exec, s[2:3]
                                        ; implicit-def: $vgpr9
	s_and_saveexec_b64 s[2:3], s[24:25]
	s_cbranch_execz .LBB554_45
.LBB554_44:
	v_lshlrev_b32_e32 v9, 2, v10
	v_mov_b32_e32 v10, s47
	v_add_co_u32_e32 v18, vcc, s7, v9
	v_addc_co_u32_e32 v19, vcc, 0, v10, vcc
	flat_load_dword v9, v[18:19]
.LBB554_45:
	s_or_b64 exec, exec, s[2:3]
	v_mul_u32_u24_e32 v45, 14, v0
                                        ; implicit-def: $vgpr10
	s_and_saveexec_b64 s[2:3], s[26:27]
	s_cbranch_execz .LBB554_47
; %bb.46:
	v_lshlrev_b32_e32 v10, 2, v11
	v_mov_b32_e32 v11, s47
	v_add_co_u32_e32 v10, vcc, s7, v10
	v_addc_co_u32_e32 v11, vcc, 0, v11, vcc
	flat_load_dword v10, v[10:11]
.LBB554_47:
	s_or_b64 exec, exec, s[2:3]
	s_mov_b32 s8, 0
	s_mov_b32 s9, s8
	s_waitcnt vmcnt(0) lgkmcnt(0)
	ds_write2st64_b32 v12, v13, v14 offset1:4
	ds_write2st64_b32 v12, v15, v16 offset0:8 offset1:12
	ds_write2st64_b32 v12, v17, v2 offset0:16 offset1:20
	;; [unrolled: 1-line block ×6, first 2 shown]
	s_mov_b32 s10, s8
	s_mov_b32 s11, s8
	;; [unrolled: 1-line block ×6, first 2 shown]
	v_pk_mov_b32 v[2:3], s[8:9], s[8:9] op_sel:[0,1]
	v_pk_mov_b32 v[8:9], s[14:15], s[14:15] op_sel:[0,1]
	;; [unrolled: 1-line block ×6, first 2 shown]
	v_cmp_gt_u32_e32 vcc, s54, v45
	s_mov_b64 s[2:3], 0
	v_pk_mov_b32 v[38:39], 0, 0
	s_mov_b64 s[18:19], 0
	v_pk_mov_b32 v[14:15], v[6:7], v[6:7] op_sel:[0,1]
	v_pk_mov_b32 v[12:13], v[4:5], v[4:5] op_sel:[0,1]
	;; [unrolled: 1-line block ×6, first 2 shown]
	s_waitcnt lgkmcnt(0)
	s_barrier
	s_waitcnt lgkmcnt(0)
                                        ; implicit-def: $sgpr16_sgpr17
                                        ; implicit-def: $vgpr42
	s_and_saveexec_b64 s[4:5], vcc
	s_cbranch_execz .LBB554_75
; %bb.48:
	ds_read_b32 v2, v44
	v_mov_b32_e32 v4, s56
	v_cmp_eq_u32_e32 vcc, v34, v35
	v_or_b32_e32 v3, 1, v45
                                        ; implicit-def: $vgpr42
	s_waitcnt lgkmcnt(0)
	v_cndmask_b32_e32 v38, v4, v2, vcc
	v_cmp_ne_u32_e32 vcc, v34, v35
	v_cndmask_b32_e64 v39, 0, 1, vcc
	v_cmp_gt_u32_e32 vcc, s54, v3
	v_pk_mov_b32 v[2:3], s[8:9], s[8:9] op_sel:[0,1]
	v_pk_mov_b32 v[8:9], s[14:15], s[14:15] op_sel:[0,1]
	;; [unrolled: 1-line block ×12, first 2 shown]
                                        ; implicit-def: $sgpr8_sgpr9
	s_and_saveexec_b64 s[16:17], vcc
	s_cbranch_execz .LBB554_74
; %bb.49:
	ds_read2_b32 v[42:43], v44 offset0:1 offset1:2
	s_mov_b32 s8, 0
	v_mov_b32_e32 v3, s56
	v_cmp_eq_u32_e32 vcc, v35, v36
	s_mov_b32 s14, s8
	s_mov_b32 s15, s8
	v_add_u32_e32 v2, 2, v45
	s_waitcnt lgkmcnt(0)
	v_cndmask_b32_e32 v8, v3, v42, vcc
	v_cmp_ne_u32_e32 vcc, v35, v36
	s_mov_b32 s9, s8
	s_mov_b32 s10, s8
	;; [unrolled: 1-line block ×5, first 2 shown]
	v_pk_mov_b32 v[16:17], s[14:15], s[14:15] op_sel:[0,1]
	v_cndmask_b32_e64 v9, 0, 1, vcc
	v_cmp_gt_u32_e32 vcc, s54, v2
	v_mov_b32_e32 v2, 0
	v_pk_mov_b32 v[14:15], s[12:13], s[12:13] op_sel:[0,1]
	v_pk_mov_b32 v[12:13], s[10:11], s[10:11] op_sel:[0,1]
	;; [unrolled: 1-line block ×4, first 2 shown]
	v_mov_b32_e32 v3, v2
	v_mov_b32_e32 v4, v2
	v_mov_b32_e32 v5, v2
	v_mov_b32_e32 v6, v2
	v_mov_b32_e32 v7, v2
	s_mov_b64 s[20:21], 0
	v_pk_mov_b32 v[22:23], v[14:15], v[14:15] op_sel:[0,1]
	v_pk_mov_b32 v[20:21], v[12:13], v[12:13] op_sel:[0,1]
	;; [unrolled: 1-line block ×3, first 2 shown]
                                        ; implicit-def: $sgpr24_sgpr25
                                        ; implicit-def: $vgpr42
	s_and_saveexec_b64 s[18:19], vcc
	s_cbranch_execz .LBB554_73
; %bb.50:
	v_mov_b32_e32 v4, s56
	v_cmp_eq_u32_e32 vcc, v36, v37
	v_pk_mov_b32 v[16:17], s[14:15], s[14:15] op_sel:[0,1]
	v_add_u32_e32 v3, 3, v45
	v_cndmask_b32_e32 v6, v4, v43, vcc
	v_cmp_ne_u32_e32 vcc, v36, v37
	v_pk_mov_b32 v[14:15], s[12:13], s[12:13] op_sel:[0,1]
	v_pk_mov_b32 v[12:13], s[10:11], s[10:11] op_sel:[0,1]
	v_pk_mov_b32 v[10:11], s[8:9], s[8:9] op_sel:[0,1]
	v_pk_mov_b32 v[24:25], v[16:17], v[16:17] op_sel:[0,1]
	v_cndmask_b32_e64 v7, 0, 1, vcc
	v_cmp_gt_u32_e32 vcc, s54, v3
	v_mov_b32_e32 v3, v2
	v_mov_b32_e32 v4, v2
	;; [unrolled: 1-line block ×3, first 2 shown]
	s_mov_b64 s[22:23], 0
	v_pk_mov_b32 v[22:23], v[14:15], v[14:15] op_sel:[0,1]
	v_pk_mov_b32 v[20:21], v[12:13], v[12:13] op_sel:[0,1]
	;; [unrolled: 1-line block ×3, first 2 shown]
                                        ; implicit-def: $sgpr8_sgpr9
                                        ; implicit-def: $vgpr42
	s_and_saveexec_b64 s[20:21], vcc
	s_cbranch_execz .LBB554_72
; %bb.51:
	ds_read2_b32 v[34:35], v44 offset0:3 offset1:4
	s_mov_b32 s8, 0
	s_mov_b32 s14, s8
	s_mov_b32 s15, s8
	v_mov_b32_e32 v3, s56
	v_cmp_eq_u32_e32 vcc, v37, v30
	s_mov_b32 s9, s8
	s_mov_b32 s10, s8
	;; [unrolled: 1-line block ×5, first 2 shown]
	v_pk_mov_b32 v[16:17], s[14:15], s[14:15] op_sel:[0,1]
	v_add_u32_e32 v2, 4, v45
	s_waitcnt lgkmcnt(0)
	v_cndmask_b32_e32 v4, v3, v34, vcc
	v_cmp_ne_u32_e32 vcc, v37, v30
	v_pk_mov_b32 v[14:15], s[12:13], s[12:13] op_sel:[0,1]
	v_pk_mov_b32 v[12:13], s[10:11], s[10:11] op_sel:[0,1]
	;; [unrolled: 1-line block ×4, first 2 shown]
	v_cndmask_b32_e64 v5, 0, 1, vcc
	v_cmp_gt_u32_e32 vcc, s54, v2
	v_mov_b32_e32 v2, s8
	v_mov_b32_e32 v3, s8
	s_mov_b64 s[24:25], 0
	v_pk_mov_b32 v[22:23], v[14:15], v[14:15] op_sel:[0,1]
	v_pk_mov_b32 v[20:21], v[12:13], v[12:13] op_sel:[0,1]
	;; [unrolled: 1-line block ×3, first 2 shown]
                                        ; implicit-def: $sgpr26_sgpr27
                                        ; implicit-def: $vgpr42
	s_and_saveexec_b64 s[22:23], vcc
	s_cbranch_execz .LBB554_71
; %bb.52:
	v_mov_b32_e32 v2, s56
	v_cmp_eq_u32_e32 vcc, v30, v31
	v_add_u32_e32 v10, 5, v45
	v_cndmask_b32_e32 v2, v2, v35, vcc
	v_cmp_ne_u32_e32 vcc, v30, v31
	v_cndmask_b32_e64 v3, 0, 1, vcc
	v_cmp_gt_u32_e32 vcc, s54, v10
	v_pk_mov_b32 v[16:17], s[14:15], s[14:15] op_sel:[0,1]
	v_pk_mov_b32 v[14:15], s[12:13], s[12:13] op_sel:[0,1]
	;; [unrolled: 1-line block ×5, first 2 shown]
	s_mov_b64 s[28:29], 0
	v_pk_mov_b32 v[22:23], v[14:15], v[14:15] op_sel:[0,1]
	v_pk_mov_b32 v[20:21], v[12:13], v[12:13] op_sel:[0,1]
	;; [unrolled: 1-line block ×3, first 2 shown]
                                        ; implicit-def: $sgpr8_sgpr9
                                        ; implicit-def: $vgpr42
	s_and_saveexec_b64 s[24:25], vcc
	s_cbranch_execz .LBB554_70
; %bb.53:
	ds_read2_b32 v[34:35], v44 offset0:5 offset1:6
	v_mov_b32_e32 v11, s56
	v_cmp_eq_u32_e32 vcc, v31, v32
	s_mov_b32 s8, 0
	v_add_u32_e32 v10, 6, v45
	s_waitcnt lgkmcnt(0)
	v_cndmask_b32_e32 v16, v11, v34, vcc
	v_cmp_ne_u32_e32 vcc, v31, v32
	s_mov_b32 s14, s8
	s_mov_b32 s15, s8
	v_cndmask_b32_e64 v17, 0, 1, vcc
	v_cmp_gt_u32_e32 vcc, s54, v10
	v_mov_b32_e32 v10, 0
	s_mov_b32 s9, s8
	s_mov_b32 s10, s8
	;; [unrolled: 1-line block ×5, first 2 shown]
	v_pk_mov_b32 v[24:25], s[14:15], s[14:15] op_sel:[0,1]
	v_mov_b32_e32 v11, v10
	v_mov_b32_e32 v12, v10
	v_mov_b32_e32 v13, v10
	v_mov_b32_e32 v14, v10
	v_mov_b32_e32 v15, v10
	v_pk_mov_b32 v[22:23], s[12:13], s[12:13] op_sel:[0,1]
	v_pk_mov_b32 v[20:21], s[10:11], s[10:11] op_sel:[0,1]
	;; [unrolled: 1-line block ×3, first 2 shown]
                                        ; implicit-def: $sgpr40_sgpr41
                                        ; implicit-def: $vgpr42
	s_and_saveexec_b64 s[26:27], vcc
	s_cbranch_execz .LBB554_69
; %bb.54:
	v_mov_b32_e32 v12, s56
	v_cmp_eq_u32_e32 vcc, v32, v33
	v_add_u32_e32 v11, 7, v45
	v_cndmask_b32_e32 v14, v12, v35, vcc
	v_cmp_ne_u32_e32 vcc, v32, v33
	v_pk_mov_b32 v[24:25], s[14:15], s[14:15] op_sel:[0,1]
	v_cndmask_b32_e64 v15, 0, 1, vcc
	v_cmp_gt_u32_e32 vcc, s54, v11
	v_mov_b32_e32 v11, v10
	v_mov_b32_e32 v12, v10
	;; [unrolled: 1-line block ×3, first 2 shown]
	s_mov_b64 s[30:31], 0
	v_pk_mov_b32 v[22:23], s[12:13], s[12:13] op_sel:[0,1]
	v_pk_mov_b32 v[20:21], s[10:11], s[10:11] op_sel:[0,1]
	;; [unrolled: 1-line block ×3, first 2 shown]
                                        ; implicit-def: $sgpr8_sgpr9
                                        ; implicit-def: $vgpr42
	s_and_saveexec_b64 s[28:29], vcc
	s_cbranch_execz .LBB554_68
; %bb.55:
	ds_read2_b32 v[30:31], v44 offset0:7 offset1:8
	s_mov_b32 s8, 0
	v_mov_b32_e32 v11, s56
	v_cmp_eq_u32_e32 vcc, v33, v26
	s_mov_b32 s14, s8
	s_mov_b32 s15, s8
	v_add_u32_e32 v10, 8, v45
	s_waitcnt lgkmcnt(0)
	v_cndmask_b32_e32 v12, v11, v30, vcc
	v_cmp_ne_u32_e32 vcc, v33, v26
	s_mov_b32 s9, s8
	s_mov_b32 s10, s8
	;; [unrolled: 1-line block ×5, first 2 shown]
	v_pk_mov_b32 v[24:25], s[14:15], s[14:15] op_sel:[0,1]
	v_cndmask_b32_e64 v13, 0, 1, vcc
	v_cmp_gt_u32_e32 vcc, s54, v10
	v_mov_b32_e32 v10, s8
	v_mov_b32_e32 v11, s8
	s_mov_b64 s[40:41], 0
	v_pk_mov_b32 v[22:23], s[12:13], s[12:13] op_sel:[0,1]
	v_pk_mov_b32 v[20:21], s[10:11], s[10:11] op_sel:[0,1]
	v_pk_mov_b32 v[18:19], s[8:9], s[8:9] op_sel:[0,1]
                                        ; implicit-def: $sgpr48_sgpr49
                                        ; implicit-def: $vgpr42
	s_and_saveexec_b64 s[30:31], vcc
	s_cbranch_execz .LBB554_67
; %bb.56:
	v_mov_b32_e32 v10, s56
	v_cmp_eq_u32_e32 vcc, v26, v27
	v_add_u32_e32 v18, 9, v45
	v_cndmask_b32_e32 v10, v10, v31, vcc
	v_cmp_ne_u32_e32 vcc, v26, v27
	v_cndmask_b32_e64 v11, 0, 1, vcc
	v_cmp_gt_u32_e32 vcc, s54, v18
	v_pk_mov_b32 v[24:25], s[14:15], s[14:15] op_sel:[0,1]
	v_pk_mov_b32 v[22:23], s[12:13], s[12:13] op_sel:[0,1]
	;; [unrolled: 1-line block ×4, first 2 shown]
                                        ; implicit-def: $sgpr10_sgpr11
                                        ; implicit-def: $vgpr42
	s_and_saveexec_b64 s[8:9], vcc
	s_cbranch_execz .LBB554_66
; %bb.57:
	ds_read2_b32 v[30:31], v44 offset0:9 offset1:10
	v_mov_b32_e32 v18, s56
	v_cmp_eq_u32_e32 vcc, v27, v28
	v_add_u32_e32 v20, 10, v45
	v_mov_b32_e32 v22, 0
	s_waitcnt lgkmcnt(0)
	v_cndmask_b32_e32 v18, v18, v30, vcc
	v_cmp_ne_u32_e32 vcc, v27, v28
	v_cndmask_b32_e64 v19, 0, 1, vcc
	v_cmp_gt_u32_e32 vcc, s54, v20
	v_mov_b32_e32 v20, v22
	v_mov_b32_e32 v21, v22
	;; [unrolled: 1-line block ×5, first 2 shown]
	s_mov_b64 s[12:13], 0
                                        ; implicit-def: $sgpr40_sgpr41
                                        ; implicit-def: $vgpr42
	s_and_saveexec_b64 s[10:11], vcc
	s_cbranch_execz .LBB554_65
; %bb.58:
	v_mov_b32_e32 v20, s56
	v_cmp_eq_u32_e32 vcc, v28, v29
	v_add_u32_e32 v23, 11, v45
	v_cndmask_b32_e32 v20, v20, v31, vcc
	v_cmp_ne_u32_e32 vcc, v28, v29
	v_cndmask_b32_e64 v21, 0, 1, vcc
	v_cmp_gt_u32_e32 vcc, s54, v23
	s_mov_b32 s40, 0
	v_mov_b32_e32 v23, v22
	v_mov_b32_e32 v24, v22
	;; [unrolled: 1-line block ×3, first 2 shown]
	s_mov_b64 s[14:15], 0
                                        ; implicit-def: $sgpr48_sgpr49
                                        ; implicit-def: $vgpr42
	s_and_saveexec_b64 s[12:13], vcc
	s_cbranch_execz .LBB554_64
; %bb.59:
	ds_read2_b32 v[26:27], v44 offset0:11 offset1:12
	v_mov_b32_e32 v22, s56
	v_cmp_eq_u32_e32 vcc, v29, v40
	v_add_u32_e32 v24, 12, v45
	v_mov_b32_e32 v25, s40
	s_waitcnt lgkmcnt(0)
	v_cndmask_b32_e32 v22, v22, v26, vcc
	v_cmp_ne_u32_e32 vcc, v29, v40
	v_cndmask_b32_e64 v23, 0, 1, vcc
	v_cmp_gt_u32_e32 vcc, s54, v24
	v_mov_b32_e32 v24, s40
	s_mov_b64 s[40:41], 0
                                        ; implicit-def: $sgpr48_sgpr49
                                        ; implicit-def: $vgpr42
	s_and_saveexec_b64 s[14:15], vcc
	s_cbranch_execz .LBB554_63
; %bb.60:
	v_mov_b32_e32 v24, s56
	v_cmp_eq_u32_e32 vcc, v40, v41
	v_add_u32_e32 v26, 13, v45
	v_cndmask_b32_e32 v24, v24, v27, vcc
	v_cmp_ne_u32_e32 vcc, v40, v41
	v_cndmask_b32_e64 v25, 0, 1, vcc
	v_cmp_gt_u32_e32 vcc, s54, v26
                                        ; implicit-def: $sgpr48_sgpr49
                                        ; implicit-def: $vgpr42
	s_and_saveexec_b64 s[54:55], vcc
	s_xor_b64 s[54:55], exec, s[54:55]
	s_cbranch_execz .LBB554_62
; %bb.61:
	ds_read_b32 v26, v44 offset:52
	v_mov_b32_e32 v27, s56
	v_cmp_ne_u32_e32 vcc, v41, v1
	s_mov_b64 s[40:41], exec
	s_and_b64 s[48:49], vcc, exec
	s_waitcnt lgkmcnt(0)
	v_cndmask_b32_e32 v42, v26, v27, vcc
.LBB554_62:
	s_or_b64 exec, exec, s[54:55]
	s_and_b64 s[48:49], s[48:49], exec
	s_and_b64 s[40:41], s[40:41], exec
.LBB554_63:
	s_or_b64 exec, exec, s[14:15]
	s_and_b64 s[48:49], s[48:49], exec
	s_and_b64 s[14:15], s[40:41], exec
.LBB554_64:
	s_or_b64 exec, exec, s[12:13]
	s_and_b64 s[40:41], s[48:49], exec
	s_and_b64 s[12:13], s[14:15], exec
.LBB554_65:
	s_or_b64 exec, exec, s[10:11]
	s_and_b64 s[10:11], s[40:41], exec
	s_and_b64 s[40:41], s[12:13], exec
.LBB554_66:
	s_or_b64 exec, exec, s[8:9]
	s_and_b64 s[48:49], s[10:11], exec
	s_and_b64 s[40:41], s[40:41], exec
.LBB554_67:
	s_or_b64 exec, exec, s[30:31]
	s_and_b64 s[8:9], s[48:49], exec
	s_and_b64 s[30:31], s[40:41], exec
.LBB554_68:
	s_or_b64 exec, exec, s[28:29]
	s_and_b64 s[40:41], s[8:9], exec
	s_and_b64 s[28:29], s[30:31], exec
.LBB554_69:
	s_or_b64 exec, exec, s[26:27]
	s_and_b64 s[8:9], s[40:41], exec
	s_and_b64 s[28:29], s[28:29], exec
.LBB554_70:
	s_or_b64 exec, exec, s[24:25]
	s_and_b64 s[26:27], s[8:9], exec
	s_and_b64 s[24:25], s[28:29], exec
.LBB554_71:
	s_or_b64 exec, exec, s[22:23]
	s_and_b64 s[8:9], s[26:27], exec
	s_and_b64 s[22:23], s[24:25], exec
.LBB554_72:
	s_or_b64 exec, exec, s[20:21]
	s_and_b64 s[24:25], s[8:9], exec
	s_and_b64 s[20:21], s[22:23], exec
.LBB554_73:
	s_or_b64 exec, exec, s[18:19]
	s_and_b64 s[8:9], s[24:25], exec
	s_and_b64 s[18:19], s[20:21], exec
.LBB554_74:
	s_or_b64 exec, exec, s[16:17]
	s_and_b64 s[16:17], s[8:9], exec
	s_and_b64 s[18:19], s[18:19], exec
.LBB554_75:
	s_or_b64 exec, exec, s[4:5]
	s_and_b64 vcc, exec, s[2:3]
	v_lshlrev_b32_e32 v50, 2, v0
	s_cbranch_vccnz .LBB554_77
	s_branch .LBB554_82
.LBB554_76:
	s_mov_b64 s[18:19], 0
                                        ; implicit-def: $sgpr16_sgpr17
                                        ; implicit-def: $vgpr2_vgpr3_vgpr4_vgpr5_vgpr6_vgpr7_vgpr8_vgpr9
                                        ; implicit-def: $vgpr10_vgpr11_vgpr12_vgpr13_vgpr14_vgpr15_vgpr16_vgpr17
                                        ; implicit-def: $vgpr18_vgpr19_vgpr20_vgpr21_vgpr22_vgpr23_vgpr24_vgpr25
                                        ; implicit-def: $vgpr42
                                        ; implicit-def: $vgpr38_vgpr39
	s_and_b64 vcc, exec, s[2:3]
	v_lshlrev_b32_e32 v50, 2, v0
	s_cbranch_vccz .LBB554_82
.LBB554_77:
	v_mov_b32_e32 v1, s39
	v_add_co_u32_e32 v2, vcc, s38, v50
	v_addc_co_u32_e32 v3, vcc, 0, v1, vcc
	v_add_co_u32_e32 v4, vcc, 0x1000, v2
	v_addc_co_u32_e32 v5, vcc, 0, v3, vcc
	flat_load_dword v1, v[2:3]
	flat_load_dword v6, v[2:3] offset:1024
	flat_load_dword v7, v[2:3] offset:2048
	flat_load_dword v8, v[2:3] offset:3072
	flat_load_dword v9, v[4:5]
	flat_load_dword v10, v[4:5] offset:1024
	flat_load_dword v11, v[4:5] offset:2048
	;; [unrolled: 1-line block ×3, first 2 shown]
	v_add_co_u32_e32 v4, vcc, 0x2000, v2
	v_addc_co_u32_e32 v5, vcc, 0, v3, vcc
	v_add_co_u32_e32 v2, vcc, 0x3000, v2
	v_addc_co_u32_e32 v3, vcc, 0, v3, vcc
	flat_load_dword v13, v[4:5]
	flat_load_dword v14, v[4:5] offset:1024
	flat_load_dword v15, v[4:5] offset:2048
	flat_load_dword v16, v[4:5] offset:3072
	flat_load_dword v17, v[2:3]
	flat_load_dword v18, v[2:3] offset:1024
	v_mov_b32_e32 v2, s38
	v_mov_b32_e32 v3, s39
	v_add_co_u32_e32 v2, vcc, 0x3000, v2
	v_addc_co_u32_e32 v3, vcc, 0, v3, vcc
	s_movk_i32 s4, 0xffcc
	s_movk_i32 s9, 0x1000
	s_mov_b32 s2, 0
	s_movk_i32 s8, 0x2000
	s_movk_i32 s3, 0x3000
	s_waitcnt vmcnt(0) lgkmcnt(0)
	ds_write2st64_b32 v50, v1, v6 offset1:4
	ds_write2st64_b32 v50, v7, v8 offset0:8 offset1:12
	ds_write2st64_b32 v50, v9, v10 offset0:16 offset1:20
	;; [unrolled: 1-line block ×6, first 2 shown]
	s_waitcnt lgkmcnt(0)
	s_barrier
	flat_load_dword v1, v[2:3] offset:2048
	v_mad_u32_u24 v6, v0, 52, v50
	v_mad_i32_i24 v2, v0, s4, v6
	s_movk_i32 s4, 0xff
	v_cmp_ne_u32_e32 vcc, s4, v0
	ds_read2_b32 v[26:27], v6 offset1:13
	ds_read2_b32 v[18:19], v6 offset0:7 offset1:8
	ds_read2_b32 v[20:21], v6 offset0:5 offset1:6
	ds_read2_b32 v[10:11], v6 offset0:3 offset1:4
	ds_read2_b32 v[12:13], v6 offset0:1 offset1:2
	ds_read2_b32 v[30:31], v6 offset0:11 offset1:12
	ds_read2_b32 v[28:29], v6 offset0:9 offset1:10
	s_waitcnt lgkmcnt(0)
	ds_write_b32 v2, v26 offset:15360
	s_waitcnt lgkmcnt(0)
	s_barrier
	s_and_saveexec_b64 s[4:5], vcc
	s_cbranch_execz .LBB554_79
; %bb.78:
	s_waitcnt vmcnt(0)
	ds_read_b32 v1, v50 offset:15364
.LBB554_79:
	s_or_b64 exec, exec, s[4:5]
	v_mov_b32_e32 v3, s47
	v_add_co_u32_e32 v2, vcc, s7, v50
	v_addc_co_u32_e32 v3, vcc, 0, v3, vcc
	v_add_co_u32_e32 v4, vcc, s9, v2
	v_addc_co_u32_e32 v5, vcc, 0, v3, vcc
	s_waitcnt lgkmcnt(0)
	s_barrier
	flat_load_dword v7, v[2:3]
	flat_load_dword v8, v[2:3] offset:1024
	flat_load_dword v9, v[2:3] offset:2048
	;; [unrolled: 1-line block ×3, first 2 shown]
	flat_load_dword v15, v[4:5]
	flat_load_dword v16, v[4:5] offset:1024
	flat_load_dword v17, v[4:5] offset:2048
	;; [unrolled: 1-line block ×3, first 2 shown]
	v_add_co_u32_e32 v4, vcc, s8, v2
	v_addc_co_u32_e32 v5, vcc, 0, v3, vcc
	v_add_co_u32_e32 v2, vcc, s3, v2
	v_addc_co_u32_e32 v3, vcc, 0, v3, vcc
	flat_load_dword v23, v[4:5]
	flat_load_dword v24, v[4:5] offset:1024
	flat_load_dword v25, v[4:5] offset:2048
	;; [unrolled: 1-line block ×3, first 2 shown]
	flat_load_dword v33, v[2:3]
	flat_load_dword v34, v[2:3] offset:1024
	s_mov_b32 s3, 1
	v_cmp_eq_u32_e32 vcc, v26, v12
	v_pk_mov_b32 v[38:39], s[2:3], s[2:3] op_sel:[0,1]
	s_waitcnt vmcnt(0) lgkmcnt(0)
	ds_write2st64_b32 v50, v7, v8 offset1:4
	ds_write2st64_b32 v50, v9, v14 offset0:8 offset1:12
	ds_write2st64_b32 v50, v15, v16 offset0:16 offset1:20
	;; [unrolled: 1-line block ×6, first 2 shown]
	s_waitcnt lgkmcnt(0)
	s_barrier
	ds_read2_b32 v[24:25], v6 offset0:7 offset1:8
	ds_read2_b32 v[14:15], v6 offset0:5 offset1:6
	;; [unrolled: 1-line block ×4, first 2 shown]
	ds_read_b32 v34, v6 offset:52
	ds_read2_b32 v[22:23], v6 offset0:11 offset1:12
	ds_read2_b32 v[32:33], v6 offset0:9 offset1:10
	v_mov_b32_e32 v7, s56
	s_and_saveexec_b64 s[2:3], vcc
	s_cbranch_execz .LBB554_81
; %bb.80:
	ds_read_b32 v7, v6
	v_pk_mov_b32 v[38:39], 0, 0
.LBB554_81:
	s_or_b64 exec, exec, s[2:3]
	v_mov_b32_e32 v26, s56
	v_cmp_eq_u32_e32 vcc, v12, v13
	s_waitcnt lgkmcnt(3)
	v_cndmask_b32_e32 v8, v26, v4, vcc
	v_cmp_eq_u32_e32 vcc, v13, v10
	v_cndmask_b32_e32 v6, v26, v5, vcc
	v_cmp_eq_u32_e32 vcc, v10, v11
	;; [unrolled: 2-line block ×3, first 2 shown]
	v_cndmask_b32_e32 v2, v26, v3, vcc
	v_cmp_ne_u32_e32 vcc, v12, v13
	v_cndmask_b32_e64 v9, 0, 1, vcc
	v_cmp_ne_u32_e32 vcc, v13, v10
	s_waitcnt lgkmcnt(0)
	v_or_b32_e32 v38, v38, v7
	v_cndmask_b32_e64 v7, 0, 1, vcc
	v_cmp_ne_u32_e32 vcc, v10, v11
	v_cndmask_b32_e64 v5, 0, 1, vcc
	v_cmp_ne_u32_e32 vcc, v11, v20
	v_cndmask_b32_e64 v3, 0, 1, vcc
	v_cmp_eq_u32_e32 vcc, v20, v21
	v_cndmask_b32_e32 v16, v26, v14, vcc
	v_cmp_eq_u32_e32 vcc, v21, v18
	v_cndmask_b32_e32 v14, v26, v15, vcc
	;; [unrolled: 2-line block ×4, first 2 shown]
	v_cmp_ne_u32_e32 vcc, v20, v21
	v_cndmask_b32_e64 v17, 0, 1, vcc
	v_cmp_ne_u32_e32 vcc, v21, v18
	v_cndmask_b32_e64 v15, 0, 1, vcc
	;; [unrolled: 2-line block ×4, first 2 shown]
	v_cmp_eq_u32_e32 vcc, v31, v27
	v_cndmask_b32_e32 v24, v26, v23, vcc
	v_cmp_eq_u32_e32 vcc, v30, v31
	v_cndmask_b32_e32 v22, v26, v22, vcc
	;; [unrolled: 2-line block ×4, first 2 shown]
	v_cmp_ne_u32_e32 vcc, v31, v27
	v_cndmask_b32_e64 v25, 0, 1, vcc
	v_cmp_ne_u32_e32 vcc, v30, v31
	v_cndmask_b32_e64 v23, 0, 1, vcc
	v_cmp_ne_u32_e32 vcc, v29, v30
	v_cndmask_b32_e64 v21, 0, 1, vcc
	v_cmp_ne_u32_e32 vcc, v28, v29
	v_cmp_ne_u32_e64 s[16:17], v27, v1
	v_cndmask_b32_e64 v19, 0, 1, vcc
	v_cndmask_b32_e64 v42, v34, v26, s[16:17]
	s_mov_b64 s[18:19], -1
                                        ; implicit-def: $sgpr2_sgpr3
.LBB554_82:
	v_pk_mov_b32 v[40:41], s[2:3], s[2:3] op_sel:[0,1]
	s_and_saveexec_b64 s[2:3], s[18:19]
; %bb.83:
	v_cndmask_b32_e64 v43, 0, 1, s[16:17]
	v_pk_mov_b32 v[40:41], v[42:43], v[42:43] op_sel:[0,1]
; %bb.84:
	s_or_b64 exec, exec, s[2:3]
	s_mov_b32 s26, 0
	s_cmp_lg_u32 s6, 0
	v_mbcnt_lo_u32_b32 v52, -1, 0
	v_lshrrev_b32_e32 v1, 6, v0
	v_or_b32_e32 v51, 63, v0
	s_barrier
	s_cbranch_scc0 .LBB554_129
; %bb.85:
	s_mov_b32 s27, 1
	v_cmp_gt_u64_e64 s[2:3], s[26:27], v[8:9]
	v_cndmask_b32_e64 v27, 0, v38, s[2:3]
	v_add_u32_e32 v27, v27, v8
	v_cmp_gt_u64_e64 s[4:5], s[26:27], v[6:7]
	v_cndmask_b32_e64 v27, 0, v27, s[4:5]
	v_add_u32_e32 v27, v27, v6
	;; [unrolled: 3-line block ×12, first 2 shown]
	v_cmp_gt_u64_e32 vcc, s[26:27], v[40:41]
	v_cndmask_b32_e32 v27, 0, v27, vcc
	v_add_u32_e32 v28, v27, v40
	v_or3_b32 v27, v41, v25, v23
	v_or3_b32 v27, v27, v21, v19
	;; [unrolled: 1-line block ×6, first 2 shown]
	v_mov_b32_e32 v26, 0
	v_and_b32_e32 v27, 1, v27
	v_cmp_eq_u64_e32 vcc, 0, v[26:27]
	v_cndmask_b32_e32 v27, 1, v39, vcc
	v_and_b32_e32 v29, 0xff, v27
	v_mov_b32_dpp v31, v28 row_shr:1 row_mask:0xf bank_mask:0xf
	v_cmp_eq_u16_e32 vcc, 0, v29
	v_mov_b32_dpp v32, v29 row_shr:1 row_mask:0xf bank_mask:0xf
	v_and_b32_e32 v33, 1, v27
	v_mbcnt_hi_u32_b32 v46, -1, v52
	v_cndmask_b32_e32 v31, 0, v31, vcc
	v_and_b32_e32 v32, 1, v32
	v_cmp_eq_u32_e32 vcc, 1, v33
	v_and_b32_e32 v30, 15, v46
	v_cndmask_b32_e64 v32, v32, 1, vcc
	v_and_b32_e32 v33, 0xffff, v32
	v_cmp_eq_u32_e32 vcc, 0, v30
	v_cndmask_b32_e32 v27, v32, v27, vcc
	v_cndmask_b32_e32 v29, v33, v29, vcc
	v_and_b32_e32 v33, 1, v27
	v_cndmask_b32_e64 v31, v31, 0, vcc
	v_mov_b32_dpp v32, v29 row_shr:2 row_mask:0xf bank_mask:0xf
	v_and_b32_e32 v32, 1, v32
	v_cmp_eq_u32_e32 vcc, 1, v33
	v_cndmask_b32_e64 v32, v32, 1, vcc
	v_and_b32_e32 v33, 0xffff, v32
	v_cmp_lt_u32_e32 vcc, 1, v30
	v_add_u32_e32 v28, v31, v28
	v_cmp_eq_u16_sdwa s[26:27], v27, v26 src0_sel:BYTE_0 src1_sel:DWORD
	v_cndmask_b32_e32 v27, v27, v32, vcc
	v_cndmask_b32_e32 v29, v29, v33, vcc
	v_mov_b32_dpp v31, v28 row_shr:2 row_mask:0xf bank_mask:0xf
	s_and_b64 vcc, vcc, s[26:27]
	v_mov_b32_dpp v32, v29 row_shr:4 row_mask:0xf bank_mask:0xf
	v_and_b32_e32 v33, 1, v27
	v_cndmask_b32_e32 v31, 0, v31, vcc
	v_and_b32_e32 v32, 1, v32
	v_cmp_eq_u32_e32 vcc, 1, v33
	v_cndmask_b32_e64 v32, v32, 1, vcc
	v_and_b32_e32 v33, 0xffff, v32
	v_cmp_lt_u32_e32 vcc, 3, v30
	v_add_u32_e32 v28, v31, v28
	v_cmp_eq_u16_sdwa s[26:27], v27, v26 src0_sel:BYTE_0 src1_sel:DWORD
	v_cndmask_b32_e32 v27, v27, v32, vcc
	v_cndmask_b32_e32 v29, v29, v33, vcc
	v_mov_b32_dpp v31, v28 row_shr:4 row_mask:0xf bank_mask:0xf
	s_and_b64 vcc, vcc, s[26:27]
	v_mov_b32_dpp v32, v29 row_shr:8 row_mask:0xf bank_mask:0xf
	v_and_b32_e32 v33, 1, v27
	v_cndmask_b32_e32 v31, 0, v31, vcc
	v_and_b32_e32 v32, 1, v32
	v_cmp_eq_u32_e32 vcc, 1, v33
	v_cndmask_b32_e64 v32, v32, 1, vcc
	v_add_u32_e32 v28, v31, v28
	v_cmp_eq_u16_sdwa s[26:27], v27, v26 src0_sel:BYTE_0 src1_sel:DWORD
	v_and_b32_e32 v33, 0xffff, v32
	v_cmp_lt_u32_e32 vcc, 7, v30
	v_mov_b32_dpp v31, v28 row_shr:8 row_mask:0xf bank_mask:0xf
	v_cndmask_b32_e32 v27, v27, v32, vcc
	v_cndmask_b32_e32 v29, v29, v33, vcc
	s_and_b64 vcc, vcc, s[26:27]
	v_cndmask_b32_e32 v30, 0, v31, vcc
	v_add_u32_e32 v28, v30, v28
	v_mov_b32_dpp v31, v29 row_bcast:15 row_mask:0xf bank_mask:0xf
	v_cmp_eq_u16_sdwa vcc, v27, v26 src0_sel:BYTE_0 src1_sel:DWORD
	v_mov_b32_dpp v30, v28 row_bcast:15 row_mask:0xf bank_mask:0xf
	v_and_b32_e32 v34, 1, v27
	v_cndmask_b32_e32 v30, 0, v30, vcc
	v_and_b32_e32 v31, 1, v31
	v_cmp_eq_u32_e32 vcc, 1, v34
	v_and_b32_e32 v33, 16, v46
	v_cndmask_b32_e64 v31, v31, 1, vcc
	v_and_b32_e32 v34, 0xffff, v31
	v_cmp_eq_u32_e32 vcc, 0, v33
	v_cndmask_b32_e32 v27, v31, v27, vcc
	v_cndmask_b32_e32 v29, v34, v29, vcc
	v_bfe_i32 v32, v46, 4, 1
	v_cmp_eq_u16_sdwa s[26:27], v27, v26 src0_sel:BYTE_0 src1_sel:DWORD
	v_mov_b32_dpp v29, v29 row_bcast:31 row_mask:0xf bank_mask:0xf
	v_and_b32_e32 v26, 1, v27
	v_and_b32_e32 v30, v32, v30
	;; [unrolled: 1-line block ×3, first 2 shown]
	v_cmp_eq_u32_e32 vcc, 1, v26
	v_add_u32_e32 v28, v30, v28
	v_cndmask_b32_e64 v26, v29, 1, vcc
	v_cmp_lt_u32_e32 vcc, 31, v46
	v_mov_b32_dpp v30, v28 row_bcast:31 row_mask:0xf bank_mask:0xf
	v_cndmask_b32_e32 v29, v27, v26, vcc
	s_and_b64 vcc, vcc, s[26:27]
	v_cndmask_b32_e32 v26, 0, v30, vcc
	v_add_u32_e32 v28, v26, v28
	v_cmp_eq_u32_e32 vcc, v51, v0
	s_and_saveexec_b64 s[26:27], vcc
	s_cbranch_execz .LBB554_87
; %bb.86:
	v_lshlrev_b32_e32 v26, 3, v1
	ds_write_b32 v26, v28
	ds_write_b8 v26, v29 offset:4
.LBB554_87:
	s_or_b64 exec, exec, s[26:27]
	v_cmp_gt_u32_e32 vcc, 4, v0
	s_waitcnt lgkmcnt(0)
	s_barrier
	s_and_saveexec_b64 s[26:27], vcc
	s_cbranch_execz .LBB554_91
; %bb.88:
	v_lshlrev_b32_e32 v30, 3, v0
	ds_read_b64 v[26:27], v30
	v_and_b32_e32 v31, 3, v46
	v_cmp_ne_u32_e32 vcc, 0, v31
	s_waitcnt lgkmcnt(0)
	v_mov_b32_dpp v32, v26 row_shr:1 row_mask:0xf bank_mask:0xf
	v_mov_b32_dpp v34, v27 row_shr:1 row_mask:0xf bank_mask:0xf
	v_mov_b32_e32 v33, v27
	s_and_saveexec_b64 s[30:31], vcc
	s_cbranch_execz .LBB554_90
; %bb.89:
	v_and_b32_e32 v33, 1, v27
	v_and_b32_e32 v34, 1, v34
	v_cmp_eq_u32_e32 vcc, 1, v33
	v_mov_b32_e32 v33, 0
	v_cndmask_b32_e64 v34, v34, 1, vcc
	v_cmp_eq_u16_sdwa vcc, v27, v33 src0_sel:BYTE_0 src1_sel:DWORD
	v_cndmask_b32_e32 v32, 0, v32, vcc
	v_add_u32_e32 v26, v32, v26
	v_and_b32_e32 v32, 0xffff, v34
	s_movk_i32 s7, 0xff00
	v_and_or_b32 v33, v27, s7, v32
	v_mov_b32_e32 v27, v34
.LBB554_90:
	s_or_b64 exec, exec, s[30:31]
	v_mov_b32_dpp v33, v33 row_shr:2 row_mask:0xf bank_mask:0xf
	v_and_b32_e32 v34, 1, v27
	v_and_b32_e32 v33, 1, v33
	v_cmp_eq_u32_e32 vcc, 1, v34
	v_mov_b32_e32 v34, 0
	v_cndmask_b32_e64 v33, v33, 1, vcc
	v_cmp_eq_u16_sdwa s[30:31], v27, v34 src0_sel:BYTE_0 src1_sel:DWORD
	v_cmp_lt_u32_e32 vcc, 1, v31
	v_mov_b32_dpp v32, v26 row_shr:2 row_mask:0xf bank_mask:0xf
	v_cndmask_b32_e32 v27, v27, v33, vcc
	s_and_b64 vcc, vcc, s[30:31]
	v_cndmask_b32_e32 v31, 0, v32, vcc
	v_add_u32_e32 v26, v31, v26
	ds_write_b32 v30, v26
	ds_write_b8 v30, v27 offset:4
.LBB554_91:
	s_or_b64 exec, exec, s[26:27]
	v_cmp_gt_u32_e32 vcc, 64, v0
	v_cmp_lt_u32_e64 s[26:27], 63, v0
	v_mov_b32_e32 v42, 0
	v_mov_b32_e32 v43, 0
	s_waitcnt lgkmcnt(0)
	s_barrier
	s_and_saveexec_b64 s[30:31], s[26:27]
	s_cbranch_execz .LBB554_93
; %bb.92:
	v_lshl_add_u32 v26, v1, 3, -8
	ds_read_b32 v42, v26
	ds_read_u8 v43, v26 offset:4
	v_mov_b32_e32 v27, 0
	v_and_b32_e32 v30, 1, v29
	v_cmp_eq_u16_sdwa s[26:27], v29, v27 src0_sel:BYTE_0 src1_sel:DWORD
	s_waitcnt lgkmcnt(1)
	v_cndmask_b32_e64 v26, 0, v42, s[26:27]
	v_cmp_eq_u32_e64 s[26:27], 1, v30
	v_add_u32_e32 v28, v26, v28
	s_waitcnt lgkmcnt(0)
	v_cndmask_b32_e64 v29, v43, 1, s[26:27]
.LBB554_93:
	s_or_b64 exec, exec, s[30:31]
	v_and_b32_e32 v26, 0xff, v29
	v_add_u32_e32 v27, -1, v46
	v_and_b32_e32 v29, 64, v46
	v_cmp_lt_i32_e64 s[26:27], v27, v29
	v_cndmask_b32_e64 v27, v27, v46, s[26:27]
	v_lshlrev_b32_e32 v27, 2, v27
	ds_bpermute_b32 v44, v27, v28
	ds_bpermute_b32 v45, v27, v26
	v_cmp_eq_u32_e64 s[26:27], 0, v46
	s_and_saveexec_b64 s[38:39], vcc
	s_cbranch_execz .LBB554_116
; %bb.94:
	v_mov_b32_e32 v29, 0
	ds_read_b64 v[26:27], v29 offset:24
	s_waitcnt lgkmcnt(0)
	v_readfirstlane_b32 s7, v27
	s_and_saveexec_b64 s[30:31], s[26:27]
	s_cbranch_execz .LBB554_96
; %bb.95:
	s_add_i32 s40, s6, 64
	s_mov_b32 s41, 0
	s_lshl_b64 s[48:49], s[40:41], 4
	s_add_u32 s48, s44, s48
	s_addc_u32 s49, s45, s49
	s_and_b32 s55, s7, 0xff000000
	s_mov_b32 s54, s41
	s_and_b32 s59, s7, 0xff0000
	s_mov_b32 s58, s41
	s_or_b64 s[54:55], s[58:59], s[54:55]
	s_and_b32 s59, s7, 0xff00
	s_or_b64 s[54:55], s[54:55], s[58:59]
	s_and_b32 s59, s7, 0xff
	s_or_b64 s[40:41], s[54:55], s[58:59]
	v_mov_b32_e32 v27, s41
	v_mov_b32_e32 v28, 1
	v_pk_mov_b32 v[30:31], s[48:49], s[48:49] op_sel:[0,1]
	;;#ASMSTART
	global_store_dwordx4 v[30:31], v[26:29] off	
s_waitcnt vmcnt(0)
	;;#ASMEND
.LBB554_96:
	s_or_b64 exec, exec, s[30:31]
	v_xad_u32 v34, v46, -1, s6
	v_add_u32_e32 v28, 64, v34
	v_lshlrev_b64 v[30:31], 4, v[28:29]
	v_mov_b32_e32 v27, s45
	v_add_co_u32_e32 v36, vcc, s44, v30
	v_addc_co_u32_e32 v37, vcc, v27, v31, vcc
	;;#ASMSTART
	global_load_dwordx4 v[30:33], v[36:37] off glc	
s_waitcnt vmcnt(0)
	;;#ASMEND
	v_and_b32_e32 v27, 0xff0000, v30
	v_or_b32_sdwa v27, v30, v27 dst_sel:DWORD dst_unused:UNUSED_PAD src0_sel:WORD_0 src1_sel:DWORD
	v_and_b32_e32 v28, 0xff000000, v30
	v_and_b32_e32 v30, 0xff, v31
	v_or3_b32 v31, 0, 0, v30
	v_or3_b32 v30, v27, v28, 0
	v_cmp_eq_u16_sdwa s[40:41], v32, v29 src0_sel:BYTE_0 src1_sel:DWORD
	s_and_saveexec_b64 s[30:31], s[40:41]
	s_cbranch_execz .LBB554_102
; %bb.97:
	s_mov_b32 s47, 1
	s_mov_b64 s[40:41], 0
	v_mov_b32_e32 v27, 0
.LBB554_98:                             ; =>This Loop Header: Depth=1
                                        ;     Child Loop BB554_99 Depth 2
	s_max_u32 s48, s47, 1
.LBB554_99:                             ;   Parent Loop BB554_98 Depth=1
                                        ; =>  This Inner Loop Header: Depth=2
	s_add_i32 s48, s48, -1
	s_cmp_eq_u32 s48, 0
	s_sleep 1
	s_cbranch_scc0 .LBB554_99
; %bb.100:                              ;   in Loop: Header=BB554_98 Depth=1
	s_cmp_lt_u32 s47, 32
	s_cselect_b64 s[48:49], -1, 0
	s_cmp_lg_u64 s[48:49], 0
	s_addc_u32 s47, s47, 0
	;;#ASMSTART
	global_load_dwordx4 v[30:33], v[36:37] off glc	
s_waitcnt vmcnt(0)
	;;#ASMEND
	v_cmp_ne_u16_sdwa s[48:49], v32, v27 src0_sel:BYTE_0 src1_sel:DWORD
	s_or_b64 s[40:41], s[48:49], s[40:41]
	s_andn2_b64 exec, exec, s[40:41]
	s_cbranch_execnz .LBB554_98
; %bb.101:
	s_or_b64 exec, exec, s[40:41]
	v_and_b32_e32 v31, 0xff, v31
.LBB554_102:
	s_or_b64 exec, exec, s[30:31]
	v_mov_b32_e32 v27, 2
	v_cmp_eq_u16_sdwa s[30:31], v32, v27 src0_sel:BYTE_0 src1_sel:DWORD
	v_lshlrev_b64 v[28:29], v46, -1
	v_and_b32_e32 v33, s31, v29
	v_or_b32_e32 v33, 0x80000000, v33
	v_and_b32_e32 v35, s30, v28
	v_ffbl_b32_e32 v33, v33
	v_and_b32_e32 v47, 63, v46
	v_add_u32_e32 v33, 32, v33
	v_ffbl_b32_e32 v35, v35
	v_cmp_ne_u32_e32 vcc, 63, v47
	v_min_u32_e32 v33, v35, v33
	v_addc_co_u32_e32 v35, vcc, 0, v46, vcc
	v_lshlrev_b32_e32 v48, 2, v35
	ds_bpermute_b32 v35, v48, v31
	ds_bpermute_b32 v36, v48, v30
	s_mov_b32 s40, 0
	v_and_b32_e32 v37, 1, v31
	s_mov_b32 s41, 1
	s_waitcnt lgkmcnt(1)
	v_and_b32_e32 v35, 1, v35
	v_cmp_eq_u32_e32 vcc, 1, v37
	v_cndmask_b32_e64 v35, v35, 1, vcc
	v_cmp_gt_u64_e32 vcc, s[40:41], v[30:31]
	v_cmp_lt_u32_e64 s[30:31], v47, v33
	s_and_b64 vcc, s[30:31], vcc
	v_and_b32_e32 v37, 0xffff, v35
	v_cndmask_b32_e64 v54, v31, v35, s[30:31]
	s_waitcnt lgkmcnt(0)
	v_cndmask_b32_e32 v35, 0, v36, vcc
	v_cmp_gt_u32_e32 vcc, 62, v47
	v_cndmask_b32_e64 v36, 0, 1, vcc
	v_lshlrev_b32_e32 v36, 1, v36
	v_cndmask_b32_e64 v31, v31, v37, s[30:31]
	v_add_lshl_u32 v49, v36, v46, 2
	ds_bpermute_b32 v36, v49, v31
	v_add_u32_e32 v30, v35, v30
	ds_bpermute_b32 v37, v49, v30
	v_and_b32_e32 v35, 1, v54
	v_cmp_eq_u32_e32 vcc, 1, v35
	s_waitcnt lgkmcnt(1)
	v_and_b32_e32 v36, 1, v36
	v_mov_b32_e32 v35, 0
	v_add_u32_e32 v53, 2, v47
	v_cndmask_b32_e64 v36, v36, 1, vcc
	v_cmp_eq_u16_sdwa vcc, v54, v35 src0_sel:BYTE_0 src1_sel:DWORD
	v_and_b32_e32 v55, 0xffff, v36
	s_waitcnt lgkmcnt(0)
	v_cndmask_b32_e32 v37, 0, v37, vcc
	v_cmp_gt_u32_e32 vcc, v53, v33
	v_cndmask_b32_e32 v36, v36, v54, vcc
	v_cndmask_b32_e64 v37, v37, 0, vcc
	v_cndmask_b32_e32 v31, v55, v31, vcc
	v_cmp_gt_u32_e32 vcc, 60, v47
	v_cndmask_b32_e64 v54, 0, 1, vcc
	v_lshlrev_b32_e32 v54, 2, v54
	v_add_lshl_u32 v54, v54, v46, 2
	ds_bpermute_b32 v56, v54, v31
	v_add_u32_e32 v30, v37, v30
	ds_bpermute_b32 v37, v54, v30
	v_and_b32_e32 v57, 1, v36
	v_cmp_eq_u32_e32 vcc, 1, v57
	s_waitcnt lgkmcnt(1)
	v_and_b32_e32 v56, 1, v56
	v_add_u32_e32 v55, 4, v47
	v_cndmask_b32_e64 v56, v56, 1, vcc
	v_cmp_eq_u16_sdwa vcc, v36, v35 src0_sel:BYTE_0 src1_sel:DWORD
	v_and_b32_e32 v57, 0xffff, v56
	s_waitcnt lgkmcnt(0)
	v_cndmask_b32_e32 v37, 0, v37, vcc
	v_cmp_gt_u32_e32 vcc, v55, v33
	v_cndmask_b32_e32 v36, v56, v36, vcc
	v_cndmask_b32_e64 v37, v37, 0, vcc
	v_cndmask_b32_e32 v31, v57, v31, vcc
	v_cmp_gt_u32_e32 vcc, 56, v47
	v_cndmask_b32_e64 v56, 0, 1, vcc
	v_lshlrev_b32_e32 v56, 3, v56
	v_add_lshl_u32 v56, v56, v46, 2
	ds_bpermute_b32 v58, v56, v31
	v_add_u32_e32 v30, v37, v30
	ds_bpermute_b32 v37, v56, v30
	v_and_b32_e32 v59, 1, v36
	v_cmp_eq_u32_e32 vcc, 1, v59
	s_waitcnt lgkmcnt(1)
	v_and_b32_e32 v58, 1, v58
	;; [unrolled: 21-line block ×4, first 2 shown]
	v_add_u32_e32 v62, 32, v47
	v_cndmask_b32_e64 v31, v31, 1, vcc
	v_cmp_eq_u16_sdwa vcc, v36, v35 src0_sel:BYTE_0 src1_sel:DWORD
	s_waitcnt lgkmcnt(0)
	v_cndmask_b32_e32 v37, 0, v37, vcc
	v_cmp_gt_u32_e32 vcc, v62, v33
	v_cndmask_b32_e64 v33, v37, 0, vcc
	v_cndmask_b32_e32 v31, v31, v36, vcc
	v_add_u32_e32 v30, v33, v30
	s_branch .LBB554_104
.LBB554_103:                            ;   in Loop: Header=BB554_104 Depth=1
	s_or_b64 exec, exec, s[30:31]
	v_cmp_eq_u16_sdwa s[30:31], v32, v27 src0_sel:BYTE_0 src1_sel:DWORD
	v_and_b32_e32 v33, s31, v29
	ds_bpermute_b32 v37, v48, v31
	v_or_b32_e32 v33, 0x80000000, v33
	v_and_b32_e32 v36, s30, v28
	v_ffbl_b32_e32 v33, v33
	v_add_u32_e32 v33, 32, v33
	v_ffbl_b32_e32 v36, v36
	v_min_u32_e32 v33, v36, v33
	ds_bpermute_b32 v36, v48, v30
	v_and_b32_e32 v63, 1, v31
	s_waitcnt lgkmcnt(1)
	v_and_b32_e32 v37, 1, v37
	v_cmp_eq_u32_e32 vcc, 1, v63
	v_cndmask_b32_e64 v37, v37, 1, vcc
	v_cmp_gt_u64_e32 vcc, s[40:41], v[30:31]
	v_and_b32_e32 v63, 0xffff, v37
	v_cmp_lt_u32_e64 s[30:31], v47, v33
	v_cndmask_b32_e64 v37, v31, v37, s[30:31]
	v_cndmask_b32_e64 v31, v31, v63, s[30:31]
	s_and_b64 vcc, s[30:31], vcc
	ds_bpermute_b32 v63, v49, v31
	s_waitcnt lgkmcnt(1)
	v_cndmask_b32_e32 v36, 0, v36, vcc
	v_add_u32_e32 v30, v36, v30
	ds_bpermute_b32 v36, v49, v30
	v_and_b32_e32 v64, 1, v37
	s_waitcnt lgkmcnt(1)
	v_and_b32_e32 v63, 1, v63
	v_cmp_eq_u32_e32 vcc, 1, v64
	v_cndmask_b32_e64 v63, v63, 1, vcc
	v_cmp_eq_u16_sdwa vcc, v37, v35 src0_sel:BYTE_0 src1_sel:DWORD
	v_and_b32_e32 v64, 0xffff, v63
	s_waitcnt lgkmcnt(0)
	v_cndmask_b32_e32 v36, 0, v36, vcc
	v_cmp_gt_u32_e32 vcc, v53, v33
	v_cndmask_b32_e32 v31, v64, v31, vcc
	v_cndmask_b32_e32 v37, v63, v37, vcc
	ds_bpermute_b32 v63, v54, v31
	v_cndmask_b32_e64 v36, v36, 0, vcc
	v_add_u32_e32 v30, v36, v30
	ds_bpermute_b32 v36, v54, v30
	v_and_b32_e32 v64, 1, v37
	s_waitcnt lgkmcnt(1)
	v_and_b32_e32 v63, 1, v63
	v_cmp_eq_u32_e32 vcc, 1, v64
	v_cndmask_b32_e64 v63, v63, 1, vcc
	v_cmp_eq_u16_sdwa vcc, v37, v35 src0_sel:BYTE_0 src1_sel:DWORD
	v_and_b32_e32 v64, 0xffff, v63
	s_waitcnt lgkmcnt(0)
	v_cndmask_b32_e32 v36, 0, v36, vcc
	v_cmp_gt_u32_e32 vcc, v55, v33
	v_cndmask_b32_e32 v31, v64, v31, vcc
	v_cndmask_b32_e32 v37, v63, v37, vcc
	ds_bpermute_b32 v63, v56, v31
	v_cndmask_b32_e64 v36, v36, 0, vcc
	;; [unrolled: 16-line block ×3, first 2 shown]
	v_add_u32_e32 v30, v36, v30
	ds_bpermute_b32 v36, v58, v30
	v_and_b32_e32 v64, 1, v37
	s_waitcnt lgkmcnt(1)
	v_and_b32_e32 v63, 1, v63
	v_cmp_eq_u32_e32 vcc, 1, v64
	v_cndmask_b32_e64 v63, v63, 1, vcc
	v_cmp_eq_u16_sdwa vcc, v37, v35 src0_sel:BYTE_0 src1_sel:DWORD
	v_and_b32_e32 v64, 0xffff, v63
	s_waitcnt lgkmcnt(0)
	v_cndmask_b32_e32 v36, 0, v36, vcc
	v_cmp_gt_u32_e32 vcc, v59, v33
	v_cndmask_b32_e64 v36, v36, 0, vcc
	v_cndmask_b32_e32 v31, v64, v31, vcc
	ds_bpermute_b32 v31, v61, v31
	v_add_u32_e32 v30, v36, v30
	ds_bpermute_b32 v36, v61, v30
	v_cndmask_b32_e32 v37, v63, v37, vcc
	v_and_b32_e32 v63, 1, v37
	v_cmp_eq_u32_e32 vcc, 1, v63
	s_waitcnt lgkmcnt(1)
	v_cndmask_b32_e64 v31, v31, 1, vcc
	v_cmp_eq_u16_sdwa vcc, v37, v35 src0_sel:BYTE_0 src1_sel:DWORD
	s_waitcnt lgkmcnt(0)
	v_cndmask_b32_e32 v36, 0, v36, vcc
	v_cmp_gt_u32_e32 vcc, v62, v33
	v_cndmask_b32_e64 v33, v36, 0, vcc
	v_cndmask_b32_e32 v31, v31, v37, vcc
	v_add_u32_e32 v30, v33, v30
	v_cmp_eq_u16_sdwa vcc, v46, v35 src0_sel:BYTE_0 src1_sel:DWORD
	v_and_b32_e32 v33, 1, v46
	v_cndmask_b32_e32 v30, 0, v30, vcc
	v_and_b32_e32 v31, 1, v31
	v_cmp_eq_u32_e32 vcc, 1, v33
	v_subrev_u32_e32 v34, 64, v34
	v_add_u32_e32 v30, v30, v60
	v_cndmask_b32_e64 v31, v31, 1, vcc
.LBB554_104:                            ; =>This Loop Header: Depth=1
                                        ;     Child Loop BB554_107 Depth 2
                                        ;       Child Loop BB554_108 Depth 3
	v_cmp_ne_u16_sdwa s[30:31], v32, v27 src0_sel:BYTE_0 src1_sel:DWORD
	v_mov_b32_e32 v46, v31
	v_cndmask_b32_e64 v31, 0, 1, s[30:31]
	;;#ASMSTART
	;;#ASMEND
	v_cmp_ne_u32_e32 vcc, 0, v31
	s_cmp_lg_u64 vcc, exec
	v_mov_b32_e32 v60, v30
	s_cbranch_scc1 .LBB554_111
; %bb.105:                              ;   in Loop: Header=BB554_104 Depth=1
	v_lshlrev_b64 v[30:31], 4, v[34:35]
	v_mov_b32_e32 v32, s45
	v_add_co_u32_e32 v36, vcc, s44, v30
	v_addc_co_u32_e32 v37, vcc, v32, v31, vcc
	;;#ASMSTART
	global_load_dwordx4 v[30:33], v[36:37] off glc	
s_waitcnt vmcnt(0)
	;;#ASMEND
	v_and_b32_e32 v33, 0xff0000, v30
	v_or_b32_sdwa v33, v30, v33 dst_sel:DWORD dst_unused:UNUSED_PAD src0_sel:WORD_0 src1_sel:DWORD
	v_and_b32_e32 v30, 0xff000000, v30
	v_and_b32_e32 v31, 0xff, v31
	v_or3_b32 v31, 0, 0, v31
	v_or3_b32 v30, v33, v30, 0
	v_cmp_eq_u16_sdwa s[48:49], v32, v35 src0_sel:BYTE_0 src1_sel:DWORD
	s_and_saveexec_b64 s[30:31], s[48:49]
	s_cbranch_execz .LBB554_103
; %bb.106:                              ;   in Loop: Header=BB554_104 Depth=1
	s_mov_b32 s47, 1
	s_mov_b64 s[48:49], 0
.LBB554_107:                            ;   Parent Loop BB554_104 Depth=1
                                        ; =>  This Loop Header: Depth=2
                                        ;       Child Loop BB554_108 Depth 3
	s_max_u32 s54, s47, 1
.LBB554_108:                            ;   Parent Loop BB554_104 Depth=1
                                        ;     Parent Loop BB554_107 Depth=2
                                        ; =>    This Inner Loop Header: Depth=3
	s_add_i32 s54, s54, -1
	s_cmp_eq_u32 s54, 0
	s_sleep 1
	s_cbranch_scc0 .LBB554_108
; %bb.109:                              ;   in Loop: Header=BB554_107 Depth=2
	s_cmp_lt_u32 s47, 32
	s_cselect_b64 s[54:55], -1, 0
	s_cmp_lg_u64 s[54:55], 0
	s_addc_u32 s47, s47, 0
	;;#ASMSTART
	global_load_dwordx4 v[30:33], v[36:37] off glc	
s_waitcnt vmcnt(0)
	;;#ASMEND
	v_cmp_ne_u16_sdwa s[54:55], v32, v35 src0_sel:BYTE_0 src1_sel:DWORD
	s_or_b64 s[48:49], s[54:55], s[48:49]
	s_andn2_b64 exec, exec, s[48:49]
	s_cbranch_execnz .LBB554_107
; %bb.110:                              ;   in Loop: Header=BB554_104 Depth=1
	s_or_b64 exec, exec, s[48:49]
	v_and_b32_e32 v31, 0xff, v31
	s_branch .LBB554_103
.LBB554_111:                            ;   in Loop: Header=BB554_104 Depth=1
                                        ; implicit-def: $vgpr31
                                        ; implicit-def: $vgpr30
                                        ; implicit-def: $vgpr32
	s_cbranch_execz .LBB554_104
; %bb.112:
	s_and_saveexec_b64 s[30:31], s[26:27]
	s_cbranch_execz .LBB554_114
; %bb.113:
	s_and_b32 s40, s7, 0xff
	s_cmp_eq_u32 s40, 0
	s_cselect_b64 vcc, -1, 0
	s_bitcmp1_b32 s7, 0
	s_mov_b32 s41, 0
	s_cselect_b64 s[48:49], -1, 0
	s_add_i32 s40, s6, 64
	s_lshl_b64 s[6:7], s[40:41], 4
	v_cndmask_b32_e32 v27, 0, v60, vcc
	s_add_u32 s6, s44, s6
	v_add_u32_e32 v26, v27, v26
	v_and_b32_e32 v27, 1, v46
	s_addc_u32 s7, s45, s7
	v_mov_b32_e32 v29, 0
	v_cndmask_b32_e64 v27, v27, 1, s[48:49]
	v_mov_b32_e32 v28, 2
	v_pk_mov_b32 v[30:31], s[6:7], s[6:7] op_sel:[0,1]
	;;#ASMSTART
	global_store_dwordx4 v[30:31], v[26:29] off	
s_waitcnt vmcnt(0)
	;;#ASMEND
.LBB554_114:
	s_or_b64 exec, exec, s[30:31]
	v_cmp_eq_u32_e32 vcc, 0, v0
	s_and_b64 exec, exec, vcc
	s_cbranch_execz .LBB554_116
; %bb.115:
	v_mov_b32_e32 v26, 0
	ds_write_b32 v26, v60 offset:24
	ds_write_b8 v26, v46 offset:28
.LBB554_116:
	s_or_b64 exec, exec, s[38:39]
	v_mov_b32_e32 v28, 0
	s_waitcnt lgkmcnt(0)
	s_barrier
	ds_read_b32 v26, v28 offset:24
	v_cndmask_b32_e64 v27, v45, v43, s[26:27]
	v_cmp_eq_u16_sdwa vcc, v27, v28 src0_sel:BYTE_0 src1_sel:DWORD
	v_cndmask_b32_e64 v29, v44, v42, s[26:27]
	s_waitcnt lgkmcnt(0)
	v_cndmask_b32_e32 v27, 0, v26, vcc
	v_add_u32_e32 v27, v27, v29
	v_cmp_eq_u32_e32 vcc, 0, v0
	v_and_b32_e32 v29, 0xff, v39
	v_cndmask_b32_e32 v26, v27, v26, vcc
	v_cmp_eq_u64_e32 vcc, 0, v[28:29]
	v_cndmask_b32_e32 v27, 0, v26, vcc
	v_add_u32_e32 v27, v27, v38
	v_cndmask_b32_e64 v28, 0, v27, s[2:3]
	v_add_u32_e32 v42, v28, v8
	v_cndmask_b32_e64 v28, 0, v42, s[4:5]
	;; [unrolled: 2-line block ×12, first 2 shown]
	v_add_u32_e32 v49, v28, v24
	s_branch .LBB554_143
.LBB554_117:
	s_or_b64 exec, exec, s[30:31]
                                        ; implicit-def: $vgpr14
	s_and_saveexec_b64 s[30:31], s[2:3]
	s_cbranch_execz .LBB554_33
.LBB554_118:
	v_mov_b32_e32 v15, s47
	v_add_co_u32_e32 v14, vcc, s7, v12
	v_addc_co_u32_e32 v15, vcc, 0, v15, vcc
	flat_load_dword v14, v[14:15] offset:1024
	s_or_b64 exec, exec, s[30:31]
                                        ; implicit-def: $vgpr15
	s_and_saveexec_b64 s[2:3], s[4:5]
	s_cbranch_execnz .LBB554_34
.LBB554_119:
	s_or_b64 exec, exec, s[2:3]
                                        ; implicit-def: $vgpr16
	s_and_saveexec_b64 s[2:3], s[28:29]
	s_cbranch_execz .LBB554_35
.LBB554_120:
	v_mov_b32_e32 v17, s47
	v_add_co_u32_e32 v16, vcc, s7, v12
	v_addc_co_u32_e32 v17, vcc, 0, v17, vcc
	flat_load_dword v16, v[16:17] offset:3072
	s_or_b64 exec, exec, s[2:3]
                                        ; implicit-def: $vgpr17
	s_and_saveexec_b64 s[2:3], s[8:9]
	s_cbranch_execnz .LBB554_36
.LBB554_121:
	s_or_b64 exec, exec, s[2:3]
                                        ; implicit-def: $vgpr2
	s_and_saveexec_b64 s[2:3], s[10:11]
	s_cbranch_execz .LBB554_37
.LBB554_122:
	v_lshlrev_b32_e32 v2, 2, v3
	v_mov_b32_e32 v3, s47
	v_add_co_u32_e32 v2, vcc, s7, v2
	v_addc_co_u32_e32 v3, vcc, 0, v3, vcc
	flat_load_dword v2, v[2:3]
	s_or_b64 exec, exec, s[2:3]
                                        ; implicit-def: $vgpr3
	s_and_saveexec_b64 s[2:3], s[12:13]
	s_cbranch_execnz .LBB554_38
.LBB554_123:
	s_or_b64 exec, exec, s[2:3]
                                        ; implicit-def: $vgpr4
	s_and_saveexec_b64 s[2:3], s[14:15]
	s_cbranch_execz .LBB554_39
.LBB554_124:
	v_lshlrev_b32_e32 v4, 2, v5
	v_mov_b32_e32 v5, s47
	v_add_co_u32_e32 v4, vcc, s7, v4
	v_addc_co_u32_e32 v5, vcc, 0, v5, vcc
	flat_load_dword v4, v[4:5]
	s_or_b64 exec, exec, s[2:3]
                                        ; implicit-def: $vgpr5
	s_and_saveexec_b64 s[2:3], s[16:17]
	s_cbranch_execnz .LBB554_40
.LBB554_125:
	s_or_b64 exec, exec, s[2:3]
                                        ; implicit-def: $vgpr6
	s_and_saveexec_b64 s[2:3], s[18:19]
	s_cbranch_execz .LBB554_41
.LBB554_126:
	v_lshlrev_b32_e32 v6, 2, v7
	v_mov_b32_e32 v7, s47
	v_add_co_u32_e32 v6, vcc, s7, v6
	v_addc_co_u32_e32 v7, vcc, 0, v7, vcc
	flat_load_dword v6, v[6:7]
	s_or_b64 exec, exec, s[2:3]
                                        ; implicit-def: $vgpr7
	s_and_saveexec_b64 s[2:3], s[20:21]
	s_cbranch_execnz .LBB554_42
.LBB554_127:
	s_or_b64 exec, exec, s[2:3]
                                        ; implicit-def: $vgpr8
	s_and_saveexec_b64 s[2:3], s[22:23]
	s_cbranch_execz .LBB554_43
.LBB554_128:
	v_lshlrev_b32_e32 v8, 2, v9
	v_mov_b32_e32 v9, s47
	v_add_co_u32_e32 v8, vcc, s7, v8
	v_addc_co_u32_e32 v9, vcc, 0, v9, vcc
	flat_load_dword v8, v[8:9]
	s_or_b64 exec, exec, s[2:3]
                                        ; implicit-def: $vgpr9
	s_and_saveexec_b64 s[2:3], s[24:25]
	s_cbranch_execz .LBB554_45
	s_branch .LBB554_44
.LBB554_129:
                                        ; implicit-def: $vgpr49
                                        ; implicit-def: $vgpr47
                                        ; implicit-def: $vgpr45
                                        ; implicit-def: $vgpr43
                                        ; implicit-def: $vgpr34_vgpr35_vgpr36_vgpr37
                                        ; implicit-def: $vgpr30_vgpr31_vgpr32_vgpr33
                                        ; implicit-def: $vgpr26_vgpr27_vgpr28_vgpr29
	s_cbranch_execz .LBB554_143
; %bb.130:
	s_cmp_lg_u64 s[52:53], 0
	s_cselect_b32 s3, s51, 0
	s_cselect_b32 s2, s50, 0
	s_mov_b32 s24, 0
	s_cmp_eq_u64 s[2:3], 0
	v_mov_b32_e32 v32, s56
	s_cbranch_scc1 .LBB554_132
; %bb.131:
	v_mov_b32_e32 v26, 0
	global_load_dword v32, v26, s[2:3]
.LBB554_132:
	s_mov_b32 s25, 1
	v_cmp_gt_u64_e32 vcc, s[24:25], v[8:9]
	v_cndmask_b32_e32 v27, 0, v38, vcc
	v_add_u32_e32 v27, v27, v8
	v_cmp_gt_u64_e64 s[2:3], s[24:25], v[6:7]
	v_cndmask_b32_e64 v27, 0, v27, s[2:3]
	v_add_u32_e32 v27, v27, v6
	v_cmp_gt_u64_e64 s[4:5], s[24:25], v[4:5]
	v_cndmask_b32_e64 v27, 0, v27, s[4:5]
	v_add_u32_e32 v27, v27, v4
	v_cmp_gt_u64_e64 s[6:7], s[24:25], v[2:3]
	v_cndmask_b32_e64 v27, 0, v27, s[6:7]
	v_add_u32_e32 v27, v27, v2
	v_cmp_gt_u64_e64 s[8:9], s[24:25], v[16:17]
	v_cndmask_b32_e64 v27, 0, v27, s[8:9]
	v_add_u32_e32 v27, v27, v16
	v_cmp_gt_u64_e64 s[10:11], s[24:25], v[14:15]
	v_cndmask_b32_e64 v27, 0, v27, s[10:11]
	v_add_u32_e32 v27, v27, v14
	v_cmp_gt_u64_e64 s[12:13], s[24:25], v[12:13]
	v_cndmask_b32_e64 v27, 0, v27, s[12:13]
	v_add_u32_e32 v27, v27, v12
	v_cmp_gt_u64_e64 s[14:15], s[24:25], v[10:11]
	v_cndmask_b32_e64 v27, 0, v27, s[14:15]
	v_add_u32_e32 v27, v27, v10
	v_cmp_gt_u64_e64 s[16:17], s[24:25], v[18:19]
	v_cndmask_b32_e64 v27, 0, v27, s[16:17]
	v_add_u32_e32 v27, v27, v18
	v_cmp_gt_u64_e64 s[18:19], s[24:25], v[20:21]
	v_cndmask_b32_e64 v27, 0, v27, s[18:19]
	v_add_u32_e32 v27, v27, v20
	v_cmp_gt_u64_e64 s[20:21], s[24:25], v[22:23]
	v_cndmask_b32_e64 v27, 0, v27, s[20:21]
	v_add_u32_e32 v27, v27, v22
	v_cmp_gt_u64_e64 s[22:23], s[24:25], v[24:25]
	v_cndmask_b32_e64 v27, 0, v27, s[22:23]
	v_mov_b32_e32 v26, 0
	v_add_u32_e32 v27, v27, v24
	v_cmp_gt_u64_e64 s[24:25], s[24:25], v[40:41]
	v_or3_b32 v7, v23, v15, v7
	v_cndmask_b32_e64 v27, 0, v27, s[24:25]
	v_or3_b32 v9, v25, v17, v9
	v_and_b32_e32 v35, 1, v7
	v_mov_b32_e32 v34, v26
	v_add_u32_e32 v33, v27, v40
	v_and_b32_e32 v27, 1, v41
	v_or3_b32 v3, v19, v11, v3
	v_and_b32_e32 v31, 1, v9
	v_mov_b32_e32 v30, v26
	v_cmp_ne_u64_e64 s[26:27], 0, v[34:35]
	v_cmp_eq_u32_e64 s[24:25], 1, v27
	v_or3_b32 v5, v21, v13, v5
	v_and_b32_e32 v27, 1, v3
	v_cndmask_b32_e64 v3, 0, 1, s[26:27]
	v_cmp_ne_u64_e64 s[26:27], 0, v[30:31]
	v_and_b32_e32 v29, 1, v5
	v_mov_b32_e32 v28, v26
	v_cndmask_b32_e64 v5, 0, 1, s[26:27]
	v_lshlrev_b16_e32 v3, 2, v3
	v_lshlrev_b16_e32 v5, 3, v5
	v_cmp_ne_u64_e64 s[26:27], 0, v[28:29]
	v_or_b32_e32 v3, v5, v3
	v_cndmask_b32_e64 v5, 0, 1, s[26:27]
	v_cmp_ne_u64_e64 s[26:27], 0, v[26:27]
	v_lshlrev_b16_e32 v5, 1, v5
	v_cndmask_b32_e64 v7, 0, 1, s[26:27]
	v_or_b32_e32 v5, v7, v5
	v_and_b32_e32 v5, 3, v5
	v_or_b32_e32 v3, v5, v3
	v_and_b32_e32 v3, 15, v3
	v_cmp_ne_u16_e64 s[26:27], 0, v3
	s_or_b64 s[24:25], s[24:25], s[26:27]
	v_cndmask_b32_e64 v5, v39, 1, s[24:25]
	v_and_b32_e32 v7, 0xff, v5
	v_mov_b32_dpp v11, v33 row_shr:1 row_mask:0xf bank_mask:0xf
	v_cmp_eq_u16_e64 s[24:25], 0, v7
	v_mov_b32_dpp v13, v7 row_shr:1 row_mask:0xf bank_mask:0xf
	v_and_b32_e32 v15, 1, v5
	v_mbcnt_hi_u32_b32 v3, -1, v52
	v_cndmask_b32_e64 v11, 0, v11, s[24:25]
	v_and_b32_e32 v13, 1, v13
	v_cmp_eq_u32_e64 s[24:25], 1, v15
	v_and_b32_e32 v9, 15, v3
	v_cndmask_b32_e64 v13, v13, 1, s[24:25]
	v_and_b32_e32 v15, 0xffff, v13
	v_cmp_eq_u32_e64 s[24:25], 0, v9
	v_cndmask_b32_e64 v5, v13, v5, s[24:25]
	v_cndmask_b32_e64 v7, v15, v7, s[24:25]
	v_and_b32_e32 v17, 1, v5
	v_cndmask_b32_e64 v11, v11, 0, s[24:25]
	v_mov_b32_dpp v15, v7 row_shr:2 row_mask:0xf bank_mask:0xf
	v_and_b32_e32 v15, 1, v15
	v_cmp_eq_u32_e64 s[24:25], 1, v17
	v_cndmask_b32_e64 v15, v15, 1, s[24:25]
	v_and_b32_e32 v17, 0xffff, v15
	v_cmp_lt_u32_e64 s[24:25], 1, v9
	v_add_u32_e32 v11, v11, v33
	v_cmp_eq_u16_sdwa s[26:27], v5, v26 src0_sel:BYTE_0 src1_sel:DWORD
	v_cndmask_b32_e64 v5, v5, v15, s[24:25]
	v_cndmask_b32_e64 v7, v7, v17, s[24:25]
	v_mov_b32_dpp v13, v11 row_shr:2 row_mask:0xf bank_mask:0xf
	s_and_b64 s[24:25], s[24:25], s[26:27]
	v_mov_b32_dpp v15, v7 row_shr:4 row_mask:0xf bank_mask:0xf
	v_and_b32_e32 v17, 1, v5
	v_cndmask_b32_e64 v13, 0, v13, s[24:25]
	v_and_b32_e32 v15, 1, v15
	v_cmp_eq_u32_e64 s[24:25], 1, v17
	v_cndmask_b32_e64 v15, v15, 1, s[24:25]
	v_and_b32_e32 v17, 0xffff, v15
	v_cmp_lt_u32_e64 s[24:25], 3, v9
	v_add_u32_e32 v11, v13, v11
	v_cmp_eq_u16_sdwa s[26:27], v5, v26 src0_sel:BYTE_0 src1_sel:DWORD
	v_cndmask_b32_e64 v5, v5, v15, s[24:25]
	v_cndmask_b32_e64 v7, v7, v17, s[24:25]
	v_mov_b32_dpp v13, v11 row_shr:4 row_mask:0xf bank_mask:0xf
	s_and_b64 s[24:25], s[24:25], s[26:27]
	v_mov_b32_dpp v15, v7 row_shr:8 row_mask:0xf bank_mask:0xf
	v_and_b32_e32 v17, 1, v5
	v_cndmask_b32_e64 v13, 0, v13, s[24:25]
	v_and_b32_e32 v15, 1, v15
	v_cmp_eq_u32_e64 s[24:25], 1, v17
	v_cndmask_b32_e64 v15, v15, 1, s[24:25]
	v_add_u32_e32 v11, v13, v11
	v_cmp_eq_u16_sdwa s[26:27], v5, v26 src0_sel:BYTE_0 src1_sel:DWORD
	v_and_b32_e32 v17, 0xffff, v15
	v_cmp_lt_u32_e64 s[24:25], 7, v9
	v_mov_b32_dpp v13, v11 row_shr:8 row_mask:0xf bank_mask:0xf
	v_cndmask_b32_e64 v5, v5, v15, s[24:25]
	v_cndmask_b32_e64 v7, v7, v17, s[24:25]
	s_and_b64 s[24:25], s[24:25], s[26:27]
	v_cndmask_b32_e64 v9, 0, v13, s[24:25]
	v_add_u32_e32 v9, v9, v11
	v_mov_b32_dpp v13, v7 row_bcast:15 row_mask:0xf bank_mask:0xf
	v_cmp_eq_u16_sdwa s[24:25], v5, v26 src0_sel:BYTE_0 src1_sel:DWORD
	v_mov_b32_dpp v11, v9 row_bcast:15 row_mask:0xf bank_mask:0xf
	v_and_b32_e32 v19, 1, v5
	v_cndmask_b32_e64 v11, 0, v11, s[24:25]
	v_and_b32_e32 v13, 1, v13
	v_cmp_eq_u32_e64 s[24:25], 1, v19
	v_and_b32_e32 v17, 16, v3
	v_cndmask_b32_e64 v13, v13, 1, s[24:25]
	v_and_b32_e32 v19, 0xffff, v13
	v_cmp_eq_u32_e64 s[24:25], 0, v17
	v_cndmask_b32_e64 v5, v13, v5, s[24:25]
	v_cndmask_b32_e64 v7, v19, v7, s[24:25]
	v_bfe_i32 v15, v3, 4, 1
	v_and_b32_e32 v13, 1, v5
	v_mov_b32_dpp v7, v7 row_bcast:31 row_mask:0xf bank_mask:0xf
	v_and_b32_e32 v11, v15, v11
	v_and_b32_e32 v7, 1, v7
	v_cmp_eq_u32_e64 s[24:25], 1, v13
	v_add_u32_e32 v9, v11, v9
	v_cmp_eq_u16_sdwa s[26:27], v5, v26 src0_sel:BYTE_0 src1_sel:DWORD
	v_cndmask_b32_e64 v7, v7, 1, s[24:25]
	v_cmp_lt_u32_e64 s[24:25], 31, v3
	v_mov_b32_dpp v11, v9 row_bcast:31 row_mask:0xf bank_mask:0xf
	v_cndmask_b32_e64 v5, v5, v7, s[24:25]
	s_and_b64 s[24:25], s[24:25], s[26:27]
	v_cndmask_b32_e64 v7, 0, v11, s[24:25]
	v_add_u32_e32 v7, v7, v9
	v_cmp_eq_u32_e64 s[24:25], v51, v0
	s_and_saveexec_b64 s[26:27], s[24:25]
	s_cbranch_execz .LBB554_134
; %bb.133:
	v_lshlrev_b32_e32 v9, 3, v1
	ds_write_b32 v9, v7
	ds_write_b8 v9, v5 offset:4
.LBB554_134:
	s_or_b64 exec, exec, s[26:27]
	v_cmp_gt_u32_e64 s[24:25], 4, v0
	s_waitcnt lgkmcnt(0)
	s_barrier
	s_and_saveexec_b64 s[26:27], s[24:25]
	s_cbranch_execz .LBB554_138
; %bb.135:
	v_lshlrev_b32_e32 v9, 3, v0
	ds_read_b64 v[26:27], v9
	v_and_b32_e32 v11, 3, v3
	v_cmp_ne_u32_e64 s[24:25], 0, v11
	s_waitcnt lgkmcnt(0)
	v_mov_b32_dpp v13, v26 row_shr:1 row_mask:0xf bank_mask:0xf
	v_mov_b32_dpp v17, v27 row_shr:1 row_mask:0xf bank_mask:0xf
	v_mov_b32_e32 v15, v27
	s_and_saveexec_b64 s[28:29], s[24:25]
	s_cbranch_execz .LBB554_137
; %bb.136:
	v_and_b32_e32 v15, 1, v27
	v_and_b32_e32 v17, 1, v17
	v_cmp_eq_u32_e64 s[24:25], 1, v15
	v_mov_b32_e32 v15, 0
	v_cndmask_b32_e64 v17, v17, 1, s[24:25]
	v_cmp_eq_u16_sdwa s[24:25], v27, v15 src0_sel:BYTE_0 src1_sel:DWORD
	v_cndmask_b32_e64 v13, 0, v13, s[24:25]
	v_add_u32_e32 v26, v13, v26
	v_and_b32_e32 v13, 0xffff, v17
	s_movk_i32 s24, 0xff00
	v_and_or_b32 v15, v27, s24, v13
	v_mov_b32_e32 v27, v17
.LBB554_137:
	s_or_b64 exec, exec, s[28:29]
	v_mov_b32_dpp v15, v15 row_shr:2 row_mask:0xf bank_mask:0xf
	v_and_b32_e32 v17, 1, v27
	v_and_b32_e32 v15, 1, v15
	v_cmp_eq_u32_e64 s[24:25], 1, v17
	v_mov_b32_e32 v17, 0
	v_cndmask_b32_e64 v15, v15, 1, s[24:25]
	v_cmp_eq_u16_sdwa s[28:29], v27, v17 src0_sel:BYTE_0 src1_sel:DWORD
	v_cmp_lt_u32_e64 s[24:25], 1, v11
	v_mov_b32_dpp v13, v26 row_shr:2 row_mask:0xf bank_mask:0xf
	v_cndmask_b32_e64 v11, v27, v15, s[24:25]
	s_and_b64 s[24:25], s[24:25], s[28:29]
	v_cndmask_b32_e64 v13, 0, v13, s[24:25]
	v_add_u32_e32 v13, v13, v26
	ds_write_b32 v9, v13
	ds_write_b8 v9, v11 offset:4
.LBB554_138:
	s_or_b64 exec, exec, s[26:27]
	v_cmp_lt_u32_e64 s[24:25], 63, v0
	s_waitcnt vmcnt(0)
	v_mov_b32_e32 v9, v32
	s_waitcnt lgkmcnt(0)
	s_barrier
	s_and_saveexec_b64 s[26:27], s[24:25]
	s_cbranch_execz .LBB554_140
; %bb.139:
	v_lshl_add_u32 v1, v1, 3, -8
	ds_read_u8 v9, v1 offset:4
	ds_read_b32 v1, v1
	s_waitcnt lgkmcnt(1)
	v_cmp_eq_u16_e64 s[24:25], 0, v9
	v_cndmask_b32_e64 v9, 0, v32, s[24:25]
	s_waitcnt lgkmcnt(0)
	v_add_u32_e32 v9, v9, v1
.LBB554_140:
	s_or_b64 exec, exec, s[26:27]
	v_mov_b32_e32 v28, 0
	v_cmp_eq_u16_sdwa s[24:25], v5, v28 src0_sel:BYTE_0 src1_sel:DWORD
	v_cndmask_b32_e64 v1, 0, v9, s[24:25]
	v_add_u32_e32 v1, v1, v7
	v_add_u32_e32 v5, -1, v3
	v_and_b32_e32 v7, 64, v3
	v_cmp_lt_i32_e64 s[24:25], v5, v7
	v_cndmask_b32_e64 v5, v5, v3, s[24:25]
	v_lshlrev_b32_e32 v5, 2, v5
	ds_bpermute_b32 v1, v5, v1
	v_cmp_eq_u32_e64 s[24:25], 0, v3
	v_and_b32_e32 v29, 0xff, v39
	v_cmp_eq_u64_e64 s[26:27], 0, v[28:29]
	s_waitcnt lgkmcnt(0)
	v_cndmask_b32_e64 v26, v1, v9, s[24:25]
	v_cmp_eq_u32_e64 s[24:25], 0, v0
	v_cndmask_b32_e64 v1, v26, v32, s[24:25]
	v_cndmask_b32_e64 v1, 0, v1, s[26:27]
	v_add_u32_e32 v27, v1, v38
	v_cndmask_b32_e32 v1, 0, v27, vcc
	v_add_u32_e32 v42, v1, v8
	v_cndmask_b32_e64 v1, 0, v42, s[2:3]
	v_add_u32_e32 v43, v1, v6
	v_cndmask_b32_e64 v1, 0, v43, s[4:5]
	;; [unrolled: 2-line block ×11, first 2 shown]
	s_and_saveexec_b64 s[2:3], s[24:25]
	s_cbranch_execz .LBB554_142
; %bb.141:
	ds_read_u8 v3, v28 offset:28
	ds_read_b32 v2, v28 offset:24
	s_add_u32 s4, s44, 0x400
	s_addc_u32 s5, s45, 0
	v_mov_b32_e32 v5, v28
	s_waitcnt lgkmcnt(1)
	v_cmp_eq_u16_e32 vcc, 0, v3
	v_cndmask_b32_e32 v4, 0, v32, vcc
	s_waitcnt lgkmcnt(0)
	v_add_u32_e32 v2, v4, v2
	v_and_b32_e32 v3, 0xffff, v3
	v_mov_b32_e32 v4, 2
	v_pk_mov_b32 v[6:7], s[4:5], s[4:5] op_sel:[0,1]
	;;#ASMSTART
	global_store_dwordx4 v[6:7], v[2:5] off	
s_waitcnt vmcnt(0)
	;;#ASMEND
	v_mov_b32_e32 v26, v32
.LBB554_142:
	s_or_b64 exec, exec, s[2:3]
	v_add_u32_e32 v49, v1, v24
.LBB554_143:
	s_add_u32 s2, s42, s34
	s_addc_u32 s3, s43, s35
	s_add_u32 s4, s2, s36
	v_mul_u32_u24_e32 v1, 14, v0
	s_addc_u32 s5, s3, s37
	s_and_b64 vcc, exec, s[0:1]
	v_lshlrev_b32_e32 v2, 2, v1
	s_cbranch_vccz .LBB554_171
; %bb.144:
	s_movk_i32 s0, 0xffcc
	v_mad_i32_i24 v3, v0, s0, v2
	s_barrier
	ds_write2_b64 v2, v[26:27], v[42:43] offset1:1
	ds_write2_b64 v2, v[30:31], v[44:45] offset0:2 offset1:3
	ds_write2_b64 v2, v[34:35], v[46:47] offset0:4 offset1:5
	ds_write_b64 v2, v[48:49] offset:48
	s_waitcnt lgkmcnt(0)
	s_barrier
	ds_read2st64_b32 v[16:17], v3 offset0:4 offset1:8
	ds_read2st64_b32 v[14:15], v3 offset0:12 offset1:16
	;; [unrolled: 1-line block ×6, first 2 shown]
	ds_read_b32 v3, v3 offset:13312
	v_mov_b32_e32 v7, s5
	v_add_co_u32_e32 v6, vcc, s4, v50
	s_add_i32 s33, s33, s46
	v_addc_co_u32_e32 v7, vcc, 0, v7, vcc
	v_mov_b32_e32 v1, 0
	v_cmp_gt_u32_e32 vcc, s33, v0
	s_and_saveexec_b64 s[0:1], vcc
	s_cbranch_execz .LBB554_146
; %bb.145:
	v_mul_i32_i24_e32 v18, 0xffffffcc, v0
	v_add_u32_e32 v18, v2, v18
	ds_read_b32 v18, v18
	s_waitcnt lgkmcnt(0)
	flat_store_dword v[6:7], v18
.LBB554_146:
	s_or_b64 exec, exec, s[0:1]
	v_or_b32_e32 v18, 0x100, v0
	v_cmp_gt_u32_e32 vcc, s33, v18
	s_and_saveexec_b64 s[0:1], vcc
	s_cbranch_execz .LBB554_148
; %bb.147:
	s_waitcnt lgkmcnt(0)
	flat_store_dword v[6:7], v16 offset:1024
.LBB554_148:
	s_or_b64 exec, exec, s[0:1]
	s_waitcnt lgkmcnt(0)
	v_or_b32_e32 v16, 0x200, v0
	v_cmp_gt_u32_e32 vcc, s33, v16
	s_and_saveexec_b64 s[0:1], vcc
	s_cbranch_execz .LBB554_150
; %bb.149:
	flat_store_dword v[6:7], v17 offset:2048
.LBB554_150:
	s_or_b64 exec, exec, s[0:1]
	v_or_b32_e32 v16, 0x300, v0
	v_cmp_gt_u32_e32 vcc, s33, v16
	s_and_saveexec_b64 s[0:1], vcc
	s_cbranch_execz .LBB554_152
; %bb.151:
	flat_store_dword v[6:7], v14 offset:3072
.LBB554_152:
	s_or_b64 exec, exec, s[0:1]
	v_or_b32_e32 v14, 0x400, v0
	v_cmp_gt_u32_e32 vcc, s33, v14
	s_and_saveexec_b64 s[0:1], vcc
	s_cbranch_execz .LBB554_154
; %bb.153:
	v_add_co_u32_e32 v16, vcc, 0x1000, v6
	v_addc_co_u32_e32 v17, vcc, 0, v7, vcc
	flat_store_dword v[16:17], v15
.LBB554_154:
	s_or_b64 exec, exec, s[0:1]
	v_or_b32_e32 v14, 0x500, v0
	v_cmp_gt_u32_e32 vcc, s33, v14
	s_and_saveexec_b64 s[0:1], vcc
	s_cbranch_execz .LBB554_156
; %bb.155:
	v_add_co_u32_e32 v14, vcc, 0x1000, v6
	v_addc_co_u32_e32 v15, vcc, 0, v7, vcc
	flat_store_dword v[14:15], v12 offset:1024
.LBB554_156:
	s_or_b64 exec, exec, s[0:1]
	v_or_b32_e32 v12, 0x600, v0
	v_cmp_gt_u32_e32 vcc, s33, v12
	s_and_saveexec_b64 s[0:1], vcc
	s_cbranch_execz .LBB554_158
; %bb.157:
	v_add_co_u32_e32 v14, vcc, 0x1000, v6
	v_addc_co_u32_e32 v15, vcc, 0, v7, vcc
	flat_store_dword v[14:15], v13 offset:2048
.LBB554_158:
	;; [unrolled: 10-line block ×3, first 2 shown]
	s_or_b64 exec, exec, s[0:1]
	v_or_b32_e32 v10, 0x800, v0
	v_cmp_gt_u32_e32 vcc, s33, v10
	s_and_saveexec_b64 s[0:1], vcc
	s_cbranch_execz .LBB554_162
; %bb.161:
	v_add_co_u32_e32 v12, vcc, 0x2000, v6
	v_addc_co_u32_e32 v13, vcc, 0, v7, vcc
	flat_store_dword v[12:13], v11
.LBB554_162:
	s_or_b64 exec, exec, s[0:1]
	v_or_b32_e32 v10, 0x900, v0
	v_cmp_gt_u32_e32 vcc, s33, v10
	s_and_saveexec_b64 s[0:1], vcc
	s_cbranch_execz .LBB554_164
; %bb.163:
	v_add_co_u32_e32 v10, vcc, 0x2000, v6
	v_addc_co_u32_e32 v11, vcc, 0, v7, vcc
	flat_store_dword v[10:11], v8 offset:1024
.LBB554_164:
	s_or_b64 exec, exec, s[0:1]
	v_or_b32_e32 v8, 0xa00, v0
	v_cmp_gt_u32_e32 vcc, s33, v8
	s_and_saveexec_b64 s[0:1], vcc
	s_cbranch_execz .LBB554_166
; %bb.165:
	v_add_co_u32_e32 v10, vcc, 0x2000, v6
	v_addc_co_u32_e32 v11, vcc, 0, v7, vcc
	flat_store_dword v[10:11], v9 offset:2048
.LBB554_166:
	s_or_b64 exec, exec, s[0:1]
	v_or_b32_e32 v8, 0xb00, v0
	v_cmp_gt_u32_e32 vcc, s33, v8
	s_and_saveexec_b64 s[0:1], vcc
	s_cbranch_execz .LBB554_168
; %bb.167:
	v_add_co_u32_e32 v8, vcc, 0x2000, v6
	v_addc_co_u32_e32 v9, vcc, 0, v7, vcc
	flat_store_dword v[8:9], v4 offset:3072
.LBB554_168:
	s_or_b64 exec, exec, s[0:1]
	v_or_b32_e32 v4, 0xc00, v0
	v_cmp_gt_u32_e32 vcc, s33, v4
	s_and_saveexec_b64 s[0:1], vcc
	s_cbranch_execz .LBB554_170
; %bb.169:
	v_add_co_u32_e32 v6, vcc, 0x3000, v6
	v_addc_co_u32_e32 v7, vcc, 0, v7, vcc
	flat_store_dword v[6:7], v5
.LBB554_170:
	s_or_b64 exec, exec, s[0:1]
	v_or_b32_e32 v4, 0xd00, v0
	v_cmp_gt_u32_e64 s[0:1], s33, v4
	s_branch .LBB554_173
.LBB554_171:
	s_mov_b64 s[0:1], 0
                                        ; implicit-def: $vgpr3
	s_cbranch_execz .LBB554_173
; %bb.172:
	s_movk_i32 s2, 0xffcc
	s_waitcnt lgkmcnt(0)
	s_barrier
	ds_write2_b64 v2, v[26:27], v[42:43] offset1:1
	ds_write2_b64 v2, v[30:31], v[44:45] offset0:2 offset1:3
	ds_write2_b64 v2, v[34:35], v[46:47] offset0:4 offset1:5
	ds_write_b64 v2, v[48:49] offset:48
	v_mad_i32_i24 v2, v0, s2, v2
	v_mov_b32_e32 v17, s5
	v_add_co_u32_e32 v16, vcc, s4, v50
	s_waitcnt lgkmcnt(0)
	s_barrier
	ds_read2st64_b32 v[4:5], v2 offset1:4
	ds_read2st64_b32 v[6:7], v2 offset0:8 offset1:12
	ds_read2st64_b32 v[8:9], v2 offset0:16 offset1:20
	;; [unrolled: 1-line block ×6, first 2 shown]
	v_addc_co_u32_e32 v17, vcc, 0, v17, vcc
	s_movk_i32 s2, 0x1000
	s_waitcnt lgkmcnt(0)
	flat_store_dword v[16:17], v4
	flat_store_dword v[16:17], v5 offset:1024
	flat_store_dword v[16:17], v6 offset:2048
	;; [unrolled: 1-line block ×3, first 2 shown]
	v_add_co_u32_e32 v4, vcc, s2, v16
	v_addc_co_u32_e32 v5, vcc, 0, v17, vcc
	flat_store_dword v[4:5], v8
	flat_store_dword v[4:5], v9 offset:1024
	flat_store_dword v[4:5], v10 offset:2048
	;; [unrolled: 1-line block ×3, first 2 shown]
	v_add_co_u32_e32 v4, vcc, 0x2000, v16
	v_addc_co_u32_e32 v5, vcc, 0, v17, vcc
	flat_store_dword v[4:5], v12
	flat_store_dword v[4:5], v13 offset:1024
	flat_store_dword v[4:5], v14 offset:2048
	;; [unrolled: 1-line block ×3, first 2 shown]
	v_add_co_u32_e32 v4, vcc, 0x3000, v16
	v_mov_b32_e32 v1, 0
	v_addc_co_u32_e32 v5, vcc, 0, v17, vcc
	s_or_b64 s[0:1], s[0:1], exec
	flat_store_dword v[4:5], v2
.LBB554_173:
	s_and_saveexec_b64 s[2:3], s[0:1]
	s_cbranch_execz .LBB554_175
; %bb.174:
	v_lshlrev_b64 v[0:1], 2, v[0:1]
	v_mov_b32_e32 v2, s5
	v_add_co_u32_e32 v0, vcc, s4, v0
	v_addc_co_u32_e32 v1, vcc, v2, v1, vcc
	v_add_co_u32_e32 v0, vcc, 0x3000, v0
	v_addc_co_u32_e32 v1, vcc, 0, v1, vcc
	flat_store_dword v[0:1], v3 offset:1024
	s_endpgm
.LBB554_175:
	s_endpgm
	.section	.rodata,"a",@progbits
	.p2align	6, 0x0
	.amdhsa_kernel _ZN7rocprim17ROCPRIM_400000_NS6detail17trampoline_kernelINS0_14default_configENS1_27scan_by_key_config_selectorIiiEEZZNS1_16scan_by_key_implILNS1_25lookback_scan_determinismE0ELb1ES3_N6thrust23THRUST_200600_302600_NS6detail15normal_iteratorINS9_10device_ptrIiEEEESE_SE_iNS9_4plusIvEENS9_8equal_toIiEEiEE10hipError_tPvRmT2_T3_T4_T5_mT6_T7_P12ihipStream_tbENKUlT_T0_E_clISt17integral_constantIbLb1EESY_IbLb0EEEEDaSU_SV_EUlSU_E_NS1_11comp_targetILNS1_3genE4ELNS1_11target_archE910ELNS1_3gpuE8ELNS1_3repE0EEENS1_30default_config_static_selectorELNS0_4arch9wavefront6targetE1EEEvT1_
		.amdhsa_group_segment_fixed_size 16384
		.amdhsa_private_segment_fixed_size 0
		.amdhsa_kernarg_size 112
		.amdhsa_user_sgpr_count 6
		.amdhsa_user_sgpr_private_segment_buffer 1
		.amdhsa_user_sgpr_dispatch_ptr 0
		.amdhsa_user_sgpr_queue_ptr 0
		.amdhsa_user_sgpr_kernarg_segment_ptr 1
		.amdhsa_user_sgpr_dispatch_id 0
		.amdhsa_user_sgpr_flat_scratch_init 0
		.amdhsa_user_sgpr_kernarg_preload_length 0
		.amdhsa_user_sgpr_kernarg_preload_offset 0
		.amdhsa_user_sgpr_private_segment_size 0
		.amdhsa_uses_dynamic_stack 0
		.amdhsa_system_sgpr_private_segment_wavefront_offset 0
		.amdhsa_system_sgpr_workgroup_id_x 1
		.amdhsa_system_sgpr_workgroup_id_y 0
		.amdhsa_system_sgpr_workgroup_id_z 0
		.amdhsa_system_sgpr_workgroup_info 0
		.amdhsa_system_vgpr_workitem_id 0
		.amdhsa_next_free_vgpr 65
		.amdhsa_next_free_sgpr 60
		.amdhsa_accum_offset 68
		.amdhsa_reserve_vcc 1
		.amdhsa_reserve_flat_scratch 0
		.amdhsa_float_round_mode_32 0
		.amdhsa_float_round_mode_16_64 0
		.amdhsa_float_denorm_mode_32 3
		.amdhsa_float_denorm_mode_16_64 3
		.amdhsa_dx10_clamp 1
		.amdhsa_ieee_mode 1
		.amdhsa_fp16_overflow 0
		.amdhsa_tg_split 0
		.amdhsa_exception_fp_ieee_invalid_op 0
		.amdhsa_exception_fp_denorm_src 0
		.amdhsa_exception_fp_ieee_div_zero 0
		.amdhsa_exception_fp_ieee_overflow 0
		.amdhsa_exception_fp_ieee_underflow 0
		.amdhsa_exception_fp_ieee_inexact 0
		.amdhsa_exception_int_div_zero 0
	.end_amdhsa_kernel
	.section	.text._ZN7rocprim17ROCPRIM_400000_NS6detail17trampoline_kernelINS0_14default_configENS1_27scan_by_key_config_selectorIiiEEZZNS1_16scan_by_key_implILNS1_25lookback_scan_determinismE0ELb1ES3_N6thrust23THRUST_200600_302600_NS6detail15normal_iteratorINS9_10device_ptrIiEEEESE_SE_iNS9_4plusIvEENS9_8equal_toIiEEiEE10hipError_tPvRmT2_T3_T4_T5_mT6_T7_P12ihipStream_tbENKUlT_T0_E_clISt17integral_constantIbLb1EESY_IbLb0EEEEDaSU_SV_EUlSU_E_NS1_11comp_targetILNS1_3genE4ELNS1_11target_archE910ELNS1_3gpuE8ELNS1_3repE0EEENS1_30default_config_static_selectorELNS0_4arch9wavefront6targetE1EEEvT1_,"axG",@progbits,_ZN7rocprim17ROCPRIM_400000_NS6detail17trampoline_kernelINS0_14default_configENS1_27scan_by_key_config_selectorIiiEEZZNS1_16scan_by_key_implILNS1_25lookback_scan_determinismE0ELb1ES3_N6thrust23THRUST_200600_302600_NS6detail15normal_iteratorINS9_10device_ptrIiEEEESE_SE_iNS9_4plusIvEENS9_8equal_toIiEEiEE10hipError_tPvRmT2_T3_T4_T5_mT6_T7_P12ihipStream_tbENKUlT_T0_E_clISt17integral_constantIbLb1EESY_IbLb0EEEEDaSU_SV_EUlSU_E_NS1_11comp_targetILNS1_3genE4ELNS1_11target_archE910ELNS1_3gpuE8ELNS1_3repE0EEENS1_30default_config_static_selectorELNS0_4arch9wavefront6targetE1EEEvT1_,comdat
.Lfunc_end554:
	.size	_ZN7rocprim17ROCPRIM_400000_NS6detail17trampoline_kernelINS0_14default_configENS1_27scan_by_key_config_selectorIiiEEZZNS1_16scan_by_key_implILNS1_25lookback_scan_determinismE0ELb1ES3_N6thrust23THRUST_200600_302600_NS6detail15normal_iteratorINS9_10device_ptrIiEEEESE_SE_iNS9_4plusIvEENS9_8equal_toIiEEiEE10hipError_tPvRmT2_T3_T4_T5_mT6_T7_P12ihipStream_tbENKUlT_T0_E_clISt17integral_constantIbLb1EESY_IbLb0EEEEDaSU_SV_EUlSU_E_NS1_11comp_targetILNS1_3genE4ELNS1_11target_archE910ELNS1_3gpuE8ELNS1_3repE0EEENS1_30default_config_static_selectorELNS0_4arch9wavefront6targetE1EEEvT1_, .Lfunc_end554-_ZN7rocprim17ROCPRIM_400000_NS6detail17trampoline_kernelINS0_14default_configENS1_27scan_by_key_config_selectorIiiEEZZNS1_16scan_by_key_implILNS1_25lookback_scan_determinismE0ELb1ES3_N6thrust23THRUST_200600_302600_NS6detail15normal_iteratorINS9_10device_ptrIiEEEESE_SE_iNS9_4plusIvEENS9_8equal_toIiEEiEE10hipError_tPvRmT2_T3_T4_T5_mT6_T7_P12ihipStream_tbENKUlT_T0_E_clISt17integral_constantIbLb1EESY_IbLb0EEEEDaSU_SV_EUlSU_E_NS1_11comp_targetILNS1_3genE4ELNS1_11target_archE910ELNS1_3gpuE8ELNS1_3repE0EEENS1_30default_config_static_selectorELNS0_4arch9wavefront6targetE1EEEvT1_
                                        ; -- End function
	.section	.AMDGPU.csdata,"",@progbits
; Kernel info:
; codeLenInByte = 11304
; NumSgprs: 64
; NumVgprs: 65
; NumAgprs: 0
; TotalNumVgprs: 65
; ScratchSize: 0
; MemoryBound: 0
; FloatMode: 240
; IeeeMode: 1
; LDSByteSize: 16384 bytes/workgroup (compile time only)
; SGPRBlocks: 7
; VGPRBlocks: 8
; NumSGPRsForWavesPerEU: 64
; NumVGPRsForWavesPerEU: 65
; AccumOffset: 68
; Occupancy: 4
; WaveLimiterHint : 1
; COMPUTE_PGM_RSRC2:SCRATCH_EN: 0
; COMPUTE_PGM_RSRC2:USER_SGPR: 6
; COMPUTE_PGM_RSRC2:TRAP_HANDLER: 0
; COMPUTE_PGM_RSRC2:TGID_X_EN: 1
; COMPUTE_PGM_RSRC2:TGID_Y_EN: 0
; COMPUTE_PGM_RSRC2:TGID_Z_EN: 0
; COMPUTE_PGM_RSRC2:TIDIG_COMP_CNT: 0
; COMPUTE_PGM_RSRC3_GFX90A:ACCUM_OFFSET: 16
; COMPUTE_PGM_RSRC3_GFX90A:TG_SPLIT: 0
	.section	.text._ZN7rocprim17ROCPRIM_400000_NS6detail17trampoline_kernelINS0_14default_configENS1_27scan_by_key_config_selectorIiiEEZZNS1_16scan_by_key_implILNS1_25lookback_scan_determinismE0ELb1ES3_N6thrust23THRUST_200600_302600_NS6detail15normal_iteratorINS9_10device_ptrIiEEEESE_SE_iNS9_4plusIvEENS9_8equal_toIiEEiEE10hipError_tPvRmT2_T3_T4_T5_mT6_T7_P12ihipStream_tbENKUlT_T0_E_clISt17integral_constantIbLb1EESY_IbLb0EEEEDaSU_SV_EUlSU_E_NS1_11comp_targetILNS1_3genE3ELNS1_11target_archE908ELNS1_3gpuE7ELNS1_3repE0EEENS1_30default_config_static_selectorELNS0_4arch9wavefront6targetE1EEEvT1_,"axG",@progbits,_ZN7rocprim17ROCPRIM_400000_NS6detail17trampoline_kernelINS0_14default_configENS1_27scan_by_key_config_selectorIiiEEZZNS1_16scan_by_key_implILNS1_25lookback_scan_determinismE0ELb1ES3_N6thrust23THRUST_200600_302600_NS6detail15normal_iteratorINS9_10device_ptrIiEEEESE_SE_iNS9_4plusIvEENS9_8equal_toIiEEiEE10hipError_tPvRmT2_T3_T4_T5_mT6_T7_P12ihipStream_tbENKUlT_T0_E_clISt17integral_constantIbLb1EESY_IbLb0EEEEDaSU_SV_EUlSU_E_NS1_11comp_targetILNS1_3genE3ELNS1_11target_archE908ELNS1_3gpuE7ELNS1_3repE0EEENS1_30default_config_static_selectorELNS0_4arch9wavefront6targetE1EEEvT1_,comdat
	.protected	_ZN7rocprim17ROCPRIM_400000_NS6detail17trampoline_kernelINS0_14default_configENS1_27scan_by_key_config_selectorIiiEEZZNS1_16scan_by_key_implILNS1_25lookback_scan_determinismE0ELb1ES3_N6thrust23THRUST_200600_302600_NS6detail15normal_iteratorINS9_10device_ptrIiEEEESE_SE_iNS9_4plusIvEENS9_8equal_toIiEEiEE10hipError_tPvRmT2_T3_T4_T5_mT6_T7_P12ihipStream_tbENKUlT_T0_E_clISt17integral_constantIbLb1EESY_IbLb0EEEEDaSU_SV_EUlSU_E_NS1_11comp_targetILNS1_3genE3ELNS1_11target_archE908ELNS1_3gpuE7ELNS1_3repE0EEENS1_30default_config_static_selectorELNS0_4arch9wavefront6targetE1EEEvT1_ ; -- Begin function _ZN7rocprim17ROCPRIM_400000_NS6detail17trampoline_kernelINS0_14default_configENS1_27scan_by_key_config_selectorIiiEEZZNS1_16scan_by_key_implILNS1_25lookback_scan_determinismE0ELb1ES3_N6thrust23THRUST_200600_302600_NS6detail15normal_iteratorINS9_10device_ptrIiEEEESE_SE_iNS9_4plusIvEENS9_8equal_toIiEEiEE10hipError_tPvRmT2_T3_T4_T5_mT6_T7_P12ihipStream_tbENKUlT_T0_E_clISt17integral_constantIbLb1EESY_IbLb0EEEEDaSU_SV_EUlSU_E_NS1_11comp_targetILNS1_3genE3ELNS1_11target_archE908ELNS1_3gpuE7ELNS1_3repE0EEENS1_30default_config_static_selectorELNS0_4arch9wavefront6targetE1EEEvT1_
	.globl	_ZN7rocprim17ROCPRIM_400000_NS6detail17trampoline_kernelINS0_14default_configENS1_27scan_by_key_config_selectorIiiEEZZNS1_16scan_by_key_implILNS1_25lookback_scan_determinismE0ELb1ES3_N6thrust23THRUST_200600_302600_NS6detail15normal_iteratorINS9_10device_ptrIiEEEESE_SE_iNS9_4plusIvEENS9_8equal_toIiEEiEE10hipError_tPvRmT2_T3_T4_T5_mT6_T7_P12ihipStream_tbENKUlT_T0_E_clISt17integral_constantIbLb1EESY_IbLb0EEEEDaSU_SV_EUlSU_E_NS1_11comp_targetILNS1_3genE3ELNS1_11target_archE908ELNS1_3gpuE7ELNS1_3repE0EEENS1_30default_config_static_selectorELNS0_4arch9wavefront6targetE1EEEvT1_
	.p2align	8
	.type	_ZN7rocprim17ROCPRIM_400000_NS6detail17trampoline_kernelINS0_14default_configENS1_27scan_by_key_config_selectorIiiEEZZNS1_16scan_by_key_implILNS1_25lookback_scan_determinismE0ELb1ES3_N6thrust23THRUST_200600_302600_NS6detail15normal_iteratorINS9_10device_ptrIiEEEESE_SE_iNS9_4plusIvEENS9_8equal_toIiEEiEE10hipError_tPvRmT2_T3_T4_T5_mT6_T7_P12ihipStream_tbENKUlT_T0_E_clISt17integral_constantIbLb1EESY_IbLb0EEEEDaSU_SV_EUlSU_E_NS1_11comp_targetILNS1_3genE3ELNS1_11target_archE908ELNS1_3gpuE7ELNS1_3repE0EEENS1_30default_config_static_selectorELNS0_4arch9wavefront6targetE1EEEvT1_,@function
_ZN7rocprim17ROCPRIM_400000_NS6detail17trampoline_kernelINS0_14default_configENS1_27scan_by_key_config_selectorIiiEEZZNS1_16scan_by_key_implILNS1_25lookback_scan_determinismE0ELb1ES3_N6thrust23THRUST_200600_302600_NS6detail15normal_iteratorINS9_10device_ptrIiEEEESE_SE_iNS9_4plusIvEENS9_8equal_toIiEEiEE10hipError_tPvRmT2_T3_T4_T5_mT6_T7_P12ihipStream_tbENKUlT_T0_E_clISt17integral_constantIbLb1EESY_IbLb0EEEEDaSU_SV_EUlSU_E_NS1_11comp_targetILNS1_3genE3ELNS1_11target_archE908ELNS1_3gpuE7ELNS1_3repE0EEENS1_30default_config_static_selectorELNS0_4arch9wavefront6targetE1EEEvT1_: ; @_ZN7rocprim17ROCPRIM_400000_NS6detail17trampoline_kernelINS0_14default_configENS1_27scan_by_key_config_selectorIiiEEZZNS1_16scan_by_key_implILNS1_25lookback_scan_determinismE0ELb1ES3_N6thrust23THRUST_200600_302600_NS6detail15normal_iteratorINS9_10device_ptrIiEEEESE_SE_iNS9_4plusIvEENS9_8equal_toIiEEiEE10hipError_tPvRmT2_T3_T4_T5_mT6_T7_P12ihipStream_tbENKUlT_T0_E_clISt17integral_constantIbLb1EESY_IbLb0EEEEDaSU_SV_EUlSU_E_NS1_11comp_targetILNS1_3genE3ELNS1_11target_archE908ELNS1_3gpuE7ELNS1_3repE0EEENS1_30default_config_static_selectorELNS0_4arch9wavefront6targetE1EEEvT1_
; %bb.0:
	.section	.rodata,"a",@progbits
	.p2align	6, 0x0
	.amdhsa_kernel _ZN7rocprim17ROCPRIM_400000_NS6detail17trampoline_kernelINS0_14default_configENS1_27scan_by_key_config_selectorIiiEEZZNS1_16scan_by_key_implILNS1_25lookback_scan_determinismE0ELb1ES3_N6thrust23THRUST_200600_302600_NS6detail15normal_iteratorINS9_10device_ptrIiEEEESE_SE_iNS9_4plusIvEENS9_8equal_toIiEEiEE10hipError_tPvRmT2_T3_T4_T5_mT6_T7_P12ihipStream_tbENKUlT_T0_E_clISt17integral_constantIbLb1EESY_IbLb0EEEEDaSU_SV_EUlSU_E_NS1_11comp_targetILNS1_3genE3ELNS1_11target_archE908ELNS1_3gpuE7ELNS1_3repE0EEENS1_30default_config_static_selectorELNS0_4arch9wavefront6targetE1EEEvT1_
		.amdhsa_group_segment_fixed_size 0
		.amdhsa_private_segment_fixed_size 0
		.amdhsa_kernarg_size 112
		.amdhsa_user_sgpr_count 6
		.amdhsa_user_sgpr_private_segment_buffer 1
		.amdhsa_user_sgpr_dispatch_ptr 0
		.amdhsa_user_sgpr_queue_ptr 0
		.amdhsa_user_sgpr_kernarg_segment_ptr 1
		.amdhsa_user_sgpr_dispatch_id 0
		.amdhsa_user_sgpr_flat_scratch_init 0
		.amdhsa_user_sgpr_kernarg_preload_length 0
		.amdhsa_user_sgpr_kernarg_preload_offset 0
		.amdhsa_user_sgpr_private_segment_size 0
		.amdhsa_uses_dynamic_stack 0
		.amdhsa_system_sgpr_private_segment_wavefront_offset 0
		.amdhsa_system_sgpr_workgroup_id_x 1
		.amdhsa_system_sgpr_workgroup_id_y 0
		.amdhsa_system_sgpr_workgroup_id_z 0
		.amdhsa_system_sgpr_workgroup_info 0
		.amdhsa_system_vgpr_workitem_id 0
		.amdhsa_next_free_vgpr 1
		.amdhsa_next_free_sgpr 0
		.amdhsa_accum_offset 4
		.amdhsa_reserve_vcc 0
		.amdhsa_reserve_flat_scratch 0
		.amdhsa_float_round_mode_32 0
		.amdhsa_float_round_mode_16_64 0
		.amdhsa_float_denorm_mode_32 3
		.amdhsa_float_denorm_mode_16_64 3
		.amdhsa_dx10_clamp 1
		.amdhsa_ieee_mode 1
		.amdhsa_fp16_overflow 0
		.amdhsa_tg_split 0
		.amdhsa_exception_fp_ieee_invalid_op 0
		.amdhsa_exception_fp_denorm_src 0
		.amdhsa_exception_fp_ieee_div_zero 0
		.amdhsa_exception_fp_ieee_overflow 0
		.amdhsa_exception_fp_ieee_underflow 0
		.amdhsa_exception_fp_ieee_inexact 0
		.amdhsa_exception_int_div_zero 0
	.end_amdhsa_kernel
	.section	.text._ZN7rocprim17ROCPRIM_400000_NS6detail17trampoline_kernelINS0_14default_configENS1_27scan_by_key_config_selectorIiiEEZZNS1_16scan_by_key_implILNS1_25lookback_scan_determinismE0ELb1ES3_N6thrust23THRUST_200600_302600_NS6detail15normal_iteratorINS9_10device_ptrIiEEEESE_SE_iNS9_4plusIvEENS9_8equal_toIiEEiEE10hipError_tPvRmT2_T3_T4_T5_mT6_T7_P12ihipStream_tbENKUlT_T0_E_clISt17integral_constantIbLb1EESY_IbLb0EEEEDaSU_SV_EUlSU_E_NS1_11comp_targetILNS1_3genE3ELNS1_11target_archE908ELNS1_3gpuE7ELNS1_3repE0EEENS1_30default_config_static_selectorELNS0_4arch9wavefront6targetE1EEEvT1_,"axG",@progbits,_ZN7rocprim17ROCPRIM_400000_NS6detail17trampoline_kernelINS0_14default_configENS1_27scan_by_key_config_selectorIiiEEZZNS1_16scan_by_key_implILNS1_25lookback_scan_determinismE0ELb1ES3_N6thrust23THRUST_200600_302600_NS6detail15normal_iteratorINS9_10device_ptrIiEEEESE_SE_iNS9_4plusIvEENS9_8equal_toIiEEiEE10hipError_tPvRmT2_T3_T4_T5_mT6_T7_P12ihipStream_tbENKUlT_T0_E_clISt17integral_constantIbLb1EESY_IbLb0EEEEDaSU_SV_EUlSU_E_NS1_11comp_targetILNS1_3genE3ELNS1_11target_archE908ELNS1_3gpuE7ELNS1_3repE0EEENS1_30default_config_static_selectorELNS0_4arch9wavefront6targetE1EEEvT1_,comdat
.Lfunc_end555:
	.size	_ZN7rocprim17ROCPRIM_400000_NS6detail17trampoline_kernelINS0_14default_configENS1_27scan_by_key_config_selectorIiiEEZZNS1_16scan_by_key_implILNS1_25lookback_scan_determinismE0ELb1ES3_N6thrust23THRUST_200600_302600_NS6detail15normal_iteratorINS9_10device_ptrIiEEEESE_SE_iNS9_4plusIvEENS9_8equal_toIiEEiEE10hipError_tPvRmT2_T3_T4_T5_mT6_T7_P12ihipStream_tbENKUlT_T0_E_clISt17integral_constantIbLb1EESY_IbLb0EEEEDaSU_SV_EUlSU_E_NS1_11comp_targetILNS1_3genE3ELNS1_11target_archE908ELNS1_3gpuE7ELNS1_3repE0EEENS1_30default_config_static_selectorELNS0_4arch9wavefront6targetE1EEEvT1_, .Lfunc_end555-_ZN7rocprim17ROCPRIM_400000_NS6detail17trampoline_kernelINS0_14default_configENS1_27scan_by_key_config_selectorIiiEEZZNS1_16scan_by_key_implILNS1_25lookback_scan_determinismE0ELb1ES3_N6thrust23THRUST_200600_302600_NS6detail15normal_iteratorINS9_10device_ptrIiEEEESE_SE_iNS9_4plusIvEENS9_8equal_toIiEEiEE10hipError_tPvRmT2_T3_T4_T5_mT6_T7_P12ihipStream_tbENKUlT_T0_E_clISt17integral_constantIbLb1EESY_IbLb0EEEEDaSU_SV_EUlSU_E_NS1_11comp_targetILNS1_3genE3ELNS1_11target_archE908ELNS1_3gpuE7ELNS1_3repE0EEENS1_30default_config_static_selectorELNS0_4arch9wavefront6targetE1EEEvT1_
                                        ; -- End function
	.section	.AMDGPU.csdata,"",@progbits
; Kernel info:
; codeLenInByte = 0
; NumSgprs: 4
; NumVgprs: 0
; NumAgprs: 0
; TotalNumVgprs: 0
; ScratchSize: 0
; MemoryBound: 0
; FloatMode: 240
; IeeeMode: 1
; LDSByteSize: 0 bytes/workgroup (compile time only)
; SGPRBlocks: 0
; VGPRBlocks: 0
; NumSGPRsForWavesPerEU: 4
; NumVGPRsForWavesPerEU: 1
; AccumOffset: 4
; Occupancy: 8
; WaveLimiterHint : 0
; COMPUTE_PGM_RSRC2:SCRATCH_EN: 0
; COMPUTE_PGM_RSRC2:USER_SGPR: 6
; COMPUTE_PGM_RSRC2:TRAP_HANDLER: 0
; COMPUTE_PGM_RSRC2:TGID_X_EN: 1
; COMPUTE_PGM_RSRC2:TGID_Y_EN: 0
; COMPUTE_PGM_RSRC2:TGID_Z_EN: 0
; COMPUTE_PGM_RSRC2:TIDIG_COMP_CNT: 0
; COMPUTE_PGM_RSRC3_GFX90A:ACCUM_OFFSET: 0
; COMPUTE_PGM_RSRC3_GFX90A:TG_SPLIT: 0
	.section	.text._ZN7rocprim17ROCPRIM_400000_NS6detail17trampoline_kernelINS0_14default_configENS1_27scan_by_key_config_selectorIiiEEZZNS1_16scan_by_key_implILNS1_25lookback_scan_determinismE0ELb1ES3_N6thrust23THRUST_200600_302600_NS6detail15normal_iteratorINS9_10device_ptrIiEEEESE_SE_iNS9_4plusIvEENS9_8equal_toIiEEiEE10hipError_tPvRmT2_T3_T4_T5_mT6_T7_P12ihipStream_tbENKUlT_T0_E_clISt17integral_constantIbLb1EESY_IbLb0EEEEDaSU_SV_EUlSU_E_NS1_11comp_targetILNS1_3genE2ELNS1_11target_archE906ELNS1_3gpuE6ELNS1_3repE0EEENS1_30default_config_static_selectorELNS0_4arch9wavefront6targetE1EEEvT1_,"axG",@progbits,_ZN7rocprim17ROCPRIM_400000_NS6detail17trampoline_kernelINS0_14default_configENS1_27scan_by_key_config_selectorIiiEEZZNS1_16scan_by_key_implILNS1_25lookback_scan_determinismE0ELb1ES3_N6thrust23THRUST_200600_302600_NS6detail15normal_iteratorINS9_10device_ptrIiEEEESE_SE_iNS9_4plusIvEENS9_8equal_toIiEEiEE10hipError_tPvRmT2_T3_T4_T5_mT6_T7_P12ihipStream_tbENKUlT_T0_E_clISt17integral_constantIbLb1EESY_IbLb0EEEEDaSU_SV_EUlSU_E_NS1_11comp_targetILNS1_3genE2ELNS1_11target_archE906ELNS1_3gpuE6ELNS1_3repE0EEENS1_30default_config_static_selectorELNS0_4arch9wavefront6targetE1EEEvT1_,comdat
	.protected	_ZN7rocprim17ROCPRIM_400000_NS6detail17trampoline_kernelINS0_14default_configENS1_27scan_by_key_config_selectorIiiEEZZNS1_16scan_by_key_implILNS1_25lookback_scan_determinismE0ELb1ES3_N6thrust23THRUST_200600_302600_NS6detail15normal_iteratorINS9_10device_ptrIiEEEESE_SE_iNS9_4plusIvEENS9_8equal_toIiEEiEE10hipError_tPvRmT2_T3_T4_T5_mT6_T7_P12ihipStream_tbENKUlT_T0_E_clISt17integral_constantIbLb1EESY_IbLb0EEEEDaSU_SV_EUlSU_E_NS1_11comp_targetILNS1_3genE2ELNS1_11target_archE906ELNS1_3gpuE6ELNS1_3repE0EEENS1_30default_config_static_selectorELNS0_4arch9wavefront6targetE1EEEvT1_ ; -- Begin function _ZN7rocprim17ROCPRIM_400000_NS6detail17trampoline_kernelINS0_14default_configENS1_27scan_by_key_config_selectorIiiEEZZNS1_16scan_by_key_implILNS1_25lookback_scan_determinismE0ELb1ES3_N6thrust23THRUST_200600_302600_NS6detail15normal_iteratorINS9_10device_ptrIiEEEESE_SE_iNS9_4plusIvEENS9_8equal_toIiEEiEE10hipError_tPvRmT2_T3_T4_T5_mT6_T7_P12ihipStream_tbENKUlT_T0_E_clISt17integral_constantIbLb1EESY_IbLb0EEEEDaSU_SV_EUlSU_E_NS1_11comp_targetILNS1_3genE2ELNS1_11target_archE906ELNS1_3gpuE6ELNS1_3repE0EEENS1_30default_config_static_selectorELNS0_4arch9wavefront6targetE1EEEvT1_
	.globl	_ZN7rocprim17ROCPRIM_400000_NS6detail17trampoline_kernelINS0_14default_configENS1_27scan_by_key_config_selectorIiiEEZZNS1_16scan_by_key_implILNS1_25lookback_scan_determinismE0ELb1ES3_N6thrust23THRUST_200600_302600_NS6detail15normal_iteratorINS9_10device_ptrIiEEEESE_SE_iNS9_4plusIvEENS9_8equal_toIiEEiEE10hipError_tPvRmT2_T3_T4_T5_mT6_T7_P12ihipStream_tbENKUlT_T0_E_clISt17integral_constantIbLb1EESY_IbLb0EEEEDaSU_SV_EUlSU_E_NS1_11comp_targetILNS1_3genE2ELNS1_11target_archE906ELNS1_3gpuE6ELNS1_3repE0EEENS1_30default_config_static_selectorELNS0_4arch9wavefront6targetE1EEEvT1_
	.p2align	8
	.type	_ZN7rocprim17ROCPRIM_400000_NS6detail17trampoline_kernelINS0_14default_configENS1_27scan_by_key_config_selectorIiiEEZZNS1_16scan_by_key_implILNS1_25lookback_scan_determinismE0ELb1ES3_N6thrust23THRUST_200600_302600_NS6detail15normal_iteratorINS9_10device_ptrIiEEEESE_SE_iNS9_4plusIvEENS9_8equal_toIiEEiEE10hipError_tPvRmT2_T3_T4_T5_mT6_T7_P12ihipStream_tbENKUlT_T0_E_clISt17integral_constantIbLb1EESY_IbLb0EEEEDaSU_SV_EUlSU_E_NS1_11comp_targetILNS1_3genE2ELNS1_11target_archE906ELNS1_3gpuE6ELNS1_3repE0EEENS1_30default_config_static_selectorELNS0_4arch9wavefront6targetE1EEEvT1_,@function
_ZN7rocprim17ROCPRIM_400000_NS6detail17trampoline_kernelINS0_14default_configENS1_27scan_by_key_config_selectorIiiEEZZNS1_16scan_by_key_implILNS1_25lookback_scan_determinismE0ELb1ES3_N6thrust23THRUST_200600_302600_NS6detail15normal_iteratorINS9_10device_ptrIiEEEESE_SE_iNS9_4plusIvEENS9_8equal_toIiEEiEE10hipError_tPvRmT2_T3_T4_T5_mT6_T7_P12ihipStream_tbENKUlT_T0_E_clISt17integral_constantIbLb1EESY_IbLb0EEEEDaSU_SV_EUlSU_E_NS1_11comp_targetILNS1_3genE2ELNS1_11target_archE906ELNS1_3gpuE6ELNS1_3repE0EEENS1_30default_config_static_selectorELNS0_4arch9wavefront6targetE1EEEvT1_: ; @_ZN7rocprim17ROCPRIM_400000_NS6detail17trampoline_kernelINS0_14default_configENS1_27scan_by_key_config_selectorIiiEEZZNS1_16scan_by_key_implILNS1_25lookback_scan_determinismE0ELb1ES3_N6thrust23THRUST_200600_302600_NS6detail15normal_iteratorINS9_10device_ptrIiEEEESE_SE_iNS9_4plusIvEENS9_8equal_toIiEEiEE10hipError_tPvRmT2_T3_T4_T5_mT6_T7_P12ihipStream_tbENKUlT_T0_E_clISt17integral_constantIbLb1EESY_IbLb0EEEEDaSU_SV_EUlSU_E_NS1_11comp_targetILNS1_3genE2ELNS1_11target_archE906ELNS1_3gpuE6ELNS1_3repE0EEENS1_30default_config_static_selectorELNS0_4arch9wavefront6targetE1EEEvT1_
; %bb.0:
	.section	.rodata,"a",@progbits
	.p2align	6, 0x0
	.amdhsa_kernel _ZN7rocprim17ROCPRIM_400000_NS6detail17trampoline_kernelINS0_14default_configENS1_27scan_by_key_config_selectorIiiEEZZNS1_16scan_by_key_implILNS1_25lookback_scan_determinismE0ELb1ES3_N6thrust23THRUST_200600_302600_NS6detail15normal_iteratorINS9_10device_ptrIiEEEESE_SE_iNS9_4plusIvEENS9_8equal_toIiEEiEE10hipError_tPvRmT2_T3_T4_T5_mT6_T7_P12ihipStream_tbENKUlT_T0_E_clISt17integral_constantIbLb1EESY_IbLb0EEEEDaSU_SV_EUlSU_E_NS1_11comp_targetILNS1_3genE2ELNS1_11target_archE906ELNS1_3gpuE6ELNS1_3repE0EEENS1_30default_config_static_selectorELNS0_4arch9wavefront6targetE1EEEvT1_
		.amdhsa_group_segment_fixed_size 0
		.amdhsa_private_segment_fixed_size 0
		.amdhsa_kernarg_size 112
		.amdhsa_user_sgpr_count 6
		.amdhsa_user_sgpr_private_segment_buffer 1
		.amdhsa_user_sgpr_dispatch_ptr 0
		.amdhsa_user_sgpr_queue_ptr 0
		.amdhsa_user_sgpr_kernarg_segment_ptr 1
		.amdhsa_user_sgpr_dispatch_id 0
		.amdhsa_user_sgpr_flat_scratch_init 0
		.amdhsa_user_sgpr_kernarg_preload_length 0
		.amdhsa_user_sgpr_kernarg_preload_offset 0
		.amdhsa_user_sgpr_private_segment_size 0
		.amdhsa_uses_dynamic_stack 0
		.amdhsa_system_sgpr_private_segment_wavefront_offset 0
		.amdhsa_system_sgpr_workgroup_id_x 1
		.amdhsa_system_sgpr_workgroup_id_y 0
		.amdhsa_system_sgpr_workgroup_id_z 0
		.amdhsa_system_sgpr_workgroup_info 0
		.amdhsa_system_vgpr_workitem_id 0
		.amdhsa_next_free_vgpr 1
		.amdhsa_next_free_sgpr 0
		.amdhsa_accum_offset 4
		.amdhsa_reserve_vcc 0
		.amdhsa_reserve_flat_scratch 0
		.amdhsa_float_round_mode_32 0
		.amdhsa_float_round_mode_16_64 0
		.amdhsa_float_denorm_mode_32 3
		.amdhsa_float_denorm_mode_16_64 3
		.amdhsa_dx10_clamp 1
		.amdhsa_ieee_mode 1
		.amdhsa_fp16_overflow 0
		.amdhsa_tg_split 0
		.amdhsa_exception_fp_ieee_invalid_op 0
		.amdhsa_exception_fp_denorm_src 0
		.amdhsa_exception_fp_ieee_div_zero 0
		.amdhsa_exception_fp_ieee_overflow 0
		.amdhsa_exception_fp_ieee_underflow 0
		.amdhsa_exception_fp_ieee_inexact 0
		.amdhsa_exception_int_div_zero 0
	.end_amdhsa_kernel
	.section	.text._ZN7rocprim17ROCPRIM_400000_NS6detail17trampoline_kernelINS0_14default_configENS1_27scan_by_key_config_selectorIiiEEZZNS1_16scan_by_key_implILNS1_25lookback_scan_determinismE0ELb1ES3_N6thrust23THRUST_200600_302600_NS6detail15normal_iteratorINS9_10device_ptrIiEEEESE_SE_iNS9_4plusIvEENS9_8equal_toIiEEiEE10hipError_tPvRmT2_T3_T4_T5_mT6_T7_P12ihipStream_tbENKUlT_T0_E_clISt17integral_constantIbLb1EESY_IbLb0EEEEDaSU_SV_EUlSU_E_NS1_11comp_targetILNS1_3genE2ELNS1_11target_archE906ELNS1_3gpuE6ELNS1_3repE0EEENS1_30default_config_static_selectorELNS0_4arch9wavefront6targetE1EEEvT1_,"axG",@progbits,_ZN7rocprim17ROCPRIM_400000_NS6detail17trampoline_kernelINS0_14default_configENS1_27scan_by_key_config_selectorIiiEEZZNS1_16scan_by_key_implILNS1_25lookback_scan_determinismE0ELb1ES3_N6thrust23THRUST_200600_302600_NS6detail15normal_iteratorINS9_10device_ptrIiEEEESE_SE_iNS9_4plusIvEENS9_8equal_toIiEEiEE10hipError_tPvRmT2_T3_T4_T5_mT6_T7_P12ihipStream_tbENKUlT_T0_E_clISt17integral_constantIbLb1EESY_IbLb0EEEEDaSU_SV_EUlSU_E_NS1_11comp_targetILNS1_3genE2ELNS1_11target_archE906ELNS1_3gpuE6ELNS1_3repE0EEENS1_30default_config_static_selectorELNS0_4arch9wavefront6targetE1EEEvT1_,comdat
.Lfunc_end556:
	.size	_ZN7rocprim17ROCPRIM_400000_NS6detail17trampoline_kernelINS0_14default_configENS1_27scan_by_key_config_selectorIiiEEZZNS1_16scan_by_key_implILNS1_25lookback_scan_determinismE0ELb1ES3_N6thrust23THRUST_200600_302600_NS6detail15normal_iteratorINS9_10device_ptrIiEEEESE_SE_iNS9_4plusIvEENS9_8equal_toIiEEiEE10hipError_tPvRmT2_T3_T4_T5_mT6_T7_P12ihipStream_tbENKUlT_T0_E_clISt17integral_constantIbLb1EESY_IbLb0EEEEDaSU_SV_EUlSU_E_NS1_11comp_targetILNS1_3genE2ELNS1_11target_archE906ELNS1_3gpuE6ELNS1_3repE0EEENS1_30default_config_static_selectorELNS0_4arch9wavefront6targetE1EEEvT1_, .Lfunc_end556-_ZN7rocprim17ROCPRIM_400000_NS6detail17trampoline_kernelINS0_14default_configENS1_27scan_by_key_config_selectorIiiEEZZNS1_16scan_by_key_implILNS1_25lookback_scan_determinismE0ELb1ES3_N6thrust23THRUST_200600_302600_NS6detail15normal_iteratorINS9_10device_ptrIiEEEESE_SE_iNS9_4plusIvEENS9_8equal_toIiEEiEE10hipError_tPvRmT2_T3_T4_T5_mT6_T7_P12ihipStream_tbENKUlT_T0_E_clISt17integral_constantIbLb1EESY_IbLb0EEEEDaSU_SV_EUlSU_E_NS1_11comp_targetILNS1_3genE2ELNS1_11target_archE906ELNS1_3gpuE6ELNS1_3repE0EEENS1_30default_config_static_selectorELNS0_4arch9wavefront6targetE1EEEvT1_
                                        ; -- End function
	.section	.AMDGPU.csdata,"",@progbits
; Kernel info:
; codeLenInByte = 0
; NumSgprs: 4
; NumVgprs: 0
; NumAgprs: 0
; TotalNumVgprs: 0
; ScratchSize: 0
; MemoryBound: 0
; FloatMode: 240
; IeeeMode: 1
; LDSByteSize: 0 bytes/workgroup (compile time only)
; SGPRBlocks: 0
; VGPRBlocks: 0
; NumSGPRsForWavesPerEU: 4
; NumVGPRsForWavesPerEU: 1
; AccumOffset: 4
; Occupancy: 8
; WaveLimiterHint : 0
; COMPUTE_PGM_RSRC2:SCRATCH_EN: 0
; COMPUTE_PGM_RSRC2:USER_SGPR: 6
; COMPUTE_PGM_RSRC2:TRAP_HANDLER: 0
; COMPUTE_PGM_RSRC2:TGID_X_EN: 1
; COMPUTE_PGM_RSRC2:TGID_Y_EN: 0
; COMPUTE_PGM_RSRC2:TGID_Z_EN: 0
; COMPUTE_PGM_RSRC2:TIDIG_COMP_CNT: 0
; COMPUTE_PGM_RSRC3_GFX90A:ACCUM_OFFSET: 0
; COMPUTE_PGM_RSRC3_GFX90A:TG_SPLIT: 0
	.section	.text._ZN7rocprim17ROCPRIM_400000_NS6detail17trampoline_kernelINS0_14default_configENS1_27scan_by_key_config_selectorIiiEEZZNS1_16scan_by_key_implILNS1_25lookback_scan_determinismE0ELb1ES3_N6thrust23THRUST_200600_302600_NS6detail15normal_iteratorINS9_10device_ptrIiEEEESE_SE_iNS9_4plusIvEENS9_8equal_toIiEEiEE10hipError_tPvRmT2_T3_T4_T5_mT6_T7_P12ihipStream_tbENKUlT_T0_E_clISt17integral_constantIbLb1EESY_IbLb0EEEEDaSU_SV_EUlSU_E_NS1_11comp_targetILNS1_3genE10ELNS1_11target_archE1200ELNS1_3gpuE4ELNS1_3repE0EEENS1_30default_config_static_selectorELNS0_4arch9wavefront6targetE1EEEvT1_,"axG",@progbits,_ZN7rocprim17ROCPRIM_400000_NS6detail17trampoline_kernelINS0_14default_configENS1_27scan_by_key_config_selectorIiiEEZZNS1_16scan_by_key_implILNS1_25lookback_scan_determinismE0ELb1ES3_N6thrust23THRUST_200600_302600_NS6detail15normal_iteratorINS9_10device_ptrIiEEEESE_SE_iNS9_4plusIvEENS9_8equal_toIiEEiEE10hipError_tPvRmT2_T3_T4_T5_mT6_T7_P12ihipStream_tbENKUlT_T0_E_clISt17integral_constantIbLb1EESY_IbLb0EEEEDaSU_SV_EUlSU_E_NS1_11comp_targetILNS1_3genE10ELNS1_11target_archE1200ELNS1_3gpuE4ELNS1_3repE0EEENS1_30default_config_static_selectorELNS0_4arch9wavefront6targetE1EEEvT1_,comdat
	.protected	_ZN7rocprim17ROCPRIM_400000_NS6detail17trampoline_kernelINS0_14default_configENS1_27scan_by_key_config_selectorIiiEEZZNS1_16scan_by_key_implILNS1_25lookback_scan_determinismE0ELb1ES3_N6thrust23THRUST_200600_302600_NS6detail15normal_iteratorINS9_10device_ptrIiEEEESE_SE_iNS9_4plusIvEENS9_8equal_toIiEEiEE10hipError_tPvRmT2_T3_T4_T5_mT6_T7_P12ihipStream_tbENKUlT_T0_E_clISt17integral_constantIbLb1EESY_IbLb0EEEEDaSU_SV_EUlSU_E_NS1_11comp_targetILNS1_3genE10ELNS1_11target_archE1200ELNS1_3gpuE4ELNS1_3repE0EEENS1_30default_config_static_selectorELNS0_4arch9wavefront6targetE1EEEvT1_ ; -- Begin function _ZN7rocprim17ROCPRIM_400000_NS6detail17trampoline_kernelINS0_14default_configENS1_27scan_by_key_config_selectorIiiEEZZNS1_16scan_by_key_implILNS1_25lookback_scan_determinismE0ELb1ES3_N6thrust23THRUST_200600_302600_NS6detail15normal_iteratorINS9_10device_ptrIiEEEESE_SE_iNS9_4plusIvEENS9_8equal_toIiEEiEE10hipError_tPvRmT2_T3_T4_T5_mT6_T7_P12ihipStream_tbENKUlT_T0_E_clISt17integral_constantIbLb1EESY_IbLb0EEEEDaSU_SV_EUlSU_E_NS1_11comp_targetILNS1_3genE10ELNS1_11target_archE1200ELNS1_3gpuE4ELNS1_3repE0EEENS1_30default_config_static_selectorELNS0_4arch9wavefront6targetE1EEEvT1_
	.globl	_ZN7rocprim17ROCPRIM_400000_NS6detail17trampoline_kernelINS0_14default_configENS1_27scan_by_key_config_selectorIiiEEZZNS1_16scan_by_key_implILNS1_25lookback_scan_determinismE0ELb1ES3_N6thrust23THRUST_200600_302600_NS6detail15normal_iteratorINS9_10device_ptrIiEEEESE_SE_iNS9_4plusIvEENS9_8equal_toIiEEiEE10hipError_tPvRmT2_T3_T4_T5_mT6_T7_P12ihipStream_tbENKUlT_T0_E_clISt17integral_constantIbLb1EESY_IbLb0EEEEDaSU_SV_EUlSU_E_NS1_11comp_targetILNS1_3genE10ELNS1_11target_archE1200ELNS1_3gpuE4ELNS1_3repE0EEENS1_30default_config_static_selectorELNS0_4arch9wavefront6targetE1EEEvT1_
	.p2align	8
	.type	_ZN7rocprim17ROCPRIM_400000_NS6detail17trampoline_kernelINS0_14default_configENS1_27scan_by_key_config_selectorIiiEEZZNS1_16scan_by_key_implILNS1_25lookback_scan_determinismE0ELb1ES3_N6thrust23THRUST_200600_302600_NS6detail15normal_iteratorINS9_10device_ptrIiEEEESE_SE_iNS9_4plusIvEENS9_8equal_toIiEEiEE10hipError_tPvRmT2_T3_T4_T5_mT6_T7_P12ihipStream_tbENKUlT_T0_E_clISt17integral_constantIbLb1EESY_IbLb0EEEEDaSU_SV_EUlSU_E_NS1_11comp_targetILNS1_3genE10ELNS1_11target_archE1200ELNS1_3gpuE4ELNS1_3repE0EEENS1_30default_config_static_selectorELNS0_4arch9wavefront6targetE1EEEvT1_,@function
_ZN7rocprim17ROCPRIM_400000_NS6detail17trampoline_kernelINS0_14default_configENS1_27scan_by_key_config_selectorIiiEEZZNS1_16scan_by_key_implILNS1_25lookback_scan_determinismE0ELb1ES3_N6thrust23THRUST_200600_302600_NS6detail15normal_iteratorINS9_10device_ptrIiEEEESE_SE_iNS9_4plusIvEENS9_8equal_toIiEEiEE10hipError_tPvRmT2_T3_T4_T5_mT6_T7_P12ihipStream_tbENKUlT_T0_E_clISt17integral_constantIbLb1EESY_IbLb0EEEEDaSU_SV_EUlSU_E_NS1_11comp_targetILNS1_3genE10ELNS1_11target_archE1200ELNS1_3gpuE4ELNS1_3repE0EEENS1_30default_config_static_selectorELNS0_4arch9wavefront6targetE1EEEvT1_: ; @_ZN7rocprim17ROCPRIM_400000_NS6detail17trampoline_kernelINS0_14default_configENS1_27scan_by_key_config_selectorIiiEEZZNS1_16scan_by_key_implILNS1_25lookback_scan_determinismE0ELb1ES3_N6thrust23THRUST_200600_302600_NS6detail15normal_iteratorINS9_10device_ptrIiEEEESE_SE_iNS9_4plusIvEENS9_8equal_toIiEEiEE10hipError_tPvRmT2_T3_T4_T5_mT6_T7_P12ihipStream_tbENKUlT_T0_E_clISt17integral_constantIbLb1EESY_IbLb0EEEEDaSU_SV_EUlSU_E_NS1_11comp_targetILNS1_3genE10ELNS1_11target_archE1200ELNS1_3gpuE4ELNS1_3repE0EEENS1_30default_config_static_selectorELNS0_4arch9wavefront6targetE1EEEvT1_
; %bb.0:
	.section	.rodata,"a",@progbits
	.p2align	6, 0x0
	.amdhsa_kernel _ZN7rocprim17ROCPRIM_400000_NS6detail17trampoline_kernelINS0_14default_configENS1_27scan_by_key_config_selectorIiiEEZZNS1_16scan_by_key_implILNS1_25lookback_scan_determinismE0ELb1ES3_N6thrust23THRUST_200600_302600_NS6detail15normal_iteratorINS9_10device_ptrIiEEEESE_SE_iNS9_4plusIvEENS9_8equal_toIiEEiEE10hipError_tPvRmT2_T3_T4_T5_mT6_T7_P12ihipStream_tbENKUlT_T0_E_clISt17integral_constantIbLb1EESY_IbLb0EEEEDaSU_SV_EUlSU_E_NS1_11comp_targetILNS1_3genE10ELNS1_11target_archE1200ELNS1_3gpuE4ELNS1_3repE0EEENS1_30default_config_static_selectorELNS0_4arch9wavefront6targetE1EEEvT1_
		.amdhsa_group_segment_fixed_size 0
		.amdhsa_private_segment_fixed_size 0
		.amdhsa_kernarg_size 112
		.amdhsa_user_sgpr_count 6
		.amdhsa_user_sgpr_private_segment_buffer 1
		.amdhsa_user_sgpr_dispatch_ptr 0
		.amdhsa_user_sgpr_queue_ptr 0
		.amdhsa_user_sgpr_kernarg_segment_ptr 1
		.amdhsa_user_sgpr_dispatch_id 0
		.amdhsa_user_sgpr_flat_scratch_init 0
		.amdhsa_user_sgpr_kernarg_preload_length 0
		.amdhsa_user_sgpr_kernarg_preload_offset 0
		.amdhsa_user_sgpr_private_segment_size 0
		.amdhsa_uses_dynamic_stack 0
		.amdhsa_system_sgpr_private_segment_wavefront_offset 0
		.amdhsa_system_sgpr_workgroup_id_x 1
		.amdhsa_system_sgpr_workgroup_id_y 0
		.amdhsa_system_sgpr_workgroup_id_z 0
		.amdhsa_system_sgpr_workgroup_info 0
		.amdhsa_system_vgpr_workitem_id 0
		.amdhsa_next_free_vgpr 1
		.amdhsa_next_free_sgpr 0
		.amdhsa_accum_offset 4
		.amdhsa_reserve_vcc 0
		.amdhsa_reserve_flat_scratch 0
		.amdhsa_float_round_mode_32 0
		.amdhsa_float_round_mode_16_64 0
		.amdhsa_float_denorm_mode_32 3
		.amdhsa_float_denorm_mode_16_64 3
		.amdhsa_dx10_clamp 1
		.amdhsa_ieee_mode 1
		.amdhsa_fp16_overflow 0
		.amdhsa_tg_split 0
		.amdhsa_exception_fp_ieee_invalid_op 0
		.amdhsa_exception_fp_denorm_src 0
		.amdhsa_exception_fp_ieee_div_zero 0
		.amdhsa_exception_fp_ieee_overflow 0
		.amdhsa_exception_fp_ieee_underflow 0
		.amdhsa_exception_fp_ieee_inexact 0
		.amdhsa_exception_int_div_zero 0
	.end_amdhsa_kernel
	.section	.text._ZN7rocprim17ROCPRIM_400000_NS6detail17trampoline_kernelINS0_14default_configENS1_27scan_by_key_config_selectorIiiEEZZNS1_16scan_by_key_implILNS1_25lookback_scan_determinismE0ELb1ES3_N6thrust23THRUST_200600_302600_NS6detail15normal_iteratorINS9_10device_ptrIiEEEESE_SE_iNS9_4plusIvEENS9_8equal_toIiEEiEE10hipError_tPvRmT2_T3_T4_T5_mT6_T7_P12ihipStream_tbENKUlT_T0_E_clISt17integral_constantIbLb1EESY_IbLb0EEEEDaSU_SV_EUlSU_E_NS1_11comp_targetILNS1_3genE10ELNS1_11target_archE1200ELNS1_3gpuE4ELNS1_3repE0EEENS1_30default_config_static_selectorELNS0_4arch9wavefront6targetE1EEEvT1_,"axG",@progbits,_ZN7rocprim17ROCPRIM_400000_NS6detail17trampoline_kernelINS0_14default_configENS1_27scan_by_key_config_selectorIiiEEZZNS1_16scan_by_key_implILNS1_25lookback_scan_determinismE0ELb1ES3_N6thrust23THRUST_200600_302600_NS6detail15normal_iteratorINS9_10device_ptrIiEEEESE_SE_iNS9_4plusIvEENS9_8equal_toIiEEiEE10hipError_tPvRmT2_T3_T4_T5_mT6_T7_P12ihipStream_tbENKUlT_T0_E_clISt17integral_constantIbLb1EESY_IbLb0EEEEDaSU_SV_EUlSU_E_NS1_11comp_targetILNS1_3genE10ELNS1_11target_archE1200ELNS1_3gpuE4ELNS1_3repE0EEENS1_30default_config_static_selectorELNS0_4arch9wavefront6targetE1EEEvT1_,comdat
.Lfunc_end557:
	.size	_ZN7rocprim17ROCPRIM_400000_NS6detail17trampoline_kernelINS0_14default_configENS1_27scan_by_key_config_selectorIiiEEZZNS1_16scan_by_key_implILNS1_25lookback_scan_determinismE0ELb1ES3_N6thrust23THRUST_200600_302600_NS6detail15normal_iteratorINS9_10device_ptrIiEEEESE_SE_iNS9_4plusIvEENS9_8equal_toIiEEiEE10hipError_tPvRmT2_T3_T4_T5_mT6_T7_P12ihipStream_tbENKUlT_T0_E_clISt17integral_constantIbLb1EESY_IbLb0EEEEDaSU_SV_EUlSU_E_NS1_11comp_targetILNS1_3genE10ELNS1_11target_archE1200ELNS1_3gpuE4ELNS1_3repE0EEENS1_30default_config_static_selectorELNS0_4arch9wavefront6targetE1EEEvT1_, .Lfunc_end557-_ZN7rocprim17ROCPRIM_400000_NS6detail17trampoline_kernelINS0_14default_configENS1_27scan_by_key_config_selectorIiiEEZZNS1_16scan_by_key_implILNS1_25lookback_scan_determinismE0ELb1ES3_N6thrust23THRUST_200600_302600_NS6detail15normal_iteratorINS9_10device_ptrIiEEEESE_SE_iNS9_4plusIvEENS9_8equal_toIiEEiEE10hipError_tPvRmT2_T3_T4_T5_mT6_T7_P12ihipStream_tbENKUlT_T0_E_clISt17integral_constantIbLb1EESY_IbLb0EEEEDaSU_SV_EUlSU_E_NS1_11comp_targetILNS1_3genE10ELNS1_11target_archE1200ELNS1_3gpuE4ELNS1_3repE0EEENS1_30default_config_static_selectorELNS0_4arch9wavefront6targetE1EEEvT1_
                                        ; -- End function
	.section	.AMDGPU.csdata,"",@progbits
; Kernel info:
; codeLenInByte = 0
; NumSgprs: 4
; NumVgprs: 0
; NumAgprs: 0
; TotalNumVgprs: 0
; ScratchSize: 0
; MemoryBound: 0
; FloatMode: 240
; IeeeMode: 1
; LDSByteSize: 0 bytes/workgroup (compile time only)
; SGPRBlocks: 0
; VGPRBlocks: 0
; NumSGPRsForWavesPerEU: 4
; NumVGPRsForWavesPerEU: 1
; AccumOffset: 4
; Occupancy: 8
; WaveLimiterHint : 0
; COMPUTE_PGM_RSRC2:SCRATCH_EN: 0
; COMPUTE_PGM_RSRC2:USER_SGPR: 6
; COMPUTE_PGM_RSRC2:TRAP_HANDLER: 0
; COMPUTE_PGM_RSRC2:TGID_X_EN: 1
; COMPUTE_PGM_RSRC2:TGID_Y_EN: 0
; COMPUTE_PGM_RSRC2:TGID_Z_EN: 0
; COMPUTE_PGM_RSRC2:TIDIG_COMP_CNT: 0
; COMPUTE_PGM_RSRC3_GFX90A:ACCUM_OFFSET: 0
; COMPUTE_PGM_RSRC3_GFX90A:TG_SPLIT: 0
	.section	.text._ZN7rocprim17ROCPRIM_400000_NS6detail17trampoline_kernelINS0_14default_configENS1_27scan_by_key_config_selectorIiiEEZZNS1_16scan_by_key_implILNS1_25lookback_scan_determinismE0ELb1ES3_N6thrust23THRUST_200600_302600_NS6detail15normal_iteratorINS9_10device_ptrIiEEEESE_SE_iNS9_4plusIvEENS9_8equal_toIiEEiEE10hipError_tPvRmT2_T3_T4_T5_mT6_T7_P12ihipStream_tbENKUlT_T0_E_clISt17integral_constantIbLb1EESY_IbLb0EEEEDaSU_SV_EUlSU_E_NS1_11comp_targetILNS1_3genE9ELNS1_11target_archE1100ELNS1_3gpuE3ELNS1_3repE0EEENS1_30default_config_static_selectorELNS0_4arch9wavefront6targetE1EEEvT1_,"axG",@progbits,_ZN7rocprim17ROCPRIM_400000_NS6detail17trampoline_kernelINS0_14default_configENS1_27scan_by_key_config_selectorIiiEEZZNS1_16scan_by_key_implILNS1_25lookback_scan_determinismE0ELb1ES3_N6thrust23THRUST_200600_302600_NS6detail15normal_iteratorINS9_10device_ptrIiEEEESE_SE_iNS9_4plusIvEENS9_8equal_toIiEEiEE10hipError_tPvRmT2_T3_T4_T5_mT6_T7_P12ihipStream_tbENKUlT_T0_E_clISt17integral_constantIbLb1EESY_IbLb0EEEEDaSU_SV_EUlSU_E_NS1_11comp_targetILNS1_3genE9ELNS1_11target_archE1100ELNS1_3gpuE3ELNS1_3repE0EEENS1_30default_config_static_selectorELNS0_4arch9wavefront6targetE1EEEvT1_,comdat
	.protected	_ZN7rocprim17ROCPRIM_400000_NS6detail17trampoline_kernelINS0_14default_configENS1_27scan_by_key_config_selectorIiiEEZZNS1_16scan_by_key_implILNS1_25lookback_scan_determinismE0ELb1ES3_N6thrust23THRUST_200600_302600_NS6detail15normal_iteratorINS9_10device_ptrIiEEEESE_SE_iNS9_4plusIvEENS9_8equal_toIiEEiEE10hipError_tPvRmT2_T3_T4_T5_mT6_T7_P12ihipStream_tbENKUlT_T0_E_clISt17integral_constantIbLb1EESY_IbLb0EEEEDaSU_SV_EUlSU_E_NS1_11comp_targetILNS1_3genE9ELNS1_11target_archE1100ELNS1_3gpuE3ELNS1_3repE0EEENS1_30default_config_static_selectorELNS0_4arch9wavefront6targetE1EEEvT1_ ; -- Begin function _ZN7rocprim17ROCPRIM_400000_NS6detail17trampoline_kernelINS0_14default_configENS1_27scan_by_key_config_selectorIiiEEZZNS1_16scan_by_key_implILNS1_25lookback_scan_determinismE0ELb1ES3_N6thrust23THRUST_200600_302600_NS6detail15normal_iteratorINS9_10device_ptrIiEEEESE_SE_iNS9_4plusIvEENS9_8equal_toIiEEiEE10hipError_tPvRmT2_T3_T4_T5_mT6_T7_P12ihipStream_tbENKUlT_T0_E_clISt17integral_constantIbLb1EESY_IbLb0EEEEDaSU_SV_EUlSU_E_NS1_11comp_targetILNS1_3genE9ELNS1_11target_archE1100ELNS1_3gpuE3ELNS1_3repE0EEENS1_30default_config_static_selectorELNS0_4arch9wavefront6targetE1EEEvT1_
	.globl	_ZN7rocprim17ROCPRIM_400000_NS6detail17trampoline_kernelINS0_14default_configENS1_27scan_by_key_config_selectorIiiEEZZNS1_16scan_by_key_implILNS1_25lookback_scan_determinismE0ELb1ES3_N6thrust23THRUST_200600_302600_NS6detail15normal_iteratorINS9_10device_ptrIiEEEESE_SE_iNS9_4plusIvEENS9_8equal_toIiEEiEE10hipError_tPvRmT2_T3_T4_T5_mT6_T7_P12ihipStream_tbENKUlT_T0_E_clISt17integral_constantIbLb1EESY_IbLb0EEEEDaSU_SV_EUlSU_E_NS1_11comp_targetILNS1_3genE9ELNS1_11target_archE1100ELNS1_3gpuE3ELNS1_3repE0EEENS1_30default_config_static_selectorELNS0_4arch9wavefront6targetE1EEEvT1_
	.p2align	8
	.type	_ZN7rocprim17ROCPRIM_400000_NS6detail17trampoline_kernelINS0_14default_configENS1_27scan_by_key_config_selectorIiiEEZZNS1_16scan_by_key_implILNS1_25lookback_scan_determinismE0ELb1ES3_N6thrust23THRUST_200600_302600_NS6detail15normal_iteratorINS9_10device_ptrIiEEEESE_SE_iNS9_4plusIvEENS9_8equal_toIiEEiEE10hipError_tPvRmT2_T3_T4_T5_mT6_T7_P12ihipStream_tbENKUlT_T0_E_clISt17integral_constantIbLb1EESY_IbLb0EEEEDaSU_SV_EUlSU_E_NS1_11comp_targetILNS1_3genE9ELNS1_11target_archE1100ELNS1_3gpuE3ELNS1_3repE0EEENS1_30default_config_static_selectorELNS0_4arch9wavefront6targetE1EEEvT1_,@function
_ZN7rocprim17ROCPRIM_400000_NS6detail17trampoline_kernelINS0_14default_configENS1_27scan_by_key_config_selectorIiiEEZZNS1_16scan_by_key_implILNS1_25lookback_scan_determinismE0ELb1ES3_N6thrust23THRUST_200600_302600_NS6detail15normal_iteratorINS9_10device_ptrIiEEEESE_SE_iNS9_4plusIvEENS9_8equal_toIiEEiEE10hipError_tPvRmT2_T3_T4_T5_mT6_T7_P12ihipStream_tbENKUlT_T0_E_clISt17integral_constantIbLb1EESY_IbLb0EEEEDaSU_SV_EUlSU_E_NS1_11comp_targetILNS1_3genE9ELNS1_11target_archE1100ELNS1_3gpuE3ELNS1_3repE0EEENS1_30default_config_static_selectorELNS0_4arch9wavefront6targetE1EEEvT1_: ; @_ZN7rocprim17ROCPRIM_400000_NS6detail17trampoline_kernelINS0_14default_configENS1_27scan_by_key_config_selectorIiiEEZZNS1_16scan_by_key_implILNS1_25lookback_scan_determinismE0ELb1ES3_N6thrust23THRUST_200600_302600_NS6detail15normal_iteratorINS9_10device_ptrIiEEEESE_SE_iNS9_4plusIvEENS9_8equal_toIiEEiEE10hipError_tPvRmT2_T3_T4_T5_mT6_T7_P12ihipStream_tbENKUlT_T0_E_clISt17integral_constantIbLb1EESY_IbLb0EEEEDaSU_SV_EUlSU_E_NS1_11comp_targetILNS1_3genE9ELNS1_11target_archE1100ELNS1_3gpuE3ELNS1_3repE0EEENS1_30default_config_static_selectorELNS0_4arch9wavefront6targetE1EEEvT1_
; %bb.0:
	.section	.rodata,"a",@progbits
	.p2align	6, 0x0
	.amdhsa_kernel _ZN7rocprim17ROCPRIM_400000_NS6detail17trampoline_kernelINS0_14default_configENS1_27scan_by_key_config_selectorIiiEEZZNS1_16scan_by_key_implILNS1_25lookback_scan_determinismE0ELb1ES3_N6thrust23THRUST_200600_302600_NS6detail15normal_iteratorINS9_10device_ptrIiEEEESE_SE_iNS9_4plusIvEENS9_8equal_toIiEEiEE10hipError_tPvRmT2_T3_T4_T5_mT6_T7_P12ihipStream_tbENKUlT_T0_E_clISt17integral_constantIbLb1EESY_IbLb0EEEEDaSU_SV_EUlSU_E_NS1_11comp_targetILNS1_3genE9ELNS1_11target_archE1100ELNS1_3gpuE3ELNS1_3repE0EEENS1_30default_config_static_selectorELNS0_4arch9wavefront6targetE1EEEvT1_
		.amdhsa_group_segment_fixed_size 0
		.amdhsa_private_segment_fixed_size 0
		.amdhsa_kernarg_size 112
		.amdhsa_user_sgpr_count 6
		.amdhsa_user_sgpr_private_segment_buffer 1
		.amdhsa_user_sgpr_dispatch_ptr 0
		.amdhsa_user_sgpr_queue_ptr 0
		.amdhsa_user_sgpr_kernarg_segment_ptr 1
		.amdhsa_user_sgpr_dispatch_id 0
		.amdhsa_user_sgpr_flat_scratch_init 0
		.amdhsa_user_sgpr_kernarg_preload_length 0
		.amdhsa_user_sgpr_kernarg_preload_offset 0
		.amdhsa_user_sgpr_private_segment_size 0
		.amdhsa_uses_dynamic_stack 0
		.amdhsa_system_sgpr_private_segment_wavefront_offset 0
		.amdhsa_system_sgpr_workgroup_id_x 1
		.amdhsa_system_sgpr_workgroup_id_y 0
		.amdhsa_system_sgpr_workgroup_id_z 0
		.amdhsa_system_sgpr_workgroup_info 0
		.amdhsa_system_vgpr_workitem_id 0
		.amdhsa_next_free_vgpr 1
		.amdhsa_next_free_sgpr 0
		.amdhsa_accum_offset 4
		.amdhsa_reserve_vcc 0
		.amdhsa_reserve_flat_scratch 0
		.amdhsa_float_round_mode_32 0
		.amdhsa_float_round_mode_16_64 0
		.amdhsa_float_denorm_mode_32 3
		.amdhsa_float_denorm_mode_16_64 3
		.amdhsa_dx10_clamp 1
		.amdhsa_ieee_mode 1
		.amdhsa_fp16_overflow 0
		.amdhsa_tg_split 0
		.amdhsa_exception_fp_ieee_invalid_op 0
		.amdhsa_exception_fp_denorm_src 0
		.amdhsa_exception_fp_ieee_div_zero 0
		.amdhsa_exception_fp_ieee_overflow 0
		.amdhsa_exception_fp_ieee_underflow 0
		.amdhsa_exception_fp_ieee_inexact 0
		.amdhsa_exception_int_div_zero 0
	.end_amdhsa_kernel
	.section	.text._ZN7rocprim17ROCPRIM_400000_NS6detail17trampoline_kernelINS0_14default_configENS1_27scan_by_key_config_selectorIiiEEZZNS1_16scan_by_key_implILNS1_25lookback_scan_determinismE0ELb1ES3_N6thrust23THRUST_200600_302600_NS6detail15normal_iteratorINS9_10device_ptrIiEEEESE_SE_iNS9_4plusIvEENS9_8equal_toIiEEiEE10hipError_tPvRmT2_T3_T4_T5_mT6_T7_P12ihipStream_tbENKUlT_T0_E_clISt17integral_constantIbLb1EESY_IbLb0EEEEDaSU_SV_EUlSU_E_NS1_11comp_targetILNS1_3genE9ELNS1_11target_archE1100ELNS1_3gpuE3ELNS1_3repE0EEENS1_30default_config_static_selectorELNS0_4arch9wavefront6targetE1EEEvT1_,"axG",@progbits,_ZN7rocprim17ROCPRIM_400000_NS6detail17trampoline_kernelINS0_14default_configENS1_27scan_by_key_config_selectorIiiEEZZNS1_16scan_by_key_implILNS1_25lookback_scan_determinismE0ELb1ES3_N6thrust23THRUST_200600_302600_NS6detail15normal_iteratorINS9_10device_ptrIiEEEESE_SE_iNS9_4plusIvEENS9_8equal_toIiEEiEE10hipError_tPvRmT2_T3_T4_T5_mT6_T7_P12ihipStream_tbENKUlT_T0_E_clISt17integral_constantIbLb1EESY_IbLb0EEEEDaSU_SV_EUlSU_E_NS1_11comp_targetILNS1_3genE9ELNS1_11target_archE1100ELNS1_3gpuE3ELNS1_3repE0EEENS1_30default_config_static_selectorELNS0_4arch9wavefront6targetE1EEEvT1_,comdat
.Lfunc_end558:
	.size	_ZN7rocprim17ROCPRIM_400000_NS6detail17trampoline_kernelINS0_14default_configENS1_27scan_by_key_config_selectorIiiEEZZNS1_16scan_by_key_implILNS1_25lookback_scan_determinismE0ELb1ES3_N6thrust23THRUST_200600_302600_NS6detail15normal_iteratorINS9_10device_ptrIiEEEESE_SE_iNS9_4plusIvEENS9_8equal_toIiEEiEE10hipError_tPvRmT2_T3_T4_T5_mT6_T7_P12ihipStream_tbENKUlT_T0_E_clISt17integral_constantIbLb1EESY_IbLb0EEEEDaSU_SV_EUlSU_E_NS1_11comp_targetILNS1_3genE9ELNS1_11target_archE1100ELNS1_3gpuE3ELNS1_3repE0EEENS1_30default_config_static_selectorELNS0_4arch9wavefront6targetE1EEEvT1_, .Lfunc_end558-_ZN7rocprim17ROCPRIM_400000_NS6detail17trampoline_kernelINS0_14default_configENS1_27scan_by_key_config_selectorIiiEEZZNS1_16scan_by_key_implILNS1_25lookback_scan_determinismE0ELb1ES3_N6thrust23THRUST_200600_302600_NS6detail15normal_iteratorINS9_10device_ptrIiEEEESE_SE_iNS9_4plusIvEENS9_8equal_toIiEEiEE10hipError_tPvRmT2_T3_T4_T5_mT6_T7_P12ihipStream_tbENKUlT_T0_E_clISt17integral_constantIbLb1EESY_IbLb0EEEEDaSU_SV_EUlSU_E_NS1_11comp_targetILNS1_3genE9ELNS1_11target_archE1100ELNS1_3gpuE3ELNS1_3repE0EEENS1_30default_config_static_selectorELNS0_4arch9wavefront6targetE1EEEvT1_
                                        ; -- End function
	.section	.AMDGPU.csdata,"",@progbits
; Kernel info:
; codeLenInByte = 0
; NumSgprs: 4
; NumVgprs: 0
; NumAgprs: 0
; TotalNumVgprs: 0
; ScratchSize: 0
; MemoryBound: 0
; FloatMode: 240
; IeeeMode: 1
; LDSByteSize: 0 bytes/workgroup (compile time only)
; SGPRBlocks: 0
; VGPRBlocks: 0
; NumSGPRsForWavesPerEU: 4
; NumVGPRsForWavesPerEU: 1
; AccumOffset: 4
; Occupancy: 8
; WaveLimiterHint : 0
; COMPUTE_PGM_RSRC2:SCRATCH_EN: 0
; COMPUTE_PGM_RSRC2:USER_SGPR: 6
; COMPUTE_PGM_RSRC2:TRAP_HANDLER: 0
; COMPUTE_PGM_RSRC2:TGID_X_EN: 1
; COMPUTE_PGM_RSRC2:TGID_Y_EN: 0
; COMPUTE_PGM_RSRC2:TGID_Z_EN: 0
; COMPUTE_PGM_RSRC2:TIDIG_COMP_CNT: 0
; COMPUTE_PGM_RSRC3_GFX90A:ACCUM_OFFSET: 0
; COMPUTE_PGM_RSRC3_GFX90A:TG_SPLIT: 0
	.section	.text._ZN7rocprim17ROCPRIM_400000_NS6detail17trampoline_kernelINS0_14default_configENS1_27scan_by_key_config_selectorIiiEEZZNS1_16scan_by_key_implILNS1_25lookback_scan_determinismE0ELb1ES3_N6thrust23THRUST_200600_302600_NS6detail15normal_iteratorINS9_10device_ptrIiEEEESE_SE_iNS9_4plusIvEENS9_8equal_toIiEEiEE10hipError_tPvRmT2_T3_T4_T5_mT6_T7_P12ihipStream_tbENKUlT_T0_E_clISt17integral_constantIbLb1EESY_IbLb0EEEEDaSU_SV_EUlSU_E_NS1_11comp_targetILNS1_3genE8ELNS1_11target_archE1030ELNS1_3gpuE2ELNS1_3repE0EEENS1_30default_config_static_selectorELNS0_4arch9wavefront6targetE1EEEvT1_,"axG",@progbits,_ZN7rocprim17ROCPRIM_400000_NS6detail17trampoline_kernelINS0_14default_configENS1_27scan_by_key_config_selectorIiiEEZZNS1_16scan_by_key_implILNS1_25lookback_scan_determinismE0ELb1ES3_N6thrust23THRUST_200600_302600_NS6detail15normal_iteratorINS9_10device_ptrIiEEEESE_SE_iNS9_4plusIvEENS9_8equal_toIiEEiEE10hipError_tPvRmT2_T3_T4_T5_mT6_T7_P12ihipStream_tbENKUlT_T0_E_clISt17integral_constantIbLb1EESY_IbLb0EEEEDaSU_SV_EUlSU_E_NS1_11comp_targetILNS1_3genE8ELNS1_11target_archE1030ELNS1_3gpuE2ELNS1_3repE0EEENS1_30default_config_static_selectorELNS0_4arch9wavefront6targetE1EEEvT1_,comdat
	.protected	_ZN7rocprim17ROCPRIM_400000_NS6detail17trampoline_kernelINS0_14default_configENS1_27scan_by_key_config_selectorIiiEEZZNS1_16scan_by_key_implILNS1_25lookback_scan_determinismE0ELb1ES3_N6thrust23THRUST_200600_302600_NS6detail15normal_iteratorINS9_10device_ptrIiEEEESE_SE_iNS9_4plusIvEENS9_8equal_toIiEEiEE10hipError_tPvRmT2_T3_T4_T5_mT6_T7_P12ihipStream_tbENKUlT_T0_E_clISt17integral_constantIbLb1EESY_IbLb0EEEEDaSU_SV_EUlSU_E_NS1_11comp_targetILNS1_3genE8ELNS1_11target_archE1030ELNS1_3gpuE2ELNS1_3repE0EEENS1_30default_config_static_selectorELNS0_4arch9wavefront6targetE1EEEvT1_ ; -- Begin function _ZN7rocprim17ROCPRIM_400000_NS6detail17trampoline_kernelINS0_14default_configENS1_27scan_by_key_config_selectorIiiEEZZNS1_16scan_by_key_implILNS1_25lookback_scan_determinismE0ELb1ES3_N6thrust23THRUST_200600_302600_NS6detail15normal_iteratorINS9_10device_ptrIiEEEESE_SE_iNS9_4plusIvEENS9_8equal_toIiEEiEE10hipError_tPvRmT2_T3_T4_T5_mT6_T7_P12ihipStream_tbENKUlT_T0_E_clISt17integral_constantIbLb1EESY_IbLb0EEEEDaSU_SV_EUlSU_E_NS1_11comp_targetILNS1_3genE8ELNS1_11target_archE1030ELNS1_3gpuE2ELNS1_3repE0EEENS1_30default_config_static_selectorELNS0_4arch9wavefront6targetE1EEEvT1_
	.globl	_ZN7rocprim17ROCPRIM_400000_NS6detail17trampoline_kernelINS0_14default_configENS1_27scan_by_key_config_selectorIiiEEZZNS1_16scan_by_key_implILNS1_25lookback_scan_determinismE0ELb1ES3_N6thrust23THRUST_200600_302600_NS6detail15normal_iteratorINS9_10device_ptrIiEEEESE_SE_iNS9_4plusIvEENS9_8equal_toIiEEiEE10hipError_tPvRmT2_T3_T4_T5_mT6_T7_P12ihipStream_tbENKUlT_T0_E_clISt17integral_constantIbLb1EESY_IbLb0EEEEDaSU_SV_EUlSU_E_NS1_11comp_targetILNS1_3genE8ELNS1_11target_archE1030ELNS1_3gpuE2ELNS1_3repE0EEENS1_30default_config_static_selectorELNS0_4arch9wavefront6targetE1EEEvT1_
	.p2align	8
	.type	_ZN7rocprim17ROCPRIM_400000_NS6detail17trampoline_kernelINS0_14default_configENS1_27scan_by_key_config_selectorIiiEEZZNS1_16scan_by_key_implILNS1_25lookback_scan_determinismE0ELb1ES3_N6thrust23THRUST_200600_302600_NS6detail15normal_iteratorINS9_10device_ptrIiEEEESE_SE_iNS9_4plusIvEENS9_8equal_toIiEEiEE10hipError_tPvRmT2_T3_T4_T5_mT6_T7_P12ihipStream_tbENKUlT_T0_E_clISt17integral_constantIbLb1EESY_IbLb0EEEEDaSU_SV_EUlSU_E_NS1_11comp_targetILNS1_3genE8ELNS1_11target_archE1030ELNS1_3gpuE2ELNS1_3repE0EEENS1_30default_config_static_selectorELNS0_4arch9wavefront6targetE1EEEvT1_,@function
_ZN7rocprim17ROCPRIM_400000_NS6detail17trampoline_kernelINS0_14default_configENS1_27scan_by_key_config_selectorIiiEEZZNS1_16scan_by_key_implILNS1_25lookback_scan_determinismE0ELb1ES3_N6thrust23THRUST_200600_302600_NS6detail15normal_iteratorINS9_10device_ptrIiEEEESE_SE_iNS9_4plusIvEENS9_8equal_toIiEEiEE10hipError_tPvRmT2_T3_T4_T5_mT6_T7_P12ihipStream_tbENKUlT_T0_E_clISt17integral_constantIbLb1EESY_IbLb0EEEEDaSU_SV_EUlSU_E_NS1_11comp_targetILNS1_3genE8ELNS1_11target_archE1030ELNS1_3gpuE2ELNS1_3repE0EEENS1_30default_config_static_selectorELNS0_4arch9wavefront6targetE1EEEvT1_: ; @_ZN7rocprim17ROCPRIM_400000_NS6detail17trampoline_kernelINS0_14default_configENS1_27scan_by_key_config_selectorIiiEEZZNS1_16scan_by_key_implILNS1_25lookback_scan_determinismE0ELb1ES3_N6thrust23THRUST_200600_302600_NS6detail15normal_iteratorINS9_10device_ptrIiEEEESE_SE_iNS9_4plusIvEENS9_8equal_toIiEEiEE10hipError_tPvRmT2_T3_T4_T5_mT6_T7_P12ihipStream_tbENKUlT_T0_E_clISt17integral_constantIbLb1EESY_IbLb0EEEEDaSU_SV_EUlSU_E_NS1_11comp_targetILNS1_3genE8ELNS1_11target_archE1030ELNS1_3gpuE2ELNS1_3repE0EEENS1_30default_config_static_selectorELNS0_4arch9wavefront6targetE1EEEvT1_
; %bb.0:
	.section	.rodata,"a",@progbits
	.p2align	6, 0x0
	.amdhsa_kernel _ZN7rocprim17ROCPRIM_400000_NS6detail17trampoline_kernelINS0_14default_configENS1_27scan_by_key_config_selectorIiiEEZZNS1_16scan_by_key_implILNS1_25lookback_scan_determinismE0ELb1ES3_N6thrust23THRUST_200600_302600_NS6detail15normal_iteratorINS9_10device_ptrIiEEEESE_SE_iNS9_4plusIvEENS9_8equal_toIiEEiEE10hipError_tPvRmT2_T3_T4_T5_mT6_T7_P12ihipStream_tbENKUlT_T0_E_clISt17integral_constantIbLb1EESY_IbLb0EEEEDaSU_SV_EUlSU_E_NS1_11comp_targetILNS1_3genE8ELNS1_11target_archE1030ELNS1_3gpuE2ELNS1_3repE0EEENS1_30default_config_static_selectorELNS0_4arch9wavefront6targetE1EEEvT1_
		.amdhsa_group_segment_fixed_size 0
		.amdhsa_private_segment_fixed_size 0
		.amdhsa_kernarg_size 112
		.amdhsa_user_sgpr_count 6
		.amdhsa_user_sgpr_private_segment_buffer 1
		.amdhsa_user_sgpr_dispatch_ptr 0
		.amdhsa_user_sgpr_queue_ptr 0
		.amdhsa_user_sgpr_kernarg_segment_ptr 1
		.amdhsa_user_sgpr_dispatch_id 0
		.amdhsa_user_sgpr_flat_scratch_init 0
		.amdhsa_user_sgpr_kernarg_preload_length 0
		.amdhsa_user_sgpr_kernarg_preload_offset 0
		.amdhsa_user_sgpr_private_segment_size 0
		.amdhsa_uses_dynamic_stack 0
		.amdhsa_system_sgpr_private_segment_wavefront_offset 0
		.amdhsa_system_sgpr_workgroup_id_x 1
		.amdhsa_system_sgpr_workgroup_id_y 0
		.amdhsa_system_sgpr_workgroup_id_z 0
		.amdhsa_system_sgpr_workgroup_info 0
		.amdhsa_system_vgpr_workitem_id 0
		.amdhsa_next_free_vgpr 1
		.amdhsa_next_free_sgpr 0
		.amdhsa_accum_offset 4
		.amdhsa_reserve_vcc 0
		.amdhsa_reserve_flat_scratch 0
		.amdhsa_float_round_mode_32 0
		.amdhsa_float_round_mode_16_64 0
		.amdhsa_float_denorm_mode_32 3
		.amdhsa_float_denorm_mode_16_64 3
		.amdhsa_dx10_clamp 1
		.amdhsa_ieee_mode 1
		.amdhsa_fp16_overflow 0
		.amdhsa_tg_split 0
		.amdhsa_exception_fp_ieee_invalid_op 0
		.amdhsa_exception_fp_denorm_src 0
		.amdhsa_exception_fp_ieee_div_zero 0
		.amdhsa_exception_fp_ieee_overflow 0
		.amdhsa_exception_fp_ieee_underflow 0
		.amdhsa_exception_fp_ieee_inexact 0
		.amdhsa_exception_int_div_zero 0
	.end_amdhsa_kernel
	.section	.text._ZN7rocprim17ROCPRIM_400000_NS6detail17trampoline_kernelINS0_14default_configENS1_27scan_by_key_config_selectorIiiEEZZNS1_16scan_by_key_implILNS1_25lookback_scan_determinismE0ELb1ES3_N6thrust23THRUST_200600_302600_NS6detail15normal_iteratorINS9_10device_ptrIiEEEESE_SE_iNS9_4plusIvEENS9_8equal_toIiEEiEE10hipError_tPvRmT2_T3_T4_T5_mT6_T7_P12ihipStream_tbENKUlT_T0_E_clISt17integral_constantIbLb1EESY_IbLb0EEEEDaSU_SV_EUlSU_E_NS1_11comp_targetILNS1_3genE8ELNS1_11target_archE1030ELNS1_3gpuE2ELNS1_3repE0EEENS1_30default_config_static_selectorELNS0_4arch9wavefront6targetE1EEEvT1_,"axG",@progbits,_ZN7rocprim17ROCPRIM_400000_NS6detail17trampoline_kernelINS0_14default_configENS1_27scan_by_key_config_selectorIiiEEZZNS1_16scan_by_key_implILNS1_25lookback_scan_determinismE0ELb1ES3_N6thrust23THRUST_200600_302600_NS6detail15normal_iteratorINS9_10device_ptrIiEEEESE_SE_iNS9_4plusIvEENS9_8equal_toIiEEiEE10hipError_tPvRmT2_T3_T4_T5_mT6_T7_P12ihipStream_tbENKUlT_T0_E_clISt17integral_constantIbLb1EESY_IbLb0EEEEDaSU_SV_EUlSU_E_NS1_11comp_targetILNS1_3genE8ELNS1_11target_archE1030ELNS1_3gpuE2ELNS1_3repE0EEENS1_30default_config_static_selectorELNS0_4arch9wavefront6targetE1EEEvT1_,comdat
.Lfunc_end559:
	.size	_ZN7rocprim17ROCPRIM_400000_NS6detail17trampoline_kernelINS0_14default_configENS1_27scan_by_key_config_selectorIiiEEZZNS1_16scan_by_key_implILNS1_25lookback_scan_determinismE0ELb1ES3_N6thrust23THRUST_200600_302600_NS6detail15normal_iteratorINS9_10device_ptrIiEEEESE_SE_iNS9_4plusIvEENS9_8equal_toIiEEiEE10hipError_tPvRmT2_T3_T4_T5_mT6_T7_P12ihipStream_tbENKUlT_T0_E_clISt17integral_constantIbLb1EESY_IbLb0EEEEDaSU_SV_EUlSU_E_NS1_11comp_targetILNS1_3genE8ELNS1_11target_archE1030ELNS1_3gpuE2ELNS1_3repE0EEENS1_30default_config_static_selectorELNS0_4arch9wavefront6targetE1EEEvT1_, .Lfunc_end559-_ZN7rocprim17ROCPRIM_400000_NS6detail17trampoline_kernelINS0_14default_configENS1_27scan_by_key_config_selectorIiiEEZZNS1_16scan_by_key_implILNS1_25lookback_scan_determinismE0ELb1ES3_N6thrust23THRUST_200600_302600_NS6detail15normal_iteratorINS9_10device_ptrIiEEEESE_SE_iNS9_4plusIvEENS9_8equal_toIiEEiEE10hipError_tPvRmT2_T3_T4_T5_mT6_T7_P12ihipStream_tbENKUlT_T0_E_clISt17integral_constantIbLb1EESY_IbLb0EEEEDaSU_SV_EUlSU_E_NS1_11comp_targetILNS1_3genE8ELNS1_11target_archE1030ELNS1_3gpuE2ELNS1_3repE0EEENS1_30default_config_static_selectorELNS0_4arch9wavefront6targetE1EEEvT1_
                                        ; -- End function
	.section	.AMDGPU.csdata,"",@progbits
; Kernel info:
; codeLenInByte = 0
; NumSgprs: 4
; NumVgprs: 0
; NumAgprs: 0
; TotalNumVgprs: 0
; ScratchSize: 0
; MemoryBound: 0
; FloatMode: 240
; IeeeMode: 1
; LDSByteSize: 0 bytes/workgroup (compile time only)
; SGPRBlocks: 0
; VGPRBlocks: 0
; NumSGPRsForWavesPerEU: 4
; NumVGPRsForWavesPerEU: 1
; AccumOffset: 4
; Occupancy: 8
; WaveLimiterHint : 0
; COMPUTE_PGM_RSRC2:SCRATCH_EN: 0
; COMPUTE_PGM_RSRC2:USER_SGPR: 6
; COMPUTE_PGM_RSRC2:TRAP_HANDLER: 0
; COMPUTE_PGM_RSRC2:TGID_X_EN: 1
; COMPUTE_PGM_RSRC2:TGID_Y_EN: 0
; COMPUTE_PGM_RSRC2:TGID_Z_EN: 0
; COMPUTE_PGM_RSRC2:TIDIG_COMP_CNT: 0
; COMPUTE_PGM_RSRC3_GFX90A:ACCUM_OFFSET: 0
; COMPUTE_PGM_RSRC3_GFX90A:TG_SPLIT: 0
	.section	.text._ZN7rocprim17ROCPRIM_400000_NS6detail17trampoline_kernelINS0_14default_configENS1_27scan_by_key_config_selectorIiiEEZZNS1_16scan_by_key_implILNS1_25lookback_scan_determinismE0ELb1ES3_N6thrust23THRUST_200600_302600_NS6detail15normal_iteratorINS9_10device_ptrIiEEEESE_SE_iNS9_4plusIvEENS9_8equal_toIiEEiEE10hipError_tPvRmT2_T3_T4_T5_mT6_T7_P12ihipStream_tbENKUlT_T0_E_clISt17integral_constantIbLb0EESY_IbLb1EEEEDaSU_SV_EUlSU_E_NS1_11comp_targetILNS1_3genE0ELNS1_11target_archE4294967295ELNS1_3gpuE0ELNS1_3repE0EEENS1_30default_config_static_selectorELNS0_4arch9wavefront6targetE1EEEvT1_,"axG",@progbits,_ZN7rocprim17ROCPRIM_400000_NS6detail17trampoline_kernelINS0_14default_configENS1_27scan_by_key_config_selectorIiiEEZZNS1_16scan_by_key_implILNS1_25lookback_scan_determinismE0ELb1ES3_N6thrust23THRUST_200600_302600_NS6detail15normal_iteratorINS9_10device_ptrIiEEEESE_SE_iNS9_4plusIvEENS9_8equal_toIiEEiEE10hipError_tPvRmT2_T3_T4_T5_mT6_T7_P12ihipStream_tbENKUlT_T0_E_clISt17integral_constantIbLb0EESY_IbLb1EEEEDaSU_SV_EUlSU_E_NS1_11comp_targetILNS1_3genE0ELNS1_11target_archE4294967295ELNS1_3gpuE0ELNS1_3repE0EEENS1_30default_config_static_selectorELNS0_4arch9wavefront6targetE1EEEvT1_,comdat
	.protected	_ZN7rocprim17ROCPRIM_400000_NS6detail17trampoline_kernelINS0_14default_configENS1_27scan_by_key_config_selectorIiiEEZZNS1_16scan_by_key_implILNS1_25lookback_scan_determinismE0ELb1ES3_N6thrust23THRUST_200600_302600_NS6detail15normal_iteratorINS9_10device_ptrIiEEEESE_SE_iNS9_4plusIvEENS9_8equal_toIiEEiEE10hipError_tPvRmT2_T3_T4_T5_mT6_T7_P12ihipStream_tbENKUlT_T0_E_clISt17integral_constantIbLb0EESY_IbLb1EEEEDaSU_SV_EUlSU_E_NS1_11comp_targetILNS1_3genE0ELNS1_11target_archE4294967295ELNS1_3gpuE0ELNS1_3repE0EEENS1_30default_config_static_selectorELNS0_4arch9wavefront6targetE1EEEvT1_ ; -- Begin function _ZN7rocprim17ROCPRIM_400000_NS6detail17trampoline_kernelINS0_14default_configENS1_27scan_by_key_config_selectorIiiEEZZNS1_16scan_by_key_implILNS1_25lookback_scan_determinismE0ELb1ES3_N6thrust23THRUST_200600_302600_NS6detail15normal_iteratorINS9_10device_ptrIiEEEESE_SE_iNS9_4plusIvEENS9_8equal_toIiEEiEE10hipError_tPvRmT2_T3_T4_T5_mT6_T7_P12ihipStream_tbENKUlT_T0_E_clISt17integral_constantIbLb0EESY_IbLb1EEEEDaSU_SV_EUlSU_E_NS1_11comp_targetILNS1_3genE0ELNS1_11target_archE4294967295ELNS1_3gpuE0ELNS1_3repE0EEENS1_30default_config_static_selectorELNS0_4arch9wavefront6targetE1EEEvT1_
	.globl	_ZN7rocprim17ROCPRIM_400000_NS6detail17trampoline_kernelINS0_14default_configENS1_27scan_by_key_config_selectorIiiEEZZNS1_16scan_by_key_implILNS1_25lookback_scan_determinismE0ELb1ES3_N6thrust23THRUST_200600_302600_NS6detail15normal_iteratorINS9_10device_ptrIiEEEESE_SE_iNS9_4plusIvEENS9_8equal_toIiEEiEE10hipError_tPvRmT2_T3_T4_T5_mT6_T7_P12ihipStream_tbENKUlT_T0_E_clISt17integral_constantIbLb0EESY_IbLb1EEEEDaSU_SV_EUlSU_E_NS1_11comp_targetILNS1_3genE0ELNS1_11target_archE4294967295ELNS1_3gpuE0ELNS1_3repE0EEENS1_30default_config_static_selectorELNS0_4arch9wavefront6targetE1EEEvT1_
	.p2align	8
	.type	_ZN7rocprim17ROCPRIM_400000_NS6detail17trampoline_kernelINS0_14default_configENS1_27scan_by_key_config_selectorIiiEEZZNS1_16scan_by_key_implILNS1_25lookback_scan_determinismE0ELb1ES3_N6thrust23THRUST_200600_302600_NS6detail15normal_iteratorINS9_10device_ptrIiEEEESE_SE_iNS9_4plusIvEENS9_8equal_toIiEEiEE10hipError_tPvRmT2_T3_T4_T5_mT6_T7_P12ihipStream_tbENKUlT_T0_E_clISt17integral_constantIbLb0EESY_IbLb1EEEEDaSU_SV_EUlSU_E_NS1_11comp_targetILNS1_3genE0ELNS1_11target_archE4294967295ELNS1_3gpuE0ELNS1_3repE0EEENS1_30default_config_static_selectorELNS0_4arch9wavefront6targetE1EEEvT1_,@function
_ZN7rocprim17ROCPRIM_400000_NS6detail17trampoline_kernelINS0_14default_configENS1_27scan_by_key_config_selectorIiiEEZZNS1_16scan_by_key_implILNS1_25lookback_scan_determinismE0ELb1ES3_N6thrust23THRUST_200600_302600_NS6detail15normal_iteratorINS9_10device_ptrIiEEEESE_SE_iNS9_4plusIvEENS9_8equal_toIiEEiEE10hipError_tPvRmT2_T3_T4_T5_mT6_T7_P12ihipStream_tbENKUlT_T0_E_clISt17integral_constantIbLb0EESY_IbLb1EEEEDaSU_SV_EUlSU_E_NS1_11comp_targetILNS1_3genE0ELNS1_11target_archE4294967295ELNS1_3gpuE0ELNS1_3repE0EEENS1_30default_config_static_selectorELNS0_4arch9wavefront6targetE1EEEvT1_: ; @_ZN7rocprim17ROCPRIM_400000_NS6detail17trampoline_kernelINS0_14default_configENS1_27scan_by_key_config_selectorIiiEEZZNS1_16scan_by_key_implILNS1_25lookback_scan_determinismE0ELb1ES3_N6thrust23THRUST_200600_302600_NS6detail15normal_iteratorINS9_10device_ptrIiEEEESE_SE_iNS9_4plusIvEENS9_8equal_toIiEEiEE10hipError_tPvRmT2_T3_T4_T5_mT6_T7_P12ihipStream_tbENKUlT_T0_E_clISt17integral_constantIbLb0EESY_IbLb1EEEEDaSU_SV_EUlSU_E_NS1_11comp_targetILNS1_3genE0ELNS1_11target_archE4294967295ELNS1_3gpuE0ELNS1_3repE0EEENS1_30default_config_static_selectorELNS0_4arch9wavefront6targetE1EEEvT1_
; %bb.0:
	.section	.rodata,"a",@progbits
	.p2align	6, 0x0
	.amdhsa_kernel _ZN7rocprim17ROCPRIM_400000_NS6detail17trampoline_kernelINS0_14default_configENS1_27scan_by_key_config_selectorIiiEEZZNS1_16scan_by_key_implILNS1_25lookback_scan_determinismE0ELb1ES3_N6thrust23THRUST_200600_302600_NS6detail15normal_iteratorINS9_10device_ptrIiEEEESE_SE_iNS9_4plusIvEENS9_8equal_toIiEEiEE10hipError_tPvRmT2_T3_T4_T5_mT6_T7_P12ihipStream_tbENKUlT_T0_E_clISt17integral_constantIbLb0EESY_IbLb1EEEEDaSU_SV_EUlSU_E_NS1_11comp_targetILNS1_3genE0ELNS1_11target_archE4294967295ELNS1_3gpuE0ELNS1_3repE0EEENS1_30default_config_static_selectorELNS0_4arch9wavefront6targetE1EEEvT1_
		.amdhsa_group_segment_fixed_size 0
		.amdhsa_private_segment_fixed_size 0
		.amdhsa_kernarg_size 112
		.amdhsa_user_sgpr_count 6
		.amdhsa_user_sgpr_private_segment_buffer 1
		.amdhsa_user_sgpr_dispatch_ptr 0
		.amdhsa_user_sgpr_queue_ptr 0
		.amdhsa_user_sgpr_kernarg_segment_ptr 1
		.amdhsa_user_sgpr_dispatch_id 0
		.amdhsa_user_sgpr_flat_scratch_init 0
		.amdhsa_user_sgpr_kernarg_preload_length 0
		.amdhsa_user_sgpr_kernarg_preload_offset 0
		.amdhsa_user_sgpr_private_segment_size 0
		.amdhsa_uses_dynamic_stack 0
		.amdhsa_system_sgpr_private_segment_wavefront_offset 0
		.amdhsa_system_sgpr_workgroup_id_x 1
		.amdhsa_system_sgpr_workgroup_id_y 0
		.amdhsa_system_sgpr_workgroup_id_z 0
		.amdhsa_system_sgpr_workgroup_info 0
		.amdhsa_system_vgpr_workitem_id 0
		.amdhsa_next_free_vgpr 1
		.amdhsa_next_free_sgpr 0
		.amdhsa_accum_offset 4
		.amdhsa_reserve_vcc 0
		.amdhsa_reserve_flat_scratch 0
		.amdhsa_float_round_mode_32 0
		.amdhsa_float_round_mode_16_64 0
		.amdhsa_float_denorm_mode_32 3
		.amdhsa_float_denorm_mode_16_64 3
		.amdhsa_dx10_clamp 1
		.amdhsa_ieee_mode 1
		.amdhsa_fp16_overflow 0
		.amdhsa_tg_split 0
		.amdhsa_exception_fp_ieee_invalid_op 0
		.amdhsa_exception_fp_denorm_src 0
		.amdhsa_exception_fp_ieee_div_zero 0
		.amdhsa_exception_fp_ieee_overflow 0
		.amdhsa_exception_fp_ieee_underflow 0
		.amdhsa_exception_fp_ieee_inexact 0
		.amdhsa_exception_int_div_zero 0
	.end_amdhsa_kernel
	.section	.text._ZN7rocprim17ROCPRIM_400000_NS6detail17trampoline_kernelINS0_14default_configENS1_27scan_by_key_config_selectorIiiEEZZNS1_16scan_by_key_implILNS1_25lookback_scan_determinismE0ELb1ES3_N6thrust23THRUST_200600_302600_NS6detail15normal_iteratorINS9_10device_ptrIiEEEESE_SE_iNS9_4plusIvEENS9_8equal_toIiEEiEE10hipError_tPvRmT2_T3_T4_T5_mT6_T7_P12ihipStream_tbENKUlT_T0_E_clISt17integral_constantIbLb0EESY_IbLb1EEEEDaSU_SV_EUlSU_E_NS1_11comp_targetILNS1_3genE0ELNS1_11target_archE4294967295ELNS1_3gpuE0ELNS1_3repE0EEENS1_30default_config_static_selectorELNS0_4arch9wavefront6targetE1EEEvT1_,"axG",@progbits,_ZN7rocprim17ROCPRIM_400000_NS6detail17trampoline_kernelINS0_14default_configENS1_27scan_by_key_config_selectorIiiEEZZNS1_16scan_by_key_implILNS1_25lookback_scan_determinismE0ELb1ES3_N6thrust23THRUST_200600_302600_NS6detail15normal_iteratorINS9_10device_ptrIiEEEESE_SE_iNS9_4plusIvEENS9_8equal_toIiEEiEE10hipError_tPvRmT2_T3_T4_T5_mT6_T7_P12ihipStream_tbENKUlT_T0_E_clISt17integral_constantIbLb0EESY_IbLb1EEEEDaSU_SV_EUlSU_E_NS1_11comp_targetILNS1_3genE0ELNS1_11target_archE4294967295ELNS1_3gpuE0ELNS1_3repE0EEENS1_30default_config_static_selectorELNS0_4arch9wavefront6targetE1EEEvT1_,comdat
.Lfunc_end560:
	.size	_ZN7rocprim17ROCPRIM_400000_NS6detail17trampoline_kernelINS0_14default_configENS1_27scan_by_key_config_selectorIiiEEZZNS1_16scan_by_key_implILNS1_25lookback_scan_determinismE0ELb1ES3_N6thrust23THRUST_200600_302600_NS6detail15normal_iteratorINS9_10device_ptrIiEEEESE_SE_iNS9_4plusIvEENS9_8equal_toIiEEiEE10hipError_tPvRmT2_T3_T4_T5_mT6_T7_P12ihipStream_tbENKUlT_T0_E_clISt17integral_constantIbLb0EESY_IbLb1EEEEDaSU_SV_EUlSU_E_NS1_11comp_targetILNS1_3genE0ELNS1_11target_archE4294967295ELNS1_3gpuE0ELNS1_3repE0EEENS1_30default_config_static_selectorELNS0_4arch9wavefront6targetE1EEEvT1_, .Lfunc_end560-_ZN7rocprim17ROCPRIM_400000_NS6detail17trampoline_kernelINS0_14default_configENS1_27scan_by_key_config_selectorIiiEEZZNS1_16scan_by_key_implILNS1_25lookback_scan_determinismE0ELb1ES3_N6thrust23THRUST_200600_302600_NS6detail15normal_iteratorINS9_10device_ptrIiEEEESE_SE_iNS9_4plusIvEENS9_8equal_toIiEEiEE10hipError_tPvRmT2_T3_T4_T5_mT6_T7_P12ihipStream_tbENKUlT_T0_E_clISt17integral_constantIbLb0EESY_IbLb1EEEEDaSU_SV_EUlSU_E_NS1_11comp_targetILNS1_3genE0ELNS1_11target_archE4294967295ELNS1_3gpuE0ELNS1_3repE0EEENS1_30default_config_static_selectorELNS0_4arch9wavefront6targetE1EEEvT1_
                                        ; -- End function
	.section	.AMDGPU.csdata,"",@progbits
; Kernel info:
; codeLenInByte = 0
; NumSgprs: 4
; NumVgprs: 0
; NumAgprs: 0
; TotalNumVgprs: 0
; ScratchSize: 0
; MemoryBound: 0
; FloatMode: 240
; IeeeMode: 1
; LDSByteSize: 0 bytes/workgroup (compile time only)
; SGPRBlocks: 0
; VGPRBlocks: 0
; NumSGPRsForWavesPerEU: 4
; NumVGPRsForWavesPerEU: 1
; AccumOffset: 4
; Occupancy: 8
; WaveLimiterHint : 0
; COMPUTE_PGM_RSRC2:SCRATCH_EN: 0
; COMPUTE_PGM_RSRC2:USER_SGPR: 6
; COMPUTE_PGM_RSRC2:TRAP_HANDLER: 0
; COMPUTE_PGM_RSRC2:TGID_X_EN: 1
; COMPUTE_PGM_RSRC2:TGID_Y_EN: 0
; COMPUTE_PGM_RSRC2:TGID_Z_EN: 0
; COMPUTE_PGM_RSRC2:TIDIG_COMP_CNT: 0
; COMPUTE_PGM_RSRC3_GFX90A:ACCUM_OFFSET: 0
; COMPUTE_PGM_RSRC3_GFX90A:TG_SPLIT: 0
	.section	.text._ZN7rocprim17ROCPRIM_400000_NS6detail17trampoline_kernelINS0_14default_configENS1_27scan_by_key_config_selectorIiiEEZZNS1_16scan_by_key_implILNS1_25lookback_scan_determinismE0ELb1ES3_N6thrust23THRUST_200600_302600_NS6detail15normal_iteratorINS9_10device_ptrIiEEEESE_SE_iNS9_4plusIvEENS9_8equal_toIiEEiEE10hipError_tPvRmT2_T3_T4_T5_mT6_T7_P12ihipStream_tbENKUlT_T0_E_clISt17integral_constantIbLb0EESY_IbLb1EEEEDaSU_SV_EUlSU_E_NS1_11comp_targetILNS1_3genE10ELNS1_11target_archE1201ELNS1_3gpuE5ELNS1_3repE0EEENS1_30default_config_static_selectorELNS0_4arch9wavefront6targetE1EEEvT1_,"axG",@progbits,_ZN7rocprim17ROCPRIM_400000_NS6detail17trampoline_kernelINS0_14default_configENS1_27scan_by_key_config_selectorIiiEEZZNS1_16scan_by_key_implILNS1_25lookback_scan_determinismE0ELb1ES3_N6thrust23THRUST_200600_302600_NS6detail15normal_iteratorINS9_10device_ptrIiEEEESE_SE_iNS9_4plusIvEENS9_8equal_toIiEEiEE10hipError_tPvRmT2_T3_T4_T5_mT6_T7_P12ihipStream_tbENKUlT_T0_E_clISt17integral_constantIbLb0EESY_IbLb1EEEEDaSU_SV_EUlSU_E_NS1_11comp_targetILNS1_3genE10ELNS1_11target_archE1201ELNS1_3gpuE5ELNS1_3repE0EEENS1_30default_config_static_selectorELNS0_4arch9wavefront6targetE1EEEvT1_,comdat
	.protected	_ZN7rocprim17ROCPRIM_400000_NS6detail17trampoline_kernelINS0_14default_configENS1_27scan_by_key_config_selectorIiiEEZZNS1_16scan_by_key_implILNS1_25lookback_scan_determinismE0ELb1ES3_N6thrust23THRUST_200600_302600_NS6detail15normal_iteratorINS9_10device_ptrIiEEEESE_SE_iNS9_4plusIvEENS9_8equal_toIiEEiEE10hipError_tPvRmT2_T3_T4_T5_mT6_T7_P12ihipStream_tbENKUlT_T0_E_clISt17integral_constantIbLb0EESY_IbLb1EEEEDaSU_SV_EUlSU_E_NS1_11comp_targetILNS1_3genE10ELNS1_11target_archE1201ELNS1_3gpuE5ELNS1_3repE0EEENS1_30default_config_static_selectorELNS0_4arch9wavefront6targetE1EEEvT1_ ; -- Begin function _ZN7rocprim17ROCPRIM_400000_NS6detail17trampoline_kernelINS0_14default_configENS1_27scan_by_key_config_selectorIiiEEZZNS1_16scan_by_key_implILNS1_25lookback_scan_determinismE0ELb1ES3_N6thrust23THRUST_200600_302600_NS6detail15normal_iteratorINS9_10device_ptrIiEEEESE_SE_iNS9_4plusIvEENS9_8equal_toIiEEiEE10hipError_tPvRmT2_T3_T4_T5_mT6_T7_P12ihipStream_tbENKUlT_T0_E_clISt17integral_constantIbLb0EESY_IbLb1EEEEDaSU_SV_EUlSU_E_NS1_11comp_targetILNS1_3genE10ELNS1_11target_archE1201ELNS1_3gpuE5ELNS1_3repE0EEENS1_30default_config_static_selectorELNS0_4arch9wavefront6targetE1EEEvT1_
	.globl	_ZN7rocprim17ROCPRIM_400000_NS6detail17trampoline_kernelINS0_14default_configENS1_27scan_by_key_config_selectorIiiEEZZNS1_16scan_by_key_implILNS1_25lookback_scan_determinismE0ELb1ES3_N6thrust23THRUST_200600_302600_NS6detail15normal_iteratorINS9_10device_ptrIiEEEESE_SE_iNS9_4plusIvEENS9_8equal_toIiEEiEE10hipError_tPvRmT2_T3_T4_T5_mT6_T7_P12ihipStream_tbENKUlT_T0_E_clISt17integral_constantIbLb0EESY_IbLb1EEEEDaSU_SV_EUlSU_E_NS1_11comp_targetILNS1_3genE10ELNS1_11target_archE1201ELNS1_3gpuE5ELNS1_3repE0EEENS1_30default_config_static_selectorELNS0_4arch9wavefront6targetE1EEEvT1_
	.p2align	8
	.type	_ZN7rocprim17ROCPRIM_400000_NS6detail17trampoline_kernelINS0_14default_configENS1_27scan_by_key_config_selectorIiiEEZZNS1_16scan_by_key_implILNS1_25lookback_scan_determinismE0ELb1ES3_N6thrust23THRUST_200600_302600_NS6detail15normal_iteratorINS9_10device_ptrIiEEEESE_SE_iNS9_4plusIvEENS9_8equal_toIiEEiEE10hipError_tPvRmT2_T3_T4_T5_mT6_T7_P12ihipStream_tbENKUlT_T0_E_clISt17integral_constantIbLb0EESY_IbLb1EEEEDaSU_SV_EUlSU_E_NS1_11comp_targetILNS1_3genE10ELNS1_11target_archE1201ELNS1_3gpuE5ELNS1_3repE0EEENS1_30default_config_static_selectorELNS0_4arch9wavefront6targetE1EEEvT1_,@function
_ZN7rocprim17ROCPRIM_400000_NS6detail17trampoline_kernelINS0_14default_configENS1_27scan_by_key_config_selectorIiiEEZZNS1_16scan_by_key_implILNS1_25lookback_scan_determinismE0ELb1ES3_N6thrust23THRUST_200600_302600_NS6detail15normal_iteratorINS9_10device_ptrIiEEEESE_SE_iNS9_4plusIvEENS9_8equal_toIiEEiEE10hipError_tPvRmT2_T3_T4_T5_mT6_T7_P12ihipStream_tbENKUlT_T0_E_clISt17integral_constantIbLb0EESY_IbLb1EEEEDaSU_SV_EUlSU_E_NS1_11comp_targetILNS1_3genE10ELNS1_11target_archE1201ELNS1_3gpuE5ELNS1_3repE0EEENS1_30default_config_static_selectorELNS0_4arch9wavefront6targetE1EEEvT1_: ; @_ZN7rocprim17ROCPRIM_400000_NS6detail17trampoline_kernelINS0_14default_configENS1_27scan_by_key_config_selectorIiiEEZZNS1_16scan_by_key_implILNS1_25lookback_scan_determinismE0ELb1ES3_N6thrust23THRUST_200600_302600_NS6detail15normal_iteratorINS9_10device_ptrIiEEEESE_SE_iNS9_4plusIvEENS9_8equal_toIiEEiEE10hipError_tPvRmT2_T3_T4_T5_mT6_T7_P12ihipStream_tbENKUlT_T0_E_clISt17integral_constantIbLb0EESY_IbLb1EEEEDaSU_SV_EUlSU_E_NS1_11comp_targetILNS1_3genE10ELNS1_11target_archE1201ELNS1_3gpuE5ELNS1_3repE0EEENS1_30default_config_static_selectorELNS0_4arch9wavefront6targetE1EEEvT1_
; %bb.0:
	.section	.rodata,"a",@progbits
	.p2align	6, 0x0
	.amdhsa_kernel _ZN7rocprim17ROCPRIM_400000_NS6detail17trampoline_kernelINS0_14default_configENS1_27scan_by_key_config_selectorIiiEEZZNS1_16scan_by_key_implILNS1_25lookback_scan_determinismE0ELb1ES3_N6thrust23THRUST_200600_302600_NS6detail15normal_iteratorINS9_10device_ptrIiEEEESE_SE_iNS9_4plusIvEENS9_8equal_toIiEEiEE10hipError_tPvRmT2_T3_T4_T5_mT6_T7_P12ihipStream_tbENKUlT_T0_E_clISt17integral_constantIbLb0EESY_IbLb1EEEEDaSU_SV_EUlSU_E_NS1_11comp_targetILNS1_3genE10ELNS1_11target_archE1201ELNS1_3gpuE5ELNS1_3repE0EEENS1_30default_config_static_selectorELNS0_4arch9wavefront6targetE1EEEvT1_
		.amdhsa_group_segment_fixed_size 0
		.amdhsa_private_segment_fixed_size 0
		.amdhsa_kernarg_size 112
		.amdhsa_user_sgpr_count 6
		.amdhsa_user_sgpr_private_segment_buffer 1
		.amdhsa_user_sgpr_dispatch_ptr 0
		.amdhsa_user_sgpr_queue_ptr 0
		.amdhsa_user_sgpr_kernarg_segment_ptr 1
		.amdhsa_user_sgpr_dispatch_id 0
		.amdhsa_user_sgpr_flat_scratch_init 0
		.amdhsa_user_sgpr_kernarg_preload_length 0
		.amdhsa_user_sgpr_kernarg_preload_offset 0
		.amdhsa_user_sgpr_private_segment_size 0
		.amdhsa_uses_dynamic_stack 0
		.amdhsa_system_sgpr_private_segment_wavefront_offset 0
		.amdhsa_system_sgpr_workgroup_id_x 1
		.amdhsa_system_sgpr_workgroup_id_y 0
		.amdhsa_system_sgpr_workgroup_id_z 0
		.amdhsa_system_sgpr_workgroup_info 0
		.amdhsa_system_vgpr_workitem_id 0
		.amdhsa_next_free_vgpr 1
		.amdhsa_next_free_sgpr 0
		.amdhsa_accum_offset 4
		.amdhsa_reserve_vcc 0
		.amdhsa_reserve_flat_scratch 0
		.amdhsa_float_round_mode_32 0
		.amdhsa_float_round_mode_16_64 0
		.amdhsa_float_denorm_mode_32 3
		.amdhsa_float_denorm_mode_16_64 3
		.amdhsa_dx10_clamp 1
		.amdhsa_ieee_mode 1
		.amdhsa_fp16_overflow 0
		.amdhsa_tg_split 0
		.amdhsa_exception_fp_ieee_invalid_op 0
		.amdhsa_exception_fp_denorm_src 0
		.amdhsa_exception_fp_ieee_div_zero 0
		.amdhsa_exception_fp_ieee_overflow 0
		.amdhsa_exception_fp_ieee_underflow 0
		.amdhsa_exception_fp_ieee_inexact 0
		.amdhsa_exception_int_div_zero 0
	.end_amdhsa_kernel
	.section	.text._ZN7rocprim17ROCPRIM_400000_NS6detail17trampoline_kernelINS0_14default_configENS1_27scan_by_key_config_selectorIiiEEZZNS1_16scan_by_key_implILNS1_25lookback_scan_determinismE0ELb1ES3_N6thrust23THRUST_200600_302600_NS6detail15normal_iteratorINS9_10device_ptrIiEEEESE_SE_iNS9_4plusIvEENS9_8equal_toIiEEiEE10hipError_tPvRmT2_T3_T4_T5_mT6_T7_P12ihipStream_tbENKUlT_T0_E_clISt17integral_constantIbLb0EESY_IbLb1EEEEDaSU_SV_EUlSU_E_NS1_11comp_targetILNS1_3genE10ELNS1_11target_archE1201ELNS1_3gpuE5ELNS1_3repE0EEENS1_30default_config_static_selectorELNS0_4arch9wavefront6targetE1EEEvT1_,"axG",@progbits,_ZN7rocprim17ROCPRIM_400000_NS6detail17trampoline_kernelINS0_14default_configENS1_27scan_by_key_config_selectorIiiEEZZNS1_16scan_by_key_implILNS1_25lookback_scan_determinismE0ELb1ES3_N6thrust23THRUST_200600_302600_NS6detail15normal_iteratorINS9_10device_ptrIiEEEESE_SE_iNS9_4plusIvEENS9_8equal_toIiEEiEE10hipError_tPvRmT2_T3_T4_T5_mT6_T7_P12ihipStream_tbENKUlT_T0_E_clISt17integral_constantIbLb0EESY_IbLb1EEEEDaSU_SV_EUlSU_E_NS1_11comp_targetILNS1_3genE10ELNS1_11target_archE1201ELNS1_3gpuE5ELNS1_3repE0EEENS1_30default_config_static_selectorELNS0_4arch9wavefront6targetE1EEEvT1_,comdat
.Lfunc_end561:
	.size	_ZN7rocprim17ROCPRIM_400000_NS6detail17trampoline_kernelINS0_14default_configENS1_27scan_by_key_config_selectorIiiEEZZNS1_16scan_by_key_implILNS1_25lookback_scan_determinismE0ELb1ES3_N6thrust23THRUST_200600_302600_NS6detail15normal_iteratorINS9_10device_ptrIiEEEESE_SE_iNS9_4plusIvEENS9_8equal_toIiEEiEE10hipError_tPvRmT2_T3_T4_T5_mT6_T7_P12ihipStream_tbENKUlT_T0_E_clISt17integral_constantIbLb0EESY_IbLb1EEEEDaSU_SV_EUlSU_E_NS1_11comp_targetILNS1_3genE10ELNS1_11target_archE1201ELNS1_3gpuE5ELNS1_3repE0EEENS1_30default_config_static_selectorELNS0_4arch9wavefront6targetE1EEEvT1_, .Lfunc_end561-_ZN7rocprim17ROCPRIM_400000_NS6detail17trampoline_kernelINS0_14default_configENS1_27scan_by_key_config_selectorIiiEEZZNS1_16scan_by_key_implILNS1_25lookback_scan_determinismE0ELb1ES3_N6thrust23THRUST_200600_302600_NS6detail15normal_iteratorINS9_10device_ptrIiEEEESE_SE_iNS9_4plusIvEENS9_8equal_toIiEEiEE10hipError_tPvRmT2_T3_T4_T5_mT6_T7_P12ihipStream_tbENKUlT_T0_E_clISt17integral_constantIbLb0EESY_IbLb1EEEEDaSU_SV_EUlSU_E_NS1_11comp_targetILNS1_3genE10ELNS1_11target_archE1201ELNS1_3gpuE5ELNS1_3repE0EEENS1_30default_config_static_selectorELNS0_4arch9wavefront6targetE1EEEvT1_
                                        ; -- End function
	.section	.AMDGPU.csdata,"",@progbits
; Kernel info:
; codeLenInByte = 0
; NumSgprs: 4
; NumVgprs: 0
; NumAgprs: 0
; TotalNumVgprs: 0
; ScratchSize: 0
; MemoryBound: 0
; FloatMode: 240
; IeeeMode: 1
; LDSByteSize: 0 bytes/workgroup (compile time only)
; SGPRBlocks: 0
; VGPRBlocks: 0
; NumSGPRsForWavesPerEU: 4
; NumVGPRsForWavesPerEU: 1
; AccumOffset: 4
; Occupancy: 8
; WaveLimiterHint : 0
; COMPUTE_PGM_RSRC2:SCRATCH_EN: 0
; COMPUTE_PGM_RSRC2:USER_SGPR: 6
; COMPUTE_PGM_RSRC2:TRAP_HANDLER: 0
; COMPUTE_PGM_RSRC2:TGID_X_EN: 1
; COMPUTE_PGM_RSRC2:TGID_Y_EN: 0
; COMPUTE_PGM_RSRC2:TGID_Z_EN: 0
; COMPUTE_PGM_RSRC2:TIDIG_COMP_CNT: 0
; COMPUTE_PGM_RSRC3_GFX90A:ACCUM_OFFSET: 0
; COMPUTE_PGM_RSRC3_GFX90A:TG_SPLIT: 0
	.section	.text._ZN7rocprim17ROCPRIM_400000_NS6detail17trampoline_kernelINS0_14default_configENS1_27scan_by_key_config_selectorIiiEEZZNS1_16scan_by_key_implILNS1_25lookback_scan_determinismE0ELb1ES3_N6thrust23THRUST_200600_302600_NS6detail15normal_iteratorINS9_10device_ptrIiEEEESE_SE_iNS9_4plusIvEENS9_8equal_toIiEEiEE10hipError_tPvRmT2_T3_T4_T5_mT6_T7_P12ihipStream_tbENKUlT_T0_E_clISt17integral_constantIbLb0EESY_IbLb1EEEEDaSU_SV_EUlSU_E_NS1_11comp_targetILNS1_3genE5ELNS1_11target_archE942ELNS1_3gpuE9ELNS1_3repE0EEENS1_30default_config_static_selectorELNS0_4arch9wavefront6targetE1EEEvT1_,"axG",@progbits,_ZN7rocprim17ROCPRIM_400000_NS6detail17trampoline_kernelINS0_14default_configENS1_27scan_by_key_config_selectorIiiEEZZNS1_16scan_by_key_implILNS1_25lookback_scan_determinismE0ELb1ES3_N6thrust23THRUST_200600_302600_NS6detail15normal_iteratorINS9_10device_ptrIiEEEESE_SE_iNS9_4plusIvEENS9_8equal_toIiEEiEE10hipError_tPvRmT2_T3_T4_T5_mT6_T7_P12ihipStream_tbENKUlT_T0_E_clISt17integral_constantIbLb0EESY_IbLb1EEEEDaSU_SV_EUlSU_E_NS1_11comp_targetILNS1_3genE5ELNS1_11target_archE942ELNS1_3gpuE9ELNS1_3repE0EEENS1_30default_config_static_selectorELNS0_4arch9wavefront6targetE1EEEvT1_,comdat
	.protected	_ZN7rocprim17ROCPRIM_400000_NS6detail17trampoline_kernelINS0_14default_configENS1_27scan_by_key_config_selectorIiiEEZZNS1_16scan_by_key_implILNS1_25lookback_scan_determinismE0ELb1ES3_N6thrust23THRUST_200600_302600_NS6detail15normal_iteratorINS9_10device_ptrIiEEEESE_SE_iNS9_4plusIvEENS9_8equal_toIiEEiEE10hipError_tPvRmT2_T3_T4_T5_mT6_T7_P12ihipStream_tbENKUlT_T0_E_clISt17integral_constantIbLb0EESY_IbLb1EEEEDaSU_SV_EUlSU_E_NS1_11comp_targetILNS1_3genE5ELNS1_11target_archE942ELNS1_3gpuE9ELNS1_3repE0EEENS1_30default_config_static_selectorELNS0_4arch9wavefront6targetE1EEEvT1_ ; -- Begin function _ZN7rocprim17ROCPRIM_400000_NS6detail17trampoline_kernelINS0_14default_configENS1_27scan_by_key_config_selectorIiiEEZZNS1_16scan_by_key_implILNS1_25lookback_scan_determinismE0ELb1ES3_N6thrust23THRUST_200600_302600_NS6detail15normal_iteratorINS9_10device_ptrIiEEEESE_SE_iNS9_4plusIvEENS9_8equal_toIiEEiEE10hipError_tPvRmT2_T3_T4_T5_mT6_T7_P12ihipStream_tbENKUlT_T0_E_clISt17integral_constantIbLb0EESY_IbLb1EEEEDaSU_SV_EUlSU_E_NS1_11comp_targetILNS1_3genE5ELNS1_11target_archE942ELNS1_3gpuE9ELNS1_3repE0EEENS1_30default_config_static_selectorELNS0_4arch9wavefront6targetE1EEEvT1_
	.globl	_ZN7rocprim17ROCPRIM_400000_NS6detail17trampoline_kernelINS0_14default_configENS1_27scan_by_key_config_selectorIiiEEZZNS1_16scan_by_key_implILNS1_25lookback_scan_determinismE0ELb1ES3_N6thrust23THRUST_200600_302600_NS6detail15normal_iteratorINS9_10device_ptrIiEEEESE_SE_iNS9_4plusIvEENS9_8equal_toIiEEiEE10hipError_tPvRmT2_T3_T4_T5_mT6_T7_P12ihipStream_tbENKUlT_T0_E_clISt17integral_constantIbLb0EESY_IbLb1EEEEDaSU_SV_EUlSU_E_NS1_11comp_targetILNS1_3genE5ELNS1_11target_archE942ELNS1_3gpuE9ELNS1_3repE0EEENS1_30default_config_static_selectorELNS0_4arch9wavefront6targetE1EEEvT1_
	.p2align	8
	.type	_ZN7rocprim17ROCPRIM_400000_NS6detail17trampoline_kernelINS0_14default_configENS1_27scan_by_key_config_selectorIiiEEZZNS1_16scan_by_key_implILNS1_25lookback_scan_determinismE0ELb1ES3_N6thrust23THRUST_200600_302600_NS6detail15normal_iteratorINS9_10device_ptrIiEEEESE_SE_iNS9_4plusIvEENS9_8equal_toIiEEiEE10hipError_tPvRmT2_T3_T4_T5_mT6_T7_P12ihipStream_tbENKUlT_T0_E_clISt17integral_constantIbLb0EESY_IbLb1EEEEDaSU_SV_EUlSU_E_NS1_11comp_targetILNS1_3genE5ELNS1_11target_archE942ELNS1_3gpuE9ELNS1_3repE0EEENS1_30default_config_static_selectorELNS0_4arch9wavefront6targetE1EEEvT1_,@function
_ZN7rocprim17ROCPRIM_400000_NS6detail17trampoline_kernelINS0_14default_configENS1_27scan_by_key_config_selectorIiiEEZZNS1_16scan_by_key_implILNS1_25lookback_scan_determinismE0ELb1ES3_N6thrust23THRUST_200600_302600_NS6detail15normal_iteratorINS9_10device_ptrIiEEEESE_SE_iNS9_4plusIvEENS9_8equal_toIiEEiEE10hipError_tPvRmT2_T3_T4_T5_mT6_T7_P12ihipStream_tbENKUlT_T0_E_clISt17integral_constantIbLb0EESY_IbLb1EEEEDaSU_SV_EUlSU_E_NS1_11comp_targetILNS1_3genE5ELNS1_11target_archE942ELNS1_3gpuE9ELNS1_3repE0EEENS1_30default_config_static_selectorELNS0_4arch9wavefront6targetE1EEEvT1_: ; @_ZN7rocprim17ROCPRIM_400000_NS6detail17trampoline_kernelINS0_14default_configENS1_27scan_by_key_config_selectorIiiEEZZNS1_16scan_by_key_implILNS1_25lookback_scan_determinismE0ELb1ES3_N6thrust23THRUST_200600_302600_NS6detail15normal_iteratorINS9_10device_ptrIiEEEESE_SE_iNS9_4plusIvEENS9_8equal_toIiEEiEE10hipError_tPvRmT2_T3_T4_T5_mT6_T7_P12ihipStream_tbENKUlT_T0_E_clISt17integral_constantIbLb0EESY_IbLb1EEEEDaSU_SV_EUlSU_E_NS1_11comp_targetILNS1_3genE5ELNS1_11target_archE942ELNS1_3gpuE9ELNS1_3repE0EEENS1_30default_config_static_selectorELNS0_4arch9wavefront6targetE1EEEvT1_
; %bb.0:
	.section	.rodata,"a",@progbits
	.p2align	6, 0x0
	.amdhsa_kernel _ZN7rocprim17ROCPRIM_400000_NS6detail17trampoline_kernelINS0_14default_configENS1_27scan_by_key_config_selectorIiiEEZZNS1_16scan_by_key_implILNS1_25lookback_scan_determinismE0ELb1ES3_N6thrust23THRUST_200600_302600_NS6detail15normal_iteratorINS9_10device_ptrIiEEEESE_SE_iNS9_4plusIvEENS9_8equal_toIiEEiEE10hipError_tPvRmT2_T3_T4_T5_mT6_T7_P12ihipStream_tbENKUlT_T0_E_clISt17integral_constantIbLb0EESY_IbLb1EEEEDaSU_SV_EUlSU_E_NS1_11comp_targetILNS1_3genE5ELNS1_11target_archE942ELNS1_3gpuE9ELNS1_3repE0EEENS1_30default_config_static_selectorELNS0_4arch9wavefront6targetE1EEEvT1_
		.amdhsa_group_segment_fixed_size 0
		.amdhsa_private_segment_fixed_size 0
		.amdhsa_kernarg_size 112
		.amdhsa_user_sgpr_count 6
		.amdhsa_user_sgpr_private_segment_buffer 1
		.amdhsa_user_sgpr_dispatch_ptr 0
		.amdhsa_user_sgpr_queue_ptr 0
		.amdhsa_user_sgpr_kernarg_segment_ptr 1
		.amdhsa_user_sgpr_dispatch_id 0
		.amdhsa_user_sgpr_flat_scratch_init 0
		.amdhsa_user_sgpr_kernarg_preload_length 0
		.amdhsa_user_sgpr_kernarg_preload_offset 0
		.amdhsa_user_sgpr_private_segment_size 0
		.amdhsa_uses_dynamic_stack 0
		.amdhsa_system_sgpr_private_segment_wavefront_offset 0
		.amdhsa_system_sgpr_workgroup_id_x 1
		.amdhsa_system_sgpr_workgroup_id_y 0
		.amdhsa_system_sgpr_workgroup_id_z 0
		.amdhsa_system_sgpr_workgroup_info 0
		.amdhsa_system_vgpr_workitem_id 0
		.amdhsa_next_free_vgpr 1
		.amdhsa_next_free_sgpr 0
		.amdhsa_accum_offset 4
		.amdhsa_reserve_vcc 0
		.amdhsa_reserve_flat_scratch 0
		.amdhsa_float_round_mode_32 0
		.amdhsa_float_round_mode_16_64 0
		.amdhsa_float_denorm_mode_32 3
		.amdhsa_float_denorm_mode_16_64 3
		.amdhsa_dx10_clamp 1
		.amdhsa_ieee_mode 1
		.amdhsa_fp16_overflow 0
		.amdhsa_tg_split 0
		.amdhsa_exception_fp_ieee_invalid_op 0
		.amdhsa_exception_fp_denorm_src 0
		.amdhsa_exception_fp_ieee_div_zero 0
		.amdhsa_exception_fp_ieee_overflow 0
		.amdhsa_exception_fp_ieee_underflow 0
		.amdhsa_exception_fp_ieee_inexact 0
		.amdhsa_exception_int_div_zero 0
	.end_amdhsa_kernel
	.section	.text._ZN7rocprim17ROCPRIM_400000_NS6detail17trampoline_kernelINS0_14default_configENS1_27scan_by_key_config_selectorIiiEEZZNS1_16scan_by_key_implILNS1_25lookback_scan_determinismE0ELb1ES3_N6thrust23THRUST_200600_302600_NS6detail15normal_iteratorINS9_10device_ptrIiEEEESE_SE_iNS9_4plusIvEENS9_8equal_toIiEEiEE10hipError_tPvRmT2_T3_T4_T5_mT6_T7_P12ihipStream_tbENKUlT_T0_E_clISt17integral_constantIbLb0EESY_IbLb1EEEEDaSU_SV_EUlSU_E_NS1_11comp_targetILNS1_3genE5ELNS1_11target_archE942ELNS1_3gpuE9ELNS1_3repE0EEENS1_30default_config_static_selectorELNS0_4arch9wavefront6targetE1EEEvT1_,"axG",@progbits,_ZN7rocprim17ROCPRIM_400000_NS6detail17trampoline_kernelINS0_14default_configENS1_27scan_by_key_config_selectorIiiEEZZNS1_16scan_by_key_implILNS1_25lookback_scan_determinismE0ELb1ES3_N6thrust23THRUST_200600_302600_NS6detail15normal_iteratorINS9_10device_ptrIiEEEESE_SE_iNS9_4plusIvEENS9_8equal_toIiEEiEE10hipError_tPvRmT2_T3_T4_T5_mT6_T7_P12ihipStream_tbENKUlT_T0_E_clISt17integral_constantIbLb0EESY_IbLb1EEEEDaSU_SV_EUlSU_E_NS1_11comp_targetILNS1_3genE5ELNS1_11target_archE942ELNS1_3gpuE9ELNS1_3repE0EEENS1_30default_config_static_selectorELNS0_4arch9wavefront6targetE1EEEvT1_,comdat
.Lfunc_end562:
	.size	_ZN7rocprim17ROCPRIM_400000_NS6detail17trampoline_kernelINS0_14default_configENS1_27scan_by_key_config_selectorIiiEEZZNS1_16scan_by_key_implILNS1_25lookback_scan_determinismE0ELb1ES3_N6thrust23THRUST_200600_302600_NS6detail15normal_iteratorINS9_10device_ptrIiEEEESE_SE_iNS9_4plusIvEENS9_8equal_toIiEEiEE10hipError_tPvRmT2_T3_T4_T5_mT6_T7_P12ihipStream_tbENKUlT_T0_E_clISt17integral_constantIbLb0EESY_IbLb1EEEEDaSU_SV_EUlSU_E_NS1_11comp_targetILNS1_3genE5ELNS1_11target_archE942ELNS1_3gpuE9ELNS1_3repE0EEENS1_30default_config_static_selectorELNS0_4arch9wavefront6targetE1EEEvT1_, .Lfunc_end562-_ZN7rocprim17ROCPRIM_400000_NS6detail17trampoline_kernelINS0_14default_configENS1_27scan_by_key_config_selectorIiiEEZZNS1_16scan_by_key_implILNS1_25lookback_scan_determinismE0ELb1ES3_N6thrust23THRUST_200600_302600_NS6detail15normal_iteratorINS9_10device_ptrIiEEEESE_SE_iNS9_4plusIvEENS9_8equal_toIiEEiEE10hipError_tPvRmT2_T3_T4_T5_mT6_T7_P12ihipStream_tbENKUlT_T0_E_clISt17integral_constantIbLb0EESY_IbLb1EEEEDaSU_SV_EUlSU_E_NS1_11comp_targetILNS1_3genE5ELNS1_11target_archE942ELNS1_3gpuE9ELNS1_3repE0EEENS1_30default_config_static_selectorELNS0_4arch9wavefront6targetE1EEEvT1_
                                        ; -- End function
	.section	.AMDGPU.csdata,"",@progbits
; Kernel info:
; codeLenInByte = 0
; NumSgprs: 4
; NumVgprs: 0
; NumAgprs: 0
; TotalNumVgprs: 0
; ScratchSize: 0
; MemoryBound: 0
; FloatMode: 240
; IeeeMode: 1
; LDSByteSize: 0 bytes/workgroup (compile time only)
; SGPRBlocks: 0
; VGPRBlocks: 0
; NumSGPRsForWavesPerEU: 4
; NumVGPRsForWavesPerEU: 1
; AccumOffset: 4
; Occupancy: 8
; WaveLimiterHint : 0
; COMPUTE_PGM_RSRC2:SCRATCH_EN: 0
; COMPUTE_PGM_RSRC2:USER_SGPR: 6
; COMPUTE_PGM_RSRC2:TRAP_HANDLER: 0
; COMPUTE_PGM_RSRC2:TGID_X_EN: 1
; COMPUTE_PGM_RSRC2:TGID_Y_EN: 0
; COMPUTE_PGM_RSRC2:TGID_Z_EN: 0
; COMPUTE_PGM_RSRC2:TIDIG_COMP_CNT: 0
; COMPUTE_PGM_RSRC3_GFX90A:ACCUM_OFFSET: 0
; COMPUTE_PGM_RSRC3_GFX90A:TG_SPLIT: 0
	.section	.text._ZN7rocprim17ROCPRIM_400000_NS6detail17trampoline_kernelINS0_14default_configENS1_27scan_by_key_config_selectorIiiEEZZNS1_16scan_by_key_implILNS1_25lookback_scan_determinismE0ELb1ES3_N6thrust23THRUST_200600_302600_NS6detail15normal_iteratorINS9_10device_ptrIiEEEESE_SE_iNS9_4plusIvEENS9_8equal_toIiEEiEE10hipError_tPvRmT2_T3_T4_T5_mT6_T7_P12ihipStream_tbENKUlT_T0_E_clISt17integral_constantIbLb0EESY_IbLb1EEEEDaSU_SV_EUlSU_E_NS1_11comp_targetILNS1_3genE4ELNS1_11target_archE910ELNS1_3gpuE8ELNS1_3repE0EEENS1_30default_config_static_selectorELNS0_4arch9wavefront6targetE1EEEvT1_,"axG",@progbits,_ZN7rocprim17ROCPRIM_400000_NS6detail17trampoline_kernelINS0_14default_configENS1_27scan_by_key_config_selectorIiiEEZZNS1_16scan_by_key_implILNS1_25lookback_scan_determinismE0ELb1ES3_N6thrust23THRUST_200600_302600_NS6detail15normal_iteratorINS9_10device_ptrIiEEEESE_SE_iNS9_4plusIvEENS9_8equal_toIiEEiEE10hipError_tPvRmT2_T3_T4_T5_mT6_T7_P12ihipStream_tbENKUlT_T0_E_clISt17integral_constantIbLb0EESY_IbLb1EEEEDaSU_SV_EUlSU_E_NS1_11comp_targetILNS1_3genE4ELNS1_11target_archE910ELNS1_3gpuE8ELNS1_3repE0EEENS1_30default_config_static_selectorELNS0_4arch9wavefront6targetE1EEEvT1_,comdat
	.protected	_ZN7rocprim17ROCPRIM_400000_NS6detail17trampoline_kernelINS0_14default_configENS1_27scan_by_key_config_selectorIiiEEZZNS1_16scan_by_key_implILNS1_25lookback_scan_determinismE0ELb1ES3_N6thrust23THRUST_200600_302600_NS6detail15normal_iteratorINS9_10device_ptrIiEEEESE_SE_iNS9_4plusIvEENS9_8equal_toIiEEiEE10hipError_tPvRmT2_T3_T4_T5_mT6_T7_P12ihipStream_tbENKUlT_T0_E_clISt17integral_constantIbLb0EESY_IbLb1EEEEDaSU_SV_EUlSU_E_NS1_11comp_targetILNS1_3genE4ELNS1_11target_archE910ELNS1_3gpuE8ELNS1_3repE0EEENS1_30default_config_static_selectorELNS0_4arch9wavefront6targetE1EEEvT1_ ; -- Begin function _ZN7rocprim17ROCPRIM_400000_NS6detail17trampoline_kernelINS0_14default_configENS1_27scan_by_key_config_selectorIiiEEZZNS1_16scan_by_key_implILNS1_25lookback_scan_determinismE0ELb1ES3_N6thrust23THRUST_200600_302600_NS6detail15normal_iteratorINS9_10device_ptrIiEEEESE_SE_iNS9_4plusIvEENS9_8equal_toIiEEiEE10hipError_tPvRmT2_T3_T4_T5_mT6_T7_P12ihipStream_tbENKUlT_T0_E_clISt17integral_constantIbLb0EESY_IbLb1EEEEDaSU_SV_EUlSU_E_NS1_11comp_targetILNS1_3genE4ELNS1_11target_archE910ELNS1_3gpuE8ELNS1_3repE0EEENS1_30default_config_static_selectorELNS0_4arch9wavefront6targetE1EEEvT1_
	.globl	_ZN7rocprim17ROCPRIM_400000_NS6detail17trampoline_kernelINS0_14default_configENS1_27scan_by_key_config_selectorIiiEEZZNS1_16scan_by_key_implILNS1_25lookback_scan_determinismE0ELb1ES3_N6thrust23THRUST_200600_302600_NS6detail15normal_iteratorINS9_10device_ptrIiEEEESE_SE_iNS9_4plusIvEENS9_8equal_toIiEEiEE10hipError_tPvRmT2_T3_T4_T5_mT6_T7_P12ihipStream_tbENKUlT_T0_E_clISt17integral_constantIbLb0EESY_IbLb1EEEEDaSU_SV_EUlSU_E_NS1_11comp_targetILNS1_3genE4ELNS1_11target_archE910ELNS1_3gpuE8ELNS1_3repE0EEENS1_30default_config_static_selectorELNS0_4arch9wavefront6targetE1EEEvT1_
	.p2align	8
	.type	_ZN7rocprim17ROCPRIM_400000_NS6detail17trampoline_kernelINS0_14default_configENS1_27scan_by_key_config_selectorIiiEEZZNS1_16scan_by_key_implILNS1_25lookback_scan_determinismE0ELb1ES3_N6thrust23THRUST_200600_302600_NS6detail15normal_iteratorINS9_10device_ptrIiEEEESE_SE_iNS9_4plusIvEENS9_8equal_toIiEEiEE10hipError_tPvRmT2_T3_T4_T5_mT6_T7_P12ihipStream_tbENKUlT_T0_E_clISt17integral_constantIbLb0EESY_IbLb1EEEEDaSU_SV_EUlSU_E_NS1_11comp_targetILNS1_3genE4ELNS1_11target_archE910ELNS1_3gpuE8ELNS1_3repE0EEENS1_30default_config_static_selectorELNS0_4arch9wavefront6targetE1EEEvT1_,@function
_ZN7rocprim17ROCPRIM_400000_NS6detail17trampoline_kernelINS0_14default_configENS1_27scan_by_key_config_selectorIiiEEZZNS1_16scan_by_key_implILNS1_25lookback_scan_determinismE0ELb1ES3_N6thrust23THRUST_200600_302600_NS6detail15normal_iteratorINS9_10device_ptrIiEEEESE_SE_iNS9_4plusIvEENS9_8equal_toIiEEiEE10hipError_tPvRmT2_T3_T4_T5_mT6_T7_P12ihipStream_tbENKUlT_T0_E_clISt17integral_constantIbLb0EESY_IbLb1EEEEDaSU_SV_EUlSU_E_NS1_11comp_targetILNS1_3genE4ELNS1_11target_archE910ELNS1_3gpuE8ELNS1_3repE0EEENS1_30default_config_static_selectorELNS0_4arch9wavefront6targetE1EEEvT1_: ; @_ZN7rocprim17ROCPRIM_400000_NS6detail17trampoline_kernelINS0_14default_configENS1_27scan_by_key_config_selectorIiiEEZZNS1_16scan_by_key_implILNS1_25lookback_scan_determinismE0ELb1ES3_N6thrust23THRUST_200600_302600_NS6detail15normal_iteratorINS9_10device_ptrIiEEEESE_SE_iNS9_4plusIvEENS9_8equal_toIiEEiEE10hipError_tPvRmT2_T3_T4_T5_mT6_T7_P12ihipStream_tbENKUlT_T0_E_clISt17integral_constantIbLb0EESY_IbLb1EEEEDaSU_SV_EUlSU_E_NS1_11comp_targetILNS1_3genE4ELNS1_11target_archE910ELNS1_3gpuE8ELNS1_3repE0EEENS1_30default_config_static_selectorELNS0_4arch9wavefront6targetE1EEEvT1_
; %bb.0:
	s_load_dword s54, s[4:5], 0x20
	s_load_dwordx4 s[44:47], s[4:5], 0x28
	s_load_dwordx2 s[52:53], s[4:5], 0x38
	v_cmp_eq_u32_e64 s[0:1], 0, v0
	s_and_saveexec_b64 s[2:3], s[0:1]
	s_cbranch_execz .LBB563_4
; %bb.1:
	s_mov_b64 s[8:9], exec
	v_mbcnt_lo_u32_b32 v1, s8, 0
	v_mbcnt_hi_u32_b32 v1, s9, v1
	v_cmp_eq_u32_e32 vcc, 0, v1
                                        ; implicit-def: $vgpr2
	s_and_saveexec_b64 s[6:7], vcc
	s_cbranch_execz .LBB563_3
; %bb.2:
	s_load_dwordx2 s[10:11], s[4:5], 0x68
	s_bcnt1_i32_b64 s8, s[8:9]
	v_mov_b32_e32 v2, 0
	v_mov_b32_e32 v3, s8
	s_waitcnt lgkmcnt(0)
	global_atomic_add v2, v2, v3, s[10:11] glc
.LBB563_3:
	s_or_b64 exec, exec, s[6:7]
	s_waitcnt vmcnt(0)
	v_readfirstlane_b32 s6, v2
	v_add_u32_e32 v1, s6, v1
	v_mov_b32_e32 v2, 0
	ds_write_b32 v2, v1
.LBB563_4:
	s_or_b64 exec, exec, s[2:3]
	s_load_dwordx8 s[36:43], s[4:5], 0x0
	s_load_dword s2, s[4:5], 0x40
	s_load_dwordx4 s[48:51], s[4:5], 0x48
	v_mov_b32_e32 v3, 0
	s_waitcnt lgkmcnt(0)
	s_lshl_b64 s[34:35], s[38:39], 2
	s_barrier
	ds_read_b32 v4, v3
	s_add_u32 s3, s36, s34
	s_addc_u32 s4, s37, s35
	s_add_u32 s5, s40, s34
	s_mul_i32 s7, s53, s2
	s_mul_hi_u32 s8, s52, s2
	s_addc_u32 s6, s41, s35
	s_add_i32 s7, s8, s7
	s_movk_i32 s8, 0xe00
	s_waitcnt lgkmcnt(0)
	v_mul_lo_u32 v2, v4, s8
	v_lshlrev_b64 v[38:39], 2, v[2:3]
	v_mov_b32_e32 v1, s4
	v_add_co_u32_e32 v42, vcc, s3, v38
	v_addc_co_u32_e32 v43, vcc, v1, v39, vcc
	v_mov_b32_e32 v2, s6
	v_add_co_u32_e32 v1, vcc, s5, v38
	s_mul_i32 s2, s52, s2
	v_addc_co_u32_e32 v48, vcc, v2, v39, vcc
	v_mov_b32_e32 v3, s7
	v_add_co_u32_e32 v2, vcc, s2, v4
	s_add_u32 s4, s48, -1
	v_addc_co_u32_e32 v3, vcc, 0, v3, vcc
	s_addc_u32 s5, s49, -1
	v_cmp_le_u64_e64 s[2:3], s[4:5], v[2:3]
	v_readfirstlane_b32 s47, v4
	s_mov_b64 s[12:13], -1
	s_and_b64 vcc, exec, s[2:3]
	s_mul_i32 s33, s4, 0xfffff200
	s_barrier
	s_barrier
	s_cbranch_vccz .LBB563_80
; %bb.5:
	flat_load_dword v13, v[42:43]
	s_add_i32 s40, s33, s46
	v_cmp_gt_u32_e32 vcc, s40, v0
	s_waitcnt vmcnt(0) lgkmcnt(0)
	v_mov_b32_e32 v14, v13
	s_and_saveexec_b64 s[6:7], vcc
	s_cbranch_execz .LBB563_7
; %bb.6:
	v_lshlrev_b32_e32 v2, 2, v0
	v_add_co_u32_e64 v2, s[4:5], v42, v2
	v_addc_co_u32_e64 v3, s[4:5], 0, v43, s[4:5]
	flat_load_dword v14, v[2:3]
.LBB563_7:
	s_or_b64 exec, exec, s[6:7]
	v_or_b32_e32 v2, 0x100, v0
	v_cmp_gt_u32_e64 s[4:5], s40, v2
	v_mov_b32_e32 v15, v13
	s_and_saveexec_b64 s[8:9], s[4:5]
	s_cbranch_execz .LBB563_9
; %bb.8:
	v_lshlrev_b32_e32 v2, 2, v0
	v_add_co_u32_e64 v2, s[6:7], v42, v2
	v_addc_co_u32_e64 v3, s[6:7], 0, v43, s[6:7]
	flat_load_dword v15, v[2:3] offset:1024
.LBB563_9:
	s_or_b64 exec, exec, s[8:9]
	v_or_b32_e32 v2, 0x200, v0
	v_cmp_gt_u32_e64 s[6:7], s40, v2
	v_mov_b32_e32 v16, v13
	s_and_saveexec_b64 s[10:11], s[6:7]
	s_cbranch_execz .LBB563_11
; %bb.10:
	v_lshlrev_b32_e32 v2, 2, v0
	v_add_co_u32_e64 v2, s[8:9], v42, v2
	v_addc_co_u32_e64 v3, s[8:9], 0, v43, s[8:9]
	flat_load_dword v16, v[2:3] offset:2048
.LBB563_11:
	;; [unrolled: 12-line block ×3, first 2 shown]
	s_or_b64 exec, exec, s[12:13]
	v_or_b32_e32 v2, 0x400, v0
	v_cmp_gt_u32_e64 s[10:11], s40, v2
	v_lshlrev_b32_e32 v2, 2, v2
	v_mov_b32_e32 v18, v13
	s_and_saveexec_b64 s[14:15], s[10:11]
	s_cbranch_execz .LBB563_15
; %bb.14:
	v_add_co_u32_e64 v4, s[12:13], v42, v2
	v_addc_co_u32_e64 v5, s[12:13], 0, v43, s[12:13]
	flat_load_dword v18, v[4:5]
.LBB563_15:
	s_or_b64 exec, exec, s[14:15]
	v_or_b32_e32 v3, 0x500, v0
	v_cmp_gt_u32_e64 s[12:13], s40, v3
	v_lshlrev_b32_e32 v3, 2, v3
	v_mov_b32_e32 v19, v13
	s_and_saveexec_b64 s[16:17], s[12:13]
	s_cbranch_execz .LBB563_17
; %bb.16:
	v_add_co_u32_e64 v4, s[14:15], v42, v3
	v_addc_co_u32_e64 v5, s[14:15], 0, v43, s[14:15]
	flat_load_dword v19, v[4:5]
.LBB563_17:
	;; [unrolled: 12-line block ×9, first 2 shown]
	s_or_b64 exec, exec, s[30:31]
	v_or_b32_e32 v11, 0xd00, v0
	v_cmp_gt_u32_e64 s[28:29], s40, v11
	v_lshlrev_b32_e32 v11, 2, v11
	s_and_saveexec_b64 s[36:37], s[28:29]
	s_cbranch_execz .LBB563_33
; %bb.32:
	v_add_co_u32_e64 v12, s[30:31], v42, v11
	v_addc_co_u32_e64 v13, s[30:31], 0, v43, s[30:31]
	flat_load_dword v13, v[12:13]
.LBB563_33:
	s_or_b64 exec, exec, s[36:37]
	v_lshlrev_b32_e32 v12, 2, v0
	s_waitcnt vmcnt(0) lgkmcnt(0)
	ds_write2st64_b32 v12, v14, v15 offset1:4
	ds_write2st64_b32 v12, v16, v17 offset0:8 offset1:12
	ds_write2st64_b32 v12, v18, v19 offset0:16 offset1:20
	;; [unrolled: 1-line block ×6, first 2 shown]
	s_waitcnt lgkmcnt(0)
	s_barrier
	flat_load_dword v49, v[42:43]
	v_mad_u32_u24 v50, v0, 52, v12
	s_movk_i32 s30, 0xffcc
	ds_read2_b64 v[34:37], v50 offset1:1
	ds_read2_b64 v[30:33], v50 offset0:2 offset1:3
	ds_read2_b64 v[26:29], v50 offset0:4 offset1:5
	ds_read_b64 v[44:45], v50 offset:48
	v_mad_i32_i24 v13, v0, s30, v50
	s_movk_i32 s30, 0xff
	v_cmp_ne_u32_e64 s[30:31], s30, v0
	s_waitcnt lgkmcnt(0)
	ds_write_b32 v13, v34 offset:15360
	s_waitcnt lgkmcnt(0)
	s_barrier
	s_and_saveexec_b64 s[36:37], s[30:31]
	s_cbranch_execz .LBB563_35
; %bb.34:
	s_waitcnt vmcnt(0)
	ds_read_b32 v49, v12 offset:15364
.LBB563_35:
	s_or_b64 exec, exec, s[36:37]
	s_waitcnt lgkmcnt(0)
	s_barrier
	s_waitcnt lgkmcnt(0)
                                        ; implicit-def: $vgpr13
	s_and_saveexec_b64 s[30:31], vcc
	s_cbranch_execz .LBB563_117
; %bb.36:
	v_add_co_u32_e32 v14, vcc, v1, v12
	v_addc_co_u32_e32 v15, vcc, 0, v48, vcc
	flat_load_dword v13, v[14:15]
	s_or_b64 exec, exec, s[30:31]
                                        ; implicit-def: $vgpr14
	s_and_saveexec_b64 s[30:31], s[4:5]
	s_cbranch_execnz .LBB563_118
.LBB563_37:
	s_or_b64 exec, exec, s[30:31]
                                        ; implicit-def: $vgpr15
	s_and_saveexec_b64 s[4:5], s[6:7]
	s_cbranch_execz .LBB563_119
.LBB563_38:
	v_add_co_u32_e32 v16, vcc, v1, v12
	v_addc_co_u32_e32 v17, vcc, 0, v48, vcc
	flat_load_dword v15, v[16:17] offset:2048
	s_or_b64 exec, exec, s[4:5]
                                        ; implicit-def: $vgpr16
	s_and_saveexec_b64 s[4:5], s[8:9]
	s_cbranch_execnz .LBB563_120
.LBB563_39:
	s_or_b64 exec, exec, s[4:5]
                                        ; implicit-def: $vgpr17
	s_and_saveexec_b64 s[4:5], s[10:11]
	s_cbranch_execz .LBB563_121
.LBB563_40:
	v_add_co_u32_e32 v18, vcc, v1, v2
	v_addc_co_u32_e32 v19, vcc, 0, v48, vcc
	flat_load_dword v17, v[18:19]
	s_or_b64 exec, exec, s[4:5]
                                        ; implicit-def: $vgpr2
	s_and_saveexec_b64 s[4:5], s[12:13]
	s_cbranch_execnz .LBB563_122
.LBB563_41:
	s_or_b64 exec, exec, s[4:5]
                                        ; implicit-def: $vgpr3
	s_and_saveexec_b64 s[4:5], s[14:15]
	s_cbranch_execz .LBB563_123
.LBB563_42:
	v_add_co_u32_e32 v18, vcc, v1, v4
	v_addc_co_u32_e32 v19, vcc, 0, v48, vcc
	flat_load_dword v3, v[18:19]
	s_or_b64 exec, exec, s[4:5]
                                        ; implicit-def: $vgpr4
	s_and_saveexec_b64 s[4:5], s[16:17]
	s_cbranch_execnz .LBB563_124
.LBB563_43:
	s_or_b64 exec, exec, s[4:5]
                                        ; implicit-def: $vgpr5
	s_and_saveexec_b64 s[4:5], s[18:19]
	s_cbranch_execz .LBB563_125
.LBB563_44:
	v_add_co_u32_e32 v18, vcc, v1, v6
	v_addc_co_u32_e32 v19, vcc, 0, v48, vcc
	flat_load_dword v5, v[18:19]
	s_or_b64 exec, exec, s[4:5]
                                        ; implicit-def: $vgpr6
	s_and_saveexec_b64 s[4:5], s[20:21]
	s_cbranch_execnz .LBB563_126
.LBB563_45:
	s_or_b64 exec, exec, s[4:5]
                                        ; implicit-def: $vgpr7
	s_and_saveexec_b64 s[4:5], s[22:23]
	s_cbranch_execz .LBB563_127
.LBB563_46:
	v_add_co_u32_e32 v18, vcc, v1, v8
	v_addc_co_u32_e32 v19, vcc, 0, v48, vcc
	flat_load_dword v7, v[18:19]
	s_or_b64 exec, exec, s[4:5]
                                        ; implicit-def: $vgpr8
	s_and_saveexec_b64 s[4:5], s[24:25]
	s_cbranch_execnz .LBB563_128
.LBB563_47:
	s_or_b64 exec, exec, s[4:5]
                                        ; implicit-def: $vgpr9
	s_and_saveexec_b64 s[4:5], s[26:27]
	s_cbranch_execz .LBB563_49
.LBB563_48:
	v_add_co_u32_e32 v18, vcc, v1, v10
	v_addc_co_u32_e32 v19, vcc, 0, v48, vcc
	flat_load_dword v9, v[18:19]
.LBB563_49:
	s_or_b64 exec, exec, s[4:5]
	v_mul_u32_u24_e32 v51, 14, v0
                                        ; implicit-def: $vgpr10
	s_and_saveexec_b64 s[4:5], s[28:29]
	s_cbranch_execz .LBB563_51
; %bb.50:
	v_add_co_u32_e32 v10, vcc, v1, v11
	v_addc_co_u32_e32 v11, vcc, 0, v48, vcc
	flat_load_dword v10, v[10:11]
.LBB563_51:
	s_or_b64 exec, exec, s[4:5]
	s_mov_b32 s4, 0
	s_mov_b32 s5, s4
	s_waitcnt vmcnt(0) lgkmcnt(0)
	ds_write2st64_b32 v12, v13, v14 offset1:4
	ds_write2st64_b32 v12, v15, v16 offset0:8 offset1:12
	ds_write2st64_b32 v12, v17, v2 offset0:16 offset1:20
	;; [unrolled: 1-line block ×6, first 2 shown]
	s_mov_b32 s6, s4
	s_mov_b32 s7, s4
	;; [unrolled: 1-line block ×6, first 2 shown]
	v_pk_mov_b32 v[2:3], s[4:5], s[4:5] op_sel:[0,1]
	v_pk_mov_b32 v[8:9], s[10:11], s[10:11] op_sel:[0,1]
	;; [unrolled: 1-line block ×6, first 2 shown]
	v_cmp_gt_u32_e32 vcc, s40, v51
	s_mov_b64 s[12:13], 0
	v_pk_mov_b32 v[40:41], 0, 0
	s_mov_b64 s[18:19], 0
	v_pk_mov_b32 v[14:15], v[6:7], v[6:7] op_sel:[0,1]
	v_pk_mov_b32 v[12:13], v[4:5], v[4:5] op_sel:[0,1]
	;; [unrolled: 1-line block ×6, first 2 shown]
	s_waitcnt lgkmcnt(0)
	s_barrier
	s_waitcnt lgkmcnt(0)
                                        ; implicit-def: $sgpr16_sgpr17
                                        ; implicit-def: $vgpr46
	s_and_saveexec_b64 s[14:15], vcc
	s_cbranch_execz .LBB563_79
; %bb.52:
	ds_read_b32 v2, v50
	v_mov_b32_e32 v4, s54
	v_cmp_eq_u32_e32 vcc, v34, v35
	v_or_b32_e32 v3, 1, v51
                                        ; implicit-def: $vgpr46
	s_waitcnt lgkmcnt(0)
	v_cndmask_b32_e32 v40, v4, v2, vcc
	v_cmp_ne_u32_e32 vcc, v34, v35
	v_cndmask_b32_e64 v41, 0, 1, vcc
	v_cmp_gt_u32_e32 vcc, s40, v3
	v_pk_mov_b32 v[2:3], s[4:5], s[4:5] op_sel:[0,1]
	v_pk_mov_b32 v[8:9], s[10:11], s[10:11] op_sel:[0,1]
	;; [unrolled: 1-line block ×12, first 2 shown]
                                        ; implicit-def: $sgpr4_sgpr5
	s_and_saveexec_b64 s[16:17], vcc
	s_cbranch_execz .LBB563_78
; %bb.53:
	ds_read2_b32 v[46:47], v50 offset0:1 offset1:2
	s_mov_b32 s4, 0
	v_mov_b32_e32 v3, s54
	v_cmp_eq_u32_e32 vcc, v35, v36
	s_mov_b32 s10, s4
	s_mov_b32 s11, s4
	v_add_u32_e32 v2, 2, v51
	s_waitcnt lgkmcnt(0)
	v_cndmask_b32_e32 v8, v3, v46, vcc
	v_cmp_ne_u32_e32 vcc, v35, v36
	s_mov_b32 s5, s4
	s_mov_b32 s6, s4
	;; [unrolled: 1-line block ×5, first 2 shown]
	v_pk_mov_b32 v[16:17], s[10:11], s[10:11] op_sel:[0,1]
	v_cndmask_b32_e64 v9, 0, 1, vcc
	v_cmp_gt_u32_e32 vcc, s40, v2
	v_mov_b32_e32 v2, 0
	v_pk_mov_b32 v[14:15], s[8:9], s[8:9] op_sel:[0,1]
	v_pk_mov_b32 v[12:13], s[6:7], s[6:7] op_sel:[0,1]
	;; [unrolled: 1-line block ×4, first 2 shown]
	v_mov_b32_e32 v3, v2
	v_mov_b32_e32 v4, v2
	;; [unrolled: 1-line block ×5, first 2 shown]
	s_mov_b64 s[20:21], 0
	v_pk_mov_b32 v[22:23], v[14:15], v[14:15] op_sel:[0,1]
	v_pk_mov_b32 v[20:21], v[12:13], v[12:13] op_sel:[0,1]
	v_pk_mov_b32 v[18:19], v[10:11], v[10:11] op_sel:[0,1]
                                        ; implicit-def: $sgpr24_sgpr25
                                        ; implicit-def: $vgpr46
	s_and_saveexec_b64 s[18:19], vcc
	s_cbranch_execz .LBB563_77
; %bb.54:
	v_mov_b32_e32 v4, s54
	v_cmp_eq_u32_e32 vcc, v36, v37
	v_pk_mov_b32 v[16:17], s[10:11], s[10:11] op_sel:[0,1]
	v_add_u32_e32 v3, 3, v51
	v_cndmask_b32_e32 v6, v4, v47, vcc
	v_cmp_ne_u32_e32 vcc, v36, v37
	v_pk_mov_b32 v[14:15], s[8:9], s[8:9] op_sel:[0,1]
	v_pk_mov_b32 v[12:13], s[6:7], s[6:7] op_sel:[0,1]
	;; [unrolled: 1-line block ×4, first 2 shown]
	v_cndmask_b32_e64 v7, 0, 1, vcc
	v_cmp_gt_u32_e32 vcc, s40, v3
	v_mov_b32_e32 v3, v2
	v_mov_b32_e32 v4, v2
	;; [unrolled: 1-line block ×3, first 2 shown]
	s_mov_b64 s[22:23], 0
	v_pk_mov_b32 v[22:23], v[14:15], v[14:15] op_sel:[0,1]
	v_pk_mov_b32 v[20:21], v[12:13], v[12:13] op_sel:[0,1]
	;; [unrolled: 1-line block ×3, first 2 shown]
                                        ; implicit-def: $sgpr4_sgpr5
                                        ; implicit-def: $vgpr46
	s_and_saveexec_b64 s[20:21], vcc
	s_cbranch_execz .LBB563_76
; %bb.55:
	ds_read2_b32 v[34:35], v50 offset0:3 offset1:4
	s_mov_b32 s4, 0
	s_mov_b32 s10, s4
	;; [unrolled: 1-line block ×3, first 2 shown]
	v_mov_b32_e32 v3, s54
	v_cmp_eq_u32_e32 vcc, v37, v30
	s_mov_b32 s5, s4
	s_mov_b32 s6, s4
	;; [unrolled: 1-line block ×5, first 2 shown]
	v_pk_mov_b32 v[16:17], s[10:11], s[10:11] op_sel:[0,1]
	v_add_u32_e32 v2, 4, v51
	s_waitcnt lgkmcnt(0)
	v_cndmask_b32_e32 v4, v3, v34, vcc
	v_cmp_ne_u32_e32 vcc, v37, v30
	v_pk_mov_b32 v[14:15], s[8:9], s[8:9] op_sel:[0,1]
	v_pk_mov_b32 v[12:13], s[6:7], s[6:7] op_sel:[0,1]
	v_pk_mov_b32 v[10:11], s[4:5], s[4:5] op_sel:[0,1]
	v_pk_mov_b32 v[24:25], v[16:17], v[16:17] op_sel:[0,1]
	v_cndmask_b32_e64 v5, 0, 1, vcc
	v_cmp_gt_u32_e32 vcc, s40, v2
	v_mov_b32_e32 v2, s4
	v_mov_b32_e32 v3, s4
	s_mov_b64 s[24:25], 0
	v_pk_mov_b32 v[22:23], v[14:15], v[14:15] op_sel:[0,1]
	v_pk_mov_b32 v[20:21], v[12:13], v[12:13] op_sel:[0,1]
	;; [unrolled: 1-line block ×3, first 2 shown]
                                        ; implicit-def: $sgpr26_sgpr27
                                        ; implicit-def: $vgpr46
	s_and_saveexec_b64 s[22:23], vcc
	s_cbranch_execz .LBB563_75
; %bb.56:
	v_mov_b32_e32 v2, s54
	v_cmp_eq_u32_e32 vcc, v30, v31
	v_add_u32_e32 v10, 5, v51
	v_cndmask_b32_e32 v2, v2, v35, vcc
	v_cmp_ne_u32_e32 vcc, v30, v31
	v_cndmask_b32_e64 v3, 0, 1, vcc
	v_cmp_gt_u32_e32 vcc, s40, v10
	v_pk_mov_b32 v[16:17], s[10:11], s[10:11] op_sel:[0,1]
	v_pk_mov_b32 v[14:15], s[8:9], s[8:9] op_sel:[0,1]
	;; [unrolled: 1-line block ×5, first 2 shown]
	s_mov_b64 s[28:29], 0
	v_pk_mov_b32 v[22:23], v[14:15], v[14:15] op_sel:[0,1]
	v_pk_mov_b32 v[20:21], v[12:13], v[12:13] op_sel:[0,1]
	;; [unrolled: 1-line block ×3, first 2 shown]
                                        ; implicit-def: $sgpr4_sgpr5
                                        ; implicit-def: $vgpr46
	s_and_saveexec_b64 s[24:25], vcc
	s_cbranch_execz .LBB563_74
; %bb.57:
	ds_read2_b32 v[34:35], v50 offset0:5 offset1:6
	v_mov_b32_e32 v11, s54
	v_cmp_eq_u32_e32 vcc, v31, v32
	s_mov_b32 s4, 0
	v_add_u32_e32 v10, 6, v51
	s_waitcnt lgkmcnt(0)
	v_cndmask_b32_e32 v16, v11, v34, vcc
	v_cmp_ne_u32_e32 vcc, v31, v32
	s_mov_b32 s10, s4
	s_mov_b32 s11, s4
	v_cndmask_b32_e64 v17, 0, 1, vcc
	v_cmp_gt_u32_e32 vcc, s40, v10
	v_mov_b32_e32 v10, 0
	s_mov_b32 s5, s4
	s_mov_b32 s6, s4
	s_mov_b32 s7, s4
	s_mov_b32 s8, s4
	s_mov_b32 s9, s4
	v_pk_mov_b32 v[24:25], s[10:11], s[10:11] op_sel:[0,1]
	v_mov_b32_e32 v11, v10
	v_mov_b32_e32 v12, v10
	;; [unrolled: 1-line block ×5, first 2 shown]
	v_pk_mov_b32 v[22:23], s[8:9], s[8:9] op_sel:[0,1]
	v_pk_mov_b32 v[20:21], s[6:7], s[6:7] op_sel:[0,1]
	;; [unrolled: 1-line block ×3, first 2 shown]
                                        ; implicit-def: $sgpr36_sgpr37
                                        ; implicit-def: $vgpr46
	s_and_saveexec_b64 s[26:27], vcc
	s_cbranch_execz .LBB563_73
; %bb.58:
	v_mov_b32_e32 v12, s54
	v_cmp_eq_u32_e32 vcc, v32, v33
	v_add_u32_e32 v11, 7, v51
	v_cndmask_b32_e32 v14, v12, v35, vcc
	v_cmp_ne_u32_e32 vcc, v32, v33
	v_pk_mov_b32 v[24:25], s[10:11], s[10:11] op_sel:[0,1]
	v_cndmask_b32_e64 v15, 0, 1, vcc
	v_cmp_gt_u32_e32 vcc, s40, v11
	v_mov_b32_e32 v11, v10
	v_mov_b32_e32 v12, v10
	v_mov_b32_e32 v13, v10
	s_mov_b64 s[30:31], 0
	v_pk_mov_b32 v[22:23], s[8:9], s[8:9] op_sel:[0,1]
	v_pk_mov_b32 v[20:21], s[6:7], s[6:7] op_sel:[0,1]
	;; [unrolled: 1-line block ×3, first 2 shown]
                                        ; implicit-def: $sgpr4_sgpr5
                                        ; implicit-def: $vgpr46
	s_and_saveexec_b64 s[28:29], vcc
	s_cbranch_execz .LBB563_72
; %bb.59:
	ds_read2_b32 v[30:31], v50 offset0:7 offset1:8
	s_mov_b32 s4, 0
	v_mov_b32_e32 v11, s54
	v_cmp_eq_u32_e32 vcc, v33, v26
	s_mov_b32 s10, s4
	s_mov_b32 s11, s4
	v_add_u32_e32 v10, 8, v51
	s_waitcnt lgkmcnt(0)
	v_cndmask_b32_e32 v12, v11, v30, vcc
	v_cmp_ne_u32_e32 vcc, v33, v26
	s_mov_b32 s5, s4
	s_mov_b32 s6, s4
	;; [unrolled: 1-line block ×5, first 2 shown]
	v_pk_mov_b32 v[24:25], s[10:11], s[10:11] op_sel:[0,1]
	v_cndmask_b32_e64 v13, 0, 1, vcc
	v_cmp_gt_u32_e32 vcc, s40, v10
	v_mov_b32_e32 v10, s4
	v_mov_b32_e32 v11, s4
	s_mov_b64 s[36:37], 0
	v_pk_mov_b32 v[22:23], s[8:9], s[8:9] op_sel:[0,1]
	v_pk_mov_b32 v[20:21], s[6:7], s[6:7] op_sel:[0,1]
	;; [unrolled: 1-line block ×3, first 2 shown]
                                        ; implicit-def: $sgpr38_sgpr39
                                        ; implicit-def: $vgpr46
	s_and_saveexec_b64 s[30:31], vcc
	s_cbranch_execz .LBB563_71
; %bb.60:
	v_mov_b32_e32 v10, s54
	v_cmp_eq_u32_e32 vcc, v26, v27
	v_add_u32_e32 v18, 9, v51
	v_cndmask_b32_e32 v10, v10, v31, vcc
	v_cmp_ne_u32_e32 vcc, v26, v27
	v_cndmask_b32_e64 v11, 0, 1, vcc
	v_cmp_gt_u32_e32 vcc, s40, v18
	v_pk_mov_b32 v[24:25], s[10:11], s[10:11] op_sel:[0,1]
	v_pk_mov_b32 v[22:23], s[8:9], s[8:9] op_sel:[0,1]
	v_pk_mov_b32 v[20:21], s[6:7], s[6:7] op_sel:[0,1]
	v_pk_mov_b32 v[18:19], s[4:5], s[4:5] op_sel:[0,1]
                                        ; implicit-def: $sgpr6_sgpr7
                                        ; implicit-def: $vgpr46
	s_and_saveexec_b64 s[4:5], vcc
	s_cbranch_execz .LBB563_70
; %bb.61:
	ds_read2_b32 v[30:31], v50 offset0:9 offset1:10
	v_mov_b32_e32 v18, s54
	v_cmp_eq_u32_e32 vcc, v27, v28
	v_add_u32_e32 v20, 10, v51
	v_mov_b32_e32 v22, 0
	s_waitcnt lgkmcnt(0)
	v_cndmask_b32_e32 v18, v18, v30, vcc
	v_cmp_ne_u32_e32 vcc, v27, v28
	v_cndmask_b32_e64 v19, 0, 1, vcc
	v_cmp_gt_u32_e32 vcc, s40, v20
	v_mov_b32_e32 v20, v22
	v_mov_b32_e32 v21, v22
	;; [unrolled: 1-line block ×5, first 2 shown]
	s_mov_b64 s[8:9], 0
                                        ; implicit-def: $sgpr36_sgpr37
                                        ; implicit-def: $vgpr46
	s_and_saveexec_b64 s[6:7], vcc
	s_cbranch_execz .LBB563_69
; %bb.62:
	v_mov_b32_e32 v20, s54
	v_cmp_eq_u32_e32 vcc, v28, v29
	v_add_u32_e32 v23, 11, v51
	v_cndmask_b32_e32 v20, v20, v31, vcc
	v_cmp_ne_u32_e32 vcc, v28, v29
	v_cndmask_b32_e64 v21, 0, 1, vcc
	v_cmp_gt_u32_e32 vcc, s40, v23
	s_mov_b32 s36, 0
	v_mov_b32_e32 v23, v22
	v_mov_b32_e32 v24, v22
	;; [unrolled: 1-line block ×3, first 2 shown]
	s_mov_b64 s[10:11], 0
                                        ; implicit-def: $sgpr38_sgpr39
                                        ; implicit-def: $vgpr46
	s_and_saveexec_b64 s[8:9], vcc
	s_cbranch_execz .LBB563_68
; %bb.63:
	ds_read2_b32 v[26:27], v50 offset0:11 offset1:12
	v_mov_b32_e32 v22, s54
	v_cmp_eq_u32_e32 vcc, v29, v44
	v_add_u32_e32 v24, 12, v51
	v_mov_b32_e32 v25, s36
	s_waitcnt lgkmcnt(0)
	v_cndmask_b32_e32 v22, v22, v26, vcc
	v_cmp_ne_u32_e32 vcc, v29, v44
	v_cndmask_b32_e64 v23, 0, 1, vcc
	v_cmp_gt_u32_e32 vcc, s40, v24
	v_mov_b32_e32 v24, s36
	s_mov_b64 s[36:37], 0
                                        ; implicit-def: $sgpr38_sgpr39
                                        ; implicit-def: $vgpr46
	s_and_saveexec_b64 s[10:11], vcc
	s_cbranch_execz .LBB563_67
; %bb.64:
	v_mov_b32_e32 v24, s54
	v_cmp_eq_u32_e32 vcc, v44, v45
	v_add_u32_e32 v26, 13, v51
	v_cndmask_b32_e32 v24, v24, v27, vcc
	v_cmp_ne_u32_e32 vcc, v44, v45
	v_cndmask_b32_e64 v25, 0, 1, vcc
	v_cmp_gt_u32_e32 vcc, s40, v26
                                        ; implicit-def: $sgpr38_sgpr39
                                        ; implicit-def: $vgpr46
	s_and_saveexec_b64 s[40:41], vcc
	s_xor_b64 s[40:41], exec, s[40:41]
	s_cbranch_execz .LBB563_66
; %bb.65:
	ds_read_b32 v26, v50 offset:52
	v_mov_b32_e32 v27, s54
	v_cmp_ne_u32_e32 vcc, v45, v49
	s_mov_b64 s[36:37], exec
	s_and_b64 s[38:39], vcc, exec
	s_waitcnt lgkmcnt(0)
	v_cndmask_b32_e32 v46, v26, v27, vcc
.LBB563_66:
	s_or_b64 exec, exec, s[40:41]
	s_and_b64 s[38:39], s[38:39], exec
	s_and_b64 s[36:37], s[36:37], exec
.LBB563_67:
	s_or_b64 exec, exec, s[10:11]
	s_and_b64 s[38:39], s[38:39], exec
	s_and_b64 s[10:11], s[36:37], exec
.LBB563_68:
	s_or_b64 exec, exec, s[8:9]
	s_and_b64 s[36:37], s[38:39], exec
	s_and_b64 s[8:9], s[10:11], exec
.LBB563_69:
	s_or_b64 exec, exec, s[6:7]
	s_and_b64 s[6:7], s[36:37], exec
	s_and_b64 s[36:37], s[8:9], exec
.LBB563_70:
	s_or_b64 exec, exec, s[4:5]
	s_and_b64 s[38:39], s[6:7], exec
	s_and_b64 s[36:37], s[36:37], exec
.LBB563_71:
	s_or_b64 exec, exec, s[30:31]
	s_and_b64 s[4:5], s[38:39], exec
	s_and_b64 s[30:31], s[36:37], exec
.LBB563_72:
	s_or_b64 exec, exec, s[28:29]
	s_and_b64 s[36:37], s[4:5], exec
	s_and_b64 s[28:29], s[30:31], exec
.LBB563_73:
	s_or_b64 exec, exec, s[26:27]
	s_and_b64 s[4:5], s[36:37], exec
	s_and_b64 s[28:29], s[28:29], exec
.LBB563_74:
	s_or_b64 exec, exec, s[24:25]
	s_and_b64 s[26:27], s[4:5], exec
	s_and_b64 s[24:25], s[28:29], exec
.LBB563_75:
	s_or_b64 exec, exec, s[22:23]
	s_and_b64 s[4:5], s[26:27], exec
	s_and_b64 s[22:23], s[24:25], exec
.LBB563_76:
	s_or_b64 exec, exec, s[20:21]
	s_and_b64 s[24:25], s[4:5], exec
	s_and_b64 s[20:21], s[22:23], exec
.LBB563_77:
	s_or_b64 exec, exec, s[18:19]
	s_and_b64 s[4:5], s[24:25], exec
	s_and_b64 s[18:19], s[20:21], exec
.LBB563_78:
	s_or_b64 exec, exec, s[16:17]
	s_and_b64 s[16:17], s[4:5], exec
	s_and_b64 s[18:19], s[18:19], exec
.LBB563_79:
	s_or_b64 exec, exec, s[14:15]
	s_and_b64 vcc, exec, s[12:13]
	v_lshlrev_b32_e32 v52, 2, v0
	s_cbranch_vccnz .LBB563_81
	s_branch .LBB563_86
.LBB563_80:
	s_mov_b64 s[18:19], 0
                                        ; implicit-def: $sgpr16_sgpr17
                                        ; implicit-def: $vgpr2_vgpr3_vgpr4_vgpr5_vgpr6_vgpr7_vgpr8_vgpr9
                                        ; implicit-def: $vgpr10_vgpr11_vgpr12_vgpr13_vgpr14_vgpr15_vgpr16_vgpr17
                                        ; implicit-def: $vgpr18_vgpr19_vgpr20_vgpr21_vgpr22_vgpr23_vgpr24_vgpr25
                                        ; implicit-def: $vgpr46
                                        ; implicit-def: $vgpr40_vgpr41
	s_and_b64 vcc, exec, s[12:13]
	v_lshlrev_b32_e32 v52, 2, v0
	s_cbranch_vccz .LBB563_86
.LBB563_81:
	v_add_co_u32_e32 v2, vcc, v42, v52
	v_addc_co_u32_e32 v3, vcc, 0, v43, vcc
	v_add_co_u32_e32 v4, vcc, 0x1000, v2
	v_addc_co_u32_e32 v5, vcc, 0, v3, vcc
	flat_load_dword v6, v[2:3]
	flat_load_dword v7, v[2:3] offset:1024
	flat_load_dword v8, v[2:3] offset:2048
	;; [unrolled: 1-line block ×3, first 2 shown]
	flat_load_dword v10, v[4:5]
	flat_load_dword v11, v[4:5] offset:1024
	flat_load_dword v12, v[4:5] offset:2048
	;; [unrolled: 1-line block ×3, first 2 shown]
	v_add_co_u32_e32 v4, vcc, 0x2000, v2
	v_addc_co_u32_e32 v5, vcc, 0, v3, vcc
	v_add_co_u32_e32 v2, vcc, 0x3000, v2
	v_addc_co_u32_e32 v3, vcc, 0, v3, vcc
	flat_load_dword v14, v[4:5]
	flat_load_dword v15, v[4:5] offset:1024
	flat_load_dword v16, v[4:5] offset:2048
	;; [unrolled: 1-line block ×3, first 2 shown]
	flat_load_dword v18, v[2:3]
	flat_load_dword v19, v[2:3] offset:1024
	v_add_co_u32_e32 v2, vcc, 0x3000, v42
	v_addc_co_u32_e32 v3, vcc, 0, v43, vcc
	s_movk_i32 s6, 0xffcc
	s_movk_i32 s9, 0x1000
	s_mov_b32 s4, 0
	s_movk_i32 s8, 0x2000
	s_movk_i32 s5, 0x3000
	s_waitcnt vmcnt(0) lgkmcnt(0)
	ds_write2st64_b32 v52, v6, v7 offset1:4
	ds_write2st64_b32 v52, v8, v9 offset0:8 offset1:12
	ds_write2st64_b32 v52, v10, v11 offset0:16 offset1:20
	;; [unrolled: 1-line block ×6, first 2 shown]
	s_waitcnt lgkmcnt(0)
	s_barrier
	flat_load_dword v34, v[2:3] offset:2048
	v_mad_u32_u24 v6, v0, 52, v52
	v_mad_i32_i24 v2, v0, s6, v6
	s_movk_i32 s6, 0xff
	v_cmp_ne_u32_e32 vcc, s6, v0
	ds_read2_b32 v[26:27], v6 offset1:13
	ds_read2_b32 v[18:19], v6 offset0:7 offset1:8
	ds_read2_b32 v[20:21], v6 offset0:5 offset1:6
	;; [unrolled: 1-line block ×6, first 2 shown]
	s_waitcnt lgkmcnt(0)
	ds_write_b32 v2, v26 offset:15360
	s_waitcnt lgkmcnt(0)
	s_barrier
	s_and_saveexec_b64 s[6:7], vcc
	s_cbranch_execz .LBB563_83
; %bb.82:
	s_waitcnt vmcnt(0)
	ds_read_b32 v34, v52 offset:15364
.LBB563_83:
	s_or_b64 exec, exec, s[6:7]
	v_add_co_u32_e32 v2, vcc, v1, v52
	v_addc_co_u32_e32 v3, vcc, 0, v48, vcc
	v_add_co_u32_e32 v4, vcc, s9, v2
	v_addc_co_u32_e32 v5, vcc, 0, v3, vcc
	s_waitcnt lgkmcnt(0)
	s_barrier
	flat_load_dword v1, v[2:3]
	flat_load_dword v7, v[2:3] offset:1024
	flat_load_dword v8, v[2:3] offset:2048
	;; [unrolled: 1-line block ×3, first 2 shown]
	flat_load_dword v14, v[4:5]
	flat_load_dword v15, v[4:5] offset:1024
	flat_load_dword v16, v[4:5] offset:2048
	flat_load_dword v17, v[4:5] offset:3072
	v_add_co_u32_e32 v4, vcc, s8, v2
	v_addc_co_u32_e32 v5, vcc, 0, v3, vcc
	v_add_co_u32_e32 v2, vcc, s5, v2
	v_addc_co_u32_e32 v3, vcc, 0, v3, vcc
	flat_load_dword v22, v[4:5]
	flat_load_dword v23, v[4:5] offset:1024
	flat_load_dword v24, v[4:5] offset:2048
	;; [unrolled: 1-line block ×3, first 2 shown]
	flat_load_dword v32, v[2:3]
	flat_load_dword v33, v[2:3] offset:1024
	s_mov_b32 s5, 1
	v_cmp_eq_u32_e32 vcc, v26, v12
	v_pk_mov_b32 v[40:41], s[4:5], s[4:5] op_sel:[0,1]
	s_waitcnt vmcnt(0) lgkmcnt(0)
	ds_write2st64_b32 v52, v1, v7 offset1:4
	ds_write2st64_b32 v52, v8, v9 offset0:8 offset1:12
	ds_write2st64_b32 v52, v14, v15 offset0:16 offset1:20
	;; [unrolled: 1-line block ×6, first 2 shown]
	s_waitcnt lgkmcnt(0)
	s_barrier
	ds_read2_b32 v[24:25], v6 offset0:7 offset1:8
	ds_read2_b32 v[14:15], v6 offset0:5 offset1:6
	;; [unrolled: 1-line block ×4, first 2 shown]
	ds_read_b32 v1, v6 offset:52
	ds_read2_b32 v[22:23], v6 offset0:11 offset1:12
	ds_read2_b32 v[32:33], v6 offset0:9 offset1:10
	v_mov_b32_e32 v7, s54
	s_and_saveexec_b64 s[4:5], vcc
	s_cbranch_execz .LBB563_85
; %bb.84:
	ds_read_b32 v7, v6
	v_pk_mov_b32 v[40:41], 0, 0
.LBB563_85:
	s_or_b64 exec, exec, s[4:5]
	v_mov_b32_e32 v26, s54
	v_cmp_eq_u32_e32 vcc, v12, v13
	s_waitcnt lgkmcnt(3)
	v_cndmask_b32_e32 v8, v26, v4, vcc
	v_cmp_eq_u32_e32 vcc, v13, v10
	v_cndmask_b32_e32 v6, v26, v5, vcc
	v_cmp_eq_u32_e32 vcc, v10, v11
	;; [unrolled: 2-line block ×3, first 2 shown]
	v_cndmask_b32_e32 v2, v26, v3, vcc
	v_cmp_ne_u32_e32 vcc, v12, v13
	v_cndmask_b32_e64 v9, 0, 1, vcc
	v_cmp_ne_u32_e32 vcc, v13, v10
	s_waitcnt lgkmcnt(0)
	v_or_b32_e32 v40, v40, v7
	v_cndmask_b32_e64 v7, 0, 1, vcc
	v_cmp_ne_u32_e32 vcc, v10, v11
	v_cndmask_b32_e64 v5, 0, 1, vcc
	v_cmp_ne_u32_e32 vcc, v11, v20
	v_cndmask_b32_e64 v3, 0, 1, vcc
	v_cmp_eq_u32_e32 vcc, v20, v21
	v_cndmask_b32_e32 v16, v26, v14, vcc
	v_cmp_eq_u32_e32 vcc, v21, v18
	v_cndmask_b32_e32 v14, v26, v15, vcc
	;; [unrolled: 2-line block ×4, first 2 shown]
	v_cmp_ne_u32_e32 vcc, v20, v21
	v_cndmask_b32_e64 v17, 0, 1, vcc
	v_cmp_ne_u32_e32 vcc, v21, v18
	v_cndmask_b32_e64 v15, 0, 1, vcc
	;; [unrolled: 2-line block ×4, first 2 shown]
	v_cmp_eq_u32_e32 vcc, v31, v27
	v_cndmask_b32_e32 v24, v26, v23, vcc
	v_cmp_eq_u32_e32 vcc, v30, v31
	v_cndmask_b32_e32 v22, v26, v22, vcc
	;; [unrolled: 2-line block ×4, first 2 shown]
	v_cmp_ne_u32_e32 vcc, v31, v27
	v_cndmask_b32_e64 v25, 0, 1, vcc
	v_cmp_ne_u32_e32 vcc, v30, v31
	v_cndmask_b32_e64 v23, 0, 1, vcc
	;; [unrolled: 2-line block ×3, first 2 shown]
	v_cmp_ne_u32_e32 vcc, v28, v29
	v_cmp_ne_u32_e64 s[16:17], v27, v34
	v_cndmask_b32_e64 v19, 0, 1, vcc
	v_cndmask_b32_e64 v46, v1, v26, s[16:17]
	s_mov_b64 s[18:19], -1
                                        ; implicit-def: $sgpr12_sgpr13
.LBB563_86:
	v_pk_mov_b32 v[42:43], s[12:13], s[12:13] op_sel:[0,1]
	s_and_saveexec_b64 s[4:5], s[18:19]
; %bb.87:
	v_cndmask_b32_e64 v47, 0, 1, s[16:17]
	v_pk_mov_b32 v[42:43], v[46:47], v[46:47] op_sel:[0,1]
; %bb.88:
	s_or_b64 exec, exec, s[4:5]
	s_mov_b32 s28, 0
	s_cmp_lg_u32 s47, 0
	v_mbcnt_lo_u32_b32 v54, -1, 0
	v_lshrrev_b32_e32 v1, 6, v0
	v_or_b32_e32 v53, 63, v0
	s_barrier
	s_cbranch_scc0 .LBB563_129
; %bb.89:
	s_mov_b32 s29, 1
	v_cmp_gt_u64_e64 s[4:5], s[28:29], v[8:9]
	v_cndmask_b32_e64 v27, 0, v40, s[4:5]
	v_add_u32_e32 v27, v27, v8
	v_cmp_gt_u64_e64 s[6:7], s[28:29], v[6:7]
	v_cndmask_b32_e64 v27, 0, v27, s[6:7]
	v_add_u32_e32 v27, v27, v6
	;; [unrolled: 3-line block ×12, first 2 shown]
	v_cmp_gt_u64_e32 vcc, s[28:29], v[42:43]
	v_cndmask_b32_e32 v27, 0, v27, vcc
	v_add_u32_e32 v28, v27, v42
	v_or3_b32 v27, v43, v25, v23
	v_or3_b32 v27, v27, v21, v19
	;; [unrolled: 1-line block ×6, first 2 shown]
	v_mov_b32_e32 v26, 0
	v_and_b32_e32 v27, 1, v27
	v_cmp_eq_u64_e32 vcc, 0, v[26:27]
	v_cndmask_b32_e32 v27, 1, v41, vcc
	v_and_b32_e32 v29, 0xff, v27
	v_mov_b32_dpp v31, v28 row_shr:1 row_mask:0xf bank_mask:0xf
	v_cmp_eq_u16_e32 vcc, 0, v29
	v_mov_b32_dpp v32, v29 row_shr:1 row_mask:0xf bank_mask:0xf
	v_and_b32_e32 v33, 1, v27
	v_mbcnt_hi_u32_b32 v48, -1, v54
	v_cndmask_b32_e32 v31, 0, v31, vcc
	v_and_b32_e32 v32, 1, v32
	v_cmp_eq_u32_e32 vcc, 1, v33
	v_and_b32_e32 v30, 15, v48
	v_cndmask_b32_e64 v32, v32, 1, vcc
	v_and_b32_e32 v33, 0xffff, v32
	v_cmp_eq_u32_e32 vcc, 0, v30
	v_cndmask_b32_e32 v27, v32, v27, vcc
	v_cndmask_b32_e32 v29, v33, v29, vcc
	v_and_b32_e32 v33, 1, v27
	v_cndmask_b32_e64 v31, v31, 0, vcc
	v_mov_b32_dpp v32, v29 row_shr:2 row_mask:0xf bank_mask:0xf
	v_and_b32_e32 v32, 1, v32
	v_cmp_eq_u32_e32 vcc, 1, v33
	v_cndmask_b32_e64 v32, v32, 1, vcc
	v_and_b32_e32 v33, 0xffff, v32
	v_cmp_lt_u32_e32 vcc, 1, v30
	v_add_u32_e32 v28, v31, v28
	v_cmp_eq_u16_sdwa s[28:29], v27, v26 src0_sel:BYTE_0 src1_sel:DWORD
	v_cndmask_b32_e32 v27, v27, v32, vcc
	v_cndmask_b32_e32 v29, v29, v33, vcc
	v_mov_b32_dpp v31, v28 row_shr:2 row_mask:0xf bank_mask:0xf
	s_and_b64 vcc, vcc, s[28:29]
	v_mov_b32_dpp v32, v29 row_shr:4 row_mask:0xf bank_mask:0xf
	v_and_b32_e32 v33, 1, v27
	v_cndmask_b32_e32 v31, 0, v31, vcc
	v_and_b32_e32 v32, 1, v32
	v_cmp_eq_u32_e32 vcc, 1, v33
	v_cndmask_b32_e64 v32, v32, 1, vcc
	v_and_b32_e32 v33, 0xffff, v32
	v_cmp_lt_u32_e32 vcc, 3, v30
	v_add_u32_e32 v28, v31, v28
	v_cmp_eq_u16_sdwa s[28:29], v27, v26 src0_sel:BYTE_0 src1_sel:DWORD
	v_cndmask_b32_e32 v27, v27, v32, vcc
	v_cndmask_b32_e32 v29, v29, v33, vcc
	v_mov_b32_dpp v31, v28 row_shr:4 row_mask:0xf bank_mask:0xf
	s_and_b64 vcc, vcc, s[28:29]
	v_mov_b32_dpp v32, v29 row_shr:8 row_mask:0xf bank_mask:0xf
	v_and_b32_e32 v33, 1, v27
	v_cndmask_b32_e32 v31, 0, v31, vcc
	v_and_b32_e32 v32, 1, v32
	v_cmp_eq_u32_e32 vcc, 1, v33
	v_cndmask_b32_e64 v32, v32, 1, vcc
	v_add_u32_e32 v28, v31, v28
	v_cmp_eq_u16_sdwa s[28:29], v27, v26 src0_sel:BYTE_0 src1_sel:DWORD
	v_and_b32_e32 v33, 0xffff, v32
	v_cmp_lt_u32_e32 vcc, 7, v30
	v_mov_b32_dpp v31, v28 row_shr:8 row_mask:0xf bank_mask:0xf
	v_cndmask_b32_e32 v27, v27, v32, vcc
	v_cndmask_b32_e32 v29, v29, v33, vcc
	s_and_b64 vcc, vcc, s[28:29]
	v_cndmask_b32_e32 v30, 0, v31, vcc
	v_add_u32_e32 v28, v30, v28
	v_mov_b32_dpp v31, v29 row_bcast:15 row_mask:0xf bank_mask:0xf
	v_cmp_eq_u16_sdwa vcc, v27, v26 src0_sel:BYTE_0 src1_sel:DWORD
	v_mov_b32_dpp v30, v28 row_bcast:15 row_mask:0xf bank_mask:0xf
	v_and_b32_e32 v34, 1, v27
	v_cndmask_b32_e32 v30, 0, v30, vcc
	v_and_b32_e32 v31, 1, v31
	v_cmp_eq_u32_e32 vcc, 1, v34
	v_and_b32_e32 v33, 16, v48
	v_cndmask_b32_e64 v31, v31, 1, vcc
	v_and_b32_e32 v34, 0xffff, v31
	v_cmp_eq_u32_e32 vcc, 0, v33
	v_cndmask_b32_e32 v27, v31, v27, vcc
	v_cndmask_b32_e32 v29, v34, v29, vcc
	v_bfe_i32 v32, v48, 4, 1
	v_cmp_eq_u16_sdwa s[28:29], v27, v26 src0_sel:BYTE_0 src1_sel:DWORD
	v_mov_b32_dpp v29, v29 row_bcast:31 row_mask:0xf bank_mask:0xf
	v_and_b32_e32 v26, 1, v27
	v_and_b32_e32 v30, v32, v30
	;; [unrolled: 1-line block ×3, first 2 shown]
	v_cmp_eq_u32_e32 vcc, 1, v26
	v_add_u32_e32 v28, v30, v28
	v_cndmask_b32_e64 v26, v29, 1, vcc
	v_cmp_lt_u32_e32 vcc, 31, v48
	v_mov_b32_dpp v30, v28 row_bcast:31 row_mask:0xf bank_mask:0xf
	v_cndmask_b32_e32 v29, v27, v26, vcc
	s_and_b64 vcc, vcc, s[28:29]
	v_cndmask_b32_e32 v26, 0, v30, vcc
	v_add_u32_e32 v28, v26, v28
	v_cmp_eq_u32_e32 vcc, v53, v0
	s_and_saveexec_b64 s[28:29], vcc
	s_cbranch_execz .LBB563_91
; %bb.90:
	v_lshlrev_b32_e32 v26, 3, v1
	ds_write_b32 v26, v28
	ds_write_b8 v26, v29 offset:4
.LBB563_91:
	s_or_b64 exec, exec, s[28:29]
	v_cmp_gt_u32_e32 vcc, 4, v0
	s_waitcnt lgkmcnt(0)
	s_barrier
	s_and_saveexec_b64 s[28:29], vcc
	s_cbranch_execz .LBB563_95
; %bb.92:
	v_lshlrev_b32_e32 v30, 3, v0
	ds_read_b64 v[26:27], v30
	v_and_b32_e32 v31, 3, v48
	v_cmp_ne_u32_e32 vcc, 0, v31
	s_waitcnt lgkmcnt(0)
	v_mov_b32_dpp v32, v26 row_shr:1 row_mask:0xf bank_mask:0xf
	v_mov_b32_dpp v34, v27 row_shr:1 row_mask:0xf bank_mask:0xf
	v_mov_b32_e32 v33, v27
	s_and_saveexec_b64 s[30:31], vcc
	s_cbranch_execz .LBB563_94
; %bb.93:
	v_and_b32_e32 v33, 1, v27
	v_and_b32_e32 v34, 1, v34
	v_cmp_eq_u32_e32 vcc, 1, v33
	v_mov_b32_e32 v33, 0
	v_cndmask_b32_e64 v34, v34, 1, vcc
	v_cmp_eq_u16_sdwa vcc, v27, v33 src0_sel:BYTE_0 src1_sel:DWORD
	v_cndmask_b32_e32 v32, 0, v32, vcc
	v_add_u32_e32 v26, v32, v26
	v_and_b32_e32 v32, 0xffff, v34
	s_movk_i32 s36, 0xff00
	v_and_or_b32 v33, v27, s36, v32
	v_mov_b32_e32 v27, v34
.LBB563_94:
	s_or_b64 exec, exec, s[30:31]
	v_mov_b32_dpp v33, v33 row_shr:2 row_mask:0xf bank_mask:0xf
	v_and_b32_e32 v34, 1, v27
	v_and_b32_e32 v33, 1, v33
	v_cmp_eq_u32_e32 vcc, 1, v34
	v_mov_b32_e32 v34, 0
	v_cndmask_b32_e64 v33, v33, 1, vcc
	v_cmp_eq_u16_sdwa s[30:31], v27, v34 src0_sel:BYTE_0 src1_sel:DWORD
	v_cmp_lt_u32_e32 vcc, 1, v31
	v_mov_b32_dpp v32, v26 row_shr:2 row_mask:0xf bank_mask:0xf
	v_cndmask_b32_e32 v27, v27, v33, vcc
	s_and_b64 vcc, vcc, s[30:31]
	v_cndmask_b32_e32 v31, 0, v32, vcc
	v_add_u32_e32 v26, v31, v26
	ds_write_b32 v30, v26
	ds_write_b8 v30, v27 offset:4
.LBB563_95:
	s_or_b64 exec, exec, s[28:29]
	v_cmp_gt_u32_e32 vcc, 64, v0
	v_cmp_lt_u32_e64 s[28:29], 63, v0
	v_mov_b32_e32 v44, 0
	v_mov_b32_e32 v45, 0
	s_waitcnt lgkmcnt(0)
	s_barrier
	s_and_saveexec_b64 s[30:31], s[28:29]
	s_cbranch_execz .LBB563_97
; %bb.96:
	v_lshl_add_u32 v26, v1, 3, -8
	ds_read_b32 v44, v26
	ds_read_u8 v45, v26 offset:4
	v_mov_b32_e32 v27, 0
	v_and_b32_e32 v30, 1, v29
	v_cmp_eq_u16_sdwa s[28:29], v29, v27 src0_sel:BYTE_0 src1_sel:DWORD
	s_waitcnt lgkmcnt(1)
	v_cndmask_b32_e64 v26, 0, v44, s[28:29]
	v_cmp_eq_u32_e64 s[28:29], 1, v30
	v_add_u32_e32 v28, v26, v28
	s_waitcnt lgkmcnt(0)
	v_cndmask_b32_e64 v29, v45, 1, s[28:29]
.LBB563_97:
	s_or_b64 exec, exec, s[30:31]
	v_and_b32_e32 v26, 0xff, v29
	v_add_u32_e32 v27, -1, v48
	v_and_b32_e32 v29, 64, v48
	v_cmp_lt_i32_e64 s[28:29], v27, v29
	v_cndmask_b32_e64 v27, v27, v48, s[28:29]
	v_lshlrev_b32_e32 v27, 2, v27
	ds_bpermute_b32 v46, v27, v28
	ds_bpermute_b32 v47, v27, v26
	v_cmp_eq_u32_e64 s[28:29], 0, v48
	s_and_saveexec_b64 s[36:37], vcc
	s_cbranch_execz .LBB563_116
; %bb.98:
	v_mov_b32_e32 v29, 0
	ds_read_b64 v[26:27], v29 offset:24
	s_waitcnt lgkmcnt(0)
	v_readfirstlane_b32 s48, v27
	s_and_saveexec_b64 s[30:31], s[28:29]
	s_cbranch_execz .LBB563_100
; %bb.99:
	s_add_i32 s38, s47, 64
	s_mov_b32 s39, 0
	s_lshl_b64 s[40:41], s[38:39], 4
	s_add_u32 s40, s44, s40
	s_addc_u32 s41, s45, s41
	s_and_b32 s57, s48, 0xff000000
	s_mov_b32 s56, s39
	s_and_b32 s59, s48, 0xff0000
	s_mov_b32 s58, s39
	s_or_b64 s[56:57], s[58:59], s[56:57]
	s_and_b32 s59, s48, 0xff00
	s_or_b64 s[56:57], s[56:57], s[58:59]
	s_and_b32 s59, s48, 0xff
	s_or_b64 s[38:39], s[56:57], s[58:59]
	v_mov_b32_e32 v27, s39
	v_mov_b32_e32 v28, 1
	v_pk_mov_b32 v[30:31], s[40:41], s[40:41] op_sel:[0,1]
	;;#ASMSTART
	global_store_dwordx4 v[30:31], v[26:29] off	
s_waitcnt vmcnt(0)
	;;#ASMEND
.LBB563_100:
	s_or_b64 exec, exec, s[30:31]
	v_xad_u32 v34, v48, -1, s47
	v_add_u32_e32 v28, 64, v34
	v_lshlrev_b64 v[30:31], 4, v[28:29]
	v_mov_b32_e32 v27, s45
	v_add_co_u32_e32 v36, vcc, s44, v30
	v_addc_co_u32_e32 v37, vcc, v27, v31, vcc
	;;#ASMSTART
	global_load_dwordx4 v[30:33], v[36:37] off glc	
s_waitcnt vmcnt(0)
	;;#ASMEND
	v_and_b32_e32 v27, 0xff0000, v30
	v_or_b32_sdwa v27, v30, v27 dst_sel:DWORD dst_unused:UNUSED_PAD src0_sel:WORD_0 src1_sel:DWORD
	v_and_b32_e32 v28, 0xff000000, v30
	v_and_b32_e32 v30, 0xff, v31
	v_or3_b32 v31, 0, 0, v30
	v_or3_b32 v30, v27, v28, 0
	v_cmp_eq_u16_sdwa s[38:39], v32, v29 src0_sel:BYTE_0 src1_sel:DWORD
	s_and_saveexec_b64 s[30:31], s[38:39]
	s_cbranch_execz .LBB563_104
; %bb.101:
	s_mov_b64 s[38:39], 0
	v_mov_b32_e32 v27, 0
.LBB563_102:                            ; =>This Inner Loop Header: Depth=1
	;;#ASMSTART
	global_load_dwordx4 v[30:33], v[36:37] off glc	
s_waitcnt vmcnt(0)
	;;#ASMEND
	v_cmp_ne_u16_sdwa s[40:41], v32, v27 src0_sel:BYTE_0 src1_sel:DWORD
	s_or_b64 s[38:39], s[40:41], s[38:39]
	s_andn2_b64 exec, exec, s[38:39]
	s_cbranch_execnz .LBB563_102
; %bb.103:
	s_or_b64 exec, exec, s[38:39]
	v_and_b32_e32 v31, 0xff, v31
.LBB563_104:
	s_or_b64 exec, exec, s[30:31]
	v_mov_b32_e32 v27, 2
	v_cmp_eq_u16_sdwa s[30:31], v32, v27 src0_sel:BYTE_0 src1_sel:DWORD
	v_lshlrev_b64 v[28:29], v48, -1
	v_and_b32_e32 v33, s31, v29
	v_or_b32_e32 v33, 0x80000000, v33
	v_and_b32_e32 v35, s30, v28
	v_ffbl_b32_e32 v33, v33
	v_and_b32_e32 v49, 63, v48
	v_add_u32_e32 v33, 32, v33
	v_ffbl_b32_e32 v35, v35
	v_cmp_ne_u32_e32 vcc, 63, v49
	v_min_u32_e32 v33, v35, v33
	v_addc_co_u32_e32 v35, vcc, 0, v48, vcc
	v_lshlrev_b32_e32 v50, 2, v35
	ds_bpermute_b32 v35, v50, v31
	ds_bpermute_b32 v36, v50, v30
	s_mov_b32 s38, 0
	v_and_b32_e32 v37, 1, v31
	s_mov_b32 s39, 1
	s_waitcnt lgkmcnt(1)
	v_and_b32_e32 v35, 1, v35
	v_cmp_eq_u32_e32 vcc, 1, v37
	v_cndmask_b32_e64 v35, v35, 1, vcc
	v_cmp_gt_u64_e32 vcc, s[38:39], v[30:31]
	v_cmp_lt_u32_e64 s[30:31], v49, v33
	s_and_b64 vcc, s[30:31], vcc
	v_and_b32_e32 v37, 0xffff, v35
	v_cndmask_b32_e64 v56, v31, v35, s[30:31]
	s_waitcnt lgkmcnt(0)
	v_cndmask_b32_e32 v35, 0, v36, vcc
	v_cmp_gt_u32_e32 vcc, 62, v49
	v_cndmask_b32_e64 v36, 0, 1, vcc
	v_lshlrev_b32_e32 v36, 1, v36
	v_cndmask_b32_e64 v31, v31, v37, s[30:31]
	v_add_lshl_u32 v51, v36, v48, 2
	ds_bpermute_b32 v36, v51, v31
	v_add_u32_e32 v30, v35, v30
	ds_bpermute_b32 v37, v51, v30
	v_and_b32_e32 v35, 1, v56
	v_cmp_eq_u32_e32 vcc, 1, v35
	s_waitcnt lgkmcnt(1)
	v_and_b32_e32 v36, 1, v36
	v_mov_b32_e32 v35, 0
	v_add_u32_e32 v55, 2, v49
	v_cndmask_b32_e64 v36, v36, 1, vcc
	v_cmp_eq_u16_sdwa vcc, v56, v35 src0_sel:BYTE_0 src1_sel:DWORD
	v_and_b32_e32 v57, 0xffff, v36
	s_waitcnt lgkmcnt(0)
	v_cndmask_b32_e32 v37, 0, v37, vcc
	v_cmp_gt_u32_e32 vcc, v55, v33
	v_cndmask_b32_e32 v36, v36, v56, vcc
	v_cndmask_b32_e64 v37, v37, 0, vcc
	v_cndmask_b32_e32 v31, v57, v31, vcc
	v_cmp_gt_u32_e32 vcc, 60, v49
	v_cndmask_b32_e64 v56, 0, 1, vcc
	v_lshlrev_b32_e32 v56, 2, v56
	v_add_lshl_u32 v56, v56, v48, 2
	ds_bpermute_b32 v58, v56, v31
	v_add_u32_e32 v30, v37, v30
	ds_bpermute_b32 v37, v56, v30
	v_and_b32_e32 v59, 1, v36
	v_cmp_eq_u32_e32 vcc, 1, v59
	s_waitcnt lgkmcnt(1)
	v_and_b32_e32 v58, 1, v58
	v_add_u32_e32 v57, 4, v49
	v_cndmask_b32_e64 v58, v58, 1, vcc
	v_cmp_eq_u16_sdwa vcc, v36, v35 src0_sel:BYTE_0 src1_sel:DWORD
	v_and_b32_e32 v59, 0xffff, v58
	s_waitcnt lgkmcnt(0)
	v_cndmask_b32_e32 v37, 0, v37, vcc
	v_cmp_gt_u32_e32 vcc, v57, v33
	v_cndmask_b32_e32 v36, v58, v36, vcc
	v_cndmask_b32_e64 v37, v37, 0, vcc
	v_cndmask_b32_e32 v31, v59, v31, vcc
	v_cmp_gt_u32_e32 vcc, 56, v49
	v_cndmask_b32_e64 v58, 0, 1, vcc
	v_lshlrev_b32_e32 v58, 3, v58
	v_add_lshl_u32 v58, v58, v48, 2
	ds_bpermute_b32 v60, v58, v31
	v_add_u32_e32 v30, v37, v30
	ds_bpermute_b32 v37, v58, v30
	v_and_b32_e32 v61, 1, v36
	v_cmp_eq_u32_e32 vcc, 1, v61
	s_waitcnt lgkmcnt(1)
	v_and_b32_e32 v60, 1, v60
	;; [unrolled: 21-line block ×4, first 2 shown]
	v_add_u32_e32 v64, 32, v49
	v_cndmask_b32_e64 v31, v31, 1, vcc
	v_cmp_eq_u16_sdwa vcc, v36, v35 src0_sel:BYTE_0 src1_sel:DWORD
	s_waitcnt lgkmcnt(0)
	v_cndmask_b32_e32 v37, 0, v37, vcc
	v_cmp_gt_u32_e32 vcc, v64, v33
	v_cndmask_b32_e64 v33, v37, 0, vcc
	v_cndmask_b32_e32 v31, v31, v36, vcc
	v_add_u32_e32 v30, v33, v30
	s_branch .LBB563_106
.LBB563_105:                            ;   in Loop: Header=BB563_106 Depth=1
	s_or_b64 exec, exec, s[30:31]
	v_cmp_eq_u16_sdwa s[30:31], v32, v27 src0_sel:BYTE_0 src1_sel:DWORD
	v_and_b32_e32 v33, s31, v29
	ds_bpermute_b32 v37, v50, v31
	v_or_b32_e32 v33, 0x80000000, v33
	v_and_b32_e32 v36, s30, v28
	v_ffbl_b32_e32 v33, v33
	v_add_u32_e32 v33, 32, v33
	v_ffbl_b32_e32 v36, v36
	v_min_u32_e32 v33, v36, v33
	ds_bpermute_b32 v36, v50, v30
	v_and_b32_e32 v65, 1, v31
	s_waitcnt lgkmcnt(1)
	v_and_b32_e32 v37, 1, v37
	v_cmp_eq_u32_e32 vcc, 1, v65
	v_cndmask_b32_e64 v37, v37, 1, vcc
	v_cmp_gt_u64_e32 vcc, s[38:39], v[30:31]
	v_and_b32_e32 v65, 0xffff, v37
	v_cmp_lt_u32_e64 s[30:31], v49, v33
	v_cndmask_b32_e64 v37, v31, v37, s[30:31]
	v_cndmask_b32_e64 v31, v31, v65, s[30:31]
	s_and_b64 vcc, s[30:31], vcc
	ds_bpermute_b32 v65, v51, v31
	s_waitcnt lgkmcnt(1)
	v_cndmask_b32_e32 v36, 0, v36, vcc
	v_add_u32_e32 v30, v36, v30
	ds_bpermute_b32 v36, v51, v30
	v_and_b32_e32 v66, 1, v37
	s_waitcnt lgkmcnt(1)
	v_and_b32_e32 v65, 1, v65
	v_cmp_eq_u32_e32 vcc, 1, v66
	v_cndmask_b32_e64 v65, v65, 1, vcc
	v_cmp_eq_u16_sdwa vcc, v37, v35 src0_sel:BYTE_0 src1_sel:DWORD
	v_and_b32_e32 v66, 0xffff, v65
	s_waitcnt lgkmcnt(0)
	v_cndmask_b32_e32 v36, 0, v36, vcc
	v_cmp_gt_u32_e32 vcc, v55, v33
	v_cndmask_b32_e32 v31, v66, v31, vcc
	v_cndmask_b32_e32 v37, v65, v37, vcc
	ds_bpermute_b32 v65, v56, v31
	v_cndmask_b32_e64 v36, v36, 0, vcc
	v_add_u32_e32 v30, v36, v30
	ds_bpermute_b32 v36, v56, v30
	v_and_b32_e32 v66, 1, v37
	s_waitcnt lgkmcnt(1)
	v_and_b32_e32 v65, 1, v65
	v_cmp_eq_u32_e32 vcc, 1, v66
	v_cndmask_b32_e64 v65, v65, 1, vcc
	v_cmp_eq_u16_sdwa vcc, v37, v35 src0_sel:BYTE_0 src1_sel:DWORD
	v_and_b32_e32 v66, 0xffff, v65
	s_waitcnt lgkmcnt(0)
	v_cndmask_b32_e32 v36, 0, v36, vcc
	v_cmp_gt_u32_e32 vcc, v57, v33
	v_cndmask_b32_e32 v31, v66, v31, vcc
	v_cndmask_b32_e32 v37, v65, v37, vcc
	ds_bpermute_b32 v65, v58, v31
	v_cndmask_b32_e64 v36, v36, 0, vcc
	;; [unrolled: 16-line block ×3, first 2 shown]
	v_add_u32_e32 v30, v36, v30
	ds_bpermute_b32 v36, v60, v30
	v_and_b32_e32 v66, 1, v37
	s_waitcnt lgkmcnt(1)
	v_and_b32_e32 v65, 1, v65
	v_cmp_eq_u32_e32 vcc, 1, v66
	v_cndmask_b32_e64 v65, v65, 1, vcc
	v_cmp_eq_u16_sdwa vcc, v37, v35 src0_sel:BYTE_0 src1_sel:DWORD
	v_and_b32_e32 v66, 0xffff, v65
	s_waitcnt lgkmcnt(0)
	v_cndmask_b32_e32 v36, 0, v36, vcc
	v_cmp_gt_u32_e32 vcc, v61, v33
	v_cndmask_b32_e64 v36, v36, 0, vcc
	v_cndmask_b32_e32 v31, v66, v31, vcc
	ds_bpermute_b32 v31, v63, v31
	v_add_u32_e32 v30, v36, v30
	ds_bpermute_b32 v36, v63, v30
	v_cndmask_b32_e32 v37, v65, v37, vcc
	v_and_b32_e32 v65, 1, v37
	v_cmp_eq_u32_e32 vcc, 1, v65
	s_waitcnt lgkmcnt(1)
	v_cndmask_b32_e64 v31, v31, 1, vcc
	v_cmp_eq_u16_sdwa vcc, v37, v35 src0_sel:BYTE_0 src1_sel:DWORD
	s_waitcnt lgkmcnt(0)
	v_cndmask_b32_e32 v36, 0, v36, vcc
	v_cmp_gt_u32_e32 vcc, v64, v33
	v_cndmask_b32_e64 v33, v36, 0, vcc
	v_cndmask_b32_e32 v31, v31, v37, vcc
	v_add_u32_e32 v30, v33, v30
	v_cmp_eq_u16_sdwa vcc, v48, v35 src0_sel:BYTE_0 src1_sel:DWORD
	v_and_b32_e32 v33, 1, v48
	v_cndmask_b32_e32 v30, 0, v30, vcc
	v_and_b32_e32 v31, 1, v31
	v_cmp_eq_u32_e32 vcc, 1, v33
	v_subrev_u32_e32 v34, 64, v34
	v_add_u32_e32 v30, v30, v62
	v_cndmask_b32_e64 v31, v31, 1, vcc
.LBB563_106:                            ; =>This Loop Header: Depth=1
                                        ;     Child Loop BB563_109 Depth 2
	v_cmp_ne_u16_sdwa s[30:31], v32, v27 src0_sel:BYTE_0 src1_sel:DWORD
	v_mov_b32_e32 v48, v31
	v_cndmask_b32_e64 v31, 0, 1, s[30:31]
	;;#ASMSTART
	;;#ASMEND
	v_cmp_ne_u32_e32 vcc, 0, v31
	s_cmp_lg_u64 vcc, exec
	v_mov_b32_e32 v62, v30
	s_cbranch_scc1 .LBB563_111
; %bb.107:                              ;   in Loop: Header=BB563_106 Depth=1
	v_lshlrev_b64 v[30:31], 4, v[34:35]
	v_mov_b32_e32 v32, s45
	v_add_co_u32_e32 v36, vcc, s44, v30
	v_addc_co_u32_e32 v37, vcc, v32, v31, vcc
	;;#ASMSTART
	global_load_dwordx4 v[30:33], v[36:37] off glc	
s_waitcnt vmcnt(0)
	;;#ASMEND
	v_and_b32_e32 v33, 0xff0000, v30
	v_or_b32_sdwa v33, v30, v33 dst_sel:DWORD dst_unused:UNUSED_PAD src0_sel:WORD_0 src1_sel:DWORD
	v_and_b32_e32 v30, 0xff000000, v30
	v_and_b32_e32 v31, 0xff, v31
	v_or3_b32 v31, 0, 0, v31
	v_or3_b32 v30, v33, v30, 0
	v_cmp_eq_u16_sdwa s[40:41], v32, v35 src0_sel:BYTE_0 src1_sel:DWORD
	s_and_saveexec_b64 s[30:31], s[40:41]
	s_cbranch_execz .LBB563_105
; %bb.108:                              ;   in Loop: Header=BB563_106 Depth=1
	s_mov_b64 s[40:41], 0
.LBB563_109:                            ;   Parent Loop BB563_106 Depth=1
                                        ; =>  This Inner Loop Header: Depth=2
	;;#ASMSTART
	global_load_dwordx4 v[30:33], v[36:37] off glc	
s_waitcnt vmcnt(0)
	;;#ASMEND
	v_cmp_ne_u16_sdwa s[56:57], v32, v35 src0_sel:BYTE_0 src1_sel:DWORD
	s_or_b64 s[40:41], s[56:57], s[40:41]
	s_andn2_b64 exec, exec, s[40:41]
	s_cbranch_execnz .LBB563_109
; %bb.110:                              ;   in Loop: Header=BB563_106 Depth=1
	s_or_b64 exec, exec, s[40:41]
	v_and_b32_e32 v31, 0xff, v31
	s_branch .LBB563_105
.LBB563_111:                            ;   in Loop: Header=BB563_106 Depth=1
                                        ; implicit-def: $vgpr31
                                        ; implicit-def: $vgpr30
                                        ; implicit-def: $vgpr32
	s_cbranch_execz .LBB563_106
; %bb.112:
	s_and_saveexec_b64 s[30:31], s[28:29]
	s_cbranch_execz .LBB563_114
; %bb.113:
	s_and_b32 s38, s48, 0xff
	s_cmp_eq_u32 s38, 0
	s_cselect_b64 vcc, -1, 0
	s_bitcmp1_b32 s48, 0
	s_mov_b32 s39, 0
	s_cselect_b64 s[40:41], -1, 0
	s_add_i32 s38, s47, 64
	s_lshl_b64 s[38:39], s[38:39], 4
	v_cndmask_b32_e32 v27, 0, v62, vcc
	s_add_u32 s38, s44, s38
	v_add_u32_e32 v26, v27, v26
	v_and_b32_e32 v27, 1, v48
	s_addc_u32 s39, s45, s39
	v_mov_b32_e32 v29, 0
	v_cndmask_b32_e64 v27, v27, 1, s[40:41]
	v_mov_b32_e32 v28, 2
	v_pk_mov_b32 v[30:31], s[38:39], s[38:39] op_sel:[0,1]
	;;#ASMSTART
	global_store_dwordx4 v[30:31], v[26:29] off	
s_waitcnt vmcnt(0)
	;;#ASMEND
.LBB563_114:
	s_or_b64 exec, exec, s[30:31]
	s_and_b64 exec, exec, s[0:1]
	s_cbranch_execz .LBB563_116
; %bb.115:
	v_mov_b32_e32 v26, 0
	ds_write_b32 v26, v62 offset:24
	ds_write_b8 v26, v48 offset:28
.LBB563_116:
	s_or_b64 exec, exec, s[36:37]
	v_mov_b32_e32 v28, 0
	s_waitcnt lgkmcnt(0)
	s_barrier
	ds_read_b32 v26, v28 offset:24
	v_cndmask_b32_e64 v27, v47, v45, s[28:29]
	v_cmp_eq_u16_sdwa vcc, v27, v28 src0_sel:BYTE_0 src1_sel:DWORD
	v_cndmask_b32_e64 v29, v46, v44, s[28:29]
	s_waitcnt lgkmcnt(0)
	v_cndmask_b32_e32 v27, 0, v26, vcc
	v_add_u32_e32 v27, v27, v29
	v_and_b32_e32 v29, 0xff, v41
	v_cndmask_b32_e64 v26, v27, v26, s[0:1]
	v_cmp_eq_u64_e32 vcc, 0, v[28:29]
	v_cndmask_b32_e32 v27, 0, v26, vcc
	v_add_u32_e32 v27, v27, v40
	v_cndmask_b32_e64 v28, 0, v27, s[4:5]
	v_add_u32_e32 v44, v28, v8
	v_cndmask_b32_e64 v28, 0, v44, s[6:7]
	;; [unrolled: 2-line block ×12, first 2 shown]
	v_add_u32_e32 v51, v28, v24
	s_branch .LBB563_143
.LBB563_117:
	s_or_b64 exec, exec, s[30:31]
                                        ; implicit-def: $vgpr14
	s_and_saveexec_b64 s[30:31], s[4:5]
	s_cbranch_execz .LBB563_37
.LBB563_118:
	v_add_co_u32_e32 v14, vcc, v1, v12
	v_addc_co_u32_e32 v15, vcc, 0, v48, vcc
	flat_load_dword v14, v[14:15] offset:1024
	s_or_b64 exec, exec, s[30:31]
                                        ; implicit-def: $vgpr15
	s_and_saveexec_b64 s[4:5], s[6:7]
	s_cbranch_execnz .LBB563_38
.LBB563_119:
	s_or_b64 exec, exec, s[4:5]
                                        ; implicit-def: $vgpr16
	s_and_saveexec_b64 s[4:5], s[8:9]
	s_cbranch_execz .LBB563_39
.LBB563_120:
	v_add_co_u32_e32 v16, vcc, v1, v12
	v_addc_co_u32_e32 v17, vcc, 0, v48, vcc
	flat_load_dword v16, v[16:17] offset:3072
	s_or_b64 exec, exec, s[4:5]
                                        ; implicit-def: $vgpr17
	s_and_saveexec_b64 s[4:5], s[10:11]
	s_cbranch_execnz .LBB563_40
.LBB563_121:
	s_or_b64 exec, exec, s[4:5]
                                        ; implicit-def: $vgpr2
	s_and_saveexec_b64 s[4:5], s[12:13]
	s_cbranch_execz .LBB563_41
.LBB563_122:
	v_add_co_u32_e32 v2, vcc, v1, v3
	v_addc_co_u32_e32 v3, vcc, 0, v48, vcc
	flat_load_dword v2, v[2:3]
	s_or_b64 exec, exec, s[4:5]
                                        ; implicit-def: $vgpr3
	s_and_saveexec_b64 s[4:5], s[14:15]
	s_cbranch_execnz .LBB563_42
.LBB563_123:
	s_or_b64 exec, exec, s[4:5]
                                        ; implicit-def: $vgpr4
	s_and_saveexec_b64 s[4:5], s[16:17]
	s_cbranch_execz .LBB563_43
.LBB563_124:
	v_add_co_u32_e32 v4, vcc, v1, v5
	v_addc_co_u32_e32 v5, vcc, 0, v48, vcc
	flat_load_dword v4, v[4:5]
	s_or_b64 exec, exec, s[4:5]
                                        ; implicit-def: $vgpr5
	s_and_saveexec_b64 s[4:5], s[18:19]
	s_cbranch_execnz .LBB563_44
.LBB563_125:
	s_or_b64 exec, exec, s[4:5]
                                        ; implicit-def: $vgpr6
	s_and_saveexec_b64 s[4:5], s[20:21]
	s_cbranch_execz .LBB563_45
.LBB563_126:
	v_add_co_u32_e32 v6, vcc, v1, v7
	v_addc_co_u32_e32 v7, vcc, 0, v48, vcc
	flat_load_dword v6, v[6:7]
	s_or_b64 exec, exec, s[4:5]
                                        ; implicit-def: $vgpr7
	s_and_saveexec_b64 s[4:5], s[22:23]
	s_cbranch_execnz .LBB563_46
.LBB563_127:
	s_or_b64 exec, exec, s[4:5]
                                        ; implicit-def: $vgpr8
	s_and_saveexec_b64 s[4:5], s[24:25]
	s_cbranch_execz .LBB563_47
.LBB563_128:
	v_add_co_u32_e32 v8, vcc, v1, v9
	v_addc_co_u32_e32 v9, vcc, 0, v48, vcc
	flat_load_dword v8, v[8:9]
	s_or_b64 exec, exec, s[4:5]
                                        ; implicit-def: $vgpr9
	s_and_saveexec_b64 s[4:5], s[26:27]
	s_cbranch_execz .LBB563_49
	s_branch .LBB563_48
.LBB563_129:
                                        ; implicit-def: $vgpr51
                                        ; implicit-def: $vgpr49
                                        ; implicit-def: $vgpr47
                                        ; implicit-def: $vgpr45
                                        ; implicit-def: $vgpr34_vgpr35_vgpr36_vgpr37
                                        ; implicit-def: $vgpr30_vgpr31_vgpr32_vgpr33
                                        ; implicit-def: $vgpr26_vgpr27_vgpr28_vgpr29
	s_cbranch_execz .LBB563_143
; %bb.130:
	s_cmp_lg_u64 s[52:53], 0
	s_cselect_b32 s5, s51, 0
	s_cselect_b32 s4, s50, 0
	s_mov_b32 s26, 0
	s_cmp_eq_u64 s[4:5], 0
	v_mov_b32_e32 v32, s54
	s_cbranch_scc1 .LBB563_132
; %bb.131:
	v_mov_b32_e32 v26, 0
	global_load_dword v32, v26, s[4:5]
.LBB563_132:
	s_mov_b32 s27, 1
	v_cmp_gt_u64_e32 vcc, s[26:27], v[8:9]
	v_cndmask_b32_e32 v27, 0, v40, vcc
	v_add_u32_e32 v27, v27, v8
	v_cmp_gt_u64_e64 s[4:5], s[26:27], v[6:7]
	v_cndmask_b32_e64 v27, 0, v27, s[4:5]
	v_add_u32_e32 v27, v27, v6
	v_cmp_gt_u64_e64 s[6:7], s[26:27], v[4:5]
	v_cndmask_b32_e64 v27, 0, v27, s[6:7]
	;; [unrolled: 3-line block ×11, first 2 shown]
	v_mov_b32_e32 v26, 0
	v_add_u32_e32 v27, v27, v24
	v_cmp_gt_u64_e64 s[26:27], s[26:27], v[42:43]
	v_or3_b32 v7, v23, v15, v7
	v_cndmask_b32_e64 v27, 0, v27, s[26:27]
	v_or3_b32 v9, v25, v17, v9
	v_and_b32_e32 v35, 1, v7
	v_mov_b32_e32 v34, v26
	v_add_u32_e32 v33, v27, v42
	v_and_b32_e32 v27, 1, v43
	v_or3_b32 v3, v19, v11, v3
	v_and_b32_e32 v31, 1, v9
	v_mov_b32_e32 v30, v26
	v_cmp_ne_u64_e64 s[28:29], 0, v[34:35]
	v_cmp_eq_u32_e64 s[26:27], 1, v27
	v_or3_b32 v5, v21, v13, v5
	v_and_b32_e32 v27, 1, v3
	v_cndmask_b32_e64 v3, 0, 1, s[28:29]
	v_cmp_ne_u64_e64 s[28:29], 0, v[30:31]
	v_and_b32_e32 v29, 1, v5
	v_mov_b32_e32 v28, v26
	v_cndmask_b32_e64 v5, 0, 1, s[28:29]
	v_lshlrev_b16_e32 v3, 2, v3
	v_lshlrev_b16_e32 v5, 3, v5
	v_cmp_ne_u64_e64 s[28:29], 0, v[28:29]
	v_or_b32_e32 v3, v5, v3
	v_cndmask_b32_e64 v5, 0, 1, s[28:29]
	v_cmp_ne_u64_e64 s[28:29], 0, v[26:27]
	v_lshlrev_b16_e32 v5, 1, v5
	v_cndmask_b32_e64 v7, 0, 1, s[28:29]
	v_or_b32_e32 v5, v7, v5
	v_and_b32_e32 v5, 3, v5
	v_or_b32_e32 v3, v5, v3
	v_and_b32_e32 v3, 15, v3
	v_cmp_ne_u16_e64 s[28:29], 0, v3
	s_or_b64 s[26:27], s[26:27], s[28:29]
	v_cndmask_b32_e64 v5, v41, 1, s[26:27]
	v_and_b32_e32 v7, 0xff, v5
	v_mov_b32_dpp v11, v33 row_shr:1 row_mask:0xf bank_mask:0xf
	v_cmp_eq_u16_e64 s[26:27], 0, v7
	v_mov_b32_dpp v13, v7 row_shr:1 row_mask:0xf bank_mask:0xf
	v_and_b32_e32 v15, 1, v5
	v_mbcnt_hi_u32_b32 v3, -1, v54
	v_cndmask_b32_e64 v11, 0, v11, s[26:27]
	v_and_b32_e32 v13, 1, v13
	v_cmp_eq_u32_e64 s[26:27], 1, v15
	v_and_b32_e32 v9, 15, v3
	v_cndmask_b32_e64 v13, v13, 1, s[26:27]
	v_and_b32_e32 v15, 0xffff, v13
	v_cmp_eq_u32_e64 s[26:27], 0, v9
	v_cndmask_b32_e64 v5, v13, v5, s[26:27]
	v_cndmask_b32_e64 v7, v15, v7, s[26:27]
	v_and_b32_e32 v17, 1, v5
	v_cndmask_b32_e64 v11, v11, 0, s[26:27]
	v_mov_b32_dpp v15, v7 row_shr:2 row_mask:0xf bank_mask:0xf
	v_and_b32_e32 v15, 1, v15
	v_cmp_eq_u32_e64 s[26:27], 1, v17
	v_cndmask_b32_e64 v15, v15, 1, s[26:27]
	v_and_b32_e32 v17, 0xffff, v15
	v_cmp_lt_u32_e64 s[26:27], 1, v9
	v_add_u32_e32 v11, v11, v33
	v_cmp_eq_u16_sdwa s[28:29], v5, v26 src0_sel:BYTE_0 src1_sel:DWORD
	v_cndmask_b32_e64 v5, v5, v15, s[26:27]
	v_cndmask_b32_e64 v7, v7, v17, s[26:27]
	v_mov_b32_dpp v13, v11 row_shr:2 row_mask:0xf bank_mask:0xf
	s_and_b64 s[26:27], s[26:27], s[28:29]
	v_mov_b32_dpp v15, v7 row_shr:4 row_mask:0xf bank_mask:0xf
	v_and_b32_e32 v17, 1, v5
	v_cndmask_b32_e64 v13, 0, v13, s[26:27]
	v_and_b32_e32 v15, 1, v15
	v_cmp_eq_u32_e64 s[26:27], 1, v17
	v_cndmask_b32_e64 v15, v15, 1, s[26:27]
	v_and_b32_e32 v17, 0xffff, v15
	v_cmp_lt_u32_e64 s[26:27], 3, v9
	v_add_u32_e32 v11, v13, v11
	v_cmp_eq_u16_sdwa s[28:29], v5, v26 src0_sel:BYTE_0 src1_sel:DWORD
	v_cndmask_b32_e64 v5, v5, v15, s[26:27]
	v_cndmask_b32_e64 v7, v7, v17, s[26:27]
	v_mov_b32_dpp v13, v11 row_shr:4 row_mask:0xf bank_mask:0xf
	s_and_b64 s[26:27], s[26:27], s[28:29]
	v_mov_b32_dpp v15, v7 row_shr:8 row_mask:0xf bank_mask:0xf
	v_and_b32_e32 v17, 1, v5
	v_cndmask_b32_e64 v13, 0, v13, s[26:27]
	v_and_b32_e32 v15, 1, v15
	v_cmp_eq_u32_e64 s[26:27], 1, v17
	v_cndmask_b32_e64 v15, v15, 1, s[26:27]
	v_add_u32_e32 v11, v13, v11
	v_cmp_eq_u16_sdwa s[28:29], v5, v26 src0_sel:BYTE_0 src1_sel:DWORD
	v_and_b32_e32 v17, 0xffff, v15
	v_cmp_lt_u32_e64 s[26:27], 7, v9
	v_mov_b32_dpp v13, v11 row_shr:8 row_mask:0xf bank_mask:0xf
	v_cndmask_b32_e64 v5, v5, v15, s[26:27]
	v_cndmask_b32_e64 v7, v7, v17, s[26:27]
	s_and_b64 s[26:27], s[26:27], s[28:29]
	v_cndmask_b32_e64 v9, 0, v13, s[26:27]
	v_add_u32_e32 v9, v9, v11
	v_mov_b32_dpp v13, v7 row_bcast:15 row_mask:0xf bank_mask:0xf
	v_cmp_eq_u16_sdwa s[26:27], v5, v26 src0_sel:BYTE_0 src1_sel:DWORD
	v_mov_b32_dpp v11, v9 row_bcast:15 row_mask:0xf bank_mask:0xf
	v_and_b32_e32 v19, 1, v5
	v_cndmask_b32_e64 v11, 0, v11, s[26:27]
	v_and_b32_e32 v13, 1, v13
	v_cmp_eq_u32_e64 s[26:27], 1, v19
	v_and_b32_e32 v17, 16, v3
	v_cndmask_b32_e64 v13, v13, 1, s[26:27]
	v_and_b32_e32 v19, 0xffff, v13
	v_cmp_eq_u32_e64 s[26:27], 0, v17
	v_cndmask_b32_e64 v5, v13, v5, s[26:27]
	v_cndmask_b32_e64 v7, v19, v7, s[26:27]
	v_bfe_i32 v15, v3, 4, 1
	v_and_b32_e32 v13, 1, v5
	v_mov_b32_dpp v7, v7 row_bcast:31 row_mask:0xf bank_mask:0xf
	v_and_b32_e32 v11, v15, v11
	v_and_b32_e32 v7, 1, v7
	v_cmp_eq_u32_e64 s[26:27], 1, v13
	v_add_u32_e32 v9, v11, v9
	v_cmp_eq_u16_sdwa s[28:29], v5, v26 src0_sel:BYTE_0 src1_sel:DWORD
	v_cndmask_b32_e64 v7, v7, 1, s[26:27]
	v_cmp_lt_u32_e64 s[26:27], 31, v3
	v_mov_b32_dpp v11, v9 row_bcast:31 row_mask:0xf bank_mask:0xf
	v_cndmask_b32_e64 v5, v5, v7, s[26:27]
	s_and_b64 s[26:27], s[26:27], s[28:29]
	v_cndmask_b32_e64 v7, 0, v11, s[26:27]
	v_add_u32_e32 v7, v7, v9
	v_cmp_eq_u32_e64 s[26:27], v53, v0
	s_and_saveexec_b64 s[28:29], s[26:27]
	s_cbranch_execz .LBB563_134
; %bb.133:
	v_lshlrev_b32_e32 v9, 3, v1
	ds_write_b32 v9, v7
	ds_write_b8 v9, v5 offset:4
.LBB563_134:
	s_or_b64 exec, exec, s[28:29]
	v_cmp_gt_u32_e64 s[26:27], 4, v0
	s_waitcnt lgkmcnt(0)
	s_barrier
	s_and_saveexec_b64 s[28:29], s[26:27]
	s_cbranch_execz .LBB563_138
; %bb.135:
	v_lshlrev_b32_e32 v9, 3, v0
	ds_read_b64 v[26:27], v9
	v_and_b32_e32 v11, 3, v3
	v_cmp_ne_u32_e64 s[26:27], 0, v11
	s_waitcnt lgkmcnt(0)
	v_mov_b32_dpp v13, v26 row_shr:1 row_mask:0xf bank_mask:0xf
	v_mov_b32_dpp v17, v27 row_shr:1 row_mask:0xf bank_mask:0xf
	v_mov_b32_e32 v15, v27
	s_and_saveexec_b64 s[30:31], s[26:27]
	s_cbranch_execz .LBB563_137
; %bb.136:
	v_and_b32_e32 v15, 1, v27
	v_and_b32_e32 v17, 1, v17
	v_cmp_eq_u32_e64 s[26:27], 1, v15
	v_mov_b32_e32 v15, 0
	v_cndmask_b32_e64 v17, v17, 1, s[26:27]
	v_cmp_eq_u16_sdwa s[26:27], v27, v15 src0_sel:BYTE_0 src1_sel:DWORD
	v_cndmask_b32_e64 v13, 0, v13, s[26:27]
	v_add_u32_e32 v26, v13, v26
	v_and_b32_e32 v13, 0xffff, v17
	s_movk_i32 s26, 0xff00
	v_and_or_b32 v15, v27, s26, v13
	v_mov_b32_e32 v27, v17
.LBB563_137:
	s_or_b64 exec, exec, s[30:31]
	v_mov_b32_dpp v15, v15 row_shr:2 row_mask:0xf bank_mask:0xf
	v_and_b32_e32 v17, 1, v27
	v_and_b32_e32 v15, 1, v15
	v_cmp_eq_u32_e64 s[26:27], 1, v17
	v_mov_b32_e32 v17, 0
	v_cndmask_b32_e64 v15, v15, 1, s[26:27]
	v_cmp_eq_u16_sdwa s[30:31], v27, v17 src0_sel:BYTE_0 src1_sel:DWORD
	v_cmp_lt_u32_e64 s[26:27], 1, v11
	v_mov_b32_dpp v13, v26 row_shr:2 row_mask:0xf bank_mask:0xf
	v_cndmask_b32_e64 v11, v27, v15, s[26:27]
	s_and_b64 s[26:27], s[26:27], s[30:31]
	v_cndmask_b32_e64 v13, 0, v13, s[26:27]
	v_add_u32_e32 v13, v13, v26
	ds_write_b32 v9, v13
	ds_write_b8 v9, v11 offset:4
.LBB563_138:
	s_or_b64 exec, exec, s[28:29]
	v_cmp_lt_u32_e64 s[26:27], 63, v0
	s_waitcnt vmcnt(0)
	v_mov_b32_e32 v9, v32
	s_waitcnt lgkmcnt(0)
	s_barrier
	s_and_saveexec_b64 s[28:29], s[26:27]
	s_cbranch_execz .LBB563_140
; %bb.139:
	v_lshl_add_u32 v1, v1, 3, -8
	ds_read_u8 v9, v1 offset:4
	ds_read_b32 v1, v1
	s_waitcnt lgkmcnt(1)
	v_cmp_eq_u16_e64 s[26:27], 0, v9
	v_cndmask_b32_e64 v9, 0, v32, s[26:27]
	s_waitcnt lgkmcnt(0)
	v_add_u32_e32 v9, v9, v1
.LBB563_140:
	s_or_b64 exec, exec, s[28:29]
	v_mov_b32_e32 v28, 0
	v_cmp_eq_u16_sdwa s[26:27], v5, v28 src0_sel:BYTE_0 src1_sel:DWORD
	v_cndmask_b32_e64 v1, 0, v9, s[26:27]
	v_add_u32_e32 v1, v1, v7
	v_add_u32_e32 v5, -1, v3
	v_and_b32_e32 v7, 64, v3
	v_cmp_lt_i32_e64 s[26:27], v5, v7
	v_cndmask_b32_e64 v5, v5, v3, s[26:27]
	v_lshlrev_b32_e32 v5, 2, v5
	ds_bpermute_b32 v1, v5, v1
	v_cmp_eq_u32_e64 s[26:27], 0, v3
	v_and_b32_e32 v29, 0xff, v41
	s_waitcnt lgkmcnt(0)
	v_cndmask_b32_e64 v26, v1, v9, s[26:27]
	v_cndmask_b32_e64 v1, v26, v32, s[0:1]
	v_cmp_eq_u64_e64 s[26:27], 0, v[28:29]
	v_cndmask_b32_e64 v1, 0, v1, s[26:27]
	v_add_u32_e32 v27, v1, v40
	v_cndmask_b32_e32 v1, 0, v27, vcc
	v_add_u32_e32 v44, v1, v8
	v_cndmask_b32_e64 v1, 0, v44, s[4:5]
	v_add_u32_e32 v45, v1, v6
	v_cndmask_b32_e64 v1, 0, v45, s[6:7]
	;; [unrolled: 2-line block ×11, first 2 shown]
	s_and_saveexec_b64 s[4:5], s[0:1]
	s_cbranch_execz .LBB563_142
; %bb.141:
	ds_read_u8 v3, v28 offset:28
	ds_read_b32 v2, v28 offset:24
	s_add_u32 s0, s44, 0x400
	s_addc_u32 s1, s45, 0
	v_mov_b32_e32 v5, v28
	s_waitcnt lgkmcnt(1)
	v_cmp_eq_u16_e32 vcc, 0, v3
	v_cndmask_b32_e32 v4, 0, v32, vcc
	s_waitcnt lgkmcnt(0)
	v_add_u32_e32 v2, v4, v2
	v_and_b32_e32 v3, 0xffff, v3
	v_mov_b32_e32 v4, 2
	v_pk_mov_b32 v[6:7], s[0:1], s[0:1] op_sel:[0,1]
	;;#ASMSTART
	global_store_dwordx4 v[6:7], v[2:5] off	
s_waitcnt vmcnt(0)
	;;#ASMEND
	v_mov_b32_e32 v26, v32
.LBB563_142:
	s_or_b64 exec, exec, s[4:5]
	v_add_u32_e32 v51, v1, v24
.LBB563_143:
	s_add_u32 s0, s42, s34
	s_addc_u32 s1, s43, s35
	v_mov_b32_e32 v1, s1
	v_add_co_u32_e32 v18, vcc, s0, v38
	v_addc_co_u32_e32 v19, vcc, v1, v39, vcc
	v_mul_u32_u24_e32 v1, 14, v0
	s_and_b64 vcc, exec, s[2:3]
	v_lshlrev_b32_e32 v2, 2, v1
	s_cbranch_vccz .LBB563_171
; %bb.144:
	s_movk_i32 s0, 0xffcc
	v_mad_i32_i24 v3, v0, s0, v2
	s_barrier
	ds_write2_b64 v2, v[26:27], v[44:45] offset1:1
	ds_write2_b64 v2, v[30:31], v[46:47] offset0:2 offset1:3
	ds_write2_b64 v2, v[34:35], v[48:49] offset0:4 offset1:5
	ds_write_b64 v2, v[50:51] offset:48
	s_waitcnt lgkmcnt(0)
	s_barrier
	ds_read2st64_b32 v[16:17], v3 offset0:4 offset1:8
	ds_read2st64_b32 v[14:15], v3 offset0:12 offset1:16
	;; [unrolled: 1-line block ×6, first 2 shown]
	ds_read_b32 v3, v3 offset:13312
	v_add_co_u32_e32 v6, vcc, v18, v52
	s_add_i32 s33, s33, s46
	v_addc_co_u32_e32 v7, vcc, 0, v19, vcc
	v_mov_b32_e32 v1, 0
	v_cmp_gt_u32_e32 vcc, s33, v0
	s_and_saveexec_b64 s[0:1], vcc
	s_cbranch_execz .LBB563_146
; %bb.145:
	v_mul_i32_i24_e32 v20, 0xffffffcc, v0
	v_add_u32_e32 v20, v2, v20
	ds_read_b32 v20, v20
	s_waitcnt lgkmcnt(0)
	flat_store_dword v[6:7], v20
.LBB563_146:
	s_or_b64 exec, exec, s[0:1]
	v_or_b32_e32 v20, 0x100, v0
	v_cmp_gt_u32_e32 vcc, s33, v20
	s_and_saveexec_b64 s[0:1], vcc
	s_cbranch_execz .LBB563_148
; %bb.147:
	s_waitcnt lgkmcnt(0)
	flat_store_dword v[6:7], v16 offset:1024
.LBB563_148:
	s_or_b64 exec, exec, s[0:1]
	s_waitcnt lgkmcnt(0)
	v_or_b32_e32 v16, 0x200, v0
	v_cmp_gt_u32_e32 vcc, s33, v16
	s_and_saveexec_b64 s[0:1], vcc
	s_cbranch_execz .LBB563_150
; %bb.149:
	flat_store_dword v[6:7], v17 offset:2048
.LBB563_150:
	s_or_b64 exec, exec, s[0:1]
	v_or_b32_e32 v16, 0x300, v0
	v_cmp_gt_u32_e32 vcc, s33, v16
	s_and_saveexec_b64 s[0:1], vcc
	s_cbranch_execz .LBB563_152
; %bb.151:
	flat_store_dword v[6:7], v14 offset:3072
.LBB563_152:
	s_or_b64 exec, exec, s[0:1]
	v_or_b32_e32 v14, 0x400, v0
	v_cmp_gt_u32_e32 vcc, s33, v14
	s_and_saveexec_b64 s[0:1], vcc
	s_cbranch_execz .LBB563_154
; %bb.153:
	v_add_co_u32_e32 v16, vcc, 0x1000, v6
	v_addc_co_u32_e32 v17, vcc, 0, v7, vcc
	flat_store_dword v[16:17], v15
.LBB563_154:
	s_or_b64 exec, exec, s[0:1]
	v_or_b32_e32 v14, 0x500, v0
	v_cmp_gt_u32_e32 vcc, s33, v14
	s_and_saveexec_b64 s[0:1], vcc
	s_cbranch_execz .LBB563_156
; %bb.155:
	v_add_co_u32_e32 v14, vcc, 0x1000, v6
	v_addc_co_u32_e32 v15, vcc, 0, v7, vcc
	flat_store_dword v[14:15], v12 offset:1024
.LBB563_156:
	s_or_b64 exec, exec, s[0:1]
	v_or_b32_e32 v12, 0x600, v0
	v_cmp_gt_u32_e32 vcc, s33, v12
	s_and_saveexec_b64 s[0:1], vcc
	s_cbranch_execz .LBB563_158
; %bb.157:
	v_add_co_u32_e32 v14, vcc, 0x1000, v6
	v_addc_co_u32_e32 v15, vcc, 0, v7, vcc
	flat_store_dword v[14:15], v13 offset:2048
.LBB563_158:
	;; [unrolled: 10-line block ×3, first 2 shown]
	s_or_b64 exec, exec, s[0:1]
	v_or_b32_e32 v10, 0x800, v0
	v_cmp_gt_u32_e32 vcc, s33, v10
	s_and_saveexec_b64 s[0:1], vcc
	s_cbranch_execz .LBB563_162
; %bb.161:
	v_add_co_u32_e32 v12, vcc, 0x2000, v6
	v_addc_co_u32_e32 v13, vcc, 0, v7, vcc
	flat_store_dword v[12:13], v11
.LBB563_162:
	s_or_b64 exec, exec, s[0:1]
	v_or_b32_e32 v10, 0x900, v0
	v_cmp_gt_u32_e32 vcc, s33, v10
	s_and_saveexec_b64 s[0:1], vcc
	s_cbranch_execz .LBB563_164
; %bb.163:
	v_add_co_u32_e32 v10, vcc, 0x2000, v6
	v_addc_co_u32_e32 v11, vcc, 0, v7, vcc
	flat_store_dword v[10:11], v8 offset:1024
.LBB563_164:
	s_or_b64 exec, exec, s[0:1]
	v_or_b32_e32 v8, 0xa00, v0
	v_cmp_gt_u32_e32 vcc, s33, v8
	s_and_saveexec_b64 s[0:1], vcc
	s_cbranch_execz .LBB563_166
; %bb.165:
	v_add_co_u32_e32 v10, vcc, 0x2000, v6
	v_addc_co_u32_e32 v11, vcc, 0, v7, vcc
	flat_store_dword v[10:11], v9 offset:2048
.LBB563_166:
	;; [unrolled: 10-line block ×3, first 2 shown]
	s_or_b64 exec, exec, s[0:1]
	v_or_b32_e32 v4, 0xc00, v0
	v_cmp_gt_u32_e32 vcc, s33, v4
	s_and_saveexec_b64 s[0:1], vcc
	s_cbranch_execz .LBB563_170
; %bb.169:
	v_add_co_u32_e32 v6, vcc, 0x3000, v6
	v_addc_co_u32_e32 v7, vcc, 0, v7, vcc
	flat_store_dword v[6:7], v5
.LBB563_170:
	s_or_b64 exec, exec, s[0:1]
	v_or_b32_e32 v4, 0xd00, v0
	v_cmp_gt_u32_e64 s[0:1], s33, v4
	s_branch .LBB563_173
.LBB563_171:
	s_mov_b64 s[0:1], 0
                                        ; implicit-def: $vgpr3
	s_cbranch_execz .LBB563_173
; %bb.172:
	s_movk_i32 s2, 0xffcc
	s_waitcnt lgkmcnt(0)
	s_barrier
	ds_write2_b64 v2, v[26:27], v[44:45] offset1:1
	ds_write2_b64 v2, v[30:31], v[46:47] offset0:2 offset1:3
	ds_write2_b64 v2, v[34:35], v[48:49] offset0:4 offset1:5
	ds_write_b64 v2, v[50:51] offset:48
	v_mad_i32_i24 v2, v0, s2, v2
	v_add_co_u32_e32 v16, vcc, v18, v52
	s_waitcnt lgkmcnt(0)
	s_barrier
	ds_read2st64_b32 v[4:5], v2 offset1:4
	ds_read2st64_b32 v[6:7], v2 offset0:8 offset1:12
	ds_read2st64_b32 v[8:9], v2 offset0:16 offset1:20
	;; [unrolled: 1-line block ×6, first 2 shown]
	v_addc_co_u32_e32 v17, vcc, 0, v19, vcc
	s_movk_i32 s2, 0x1000
	s_waitcnt lgkmcnt(0)
	flat_store_dword v[16:17], v4
	flat_store_dword v[16:17], v5 offset:1024
	flat_store_dword v[16:17], v6 offset:2048
	;; [unrolled: 1-line block ×3, first 2 shown]
	v_add_co_u32_e32 v4, vcc, s2, v16
	v_addc_co_u32_e32 v5, vcc, 0, v17, vcc
	flat_store_dword v[4:5], v8
	flat_store_dword v[4:5], v9 offset:1024
	flat_store_dword v[4:5], v10 offset:2048
	;; [unrolled: 1-line block ×3, first 2 shown]
	v_add_co_u32_e32 v4, vcc, 0x2000, v16
	v_addc_co_u32_e32 v5, vcc, 0, v17, vcc
	flat_store_dword v[4:5], v12
	flat_store_dword v[4:5], v13 offset:1024
	flat_store_dword v[4:5], v14 offset:2048
	;; [unrolled: 1-line block ×3, first 2 shown]
	v_add_co_u32_e32 v4, vcc, 0x3000, v16
	v_mov_b32_e32 v1, 0
	v_addc_co_u32_e32 v5, vcc, 0, v17, vcc
	s_or_b64 s[0:1], s[0:1], exec
	flat_store_dword v[4:5], v2
.LBB563_173:
	s_and_saveexec_b64 s[2:3], s[0:1]
	s_cbranch_execz .LBB563_175
; %bb.174:
	v_lshlrev_b64 v[0:1], 2, v[0:1]
	v_add_co_u32_e32 v0, vcc, v18, v0
	v_addc_co_u32_e32 v1, vcc, v19, v1, vcc
	v_add_co_u32_e32 v0, vcc, 0x3000, v0
	v_addc_co_u32_e32 v1, vcc, 0, v1, vcc
	flat_store_dword v[0:1], v3 offset:1024
	s_endpgm
.LBB563_175:
	s_endpgm
	.section	.rodata,"a",@progbits
	.p2align	6, 0x0
	.amdhsa_kernel _ZN7rocprim17ROCPRIM_400000_NS6detail17trampoline_kernelINS0_14default_configENS1_27scan_by_key_config_selectorIiiEEZZNS1_16scan_by_key_implILNS1_25lookback_scan_determinismE0ELb1ES3_N6thrust23THRUST_200600_302600_NS6detail15normal_iteratorINS9_10device_ptrIiEEEESE_SE_iNS9_4plusIvEENS9_8equal_toIiEEiEE10hipError_tPvRmT2_T3_T4_T5_mT6_T7_P12ihipStream_tbENKUlT_T0_E_clISt17integral_constantIbLb0EESY_IbLb1EEEEDaSU_SV_EUlSU_E_NS1_11comp_targetILNS1_3genE4ELNS1_11target_archE910ELNS1_3gpuE8ELNS1_3repE0EEENS1_30default_config_static_selectorELNS0_4arch9wavefront6targetE1EEEvT1_
		.amdhsa_group_segment_fixed_size 16384
		.amdhsa_private_segment_fixed_size 0
		.amdhsa_kernarg_size 112
		.amdhsa_user_sgpr_count 6
		.amdhsa_user_sgpr_private_segment_buffer 1
		.amdhsa_user_sgpr_dispatch_ptr 0
		.amdhsa_user_sgpr_queue_ptr 0
		.amdhsa_user_sgpr_kernarg_segment_ptr 1
		.amdhsa_user_sgpr_dispatch_id 0
		.amdhsa_user_sgpr_flat_scratch_init 0
		.amdhsa_user_sgpr_kernarg_preload_length 0
		.amdhsa_user_sgpr_kernarg_preload_offset 0
		.amdhsa_user_sgpr_private_segment_size 0
		.amdhsa_uses_dynamic_stack 0
		.amdhsa_system_sgpr_private_segment_wavefront_offset 0
		.amdhsa_system_sgpr_workgroup_id_x 1
		.amdhsa_system_sgpr_workgroup_id_y 0
		.amdhsa_system_sgpr_workgroup_id_z 0
		.amdhsa_system_sgpr_workgroup_info 0
		.amdhsa_system_vgpr_workitem_id 0
		.amdhsa_next_free_vgpr 67
		.amdhsa_next_free_sgpr 60
		.amdhsa_accum_offset 68
		.amdhsa_reserve_vcc 1
		.amdhsa_reserve_flat_scratch 0
		.amdhsa_float_round_mode_32 0
		.amdhsa_float_round_mode_16_64 0
		.amdhsa_float_denorm_mode_32 3
		.amdhsa_float_denorm_mode_16_64 3
		.amdhsa_dx10_clamp 1
		.amdhsa_ieee_mode 1
		.amdhsa_fp16_overflow 0
		.amdhsa_tg_split 0
		.amdhsa_exception_fp_ieee_invalid_op 0
		.amdhsa_exception_fp_denorm_src 0
		.amdhsa_exception_fp_ieee_div_zero 0
		.amdhsa_exception_fp_ieee_overflow 0
		.amdhsa_exception_fp_ieee_underflow 0
		.amdhsa_exception_fp_ieee_inexact 0
		.amdhsa_exception_int_div_zero 0
	.end_amdhsa_kernel
	.section	.text._ZN7rocprim17ROCPRIM_400000_NS6detail17trampoline_kernelINS0_14default_configENS1_27scan_by_key_config_selectorIiiEEZZNS1_16scan_by_key_implILNS1_25lookback_scan_determinismE0ELb1ES3_N6thrust23THRUST_200600_302600_NS6detail15normal_iteratorINS9_10device_ptrIiEEEESE_SE_iNS9_4plusIvEENS9_8equal_toIiEEiEE10hipError_tPvRmT2_T3_T4_T5_mT6_T7_P12ihipStream_tbENKUlT_T0_E_clISt17integral_constantIbLb0EESY_IbLb1EEEEDaSU_SV_EUlSU_E_NS1_11comp_targetILNS1_3genE4ELNS1_11target_archE910ELNS1_3gpuE8ELNS1_3repE0EEENS1_30default_config_static_selectorELNS0_4arch9wavefront6targetE1EEEvT1_,"axG",@progbits,_ZN7rocprim17ROCPRIM_400000_NS6detail17trampoline_kernelINS0_14default_configENS1_27scan_by_key_config_selectorIiiEEZZNS1_16scan_by_key_implILNS1_25lookback_scan_determinismE0ELb1ES3_N6thrust23THRUST_200600_302600_NS6detail15normal_iteratorINS9_10device_ptrIiEEEESE_SE_iNS9_4plusIvEENS9_8equal_toIiEEiEE10hipError_tPvRmT2_T3_T4_T5_mT6_T7_P12ihipStream_tbENKUlT_T0_E_clISt17integral_constantIbLb0EESY_IbLb1EEEEDaSU_SV_EUlSU_E_NS1_11comp_targetILNS1_3genE4ELNS1_11target_archE910ELNS1_3gpuE8ELNS1_3repE0EEENS1_30default_config_static_selectorELNS0_4arch9wavefront6targetE1EEEvT1_,comdat
.Lfunc_end563:
	.size	_ZN7rocprim17ROCPRIM_400000_NS6detail17trampoline_kernelINS0_14default_configENS1_27scan_by_key_config_selectorIiiEEZZNS1_16scan_by_key_implILNS1_25lookback_scan_determinismE0ELb1ES3_N6thrust23THRUST_200600_302600_NS6detail15normal_iteratorINS9_10device_ptrIiEEEESE_SE_iNS9_4plusIvEENS9_8equal_toIiEEiEE10hipError_tPvRmT2_T3_T4_T5_mT6_T7_P12ihipStream_tbENKUlT_T0_E_clISt17integral_constantIbLb0EESY_IbLb1EEEEDaSU_SV_EUlSU_E_NS1_11comp_targetILNS1_3genE4ELNS1_11target_archE910ELNS1_3gpuE8ELNS1_3repE0EEENS1_30default_config_static_selectorELNS0_4arch9wavefront6targetE1EEEvT1_, .Lfunc_end563-_ZN7rocprim17ROCPRIM_400000_NS6detail17trampoline_kernelINS0_14default_configENS1_27scan_by_key_config_selectorIiiEEZZNS1_16scan_by_key_implILNS1_25lookback_scan_determinismE0ELb1ES3_N6thrust23THRUST_200600_302600_NS6detail15normal_iteratorINS9_10device_ptrIiEEEESE_SE_iNS9_4plusIvEENS9_8equal_toIiEEiEE10hipError_tPvRmT2_T3_T4_T5_mT6_T7_P12ihipStream_tbENKUlT_T0_E_clISt17integral_constantIbLb0EESY_IbLb1EEEEDaSU_SV_EUlSU_E_NS1_11comp_targetILNS1_3genE4ELNS1_11target_archE910ELNS1_3gpuE8ELNS1_3repE0EEENS1_30default_config_static_selectorELNS0_4arch9wavefront6targetE1EEEvT1_
                                        ; -- End function
	.section	.AMDGPU.csdata,"",@progbits
; Kernel info:
; codeLenInByte = 11168
; NumSgprs: 64
; NumVgprs: 67
; NumAgprs: 0
; TotalNumVgprs: 67
; ScratchSize: 0
; MemoryBound: 0
; FloatMode: 240
; IeeeMode: 1
; LDSByteSize: 16384 bytes/workgroup (compile time only)
; SGPRBlocks: 7
; VGPRBlocks: 8
; NumSGPRsForWavesPerEU: 64
; NumVGPRsForWavesPerEU: 67
; AccumOffset: 68
; Occupancy: 4
; WaveLimiterHint : 1
; COMPUTE_PGM_RSRC2:SCRATCH_EN: 0
; COMPUTE_PGM_RSRC2:USER_SGPR: 6
; COMPUTE_PGM_RSRC2:TRAP_HANDLER: 0
; COMPUTE_PGM_RSRC2:TGID_X_EN: 1
; COMPUTE_PGM_RSRC2:TGID_Y_EN: 0
; COMPUTE_PGM_RSRC2:TGID_Z_EN: 0
; COMPUTE_PGM_RSRC2:TIDIG_COMP_CNT: 0
; COMPUTE_PGM_RSRC3_GFX90A:ACCUM_OFFSET: 16
; COMPUTE_PGM_RSRC3_GFX90A:TG_SPLIT: 0
	.section	.text._ZN7rocprim17ROCPRIM_400000_NS6detail17trampoline_kernelINS0_14default_configENS1_27scan_by_key_config_selectorIiiEEZZNS1_16scan_by_key_implILNS1_25lookback_scan_determinismE0ELb1ES3_N6thrust23THRUST_200600_302600_NS6detail15normal_iteratorINS9_10device_ptrIiEEEESE_SE_iNS9_4plusIvEENS9_8equal_toIiEEiEE10hipError_tPvRmT2_T3_T4_T5_mT6_T7_P12ihipStream_tbENKUlT_T0_E_clISt17integral_constantIbLb0EESY_IbLb1EEEEDaSU_SV_EUlSU_E_NS1_11comp_targetILNS1_3genE3ELNS1_11target_archE908ELNS1_3gpuE7ELNS1_3repE0EEENS1_30default_config_static_selectorELNS0_4arch9wavefront6targetE1EEEvT1_,"axG",@progbits,_ZN7rocprim17ROCPRIM_400000_NS6detail17trampoline_kernelINS0_14default_configENS1_27scan_by_key_config_selectorIiiEEZZNS1_16scan_by_key_implILNS1_25lookback_scan_determinismE0ELb1ES3_N6thrust23THRUST_200600_302600_NS6detail15normal_iteratorINS9_10device_ptrIiEEEESE_SE_iNS9_4plusIvEENS9_8equal_toIiEEiEE10hipError_tPvRmT2_T3_T4_T5_mT6_T7_P12ihipStream_tbENKUlT_T0_E_clISt17integral_constantIbLb0EESY_IbLb1EEEEDaSU_SV_EUlSU_E_NS1_11comp_targetILNS1_3genE3ELNS1_11target_archE908ELNS1_3gpuE7ELNS1_3repE0EEENS1_30default_config_static_selectorELNS0_4arch9wavefront6targetE1EEEvT1_,comdat
	.protected	_ZN7rocprim17ROCPRIM_400000_NS6detail17trampoline_kernelINS0_14default_configENS1_27scan_by_key_config_selectorIiiEEZZNS1_16scan_by_key_implILNS1_25lookback_scan_determinismE0ELb1ES3_N6thrust23THRUST_200600_302600_NS6detail15normal_iteratorINS9_10device_ptrIiEEEESE_SE_iNS9_4plusIvEENS9_8equal_toIiEEiEE10hipError_tPvRmT2_T3_T4_T5_mT6_T7_P12ihipStream_tbENKUlT_T0_E_clISt17integral_constantIbLb0EESY_IbLb1EEEEDaSU_SV_EUlSU_E_NS1_11comp_targetILNS1_3genE3ELNS1_11target_archE908ELNS1_3gpuE7ELNS1_3repE0EEENS1_30default_config_static_selectorELNS0_4arch9wavefront6targetE1EEEvT1_ ; -- Begin function _ZN7rocprim17ROCPRIM_400000_NS6detail17trampoline_kernelINS0_14default_configENS1_27scan_by_key_config_selectorIiiEEZZNS1_16scan_by_key_implILNS1_25lookback_scan_determinismE0ELb1ES3_N6thrust23THRUST_200600_302600_NS6detail15normal_iteratorINS9_10device_ptrIiEEEESE_SE_iNS9_4plusIvEENS9_8equal_toIiEEiEE10hipError_tPvRmT2_T3_T4_T5_mT6_T7_P12ihipStream_tbENKUlT_T0_E_clISt17integral_constantIbLb0EESY_IbLb1EEEEDaSU_SV_EUlSU_E_NS1_11comp_targetILNS1_3genE3ELNS1_11target_archE908ELNS1_3gpuE7ELNS1_3repE0EEENS1_30default_config_static_selectorELNS0_4arch9wavefront6targetE1EEEvT1_
	.globl	_ZN7rocprim17ROCPRIM_400000_NS6detail17trampoline_kernelINS0_14default_configENS1_27scan_by_key_config_selectorIiiEEZZNS1_16scan_by_key_implILNS1_25lookback_scan_determinismE0ELb1ES3_N6thrust23THRUST_200600_302600_NS6detail15normal_iteratorINS9_10device_ptrIiEEEESE_SE_iNS9_4plusIvEENS9_8equal_toIiEEiEE10hipError_tPvRmT2_T3_T4_T5_mT6_T7_P12ihipStream_tbENKUlT_T0_E_clISt17integral_constantIbLb0EESY_IbLb1EEEEDaSU_SV_EUlSU_E_NS1_11comp_targetILNS1_3genE3ELNS1_11target_archE908ELNS1_3gpuE7ELNS1_3repE0EEENS1_30default_config_static_selectorELNS0_4arch9wavefront6targetE1EEEvT1_
	.p2align	8
	.type	_ZN7rocprim17ROCPRIM_400000_NS6detail17trampoline_kernelINS0_14default_configENS1_27scan_by_key_config_selectorIiiEEZZNS1_16scan_by_key_implILNS1_25lookback_scan_determinismE0ELb1ES3_N6thrust23THRUST_200600_302600_NS6detail15normal_iteratorINS9_10device_ptrIiEEEESE_SE_iNS9_4plusIvEENS9_8equal_toIiEEiEE10hipError_tPvRmT2_T3_T4_T5_mT6_T7_P12ihipStream_tbENKUlT_T0_E_clISt17integral_constantIbLb0EESY_IbLb1EEEEDaSU_SV_EUlSU_E_NS1_11comp_targetILNS1_3genE3ELNS1_11target_archE908ELNS1_3gpuE7ELNS1_3repE0EEENS1_30default_config_static_selectorELNS0_4arch9wavefront6targetE1EEEvT1_,@function
_ZN7rocprim17ROCPRIM_400000_NS6detail17trampoline_kernelINS0_14default_configENS1_27scan_by_key_config_selectorIiiEEZZNS1_16scan_by_key_implILNS1_25lookback_scan_determinismE0ELb1ES3_N6thrust23THRUST_200600_302600_NS6detail15normal_iteratorINS9_10device_ptrIiEEEESE_SE_iNS9_4plusIvEENS9_8equal_toIiEEiEE10hipError_tPvRmT2_T3_T4_T5_mT6_T7_P12ihipStream_tbENKUlT_T0_E_clISt17integral_constantIbLb0EESY_IbLb1EEEEDaSU_SV_EUlSU_E_NS1_11comp_targetILNS1_3genE3ELNS1_11target_archE908ELNS1_3gpuE7ELNS1_3repE0EEENS1_30default_config_static_selectorELNS0_4arch9wavefront6targetE1EEEvT1_: ; @_ZN7rocprim17ROCPRIM_400000_NS6detail17trampoline_kernelINS0_14default_configENS1_27scan_by_key_config_selectorIiiEEZZNS1_16scan_by_key_implILNS1_25lookback_scan_determinismE0ELb1ES3_N6thrust23THRUST_200600_302600_NS6detail15normal_iteratorINS9_10device_ptrIiEEEESE_SE_iNS9_4plusIvEENS9_8equal_toIiEEiEE10hipError_tPvRmT2_T3_T4_T5_mT6_T7_P12ihipStream_tbENKUlT_T0_E_clISt17integral_constantIbLb0EESY_IbLb1EEEEDaSU_SV_EUlSU_E_NS1_11comp_targetILNS1_3genE3ELNS1_11target_archE908ELNS1_3gpuE7ELNS1_3repE0EEENS1_30default_config_static_selectorELNS0_4arch9wavefront6targetE1EEEvT1_
; %bb.0:
	.section	.rodata,"a",@progbits
	.p2align	6, 0x0
	.amdhsa_kernel _ZN7rocprim17ROCPRIM_400000_NS6detail17trampoline_kernelINS0_14default_configENS1_27scan_by_key_config_selectorIiiEEZZNS1_16scan_by_key_implILNS1_25lookback_scan_determinismE0ELb1ES3_N6thrust23THRUST_200600_302600_NS6detail15normal_iteratorINS9_10device_ptrIiEEEESE_SE_iNS9_4plusIvEENS9_8equal_toIiEEiEE10hipError_tPvRmT2_T3_T4_T5_mT6_T7_P12ihipStream_tbENKUlT_T0_E_clISt17integral_constantIbLb0EESY_IbLb1EEEEDaSU_SV_EUlSU_E_NS1_11comp_targetILNS1_3genE3ELNS1_11target_archE908ELNS1_3gpuE7ELNS1_3repE0EEENS1_30default_config_static_selectorELNS0_4arch9wavefront6targetE1EEEvT1_
		.amdhsa_group_segment_fixed_size 0
		.amdhsa_private_segment_fixed_size 0
		.amdhsa_kernarg_size 112
		.amdhsa_user_sgpr_count 6
		.amdhsa_user_sgpr_private_segment_buffer 1
		.amdhsa_user_sgpr_dispatch_ptr 0
		.amdhsa_user_sgpr_queue_ptr 0
		.amdhsa_user_sgpr_kernarg_segment_ptr 1
		.amdhsa_user_sgpr_dispatch_id 0
		.amdhsa_user_sgpr_flat_scratch_init 0
		.amdhsa_user_sgpr_kernarg_preload_length 0
		.amdhsa_user_sgpr_kernarg_preload_offset 0
		.amdhsa_user_sgpr_private_segment_size 0
		.amdhsa_uses_dynamic_stack 0
		.amdhsa_system_sgpr_private_segment_wavefront_offset 0
		.amdhsa_system_sgpr_workgroup_id_x 1
		.amdhsa_system_sgpr_workgroup_id_y 0
		.amdhsa_system_sgpr_workgroup_id_z 0
		.amdhsa_system_sgpr_workgroup_info 0
		.amdhsa_system_vgpr_workitem_id 0
		.amdhsa_next_free_vgpr 1
		.amdhsa_next_free_sgpr 0
		.amdhsa_accum_offset 4
		.amdhsa_reserve_vcc 0
		.amdhsa_reserve_flat_scratch 0
		.amdhsa_float_round_mode_32 0
		.amdhsa_float_round_mode_16_64 0
		.amdhsa_float_denorm_mode_32 3
		.amdhsa_float_denorm_mode_16_64 3
		.amdhsa_dx10_clamp 1
		.amdhsa_ieee_mode 1
		.amdhsa_fp16_overflow 0
		.amdhsa_tg_split 0
		.amdhsa_exception_fp_ieee_invalid_op 0
		.amdhsa_exception_fp_denorm_src 0
		.amdhsa_exception_fp_ieee_div_zero 0
		.amdhsa_exception_fp_ieee_overflow 0
		.amdhsa_exception_fp_ieee_underflow 0
		.amdhsa_exception_fp_ieee_inexact 0
		.amdhsa_exception_int_div_zero 0
	.end_amdhsa_kernel
	.section	.text._ZN7rocprim17ROCPRIM_400000_NS6detail17trampoline_kernelINS0_14default_configENS1_27scan_by_key_config_selectorIiiEEZZNS1_16scan_by_key_implILNS1_25lookback_scan_determinismE0ELb1ES3_N6thrust23THRUST_200600_302600_NS6detail15normal_iteratorINS9_10device_ptrIiEEEESE_SE_iNS9_4plusIvEENS9_8equal_toIiEEiEE10hipError_tPvRmT2_T3_T4_T5_mT6_T7_P12ihipStream_tbENKUlT_T0_E_clISt17integral_constantIbLb0EESY_IbLb1EEEEDaSU_SV_EUlSU_E_NS1_11comp_targetILNS1_3genE3ELNS1_11target_archE908ELNS1_3gpuE7ELNS1_3repE0EEENS1_30default_config_static_selectorELNS0_4arch9wavefront6targetE1EEEvT1_,"axG",@progbits,_ZN7rocprim17ROCPRIM_400000_NS6detail17trampoline_kernelINS0_14default_configENS1_27scan_by_key_config_selectorIiiEEZZNS1_16scan_by_key_implILNS1_25lookback_scan_determinismE0ELb1ES3_N6thrust23THRUST_200600_302600_NS6detail15normal_iteratorINS9_10device_ptrIiEEEESE_SE_iNS9_4plusIvEENS9_8equal_toIiEEiEE10hipError_tPvRmT2_T3_T4_T5_mT6_T7_P12ihipStream_tbENKUlT_T0_E_clISt17integral_constantIbLb0EESY_IbLb1EEEEDaSU_SV_EUlSU_E_NS1_11comp_targetILNS1_3genE3ELNS1_11target_archE908ELNS1_3gpuE7ELNS1_3repE0EEENS1_30default_config_static_selectorELNS0_4arch9wavefront6targetE1EEEvT1_,comdat
.Lfunc_end564:
	.size	_ZN7rocprim17ROCPRIM_400000_NS6detail17trampoline_kernelINS0_14default_configENS1_27scan_by_key_config_selectorIiiEEZZNS1_16scan_by_key_implILNS1_25lookback_scan_determinismE0ELb1ES3_N6thrust23THRUST_200600_302600_NS6detail15normal_iteratorINS9_10device_ptrIiEEEESE_SE_iNS9_4plusIvEENS9_8equal_toIiEEiEE10hipError_tPvRmT2_T3_T4_T5_mT6_T7_P12ihipStream_tbENKUlT_T0_E_clISt17integral_constantIbLb0EESY_IbLb1EEEEDaSU_SV_EUlSU_E_NS1_11comp_targetILNS1_3genE3ELNS1_11target_archE908ELNS1_3gpuE7ELNS1_3repE0EEENS1_30default_config_static_selectorELNS0_4arch9wavefront6targetE1EEEvT1_, .Lfunc_end564-_ZN7rocprim17ROCPRIM_400000_NS6detail17trampoline_kernelINS0_14default_configENS1_27scan_by_key_config_selectorIiiEEZZNS1_16scan_by_key_implILNS1_25lookback_scan_determinismE0ELb1ES3_N6thrust23THRUST_200600_302600_NS6detail15normal_iteratorINS9_10device_ptrIiEEEESE_SE_iNS9_4plusIvEENS9_8equal_toIiEEiEE10hipError_tPvRmT2_T3_T4_T5_mT6_T7_P12ihipStream_tbENKUlT_T0_E_clISt17integral_constantIbLb0EESY_IbLb1EEEEDaSU_SV_EUlSU_E_NS1_11comp_targetILNS1_3genE3ELNS1_11target_archE908ELNS1_3gpuE7ELNS1_3repE0EEENS1_30default_config_static_selectorELNS0_4arch9wavefront6targetE1EEEvT1_
                                        ; -- End function
	.section	.AMDGPU.csdata,"",@progbits
; Kernel info:
; codeLenInByte = 0
; NumSgprs: 4
; NumVgprs: 0
; NumAgprs: 0
; TotalNumVgprs: 0
; ScratchSize: 0
; MemoryBound: 0
; FloatMode: 240
; IeeeMode: 1
; LDSByteSize: 0 bytes/workgroup (compile time only)
; SGPRBlocks: 0
; VGPRBlocks: 0
; NumSGPRsForWavesPerEU: 4
; NumVGPRsForWavesPerEU: 1
; AccumOffset: 4
; Occupancy: 8
; WaveLimiterHint : 0
; COMPUTE_PGM_RSRC2:SCRATCH_EN: 0
; COMPUTE_PGM_RSRC2:USER_SGPR: 6
; COMPUTE_PGM_RSRC2:TRAP_HANDLER: 0
; COMPUTE_PGM_RSRC2:TGID_X_EN: 1
; COMPUTE_PGM_RSRC2:TGID_Y_EN: 0
; COMPUTE_PGM_RSRC2:TGID_Z_EN: 0
; COMPUTE_PGM_RSRC2:TIDIG_COMP_CNT: 0
; COMPUTE_PGM_RSRC3_GFX90A:ACCUM_OFFSET: 0
; COMPUTE_PGM_RSRC3_GFX90A:TG_SPLIT: 0
	.section	.text._ZN7rocprim17ROCPRIM_400000_NS6detail17trampoline_kernelINS0_14default_configENS1_27scan_by_key_config_selectorIiiEEZZNS1_16scan_by_key_implILNS1_25lookback_scan_determinismE0ELb1ES3_N6thrust23THRUST_200600_302600_NS6detail15normal_iteratorINS9_10device_ptrIiEEEESE_SE_iNS9_4plusIvEENS9_8equal_toIiEEiEE10hipError_tPvRmT2_T3_T4_T5_mT6_T7_P12ihipStream_tbENKUlT_T0_E_clISt17integral_constantIbLb0EESY_IbLb1EEEEDaSU_SV_EUlSU_E_NS1_11comp_targetILNS1_3genE2ELNS1_11target_archE906ELNS1_3gpuE6ELNS1_3repE0EEENS1_30default_config_static_selectorELNS0_4arch9wavefront6targetE1EEEvT1_,"axG",@progbits,_ZN7rocprim17ROCPRIM_400000_NS6detail17trampoline_kernelINS0_14default_configENS1_27scan_by_key_config_selectorIiiEEZZNS1_16scan_by_key_implILNS1_25lookback_scan_determinismE0ELb1ES3_N6thrust23THRUST_200600_302600_NS6detail15normal_iteratorINS9_10device_ptrIiEEEESE_SE_iNS9_4plusIvEENS9_8equal_toIiEEiEE10hipError_tPvRmT2_T3_T4_T5_mT6_T7_P12ihipStream_tbENKUlT_T0_E_clISt17integral_constantIbLb0EESY_IbLb1EEEEDaSU_SV_EUlSU_E_NS1_11comp_targetILNS1_3genE2ELNS1_11target_archE906ELNS1_3gpuE6ELNS1_3repE0EEENS1_30default_config_static_selectorELNS0_4arch9wavefront6targetE1EEEvT1_,comdat
	.protected	_ZN7rocprim17ROCPRIM_400000_NS6detail17trampoline_kernelINS0_14default_configENS1_27scan_by_key_config_selectorIiiEEZZNS1_16scan_by_key_implILNS1_25lookback_scan_determinismE0ELb1ES3_N6thrust23THRUST_200600_302600_NS6detail15normal_iteratorINS9_10device_ptrIiEEEESE_SE_iNS9_4plusIvEENS9_8equal_toIiEEiEE10hipError_tPvRmT2_T3_T4_T5_mT6_T7_P12ihipStream_tbENKUlT_T0_E_clISt17integral_constantIbLb0EESY_IbLb1EEEEDaSU_SV_EUlSU_E_NS1_11comp_targetILNS1_3genE2ELNS1_11target_archE906ELNS1_3gpuE6ELNS1_3repE0EEENS1_30default_config_static_selectorELNS0_4arch9wavefront6targetE1EEEvT1_ ; -- Begin function _ZN7rocprim17ROCPRIM_400000_NS6detail17trampoline_kernelINS0_14default_configENS1_27scan_by_key_config_selectorIiiEEZZNS1_16scan_by_key_implILNS1_25lookback_scan_determinismE0ELb1ES3_N6thrust23THRUST_200600_302600_NS6detail15normal_iteratorINS9_10device_ptrIiEEEESE_SE_iNS9_4plusIvEENS9_8equal_toIiEEiEE10hipError_tPvRmT2_T3_T4_T5_mT6_T7_P12ihipStream_tbENKUlT_T0_E_clISt17integral_constantIbLb0EESY_IbLb1EEEEDaSU_SV_EUlSU_E_NS1_11comp_targetILNS1_3genE2ELNS1_11target_archE906ELNS1_3gpuE6ELNS1_3repE0EEENS1_30default_config_static_selectorELNS0_4arch9wavefront6targetE1EEEvT1_
	.globl	_ZN7rocprim17ROCPRIM_400000_NS6detail17trampoline_kernelINS0_14default_configENS1_27scan_by_key_config_selectorIiiEEZZNS1_16scan_by_key_implILNS1_25lookback_scan_determinismE0ELb1ES3_N6thrust23THRUST_200600_302600_NS6detail15normal_iteratorINS9_10device_ptrIiEEEESE_SE_iNS9_4plusIvEENS9_8equal_toIiEEiEE10hipError_tPvRmT2_T3_T4_T5_mT6_T7_P12ihipStream_tbENKUlT_T0_E_clISt17integral_constantIbLb0EESY_IbLb1EEEEDaSU_SV_EUlSU_E_NS1_11comp_targetILNS1_3genE2ELNS1_11target_archE906ELNS1_3gpuE6ELNS1_3repE0EEENS1_30default_config_static_selectorELNS0_4arch9wavefront6targetE1EEEvT1_
	.p2align	8
	.type	_ZN7rocprim17ROCPRIM_400000_NS6detail17trampoline_kernelINS0_14default_configENS1_27scan_by_key_config_selectorIiiEEZZNS1_16scan_by_key_implILNS1_25lookback_scan_determinismE0ELb1ES3_N6thrust23THRUST_200600_302600_NS6detail15normal_iteratorINS9_10device_ptrIiEEEESE_SE_iNS9_4plusIvEENS9_8equal_toIiEEiEE10hipError_tPvRmT2_T3_T4_T5_mT6_T7_P12ihipStream_tbENKUlT_T0_E_clISt17integral_constantIbLb0EESY_IbLb1EEEEDaSU_SV_EUlSU_E_NS1_11comp_targetILNS1_3genE2ELNS1_11target_archE906ELNS1_3gpuE6ELNS1_3repE0EEENS1_30default_config_static_selectorELNS0_4arch9wavefront6targetE1EEEvT1_,@function
_ZN7rocprim17ROCPRIM_400000_NS6detail17trampoline_kernelINS0_14default_configENS1_27scan_by_key_config_selectorIiiEEZZNS1_16scan_by_key_implILNS1_25lookback_scan_determinismE0ELb1ES3_N6thrust23THRUST_200600_302600_NS6detail15normal_iteratorINS9_10device_ptrIiEEEESE_SE_iNS9_4plusIvEENS9_8equal_toIiEEiEE10hipError_tPvRmT2_T3_T4_T5_mT6_T7_P12ihipStream_tbENKUlT_T0_E_clISt17integral_constantIbLb0EESY_IbLb1EEEEDaSU_SV_EUlSU_E_NS1_11comp_targetILNS1_3genE2ELNS1_11target_archE906ELNS1_3gpuE6ELNS1_3repE0EEENS1_30default_config_static_selectorELNS0_4arch9wavefront6targetE1EEEvT1_: ; @_ZN7rocprim17ROCPRIM_400000_NS6detail17trampoline_kernelINS0_14default_configENS1_27scan_by_key_config_selectorIiiEEZZNS1_16scan_by_key_implILNS1_25lookback_scan_determinismE0ELb1ES3_N6thrust23THRUST_200600_302600_NS6detail15normal_iteratorINS9_10device_ptrIiEEEESE_SE_iNS9_4plusIvEENS9_8equal_toIiEEiEE10hipError_tPvRmT2_T3_T4_T5_mT6_T7_P12ihipStream_tbENKUlT_T0_E_clISt17integral_constantIbLb0EESY_IbLb1EEEEDaSU_SV_EUlSU_E_NS1_11comp_targetILNS1_3genE2ELNS1_11target_archE906ELNS1_3gpuE6ELNS1_3repE0EEENS1_30default_config_static_selectorELNS0_4arch9wavefront6targetE1EEEvT1_
; %bb.0:
	.section	.rodata,"a",@progbits
	.p2align	6, 0x0
	.amdhsa_kernel _ZN7rocprim17ROCPRIM_400000_NS6detail17trampoline_kernelINS0_14default_configENS1_27scan_by_key_config_selectorIiiEEZZNS1_16scan_by_key_implILNS1_25lookback_scan_determinismE0ELb1ES3_N6thrust23THRUST_200600_302600_NS6detail15normal_iteratorINS9_10device_ptrIiEEEESE_SE_iNS9_4plusIvEENS9_8equal_toIiEEiEE10hipError_tPvRmT2_T3_T4_T5_mT6_T7_P12ihipStream_tbENKUlT_T0_E_clISt17integral_constantIbLb0EESY_IbLb1EEEEDaSU_SV_EUlSU_E_NS1_11comp_targetILNS1_3genE2ELNS1_11target_archE906ELNS1_3gpuE6ELNS1_3repE0EEENS1_30default_config_static_selectorELNS0_4arch9wavefront6targetE1EEEvT1_
		.amdhsa_group_segment_fixed_size 0
		.amdhsa_private_segment_fixed_size 0
		.amdhsa_kernarg_size 112
		.amdhsa_user_sgpr_count 6
		.amdhsa_user_sgpr_private_segment_buffer 1
		.amdhsa_user_sgpr_dispatch_ptr 0
		.amdhsa_user_sgpr_queue_ptr 0
		.amdhsa_user_sgpr_kernarg_segment_ptr 1
		.amdhsa_user_sgpr_dispatch_id 0
		.amdhsa_user_sgpr_flat_scratch_init 0
		.amdhsa_user_sgpr_kernarg_preload_length 0
		.amdhsa_user_sgpr_kernarg_preload_offset 0
		.amdhsa_user_sgpr_private_segment_size 0
		.amdhsa_uses_dynamic_stack 0
		.amdhsa_system_sgpr_private_segment_wavefront_offset 0
		.amdhsa_system_sgpr_workgroup_id_x 1
		.amdhsa_system_sgpr_workgroup_id_y 0
		.amdhsa_system_sgpr_workgroup_id_z 0
		.amdhsa_system_sgpr_workgroup_info 0
		.amdhsa_system_vgpr_workitem_id 0
		.amdhsa_next_free_vgpr 1
		.amdhsa_next_free_sgpr 0
		.amdhsa_accum_offset 4
		.amdhsa_reserve_vcc 0
		.amdhsa_reserve_flat_scratch 0
		.amdhsa_float_round_mode_32 0
		.amdhsa_float_round_mode_16_64 0
		.amdhsa_float_denorm_mode_32 3
		.amdhsa_float_denorm_mode_16_64 3
		.amdhsa_dx10_clamp 1
		.amdhsa_ieee_mode 1
		.amdhsa_fp16_overflow 0
		.amdhsa_tg_split 0
		.amdhsa_exception_fp_ieee_invalid_op 0
		.amdhsa_exception_fp_denorm_src 0
		.amdhsa_exception_fp_ieee_div_zero 0
		.amdhsa_exception_fp_ieee_overflow 0
		.amdhsa_exception_fp_ieee_underflow 0
		.amdhsa_exception_fp_ieee_inexact 0
		.amdhsa_exception_int_div_zero 0
	.end_amdhsa_kernel
	.section	.text._ZN7rocprim17ROCPRIM_400000_NS6detail17trampoline_kernelINS0_14default_configENS1_27scan_by_key_config_selectorIiiEEZZNS1_16scan_by_key_implILNS1_25lookback_scan_determinismE0ELb1ES3_N6thrust23THRUST_200600_302600_NS6detail15normal_iteratorINS9_10device_ptrIiEEEESE_SE_iNS9_4plusIvEENS9_8equal_toIiEEiEE10hipError_tPvRmT2_T3_T4_T5_mT6_T7_P12ihipStream_tbENKUlT_T0_E_clISt17integral_constantIbLb0EESY_IbLb1EEEEDaSU_SV_EUlSU_E_NS1_11comp_targetILNS1_3genE2ELNS1_11target_archE906ELNS1_3gpuE6ELNS1_3repE0EEENS1_30default_config_static_selectorELNS0_4arch9wavefront6targetE1EEEvT1_,"axG",@progbits,_ZN7rocprim17ROCPRIM_400000_NS6detail17trampoline_kernelINS0_14default_configENS1_27scan_by_key_config_selectorIiiEEZZNS1_16scan_by_key_implILNS1_25lookback_scan_determinismE0ELb1ES3_N6thrust23THRUST_200600_302600_NS6detail15normal_iteratorINS9_10device_ptrIiEEEESE_SE_iNS9_4plusIvEENS9_8equal_toIiEEiEE10hipError_tPvRmT2_T3_T4_T5_mT6_T7_P12ihipStream_tbENKUlT_T0_E_clISt17integral_constantIbLb0EESY_IbLb1EEEEDaSU_SV_EUlSU_E_NS1_11comp_targetILNS1_3genE2ELNS1_11target_archE906ELNS1_3gpuE6ELNS1_3repE0EEENS1_30default_config_static_selectorELNS0_4arch9wavefront6targetE1EEEvT1_,comdat
.Lfunc_end565:
	.size	_ZN7rocprim17ROCPRIM_400000_NS6detail17trampoline_kernelINS0_14default_configENS1_27scan_by_key_config_selectorIiiEEZZNS1_16scan_by_key_implILNS1_25lookback_scan_determinismE0ELb1ES3_N6thrust23THRUST_200600_302600_NS6detail15normal_iteratorINS9_10device_ptrIiEEEESE_SE_iNS9_4plusIvEENS9_8equal_toIiEEiEE10hipError_tPvRmT2_T3_T4_T5_mT6_T7_P12ihipStream_tbENKUlT_T0_E_clISt17integral_constantIbLb0EESY_IbLb1EEEEDaSU_SV_EUlSU_E_NS1_11comp_targetILNS1_3genE2ELNS1_11target_archE906ELNS1_3gpuE6ELNS1_3repE0EEENS1_30default_config_static_selectorELNS0_4arch9wavefront6targetE1EEEvT1_, .Lfunc_end565-_ZN7rocprim17ROCPRIM_400000_NS6detail17trampoline_kernelINS0_14default_configENS1_27scan_by_key_config_selectorIiiEEZZNS1_16scan_by_key_implILNS1_25lookback_scan_determinismE0ELb1ES3_N6thrust23THRUST_200600_302600_NS6detail15normal_iteratorINS9_10device_ptrIiEEEESE_SE_iNS9_4plusIvEENS9_8equal_toIiEEiEE10hipError_tPvRmT2_T3_T4_T5_mT6_T7_P12ihipStream_tbENKUlT_T0_E_clISt17integral_constantIbLb0EESY_IbLb1EEEEDaSU_SV_EUlSU_E_NS1_11comp_targetILNS1_3genE2ELNS1_11target_archE906ELNS1_3gpuE6ELNS1_3repE0EEENS1_30default_config_static_selectorELNS0_4arch9wavefront6targetE1EEEvT1_
                                        ; -- End function
	.section	.AMDGPU.csdata,"",@progbits
; Kernel info:
; codeLenInByte = 0
; NumSgprs: 4
; NumVgprs: 0
; NumAgprs: 0
; TotalNumVgprs: 0
; ScratchSize: 0
; MemoryBound: 0
; FloatMode: 240
; IeeeMode: 1
; LDSByteSize: 0 bytes/workgroup (compile time only)
; SGPRBlocks: 0
; VGPRBlocks: 0
; NumSGPRsForWavesPerEU: 4
; NumVGPRsForWavesPerEU: 1
; AccumOffset: 4
; Occupancy: 8
; WaveLimiterHint : 0
; COMPUTE_PGM_RSRC2:SCRATCH_EN: 0
; COMPUTE_PGM_RSRC2:USER_SGPR: 6
; COMPUTE_PGM_RSRC2:TRAP_HANDLER: 0
; COMPUTE_PGM_RSRC2:TGID_X_EN: 1
; COMPUTE_PGM_RSRC2:TGID_Y_EN: 0
; COMPUTE_PGM_RSRC2:TGID_Z_EN: 0
; COMPUTE_PGM_RSRC2:TIDIG_COMP_CNT: 0
; COMPUTE_PGM_RSRC3_GFX90A:ACCUM_OFFSET: 0
; COMPUTE_PGM_RSRC3_GFX90A:TG_SPLIT: 0
	.section	.text._ZN7rocprim17ROCPRIM_400000_NS6detail17trampoline_kernelINS0_14default_configENS1_27scan_by_key_config_selectorIiiEEZZNS1_16scan_by_key_implILNS1_25lookback_scan_determinismE0ELb1ES3_N6thrust23THRUST_200600_302600_NS6detail15normal_iteratorINS9_10device_ptrIiEEEESE_SE_iNS9_4plusIvEENS9_8equal_toIiEEiEE10hipError_tPvRmT2_T3_T4_T5_mT6_T7_P12ihipStream_tbENKUlT_T0_E_clISt17integral_constantIbLb0EESY_IbLb1EEEEDaSU_SV_EUlSU_E_NS1_11comp_targetILNS1_3genE10ELNS1_11target_archE1200ELNS1_3gpuE4ELNS1_3repE0EEENS1_30default_config_static_selectorELNS0_4arch9wavefront6targetE1EEEvT1_,"axG",@progbits,_ZN7rocprim17ROCPRIM_400000_NS6detail17trampoline_kernelINS0_14default_configENS1_27scan_by_key_config_selectorIiiEEZZNS1_16scan_by_key_implILNS1_25lookback_scan_determinismE0ELb1ES3_N6thrust23THRUST_200600_302600_NS6detail15normal_iteratorINS9_10device_ptrIiEEEESE_SE_iNS9_4plusIvEENS9_8equal_toIiEEiEE10hipError_tPvRmT2_T3_T4_T5_mT6_T7_P12ihipStream_tbENKUlT_T0_E_clISt17integral_constantIbLb0EESY_IbLb1EEEEDaSU_SV_EUlSU_E_NS1_11comp_targetILNS1_3genE10ELNS1_11target_archE1200ELNS1_3gpuE4ELNS1_3repE0EEENS1_30default_config_static_selectorELNS0_4arch9wavefront6targetE1EEEvT1_,comdat
	.protected	_ZN7rocprim17ROCPRIM_400000_NS6detail17trampoline_kernelINS0_14default_configENS1_27scan_by_key_config_selectorIiiEEZZNS1_16scan_by_key_implILNS1_25lookback_scan_determinismE0ELb1ES3_N6thrust23THRUST_200600_302600_NS6detail15normal_iteratorINS9_10device_ptrIiEEEESE_SE_iNS9_4plusIvEENS9_8equal_toIiEEiEE10hipError_tPvRmT2_T3_T4_T5_mT6_T7_P12ihipStream_tbENKUlT_T0_E_clISt17integral_constantIbLb0EESY_IbLb1EEEEDaSU_SV_EUlSU_E_NS1_11comp_targetILNS1_3genE10ELNS1_11target_archE1200ELNS1_3gpuE4ELNS1_3repE0EEENS1_30default_config_static_selectorELNS0_4arch9wavefront6targetE1EEEvT1_ ; -- Begin function _ZN7rocprim17ROCPRIM_400000_NS6detail17trampoline_kernelINS0_14default_configENS1_27scan_by_key_config_selectorIiiEEZZNS1_16scan_by_key_implILNS1_25lookback_scan_determinismE0ELb1ES3_N6thrust23THRUST_200600_302600_NS6detail15normal_iteratorINS9_10device_ptrIiEEEESE_SE_iNS9_4plusIvEENS9_8equal_toIiEEiEE10hipError_tPvRmT2_T3_T4_T5_mT6_T7_P12ihipStream_tbENKUlT_T0_E_clISt17integral_constantIbLb0EESY_IbLb1EEEEDaSU_SV_EUlSU_E_NS1_11comp_targetILNS1_3genE10ELNS1_11target_archE1200ELNS1_3gpuE4ELNS1_3repE0EEENS1_30default_config_static_selectorELNS0_4arch9wavefront6targetE1EEEvT1_
	.globl	_ZN7rocprim17ROCPRIM_400000_NS6detail17trampoline_kernelINS0_14default_configENS1_27scan_by_key_config_selectorIiiEEZZNS1_16scan_by_key_implILNS1_25lookback_scan_determinismE0ELb1ES3_N6thrust23THRUST_200600_302600_NS6detail15normal_iteratorINS9_10device_ptrIiEEEESE_SE_iNS9_4plusIvEENS9_8equal_toIiEEiEE10hipError_tPvRmT2_T3_T4_T5_mT6_T7_P12ihipStream_tbENKUlT_T0_E_clISt17integral_constantIbLb0EESY_IbLb1EEEEDaSU_SV_EUlSU_E_NS1_11comp_targetILNS1_3genE10ELNS1_11target_archE1200ELNS1_3gpuE4ELNS1_3repE0EEENS1_30default_config_static_selectorELNS0_4arch9wavefront6targetE1EEEvT1_
	.p2align	8
	.type	_ZN7rocprim17ROCPRIM_400000_NS6detail17trampoline_kernelINS0_14default_configENS1_27scan_by_key_config_selectorIiiEEZZNS1_16scan_by_key_implILNS1_25lookback_scan_determinismE0ELb1ES3_N6thrust23THRUST_200600_302600_NS6detail15normal_iteratorINS9_10device_ptrIiEEEESE_SE_iNS9_4plusIvEENS9_8equal_toIiEEiEE10hipError_tPvRmT2_T3_T4_T5_mT6_T7_P12ihipStream_tbENKUlT_T0_E_clISt17integral_constantIbLb0EESY_IbLb1EEEEDaSU_SV_EUlSU_E_NS1_11comp_targetILNS1_3genE10ELNS1_11target_archE1200ELNS1_3gpuE4ELNS1_3repE0EEENS1_30default_config_static_selectorELNS0_4arch9wavefront6targetE1EEEvT1_,@function
_ZN7rocprim17ROCPRIM_400000_NS6detail17trampoline_kernelINS0_14default_configENS1_27scan_by_key_config_selectorIiiEEZZNS1_16scan_by_key_implILNS1_25lookback_scan_determinismE0ELb1ES3_N6thrust23THRUST_200600_302600_NS6detail15normal_iteratorINS9_10device_ptrIiEEEESE_SE_iNS9_4plusIvEENS9_8equal_toIiEEiEE10hipError_tPvRmT2_T3_T4_T5_mT6_T7_P12ihipStream_tbENKUlT_T0_E_clISt17integral_constantIbLb0EESY_IbLb1EEEEDaSU_SV_EUlSU_E_NS1_11comp_targetILNS1_3genE10ELNS1_11target_archE1200ELNS1_3gpuE4ELNS1_3repE0EEENS1_30default_config_static_selectorELNS0_4arch9wavefront6targetE1EEEvT1_: ; @_ZN7rocprim17ROCPRIM_400000_NS6detail17trampoline_kernelINS0_14default_configENS1_27scan_by_key_config_selectorIiiEEZZNS1_16scan_by_key_implILNS1_25lookback_scan_determinismE0ELb1ES3_N6thrust23THRUST_200600_302600_NS6detail15normal_iteratorINS9_10device_ptrIiEEEESE_SE_iNS9_4plusIvEENS9_8equal_toIiEEiEE10hipError_tPvRmT2_T3_T4_T5_mT6_T7_P12ihipStream_tbENKUlT_T0_E_clISt17integral_constantIbLb0EESY_IbLb1EEEEDaSU_SV_EUlSU_E_NS1_11comp_targetILNS1_3genE10ELNS1_11target_archE1200ELNS1_3gpuE4ELNS1_3repE0EEENS1_30default_config_static_selectorELNS0_4arch9wavefront6targetE1EEEvT1_
; %bb.0:
	.section	.rodata,"a",@progbits
	.p2align	6, 0x0
	.amdhsa_kernel _ZN7rocprim17ROCPRIM_400000_NS6detail17trampoline_kernelINS0_14default_configENS1_27scan_by_key_config_selectorIiiEEZZNS1_16scan_by_key_implILNS1_25lookback_scan_determinismE0ELb1ES3_N6thrust23THRUST_200600_302600_NS6detail15normal_iteratorINS9_10device_ptrIiEEEESE_SE_iNS9_4plusIvEENS9_8equal_toIiEEiEE10hipError_tPvRmT2_T3_T4_T5_mT6_T7_P12ihipStream_tbENKUlT_T0_E_clISt17integral_constantIbLb0EESY_IbLb1EEEEDaSU_SV_EUlSU_E_NS1_11comp_targetILNS1_3genE10ELNS1_11target_archE1200ELNS1_3gpuE4ELNS1_3repE0EEENS1_30default_config_static_selectorELNS0_4arch9wavefront6targetE1EEEvT1_
		.amdhsa_group_segment_fixed_size 0
		.amdhsa_private_segment_fixed_size 0
		.amdhsa_kernarg_size 112
		.amdhsa_user_sgpr_count 6
		.amdhsa_user_sgpr_private_segment_buffer 1
		.amdhsa_user_sgpr_dispatch_ptr 0
		.amdhsa_user_sgpr_queue_ptr 0
		.amdhsa_user_sgpr_kernarg_segment_ptr 1
		.amdhsa_user_sgpr_dispatch_id 0
		.amdhsa_user_sgpr_flat_scratch_init 0
		.amdhsa_user_sgpr_kernarg_preload_length 0
		.amdhsa_user_sgpr_kernarg_preload_offset 0
		.amdhsa_user_sgpr_private_segment_size 0
		.amdhsa_uses_dynamic_stack 0
		.amdhsa_system_sgpr_private_segment_wavefront_offset 0
		.amdhsa_system_sgpr_workgroup_id_x 1
		.amdhsa_system_sgpr_workgroup_id_y 0
		.amdhsa_system_sgpr_workgroup_id_z 0
		.amdhsa_system_sgpr_workgroup_info 0
		.amdhsa_system_vgpr_workitem_id 0
		.amdhsa_next_free_vgpr 1
		.amdhsa_next_free_sgpr 0
		.amdhsa_accum_offset 4
		.amdhsa_reserve_vcc 0
		.amdhsa_reserve_flat_scratch 0
		.amdhsa_float_round_mode_32 0
		.amdhsa_float_round_mode_16_64 0
		.amdhsa_float_denorm_mode_32 3
		.amdhsa_float_denorm_mode_16_64 3
		.amdhsa_dx10_clamp 1
		.amdhsa_ieee_mode 1
		.amdhsa_fp16_overflow 0
		.amdhsa_tg_split 0
		.amdhsa_exception_fp_ieee_invalid_op 0
		.amdhsa_exception_fp_denorm_src 0
		.amdhsa_exception_fp_ieee_div_zero 0
		.amdhsa_exception_fp_ieee_overflow 0
		.amdhsa_exception_fp_ieee_underflow 0
		.amdhsa_exception_fp_ieee_inexact 0
		.amdhsa_exception_int_div_zero 0
	.end_amdhsa_kernel
	.section	.text._ZN7rocprim17ROCPRIM_400000_NS6detail17trampoline_kernelINS0_14default_configENS1_27scan_by_key_config_selectorIiiEEZZNS1_16scan_by_key_implILNS1_25lookback_scan_determinismE0ELb1ES3_N6thrust23THRUST_200600_302600_NS6detail15normal_iteratorINS9_10device_ptrIiEEEESE_SE_iNS9_4plusIvEENS9_8equal_toIiEEiEE10hipError_tPvRmT2_T3_T4_T5_mT6_T7_P12ihipStream_tbENKUlT_T0_E_clISt17integral_constantIbLb0EESY_IbLb1EEEEDaSU_SV_EUlSU_E_NS1_11comp_targetILNS1_3genE10ELNS1_11target_archE1200ELNS1_3gpuE4ELNS1_3repE0EEENS1_30default_config_static_selectorELNS0_4arch9wavefront6targetE1EEEvT1_,"axG",@progbits,_ZN7rocprim17ROCPRIM_400000_NS6detail17trampoline_kernelINS0_14default_configENS1_27scan_by_key_config_selectorIiiEEZZNS1_16scan_by_key_implILNS1_25lookback_scan_determinismE0ELb1ES3_N6thrust23THRUST_200600_302600_NS6detail15normal_iteratorINS9_10device_ptrIiEEEESE_SE_iNS9_4plusIvEENS9_8equal_toIiEEiEE10hipError_tPvRmT2_T3_T4_T5_mT6_T7_P12ihipStream_tbENKUlT_T0_E_clISt17integral_constantIbLb0EESY_IbLb1EEEEDaSU_SV_EUlSU_E_NS1_11comp_targetILNS1_3genE10ELNS1_11target_archE1200ELNS1_3gpuE4ELNS1_3repE0EEENS1_30default_config_static_selectorELNS0_4arch9wavefront6targetE1EEEvT1_,comdat
.Lfunc_end566:
	.size	_ZN7rocprim17ROCPRIM_400000_NS6detail17trampoline_kernelINS0_14default_configENS1_27scan_by_key_config_selectorIiiEEZZNS1_16scan_by_key_implILNS1_25lookback_scan_determinismE0ELb1ES3_N6thrust23THRUST_200600_302600_NS6detail15normal_iteratorINS9_10device_ptrIiEEEESE_SE_iNS9_4plusIvEENS9_8equal_toIiEEiEE10hipError_tPvRmT2_T3_T4_T5_mT6_T7_P12ihipStream_tbENKUlT_T0_E_clISt17integral_constantIbLb0EESY_IbLb1EEEEDaSU_SV_EUlSU_E_NS1_11comp_targetILNS1_3genE10ELNS1_11target_archE1200ELNS1_3gpuE4ELNS1_3repE0EEENS1_30default_config_static_selectorELNS0_4arch9wavefront6targetE1EEEvT1_, .Lfunc_end566-_ZN7rocprim17ROCPRIM_400000_NS6detail17trampoline_kernelINS0_14default_configENS1_27scan_by_key_config_selectorIiiEEZZNS1_16scan_by_key_implILNS1_25lookback_scan_determinismE0ELb1ES3_N6thrust23THRUST_200600_302600_NS6detail15normal_iteratorINS9_10device_ptrIiEEEESE_SE_iNS9_4plusIvEENS9_8equal_toIiEEiEE10hipError_tPvRmT2_T3_T4_T5_mT6_T7_P12ihipStream_tbENKUlT_T0_E_clISt17integral_constantIbLb0EESY_IbLb1EEEEDaSU_SV_EUlSU_E_NS1_11comp_targetILNS1_3genE10ELNS1_11target_archE1200ELNS1_3gpuE4ELNS1_3repE0EEENS1_30default_config_static_selectorELNS0_4arch9wavefront6targetE1EEEvT1_
                                        ; -- End function
	.section	.AMDGPU.csdata,"",@progbits
; Kernel info:
; codeLenInByte = 0
; NumSgprs: 4
; NumVgprs: 0
; NumAgprs: 0
; TotalNumVgprs: 0
; ScratchSize: 0
; MemoryBound: 0
; FloatMode: 240
; IeeeMode: 1
; LDSByteSize: 0 bytes/workgroup (compile time only)
; SGPRBlocks: 0
; VGPRBlocks: 0
; NumSGPRsForWavesPerEU: 4
; NumVGPRsForWavesPerEU: 1
; AccumOffset: 4
; Occupancy: 8
; WaveLimiterHint : 0
; COMPUTE_PGM_RSRC2:SCRATCH_EN: 0
; COMPUTE_PGM_RSRC2:USER_SGPR: 6
; COMPUTE_PGM_RSRC2:TRAP_HANDLER: 0
; COMPUTE_PGM_RSRC2:TGID_X_EN: 1
; COMPUTE_PGM_RSRC2:TGID_Y_EN: 0
; COMPUTE_PGM_RSRC2:TGID_Z_EN: 0
; COMPUTE_PGM_RSRC2:TIDIG_COMP_CNT: 0
; COMPUTE_PGM_RSRC3_GFX90A:ACCUM_OFFSET: 0
; COMPUTE_PGM_RSRC3_GFX90A:TG_SPLIT: 0
	.section	.text._ZN7rocprim17ROCPRIM_400000_NS6detail17trampoline_kernelINS0_14default_configENS1_27scan_by_key_config_selectorIiiEEZZNS1_16scan_by_key_implILNS1_25lookback_scan_determinismE0ELb1ES3_N6thrust23THRUST_200600_302600_NS6detail15normal_iteratorINS9_10device_ptrIiEEEESE_SE_iNS9_4plusIvEENS9_8equal_toIiEEiEE10hipError_tPvRmT2_T3_T4_T5_mT6_T7_P12ihipStream_tbENKUlT_T0_E_clISt17integral_constantIbLb0EESY_IbLb1EEEEDaSU_SV_EUlSU_E_NS1_11comp_targetILNS1_3genE9ELNS1_11target_archE1100ELNS1_3gpuE3ELNS1_3repE0EEENS1_30default_config_static_selectorELNS0_4arch9wavefront6targetE1EEEvT1_,"axG",@progbits,_ZN7rocprim17ROCPRIM_400000_NS6detail17trampoline_kernelINS0_14default_configENS1_27scan_by_key_config_selectorIiiEEZZNS1_16scan_by_key_implILNS1_25lookback_scan_determinismE0ELb1ES3_N6thrust23THRUST_200600_302600_NS6detail15normal_iteratorINS9_10device_ptrIiEEEESE_SE_iNS9_4plusIvEENS9_8equal_toIiEEiEE10hipError_tPvRmT2_T3_T4_T5_mT6_T7_P12ihipStream_tbENKUlT_T0_E_clISt17integral_constantIbLb0EESY_IbLb1EEEEDaSU_SV_EUlSU_E_NS1_11comp_targetILNS1_3genE9ELNS1_11target_archE1100ELNS1_3gpuE3ELNS1_3repE0EEENS1_30default_config_static_selectorELNS0_4arch9wavefront6targetE1EEEvT1_,comdat
	.protected	_ZN7rocprim17ROCPRIM_400000_NS6detail17trampoline_kernelINS0_14default_configENS1_27scan_by_key_config_selectorIiiEEZZNS1_16scan_by_key_implILNS1_25lookback_scan_determinismE0ELb1ES3_N6thrust23THRUST_200600_302600_NS6detail15normal_iteratorINS9_10device_ptrIiEEEESE_SE_iNS9_4plusIvEENS9_8equal_toIiEEiEE10hipError_tPvRmT2_T3_T4_T5_mT6_T7_P12ihipStream_tbENKUlT_T0_E_clISt17integral_constantIbLb0EESY_IbLb1EEEEDaSU_SV_EUlSU_E_NS1_11comp_targetILNS1_3genE9ELNS1_11target_archE1100ELNS1_3gpuE3ELNS1_3repE0EEENS1_30default_config_static_selectorELNS0_4arch9wavefront6targetE1EEEvT1_ ; -- Begin function _ZN7rocprim17ROCPRIM_400000_NS6detail17trampoline_kernelINS0_14default_configENS1_27scan_by_key_config_selectorIiiEEZZNS1_16scan_by_key_implILNS1_25lookback_scan_determinismE0ELb1ES3_N6thrust23THRUST_200600_302600_NS6detail15normal_iteratorINS9_10device_ptrIiEEEESE_SE_iNS9_4plusIvEENS9_8equal_toIiEEiEE10hipError_tPvRmT2_T3_T4_T5_mT6_T7_P12ihipStream_tbENKUlT_T0_E_clISt17integral_constantIbLb0EESY_IbLb1EEEEDaSU_SV_EUlSU_E_NS1_11comp_targetILNS1_3genE9ELNS1_11target_archE1100ELNS1_3gpuE3ELNS1_3repE0EEENS1_30default_config_static_selectorELNS0_4arch9wavefront6targetE1EEEvT1_
	.globl	_ZN7rocprim17ROCPRIM_400000_NS6detail17trampoline_kernelINS0_14default_configENS1_27scan_by_key_config_selectorIiiEEZZNS1_16scan_by_key_implILNS1_25lookback_scan_determinismE0ELb1ES3_N6thrust23THRUST_200600_302600_NS6detail15normal_iteratorINS9_10device_ptrIiEEEESE_SE_iNS9_4plusIvEENS9_8equal_toIiEEiEE10hipError_tPvRmT2_T3_T4_T5_mT6_T7_P12ihipStream_tbENKUlT_T0_E_clISt17integral_constantIbLb0EESY_IbLb1EEEEDaSU_SV_EUlSU_E_NS1_11comp_targetILNS1_3genE9ELNS1_11target_archE1100ELNS1_3gpuE3ELNS1_3repE0EEENS1_30default_config_static_selectorELNS0_4arch9wavefront6targetE1EEEvT1_
	.p2align	8
	.type	_ZN7rocprim17ROCPRIM_400000_NS6detail17trampoline_kernelINS0_14default_configENS1_27scan_by_key_config_selectorIiiEEZZNS1_16scan_by_key_implILNS1_25lookback_scan_determinismE0ELb1ES3_N6thrust23THRUST_200600_302600_NS6detail15normal_iteratorINS9_10device_ptrIiEEEESE_SE_iNS9_4plusIvEENS9_8equal_toIiEEiEE10hipError_tPvRmT2_T3_T4_T5_mT6_T7_P12ihipStream_tbENKUlT_T0_E_clISt17integral_constantIbLb0EESY_IbLb1EEEEDaSU_SV_EUlSU_E_NS1_11comp_targetILNS1_3genE9ELNS1_11target_archE1100ELNS1_3gpuE3ELNS1_3repE0EEENS1_30default_config_static_selectorELNS0_4arch9wavefront6targetE1EEEvT1_,@function
_ZN7rocprim17ROCPRIM_400000_NS6detail17trampoline_kernelINS0_14default_configENS1_27scan_by_key_config_selectorIiiEEZZNS1_16scan_by_key_implILNS1_25lookback_scan_determinismE0ELb1ES3_N6thrust23THRUST_200600_302600_NS6detail15normal_iteratorINS9_10device_ptrIiEEEESE_SE_iNS9_4plusIvEENS9_8equal_toIiEEiEE10hipError_tPvRmT2_T3_T4_T5_mT6_T7_P12ihipStream_tbENKUlT_T0_E_clISt17integral_constantIbLb0EESY_IbLb1EEEEDaSU_SV_EUlSU_E_NS1_11comp_targetILNS1_3genE9ELNS1_11target_archE1100ELNS1_3gpuE3ELNS1_3repE0EEENS1_30default_config_static_selectorELNS0_4arch9wavefront6targetE1EEEvT1_: ; @_ZN7rocprim17ROCPRIM_400000_NS6detail17trampoline_kernelINS0_14default_configENS1_27scan_by_key_config_selectorIiiEEZZNS1_16scan_by_key_implILNS1_25lookback_scan_determinismE0ELb1ES3_N6thrust23THRUST_200600_302600_NS6detail15normal_iteratorINS9_10device_ptrIiEEEESE_SE_iNS9_4plusIvEENS9_8equal_toIiEEiEE10hipError_tPvRmT2_T3_T4_T5_mT6_T7_P12ihipStream_tbENKUlT_T0_E_clISt17integral_constantIbLb0EESY_IbLb1EEEEDaSU_SV_EUlSU_E_NS1_11comp_targetILNS1_3genE9ELNS1_11target_archE1100ELNS1_3gpuE3ELNS1_3repE0EEENS1_30default_config_static_selectorELNS0_4arch9wavefront6targetE1EEEvT1_
; %bb.0:
	.section	.rodata,"a",@progbits
	.p2align	6, 0x0
	.amdhsa_kernel _ZN7rocprim17ROCPRIM_400000_NS6detail17trampoline_kernelINS0_14default_configENS1_27scan_by_key_config_selectorIiiEEZZNS1_16scan_by_key_implILNS1_25lookback_scan_determinismE0ELb1ES3_N6thrust23THRUST_200600_302600_NS6detail15normal_iteratorINS9_10device_ptrIiEEEESE_SE_iNS9_4plusIvEENS9_8equal_toIiEEiEE10hipError_tPvRmT2_T3_T4_T5_mT6_T7_P12ihipStream_tbENKUlT_T0_E_clISt17integral_constantIbLb0EESY_IbLb1EEEEDaSU_SV_EUlSU_E_NS1_11comp_targetILNS1_3genE9ELNS1_11target_archE1100ELNS1_3gpuE3ELNS1_3repE0EEENS1_30default_config_static_selectorELNS0_4arch9wavefront6targetE1EEEvT1_
		.amdhsa_group_segment_fixed_size 0
		.amdhsa_private_segment_fixed_size 0
		.amdhsa_kernarg_size 112
		.amdhsa_user_sgpr_count 6
		.amdhsa_user_sgpr_private_segment_buffer 1
		.amdhsa_user_sgpr_dispatch_ptr 0
		.amdhsa_user_sgpr_queue_ptr 0
		.amdhsa_user_sgpr_kernarg_segment_ptr 1
		.amdhsa_user_sgpr_dispatch_id 0
		.amdhsa_user_sgpr_flat_scratch_init 0
		.amdhsa_user_sgpr_kernarg_preload_length 0
		.amdhsa_user_sgpr_kernarg_preload_offset 0
		.amdhsa_user_sgpr_private_segment_size 0
		.amdhsa_uses_dynamic_stack 0
		.amdhsa_system_sgpr_private_segment_wavefront_offset 0
		.amdhsa_system_sgpr_workgroup_id_x 1
		.amdhsa_system_sgpr_workgroup_id_y 0
		.amdhsa_system_sgpr_workgroup_id_z 0
		.amdhsa_system_sgpr_workgroup_info 0
		.amdhsa_system_vgpr_workitem_id 0
		.amdhsa_next_free_vgpr 1
		.amdhsa_next_free_sgpr 0
		.amdhsa_accum_offset 4
		.amdhsa_reserve_vcc 0
		.amdhsa_reserve_flat_scratch 0
		.amdhsa_float_round_mode_32 0
		.amdhsa_float_round_mode_16_64 0
		.amdhsa_float_denorm_mode_32 3
		.amdhsa_float_denorm_mode_16_64 3
		.amdhsa_dx10_clamp 1
		.amdhsa_ieee_mode 1
		.amdhsa_fp16_overflow 0
		.amdhsa_tg_split 0
		.amdhsa_exception_fp_ieee_invalid_op 0
		.amdhsa_exception_fp_denorm_src 0
		.amdhsa_exception_fp_ieee_div_zero 0
		.amdhsa_exception_fp_ieee_overflow 0
		.amdhsa_exception_fp_ieee_underflow 0
		.amdhsa_exception_fp_ieee_inexact 0
		.amdhsa_exception_int_div_zero 0
	.end_amdhsa_kernel
	.section	.text._ZN7rocprim17ROCPRIM_400000_NS6detail17trampoline_kernelINS0_14default_configENS1_27scan_by_key_config_selectorIiiEEZZNS1_16scan_by_key_implILNS1_25lookback_scan_determinismE0ELb1ES3_N6thrust23THRUST_200600_302600_NS6detail15normal_iteratorINS9_10device_ptrIiEEEESE_SE_iNS9_4plusIvEENS9_8equal_toIiEEiEE10hipError_tPvRmT2_T3_T4_T5_mT6_T7_P12ihipStream_tbENKUlT_T0_E_clISt17integral_constantIbLb0EESY_IbLb1EEEEDaSU_SV_EUlSU_E_NS1_11comp_targetILNS1_3genE9ELNS1_11target_archE1100ELNS1_3gpuE3ELNS1_3repE0EEENS1_30default_config_static_selectorELNS0_4arch9wavefront6targetE1EEEvT1_,"axG",@progbits,_ZN7rocprim17ROCPRIM_400000_NS6detail17trampoline_kernelINS0_14default_configENS1_27scan_by_key_config_selectorIiiEEZZNS1_16scan_by_key_implILNS1_25lookback_scan_determinismE0ELb1ES3_N6thrust23THRUST_200600_302600_NS6detail15normal_iteratorINS9_10device_ptrIiEEEESE_SE_iNS9_4plusIvEENS9_8equal_toIiEEiEE10hipError_tPvRmT2_T3_T4_T5_mT6_T7_P12ihipStream_tbENKUlT_T0_E_clISt17integral_constantIbLb0EESY_IbLb1EEEEDaSU_SV_EUlSU_E_NS1_11comp_targetILNS1_3genE9ELNS1_11target_archE1100ELNS1_3gpuE3ELNS1_3repE0EEENS1_30default_config_static_selectorELNS0_4arch9wavefront6targetE1EEEvT1_,comdat
.Lfunc_end567:
	.size	_ZN7rocprim17ROCPRIM_400000_NS6detail17trampoline_kernelINS0_14default_configENS1_27scan_by_key_config_selectorIiiEEZZNS1_16scan_by_key_implILNS1_25lookback_scan_determinismE0ELb1ES3_N6thrust23THRUST_200600_302600_NS6detail15normal_iteratorINS9_10device_ptrIiEEEESE_SE_iNS9_4plusIvEENS9_8equal_toIiEEiEE10hipError_tPvRmT2_T3_T4_T5_mT6_T7_P12ihipStream_tbENKUlT_T0_E_clISt17integral_constantIbLb0EESY_IbLb1EEEEDaSU_SV_EUlSU_E_NS1_11comp_targetILNS1_3genE9ELNS1_11target_archE1100ELNS1_3gpuE3ELNS1_3repE0EEENS1_30default_config_static_selectorELNS0_4arch9wavefront6targetE1EEEvT1_, .Lfunc_end567-_ZN7rocprim17ROCPRIM_400000_NS6detail17trampoline_kernelINS0_14default_configENS1_27scan_by_key_config_selectorIiiEEZZNS1_16scan_by_key_implILNS1_25lookback_scan_determinismE0ELb1ES3_N6thrust23THRUST_200600_302600_NS6detail15normal_iteratorINS9_10device_ptrIiEEEESE_SE_iNS9_4plusIvEENS9_8equal_toIiEEiEE10hipError_tPvRmT2_T3_T4_T5_mT6_T7_P12ihipStream_tbENKUlT_T0_E_clISt17integral_constantIbLb0EESY_IbLb1EEEEDaSU_SV_EUlSU_E_NS1_11comp_targetILNS1_3genE9ELNS1_11target_archE1100ELNS1_3gpuE3ELNS1_3repE0EEENS1_30default_config_static_selectorELNS0_4arch9wavefront6targetE1EEEvT1_
                                        ; -- End function
	.section	.AMDGPU.csdata,"",@progbits
; Kernel info:
; codeLenInByte = 0
; NumSgprs: 4
; NumVgprs: 0
; NumAgprs: 0
; TotalNumVgprs: 0
; ScratchSize: 0
; MemoryBound: 0
; FloatMode: 240
; IeeeMode: 1
; LDSByteSize: 0 bytes/workgroup (compile time only)
; SGPRBlocks: 0
; VGPRBlocks: 0
; NumSGPRsForWavesPerEU: 4
; NumVGPRsForWavesPerEU: 1
; AccumOffset: 4
; Occupancy: 8
; WaveLimiterHint : 0
; COMPUTE_PGM_RSRC2:SCRATCH_EN: 0
; COMPUTE_PGM_RSRC2:USER_SGPR: 6
; COMPUTE_PGM_RSRC2:TRAP_HANDLER: 0
; COMPUTE_PGM_RSRC2:TGID_X_EN: 1
; COMPUTE_PGM_RSRC2:TGID_Y_EN: 0
; COMPUTE_PGM_RSRC2:TGID_Z_EN: 0
; COMPUTE_PGM_RSRC2:TIDIG_COMP_CNT: 0
; COMPUTE_PGM_RSRC3_GFX90A:ACCUM_OFFSET: 0
; COMPUTE_PGM_RSRC3_GFX90A:TG_SPLIT: 0
	.section	.text._ZN7rocprim17ROCPRIM_400000_NS6detail17trampoline_kernelINS0_14default_configENS1_27scan_by_key_config_selectorIiiEEZZNS1_16scan_by_key_implILNS1_25lookback_scan_determinismE0ELb1ES3_N6thrust23THRUST_200600_302600_NS6detail15normal_iteratorINS9_10device_ptrIiEEEESE_SE_iNS9_4plusIvEENS9_8equal_toIiEEiEE10hipError_tPvRmT2_T3_T4_T5_mT6_T7_P12ihipStream_tbENKUlT_T0_E_clISt17integral_constantIbLb0EESY_IbLb1EEEEDaSU_SV_EUlSU_E_NS1_11comp_targetILNS1_3genE8ELNS1_11target_archE1030ELNS1_3gpuE2ELNS1_3repE0EEENS1_30default_config_static_selectorELNS0_4arch9wavefront6targetE1EEEvT1_,"axG",@progbits,_ZN7rocprim17ROCPRIM_400000_NS6detail17trampoline_kernelINS0_14default_configENS1_27scan_by_key_config_selectorIiiEEZZNS1_16scan_by_key_implILNS1_25lookback_scan_determinismE0ELb1ES3_N6thrust23THRUST_200600_302600_NS6detail15normal_iteratorINS9_10device_ptrIiEEEESE_SE_iNS9_4plusIvEENS9_8equal_toIiEEiEE10hipError_tPvRmT2_T3_T4_T5_mT6_T7_P12ihipStream_tbENKUlT_T0_E_clISt17integral_constantIbLb0EESY_IbLb1EEEEDaSU_SV_EUlSU_E_NS1_11comp_targetILNS1_3genE8ELNS1_11target_archE1030ELNS1_3gpuE2ELNS1_3repE0EEENS1_30default_config_static_selectorELNS0_4arch9wavefront6targetE1EEEvT1_,comdat
	.protected	_ZN7rocprim17ROCPRIM_400000_NS6detail17trampoline_kernelINS0_14default_configENS1_27scan_by_key_config_selectorIiiEEZZNS1_16scan_by_key_implILNS1_25lookback_scan_determinismE0ELb1ES3_N6thrust23THRUST_200600_302600_NS6detail15normal_iteratorINS9_10device_ptrIiEEEESE_SE_iNS9_4plusIvEENS9_8equal_toIiEEiEE10hipError_tPvRmT2_T3_T4_T5_mT6_T7_P12ihipStream_tbENKUlT_T0_E_clISt17integral_constantIbLb0EESY_IbLb1EEEEDaSU_SV_EUlSU_E_NS1_11comp_targetILNS1_3genE8ELNS1_11target_archE1030ELNS1_3gpuE2ELNS1_3repE0EEENS1_30default_config_static_selectorELNS0_4arch9wavefront6targetE1EEEvT1_ ; -- Begin function _ZN7rocprim17ROCPRIM_400000_NS6detail17trampoline_kernelINS0_14default_configENS1_27scan_by_key_config_selectorIiiEEZZNS1_16scan_by_key_implILNS1_25lookback_scan_determinismE0ELb1ES3_N6thrust23THRUST_200600_302600_NS6detail15normal_iteratorINS9_10device_ptrIiEEEESE_SE_iNS9_4plusIvEENS9_8equal_toIiEEiEE10hipError_tPvRmT2_T3_T4_T5_mT6_T7_P12ihipStream_tbENKUlT_T0_E_clISt17integral_constantIbLb0EESY_IbLb1EEEEDaSU_SV_EUlSU_E_NS1_11comp_targetILNS1_3genE8ELNS1_11target_archE1030ELNS1_3gpuE2ELNS1_3repE0EEENS1_30default_config_static_selectorELNS0_4arch9wavefront6targetE1EEEvT1_
	.globl	_ZN7rocprim17ROCPRIM_400000_NS6detail17trampoline_kernelINS0_14default_configENS1_27scan_by_key_config_selectorIiiEEZZNS1_16scan_by_key_implILNS1_25lookback_scan_determinismE0ELb1ES3_N6thrust23THRUST_200600_302600_NS6detail15normal_iteratorINS9_10device_ptrIiEEEESE_SE_iNS9_4plusIvEENS9_8equal_toIiEEiEE10hipError_tPvRmT2_T3_T4_T5_mT6_T7_P12ihipStream_tbENKUlT_T0_E_clISt17integral_constantIbLb0EESY_IbLb1EEEEDaSU_SV_EUlSU_E_NS1_11comp_targetILNS1_3genE8ELNS1_11target_archE1030ELNS1_3gpuE2ELNS1_3repE0EEENS1_30default_config_static_selectorELNS0_4arch9wavefront6targetE1EEEvT1_
	.p2align	8
	.type	_ZN7rocprim17ROCPRIM_400000_NS6detail17trampoline_kernelINS0_14default_configENS1_27scan_by_key_config_selectorIiiEEZZNS1_16scan_by_key_implILNS1_25lookback_scan_determinismE0ELb1ES3_N6thrust23THRUST_200600_302600_NS6detail15normal_iteratorINS9_10device_ptrIiEEEESE_SE_iNS9_4plusIvEENS9_8equal_toIiEEiEE10hipError_tPvRmT2_T3_T4_T5_mT6_T7_P12ihipStream_tbENKUlT_T0_E_clISt17integral_constantIbLb0EESY_IbLb1EEEEDaSU_SV_EUlSU_E_NS1_11comp_targetILNS1_3genE8ELNS1_11target_archE1030ELNS1_3gpuE2ELNS1_3repE0EEENS1_30default_config_static_selectorELNS0_4arch9wavefront6targetE1EEEvT1_,@function
_ZN7rocprim17ROCPRIM_400000_NS6detail17trampoline_kernelINS0_14default_configENS1_27scan_by_key_config_selectorIiiEEZZNS1_16scan_by_key_implILNS1_25lookback_scan_determinismE0ELb1ES3_N6thrust23THRUST_200600_302600_NS6detail15normal_iteratorINS9_10device_ptrIiEEEESE_SE_iNS9_4plusIvEENS9_8equal_toIiEEiEE10hipError_tPvRmT2_T3_T4_T5_mT6_T7_P12ihipStream_tbENKUlT_T0_E_clISt17integral_constantIbLb0EESY_IbLb1EEEEDaSU_SV_EUlSU_E_NS1_11comp_targetILNS1_3genE8ELNS1_11target_archE1030ELNS1_3gpuE2ELNS1_3repE0EEENS1_30default_config_static_selectorELNS0_4arch9wavefront6targetE1EEEvT1_: ; @_ZN7rocprim17ROCPRIM_400000_NS6detail17trampoline_kernelINS0_14default_configENS1_27scan_by_key_config_selectorIiiEEZZNS1_16scan_by_key_implILNS1_25lookback_scan_determinismE0ELb1ES3_N6thrust23THRUST_200600_302600_NS6detail15normal_iteratorINS9_10device_ptrIiEEEESE_SE_iNS9_4plusIvEENS9_8equal_toIiEEiEE10hipError_tPvRmT2_T3_T4_T5_mT6_T7_P12ihipStream_tbENKUlT_T0_E_clISt17integral_constantIbLb0EESY_IbLb1EEEEDaSU_SV_EUlSU_E_NS1_11comp_targetILNS1_3genE8ELNS1_11target_archE1030ELNS1_3gpuE2ELNS1_3repE0EEENS1_30default_config_static_selectorELNS0_4arch9wavefront6targetE1EEEvT1_
; %bb.0:
	.section	.rodata,"a",@progbits
	.p2align	6, 0x0
	.amdhsa_kernel _ZN7rocprim17ROCPRIM_400000_NS6detail17trampoline_kernelINS0_14default_configENS1_27scan_by_key_config_selectorIiiEEZZNS1_16scan_by_key_implILNS1_25lookback_scan_determinismE0ELb1ES3_N6thrust23THRUST_200600_302600_NS6detail15normal_iteratorINS9_10device_ptrIiEEEESE_SE_iNS9_4plusIvEENS9_8equal_toIiEEiEE10hipError_tPvRmT2_T3_T4_T5_mT6_T7_P12ihipStream_tbENKUlT_T0_E_clISt17integral_constantIbLb0EESY_IbLb1EEEEDaSU_SV_EUlSU_E_NS1_11comp_targetILNS1_3genE8ELNS1_11target_archE1030ELNS1_3gpuE2ELNS1_3repE0EEENS1_30default_config_static_selectorELNS0_4arch9wavefront6targetE1EEEvT1_
		.amdhsa_group_segment_fixed_size 0
		.amdhsa_private_segment_fixed_size 0
		.amdhsa_kernarg_size 112
		.amdhsa_user_sgpr_count 6
		.amdhsa_user_sgpr_private_segment_buffer 1
		.amdhsa_user_sgpr_dispatch_ptr 0
		.amdhsa_user_sgpr_queue_ptr 0
		.amdhsa_user_sgpr_kernarg_segment_ptr 1
		.amdhsa_user_sgpr_dispatch_id 0
		.amdhsa_user_sgpr_flat_scratch_init 0
		.amdhsa_user_sgpr_kernarg_preload_length 0
		.amdhsa_user_sgpr_kernarg_preload_offset 0
		.amdhsa_user_sgpr_private_segment_size 0
		.amdhsa_uses_dynamic_stack 0
		.amdhsa_system_sgpr_private_segment_wavefront_offset 0
		.amdhsa_system_sgpr_workgroup_id_x 1
		.amdhsa_system_sgpr_workgroup_id_y 0
		.amdhsa_system_sgpr_workgroup_id_z 0
		.amdhsa_system_sgpr_workgroup_info 0
		.amdhsa_system_vgpr_workitem_id 0
		.amdhsa_next_free_vgpr 1
		.amdhsa_next_free_sgpr 0
		.amdhsa_accum_offset 4
		.amdhsa_reserve_vcc 0
		.amdhsa_reserve_flat_scratch 0
		.amdhsa_float_round_mode_32 0
		.amdhsa_float_round_mode_16_64 0
		.amdhsa_float_denorm_mode_32 3
		.amdhsa_float_denorm_mode_16_64 3
		.amdhsa_dx10_clamp 1
		.amdhsa_ieee_mode 1
		.amdhsa_fp16_overflow 0
		.amdhsa_tg_split 0
		.amdhsa_exception_fp_ieee_invalid_op 0
		.amdhsa_exception_fp_denorm_src 0
		.amdhsa_exception_fp_ieee_div_zero 0
		.amdhsa_exception_fp_ieee_overflow 0
		.amdhsa_exception_fp_ieee_underflow 0
		.amdhsa_exception_fp_ieee_inexact 0
		.amdhsa_exception_int_div_zero 0
	.end_amdhsa_kernel
	.section	.text._ZN7rocprim17ROCPRIM_400000_NS6detail17trampoline_kernelINS0_14default_configENS1_27scan_by_key_config_selectorIiiEEZZNS1_16scan_by_key_implILNS1_25lookback_scan_determinismE0ELb1ES3_N6thrust23THRUST_200600_302600_NS6detail15normal_iteratorINS9_10device_ptrIiEEEESE_SE_iNS9_4plusIvEENS9_8equal_toIiEEiEE10hipError_tPvRmT2_T3_T4_T5_mT6_T7_P12ihipStream_tbENKUlT_T0_E_clISt17integral_constantIbLb0EESY_IbLb1EEEEDaSU_SV_EUlSU_E_NS1_11comp_targetILNS1_3genE8ELNS1_11target_archE1030ELNS1_3gpuE2ELNS1_3repE0EEENS1_30default_config_static_selectorELNS0_4arch9wavefront6targetE1EEEvT1_,"axG",@progbits,_ZN7rocprim17ROCPRIM_400000_NS6detail17trampoline_kernelINS0_14default_configENS1_27scan_by_key_config_selectorIiiEEZZNS1_16scan_by_key_implILNS1_25lookback_scan_determinismE0ELb1ES3_N6thrust23THRUST_200600_302600_NS6detail15normal_iteratorINS9_10device_ptrIiEEEESE_SE_iNS9_4plusIvEENS9_8equal_toIiEEiEE10hipError_tPvRmT2_T3_T4_T5_mT6_T7_P12ihipStream_tbENKUlT_T0_E_clISt17integral_constantIbLb0EESY_IbLb1EEEEDaSU_SV_EUlSU_E_NS1_11comp_targetILNS1_3genE8ELNS1_11target_archE1030ELNS1_3gpuE2ELNS1_3repE0EEENS1_30default_config_static_selectorELNS0_4arch9wavefront6targetE1EEEvT1_,comdat
.Lfunc_end568:
	.size	_ZN7rocprim17ROCPRIM_400000_NS6detail17trampoline_kernelINS0_14default_configENS1_27scan_by_key_config_selectorIiiEEZZNS1_16scan_by_key_implILNS1_25lookback_scan_determinismE0ELb1ES3_N6thrust23THRUST_200600_302600_NS6detail15normal_iteratorINS9_10device_ptrIiEEEESE_SE_iNS9_4plusIvEENS9_8equal_toIiEEiEE10hipError_tPvRmT2_T3_T4_T5_mT6_T7_P12ihipStream_tbENKUlT_T0_E_clISt17integral_constantIbLb0EESY_IbLb1EEEEDaSU_SV_EUlSU_E_NS1_11comp_targetILNS1_3genE8ELNS1_11target_archE1030ELNS1_3gpuE2ELNS1_3repE0EEENS1_30default_config_static_selectorELNS0_4arch9wavefront6targetE1EEEvT1_, .Lfunc_end568-_ZN7rocprim17ROCPRIM_400000_NS6detail17trampoline_kernelINS0_14default_configENS1_27scan_by_key_config_selectorIiiEEZZNS1_16scan_by_key_implILNS1_25lookback_scan_determinismE0ELb1ES3_N6thrust23THRUST_200600_302600_NS6detail15normal_iteratorINS9_10device_ptrIiEEEESE_SE_iNS9_4plusIvEENS9_8equal_toIiEEiEE10hipError_tPvRmT2_T3_T4_T5_mT6_T7_P12ihipStream_tbENKUlT_T0_E_clISt17integral_constantIbLb0EESY_IbLb1EEEEDaSU_SV_EUlSU_E_NS1_11comp_targetILNS1_3genE8ELNS1_11target_archE1030ELNS1_3gpuE2ELNS1_3repE0EEENS1_30default_config_static_selectorELNS0_4arch9wavefront6targetE1EEEvT1_
                                        ; -- End function
	.section	.AMDGPU.csdata,"",@progbits
; Kernel info:
; codeLenInByte = 0
; NumSgprs: 4
; NumVgprs: 0
; NumAgprs: 0
; TotalNumVgprs: 0
; ScratchSize: 0
; MemoryBound: 0
; FloatMode: 240
; IeeeMode: 1
; LDSByteSize: 0 bytes/workgroup (compile time only)
; SGPRBlocks: 0
; VGPRBlocks: 0
; NumSGPRsForWavesPerEU: 4
; NumVGPRsForWavesPerEU: 1
; AccumOffset: 4
; Occupancy: 8
; WaveLimiterHint : 0
; COMPUTE_PGM_RSRC2:SCRATCH_EN: 0
; COMPUTE_PGM_RSRC2:USER_SGPR: 6
; COMPUTE_PGM_RSRC2:TRAP_HANDLER: 0
; COMPUTE_PGM_RSRC2:TGID_X_EN: 1
; COMPUTE_PGM_RSRC2:TGID_Y_EN: 0
; COMPUTE_PGM_RSRC2:TGID_Z_EN: 0
; COMPUTE_PGM_RSRC2:TIDIG_COMP_CNT: 0
; COMPUTE_PGM_RSRC3_GFX90A:ACCUM_OFFSET: 0
; COMPUTE_PGM_RSRC3_GFX90A:TG_SPLIT: 0
	.section	.text._ZN7rocprim17ROCPRIM_400000_NS6detail17trampoline_kernelINS0_14default_configENS1_27scan_by_key_config_selectorIssEEZZNS1_16scan_by_key_implILNS1_25lookback_scan_determinismE0ELb1ES3_N6thrust23THRUST_200600_302600_NS6detail15normal_iteratorINS9_10device_ptrIsEEEESE_SE_sNS9_4plusIvEENS9_8equal_toIvEEsEE10hipError_tPvRmT2_T3_T4_T5_mT6_T7_P12ihipStream_tbENKUlT_T0_E_clISt17integral_constantIbLb0EESZ_EEDaSU_SV_EUlSU_E_NS1_11comp_targetILNS1_3genE0ELNS1_11target_archE4294967295ELNS1_3gpuE0ELNS1_3repE0EEENS1_30default_config_static_selectorELNS0_4arch9wavefront6targetE1EEEvT1_,"axG",@progbits,_ZN7rocprim17ROCPRIM_400000_NS6detail17trampoline_kernelINS0_14default_configENS1_27scan_by_key_config_selectorIssEEZZNS1_16scan_by_key_implILNS1_25lookback_scan_determinismE0ELb1ES3_N6thrust23THRUST_200600_302600_NS6detail15normal_iteratorINS9_10device_ptrIsEEEESE_SE_sNS9_4plusIvEENS9_8equal_toIvEEsEE10hipError_tPvRmT2_T3_T4_T5_mT6_T7_P12ihipStream_tbENKUlT_T0_E_clISt17integral_constantIbLb0EESZ_EEDaSU_SV_EUlSU_E_NS1_11comp_targetILNS1_3genE0ELNS1_11target_archE4294967295ELNS1_3gpuE0ELNS1_3repE0EEENS1_30default_config_static_selectorELNS0_4arch9wavefront6targetE1EEEvT1_,comdat
	.protected	_ZN7rocprim17ROCPRIM_400000_NS6detail17trampoline_kernelINS0_14default_configENS1_27scan_by_key_config_selectorIssEEZZNS1_16scan_by_key_implILNS1_25lookback_scan_determinismE0ELb1ES3_N6thrust23THRUST_200600_302600_NS6detail15normal_iteratorINS9_10device_ptrIsEEEESE_SE_sNS9_4plusIvEENS9_8equal_toIvEEsEE10hipError_tPvRmT2_T3_T4_T5_mT6_T7_P12ihipStream_tbENKUlT_T0_E_clISt17integral_constantIbLb0EESZ_EEDaSU_SV_EUlSU_E_NS1_11comp_targetILNS1_3genE0ELNS1_11target_archE4294967295ELNS1_3gpuE0ELNS1_3repE0EEENS1_30default_config_static_selectorELNS0_4arch9wavefront6targetE1EEEvT1_ ; -- Begin function _ZN7rocprim17ROCPRIM_400000_NS6detail17trampoline_kernelINS0_14default_configENS1_27scan_by_key_config_selectorIssEEZZNS1_16scan_by_key_implILNS1_25lookback_scan_determinismE0ELb1ES3_N6thrust23THRUST_200600_302600_NS6detail15normal_iteratorINS9_10device_ptrIsEEEESE_SE_sNS9_4plusIvEENS9_8equal_toIvEEsEE10hipError_tPvRmT2_T3_T4_T5_mT6_T7_P12ihipStream_tbENKUlT_T0_E_clISt17integral_constantIbLb0EESZ_EEDaSU_SV_EUlSU_E_NS1_11comp_targetILNS1_3genE0ELNS1_11target_archE4294967295ELNS1_3gpuE0ELNS1_3repE0EEENS1_30default_config_static_selectorELNS0_4arch9wavefront6targetE1EEEvT1_
	.globl	_ZN7rocprim17ROCPRIM_400000_NS6detail17trampoline_kernelINS0_14default_configENS1_27scan_by_key_config_selectorIssEEZZNS1_16scan_by_key_implILNS1_25lookback_scan_determinismE0ELb1ES3_N6thrust23THRUST_200600_302600_NS6detail15normal_iteratorINS9_10device_ptrIsEEEESE_SE_sNS9_4plusIvEENS9_8equal_toIvEEsEE10hipError_tPvRmT2_T3_T4_T5_mT6_T7_P12ihipStream_tbENKUlT_T0_E_clISt17integral_constantIbLb0EESZ_EEDaSU_SV_EUlSU_E_NS1_11comp_targetILNS1_3genE0ELNS1_11target_archE4294967295ELNS1_3gpuE0ELNS1_3repE0EEENS1_30default_config_static_selectorELNS0_4arch9wavefront6targetE1EEEvT1_
	.p2align	8
	.type	_ZN7rocprim17ROCPRIM_400000_NS6detail17trampoline_kernelINS0_14default_configENS1_27scan_by_key_config_selectorIssEEZZNS1_16scan_by_key_implILNS1_25lookback_scan_determinismE0ELb1ES3_N6thrust23THRUST_200600_302600_NS6detail15normal_iteratorINS9_10device_ptrIsEEEESE_SE_sNS9_4plusIvEENS9_8equal_toIvEEsEE10hipError_tPvRmT2_T3_T4_T5_mT6_T7_P12ihipStream_tbENKUlT_T0_E_clISt17integral_constantIbLb0EESZ_EEDaSU_SV_EUlSU_E_NS1_11comp_targetILNS1_3genE0ELNS1_11target_archE4294967295ELNS1_3gpuE0ELNS1_3repE0EEENS1_30default_config_static_selectorELNS0_4arch9wavefront6targetE1EEEvT1_,@function
_ZN7rocprim17ROCPRIM_400000_NS6detail17trampoline_kernelINS0_14default_configENS1_27scan_by_key_config_selectorIssEEZZNS1_16scan_by_key_implILNS1_25lookback_scan_determinismE0ELb1ES3_N6thrust23THRUST_200600_302600_NS6detail15normal_iteratorINS9_10device_ptrIsEEEESE_SE_sNS9_4plusIvEENS9_8equal_toIvEEsEE10hipError_tPvRmT2_T3_T4_T5_mT6_T7_P12ihipStream_tbENKUlT_T0_E_clISt17integral_constantIbLb0EESZ_EEDaSU_SV_EUlSU_E_NS1_11comp_targetILNS1_3genE0ELNS1_11target_archE4294967295ELNS1_3gpuE0ELNS1_3repE0EEENS1_30default_config_static_selectorELNS0_4arch9wavefront6targetE1EEEvT1_: ; @_ZN7rocprim17ROCPRIM_400000_NS6detail17trampoline_kernelINS0_14default_configENS1_27scan_by_key_config_selectorIssEEZZNS1_16scan_by_key_implILNS1_25lookback_scan_determinismE0ELb1ES3_N6thrust23THRUST_200600_302600_NS6detail15normal_iteratorINS9_10device_ptrIsEEEESE_SE_sNS9_4plusIvEENS9_8equal_toIvEEsEE10hipError_tPvRmT2_T3_T4_T5_mT6_T7_P12ihipStream_tbENKUlT_T0_E_clISt17integral_constantIbLb0EESZ_EEDaSU_SV_EUlSU_E_NS1_11comp_targetILNS1_3genE0ELNS1_11target_archE4294967295ELNS1_3gpuE0ELNS1_3repE0EEENS1_30default_config_static_selectorELNS0_4arch9wavefront6targetE1EEEvT1_
; %bb.0:
	.section	.rodata,"a",@progbits
	.p2align	6, 0x0
	.amdhsa_kernel _ZN7rocprim17ROCPRIM_400000_NS6detail17trampoline_kernelINS0_14default_configENS1_27scan_by_key_config_selectorIssEEZZNS1_16scan_by_key_implILNS1_25lookback_scan_determinismE0ELb1ES3_N6thrust23THRUST_200600_302600_NS6detail15normal_iteratorINS9_10device_ptrIsEEEESE_SE_sNS9_4plusIvEENS9_8equal_toIvEEsEE10hipError_tPvRmT2_T3_T4_T5_mT6_T7_P12ihipStream_tbENKUlT_T0_E_clISt17integral_constantIbLb0EESZ_EEDaSU_SV_EUlSU_E_NS1_11comp_targetILNS1_3genE0ELNS1_11target_archE4294967295ELNS1_3gpuE0ELNS1_3repE0EEENS1_30default_config_static_selectorELNS0_4arch9wavefront6targetE1EEEvT1_
		.amdhsa_group_segment_fixed_size 0
		.amdhsa_private_segment_fixed_size 0
		.amdhsa_kernarg_size 112
		.amdhsa_user_sgpr_count 6
		.amdhsa_user_sgpr_private_segment_buffer 1
		.amdhsa_user_sgpr_dispatch_ptr 0
		.amdhsa_user_sgpr_queue_ptr 0
		.amdhsa_user_sgpr_kernarg_segment_ptr 1
		.amdhsa_user_sgpr_dispatch_id 0
		.amdhsa_user_sgpr_flat_scratch_init 0
		.amdhsa_user_sgpr_kernarg_preload_length 0
		.amdhsa_user_sgpr_kernarg_preload_offset 0
		.amdhsa_user_sgpr_private_segment_size 0
		.amdhsa_uses_dynamic_stack 0
		.amdhsa_system_sgpr_private_segment_wavefront_offset 0
		.amdhsa_system_sgpr_workgroup_id_x 1
		.amdhsa_system_sgpr_workgroup_id_y 0
		.amdhsa_system_sgpr_workgroup_id_z 0
		.amdhsa_system_sgpr_workgroup_info 0
		.amdhsa_system_vgpr_workitem_id 0
		.amdhsa_next_free_vgpr 1
		.amdhsa_next_free_sgpr 0
		.amdhsa_accum_offset 4
		.amdhsa_reserve_vcc 0
		.amdhsa_reserve_flat_scratch 0
		.amdhsa_float_round_mode_32 0
		.amdhsa_float_round_mode_16_64 0
		.amdhsa_float_denorm_mode_32 3
		.amdhsa_float_denorm_mode_16_64 3
		.amdhsa_dx10_clamp 1
		.amdhsa_ieee_mode 1
		.amdhsa_fp16_overflow 0
		.amdhsa_tg_split 0
		.amdhsa_exception_fp_ieee_invalid_op 0
		.amdhsa_exception_fp_denorm_src 0
		.amdhsa_exception_fp_ieee_div_zero 0
		.amdhsa_exception_fp_ieee_overflow 0
		.amdhsa_exception_fp_ieee_underflow 0
		.amdhsa_exception_fp_ieee_inexact 0
		.amdhsa_exception_int_div_zero 0
	.end_amdhsa_kernel
	.section	.text._ZN7rocprim17ROCPRIM_400000_NS6detail17trampoline_kernelINS0_14default_configENS1_27scan_by_key_config_selectorIssEEZZNS1_16scan_by_key_implILNS1_25lookback_scan_determinismE0ELb1ES3_N6thrust23THRUST_200600_302600_NS6detail15normal_iteratorINS9_10device_ptrIsEEEESE_SE_sNS9_4plusIvEENS9_8equal_toIvEEsEE10hipError_tPvRmT2_T3_T4_T5_mT6_T7_P12ihipStream_tbENKUlT_T0_E_clISt17integral_constantIbLb0EESZ_EEDaSU_SV_EUlSU_E_NS1_11comp_targetILNS1_3genE0ELNS1_11target_archE4294967295ELNS1_3gpuE0ELNS1_3repE0EEENS1_30default_config_static_selectorELNS0_4arch9wavefront6targetE1EEEvT1_,"axG",@progbits,_ZN7rocprim17ROCPRIM_400000_NS6detail17trampoline_kernelINS0_14default_configENS1_27scan_by_key_config_selectorIssEEZZNS1_16scan_by_key_implILNS1_25lookback_scan_determinismE0ELb1ES3_N6thrust23THRUST_200600_302600_NS6detail15normal_iteratorINS9_10device_ptrIsEEEESE_SE_sNS9_4plusIvEENS9_8equal_toIvEEsEE10hipError_tPvRmT2_T3_T4_T5_mT6_T7_P12ihipStream_tbENKUlT_T0_E_clISt17integral_constantIbLb0EESZ_EEDaSU_SV_EUlSU_E_NS1_11comp_targetILNS1_3genE0ELNS1_11target_archE4294967295ELNS1_3gpuE0ELNS1_3repE0EEENS1_30default_config_static_selectorELNS0_4arch9wavefront6targetE1EEEvT1_,comdat
.Lfunc_end569:
	.size	_ZN7rocprim17ROCPRIM_400000_NS6detail17trampoline_kernelINS0_14default_configENS1_27scan_by_key_config_selectorIssEEZZNS1_16scan_by_key_implILNS1_25lookback_scan_determinismE0ELb1ES3_N6thrust23THRUST_200600_302600_NS6detail15normal_iteratorINS9_10device_ptrIsEEEESE_SE_sNS9_4plusIvEENS9_8equal_toIvEEsEE10hipError_tPvRmT2_T3_T4_T5_mT6_T7_P12ihipStream_tbENKUlT_T0_E_clISt17integral_constantIbLb0EESZ_EEDaSU_SV_EUlSU_E_NS1_11comp_targetILNS1_3genE0ELNS1_11target_archE4294967295ELNS1_3gpuE0ELNS1_3repE0EEENS1_30default_config_static_selectorELNS0_4arch9wavefront6targetE1EEEvT1_, .Lfunc_end569-_ZN7rocprim17ROCPRIM_400000_NS6detail17trampoline_kernelINS0_14default_configENS1_27scan_by_key_config_selectorIssEEZZNS1_16scan_by_key_implILNS1_25lookback_scan_determinismE0ELb1ES3_N6thrust23THRUST_200600_302600_NS6detail15normal_iteratorINS9_10device_ptrIsEEEESE_SE_sNS9_4plusIvEENS9_8equal_toIvEEsEE10hipError_tPvRmT2_T3_T4_T5_mT6_T7_P12ihipStream_tbENKUlT_T0_E_clISt17integral_constantIbLb0EESZ_EEDaSU_SV_EUlSU_E_NS1_11comp_targetILNS1_3genE0ELNS1_11target_archE4294967295ELNS1_3gpuE0ELNS1_3repE0EEENS1_30default_config_static_selectorELNS0_4arch9wavefront6targetE1EEEvT1_
                                        ; -- End function
	.section	.AMDGPU.csdata,"",@progbits
; Kernel info:
; codeLenInByte = 0
; NumSgprs: 4
; NumVgprs: 0
; NumAgprs: 0
; TotalNumVgprs: 0
; ScratchSize: 0
; MemoryBound: 0
; FloatMode: 240
; IeeeMode: 1
; LDSByteSize: 0 bytes/workgroup (compile time only)
; SGPRBlocks: 0
; VGPRBlocks: 0
; NumSGPRsForWavesPerEU: 4
; NumVGPRsForWavesPerEU: 1
; AccumOffset: 4
; Occupancy: 8
; WaveLimiterHint : 0
; COMPUTE_PGM_RSRC2:SCRATCH_EN: 0
; COMPUTE_PGM_RSRC2:USER_SGPR: 6
; COMPUTE_PGM_RSRC2:TRAP_HANDLER: 0
; COMPUTE_PGM_RSRC2:TGID_X_EN: 1
; COMPUTE_PGM_RSRC2:TGID_Y_EN: 0
; COMPUTE_PGM_RSRC2:TGID_Z_EN: 0
; COMPUTE_PGM_RSRC2:TIDIG_COMP_CNT: 0
; COMPUTE_PGM_RSRC3_GFX90A:ACCUM_OFFSET: 0
; COMPUTE_PGM_RSRC3_GFX90A:TG_SPLIT: 0
	.section	.text._ZN7rocprim17ROCPRIM_400000_NS6detail17trampoline_kernelINS0_14default_configENS1_27scan_by_key_config_selectorIssEEZZNS1_16scan_by_key_implILNS1_25lookback_scan_determinismE0ELb1ES3_N6thrust23THRUST_200600_302600_NS6detail15normal_iteratorINS9_10device_ptrIsEEEESE_SE_sNS9_4plusIvEENS9_8equal_toIvEEsEE10hipError_tPvRmT2_T3_T4_T5_mT6_T7_P12ihipStream_tbENKUlT_T0_E_clISt17integral_constantIbLb0EESZ_EEDaSU_SV_EUlSU_E_NS1_11comp_targetILNS1_3genE10ELNS1_11target_archE1201ELNS1_3gpuE5ELNS1_3repE0EEENS1_30default_config_static_selectorELNS0_4arch9wavefront6targetE1EEEvT1_,"axG",@progbits,_ZN7rocprim17ROCPRIM_400000_NS6detail17trampoline_kernelINS0_14default_configENS1_27scan_by_key_config_selectorIssEEZZNS1_16scan_by_key_implILNS1_25lookback_scan_determinismE0ELb1ES3_N6thrust23THRUST_200600_302600_NS6detail15normal_iteratorINS9_10device_ptrIsEEEESE_SE_sNS9_4plusIvEENS9_8equal_toIvEEsEE10hipError_tPvRmT2_T3_T4_T5_mT6_T7_P12ihipStream_tbENKUlT_T0_E_clISt17integral_constantIbLb0EESZ_EEDaSU_SV_EUlSU_E_NS1_11comp_targetILNS1_3genE10ELNS1_11target_archE1201ELNS1_3gpuE5ELNS1_3repE0EEENS1_30default_config_static_selectorELNS0_4arch9wavefront6targetE1EEEvT1_,comdat
	.protected	_ZN7rocprim17ROCPRIM_400000_NS6detail17trampoline_kernelINS0_14default_configENS1_27scan_by_key_config_selectorIssEEZZNS1_16scan_by_key_implILNS1_25lookback_scan_determinismE0ELb1ES3_N6thrust23THRUST_200600_302600_NS6detail15normal_iteratorINS9_10device_ptrIsEEEESE_SE_sNS9_4plusIvEENS9_8equal_toIvEEsEE10hipError_tPvRmT2_T3_T4_T5_mT6_T7_P12ihipStream_tbENKUlT_T0_E_clISt17integral_constantIbLb0EESZ_EEDaSU_SV_EUlSU_E_NS1_11comp_targetILNS1_3genE10ELNS1_11target_archE1201ELNS1_3gpuE5ELNS1_3repE0EEENS1_30default_config_static_selectorELNS0_4arch9wavefront6targetE1EEEvT1_ ; -- Begin function _ZN7rocprim17ROCPRIM_400000_NS6detail17trampoline_kernelINS0_14default_configENS1_27scan_by_key_config_selectorIssEEZZNS1_16scan_by_key_implILNS1_25lookback_scan_determinismE0ELb1ES3_N6thrust23THRUST_200600_302600_NS6detail15normal_iteratorINS9_10device_ptrIsEEEESE_SE_sNS9_4plusIvEENS9_8equal_toIvEEsEE10hipError_tPvRmT2_T3_T4_T5_mT6_T7_P12ihipStream_tbENKUlT_T0_E_clISt17integral_constantIbLb0EESZ_EEDaSU_SV_EUlSU_E_NS1_11comp_targetILNS1_3genE10ELNS1_11target_archE1201ELNS1_3gpuE5ELNS1_3repE0EEENS1_30default_config_static_selectorELNS0_4arch9wavefront6targetE1EEEvT1_
	.globl	_ZN7rocprim17ROCPRIM_400000_NS6detail17trampoline_kernelINS0_14default_configENS1_27scan_by_key_config_selectorIssEEZZNS1_16scan_by_key_implILNS1_25lookback_scan_determinismE0ELb1ES3_N6thrust23THRUST_200600_302600_NS6detail15normal_iteratorINS9_10device_ptrIsEEEESE_SE_sNS9_4plusIvEENS9_8equal_toIvEEsEE10hipError_tPvRmT2_T3_T4_T5_mT6_T7_P12ihipStream_tbENKUlT_T0_E_clISt17integral_constantIbLb0EESZ_EEDaSU_SV_EUlSU_E_NS1_11comp_targetILNS1_3genE10ELNS1_11target_archE1201ELNS1_3gpuE5ELNS1_3repE0EEENS1_30default_config_static_selectorELNS0_4arch9wavefront6targetE1EEEvT1_
	.p2align	8
	.type	_ZN7rocprim17ROCPRIM_400000_NS6detail17trampoline_kernelINS0_14default_configENS1_27scan_by_key_config_selectorIssEEZZNS1_16scan_by_key_implILNS1_25lookback_scan_determinismE0ELb1ES3_N6thrust23THRUST_200600_302600_NS6detail15normal_iteratorINS9_10device_ptrIsEEEESE_SE_sNS9_4plusIvEENS9_8equal_toIvEEsEE10hipError_tPvRmT2_T3_T4_T5_mT6_T7_P12ihipStream_tbENKUlT_T0_E_clISt17integral_constantIbLb0EESZ_EEDaSU_SV_EUlSU_E_NS1_11comp_targetILNS1_3genE10ELNS1_11target_archE1201ELNS1_3gpuE5ELNS1_3repE0EEENS1_30default_config_static_selectorELNS0_4arch9wavefront6targetE1EEEvT1_,@function
_ZN7rocprim17ROCPRIM_400000_NS6detail17trampoline_kernelINS0_14default_configENS1_27scan_by_key_config_selectorIssEEZZNS1_16scan_by_key_implILNS1_25lookback_scan_determinismE0ELb1ES3_N6thrust23THRUST_200600_302600_NS6detail15normal_iteratorINS9_10device_ptrIsEEEESE_SE_sNS9_4plusIvEENS9_8equal_toIvEEsEE10hipError_tPvRmT2_T3_T4_T5_mT6_T7_P12ihipStream_tbENKUlT_T0_E_clISt17integral_constantIbLb0EESZ_EEDaSU_SV_EUlSU_E_NS1_11comp_targetILNS1_3genE10ELNS1_11target_archE1201ELNS1_3gpuE5ELNS1_3repE0EEENS1_30default_config_static_selectorELNS0_4arch9wavefront6targetE1EEEvT1_: ; @_ZN7rocprim17ROCPRIM_400000_NS6detail17trampoline_kernelINS0_14default_configENS1_27scan_by_key_config_selectorIssEEZZNS1_16scan_by_key_implILNS1_25lookback_scan_determinismE0ELb1ES3_N6thrust23THRUST_200600_302600_NS6detail15normal_iteratorINS9_10device_ptrIsEEEESE_SE_sNS9_4plusIvEENS9_8equal_toIvEEsEE10hipError_tPvRmT2_T3_T4_T5_mT6_T7_P12ihipStream_tbENKUlT_T0_E_clISt17integral_constantIbLb0EESZ_EEDaSU_SV_EUlSU_E_NS1_11comp_targetILNS1_3genE10ELNS1_11target_archE1201ELNS1_3gpuE5ELNS1_3repE0EEENS1_30default_config_static_selectorELNS0_4arch9wavefront6targetE1EEEvT1_
; %bb.0:
	.section	.rodata,"a",@progbits
	.p2align	6, 0x0
	.amdhsa_kernel _ZN7rocprim17ROCPRIM_400000_NS6detail17trampoline_kernelINS0_14default_configENS1_27scan_by_key_config_selectorIssEEZZNS1_16scan_by_key_implILNS1_25lookback_scan_determinismE0ELb1ES3_N6thrust23THRUST_200600_302600_NS6detail15normal_iteratorINS9_10device_ptrIsEEEESE_SE_sNS9_4plusIvEENS9_8equal_toIvEEsEE10hipError_tPvRmT2_T3_T4_T5_mT6_T7_P12ihipStream_tbENKUlT_T0_E_clISt17integral_constantIbLb0EESZ_EEDaSU_SV_EUlSU_E_NS1_11comp_targetILNS1_3genE10ELNS1_11target_archE1201ELNS1_3gpuE5ELNS1_3repE0EEENS1_30default_config_static_selectorELNS0_4arch9wavefront6targetE1EEEvT1_
		.amdhsa_group_segment_fixed_size 0
		.amdhsa_private_segment_fixed_size 0
		.amdhsa_kernarg_size 112
		.amdhsa_user_sgpr_count 6
		.amdhsa_user_sgpr_private_segment_buffer 1
		.amdhsa_user_sgpr_dispatch_ptr 0
		.amdhsa_user_sgpr_queue_ptr 0
		.amdhsa_user_sgpr_kernarg_segment_ptr 1
		.amdhsa_user_sgpr_dispatch_id 0
		.amdhsa_user_sgpr_flat_scratch_init 0
		.amdhsa_user_sgpr_kernarg_preload_length 0
		.amdhsa_user_sgpr_kernarg_preload_offset 0
		.amdhsa_user_sgpr_private_segment_size 0
		.amdhsa_uses_dynamic_stack 0
		.amdhsa_system_sgpr_private_segment_wavefront_offset 0
		.amdhsa_system_sgpr_workgroup_id_x 1
		.amdhsa_system_sgpr_workgroup_id_y 0
		.amdhsa_system_sgpr_workgroup_id_z 0
		.amdhsa_system_sgpr_workgroup_info 0
		.amdhsa_system_vgpr_workitem_id 0
		.amdhsa_next_free_vgpr 1
		.amdhsa_next_free_sgpr 0
		.amdhsa_accum_offset 4
		.amdhsa_reserve_vcc 0
		.amdhsa_reserve_flat_scratch 0
		.amdhsa_float_round_mode_32 0
		.amdhsa_float_round_mode_16_64 0
		.amdhsa_float_denorm_mode_32 3
		.amdhsa_float_denorm_mode_16_64 3
		.amdhsa_dx10_clamp 1
		.amdhsa_ieee_mode 1
		.amdhsa_fp16_overflow 0
		.amdhsa_tg_split 0
		.amdhsa_exception_fp_ieee_invalid_op 0
		.amdhsa_exception_fp_denorm_src 0
		.amdhsa_exception_fp_ieee_div_zero 0
		.amdhsa_exception_fp_ieee_overflow 0
		.amdhsa_exception_fp_ieee_underflow 0
		.amdhsa_exception_fp_ieee_inexact 0
		.amdhsa_exception_int_div_zero 0
	.end_amdhsa_kernel
	.section	.text._ZN7rocprim17ROCPRIM_400000_NS6detail17trampoline_kernelINS0_14default_configENS1_27scan_by_key_config_selectorIssEEZZNS1_16scan_by_key_implILNS1_25lookback_scan_determinismE0ELb1ES3_N6thrust23THRUST_200600_302600_NS6detail15normal_iteratorINS9_10device_ptrIsEEEESE_SE_sNS9_4plusIvEENS9_8equal_toIvEEsEE10hipError_tPvRmT2_T3_T4_T5_mT6_T7_P12ihipStream_tbENKUlT_T0_E_clISt17integral_constantIbLb0EESZ_EEDaSU_SV_EUlSU_E_NS1_11comp_targetILNS1_3genE10ELNS1_11target_archE1201ELNS1_3gpuE5ELNS1_3repE0EEENS1_30default_config_static_selectorELNS0_4arch9wavefront6targetE1EEEvT1_,"axG",@progbits,_ZN7rocprim17ROCPRIM_400000_NS6detail17trampoline_kernelINS0_14default_configENS1_27scan_by_key_config_selectorIssEEZZNS1_16scan_by_key_implILNS1_25lookback_scan_determinismE0ELb1ES3_N6thrust23THRUST_200600_302600_NS6detail15normal_iteratorINS9_10device_ptrIsEEEESE_SE_sNS9_4plusIvEENS9_8equal_toIvEEsEE10hipError_tPvRmT2_T3_T4_T5_mT6_T7_P12ihipStream_tbENKUlT_T0_E_clISt17integral_constantIbLb0EESZ_EEDaSU_SV_EUlSU_E_NS1_11comp_targetILNS1_3genE10ELNS1_11target_archE1201ELNS1_3gpuE5ELNS1_3repE0EEENS1_30default_config_static_selectorELNS0_4arch9wavefront6targetE1EEEvT1_,comdat
.Lfunc_end570:
	.size	_ZN7rocprim17ROCPRIM_400000_NS6detail17trampoline_kernelINS0_14default_configENS1_27scan_by_key_config_selectorIssEEZZNS1_16scan_by_key_implILNS1_25lookback_scan_determinismE0ELb1ES3_N6thrust23THRUST_200600_302600_NS6detail15normal_iteratorINS9_10device_ptrIsEEEESE_SE_sNS9_4plusIvEENS9_8equal_toIvEEsEE10hipError_tPvRmT2_T3_T4_T5_mT6_T7_P12ihipStream_tbENKUlT_T0_E_clISt17integral_constantIbLb0EESZ_EEDaSU_SV_EUlSU_E_NS1_11comp_targetILNS1_3genE10ELNS1_11target_archE1201ELNS1_3gpuE5ELNS1_3repE0EEENS1_30default_config_static_selectorELNS0_4arch9wavefront6targetE1EEEvT1_, .Lfunc_end570-_ZN7rocprim17ROCPRIM_400000_NS6detail17trampoline_kernelINS0_14default_configENS1_27scan_by_key_config_selectorIssEEZZNS1_16scan_by_key_implILNS1_25lookback_scan_determinismE0ELb1ES3_N6thrust23THRUST_200600_302600_NS6detail15normal_iteratorINS9_10device_ptrIsEEEESE_SE_sNS9_4plusIvEENS9_8equal_toIvEEsEE10hipError_tPvRmT2_T3_T4_T5_mT6_T7_P12ihipStream_tbENKUlT_T0_E_clISt17integral_constantIbLb0EESZ_EEDaSU_SV_EUlSU_E_NS1_11comp_targetILNS1_3genE10ELNS1_11target_archE1201ELNS1_3gpuE5ELNS1_3repE0EEENS1_30default_config_static_selectorELNS0_4arch9wavefront6targetE1EEEvT1_
                                        ; -- End function
	.section	.AMDGPU.csdata,"",@progbits
; Kernel info:
; codeLenInByte = 0
; NumSgprs: 4
; NumVgprs: 0
; NumAgprs: 0
; TotalNumVgprs: 0
; ScratchSize: 0
; MemoryBound: 0
; FloatMode: 240
; IeeeMode: 1
; LDSByteSize: 0 bytes/workgroup (compile time only)
; SGPRBlocks: 0
; VGPRBlocks: 0
; NumSGPRsForWavesPerEU: 4
; NumVGPRsForWavesPerEU: 1
; AccumOffset: 4
; Occupancy: 8
; WaveLimiterHint : 0
; COMPUTE_PGM_RSRC2:SCRATCH_EN: 0
; COMPUTE_PGM_RSRC2:USER_SGPR: 6
; COMPUTE_PGM_RSRC2:TRAP_HANDLER: 0
; COMPUTE_PGM_RSRC2:TGID_X_EN: 1
; COMPUTE_PGM_RSRC2:TGID_Y_EN: 0
; COMPUTE_PGM_RSRC2:TGID_Z_EN: 0
; COMPUTE_PGM_RSRC2:TIDIG_COMP_CNT: 0
; COMPUTE_PGM_RSRC3_GFX90A:ACCUM_OFFSET: 0
; COMPUTE_PGM_RSRC3_GFX90A:TG_SPLIT: 0
	.section	.text._ZN7rocprim17ROCPRIM_400000_NS6detail17trampoline_kernelINS0_14default_configENS1_27scan_by_key_config_selectorIssEEZZNS1_16scan_by_key_implILNS1_25lookback_scan_determinismE0ELb1ES3_N6thrust23THRUST_200600_302600_NS6detail15normal_iteratorINS9_10device_ptrIsEEEESE_SE_sNS9_4plusIvEENS9_8equal_toIvEEsEE10hipError_tPvRmT2_T3_T4_T5_mT6_T7_P12ihipStream_tbENKUlT_T0_E_clISt17integral_constantIbLb0EESZ_EEDaSU_SV_EUlSU_E_NS1_11comp_targetILNS1_3genE5ELNS1_11target_archE942ELNS1_3gpuE9ELNS1_3repE0EEENS1_30default_config_static_selectorELNS0_4arch9wavefront6targetE1EEEvT1_,"axG",@progbits,_ZN7rocprim17ROCPRIM_400000_NS6detail17trampoline_kernelINS0_14default_configENS1_27scan_by_key_config_selectorIssEEZZNS1_16scan_by_key_implILNS1_25lookback_scan_determinismE0ELb1ES3_N6thrust23THRUST_200600_302600_NS6detail15normal_iteratorINS9_10device_ptrIsEEEESE_SE_sNS9_4plusIvEENS9_8equal_toIvEEsEE10hipError_tPvRmT2_T3_T4_T5_mT6_T7_P12ihipStream_tbENKUlT_T0_E_clISt17integral_constantIbLb0EESZ_EEDaSU_SV_EUlSU_E_NS1_11comp_targetILNS1_3genE5ELNS1_11target_archE942ELNS1_3gpuE9ELNS1_3repE0EEENS1_30default_config_static_selectorELNS0_4arch9wavefront6targetE1EEEvT1_,comdat
	.protected	_ZN7rocprim17ROCPRIM_400000_NS6detail17trampoline_kernelINS0_14default_configENS1_27scan_by_key_config_selectorIssEEZZNS1_16scan_by_key_implILNS1_25lookback_scan_determinismE0ELb1ES3_N6thrust23THRUST_200600_302600_NS6detail15normal_iteratorINS9_10device_ptrIsEEEESE_SE_sNS9_4plusIvEENS9_8equal_toIvEEsEE10hipError_tPvRmT2_T3_T4_T5_mT6_T7_P12ihipStream_tbENKUlT_T0_E_clISt17integral_constantIbLb0EESZ_EEDaSU_SV_EUlSU_E_NS1_11comp_targetILNS1_3genE5ELNS1_11target_archE942ELNS1_3gpuE9ELNS1_3repE0EEENS1_30default_config_static_selectorELNS0_4arch9wavefront6targetE1EEEvT1_ ; -- Begin function _ZN7rocprim17ROCPRIM_400000_NS6detail17trampoline_kernelINS0_14default_configENS1_27scan_by_key_config_selectorIssEEZZNS1_16scan_by_key_implILNS1_25lookback_scan_determinismE0ELb1ES3_N6thrust23THRUST_200600_302600_NS6detail15normal_iteratorINS9_10device_ptrIsEEEESE_SE_sNS9_4plusIvEENS9_8equal_toIvEEsEE10hipError_tPvRmT2_T3_T4_T5_mT6_T7_P12ihipStream_tbENKUlT_T0_E_clISt17integral_constantIbLb0EESZ_EEDaSU_SV_EUlSU_E_NS1_11comp_targetILNS1_3genE5ELNS1_11target_archE942ELNS1_3gpuE9ELNS1_3repE0EEENS1_30default_config_static_selectorELNS0_4arch9wavefront6targetE1EEEvT1_
	.globl	_ZN7rocprim17ROCPRIM_400000_NS6detail17trampoline_kernelINS0_14default_configENS1_27scan_by_key_config_selectorIssEEZZNS1_16scan_by_key_implILNS1_25lookback_scan_determinismE0ELb1ES3_N6thrust23THRUST_200600_302600_NS6detail15normal_iteratorINS9_10device_ptrIsEEEESE_SE_sNS9_4plusIvEENS9_8equal_toIvEEsEE10hipError_tPvRmT2_T3_T4_T5_mT6_T7_P12ihipStream_tbENKUlT_T0_E_clISt17integral_constantIbLb0EESZ_EEDaSU_SV_EUlSU_E_NS1_11comp_targetILNS1_3genE5ELNS1_11target_archE942ELNS1_3gpuE9ELNS1_3repE0EEENS1_30default_config_static_selectorELNS0_4arch9wavefront6targetE1EEEvT1_
	.p2align	8
	.type	_ZN7rocprim17ROCPRIM_400000_NS6detail17trampoline_kernelINS0_14default_configENS1_27scan_by_key_config_selectorIssEEZZNS1_16scan_by_key_implILNS1_25lookback_scan_determinismE0ELb1ES3_N6thrust23THRUST_200600_302600_NS6detail15normal_iteratorINS9_10device_ptrIsEEEESE_SE_sNS9_4plusIvEENS9_8equal_toIvEEsEE10hipError_tPvRmT2_T3_T4_T5_mT6_T7_P12ihipStream_tbENKUlT_T0_E_clISt17integral_constantIbLb0EESZ_EEDaSU_SV_EUlSU_E_NS1_11comp_targetILNS1_3genE5ELNS1_11target_archE942ELNS1_3gpuE9ELNS1_3repE0EEENS1_30default_config_static_selectorELNS0_4arch9wavefront6targetE1EEEvT1_,@function
_ZN7rocprim17ROCPRIM_400000_NS6detail17trampoline_kernelINS0_14default_configENS1_27scan_by_key_config_selectorIssEEZZNS1_16scan_by_key_implILNS1_25lookback_scan_determinismE0ELb1ES3_N6thrust23THRUST_200600_302600_NS6detail15normal_iteratorINS9_10device_ptrIsEEEESE_SE_sNS9_4plusIvEENS9_8equal_toIvEEsEE10hipError_tPvRmT2_T3_T4_T5_mT6_T7_P12ihipStream_tbENKUlT_T0_E_clISt17integral_constantIbLb0EESZ_EEDaSU_SV_EUlSU_E_NS1_11comp_targetILNS1_3genE5ELNS1_11target_archE942ELNS1_3gpuE9ELNS1_3repE0EEENS1_30default_config_static_selectorELNS0_4arch9wavefront6targetE1EEEvT1_: ; @_ZN7rocprim17ROCPRIM_400000_NS6detail17trampoline_kernelINS0_14default_configENS1_27scan_by_key_config_selectorIssEEZZNS1_16scan_by_key_implILNS1_25lookback_scan_determinismE0ELb1ES3_N6thrust23THRUST_200600_302600_NS6detail15normal_iteratorINS9_10device_ptrIsEEEESE_SE_sNS9_4plusIvEENS9_8equal_toIvEEsEE10hipError_tPvRmT2_T3_T4_T5_mT6_T7_P12ihipStream_tbENKUlT_T0_E_clISt17integral_constantIbLb0EESZ_EEDaSU_SV_EUlSU_E_NS1_11comp_targetILNS1_3genE5ELNS1_11target_archE942ELNS1_3gpuE9ELNS1_3repE0EEENS1_30default_config_static_selectorELNS0_4arch9wavefront6targetE1EEEvT1_
; %bb.0:
	.section	.rodata,"a",@progbits
	.p2align	6, 0x0
	.amdhsa_kernel _ZN7rocprim17ROCPRIM_400000_NS6detail17trampoline_kernelINS0_14default_configENS1_27scan_by_key_config_selectorIssEEZZNS1_16scan_by_key_implILNS1_25lookback_scan_determinismE0ELb1ES3_N6thrust23THRUST_200600_302600_NS6detail15normal_iteratorINS9_10device_ptrIsEEEESE_SE_sNS9_4plusIvEENS9_8equal_toIvEEsEE10hipError_tPvRmT2_T3_T4_T5_mT6_T7_P12ihipStream_tbENKUlT_T0_E_clISt17integral_constantIbLb0EESZ_EEDaSU_SV_EUlSU_E_NS1_11comp_targetILNS1_3genE5ELNS1_11target_archE942ELNS1_3gpuE9ELNS1_3repE0EEENS1_30default_config_static_selectorELNS0_4arch9wavefront6targetE1EEEvT1_
		.amdhsa_group_segment_fixed_size 0
		.amdhsa_private_segment_fixed_size 0
		.amdhsa_kernarg_size 112
		.amdhsa_user_sgpr_count 6
		.amdhsa_user_sgpr_private_segment_buffer 1
		.amdhsa_user_sgpr_dispatch_ptr 0
		.amdhsa_user_sgpr_queue_ptr 0
		.amdhsa_user_sgpr_kernarg_segment_ptr 1
		.amdhsa_user_sgpr_dispatch_id 0
		.amdhsa_user_sgpr_flat_scratch_init 0
		.amdhsa_user_sgpr_kernarg_preload_length 0
		.amdhsa_user_sgpr_kernarg_preload_offset 0
		.amdhsa_user_sgpr_private_segment_size 0
		.amdhsa_uses_dynamic_stack 0
		.amdhsa_system_sgpr_private_segment_wavefront_offset 0
		.amdhsa_system_sgpr_workgroup_id_x 1
		.amdhsa_system_sgpr_workgroup_id_y 0
		.amdhsa_system_sgpr_workgroup_id_z 0
		.amdhsa_system_sgpr_workgroup_info 0
		.amdhsa_system_vgpr_workitem_id 0
		.amdhsa_next_free_vgpr 1
		.amdhsa_next_free_sgpr 0
		.amdhsa_accum_offset 4
		.amdhsa_reserve_vcc 0
		.amdhsa_reserve_flat_scratch 0
		.amdhsa_float_round_mode_32 0
		.amdhsa_float_round_mode_16_64 0
		.amdhsa_float_denorm_mode_32 3
		.amdhsa_float_denorm_mode_16_64 3
		.amdhsa_dx10_clamp 1
		.amdhsa_ieee_mode 1
		.amdhsa_fp16_overflow 0
		.amdhsa_tg_split 0
		.amdhsa_exception_fp_ieee_invalid_op 0
		.amdhsa_exception_fp_denorm_src 0
		.amdhsa_exception_fp_ieee_div_zero 0
		.amdhsa_exception_fp_ieee_overflow 0
		.amdhsa_exception_fp_ieee_underflow 0
		.amdhsa_exception_fp_ieee_inexact 0
		.amdhsa_exception_int_div_zero 0
	.end_amdhsa_kernel
	.section	.text._ZN7rocprim17ROCPRIM_400000_NS6detail17trampoline_kernelINS0_14default_configENS1_27scan_by_key_config_selectorIssEEZZNS1_16scan_by_key_implILNS1_25lookback_scan_determinismE0ELb1ES3_N6thrust23THRUST_200600_302600_NS6detail15normal_iteratorINS9_10device_ptrIsEEEESE_SE_sNS9_4plusIvEENS9_8equal_toIvEEsEE10hipError_tPvRmT2_T3_T4_T5_mT6_T7_P12ihipStream_tbENKUlT_T0_E_clISt17integral_constantIbLb0EESZ_EEDaSU_SV_EUlSU_E_NS1_11comp_targetILNS1_3genE5ELNS1_11target_archE942ELNS1_3gpuE9ELNS1_3repE0EEENS1_30default_config_static_selectorELNS0_4arch9wavefront6targetE1EEEvT1_,"axG",@progbits,_ZN7rocprim17ROCPRIM_400000_NS6detail17trampoline_kernelINS0_14default_configENS1_27scan_by_key_config_selectorIssEEZZNS1_16scan_by_key_implILNS1_25lookback_scan_determinismE0ELb1ES3_N6thrust23THRUST_200600_302600_NS6detail15normal_iteratorINS9_10device_ptrIsEEEESE_SE_sNS9_4plusIvEENS9_8equal_toIvEEsEE10hipError_tPvRmT2_T3_T4_T5_mT6_T7_P12ihipStream_tbENKUlT_T0_E_clISt17integral_constantIbLb0EESZ_EEDaSU_SV_EUlSU_E_NS1_11comp_targetILNS1_3genE5ELNS1_11target_archE942ELNS1_3gpuE9ELNS1_3repE0EEENS1_30default_config_static_selectorELNS0_4arch9wavefront6targetE1EEEvT1_,comdat
.Lfunc_end571:
	.size	_ZN7rocprim17ROCPRIM_400000_NS6detail17trampoline_kernelINS0_14default_configENS1_27scan_by_key_config_selectorIssEEZZNS1_16scan_by_key_implILNS1_25lookback_scan_determinismE0ELb1ES3_N6thrust23THRUST_200600_302600_NS6detail15normal_iteratorINS9_10device_ptrIsEEEESE_SE_sNS9_4plusIvEENS9_8equal_toIvEEsEE10hipError_tPvRmT2_T3_T4_T5_mT6_T7_P12ihipStream_tbENKUlT_T0_E_clISt17integral_constantIbLb0EESZ_EEDaSU_SV_EUlSU_E_NS1_11comp_targetILNS1_3genE5ELNS1_11target_archE942ELNS1_3gpuE9ELNS1_3repE0EEENS1_30default_config_static_selectorELNS0_4arch9wavefront6targetE1EEEvT1_, .Lfunc_end571-_ZN7rocprim17ROCPRIM_400000_NS6detail17trampoline_kernelINS0_14default_configENS1_27scan_by_key_config_selectorIssEEZZNS1_16scan_by_key_implILNS1_25lookback_scan_determinismE0ELb1ES3_N6thrust23THRUST_200600_302600_NS6detail15normal_iteratorINS9_10device_ptrIsEEEESE_SE_sNS9_4plusIvEENS9_8equal_toIvEEsEE10hipError_tPvRmT2_T3_T4_T5_mT6_T7_P12ihipStream_tbENKUlT_T0_E_clISt17integral_constantIbLb0EESZ_EEDaSU_SV_EUlSU_E_NS1_11comp_targetILNS1_3genE5ELNS1_11target_archE942ELNS1_3gpuE9ELNS1_3repE0EEENS1_30default_config_static_selectorELNS0_4arch9wavefront6targetE1EEEvT1_
                                        ; -- End function
	.section	.AMDGPU.csdata,"",@progbits
; Kernel info:
; codeLenInByte = 0
; NumSgprs: 4
; NumVgprs: 0
; NumAgprs: 0
; TotalNumVgprs: 0
; ScratchSize: 0
; MemoryBound: 0
; FloatMode: 240
; IeeeMode: 1
; LDSByteSize: 0 bytes/workgroup (compile time only)
; SGPRBlocks: 0
; VGPRBlocks: 0
; NumSGPRsForWavesPerEU: 4
; NumVGPRsForWavesPerEU: 1
; AccumOffset: 4
; Occupancy: 8
; WaveLimiterHint : 0
; COMPUTE_PGM_RSRC2:SCRATCH_EN: 0
; COMPUTE_PGM_RSRC2:USER_SGPR: 6
; COMPUTE_PGM_RSRC2:TRAP_HANDLER: 0
; COMPUTE_PGM_RSRC2:TGID_X_EN: 1
; COMPUTE_PGM_RSRC2:TGID_Y_EN: 0
; COMPUTE_PGM_RSRC2:TGID_Z_EN: 0
; COMPUTE_PGM_RSRC2:TIDIG_COMP_CNT: 0
; COMPUTE_PGM_RSRC3_GFX90A:ACCUM_OFFSET: 0
; COMPUTE_PGM_RSRC3_GFX90A:TG_SPLIT: 0
	.section	.text._ZN7rocprim17ROCPRIM_400000_NS6detail17trampoline_kernelINS0_14default_configENS1_27scan_by_key_config_selectorIssEEZZNS1_16scan_by_key_implILNS1_25lookback_scan_determinismE0ELb1ES3_N6thrust23THRUST_200600_302600_NS6detail15normal_iteratorINS9_10device_ptrIsEEEESE_SE_sNS9_4plusIvEENS9_8equal_toIvEEsEE10hipError_tPvRmT2_T3_T4_T5_mT6_T7_P12ihipStream_tbENKUlT_T0_E_clISt17integral_constantIbLb0EESZ_EEDaSU_SV_EUlSU_E_NS1_11comp_targetILNS1_3genE4ELNS1_11target_archE910ELNS1_3gpuE8ELNS1_3repE0EEENS1_30default_config_static_selectorELNS0_4arch9wavefront6targetE1EEEvT1_,"axG",@progbits,_ZN7rocprim17ROCPRIM_400000_NS6detail17trampoline_kernelINS0_14default_configENS1_27scan_by_key_config_selectorIssEEZZNS1_16scan_by_key_implILNS1_25lookback_scan_determinismE0ELb1ES3_N6thrust23THRUST_200600_302600_NS6detail15normal_iteratorINS9_10device_ptrIsEEEESE_SE_sNS9_4plusIvEENS9_8equal_toIvEEsEE10hipError_tPvRmT2_T3_T4_T5_mT6_T7_P12ihipStream_tbENKUlT_T0_E_clISt17integral_constantIbLb0EESZ_EEDaSU_SV_EUlSU_E_NS1_11comp_targetILNS1_3genE4ELNS1_11target_archE910ELNS1_3gpuE8ELNS1_3repE0EEENS1_30default_config_static_selectorELNS0_4arch9wavefront6targetE1EEEvT1_,comdat
	.protected	_ZN7rocprim17ROCPRIM_400000_NS6detail17trampoline_kernelINS0_14default_configENS1_27scan_by_key_config_selectorIssEEZZNS1_16scan_by_key_implILNS1_25lookback_scan_determinismE0ELb1ES3_N6thrust23THRUST_200600_302600_NS6detail15normal_iteratorINS9_10device_ptrIsEEEESE_SE_sNS9_4plusIvEENS9_8equal_toIvEEsEE10hipError_tPvRmT2_T3_T4_T5_mT6_T7_P12ihipStream_tbENKUlT_T0_E_clISt17integral_constantIbLb0EESZ_EEDaSU_SV_EUlSU_E_NS1_11comp_targetILNS1_3genE4ELNS1_11target_archE910ELNS1_3gpuE8ELNS1_3repE0EEENS1_30default_config_static_selectorELNS0_4arch9wavefront6targetE1EEEvT1_ ; -- Begin function _ZN7rocprim17ROCPRIM_400000_NS6detail17trampoline_kernelINS0_14default_configENS1_27scan_by_key_config_selectorIssEEZZNS1_16scan_by_key_implILNS1_25lookback_scan_determinismE0ELb1ES3_N6thrust23THRUST_200600_302600_NS6detail15normal_iteratorINS9_10device_ptrIsEEEESE_SE_sNS9_4plusIvEENS9_8equal_toIvEEsEE10hipError_tPvRmT2_T3_T4_T5_mT6_T7_P12ihipStream_tbENKUlT_T0_E_clISt17integral_constantIbLb0EESZ_EEDaSU_SV_EUlSU_E_NS1_11comp_targetILNS1_3genE4ELNS1_11target_archE910ELNS1_3gpuE8ELNS1_3repE0EEENS1_30default_config_static_selectorELNS0_4arch9wavefront6targetE1EEEvT1_
	.globl	_ZN7rocprim17ROCPRIM_400000_NS6detail17trampoline_kernelINS0_14default_configENS1_27scan_by_key_config_selectorIssEEZZNS1_16scan_by_key_implILNS1_25lookback_scan_determinismE0ELb1ES3_N6thrust23THRUST_200600_302600_NS6detail15normal_iteratorINS9_10device_ptrIsEEEESE_SE_sNS9_4plusIvEENS9_8equal_toIvEEsEE10hipError_tPvRmT2_T3_T4_T5_mT6_T7_P12ihipStream_tbENKUlT_T0_E_clISt17integral_constantIbLb0EESZ_EEDaSU_SV_EUlSU_E_NS1_11comp_targetILNS1_3genE4ELNS1_11target_archE910ELNS1_3gpuE8ELNS1_3repE0EEENS1_30default_config_static_selectorELNS0_4arch9wavefront6targetE1EEEvT1_
	.p2align	8
	.type	_ZN7rocprim17ROCPRIM_400000_NS6detail17trampoline_kernelINS0_14default_configENS1_27scan_by_key_config_selectorIssEEZZNS1_16scan_by_key_implILNS1_25lookback_scan_determinismE0ELb1ES3_N6thrust23THRUST_200600_302600_NS6detail15normal_iteratorINS9_10device_ptrIsEEEESE_SE_sNS9_4plusIvEENS9_8equal_toIvEEsEE10hipError_tPvRmT2_T3_T4_T5_mT6_T7_P12ihipStream_tbENKUlT_T0_E_clISt17integral_constantIbLb0EESZ_EEDaSU_SV_EUlSU_E_NS1_11comp_targetILNS1_3genE4ELNS1_11target_archE910ELNS1_3gpuE8ELNS1_3repE0EEENS1_30default_config_static_selectorELNS0_4arch9wavefront6targetE1EEEvT1_,@function
_ZN7rocprim17ROCPRIM_400000_NS6detail17trampoline_kernelINS0_14default_configENS1_27scan_by_key_config_selectorIssEEZZNS1_16scan_by_key_implILNS1_25lookback_scan_determinismE0ELb1ES3_N6thrust23THRUST_200600_302600_NS6detail15normal_iteratorINS9_10device_ptrIsEEEESE_SE_sNS9_4plusIvEENS9_8equal_toIvEEsEE10hipError_tPvRmT2_T3_T4_T5_mT6_T7_P12ihipStream_tbENKUlT_T0_E_clISt17integral_constantIbLb0EESZ_EEDaSU_SV_EUlSU_E_NS1_11comp_targetILNS1_3genE4ELNS1_11target_archE910ELNS1_3gpuE8ELNS1_3repE0EEENS1_30default_config_static_selectorELNS0_4arch9wavefront6targetE1EEEvT1_: ; @_ZN7rocprim17ROCPRIM_400000_NS6detail17trampoline_kernelINS0_14default_configENS1_27scan_by_key_config_selectorIssEEZZNS1_16scan_by_key_implILNS1_25lookback_scan_determinismE0ELb1ES3_N6thrust23THRUST_200600_302600_NS6detail15normal_iteratorINS9_10device_ptrIsEEEESE_SE_sNS9_4plusIvEENS9_8equal_toIvEEsEE10hipError_tPvRmT2_T3_T4_T5_mT6_T7_P12ihipStream_tbENKUlT_T0_E_clISt17integral_constantIbLb0EESZ_EEDaSU_SV_EUlSU_E_NS1_11comp_targetILNS1_3genE4ELNS1_11target_archE910ELNS1_3gpuE8ELNS1_3repE0EEENS1_30default_config_static_selectorELNS0_4arch9wavefront6targetE1EEEvT1_
; %bb.0:
	s_load_dwordx8 s[44:51], s[4:5], 0x0
	s_load_dword s7, s[4:5], 0x20
	s_load_dwordx4 s[52:55], s[4:5], 0x28
	s_load_dwordx2 s[64:65], s[4:5], 0x38
	s_load_dword s0, s[4:5], 0x40
	s_load_dwordx4 s[56:59], s[4:5], 0x48
	s_waitcnt lgkmcnt(0)
	s_lshl_b64 s[60:61], s[46:47], 1
	s_add_u32 s2, s44, s60
	s_addc_u32 s3, s45, s61
	s_add_u32 s4, s48, s60
	s_mul_i32 s1, s65, s0
	s_mul_hi_u32 s8, s64, s0
	s_addc_u32 s5, s49, s61
	s_add_i32 s8, s8, s1
	s_mul_i32 s9, s64, s0
	s_mul_i32 s0, s6, 0x1600
	s_mov_b32 s1, 0
	s_lshl_b64 s[62:63], s[0:1], 1
	s_add_u32 s66, s2, s62
	s_addc_u32 s67, s3, s63
	s_add_u32 s55, s4, s62
	s_addc_u32 s72, s5, s63
	;; [unrolled: 2-line block ×3, first 2 shown]
	s_add_u32 s4, s56, -1
	s_addc_u32 s5, s57, -1
	v_pk_mov_b32 v[2:3], s[4:5], s[4:5] op_sel:[0,1]
	v_cmp_ge_u64_e64 s[0:1], s[0:1], v[2:3]
	s_mov_b64 s[2:3], -1
	s_and_b64 vcc, exec, s[0:1]
	s_mul_i32 s33, s4, 0xffffea00
	s_barrier
	s_cbranch_vccz .LBB572_116
; %bb.1:
	v_pk_mov_b32 v[2:3], s[66:67], s[66:67] op_sel:[0,1]
	flat_load_ushort v6, v[2:3]
	s_add_i32 s74, s33, s54
	v_cmp_gt_u32_e32 vcc, s74, v0
	s_waitcnt vmcnt(0) lgkmcnt(0)
	v_mov_b32_e32 v7, v6
	s_and_saveexec_b64 s[4:5], vcc
	s_cbranch_execz .LBB572_3
; %bb.2:
	v_lshlrev_b32_e32 v1, 1, v0
	v_mov_b32_e32 v3, s67
	v_add_co_u32_e64 v2, s[2:3], s66, v1
	v_addc_co_u32_e64 v3, s[2:3], 0, v3, s[2:3]
	flat_load_ushort v7, v[2:3]
.LBB572_3:
	s_or_b64 exec, exec, s[4:5]
	v_or_b32_e32 v1, 0x100, v0
	v_cmp_gt_u32_e64 s[2:3], s74, v1
	v_mov_b32_e32 v8, v6
	s_and_saveexec_b64 s[8:9], s[2:3]
	s_cbranch_execz .LBB572_5
; %bb.4:
	v_lshlrev_b32_e32 v1, 1, v0
	v_mov_b32_e32 v3, s67
	v_add_co_u32_e64 v2, s[4:5], s66, v1
	v_addc_co_u32_e64 v3, s[4:5], 0, v3, s[4:5]
	flat_load_ushort v8, v[2:3] offset:512
.LBB572_5:
	s_or_b64 exec, exec, s[8:9]
	v_or_b32_e32 v1, 0x200, v0
	v_cmp_gt_u32_e64 s[4:5], s74, v1
	v_mov_b32_e32 v9, v6
	s_and_saveexec_b64 s[10:11], s[4:5]
	s_cbranch_execz .LBB572_7
; %bb.6:
	v_lshlrev_b32_e32 v1, 1, v0
	v_mov_b32_e32 v3, s67
	v_add_co_u32_e64 v2, s[8:9], s66, v1
	v_addc_co_u32_e64 v3, s[8:9], 0, v3, s[8:9]
	flat_load_ushort v9, v[2:3] offset:1024
.LBB572_7:
	;; [unrolled: 13-line block ×7, first 2 shown]
	s_or_b64 exec, exec, s[18:19]
	v_or_b32_e32 v1, 0x800, v0
	v_cmp_gt_u32_e64 s[16:17], s74, v1
	v_lshlrev_b32_e32 v1, 1, v1
	v_mov_b32_e32 v15, v6
	s_and_saveexec_b64 s[20:21], s[16:17]
	s_cbranch_execz .LBB572_19
; %bb.18:
	v_mov_b32_e32 v3, s67
	v_add_co_u32_e64 v2, s[18:19], s66, v1
	v_addc_co_u32_e64 v3, s[18:19], 0, v3, s[18:19]
	flat_load_ushort v15, v[2:3]
.LBB572_19:
	s_or_b64 exec, exec, s[20:21]
	v_or_b32_e32 v2, 0x900, v0
	v_cmp_gt_u32_e64 s[18:19], s74, v2
	v_lshlrev_b32_e32 v2, 1, v2
	v_mov_b32_e32 v26, v6
	s_and_saveexec_b64 s[22:23], s[18:19]
	s_cbranch_execz .LBB572_21
; %bb.20:
	v_mov_b32_e32 v3, s67
	v_add_co_u32_e64 v4, s[20:21], s66, v2
	v_addc_co_u32_e64 v5, s[20:21], 0, v3, s[20:21]
	flat_load_ushort v26, v[4:5]
.LBB572_21:
	;; [unrolled: 13-line block ×13, first 2 shown]
	s_or_b64 exec, exec, s[48:49]
	v_or_b32_e32 v20, 0x1500, v0
	v_cmp_gt_u32_e64 s[44:45], s74, v20
	v_lshlrev_b32_e32 v25, 1, v20
	s_and_saveexec_b64 s[56:57], s[44:45]
	s_cbranch_execz .LBB572_45
; %bb.44:
	v_mov_b32_e32 v6, s67
	v_add_co_u32_e64 v38, s[48:49], s66, v25
	v_addc_co_u32_e64 v39, s[48:49], 0, v6, s[48:49]
	flat_load_ushort v6, v[38:39]
.LBB572_45:
	s_or_b64 exec, exec, s[56:57]
	v_lshlrev_b32_e32 v20, 1, v0
	s_waitcnt vmcnt(0) lgkmcnt(0)
	ds_write_b16 v20, v7
	ds_write_b16 v20, v8 offset:512
	ds_write_b16 v20, v9 offset:1024
	;; [unrolled: 1-line block ×21, first 2 shown]
	v_pk_mov_b32 v[6:7], s[66:67], s[66:67] op_sel:[0,1]
	s_waitcnt lgkmcnt(0)
	s_barrier
	flat_load_ushort v36, v[6:7]
	v_mad_u32_u24 v38, v0, 42, v20
	s_movk_i32 s48, 0xffd6
	v_mad_i32_i24 v26, v0, s48, v38
	s_movk_i32 s48, 0xff
	v_cmp_ne_u32_e64 s[48:49], s48, v0
	ds_read2_b32 v[14:15], v38 offset1:1
	ds_read2_b32 v[12:13], v38 offset0:2 offset1:3
	ds_read2_b32 v[10:11], v38 offset0:4 offset1:5
	;; [unrolled: 1-line block ×4, first 2 shown]
	ds_read_b32 v39, v38 offset:40
	s_waitcnt lgkmcnt(0)
	ds_write_b16 v26, v14 offset:11776
	s_waitcnt lgkmcnt(0)
	s_barrier
	s_and_saveexec_b64 s[56:57], s[48:49]
	s_cbranch_execz .LBB572_47
; %bb.46:
	s_waitcnt vmcnt(0)
	ds_read_u16 v36, v20 offset:11778
.LBB572_47:
	s_or_b64 exec, exec, s[56:57]
	s_waitcnt lgkmcnt(0)
	s_barrier
	s_waitcnt lgkmcnt(0)
                                        ; implicit-def: $vgpr26
	s_and_saveexec_b64 s[48:49], vcc
	s_cbranch_execz .LBB572_185
; %bb.48:
	v_mov_b32_e32 v27, s72
	v_add_co_u32_e32 v26, vcc, s55, v20
	v_addc_co_u32_e32 v27, vcc, 0, v27, vcc
	flat_load_ushort v26, v[26:27]
	s_or_b64 exec, exec, s[48:49]
                                        ; implicit-def: $vgpr27
	s_and_saveexec_b64 s[48:49], s[2:3]
	s_cbranch_execnz .LBB572_186
.LBB572_49:
	s_or_b64 exec, exec, s[48:49]
                                        ; implicit-def: $vgpr28
	s_and_saveexec_b64 s[2:3], s[4:5]
	s_cbranch_execz .LBB572_187
.LBB572_50:
	v_mov_b32_e32 v29, s72
	v_add_co_u32_e32 v28, vcc, s55, v20
	v_addc_co_u32_e32 v29, vcc, 0, v29, vcc
	flat_load_ushort v28, v[28:29] offset:1024
	s_or_b64 exec, exec, s[2:3]
                                        ; implicit-def: $vgpr29
	s_and_saveexec_b64 s[2:3], s[46:47]
	s_cbranch_execnz .LBB572_188
.LBB572_51:
	s_or_b64 exec, exec, s[2:3]
                                        ; implicit-def: $vgpr30
	s_and_saveexec_b64 s[2:3], s[8:9]
	s_cbranch_execz .LBB572_189
.LBB572_52:
	v_mov_b32_e32 v31, s72
	v_add_co_u32_e32 v30, vcc, s55, v20
	v_addc_co_u32_e32 v31, vcc, 0, v31, vcc
	flat_load_ushort v30, v[30:31] offset:2048
	s_or_b64 exec, exec, s[2:3]
                                        ; implicit-def: $vgpr31
	s_and_saveexec_b64 s[2:3], s[10:11]
	s_cbranch_execnz .LBB572_190
.LBB572_53:
	s_or_b64 exec, exec, s[2:3]
                                        ; implicit-def: $vgpr32
	s_and_saveexec_b64 s[2:3], s[12:13]
	s_cbranch_execz .LBB572_191
.LBB572_54:
	v_mov_b32_e32 v33, s72
	v_add_co_u32_e32 v32, vcc, s55, v20
	v_addc_co_u32_e32 v33, vcc, 0, v33, vcc
	flat_load_ushort v32, v[32:33] offset:3072
	s_or_b64 exec, exec, s[2:3]
                                        ; implicit-def: $vgpr33
	s_and_saveexec_b64 s[2:3], s[14:15]
	s_cbranch_execnz .LBB572_192
.LBB572_55:
	s_or_b64 exec, exec, s[2:3]
                                        ; implicit-def: $vgpr34
	s_and_saveexec_b64 s[2:3], s[16:17]
	s_cbranch_execz .LBB572_193
.LBB572_56:
	v_mov_b32_e32 v35, s72
	v_add_co_u32_e32 v34, vcc, s55, v1
	v_addc_co_u32_e32 v35, vcc, 0, v35, vcc
	flat_load_ushort v34, v[34:35]
	s_or_b64 exec, exec, s[2:3]
                                        ; implicit-def: $vgpr1
	s_and_saveexec_b64 s[2:3], s[18:19]
	s_cbranch_execnz .LBB572_194
.LBB572_57:
	s_or_b64 exec, exec, s[2:3]
                                        ; implicit-def: $vgpr2
	s_and_saveexec_b64 s[2:3], s[20:21]
	s_cbranch_execz .LBB572_195
.LBB572_58:
	v_mov_b32_e32 v35, s72
	v_add_co_u32_e32 v2, vcc, s55, v3
	v_addc_co_u32_e32 v3, vcc, 0, v35, vcc
	flat_load_ushort v2, v[2:3]
	s_or_b64 exec, exec, s[2:3]
                                        ; implicit-def: $vgpr3
	s_and_saveexec_b64 s[2:3], s[22:23]
	s_cbranch_execnz .LBB572_196
.LBB572_59:
	s_or_b64 exec, exec, s[2:3]
                                        ; implicit-def: $vgpr4
	s_and_saveexec_b64 s[2:3], s[24:25]
	s_cbranch_execz .LBB572_197
.LBB572_60:
	v_mov_b32_e32 v35, s72
	v_add_co_u32_e32 v4, vcc, s55, v5
	v_addc_co_u32_e32 v5, vcc, 0, v35, vcc
	flat_load_ushort v4, v[4:5]
	s_or_b64 exec, exec, s[2:3]
                                        ; implicit-def: $vgpr5
	s_and_saveexec_b64 s[2:3], s[26:27]
	s_cbranch_execnz .LBB572_198
.LBB572_61:
	s_or_b64 exec, exec, s[2:3]
                                        ; implicit-def: $vgpr16
	s_and_saveexec_b64 s[2:3], s[28:29]
	s_cbranch_execz .LBB572_199
.LBB572_62:
	v_mov_b32_e32 v35, s72
	v_add_co_u32_e32 v16, vcc, s55, v17
	v_addc_co_u32_e32 v17, vcc, 0, v35, vcc
	flat_load_ushort v16, v[16:17]
	s_or_b64 exec, exec, s[2:3]
                                        ; implicit-def: $vgpr17
	s_and_saveexec_b64 s[2:3], s[30:31]
	s_cbranch_execnz .LBB572_200
.LBB572_63:
	s_or_b64 exec, exec, s[2:3]
                                        ; implicit-def: $vgpr18
	s_and_saveexec_b64 s[2:3], s[34:35]
	s_cbranch_execz .LBB572_201
.LBB572_64:
	v_mov_b32_e32 v35, s72
	v_add_co_u32_e32 v18, vcc, s55, v19
	v_addc_co_u32_e32 v19, vcc, 0, v35, vcc
	flat_load_ushort v18, v[18:19]
	s_or_b64 exec, exec, s[2:3]
                                        ; implicit-def: $vgpr19
	s_and_saveexec_b64 s[2:3], s[36:37]
	s_cbranch_execnz .LBB572_202
.LBB572_65:
	s_or_b64 exec, exec, s[2:3]
                                        ; implicit-def: $vgpr21
	s_and_saveexec_b64 s[2:3], s[38:39]
	s_cbranch_execz .LBB572_203
.LBB572_66:
	v_mov_b32_e32 v21, s72
	v_add_co_u32_e32 v40, vcc, s55, v22
	v_addc_co_u32_e32 v41, vcc, 0, v21, vcc
	flat_load_ushort v21, v[40:41]
	s_or_b64 exec, exec, s[2:3]
                                        ; implicit-def: $vgpr22
	s_and_saveexec_b64 s[2:3], s[40:41]
	s_cbranch_execnz .LBB572_204
.LBB572_67:
	s_or_b64 exec, exec, s[2:3]
                                        ; implicit-def: $vgpr23
	s_and_saveexec_b64 s[2:3], s[42:43]
	s_cbranch_execz .LBB572_69
.LBB572_68:
	v_mov_b32_e32 v23, s72
	v_add_co_u32_e32 v40, vcc, s55, v24
	v_addc_co_u32_e32 v41, vcc, 0, v23, vcc
	flat_load_ushort v23, v[40:41]
.LBB572_69:
	s_or_b64 exec, exec, s[2:3]
	v_mul_u32_u24_e32 v40, 22, v0
                                        ; implicit-def: $vgpr24
	s_and_saveexec_b64 s[2:3], s[44:45]
	s_cbranch_execz .LBB572_71
; %bb.70:
	v_mov_b32_e32 v35, s72
	v_add_co_u32_e32 v24, vcc, s55, v25
	v_addc_co_u32_e32 v25, vcc, 0, v35, vcc
	flat_load_ushort v24, v[24:25]
.LBB572_71:
	s_or_b64 exec, exec, s[2:3]
	s_waitcnt vmcnt(0) lgkmcnt(0)
	ds_write_b16 v20, v26
	ds_write_b16 v20, v27 offset:512
	ds_write_b16 v20, v28 offset:1024
	;; [unrolled: 1-line block ×21, first 2 shown]
	v_cmp_gt_u32_e32 vcc, s74, v40
	s_mov_b64 s[2:3], 0
	s_mov_b32 s73, 0
	v_mov_b32_e32 v1, 0
	s_mov_b64 s[10:11], 0
	v_mov_b32_e32 v18, 0
	v_mov_b32_e32 v22, 0
	;; [unrolled: 1-line block ×20, first 2 shown]
	s_waitcnt lgkmcnt(0)
	s_barrier
	s_waitcnt lgkmcnt(0)
                                        ; implicit-def: $sgpr8_sgpr9
                                        ; implicit-def: $vgpr37
	s_and_saveexec_b64 s[4:5], vcc
	s_cbranch_execz .LBB572_115
; %bb.72:
	ds_read_u16 v1, v38
	v_mov_b32_e32 v3, s7
	v_cmp_eq_u16_sdwa vcc, v14, v14 src0_sel:DWORD src1_sel:WORD_1
	v_cmp_ne_u16_sdwa s[8:9], v14, v14 src0_sel:DWORD src1_sel:WORD_1
	v_or_b32_e32 v2, 1, v40
	s_waitcnt lgkmcnt(0)
	v_cndmask_b32_e32 v1, v3, v1, vcc
	v_and_b32_e32 v1, 0xffff, v1
	v_cndmask_b32_e64 v3, 0, 1, s[8:9]
	v_lshl_or_b32 v1, v3, 16, v1
	v_cmp_gt_u32_e32 vcc, s74, v2
	v_mov_b32_e32 v18, 0
	v_mov_b32_e32 v22, 0
	;; [unrolled: 1-line block ×20, first 2 shown]
                                        ; implicit-def: $sgpr12_sgpr13
                                        ; implicit-def: $vgpr37
	s_and_saveexec_b64 s[8:9], vcc
	s_cbranch_execz .LBB572_114
; %bb.73:
	ds_read_b128 v[2:5], v38 offset:2
	v_mov_b32_e32 v17, s7
	v_cmp_eq_u16_sdwa vcc, v14, v15 src0_sel:WORD_1 src1_sel:DWORD
	v_cmp_ne_u16_sdwa s[10:11], v14, v15 src0_sel:WORD_1 src1_sel:DWORD
	v_add_u32_e32 v16, 2, v40
	s_waitcnt lgkmcnt(0)
	v_cndmask_b32_e32 v17, v17, v2, vcc
	v_and_b32_e32 v17, 0xffff, v17
	v_cndmask_b32_e64 v14, 0, 1, s[10:11]
	v_lshl_or_b32 v18, v14, 16, v17
	v_cmp_gt_u32_e32 vcc, s74, v16
	s_mov_b64 s[14:15], 0
	v_mov_b32_e32 v22, 0
	v_mov_b32_e32 v19, 0
	;; [unrolled: 1-line block ×19, first 2 shown]
                                        ; implicit-def: $sgpr12_sgpr13
                                        ; implicit-def: $vgpr37
	s_and_saveexec_b64 s[10:11], vcc
	s_cbranch_execz .LBB572_113
; %bb.74:
	v_lshrrev_b32_e32 v2, 16, v2
	v_mov_b32_e32 v16, s7
	v_cmp_eq_u16_sdwa vcc, v15, v15 src0_sel:DWORD src1_sel:WORD_1
	v_cndmask_b32_e32 v2, v16, v2, vcc
	v_cmp_ne_u16_sdwa s[12:13], v15, v15 src0_sel:DWORD src1_sel:WORD_1
	v_add_u32_e32 v14, 3, v40
	v_and_b32_e32 v2, 0xffff, v2
	v_cndmask_b32_e64 v16, 0, 1, s[12:13]
	v_lshl_or_b32 v22, v16, 16, v2
	v_cmp_gt_u32_e32 vcc, s74, v14
	v_mov_b32_e32 v19, 0
	v_mov_b32_e32 v23, 0
	;; [unrolled: 1-line block ×18, first 2 shown]
                                        ; implicit-def: $sgpr16_sgpr17
                                        ; implicit-def: $vgpr37
	s_and_saveexec_b64 s[12:13], vcc
	s_cbranch_execz .LBB572_112
; %bb.75:
	v_mov_b32_e32 v14, s7
	v_cmp_eq_u16_sdwa vcc, v15, v12 src0_sel:WORD_1 src1_sel:DWORD
	v_cndmask_b32_e32 v14, v14, v3, vcc
	v_cmp_ne_u16_sdwa s[14:15], v15, v12 src0_sel:WORD_1 src1_sel:DWORD
	v_add_u32_e32 v2, 4, v40
	v_and_b32_e32 v14, 0xffff, v14
	v_cndmask_b32_e64 v15, 0, 1, s[14:15]
	v_lshl_or_b32 v19, v15, 16, v14
	v_cmp_gt_u32_e32 vcc, s74, v2
	s_mov_b64 s[18:19], 0
	v_mov_b32_e32 v23, 0
	v_mov_b32_e32 v16, 0
	;; [unrolled: 1-line block ×17, first 2 shown]
                                        ; implicit-def: $sgpr16_sgpr17
                                        ; implicit-def: $vgpr37
	s_and_saveexec_b64 s[14:15], vcc
	s_cbranch_execz .LBB572_111
; %bb.76:
	v_lshrrev_b32_e32 v2, 16, v3
	v_mov_b32_e32 v14, s7
	v_cmp_eq_u16_sdwa vcc, v12, v12 src0_sel:DWORD src1_sel:WORD_1
	v_cndmask_b32_e32 v2, v14, v2, vcc
	v_cmp_ne_u16_sdwa s[16:17], v12, v12 src0_sel:DWORD src1_sel:WORD_1
	v_add_u32_e32 v3, 5, v40
	v_and_b32_e32 v2, 0xffff, v2
	v_cndmask_b32_e64 v14, 0, 1, s[16:17]
	v_lshl_or_b32 v23, v14, 16, v2
	v_cmp_gt_u32_e32 vcc, s74, v3
	v_mov_b32_e32 v16, 0
	v_mov_b32_e32 v24, 0
	;; [unrolled: 1-line block ×16, first 2 shown]
                                        ; implicit-def: $sgpr20_sgpr21
                                        ; implicit-def: $vgpr37
	s_and_saveexec_b64 s[16:17], vcc
	s_cbranch_execz .LBB572_110
; %bb.77:
	v_mov_b32_e32 v3, s7
	v_cmp_eq_u16_sdwa vcc, v12, v13 src0_sel:WORD_1 src1_sel:DWORD
	v_cndmask_b32_e32 v3, v3, v4, vcc
	v_cmp_ne_u16_sdwa s[18:19], v12, v13 src0_sel:WORD_1 src1_sel:DWORD
	v_add_u32_e32 v2, 6, v40
	v_and_b32_e32 v3, 0xffff, v3
	v_cndmask_b32_e64 v12, 0, 1, s[18:19]
	v_lshl_or_b32 v16, v12, 16, v3
	v_cmp_gt_u32_e32 vcc, s74, v2
	s_mov_b64 s[22:23], 0
	v_mov_b32_e32 v24, 0
	v_mov_b32_e32 v17, 0
	;; [unrolled: 1-line block ×15, first 2 shown]
                                        ; implicit-def: $sgpr20_sgpr21
                                        ; implicit-def: $vgpr37
	s_and_saveexec_b64 s[18:19], vcc
	s_cbranch_execz .LBB572_109
; %bb.78:
	v_lshrrev_b32_e32 v2, 16, v4
	v_mov_b32_e32 v4, s7
	v_cmp_eq_u16_sdwa vcc, v13, v13 src0_sel:DWORD src1_sel:WORD_1
	v_cndmask_b32_e32 v2, v4, v2, vcc
	v_cmp_ne_u16_sdwa s[20:21], v13, v13 src0_sel:DWORD src1_sel:WORD_1
	v_add_u32_e32 v3, 7, v40
	v_and_b32_e32 v2, 0xffff, v2
	v_cndmask_b32_e64 v4, 0, 1, s[20:21]
	v_lshl_or_b32 v24, v4, 16, v2
	v_cmp_gt_u32_e32 vcc, s74, v3
	v_mov_b32_e32 v17, 0
	v_mov_b32_e32 v25, 0
	v_mov_b32_e32 v26, 0
	v_mov_b32_e32 v27, 0
	v_mov_b32_e32 v28, 0
	v_mov_b32_e32 v29, 0
	v_mov_b32_e32 v30, 0
	v_mov_b32_e32 v31, 0
	v_mov_b32_e32 v32, 0
	v_mov_b32_e32 v33, 0
	v_mov_b32_e32 v20, 0
	v_mov_b32_e32 v34, 0
	v_mov_b32_e32 v21, 0
	v_mov_b32_e32 v35, 0
                                        ; implicit-def: $sgpr24_sgpr25
                                        ; implicit-def: $vgpr37
	s_and_saveexec_b64 s[20:21], vcc
	s_cbranch_execz .LBB572_108
; %bb.79:
	v_mov_b32_e32 v3, s7
	v_cmp_eq_u16_sdwa vcc, v13, v10 src0_sel:WORD_1 src1_sel:DWORD
	v_cndmask_b32_e32 v3, v3, v5, vcc
	v_cmp_ne_u16_sdwa s[22:23], v13, v10 src0_sel:WORD_1 src1_sel:DWORD
	v_add_u32_e32 v2, 8, v40
	v_and_b32_e32 v3, 0xffff, v3
	v_cndmask_b32_e64 v4, 0, 1, s[22:23]
	v_lshl_or_b32 v17, v4, 16, v3
	v_cmp_gt_u32_e32 vcc, s74, v2
	s_mov_b64 s[26:27], 0
	v_mov_b32_e32 v25, 0
	v_mov_b32_e32 v26, 0
	;; [unrolled: 1-line block ×13, first 2 shown]
                                        ; implicit-def: $sgpr24_sgpr25
                                        ; implicit-def: $vgpr37
	s_and_saveexec_b64 s[22:23], vcc
	s_cbranch_execz .LBB572_107
; %bb.80:
	v_lshrrev_b32_e32 v2, 16, v5
	v_mov_b32_e32 v4, s7
	v_cmp_eq_u16_sdwa vcc, v10, v10 src0_sel:DWORD src1_sel:WORD_1
	v_cndmask_b32_e32 v2, v4, v2, vcc
	v_cmp_ne_u16_sdwa s[24:25], v10, v10 src0_sel:DWORD src1_sel:WORD_1
	v_add_u32_e32 v3, 9, v40
	v_and_b32_e32 v2, 0xffff, v2
	v_cndmask_b32_e64 v4, 0, 1, s[24:25]
	v_lshl_or_b32 v25, v4, 16, v2
	v_cmp_gt_u32_e32 vcc, s74, v3
	v_mov_b32_e32 v26, 0
	v_mov_b32_e32 v27, 0
	;; [unrolled: 1-line block ×12, first 2 shown]
                                        ; implicit-def: $sgpr28_sgpr29
                                        ; implicit-def: $vgpr37
	s_and_saveexec_b64 s[24:25], vcc
	s_cbranch_execz .LBB572_106
; %bb.81:
	ds_read_b128 v[2:5], v38 offset:18
	v_mov_b32_e32 v13, s7
	v_cmp_eq_u16_sdwa vcc, v10, v11 src0_sel:WORD_1 src1_sel:DWORD
	v_cmp_ne_u16_sdwa s[26:27], v10, v11 src0_sel:WORD_1 src1_sel:DWORD
	v_add_u32_e32 v12, 10, v40
	s_waitcnt lgkmcnt(0)
	v_cndmask_b32_e32 v13, v13, v2, vcc
	v_and_b32_e32 v13, 0xffff, v13
	v_cndmask_b32_e64 v10, 0, 1, s[26:27]
	v_lshl_or_b32 v26, v10, 16, v13
	v_cmp_gt_u32_e32 vcc, s74, v12
	s_mov_b64 s[30:31], 0
	v_mov_b32_e32 v27, 0
	v_mov_b32_e32 v28, 0
	;; [unrolled: 1-line block ×11, first 2 shown]
                                        ; implicit-def: $sgpr28_sgpr29
                                        ; implicit-def: $vgpr37
	s_and_saveexec_b64 s[26:27], vcc
	s_cbranch_execz .LBB572_105
; %bb.82:
	v_lshrrev_b32_e32 v2, 16, v2
	v_mov_b32_e32 v12, s7
	v_cmp_eq_u16_sdwa vcc, v11, v11 src0_sel:DWORD src1_sel:WORD_1
	v_cndmask_b32_e32 v2, v12, v2, vcc
	v_cmp_ne_u16_sdwa s[28:29], v11, v11 src0_sel:DWORD src1_sel:WORD_1
	v_add_u32_e32 v10, 11, v40
	v_and_b32_e32 v2, 0xffff, v2
	v_cndmask_b32_e64 v12, 0, 1, s[28:29]
	v_lshl_or_b32 v27, v12, 16, v2
	v_cmp_gt_u32_e32 vcc, s74, v10
	v_mov_b32_e32 v28, 0
	v_mov_b32_e32 v29, 0
	;; [unrolled: 1-line block ×10, first 2 shown]
                                        ; implicit-def: $sgpr34_sgpr35
                                        ; implicit-def: $vgpr37
	s_and_saveexec_b64 s[28:29], vcc
	s_cbranch_execz .LBB572_104
; %bb.83:
	v_mov_b32_e32 v10, s7
	v_cmp_eq_u16_sdwa vcc, v11, v8 src0_sel:WORD_1 src1_sel:DWORD
	v_cndmask_b32_e32 v10, v10, v3, vcc
	v_cmp_ne_u16_sdwa s[30:31], v11, v8 src0_sel:WORD_1 src1_sel:DWORD
	v_add_u32_e32 v2, 12, v40
	v_and_b32_e32 v10, 0xffff, v10
	v_cndmask_b32_e64 v11, 0, 1, s[30:31]
	v_lshl_or_b32 v28, v11, 16, v10
	v_cmp_gt_u32_e32 vcc, s74, v2
	s_mov_b64 s[36:37], 0
	v_mov_b32_e32 v29, 0
	v_mov_b32_e32 v30, 0
	;; [unrolled: 1-line block ×9, first 2 shown]
                                        ; implicit-def: $sgpr34_sgpr35
                                        ; implicit-def: $vgpr37
	s_and_saveexec_b64 s[30:31], vcc
	s_cbranch_execz .LBB572_103
; %bb.84:
	v_lshrrev_b32_e32 v2, 16, v3
	v_mov_b32_e32 v10, s7
	v_cmp_eq_u16_sdwa vcc, v8, v8 src0_sel:DWORD src1_sel:WORD_1
	v_cndmask_b32_e32 v2, v10, v2, vcc
	v_cmp_ne_u16_sdwa s[34:35], v8, v8 src0_sel:DWORD src1_sel:WORD_1
	v_add_u32_e32 v3, 13, v40
	v_and_b32_e32 v2, 0xffff, v2
	v_cndmask_b32_e64 v10, 0, 1, s[34:35]
	v_lshl_or_b32 v29, v10, 16, v2
	v_cmp_gt_u32_e32 vcc, s74, v3
	v_mov_b32_e32 v30, 0
	v_mov_b32_e32 v31, 0
	;; [unrolled: 1-line block ×8, first 2 shown]
                                        ; implicit-def: $sgpr38_sgpr39
                                        ; implicit-def: $vgpr37
	s_and_saveexec_b64 s[34:35], vcc
	s_cbranch_execz .LBB572_102
; %bb.85:
	v_mov_b32_e32 v3, s7
	v_cmp_eq_u16_sdwa vcc, v8, v9 src0_sel:WORD_1 src1_sel:DWORD
	v_cndmask_b32_e32 v3, v3, v4, vcc
	v_cmp_ne_u16_sdwa s[36:37], v8, v9 src0_sel:WORD_1 src1_sel:DWORD
	v_add_u32_e32 v2, 14, v40
	v_and_b32_e32 v3, 0xffff, v3
	v_cndmask_b32_e64 v8, 0, 1, s[36:37]
	v_lshl_or_b32 v30, v8, 16, v3
	v_cmp_gt_u32_e32 vcc, s74, v2
	s_mov_b64 s[40:41], 0
	v_mov_b32_e32 v31, 0
	v_mov_b32_e32 v32, 0
	;; [unrolled: 1-line block ×7, first 2 shown]
                                        ; implicit-def: $sgpr38_sgpr39
                                        ; implicit-def: $vgpr37
	s_and_saveexec_b64 s[36:37], vcc
	s_cbranch_execz .LBB572_101
; %bb.86:
	v_lshrrev_b32_e32 v2, 16, v4
	v_mov_b32_e32 v4, s7
	v_cmp_eq_u16_sdwa vcc, v9, v9 src0_sel:DWORD src1_sel:WORD_1
	v_cndmask_b32_e32 v2, v4, v2, vcc
	v_cmp_ne_u16_sdwa s[38:39], v9, v9 src0_sel:DWORD src1_sel:WORD_1
	v_add_u32_e32 v3, 15, v40
	v_and_b32_e32 v2, 0xffff, v2
	v_cndmask_b32_e64 v4, 0, 1, s[38:39]
	v_lshl_or_b32 v31, v4, 16, v2
	v_cmp_gt_u32_e32 vcc, s74, v3
	v_mov_b32_e32 v32, 0
	v_mov_b32_e32 v33, 0
	;; [unrolled: 1-line block ×6, first 2 shown]
                                        ; implicit-def: $sgpr42_sgpr43
                                        ; implicit-def: $vgpr37
	s_and_saveexec_b64 s[38:39], vcc
	s_cbranch_execz .LBB572_100
; %bb.87:
	v_mov_b32_e32 v3, s7
	v_cmp_eq_u16_sdwa vcc, v9, v6 src0_sel:WORD_1 src1_sel:DWORD
	v_cndmask_b32_e32 v3, v3, v5, vcc
	v_cmp_ne_u16_sdwa s[40:41], v9, v6 src0_sel:WORD_1 src1_sel:DWORD
	v_add_u32_e32 v2, 16, v40
	v_and_b32_e32 v3, 0xffff, v3
	v_cndmask_b32_e64 v4, 0, 1, s[40:41]
	v_lshl_or_b32 v32, v4, 16, v3
	v_cmp_gt_u32_e32 vcc, s74, v2
	s_mov_b64 s[44:45], 0
	v_mov_b32_e32 v33, 0
	v_mov_b32_e32 v20, 0
	v_mov_b32_e32 v34, 0
	v_mov_b32_e32 v21, 0
	v_mov_b32_e32 v35, 0
                                        ; implicit-def: $sgpr42_sgpr43
                                        ; implicit-def: $vgpr37
	s_and_saveexec_b64 s[40:41], vcc
	s_cbranch_execz .LBB572_99
; %bb.88:
	v_lshrrev_b32_e32 v2, 16, v5
	v_mov_b32_e32 v4, s7
	v_cmp_eq_u16_sdwa vcc, v6, v6 src0_sel:DWORD src1_sel:WORD_1
	v_cndmask_b32_e32 v2, v4, v2, vcc
	v_cmp_ne_u16_sdwa s[42:43], v6, v6 src0_sel:DWORD src1_sel:WORD_1
	v_add_u32_e32 v3, 17, v40
	v_and_b32_e32 v2, 0xffff, v2
	v_cndmask_b32_e64 v4, 0, 1, s[42:43]
	v_lshl_or_b32 v33, v4, 16, v2
	v_cmp_gt_u32_e32 vcc, s74, v3
	v_mov_b32_e32 v20, 0
	v_mov_b32_e32 v34, 0
	;; [unrolled: 1-line block ×4, first 2 shown]
                                        ; implicit-def: $sgpr46_sgpr47
                                        ; implicit-def: $vgpr37
	s_and_saveexec_b64 s[42:43], vcc
	s_cbranch_execz .LBB572_98
; %bb.89:
	ds_read_b64 v[2:3], v38 offset:34
	v_mov_b32_e32 v5, s7
	v_cmp_eq_u16_sdwa vcc, v6, v7 src0_sel:WORD_1 src1_sel:DWORD
	v_cmp_ne_u16_sdwa s[44:45], v6, v7 src0_sel:WORD_1 src1_sel:DWORD
	v_add_u32_e32 v4, 18, v40
	s_waitcnt lgkmcnt(0)
	v_cndmask_b32_e32 v5, v5, v2, vcc
	v_and_b32_e32 v5, 0xffff, v5
	v_cndmask_b32_e64 v6, 0, 1, s[44:45]
	v_lshl_or_b32 v20, v6, 16, v5
	v_cmp_gt_u32_e32 vcc, s74, v4
	s_mov_b64 s[48:49], 0
	v_mov_b32_e32 v34, 0
	v_mov_b32_e32 v21, 0
	;; [unrolled: 1-line block ×3, first 2 shown]
                                        ; implicit-def: $sgpr46_sgpr47
                                        ; implicit-def: $vgpr37
	s_and_saveexec_b64 s[44:45], vcc
	s_cbranch_execz .LBB572_97
; %bb.90:
	v_lshrrev_b32_e32 v2, 16, v2
	v_mov_b32_e32 v5, s7
	v_cmp_eq_u16_sdwa vcc, v7, v7 src0_sel:DWORD src1_sel:WORD_1
	v_cndmask_b32_e32 v2, v5, v2, vcc
	v_cmp_ne_u16_sdwa s[46:47], v7, v7 src0_sel:DWORD src1_sel:WORD_1
	v_add_u32_e32 v4, 19, v40
	v_and_b32_e32 v2, 0xffff, v2
	v_cndmask_b32_e64 v5, 0, 1, s[46:47]
	v_lshl_or_b32 v34, v5, 16, v2
	v_cmp_gt_u32_e32 vcc, s74, v4
	v_mov_b32_e32 v21, 0
	v_mov_b32_e32 v35, 0
                                        ; implicit-def: $sgpr56_sgpr57
                                        ; implicit-def: $vgpr37
	s_and_saveexec_b64 s[46:47], vcc
	s_cbranch_execz .LBB572_96
; %bb.91:
	v_mov_b32_e32 v4, s7
	v_cmp_eq_u16_sdwa vcc, v7, v39 src0_sel:WORD_1 src1_sel:DWORD
	v_cndmask_b32_e32 v4, v4, v3, vcc
	v_cmp_ne_u16_sdwa s[48:49], v7, v39 src0_sel:WORD_1 src1_sel:DWORD
	v_add_u32_e32 v2, 20, v40
	v_and_b32_e32 v4, 0xffff, v4
	v_cndmask_b32_e64 v5, 0, 1, s[48:49]
	v_lshl_or_b32 v21, v5, 16, v4
	v_cmp_gt_u32_e32 vcc, s74, v2
	s_mov_b64 s[68:69], 0
	v_mov_b32_e32 v35, 0
                                        ; implicit-def: $sgpr70_sgpr71
                                        ; implicit-def: $vgpr37
	s_and_saveexec_b64 s[48:49], vcc
	s_cbranch_execz .LBB572_95
; %bb.92:
	v_lshrrev_b32_e32 v2, 16, v3
	v_mov_b32_e32 v4, s7
	v_cmp_eq_u16_sdwa vcc, v39, v39 src0_sel:DWORD src1_sel:WORD_1
	v_cndmask_b32_e32 v2, v4, v2, vcc
	v_cmp_ne_u16_sdwa s[56:57], v39, v39 src0_sel:DWORD src1_sel:WORD_1
	v_add_u32_e32 v3, 21, v40
	v_and_b32_e32 v2, 0xffff, v2
	v_cndmask_b32_e64 v4, 0, 1, s[56:57]
	v_lshl_or_b32 v35, v4, 16, v2
	v_cmp_gt_u32_e32 vcc, s74, v3
	s_mov_b64 s[56:57], 0
                                        ; implicit-def: $sgpr68_sgpr69
                                        ; implicit-def: $vgpr37
	s_and_saveexec_b64 s[70:71], vcc
	s_xor_b64 s[70:71], exec, s[70:71]
	s_cbranch_execz .LBB572_94
; %bb.93:
	ds_read_u16 v2, v38 offset:42
	v_mov_b32_e32 v3, s7
	v_cmp_ne_u16_sdwa vcc, v39, v36 src0_sel:WORD_1 src1_sel:DWORD
	s_mov_b64 s[56:57], exec
	s_and_b64 s[68:69], vcc, exec
	s_waitcnt lgkmcnt(0)
	v_cndmask_b32_e32 v37, v2, v3, vcc
.LBB572_94:
	s_or_b64 exec, exec, s[70:71]
	s_and_b64 s[70:71], s[68:69], exec
	s_and_b64 s[68:69], s[56:57], exec
.LBB572_95:
	s_or_b64 exec, exec, s[48:49]
	s_and_b64 s[56:57], s[70:71], exec
	s_and_b64 s[48:49], s[68:69], exec
.LBB572_96:
	s_or_b64 exec, exec, s[46:47]
	s_and_b64 s[46:47], s[56:57], exec
	s_and_b64 s[48:49], s[48:49], exec
.LBB572_97:
	s_or_b64 exec, exec, s[44:45]
	s_and_b64 s[46:47], s[46:47], exec
	s_and_b64 s[44:45], s[48:49], exec
.LBB572_98:
	s_or_b64 exec, exec, s[42:43]
	s_and_b64 s[42:43], s[46:47], exec
	s_and_b64 s[44:45], s[44:45], exec
.LBB572_99:
	s_or_b64 exec, exec, s[40:41]
	s_and_b64 s[42:43], s[42:43], exec
	s_and_b64 s[40:41], s[44:45], exec
.LBB572_100:
	s_or_b64 exec, exec, s[38:39]
	s_and_b64 s[38:39], s[42:43], exec
	s_and_b64 s[40:41], s[40:41], exec
.LBB572_101:
	s_or_b64 exec, exec, s[36:37]
	s_and_b64 s[38:39], s[38:39], exec
	s_and_b64 s[36:37], s[40:41], exec
.LBB572_102:
	s_or_b64 exec, exec, s[34:35]
	s_and_b64 s[34:35], s[38:39], exec
	s_and_b64 s[36:37], s[36:37], exec
.LBB572_103:
	s_or_b64 exec, exec, s[30:31]
	s_and_b64 s[34:35], s[34:35], exec
	s_and_b64 s[30:31], s[36:37], exec
.LBB572_104:
	s_or_b64 exec, exec, s[28:29]
	s_and_b64 s[28:29], s[34:35], exec
	s_and_b64 s[30:31], s[30:31], exec
.LBB572_105:
	s_or_b64 exec, exec, s[26:27]
	s_and_b64 s[28:29], s[28:29], exec
	s_and_b64 s[26:27], s[30:31], exec
.LBB572_106:
	s_or_b64 exec, exec, s[24:25]
	s_and_b64 s[24:25], s[28:29], exec
	s_and_b64 s[26:27], s[26:27], exec
.LBB572_107:
	s_or_b64 exec, exec, s[22:23]
	s_and_b64 s[24:25], s[24:25], exec
	s_and_b64 s[22:23], s[26:27], exec
.LBB572_108:
	s_or_b64 exec, exec, s[20:21]
	s_and_b64 s[20:21], s[24:25], exec
	s_and_b64 s[22:23], s[22:23], exec
.LBB572_109:
	s_or_b64 exec, exec, s[18:19]
	s_and_b64 s[20:21], s[20:21], exec
	s_and_b64 s[18:19], s[22:23], exec
.LBB572_110:
	s_or_b64 exec, exec, s[16:17]
	s_and_b64 s[16:17], s[20:21], exec
	s_and_b64 s[18:19], s[18:19], exec
.LBB572_111:
	s_or_b64 exec, exec, s[14:15]
	s_and_b64 s[16:17], s[16:17], exec
	s_and_b64 s[14:15], s[18:19], exec
.LBB572_112:
	s_or_b64 exec, exec, s[12:13]
	s_and_b64 s[12:13], s[16:17], exec
	s_and_b64 s[14:15], s[14:15], exec
.LBB572_113:
	s_or_b64 exec, exec, s[10:11]
	s_and_b64 s[12:13], s[12:13], exec
	s_and_b64 s[10:11], s[14:15], exec
.LBB572_114:
	s_or_b64 exec, exec, s[8:9]
	s_and_b64 s[8:9], s[12:13], exec
	s_and_b64 s[10:11], s[10:11], exec
.LBB572_115:
	s_or_b64 exec, exec, s[4:5]
	s_and_b64 vcc, exec, s[2:3]
	v_lshlrev_b32_e32 v36, 1, v0
	s_cbranch_vccnz .LBB572_117
	s_branch .LBB572_122
.LBB572_116:
	s_mov_b64 s[10:11], 0
                                        ; implicit-def: $sgpr8_sgpr9
                                        ; implicit-def: $vgpr37
                                        ; implicit-def: $vgpr1
                                        ; implicit-def: $vgpr18
                                        ; implicit-def: $vgpr22
                                        ; implicit-def: $vgpr19
                                        ; implicit-def: $vgpr23
                                        ; implicit-def: $vgpr16
                                        ; implicit-def: $vgpr24
                                        ; implicit-def: $vgpr17
                                        ; implicit-def: $vgpr25
                                        ; implicit-def: $vgpr26
                                        ; implicit-def: $vgpr27
                                        ; implicit-def: $vgpr28
                                        ; implicit-def: $vgpr29
                                        ; implicit-def: $vgpr30
                                        ; implicit-def: $vgpr31
                                        ; implicit-def: $vgpr32
                                        ; implicit-def: $vgpr33
                                        ; implicit-def: $vgpr20
                                        ; implicit-def: $vgpr34
                                        ; implicit-def: $vgpr21
                                        ; implicit-def: $vgpr35
                                        ; implicit-def: $sgpr73
	s_and_b64 vcc, exec, s[2:3]
	v_lshlrev_b32_e32 v36, 1, v0
	s_cbranch_vccz .LBB572_122
.LBB572_117:
	v_mov_b32_e32 v1, s67
	v_add_co_u32_e32 v2, vcc, s66, v36
	v_addc_co_u32_e32 v3, vcc, 0, v1, vcc
	v_add_co_u32_e32 v4, vcc, 0x1000, v2
	v_addc_co_u32_e32 v5, vcc, 0, v3, vcc
	flat_load_ushort v1, v[2:3]
	flat_load_ushort v6, v[2:3] offset:512
	flat_load_ushort v7, v[2:3] offset:1024
	;; [unrolled: 1-line block ×7, first 2 shown]
	v_add_co_u32_e32 v2, vcc, 0x2000, v2
	v_addc_co_u32_e32 v3, vcc, 0, v3, vcc
	flat_load_ushort v13, v[4:5]
	flat_load_ushort v14, v[4:5] offset:512
	flat_load_ushort v15, v[4:5] offset:1024
	;; [unrolled: 1-line block ×7, first 2 shown]
	s_nop 0
	flat_load_ushort v4, v[2:3]
	flat_load_ushort v5, v[2:3] offset:512
	flat_load_ushort v21, v[2:3] offset:1024
	flat_load_ushort v22, v[2:3] offset:1536
	flat_load_ushort v23, v[2:3] offset:2048
	flat_load_ushort v24, v[2:3] offset:2560
	v_mov_b32_e32 v2, s66
	v_mov_b32_e32 v3, s67
	v_add_co_u32_e32 v2, vcc, 0x2000, v2
	v_addc_co_u32_e32 v3, vcc, 0, v3, vcc
	s_movk_i32 s2, 0xffd6
	s_movk_i32 s5, 0x1000
	;; [unrolled: 1-line block ×3, first 2 shown]
	s_waitcnt vmcnt(0) lgkmcnt(0)
	ds_write_b16 v36, v1
	ds_write_b16 v36, v6 offset:512
	ds_write_b16 v36, v7 offset:1024
	;; [unrolled: 1-line block ×21, first 2 shown]
	s_waitcnt lgkmcnt(0)
	s_barrier
	flat_load_ushort v37, v[2:3] offset:3072
	v_mad_u32_u24 v1, v0, 42, v36
	v_mad_i32_i24 v2, v0, s2, v1
	s_movk_i32 s2, 0xff
	v_cmp_ne_u32_e32 vcc, s2, v0
	ds_read2_b32 v[18:19], v1 offset1:1
	ds_read2_b32 v[16:17], v1 offset0:2 offset1:3
	ds_read2_b32 v[14:15], v1 offset0:4 offset1:5
	;; [unrolled: 1-line block ×4, first 2 shown]
	ds_read_b32 v38, v1 offset:40
	s_waitcnt lgkmcnt(0)
	ds_write_b16 v2, v18 offset:11776
	s_waitcnt lgkmcnt(0)
	s_barrier
	s_and_saveexec_b64 s[2:3], vcc
	s_cbranch_execz .LBB572_119
; %bb.118:
	s_waitcnt vmcnt(0)
	ds_read_u16 v37, v36 offset:11778
.LBB572_119:
	s_or_b64 exec, exec, s[2:3]
	v_mov_b32_e32 v3, s72
	v_add_co_u32_e32 v2, vcc, s55, v36
	v_addc_co_u32_e32 v3, vcc, 0, v3, vcc
	v_add_co_u32_e32 v4, vcc, s5, v2
	v_addc_co_u32_e32 v5, vcc, 0, v3, vcc
	s_waitcnt lgkmcnt(0)
	s_barrier
	flat_load_ushort v6, v[2:3]
	flat_load_ushort v7, v[2:3] offset:512
	flat_load_ushort v8, v[2:3] offset:1024
	;; [unrolled: 1-line block ×7, first 2 shown]
	v_add_co_u32_e32 v2, vcc, s4, v2
	v_addc_co_u32_e32 v3, vcc, 0, v3, vcc
	flat_load_ushort v24, v[4:5]
	flat_load_ushort v25, v[4:5] offset:512
	flat_load_ushort v26, v[4:5] offset:1024
	;; [unrolled: 1-line block ×7, first 2 shown]
	s_nop 0
	flat_load_ushort v4, v[2:3]
	flat_load_ushort v5, v[2:3] offset:512
	flat_load_ushort v32, v[2:3] offset:1024
	;; [unrolled: 1-line block ×5, first 2 shown]
	v_cmp_eq_u16_sdwa s[4:5], v18, v18 src0_sel:DWORD src1_sel:WORD_1
	s_waitcnt vmcnt(0) lgkmcnt(0)
	ds_write_b16 v36, v6
	ds_write_b16 v36, v7 offset:512
	ds_write_b16 v36, v8 offset:1024
	;; [unrolled: 1-line block ×21, first 2 shown]
	s_waitcnt lgkmcnt(0)
	s_barrier
	ds_read_b128 v[6:9], v1 offset:2
	ds_read_b128 v[2:5], v1 offset:18
	ds_read_b64 v[20:21], v1 offset:34
	ds_read_u16 v39, v1 offset:42
	v_mov_b32_e32 v22, 0x10000
	v_mov_b32_e32 v23, s7
	s_and_saveexec_b64 s[2:3], s[4:5]
	s_cbranch_execz .LBB572_121
; %bb.120:
	ds_read_u16 v23, v1
	v_mov_b32_e32 v22, 0
.LBB572_121:
	s_or_b64 exec, exec, s[2:3]
	v_mov_b32_e32 v40, s7
	v_cmp_eq_u16_sdwa vcc, v18, v19 src0_sel:WORD_1 src1_sel:DWORD
	s_waitcnt lgkmcnt(3)
	v_lshrrev_b32_e32 v24, 16, v6
	v_cndmask_b32_e32 v6, v40, v6, vcc
	v_cmp_ne_u16_sdwa s[2:3], v18, v19 src0_sel:WORD_1 src1_sel:DWORD
	v_and_b32_e32 v6, 0xffff, v6
	v_cndmask_b32_e64 v18, 0, 1, s[2:3]
	v_cmp_eq_u16_sdwa vcc, v19, v19 src0_sel:DWORD src1_sel:WORD_1
	v_lshl_or_b32 v18, v18, 16, v6
	v_cndmask_b32_e32 v6, v40, v24, vcc
	v_cmp_ne_u16_sdwa s[2:3], v19, v19 src0_sel:DWORD src1_sel:WORD_1
	s_waitcnt lgkmcnt(0)
	v_or_b32_sdwa v1, v22, v23 dst_sel:DWORD dst_unused:UNUSED_PAD src0_sel:DWORD src1_sel:WORD_0
	v_and_b32_e32 v6, 0xffff, v6
	v_cndmask_b32_e64 v22, 0, 1, s[2:3]
	v_cmp_eq_u16_sdwa vcc, v19, v16 src0_sel:WORD_1 src1_sel:DWORD
	v_lshl_or_b32 v22, v22, 16, v6
	v_cndmask_b32_e32 v6, v40, v7, vcc
	v_cmp_ne_u16_sdwa s[2:3], v19, v16 src0_sel:WORD_1 src1_sel:DWORD
	v_lshrrev_b32_e32 v25, 16, v7
	v_and_b32_e32 v6, 0xffff, v6
	v_cndmask_b32_e64 v7, 0, 1, s[2:3]
	v_cmp_eq_u16_sdwa vcc, v16, v16 src0_sel:DWORD src1_sel:WORD_1
	v_lshl_or_b32 v19, v7, 16, v6
	v_cndmask_b32_e32 v6, v40, v25, vcc
	v_cmp_ne_u16_sdwa s[2:3], v16, v16 src0_sel:DWORD src1_sel:WORD_1
	v_and_b32_e32 v6, 0xffff, v6
	v_cndmask_b32_e64 v7, 0, 1, s[2:3]
	v_cmp_eq_u16_sdwa vcc, v16, v17 src0_sel:WORD_1 src1_sel:DWORD
	v_lshl_or_b32 v23, v7, 16, v6
	v_cndmask_b32_e32 v6, v40, v8, vcc
	v_cmp_ne_u16_sdwa s[2:3], v16, v17 src0_sel:WORD_1 src1_sel:DWORD
	v_lshrrev_b32_e32 v26, 16, v8
	v_and_b32_e32 v6, 0xffff, v6
	v_cndmask_b32_e64 v7, 0, 1, s[2:3]
	v_cmp_eq_u16_sdwa vcc, v17, v17 src0_sel:DWORD src1_sel:WORD_1
	v_lshl_or_b32 v16, v7, 16, v6
	v_cndmask_b32_e32 v6, v40, v26, vcc
	v_cmp_ne_u16_sdwa s[2:3], v17, v17 src0_sel:DWORD src1_sel:WORD_1
	;; [unrolled: 13-line block ×3, first 2 shown]
	v_cmp_eq_u16_sdwa vcc, v14, v15 src0_sel:WORD_1 src1_sel:DWORD
	v_lshrrev_b32_e32 v28, 16, v2
	v_and_b32_e32 v6, 0xffff, v6
	v_cndmask_b32_e64 v7, 0, 1, s[2:3]
	v_cndmask_b32_e32 v2, v40, v2, vcc
	v_cmp_ne_u16_sdwa s[2:3], v14, v15 src0_sel:WORD_1 src1_sel:DWORD
	v_lshl_or_b32 v25, v7, 16, v6
	v_and_b32_e32 v2, 0xffff, v2
	v_cndmask_b32_e64 v6, 0, 1, s[2:3]
	v_cmp_eq_u16_sdwa vcc, v15, v15 src0_sel:DWORD src1_sel:WORD_1
	v_lshl_or_b32 v26, v6, 16, v2
	v_cndmask_b32_e32 v2, v40, v28, vcc
	v_cmp_ne_u16_sdwa s[2:3], v15, v15 src0_sel:DWORD src1_sel:WORD_1
	v_and_b32_e32 v2, 0xffff, v2
	v_cndmask_b32_e64 v6, 0, 1, s[2:3]
	v_cmp_eq_u16_sdwa vcc, v15, v12 src0_sel:WORD_1 src1_sel:DWORD
	v_lshl_or_b32 v27, v6, 16, v2
	v_cndmask_b32_e32 v2, v40, v3, vcc
	v_cmp_ne_u16_sdwa s[2:3], v15, v12 src0_sel:WORD_1 src1_sel:DWORD
	v_lshrrev_b32_e32 v29, 16, v3
	v_and_b32_e32 v2, 0xffff, v2
	v_cndmask_b32_e64 v3, 0, 1, s[2:3]
	v_cmp_eq_u16_sdwa vcc, v12, v12 src0_sel:DWORD src1_sel:WORD_1
	v_lshl_or_b32 v28, v3, 16, v2
	v_cndmask_b32_e32 v2, v40, v29, vcc
	v_cmp_ne_u16_sdwa s[2:3], v12, v12 src0_sel:DWORD src1_sel:WORD_1
	v_and_b32_e32 v2, 0xffff, v2
	v_cndmask_b32_e64 v3, 0, 1, s[2:3]
	v_cmp_eq_u16_sdwa vcc, v12, v13 src0_sel:WORD_1 src1_sel:DWORD
	v_lshl_or_b32 v29, v3, 16, v2
	v_cndmask_b32_e32 v2, v40, v4, vcc
	v_cmp_ne_u16_sdwa s[2:3], v12, v13 src0_sel:WORD_1 src1_sel:DWORD
	v_lshrrev_b32_e32 v31, 16, v4
	;; [unrolled: 13-line block ×5, first 2 shown]
	v_and_b32_e32 v2, 0xffff, v2
	v_cndmask_b32_e64 v3, 0, 1, s[2:3]
	v_cmp_eq_u16_sdwa vcc, v38, v38 src0_sel:DWORD src1_sel:WORD_1
	v_lshl_or_b32 v21, v3, 16, v2
	v_cndmask_b32_e32 v2, v40, v35, vcc
	v_cmp_ne_u16_sdwa s[2:3], v38, v38 src0_sel:DWORD src1_sel:WORD_1
	v_and_b32_e32 v2, 0xffff, v2
	v_cndmask_b32_e64 v3, 0, 1, s[2:3]
	v_cmp_ne_u16_sdwa s[8:9], v38, v37 src0_sel:WORD_1 src1_sel:DWORD
	v_lshl_or_b32 v35, v3, 16, v2
	v_cndmask_b32_e64 v37, v39, v40, s[8:9]
	s_mov_b64 s[10:11], -1
                                        ; implicit-def: $sgpr73
.LBB572_122:
	v_mov_b32_e32 v12, s73
	s_and_saveexec_b64 s[2:3], s[10:11]
; %bb.123:
	v_mov_b32_e32 v2, 0x10000
	v_cndmask_b32_e64 v2, 0, v2, s[8:9]
	v_or_b32_sdwa v12, v2, v37 dst_sel:DWORD dst_unused:UNUSED_PAD src0_sel:DWORD src1_sel:WORD_0
; %bb.124:
	s_or_b64 exec, exec, s[2:3]
	v_or3_b32 v2, v12, v35, v21
	s_cmp_lg_u32 s6, 0
	v_or3_b32 v15, v2, v34, v20
	v_lshrrev_b32_e32 v13, 16, v1
	v_lshrrev_b32_e32 v14, 5, v0
	v_cmp_gt_u32_e32 vcc, 64, v0
	s_barrier
	s_cbranch_scc0 .LBB572_205
; %bb.125:
	s_mov_b32 s44, 0x10000
	v_cmp_gt_u32_e64 s[2:3], s44, v18
	v_cndmask_b32_e64 v2, 0, v1, s[2:3]
	v_add_u16_e32 v2, v2, v18
	v_cmp_gt_u32_e64 s[4:5], s44, v22
	v_cndmask_b32_e64 v2, 0, v2, s[4:5]
	v_add_u16_e32 v2, v2, v22
	;; [unrolled: 3-line block ×21, first 2 shown]
	v_or3_b32 v2, v15, v33, v32
	v_or3_b32 v2, v2, v31, v30
	;; [unrolled: 1-line block ×8, first 2 shown]
	v_and_b32_e32 v2, 0x10000, v2
	v_cmp_ne_u32_e64 s[44:45], 0, v2
	v_mov_b32_e32 v5, 0x10000
	v_cndmask_b32_e64 v38, v13, 1, s[44:45]
	v_add_lshl_u32 v2, v14, v0, 2
	ds_write_b16 v2, v37
	ds_write_b8 v2, v38 offset:2
	s_waitcnt lgkmcnt(0)
	s_barrier
	s_and_saveexec_b64 s[46:47], vcc
	s_cbranch_execz .LBB572_139
; %bb.126:
	v_lshlrev_b32_e32 v2, 2, v0
	v_lshrrev_b32_e32 v3, 3, v0
	v_add_lshl_u32 v2, v3, v2, 2
	ds_read_b32 v3, v2
	ds_read_u16 v4, v2 offset:4
	ds_read_u8 v6, v2 offset:6
	ds_read_u16 v7, v2 offset:8
	ds_read_u8 v8, v2 offset:10
	;; [unrolled: 2-line block ×3, first 2 shown]
	v_mov_b32_e32 v11, 0
	s_waitcnt lgkmcnt(4)
	v_cmp_eq_u16_sdwa s[44:45], v6, v11 src0_sel:BYTE_0 src1_sel:DWORD
	v_cndmask_b32_e64 v39, 0, v3, s[44:45]
	v_add_u16_e32 v39, v39, v4
	s_waitcnt lgkmcnt(2)
	v_cmp_eq_u16_sdwa s[44:45], v8, v11 src0_sel:BYTE_0 src1_sel:DWORD
	s_waitcnt lgkmcnt(0)
	v_or_b32_e32 v8, v10, v8
	v_cndmask_b32_e64 v11, 0, v39, s[44:45]
	v_or_b32_e32 v6, v8, v6
	v_add_u16_e32 v7, v11, v7
	v_cmp_eq_u16_e64 s[44:45], 0, v10
	v_and_b32_e32 v6, 1, v6
	v_and_b32_e32 v4, 0x10000, v3
	v_cndmask_b32_e64 v11, 0, v7, s[44:45]
	v_cmp_eq_u32_e64 s[44:45], 1, v6
	v_mbcnt_lo_u32_b32 v6, -1, 0
	v_add_u16_e32 v7, v11, v9
	v_cndmask_b32_e64 v39, v4, v5, s[44:45]
	v_add_u16_e32 v9, v11, v9
	v_and_b32_e32 v5, 0xff000000, v3
	v_mbcnt_hi_u32_b32 v6, -1, v6
	v_or_b32_e32 v10, v39, v5
	v_and_b32_e32 v11, 15, v6
	v_or3_b32 v9, v5, v9, v39
	s_movk_i32 s55, 0xff
	v_lshrrev_b32_e32 v8, 16, v10
	v_mov_b32_dpp v39, v9 row_shr:1 row_mask:0xf bank_mask:0xf
	v_cmp_ne_u32_e64 s[44:45], 0, v11
	s_and_saveexec_b64 s[56:57], s[44:45]
	s_cbranch_execz .LBB572_128
; %bb.127:
	v_and_b32_sdwa v8, v10, s55 dst_sel:DWORD dst_unused:UNUSED_PAD src0_sel:WORD_1 src1_sel:DWORD
	v_cmp_eq_u16_e64 s[44:45], 0, v8
	v_and_b32_e32 v8, 0x10000, v10
	v_mov_b32_e32 v10, 1
	v_cndmask_b32_e64 v9, 0, v39, s[44:45]
	v_and_b32_sdwa v10, v39, v10 dst_sel:DWORD dst_unused:UNUSED_PAD src0_sel:WORD_1 src1_sel:DWORD
	v_cmp_ne_u32_e64 s[44:45], 0, v8
	v_cndmask_b32_e64 v8, v10, 1, s[44:45]
	v_add_u16_e32 v40, v9, v7
	v_lshlrev_b32_e32 v10, 16, v8
	v_add_u16_e32 v7, v9, v7
	v_or3_b32 v9, v10, v7, v5
	v_mov_b32_e32 v7, v40
.LBB572_128:
	s_or_b64 exec, exec, s[56:57]
	v_lshrrev_b32_e32 v10, 16, v9
	v_mov_b32_dpp v39, v9 row_shr:2 row_mask:0xf bank_mask:0xf
	v_cmp_lt_u32_e64 s[44:45], 1, v11
	s_and_saveexec_b64 s[56:57], s[44:45]
	s_cbranch_execz .LBB572_130
; %bb.129:
	v_mov_b32_e32 v8, 0
	v_cmp_eq_u16_sdwa s[44:45], v10, v8 src0_sel:BYTE_0 src1_sel:DWORD
	v_and_b32_e32 v8, 0x10000, v9
	v_mov_b32_e32 v9, 1
	v_cndmask_b32_e64 v10, 0, v39, s[44:45]
	v_and_b32_sdwa v9, v39, v9 dst_sel:DWORD dst_unused:UNUSED_PAD src0_sel:WORD_1 src1_sel:DWORD
	v_cmp_ne_u32_e64 s[44:45], 0, v8
	v_cndmask_b32_e64 v8, v9, 1, s[44:45]
	v_add_u16_e32 v40, v10, v7
	v_lshlrev_b32_e32 v9, 16, v8
	v_add_u16_e32 v7, v10, v7
	v_or3_b32 v9, v9, v7, v5
	v_mov_b32_e32 v10, v8
	v_mov_b32_e32 v7, v40
.LBB572_130:
	s_or_b64 exec, exec, s[56:57]
	v_mov_b32_dpp v39, v9 row_shr:4 row_mask:0xf bank_mask:0xf
	v_cmp_lt_u32_e64 s[44:45], 3, v11
	s_and_saveexec_b64 s[56:57], s[44:45]
	s_cbranch_execz .LBB572_132
; %bb.131:
	v_mov_b32_e32 v8, 0
	v_cmp_eq_u16_sdwa s[44:45], v10, v8 src0_sel:BYTE_0 src1_sel:DWORD
	v_and_b32_e32 v8, 1, v10
	v_mov_b32_e32 v10, 1
	v_cndmask_b32_e64 v9, 0, v39, s[44:45]
	v_and_b32_sdwa v10, v39, v10 dst_sel:DWORD dst_unused:UNUSED_PAD src0_sel:WORD_1 src1_sel:DWORD
	v_cmp_eq_u32_e64 s[44:45], 1, v8
	v_cndmask_b32_e64 v8, v10, 1, s[44:45]
	v_add_u16_e32 v40, v9, v7
	v_lshlrev_b32_e32 v10, 16, v8
	v_add_u16_e32 v7, v9, v7
	v_or3_b32 v9, v10, v7, v5
	v_mov_b32_e32 v10, v8
	v_mov_b32_e32 v7, v40
.LBB572_132:
	s_or_b64 exec, exec, s[56:57]
	v_mov_b32_dpp v39, v9 row_shr:8 row_mask:0xf bank_mask:0xf
	v_cmp_lt_u32_e64 s[44:45], 7, v11
	s_and_saveexec_b64 s[56:57], s[44:45]
	s_cbranch_execz .LBB572_134
; %bb.133:
	v_mov_b32_e32 v8, 0
	v_cmp_eq_u16_sdwa s[44:45], v10, v8 src0_sel:BYTE_0 src1_sel:DWORD
	v_and_b32_e32 v8, 1, v10
	v_mov_b32_e32 v10, 1
	v_cndmask_b32_e64 v9, 0, v39, s[44:45]
	v_and_b32_sdwa v10, v39, v10 dst_sel:DWORD dst_unused:UNUSED_PAD src0_sel:WORD_1 src1_sel:DWORD
	v_cmp_eq_u32_e64 s[44:45], 1, v8
	v_cndmask_b32_e64 v8, v10, 1, s[44:45]
	v_add_u16_e32 v11, v9, v7
	v_lshlrev_b32_e32 v10, 16, v8
	v_add_u16_e32 v7, v9, v7
	v_or3_b32 v9, v10, v7, v5
	v_mov_b32_e32 v10, v8
	v_mov_b32_e32 v7, v11
.LBB572_134:
	s_or_b64 exec, exec, s[56:57]
	v_and_b32_e32 v39, 16, v6
	v_mov_b32_dpp v11, v9 row_bcast:15 row_mask:0xf bank_mask:0xf
	v_cmp_ne_u32_e64 s[44:45], 0, v39
	s_and_saveexec_b64 s[56:57], s[44:45]
	s_cbranch_execz .LBB572_136
; %bb.135:
	v_mov_b32_e32 v8, 0
	v_cmp_eq_u16_sdwa s[44:45], v10, v8 src0_sel:BYTE_0 src1_sel:DWORD
	v_and_b32_e32 v8, 1, v10
	v_mov_b32_e32 v10, 1
	v_cndmask_b32_e64 v9, 0, v11, s[44:45]
	v_and_b32_sdwa v10, v11, v10 dst_sel:DWORD dst_unused:UNUSED_PAD src0_sel:WORD_1 src1_sel:DWORD
	v_cmp_eq_u32_e64 s[44:45], 1, v8
	v_cndmask_b32_e64 v8, v10, 1, s[44:45]
	v_add_u16_e32 v39, v9, v7
	v_lshlrev_b32_e32 v10, 16, v8
	v_add_u16_e32 v7, v9, v7
	v_or3_b32 v9, v10, v7, v5
	v_mov_b32_e32 v10, v8
	v_mov_b32_e32 v7, v39
.LBB572_136:
	s_or_b64 exec, exec, s[56:57]
	v_mov_b32_dpp v9, v9 row_bcast:31 row_mask:0xf bank_mask:0xf
	v_cmp_lt_u32_e64 s[44:45], 31, v6
	s_and_saveexec_b64 s[56:57], s[44:45]
; %bb.137:
	v_mov_b32_e32 v8, 0
	v_cmp_eq_u16_sdwa s[44:45], v10, v8 src0_sel:BYTE_0 src1_sel:DWORD
	v_cndmask_b32_e64 v8, 0, v9, s[44:45]
	v_add_u16_e32 v7, v8, v7
	v_and_b32_e32 v8, 1, v10
	v_mov_b32_e32 v10, 1
	v_and_b32_sdwa v9, v9, v10 dst_sel:DWORD dst_unused:UNUSED_PAD src0_sel:WORD_1 src1_sel:DWORD
	v_cmp_eq_u32_e64 s[44:45], 1, v8
	v_cndmask_b32_e64 v8, v9, 1, s[44:45]
; %bb.138:
	s_or_b64 exec, exec, s[56:57]
	v_and_b32_e32 v8, 0xff, v8
	v_lshlrev_b32_e32 v8, 16, v8
	v_and_b32_e32 v7, 0xffff, v7
	v_or3_b32 v5, v8, v7, v5
	v_add_u32_e32 v7, -1, v6
	v_and_b32_e32 v8, 64, v6
	v_cmp_lt_i32_e64 s[44:45], v7, v8
	v_cndmask_b32_e64 v6, v7, v6, s[44:45]
	v_lshlrev_b32_e32 v6, 2, v6
	ds_bpermute_b32 v5, v6, v5
	v_and_b32_e32 v6, 0xff0000, v3
	v_cmp_eq_u32_e64 s[44:45], 0, v6
	; wave barrier
	s_waitcnt lgkmcnt(0)
	v_cndmask_b32_e64 v6, 0, v5, s[44:45]
	v_add_u16_e32 v3, v6, v3
	v_mov_b32_e32 v6, 1
	v_and_b32_sdwa v5, v5, v6 dst_sel:DWORD dst_unused:UNUSED_PAD src0_sel:WORD_1 src1_sel:DWORD
	v_cmp_eq_u32_e64 s[44:45], 0, v4
	v_cndmask_b32_e64 v4, 1, v5, s[44:45]
	v_cmp_eq_u32_e64 s[44:45], 0, v0
	v_cndmask_b32_e64 v3, v3, v37, s[44:45]
	v_cndmask_b32_e64 v4, v4, v38, s[44:45]
	ds_write_b16 v2, v3
	ds_write_b8 v2, v4 offset:2
	; wave barrier
	ds_read_u16 v5, v2 offset:4
	ds_read_u8 v6, v2 offset:6
	ds_read_u16 v7, v2 offset:8
	ds_read_u8 v8, v2 offset:10
	;; [unrolled: 2-line block ×3, first 2 shown]
	s_waitcnt lgkmcnt(4)
	v_cmp_eq_u16_e64 s[44:45], 0, v6
	v_cndmask_b32_e64 v3, 0, v3, s[44:45]
	v_add_u16_e32 v3, v3, v5
	v_and_b32_e32 v5, 1, v6
	v_cmp_eq_u32_e64 s[44:45], 1, v5
	v_cndmask_b32_e64 v4, v4, 1, s[44:45]
	s_waitcnt lgkmcnt(2)
	v_cmp_eq_u16_e64 s[44:45], 0, v8
	v_and_b32_e32 v5, 1, v8
	ds_write_b16 v2, v3 offset:4
	ds_write_b8 v2, v4 offset:6
	v_cndmask_b32_e64 v3, 0, v3, s[44:45]
	v_cmp_eq_u32_e64 s[44:45], 1, v5
	v_add_u16_e32 v3, v3, v7
	v_cndmask_b32_e64 v4, v4, 1, s[44:45]
	s_waitcnt lgkmcnt(2)
	v_cmp_eq_u16_e64 s[44:45], 0, v10
	ds_write_b16 v2, v3 offset:8
	ds_write_b8 v2, v4 offset:10
	v_cndmask_b32_e64 v3, 0, v3, s[44:45]
	v_and_b32_e32 v5, 1, v10
	v_add_u16_e32 v3, v3, v9
	v_cmp_eq_u32_e64 s[44:45], 1, v5
	v_cndmask_b32_e64 v4, v4, 1, s[44:45]
	ds_write_b16 v2, v3 offset:12
	ds_write_b8 v2, v4 offset:14
.LBB572_139:
	s_or_b64 exec, exec, s[46:47]
	v_cmp_eq_u32_e64 s[44:45], 0, v0
	v_cmp_ne_u32_e64 s[46:47], 0, v0
	s_waitcnt lgkmcnt(0)
	s_barrier
	s_and_saveexec_b64 s[56:57], s[46:47]
	s_cbranch_execz .LBB572_141
; %bb.140:
	v_add_u32_e32 v2, -1, v0
	v_lshrrev_b32_e32 v3, 5, v2
	v_add_lshl_u32 v2, v3, v2, 2
	ds_read_u16 v37, v2
	ds_read_u8 v38, v2 offset:2
.LBB572_141:
	s_or_b64 exec, exec, s[56:57]
	s_and_saveexec_b64 s[56:57], vcc
	s_cbranch_execz .LBB572_184
; %bb.142:
	v_mov_b32_e32 v9, 0
	ds_read_b32 v2, v9 offset:1048
	v_mbcnt_lo_u32_b32 v3, -1, 0
	v_mbcnt_hi_u32_b32 v5, -1, v3
	s_mov_b32 s69, 0
	v_cmp_eq_u32_e64 s[46:47], 0, v5
	s_and_saveexec_b64 s[66:67], s[46:47]
	s_cbranch_execz .LBB572_144
; %bb.143:
	s_add_i32 s68, s6, 64
	s_lshl_b64 s[68:69], s[68:69], 3
	s_add_u32 s68, s52, s68
	v_mov_b32_e32 v3, 1
	s_addc_u32 s69, s53, s69
	s_waitcnt lgkmcnt(0)
	global_store_dwordx2 v9, v[2:3], s[68:69]
.LBB572_144:
	s_or_b64 exec, exec, s[66:67]
	v_xad_u32 v4, v5, -1, s6
	v_add_u32_e32 v8, 64, v4
	v_lshlrev_b64 v[6:7], 3, v[8:9]
	v_mov_b32_e32 v3, s53
	v_add_co_u32_e32 v10, vcc, s52, v6
	v_addc_co_u32_e32 v11, vcc, v3, v7, vcc
	global_load_dwordx2 v[6:7], v[10:11], off glc
	s_waitcnt vmcnt(0)
	v_cmp_eq_u16_sdwa s[68:69], v7, v9 src0_sel:BYTE_0 src1_sel:DWORD
	s_and_saveexec_b64 s[66:67], s[68:69]
	s_cbranch_execz .LBB572_148
; %bb.145:
	s_mov_b64 s[68:69], 0
	v_mov_b32_e32 v3, 0
.LBB572_146:                            ; =>This Inner Loop Header: Depth=1
	global_load_dwordx2 v[6:7], v[10:11], off glc
	s_waitcnt vmcnt(0)
	v_cmp_ne_u16_sdwa s[70:71], v7, v3 src0_sel:BYTE_0 src1_sel:DWORD
	s_or_b64 s[68:69], s[70:71], s[68:69]
	s_andn2_b64 exec, exec, s[68:69]
	s_cbranch_execnz .LBB572_146
; %bb.147:
	s_or_b64 exec, exec, s[68:69]
.LBB572_148:
	s_or_b64 exec, exec, s[66:67]
	v_mov_b32_e32 v3, 2
	v_cmp_eq_u16_sdwa s[66:67], v7, v3 src0_sel:BYTE_0 src1_sel:DWORD
	v_lshlrev_b64 v[8:9], v5, -1
	v_and_b32_e32 v3, s67, v9
	v_or_b32_e32 v3, 0x80000000, v3
	v_ffbl_b32_e32 v3, v3
	v_add_u32_e32 v11, 32, v3
	v_and_b32_e32 v3, 63, v5
	v_cmp_ne_u32_e32 vcc, 63, v3
	v_addc_co_u32_e32 v39, vcc, 0, v5, vcc
	v_and_b32_e32 v50, 0xffffff, v6
	v_lshlrev_b32_e32 v39, 2, v39
	ds_bpermute_b32 v40, v39, v50
	v_and_b32_e32 v10, s66, v8
	v_ffbl_b32_e32 v10, v10
	v_min_u32_e32 v11, v10, v11
	v_lshrrev_b32_e32 v10, 16, v6
	v_cmp_lt_u32_e32 vcc, v3, v11
	v_bfe_u32 v48, v6, 16, 8
	s_and_saveexec_b64 s[66:67], vcc
	s_cbranch_execz .LBB572_150
; %bb.149:
	v_and_b32_e32 v10, 0xff0000, v6
	v_cmp_eq_u32_e32 vcc, 0, v10
	v_and_b32_e32 v10, 0x10000, v10
	v_mov_b32_e32 v43, 1
	s_waitcnt lgkmcnt(0)
	v_cndmask_b32_e32 v41, 0, v40, vcc
	v_and_b32_sdwa v40, v40, v43 dst_sel:DWORD dst_unused:UNUSED_PAD src0_sel:WORD_1 src1_sel:DWORD
	v_cmp_ne_u32_e32 vcc, 0, v10
	v_cndmask_b32_e64 v10, v40, 1, vcc
	v_add_u16_e32 v42, v41, v6
	v_lshlrev_b32_e32 v40, 16, v10
	v_add_u16_e32 v6, v41, v6
	v_or_b32_e32 v50, v40, v6
	v_mov_b32_e32 v6, v42
	v_mov_b32_e32 v48, v10
.LBB572_150:
	s_or_b64 exec, exec, s[66:67]
	v_cmp_gt_u32_e32 vcc, 62, v3
	s_waitcnt lgkmcnt(0)
	v_cndmask_b32_e64 v40, 0, 1, vcc
	v_lshlrev_b32_e32 v40, 1, v40
	v_add_lshl_u32 v40, v40, v5, 2
	ds_bpermute_b32 v42, v40, v50
	v_add_u32_e32 v41, 2, v3
	v_cmp_le_u32_e32 vcc, v41, v11
	s_and_saveexec_b64 s[66:67], vcc
	s_cbranch_execz .LBB572_152
; %bb.151:
	v_cmp_eq_u16_e32 vcc, 0, v48
	v_and_b32_e32 v10, 1, v48
	v_mov_b32_e32 v45, 1
	s_waitcnt lgkmcnt(0)
	v_cndmask_b32_e32 v43, 0, v42, vcc
	v_and_b32_sdwa v42, v42, v45 dst_sel:DWORD dst_unused:UNUSED_PAD src0_sel:WORD_1 src1_sel:DWORD
	v_cmp_eq_u32_e32 vcc, 1, v10
	v_cndmask_b32_e64 v10, v42, 1, vcc
	v_add_u16_e32 v44, v43, v6
	v_lshlrev_b32_e32 v42, 16, v10
	v_add_u16_e32 v6, v43, v6
	v_or_b32_e32 v50, v42, v6
	v_mov_b32_e32 v6, v44
	v_mov_b32_e32 v48, v10
.LBB572_152:
	s_or_b64 exec, exec, s[66:67]
	v_cmp_gt_u32_e32 vcc, 60, v3
	s_waitcnt lgkmcnt(0)
	v_cndmask_b32_e64 v42, 0, 1, vcc
	v_lshlrev_b32_e32 v42, 2, v42
	v_add_lshl_u32 v42, v42, v5, 2
	ds_bpermute_b32 v44, v42, v50
	v_add_u32_e32 v43, 4, v3
	v_cmp_le_u32_e32 vcc, v43, v11
	s_and_saveexec_b64 s[66:67], vcc
	s_cbranch_execz .LBB572_154
; %bb.153:
	v_cmp_eq_u16_e32 vcc, 0, v48
	v_and_b32_e32 v10, 1, v48
	v_mov_b32_e32 v47, 1
	s_waitcnt lgkmcnt(0)
	v_cndmask_b32_e32 v45, 0, v44, vcc
	v_and_b32_sdwa v44, v44, v47 dst_sel:DWORD dst_unused:UNUSED_PAD src0_sel:WORD_1 src1_sel:DWORD
	v_cmp_eq_u32_e32 vcc, 1, v10
	v_cndmask_b32_e64 v10, v44, 1, vcc
	v_add_u16_e32 v46, v45, v6
	v_lshlrev_b32_e32 v44, 16, v10
	v_add_u16_e32 v6, v45, v6
	v_or_b32_e32 v50, v44, v6
	v_mov_b32_e32 v6, v46
	v_mov_b32_e32 v48, v10
.LBB572_154:
	s_or_b64 exec, exec, s[66:67]
	v_cmp_gt_u32_e32 vcc, 56, v3
	s_waitcnt lgkmcnt(0)
	v_cndmask_b32_e64 v44, 0, 1, vcc
	v_lshlrev_b32_e32 v44, 3, v44
	v_add_lshl_u32 v44, v44, v5, 2
	ds_bpermute_b32 v46, v44, v50
	v_add_u32_e32 v45, 8, v3
	v_cmp_le_u32_e32 vcc, v45, v11
	s_and_saveexec_b64 s[66:67], vcc
	s_cbranch_execz .LBB572_156
; %bb.155:
	v_cmp_eq_u16_e32 vcc, 0, v48
	v_and_b32_e32 v10, 1, v48
	v_mov_b32_e32 v48, 1
	s_waitcnt lgkmcnt(0)
	v_cndmask_b32_e32 v47, 0, v46, vcc
	v_and_b32_sdwa v46, v46, v48 dst_sel:DWORD dst_unused:UNUSED_PAD src0_sel:WORD_1 src1_sel:DWORD
	v_cmp_eq_u32_e32 vcc, 1, v10
	v_cndmask_b32_e64 v10, v46, 1, vcc
	v_add_u16_e32 v49, v47, v6
	v_lshlrev_b32_e32 v46, 16, v10
	v_add_u16_e32 v6, v47, v6
	v_or_b32_e32 v50, v46, v6
	v_mov_b32_e32 v6, v49
	v_mov_b32_e32 v48, v10
.LBB572_156:
	s_or_b64 exec, exec, s[66:67]
	v_cmp_gt_u32_e32 vcc, 48, v3
	s_waitcnt lgkmcnt(0)
	v_cndmask_b32_e64 v46, 0, 1, vcc
	v_lshlrev_b32_e32 v46, 4, v46
	v_add_lshl_u32 v46, v46, v5, 2
	ds_bpermute_b32 v49, v46, v50
	v_add_u32_e32 v47, 16, v3
	v_cmp_le_u32_e32 vcc, v47, v11
	s_and_saveexec_b64 s[66:67], vcc
	s_cbranch_execz .LBB572_158
; %bb.157:
	v_cmp_eq_u16_e32 vcc, 0, v48
	v_and_b32_e32 v10, 1, v48
	v_mov_b32_e32 v48, 1
	s_waitcnt lgkmcnt(0)
	v_cndmask_b32_e32 v50, 0, v49, vcc
	v_and_b32_sdwa v48, v49, v48 dst_sel:DWORD dst_unused:UNUSED_PAD src0_sel:WORD_1 src1_sel:DWORD
	v_cmp_eq_u32_e32 vcc, 1, v10
	v_cndmask_b32_e64 v10, v48, 1, vcc
	v_add_u16_e32 v51, v50, v6
	v_lshlrev_b32_e32 v48, 16, v10
	v_add_u16_e32 v6, v50, v6
	v_or_b32_e32 v50, v48, v6
	v_mov_b32_e32 v6, v51
	v_mov_b32_e32 v48, v10
.LBB572_158:
	s_or_b64 exec, exec, s[66:67]
	v_cmp_gt_u32_e32 vcc, 32, v3
	s_waitcnt lgkmcnt(0)
	v_cndmask_b32_e64 v49, 0, 1, vcc
	v_lshlrev_b32_e32 v49, 5, v49
	v_add_lshl_u32 v49, v49, v5, 2
	ds_bpermute_b32 v5, v49, v50
	v_add_u32_e32 v50, 32, v3
	v_cmp_le_u32_e32 vcc, v50, v11
	s_and_saveexec_b64 s[66:67], vcc
	s_cbranch_execz .LBB572_160
; %bb.159:
	v_cmp_eq_u16_e32 vcc, 0, v48
	s_waitcnt lgkmcnt(0)
	v_cndmask_b32_e32 v10, 0, v5, vcc
	v_add_u16_e32 v6, v10, v6
	v_and_b32_e32 v10, 1, v48
	v_mov_b32_e32 v11, 1
	v_and_b32_sdwa v5, v5, v11 dst_sel:DWORD dst_unused:UNUSED_PAD src0_sel:WORD_1 src1_sel:DWORD
	v_cmp_eq_u32_e32 vcc, 1, v10
	v_cndmask_b32_e64 v10, v5, 1, vcc
.LBB572_160:
	s_or_b64 exec, exec, s[66:67]
	s_waitcnt lgkmcnt(0)
	v_mov_b32_e32 v5, 0
	v_mov_b32_e32 v52, 2
	;; [unrolled: 1-line block ×3, first 2 shown]
	s_branch .LBB572_162
.LBB572_161:                            ;   in Loop: Header=BB572_162 Depth=1
	s_or_b64 exec, exec, s[66:67]
	v_cmp_eq_u16_sdwa vcc, v48, v5 src0_sel:BYTE_0 src1_sel:DWORD
	v_and_b32_e32 v10, 1, v48
	v_cndmask_b32_e32 v6, 0, v6, vcc
	v_and_b32_e32 v11, 1, v11
	v_cmp_eq_u32_e32 vcc, 1, v10
	v_subrev_u32_e32 v4, 64, v4
	v_add_u16_e32 v6, v6, v51
	v_cndmask_b32_e64 v10, v11, 1, vcc
.LBB572_162:                            ; =>This Loop Header: Depth=1
                                        ;     Child Loop BB572_165 Depth 2
	v_cmp_ne_u16_sdwa s[66:67], v7, v52 src0_sel:BYTE_0 src1_sel:DWORD
	v_cndmask_b32_e64 v7, 0, 1, s[66:67]
	;;#ASMSTART
	;;#ASMEND
	v_cmp_ne_u32_e32 vcc, 0, v7
	v_mov_b32_e32 v48, v10
	s_cmp_lg_u64 vcc, exec
	v_mov_b32_e32 v51, v6
	s_cbranch_scc1 .LBB572_179
; %bb.163:                              ;   in Loop: Header=BB572_162 Depth=1
	v_lshlrev_b64 v[6:7], 3, v[4:5]
	v_mov_b32_e32 v11, s53
	v_add_co_u32_e32 v10, vcc, s52, v6
	v_addc_co_u32_e32 v11, vcc, v11, v7, vcc
	global_load_dwordx2 v[6:7], v[10:11], off glc
	s_waitcnt vmcnt(0)
	v_cmp_eq_u16_sdwa s[68:69], v7, v5 src0_sel:BYTE_0 src1_sel:DWORD
	s_and_saveexec_b64 s[66:67], s[68:69]
	s_cbranch_execz .LBB572_167
; %bb.164:                              ;   in Loop: Header=BB572_162 Depth=1
	s_mov_b64 s[68:69], 0
.LBB572_165:                            ;   Parent Loop BB572_162 Depth=1
                                        ; =>  This Inner Loop Header: Depth=2
	global_load_dwordx2 v[6:7], v[10:11], off glc
	s_waitcnt vmcnt(0)
	v_cmp_ne_u16_sdwa s[70:71], v7, v5 src0_sel:BYTE_0 src1_sel:DWORD
	s_or_b64 s[68:69], s[70:71], s[68:69]
	s_andn2_b64 exec, exec, s[68:69]
	s_cbranch_execnz .LBB572_165
; %bb.166:                              ;   in Loop: Header=BB572_162 Depth=1
	s_or_b64 exec, exec, s[68:69]
.LBB572_167:                            ;   in Loop: Header=BB572_162 Depth=1
	s_or_b64 exec, exec, s[66:67]
	v_cmp_eq_u16_sdwa s[66:67], v7, v52 src0_sel:BYTE_0 src1_sel:DWORD
	v_and_b32_e32 v10, s67, v9
	s_waitcnt lgkmcnt(0)
	v_and_b32_e32 v55, 0xffffff, v6
	v_or_b32_e32 v10, 0x80000000, v10
	ds_bpermute_b32 v56, v39, v55
	v_and_b32_e32 v11, s66, v8
	v_ffbl_b32_e32 v10, v10
	v_add_u32_e32 v10, 32, v10
	v_ffbl_b32_e32 v11, v11
	v_min_u32_e32 v10, v11, v10
	v_lshrrev_b32_e32 v11, 16, v6
	v_cmp_lt_u32_e32 vcc, v3, v10
	v_bfe_u32 v54, v6, 16, 8
	s_and_saveexec_b64 s[66:67], vcc
	s_cbranch_execz .LBB572_169
; %bb.168:                              ;   in Loop: Header=BB572_162 Depth=1
	v_and_b32_e32 v11, 0xff0000, v6
	v_cmp_eq_u32_e32 vcc, 0, v11
	v_and_b32_e32 v11, 0x10000, v11
	s_waitcnt lgkmcnt(0)
	v_cndmask_b32_e32 v54, 0, v56, vcc
	v_and_b32_sdwa v55, v56, v53 dst_sel:DWORD dst_unused:UNUSED_PAD src0_sel:WORD_1 src1_sel:DWORD
	v_cmp_ne_u32_e32 vcc, 0, v11
	v_cndmask_b32_e64 v11, v55, 1, vcc
	v_add_u16_e32 v57, v54, v6
	v_lshlrev_b32_e32 v55, 16, v11
	v_add_u16_e32 v6, v54, v6
	v_or_b32_e32 v55, v55, v6
	v_mov_b32_e32 v6, v57
	v_mov_b32_e32 v54, v11
.LBB572_169:                            ;   in Loop: Header=BB572_162 Depth=1
	s_or_b64 exec, exec, s[66:67]
	s_waitcnt lgkmcnt(0)
	ds_bpermute_b32 v56, v40, v55
	v_cmp_le_u32_e32 vcc, v41, v10
	s_and_saveexec_b64 s[66:67], vcc
	s_cbranch_execz .LBB572_171
; %bb.170:                              ;   in Loop: Header=BB572_162 Depth=1
	v_cmp_eq_u16_e32 vcc, 0, v54
	v_and_b32_e32 v11, 1, v54
	s_waitcnt lgkmcnt(0)
	v_cndmask_b32_e32 v55, 0, v56, vcc
	v_and_b32_sdwa v54, v56, v53 dst_sel:DWORD dst_unused:UNUSED_PAD src0_sel:WORD_1 src1_sel:DWORD
	v_cmp_eq_u32_e32 vcc, 1, v11
	v_cndmask_b32_e64 v11, v54, 1, vcc
	v_add_u16_e32 v57, v55, v6
	v_lshlrev_b32_e32 v54, 16, v11
	v_add_u16_e32 v6, v55, v6
	v_or_b32_e32 v55, v54, v6
	v_mov_b32_e32 v6, v57
	v_mov_b32_e32 v54, v11
.LBB572_171:                            ;   in Loop: Header=BB572_162 Depth=1
	s_or_b64 exec, exec, s[66:67]
	s_waitcnt lgkmcnt(0)
	ds_bpermute_b32 v56, v42, v55
	v_cmp_le_u32_e32 vcc, v43, v10
	s_and_saveexec_b64 s[66:67], vcc
	s_cbranch_execz .LBB572_173
; %bb.172:                              ;   in Loop: Header=BB572_162 Depth=1
	v_cmp_eq_u16_e32 vcc, 0, v54
	v_and_b32_e32 v11, 1, v54
	s_waitcnt lgkmcnt(0)
	v_cndmask_b32_e32 v55, 0, v56, vcc
	v_and_b32_sdwa v54, v56, v53 dst_sel:DWORD dst_unused:UNUSED_PAD src0_sel:WORD_1 src1_sel:DWORD
	v_cmp_eq_u32_e32 vcc, 1, v11
	v_cndmask_b32_e64 v11, v54, 1, vcc
	v_add_u16_e32 v57, v55, v6
	v_lshlrev_b32_e32 v54, 16, v11
	v_add_u16_e32 v6, v55, v6
	v_or_b32_e32 v55, v54, v6
	v_mov_b32_e32 v6, v57
	v_mov_b32_e32 v54, v11
.LBB572_173:                            ;   in Loop: Header=BB572_162 Depth=1
	;; [unrolled: 21-line block ×4, first 2 shown]
	s_or_b64 exec, exec, s[66:67]
	ds_bpermute_b32 v55, v49, v55
	v_cmp_le_u32_e32 vcc, v50, v10
	s_and_saveexec_b64 s[66:67], vcc
	s_cbranch_execz .LBB572_161
; %bb.178:                              ;   in Loop: Header=BB572_162 Depth=1
	v_cmp_eq_u16_e32 vcc, 0, v54
	s_waitcnt lgkmcnt(0)
	v_cndmask_b32_e32 v10, 0, v55, vcc
	v_add_u16_e32 v6, v10, v6
	v_and_b32_e32 v10, 1, v54
	v_lshrrev_b32_e32 v11, 16, v55
	v_cmp_eq_u32_e32 vcc, 1, v10
	v_cndmask_b32_e64 v11, v11, 1, vcc
	s_branch .LBB572_161
.LBB572_179:                            ;   in Loop: Header=BB572_162 Depth=1
                                        ; implicit-def: $vgpr10
                                        ; implicit-def: $vgpr6
	s_cbranch_execz .LBB572_162
; %bb.180:
	s_and_saveexec_b64 s[66:67], s[46:47]
	s_cbranch_execz .LBB572_182
; %bb.181:
	v_and_b32_e32 v3, 0xff0000, v2
	s_mov_b32 s47, 0
	v_cmp_eq_u32_e32 vcc, 0, v3
	v_and_b32_e32 v4, 0x10000, v2
	v_mov_b32_e32 v5, 1
	s_add_i32 s46, s6, 64
	v_cndmask_b32_e32 v3, 0, v51, vcc
	v_and_b32_sdwa v5, v48, v5 dst_sel:WORD_1 dst_unused:UNUSED_PAD src0_sel:DWORD src1_sel:DWORD
	v_mov_b32_e32 v6, 0x10000
	v_cmp_eq_u32_e32 vcc, 0, v4
	s_lshl_b64 s[46:47], s[46:47], 3
	v_cndmask_b32_e32 v4, v6, v5, vcc
	s_add_u32 s46, s52, s46
	v_add_u16_e32 v2, v3, v2
	s_addc_u32 s47, s53, s47
	v_mov_b32_e32 v5, 0
	v_or_b32_e32 v2, v4, v2
	v_mov_b32_e32 v3, 2
	global_store_dwordx2 v5, v[2:3], s[46:47]
.LBB572_182:
	s_or_b64 exec, exec, s[66:67]
	s_and_b64 exec, exec, s[44:45]
	s_cbranch_execz .LBB572_184
; %bb.183:
	v_mov_b32_e32 v2, 0
	ds_write_b16 v2, v51
	ds_write_b8 v2, v48 offset:2
.LBB572_184:
	s_or_b64 exec, exec, s[56:57]
	v_mov_b32_e32 v2, 0
	s_waitcnt lgkmcnt(0)
	s_barrier
	ds_read_b32 v3, v2
	v_cmp_eq_u16_sdwa vcc, v38, v2 src0_sel:BYTE_0 src1_sel:DWORD
	s_waitcnt lgkmcnt(0)
	v_cndmask_b32_e32 v2, 0, v3, vcc
	v_add_u16_e32 v2, v2, v37
	v_cndmask_b32_e64 v4, v2, v3, s[44:45]
	v_and_b32_e32 v2, 0xff0000, v1
	v_cmp_eq_u32_e32 vcc, 0, v2
	v_cndmask_b32_e32 v2, 0, v4, vcc
	v_add_u16_e32 v5, v2, v1
	v_cndmask_b32_e64 v2, 0, v5, s[2:3]
	v_add_u16_e32 v6, v2, v18
	v_cndmask_b32_e64 v2, 0, v6, s[4:5]
	;; [unrolled: 2-line block ×20, first 2 shown]
	v_add_u16_e32 v50, v2, v35
	s_branch .LBB572_227
.LBB572_185:
	s_or_b64 exec, exec, s[48:49]
                                        ; implicit-def: $vgpr27
	s_and_saveexec_b64 s[48:49], s[2:3]
	s_cbranch_execz .LBB572_49
.LBB572_186:
	v_mov_b32_e32 v27, s72
	v_add_co_u32_e32 v28, vcc, s55, v20
	v_addc_co_u32_e32 v29, vcc, 0, v27, vcc
	flat_load_ushort v27, v[28:29] offset:512
	s_or_b64 exec, exec, s[48:49]
                                        ; implicit-def: $vgpr28
	s_and_saveexec_b64 s[2:3], s[4:5]
	s_cbranch_execnz .LBB572_50
.LBB572_187:
	s_or_b64 exec, exec, s[2:3]
                                        ; implicit-def: $vgpr29
	s_and_saveexec_b64 s[2:3], s[46:47]
	s_cbranch_execz .LBB572_51
.LBB572_188:
	v_mov_b32_e32 v29, s72
	v_add_co_u32_e32 v30, vcc, s55, v20
	v_addc_co_u32_e32 v31, vcc, 0, v29, vcc
	flat_load_ushort v29, v[30:31] offset:1536
	s_or_b64 exec, exec, s[2:3]
                                        ; implicit-def: $vgpr30
	s_and_saveexec_b64 s[2:3], s[8:9]
	s_cbranch_execnz .LBB572_52
.LBB572_189:
	s_or_b64 exec, exec, s[2:3]
                                        ; implicit-def: $vgpr31
	s_and_saveexec_b64 s[2:3], s[10:11]
	s_cbranch_execz .LBB572_53
.LBB572_190:
	v_mov_b32_e32 v31, s72
	v_add_co_u32_e32 v32, vcc, s55, v20
	v_addc_co_u32_e32 v33, vcc, 0, v31, vcc
	flat_load_ushort v31, v[32:33] offset:2560
	s_or_b64 exec, exec, s[2:3]
                                        ; implicit-def: $vgpr32
	s_and_saveexec_b64 s[2:3], s[12:13]
	s_cbranch_execnz .LBB572_54
.LBB572_191:
	s_or_b64 exec, exec, s[2:3]
                                        ; implicit-def: $vgpr33
	s_and_saveexec_b64 s[2:3], s[14:15]
	s_cbranch_execz .LBB572_55
.LBB572_192:
	v_mov_b32_e32 v33, s72
	v_add_co_u32_e32 v34, vcc, s55, v20
	v_addc_co_u32_e32 v35, vcc, 0, v33, vcc
	flat_load_ushort v33, v[34:35] offset:3584
	s_or_b64 exec, exec, s[2:3]
                                        ; implicit-def: $vgpr34
	s_and_saveexec_b64 s[2:3], s[16:17]
	s_cbranch_execnz .LBB572_56
.LBB572_193:
	s_or_b64 exec, exec, s[2:3]
                                        ; implicit-def: $vgpr1
	s_and_saveexec_b64 s[2:3], s[18:19]
	s_cbranch_execz .LBB572_57
.LBB572_194:
	v_mov_b32_e32 v1, s72
	v_add_co_u32_e32 v40, vcc, s55, v2
	v_addc_co_u32_e32 v41, vcc, 0, v1, vcc
	flat_load_ushort v1, v[40:41]
	s_or_b64 exec, exec, s[2:3]
                                        ; implicit-def: $vgpr2
	s_and_saveexec_b64 s[2:3], s[20:21]
	s_cbranch_execnz .LBB572_58
.LBB572_195:
	s_or_b64 exec, exec, s[2:3]
                                        ; implicit-def: $vgpr3
	s_and_saveexec_b64 s[2:3], s[22:23]
	s_cbranch_execz .LBB572_59
.LBB572_196:
	v_mov_b32_e32 v3, s72
	v_add_co_u32_e32 v40, vcc, s55, v4
	v_addc_co_u32_e32 v41, vcc, 0, v3, vcc
	flat_load_ushort v3, v[40:41]
	s_or_b64 exec, exec, s[2:3]
                                        ; implicit-def: $vgpr4
	s_and_saveexec_b64 s[2:3], s[24:25]
	s_cbranch_execnz .LBB572_60
.LBB572_197:
	s_or_b64 exec, exec, s[2:3]
                                        ; implicit-def: $vgpr5
	s_and_saveexec_b64 s[2:3], s[26:27]
	s_cbranch_execz .LBB572_61
.LBB572_198:
	v_mov_b32_e32 v5, s72
	v_add_co_u32_e32 v40, vcc, s55, v16
	v_addc_co_u32_e32 v41, vcc, 0, v5, vcc
	flat_load_ushort v5, v[40:41]
	s_or_b64 exec, exec, s[2:3]
                                        ; implicit-def: $vgpr16
	s_and_saveexec_b64 s[2:3], s[28:29]
	s_cbranch_execnz .LBB572_62
.LBB572_199:
	s_or_b64 exec, exec, s[2:3]
                                        ; implicit-def: $vgpr17
	s_and_saveexec_b64 s[2:3], s[30:31]
	s_cbranch_execz .LBB572_63
.LBB572_200:
	v_mov_b32_e32 v17, s72
	v_add_co_u32_e32 v40, vcc, s55, v18
	v_addc_co_u32_e32 v41, vcc, 0, v17, vcc
	flat_load_ushort v17, v[40:41]
	s_or_b64 exec, exec, s[2:3]
                                        ; implicit-def: $vgpr18
	s_and_saveexec_b64 s[2:3], s[34:35]
	s_cbranch_execnz .LBB572_64
.LBB572_201:
	s_or_b64 exec, exec, s[2:3]
                                        ; implicit-def: $vgpr19
	s_and_saveexec_b64 s[2:3], s[36:37]
	s_cbranch_execz .LBB572_65
.LBB572_202:
	v_mov_b32_e32 v19, s72
	v_add_co_u32_e32 v40, vcc, s55, v21
	v_addc_co_u32_e32 v41, vcc, 0, v19, vcc
	flat_load_ushort v19, v[40:41]
	s_or_b64 exec, exec, s[2:3]
                                        ; implicit-def: $vgpr21
	s_and_saveexec_b64 s[2:3], s[38:39]
	s_cbranch_execnz .LBB572_66
.LBB572_203:
	s_or_b64 exec, exec, s[2:3]
                                        ; implicit-def: $vgpr22
	s_and_saveexec_b64 s[2:3], s[40:41]
	s_cbranch_execz .LBB572_67
.LBB572_204:
	v_mov_b32_e32 v35, s72
	v_add_co_u32_e32 v22, vcc, s55, v23
	v_addc_co_u32_e32 v23, vcc, 0, v35, vcc
	flat_load_ushort v22, v[22:23]
	s_or_b64 exec, exec, s[2:3]
                                        ; implicit-def: $vgpr23
	s_and_saveexec_b64 s[2:3], s[42:43]
	s_cbranch_execz .LBB572_69
	s_branch .LBB572_68
.LBB572_205:
                                        ; implicit-def: $vgpr4
                                        ; implicit-def: $vgpr5
                                        ; implicit-def: $vgpr6
                                        ; implicit-def: $vgpr7
                                        ; implicit-def: $vgpr8
                                        ; implicit-def: $vgpr9
                                        ; implicit-def: $vgpr10
                                        ; implicit-def: $vgpr11
                                        ; implicit-def: $vgpr37
                                        ; implicit-def: $vgpr38
                                        ; implicit-def: $vgpr39
                                        ; implicit-def: $vgpr40
                                        ; implicit-def: $vgpr41
                                        ; implicit-def: $vgpr42
                                        ; implicit-def: $vgpr43
                                        ; implicit-def: $vgpr44
                                        ; implicit-def: $vgpr45
                                        ; implicit-def: $vgpr46
                                        ; implicit-def: $vgpr47
                                        ; implicit-def: $vgpr48
                                        ; implicit-def: $vgpr49
                                        ; implicit-def: $vgpr50
	s_cbranch_execz .LBB572_227
; %bb.206:
	s_cmp_lg_u64 s[64:65], 0
	s_cselect_b32 s3, s59, 0
	s_cselect_b32 s2, s58, 0
	s_cmp_eq_u64 s[2:3], 0
	v_mov_b32_e32 v2, s7
	s_cbranch_scc1 .LBB572_208
; %bb.207:
	v_mov_b32_e32 v2, 0
	global_load_ushort v2, v2, s[2:3]
.LBB572_208:
	s_mov_b32 s42, 0x10000
	v_cmp_gt_u32_e32 vcc, s42, v18
	v_cndmask_b32_e32 v3, 0, v1, vcc
	v_add_u16_e32 v3, v3, v18
	v_cmp_gt_u32_e64 s[2:3], s42, v22
	v_cndmask_b32_e64 v3, 0, v3, s[2:3]
	v_add_u16_e32 v3, v3, v22
	v_cmp_gt_u32_e64 s[4:5], s42, v19
	v_cndmask_b32_e64 v3, 0, v3, s[4:5]
	;; [unrolled: 3-line block ×20, first 2 shown]
	v_add_u16_e32 v4, v3, v12
	v_or3_b32 v3, v15, v33, v32
	v_or3_b32 v3, v3, v31, v30
	;; [unrolled: 1-line block ×8, first 2 shown]
	v_and_b32_e32 v3, 0x10000, v3
	v_cmp_ne_u32_e64 s[42:43], 0, v3
	v_mov_b32_e32 v8, 0x10000
	v_cndmask_b32_e64 v5, v13, 1, s[42:43]
	v_add_lshl_u32 v3, v14, v0, 2
	v_cmp_gt_u32_e64 s[42:43], 64, v0
	ds_write_b16 v3, v4
	ds_write_b8 v3, v5 offset:2
	s_waitcnt lgkmcnt(0)
	s_barrier
	s_and_saveexec_b64 s[44:45], s[42:43]
	s_cbranch_execz .LBB572_222
; %bb.209:
	v_lshlrev_b32_e32 v3, 2, v0
	v_lshrrev_b32_e32 v6, 3, v0
	v_add_lshl_u32 v3, v6, v3, 2
	ds_read_b32 v6, v3
	ds_read_u16 v7, v3 offset:4
	ds_read_u8 v9, v3 offset:6
	ds_read_u16 v10, v3 offset:8
	ds_read_u8 v11, v3 offset:10
	;; [unrolled: 2-line block ×3, first 2 shown]
	v_mov_b32_e32 v14, 0
	s_waitcnt lgkmcnt(4)
	v_cmp_eq_u16_sdwa s[42:43], v9, v14 src0_sel:BYTE_0 src1_sel:DWORD
	v_cndmask_b32_e64 v15, 0, v6, s[42:43]
	v_add_u16_e32 v15, v15, v7
	s_waitcnt lgkmcnt(2)
	v_cmp_eq_u16_sdwa s[42:43], v11, v14 src0_sel:BYTE_0 src1_sel:DWORD
	s_waitcnt lgkmcnt(0)
	v_or_b32_e32 v11, v13, v11
	v_cndmask_b32_e64 v14, 0, v15, s[42:43]
	v_or_b32_e32 v9, v11, v9
	v_add_u16_e32 v10, v14, v10
	v_cmp_eq_u16_e64 s[42:43], 0, v13
	v_and_b32_e32 v9, 1, v9
	v_and_b32_e32 v7, 0x10000, v6
	v_cndmask_b32_e64 v14, 0, v10, s[42:43]
	v_cmp_eq_u32_e64 s[42:43], 1, v9
	v_mbcnt_lo_u32_b32 v9, -1, 0
	v_add_u16_e32 v10, v14, v12
	v_cndmask_b32_e64 v15, v7, v8, s[42:43]
	v_add_u16_e32 v12, v14, v12
	v_and_b32_e32 v8, 0xff000000, v6
	v_mbcnt_hi_u32_b32 v9, -1, v9
	v_or_b32_e32 v13, v15, v8
	v_and_b32_e32 v14, 15, v9
	v_or3_b32 v12, v8, v12, v15
	s_movk_i32 s48, 0xff
	v_lshrrev_b32_e32 v11, 16, v13
	v_mov_b32_dpp v15, v12 row_shr:1 row_mask:0xf bank_mask:0xf
	v_cmp_ne_u32_e64 s[42:43], 0, v14
	s_and_saveexec_b64 s[46:47], s[42:43]
	s_cbranch_execz .LBB572_211
; %bb.210:
	v_and_b32_sdwa v11, v13, s48 dst_sel:DWORD dst_unused:UNUSED_PAD src0_sel:WORD_1 src1_sel:DWORD
	v_cmp_eq_u16_e64 s[42:43], 0, v11
	v_and_b32_e32 v11, 0x10000, v13
	v_mov_b32_e32 v13, 1
	v_cndmask_b32_e64 v12, 0, v15, s[42:43]
	v_and_b32_sdwa v13, v15, v13 dst_sel:DWORD dst_unused:UNUSED_PAD src0_sel:WORD_1 src1_sel:DWORD
	v_cmp_ne_u32_e64 s[42:43], 0, v11
	v_cndmask_b32_e64 v11, v13, 1, s[42:43]
	v_add_u16_e32 v37, v12, v10
	v_lshlrev_b32_e32 v13, 16, v11
	v_add_u16_e32 v10, v12, v10
	v_or3_b32 v12, v13, v10, v8
	v_mov_b32_e32 v10, v37
.LBB572_211:
	s_or_b64 exec, exec, s[46:47]
	v_lshrrev_b32_e32 v13, 16, v12
	v_mov_b32_dpp v15, v12 row_shr:2 row_mask:0xf bank_mask:0xf
	v_cmp_lt_u32_e64 s[42:43], 1, v14
	s_and_saveexec_b64 s[46:47], s[42:43]
	s_cbranch_execz .LBB572_213
; %bb.212:
	v_mov_b32_e32 v11, 0
	v_cmp_eq_u16_sdwa s[42:43], v13, v11 src0_sel:BYTE_0 src1_sel:DWORD
	v_and_b32_e32 v11, 0x10000, v12
	v_mov_b32_e32 v12, 1
	v_cndmask_b32_e64 v13, 0, v15, s[42:43]
	v_and_b32_sdwa v12, v15, v12 dst_sel:DWORD dst_unused:UNUSED_PAD src0_sel:WORD_1 src1_sel:DWORD
	v_cmp_ne_u32_e64 s[42:43], 0, v11
	v_cndmask_b32_e64 v11, v12, 1, s[42:43]
	v_add_u16_e32 v37, v13, v10
	v_lshlrev_b32_e32 v12, 16, v11
	v_add_u16_e32 v10, v13, v10
	v_or3_b32 v12, v12, v10, v8
	v_mov_b32_e32 v13, v11
	v_mov_b32_e32 v10, v37
.LBB572_213:
	s_or_b64 exec, exec, s[46:47]
	v_mov_b32_dpp v15, v12 row_shr:4 row_mask:0xf bank_mask:0xf
	v_cmp_lt_u32_e64 s[42:43], 3, v14
	s_and_saveexec_b64 s[46:47], s[42:43]
	s_cbranch_execz .LBB572_215
; %bb.214:
	v_mov_b32_e32 v11, 0
	v_cmp_eq_u16_sdwa s[42:43], v13, v11 src0_sel:BYTE_0 src1_sel:DWORD
	v_and_b32_e32 v11, 1, v13
	v_mov_b32_e32 v13, 1
	v_cndmask_b32_e64 v12, 0, v15, s[42:43]
	v_and_b32_sdwa v13, v15, v13 dst_sel:DWORD dst_unused:UNUSED_PAD src0_sel:WORD_1 src1_sel:DWORD
	v_cmp_eq_u32_e64 s[42:43], 1, v11
	v_cndmask_b32_e64 v11, v13, 1, s[42:43]
	v_add_u16_e32 v37, v12, v10
	v_lshlrev_b32_e32 v13, 16, v11
	v_add_u16_e32 v10, v12, v10
	v_or3_b32 v12, v13, v10, v8
	v_mov_b32_e32 v13, v11
	v_mov_b32_e32 v10, v37
.LBB572_215:
	s_or_b64 exec, exec, s[46:47]
	v_mov_b32_dpp v15, v12 row_shr:8 row_mask:0xf bank_mask:0xf
	v_cmp_lt_u32_e64 s[42:43], 7, v14
	s_and_saveexec_b64 s[46:47], s[42:43]
	s_cbranch_execz .LBB572_217
; %bb.216:
	v_mov_b32_e32 v11, 0
	v_cmp_eq_u16_sdwa s[42:43], v13, v11 src0_sel:BYTE_0 src1_sel:DWORD
	v_and_b32_e32 v11, 1, v13
	v_mov_b32_e32 v13, 1
	v_cndmask_b32_e64 v12, 0, v15, s[42:43]
	v_and_b32_sdwa v13, v15, v13 dst_sel:DWORD dst_unused:UNUSED_PAD src0_sel:WORD_1 src1_sel:DWORD
	v_cmp_eq_u32_e64 s[42:43], 1, v11
	v_cndmask_b32_e64 v11, v13, 1, s[42:43]
	v_add_u16_e32 v14, v12, v10
	v_lshlrev_b32_e32 v13, 16, v11
	v_add_u16_e32 v10, v12, v10
	v_or3_b32 v12, v13, v10, v8
	v_mov_b32_e32 v13, v11
	v_mov_b32_e32 v10, v14
.LBB572_217:
	s_or_b64 exec, exec, s[46:47]
	v_and_b32_e32 v15, 16, v9
	v_mov_b32_dpp v14, v12 row_bcast:15 row_mask:0xf bank_mask:0xf
	v_cmp_ne_u32_e64 s[42:43], 0, v15
	s_and_saveexec_b64 s[46:47], s[42:43]
	s_cbranch_execz .LBB572_219
; %bb.218:
	v_mov_b32_e32 v11, 0
	v_cmp_eq_u16_sdwa s[42:43], v13, v11 src0_sel:BYTE_0 src1_sel:DWORD
	v_and_b32_e32 v11, 1, v13
	v_mov_b32_e32 v13, 1
	v_cndmask_b32_e64 v12, 0, v14, s[42:43]
	v_and_b32_sdwa v13, v14, v13 dst_sel:DWORD dst_unused:UNUSED_PAD src0_sel:WORD_1 src1_sel:DWORD
	v_cmp_eq_u32_e64 s[42:43], 1, v11
	v_cndmask_b32_e64 v11, v13, 1, s[42:43]
	v_add_u16_e32 v15, v12, v10
	v_lshlrev_b32_e32 v13, 16, v11
	v_add_u16_e32 v10, v12, v10
	v_or3_b32 v12, v13, v10, v8
	v_mov_b32_e32 v13, v11
	v_mov_b32_e32 v10, v15
.LBB572_219:
	s_or_b64 exec, exec, s[46:47]
	v_mov_b32_dpp v12, v12 row_bcast:31 row_mask:0xf bank_mask:0xf
	v_cmp_lt_u32_e64 s[42:43], 31, v9
	s_and_saveexec_b64 s[46:47], s[42:43]
; %bb.220:
	v_mov_b32_e32 v11, 0
	v_cmp_eq_u16_sdwa s[42:43], v13, v11 src0_sel:BYTE_0 src1_sel:DWORD
	v_cndmask_b32_e64 v11, 0, v12, s[42:43]
	v_add_u16_e32 v10, v11, v10
	v_and_b32_e32 v11, 1, v13
	v_mov_b32_e32 v13, 1
	v_and_b32_sdwa v12, v12, v13 dst_sel:DWORD dst_unused:UNUSED_PAD src0_sel:WORD_1 src1_sel:DWORD
	v_cmp_eq_u32_e64 s[42:43], 1, v11
	v_cndmask_b32_e64 v11, v12, 1, s[42:43]
; %bb.221:
	s_or_b64 exec, exec, s[46:47]
	v_and_b32_e32 v11, 0xff, v11
	v_lshlrev_b32_e32 v11, 16, v11
	v_and_b32_e32 v10, 0xffff, v10
	v_or3_b32 v8, v11, v10, v8
	v_add_u32_e32 v10, -1, v9
	v_and_b32_e32 v11, 64, v9
	v_cmp_lt_i32_e64 s[42:43], v10, v11
	v_cndmask_b32_e64 v9, v10, v9, s[42:43]
	v_lshlrev_b32_e32 v9, 2, v9
	ds_bpermute_b32 v8, v9, v8
	v_and_b32_e32 v9, 0xff0000, v6
	v_cmp_eq_u32_e64 s[42:43], 0, v9
	; wave barrier
	s_waitcnt lgkmcnt(0)
	v_cndmask_b32_e64 v9, 0, v8, s[42:43]
	v_add_u16_e32 v6, v9, v6
	v_mov_b32_e32 v9, 1
	v_and_b32_sdwa v8, v8, v9 dst_sel:DWORD dst_unused:UNUSED_PAD src0_sel:WORD_1 src1_sel:DWORD
	v_cmp_eq_u32_e64 s[42:43], 0, v7
	v_cndmask_b32_e64 v7, 1, v8, s[42:43]
	v_cmp_eq_u32_e64 s[42:43], 0, v0
	v_cndmask_b32_e64 v4, v6, v4, s[42:43]
	v_cndmask_b32_e64 v5, v7, v5, s[42:43]
	ds_write_b16 v3, v4
	ds_write_b8 v3, v5 offset:2
	; wave barrier
	ds_read_u16 v6, v3 offset:4
	ds_read_u8 v7, v3 offset:6
	ds_read_u16 v8, v3 offset:8
	ds_read_u8 v9, v3 offset:10
	;; [unrolled: 2-line block ×3, first 2 shown]
	s_waitcnt lgkmcnt(4)
	v_cmp_eq_u16_e64 s[42:43], 0, v7
	v_cndmask_b32_e64 v4, 0, v4, s[42:43]
	v_add_u16_e32 v4, v4, v6
	v_and_b32_e32 v6, 1, v7
	v_cmp_eq_u32_e64 s[42:43], 1, v6
	v_cndmask_b32_e64 v5, v5, 1, s[42:43]
	s_waitcnt lgkmcnt(2)
	v_cmp_eq_u16_e64 s[42:43], 0, v9
	v_and_b32_e32 v6, 1, v9
	ds_write_b16 v3, v4 offset:4
	ds_write_b8 v3, v5 offset:6
	v_cndmask_b32_e64 v4, 0, v4, s[42:43]
	v_cmp_eq_u32_e64 s[42:43], 1, v6
	v_add_u16_e32 v4, v4, v8
	v_cndmask_b32_e64 v5, v5, 1, s[42:43]
	s_waitcnt lgkmcnt(2)
	v_cmp_eq_u16_e64 s[42:43], 0, v11
	ds_write_b16 v3, v4 offset:8
	ds_write_b8 v3, v5 offset:10
	v_cndmask_b32_e64 v4, 0, v4, s[42:43]
	v_and_b32_e32 v6, 1, v11
	v_add_u16_e32 v4, v4, v10
	v_cmp_eq_u32_e64 s[42:43], 1, v6
	v_cndmask_b32_e64 v5, v5, 1, s[42:43]
	ds_write_b16 v3, v4 offset:12
	ds_write_b8 v3, v5 offset:14
.LBB572_222:
	s_or_b64 exec, exec, s[44:45]
	v_cmp_eq_u32_e64 s[42:43], 0, v0
	v_cmp_ne_u32_e64 s[44:45], 0, v0
	s_waitcnt vmcnt(0)
	v_mov_b32_e32 v4, v2
	s_waitcnt lgkmcnt(0)
	s_barrier
	s_and_saveexec_b64 s[46:47], s[44:45]
	s_cbranch_execz .LBB572_224
; %bb.223:
	v_add_u32_e32 v3, -1, v0
	v_lshrrev_b32_e32 v4, 5, v3
	v_add_lshl_u32 v3, v4, v3, 2
	ds_read_u8 v4, v3 offset:2
	ds_read_u16 v3, v3
	s_waitcnt lgkmcnt(1)
	v_cmp_eq_u16_e64 s[44:45], 0, v4
	v_cndmask_b32_e64 v4, 0, v2, s[44:45]
	s_waitcnt lgkmcnt(0)
	v_add_u16_e32 v4, v4, v3
.LBB572_224:
	s_or_b64 exec, exec, s[46:47]
	v_and_b32_e32 v3, 0xff0000, v1
	v_cmp_eq_u32_e64 s[44:45], 0, v3
	v_cndmask_b32_e64 v3, 0, v4, s[44:45]
	v_add_u16_e32 v5, v3, v1
	v_cndmask_b32_e32 v1, 0, v5, vcc
	v_add_u16_e32 v6, v1, v18
	v_cndmask_b32_e64 v1, 0, v6, s[2:3]
	v_add_u16_e32 v7, v1, v22
	v_cndmask_b32_e64 v1, 0, v7, s[4:5]
	;; [unrolled: 2-line block ×19, first 2 shown]
	s_and_saveexec_b64 s[2:3], s[42:43]
	s_cbranch_execz .LBB572_226
; %bb.225:
	v_mov_b32_e32 v12, 0
	ds_read_u8 v3, v12 offset:1050
	ds_read_u16 v13, v12 offset:1048
	s_waitcnt lgkmcnt(1)
	v_cmp_eq_u32_e32 vcc, 0, v3
	v_cndmask_b32_e32 v2, 0, v2, vcc
	v_lshlrev_b32_e32 v14, 16, v3
	s_waitcnt lgkmcnt(0)
	v_add_u32_e32 v2, v2, v13
	v_or_b32_sdwa v2, v14, v2 dst_sel:DWORD dst_unused:UNUSED_PAD src0_sel:DWORD src1_sel:WORD_0
	v_mov_b32_e32 v3, 2
	global_store_dwordx2 v12, v[2:3], s[52:53] offset:512
.LBB572_226:
	s_or_b64 exec, exec, s[2:3]
	v_add_u16_e32 v50, v1, v35
.LBB572_227:
	s_add_u32 s2, s50, s60
	s_addc_u32 s3, s51, s61
	s_add_u32 s4, s2, s62
	v_mul_u32_u24_e32 v1, 22, v0
	s_addc_u32 s5, s3, s63
	s_and_b64 vcc, exec, s[0:1]
	v_lshlrev_b32_e32 v12, 1, v1
	s_cbranch_vccz .LBB572_271
; %bb.228:
	s_mov_b32 s0, 0x5040100
	v_perm_b32 v1, v7, v6, s0
	v_perm_b32 v2, v5, v4, s0
	s_barrier
	ds_write2_b32 v12, v2, v1 offset1:1
	v_perm_b32 v1, v11, v10, s0
	v_perm_b32 v2, v9, v8, s0
	ds_write2_b32 v12, v2, v1 offset0:2 offset1:3
	v_perm_b32 v1, v40, v39, s0
	v_perm_b32 v2, v38, v37, s0
	ds_write2_b32 v12, v2, v1 offset0:4 offset1:5
	;; [unrolled: 3-line block ×4, first 2 shown]
	v_perm_b32 v1, v50, v49, s0
	s_movk_i32 s0, 0xffd6
	v_mad_i32_i24 v2, v0, s0, v12
	ds_write_b32 v12, v1 offset:40
	s_waitcnt lgkmcnt(0)
	s_barrier
	ds_read_u16 v33, v2 offset:512
	ds_read_u16 v32, v2 offset:1024
	;; [unrolled: 1-line block ×21, first 2 shown]
	v_mov_b32_e32 v3, s5
	v_add_co_u32_e32 v2, vcc, s4, v36
	s_add_i32 s33, s33, s54
	v_addc_co_u32_e32 v3, vcc, 0, v3, vcc
	v_mov_b32_e32 v1, 0
	v_cmp_gt_u32_e32 vcc, s33, v0
	s_and_saveexec_b64 s[0:1], vcc
	s_cbranch_execz .LBB572_230
; %bb.229:
	v_mul_i32_i24_e32 v34, 0xffffffd6, v0
	v_add_u32_e32 v34, v12, v34
	ds_read_u16 v34, v34
	s_waitcnt lgkmcnt(0)
	flat_store_short v[2:3], v34
.LBB572_230:
	s_or_b64 exec, exec, s[0:1]
	v_or_b32_e32 v34, 0x100, v0
	v_cmp_gt_u32_e32 vcc, s33, v34
	s_and_saveexec_b64 s[0:1], vcc
	s_cbranch_execz .LBB572_232
; %bb.231:
	s_waitcnt lgkmcnt(0)
	flat_store_short v[2:3], v33 offset:512
.LBB572_232:
	s_or_b64 exec, exec, s[0:1]
	s_waitcnt lgkmcnt(0)
	v_or_b32_e32 v33, 0x200, v0
	v_cmp_gt_u32_e32 vcc, s33, v33
	s_and_saveexec_b64 s[0:1], vcc
	s_cbranch_execz .LBB572_234
; %bb.233:
	flat_store_short v[2:3], v32 offset:1024
.LBB572_234:
	s_or_b64 exec, exec, s[0:1]
	v_or_b32_e32 v32, 0x300, v0
	v_cmp_gt_u32_e32 vcc, s33, v32
	s_and_saveexec_b64 s[0:1], vcc
	s_cbranch_execz .LBB572_236
; %bb.235:
	flat_store_short v[2:3], v31 offset:1536
.LBB572_236:
	s_or_b64 exec, exec, s[0:1]
	;; [unrolled: 8-line block ×6, first 2 shown]
	v_or_b32_e32 v27, 0x800, v0
	v_cmp_gt_u32_e32 vcc, s33, v27
	s_and_saveexec_b64 s[0:1], vcc
	s_cbranch_execz .LBB572_246
; %bb.245:
	v_add_co_u32_e32 v28, vcc, 0x1000, v2
	v_addc_co_u32_e32 v29, vcc, 0, v3, vcc
	flat_store_short v[28:29], v26
.LBB572_246:
	s_or_b64 exec, exec, s[0:1]
	v_or_b32_e32 v26, 0x900, v0
	v_cmp_gt_u32_e32 vcc, s33, v26
	s_and_saveexec_b64 s[0:1], vcc
	s_cbranch_execz .LBB572_248
; %bb.247:
	v_add_co_u32_e32 v26, vcc, 0x1000, v2
	v_addc_co_u32_e32 v27, vcc, 0, v3, vcc
	flat_store_short v[26:27], v25 offset:512
.LBB572_248:
	s_or_b64 exec, exec, s[0:1]
	v_or_b32_e32 v25, 0xa00, v0
	v_cmp_gt_u32_e32 vcc, s33, v25
	s_and_saveexec_b64 s[0:1], vcc
	s_cbranch_execz .LBB572_250
; %bb.249:
	v_add_co_u32_e32 v26, vcc, 0x1000, v2
	v_addc_co_u32_e32 v27, vcc, 0, v3, vcc
	flat_store_short v[26:27], v24 offset:1024
.LBB572_250:
	;; [unrolled: 10-line block ×7, first 2 shown]
	s_or_b64 exec, exec, s[0:1]
	v_or_b32_e32 v19, 0x1000, v0
	v_cmp_gt_u32_e32 vcc, s33, v19
	s_and_saveexec_b64 s[0:1], vcc
	s_cbranch_execz .LBB572_262
; %bb.261:
	v_add_co_u32_e32 v20, vcc, 0x2000, v2
	v_addc_co_u32_e32 v21, vcc, 0, v3, vcc
	flat_store_short v[20:21], v18
.LBB572_262:
	s_or_b64 exec, exec, s[0:1]
	v_or_b32_e32 v18, 0x1100, v0
	v_cmp_gt_u32_e32 vcc, s33, v18
	s_and_saveexec_b64 s[0:1], vcc
	s_cbranch_execz .LBB572_264
; %bb.263:
	v_add_co_u32_e32 v18, vcc, 0x2000, v2
	v_addc_co_u32_e32 v19, vcc, 0, v3, vcc
	flat_store_short v[18:19], v17 offset:512
.LBB572_264:
	s_or_b64 exec, exec, s[0:1]
	v_or_b32_e32 v17, 0x1200, v0
	v_cmp_gt_u32_e32 vcc, s33, v17
	s_and_saveexec_b64 s[0:1], vcc
	s_cbranch_execz .LBB572_266
; %bb.265:
	v_add_co_u32_e32 v18, vcc, 0x2000, v2
	v_addc_co_u32_e32 v19, vcc, 0, v3, vcc
	flat_store_short v[18:19], v16 offset:1024
.LBB572_266:
	;; [unrolled: 10-line block ×4, first 2 shown]
	s_or_b64 exec, exec, s[0:1]
	v_or_b32_e32 v2, 0x1500, v0
	v_cmp_gt_u32_e64 s[0:1], s33, v2
	s_branch .LBB572_273
.LBB572_271:
	s_mov_b64 s[0:1], 0
                                        ; implicit-def: $vgpr13
	s_cbranch_execz .LBB572_273
; %bb.272:
	s_mov_b32 s2, 0x5040100
	v_perm_b32 v1, v7, v6, s2
	v_perm_b32 v2, v5, v4, s2
	s_waitcnt lgkmcnt(0)
	s_barrier
	ds_write2_b32 v12, v2, v1 offset1:1
	v_perm_b32 v1, v11, v10, s2
	v_perm_b32 v2, v9, v8, s2
	ds_write2_b32 v12, v2, v1 offset0:2 offset1:3
	v_perm_b32 v1, v40, v39, s2
	v_perm_b32 v2, v38, v37, s2
	ds_write2_b32 v12, v2, v1 offset0:4 offset1:5
	;; [unrolled: 3-line block ×4, first 2 shown]
	v_perm_b32 v1, v50, v49, s2
	s_movk_i32 s2, 0xffd6
	v_mad_i32_i24 v2, v0, s2, v12
	ds_write_b32 v12, v1 offset:40
	s_waitcnt lgkmcnt(0)
	s_barrier
	ds_read_u16 v4, v2
	ds_read_u16 v5, v2 offset:512
	ds_read_u16 v6, v2 offset:1024
	;; [unrolled: 1-line block ×21, first 2 shown]
	v_mov_b32_e32 v3, s5
	v_add_co_u32_e32 v2, vcc, s4, v36
	v_addc_co_u32_e32 v3, vcc, 0, v3, vcc
	s_movk_i32 s2, 0x1000
	s_waitcnt lgkmcnt(0)
	flat_store_short v[2:3], v4
	flat_store_short v[2:3], v5 offset:512
	flat_store_short v[2:3], v6 offset:1024
	flat_store_short v[2:3], v7 offset:1536
	flat_store_short v[2:3], v8 offset:2048
	flat_store_short v[2:3], v9 offset:2560
	flat_store_short v[2:3], v10 offset:3072
	flat_store_short v[2:3], v11 offset:3584
	v_add_co_u32_e32 v4, vcc, s2, v2
	v_addc_co_u32_e32 v5, vcc, 0, v3, vcc
	v_add_co_u32_e32 v2, vcc, 0x2000, v2
	v_mov_b32_e32 v1, 0
	v_addc_co_u32_e32 v3, vcc, 0, v3, vcc
	s_or_b64 s[0:1], s[0:1], exec
	flat_store_short v[4:5], v12
	flat_store_short v[4:5], v14 offset:512
	flat_store_short v[4:5], v15 offset:1024
	;; [unrolled: 1-line block ×7, first 2 shown]
	flat_store_short v[2:3], v21
	flat_store_short v[2:3], v22 offset:512
	flat_store_short v[2:3], v23 offset:1024
	;; [unrolled: 1-line block ×4, first 2 shown]
.LBB572_273:
	s_and_saveexec_b64 s[2:3], s[0:1]
	s_cbranch_execz .LBB572_275
; %bb.274:
	v_lshlrev_b64 v[0:1], 1, v[0:1]
	v_mov_b32_e32 v2, s5
	v_add_co_u32_e32 v0, vcc, s4, v0
	v_addc_co_u32_e32 v1, vcc, v2, v1, vcc
	v_add_co_u32_e32 v0, vcc, 0x2000, v0
	v_addc_co_u32_e32 v1, vcc, 0, v1, vcc
	flat_store_short v[0:1], v13 offset:2560
	s_endpgm
.LBB572_275:
	s_endpgm
	.section	.rodata,"a",@progbits
	.p2align	6, 0x0
	.amdhsa_kernel _ZN7rocprim17ROCPRIM_400000_NS6detail17trampoline_kernelINS0_14default_configENS1_27scan_by_key_config_selectorIssEEZZNS1_16scan_by_key_implILNS1_25lookback_scan_determinismE0ELb1ES3_N6thrust23THRUST_200600_302600_NS6detail15normal_iteratorINS9_10device_ptrIsEEEESE_SE_sNS9_4plusIvEENS9_8equal_toIvEEsEE10hipError_tPvRmT2_T3_T4_T5_mT6_T7_P12ihipStream_tbENKUlT_T0_E_clISt17integral_constantIbLb0EESZ_EEDaSU_SV_EUlSU_E_NS1_11comp_targetILNS1_3genE4ELNS1_11target_archE910ELNS1_3gpuE8ELNS1_3repE0EEENS1_30default_config_static_selectorELNS0_4arch9wavefront6targetE1EEEvT1_
		.amdhsa_group_segment_fixed_size 12288
		.amdhsa_private_segment_fixed_size 0
		.amdhsa_kernarg_size 112
		.amdhsa_user_sgpr_count 6
		.amdhsa_user_sgpr_private_segment_buffer 1
		.amdhsa_user_sgpr_dispatch_ptr 0
		.amdhsa_user_sgpr_queue_ptr 0
		.amdhsa_user_sgpr_kernarg_segment_ptr 1
		.amdhsa_user_sgpr_dispatch_id 0
		.amdhsa_user_sgpr_flat_scratch_init 0
		.amdhsa_user_sgpr_kernarg_preload_length 0
		.amdhsa_user_sgpr_kernarg_preload_offset 0
		.amdhsa_user_sgpr_private_segment_size 0
		.amdhsa_uses_dynamic_stack 0
		.amdhsa_system_sgpr_private_segment_wavefront_offset 0
		.amdhsa_system_sgpr_workgroup_id_x 1
		.amdhsa_system_sgpr_workgroup_id_y 0
		.amdhsa_system_sgpr_workgroup_id_z 0
		.amdhsa_system_sgpr_workgroup_info 0
		.amdhsa_system_vgpr_workitem_id 0
		.amdhsa_next_free_vgpr 58
		.amdhsa_next_free_sgpr 75
		.amdhsa_accum_offset 60
		.amdhsa_reserve_vcc 1
		.amdhsa_reserve_flat_scratch 0
		.amdhsa_float_round_mode_32 0
		.amdhsa_float_round_mode_16_64 0
		.amdhsa_float_denorm_mode_32 3
		.amdhsa_float_denorm_mode_16_64 3
		.amdhsa_dx10_clamp 1
		.amdhsa_ieee_mode 1
		.amdhsa_fp16_overflow 0
		.amdhsa_tg_split 0
		.amdhsa_exception_fp_ieee_invalid_op 0
		.amdhsa_exception_fp_denorm_src 0
		.amdhsa_exception_fp_ieee_div_zero 0
		.amdhsa_exception_fp_ieee_overflow 0
		.amdhsa_exception_fp_ieee_underflow 0
		.amdhsa_exception_fp_ieee_inexact 0
		.amdhsa_exception_int_div_zero 0
	.end_amdhsa_kernel
	.section	.text._ZN7rocprim17ROCPRIM_400000_NS6detail17trampoline_kernelINS0_14default_configENS1_27scan_by_key_config_selectorIssEEZZNS1_16scan_by_key_implILNS1_25lookback_scan_determinismE0ELb1ES3_N6thrust23THRUST_200600_302600_NS6detail15normal_iteratorINS9_10device_ptrIsEEEESE_SE_sNS9_4plusIvEENS9_8equal_toIvEEsEE10hipError_tPvRmT2_T3_T4_T5_mT6_T7_P12ihipStream_tbENKUlT_T0_E_clISt17integral_constantIbLb0EESZ_EEDaSU_SV_EUlSU_E_NS1_11comp_targetILNS1_3genE4ELNS1_11target_archE910ELNS1_3gpuE8ELNS1_3repE0EEENS1_30default_config_static_selectorELNS0_4arch9wavefront6targetE1EEEvT1_,"axG",@progbits,_ZN7rocprim17ROCPRIM_400000_NS6detail17trampoline_kernelINS0_14default_configENS1_27scan_by_key_config_selectorIssEEZZNS1_16scan_by_key_implILNS1_25lookback_scan_determinismE0ELb1ES3_N6thrust23THRUST_200600_302600_NS6detail15normal_iteratorINS9_10device_ptrIsEEEESE_SE_sNS9_4plusIvEENS9_8equal_toIvEEsEE10hipError_tPvRmT2_T3_T4_T5_mT6_T7_P12ihipStream_tbENKUlT_T0_E_clISt17integral_constantIbLb0EESZ_EEDaSU_SV_EUlSU_E_NS1_11comp_targetILNS1_3genE4ELNS1_11target_archE910ELNS1_3gpuE8ELNS1_3repE0EEENS1_30default_config_static_selectorELNS0_4arch9wavefront6targetE1EEEvT1_,comdat
.Lfunc_end572:
	.size	_ZN7rocprim17ROCPRIM_400000_NS6detail17trampoline_kernelINS0_14default_configENS1_27scan_by_key_config_selectorIssEEZZNS1_16scan_by_key_implILNS1_25lookback_scan_determinismE0ELb1ES3_N6thrust23THRUST_200600_302600_NS6detail15normal_iteratorINS9_10device_ptrIsEEEESE_SE_sNS9_4plusIvEENS9_8equal_toIvEEsEE10hipError_tPvRmT2_T3_T4_T5_mT6_T7_P12ihipStream_tbENKUlT_T0_E_clISt17integral_constantIbLb0EESZ_EEDaSU_SV_EUlSU_E_NS1_11comp_targetILNS1_3genE4ELNS1_11target_archE910ELNS1_3gpuE8ELNS1_3repE0EEENS1_30default_config_static_selectorELNS0_4arch9wavefront6targetE1EEEvT1_, .Lfunc_end572-_ZN7rocprim17ROCPRIM_400000_NS6detail17trampoline_kernelINS0_14default_configENS1_27scan_by_key_config_selectorIssEEZZNS1_16scan_by_key_implILNS1_25lookback_scan_determinismE0ELb1ES3_N6thrust23THRUST_200600_302600_NS6detail15normal_iteratorINS9_10device_ptrIsEEEESE_SE_sNS9_4plusIvEENS9_8equal_toIvEEsEE10hipError_tPvRmT2_T3_T4_T5_mT6_T7_P12ihipStream_tbENKUlT_T0_E_clISt17integral_constantIbLb0EESZ_EEDaSU_SV_EUlSU_E_NS1_11comp_targetILNS1_3genE4ELNS1_11target_archE910ELNS1_3gpuE8ELNS1_3repE0EEENS1_30default_config_static_selectorELNS0_4arch9wavefront6targetE1EEEvT1_
                                        ; -- End function
	.section	.AMDGPU.csdata,"",@progbits
; Kernel info:
; codeLenInByte = 16200
; NumSgprs: 79
; NumVgprs: 58
; NumAgprs: 0
; TotalNumVgprs: 58
; ScratchSize: 0
; MemoryBound: 0
; FloatMode: 240
; IeeeMode: 1
; LDSByteSize: 12288 bytes/workgroup (compile time only)
; SGPRBlocks: 9
; VGPRBlocks: 7
; NumSGPRsForWavesPerEU: 79
; NumVGPRsForWavesPerEU: 58
; AccumOffset: 60
; Occupancy: 5
; WaveLimiterHint : 1
; COMPUTE_PGM_RSRC2:SCRATCH_EN: 0
; COMPUTE_PGM_RSRC2:USER_SGPR: 6
; COMPUTE_PGM_RSRC2:TRAP_HANDLER: 0
; COMPUTE_PGM_RSRC2:TGID_X_EN: 1
; COMPUTE_PGM_RSRC2:TGID_Y_EN: 0
; COMPUTE_PGM_RSRC2:TGID_Z_EN: 0
; COMPUTE_PGM_RSRC2:TIDIG_COMP_CNT: 0
; COMPUTE_PGM_RSRC3_GFX90A:ACCUM_OFFSET: 14
; COMPUTE_PGM_RSRC3_GFX90A:TG_SPLIT: 0
	.section	.text._ZN7rocprim17ROCPRIM_400000_NS6detail17trampoline_kernelINS0_14default_configENS1_27scan_by_key_config_selectorIssEEZZNS1_16scan_by_key_implILNS1_25lookback_scan_determinismE0ELb1ES3_N6thrust23THRUST_200600_302600_NS6detail15normal_iteratorINS9_10device_ptrIsEEEESE_SE_sNS9_4plusIvEENS9_8equal_toIvEEsEE10hipError_tPvRmT2_T3_T4_T5_mT6_T7_P12ihipStream_tbENKUlT_T0_E_clISt17integral_constantIbLb0EESZ_EEDaSU_SV_EUlSU_E_NS1_11comp_targetILNS1_3genE3ELNS1_11target_archE908ELNS1_3gpuE7ELNS1_3repE0EEENS1_30default_config_static_selectorELNS0_4arch9wavefront6targetE1EEEvT1_,"axG",@progbits,_ZN7rocprim17ROCPRIM_400000_NS6detail17trampoline_kernelINS0_14default_configENS1_27scan_by_key_config_selectorIssEEZZNS1_16scan_by_key_implILNS1_25lookback_scan_determinismE0ELb1ES3_N6thrust23THRUST_200600_302600_NS6detail15normal_iteratorINS9_10device_ptrIsEEEESE_SE_sNS9_4plusIvEENS9_8equal_toIvEEsEE10hipError_tPvRmT2_T3_T4_T5_mT6_T7_P12ihipStream_tbENKUlT_T0_E_clISt17integral_constantIbLb0EESZ_EEDaSU_SV_EUlSU_E_NS1_11comp_targetILNS1_3genE3ELNS1_11target_archE908ELNS1_3gpuE7ELNS1_3repE0EEENS1_30default_config_static_selectorELNS0_4arch9wavefront6targetE1EEEvT1_,comdat
	.protected	_ZN7rocprim17ROCPRIM_400000_NS6detail17trampoline_kernelINS0_14default_configENS1_27scan_by_key_config_selectorIssEEZZNS1_16scan_by_key_implILNS1_25lookback_scan_determinismE0ELb1ES3_N6thrust23THRUST_200600_302600_NS6detail15normal_iteratorINS9_10device_ptrIsEEEESE_SE_sNS9_4plusIvEENS9_8equal_toIvEEsEE10hipError_tPvRmT2_T3_T4_T5_mT6_T7_P12ihipStream_tbENKUlT_T0_E_clISt17integral_constantIbLb0EESZ_EEDaSU_SV_EUlSU_E_NS1_11comp_targetILNS1_3genE3ELNS1_11target_archE908ELNS1_3gpuE7ELNS1_3repE0EEENS1_30default_config_static_selectorELNS0_4arch9wavefront6targetE1EEEvT1_ ; -- Begin function _ZN7rocprim17ROCPRIM_400000_NS6detail17trampoline_kernelINS0_14default_configENS1_27scan_by_key_config_selectorIssEEZZNS1_16scan_by_key_implILNS1_25lookback_scan_determinismE0ELb1ES3_N6thrust23THRUST_200600_302600_NS6detail15normal_iteratorINS9_10device_ptrIsEEEESE_SE_sNS9_4plusIvEENS9_8equal_toIvEEsEE10hipError_tPvRmT2_T3_T4_T5_mT6_T7_P12ihipStream_tbENKUlT_T0_E_clISt17integral_constantIbLb0EESZ_EEDaSU_SV_EUlSU_E_NS1_11comp_targetILNS1_3genE3ELNS1_11target_archE908ELNS1_3gpuE7ELNS1_3repE0EEENS1_30default_config_static_selectorELNS0_4arch9wavefront6targetE1EEEvT1_
	.globl	_ZN7rocprim17ROCPRIM_400000_NS6detail17trampoline_kernelINS0_14default_configENS1_27scan_by_key_config_selectorIssEEZZNS1_16scan_by_key_implILNS1_25lookback_scan_determinismE0ELb1ES3_N6thrust23THRUST_200600_302600_NS6detail15normal_iteratorINS9_10device_ptrIsEEEESE_SE_sNS9_4plusIvEENS9_8equal_toIvEEsEE10hipError_tPvRmT2_T3_T4_T5_mT6_T7_P12ihipStream_tbENKUlT_T0_E_clISt17integral_constantIbLb0EESZ_EEDaSU_SV_EUlSU_E_NS1_11comp_targetILNS1_3genE3ELNS1_11target_archE908ELNS1_3gpuE7ELNS1_3repE0EEENS1_30default_config_static_selectorELNS0_4arch9wavefront6targetE1EEEvT1_
	.p2align	8
	.type	_ZN7rocprim17ROCPRIM_400000_NS6detail17trampoline_kernelINS0_14default_configENS1_27scan_by_key_config_selectorIssEEZZNS1_16scan_by_key_implILNS1_25lookback_scan_determinismE0ELb1ES3_N6thrust23THRUST_200600_302600_NS6detail15normal_iteratorINS9_10device_ptrIsEEEESE_SE_sNS9_4plusIvEENS9_8equal_toIvEEsEE10hipError_tPvRmT2_T3_T4_T5_mT6_T7_P12ihipStream_tbENKUlT_T0_E_clISt17integral_constantIbLb0EESZ_EEDaSU_SV_EUlSU_E_NS1_11comp_targetILNS1_3genE3ELNS1_11target_archE908ELNS1_3gpuE7ELNS1_3repE0EEENS1_30default_config_static_selectorELNS0_4arch9wavefront6targetE1EEEvT1_,@function
_ZN7rocprim17ROCPRIM_400000_NS6detail17trampoline_kernelINS0_14default_configENS1_27scan_by_key_config_selectorIssEEZZNS1_16scan_by_key_implILNS1_25lookback_scan_determinismE0ELb1ES3_N6thrust23THRUST_200600_302600_NS6detail15normal_iteratorINS9_10device_ptrIsEEEESE_SE_sNS9_4plusIvEENS9_8equal_toIvEEsEE10hipError_tPvRmT2_T3_T4_T5_mT6_T7_P12ihipStream_tbENKUlT_T0_E_clISt17integral_constantIbLb0EESZ_EEDaSU_SV_EUlSU_E_NS1_11comp_targetILNS1_3genE3ELNS1_11target_archE908ELNS1_3gpuE7ELNS1_3repE0EEENS1_30default_config_static_selectorELNS0_4arch9wavefront6targetE1EEEvT1_: ; @_ZN7rocprim17ROCPRIM_400000_NS6detail17trampoline_kernelINS0_14default_configENS1_27scan_by_key_config_selectorIssEEZZNS1_16scan_by_key_implILNS1_25lookback_scan_determinismE0ELb1ES3_N6thrust23THRUST_200600_302600_NS6detail15normal_iteratorINS9_10device_ptrIsEEEESE_SE_sNS9_4plusIvEENS9_8equal_toIvEEsEE10hipError_tPvRmT2_T3_T4_T5_mT6_T7_P12ihipStream_tbENKUlT_T0_E_clISt17integral_constantIbLb0EESZ_EEDaSU_SV_EUlSU_E_NS1_11comp_targetILNS1_3genE3ELNS1_11target_archE908ELNS1_3gpuE7ELNS1_3repE0EEENS1_30default_config_static_selectorELNS0_4arch9wavefront6targetE1EEEvT1_
; %bb.0:
	.section	.rodata,"a",@progbits
	.p2align	6, 0x0
	.amdhsa_kernel _ZN7rocprim17ROCPRIM_400000_NS6detail17trampoline_kernelINS0_14default_configENS1_27scan_by_key_config_selectorIssEEZZNS1_16scan_by_key_implILNS1_25lookback_scan_determinismE0ELb1ES3_N6thrust23THRUST_200600_302600_NS6detail15normal_iteratorINS9_10device_ptrIsEEEESE_SE_sNS9_4plusIvEENS9_8equal_toIvEEsEE10hipError_tPvRmT2_T3_T4_T5_mT6_T7_P12ihipStream_tbENKUlT_T0_E_clISt17integral_constantIbLb0EESZ_EEDaSU_SV_EUlSU_E_NS1_11comp_targetILNS1_3genE3ELNS1_11target_archE908ELNS1_3gpuE7ELNS1_3repE0EEENS1_30default_config_static_selectorELNS0_4arch9wavefront6targetE1EEEvT1_
		.amdhsa_group_segment_fixed_size 0
		.amdhsa_private_segment_fixed_size 0
		.amdhsa_kernarg_size 112
		.amdhsa_user_sgpr_count 6
		.amdhsa_user_sgpr_private_segment_buffer 1
		.amdhsa_user_sgpr_dispatch_ptr 0
		.amdhsa_user_sgpr_queue_ptr 0
		.amdhsa_user_sgpr_kernarg_segment_ptr 1
		.amdhsa_user_sgpr_dispatch_id 0
		.amdhsa_user_sgpr_flat_scratch_init 0
		.amdhsa_user_sgpr_kernarg_preload_length 0
		.amdhsa_user_sgpr_kernarg_preload_offset 0
		.amdhsa_user_sgpr_private_segment_size 0
		.amdhsa_uses_dynamic_stack 0
		.amdhsa_system_sgpr_private_segment_wavefront_offset 0
		.amdhsa_system_sgpr_workgroup_id_x 1
		.amdhsa_system_sgpr_workgroup_id_y 0
		.amdhsa_system_sgpr_workgroup_id_z 0
		.amdhsa_system_sgpr_workgroup_info 0
		.amdhsa_system_vgpr_workitem_id 0
		.amdhsa_next_free_vgpr 1
		.amdhsa_next_free_sgpr 0
		.amdhsa_accum_offset 4
		.amdhsa_reserve_vcc 0
		.amdhsa_reserve_flat_scratch 0
		.amdhsa_float_round_mode_32 0
		.amdhsa_float_round_mode_16_64 0
		.amdhsa_float_denorm_mode_32 3
		.amdhsa_float_denorm_mode_16_64 3
		.amdhsa_dx10_clamp 1
		.amdhsa_ieee_mode 1
		.amdhsa_fp16_overflow 0
		.amdhsa_tg_split 0
		.amdhsa_exception_fp_ieee_invalid_op 0
		.amdhsa_exception_fp_denorm_src 0
		.amdhsa_exception_fp_ieee_div_zero 0
		.amdhsa_exception_fp_ieee_overflow 0
		.amdhsa_exception_fp_ieee_underflow 0
		.amdhsa_exception_fp_ieee_inexact 0
		.amdhsa_exception_int_div_zero 0
	.end_amdhsa_kernel
	.section	.text._ZN7rocprim17ROCPRIM_400000_NS6detail17trampoline_kernelINS0_14default_configENS1_27scan_by_key_config_selectorIssEEZZNS1_16scan_by_key_implILNS1_25lookback_scan_determinismE0ELb1ES3_N6thrust23THRUST_200600_302600_NS6detail15normal_iteratorINS9_10device_ptrIsEEEESE_SE_sNS9_4plusIvEENS9_8equal_toIvEEsEE10hipError_tPvRmT2_T3_T4_T5_mT6_T7_P12ihipStream_tbENKUlT_T0_E_clISt17integral_constantIbLb0EESZ_EEDaSU_SV_EUlSU_E_NS1_11comp_targetILNS1_3genE3ELNS1_11target_archE908ELNS1_3gpuE7ELNS1_3repE0EEENS1_30default_config_static_selectorELNS0_4arch9wavefront6targetE1EEEvT1_,"axG",@progbits,_ZN7rocprim17ROCPRIM_400000_NS6detail17trampoline_kernelINS0_14default_configENS1_27scan_by_key_config_selectorIssEEZZNS1_16scan_by_key_implILNS1_25lookback_scan_determinismE0ELb1ES3_N6thrust23THRUST_200600_302600_NS6detail15normal_iteratorINS9_10device_ptrIsEEEESE_SE_sNS9_4plusIvEENS9_8equal_toIvEEsEE10hipError_tPvRmT2_T3_T4_T5_mT6_T7_P12ihipStream_tbENKUlT_T0_E_clISt17integral_constantIbLb0EESZ_EEDaSU_SV_EUlSU_E_NS1_11comp_targetILNS1_3genE3ELNS1_11target_archE908ELNS1_3gpuE7ELNS1_3repE0EEENS1_30default_config_static_selectorELNS0_4arch9wavefront6targetE1EEEvT1_,comdat
.Lfunc_end573:
	.size	_ZN7rocprim17ROCPRIM_400000_NS6detail17trampoline_kernelINS0_14default_configENS1_27scan_by_key_config_selectorIssEEZZNS1_16scan_by_key_implILNS1_25lookback_scan_determinismE0ELb1ES3_N6thrust23THRUST_200600_302600_NS6detail15normal_iteratorINS9_10device_ptrIsEEEESE_SE_sNS9_4plusIvEENS9_8equal_toIvEEsEE10hipError_tPvRmT2_T3_T4_T5_mT6_T7_P12ihipStream_tbENKUlT_T0_E_clISt17integral_constantIbLb0EESZ_EEDaSU_SV_EUlSU_E_NS1_11comp_targetILNS1_3genE3ELNS1_11target_archE908ELNS1_3gpuE7ELNS1_3repE0EEENS1_30default_config_static_selectorELNS0_4arch9wavefront6targetE1EEEvT1_, .Lfunc_end573-_ZN7rocprim17ROCPRIM_400000_NS6detail17trampoline_kernelINS0_14default_configENS1_27scan_by_key_config_selectorIssEEZZNS1_16scan_by_key_implILNS1_25lookback_scan_determinismE0ELb1ES3_N6thrust23THRUST_200600_302600_NS6detail15normal_iteratorINS9_10device_ptrIsEEEESE_SE_sNS9_4plusIvEENS9_8equal_toIvEEsEE10hipError_tPvRmT2_T3_T4_T5_mT6_T7_P12ihipStream_tbENKUlT_T0_E_clISt17integral_constantIbLb0EESZ_EEDaSU_SV_EUlSU_E_NS1_11comp_targetILNS1_3genE3ELNS1_11target_archE908ELNS1_3gpuE7ELNS1_3repE0EEENS1_30default_config_static_selectorELNS0_4arch9wavefront6targetE1EEEvT1_
                                        ; -- End function
	.section	.AMDGPU.csdata,"",@progbits
; Kernel info:
; codeLenInByte = 0
; NumSgprs: 4
; NumVgprs: 0
; NumAgprs: 0
; TotalNumVgprs: 0
; ScratchSize: 0
; MemoryBound: 0
; FloatMode: 240
; IeeeMode: 1
; LDSByteSize: 0 bytes/workgroup (compile time only)
; SGPRBlocks: 0
; VGPRBlocks: 0
; NumSGPRsForWavesPerEU: 4
; NumVGPRsForWavesPerEU: 1
; AccumOffset: 4
; Occupancy: 8
; WaveLimiterHint : 0
; COMPUTE_PGM_RSRC2:SCRATCH_EN: 0
; COMPUTE_PGM_RSRC2:USER_SGPR: 6
; COMPUTE_PGM_RSRC2:TRAP_HANDLER: 0
; COMPUTE_PGM_RSRC2:TGID_X_EN: 1
; COMPUTE_PGM_RSRC2:TGID_Y_EN: 0
; COMPUTE_PGM_RSRC2:TGID_Z_EN: 0
; COMPUTE_PGM_RSRC2:TIDIG_COMP_CNT: 0
; COMPUTE_PGM_RSRC3_GFX90A:ACCUM_OFFSET: 0
; COMPUTE_PGM_RSRC3_GFX90A:TG_SPLIT: 0
	.section	.text._ZN7rocprim17ROCPRIM_400000_NS6detail17trampoline_kernelINS0_14default_configENS1_27scan_by_key_config_selectorIssEEZZNS1_16scan_by_key_implILNS1_25lookback_scan_determinismE0ELb1ES3_N6thrust23THRUST_200600_302600_NS6detail15normal_iteratorINS9_10device_ptrIsEEEESE_SE_sNS9_4plusIvEENS9_8equal_toIvEEsEE10hipError_tPvRmT2_T3_T4_T5_mT6_T7_P12ihipStream_tbENKUlT_T0_E_clISt17integral_constantIbLb0EESZ_EEDaSU_SV_EUlSU_E_NS1_11comp_targetILNS1_3genE2ELNS1_11target_archE906ELNS1_3gpuE6ELNS1_3repE0EEENS1_30default_config_static_selectorELNS0_4arch9wavefront6targetE1EEEvT1_,"axG",@progbits,_ZN7rocprim17ROCPRIM_400000_NS6detail17trampoline_kernelINS0_14default_configENS1_27scan_by_key_config_selectorIssEEZZNS1_16scan_by_key_implILNS1_25lookback_scan_determinismE0ELb1ES3_N6thrust23THRUST_200600_302600_NS6detail15normal_iteratorINS9_10device_ptrIsEEEESE_SE_sNS9_4plusIvEENS9_8equal_toIvEEsEE10hipError_tPvRmT2_T3_T4_T5_mT6_T7_P12ihipStream_tbENKUlT_T0_E_clISt17integral_constantIbLb0EESZ_EEDaSU_SV_EUlSU_E_NS1_11comp_targetILNS1_3genE2ELNS1_11target_archE906ELNS1_3gpuE6ELNS1_3repE0EEENS1_30default_config_static_selectorELNS0_4arch9wavefront6targetE1EEEvT1_,comdat
	.protected	_ZN7rocprim17ROCPRIM_400000_NS6detail17trampoline_kernelINS0_14default_configENS1_27scan_by_key_config_selectorIssEEZZNS1_16scan_by_key_implILNS1_25lookback_scan_determinismE0ELb1ES3_N6thrust23THRUST_200600_302600_NS6detail15normal_iteratorINS9_10device_ptrIsEEEESE_SE_sNS9_4plusIvEENS9_8equal_toIvEEsEE10hipError_tPvRmT2_T3_T4_T5_mT6_T7_P12ihipStream_tbENKUlT_T0_E_clISt17integral_constantIbLb0EESZ_EEDaSU_SV_EUlSU_E_NS1_11comp_targetILNS1_3genE2ELNS1_11target_archE906ELNS1_3gpuE6ELNS1_3repE0EEENS1_30default_config_static_selectorELNS0_4arch9wavefront6targetE1EEEvT1_ ; -- Begin function _ZN7rocprim17ROCPRIM_400000_NS6detail17trampoline_kernelINS0_14default_configENS1_27scan_by_key_config_selectorIssEEZZNS1_16scan_by_key_implILNS1_25lookback_scan_determinismE0ELb1ES3_N6thrust23THRUST_200600_302600_NS6detail15normal_iteratorINS9_10device_ptrIsEEEESE_SE_sNS9_4plusIvEENS9_8equal_toIvEEsEE10hipError_tPvRmT2_T3_T4_T5_mT6_T7_P12ihipStream_tbENKUlT_T0_E_clISt17integral_constantIbLb0EESZ_EEDaSU_SV_EUlSU_E_NS1_11comp_targetILNS1_3genE2ELNS1_11target_archE906ELNS1_3gpuE6ELNS1_3repE0EEENS1_30default_config_static_selectorELNS0_4arch9wavefront6targetE1EEEvT1_
	.globl	_ZN7rocprim17ROCPRIM_400000_NS6detail17trampoline_kernelINS0_14default_configENS1_27scan_by_key_config_selectorIssEEZZNS1_16scan_by_key_implILNS1_25lookback_scan_determinismE0ELb1ES3_N6thrust23THRUST_200600_302600_NS6detail15normal_iteratorINS9_10device_ptrIsEEEESE_SE_sNS9_4plusIvEENS9_8equal_toIvEEsEE10hipError_tPvRmT2_T3_T4_T5_mT6_T7_P12ihipStream_tbENKUlT_T0_E_clISt17integral_constantIbLb0EESZ_EEDaSU_SV_EUlSU_E_NS1_11comp_targetILNS1_3genE2ELNS1_11target_archE906ELNS1_3gpuE6ELNS1_3repE0EEENS1_30default_config_static_selectorELNS0_4arch9wavefront6targetE1EEEvT1_
	.p2align	8
	.type	_ZN7rocprim17ROCPRIM_400000_NS6detail17trampoline_kernelINS0_14default_configENS1_27scan_by_key_config_selectorIssEEZZNS1_16scan_by_key_implILNS1_25lookback_scan_determinismE0ELb1ES3_N6thrust23THRUST_200600_302600_NS6detail15normal_iteratorINS9_10device_ptrIsEEEESE_SE_sNS9_4plusIvEENS9_8equal_toIvEEsEE10hipError_tPvRmT2_T3_T4_T5_mT6_T7_P12ihipStream_tbENKUlT_T0_E_clISt17integral_constantIbLb0EESZ_EEDaSU_SV_EUlSU_E_NS1_11comp_targetILNS1_3genE2ELNS1_11target_archE906ELNS1_3gpuE6ELNS1_3repE0EEENS1_30default_config_static_selectorELNS0_4arch9wavefront6targetE1EEEvT1_,@function
_ZN7rocprim17ROCPRIM_400000_NS6detail17trampoline_kernelINS0_14default_configENS1_27scan_by_key_config_selectorIssEEZZNS1_16scan_by_key_implILNS1_25lookback_scan_determinismE0ELb1ES3_N6thrust23THRUST_200600_302600_NS6detail15normal_iteratorINS9_10device_ptrIsEEEESE_SE_sNS9_4plusIvEENS9_8equal_toIvEEsEE10hipError_tPvRmT2_T3_T4_T5_mT6_T7_P12ihipStream_tbENKUlT_T0_E_clISt17integral_constantIbLb0EESZ_EEDaSU_SV_EUlSU_E_NS1_11comp_targetILNS1_3genE2ELNS1_11target_archE906ELNS1_3gpuE6ELNS1_3repE0EEENS1_30default_config_static_selectorELNS0_4arch9wavefront6targetE1EEEvT1_: ; @_ZN7rocprim17ROCPRIM_400000_NS6detail17trampoline_kernelINS0_14default_configENS1_27scan_by_key_config_selectorIssEEZZNS1_16scan_by_key_implILNS1_25lookback_scan_determinismE0ELb1ES3_N6thrust23THRUST_200600_302600_NS6detail15normal_iteratorINS9_10device_ptrIsEEEESE_SE_sNS9_4plusIvEENS9_8equal_toIvEEsEE10hipError_tPvRmT2_T3_T4_T5_mT6_T7_P12ihipStream_tbENKUlT_T0_E_clISt17integral_constantIbLb0EESZ_EEDaSU_SV_EUlSU_E_NS1_11comp_targetILNS1_3genE2ELNS1_11target_archE906ELNS1_3gpuE6ELNS1_3repE0EEENS1_30default_config_static_selectorELNS0_4arch9wavefront6targetE1EEEvT1_
; %bb.0:
	.section	.rodata,"a",@progbits
	.p2align	6, 0x0
	.amdhsa_kernel _ZN7rocprim17ROCPRIM_400000_NS6detail17trampoline_kernelINS0_14default_configENS1_27scan_by_key_config_selectorIssEEZZNS1_16scan_by_key_implILNS1_25lookback_scan_determinismE0ELb1ES3_N6thrust23THRUST_200600_302600_NS6detail15normal_iteratorINS9_10device_ptrIsEEEESE_SE_sNS9_4plusIvEENS9_8equal_toIvEEsEE10hipError_tPvRmT2_T3_T4_T5_mT6_T7_P12ihipStream_tbENKUlT_T0_E_clISt17integral_constantIbLb0EESZ_EEDaSU_SV_EUlSU_E_NS1_11comp_targetILNS1_3genE2ELNS1_11target_archE906ELNS1_3gpuE6ELNS1_3repE0EEENS1_30default_config_static_selectorELNS0_4arch9wavefront6targetE1EEEvT1_
		.amdhsa_group_segment_fixed_size 0
		.amdhsa_private_segment_fixed_size 0
		.amdhsa_kernarg_size 112
		.amdhsa_user_sgpr_count 6
		.amdhsa_user_sgpr_private_segment_buffer 1
		.amdhsa_user_sgpr_dispatch_ptr 0
		.amdhsa_user_sgpr_queue_ptr 0
		.amdhsa_user_sgpr_kernarg_segment_ptr 1
		.amdhsa_user_sgpr_dispatch_id 0
		.amdhsa_user_sgpr_flat_scratch_init 0
		.amdhsa_user_sgpr_kernarg_preload_length 0
		.amdhsa_user_sgpr_kernarg_preload_offset 0
		.amdhsa_user_sgpr_private_segment_size 0
		.amdhsa_uses_dynamic_stack 0
		.amdhsa_system_sgpr_private_segment_wavefront_offset 0
		.amdhsa_system_sgpr_workgroup_id_x 1
		.amdhsa_system_sgpr_workgroup_id_y 0
		.amdhsa_system_sgpr_workgroup_id_z 0
		.amdhsa_system_sgpr_workgroup_info 0
		.amdhsa_system_vgpr_workitem_id 0
		.amdhsa_next_free_vgpr 1
		.amdhsa_next_free_sgpr 0
		.amdhsa_accum_offset 4
		.amdhsa_reserve_vcc 0
		.amdhsa_reserve_flat_scratch 0
		.amdhsa_float_round_mode_32 0
		.amdhsa_float_round_mode_16_64 0
		.amdhsa_float_denorm_mode_32 3
		.amdhsa_float_denorm_mode_16_64 3
		.amdhsa_dx10_clamp 1
		.amdhsa_ieee_mode 1
		.amdhsa_fp16_overflow 0
		.amdhsa_tg_split 0
		.amdhsa_exception_fp_ieee_invalid_op 0
		.amdhsa_exception_fp_denorm_src 0
		.amdhsa_exception_fp_ieee_div_zero 0
		.amdhsa_exception_fp_ieee_overflow 0
		.amdhsa_exception_fp_ieee_underflow 0
		.amdhsa_exception_fp_ieee_inexact 0
		.amdhsa_exception_int_div_zero 0
	.end_amdhsa_kernel
	.section	.text._ZN7rocprim17ROCPRIM_400000_NS6detail17trampoline_kernelINS0_14default_configENS1_27scan_by_key_config_selectorIssEEZZNS1_16scan_by_key_implILNS1_25lookback_scan_determinismE0ELb1ES3_N6thrust23THRUST_200600_302600_NS6detail15normal_iteratorINS9_10device_ptrIsEEEESE_SE_sNS9_4plusIvEENS9_8equal_toIvEEsEE10hipError_tPvRmT2_T3_T4_T5_mT6_T7_P12ihipStream_tbENKUlT_T0_E_clISt17integral_constantIbLb0EESZ_EEDaSU_SV_EUlSU_E_NS1_11comp_targetILNS1_3genE2ELNS1_11target_archE906ELNS1_3gpuE6ELNS1_3repE0EEENS1_30default_config_static_selectorELNS0_4arch9wavefront6targetE1EEEvT1_,"axG",@progbits,_ZN7rocprim17ROCPRIM_400000_NS6detail17trampoline_kernelINS0_14default_configENS1_27scan_by_key_config_selectorIssEEZZNS1_16scan_by_key_implILNS1_25lookback_scan_determinismE0ELb1ES3_N6thrust23THRUST_200600_302600_NS6detail15normal_iteratorINS9_10device_ptrIsEEEESE_SE_sNS9_4plusIvEENS9_8equal_toIvEEsEE10hipError_tPvRmT2_T3_T4_T5_mT6_T7_P12ihipStream_tbENKUlT_T0_E_clISt17integral_constantIbLb0EESZ_EEDaSU_SV_EUlSU_E_NS1_11comp_targetILNS1_3genE2ELNS1_11target_archE906ELNS1_3gpuE6ELNS1_3repE0EEENS1_30default_config_static_selectorELNS0_4arch9wavefront6targetE1EEEvT1_,comdat
.Lfunc_end574:
	.size	_ZN7rocprim17ROCPRIM_400000_NS6detail17trampoline_kernelINS0_14default_configENS1_27scan_by_key_config_selectorIssEEZZNS1_16scan_by_key_implILNS1_25lookback_scan_determinismE0ELb1ES3_N6thrust23THRUST_200600_302600_NS6detail15normal_iteratorINS9_10device_ptrIsEEEESE_SE_sNS9_4plusIvEENS9_8equal_toIvEEsEE10hipError_tPvRmT2_T3_T4_T5_mT6_T7_P12ihipStream_tbENKUlT_T0_E_clISt17integral_constantIbLb0EESZ_EEDaSU_SV_EUlSU_E_NS1_11comp_targetILNS1_3genE2ELNS1_11target_archE906ELNS1_3gpuE6ELNS1_3repE0EEENS1_30default_config_static_selectorELNS0_4arch9wavefront6targetE1EEEvT1_, .Lfunc_end574-_ZN7rocprim17ROCPRIM_400000_NS6detail17trampoline_kernelINS0_14default_configENS1_27scan_by_key_config_selectorIssEEZZNS1_16scan_by_key_implILNS1_25lookback_scan_determinismE0ELb1ES3_N6thrust23THRUST_200600_302600_NS6detail15normal_iteratorINS9_10device_ptrIsEEEESE_SE_sNS9_4plusIvEENS9_8equal_toIvEEsEE10hipError_tPvRmT2_T3_T4_T5_mT6_T7_P12ihipStream_tbENKUlT_T0_E_clISt17integral_constantIbLb0EESZ_EEDaSU_SV_EUlSU_E_NS1_11comp_targetILNS1_3genE2ELNS1_11target_archE906ELNS1_3gpuE6ELNS1_3repE0EEENS1_30default_config_static_selectorELNS0_4arch9wavefront6targetE1EEEvT1_
                                        ; -- End function
	.section	.AMDGPU.csdata,"",@progbits
; Kernel info:
; codeLenInByte = 0
; NumSgprs: 4
; NumVgprs: 0
; NumAgprs: 0
; TotalNumVgprs: 0
; ScratchSize: 0
; MemoryBound: 0
; FloatMode: 240
; IeeeMode: 1
; LDSByteSize: 0 bytes/workgroup (compile time only)
; SGPRBlocks: 0
; VGPRBlocks: 0
; NumSGPRsForWavesPerEU: 4
; NumVGPRsForWavesPerEU: 1
; AccumOffset: 4
; Occupancy: 8
; WaveLimiterHint : 0
; COMPUTE_PGM_RSRC2:SCRATCH_EN: 0
; COMPUTE_PGM_RSRC2:USER_SGPR: 6
; COMPUTE_PGM_RSRC2:TRAP_HANDLER: 0
; COMPUTE_PGM_RSRC2:TGID_X_EN: 1
; COMPUTE_PGM_RSRC2:TGID_Y_EN: 0
; COMPUTE_PGM_RSRC2:TGID_Z_EN: 0
; COMPUTE_PGM_RSRC2:TIDIG_COMP_CNT: 0
; COMPUTE_PGM_RSRC3_GFX90A:ACCUM_OFFSET: 0
; COMPUTE_PGM_RSRC3_GFX90A:TG_SPLIT: 0
	.section	.text._ZN7rocprim17ROCPRIM_400000_NS6detail17trampoline_kernelINS0_14default_configENS1_27scan_by_key_config_selectorIssEEZZNS1_16scan_by_key_implILNS1_25lookback_scan_determinismE0ELb1ES3_N6thrust23THRUST_200600_302600_NS6detail15normal_iteratorINS9_10device_ptrIsEEEESE_SE_sNS9_4plusIvEENS9_8equal_toIvEEsEE10hipError_tPvRmT2_T3_T4_T5_mT6_T7_P12ihipStream_tbENKUlT_T0_E_clISt17integral_constantIbLb0EESZ_EEDaSU_SV_EUlSU_E_NS1_11comp_targetILNS1_3genE10ELNS1_11target_archE1200ELNS1_3gpuE4ELNS1_3repE0EEENS1_30default_config_static_selectorELNS0_4arch9wavefront6targetE1EEEvT1_,"axG",@progbits,_ZN7rocprim17ROCPRIM_400000_NS6detail17trampoline_kernelINS0_14default_configENS1_27scan_by_key_config_selectorIssEEZZNS1_16scan_by_key_implILNS1_25lookback_scan_determinismE0ELb1ES3_N6thrust23THRUST_200600_302600_NS6detail15normal_iteratorINS9_10device_ptrIsEEEESE_SE_sNS9_4plusIvEENS9_8equal_toIvEEsEE10hipError_tPvRmT2_T3_T4_T5_mT6_T7_P12ihipStream_tbENKUlT_T0_E_clISt17integral_constantIbLb0EESZ_EEDaSU_SV_EUlSU_E_NS1_11comp_targetILNS1_3genE10ELNS1_11target_archE1200ELNS1_3gpuE4ELNS1_3repE0EEENS1_30default_config_static_selectorELNS0_4arch9wavefront6targetE1EEEvT1_,comdat
	.protected	_ZN7rocprim17ROCPRIM_400000_NS6detail17trampoline_kernelINS0_14default_configENS1_27scan_by_key_config_selectorIssEEZZNS1_16scan_by_key_implILNS1_25lookback_scan_determinismE0ELb1ES3_N6thrust23THRUST_200600_302600_NS6detail15normal_iteratorINS9_10device_ptrIsEEEESE_SE_sNS9_4plusIvEENS9_8equal_toIvEEsEE10hipError_tPvRmT2_T3_T4_T5_mT6_T7_P12ihipStream_tbENKUlT_T0_E_clISt17integral_constantIbLb0EESZ_EEDaSU_SV_EUlSU_E_NS1_11comp_targetILNS1_3genE10ELNS1_11target_archE1200ELNS1_3gpuE4ELNS1_3repE0EEENS1_30default_config_static_selectorELNS0_4arch9wavefront6targetE1EEEvT1_ ; -- Begin function _ZN7rocprim17ROCPRIM_400000_NS6detail17trampoline_kernelINS0_14default_configENS1_27scan_by_key_config_selectorIssEEZZNS1_16scan_by_key_implILNS1_25lookback_scan_determinismE0ELb1ES3_N6thrust23THRUST_200600_302600_NS6detail15normal_iteratorINS9_10device_ptrIsEEEESE_SE_sNS9_4plusIvEENS9_8equal_toIvEEsEE10hipError_tPvRmT2_T3_T4_T5_mT6_T7_P12ihipStream_tbENKUlT_T0_E_clISt17integral_constantIbLb0EESZ_EEDaSU_SV_EUlSU_E_NS1_11comp_targetILNS1_3genE10ELNS1_11target_archE1200ELNS1_3gpuE4ELNS1_3repE0EEENS1_30default_config_static_selectorELNS0_4arch9wavefront6targetE1EEEvT1_
	.globl	_ZN7rocprim17ROCPRIM_400000_NS6detail17trampoline_kernelINS0_14default_configENS1_27scan_by_key_config_selectorIssEEZZNS1_16scan_by_key_implILNS1_25lookback_scan_determinismE0ELb1ES3_N6thrust23THRUST_200600_302600_NS6detail15normal_iteratorINS9_10device_ptrIsEEEESE_SE_sNS9_4plusIvEENS9_8equal_toIvEEsEE10hipError_tPvRmT2_T3_T4_T5_mT6_T7_P12ihipStream_tbENKUlT_T0_E_clISt17integral_constantIbLb0EESZ_EEDaSU_SV_EUlSU_E_NS1_11comp_targetILNS1_3genE10ELNS1_11target_archE1200ELNS1_3gpuE4ELNS1_3repE0EEENS1_30default_config_static_selectorELNS0_4arch9wavefront6targetE1EEEvT1_
	.p2align	8
	.type	_ZN7rocprim17ROCPRIM_400000_NS6detail17trampoline_kernelINS0_14default_configENS1_27scan_by_key_config_selectorIssEEZZNS1_16scan_by_key_implILNS1_25lookback_scan_determinismE0ELb1ES3_N6thrust23THRUST_200600_302600_NS6detail15normal_iteratorINS9_10device_ptrIsEEEESE_SE_sNS9_4plusIvEENS9_8equal_toIvEEsEE10hipError_tPvRmT2_T3_T4_T5_mT6_T7_P12ihipStream_tbENKUlT_T0_E_clISt17integral_constantIbLb0EESZ_EEDaSU_SV_EUlSU_E_NS1_11comp_targetILNS1_3genE10ELNS1_11target_archE1200ELNS1_3gpuE4ELNS1_3repE0EEENS1_30default_config_static_selectorELNS0_4arch9wavefront6targetE1EEEvT1_,@function
_ZN7rocprim17ROCPRIM_400000_NS6detail17trampoline_kernelINS0_14default_configENS1_27scan_by_key_config_selectorIssEEZZNS1_16scan_by_key_implILNS1_25lookback_scan_determinismE0ELb1ES3_N6thrust23THRUST_200600_302600_NS6detail15normal_iteratorINS9_10device_ptrIsEEEESE_SE_sNS9_4plusIvEENS9_8equal_toIvEEsEE10hipError_tPvRmT2_T3_T4_T5_mT6_T7_P12ihipStream_tbENKUlT_T0_E_clISt17integral_constantIbLb0EESZ_EEDaSU_SV_EUlSU_E_NS1_11comp_targetILNS1_3genE10ELNS1_11target_archE1200ELNS1_3gpuE4ELNS1_3repE0EEENS1_30default_config_static_selectorELNS0_4arch9wavefront6targetE1EEEvT1_: ; @_ZN7rocprim17ROCPRIM_400000_NS6detail17trampoline_kernelINS0_14default_configENS1_27scan_by_key_config_selectorIssEEZZNS1_16scan_by_key_implILNS1_25lookback_scan_determinismE0ELb1ES3_N6thrust23THRUST_200600_302600_NS6detail15normal_iteratorINS9_10device_ptrIsEEEESE_SE_sNS9_4plusIvEENS9_8equal_toIvEEsEE10hipError_tPvRmT2_T3_T4_T5_mT6_T7_P12ihipStream_tbENKUlT_T0_E_clISt17integral_constantIbLb0EESZ_EEDaSU_SV_EUlSU_E_NS1_11comp_targetILNS1_3genE10ELNS1_11target_archE1200ELNS1_3gpuE4ELNS1_3repE0EEENS1_30default_config_static_selectorELNS0_4arch9wavefront6targetE1EEEvT1_
; %bb.0:
	.section	.rodata,"a",@progbits
	.p2align	6, 0x0
	.amdhsa_kernel _ZN7rocprim17ROCPRIM_400000_NS6detail17trampoline_kernelINS0_14default_configENS1_27scan_by_key_config_selectorIssEEZZNS1_16scan_by_key_implILNS1_25lookback_scan_determinismE0ELb1ES3_N6thrust23THRUST_200600_302600_NS6detail15normal_iteratorINS9_10device_ptrIsEEEESE_SE_sNS9_4plusIvEENS9_8equal_toIvEEsEE10hipError_tPvRmT2_T3_T4_T5_mT6_T7_P12ihipStream_tbENKUlT_T0_E_clISt17integral_constantIbLb0EESZ_EEDaSU_SV_EUlSU_E_NS1_11comp_targetILNS1_3genE10ELNS1_11target_archE1200ELNS1_3gpuE4ELNS1_3repE0EEENS1_30default_config_static_selectorELNS0_4arch9wavefront6targetE1EEEvT1_
		.amdhsa_group_segment_fixed_size 0
		.amdhsa_private_segment_fixed_size 0
		.amdhsa_kernarg_size 112
		.amdhsa_user_sgpr_count 6
		.amdhsa_user_sgpr_private_segment_buffer 1
		.amdhsa_user_sgpr_dispatch_ptr 0
		.amdhsa_user_sgpr_queue_ptr 0
		.amdhsa_user_sgpr_kernarg_segment_ptr 1
		.amdhsa_user_sgpr_dispatch_id 0
		.amdhsa_user_sgpr_flat_scratch_init 0
		.amdhsa_user_sgpr_kernarg_preload_length 0
		.amdhsa_user_sgpr_kernarg_preload_offset 0
		.amdhsa_user_sgpr_private_segment_size 0
		.amdhsa_uses_dynamic_stack 0
		.amdhsa_system_sgpr_private_segment_wavefront_offset 0
		.amdhsa_system_sgpr_workgroup_id_x 1
		.amdhsa_system_sgpr_workgroup_id_y 0
		.amdhsa_system_sgpr_workgroup_id_z 0
		.amdhsa_system_sgpr_workgroup_info 0
		.amdhsa_system_vgpr_workitem_id 0
		.amdhsa_next_free_vgpr 1
		.amdhsa_next_free_sgpr 0
		.amdhsa_accum_offset 4
		.amdhsa_reserve_vcc 0
		.amdhsa_reserve_flat_scratch 0
		.amdhsa_float_round_mode_32 0
		.amdhsa_float_round_mode_16_64 0
		.amdhsa_float_denorm_mode_32 3
		.amdhsa_float_denorm_mode_16_64 3
		.amdhsa_dx10_clamp 1
		.amdhsa_ieee_mode 1
		.amdhsa_fp16_overflow 0
		.amdhsa_tg_split 0
		.amdhsa_exception_fp_ieee_invalid_op 0
		.amdhsa_exception_fp_denorm_src 0
		.amdhsa_exception_fp_ieee_div_zero 0
		.amdhsa_exception_fp_ieee_overflow 0
		.amdhsa_exception_fp_ieee_underflow 0
		.amdhsa_exception_fp_ieee_inexact 0
		.amdhsa_exception_int_div_zero 0
	.end_amdhsa_kernel
	.section	.text._ZN7rocprim17ROCPRIM_400000_NS6detail17trampoline_kernelINS0_14default_configENS1_27scan_by_key_config_selectorIssEEZZNS1_16scan_by_key_implILNS1_25lookback_scan_determinismE0ELb1ES3_N6thrust23THRUST_200600_302600_NS6detail15normal_iteratorINS9_10device_ptrIsEEEESE_SE_sNS9_4plusIvEENS9_8equal_toIvEEsEE10hipError_tPvRmT2_T3_T4_T5_mT6_T7_P12ihipStream_tbENKUlT_T0_E_clISt17integral_constantIbLb0EESZ_EEDaSU_SV_EUlSU_E_NS1_11comp_targetILNS1_3genE10ELNS1_11target_archE1200ELNS1_3gpuE4ELNS1_3repE0EEENS1_30default_config_static_selectorELNS0_4arch9wavefront6targetE1EEEvT1_,"axG",@progbits,_ZN7rocprim17ROCPRIM_400000_NS6detail17trampoline_kernelINS0_14default_configENS1_27scan_by_key_config_selectorIssEEZZNS1_16scan_by_key_implILNS1_25lookback_scan_determinismE0ELb1ES3_N6thrust23THRUST_200600_302600_NS6detail15normal_iteratorINS9_10device_ptrIsEEEESE_SE_sNS9_4plusIvEENS9_8equal_toIvEEsEE10hipError_tPvRmT2_T3_T4_T5_mT6_T7_P12ihipStream_tbENKUlT_T0_E_clISt17integral_constantIbLb0EESZ_EEDaSU_SV_EUlSU_E_NS1_11comp_targetILNS1_3genE10ELNS1_11target_archE1200ELNS1_3gpuE4ELNS1_3repE0EEENS1_30default_config_static_selectorELNS0_4arch9wavefront6targetE1EEEvT1_,comdat
.Lfunc_end575:
	.size	_ZN7rocprim17ROCPRIM_400000_NS6detail17trampoline_kernelINS0_14default_configENS1_27scan_by_key_config_selectorIssEEZZNS1_16scan_by_key_implILNS1_25lookback_scan_determinismE0ELb1ES3_N6thrust23THRUST_200600_302600_NS6detail15normal_iteratorINS9_10device_ptrIsEEEESE_SE_sNS9_4plusIvEENS9_8equal_toIvEEsEE10hipError_tPvRmT2_T3_T4_T5_mT6_T7_P12ihipStream_tbENKUlT_T0_E_clISt17integral_constantIbLb0EESZ_EEDaSU_SV_EUlSU_E_NS1_11comp_targetILNS1_3genE10ELNS1_11target_archE1200ELNS1_3gpuE4ELNS1_3repE0EEENS1_30default_config_static_selectorELNS0_4arch9wavefront6targetE1EEEvT1_, .Lfunc_end575-_ZN7rocprim17ROCPRIM_400000_NS6detail17trampoline_kernelINS0_14default_configENS1_27scan_by_key_config_selectorIssEEZZNS1_16scan_by_key_implILNS1_25lookback_scan_determinismE0ELb1ES3_N6thrust23THRUST_200600_302600_NS6detail15normal_iteratorINS9_10device_ptrIsEEEESE_SE_sNS9_4plusIvEENS9_8equal_toIvEEsEE10hipError_tPvRmT2_T3_T4_T5_mT6_T7_P12ihipStream_tbENKUlT_T0_E_clISt17integral_constantIbLb0EESZ_EEDaSU_SV_EUlSU_E_NS1_11comp_targetILNS1_3genE10ELNS1_11target_archE1200ELNS1_3gpuE4ELNS1_3repE0EEENS1_30default_config_static_selectorELNS0_4arch9wavefront6targetE1EEEvT1_
                                        ; -- End function
	.section	.AMDGPU.csdata,"",@progbits
; Kernel info:
; codeLenInByte = 0
; NumSgprs: 4
; NumVgprs: 0
; NumAgprs: 0
; TotalNumVgprs: 0
; ScratchSize: 0
; MemoryBound: 0
; FloatMode: 240
; IeeeMode: 1
; LDSByteSize: 0 bytes/workgroup (compile time only)
; SGPRBlocks: 0
; VGPRBlocks: 0
; NumSGPRsForWavesPerEU: 4
; NumVGPRsForWavesPerEU: 1
; AccumOffset: 4
; Occupancy: 8
; WaveLimiterHint : 0
; COMPUTE_PGM_RSRC2:SCRATCH_EN: 0
; COMPUTE_PGM_RSRC2:USER_SGPR: 6
; COMPUTE_PGM_RSRC2:TRAP_HANDLER: 0
; COMPUTE_PGM_RSRC2:TGID_X_EN: 1
; COMPUTE_PGM_RSRC2:TGID_Y_EN: 0
; COMPUTE_PGM_RSRC2:TGID_Z_EN: 0
; COMPUTE_PGM_RSRC2:TIDIG_COMP_CNT: 0
; COMPUTE_PGM_RSRC3_GFX90A:ACCUM_OFFSET: 0
; COMPUTE_PGM_RSRC3_GFX90A:TG_SPLIT: 0
	.section	.text._ZN7rocprim17ROCPRIM_400000_NS6detail17trampoline_kernelINS0_14default_configENS1_27scan_by_key_config_selectorIssEEZZNS1_16scan_by_key_implILNS1_25lookback_scan_determinismE0ELb1ES3_N6thrust23THRUST_200600_302600_NS6detail15normal_iteratorINS9_10device_ptrIsEEEESE_SE_sNS9_4plusIvEENS9_8equal_toIvEEsEE10hipError_tPvRmT2_T3_T4_T5_mT6_T7_P12ihipStream_tbENKUlT_T0_E_clISt17integral_constantIbLb0EESZ_EEDaSU_SV_EUlSU_E_NS1_11comp_targetILNS1_3genE9ELNS1_11target_archE1100ELNS1_3gpuE3ELNS1_3repE0EEENS1_30default_config_static_selectorELNS0_4arch9wavefront6targetE1EEEvT1_,"axG",@progbits,_ZN7rocprim17ROCPRIM_400000_NS6detail17trampoline_kernelINS0_14default_configENS1_27scan_by_key_config_selectorIssEEZZNS1_16scan_by_key_implILNS1_25lookback_scan_determinismE0ELb1ES3_N6thrust23THRUST_200600_302600_NS6detail15normal_iteratorINS9_10device_ptrIsEEEESE_SE_sNS9_4plusIvEENS9_8equal_toIvEEsEE10hipError_tPvRmT2_T3_T4_T5_mT6_T7_P12ihipStream_tbENKUlT_T0_E_clISt17integral_constantIbLb0EESZ_EEDaSU_SV_EUlSU_E_NS1_11comp_targetILNS1_3genE9ELNS1_11target_archE1100ELNS1_3gpuE3ELNS1_3repE0EEENS1_30default_config_static_selectorELNS0_4arch9wavefront6targetE1EEEvT1_,comdat
	.protected	_ZN7rocprim17ROCPRIM_400000_NS6detail17trampoline_kernelINS0_14default_configENS1_27scan_by_key_config_selectorIssEEZZNS1_16scan_by_key_implILNS1_25lookback_scan_determinismE0ELb1ES3_N6thrust23THRUST_200600_302600_NS6detail15normal_iteratorINS9_10device_ptrIsEEEESE_SE_sNS9_4plusIvEENS9_8equal_toIvEEsEE10hipError_tPvRmT2_T3_T4_T5_mT6_T7_P12ihipStream_tbENKUlT_T0_E_clISt17integral_constantIbLb0EESZ_EEDaSU_SV_EUlSU_E_NS1_11comp_targetILNS1_3genE9ELNS1_11target_archE1100ELNS1_3gpuE3ELNS1_3repE0EEENS1_30default_config_static_selectorELNS0_4arch9wavefront6targetE1EEEvT1_ ; -- Begin function _ZN7rocprim17ROCPRIM_400000_NS6detail17trampoline_kernelINS0_14default_configENS1_27scan_by_key_config_selectorIssEEZZNS1_16scan_by_key_implILNS1_25lookback_scan_determinismE0ELb1ES3_N6thrust23THRUST_200600_302600_NS6detail15normal_iteratorINS9_10device_ptrIsEEEESE_SE_sNS9_4plusIvEENS9_8equal_toIvEEsEE10hipError_tPvRmT2_T3_T4_T5_mT6_T7_P12ihipStream_tbENKUlT_T0_E_clISt17integral_constantIbLb0EESZ_EEDaSU_SV_EUlSU_E_NS1_11comp_targetILNS1_3genE9ELNS1_11target_archE1100ELNS1_3gpuE3ELNS1_3repE0EEENS1_30default_config_static_selectorELNS0_4arch9wavefront6targetE1EEEvT1_
	.globl	_ZN7rocprim17ROCPRIM_400000_NS6detail17trampoline_kernelINS0_14default_configENS1_27scan_by_key_config_selectorIssEEZZNS1_16scan_by_key_implILNS1_25lookback_scan_determinismE0ELb1ES3_N6thrust23THRUST_200600_302600_NS6detail15normal_iteratorINS9_10device_ptrIsEEEESE_SE_sNS9_4plusIvEENS9_8equal_toIvEEsEE10hipError_tPvRmT2_T3_T4_T5_mT6_T7_P12ihipStream_tbENKUlT_T0_E_clISt17integral_constantIbLb0EESZ_EEDaSU_SV_EUlSU_E_NS1_11comp_targetILNS1_3genE9ELNS1_11target_archE1100ELNS1_3gpuE3ELNS1_3repE0EEENS1_30default_config_static_selectorELNS0_4arch9wavefront6targetE1EEEvT1_
	.p2align	8
	.type	_ZN7rocprim17ROCPRIM_400000_NS6detail17trampoline_kernelINS0_14default_configENS1_27scan_by_key_config_selectorIssEEZZNS1_16scan_by_key_implILNS1_25lookback_scan_determinismE0ELb1ES3_N6thrust23THRUST_200600_302600_NS6detail15normal_iteratorINS9_10device_ptrIsEEEESE_SE_sNS9_4plusIvEENS9_8equal_toIvEEsEE10hipError_tPvRmT2_T3_T4_T5_mT6_T7_P12ihipStream_tbENKUlT_T0_E_clISt17integral_constantIbLb0EESZ_EEDaSU_SV_EUlSU_E_NS1_11comp_targetILNS1_3genE9ELNS1_11target_archE1100ELNS1_3gpuE3ELNS1_3repE0EEENS1_30default_config_static_selectorELNS0_4arch9wavefront6targetE1EEEvT1_,@function
_ZN7rocprim17ROCPRIM_400000_NS6detail17trampoline_kernelINS0_14default_configENS1_27scan_by_key_config_selectorIssEEZZNS1_16scan_by_key_implILNS1_25lookback_scan_determinismE0ELb1ES3_N6thrust23THRUST_200600_302600_NS6detail15normal_iteratorINS9_10device_ptrIsEEEESE_SE_sNS9_4plusIvEENS9_8equal_toIvEEsEE10hipError_tPvRmT2_T3_T4_T5_mT6_T7_P12ihipStream_tbENKUlT_T0_E_clISt17integral_constantIbLb0EESZ_EEDaSU_SV_EUlSU_E_NS1_11comp_targetILNS1_3genE9ELNS1_11target_archE1100ELNS1_3gpuE3ELNS1_3repE0EEENS1_30default_config_static_selectorELNS0_4arch9wavefront6targetE1EEEvT1_: ; @_ZN7rocprim17ROCPRIM_400000_NS6detail17trampoline_kernelINS0_14default_configENS1_27scan_by_key_config_selectorIssEEZZNS1_16scan_by_key_implILNS1_25lookback_scan_determinismE0ELb1ES3_N6thrust23THRUST_200600_302600_NS6detail15normal_iteratorINS9_10device_ptrIsEEEESE_SE_sNS9_4plusIvEENS9_8equal_toIvEEsEE10hipError_tPvRmT2_T3_T4_T5_mT6_T7_P12ihipStream_tbENKUlT_T0_E_clISt17integral_constantIbLb0EESZ_EEDaSU_SV_EUlSU_E_NS1_11comp_targetILNS1_3genE9ELNS1_11target_archE1100ELNS1_3gpuE3ELNS1_3repE0EEENS1_30default_config_static_selectorELNS0_4arch9wavefront6targetE1EEEvT1_
; %bb.0:
	.section	.rodata,"a",@progbits
	.p2align	6, 0x0
	.amdhsa_kernel _ZN7rocprim17ROCPRIM_400000_NS6detail17trampoline_kernelINS0_14default_configENS1_27scan_by_key_config_selectorIssEEZZNS1_16scan_by_key_implILNS1_25lookback_scan_determinismE0ELb1ES3_N6thrust23THRUST_200600_302600_NS6detail15normal_iteratorINS9_10device_ptrIsEEEESE_SE_sNS9_4plusIvEENS9_8equal_toIvEEsEE10hipError_tPvRmT2_T3_T4_T5_mT6_T7_P12ihipStream_tbENKUlT_T0_E_clISt17integral_constantIbLb0EESZ_EEDaSU_SV_EUlSU_E_NS1_11comp_targetILNS1_3genE9ELNS1_11target_archE1100ELNS1_3gpuE3ELNS1_3repE0EEENS1_30default_config_static_selectorELNS0_4arch9wavefront6targetE1EEEvT1_
		.amdhsa_group_segment_fixed_size 0
		.amdhsa_private_segment_fixed_size 0
		.amdhsa_kernarg_size 112
		.amdhsa_user_sgpr_count 6
		.amdhsa_user_sgpr_private_segment_buffer 1
		.amdhsa_user_sgpr_dispatch_ptr 0
		.amdhsa_user_sgpr_queue_ptr 0
		.amdhsa_user_sgpr_kernarg_segment_ptr 1
		.amdhsa_user_sgpr_dispatch_id 0
		.amdhsa_user_sgpr_flat_scratch_init 0
		.amdhsa_user_sgpr_kernarg_preload_length 0
		.amdhsa_user_sgpr_kernarg_preload_offset 0
		.amdhsa_user_sgpr_private_segment_size 0
		.amdhsa_uses_dynamic_stack 0
		.amdhsa_system_sgpr_private_segment_wavefront_offset 0
		.amdhsa_system_sgpr_workgroup_id_x 1
		.amdhsa_system_sgpr_workgroup_id_y 0
		.amdhsa_system_sgpr_workgroup_id_z 0
		.amdhsa_system_sgpr_workgroup_info 0
		.amdhsa_system_vgpr_workitem_id 0
		.amdhsa_next_free_vgpr 1
		.amdhsa_next_free_sgpr 0
		.amdhsa_accum_offset 4
		.amdhsa_reserve_vcc 0
		.amdhsa_reserve_flat_scratch 0
		.amdhsa_float_round_mode_32 0
		.amdhsa_float_round_mode_16_64 0
		.amdhsa_float_denorm_mode_32 3
		.amdhsa_float_denorm_mode_16_64 3
		.amdhsa_dx10_clamp 1
		.amdhsa_ieee_mode 1
		.amdhsa_fp16_overflow 0
		.amdhsa_tg_split 0
		.amdhsa_exception_fp_ieee_invalid_op 0
		.amdhsa_exception_fp_denorm_src 0
		.amdhsa_exception_fp_ieee_div_zero 0
		.amdhsa_exception_fp_ieee_overflow 0
		.amdhsa_exception_fp_ieee_underflow 0
		.amdhsa_exception_fp_ieee_inexact 0
		.amdhsa_exception_int_div_zero 0
	.end_amdhsa_kernel
	.section	.text._ZN7rocprim17ROCPRIM_400000_NS6detail17trampoline_kernelINS0_14default_configENS1_27scan_by_key_config_selectorIssEEZZNS1_16scan_by_key_implILNS1_25lookback_scan_determinismE0ELb1ES3_N6thrust23THRUST_200600_302600_NS6detail15normal_iteratorINS9_10device_ptrIsEEEESE_SE_sNS9_4plusIvEENS9_8equal_toIvEEsEE10hipError_tPvRmT2_T3_T4_T5_mT6_T7_P12ihipStream_tbENKUlT_T0_E_clISt17integral_constantIbLb0EESZ_EEDaSU_SV_EUlSU_E_NS1_11comp_targetILNS1_3genE9ELNS1_11target_archE1100ELNS1_3gpuE3ELNS1_3repE0EEENS1_30default_config_static_selectorELNS0_4arch9wavefront6targetE1EEEvT1_,"axG",@progbits,_ZN7rocprim17ROCPRIM_400000_NS6detail17trampoline_kernelINS0_14default_configENS1_27scan_by_key_config_selectorIssEEZZNS1_16scan_by_key_implILNS1_25lookback_scan_determinismE0ELb1ES3_N6thrust23THRUST_200600_302600_NS6detail15normal_iteratorINS9_10device_ptrIsEEEESE_SE_sNS9_4plusIvEENS9_8equal_toIvEEsEE10hipError_tPvRmT2_T3_T4_T5_mT6_T7_P12ihipStream_tbENKUlT_T0_E_clISt17integral_constantIbLb0EESZ_EEDaSU_SV_EUlSU_E_NS1_11comp_targetILNS1_3genE9ELNS1_11target_archE1100ELNS1_3gpuE3ELNS1_3repE0EEENS1_30default_config_static_selectorELNS0_4arch9wavefront6targetE1EEEvT1_,comdat
.Lfunc_end576:
	.size	_ZN7rocprim17ROCPRIM_400000_NS6detail17trampoline_kernelINS0_14default_configENS1_27scan_by_key_config_selectorIssEEZZNS1_16scan_by_key_implILNS1_25lookback_scan_determinismE0ELb1ES3_N6thrust23THRUST_200600_302600_NS6detail15normal_iteratorINS9_10device_ptrIsEEEESE_SE_sNS9_4plusIvEENS9_8equal_toIvEEsEE10hipError_tPvRmT2_T3_T4_T5_mT6_T7_P12ihipStream_tbENKUlT_T0_E_clISt17integral_constantIbLb0EESZ_EEDaSU_SV_EUlSU_E_NS1_11comp_targetILNS1_3genE9ELNS1_11target_archE1100ELNS1_3gpuE3ELNS1_3repE0EEENS1_30default_config_static_selectorELNS0_4arch9wavefront6targetE1EEEvT1_, .Lfunc_end576-_ZN7rocprim17ROCPRIM_400000_NS6detail17trampoline_kernelINS0_14default_configENS1_27scan_by_key_config_selectorIssEEZZNS1_16scan_by_key_implILNS1_25lookback_scan_determinismE0ELb1ES3_N6thrust23THRUST_200600_302600_NS6detail15normal_iteratorINS9_10device_ptrIsEEEESE_SE_sNS9_4plusIvEENS9_8equal_toIvEEsEE10hipError_tPvRmT2_T3_T4_T5_mT6_T7_P12ihipStream_tbENKUlT_T0_E_clISt17integral_constantIbLb0EESZ_EEDaSU_SV_EUlSU_E_NS1_11comp_targetILNS1_3genE9ELNS1_11target_archE1100ELNS1_3gpuE3ELNS1_3repE0EEENS1_30default_config_static_selectorELNS0_4arch9wavefront6targetE1EEEvT1_
                                        ; -- End function
	.section	.AMDGPU.csdata,"",@progbits
; Kernel info:
; codeLenInByte = 0
; NumSgprs: 4
; NumVgprs: 0
; NumAgprs: 0
; TotalNumVgprs: 0
; ScratchSize: 0
; MemoryBound: 0
; FloatMode: 240
; IeeeMode: 1
; LDSByteSize: 0 bytes/workgroup (compile time only)
; SGPRBlocks: 0
; VGPRBlocks: 0
; NumSGPRsForWavesPerEU: 4
; NumVGPRsForWavesPerEU: 1
; AccumOffset: 4
; Occupancy: 8
; WaveLimiterHint : 0
; COMPUTE_PGM_RSRC2:SCRATCH_EN: 0
; COMPUTE_PGM_RSRC2:USER_SGPR: 6
; COMPUTE_PGM_RSRC2:TRAP_HANDLER: 0
; COMPUTE_PGM_RSRC2:TGID_X_EN: 1
; COMPUTE_PGM_RSRC2:TGID_Y_EN: 0
; COMPUTE_PGM_RSRC2:TGID_Z_EN: 0
; COMPUTE_PGM_RSRC2:TIDIG_COMP_CNT: 0
; COMPUTE_PGM_RSRC3_GFX90A:ACCUM_OFFSET: 0
; COMPUTE_PGM_RSRC3_GFX90A:TG_SPLIT: 0
	.section	.text._ZN7rocprim17ROCPRIM_400000_NS6detail17trampoline_kernelINS0_14default_configENS1_27scan_by_key_config_selectorIssEEZZNS1_16scan_by_key_implILNS1_25lookback_scan_determinismE0ELb1ES3_N6thrust23THRUST_200600_302600_NS6detail15normal_iteratorINS9_10device_ptrIsEEEESE_SE_sNS9_4plusIvEENS9_8equal_toIvEEsEE10hipError_tPvRmT2_T3_T4_T5_mT6_T7_P12ihipStream_tbENKUlT_T0_E_clISt17integral_constantIbLb0EESZ_EEDaSU_SV_EUlSU_E_NS1_11comp_targetILNS1_3genE8ELNS1_11target_archE1030ELNS1_3gpuE2ELNS1_3repE0EEENS1_30default_config_static_selectorELNS0_4arch9wavefront6targetE1EEEvT1_,"axG",@progbits,_ZN7rocprim17ROCPRIM_400000_NS6detail17trampoline_kernelINS0_14default_configENS1_27scan_by_key_config_selectorIssEEZZNS1_16scan_by_key_implILNS1_25lookback_scan_determinismE0ELb1ES3_N6thrust23THRUST_200600_302600_NS6detail15normal_iteratorINS9_10device_ptrIsEEEESE_SE_sNS9_4plusIvEENS9_8equal_toIvEEsEE10hipError_tPvRmT2_T3_T4_T5_mT6_T7_P12ihipStream_tbENKUlT_T0_E_clISt17integral_constantIbLb0EESZ_EEDaSU_SV_EUlSU_E_NS1_11comp_targetILNS1_3genE8ELNS1_11target_archE1030ELNS1_3gpuE2ELNS1_3repE0EEENS1_30default_config_static_selectorELNS0_4arch9wavefront6targetE1EEEvT1_,comdat
	.protected	_ZN7rocprim17ROCPRIM_400000_NS6detail17trampoline_kernelINS0_14default_configENS1_27scan_by_key_config_selectorIssEEZZNS1_16scan_by_key_implILNS1_25lookback_scan_determinismE0ELb1ES3_N6thrust23THRUST_200600_302600_NS6detail15normal_iteratorINS9_10device_ptrIsEEEESE_SE_sNS9_4plusIvEENS9_8equal_toIvEEsEE10hipError_tPvRmT2_T3_T4_T5_mT6_T7_P12ihipStream_tbENKUlT_T0_E_clISt17integral_constantIbLb0EESZ_EEDaSU_SV_EUlSU_E_NS1_11comp_targetILNS1_3genE8ELNS1_11target_archE1030ELNS1_3gpuE2ELNS1_3repE0EEENS1_30default_config_static_selectorELNS0_4arch9wavefront6targetE1EEEvT1_ ; -- Begin function _ZN7rocprim17ROCPRIM_400000_NS6detail17trampoline_kernelINS0_14default_configENS1_27scan_by_key_config_selectorIssEEZZNS1_16scan_by_key_implILNS1_25lookback_scan_determinismE0ELb1ES3_N6thrust23THRUST_200600_302600_NS6detail15normal_iteratorINS9_10device_ptrIsEEEESE_SE_sNS9_4plusIvEENS9_8equal_toIvEEsEE10hipError_tPvRmT2_T3_T4_T5_mT6_T7_P12ihipStream_tbENKUlT_T0_E_clISt17integral_constantIbLb0EESZ_EEDaSU_SV_EUlSU_E_NS1_11comp_targetILNS1_3genE8ELNS1_11target_archE1030ELNS1_3gpuE2ELNS1_3repE0EEENS1_30default_config_static_selectorELNS0_4arch9wavefront6targetE1EEEvT1_
	.globl	_ZN7rocprim17ROCPRIM_400000_NS6detail17trampoline_kernelINS0_14default_configENS1_27scan_by_key_config_selectorIssEEZZNS1_16scan_by_key_implILNS1_25lookback_scan_determinismE0ELb1ES3_N6thrust23THRUST_200600_302600_NS6detail15normal_iteratorINS9_10device_ptrIsEEEESE_SE_sNS9_4plusIvEENS9_8equal_toIvEEsEE10hipError_tPvRmT2_T3_T4_T5_mT6_T7_P12ihipStream_tbENKUlT_T0_E_clISt17integral_constantIbLb0EESZ_EEDaSU_SV_EUlSU_E_NS1_11comp_targetILNS1_3genE8ELNS1_11target_archE1030ELNS1_3gpuE2ELNS1_3repE0EEENS1_30default_config_static_selectorELNS0_4arch9wavefront6targetE1EEEvT1_
	.p2align	8
	.type	_ZN7rocprim17ROCPRIM_400000_NS6detail17trampoline_kernelINS0_14default_configENS1_27scan_by_key_config_selectorIssEEZZNS1_16scan_by_key_implILNS1_25lookback_scan_determinismE0ELb1ES3_N6thrust23THRUST_200600_302600_NS6detail15normal_iteratorINS9_10device_ptrIsEEEESE_SE_sNS9_4plusIvEENS9_8equal_toIvEEsEE10hipError_tPvRmT2_T3_T4_T5_mT6_T7_P12ihipStream_tbENKUlT_T0_E_clISt17integral_constantIbLb0EESZ_EEDaSU_SV_EUlSU_E_NS1_11comp_targetILNS1_3genE8ELNS1_11target_archE1030ELNS1_3gpuE2ELNS1_3repE0EEENS1_30default_config_static_selectorELNS0_4arch9wavefront6targetE1EEEvT1_,@function
_ZN7rocprim17ROCPRIM_400000_NS6detail17trampoline_kernelINS0_14default_configENS1_27scan_by_key_config_selectorIssEEZZNS1_16scan_by_key_implILNS1_25lookback_scan_determinismE0ELb1ES3_N6thrust23THRUST_200600_302600_NS6detail15normal_iteratorINS9_10device_ptrIsEEEESE_SE_sNS9_4plusIvEENS9_8equal_toIvEEsEE10hipError_tPvRmT2_T3_T4_T5_mT6_T7_P12ihipStream_tbENKUlT_T0_E_clISt17integral_constantIbLb0EESZ_EEDaSU_SV_EUlSU_E_NS1_11comp_targetILNS1_3genE8ELNS1_11target_archE1030ELNS1_3gpuE2ELNS1_3repE0EEENS1_30default_config_static_selectorELNS0_4arch9wavefront6targetE1EEEvT1_: ; @_ZN7rocprim17ROCPRIM_400000_NS6detail17trampoline_kernelINS0_14default_configENS1_27scan_by_key_config_selectorIssEEZZNS1_16scan_by_key_implILNS1_25lookback_scan_determinismE0ELb1ES3_N6thrust23THRUST_200600_302600_NS6detail15normal_iteratorINS9_10device_ptrIsEEEESE_SE_sNS9_4plusIvEENS9_8equal_toIvEEsEE10hipError_tPvRmT2_T3_T4_T5_mT6_T7_P12ihipStream_tbENKUlT_T0_E_clISt17integral_constantIbLb0EESZ_EEDaSU_SV_EUlSU_E_NS1_11comp_targetILNS1_3genE8ELNS1_11target_archE1030ELNS1_3gpuE2ELNS1_3repE0EEENS1_30default_config_static_selectorELNS0_4arch9wavefront6targetE1EEEvT1_
; %bb.0:
	.section	.rodata,"a",@progbits
	.p2align	6, 0x0
	.amdhsa_kernel _ZN7rocprim17ROCPRIM_400000_NS6detail17trampoline_kernelINS0_14default_configENS1_27scan_by_key_config_selectorIssEEZZNS1_16scan_by_key_implILNS1_25lookback_scan_determinismE0ELb1ES3_N6thrust23THRUST_200600_302600_NS6detail15normal_iteratorINS9_10device_ptrIsEEEESE_SE_sNS9_4plusIvEENS9_8equal_toIvEEsEE10hipError_tPvRmT2_T3_T4_T5_mT6_T7_P12ihipStream_tbENKUlT_T0_E_clISt17integral_constantIbLb0EESZ_EEDaSU_SV_EUlSU_E_NS1_11comp_targetILNS1_3genE8ELNS1_11target_archE1030ELNS1_3gpuE2ELNS1_3repE0EEENS1_30default_config_static_selectorELNS0_4arch9wavefront6targetE1EEEvT1_
		.amdhsa_group_segment_fixed_size 0
		.amdhsa_private_segment_fixed_size 0
		.amdhsa_kernarg_size 112
		.amdhsa_user_sgpr_count 6
		.amdhsa_user_sgpr_private_segment_buffer 1
		.amdhsa_user_sgpr_dispatch_ptr 0
		.amdhsa_user_sgpr_queue_ptr 0
		.amdhsa_user_sgpr_kernarg_segment_ptr 1
		.amdhsa_user_sgpr_dispatch_id 0
		.amdhsa_user_sgpr_flat_scratch_init 0
		.amdhsa_user_sgpr_kernarg_preload_length 0
		.amdhsa_user_sgpr_kernarg_preload_offset 0
		.amdhsa_user_sgpr_private_segment_size 0
		.amdhsa_uses_dynamic_stack 0
		.amdhsa_system_sgpr_private_segment_wavefront_offset 0
		.amdhsa_system_sgpr_workgroup_id_x 1
		.amdhsa_system_sgpr_workgroup_id_y 0
		.amdhsa_system_sgpr_workgroup_id_z 0
		.amdhsa_system_sgpr_workgroup_info 0
		.amdhsa_system_vgpr_workitem_id 0
		.amdhsa_next_free_vgpr 1
		.amdhsa_next_free_sgpr 0
		.amdhsa_accum_offset 4
		.amdhsa_reserve_vcc 0
		.amdhsa_reserve_flat_scratch 0
		.amdhsa_float_round_mode_32 0
		.amdhsa_float_round_mode_16_64 0
		.amdhsa_float_denorm_mode_32 3
		.amdhsa_float_denorm_mode_16_64 3
		.amdhsa_dx10_clamp 1
		.amdhsa_ieee_mode 1
		.amdhsa_fp16_overflow 0
		.amdhsa_tg_split 0
		.amdhsa_exception_fp_ieee_invalid_op 0
		.amdhsa_exception_fp_denorm_src 0
		.amdhsa_exception_fp_ieee_div_zero 0
		.amdhsa_exception_fp_ieee_overflow 0
		.amdhsa_exception_fp_ieee_underflow 0
		.amdhsa_exception_fp_ieee_inexact 0
		.amdhsa_exception_int_div_zero 0
	.end_amdhsa_kernel
	.section	.text._ZN7rocprim17ROCPRIM_400000_NS6detail17trampoline_kernelINS0_14default_configENS1_27scan_by_key_config_selectorIssEEZZNS1_16scan_by_key_implILNS1_25lookback_scan_determinismE0ELb1ES3_N6thrust23THRUST_200600_302600_NS6detail15normal_iteratorINS9_10device_ptrIsEEEESE_SE_sNS9_4plusIvEENS9_8equal_toIvEEsEE10hipError_tPvRmT2_T3_T4_T5_mT6_T7_P12ihipStream_tbENKUlT_T0_E_clISt17integral_constantIbLb0EESZ_EEDaSU_SV_EUlSU_E_NS1_11comp_targetILNS1_3genE8ELNS1_11target_archE1030ELNS1_3gpuE2ELNS1_3repE0EEENS1_30default_config_static_selectorELNS0_4arch9wavefront6targetE1EEEvT1_,"axG",@progbits,_ZN7rocprim17ROCPRIM_400000_NS6detail17trampoline_kernelINS0_14default_configENS1_27scan_by_key_config_selectorIssEEZZNS1_16scan_by_key_implILNS1_25lookback_scan_determinismE0ELb1ES3_N6thrust23THRUST_200600_302600_NS6detail15normal_iteratorINS9_10device_ptrIsEEEESE_SE_sNS9_4plusIvEENS9_8equal_toIvEEsEE10hipError_tPvRmT2_T3_T4_T5_mT6_T7_P12ihipStream_tbENKUlT_T0_E_clISt17integral_constantIbLb0EESZ_EEDaSU_SV_EUlSU_E_NS1_11comp_targetILNS1_3genE8ELNS1_11target_archE1030ELNS1_3gpuE2ELNS1_3repE0EEENS1_30default_config_static_selectorELNS0_4arch9wavefront6targetE1EEEvT1_,comdat
.Lfunc_end577:
	.size	_ZN7rocprim17ROCPRIM_400000_NS6detail17trampoline_kernelINS0_14default_configENS1_27scan_by_key_config_selectorIssEEZZNS1_16scan_by_key_implILNS1_25lookback_scan_determinismE0ELb1ES3_N6thrust23THRUST_200600_302600_NS6detail15normal_iteratorINS9_10device_ptrIsEEEESE_SE_sNS9_4plusIvEENS9_8equal_toIvEEsEE10hipError_tPvRmT2_T3_T4_T5_mT6_T7_P12ihipStream_tbENKUlT_T0_E_clISt17integral_constantIbLb0EESZ_EEDaSU_SV_EUlSU_E_NS1_11comp_targetILNS1_3genE8ELNS1_11target_archE1030ELNS1_3gpuE2ELNS1_3repE0EEENS1_30default_config_static_selectorELNS0_4arch9wavefront6targetE1EEEvT1_, .Lfunc_end577-_ZN7rocprim17ROCPRIM_400000_NS6detail17trampoline_kernelINS0_14default_configENS1_27scan_by_key_config_selectorIssEEZZNS1_16scan_by_key_implILNS1_25lookback_scan_determinismE0ELb1ES3_N6thrust23THRUST_200600_302600_NS6detail15normal_iteratorINS9_10device_ptrIsEEEESE_SE_sNS9_4plusIvEENS9_8equal_toIvEEsEE10hipError_tPvRmT2_T3_T4_T5_mT6_T7_P12ihipStream_tbENKUlT_T0_E_clISt17integral_constantIbLb0EESZ_EEDaSU_SV_EUlSU_E_NS1_11comp_targetILNS1_3genE8ELNS1_11target_archE1030ELNS1_3gpuE2ELNS1_3repE0EEENS1_30default_config_static_selectorELNS0_4arch9wavefront6targetE1EEEvT1_
                                        ; -- End function
	.section	.AMDGPU.csdata,"",@progbits
; Kernel info:
; codeLenInByte = 0
; NumSgprs: 4
; NumVgprs: 0
; NumAgprs: 0
; TotalNumVgprs: 0
; ScratchSize: 0
; MemoryBound: 0
; FloatMode: 240
; IeeeMode: 1
; LDSByteSize: 0 bytes/workgroup (compile time only)
; SGPRBlocks: 0
; VGPRBlocks: 0
; NumSGPRsForWavesPerEU: 4
; NumVGPRsForWavesPerEU: 1
; AccumOffset: 4
; Occupancy: 8
; WaveLimiterHint : 0
; COMPUTE_PGM_RSRC2:SCRATCH_EN: 0
; COMPUTE_PGM_RSRC2:USER_SGPR: 6
; COMPUTE_PGM_RSRC2:TRAP_HANDLER: 0
; COMPUTE_PGM_RSRC2:TGID_X_EN: 1
; COMPUTE_PGM_RSRC2:TGID_Y_EN: 0
; COMPUTE_PGM_RSRC2:TGID_Z_EN: 0
; COMPUTE_PGM_RSRC2:TIDIG_COMP_CNT: 0
; COMPUTE_PGM_RSRC3_GFX90A:ACCUM_OFFSET: 0
; COMPUTE_PGM_RSRC3_GFX90A:TG_SPLIT: 0
	.section	.text._ZN7rocprim17ROCPRIM_400000_NS6detail17trampoline_kernelINS0_14default_configENS1_27scan_by_key_config_selectorIssEEZZNS1_16scan_by_key_implILNS1_25lookback_scan_determinismE0ELb1ES3_N6thrust23THRUST_200600_302600_NS6detail15normal_iteratorINS9_10device_ptrIsEEEESE_SE_sNS9_4plusIvEENS9_8equal_toIvEEsEE10hipError_tPvRmT2_T3_T4_T5_mT6_T7_P12ihipStream_tbENKUlT_T0_E_clISt17integral_constantIbLb1EESZ_EEDaSU_SV_EUlSU_E_NS1_11comp_targetILNS1_3genE0ELNS1_11target_archE4294967295ELNS1_3gpuE0ELNS1_3repE0EEENS1_30default_config_static_selectorELNS0_4arch9wavefront6targetE1EEEvT1_,"axG",@progbits,_ZN7rocprim17ROCPRIM_400000_NS6detail17trampoline_kernelINS0_14default_configENS1_27scan_by_key_config_selectorIssEEZZNS1_16scan_by_key_implILNS1_25lookback_scan_determinismE0ELb1ES3_N6thrust23THRUST_200600_302600_NS6detail15normal_iteratorINS9_10device_ptrIsEEEESE_SE_sNS9_4plusIvEENS9_8equal_toIvEEsEE10hipError_tPvRmT2_T3_T4_T5_mT6_T7_P12ihipStream_tbENKUlT_T0_E_clISt17integral_constantIbLb1EESZ_EEDaSU_SV_EUlSU_E_NS1_11comp_targetILNS1_3genE0ELNS1_11target_archE4294967295ELNS1_3gpuE0ELNS1_3repE0EEENS1_30default_config_static_selectorELNS0_4arch9wavefront6targetE1EEEvT1_,comdat
	.protected	_ZN7rocprim17ROCPRIM_400000_NS6detail17trampoline_kernelINS0_14default_configENS1_27scan_by_key_config_selectorIssEEZZNS1_16scan_by_key_implILNS1_25lookback_scan_determinismE0ELb1ES3_N6thrust23THRUST_200600_302600_NS6detail15normal_iteratorINS9_10device_ptrIsEEEESE_SE_sNS9_4plusIvEENS9_8equal_toIvEEsEE10hipError_tPvRmT2_T3_T4_T5_mT6_T7_P12ihipStream_tbENKUlT_T0_E_clISt17integral_constantIbLb1EESZ_EEDaSU_SV_EUlSU_E_NS1_11comp_targetILNS1_3genE0ELNS1_11target_archE4294967295ELNS1_3gpuE0ELNS1_3repE0EEENS1_30default_config_static_selectorELNS0_4arch9wavefront6targetE1EEEvT1_ ; -- Begin function _ZN7rocprim17ROCPRIM_400000_NS6detail17trampoline_kernelINS0_14default_configENS1_27scan_by_key_config_selectorIssEEZZNS1_16scan_by_key_implILNS1_25lookback_scan_determinismE0ELb1ES3_N6thrust23THRUST_200600_302600_NS6detail15normal_iteratorINS9_10device_ptrIsEEEESE_SE_sNS9_4plusIvEENS9_8equal_toIvEEsEE10hipError_tPvRmT2_T3_T4_T5_mT6_T7_P12ihipStream_tbENKUlT_T0_E_clISt17integral_constantIbLb1EESZ_EEDaSU_SV_EUlSU_E_NS1_11comp_targetILNS1_3genE0ELNS1_11target_archE4294967295ELNS1_3gpuE0ELNS1_3repE0EEENS1_30default_config_static_selectorELNS0_4arch9wavefront6targetE1EEEvT1_
	.globl	_ZN7rocprim17ROCPRIM_400000_NS6detail17trampoline_kernelINS0_14default_configENS1_27scan_by_key_config_selectorIssEEZZNS1_16scan_by_key_implILNS1_25lookback_scan_determinismE0ELb1ES3_N6thrust23THRUST_200600_302600_NS6detail15normal_iteratorINS9_10device_ptrIsEEEESE_SE_sNS9_4plusIvEENS9_8equal_toIvEEsEE10hipError_tPvRmT2_T3_T4_T5_mT6_T7_P12ihipStream_tbENKUlT_T0_E_clISt17integral_constantIbLb1EESZ_EEDaSU_SV_EUlSU_E_NS1_11comp_targetILNS1_3genE0ELNS1_11target_archE4294967295ELNS1_3gpuE0ELNS1_3repE0EEENS1_30default_config_static_selectorELNS0_4arch9wavefront6targetE1EEEvT1_
	.p2align	8
	.type	_ZN7rocprim17ROCPRIM_400000_NS6detail17trampoline_kernelINS0_14default_configENS1_27scan_by_key_config_selectorIssEEZZNS1_16scan_by_key_implILNS1_25lookback_scan_determinismE0ELb1ES3_N6thrust23THRUST_200600_302600_NS6detail15normal_iteratorINS9_10device_ptrIsEEEESE_SE_sNS9_4plusIvEENS9_8equal_toIvEEsEE10hipError_tPvRmT2_T3_T4_T5_mT6_T7_P12ihipStream_tbENKUlT_T0_E_clISt17integral_constantIbLb1EESZ_EEDaSU_SV_EUlSU_E_NS1_11comp_targetILNS1_3genE0ELNS1_11target_archE4294967295ELNS1_3gpuE0ELNS1_3repE0EEENS1_30default_config_static_selectorELNS0_4arch9wavefront6targetE1EEEvT1_,@function
_ZN7rocprim17ROCPRIM_400000_NS6detail17trampoline_kernelINS0_14default_configENS1_27scan_by_key_config_selectorIssEEZZNS1_16scan_by_key_implILNS1_25lookback_scan_determinismE0ELb1ES3_N6thrust23THRUST_200600_302600_NS6detail15normal_iteratorINS9_10device_ptrIsEEEESE_SE_sNS9_4plusIvEENS9_8equal_toIvEEsEE10hipError_tPvRmT2_T3_T4_T5_mT6_T7_P12ihipStream_tbENKUlT_T0_E_clISt17integral_constantIbLb1EESZ_EEDaSU_SV_EUlSU_E_NS1_11comp_targetILNS1_3genE0ELNS1_11target_archE4294967295ELNS1_3gpuE0ELNS1_3repE0EEENS1_30default_config_static_selectorELNS0_4arch9wavefront6targetE1EEEvT1_: ; @_ZN7rocprim17ROCPRIM_400000_NS6detail17trampoline_kernelINS0_14default_configENS1_27scan_by_key_config_selectorIssEEZZNS1_16scan_by_key_implILNS1_25lookback_scan_determinismE0ELb1ES3_N6thrust23THRUST_200600_302600_NS6detail15normal_iteratorINS9_10device_ptrIsEEEESE_SE_sNS9_4plusIvEENS9_8equal_toIvEEsEE10hipError_tPvRmT2_T3_T4_T5_mT6_T7_P12ihipStream_tbENKUlT_T0_E_clISt17integral_constantIbLb1EESZ_EEDaSU_SV_EUlSU_E_NS1_11comp_targetILNS1_3genE0ELNS1_11target_archE4294967295ELNS1_3gpuE0ELNS1_3repE0EEENS1_30default_config_static_selectorELNS0_4arch9wavefront6targetE1EEEvT1_
; %bb.0:
	.section	.rodata,"a",@progbits
	.p2align	6, 0x0
	.amdhsa_kernel _ZN7rocprim17ROCPRIM_400000_NS6detail17trampoline_kernelINS0_14default_configENS1_27scan_by_key_config_selectorIssEEZZNS1_16scan_by_key_implILNS1_25lookback_scan_determinismE0ELb1ES3_N6thrust23THRUST_200600_302600_NS6detail15normal_iteratorINS9_10device_ptrIsEEEESE_SE_sNS9_4plusIvEENS9_8equal_toIvEEsEE10hipError_tPvRmT2_T3_T4_T5_mT6_T7_P12ihipStream_tbENKUlT_T0_E_clISt17integral_constantIbLb1EESZ_EEDaSU_SV_EUlSU_E_NS1_11comp_targetILNS1_3genE0ELNS1_11target_archE4294967295ELNS1_3gpuE0ELNS1_3repE0EEENS1_30default_config_static_selectorELNS0_4arch9wavefront6targetE1EEEvT1_
		.amdhsa_group_segment_fixed_size 0
		.amdhsa_private_segment_fixed_size 0
		.amdhsa_kernarg_size 112
		.amdhsa_user_sgpr_count 6
		.amdhsa_user_sgpr_private_segment_buffer 1
		.amdhsa_user_sgpr_dispatch_ptr 0
		.amdhsa_user_sgpr_queue_ptr 0
		.amdhsa_user_sgpr_kernarg_segment_ptr 1
		.amdhsa_user_sgpr_dispatch_id 0
		.amdhsa_user_sgpr_flat_scratch_init 0
		.amdhsa_user_sgpr_kernarg_preload_length 0
		.amdhsa_user_sgpr_kernarg_preload_offset 0
		.amdhsa_user_sgpr_private_segment_size 0
		.amdhsa_uses_dynamic_stack 0
		.amdhsa_system_sgpr_private_segment_wavefront_offset 0
		.amdhsa_system_sgpr_workgroup_id_x 1
		.amdhsa_system_sgpr_workgroup_id_y 0
		.amdhsa_system_sgpr_workgroup_id_z 0
		.amdhsa_system_sgpr_workgroup_info 0
		.amdhsa_system_vgpr_workitem_id 0
		.amdhsa_next_free_vgpr 1
		.amdhsa_next_free_sgpr 0
		.amdhsa_accum_offset 4
		.amdhsa_reserve_vcc 0
		.amdhsa_reserve_flat_scratch 0
		.amdhsa_float_round_mode_32 0
		.amdhsa_float_round_mode_16_64 0
		.amdhsa_float_denorm_mode_32 3
		.amdhsa_float_denorm_mode_16_64 3
		.amdhsa_dx10_clamp 1
		.amdhsa_ieee_mode 1
		.amdhsa_fp16_overflow 0
		.amdhsa_tg_split 0
		.amdhsa_exception_fp_ieee_invalid_op 0
		.amdhsa_exception_fp_denorm_src 0
		.amdhsa_exception_fp_ieee_div_zero 0
		.amdhsa_exception_fp_ieee_overflow 0
		.amdhsa_exception_fp_ieee_underflow 0
		.amdhsa_exception_fp_ieee_inexact 0
		.amdhsa_exception_int_div_zero 0
	.end_amdhsa_kernel
	.section	.text._ZN7rocprim17ROCPRIM_400000_NS6detail17trampoline_kernelINS0_14default_configENS1_27scan_by_key_config_selectorIssEEZZNS1_16scan_by_key_implILNS1_25lookback_scan_determinismE0ELb1ES3_N6thrust23THRUST_200600_302600_NS6detail15normal_iteratorINS9_10device_ptrIsEEEESE_SE_sNS9_4plusIvEENS9_8equal_toIvEEsEE10hipError_tPvRmT2_T3_T4_T5_mT6_T7_P12ihipStream_tbENKUlT_T0_E_clISt17integral_constantIbLb1EESZ_EEDaSU_SV_EUlSU_E_NS1_11comp_targetILNS1_3genE0ELNS1_11target_archE4294967295ELNS1_3gpuE0ELNS1_3repE0EEENS1_30default_config_static_selectorELNS0_4arch9wavefront6targetE1EEEvT1_,"axG",@progbits,_ZN7rocprim17ROCPRIM_400000_NS6detail17trampoline_kernelINS0_14default_configENS1_27scan_by_key_config_selectorIssEEZZNS1_16scan_by_key_implILNS1_25lookback_scan_determinismE0ELb1ES3_N6thrust23THRUST_200600_302600_NS6detail15normal_iteratorINS9_10device_ptrIsEEEESE_SE_sNS9_4plusIvEENS9_8equal_toIvEEsEE10hipError_tPvRmT2_T3_T4_T5_mT6_T7_P12ihipStream_tbENKUlT_T0_E_clISt17integral_constantIbLb1EESZ_EEDaSU_SV_EUlSU_E_NS1_11comp_targetILNS1_3genE0ELNS1_11target_archE4294967295ELNS1_3gpuE0ELNS1_3repE0EEENS1_30default_config_static_selectorELNS0_4arch9wavefront6targetE1EEEvT1_,comdat
.Lfunc_end578:
	.size	_ZN7rocprim17ROCPRIM_400000_NS6detail17trampoline_kernelINS0_14default_configENS1_27scan_by_key_config_selectorIssEEZZNS1_16scan_by_key_implILNS1_25lookback_scan_determinismE0ELb1ES3_N6thrust23THRUST_200600_302600_NS6detail15normal_iteratorINS9_10device_ptrIsEEEESE_SE_sNS9_4plusIvEENS9_8equal_toIvEEsEE10hipError_tPvRmT2_T3_T4_T5_mT6_T7_P12ihipStream_tbENKUlT_T0_E_clISt17integral_constantIbLb1EESZ_EEDaSU_SV_EUlSU_E_NS1_11comp_targetILNS1_3genE0ELNS1_11target_archE4294967295ELNS1_3gpuE0ELNS1_3repE0EEENS1_30default_config_static_selectorELNS0_4arch9wavefront6targetE1EEEvT1_, .Lfunc_end578-_ZN7rocprim17ROCPRIM_400000_NS6detail17trampoline_kernelINS0_14default_configENS1_27scan_by_key_config_selectorIssEEZZNS1_16scan_by_key_implILNS1_25lookback_scan_determinismE0ELb1ES3_N6thrust23THRUST_200600_302600_NS6detail15normal_iteratorINS9_10device_ptrIsEEEESE_SE_sNS9_4plusIvEENS9_8equal_toIvEEsEE10hipError_tPvRmT2_T3_T4_T5_mT6_T7_P12ihipStream_tbENKUlT_T0_E_clISt17integral_constantIbLb1EESZ_EEDaSU_SV_EUlSU_E_NS1_11comp_targetILNS1_3genE0ELNS1_11target_archE4294967295ELNS1_3gpuE0ELNS1_3repE0EEENS1_30default_config_static_selectorELNS0_4arch9wavefront6targetE1EEEvT1_
                                        ; -- End function
	.section	.AMDGPU.csdata,"",@progbits
; Kernel info:
; codeLenInByte = 0
; NumSgprs: 4
; NumVgprs: 0
; NumAgprs: 0
; TotalNumVgprs: 0
; ScratchSize: 0
; MemoryBound: 0
; FloatMode: 240
; IeeeMode: 1
; LDSByteSize: 0 bytes/workgroup (compile time only)
; SGPRBlocks: 0
; VGPRBlocks: 0
; NumSGPRsForWavesPerEU: 4
; NumVGPRsForWavesPerEU: 1
; AccumOffset: 4
; Occupancy: 8
; WaveLimiterHint : 0
; COMPUTE_PGM_RSRC2:SCRATCH_EN: 0
; COMPUTE_PGM_RSRC2:USER_SGPR: 6
; COMPUTE_PGM_RSRC2:TRAP_HANDLER: 0
; COMPUTE_PGM_RSRC2:TGID_X_EN: 1
; COMPUTE_PGM_RSRC2:TGID_Y_EN: 0
; COMPUTE_PGM_RSRC2:TGID_Z_EN: 0
; COMPUTE_PGM_RSRC2:TIDIG_COMP_CNT: 0
; COMPUTE_PGM_RSRC3_GFX90A:ACCUM_OFFSET: 0
; COMPUTE_PGM_RSRC3_GFX90A:TG_SPLIT: 0
	.section	.text._ZN7rocprim17ROCPRIM_400000_NS6detail17trampoline_kernelINS0_14default_configENS1_27scan_by_key_config_selectorIssEEZZNS1_16scan_by_key_implILNS1_25lookback_scan_determinismE0ELb1ES3_N6thrust23THRUST_200600_302600_NS6detail15normal_iteratorINS9_10device_ptrIsEEEESE_SE_sNS9_4plusIvEENS9_8equal_toIvEEsEE10hipError_tPvRmT2_T3_T4_T5_mT6_T7_P12ihipStream_tbENKUlT_T0_E_clISt17integral_constantIbLb1EESZ_EEDaSU_SV_EUlSU_E_NS1_11comp_targetILNS1_3genE10ELNS1_11target_archE1201ELNS1_3gpuE5ELNS1_3repE0EEENS1_30default_config_static_selectorELNS0_4arch9wavefront6targetE1EEEvT1_,"axG",@progbits,_ZN7rocprim17ROCPRIM_400000_NS6detail17trampoline_kernelINS0_14default_configENS1_27scan_by_key_config_selectorIssEEZZNS1_16scan_by_key_implILNS1_25lookback_scan_determinismE0ELb1ES3_N6thrust23THRUST_200600_302600_NS6detail15normal_iteratorINS9_10device_ptrIsEEEESE_SE_sNS9_4plusIvEENS9_8equal_toIvEEsEE10hipError_tPvRmT2_T3_T4_T5_mT6_T7_P12ihipStream_tbENKUlT_T0_E_clISt17integral_constantIbLb1EESZ_EEDaSU_SV_EUlSU_E_NS1_11comp_targetILNS1_3genE10ELNS1_11target_archE1201ELNS1_3gpuE5ELNS1_3repE0EEENS1_30default_config_static_selectorELNS0_4arch9wavefront6targetE1EEEvT1_,comdat
	.protected	_ZN7rocprim17ROCPRIM_400000_NS6detail17trampoline_kernelINS0_14default_configENS1_27scan_by_key_config_selectorIssEEZZNS1_16scan_by_key_implILNS1_25lookback_scan_determinismE0ELb1ES3_N6thrust23THRUST_200600_302600_NS6detail15normal_iteratorINS9_10device_ptrIsEEEESE_SE_sNS9_4plusIvEENS9_8equal_toIvEEsEE10hipError_tPvRmT2_T3_T4_T5_mT6_T7_P12ihipStream_tbENKUlT_T0_E_clISt17integral_constantIbLb1EESZ_EEDaSU_SV_EUlSU_E_NS1_11comp_targetILNS1_3genE10ELNS1_11target_archE1201ELNS1_3gpuE5ELNS1_3repE0EEENS1_30default_config_static_selectorELNS0_4arch9wavefront6targetE1EEEvT1_ ; -- Begin function _ZN7rocprim17ROCPRIM_400000_NS6detail17trampoline_kernelINS0_14default_configENS1_27scan_by_key_config_selectorIssEEZZNS1_16scan_by_key_implILNS1_25lookback_scan_determinismE0ELb1ES3_N6thrust23THRUST_200600_302600_NS6detail15normal_iteratorINS9_10device_ptrIsEEEESE_SE_sNS9_4plusIvEENS9_8equal_toIvEEsEE10hipError_tPvRmT2_T3_T4_T5_mT6_T7_P12ihipStream_tbENKUlT_T0_E_clISt17integral_constantIbLb1EESZ_EEDaSU_SV_EUlSU_E_NS1_11comp_targetILNS1_3genE10ELNS1_11target_archE1201ELNS1_3gpuE5ELNS1_3repE0EEENS1_30default_config_static_selectorELNS0_4arch9wavefront6targetE1EEEvT1_
	.globl	_ZN7rocprim17ROCPRIM_400000_NS6detail17trampoline_kernelINS0_14default_configENS1_27scan_by_key_config_selectorIssEEZZNS1_16scan_by_key_implILNS1_25lookback_scan_determinismE0ELb1ES3_N6thrust23THRUST_200600_302600_NS6detail15normal_iteratorINS9_10device_ptrIsEEEESE_SE_sNS9_4plusIvEENS9_8equal_toIvEEsEE10hipError_tPvRmT2_T3_T4_T5_mT6_T7_P12ihipStream_tbENKUlT_T0_E_clISt17integral_constantIbLb1EESZ_EEDaSU_SV_EUlSU_E_NS1_11comp_targetILNS1_3genE10ELNS1_11target_archE1201ELNS1_3gpuE5ELNS1_3repE0EEENS1_30default_config_static_selectorELNS0_4arch9wavefront6targetE1EEEvT1_
	.p2align	8
	.type	_ZN7rocprim17ROCPRIM_400000_NS6detail17trampoline_kernelINS0_14default_configENS1_27scan_by_key_config_selectorIssEEZZNS1_16scan_by_key_implILNS1_25lookback_scan_determinismE0ELb1ES3_N6thrust23THRUST_200600_302600_NS6detail15normal_iteratorINS9_10device_ptrIsEEEESE_SE_sNS9_4plusIvEENS9_8equal_toIvEEsEE10hipError_tPvRmT2_T3_T4_T5_mT6_T7_P12ihipStream_tbENKUlT_T0_E_clISt17integral_constantIbLb1EESZ_EEDaSU_SV_EUlSU_E_NS1_11comp_targetILNS1_3genE10ELNS1_11target_archE1201ELNS1_3gpuE5ELNS1_3repE0EEENS1_30default_config_static_selectorELNS0_4arch9wavefront6targetE1EEEvT1_,@function
_ZN7rocprim17ROCPRIM_400000_NS6detail17trampoline_kernelINS0_14default_configENS1_27scan_by_key_config_selectorIssEEZZNS1_16scan_by_key_implILNS1_25lookback_scan_determinismE0ELb1ES3_N6thrust23THRUST_200600_302600_NS6detail15normal_iteratorINS9_10device_ptrIsEEEESE_SE_sNS9_4plusIvEENS9_8equal_toIvEEsEE10hipError_tPvRmT2_T3_T4_T5_mT6_T7_P12ihipStream_tbENKUlT_T0_E_clISt17integral_constantIbLb1EESZ_EEDaSU_SV_EUlSU_E_NS1_11comp_targetILNS1_3genE10ELNS1_11target_archE1201ELNS1_3gpuE5ELNS1_3repE0EEENS1_30default_config_static_selectorELNS0_4arch9wavefront6targetE1EEEvT1_: ; @_ZN7rocprim17ROCPRIM_400000_NS6detail17trampoline_kernelINS0_14default_configENS1_27scan_by_key_config_selectorIssEEZZNS1_16scan_by_key_implILNS1_25lookback_scan_determinismE0ELb1ES3_N6thrust23THRUST_200600_302600_NS6detail15normal_iteratorINS9_10device_ptrIsEEEESE_SE_sNS9_4plusIvEENS9_8equal_toIvEEsEE10hipError_tPvRmT2_T3_T4_T5_mT6_T7_P12ihipStream_tbENKUlT_T0_E_clISt17integral_constantIbLb1EESZ_EEDaSU_SV_EUlSU_E_NS1_11comp_targetILNS1_3genE10ELNS1_11target_archE1201ELNS1_3gpuE5ELNS1_3repE0EEENS1_30default_config_static_selectorELNS0_4arch9wavefront6targetE1EEEvT1_
; %bb.0:
	.section	.rodata,"a",@progbits
	.p2align	6, 0x0
	.amdhsa_kernel _ZN7rocprim17ROCPRIM_400000_NS6detail17trampoline_kernelINS0_14default_configENS1_27scan_by_key_config_selectorIssEEZZNS1_16scan_by_key_implILNS1_25lookback_scan_determinismE0ELb1ES3_N6thrust23THRUST_200600_302600_NS6detail15normal_iteratorINS9_10device_ptrIsEEEESE_SE_sNS9_4plusIvEENS9_8equal_toIvEEsEE10hipError_tPvRmT2_T3_T4_T5_mT6_T7_P12ihipStream_tbENKUlT_T0_E_clISt17integral_constantIbLb1EESZ_EEDaSU_SV_EUlSU_E_NS1_11comp_targetILNS1_3genE10ELNS1_11target_archE1201ELNS1_3gpuE5ELNS1_3repE0EEENS1_30default_config_static_selectorELNS0_4arch9wavefront6targetE1EEEvT1_
		.amdhsa_group_segment_fixed_size 0
		.amdhsa_private_segment_fixed_size 0
		.amdhsa_kernarg_size 112
		.amdhsa_user_sgpr_count 6
		.amdhsa_user_sgpr_private_segment_buffer 1
		.amdhsa_user_sgpr_dispatch_ptr 0
		.amdhsa_user_sgpr_queue_ptr 0
		.amdhsa_user_sgpr_kernarg_segment_ptr 1
		.amdhsa_user_sgpr_dispatch_id 0
		.amdhsa_user_sgpr_flat_scratch_init 0
		.amdhsa_user_sgpr_kernarg_preload_length 0
		.amdhsa_user_sgpr_kernarg_preload_offset 0
		.amdhsa_user_sgpr_private_segment_size 0
		.amdhsa_uses_dynamic_stack 0
		.amdhsa_system_sgpr_private_segment_wavefront_offset 0
		.amdhsa_system_sgpr_workgroup_id_x 1
		.amdhsa_system_sgpr_workgroup_id_y 0
		.amdhsa_system_sgpr_workgroup_id_z 0
		.amdhsa_system_sgpr_workgroup_info 0
		.amdhsa_system_vgpr_workitem_id 0
		.amdhsa_next_free_vgpr 1
		.amdhsa_next_free_sgpr 0
		.amdhsa_accum_offset 4
		.amdhsa_reserve_vcc 0
		.amdhsa_reserve_flat_scratch 0
		.amdhsa_float_round_mode_32 0
		.amdhsa_float_round_mode_16_64 0
		.amdhsa_float_denorm_mode_32 3
		.amdhsa_float_denorm_mode_16_64 3
		.amdhsa_dx10_clamp 1
		.amdhsa_ieee_mode 1
		.amdhsa_fp16_overflow 0
		.amdhsa_tg_split 0
		.amdhsa_exception_fp_ieee_invalid_op 0
		.amdhsa_exception_fp_denorm_src 0
		.amdhsa_exception_fp_ieee_div_zero 0
		.amdhsa_exception_fp_ieee_overflow 0
		.amdhsa_exception_fp_ieee_underflow 0
		.amdhsa_exception_fp_ieee_inexact 0
		.amdhsa_exception_int_div_zero 0
	.end_amdhsa_kernel
	.section	.text._ZN7rocprim17ROCPRIM_400000_NS6detail17trampoline_kernelINS0_14default_configENS1_27scan_by_key_config_selectorIssEEZZNS1_16scan_by_key_implILNS1_25lookback_scan_determinismE0ELb1ES3_N6thrust23THRUST_200600_302600_NS6detail15normal_iteratorINS9_10device_ptrIsEEEESE_SE_sNS9_4plusIvEENS9_8equal_toIvEEsEE10hipError_tPvRmT2_T3_T4_T5_mT6_T7_P12ihipStream_tbENKUlT_T0_E_clISt17integral_constantIbLb1EESZ_EEDaSU_SV_EUlSU_E_NS1_11comp_targetILNS1_3genE10ELNS1_11target_archE1201ELNS1_3gpuE5ELNS1_3repE0EEENS1_30default_config_static_selectorELNS0_4arch9wavefront6targetE1EEEvT1_,"axG",@progbits,_ZN7rocprim17ROCPRIM_400000_NS6detail17trampoline_kernelINS0_14default_configENS1_27scan_by_key_config_selectorIssEEZZNS1_16scan_by_key_implILNS1_25lookback_scan_determinismE0ELb1ES3_N6thrust23THRUST_200600_302600_NS6detail15normal_iteratorINS9_10device_ptrIsEEEESE_SE_sNS9_4plusIvEENS9_8equal_toIvEEsEE10hipError_tPvRmT2_T3_T4_T5_mT6_T7_P12ihipStream_tbENKUlT_T0_E_clISt17integral_constantIbLb1EESZ_EEDaSU_SV_EUlSU_E_NS1_11comp_targetILNS1_3genE10ELNS1_11target_archE1201ELNS1_3gpuE5ELNS1_3repE0EEENS1_30default_config_static_selectorELNS0_4arch9wavefront6targetE1EEEvT1_,comdat
.Lfunc_end579:
	.size	_ZN7rocprim17ROCPRIM_400000_NS6detail17trampoline_kernelINS0_14default_configENS1_27scan_by_key_config_selectorIssEEZZNS1_16scan_by_key_implILNS1_25lookback_scan_determinismE0ELb1ES3_N6thrust23THRUST_200600_302600_NS6detail15normal_iteratorINS9_10device_ptrIsEEEESE_SE_sNS9_4plusIvEENS9_8equal_toIvEEsEE10hipError_tPvRmT2_T3_T4_T5_mT6_T7_P12ihipStream_tbENKUlT_T0_E_clISt17integral_constantIbLb1EESZ_EEDaSU_SV_EUlSU_E_NS1_11comp_targetILNS1_3genE10ELNS1_11target_archE1201ELNS1_3gpuE5ELNS1_3repE0EEENS1_30default_config_static_selectorELNS0_4arch9wavefront6targetE1EEEvT1_, .Lfunc_end579-_ZN7rocprim17ROCPRIM_400000_NS6detail17trampoline_kernelINS0_14default_configENS1_27scan_by_key_config_selectorIssEEZZNS1_16scan_by_key_implILNS1_25lookback_scan_determinismE0ELb1ES3_N6thrust23THRUST_200600_302600_NS6detail15normal_iteratorINS9_10device_ptrIsEEEESE_SE_sNS9_4plusIvEENS9_8equal_toIvEEsEE10hipError_tPvRmT2_T3_T4_T5_mT6_T7_P12ihipStream_tbENKUlT_T0_E_clISt17integral_constantIbLb1EESZ_EEDaSU_SV_EUlSU_E_NS1_11comp_targetILNS1_3genE10ELNS1_11target_archE1201ELNS1_3gpuE5ELNS1_3repE0EEENS1_30default_config_static_selectorELNS0_4arch9wavefront6targetE1EEEvT1_
                                        ; -- End function
	.section	.AMDGPU.csdata,"",@progbits
; Kernel info:
; codeLenInByte = 0
; NumSgprs: 4
; NumVgprs: 0
; NumAgprs: 0
; TotalNumVgprs: 0
; ScratchSize: 0
; MemoryBound: 0
; FloatMode: 240
; IeeeMode: 1
; LDSByteSize: 0 bytes/workgroup (compile time only)
; SGPRBlocks: 0
; VGPRBlocks: 0
; NumSGPRsForWavesPerEU: 4
; NumVGPRsForWavesPerEU: 1
; AccumOffset: 4
; Occupancy: 8
; WaveLimiterHint : 0
; COMPUTE_PGM_RSRC2:SCRATCH_EN: 0
; COMPUTE_PGM_RSRC2:USER_SGPR: 6
; COMPUTE_PGM_RSRC2:TRAP_HANDLER: 0
; COMPUTE_PGM_RSRC2:TGID_X_EN: 1
; COMPUTE_PGM_RSRC2:TGID_Y_EN: 0
; COMPUTE_PGM_RSRC2:TGID_Z_EN: 0
; COMPUTE_PGM_RSRC2:TIDIG_COMP_CNT: 0
; COMPUTE_PGM_RSRC3_GFX90A:ACCUM_OFFSET: 0
; COMPUTE_PGM_RSRC3_GFX90A:TG_SPLIT: 0
	.section	.text._ZN7rocprim17ROCPRIM_400000_NS6detail17trampoline_kernelINS0_14default_configENS1_27scan_by_key_config_selectorIssEEZZNS1_16scan_by_key_implILNS1_25lookback_scan_determinismE0ELb1ES3_N6thrust23THRUST_200600_302600_NS6detail15normal_iteratorINS9_10device_ptrIsEEEESE_SE_sNS9_4plusIvEENS9_8equal_toIvEEsEE10hipError_tPvRmT2_T3_T4_T5_mT6_T7_P12ihipStream_tbENKUlT_T0_E_clISt17integral_constantIbLb1EESZ_EEDaSU_SV_EUlSU_E_NS1_11comp_targetILNS1_3genE5ELNS1_11target_archE942ELNS1_3gpuE9ELNS1_3repE0EEENS1_30default_config_static_selectorELNS0_4arch9wavefront6targetE1EEEvT1_,"axG",@progbits,_ZN7rocprim17ROCPRIM_400000_NS6detail17trampoline_kernelINS0_14default_configENS1_27scan_by_key_config_selectorIssEEZZNS1_16scan_by_key_implILNS1_25lookback_scan_determinismE0ELb1ES3_N6thrust23THRUST_200600_302600_NS6detail15normal_iteratorINS9_10device_ptrIsEEEESE_SE_sNS9_4plusIvEENS9_8equal_toIvEEsEE10hipError_tPvRmT2_T3_T4_T5_mT6_T7_P12ihipStream_tbENKUlT_T0_E_clISt17integral_constantIbLb1EESZ_EEDaSU_SV_EUlSU_E_NS1_11comp_targetILNS1_3genE5ELNS1_11target_archE942ELNS1_3gpuE9ELNS1_3repE0EEENS1_30default_config_static_selectorELNS0_4arch9wavefront6targetE1EEEvT1_,comdat
	.protected	_ZN7rocprim17ROCPRIM_400000_NS6detail17trampoline_kernelINS0_14default_configENS1_27scan_by_key_config_selectorIssEEZZNS1_16scan_by_key_implILNS1_25lookback_scan_determinismE0ELb1ES3_N6thrust23THRUST_200600_302600_NS6detail15normal_iteratorINS9_10device_ptrIsEEEESE_SE_sNS9_4plusIvEENS9_8equal_toIvEEsEE10hipError_tPvRmT2_T3_T4_T5_mT6_T7_P12ihipStream_tbENKUlT_T0_E_clISt17integral_constantIbLb1EESZ_EEDaSU_SV_EUlSU_E_NS1_11comp_targetILNS1_3genE5ELNS1_11target_archE942ELNS1_3gpuE9ELNS1_3repE0EEENS1_30default_config_static_selectorELNS0_4arch9wavefront6targetE1EEEvT1_ ; -- Begin function _ZN7rocprim17ROCPRIM_400000_NS6detail17trampoline_kernelINS0_14default_configENS1_27scan_by_key_config_selectorIssEEZZNS1_16scan_by_key_implILNS1_25lookback_scan_determinismE0ELb1ES3_N6thrust23THRUST_200600_302600_NS6detail15normal_iteratorINS9_10device_ptrIsEEEESE_SE_sNS9_4plusIvEENS9_8equal_toIvEEsEE10hipError_tPvRmT2_T3_T4_T5_mT6_T7_P12ihipStream_tbENKUlT_T0_E_clISt17integral_constantIbLb1EESZ_EEDaSU_SV_EUlSU_E_NS1_11comp_targetILNS1_3genE5ELNS1_11target_archE942ELNS1_3gpuE9ELNS1_3repE0EEENS1_30default_config_static_selectorELNS0_4arch9wavefront6targetE1EEEvT1_
	.globl	_ZN7rocprim17ROCPRIM_400000_NS6detail17trampoline_kernelINS0_14default_configENS1_27scan_by_key_config_selectorIssEEZZNS1_16scan_by_key_implILNS1_25lookback_scan_determinismE0ELb1ES3_N6thrust23THRUST_200600_302600_NS6detail15normal_iteratorINS9_10device_ptrIsEEEESE_SE_sNS9_4plusIvEENS9_8equal_toIvEEsEE10hipError_tPvRmT2_T3_T4_T5_mT6_T7_P12ihipStream_tbENKUlT_T0_E_clISt17integral_constantIbLb1EESZ_EEDaSU_SV_EUlSU_E_NS1_11comp_targetILNS1_3genE5ELNS1_11target_archE942ELNS1_3gpuE9ELNS1_3repE0EEENS1_30default_config_static_selectorELNS0_4arch9wavefront6targetE1EEEvT1_
	.p2align	8
	.type	_ZN7rocprim17ROCPRIM_400000_NS6detail17trampoline_kernelINS0_14default_configENS1_27scan_by_key_config_selectorIssEEZZNS1_16scan_by_key_implILNS1_25lookback_scan_determinismE0ELb1ES3_N6thrust23THRUST_200600_302600_NS6detail15normal_iteratorINS9_10device_ptrIsEEEESE_SE_sNS9_4plusIvEENS9_8equal_toIvEEsEE10hipError_tPvRmT2_T3_T4_T5_mT6_T7_P12ihipStream_tbENKUlT_T0_E_clISt17integral_constantIbLb1EESZ_EEDaSU_SV_EUlSU_E_NS1_11comp_targetILNS1_3genE5ELNS1_11target_archE942ELNS1_3gpuE9ELNS1_3repE0EEENS1_30default_config_static_selectorELNS0_4arch9wavefront6targetE1EEEvT1_,@function
_ZN7rocprim17ROCPRIM_400000_NS6detail17trampoline_kernelINS0_14default_configENS1_27scan_by_key_config_selectorIssEEZZNS1_16scan_by_key_implILNS1_25lookback_scan_determinismE0ELb1ES3_N6thrust23THRUST_200600_302600_NS6detail15normal_iteratorINS9_10device_ptrIsEEEESE_SE_sNS9_4plusIvEENS9_8equal_toIvEEsEE10hipError_tPvRmT2_T3_T4_T5_mT6_T7_P12ihipStream_tbENKUlT_T0_E_clISt17integral_constantIbLb1EESZ_EEDaSU_SV_EUlSU_E_NS1_11comp_targetILNS1_3genE5ELNS1_11target_archE942ELNS1_3gpuE9ELNS1_3repE0EEENS1_30default_config_static_selectorELNS0_4arch9wavefront6targetE1EEEvT1_: ; @_ZN7rocprim17ROCPRIM_400000_NS6detail17trampoline_kernelINS0_14default_configENS1_27scan_by_key_config_selectorIssEEZZNS1_16scan_by_key_implILNS1_25lookback_scan_determinismE0ELb1ES3_N6thrust23THRUST_200600_302600_NS6detail15normal_iteratorINS9_10device_ptrIsEEEESE_SE_sNS9_4plusIvEENS9_8equal_toIvEEsEE10hipError_tPvRmT2_T3_T4_T5_mT6_T7_P12ihipStream_tbENKUlT_T0_E_clISt17integral_constantIbLb1EESZ_EEDaSU_SV_EUlSU_E_NS1_11comp_targetILNS1_3genE5ELNS1_11target_archE942ELNS1_3gpuE9ELNS1_3repE0EEENS1_30default_config_static_selectorELNS0_4arch9wavefront6targetE1EEEvT1_
; %bb.0:
	.section	.rodata,"a",@progbits
	.p2align	6, 0x0
	.amdhsa_kernel _ZN7rocprim17ROCPRIM_400000_NS6detail17trampoline_kernelINS0_14default_configENS1_27scan_by_key_config_selectorIssEEZZNS1_16scan_by_key_implILNS1_25lookback_scan_determinismE0ELb1ES3_N6thrust23THRUST_200600_302600_NS6detail15normal_iteratorINS9_10device_ptrIsEEEESE_SE_sNS9_4plusIvEENS9_8equal_toIvEEsEE10hipError_tPvRmT2_T3_T4_T5_mT6_T7_P12ihipStream_tbENKUlT_T0_E_clISt17integral_constantIbLb1EESZ_EEDaSU_SV_EUlSU_E_NS1_11comp_targetILNS1_3genE5ELNS1_11target_archE942ELNS1_3gpuE9ELNS1_3repE0EEENS1_30default_config_static_selectorELNS0_4arch9wavefront6targetE1EEEvT1_
		.amdhsa_group_segment_fixed_size 0
		.amdhsa_private_segment_fixed_size 0
		.amdhsa_kernarg_size 112
		.amdhsa_user_sgpr_count 6
		.amdhsa_user_sgpr_private_segment_buffer 1
		.amdhsa_user_sgpr_dispatch_ptr 0
		.amdhsa_user_sgpr_queue_ptr 0
		.amdhsa_user_sgpr_kernarg_segment_ptr 1
		.amdhsa_user_sgpr_dispatch_id 0
		.amdhsa_user_sgpr_flat_scratch_init 0
		.amdhsa_user_sgpr_kernarg_preload_length 0
		.amdhsa_user_sgpr_kernarg_preload_offset 0
		.amdhsa_user_sgpr_private_segment_size 0
		.amdhsa_uses_dynamic_stack 0
		.amdhsa_system_sgpr_private_segment_wavefront_offset 0
		.amdhsa_system_sgpr_workgroup_id_x 1
		.amdhsa_system_sgpr_workgroup_id_y 0
		.amdhsa_system_sgpr_workgroup_id_z 0
		.amdhsa_system_sgpr_workgroup_info 0
		.amdhsa_system_vgpr_workitem_id 0
		.amdhsa_next_free_vgpr 1
		.amdhsa_next_free_sgpr 0
		.amdhsa_accum_offset 4
		.amdhsa_reserve_vcc 0
		.amdhsa_reserve_flat_scratch 0
		.amdhsa_float_round_mode_32 0
		.amdhsa_float_round_mode_16_64 0
		.amdhsa_float_denorm_mode_32 3
		.amdhsa_float_denorm_mode_16_64 3
		.amdhsa_dx10_clamp 1
		.amdhsa_ieee_mode 1
		.amdhsa_fp16_overflow 0
		.amdhsa_tg_split 0
		.amdhsa_exception_fp_ieee_invalid_op 0
		.amdhsa_exception_fp_denorm_src 0
		.amdhsa_exception_fp_ieee_div_zero 0
		.amdhsa_exception_fp_ieee_overflow 0
		.amdhsa_exception_fp_ieee_underflow 0
		.amdhsa_exception_fp_ieee_inexact 0
		.amdhsa_exception_int_div_zero 0
	.end_amdhsa_kernel
	.section	.text._ZN7rocprim17ROCPRIM_400000_NS6detail17trampoline_kernelINS0_14default_configENS1_27scan_by_key_config_selectorIssEEZZNS1_16scan_by_key_implILNS1_25lookback_scan_determinismE0ELb1ES3_N6thrust23THRUST_200600_302600_NS6detail15normal_iteratorINS9_10device_ptrIsEEEESE_SE_sNS9_4plusIvEENS9_8equal_toIvEEsEE10hipError_tPvRmT2_T3_T4_T5_mT6_T7_P12ihipStream_tbENKUlT_T0_E_clISt17integral_constantIbLb1EESZ_EEDaSU_SV_EUlSU_E_NS1_11comp_targetILNS1_3genE5ELNS1_11target_archE942ELNS1_3gpuE9ELNS1_3repE0EEENS1_30default_config_static_selectorELNS0_4arch9wavefront6targetE1EEEvT1_,"axG",@progbits,_ZN7rocprim17ROCPRIM_400000_NS6detail17trampoline_kernelINS0_14default_configENS1_27scan_by_key_config_selectorIssEEZZNS1_16scan_by_key_implILNS1_25lookback_scan_determinismE0ELb1ES3_N6thrust23THRUST_200600_302600_NS6detail15normal_iteratorINS9_10device_ptrIsEEEESE_SE_sNS9_4plusIvEENS9_8equal_toIvEEsEE10hipError_tPvRmT2_T3_T4_T5_mT6_T7_P12ihipStream_tbENKUlT_T0_E_clISt17integral_constantIbLb1EESZ_EEDaSU_SV_EUlSU_E_NS1_11comp_targetILNS1_3genE5ELNS1_11target_archE942ELNS1_3gpuE9ELNS1_3repE0EEENS1_30default_config_static_selectorELNS0_4arch9wavefront6targetE1EEEvT1_,comdat
.Lfunc_end580:
	.size	_ZN7rocprim17ROCPRIM_400000_NS6detail17trampoline_kernelINS0_14default_configENS1_27scan_by_key_config_selectorIssEEZZNS1_16scan_by_key_implILNS1_25lookback_scan_determinismE0ELb1ES3_N6thrust23THRUST_200600_302600_NS6detail15normal_iteratorINS9_10device_ptrIsEEEESE_SE_sNS9_4plusIvEENS9_8equal_toIvEEsEE10hipError_tPvRmT2_T3_T4_T5_mT6_T7_P12ihipStream_tbENKUlT_T0_E_clISt17integral_constantIbLb1EESZ_EEDaSU_SV_EUlSU_E_NS1_11comp_targetILNS1_3genE5ELNS1_11target_archE942ELNS1_3gpuE9ELNS1_3repE0EEENS1_30default_config_static_selectorELNS0_4arch9wavefront6targetE1EEEvT1_, .Lfunc_end580-_ZN7rocprim17ROCPRIM_400000_NS6detail17trampoline_kernelINS0_14default_configENS1_27scan_by_key_config_selectorIssEEZZNS1_16scan_by_key_implILNS1_25lookback_scan_determinismE0ELb1ES3_N6thrust23THRUST_200600_302600_NS6detail15normal_iteratorINS9_10device_ptrIsEEEESE_SE_sNS9_4plusIvEENS9_8equal_toIvEEsEE10hipError_tPvRmT2_T3_T4_T5_mT6_T7_P12ihipStream_tbENKUlT_T0_E_clISt17integral_constantIbLb1EESZ_EEDaSU_SV_EUlSU_E_NS1_11comp_targetILNS1_3genE5ELNS1_11target_archE942ELNS1_3gpuE9ELNS1_3repE0EEENS1_30default_config_static_selectorELNS0_4arch9wavefront6targetE1EEEvT1_
                                        ; -- End function
	.section	.AMDGPU.csdata,"",@progbits
; Kernel info:
; codeLenInByte = 0
; NumSgprs: 4
; NumVgprs: 0
; NumAgprs: 0
; TotalNumVgprs: 0
; ScratchSize: 0
; MemoryBound: 0
; FloatMode: 240
; IeeeMode: 1
; LDSByteSize: 0 bytes/workgroup (compile time only)
; SGPRBlocks: 0
; VGPRBlocks: 0
; NumSGPRsForWavesPerEU: 4
; NumVGPRsForWavesPerEU: 1
; AccumOffset: 4
; Occupancy: 8
; WaveLimiterHint : 0
; COMPUTE_PGM_RSRC2:SCRATCH_EN: 0
; COMPUTE_PGM_RSRC2:USER_SGPR: 6
; COMPUTE_PGM_RSRC2:TRAP_HANDLER: 0
; COMPUTE_PGM_RSRC2:TGID_X_EN: 1
; COMPUTE_PGM_RSRC2:TGID_Y_EN: 0
; COMPUTE_PGM_RSRC2:TGID_Z_EN: 0
; COMPUTE_PGM_RSRC2:TIDIG_COMP_CNT: 0
; COMPUTE_PGM_RSRC3_GFX90A:ACCUM_OFFSET: 0
; COMPUTE_PGM_RSRC3_GFX90A:TG_SPLIT: 0
	.section	.text._ZN7rocprim17ROCPRIM_400000_NS6detail17trampoline_kernelINS0_14default_configENS1_27scan_by_key_config_selectorIssEEZZNS1_16scan_by_key_implILNS1_25lookback_scan_determinismE0ELb1ES3_N6thrust23THRUST_200600_302600_NS6detail15normal_iteratorINS9_10device_ptrIsEEEESE_SE_sNS9_4plusIvEENS9_8equal_toIvEEsEE10hipError_tPvRmT2_T3_T4_T5_mT6_T7_P12ihipStream_tbENKUlT_T0_E_clISt17integral_constantIbLb1EESZ_EEDaSU_SV_EUlSU_E_NS1_11comp_targetILNS1_3genE4ELNS1_11target_archE910ELNS1_3gpuE8ELNS1_3repE0EEENS1_30default_config_static_selectorELNS0_4arch9wavefront6targetE1EEEvT1_,"axG",@progbits,_ZN7rocprim17ROCPRIM_400000_NS6detail17trampoline_kernelINS0_14default_configENS1_27scan_by_key_config_selectorIssEEZZNS1_16scan_by_key_implILNS1_25lookback_scan_determinismE0ELb1ES3_N6thrust23THRUST_200600_302600_NS6detail15normal_iteratorINS9_10device_ptrIsEEEESE_SE_sNS9_4plusIvEENS9_8equal_toIvEEsEE10hipError_tPvRmT2_T3_T4_T5_mT6_T7_P12ihipStream_tbENKUlT_T0_E_clISt17integral_constantIbLb1EESZ_EEDaSU_SV_EUlSU_E_NS1_11comp_targetILNS1_3genE4ELNS1_11target_archE910ELNS1_3gpuE8ELNS1_3repE0EEENS1_30default_config_static_selectorELNS0_4arch9wavefront6targetE1EEEvT1_,comdat
	.protected	_ZN7rocprim17ROCPRIM_400000_NS6detail17trampoline_kernelINS0_14default_configENS1_27scan_by_key_config_selectorIssEEZZNS1_16scan_by_key_implILNS1_25lookback_scan_determinismE0ELb1ES3_N6thrust23THRUST_200600_302600_NS6detail15normal_iteratorINS9_10device_ptrIsEEEESE_SE_sNS9_4plusIvEENS9_8equal_toIvEEsEE10hipError_tPvRmT2_T3_T4_T5_mT6_T7_P12ihipStream_tbENKUlT_T0_E_clISt17integral_constantIbLb1EESZ_EEDaSU_SV_EUlSU_E_NS1_11comp_targetILNS1_3genE4ELNS1_11target_archE910ELNS1_3gpuE8ELNS1_3repE0EEENS1_30default_config_static_selectorELNS0_4arch9wavefront6targetE1EEEvT1_ ; -- Begin function _ZN7rocprim17ROCPRIM_400000_NS6detail17trampoline_kernelINS0_14default_configENS1_27scan_by_key_config_selectorIssEEZZNS1_16scan_by_key_implILNS1_25lookback_scan_determinismE0ELb1ES3_N6thrust23THRUST_200600_302600_NS6detail15normal_iteratorINS9_10device_ptrIsEEEESE_SE_sNS9_4plusIvEENS9_8equal_toIvEEsEE10hipError_tPvRmT2_T3_T4_T5_mT6_T7_P12ihipStream_tbENKUlT_T0_E_clISt17integral_constantIbLb1EESZ_EEDaSU_SV_EUlSU_E_NS1_11comp_targetILNS1_3genE4ELNS1_11target_archE910ELNS1_3gpuE8ELNS1_3repE0EEENS1_30default_config_static_selectorELNS0_4arch9wavefront6targetE1EEEvT1_
	.globl	_ZN7rocprim17ROCPRIM_400000_NS6detail17trampoline_kernelINS0_14default_configENS1_27scan_by_key_config_selectorIssEEZZNS1_16scan_by_key_implILNS1_25lookback_scan_determinismE0ELb1ES3_N6thrust23THRUST_200600_302600_NS6detail15normal_iteratorINS9_10device_ptrIsEEEESE_SE_sNS9_4plusIvEENS9_8equal_toIvEEsEE10hipError_tPvRmT2_T3_T4_T5_mT6_T7_P12ihipStream_tbENKUlT_T0_E_clISt17integral_constantIbLb1EESZ_EEDaSU_SV_EUlSU_E_NS1_11comp_targetILNS1_3genE4ELNS1_11target_archE910ELNS1_3gpuE8ELNS1_3repE0EEENS1_30default_config_static_selectorELNS0_4arch9wavefront6targetE1EEEvT1_
	.p2align	8
	.type	_ZN7rocprim17ROCPRIM_400000_NS6detail17trampoline_kernelINS0_14default_configENS1_27scan_by_key_config_selectorIssEEZZNS1_16scan_by_key_implILNS1_25lookback_scan_determinismE0ELb1ES3_N6thrust23THRUST_200600_302600_NS6detail15normal_iteratorINS9_10device_ptrIsEEEESE_SE_sNS9_4plusIvEENS9_8equal_toIvEEsEE10hipError_tPvRmT2_T3_T4_T5_mT6_T7_P12ihipStream_tbENKUlT_T0_E_clISt17integral_constantIbLb1EESZ_EEDaSU_SV_EUlSU_E_NS1_11comp_targetILNS1_3genE4ELNS1_11target_archE910ELNS1_3gpuE8ELNS1_3repE0EEENS1_30default_config_static_selectorELNS0_4arch9wavefront6targetE1EEEvT1_,@function
_ZN7rocprim17ROCPRIM_400000_NS6detail17trampoline_kernelINS0_14default_configENS1_27scan_by_key_config_selectorIssEEZZNS1_16scan_by_key_implILNS1_25lookback_scan_determinismE0ELb1ES3_N6thrust23THRUST_200600_302600_NS6detail15normal_iteratorINS9_10device_ptrIsEEEESE_SE_sNS9_4plusIvEENS9_8equal_toIvEEsEE10hipError_tPvRmT2_T3_T4_T5_mT6_T7_P12ihipStream_tbENKUlT_T0_E_clISt17integral_constantIbLb1EESZ_EEDaSU_SV_EUlSU_E_NS1_11comp_targetILNS1_3genE4ELNS1_11target_archE910ELNS1_3gpuE8ELNS1_3repE0EEENS1_30default_config_static_selectorELNS0_4arch9wavefront6targetE1EEEvT1_: ; @_ZN7rocprim17ROCPRIM_400000_NS6detail17trampoline_kernelINS0_14default_configENS1_27scan_by_key_config_selectorIssEEZZNS1_16scan_by_key_implILNS1_25lookback_scan_determinismE0ELb1ES3_N6thrust23THRUST_200600_302600_NS6detail15normal_iteratorINS9_10device_ptrIsEEEESE_SE_sNS9_4plusIvEENS9_8equal_toIvEEsEE10hipError_tPvRmT2_T3_T4_T5_mT6_T7_P12ihipStream_tbENKUlT_T0_E_clISt17integral_constantIbLb1EESZ_EEDaSU_SV_EUlSU_E_NS1_11comp_targetILNS1_3genE4ELNS1_11target_archE910ELNS1_3gpuE8ELNS1_3repE0EEENS1_30default_config_static_selectorELNS0_4arch9wavefront6targetE1EEEvT1_
; %bb.0:
	s_load_dword s70, s[4:5], 0x20
	s_load_dwordx4 s[60:63], s[4:5], 0x28
	s_load_dwordx2 s[68:69], s[4:5], 0x38
	v_cmp_ne_u32_e64 s[50:51], 0, v0
	v_cmp_eq_u32_e64 s[0:1], 0, v0
	s_and_saveexec_b64 s[2:3], s[0:1]
	s_cbranch_execz .LBB581_4
; %bb.1:
	s_mov_b64 s[8:9], exec
	v_mbcnt_lo_u32_b32 v1, s8, 0
	v_mbcnt_hi_u32_b32 v1, s9, v1
	v_cmp_eq_u32_e32 vcc, 0, v1
                                        ; implicit-def: $vgpr2
	s_and_saveexec_b64 s[6:7], vcc
	s_cbranch_execz .LBB581_3
; %bb.2:
	s_load_dwordx2 s[10:11], s[4:5], 0x68
	s_bcnt1_i32_b64 s8, s[8:9]
	v_mov_b32_e32 v2, 0
	v_mov_b32_e32 v3, s8
	s_waitcnt lgkmcnt(0)
	global_atomic_add v2, v2, v3, s[10:11] glc
.LBB581_3:
	s_or_b64 exec, exec, s[6:7]
	s_waitcnt vmcnt(0)
	v_readfirstlane_b32 s6, v2
	v_add_u32_e32 v1, s6, v1
	v_mov_b32_e32 v2, 0
	ds_write_b32 v2, v1
.LBB581_4:
	s_or_b64 exec, exec, s[2:3]
	s_load_dwordx8 s[52:59], s[4:5], 0x0
	s_load_dword s2, s[4:5], 0x40
	s_load_dwordx4 s[64:67], s[4:5], 0x48
	v_mov_b32_e32 v3, 0
	s_waitcnt lgkmcnt(0)
	s_lshl_b64 s[54:55], s[54:55], 1
	s_barrier
	ds_read_b32 v1, v3
	s_add_u32 s3, s52, s54
	s_addc_u32 s4, s53, s55
	s_add_u32 s5, s56, s54
	s_mul_i32 s7, s69, s2
	s_mul_hi_u32 s8, s68, s2
	s_addc_u32 s6, s57, s55
	s_add_i32 s7, s8, s7
	s_movk_i32 s8, 0x1600
	s_waitcnt lgkmcnt(0)
	v_mul_lo_u32 v2, v1, s8
	v_lshlrev_b64 v[10:11], 1, v[2:3]
	v_mov_b32_e32 v2, s4
	v_add_co_u32_e32 v6, vcc, s3, v10
	v_addc_co_u32_e32 v7, vcc, v2, v11, vcc
	v_mov_b32_e32 v2, s6
	v_add_co_u32_e32 v23, vcc, s5, v10
	s_mul_i32 s2, s68, s2
	v_addc_co_u32_e32 v39, vcc, v2, v11, vcc
	v_mov_b32_e32 v3, s7
	v_add_co_u32_e32 v2, vcc, s2, v1
	s_add_u32 s6, s64, -1
	v_addc_co_u32_e32 v3, vcc, 0, v3, vcc
	s_addc_u32 s7, s65, -1
	v_cmp_le_u64_e64 s[2:3], s[6:7], v[2:3]
	v_readfirstlane_b32 s63, v1
	s_mov_b64 s[4:5], -1
	s_and_b64 vcc, exec, s[2:3]
	s_mul_i32 s33, s6, 0xffffea00
	s_barrier
	s_barrier
	s_cbranch_vccz .LBB581_120
; %bb.5:
	flat_load_ushort v8, v[6:7]
	s_add_i32 s72, s33, s62
	v_cmp_gt_u32_e32 vcc, s72, v0
	s_waitcnt vmcnt(0) lgkmcnt(0)
	v_mov_b32_e32 v9, v8
	s_and_saveexec_b64 s[6:7], vcc
	s_cbranch_execz .LBB581_7
; %bb.6:
	v_lshlrev_b32_e32 v1, 1, v0
	v_add_co_u32_e64 v2, s[4:5], v6, v1
	v_addc_co_u32_e64 v3, s[4:5], 0, v7, s[4:5]
	flat_load_ushort v9, v[2:3]
.LBB581_7:
	s_or_b64 exec, exec, s[6:7]
	v_or_b32_e32 v1, 0x100, v0
	v_cmp_gt_u32_e64 s[6:7], s72, v1
	v_mov_b32_e32 v12, v8
	s_and_saveexec_b64 s[8:9], s[6:7]
	s_cbranch_execz .LBB581_9
; %bb.8:
	v_lshlrev_b32_e32 v1, 1, v0
	v_add_co_u32_e64 v2, s[4:5], v6, v1
	v_addc_co_u32_e64 v3, s[4:5], 0, v7, s[4:5]
	flat_load_ushort v12, v[2:3] offset:512
.LBB581_9:
	s_or_b64 exec, exec, s[8:9]
	v_or_b32_e32 v1, 0x200, v0
	v_cmp_gt_u32_e64 s[8:9], s72, v1
	v_mov_b32_e32 v13, v8
	s_and_saveexec_b64 s[10:11], s[8:9]
	s_cbranch_execz .LBB581_11
; %bb.10:
	v_lshlrev_b32_e32 v1, 1, v0
	v_add_co_u32_e64 v2, s[4:5], v6, v1
	v_addc_co_u32_e64 v3, s[4:5], 0, v7, s[4:5]
	flat_load_ushort v13, v[2:3] offset:1024
.LBB581_11:
	;; [unrolled: 12-line block ×7, first 2 shown]
	s_or_b64 exec, exec, s[20:21]
	v_or_b32_e32 v1, 0x800, v0
	v_cmp_gt_u32_e64 s[20:21], s72, v1
	v_mov_b32_e32 v19, v8
	s_and_saveexec_b64 s[22:23], s[20:21]
	s_cbranch_execz .LBB581_23
; %bb.22:
	v_lshlrev_b32_e32 v2, 1, v1
	v_add_co_u32_e64 v2, s[4:5], v6, v2
	v_addc_co_u32_e64 v3, s[4:5], 0, v7, s[4:5]
	flat_load_ushort v19, v[2:3]
.LBB581_23:
	s_or_b64 exec, exec, s[22:23]
	v_or_b32_e32 v2, 0x900, v0
	v_cmp_gt_u32_e64 s[22:23], s72, v2
	v_mov_b32_e32 v31, v8
	s_and_saveexec_b64 s[24:25], s[22:23]
	s_cbranch_execz .LBB581_25
; %bb.24:
	v_lshlrev_b32_e32 v3, 1, v2
	v_add_co_u32_e64 v4, s[4:5], v6, v3
	v_addc_co_u32_e64 v5, s[4:5], 0, v7, s[4:5]
	flat_load_ushort v31, v[4:5]
.LBB581_25:
	;; [unrolled: 12-line block ×13, first 2 shown]
	s_or_b64 exec, exec, s[48:49]
	v_or_b32_e32 v30, 0x1500, v0
	v_cmp_gt_u32_e64 s[48:49], s72, v30
	s_and_saveexec_b64 s[52:53], s[48:49]
	s_cbranch_execz .LBB581_49
; %bb.48:
	v_lshlrev_b32_e32 v8, 1, v30
	v_add_co_u32_e64 v44, s[4:5], v6, v8
	v_addc_co_u32_e64 v45, s[4:5], 0, v7, s[4:5]
	flat_load_ushort v8, v[44:45]
.LBB581_49:
	s_or_b64 exec, exec, s[52:53]
	v_lshlrev_b32_e32 v22, 1, v0
	s_waitcnt vmcnt(0) lgkmcnt(0)
	ds_write_b16 v22, v9
	ds_write_b16 v22, v12 offset:512
	ds_write_b16 v22, v13 offset:1024
	;; [unrolled: 1-line block ×21, first 2 shown]
	s_waitcnt lgkmcnt(0)
	s_barrier
	flat_load_ushort v42, v[6:7]
	v_mad_u32_u24 v44, v0, 42, v22
	s_movk_i32 s4, 0xffd6
	v_mad_i32_i24 v31, v0, s4, v44
	s_movk_i32 s4, 0xff
	v_cmp_ne_u32_e64 s[4:5], s4, v0
	ds_read2_b32 v[18:19], v44 offset1:1
	ds_read2_b32 v[16:17], v44 offset0:2 offset1:3
	ds_read2_b32 v[14:15], v44 offset0:4 offset1:5
	ds_read2_b32 v[12:13], v44 offset0:6 offset1:7
	ds_read2_b32 v[8:9], v44 offset0:8 offset1:9
	ds_read_b32 v45, v44 offset:40
	s_waitcnt lgkmcnt(0)
	ds_write_b16 v31, v18 offset:11776
	s_waitcnt lgkmcnt(0)
	s_barrier
	s_and_saveexec_b64 s[52:53], s[4:5]
	s_cbranch_execz .LBB581_51
; %bb.50:
	s_waitcnt vmcnt(0)
	ds_read_u16 v42, v22 offset:11778
.LBB581_51:
	s_or_b64 exec, exec, s[52:53]
	s_waitcnt lgkmcnt(0)
	s_barrier
	s_waitcnt lgkmcnt(0)
                                        ; implicit-def: $vgpr31
	s_and_saveexec_b64 s[4:5], vcc
	s_cbranch_execz .LBB581_193
; %bb.52:
	v_add_co_u32_e32 v32, vcc, v23, v22
	v_addc_co_u32_e32 v33, vcc, 0, v39, vcc
	flat_load_ushort v31, v[32:33]
	s_or_b64 exec, exec, s[4:5]
                                        ; implicit-def: $vgpr32
	s_and_saveexec_b64 s[4:5], s[6:7]
	s_cbranch_execnz .LBB581_194
.LBB581_53:
	s_or_b64 exec, exec, s[4:5]
                                        ; implicit-def: $vgpr33
	s_and_saveexec_b64 s[4:5], s[8:9]
	s_cbranch_execz .LBB581_195
.LBB581_54:
	v_add_co_u32_e32 v34, vcc, v23, v22
	v_addc_co_u32_e32 v35, vcc, 0, v39, vcc
	flat_load_ushort v33, v[34:35] offset:1024
	s_or_b64 exec, exec, s[4:5]
                                        ; implicit-def: $vgpr34
	s_and_saveexec_b64 s[4:5], s[10:11]
	s_cbranch_execnz .LBB581_196
.LBB581_55:
	s_or_b64 exec, exec, s[4:5]
                                        ; implicit-def: $vgpr35
	s_and_saveexec_b64 s[4:5], s[12:13]
	s_cbranch_execz .LBB581_197
.LBB581_56:
	v_add_co_u32_e32 v36, vcc, v23, v22
	v_addc_co_u32_e32 v37, vcc, 0, v39, vcc
	flat_load_ushort v35, v[36:37] offset:2048
	s_or_b64 exec, exec, s[4:5]
                                        ; implicit-def: $vgpr36
	s_and_saveexec_b64 s[4:5], s[14:15]
	s_cbranch_execnz .LBB581_198
.LBB581_57:
	s_or_b64 exec, exec, s[4:5]
                                        ; implicit-def: $vgpr37
	s_and_saveexec_b64 s[4:5], s[16:17]
	s_cbranch_execz .LBB581_199
.LBB581_58:
	v_add_co_u32_e32 v40, vcc, v23, v22
	v_addc_co_u32_e32 v41, vcc, 0, v39, vcc
	flat_load_ushort v37, v[40:41] offset:3072
	s_or_b64 exec, exec, s[4:5]
                                        ; implicit-def: $vgpr38
	s_and_saveexec_b64 s[4:5], s[18:19]
	s_cbranch_execnz .LBB581_200
.LBB581_59:
	s_or_b64 exec, exec, s[4:5]
                                        ; implicit-def: $vgpr40
	s_and_saveexec_b64 s[4:5], s[20:21]
	s_cbranch_execz .LBB581_201
.LBB581_60:
	v_lshlrev_b32_e32 v1, 1, v1
	v_add_co_u32_e32 v40, vcc, v23, v1
	v_addc_co_u32_e32 v41, vcc, 0, v39, vcc
	flat_load_ushort v40, v[40:41]
	s_or_b64 exec, exec, s[4:5]
                                        ; implicit-def: $vgpr1
	s_and_saveexec_b64 s[4:5], s[22:23]
	s_cbranch_execnz .LBB581_202
.LBB581_61:
	s_or_b64 exec, exec, s[4:5]
                                        ; implicit-def: $vgpr2
	s_and_saveexec_b64 s[4:5], s[24:25]
	s_cbranch_execz .LBB581_203
.LBB581_62:
	v_lshlrev_b32_e32 v2, 1, v3
	v_add_co_u32_e32 v2, vcc, v23, v2
	v_addc_co_u32_e32 v3, vcc, 0, v39, vcc
	flat_load_ushort v2, v[2:3]
	s_or_b64 exec, exec, s[4:5]
                                        ; implicit-def: $vgpr3
	s_and_saveexec_b64 s[4:5], s[26:27]
	s_cbranch_execnz .LBB581_204
.LBB581_63:
	s_or_b64 exec, exec, s[4:5]
                                        ; implicit-def: $vgpr4
	s_and_saveexec_b64 s[4:5], s[28:29]
	s_cbranch_execz .LBB581_205
.LBB581_64:
	v_lshlrev_b32_e32 v4, 1, v5
	v_add_co_u32_e32 v4, vcc, v23, v4
	v_addc_co_u32_e32 v5, vcc, 0, v39, vcc
	flat_load_ushort v4, v[4:5]
	s_or_b64 exec, exec, s[4:5]
                                        ; implicit-def: $vgpr5
	s_and_saveexec_b64 s[4:5], s[30:31]
	s_cbranch_execnz .LBB581_206
.LBB581_65:
	s_or_b64 exec, exec, s[4:5]
                                        ; implicit-def: $vgpr20
	s_and_saveexec_b64 s[4:5], s[34:35]
	s_cbranch_execz .LBB581_207
.LBB581_66:
	v_lshlrev_b32_e32 v20, 1, v21
	v_add_co_u32_e32 v20, vcc, v23, v20
	v_addc_co_u32_e32 v21, vcc, 0, v39, vcc
	flat_load_ushort v20, v[20:21]
	s_or_b64 exec, exec, s[4:5]
                                        ; implicit-def: $vgpr21
	s_and_saveexec_b64 s[4:5], s[36:37]
	s_cbranch_execnz .LBB581_208
.LBB581_67:
	s_or_b64 exec, exec, s[4:5]
                                        ; implicit-def: $vgpr24
	s_and_saveexec_b64 s[4:5], s[38:39]
	s_cbranch_execz .LBB581_209
.LBB581_68:
	v_lshlrev_b32_e32 v24, 1, v25
	v_add_co_u32_e32 v24, vcc, v23, v24
	v_addc_co_u32_e32 v25, vcc, 0, v39, vcc
	flat_load_ushort v24, v[24:25]
	s_or_b64 exec, exec, s[4:5]
                                        ; implicit-def: $vgpr25
	s_and_saveexec_b64 s[4:5], s[40:41]
	s_cbranch_execnz .LBB581_210
.LBB581_69:
	s_or_b64 exec, exec, s[4:5]
                                        ; implicit-def: $vgpr26
	s_and_saveexec_b64 s[4:5], s[42:43]
	s_cbranch_execz .LBB581_211
.LBB581_70:
	v_lshlrev_b32_e32 v26, 1, v27
	v_add_co_u32_e32 v26, vcc, v23, v26
	v_addc_co_u32_e32 v27, vcc, 0, v39, vcc
	flat_load_ushort v26, v[26:27]
	s_or_b64 exec, exec, s[4:5]
                                        ; implicit-def: $vgpr27
	s_and_saveexec_b64 s[4:5], s[44:45]
	s_cbranch_execnz .LBB581_212
.LBB581_71:
	s_or_b64 exec, exec, s[4:5]
                                        ; implicit-def: $vgpr28
	s_and_saveexec_b64 s[4:5], s[46:47]
	s_cbranch_execz .LBB581_73
.LBB581_72:
	v_lshlrev_b32_e32 v28, 1, v29
	v_add_co_u32_e32 v28, vcc, v23, v28
	v_addc_co_u32_e32 v29, vcc, 0, v39, vcc
	flat_load_ushort v28, v[28:29]
.LBB581_73:
	s_or_b64 exec, exec, s[4:5]
	v_mul_u32_u24_e32 v46, 22, v0
                                        ; implicit-def: $vgpr29
	s_and_saveexec_b64 s[4:5], s[48:49]
	s_cbranch_execz .LBB581_75
; %bb.74:
	v_lshlrev_b32_e32 v29, 1, v30
	v_add_co_u32_e32 v48, vcc, v23, v29
	v_addc_co_u32_e32 v49, vcc, 0, v39, vcc
	flat_load_ushort v29, v[48:49]
.LBB581_75:
	s_or_b64 exec, exec, s[4:5]
	s_waitcnt vmcnt(0) lgkmcnt(0)
	ds_write_b16 v22, v31
	ds_write_b16 v22, v32 offset:512
	ds_write_b16 v22, v33 offset:1024
	;; [unrolled: 1-line block ×21, first 2 shown]
	v_cmp_gt_u32_e32 vcc, s72, v46
	s_mov_b64 s[4:5], 0
	s_mov_b32 s71, 0
	v_mov_b32_e32 v1, 0
	s_mov_b64 s[10:11], 0
	v_mov_b32_e32 v20, 0
	v_mov_b32_e32 v24, 0
	;; [unrolled: 1-line block ×20, first 2 shown]
	s_waitcnt lgkmcnt(0)
	s_barrier
	s_waitcnt lgkmcnt(0)
                                        ; implicit-def: $sgpr8_sgpr9
                                        ; implicit-def: $vgpr43
	s_and_saveexec_b64 s[6:7], vcc
	s_cbranch_execz .LBB581_119
; %bb.76:
	ds_read_u16 v1, v44
	v_mov_b32_e32 v3, s70
	v_cmp_eq_u16_sdwa vcc, v18, v18 src0_sel:DWORD src1_sel:WORD_1
	v_cmp_ne_u16_sdwa s[8:9], v18, v18 src0_sel:DWORD src1_sel:WORD_1
	v_or_b32_e32 v2, 1, v46
	s_waitcnt lgkmcnt(0)
	v_cndmask_b32_e32 v1, v3, v1, vcc
	v_and_b32_e32 v1, 0xffff, v1
	v_cndmask_b32_e64 v3, 0, 1, s[8:9]
	v_lshl_or_b32 v1, v3, 16, v1
	v_cmp_gt_u32_e32 vcc, s72, v2
	v_mov_b32_e32 v20, 0
	v_mov_b32_e32 v24, 0
	;; [unrolled: 1-line block ×20, first 2 shown]
                                        ; implicit-def: $sgpr12_sgpr13
                                        ; implicit-def: $vgpr43
	s_and_saveexec_b64 s[8:9], vcc
	s_cbranch_execz .LBB581_118
; %bb.77:
	ds_read_b128 v[2:5], v44 offset:2
	v_mov_b32_e32 v20, s70
	v_cmp_eq_u16_sdwa vcc, v18, v19 src0_sel:WORD_1 src1_sel:DWORD
	v_cmp_ne_u16_sdwa s[10:11], v18, v19 src0_sel:WORD_1 src1_sel:DWORD
	v_add_u32_e32 v21, 2, v46
	s_waitcnt lgkmcnt(0)
	v_cndmask_b32_e32 v20, v20, v2, vcc
	v_and_b32_e32 v20, 0xffff, v20
	v_cndmask_b32_e64 v18, 0, 1, s[10:11]
	v_lshl_or_b32 v20, v18, 16, v20
	v_cmp_gt_u32_e32 vcc, s72, v21
	s_mov_b64 s[14:15], 0
	v_mov_b32_e32 v24, 0
	v_mov_b32_e32 v21, 0
	;; [unrolled: 1-line block ×19, first 2 shown]
                                        ; implicit-def: $sgpr12_sgpr13
                                        ; implicit-def: $vgpr43
	s_and_saveexec_b64 s[10:11], vcc
	s_cbranch_execz .LBB581_117
; %bb.78:
	v_lshrrev_b32_e32 v2, 16, v2
	v_mov_b32_e32 v21, s70
	v_cmp_eq_u16_sdwa vcc, v19, v19 src0_sel:DWORD src1_sel:WORD_1
	v_cndmask_b32_e32 v2, v21, v2, vcc
	v_cmp_ne_u16_sdwa s[12:13], v19, v19 src0_sel:DWORD src1_sel:WORD_1
	v_add_u32_e32 v18, 3, v46
	v_and_b32_e32 v2, 0xffff, v2
	v_cndmask_b32_e64 v21, 0, 1, s[12:13]
	v_lshl_or_b32 v24, v21, 16, v2
	v_cmp_gt_u32_e32 vcc, s72, v18
	v_mov_b32_e32 v21, 0
	v_mov_b32_e32 v25, 0
	;; [unrolled: 1-line block ×18, first 2 shown]
                                        ; implicit-def: $sgpr16_sgpr17
                                        ; implicit-def: $vgpr43
	s_and_saveexec_b64 s[12:13], vcc
	s_cbranch_execz .LBB581_116
; %bb.79:
	v_mov_b32_e32 v18, s70
	v_cmp_eq_u16_sdwa vcc, v19, v16 src0_sel:WORD_1 src1_sel:DWORD
	v_cndmask_b32_e32 v18, v18, v3, vcc
	v_cmp_ne_u16_sdwa s[14:15], v19, v16 src0_sel:WORD_1 src1_sel:DWORD
	v_add_u32_e32 v2, 4, v46
	v_and_b32_e32 v18, 0xffff, v18
	v_cndmask_b32_e64 v19, 0, 1, s[14:15]
	v_lshl_or_b32 v21, v19, 16, v18
	v_cmp_gt_u32_e32 vcc, s72, v2
	s_mov_b64 s[18:19], 0
	v_mov_b32_e32 v25, 0
	v_mov_b32_e32 v26, 0
	;; [unrolled: 1-line block ×17, first 2 shown]
                                        ; implicit-def: $sgpr16_sgpr17
                                        ; implicit-def: $vgpr43
	s_and_saveexec_b64 s[14:15], vcc
	s_cbranch_execz .LBB581_115
; %bb.80:
	v_lshrrev_b32_e32 v2, 16, v3
	v_mov_b32_e32 v18, s70
	v_cmp_eq_u16_sdwa vcc, v16, v16 src0_sel:DWORD src1_sel:WORD_1
	v_cndmask_b32_e32 v2, v18, v2, vcc
	v_cmp_ne_u16_sdwa s[16:17], v16, v16 src0_sel:DWORD src1_sel:WORD_1
	v_add_u32_e32 v3, 5, v46
	v_and_b32_e32 v2, 0xffff, v2
	v_cndmask_b32_e64 v18, 0, 1, s[16:17]
	v_lshl_or_b32 v25, v18, 16, v2
	v_cmp_gt_u32_e32 vcc, s72, v3
	v_mov_b32_e32 v26, 0
	v_mov_b32_e32 v27, 0
	;; [unrolled: 1-line block ×16, first 2 shown]
                                        ; implicit-def: $sgpr20_sgpr21
                                        ; implicit-def: $vgpr43
	s_and_saveexec_b64 s[16:17], vcc
	s_cbranch_execz .LBB581_114
; %bb.81:
	v_mov_b32_e32 v3, s70
	v_cmp_eq_u16_sdwa vcc, v16, v17 src0_sel:WORD_1 src1_sel:DWORD
	v_cndmask_b32_e32 v3, v3, v4, vcc
	v_cmp_ne_u16_sdwa s[18:19], v16, v17 src0_sel:WORD_1 src1_sel:DWORD
	v_add_u32_e32 v2, 6, v46
	v_and_b32_e32 v3, 0xffff, v3
	v_cndmask_b32_e64 v16, 0, 1, s[18:19]
	v_lshl_or_b32 v26, v16, 16, v3
	v_cmp_gt_u32_e32 vcc, s72, v2
	s_mov_b64 s[22:23], 0
	v_mov_b32_e32 v27, 0
	v_mov_b32_e32 v28, 0
	;; [unrolled: 1-line block ×15, first 2 shown]
                                        ; implicit-def: $sgpr20_sgpr21
                                        ; implicit-def: $vgpr43
	s_and_saveexec_b64 s[18:19], vcc
	s_cbranch_execz .LBB581_113
; %bb.82:
	v_lshrrev_b32_e32 v2, 16, v4
	v_mov_b32_e32 v4, s70
	v_cmp_eq_u16_sdwa vcc, v17, v17 src0_sel:DWORD src1_sel:WORD_1
	v_cndmask_b32_e32 v2, v4, v2, vcc
	v_cmp_ne_u16_sdwa s[20:21], v17, v17 src0_sel:DWORD src1_sel:WORD_1
	v_add_u32_e32 v3, 7, v46
	v_and_b32_e32 v2, 0xffff, v2
	v_cndmask_b32_e64 v4, 0, 1, s[20:21]
	v_lshl_or_b32 v27, v4, 16, v2
	v_cmp_gt_u32_e32 vcc, s72, v3
	v_mov_b32_e32 v28, 0
	v_mov_b32_e32 v29, 0
	;; [unrolled: 1-line block ×14, first 2 shown]
                                        ; implicit-def: $sgpr24_sgpr25
                                        ; implicit-def: $vgpr43
	s_and_saveexec_b64 s[20:21], vcc
	s_cbranch_execz .LBB581_112
; %bb.83:
	v_mov_b32_e32 v3, s70
	v_cmp_eq_u16_sdwa vcc, v17, v14 src0_sel:WORD_1 src1_sel:DWORD
	v_cndmask_b32_e32 v3, v3, v5, vcc
	v_cmp_ne_u16_sdwa s[22:23], v17, v14 src0_sel:WORD_1 src1_sel:DWORD
	v_add_u32_e32 v2, 8, v46
	v_and_b32_e32 v3, 0xffff, v3
	v_cndmask_b32_e64 v4, 0, 1, s[22:23]
	v_lshl_or_b32 v28, v4, 16, v3
	v_cmp_gt_u32_e32 vcc, s72, v2
	s_mov_b64 s[26:27], 0
	v_mov_b32_e32 v29, 0
	v_mov_b32_e32 v30, 0
	;; [unrolled: 1-line block ×13, first 2 shown]
                                        ; implicit-def: $sgpr24_sgpr25
                                        ; implicit-def: $vgpr43
	s_and_saveexec_b64 s[22:23], vcc
	s_cbranch_execz .LBB581_111
; %bb.84:
	v_lshrrev_b32_e32 v2, 16, v5
	v_mov_b32_e32 v4, s70
	v_cmp_eq_u16_sdwa vcc, v14, v14 src0_sel:DWORD src1_sel:WORD_1
	v_cndmask_b32_e32 v2, v4, v2, vcc
	v_cmp_ne_u16_sdwa s[24:25], v14, v14 src0_sel:DWORD src1_sel:WORD_1
	v_add_u32_e32 v3, 9, v46
	v_and_b32_e32 v2, 0xffff, v2
	v_cndmask_b32_e64 v4, 0, 1, s[24:25]
	v_lshl_or_b32 v29, v4, 16, v2
	v_cmp_gt_u32_e32 vcc, s72, v3
	v_mov_b32_e32 v30, 0
	v_mov_b32_e32 v31, 0
	;; [unrolled: 1-line block ×12, first 2 shown]
                                        ; implicit-def: $sgpr28_sgpr29
                                        ; implicit-def: $vgpr43
	s_and_saveexec_b64 s[24:25], vcc
	s_cbranch_execz .LBB581_110
; %bb.85:
	ds_read_b128 v[2:5], v44 offset:18
	v_mov_b32_e32 v17, s70
	v_cmp_eq_u16_sdwa vcc, v14, v15 src0_sel:WORD_1 src1_sel:DWORD
	v_cmp_ne_u16_sdwa s[26:27], v14, v15 src0_sel:WORD_1 src1_sel:DWORD
	v_add_u32_e32 v16, 10, v46
	s_waitcnt lgkmcnt(0)
	v_cndmask_b32_e32 v17, v17, v2, vcc
	v_and_b32_e32 v17, 0xffff, v17
	v_cndmask_b32_e64 v14, 0, 1, s[26:27]
	v_lshl_or_b32 v30, v14, 16, v17
	v_cmp_gt_u32_e32 vcc, s72, v16
	s_mov_b64 s[30:31], 0
	v_mov_b32_e32 v31, 0
	v_mov_b32_e32 v32, 0
	;; [unrolled: 1-line block ×11, first 2 shown]
                                        ; implicit-def: $sgpr28_sgpr29
                                        ; implicit-def: $vgpr43
	s_and_saveexec_b64 s[26:27], vcc
	s_cbranch_execz .LBB581_109
; %bb.86:
	v_lshrrev_b32_e32 v2, 16, v2
	v_mov_b32_e32 v16, s70
	v_cmp_eq_u16_sdwa vcc, v15, v15 src0_sel:DWORD src1_sel:WORD_1
	v_cndmask_b32_e32 v2, v16, v2, vcc
	v_cmp_ne_u16_sdwa s[28:29], v15, v15 src0_sel:DWORD src1_sel:WORD_1
	v_add_u32_e32 v14, 11, v46
	v_and_b32_e32 v2, 0xffff, v2
	v_cndmask_b32_e64 v16, 0, 1, s[28:29]
	v_lshl_or_b32 v31, v16, 16, v2
	v_cmp_gt_u32_e32 vcc, s72, v14
	v_mov_b32_e32 v32, 0
	v_mov_b32_e32 v33, 0
	;; [unrolled: 1-line block ×10, first 2 shown]
                                        ; implicit-def: $sgpr34_sgpr35
                                        ; implicit-def: $vgpr43
	s_and_saveexec_b64 s[28:29], vcc
	s_cbranch_execz .LBB581_108
; %bb.87:
	v_mov_b32_e32 v14, s70
	v_cmp_eq_u16_sdwa vcc, v15, v12 src0_sel:WORD_1 src1_sel:DWORD
	v_cndmask_b32_e32 v14, v14, v3, vcc
	v_cmp_ne_u16_sdwa s[30:31], v15, v12 src0_sel:WORD_1 src1_sel:DWORD
	v_add_u32_e32 v2, 12, v46
	v_and_b32_e32 v14, 0xffff, v14
	v_cndmask_b32_e64 v15, 0, 1, s[30:31]
	v_lshl_or_b32 v32, v15, 16, v14
	v_cmp_gt_u32_e32 vcc, s72, v2
	s_mov_b64 s[36:37], 0
	v_mov_b32_e32 v33, 0
	v_mov_b32_e32 v34, 0
	;; [unrolled: 1-line block ×9, first 2 shown]
                                        ; implicit-def: $sgpr34_sgpr35
                                        ; implicit-def: $vgpr43
	s_and_saveexec_b64 s[30:31], vcc
	s_cbranch_execz .LBB581_107
; %bb.88:
	v_lshrrev_b32_e32 v2, 16, v3
	v_mov_b32_e32 v14, s70
	v_cmp_eq_u16_sdwa vcc, v12, v12 src0_sel:DWORD src1_sel:WORD_1
	v_cndmask_b32_e32 v2, v14, v2, vcc
	v_cmp_ne_u16_sdwa s[34:35], v12, v12 src0_sel:DWORD src1_sel:WORD_1
	v_add_u32_e32 v3, 13, v46
	v_and_b32_e32 v2, 0xffff, v2
	v_cndmask_b32_e64 v14, 0, 1, s[34:35]
	v_lshl_or_b32 v33, v14, 16, v2
	v_cmp_gt_u32_e32 vcc, s72, v3
	v_mov_b32_e32 v34, 0
	v_mov_b32_e32 v35, 0
	;; [unrolled: 1-line block ×8, first 2 shown]
                                        ; implicit-def: $sgpr38_sgpr39
                                        ; implicit-def: $vgpr43
	s_and_saveexec_b64 s[34:35], vcc
	s_cbranch_execz .LBB581_106
; %bb.89:
	v_mov_b32_e32 v3, s70
	v_cmp_eq_u16_sdwa vcc, v12, v13 src0_sel:WORD_1 src1_sel:DWORD
	v_cndmask_b32_e32 v3, v3, v4, vcc
	v_cmp_ne_u16_sdwa s[36:37], v12, v13 src0_sel:WORD_1 src1_sel:DWORD
	v_add_u32_e32 v2, 14, v46
	v_and_b32_e32 v3, 0xffff, v3
	v_cndmask_b32_e64 v12, 0, 1, s[36:37]
	v_lshl_or_b32 v34, v12, 16, v3
	v_cmp_gt_u32_e32 vcc, s72, v2
	s_mov_b64 s[40:41], 0
	v_mov_b32_e32 v35, 0
	v_mov_b32_e32 v36, 0
	;; [unrolled: 1-line block ×7, first 2 shown]
                                        ; implicit-def: $sgpr38_sgpr39
                                        ; implicit-def: $vgpr43
	s_and_saveexec_b64 s[36:37], vcc
	s_cbranch_execz .LBB581_105
; %bb.90:
	v_lshrrev_b32_e32 v2, 16, v4
	v_mov_b32_e32 v4, s70
	v_cmp_eq_u16_sdwa vcc, v13, v13 src0_sel:DWORD src1_sel:WORD_1
	v_cndmask_b32_e32 v2, v4, v2, vcc
	v_cmp_ne_u16_sdwa s[38:39], v13, v13 src0_sel:DWORD src1_sel:WORD_1
	v_add_u32_e32 v3, 15, v46
	v_and_b32_e32 v2, 0xffff, v2
	v_cndmask_b32_e64 v4, 0, 1, s[38:39]
	v_lshl_or_b32 v35, v4, 16, v2
	v_cmp_gt_u32_e32 vcc, s72, v3
	v_mov_b32_e32 v36, 0
	v_mov_b32_e32 v37, 0
	;; [unrolled: 1-line block ×6, first 2 shown]
                                        ; implicit-def: $sgpr42_sgpr43
                                        ; implicit-def: $vgpr43
	s_and_saveexec_b64 s[38:39], vcc
	s_cbranch_execz .LBB581_104
; %bb.91:
	v_mov_b32_e32 v3, s70
	v_cmp_eq_u16_sdwa vcc, v13, v8 src0_sel:WORD_1 src1_sel:DWORD
	v_cndmask_b32_e32 v3, v3, v5, vcc
	v_cmp_ne_u16_sdwa s[40:41], v13, v8 src0_sel:WORD_1 src1_sel:DWORD
	v_add_u32_e32 v2, 16, v46
	v_and_b32_e32 v3, 0xffff, v3
	v_cndmask_b32_e64 v4, 0, 1, s[40:41]
	v_lshl_or_b32 v36, v4, 16, v3
	v_cmp_gt_u32_e32 vcc, s72, v2
	s_mov_b64 s[44:45], 0
	v_mov_b32_e32 v37, 0
	v_mov_b32_e32 v22, 0
	;; [unrolled: 1-line block ×5, first 2 shown]
                                        ; implicit-def: $sgpr42_sgpr43
                                        ; implicit-def: $vgpr43
	s_and_saveexec_b64 s[40:41], vcc
	s_cbranch_execz .LBB581_103
; %bb.92:
	v_lshrrev_b32_e32 v2, 16, v5
	v_mov_b32_e32 v4, s70
	v_cmp_eq_u16_sdwa vcc, v8, v8 src0_sel:DWORD src1_sel:WORD_1
	v_cndmask_b32_e32 v2, v4, v2, vcc
	v_cmp_ne_u16_sdwa s[42:43], v8, v8 src0_sel:DWORD src1_sel:WORD_1
	v_add_u32_e32 v3, 17, v46
	v_and_b32_e32 v2, 0xffff, v2
	v_cndmask_b32_e64 v4, 0, 1, s[42:43]
	v_lshl_or_b32 v37, v4, 16, v2
	v_cmp_gt_u32_e32 vcc, s72, v3
	v_mov_b32_e32 v22, 0
	v_mov_b32_e32 v38, 0
	;; [unrolled: 1-line block ×4, first 2 shown]
                                        ; implicit-def: $sgpr46_sgpr47
                                        ; implicit-def: $vgpr43
	s_and_saveexec_b64 s[42:43], vcc
	s_cbranch_execz .LBB581_102
; %bb.93:
	ds_read_b64 v[2:3], v44 offset:34
	v_mov_b32_e32 v5, s70
	v_cmp_eq_u16_sdwa vcc, v8, v9 src0_sel:WORD_1 src1_sel:DWORD
	v_cmp_ne_u16_sdwa s[44:45], v8, v9 src0_sel:WORD_1 src1_sel:DWORD
	v_add_u32_e32 v4, 18, v46
	s_waitcnt lgkmcnt(0)
	v_cndmask_b32_e32 v5, v5, v2, vcc
	v_and_b32_e32 v5, 0xffff, v5
	v_cndmask_b32_e64 v8, 0, 1, s[44:45]
	v_lshl_or_b32 v22, v8, 16, v5
	v_cmp_gt_u32_e32 vcc, s72, v4
	s_mov_b64 s[48:49], 0
	v_mov_b32_e32 v38, 0
	v_mov_b32_e32 v40, 0
	;; [unrolled: 1-line block ×3, first 2 shown]
                                        ; implicit-def: $sgpr46_sgpr47
                                        ; implicit-def: $vgpr43
	s_and_saveexec_b64 s[44:45], vcc
	s_cbranch_execz .LBB581_101
; %bb.94:
	v_lshrrev_b32_e32 v2, 16, v2
	v_mov_b32_e32 v5, s70
	v_cmp_eq_u16_sdwa vcc, v9, v9 src0_sel:DWORD src1_sel:WORD_1
	v_cndmask_b32_e32 v2, v5, v2, vcc
	v_cmp_ne_u16_sdwa s[46:47], v9, v9 src0_sel:DWORD src1_sel:WORD_1
	v_add_u32_e32 v4, 19, v46
	v_and_b32_e32 v2, 0xffff, v2
	v_cndmask_b32_e64 v5, 0, 1, s[46:47]
	v_lshl_or_b32 v38, v5, 16, v2
	v_cmp_gt_u32_e32 vcc, s72, v4
	v_mov_b32_e32 v40, 0
	v_mov_b32_e32 v41, 0
                                        ; implicit-def: $sgpr52_sgpr53
                                        ; implicit-def: $vgpr43
	s_and_saveexec_b64 s[46:47], vcc
	s_cbranch_execz .LBB581_100
; %bb.95:
	v_mov_b32_e32 v4, s70
	v_cmp_eq_u16_sdwa vcc, v9, v45 src0_sel:WORD_1 src1_sel:DWORD
	v_cndmask_b32_e32 v4, v4, v3, vcc
	v_cmp_ne_u16_sdwa s[48:49], v9, v45 src0_sel:WORD_1 src1_sel:DWORD
	v_add_u32_e32 v2, 20, v46
	v_and_b32_e32 v4, 0xffff, v4
	v_cndmask_b32_e64 v5, 0, 1, s[48:49]
	v_lshl_or_b32 v40, v5, 16, v4
	v_cmp_gt_u32_e32 vcc, s72, v2
	s_mov_b64 s[56:57], 0
	v_mov_b32_e32 v41, 0
                                        ; implicit-def: $sgpr64_sgpr65
                                        ; implicit-def: $vgpr43
	s_and_saveexec_b64 s[48:49], vcc
	s_cbranch_execz .LBB581_99
; %bb.96:
	v_lshrrev_b32_e32 v2, 16, v3
	v_mov_b32_e32 v4, s70
	v_cmp_eq_u16_sdwa vcc, v45, v45 src0_sel:DWORD src1_sel:WORD_1
	v_cndmask_b32_e32 v2, v4, v2, vcc
	v_cmp_ne_u16_sdwa s[52:53], v45, v45 src0_sel:DWORD src1_sel:WORD_1
	v_add_u32_e32 v3, 21, v46
	v_and_b32_e32 v2, 0xffff, v2
	v_cndmask_b32_e64 v4, 0, 1, s[52:53]
	v_lshl_or_b32 v41, v4, 16, v2
	v_cmp_gt_u32_e32 vcc, s72, v3
	s_mov_b64 s[52:53], 0
                                        ; implicit-def: $sgpr56_sgpr57
                                        ; implicit-def: $vgpr43
	s_and_saveexec_b64 s[64:65], vcc
	s_xor_b64 s[64:65], exec, s[64:65]
	s_cbranch_execz .LBB581_98
; %bb.97:
	ds_read_u16 v2, v44 offset:42
	v_mov_b32_e32 v3, s70
	v_cmp_ne_u16_sdwa vcc, v45, v42 src0_sel:WORD_1 src1_sel:DWORD
	s_mov_b64 s[52:53], exec
	s_and_b64 s[56:57], vcc, exec
	s_waitcnt lgkmcnt(0)
	v_cndmask_b32_e32 v43, v2, v3, vcc
.LBB581_98:
	s_or_b64 exec, exec, s[64:65]
	s_and_b64 s[64:65], s[56:57], exec
	s_and_b64 s[56:57], s[52:53], exec
.LBB581_99:
	s_or_b64 exec, exec, s[48:49]
	s_and_b64 s[52:53], s[64:65], exec
	s_and_b64 s[48:49], s[56:57], exec
.LBB581_100:
	s_or_b64 exec, exec, s[46:47]
	s_and_b64 s[46:47], s[52:53], exec
	s_and_b64 s[48:49], s[48:49], exec
.LBB581_101:
	s_or_b64 exec, exec, s[44:45]
	s_and_b64 s[46:47], s[46:47], exec
	s_and_b64 s[44:45], s[48:49], exec
.LBB581_102:
	s_or_b64 exec, exec, s[42:43]
	s_and_b64 s[42:43], s[46:47], exec
	s_and_b64 s[44:45], s[44:45], exec
.LBB581_103:
	s_or_b64 exec, exec, s[40:41]
	s_and_b64 s[42:43], s[42:43], exec
	s_and_b64 s[40:41], s[44:45], exec
.LBB581_104:
	s_or_b64 exec, exec, s[38:39]
	s_and_b64 s[38:39], s[42:43], exec
	s_and_b64 s[40:41], s[40:41], exec
.LBB581_105:
	s_or_b64 exec, exec, s[36:37]
	s_and_b64 s[38:39], s[38:39], exec
	s_and_b64 s[36:37], s[40:41], exec
.LBB581_106:
	s_or_b64 exec, exec, s[34:35]
	s_and_b64 s[34:35], s[38:39], exec
	s_and_b64 s[36:37], s[36:37], exec
.LBB581_107:
	s_or_b64 exec, exec, s[30:31]
	s_and_b64 s[34:35], s[34:35], exec
	s_and_b64 s[30:31], s[36:37], exec
.LBB581_108:
	s_or_b64 exec, exec, s[28:29]
	s_and_b64 s[28:29], s[34:35], exec
	s_and_b64 s[30:31], s[30:31], exec
.LBB581_109:
	s_or_b64 exec, exec, s[26:27]
	s_and_b64 s[28:29], s[28:29], exec
	s_and_b64 s[26:27], s[30:31], exec
.LBB581_110:
	s_or_b64 exec, exec, s[24:25]
	s_and_b64 s[24:25], s[28:29], exec
	s_and_b64 s[26:27], s[26:27], exec
.LBB581_111:
	s_or_b64 exec, exec, s[22:23]
	s_and_b64 s[24:25], s[24:25], exec
	s_and_b64 s[22:23], s[26:27], exec
.LBB581_112:
	s_or_b64 exec, exec, s[20:21]
	s_and_b64 s[20:21], s[24:25], exec
	s_and_b64 s[22:23], s[22:23], exec
.LBB581_113:
	s_or_b64 exec, exec, s[18:19]
	s_and_b64 s[20:21], s[20:21], exec
	s_and_b64 s[18:19], s[22:23], exec
.LBB581_114:
	s_or_b64 exec, exec, s[16:17]
	s_and_b64 s[16:17], s[20:21], exec
	s_and_b64 s[18:19], s[18:19], exec
.LBB581_115:
	s_or_b64 exec, exec, s[14:15]
	s_and_b64 s[16:17], s[16:17], exec
	s_and_b64 s[14:15], s[18:19], exec
.LBB581_116:
	s_or_b64 exec, exec, s[12:13]
	s_and_b64 s[12:13], s[16:17], exec
	s_and_b64 s[14:15], s[14:15], exec
.LBB581_117:
	s_or_b64 exec, exec, s[10:11]
	s_and_b64 s[12:13], s[12:13], exec
	s_and_b64 s[10:11], s[14:15], exec
.LBB581_118:
	s_or_b64 exec, exec, s[8:9]
	s_and_b64 s[8:9], s[12:13], exec
	s_and_b64 s[10:11], s[10:11], exec
.LBB581_119:
	s_or_b64 exec, exec, s[6:7]
	s_and_b64 vcc, exec, s[4:5]
	v_lshlrev_b32_e32 v42, 1, v0
	s_cbranch_vccnz .LBB581_121
	s_branch .LBB581_126
.LBB581_120:
	s_mov_b64 s[10:11], 0
                                        ; implicit-def: $sgpr8_sgpr9
                                        ; implicit-def: $vgpr43
                                        ; implicit-def: $vgpr1
                                        ; implicit-def: $vgpr20
                                        ; implicit-def: $vgpr24
                                        ; implicit-def: $vgpr21
                                        ; implicit-def: $vgpr25
                                        ; implicit-def: $vgpr26
                                        ; implicit-def: $vgpr27
                                        ; implicit-def: $vgpr28
                                        ; implicit-def: $vgpr29
                                        ; implicit-def: $vgpr30
                                        ; implicit-def: $vgpr31
                                        ; implicit-def: $vgpr32
                                        ; implicit-def: $vgpr33
                                        ; implicit-def: $vgpr34
                                        ; implicit-def: $vgpr35
                                        ; implicit-def: $vgpr36
                                        ; implicit-def: $vgpr37
                                        ; implicit-def: $vgpr22
                                        ; implicit-def: $vgpr38
                                        ; implicit-def: $vgpr40
                                        ; implicit-def: $vgpr41
                                        ; implicit-def: $sgpr71
	s_and_b64 vcc, exec, s[4:5]
	v_lshlrev_b32_e32 v42, 1, v0
	s_cbranch_vccz .LBB581_126
.LBB581_121:
	v_add_co_u32_e32 v2, vcc, v6, v42
	v_addc_co_u32_e32 v3, vcc, 0, v7, vcc
	v_add_co_u32_e32 v4, vcc, 0x1000, v2
	v_addc_co_u32_e32 v5, vcc, 0, v3, vcc
	flat_load_ushort v1, v[2:3]
	flat_load_ushort v8, v[2:3] offset:512
	flat_load_ushort v9, v[2:3] offset:1024
	;; [unrolled: 1-line block ×7, first 2 shown]
	v_add_co_u32_e32 v2, vcc, 0x2000, v2
	v_addc_co_u32_e32 v3, vcc, 0, v3, vcc
	flat_load_ushort v17, v[4:5]
	flat_load_ushort v18, v[4:5] offset:512
	flat_load_ushort v19, v[4:5] offset:1024
	;; [unrolled: 1-line block ×7, first 2 shown]
	s_nop 0
	flat_load_ushort v4, v[2:3]
	flat_load_ushort v5, v[2:3] offset:512
	flat_load_ushort v26, v[2:3] offset:1024
	;; [unrolled: 1-line block ×5, first 2 shown]
	v_add_co_u32_e32 v2, vcc, 0x2000, v6
	v_addc_co_u32_e32 v3, vcc, 0, v7, vcc
	s_movk_i32 s4, 0xffd6
	s_movk_i32 s7, 0x1000
	;; [unrolled: 1-line block ×3, first 2 shown]
	s_waitcnt vmcnt(0) lgkmcnt(0)
	ds_write_b16 v42, v1
	ds_write_b16 v42, v8 offset:512
	ds_write_b16 v42, v9 offset:1024
	;; [unrolled: 1-line block ×21, first 2 shown]
	s_waitcnt lgkmcnt(0)
	s_barrier
	flat_load_ushort v43, v[2:3] offset:3072
	v_mad_u32_u24 v1, v0, 42, v42
	v_mad_i32_i24 v2, v0, s4, v1
	s_movk_i32 s4, 0xff
	v_cmp_ne_u32_e32 vcc, s4, v0
	ds_read2_b32 v[20:21], v1 offset1:1
	ds_read2_b32 v[18:19], v1 offset0:2 offset1:3
	ds_read2_b32 v[16:17], v1 offset0:4 offset1:5
	;; [unrolled: 1-line block ×4, first 2 shown]
	ds_read_b32 v44, v1 offset:40
	s_waitcnt lgkmcnt(0)
	ds_write_b16 v2, v20 offset:11776
	s_waitcnt lgkmcnt(0)
	s_barrier
	s_and_saveexec_b64 s[4:5], vcc
	s_cbranch_execz .LBB581_123
; %bb.122:
	s_waitcnt vmcnt(0)
	ds_read_u16 v43, v42 offset:11778
.LBB581_123:
	s_or_b64 exec, exec, s[4:5]
	v_add_co_u32_e32 v2, vcc, v23, v42
	v_addc_co_u32_e32 v3, vcc, 0, v39, vcc
	v_add_co_u32_e32 v4, vcc, s7, v2
	v_addc_co_u32_e32 v5, vcc, 0, v3, vcc
	s_waitcnt lgkmcnt(0)
	s_barrier
	flat_load_ushort v6, v[2:3]
	flat_load_ushort v7, v[2:3] offset:512
	flat_load_ushort v8, v[2:3] offset:1024
	;; [unrolled: 1-line block ×7, first 2 shown]
	v_add_co_u32_e32 v2, vcc, s6, v2
	v_addc_co_u32_e32 v3, vcc, 0, v3, vcc
	flat_load_ushort v26, v[4:5]
	flat_load_ushort v27, v[4:5] offset:512
	flat_load_ushort v28, v[4:5] offset:1024
	;; [unrolled: 1-line block ×7, first 2 shown]
	s_nop 0
	flat_load_ushort v4, v[2:3]
	flat_load_ushort v5, v[2:3] offset:512
	flat_load_ushort v34, v[2:3] offset:1024
	;; [unrolled: 1-line block ×5, first 2 shown]
	v_cmp_eq_u16_sdwa s[6:7], v20, v20 src0_sel:DWORD src1_sel:WORD_1
	s_waitcnt vmcnt(0) lgkmcnt(0)
	ds_write_b16 v42, v6
	ds_write_b16 v42, v7 offset:512
	ds_write_b16 v42, v8 offset:1024
	;; [unrolled: 1-line block ×21, first 2 shown]
	s_waitcnt lgkmcnt(0)
	s_barrier
	ds_read_b128 v[6:9], v1 offset:2
	ds_read_b128 v[2:5], v1 offset:18
	ds_read_b64 v[22:23], v1 offset:34
	ds_read_u16 v39, v1 offset:42
	v_mov_b32_e32 v24, 0x10000
	v_mov_b32_e32 v25, s70
	s_and_saveexec_b64 s[4:5], s[6:7]
	s_cbranch_execz .LBB581_125
; %bb.124:
	ds_read_u16 v25, v1
	v_mov_b32_e32 v24, 0
.LBB581_125:
	s_or_b64 exec, exec, s[4:5]
	v_mov_b32_e32 v45, s70
	v_cmp_eq_u16_sdwa vcc, v20, v21 src0_sel:WORD_1 src1_sel:DWORD
	s_waitcnt lgkmcnt(3)
	v_lshrrev_b32_e32 v26, 16, v6
	v_cndmask_b32_e32 v6, v45, v6, vcc
	v_cmp_ne_u16_sdwa s[4:5], v20, v21 src0_sel:WORD_1 src1_sel:DWORD
	v_and_b32_e32 v6, 0xffff, v6
	v_cndmask_b32_e64 v20, 0, 1, s[4:5]
	v_cmp_eq_u16_sdwa vcc, v21, v21 src0_sel:DWORD src1_sel:WORD_1
	v_lshl_or_b32 v20, v20, 16, v6
	v_cndmask_b32_e32 v6, v45, v26, vcc
	v_cmp_ne_u16_sdwa s[4:5], v21, v21 src0_sel:DWORD src1_sel:WORD_1
	s_waitcnt lgkmcnt(0)
	v_or_b32_sdwa v1, v24, v25 dst_sel:DWORD dst_unused:UNUSED_PAD src0_sel:DWORD src1_sel:WORD_0
	v_and_b32_e32 v6, 0xffff, v6
	v_cndmask_b32_e64 v24, 0, 1, s[4:5]
	v_cmp_eq_u16_sdwa vcc, v21, v18 src0_sel:WORD_1 src1_sel:DWORD
	v_lshl_or_b32 v24, v24, 16, v6
	v_cndmask_b32_e32 v6, v45, v7, vcc
	v_cmp_ne_u16_sdwa s[4:5], v21, v18 src0_sel:WORD_1 src1_sel:DWORD
	v_lshrrev_b32_e32 v27, 16, v7
	v_and_b32_e32 v6, 0xffff, v6
	v_cndmask_b32_e64 v7, 0, 1, s[4:5]
	v_cmp_eq_u16_sdwa vcc, v18, v18 src0_sel:DWORD src1_sel:WORD_1
	v_lshl_or_b32 v21, v7, 16, v6
	v_cndmask_b32_e32 v6, v45, v27, vcc
	v_cmp_ne_u16_sdwa s[4:5], v18, v18 src0_sel:DWORD src1_sel:WORD_1
	v_and_b32_e32 v6, 0xffff, v6
	v_cndmask_b32_e64 v7, 0, 1, s[4:5]
	v_cmp_eq_u16_sdwa vcc, v18, v19 src0_sel:WORD_1 src1_sel:DWORD
	v_lshl_or_b32 v25, v7, 16, v6
	v_cndmask_b32_e32 v6, v45, v8, vcc
	v_cmp_ne_u16_sdwa s[4:5], v18, v19 src0_sel:WORD_1 src1_sel:DWORD
	v_lshrrev_b32_e32 v28, 16, v8
	v_and_b32_e32 v6, 0xffff, v6
	v_cndmask_b32_e64 v7, 0, 1, s[4:5]
	v_cmp_eq_u16_sdwa vcc, v19, v19 src0_sel:DWORD src1_sel:WORD_1
	v_lshl_or_b32 v26, v7, 16, v6
	v_cndmask_b32_e32 v6, v45, v28, vcc
	v_cmp_ne_u16_sdwa s[4:5], v19, v19 src0_sel:DWORD src1_sel:WORD_1
	;; [unrolled: 13-line block ×3, first 2 shown]
	v_cmp_eq_u16_sdwa vcc, v16, v17 src0_sel:WORD_1 src1_sel:DWORD
	v_lshrrev_b32_e32 v31, 16, v2
	v_and_b32_e32 v6, 0xffff, v6
	v_cndmask_b32_e64 v7, 0, 1, s[4:5]
	v_cndmask_b32_e32 v2, v45, v2, vcc
	v_cmp_ne_u16_sdwa s[4:5], v16, v17 src0_sel:WORD_1 src1_sel:DWORD
	v_lshl_or_b32 v29, v7, 16, v6
	v_and_b32_e32 v2, 0xffff, v2
	v_cndmask_b32_e64 v6, 0, 1, s[4:5]
	v_cmp_eq_u16_sdwa vcc, v17, v17 src0_sel:DWORD src1_sel:WORD_1
	v_lshl_or_b32 v30, v6, 16, v2
	v_cndmask_b32_e32 v2, v45, v31, vcc
	v_cmp_ne_u16_sdwa s[4:5], v17, v17 src0_sel:DWORD src1_sel:WORD_1
	v_and_b32_e32 v2, 0xffff, v2
	v_cndmask_b32_e64 v6, 0, 1, s[4:5]
	v_cmp_eq_u16_sdwa vcc, v17, v14 src0_sel:WORD_1 src1_sel:DWORD
	v_lshl_or_b32 v31, v6, 16, v2
	v_cndmask_b32_e32 v2, v45, v3, vcc
	v_cmp_ne_u16_sdwa s[4:5], v17, v14 src0_sel:WORD_1 src1_sel:DWORD
	v_lshrrev_b32_e32 v33, 16, v3
	v_and_b32_e32 v2, 0xffff, v2
	v_cndmask_b32_e64 v3, 0, 1, s[4:5]
	v_cmp_eq_u16_sdwa vcc, v14, v14 src0_sel:DWORD src1_sel:WORD_1
	v_lshl_or_b32 v32, v3, 16, v2
	v_cndmask_b32_e32 v2, v45, v33, vcc
	v_cmp_ne_u16_sdwa s[4:5], v14, v14 src0_sel:DWORD src1_sel:WORD_1
	v_and_b32_e32 v2, 0xffff, v2
	v_cndmask_b32_e64 v3, 0, 1, s[4:5]
	v_cmp_eq_u16_sdwa vcc, v14, v15 src0_sel:WORD_1 src1_sel:DWORD
	v_lshl_or_b32 v33, v3, 16, v2
	v_cndmask_b32_e32 v2, v45, v4, vcc
	v_cmp_ne_u16_sdwa s[4:5], v14, v15 src0_sel:WORD_1 src1_sel:DWORD
	v_lshrrev_b32_e32 v35, 16, v4
	;; [unrolled: 13-line block ×5, first 2 shown]
	v_and_b32_e32 v2, 0xffff, v2
	v_cndmask_b32_e64 v3, 0, 1, s[4:5]
	v_cmp_eq_u16_sdwa vcc, v44, v44 src0_sel:DWORD src1_sel:WORD_1
	v_lshl_or_b32 v40, v3, 16, v2
	v_cndmask_b32_e32 v2, v45, v41, vcc
	v_cmp_ne_u16_sdwa s[4:5], v44, v44 src0_sel:DWORD src1_sel:WORD_1
	v_and_b32_e32 v2, 0xffff, v2
	v_cndmask_b32_e64 v3, 0, 1, s[4:5]
	v_cmp_ne_u16_sdwa s[8:9], v44, v43 src0_sel:WORD_1 src1_sel:DWORD
	v_lshl_or_b32 v41, v3, 16, v2
	v_cndmask_b32_e64 v43, v39, v45, s[8:9]
	s_mov_b64 s[10:11], -1
                                        ; implicit-def: $sgpr71
.LBB581_126:
	v_mov_b32_e32 v14, s71
	s_and_saveexec_b64 s[4:5], s[10:11]
; %bb.127:
	v_mov_b32_e32 v2, 0x10000
	v_cndmask_b32_e64 v2, 0, v2, s[8:9]
	v_or_b32_sdwa v14, v2, v43 dst_sel:DWORD dst_unused:UNUSED_PAD src0_sel:DWORD src1_sel:WORD_0
; %bb.128:
	s_or_b64 exec, exec, s[4:5]
	v_or3_b32 v2, v14, v41, v40
	s_cmp_lg_u32 s63, 0
	v_or3_b32 v17, v2, v38, v22
	v_lshrrev_b32_e32 v15, 16, v1
	v_lshrrev_b32_e32 v16, 5, v0
	v_cmp_gt_u32_e32 vcc, 64, v0
	s_barrier
	s_cbranch_scc0 .LBB581_213
; %bb.129:
	s_mov_b32 s4, 0x10000
	v_cmp_gt_u32_e64 s[6:7], s4, v20
	v_cndmask_b32_e64 v2, 0, v1, s[6:7]
	v_add_u16_e32 v2, v2, v20
	v_cmp_gt_u32_e64 s[8:9], s4, v24
	v_cndmask_b32_e64 v2, 0, v2, s[8:9]
	v_add_u16_e32 v2, v2, v24
	;; [unrolled: 3-line block ×21, first 2 shown]
	v_or3_b32 v2, v17, v37, v36
	v_or3_b32 v2, v2, v35, v34
	v_or3_b32 v2, v2, v33, v32
	v_or3_b32 v2, v2, v31, v30
	v_or3_b32 v2, v2, v29, v28
	v_or3_b32 v2, v2, v27, v26
	v_or3_b32 v2, v2, v25, v21
	v_or3_b32 v2, v2, v24, v20
	v_and_b32_e32 v2, 0x10000, v2
	v_cmp_ne_u32_e64 s[4:5], 0, v2
	v_mov_b32_e32 v5, 0x10000
	v_cndmask_b32_e64 v19, v15, 1, s[4:5]
	v_add_lshl_u32 v2, v16, v0, 2
	ds_write_b16 v2, v18
	ds_write_b8 v2, v19 offset:2
	s_waitcnt lgkmcnt(0)
	s_barrier
	s_and_saveexec_b64 s[48:49], vcc
	s_cbranch_execz .LBB581_143
; %bb.130:
	v_lshlrev_b32_e32 v2, 2, v0
	v_lshrrev_b32_e32 v3, 3, v0
	v_add_lshl_u32 v2, v3, v2, 2
	ds_read_b32 v3, v2
	ds_read_u16 v4, v2 offset:4
	ds_read_u8 v6, v2 offset:6
	ds_read_u16 v7, v2 offset:8
	ds_read_u8 v8, v2 offset:10
	;; [unrolled: 2-line block ×3, first 2 shown]
	v_mov_b32_e32 v13, 0
	s_waitcnt lgkmcnt(4)
	v_cmp_eq_u16_sdwa s[4:5], v6, v13 src0_sel:BYTE_0 src1_sel:DWORD
	v_cndmask_b32_e64 v23, 0, v3, s[4:5]
	v_add_u16_e32 v23, v23, v4
	s_waitcnt lgkmcnt(2)
	v_cmp_eq_u16_sdwa s[4:5], v8, v13 src0_sel:BYTE_0 src1_sel:DWORD
	s_waitcnt lgkmcnt(0)
	v_or_b32_e32 v8, v12, v8
	v_cndmask_b32_e64 v13, 0, v23, s[4:5]
	v_or_b32_e32 v6, v8, v6
	v_add_u16_e32 v7, v13, v7
	v_cmp_eq_u16_e64 s[4:5], 0, v12
	v_and_b32_e32 v6, 1, v6
	v_and_b32_e32 v4, 0x10000, v3
	v_cndmask_b32_e64 v13, 0, v7, s[4:5]
	v_cmp_eq_u32_e64 s[4:5], 1, v6
	v_mbcnt_lo_u32_b32 v6, -1, 0
	v_add_u16_e32 v7, v13, v9
	v_cndmask_b32_e64 v23, v4, v5, s[4:5]
	v_add_u16_e32 v9, v13, v9
	v_and_b32_e32 v5, 0xff000000, v3
	v_mbcnt_hi_u32_b32 v6, -1, v6
	v_or_b32_e32 v12, v23, v5
	v_and_b32_e32 v13, 15, v6
	v_or3_b32 v9, v5, v9, v23
	s_movk_i32 s56, 0xff
	v_lshrrev_b32_e32 v8, 16, v12
	v_mov_b32_dpp v23, v9 row_shr:1 row_mask:0xf bank_mask:0xf
	v_cmp_ne_u32_e64 s[4:5], 0, v13
	s_and_saveexec_b64 s[52:53], s[4:5]
	s_cbranch_execz .LBB581_132
; %bb.131:
	v_and_b32_sdwa v8, v12, s56 dst_sel:DWORD dst_unused:UNUSED_PAD src0_sel:WORD_1 src1_sel:DWORD
	v_cmp_eq_u16_e64 s[4:5], 0, v8
	v_and_b32_e32 v8, 0x10000, v12
	v_mov_b32_e32 v12, 1
	v_cndmask_b32_e64 v9, 0, v23, s[4:5]
	v_and_b32_sdwa v12, v23, v12 dst_sel:DWORD dst_unused:UNUSED_PAD src0_sel:WORD_1 src1_sel:DWORD
	v_cmp_ne_u32_e64 s[4:5], 0, v8
	v_cndmask_b32_e64 v8, v12, 1, s[4:5]
	v_add_u16_e32 v39, v9, v7
	v_lshlrev_b32_e32 v12, 16, v8
	v_add_u16_e32 v7, v9, v7
	v_or3_b32 v9, v12, v7, v5
	v_mov_b32_e32 v7, v39
.LBB581_132:
	s_or_b64 exec, exec, s[52:53]
	v_lshrrev_b32_e32 v12, 16, v9
	v_mov_b32_dpp v23, v9 row_shr:2 row_mask:0xf bank_mask:0xf
	v_cmp_lt_u32_e64 s[4:5], 1, v13
	s_and_saveexec_b64 s[52:53], s[4:5]
	s_cbranch_execz .LBB581_134
; %bb.133:
	v_mov_b32_e32 v8, 0
	v_cmp_eq_u16_sdwa s[4:5], v12, v8 src0_sel:BYTE_0 src1_sel:DWORD
	v_and_b32_e32 v8, 0x10000, v9
	v_mov_b32_e32 v9, 1
	v_cndmask_b32_e64 v12, 0, v23, s[4:5]
	v_and_b32_sdwa v9, v23, v9 dst_sel:DWORD dst_unused:UNUSED_PAD src0_sel:WORD_1 src1_sel:DWORD
	v_cmp_ne_u32_e64 s[4:5], 0, v8
	v_cndmask_b32_e64 v8, v9, 1, s[4:5]
	v_add_u16_e32 v39, v12, v7
	v_lshlrev_b32_e32 v9, 16, v8
	v_add_u16_e32 v7, v12, v7
	v_or3_b32 v9, v9, v7, v5
	v_mov_b32_e32 v12, v8
	v_mov_b32_e32 v7, v39
.LBB581_134:
	s_or_b64 exec, exec, s[52:53]
	v_mov_b32_dpp v23, v9 row_shr:4 row_mask:0xf bank_mask:0xf
	v_cmp_lt_u32_e64 s[4:5], 3, v13
	s_and_saveexec_b64 s[52:53], s[4:5]
	s_cbranch_execz .LBB581_136
; %bb.135:
	v_mov_b32_e32 v8, 0
	v_cmp_eq_u16_sdwa s[4:5], v12, v8 src0_sel:BYTE_0 src1_sel:DWORD
	v_and_b32_e32 v8, 1, v12
	v_mov_b32_e32 v12, 1
	v_cndmask_b32_e64 v9, 0, v23, s[4:5]
	v_and_b32_sdwa v12, v23, v12 dst_sel:DWORD dst_unused:UNUSED_PAD src0_sel:WORD_1 src1_sel:DWORD
	v_cmp_eq_u32_e64 s[4:5], 1, v8
	v_cndmask_b32_e64 v8, v12, 1, s[4:5]
	v_add_u16_e32 v39, v9, v7
	v_lshlrev_b32_e32 v12, 16, v8
	v_add_u16_e32 v7, v9, v7
	v_or3_b32 v9, v12, v7, v5
	v_mov_b32_e32 v12, v8
	v_mov_b32_e32 v7, v39
.LBB581_136:
	s_or_b64 exec, exec, s[52:53]
	v_mov_b32_dpp v23, v9 row_shr:8 row_mask:0xf bank_mask:0xf
	v_cmp_lt_u32_e64 s[4:5], 7, v13
	s_and_saveexec_b64 s[52:53], s[4:5]
	s_cbranch_execz .LBB581_138
; %bb.137:
	v_mov_b32_e32 v8, 0
	v_cmp_eq_u16_sdwa s[4:5], v12, v8 src0_sel:BYTE_0 src1_sel:DWORD
	v_and_b32_e32 v8, 1, v12
	v_mov_b32_e32 v12, 1
	v_cndmask_b32_e64 v9, 0, v23, s[4:5]
	v_and_b32_sdwa v12, v23, v12 dst_sel:DWORD dst_unused:UNUSED_PAD src0_sel:WORD_1 src1_sel:DWORD
	v_cmp_eq_u32_e64 s[4:5], 1, v8
	v_cndmask_b32_e64 v8, v12, 1, s[4:5]
	v_add_u16_e32 v13, v9, v7
	v_lshlrev_b32_e32 v12, 16, v8
	v_add_u16_e32 v7, v9, v7
	v_or3_b32 v9, v12, v7, v5
	v_mov_b32_e32 v12, v8
	v_mov_b32_e32 v7, v13
.LBB581_138:
	s_or_b64 exec, exec, s[52:53]
	v_and_b32_e32 v23, 16, v6
	v_mov_b32_dpp v13, v9 row_bcast:15 row_mask:0xf bank_mask:0xf
	v_cmp_ne_u32_e64 s[4:5], 0, v23
	s_and_saveexec_b64 s[52:53], s[4:5]
	s_cbranch_execz .LBB581_140
; %bb.139:
	v_mov_b32_e32 v8, 0
	v_cmp_eq_u16_sdwa s[4:5], v12, v8 src0_sel:BYTE_0 src1_sel:DWORD
	v_and_b32_e32 v8, 1, v12
	v_mov_b32_e32 v12, 1
	v_cndmask_b32_e64 v9, 0, v13, s[4:5]
	v_and_b32_sdwa v12, v13, v12 dst_sel:DWORD dst_unused:UNUSED_PAD src0_sel:WORD_1 src1_sel:DWORD
	v_cmp_eq_u32_e64 s[4:5], 1, v8
	v_cndmask_b32_e64 v8, v12, 1, s[4:5]
	v_add_u16_e32 v23, v9, v7
	v_lshlrev_b32_e32 v12, 16, v8
	v_add_u16_e32 v7, v9, v7
	v_or3_b32 v9, v12, v7, v5
	v_mov_b32_e32 v12, v8
	v_mov_b32_e32 v7, v23
.LBB581_140:
	s_or_b64 exec, exec, s[52:53]
	v_mov_b32_dpp v9, v9 row_bcast:31 row_mask:0xf bank_mask:0xf
	v_cmp_lt_u32_e64 s[4:5], 31, v6
	s_and_saveexec_b64 s[52:53], s[4:5]
; %bb.141:
	v_mov_b32_e32 v8, 0
	v_cmp_eq_u16_sdwa s[4:5], v12, v8 src0_sel:BYTE_0 src1_sel:DWORD
	v_cndmask_b32_e64 v8, 0, v9, s[4:5]
	v_add_u16_e32 v7, v8, v7
	v_and_b32_e32 v8, 1, v12
	v_mov_b32_e32 v12, 1
	v_and_b32_sdwa v9, v9, v12 dst_sel:DWORD dst_unused:UNUSED_PAD src0_sel:WORD_1 src1_sel:DWORD
	v_cmp_eq_u32_e64 s[4:5], 1, v8
	v_cndmask_b32_e64 v8, v9, 1, s[4:5]
; %bb.142:
	s_or_b64 exec, exec, s[52:53]
	v_and_b32_e32 v8, 0xff, v8
	v_lshlrev_b32_e32 v8, 16, v8
	v_and_b32_e32 v7, 0xffff, v7
	v_or3_b32 v5, v8, v7, v5
	v_add_u32_e32 v7, -1, v6
	v_and_b32_e32 v8, 64, v6
	v_cmp_lt_i32_e64 s[4:5], v7, v8
	v_cndmask_b32_e64 v6, v7, v6, s[4:5]
	v_lshlrev_b32_e32 v6, 2, v6
	ds_bpermute_b32 v5, v6, v5
	v_and_b32_e32 v6, 0xff0000, v3
	v_cmp_eq_u32_e64 s[4:5], 0, v6
	; wave barrier
	s_waitcnt lgkmcnt(0)
	v_cndmask_b32_e64 v6, 0, v5, s[4:5]
	v_add_u16_e32 v3, v6, v3
	v_mov_b32_e32 v6, 1
	v_and_b32_sdwa v5, v5, v6 dst_sel:DWORD dst_unused:UNUSED_PAD src0_sel:WORD_1 src1_sel:DWORD
	v_cmp_eq_u32_e64 s[4:5], 0, v4
	v_cndmask_b32_e64 v4, 1, v5, s[4:5]
	v_cndmask_b32_e64 v3, v3, v18, s[0:1]
	;; [unrolled: 1-line block ×3, first 2 shown]
	ds_write_b16 v2, v3
	ds_write_b8 v2, v4 offset:2
	; wave barrier
	ds_read_u16 v5, v2 offset:4
	ds_read_u8 v6, v2 offset:6
	ds_read_u16 v7, v2 offset:8
	ds_read_u8 v8, v2 offset:10
	;; [unrolled: 2-line block ×3, first 2 shown]
	s_waitcnt lgkmcnt(4)
	v_cmp_eq_u16_e64 s[4:5], 0, v6
	v_cndmask_b32_e64 v3, 0, v3, s[4:5]
	v_add_u16_e32 v3, v3, v5
	v_and_b32_e32 v5, 1, v6
	v_cmp_eq_u32_e64 s[4:5], 1, v5
	v_cndmask_b32_e64 v4, v4, 1, s[4:5]
	s_waitcnt lgkmcnt(2)
	v_cmp_eq_u16_e64 s[4:5], 0, v8
	v_and_b32_e32 v5, 1, v8
	ds_write_b16 v2, v3 offset:4
	ds_write_b8 v2, v4 offset:6
	v_cndmask_b32_e64 v3, 0, v3, s[4:5]
	v_cmp_eq_u32_e64 s[4:5], 1, v5
	v_add_u16_e32 v3, v3, v7
	v_cndmask_b32_e64 v4, v4, 1, s[4:5]
	s_waitcnt lgkmcnt(2)
	v_cmp_eq_u16_e64 s[4:5], 0, v12
	ds_write_b16 v2, v3 offset:8
	ds_write_b8 v2, v4 offset:10
	v_cndmask_b32_e64 v3, 0, v3, s[4:5]
	v_and_b32_e32 v5, 1, v12
	v_add_u16_e32 v3, v3, v9
	v_cmp_eq_u32_e64 s[4:5], 1, v5
	v_cndmask_b32_e64 v4, v4, 1, s[4:5]
	ds_write_b16 v2, v3 offset:12
	ds_write_b8 v2, v4 offset:14
.LBB581_143:
	s_or_b64 exec, exec, s[48:49]
	s_waitcnt lgkmcnt(0)
	s_barrier
	s_and_saveexec_b64 s[4:5], s[50:51]
	s_cbranch_execz .LBB581_145
; %bb.144:
	v_add_u32_e32 v2, -1, v0
	v_lshrrev_b32_e32 v3, 5, v2
	v_add_lshl_u32 v2, v3, v2, 2
	ds_read_u16 v18, v2
	ds_read_u8 v19, v2 offset:2
.LBB581_145:
	s_or_b64 exec, exec, s[4:5]
	s_and_saveexec_b64 s[4:5], vcc
	s_cbranch_execz .LBB581_192
; %bb.146:
	v_mov_b32_e32 v13, 0
	ds_read_b32 v2, v13 offset:1048
	v_mbcnt_lo_u32_b32 v3, -1, 0
	v_mbcnt_hi_u32_b32 v5, -1, v3
	s_mov_b32 s57, 0
	v_cmp_eq_u32_e64 s[48:49], 0, v5
	s_and_saveexec_b64 s[52:53], s[48:49]
	s_cbranch_execz .LBB581_148
; %bb.147:
	s_add_i32 s56, s63, 64
	s_lshl_b64 s[56:57], s[56:57], 3
	s_add_u32 s56, s60, s56
	v_mov_b32_e32 v3, 1
	s_addc_u32 s57, s61, s57
	s_waitcnt lgkmcnt(0)
	global_store_dwordx2 v13, v[2:3], s[56:57]
.LBB581_148:
	s_or_b64 exec, exec, s[52:53]
	v_xad_u32 v4, v5, -1, s63
	v_add_u32_e32 v12, 64, v4
	v_lshlrev_b64 v[6:7], 3, v[12:13]
	v_mov_b32_e32 v3, s61
	v_add_co_u32_e32 v6, vcc, s60, v6
	v_addc_co_u32_e32 v7, vcc, v3, v7, vcc
	global_load_dwordx2 v[8:9], v[6:7], off glc
	s_waitcnt vmcnt(0)
	v_cmp_eq_u16_sdwa s[56:57], v9, v13 src0_sel:BYTE_0 src1_sel:DWORD
	s_and_saveexec_b64 s[52:53], s[56:57]
	s_cbranch_execz .LBB581_154
; %bb.149:
	s_mov_b32 s64, 1
	s_mov_b64 s[56:57], 0
	v_mov_b32_e32 v3, 0
.LBB581_150:                            ; =>This Loop Header: Depth=1
                                        ;     Child Loop BB581_151 Depth 2
	s_max_u32 s65, s64, 1
.LBB581_151:                            ;   Parent Loop BB581_150 Depth=1
                                        ; =>  This Inner Loop Header: Depth=2
	s_add_i32 s65, s65, -1
	s_cmp_eq_u32 s65, 0
	s_sleep 1
	s_cbranch_scc0 .LBB581_151
; %bb.152:                              ;   in Loop: Header=BB581_150 Depth=1
	global_load_dwordx2 v[8:9], v[6:7], off glc
	s_cmp_lt_u32 s64, 32
	s_cselect_b64 s[72:73], -1, 0
	s_cmp_lg_u64 s[72:73], 0
	s_addc_u32 s64, s64, 0
	s_waitcnt vmcnt(0)
	v_cmp_ne_u16_sdwa s[72:73], v9, v3 src0_sel:BYTE_0 src1_sel:DWORD
	s_or_b64 s[56:57], s[72:73], s[56:57]
	s_andn2_b64 exec, exec, s[56:57]
	s_cbranch_execnz .LBB581_150
; %bb.153:
	s_or_b64 exec, exec, s[56:57]
.LBB581_154:
	s_or_b64 exec, exec, s[52:53]
	v_mov_b32_e32 v3, 2
	v_cmp_eq_u16_sdwa s[52:53], v9, v3 src0_sel:BYTE_0 src1_sel:DWORD
	v_lshlrev_b64 v[6:7], v5, -1
	v_and_b32_e32 v3, s53, v7
	v_or_b32_e32 v3, 0x80000000, v3
	v_ffbl_b32_e32 v3, v3
	v_add_u32_e32 v13, 32, v3
	v_and_b32_e32 v3, 63, v5
	v_cmp_ne_u32_e32 vcc, 63, v3
	v_addc_co_u32_e32 v23, vcc, 0, v5, vcc
	v_and_b32_e32 v52, 0xffffff, v8
	v_lshlrev_b32_e32 v23, 2, v23
	ds_bpermute_b32 v39, v23, v52
	v_and_b32_e32 v12, s52, v6
	v_ffbl_b32_e32 v12, v12
	v_min_u32_e32 v13, v12, v13
	v_lshrrev_b32_e32 v12, 16, v8
	v_cmp_lt_u32_e32 vcc, v3, v13
	v_bfe_u32 v50, v8, 16, 8
	s_and_saveexec_b64 s[52:53], vcc
	s_cbranch_execz .LBB581_156
; %bb.155:
	v_and_b32_e32 v12, 0xff0000, v8
	v_cmp_eq_u32_e32 vcc, 0, v12
	v_and_b32_e32 v12, 0x10000, v12
	v_mov_b32_e32 v45, 1
	s_waitcnt lgkmcnt(0)
	v_cndmask_b32_e32 v43, 0, v39, vcc
	v_and_b32_sdwa v39, v39, v45 dst_sel:DWORD dst_unused:UNUSED_PAD src0_sel:WORD_1 src1_sel:DWORD
	v_cmp_ne_u32_e32 vcc, 0, v12
	v_cndmask_b32_e64 v12, v39, 1, vcc
	v_add_u16_e32 v44, v43, v8
	v_lshlrev_b32_e32 v39, 16, v12
	v_add_u16_e32 v8, v43, v8
	v_or_b32_e32 v52, v39, v8
	v_mov_b32_e32 v8, v44
	v_mov_b32_e32 v50, v12
.LBB581_156:
	s_or_b64 exec, exec, s[52:53]
	v_cmp_gt_u32_e32 vcc, 62, v3
	s_waitcnt lgkmcnt(0)
	v_cndmask_b32_e64 v39, 0, 1, vcc
	v_lshlrev_b32_e32 v39, 1, v39
	v_add_lshl_u32 v39, v39, v5, 2
	ds_bpermute_b32 v44, v39, v52
	v_add_u32_e32 v43, 2, v3
	v_cmp_le_u32_e32 vcc, v43, v13
	s_and_saveexec_b64 s[52:53], vcc
	s_cbranch_execz .LBB581_158
; %bb.157:
	v_cmp_eq_u16_e32 vcc, 0, v50
	v_and_b32_e32 v12, 1, v50
	v_mov_b32_e32 v47, 1
	s_waitcnt lgkmcnt(0)
	v_cndmask_b32_e32 v45, 0, v44, vcc
	v_and_b32_sdwa v44, v44, v47 dst_sel:DWORD dst_unused:UNUSED_PAD src0_sel:WORD_1 src1_sel:DWORD
	v_cmp_eq_u32_e32 vcc, 1, v12
	v_cndmask_b32_e64 v12, v44, 1, vcc
	v_add_u16_e32 v46, v45, v8
	v_lshlrev_b32_e32 v44, 16, v12
	v_add_u16_e32 v8, v45, v8
	v_or_b32_e32 v52, v44, v8
	v_mov_b32_e32 v8, v46
	v_mov_b32_e32 v50, v12
.LBB581_158:
	s_or_b64 exec, exec, s[52:53]
	v_cmp_gt_u32_e32 vcc, 60, v3
	s_waitcnt lgkmcnt(0)
	v_cndmask_b32_e64 v44, 0, 1, vcc
	v_lshlrev_b32_e32 v44, 2, v44
	v_add_lshl_u32 v44, v44, v5, 2
	ds_bpermute_b32 v46, v44, v52
	v_add_u32_e32 v45, 4, v3
	v_cmp_le_u32_e32 vcc, v45, v13
	s_and_saveexec_b64 s[52:53], vcc
	s_cbranch_execz .LBB581_160
; %bb.159:
	v_cmp_eq_u16_e32 vcc, 0, v50
	v_and_b32_e32 v12, 1, v50
	v_mov_b32_e32 v49, 1
	s_waitcnt lgkmcnt(0)
	v_cndmask_b32_e32 v47, 0, v46, vcc
	v_and_b32_sdwa v46, v46, v49 dst_sel:DWORD dst_unused:UNUSED_PAD src0_sel:WORD_1 src1_sel:DWORD
	v_cmp_eq_u32_e32 vcc, 1, v12
	v_cndmask_b32_e64 v12, v46, 1, vcc
	v_add_u16_e32 v48, v47, v8
	v_lshlrev_b32_e32 v46, 16, v12
	v_add_u16_e32 v8, v47, v8
	v_or_b32_e32 v52, v46, v8
	v_mov_b32_e32 v8, v48
	v_mov_b32_e32 v50, v12
.LBB581_160:
	;; [unrolled: 27-line block ×4, first 2 shown]
	s_or_b64 exec, exec, s[52:53]
	v_cmp_gt_u32_e32 vcc, 32, v3
	s_waitcnt lgkmcnt(0)
	v_cndmask_b32_e64 v51, 0, 1, vcc
	v_lshlrev_b32_e32 v51, 5, v51
	v_add_lshl_u32 v51, v51, v5, 2
	ds_bpermute_b32 v5, v51, v52
	v_add_u32_e32 v52, 32, v3
	v_cmp_le_u32_e32 vcc, v52, v13
	s_and_saveexec_b64 s[52:53], vcc
	s_cbranch_execz .LBB581_166
; %bb.165:
	v_cmp_eq_u16_e32 vcc, 0, v50
	s_waitcnt lgkmcnt(0)
	v_cndmask_b32_e32 v12, 0, v5, vcc
	v_add_u16_e32 v8, v12, v8
	v_and_b32_e32 v12, 1, v50
	v_mov_b32_e32 v13, 1
	v_and_b32_sdwa v5, v5, v13 dst_sel:DWORD dst_unused:UNUSED_PAD src0_sel:WORD_1 src1_sel:DWORD
	v_cmp_eq_u32_e32 vcc, 1, v12
	v_cndmask_b32_e64 v12, v5, 1, vcc
.LBB581_166:
	s_or_b64 exec, exec, s[52:53]
	s_waitcnt lgkmcnt(0)
	v_mov_b32_e32 v5, 0
	v_mov_b32_e32 v54, 2
	;; [unrolled: 1-line block ×3, first 2 shown]
	s_branch .LBB581_168
.LBB581_167:                            ;   in Loop: Header=BB581_168 Depth=1
	s_or_b64 exec, exec, s[52:53]
	v_cmp_eq_u16_sdwa vcc, v50, v5 src0_sel:BYTE_0 src1_sel:DWORD
	v_and_b32_e32 v12, 1, v50
	v_cndmask_b32_e32 v8, 0, v8, vcc
	v_and_b32_e32 v13, 1, v13
	v_cmp_eq_u32_e32 vcc, 1, v12
	v_subrev_u32_e32 v4, 64, v4
	v_add_u16_e32 v8, v8, v53
	v_cndmask_b32_e64 v12, v13, 1, vcc
.LBB581_168:                            ; =>This Loop Header: Depth=1
                                        ;     Child Loop BB581_171 Depth 2
                                        ;       Child Loop BB581_172 Depth 3
	v_cmp_ne_u16_sdwa s[52:53], v9, v54 src0_sel:BYTE_0 src1_sel:DWORD
	v_cndmask_b32_e64 v9, 0, 1, s[52:53]
	;;#ASMSTART
	;;#ASMEND
	v_cmp_ne_u32_e32 vcc, 0, v9
	v_mov_b32_e32 v50, v12
	s_cmp_lg_u64 vcc, exec
	v_mov_b32_e32 v53, v8
	s_cbranch_scc1 .LBB581_187
; %bb.169:                              ;   in Loop: Header=BB581_168 Depth=1
	v_lshlrev_b64 v[8:9], 3, v[4:5]
	v_mov_b32_e32 v13, s61
	v_add_co_u32_e32 v12, vcc, s60, v8
	v_addc_co_u32_e32 v13, vcc, v13, v9, vcc
	global_load_dwordx2 v[8:9], v[12:13], off glc
	s_waitcnt vmcnt(0)
	v_cmp_eq_u16_sdwa s[56:57], v9, v5 src0_sel:BYTE_0 src1_sel:DWORD
	s_and_saveexec_b64 s[52:53], s[56:57]
	s_cbranch_execz .LBB581_175
; %bb.170:                              ;   in Loop: Header=BB581_168 Depth=1
	s_mov_b32 s64, 1
	s_mov_b64 s[56:57], 0
.LBB581_171:                            ;   Parent Loop BB581_168 Depth=1
                                        ; =>  This Loop Header: Depth=2
                                        ;       Child Loop BB581_172 Depth 3
	s_max_u32 s65, s64, 1
.LBB581_172:                            ;   Parent Loop BB581_168 Depth=1
                                        ;     Parent Loop BB581_171 Depth=2
                                        ; =>    This Inner Loop Header: Depth=3
	s_add_i32 s65, s65, -1
	s_cmp_eq_u32 s65, 0
	s_sleep 1
	s_cbranch_scc0 .LBB581_172
; %bb.173:                              ;   in Loop: Header=BB581_171 Depth=2
	global_load_dwordx2 v[8:9], v[12:13], off glc
	s_cmp_lt_u32 s64, 32
	s_cselect_b64 s[72:73], -1, 0
	s_cmp_lg_u64 s[72:73], 0
	s_addc_u32 s64, s64, 0
	s_waitcnt vmcnt(0)
	v_cmp_ne_u16_sdwa s[72:73], v9, v5 src0_sel:BYTE_0 src1_sel:DWORD
	s_or_b64 s[56:57], s[72:73], s[56:57]
	s_andn2_b64 exec, exec, s[56:57]
	s_cbranch_execnz .LBB581_171
; %bb.174:                              ;   in Loop: Header=BB581_168 Depth=1
	s_or_b64 exec, exec, s[56:57]
.LBB581_175:                            ;   in Loop: Header=BB581_168 Depth=1
	s_or_b64 exec, exec, s[52:53]
	v_cmp_eq_u16_sdwa s[52:53], v9, v54 src0_sel:BYTE_0 src1_sel:DWORD
	v_and_b32_e32 v12, s53, v7
	s_waitcnt lgkmcnt(0)
	v_and_b32_e32 v57, 0xffffff, v8
	v_or_b32_e32 v12, 0x80000000, v12
	ds_bpermute_b32 v58, v23, v57
	v_and_b32_e32 v13, s52, v6
	v_ffbl_b32_e32 v12, v12
	v_add_u32_e32 v12, 32, v12
	v_ffbl_b32_e32 v13, v13
	v_min_u32_e32 v12, v13, v12
	v_lshrrev_b32_e32 v13, 16, v8
	v_cmp_lt_u32_e32 vcc, v3, v12
	v_bfe_u32 v56, v8, 16, 8
	s_and_saveexec_b64 s[52:53], vcc
	s_cbranch_execz .LBB581_177
; %bb.176:                              ;   in Loop: Header=BB581_168 Depth=1
	v_and_b32_e32 v13, 0xff0000, v8
	v_cmp_eq_u32_e32 vcc, 0, v13
	v_and_b32_e32 v13, 0x10000, v13
	s_waitcnt lgkmcnt(0)
	v_cndmask_b32_e32 v56, 0, v58, vcc
	v_and_b32_sdwa v57, v58, v55 dst_sel:DWORD dst_unused:UNUSED_PAD src0_sel:WORD_1 src1_sel:DWORD
	v_cmp_ne_u32_e32 vcc, 0, v13
	v_cndmask_b32_e64 v13, v57, 1, vcc
	v_add_u16_e32 v59, v56, v8
	v_lshlrev_b32_e32 v57, 16, v13
	v_add_u16_e32 v8, v56, v8
	v_or_b32_e32 v57, v57, v8
	v_mov_b32_e32 v8, v59
	v_mov_b32_e32 v56, v13
.LBB581_177:                            ;   in Loop: Header=BB581_168 Depth=1
	s_or_b64 exec, exec, s[52:53]
	s_waitcnt lgkmcnt(0)
	ds_bpermute_b32 v58, v39, v57
	v_cmp_le_u32_e32 vcc, v43, v12
	s_and_saveexec_b64 s[52:53], vcc
	s_cbranch_execz .LBB581_179
; %bb.178:                              ;   in Loop: Header=BB581_168 Depth=1
	v_cmp_eq_u16_e32 vcc, 0, v56
	v_and_b32_e32 v13, 1, v56
	s_waitcnt lgkmcnt(0)
	v_cndmask_b32_e32 v57, 0, v58, vcc
	v_and_b32_sdwa v56, v58, v55 dst_sel:DWORD dst_unused:UNUSED_PAD src0_sel:WORD_1 src1_sel:DWORD
	v_cmp_eq_u32_e32 vcc, 1, v13
	v_cndmask_b32_e64 v13, v56, 1, vcc
	v_add_u16_e32 v59, v57, v8
	v_lshlrev_b32_e32 v56, 16, v13
	v_add_u16_e32 v8, v57, v8
	v_or_b32_e32 v57, v56, v8
	v_mov_b32_e32 v8, v59
	v_mov_b32_e32 v56, v13
.LBB581_179:                            ;   in Loop: Header=BB581_168 Depth=1
	s_or_b64 exec, exec, s[52:53]
	s_waitcnt lgkmcnt(0)
	ds_bpermute_b32 v58, v44, v57
	v_cmp_le_u32_e32 vcc, v45, v12
	s_and_saveexec_b64 s[52:53], vcc
	s_cbranch_execz .LBB581_181
; %bb.180:                              ;   in Loop: Header=BB581_168 Depth=1
	v_cmp_eq_u16_e32 vcc, 0, v56
	v_and_b32_e32 v13, 1, v56
	s_waitcnt lgkmcnt(0)
	v_cndmask_b32_e32 v57, 0, v58, vcc
	v_and_b32_sdwa v56, v58, v55 dst_sel:DWORD dst_unused:UNUSED_PAD src0_sel:WORD_1 src1_sel:DWORD
	v_cmp_eq_u32_e32 vcc, 1, v13
	v_cndmask_b32_e64 v13, v56, 1, vcc
	v_add_u16_e32 v59, v57, v8
	v_lshlrev_b32_e32 v56, 16, v13
	v_add_u16_e32 v8, v57, v8
	v_or_b32_e32 v57, v56, v8
	v_mov_b32_e32 v8, v59
	v_mov_b32_e32 v56, v13
.LBB581_181:                            ;   in Loop: Header=BB581_168 Depth=1
	;; [unrolled: 21-line block ×4, first 2 shown]
	s_or_b64 exec, exec, s[52:53]
	ds_bpermute_b32 v57, v51, v57
	v_cmp_le_u32_e32 vcc, v52, v12
	s_and_saveexec_b64 s[52:53], vcc
	s_cbranch_execz .LBB581_167
; %bb.186:                              ;   in Loop: Header=BB581_168 Depth=1
	v_cmp_eq_u16_e32 vcc, 0, v56
	s_waitcnt lgkmcnt(0)
	v_cndmask_b32_e32 v12, 0, v57, vcc
	v_add_u16_e32 v8, v12, v8
	v_and_b32_e32 v12, 1, v56
	v_lshrrev_b32_e32 v13, 16, v57
	v_cmp_eq_u32_e32 vcc, 1, v12
	v_cndmask_b32_e64 v13, v13, 1, vcc
	s_branch .LBB581_167
.LBB581_187:                            ;   in Loop: Header=BB581_168 Depth=1
                                        ; implicit-def: $vgpr12
                                        ; implicit-def: $vgpr8
	s_cbranch_execz .LBB581_168
; %bb.188:
	s_and_saveexec_b64 s[52:53], s[48:49]
	s_cbranch_execz .LBB581_190
; %bb.189:
	v_and_b32_e32 v3, 0xff0000, v2
	s_mov_b32 s49, 0
	v_cmp_eq_u32_e32 vcc, 0, v3
	v_and_b32_e32 v4, 0x10000, v2
	v_mov_b32_e32 v5, 1
	s_add_i32 s48, s63, 64
	v_cndmask_b32_e32 v3, 0, v53, vcc
	v_and_b32_sdwa v5, v50, v5 dst_sel:WORD_1 dst_unused:UNUSED_PAD src0_sel:DWORD src1_sel:DWORD
	v_mov_b32_e32 v6, 0x10000
	v_cmp_eq_u32_e32 vcc, 0, v4
	s_lshl_b64 s[48:49], s[48:49], 3
	v_cndmask_b32_e32 v4, v6, v5, vcc
	s_add_u32 s48, s60, s48
	v_add_u16_e32 v2, v3, v2
	s_addc_u32 s49, s61, s49
	v_mov_b32_e32 v5, 0
	v_or_b32_e32 v2, v4, v2
	v_mov_b32_e32 v3, 2
	global_store_dwordx2 v5, v[2:3], s[48:49]
.LBB581_190:
	s_or_b64 exec, exec, s[52:53]
	s_and_b64 exec, exec, s[0:1]
	s_cbranch_execz .LBB581_192
; %bb.191:
	v_mov_b32_e32 v2, 0
	ds_write_b16 v2, v53
	ds_write_b8 v2, v50 offset:2
.LBB581_192:
	s_or_b64 exec, exec, s[4:5]
	v_mov_b32_e32 v2, 0
	s_waitcnt lgkmcnt(0)
	s_barrier
	ds_read_b32 v3, v2
	v_cmp_eq_u16_sdwa vcc, v19, v2 src0_sel:BYTE_0 src1_sel:DWORD
	s_waitcnt lgkmcnt(0)
	v_cndmask_b32_e32 v2, 0, v3, vcc
	v_add_u16_e32 v2, v2, v18
	v_cndmask_b32_e64 v4, v2, v3, s[0:1]
	v_and_b32_e32 v2, 0xff0000, v1
	v_cmp_eq_u32_e32 vcc, 0, v2
	v_cndmask_b32_e32 v2, 0, v4, vcc
	v_add_u16_e32 v5, v2, v1
	v_cndmask_b32_e64 v2, 0, v5, s[6:7]
	v_add_u16_e32 v6, v2, v20
	v_cndmask_b32_e64 v2, 0, v6, s[8:9]
	;; [unrolled: 2-line block ×20, first 2 shown]
	v_add_u16_e32 v52, v2, v41
	s_branch .LBB581_235
.LBB581_193:
	s_or_b64 exec, exec, s[4:5]
                                        ; implicit-def: $vgpr32
	s_and_saveexec_b64 s[4:5], s[6:7]
	s_cbranch_execz .LBB581_53
.LBB581_194:
	v_add_co_u32_e32 v32, vcc, v23, v22
	v_addc_co_u32_e32 v33, vcc, 0, v39, vcc
	flat_load_ushort v32, v[32:33] offset:512
	s_or_b64 exec, exec, s[4:5]
                                        ; implicit-def: $vgpr33
	s_and_saveexec_b64 s[4:5], s[8:9]
	s_cbranch_execnz .LBB581_54
.LBB581_195:
	s_or_b64 exec, exec, s[4:5]
                                        ; implicit-def: $vgpr34
	s_and_saveexec_b64 s[4:5], s[10:11]
	s_cbranch_execz .LBB581_55
.LBB581_196:
	v_add_co_u32_e32 v34, vcc, v23, v22
	v_addc_co_u32_e32 v35, vcc, 0, v39, vcc
	flat_load_ushort v34, v[34:35] offset:1536
	s_or_b64 exec, exec, s[4:5]
                                        ; implicit-def: $vgpr35
	s_and_saveexec_b64 s[4:5], s[12:13]
	s_cbranch_execnz .LBB581_56
.LBB581_197:
	s_or_b64 exec, exec, s[4:5]
                                        ; implicit-def: $vgpr36
	s_and_saveexec_b64 s[4:5], s[14:15]
	s_cbranch_execz .LBB581_57
.LBB581_198:
	v_add_co_u32_e32 v36, vcc, v23, v22
	v_addc_co_u32_e32 v37, vcc, 0, v39, vcc
	flat_load_ushort v36, v[36:37] offset:2560
	s_or_b64 exec, exec, s[4:5]
                                        ; implicit-def: $vgpr37
	s_and_saveexec_b64 s[4:5], s[16:17]
	s_cbranch_execnz .LBB581_58
.LBB581_199:
	s_or_b64 exec, exec, s[4:5]
                                        ; implicit-def: $vgpr38
	s_and_saveexec_b64 s[4:5], s[18:19]
	s_cbranch_execz .LBB581_59
.LBB581_200:
	v_add_co_u32_e32 v40, vcc, v23, v22
	v_addc_co_u32_e32 v41, vcc, 0, v39, vcc
	flat_load_ushort v38, v[40:41] offset:3584
	s_or_b64 exec, exec, s[4:5]
                                        ; implicit-def: $vgpr40
	s_and_saveexec_b64 s[4:5], s[20:21]
	s_cbranch_execnz .LBB581_60
.LBB581_201:
	s_or_b64 exec, exec, s[4:5]
                                        ; implicit-def: $vgpr1
	s_and_saveexec_b64 s[4:5], s[22:23]
	s_cbranch_execz .LBB581_61
.LBB581_202:
	v_lshlrev_b32_e32 v1, 1, v2
	v_add_co_u32_e32 v46, vcc, v23, v1
	v_addc_co_u32_e32 v47, vcc, 0, v39, vcc
	flat_load_ushort v1, v[46:47]
	s_or_b64 exec, exec, s[4:5]
                                        ; implicit-def: $vgpr2
	s_and_saveexec_b64 s[4:5], s[24:25]
	s_cbranch_execnz .LBB581_62
.LBB581_203:
	s_or_b64 exec, exec, s[4:5]
                                        ; implicit-def: $vgpr3
	s_and_saveexec_b64 s[4:5], s[26:27]
	s_cbranch_execz .LBB581_63
.LBB581_204:
	v_lshlrev_b32_e32 v3, 1, v4
	v_add_co_u32_e32 v46, vcc, v23, v3
	v_addc_co_u32_e32 v47, vcc, 0, v39, vcc
	flat_load_ushort v3, v[46:47]
	s_or_b64 exec, exec, s[4:5]
                                        ; implicit-def: $vgpr4
	s_and_saveexec_b64 s[4:5], s[28:29]
	s_cbranch_execnz .LBB581_64
.LBB581_205:
	s_or_b64 exec, exec, s[4:5]
                                        ; implicit-def: $vgpr5
	s_and_saveexec_b64 s[4:5], s[30:31]
	s_cbranch_execz .LBB581_65
.LBB581_206:
	v_lshlrev_b32_e32 v5, 1, v20
	v_add_co_u32_e32 v46, vcc, v23, v5
	v_addc_co_u32_e32 v47, vcc, 0, v39, vcc
	flat_load_ushort v5, v[46:47]
	s_or_b64 exec, exec, s[4:5]
                                        ; implicit-def: $vgpr20
	s_and_saveexec_b64 s[4:5], s[34:35]
	s_cbranch_execnz .LBB581_66
.LBB581_207:
	s_or_b64 exec, exec, s[4:5]
                                        ; implicit-def: $vgpr21
	s_and_saveexec_b64 s[4:5], s[36:37]
	s_cbranch_execz .LBB581_67
.LBB581_208:
	v_lshlrev_b32_e32 v21, 1, v24
	v_add_co_u32_e32 v46, vcc, v23, v21
	v_addc_co_u32_e32 v47, vcc, 0, v39, vcc
	flat_load_ushort v21, v[46:47]
	s_or_b64 exec, exec, s[4:5]
                                        ; implicit-def: $vgpr24
	s_and_saveexec_b64 s[4:5], s[38:39]
	s_cbranch_execnz .LBB581_68
.LBB581_209:
	s_or_b64 exec, exec, s[4:5]
                                        ; implicit-def: $vgpr25
	s_and_saveexec_b64 s[4:5], s[40:41]
	s_cbranch_execz .LBB581_69
.LBB581_210:
	v_lshlrev_b32_e32 v25, 1, v26
	v_add_co_u32_e32 v46, vcc, v23, v25
	v_addc_co_u32_e32 v47, vcc, 0, v39, vcc
	flat_load_ushort v25, v[46:47]
	s_or_b64 exec, exec, s[4:5]
                                        ; implicit-def: $vgpr26
	s_and_saveexec_b64 s[4:5], s[42:43]
	s_cbranch_execnz .LBB581_70
.LBB581_211:
	s_or_b64 exec, exec, s[4:5]
                                        ; implicit-def: $vgpr27
	s_and_saveexec_b64 s[4:5], s[44:45]
	s_cbranch_execz .LBB581_71
.LBB581_212:
	v_lshlrev_b32_e32 v27, 1, v28
	v_add_co_u32_e32 v46, vcc, v23, v27
	v_addc_co_u32_e32 v47, vcc, 0, v39, vcc
	flat_load_ushort v27, v[46:47]
	s_or_b64 exec, exec, s[4:5]
                                        ; implicit-def: $vgpr28
	s_and_saveexec_b64 s[4:5], s[46:47]
	s_cbranch_execz .LBB581_73
	s_branch .LBB581_72
.LBB581_213:
                                        ; implicit-def: $vgpr4
                                        ; implicit-def: $vgpr5
                                        ; implicit-def: $vgpr6
                                        ; implicit-def: $vgpr7
                                        ; implicit-def: $vgpr8
                                        ; implicit-def: $vgpr9
                                        ; implicit-def: $vgpr12
                                        ; implicit-def: $vgpr13
                                        ; implicit-def: $vgpr18
                                        ; implicit-def: $vgpr19
                                        ; implicit-def: $vgpr23
                                        ; implicit-def: $vgpr39
                                        ; implicit-def: $vgpr43
                                        ; implicit-def: $vgpr44
                                        ; implicit-def: $vgpr45
                                        ; implicit-def: $vgpr46
                                        ; implicit-def: $vgpr47
                                        ; implicit-def: $vgpr48
                                        ; implicit-def: $vgpr49
                                        ; implicit-def: $vgpr50
                                        ; implicit-def: $vgpr51
                                        ; implicit-def: $vgpr52
	s_cbranch_execz .LBB581_235
; %bb.214:
	s_cmp_lg_u64 s[68:69], 0
	s_cselect_b32 s5, s67, 0
	s_cselect_b32 s4, s66, 0
	s_cmp_eq_u64 s[4:5], 0
	v_mov_b32_e32 v2, s70
	s_cbranch_scc1 .LBB581_216
; %bb.215:
	v_mov_b32_e32 v2, 0
	global_load_ushort v2, v2, s[4:5]
.LBB581_216:
	s_mov_b32 s4, 0x10000
	v_cmp_gt_u32_e32 vcc, s4, v20
	v_cndmask_b32_e32 v3, 0, v1, vcc
	v_add_u16_e32 v3, v3, v20
	v_cmp_gt_u32_e64 s[6:7], s4, v24
	v_cndmask_b32_e64 v3, 0, v3, s[6:7]
	v_add_u16_e32 v3, v3, v24
	v_cmp_gt_u32_e64 s[8:9], s4, v21
	v_cndmask_b32_e64 v3, 0, v3, s[8:9]
	;; [unrolled: 3-line block ×20, first 2 shown]
	v_add_u16_e32 v4, v3, v14
	v_or3_b32 v3, v17, v37, v36
	v_or3_b32 v3, v3, v35, v34
	;; [unrolled: 1-line block ×8, first 2 shown]
	v_and_b32_e32 v3, 0x10000, v3
	v_cmp_ne_u32_e64 s[4:5], 0, v3
	v_mov_b32_e32 v8, 0x10000
	v_cndmask_b32_e64 v5, v15, 1, s[4:5]
	v_add_lshl_u32 v3, v16, v0, 2
	v_cmp_gt_u32_e64 s[4:5], 64, v0
	ds_write_b16 v3, v4
	ds_write_b8 v3, v5 offset:2
	s_waitcnt lgkmcnt(0)
	s_barrier
	s_and_saveexec_b64 s[46:47], s[4:5]
	s_cbranch_execz .LBB581_230
; %bb.217:
	v_lshlrev_b32_e32 v3, 2, v0
	v_lshrrev_b32_e32 v6, 3, v0
	v_add_lshl_u32 v3, v6, v3, 2
	ds_read_b32 v6, v3
	ds_read_u16 v7, v3 offset:4
	ds_read_u8 v9, v3 offset:6
	ds_read_u16 v12, v3 offset:8
	ds_read_u8 v13, v3 offset:10
	;; [unrolled: 2-line block ×3, first 2 shown]
	v_mov_b32_e32 v16, 0
	s_waitcnt lgkmcnt(4)
	v_cmp_eq_u16_sdwa s[4:5], v9, v16 src0_sel:BYTE_0 src1_sel:DWORD
	v_cndmask_b32_e64 v17, 0, v6, s[4:5]
	v_add_u16_e32 v17, v17, v7
	s_waitcnt lgkmcnt(2)
	v_cmp_eq_u16_sdwa s[4:5], v13, v16 src0_sel:BYTE_0 src1_sel:DWORD
	s_waitcnt lgkmcnt(0)
	v_or_b32_e32 v13, v15, v13
	v_cndmask_b32_e64 v16, 0, v17, s[4:5]
	v_or_b32_e32 v9, v13, v9
	v_add_u16_e32 v12, v16, v12
	v_cmp_eq_u16_e64 s[4:5], 0, v15
	v_and_b32_e32 v9, 1, v9
	v_and_b32_e32 v7, 0x10000, v6
	v_cndmask_b32_e64 v16, 0, v12, s[4:5]
	v_cmp_eq_u32_e64 s[4:5], 1, v9
	v_mbcnt_lo_u32_b32 v9, -1, 0
	v_add_u16_e32 v12, v16, v14
	v_cndmask_b32_e64 v17, v7, v8, s[4:5]
	v_add_u16_e32 v14, v16, v14
	v_and_b32_e32 v8, 0xff000000, v6
	v_mbcnt_hi_u32_b32 v9, -1, v9
	v_or_b32_e32 v15, v17, v8
	v_and_b32_e32 v16, 15, v9
	v_or3_b32 v14, v8, v14, v17
	s_movk_i32 s52, 0xff
	v_lshrrev_b32_e32 v13, 16, v15
	v_mov_b32_dpp v17, v14 row_shr:1 row_mask:0xf bank_mask:0xf
	v_cmp_ne_u32_e64 s[4:5], 0, v16
	s_and_saveexec_b64 s[48:49], s[4:5]
	s_cbranch_execz .LBB581_219
; %bb.218:
	v_and_b32_sdwa v13, v15, s52 dst_sel:DWORD dst_unused:UNUSED_PAD src0_sel:WORD_1 src1_sel:DWORD
	v_cmp_eq_u16_e64 s[4:5], 0, v13
	v_and_b32_e32 v13, 0x10000, v15
	v_mov_b32_e32 v15, 1
	v_cndmask_b32_e64 v14, 0, v17, s[4:5]
	v_and_b32_sdwa v15, v17, v15 dst_sel:DWORD dst_unused:UNUSED_PAD src0_sel:WORD_1 src1_sel:DWORD
	v_cmp_ne_u32_e64 s[4:5], 0, v13
	v_cndmask_b32_e64 v13, v15, 1, s[4:5]
	v_add_u16_e32 v18, v14, v12
	v_lshlrev_b32_e32 v15, 16, v13
	v_add_u16_e32 v12, v14, v12
	v_or3_b32 v14, v15, v12, v8
	v_mov_b32_e32 v12, v18
.LBB581_219:
	s_or_b64 exec, exec, s[48:49]
	v_lshrrev_b32_e32 v15, 16, v14
	v_mov_b32_dpp v17, v14 row_shr:2 row_mask:0xf bank_mask:0xf
	v_cmp_lt_u32_e64 s[4:5], 1, v16
	s_and_saveexec_b64 s[48:49], s[4:5]
	s_cbranch_execz .LBB581_221
; %bb.220:
	v_mov_b32_e32 v13, 0
	v_cmp_eq_u16_sdwa s[4:5], v15, v13 src0_sel:BYTE_0 src1_sel:DWORD
	v_and_b32_e32 v13, 0x10000, v14
	v_mov_b32_e32 v14, 1
	v_cndmask_b32_e64 v15, 0, v17, s[4:5]
	v_and_b32_sdwa v14, v17, v14 dst_sel:DWORD dst_unused:UNUSED_PAD src0_sel:WORD_1 src1_sel:DWORD
	v_cmp_ne_u32_e64 s[4:5], 0, v13
	v_cndmask_b32_e64 v13, v14, 1, s[4:5]
	v_add_u16_e32 v18, v15, v12
	v_lshlrev_b32_e32 v14, 16, v13
	v_add_u16_e32 v12, v15, v12
	v_or3_b32 v14, v14, v12, v8
	v_mov_b32_e32 v15, v13
	v_mov_b32_e32 v12, v18
.LBB581_221:
	s_or_b64 exec, exec, s[48:49]
	v_mov_b32_dpp v17, v14 row_shr:4 row_mask:0xf bank_mask:0xf
	v_cmp_lt_u32_e64 s[4:5], 3, v16
	s_and_saveexec_b64 s[48:49], s[4:5]
	s_cbranch_execz .LBB581_223
; %bb.222:
	v_mov_b32_e32 v13, 0
	v_cmp_eq_u16_sdwa s[4:5], v15, v13 src0_sel:BYTE_0 src1_sel:DWORD
	v_and_b32_e32 v13, 1, v15
	v_mov_b32_e32 v15, 1
	v_cndmask_b32_e64 v14, 0, v17, s[4:5]
	v_and_b32_sdwa v15, v17, v15 dst_sel:DWORD dst_unused:UNUSED_PAD src0_sel:WORD_1 src1_sel:DWORD
	v_cmp_eq_u32_e64 s[4:5], 1, v13
	v_cndmask_b32_e64 v13, v15, 1, s[4:5]
	v_add_u16_e32 v18, v14, v12
	v_lshlrev_b32_e32 v15, 16, v13
	v_add_u16_e32 v12, v14, v12
	v_or3_b32 v14, v15, v12, v8
	v_mov_b32_e32 v15, v13
	v_mov_b32_e32 v12, v18
.LBB581_223:
	s_or_b64 exec, exec, s[48:49]
	v_mov_b32_dpp v17, v14 row_shr:8 row_mask:0xf bank_mask:0xf
	v_cmp_lt_u32_e64 s[4:5], 7, v16
	s_and_saveexec_b64 s[48:49], s[4:5]
	s_cbranch_execz .LBB581_225
; %bb.224:
	v_mov_b32_e32 v13, 0
	v_cmp_eq_u16_sdwa s[4:5], v15, v13 src0_sel:BYTE_0 src1_sel:DWORD
	v_and_b32_e32 v13, 1, v15
	v_mov_b32_e32 v15, 1
	v_cndmask_b32_e64 v14, 0, v17, s[4:5]
	v_and_b32_sdwa v15, v17, v15 dst_sel:DWORD dst_unused:UNUSED_PAD src0_sel:WORD_1 src1_sel:DWORD
	v_cmp_eq_u32_e64 s[4:5], 1, v13
	v_cndmask_b32_e64 v13, v15, 1, s[4:5]
	v_add_u16_e32 v16, v14, v12
	v_lshlrev_b32_e32 v15, 16, v13
	v_add_u16_e32 v12, v14, v12
	v_or3_b32 v14, v15, v12, v8
	v_mov_b32_e32 v15, v13
	v_mov_b32_e32 v12, v16
.LBB581_225:
	s_or_b64 exec, exec, s[48:49]
	v_and_b32_e32 v17, 16, v9
	v_mov_b32_dpp v16, v14 row_bcast:15 row_mask:0xf bank_mask:0xf
	v_cmp_ne_u32_e64 s[4:5], 0, v17
	s_and_saveexec_b64 s[48:49], s[4:5]
	s_cbranch_execz .LBB581_227
; %bb.226:
	v_mov_b32_e32 v13, 0
	v_cmp_eq_u16_sdwa s[4:5], v15, v13 src0_sel:BYTE_0 src1_sel:DWORD
	v_and_b32_e32 v13, 1, v15
	v_mov_b32_e32 v15, 1
	v_cndmask_b32_e64 v14, 0, v16, s[4:5]
	v_and_b32_sdwa v15, v16, v15 dst_sel:DWORD dst_unused:UNUSED_PAD src0_sel:WORD_1 src1_sel:DWORD
	v_cmp_eq_u32_e64 s[4:5], 1, v13
	v_cndmask_b32_e64 v13, v15, 1, s[4:5]
	v_add_u16_e32 v17, v14, v12
	v_lshlrev_b32_e32 v15, 16, v13
	v_add_u16_e32 v12, v14, v12
	v_or3_b32 v14, v15, v12, v8
	v_mov_b32_e32 v15, v13
	v_mov_b32_e32 v12, v17
.LBB581_227:
	s_or_b64 exec, exec, s[48:49]
	v_mov_b32_dpp v14, v14 row_bcast:31 row_mask:0xf bank_mask:0xf
	v_cmp_lt_u32_e64 s[4:5], 31, v9
	s_and_saveexec_b64 s[48:49], s[4:5]
; %bb.228:
	v_mov_b32_e32 v13, 0
	v_cmp_eq_u16_sdwa s[4:5], v15, v13 src0_sel:BYTE_0 src1_sel:DWORD
	v_cndmask_b32_e64 v13, 0, v14, s[4:5]
	v_add_u16_e32 v12, v13, v12
	v_and_b32_e32 v13, 1, v15
	v_mov_b32_e32 v15, 1
	v_and_b32_sdwa v14, v14, v15 dst_sel:DWORD dst_unused:UNUSED_PAD src0_sel:WORD_1 src1_sel:DWORD
	v_cmp_eq_u32_e64 s[4:5], 1, v13
	v_cndmask_b32_e64 v13, v14, 1, s[4:5]
; %bb.229:
	s_or_b64 exec, exec, s[48:49]
	v_and_b32_e32 v13, 0xff, v13
	v_lshlrev_b32_e32 v13, 16, v13
	v_and_b32_e32 v12, 0xffff, v12
	v_or3_b32 v8, v13, v12, v8
	v_add_u32_e32 v12, -1, v9
	v_and_b32_e32 v13, 64, v9
	v_cmp_lt_i32_e64 s[4:5], v12, v13
	v_cndmask_b32_e64 v9, v12, v9, s[4:5]
	v_lshlrev_b32_e32 v9, 2, v9
	ds_bpermute_b32 v8, v9, v8
	v_and_b32_e32 v9, 0xff0000, v6
	v_cmp_eq_u32_e64 s[4:5], 0, v9
	; wave barrier
	s_waitcnt lgkmcnt(0)
	v_cndmask_b32_e64 v9, 0, v8, s[4:5]
	v_add_u16_e32 v6, v9, v6
	v_mov_b32_e32 v9, 1
	v_and_b32_sdwa v8, v8, v9 dst_sel:DWORD dst_unused:UNUSED_PAD src0_sel:WORD_1 src1_sel:DWORD
	v_cmp_eq_u32_e64 s[4:5], 0, v7
	v_cndmask_b32_e64 v7, 1, v8, s[4:5]
	v_cndmask_b32_e64 v4, v6, v4, s[0:1]
	;; [unrolled: 1-line block ×3, first 2 shown]
	ds_write_b16 v3, v4
	ds_write_b8 v3, v5 offset:2
	; wave barrier
	ds_read_u16 v6, v3 offset:4
	ds_read_u8 v7, v3 offset:6
	ds_read_u16 v8, v3 offset:8
	ds_read_u8 v9, v3 offset:10
	;; [unrolled: 2-line block ×3, first 2 shown]
	s_waitcnt lgkmcnt(4)
	v_cmp_eq_u16_e64 s[4:5], 0, v7
	v_cndmask_b32_e64 v4, 0, v4, s[4:5]
	v_add_u16_e32 v4, v4, v6
	v_and_b32_e32 v6, 1, v7
	v_cmp_eq_u32_e64 s[4:5], 1, v6
	v_cndmask_b32_e64 v5, v5, 1, s[4:5]
	s_waitcnt lgkmcnt(2)
	v_cmp_eq_u16_e64 s[4:5], 0, v9
	v_and_b32_e32 v6, 1, v9
	ds_write_b16 v3, v4 offset:4
	ds_write_b8 v3, v5 offset:6
	v_cndmask_b32_e64 v4, 0, v4, s[4:5]
	v_cmp_eq_u32_e64 s[4:5], 1, v6
	v_add_u16_e32 v4, v4, v8
	v_cndmask_b32_e64 v5, v5, 1, s[4:5]
	s_waitcnt lgkmcnt(2)
	v_cmp_eq_u16_e64 s[4:5], 0, v13
	ds_write_b16 v3, v4 offset:8
	ds_write_b8 v3, v5 offset:10
	v_cndmask_b32_e64 v4, 0, v4, s[4:5]
	v_and_b32_e32 v6, 1, v13
	v_add_u16_e32 v4, v4, v12
	v_cmp_eq_u32_e64 s[4:5], 1, v6
	v_cndmask_b32_e64 v5, v5, 1, s[4:5]
	ds_write_b16 v3, v4 offset:12
	ds_write_b8 v3, v5 offset:14
.LBB581_230:
	s_or_b64 exec, exec, s[46:47]
	s_waitcnt vmcnt(0)
	v_mov_b32_e32 v4, v2
	s_waitcnt lgkmcnt(0)
	s_barrier
	s_and_saveexec_b64 s[46:47], s[50:51]
	s_cbranch_execz .LBB581_232
; %bb.231:
	v_add_u32_e32 v3, -1, v0
	v_lshrrev_b32_e32 v4, 5, v3
	v_add_lshl_u32 v3, v4, v3, 2
	ds_read_u8 v4, v3 offset:2
	ds_read_u16 v3, v3
	s_waitcnt lgkmcnt(1)
	v_cmp_eq_u16_e64 s[4:5], 0, v4
	v_cndmask_b32_e64 v4, 0, v2, s[4:5]
	s_waitcnt lgkmcnt(0)
	v_add_u16_e32 v4, v4, v3
.LBB581_232:
	s_or_b64 exec, exec, s[46:47]
	v_and_b32_e32 v3, 0xff0000, v1
	v_cmp_eq_u32_e64 s[4:5], 0, v3
	v_cndmask_b32_e64 v3, 0, v4, s[4:5]
	v_add_u16_e32 v5, v3, v1
	v_cndmask_b32_e32 v1, 0, v5, vcc
	v_add_u16_e32 v6, v1, v20
	v_cndmask_b32_e64 v1, 0, v6, s[6:7]
	v_add_u16_e32 v7, v1, v24
	v_cndmask_b32_e64 v1, 0, v7, s[8:9]
	;; [unrolled: 2-line block ×19, first 2 shown]
	s_and_saveexec_b64 s[4:5], s[0:1]
	s_cbranch_execz .LBB581_234
; %bb.233:
	v_mov_b32_e32 v14, 0
	ds_read_u8 v3, v14 offset:1050
	ds_read_u16 v15, v14 offset:1048
	s_waitcnt lgkmcnt(1)
	v_cmp_eq_u32_e32 vcc, 0, v3
	v_cndmask_b32_e32 v2, 0, v2, vcc
	v_lshlrev_b32_e32 v16, 16, v3
	s_waitcnt lgkmcnt(0)
	v_add_u32_e32 v2, v2, v15
	v_or_b32_sdwa v2, v16, v2 dst_sel:DWORD dst_unused:UNUSED_PAD src0_sel:DWORD src1_sel:WORD_0
	v_mov_b32_e32 v3, 2
	global_store_dwordx2 v14, v[2:3], s[60:61] offset:512
.LBB581_234:
	s_or_b64 exec, exec, s[4:5]
	v_add_u16_e32 v52, v1, v41
.LBB581_235:
	s_add_u32 s0, s58, s54
	s_addc_u32 s1, s59, s55
	v_mov_b32_e32 v1, s1
	v_add_co_u32_e32 v10, vcc, s0, v10
	v_addc_co_u32_e32 v11, vcc, v1, v11, vcc
	v_mul_u32_u24_e32 v1, 22, v0
	s_and_b64 vcc, exec, s[2:3]
	v_lshlrev_b32_e32 v14, 1, v1
	s_cbranch_vccz .LBB581_279
; %bb.236:
	s_mov_b32 s0, 0x5040100
	v_perm_b32 v1, v7, v6, s0
	v_perm_b32 v2, v5, v4, s0
	s_barrier
	ds_write2_b32 v14, v2, v1 offset1:1
	v_perm_b32 v1, v13, v12, s0
	v_perm_b32 v2, v9, v8, s0
	ds_write2_b32 v14, v2, v1 offset0:2 offset1:3
	v_perm_b32 v1, v39, v23, s0
	v_perm_b32 v2, v19, v18, s0
	ds_write2_b32 v14, v2, v1 offset0:4 offset1:5
	;; [unrolled: 3-line block ×4, first 2 shown]
	v_perm_b32 v1, v52, v51, s0
	s_movk_i32 s0, 0xffd6
	v_mad_i32_i24 v2, v0, s0, v14
	ds_write_b32 v14, v1 offset:40
	s_waitcnt lgkmcnt(0)
	s_barrier
	ds_read_u16 v38, v2 offset:512
	ds_read_u16 v37, v2 offset:1024
	;; [unrolled: 1-line block ×21, first 2 shown]
	v_add_co_u32_e32 v2, vcc, v10, v42
	s_add_i32 s33, s33, s62
	v_addc_co_u32_e32 v3, vcc, 0, v11, vcc
	v_mov_b32_e32 v1, 0
	v_cmp_gt_u32_e32 vcc, s33, v0
	s_and_saveexec_b64 s[0:1], vcc
	s_cbranch_execz .LBB581_238
; %bb.237:
	v_mul_i32_i24_e32 v40, 0xffffffd6, v0
	v_add_u32_e32 v40, v14, v40
	ds_read_u16 v40, v40
	s_waitcnt lgkmcnt(0)
	flat_store_short v[2:3], v40
.LBB581_238:
	s_or_b64 exec, exec, s[0:1]
	v_or_b32_e32 v40, 0x100, v0
	v_cmp_gt_u32_e32 vcc, s33, v40
	s_and_saveexec_b64 s[0:1], vcc
	s_cbranch_execz .LBB581_240
; %bb.239:
	s_waitcnt lgkmcnt(0)
	flat_store_short v[2:3], v38 offset:512
.LBB581_240:
	s_or_b64 exec, exec, s[0:1]
	s_waitcnt lgkmcnt(0)
	v_or_b32_e32 v38, 0x200, v0
	v_cmp_gt_u32_e32 vcc, s33, v38
	s_and_saveexec_b64 s[0:1], vcc
	s_cbranch_execz .LBB581_242
; %bb.241:
	flat_store_short v[2:3], v37 offset:1024
.LBB581_242:
	s_or_b64 exec, exec, s[0:1]
	v_or_b32_e32 v37, 0x300, v0
	v_cmp_gt_u32_e32 vcc, s33, v37
	s_and_saveexec_b64 s[0:1], vcc
	s_cbranch_execz .LBB581_244
; %bb.243:
	flat_store_short v[2:3], v36 offset:1536
.LBB581_244:
	s_or_b64 exec, exec, s[0:1]
	v_or_b32_e32 v36, 0x400, v0
	v_cmp_gt_u32_e32 vcc, s33, v36
	s_and_saveexec_b64 s[0:1], vcc
	s_cbranch_execz .LBB581_246
; %bb.245:
	flat_store_short v[2:3], v35 offset:2048
.LBB581_246:
	s_or_b64 exec, exec, s[0:1]
	v_or_b32_e32 v35, 0x500, v0
	v_cmp_gt_u32_e32 vcc, s33, v35
	s_and_saveexec_b64 s[0:1], vcc
	s_cbranch_execz .LBB581_248
; %bb.247:
	flat_store_short v[2:3], v34 offset:2560
.LBB581_248:
	s_or_b64 exec, exec, s[0:1]
	v_or_b32_e32 v34, 0x600, v0
	v_cmp_gt_u32_e32 vcc, s33, v34
	s_and_saveexec_b64 s[0:1], vcc
	s_cbranch_execz .LBB581_250
; %bb.249:
	flat_store_short v[2:3], v33 offset:3072
.LBB581_250:
	s_or_b64 exec, exec, s[0:1]
	v_or_b32_e32 v33, 0x700, v0
	v_cmp_gt_u32_e32 vcc, s33, v33
	s_and_saveexec_b64 s[0:1], vcc
	s_cbranch_execz .LBB581_252
; %bb.251:
	flat_store_short v[2:3], v32 offset:3584
.LBB581_252:
	s_or_b64 exec, exec, s[0:1]
	v_or_b32_e32 v32, 0x800, v0
	v_cmp_gt_u32_e32 vcc, s33, v32
	s_and_saveexec_b64 s[0:1], vcc
	s_cbranch_execz .LBB581_254
; %bb.253:
	v_add_co_u32_e32 v32, vcc, 0x1000, v2
	v_addc_co_u32_e32 v33, vcc, 0, v3, vcc
	flat_store_short v[32:33], v31
.LBB581_254:
	s_or_b64 exec, exec, s[0:1]
	v_or_b32_e32 v31, 0x900, v0
	v_cmp_gt_u32_e32 vcc, s33, v31
	s_and_saveexec_b64 s[0:1], vcc
	s_cbranch_execz .LBB581_256
; %bb.255:
	v_add_co_u32_e32 v32, vcc, 0x1000, v2
	v_addc_co_u32_e32 v33, vcc, 0, v3, vcc
	flat_store_short v[32:33], v30 offset:512
.LBB581_256:
	s_or_b64 exec, exec, s[0:1]
	v_or_b32_e32 v30, 0xa00, v0
	v_cmp_gt_u32_e32 vcc, s33, v30
	s_and_saveexec_b64 s[0:1], vcc
	s_cbranch_execz .LBB581_258
; %bb.257:
	v_add_co_u32_e32 v30, vcc, 0x1000, v2
	v_addc_co_u32_e32 v31, vcc, 0, v3, vcc
	flat_store_short v[30:31], v29 offset:1024
.LBB581_258:
	;; [unrolled: 10-line block ×7, first 2 shown]
	s_or_b64 exec, exec, s[0:1]
	v_or_b32_e32 v24, 0x1000, v0
	v_cmp_gt_u32_e32 vcc, s33, v24
	s_and_saveexec_b64 s[0:1], vcc
	s_cbranch_execz .LBB581_270
; %bb.269:
	v_add_co_u32_e32 v24, vcc, 0x2000, v2
	v_addc_co_u32_e32 v25, vcc, 0, v3, vcc
	flat_store_short v[24:25], v22
.LBB581_270:
	s_or_b64 exec, exec, s[0:1]
	v_or_b32_e32 v22, 0x1100, v0
	v_cmp_gt_u32_e32 vcc, s33, v22
	s_and_saveexec_b64 s[0:1], vcc
	s_cbranch_execz .LBB581_272
; %bb.271:
	v_add_co_u32_e32 v24, vcc, 0x2000, v2
	v_addc_co_u32_e32 v25, vcc, 0, v3, vcc
	flat_store_short v[24:25], v21 offset:512
.LBB581_272:
	s_or_b64 exec, exec, s[0:1]
	v_or_b32_e32 v21, 0x1200, v0
	v_cmp_gt_u32_e32 vcc, s33, v21
	s_and_saveexec_b64 s[0:1], vcc
	s_cbranch_execz .LBB581_274
; %bb.273:
	v_add_co_u32_e32 v24, vcc, 0x2000, v2
	v_addc_co_u32_e32 v25, vcc, 0, v3, vcc
	flat_store_short v[24:25], v20 offset:1024
.LBB581_274:
	;; [unrolled: 10-line block ×4, first 2 shown]
	s_or_b64 exec, exec, s[0:1]
	v_or_b32_e32 v2, 0x1500, v0
	v_cmp_gt_u32_e64 s[0:1], s33, v2
	s_branch .LBB581_281
.LBB581_279:
	s_mov_b64 s[0:1], 0
                                        ; implicit-def: $vgpr15
	s_cbranch_execz .LBB581_281
; %bb.280:
	s_mov_b32 s2, 0x5040100
	v_perm_b32 v1, v7, v6, s2
	v_perm_b32 v2, v5, v4, s2
	s_waitcnt lgkmcnt(0)
	s_barrier
	ds_write2_b32 v14, v2, v1 offset1:1
	v_perm_b32 v1, v13, v12, s2
	v_perm_b32 v2, v9, v8, s2
	ds_write2_b32 v14, v2, v1 offset0:2 offset1:3
	v_perm_b32 v1, v39, v23, s2
	v_perm_b32 v2, v19, v18, s2
	ds_write2_b32 v14, v2, v1 offset0:4 offset1:5
	;; [unrolled: 3-line block ×4, first 2 shown]
	v_perm_b32 v1, v52, v51, s2
	s_movk_i32 s2, 0xffd6
	v_mad_i32_i24 v2, v0, s2, v14
	ds_write_b32 v14, v1 offset:40
	s_waitcnt lgkmcnt(0)
	s_barrier
	ds_read_u16 v4, v2
	ds_read_u16 v5, v2 offset:512
	ds_read_u16 v6, v2 offset:1024
	;; [unrolled: 1-line block ×21, first 2 shown]
	v_add_co_u32_e32 v2, vcc, v10, v42
	v_addc_co_u32_e32 v3, vcc, 0, v11, vcc
	s_movk_i32 s2, 0x1000
	s_waitcnt lgkmcnt(0)
	flat_store_short v[2:3], v4
	flat_store_short v[2:3], v5 offset:512
	flat_store_short v[2:3], v6 offset:1024
	;; [unrolled: 1-line block ×7, first 2 shown]
	v_add_co_u32_e32 v4, vcc, s2, v2
	v_addc_co_u32_e32 v5, vcc, 0, v3, vcc
	v_add_co_u32_e32 v2, vcc, 0x2000, v2
	v_mov_b32_e32 v1, 0
	v_addc_co_u32_e32 v3, vcc, 0, v3, vcc
	s_or_b64 s[0:1], s[0:1], exec
	flat_store_short v[4:5], v14
	flat_store_short v[4:5], v16 offset:512
	flat_store_short v[4:5], v17 offset:1024
	;; [unrolled: 1-line block ×7, first 2 shown]
	flat_store_short v[2:3], v23
	flat_store_short v[2:3], v24 offset:512
	flat_store_short v[2:3], v25 offset:1024
	;; [unrolled: 1-line block ×4, first 2 shown]
.LBB581_281:
	s_and_saveexec_b64 s[2:3], s[0:1]
	s_cbranch_execz .LBB581_283
; %bb.282:
	v_lshlrev_b64 v[0:1], 1, v[0:1]
	v_add_co_u32_e32 v0, vcc, v10, v0
	v_addc_co_u32_e32 v1, vcc, v11, v1, vcc
	v_add_co_u32_e32 v0, vcc, 0x2000, v0
	v_addc_co_u32_e32 v1, vcc, 0, v1, vcc
	flat_store_short v[0:1], v15 offset:2560
	s_endpgm
.LBB581_283:
	s_endpgm
	.section	.rodata,"a",@progbits
	.p2align	6, 0x0
	.amdhsa_kernel _ZN7rocprim17ROCPRIM_400000_NS6detail17trampoline_kernelINS0_14default_configENS1_27scan_by_key_config_selectorIssEEZZNS1_16scan_by_key_implILNS1_25lookback_scan_determinismE0ELb1ES3_N6thrust23THRUST_200600_302600_NS6detail15normal_iteratorINS9_10device_ptrIsEEEESE_SE_sNS9_4plusIvEENS9_8equal_toIvEEsEE10hipError_tPvRmT2_T3_T4_T5_mT6_T7_P12ihipStream_tbENKUlT_T0_E_clISt17integral_constantIbLb1EESZ_EEDaSU_SV_EUlSU_E_NS1_11comp_targetILNS1_3genE4ELNS1_11target_archE910ELNS1_3gpuE8ELNS1_3repE0EEENS1_30default_config_static_selectorELNS0_4arch9wavefront6targetE1EEEvT1_
		.amdhsa_group_segment_fixed_size 12288
		.amdhsa_private_segment_fixed_size 0
		.amdhsa_kernarg_size 112
		.amdhsa_user_sgpr_count 6
		.amdhsa_user_sgpr_private_segment_buffer 1
		.amdhsa_user_sgpr_dispatch_ptr 0
		.amdhsa_user_sgpr_queue_ptr 0
		.amdhsa_user_sgpr_kernarg_segment_ptr 1
		.amdhsa_user_sgpr_dispatch_id 0
		.amdhsa_user_sgpr_flat_scratch_init 0
		.amdhsa_user_sgpr_kernarg_preload_length 0
		.amdhsa_user_sgpr_kernarg_preload_offset 0
		.amdhsa_user_sgpr_private_segment_size 0
		.amdhsa_uses_dynamic_stack 0
		.amdhsa_system_sgpr_private_segment_wavefront_offset 0
		.amdhsa_system_sgpr_workgroup_id_x 1
		.amdhsa_system_sgpr_workgroup_id_y 0
		.amdhsa_system_sgpr_workgroup_id_z 0
		.amdhsa_system_sgpr_workgroup_info 0
		.amdhsa_system_vgpr_workitem_id 0
		.amdhsa_next_free_vgpr 60
		.amdhsa_next_free_sgpr 74
		.amdhsa_accum_offset 60
		.amdhsa_reserve_vcc 1
		.amdhsa_reserve_flat_scratch 0
		.amdhsa_float_round_mode_32 0
		.amdhsa_float_round_mode_16_64 0
		.amdhsa_float_denorm_mode_32 3
		.amdhsa_float_denorm_mode_16_64 3
		.amdhsa_dx10_clamp 1
		.amdhsa_ieee_mode 1
		.amdhsa_fp16_overflow 0
		.amdhsa_tg_split 0
		.amdhsa_exception_fp_ieee_invalid_op 0
		.amdhsa_exception_fp_denorm_src 0
		.amdhsa_exception_fp_ieee_div_zero 0
		.amdhsa_exception_fp_ieee_overflow 0
		.amdhsa_exception_fp_ieee_underflow 0
		.amdhsa_exception_fp_ieee_inexact 0
		.amdhsa_exception_int_div_zero 0
	.end_amdhsa_kernel
	.section	.text._ZN7rocprim17ROCPRIM_400000_NS6detail17trampoline_kernelINS0_14default_configENS1_27scan_by_key_config_selectorIssEEZZNS1_16scan_by_key_implILNS1_25lookback_scan_determinismE0ELb1ES3_N6thrust23THRUST_200600_302600_NS6detail15normal_iteratorINS9_10device_ptrIsEEEESE_SE_sNS9_4plusIvEENS9_8equal_toIvEEsEE10hipError_tPvRmT2_T3_T4_T5_mT6_T7_P12ihipStream_tbENKUlT_T0_E_clISt17integral_constantIbLb1EESZ_EEDaSU_SV_EUlSU_E_NS1_11comp_targetILNS1_3genE4ELNS1_11target_archE910ELNS1_3gpuE8ELNS1_3repE0EEENS1_30default_config_static_selectorELNS0_4arch9wavefront6targetE1EEEvT1_,"axG",@progbits,_ZN7rocprim17ROCPRIM_400000_NS6detail17trampoline_kernelINS0_14default_configENS1_27scan_by_key_config_selectorIssEEZZNS1_16scan_by_key_implILNS1_25lookback_scan_determinismE0ELb1ES3_N6thrust23THRUST_200600_302600_NS6detail15normal_iteratorINS9_10device_ptrIsEEEESE_SE_sNS9_4plusIvEENS9_8equal_toIvEEsEE10hipError_tPvRmT2_T3_T4_T5_mT6_T7_P12ihipStream_tbENKUlT_T0_E_clISt17integral_constantIbLb1EESZ_EEDaSU_SV_EUlSU_E_NS1_11comp_targetILNS1_3genE4ELNS1_11target_archE910ELNS1_3gpuE8ELNS1_3repE0EEENS1_30default_config_static_selectorELNS0_4arch9wavefront6targetE1EEEvT1_,comdat
.Lfunc_end581:
	.size	_ZN7rocprim17ROCPRIM_400000_NS6detail17trampoline_kernelINS0_14default_configENS1_27scan_by_key_config_selectorIssEEZZNS1_16scan_by_key_implILNS1_25lookback_scan_determinismE0ELb1ES3_N6thrust23THRUST_200600_302600_NS6detail15normal_iteratorINS9_10device_ptrIsEEEESE_SE_sNS9_4plusIvEENS9_8equal_toIvEEsEE10hipError_tPvRmT2_T3_T4_T5_mT6_T7_P12ihipStream_tbENKUlT_T0_E_clISt17integral_constantIbLb1EESZ_EEDaSU_SV_EUlSU_E_NS1_11comp_targetILNS1_3genE4ELNS1_11target_archE910ELNS1_3gpuE8ELNS1_3repE0EEENS1_30default_config_static_selectorELNS0_4arch9wavefront6targetE1EEEvT1_, .Lfunc_end581-_ZN7rocprim17ROCPRIM_400000_NS6detail17trampoline_kernelINS0_14default_configENS1_27scan_by_key_config_selectorIssEEZZNS1_16scan_by_key_implILNS1_25lookback_scan_determinismE0ELb1ES3_N6thrust23THRUST_200600_302600_NS6detail15normal_iteratorINS9_10device_ptrIsEEEESE_SE_sNS9_4plusIvEENS9_8equal_toIvEEsEE10hipError_tPvRmT2_T3_T4_T5_mT6_T7_P12ihipStream_tbENKUlT_T0_E_clISt17integral_constantIbLb1EESZ_EEDaSU_SV_EUlSU_E_NS1_11comp_targetILNS1_3genE4ELNS1_11target_archE910ELNS1_3gpuE8ELNS1_3repE0EEENS1_30default_config_static_selectorELNS0_4arch9wavefront6targetE1EEEvT1_
                                        ; -- End function
	.section	.AMDGPU.csdata,"",@progbits
; Kernel info:
; codeLenInByte = 16228
; NumSgprs: 78
; NumVgprs: 60
; NumAgprs: 0
; TotalNumVgprs: 60
; ScratchSize: 0
; MemoryBound: 0
; FloatMode: 240
; IeeeMode: 1
; LDSByteSize: 12288 bytes/workgroup (compile time only)
; SGPRBlocks: 9
; VGPRBlocks: 7
; NumSGPRsForWavesPerEU: 78
; NumVGPRsForWavesPerEU: 60
; AccumOffset: 60
; Occupancy: 5
; WaveLimiterHint : 1
; COMPUTE_PGM_RSRC2:SCRATCH_EN: 0
; COMPUTE_PGM_RSRC2:USER_SGPR: 6
; COMPUTE_PGM_RSRC2:TRAP_HANDLER: 0
; COMPUTE_PGM_RSRC2:TGID_X_EN: 1
; COMPUTE_PGM_RSRC2:TGID_Y_EN: 0
; COMPUTE_PGM_RSRC2:TGID_Z_EN: 0
; COMPUTE_PGM_RSRC2:TIDIG_COMP_CNT: 0
; COMPUTE_PGM_RSRC3_GFX90A:ACCUM_OFFSET: 14
; COMPUTE_PGM_RSRC3_GFX90A:TG_SPLIT: 0
	.section	.text._ZN7rocprim17ROCPRIM_400000_NS6detail17trampoline_kernelINS0_14default_configENS1_27scan_by_key_config_selectorIssEEZZNS1_16scan_by_key_implILNS1_25lookback_scan_determinismE0ELb1ES3_N6thrust23THRUST_200600_302600_NS6detail15normal_iteratorINS9_10device_ptrIsEEEESE_SE_sNS9_4plusIvEENS9_8equal_toIvEEsEE10hipError_tPvRmT2_T3_T4_T5_mT6_T7_P12ihipStream_tbENKUlT_T0_E_clISt17integral_constantIbLb1EESZ_EEDaSU_SV_EUlSU_E_NS1_11comp_targetILNS1_3genE3ELNS1_11target_archE908ELNS1_3gpuE7ELNS1_3repE0EEENS1_30default_config_static_selectorELNS0_4arch9wavefront6targetE1EEEvT1_,"axG",@progbits,_ZN7rocprim17ROCPRIM_400000_NS6detail17trampoline_kernelINS0_14default_configENS1_27scan_by_key_config_selectorIssEEZZNS1_16scan_by_key_implILNS1_25lookback_scan_determinismE0ELb1ES3_N6thrust23THRUST_200600_302600_NS6detail15normal_iteratorINS9_10device_ptrIsEEEESE_SE_sNS9_4plusIvEENS9_8equal_toIvEEsEE10hipError_tPvRmT2_T3_T4_T5_mT6_T7_P12ihipStream_tbENKUlT_T0_E_clISt17integral_constantIbLb1EESZ_EEDaSU_SV_EUlSU_E_NS1_11comp_targetILNS1_3genE3ELNS1_11target_archE908ELNS1_3gpuE7ELNS1_3repE0EEENS1_30default_config_static_selectorELNS0_4arch9wavefront6targetE1EEEvT1_,comdat
	.protected	_ZN7rocprim17ROCPRIM_400000_NS6detail17trampoline_kernelINS0_14default_configENS1_27scan_by_key_config_selectorIssEEZZNS1_16scan_by_key_implILNS1_25lookback_scan_determinismE0ELb1ES3_N6thrust23THRUST_200600_302600_NS6detail15normal_iteratorINS9_10device_ptrIsEEEESE_SE_sNS9_4plusIvEENS9_8equal_toIvEEsEE10hipError_tPvRmT2_T3_T4_T5_mT6_T7_P12ihipStream_tbENKUlT_T0_E_clISt17integral_constantIbLb1EESZ_EEDaSU_SV_EUlSU_E_NS1_11comp_targetILNS1_3genE3ELNS1_11target_archE908ELNS1_3gpuE7ELNS1_3repE0EEENS1_30default_config_static_selectorELNS0_4arch9wavefront6targetE1EEEvT1_ ; -- Begin function _ZN7rocprim17ROCPRIM_400000_NS6detail17trampoline_kernelINS0_14default_configENS1_27scan_by_key_config_selectorIssEEZZNS1_16scan_by_key_implILNS1_25lookback_scan_determinismE0ELb1ES3_N6thrust23THRUST_200600_302600_NS6detail15normal_iteratorINS9_10device_ptrIsEEEESE_SE_sNS9_4plusIvEENS9_8equal_toIvEEsEE10hipError_tPvRmT2_T3_T4_T5_mT6_T7_P12ihipStream_tbENKUlT_T0_E_clISt17integral_constantIbLb1EESZ_EEDaSU_SV_EUlSU_E_NS1_11comp_targetILNS1_3genE3ELNS1_11target_archE908ELNS1_3gpuE7ELNS1_3repE0EEENS1_30default_config_static_selectorELNS0_4arch9wavefront6targetE1EEEvT1_
	.globl	_ZN7rocprim17ROCPRIM_400000_NS6detail17trampoline_kernelINS0_14default_configENS1_27scan_by_key_config_selectorIssEEZZNS1_16scan_by_key_implILNS1_25lookback_scan_determinismE0ELb1ES3_N6thrust23THRUST_200600_302600_NS6detail15normal_iteratorINS9_10device_ptrIsEEEESE_SE_sNS9_4plusIvEENS9_8equal_toIvEEsEE10hipError_tPvRmT2_T3_T4_T5_mT6_T7_P12ihipStream_tbENKUlT_T0_E_clISt17integral_constantIbLb1EESZ_EEDaSU_SV_EUlSU_E_NS1_11comp_targetILNS1_3genE3ELNS1_11target_archE908ELNS1_3gpuE7ELNS1_3repE0EEENS1_30default_config_static_selectorELNS0_4arch9wavefront6targetE1EEEvT1_
	.p2align	8
	.type	_ZN7rocprim17ROCPRIM_400000_NS6detail17trampoline_kernelINS0_14default_configENS1_27scan_by_key_config_selectorIssEEZZNS1_16scan_by_key_implILNS1_25lookback_scan_determinismE0ELb1ES3_N6thrust23THRUST_200600_302600_NS6detail15normal_iteratorINS9_10device_ptrIsEEEESE_SE_sNS9_4plusIvEENS9_8equal_toIvEEsEE10hipError_tPvRmT2_T3_T4_T5_mT6_T7_P12ihipStream_tbENKUlT_T0_E_clISt17integral_constantIbLb1EESZ_EEDaSU_SV_EUlSU_E_NS1_11comp_targetILNS1_3genE3ELNS1_11target_archE908ELNS1_3gpuE7ELNS1_3repE0EEENS1_30default_config_static_selectorELNS0_4arch9wavefront6targetE1EEEvT1_,@function
_ZN7rocprim17ROCPRIM_400000_NS6detail17trampoline_kernelINS0_14default_configENS1_27scan_by_key_config_selectorIssEEZZNS1_16scan_by_key_implILNS1_25lookback_scan_determinismE0ELb1ES3_N6thrust23THRUST_200600_302600_NS6detail15normal_iteratorINS9_10device_ptrIsEEEESE_SE_sNS9_4plusIvEENS9_8equal_toIvEEsEE10hipError_tPvRmT2_T3_T4_T5_mT6_T7_P12ihipStream_tbENKUlT_T0_E_clISt17integral_constantIbLb1EESZ_EEDaSU_SV_EUlSU_E_NS1_11comp_targetILNS1_3genE3ELNS1_11target_archE908ELNS1_3gpuE7ELNS1_3repE0EEENS1_30default_config_static_selectorELNS0_4arch9wavefront6targetE1EEEvT1_: ; @_ZN7rocprim17ROCPRIM_400000_NS6detail17trampoline_kernelINS0_14default_configENS1_27scan_by_key_config_selectorIssEEZZNS1_16scan_by_key_implILNS1_25lookback_scan_determinismE0ELb1ES3_N6thrust23THRUST_200600_302600_NS6detail15normal_iteratorINS9_10device_ptrIsEEEESE_SE_sNS9_4plusIvEENS9_8equal_toIvEEsEE10hipError_tPvRmT2_T3_T4_T5_mT6_T7_P12ihipStream_tbENKUlT_T0_E_clISt17integral_constantIbLb1EESZ_EEDaSU_SV_EUlSU_E_NS1_11comp_targetILNS1_3genE3ELNS1_11target_archE908ELNS1_3gpuE7ELNS1_3repE0EEENS1_30default_config_static_selectorELNS0_4arch9wavefront6targetE1EEEvT1_
; %bb.0:
	.section	.rodata,"a",@progbits
	.p2align	6, 0x0
	.amdhsa_kernel _ZN7rocprim17ROCPRIM_400000_NS6detail17trampoline_kernelINS0_14default_configENS1_27scan_by_key_config_selectorIssEEZZNS1_16scan_by_key_implILNS1_25lookback_scan_determinismE0ELb1ES3_N6thrust23THRUST_200600_302600_NS6detail15normal_iteratorINS9_10device_ptrIsEEEESE_SE_sNS9_4plusIvEENS9_8equal_toIvEEsEE10hipError_tPvRmT2_T3_T4_T5_mT6_T7_P12ihipStream_tbENKUlT_T0_E_clISt17integral_constantIbLb1EESZ_EEDaSU_SV_EUlSU_E_NS1_11comp_targetILNS1_3genE3ELNS1_11target_archE908ELNS1_3gpuE7ELNS1_3repE0EEENS1_30default_config_static_selectorELNS0_4arch9wavefront6targetE1EEEvT1_
		.amdhsa_group_segment_fixed_size 0
		.amdhsa_private_segment_fixed_size 0
		.amdhsa_kernarg_size 112
		.amdhsa_user_sgpr_count 6
		.amdhsa_user_sgpr_private_segment_buffer 1
		.amdhsa_user_sgpr_dispatch_ptr 0
		.amdhsa_user_sgpr_queue_ptr 0
		.amdhsa_user_sgpr_kernarg_segment_ptr 1
		.amdhsa_user_sgpr_dispatch_id 0
		.amdhsa_user_sgpr_flat_scratch_init 0
		.amdhsa_user_sgpr_kernarg_preload_length 0
		.amdhsa_user_sgpr_kernarg_preload_offset 0
		.amdhsa_user_sgpr_private_segment_size 0
		.amdhsa_uses_dynamic_stack 0
		.amdhsa_system_sgpr_private_segment_wavefront_offset 0
		.amdhsa_system_sgpr_workgroup_id_x 1
		.amdhsa_system_sgpr_workgroup_id_y 0
		.amdhsa_system_sgpr_workgroup_id_z 0
		.amdhsa_system_sgpr_workgroup_info 0
		.amdhsa_system_vgpr_workitem_id 0
		.amdhsa_next_free_vgpr 1
		.amdhsa_next_free_sgpr 0
		.amdhsa_accum_offset 4
		.amdhsa_reserve_vcc 0
		.amdhsa_reserve_flat_scratch 0
		.amdhsa_float_round_mode_32 0
		.amdhsa_float_round_mode_16_64 0
		.amdhsa_float_denorm_mode_32 3
		.amdhsa_float_denorm_mode_16_64 3
		.amdhsa_dx10_clamp 1
		.amdhsa_ieee_mode 1
		.amdhsa_fp16_overflow 0
		.amdhsa_tg_split 0
		.amdhsa_exception_fp_ieee_invalid_op 0
		.amdhsa_exception_fp_denorm_src 0
		.amdhsa_exception_fp_ieee_div_zero 0
		.amdhsa_exception_fp_ieee_overflow 0
		.amdhsa_exception_fp_ieee_underflow 0
		.amdhsa_exception_fp_ieee_inexact 0
		.amdhsa_exception_int_div_zero 0
	.end_amdhsa_kernel
	.section	.text._ZN7rocprim17ROCPRIM_400000_NS6detail17trampoline_kernelINS0_14default_configENS1_27scan_by_key_config_selectorIssEEZZNS1_16scan_by_key_implILNS1_25lookback_scan_determinismE0ELb1ES3_N6thrust23THRUST_200600_302600_NS6detail15normal_iteratorINS9_10device_ptrIsEEEESE_SE_sNS9_4plusIvEENS9_8equal_toIvEEsEE10hipError_tPvRmT2_T3_T4_T5_mT6_T7_P12ihipStream_tbENKUlT_T0_E_clISt17integral_constantIbLb1EESZ_EEDaSU_SV_EUlSU_E_NS1_11comp_targetILNS1_3genE3ELNS1_11target_archE908ELNS1_3gpuE7ELNS1_3repE0EEENS1_30default_config_static_selectorELNS0_4arch9wavefront6targetE1EEEvT1_,"axG",@progbits,_ZN7rocprim17ROCPRIM_400000_NS6detail17trampoline_kernelINS0_14default_configENS1_27scan_by_key_config_selectorIssEEZZNS1_16scan_by_key_implILNS1_25lookback_scan_determinismE0ELb1ES3_N6thrust23THRUST_200600_302600_NS6detail15normal_iteratorINS9_10device_ptrIsEEEESE_SE_sNS9_4plusIvEENS9_8equal_toIvEEsEE10hipError_tPvRmT2_T3_T4_T5_mT6_T7_P12ihipStream_tbENKUlT_T0_E_clISt17integral_constantIbLb1EESZ_EEDaSU_SV_EUlSU_E_NS1_11comp_targetILNS1_3genE3ELNS1_11target_archE908ELNS1_3gpuE7ELNS1_3repE0EEENS1_30default_config_static_selectorELNS0_4arch9wavefront6targetE1EEEvT1_,comdat
.Lfunc_end582:
	.size	_ZN7rocprim17ROCPRIM_400000_NS6detail17trampoline_kernelINS0_14default_configENS1_27scan_by_key_config_selectorIssEEZZNS1_16scan_by_key_implILNS1_25lookback_scan_determinismE0ELb1ES3_N6thrust23THRUST_200600_302600_NS6detail15normal_iteratorINS9_10device_ptrIsEEEESE_SE_sNS9_4plusIvEENS9_8equal_toIvEEsEE10hipError_tPvRmT2_T3_T4_T5_mT6_T7_P12ihipStream_tbENKUlT_T0_E_clISt17integral_constantIbLb1EESZ_EEDaSU_SV_EUlSU_E_NS1_11comp_targetILNS1_3genE3ELNS1_11target_archE908ELNS1_3gpuE7ELNS1_3repE0EEENS1_30default_config_static_selectorELNS0_4arch9wavefront6targetE1EEEvT1_, .Lfunc_end582-_ZN7rocprim17ROCPRIM_400000_NS6detail17trampoline_kernelINS0_14default_configENS1_27scan_by_key_config_selectorIssEEZZNS1_16scan_by_key_implILNS1_25lookback_scan_determinismE0ELb1ES3_N6thrust23THRUST_200600_302600_NS6detail15normal_iteratorINS9_10device_ptrIsEEEESE_SE_sNS9_4plusIvEENS9_8equal_toIvEEsEE10hipError_tPvRmT2_T3_T4_T5_mT6_T7_P12ihipStream_tbENKUlT_T0_E_clISt17integral_constantIbLb1EESZ_EEDaSU_SV_EUlSU_E_NS1_11comp_targetILNS1_3genE3ELNS1_11target_archE908ELNS1_3gpuE7ELNS1_3repE0EEENS1_30default_config_static_selectorELNS0_4arch9wavefront6targetE1EEEvT1_
                                        ; -- End function
	.section	.AMDGPU.csdata,"",@progbits
; Kernel info:
; codeLenInByte = 0
; NumSgprs: 4
; NumVgprs: 0
; NumAgprs: 0
; TotalNumVgprs: 0
; ScratchSize: 0
; MemoryBound: 0
; FloatMode: 240
; IeeeMode: 1
; LDSByteSize: 0 bytes/workgroup (compile time only)
; SGPRBlocks: 0
; VGPRBlocks: 0
; NumSGPRsForWavesPerEU: 4
; NumVGPRsForWavesPerEU: 1
; AccumOffset: 4
; Occupancy: 8
; WaveLimiterHint : 0
; COMPUTE_PGM_RSRC2:SCRATCH_EN: 0
; COMPUTE_PGM_RSRC2:USER_SGPR: 6
; COMPUTE_PGM_RSRC2:TRAP_HANDLER: 0
; COMPUTE_PGM_RSRC2:TGID_X_EN: 1
; COMPUTE_PGM_RSRC2:TGID_Y_EN: 0
; COMPUTE_PGM_RSRC2:TGID_Z_EN: 0
; COMPUTE_PGM_RSRC2:TIDIG_COMP_CNT: 0
; COMPUTE_PGM_RSRC3_GFX90A:ACCUM_OFFSET: 0
; COMPUTE_PGM_RSRC3_GFX90A:TG_SPLIT: 0
	.section	.text._ZN7rocprim17ROCPRIM_400000_NS6detail17trampoline_kernelINS0_14default_configENS1_27scan_by_key_config_selectorIssEEZZNS1_16scan_by_key_implILNS1_25lookback_scan_determinismE0ELb1ES3_N6thrust23THRUST_200600_302600_NS6detail15normal_iteratorINS9_10device_ptrIsEEEESE_SE_sNS9_4plusIvEENS9_8equal_toIvEEsEE10hipError_tPvRmT2_T3_T4_T5_mT6_T7_P12ihipStream_tbENKUlT_T0_E_clISt17integral_constantIbLb1EESZ_EEDaSU_SV_EUlSU_E_NS1_11comp_targetILNS1_3genE2ELNS1_11target_archE906ELNS1_3gpuE6ELNS1_3repE0EEENS1_30default_config_static_selectorELNS0_4arch9wavefront6targetE1EEEvT1_,"axG",@progbits,_ZN7rocprim17ROCPRIM_400000_NS6detail17trampoline_kernelINS0_14default_configENS1_27scan_by_key_config_selectorIssEEZZNS1_16scan_by_key_implILNS1_25lookback_scan_determinismE0ELb1ES3_N6thrust23THRUST_200600_302600_NS6detail15normal_iteratorINS9_10device_ptrIsEEEESE_SE_sNS9_4plusIvEENS9_8equal_toIvEEsEE10hipError_tPvRmT2_T3_T4_T5_mT6_T7_P12ihipStream_tbENKUlT_T0_E_clISt17integral_constantIbLb1EESZ_EEDaSU_SV_EUlSU_E_NS1_11comp_targetILNS1_3genE2ELNS1_11target_archE906ELNS1_3gpuE6ELNS1_3repE0EEENS1_30default_config_static_selectorELNS0_4arch9wavefront6targetE1EEEvT1_,comdat
	.protected	_ZN7rocprim17ROCPRIM_400000_NS6detail17trampoline_kernelINS0_14default_configENS1_27scan_by_key_config_selectorIssEEZZNS1_16scan_by_key_implILNS1_25lookback_scan_determinismE0ELb1ES3_N6thrust23THRUST_200600_302600_NS6detail15normal_iteratorINS9_10device_ptrIsEEEESE_SE_sNS9_4plusIvEENS9_8equal_toIvEEsEE10hipError_tPvRmT2_T3_T4_T5_mT6_T7_P12ihipStream_tbENKUlT_T0_E_clISt17integral_constantIbLb1EESZ_EEDaSU_SV_EUlSU_E_NS1_11comp_targetILNS1_3genE2ELNS1_11target_archE906ELNS1_3gpuE6ELNS1_3repE0EEENS1_30default_config_static_selectorELNS0_4arch9wavefront6targetE1EEEvT1_ ; -- Begin function _ZN7rocprim17ROCPRIM_400000_NS6detail17trampoline_kernelINS0_14default_configENS1_27scan_by_key_config_selectorIssEEZZNS1_16scan_by_key_implILNS1_25lookback_scan_determinismE0ELb1ES3_N6thrust23THRUST_200600_302600_NS6detail15normal_iteratorINS9_10device_ptrIsEEEESE_SE_sNS9_4plusIvEENS9_8equal_toIvEEsEE10hipError_tPvRmT2_T3_T4_T5_mT6_T7_P12ihipStream_tbENKUlT_T0_E_clISt17integral_constantIbLb1EESZ_EEDaSU_SV_EUlSU_E_NS1_11comp_targetILNS1_3genE2ELNS1_11target_archE906ELNS1_3gpuE6ELNS1_3repE0EEENS1_30default_config_static_selectorELNS0_4arch9wavefront6targetE1EEEvT1_
	.globl	_ZN7rocprim17ROCPRIM_400000_NS6detail17trampoline_kernelINS0_14default_configENS1_27scan_by_key_config_selectorIssEEZZNS1_16scan_by_key_implILNS1_25lookback_scan_determinismE0ELb1ES3_N6thrust23THRUST_200600_302600_NS6detail15normal_iteratorINS9_10device_ptrIsEEEESE_SE_sNS9_4plusIvEENS9_8equal_toIvEEsEE10hipError_tPvRmT2_T3_T4_T5_mT6_T7_P12ihipStream_tbENKUlT_T0_E_clISt17integral_constantIbLb1EESZ_EEDaSU_SV_EUlSU_E_NS1_11comp_targetILNS1_3genE2ELNS1_11target_archE906ELNS1_3gpuE6ELNS1_3repE0EEENS1_30default_config_static_selectorELNS0_4arch9wavefront6targetE1EEEvT1_
	.p2align	8
	.type	_ZN7rocprim17ROCPRIM_400000_NS6detail17trampoline_kernelINS0_14default_configENS1_27scan_by_key_config_selectorIssEEZZNS1_16scan_by_key_implILNS1_25lookback_scan_determinismE0ELb1ES3_N6thrust23THRUST_200600_302600_NS6detail15normal_iteratorINS9_10device_ptrIsEEEESE_SE_sNS9_4plusIvEENS9_8equal_toIvEEsEE10hipError_tPvRmT2_T3_T4_T5_mT6_T7_P12ihipStream_tbENKUlT_T0_E_clISt17integral_constantIbLb1EESZ_EEDaSU_SV_EUlSU_E_NS1_11comp_targetILNS1_3genE2ELNS1_11target_archE906ELNS1_3gpuE6ELNS1_3repE0EEENS1_30default_config_static_selectorELNS0_4arch9wavefront6targetE1EEEvT1_,@function
_ZN7rocprim17ROCPRIM_400000_NS6detail17trampoline_kernelINS0_14default_configENS1_27scan_by_key_config_selectorIssEEZZNS1_16scan_by_key_implILNS1_25lookback_scan_determinismE0ELb1ES3_N6thrust23THRUST_200600_302600_NS6detail15normal_iteratorINS9_10device_ptrIsEEEESE_SE_sNS9_4plusIvEENS9_8equal_toIvEEsEE10hipError_tPvRmT2_T3_T4_T5_mT6_T7_P12ihipStream_tbENKUlT_T0_E_clISt17integral_constantIbLb1EESZ_EEDaSU_SV_EUlSU_E_NS1_11comp_targetILNS1_3genE2ELNS1_11target_archE906ELNS1_3gpuE6ELNS1_3repE0EEENS1_30default_config_static_selectorELNS0_4arch9wavefront6targetE1EEEvT1_: ; @_ZN7rocprim17ROCPRIM_400000_NS6detail17trampoline_kernelINS0_14default_configENS1_27scan_by_key_config_selectorIssEEZZNS1_16scan_by_key_implILNS1_25lookback_scan_determinismE0ELb1ES3_N6thrust23THRUST_200600_302600_NS6detail15normal_iteratorINS9_10device_ptrIsEEEESE_SE_sNS9_4plusIvEENS9_8equal_toIvEEsEE10hipError_tPvRmT2_T3_T4_T5_mT6_T7_P12ihipStream_tbENKUlT_T0_E_clISt17integral_constantIbLb1EESZ_EEDaSU_SV_EUlSU_E_NS1_11comp_targetILNS1_3genE2ELNS1_11target_archE906ELNS1_3gpuE6ELNS1_3repE0EEENS1_30default_config_static_selectorELNS0_4arch9wavefront6targetE1EEEvT1_
; %bb.0:
	.section	.rodata,"a",@progbits
	.p2align	6, 0x0
	.amdhsa_kernel _ZN7rocprim17ROCPRIM_400000_NS6detail17trampoline_kernelINS0_14default_configENS1_27scan_by_key_config_selectorIssEEZZNS1_16scan_by_key_implILNS1_25lookback_scan_determinismE0ELb1ES3_N6thrust23THRUST_200600_302600_NS6detail15normal_iteratorINS9_10device_ptrIsEEEESE_SE_sNS9_4plusIvEENS9_8equal_toIvEEsEE10hipError_tPvRmT2_T3_T4_T5_mT6_T7_P12ihipStream_tbENKUlT_T0_E_clISt17integral_constantIbLb1EESZ_EEDaSU_SV_EUlSU_E_NS1_11comp_targetILNS1_3genE2ELNS1_11target_archE906ELNS1_3gpuE6ELNS1_3repE0EEENS1_30default_config_static_selectorELNS0_4arch9wavefront6targetE1EEEvT1_
		.amdhsa_group_segment_fixed_size 0
		.amdhsa_private_segment_fixed_size 0
		.amdhsa_kernarg_size 112
		.amdhsa_user_sgpr_count 6
		.amdhsa_user_sgpr_private_segment_buffer 1
		.amdhsa_user_sgpr_dispatch_ptr 0
		.amdhsa_user_sgpr_queue_ptr 0
		.amdhsa_user_sgpr_kernarg_segment_ptr 1
		.amdhsa_user_sgpr_dispatch_id 0
		.amdhsa_user_sgpr_flat_scratch_init 0
		.amdhsa_user_sgpr_kernarg_preload_length 0
		.amdhsa_user_sgpr_kernarg_preload_offset 0
		.amdhsa_user_sgpr_private_segment_size 0
		.amdhsa_uses_dynamic_stack 0
		.amdhsa_system_sgpr_private_segment_wavefront_offset 0
		.amdhsa_system_sgpr_workgroup_id_x 1
		.amdhsa_system_sgpr_workgroup_id_y 0
		.amdhsa_system_sgpr_workgroup_id_z 0
		.amdhsa_system_sgpr_workgroup_info 0
		.amdhsa_system_vgpr_workitem_id 0
		.amdhsa_next_free_vgpr 1
		.amdhsa_next_free_sgpr 0
		.amdhsa_accum_offset 4
		.amdhsa_reserve_vcc 0
		.amdhsa_reserve_flat_scratch 0
		.amdhsa_float_round_mode_32 0
		.amdhsa_float_round_mode_16_64 0
		.amdhsa_float_denorm_mode_32 3
		.amdhsa_float_denorm_mode_16_64 3
		.amdhsa_dx10_clamp 1
		.amdhsa_ieee_mode 1
		.amdhsa_fp16_overflow 0
		.amdhsa_tg_split 0
		.amdhsa_exception_fp_ieee_invalid_op 0
		.amdhsa_exception_fp_denorm_src 0
		.amdhsa_exception_fp_ieee_div_zero 0
		.amdhsa_exception_fp_ieee_overflow 0
		.amdhsa_exception_fp_ieee_underflow 0
		.amdhsa_exception_fp_ieee_inexact 0
		.amdhsa_exception_int_div_zero 0
	.end_amdhsa_kernel
	.section	.text._ZN7rocprim17ROCPRIM_400000_NS6detail17trampoline_kernelINS0_14default_configENS1_27scan_by_key_config_selectorIssEEZZNS1_16scan_by_key_implILNS1_25lookback_scan_determinismE0ELb1ES3_N6thrust23THRUST_200600_302600_NS6detail15normal_iteratorINS9_10device_ptrIsEEEESE_SE_sNS9_4plusIvEENS9_8equal_toIvEEsEE10hipError_tPvRmT2_T3_T4_T5_mT6_T7_P12ihipStream_tbENKUlT_T0_E_clISt17integral_constantIbLb1EESZ_EEDaSU_SV_EUlSU_E_NS1_11comp_targetILNS1_3genE2ELNS1_11target_archE906ELNS1_3gpuE6ELNS1_3repE0EEENS1_30default_config_static_selectorELNS0_4arch9wavefront6targetE1EEEvT1_,"axG",@progbits,_ZN7rocprim17ROCPRIM_400000_NS6detail17trampoline_kernelINS0_14default_configENS1_27scan_by_key_config_selectorIssEEZZNS1_16scan_by_key_implILNS1_25lookback_scan_determinismE0ELb1ES3_N6thrust23THRUST_200600_302600_NS6detail15normal_iteratorINS9_10device_ptrIsEEEESE_SE_sNS9_4plusIvEENS9_8equal_toIvEEsEE10hipError_tPvRmT2_T3_T4_T5_mT6_T7_P12ihipStream_tbENKUlT_T0_E_clISt17integral_constantIbLb1EESZ_EEDaSU_SV_EUlSU_E_NS1_11comp_targetILNS1_3genE2ELNS1_11target_archE906ELNS1_3gpuE6ELNS1_3repE0EEENS1_30default_config_static_selectorELNS0_4arch9wavefront6targetE1EEEvT1_,comdat
.Lfunc_end583:
	.size	_ZN7rocprim17ROCPRIM_400000_NS6detail17trampoline_kernelINS0_14default_configENS1_27scan_by_key_config_selectorIssEEZZNS1_16scan_by_key_implILNS1_25lookback_scan_determinismE0ELb1ES3_N6thrust23THRUST_200600_302600_NS6detail15normal_iteratorINS9_10device_ptrIsEEEESE_SE_sNS9_4plusIvEENS9_8equal_toIvEEsEE10hipError_tPvRmT2_T3_T4_T5_mT6_T7_P12ihipStream_tbENKUlT_T0_E_clISt17integral_constantIbLb1EESZ_EEDaSU_SV_EUlSU_E_NS1_11comp_targetILNS1_3genE2ELNS1_11target_archE906ELNS1_3gpuE6ELNS1_3repE0EEENS1_30default_config_static_selectorELNS0_4arch9wavefront6targetE1EEEvT1_, .Lfunc_end583-_ZN7rocprim17ROCPRIM_400000_NS6detail17trampoline_kernelINS0_14default_configENS1_27scan_by_key_config_selectorIssEEZZNS1_16scan_by_key_implILNS1_25lookback_scan_determinismE0ELb1ES3_N6thrust23THRUST_200600_302600_NS6detail15normal_iteratorINS9_10device_ptrIsEEEESE_SE_sNS9_4plusIvEENS9_8equal_toIvEEsEE10hipError_tPvRmT2_T3_T4_T5_mT6_T7_P12ihipStream_tbENKUlT_T0_E_clISt17integral_constantIbLb1EESZ_EEDaSU_SV_EUlSU_E_NS1_11comp_targetILNS1_3genE2ELNS1_11target_archE906ELNS1_3gpuE6ELNS1_3repE0EEENS1_30default_config_static_selectorELNS0_4arch9wavefront6targetE1EEEvT1_
                                        ; -- End function
	.section	.AMDGPU.csdata,"",@progbits
; Kernel info:
; codeLenInByte = 0
; NumSgprs: 4
; NumVgprs: 0
; NumAgprs: 0
; TotalNumVgprs: 0
; ScratchSize: 0
; MemoryBound: 0
; FloatMode: 240
; IeeeMode: 1
; LDSByteSize: 0 bytes/workgroup (compile time only)
; SGPRBlocks: 0
; VGPRBlocks: 0
; NumSGPRsForWavesPerEU: 4
; NumVGPRsForWavesPerEU: 1
; AccumOffset: 4
; Occupancy: 8
; WaveLimiterHint : 0
; COMPUTE_PGM_RSRC2:SCRATCH_EN: 0
; COMPUTE_PGM_RSRC2:USER_SGPR: 6
; COMPUTE_PGM_RSRC2:TRAP_HANDLER: 0
; COMPUTE_PGM_RSRC2:TGID_X_EN: 1
; COMPUTE_PGM_RSRC2:TGID_Y_EN: 0
; COMPUTE_PGM_RSRC2:TGID_Z_EN: 0
; COMPUTE_PGM_RSRC2:TIDIG_COMP_CNT: 0
; COMPUTE_PGM_RSRC3_GFX90A:ACCUM_OFFSET: 0
; COMPUTE_PGM_RSRC3_GFX90A:TG_SPLIT: 0
	.section	.text._ZN7rocprim17ROCPRIM_400000_NS6detail17trampoline_kernelINS0_14default_configENS1_27scan_by_key_config_selectorIssEEZZNS1_16scan_by_key_implILNS1_25lookback_scan_determinismE0ELb1ES3_N6thrust23THRUST_200600_302600_NS6detail15normal_iteratorINS9_10device_ptrIsEEEESE_SE_sNS9_4plusIvEENS9_8equal_toIvEEsEE10hipError_tPvRmT2_T3_T4_T5_mT6_T7_P12ihipStream_tbENKUlT_T0_E_clISt17integral_constantIbLb1EESZ_EEDaSU_SV_EUlSU_E_NS1_11comp_targetILNS1_3genE10ELNS1_11target_archE1200ELNS1_3gpuE4ELNS1_3repE0EEENS1_30default_config_static_selectorELNS0_4arch9wavefront6targetE1EEEvT1_,"axG",@progbits,_ZN7rocprim17ROCPRIM_400000_NS6detail17trampoline_kernelINS0_14default_configENS1_27scan_by_key_config_selectorIssEEZZNS1_16scan_by_key_implILNS1_25lookback_scan_determinismE0ELb1ES3_N6thrust23THRUST_200600_302600_NS6detail15normal_iteratorINS9_10device_ptrIsEEEESE_SE_sNS9_4plusIvEENS9_8equal_toIvEEsEE10hipError_tPvRmT2_T3_T4_T5_mT6_T7_P12ihipStream_tbENKUlT_T0_E_clISt17integral_constantIbLb1EESZ_EEDaSU_SV_EUlSU_E_NS1_11comp_targetILNS1_3genE10ELNS1_11target_archE1200ELNS1_3gpuE4ELNS1_3repE0EEENS1_30default_config_static_selectorELNS0_4arch9wavefront6targetE1EEEvT1_,comdat
	.protected	_ZN7rocprim17ROCPRIM_400000_NS6detail17trampoline_kernelINS0_14default_configENS1_27scan_by_key_config_selectorIssEEZZNS1_16scan_by_key_implILNS1_25lookback_scan_determinismE0ELb1ES3_N6thrust23THRUST_200600_302600_NS6detail15normal_iteratorINS9_10device_ptrIsEEEESE_SE_sNS9_4plusIvEENS9_8equal_toIvEEsEE10hipError_tPvRmT2_T3_T4_T5_mT6_T7_P12ihipStream_tbENKUlT_T0_E_clISt17integral_constantIbLb1EESZ_EEDaSU_SV_EUlSU_E_NS1_11comp_targetILNS1_3genE10ELNS1_11target_archE1200ELNS1_3gpuE4ELNS1_3repE0EEENS1_30default_config_static_selectorELNS0_4arch9wavefront6targetE1EEEvT1_ ; -- Begin function _ZN7rocprim17ROCPRIM_400000_NS6detail17trampoline_kernelINS0_14default_configENS1_27scan_by_key_config_selectorIssEEZZNS1_16scan_by_key_implILNS1_25lookback_scan_determinismE0ELb1ES3_N6thrust23THRUST_200600_302600_NS6detail15normal_iteratorINS9_10device_ptrIsEEEESE_SE_sNS9_4plusIvEENS9_8equal_toIvEEsEE10hipError_tPvRmT2_T3_T4_T5_mT6_T7_P12ihipStream_tbENKUlT_T0_E_clISt17integral_constantIbLb1EESZ_EEDaSU_SV_EUlSU_E_NS1_11comp_targetILNS1_3genE10ELNS1_11target_archE1200ELNS1_3gpuE4ELNS1_3repE0EEENS1_30default_config_static_selectorELNS0_4arch9wavefront6targetE1EEEvT1_
	.globl	_ZN7rocprim17ROCPRIM_400000_NS6detail17trampoline_kernelINS0_14default_configENS1_27scan_by_key_config_selectorIssEEZZNS1_16scan_by_key_implILNS1_25lookback_scan_determinismE0ELb1ES3_N6thrust23THRUST_200600_302600_NS6detail15normal_iteratorINS9_10device_ptrIsEEEESE_SE_sNS9_4plusIvEENS9_8equal_toIvEEsEE10hipError_tPvRmT2_T3_T4_T5_mT6_T7_P12ihipStream_tbENKUlT_T0_E_clISt17integral_constantIbLb1EESZ_EEDaSU_SV_EUlSU_E_NS1_11comp_targetILNS1_3genE10ELNS1_11target_archE1200ELNS1_3gpuE4ELNS1_3repE0EEENS1_30default_config_static_selectorELNS0_4arch9wavefront6targetE1EEEvT1_
	.p2align	8
	.type	_ZN7rocprim17ROCPRIM_400000_NS6detail17trampoline_kernelINS0_14default_configENS1_27scan_by_key_config_selectorIssEEZZNS1_16scan_by_key_implILNS1_25lookback_scan_determinismE0ELb1ES3_N6thrust23THRUST_200600_302600_NS6detail15normal_iteratorINS9_10device_ptrIsEEEESE_SE_sNS9_4plusIvEENS9_8equal_toIvEEsEE10hipError_tPvRmT2_T3_T4_T5_mT6_T7_P12ihipStream_tbENKUlT_T0_E_clISt17integral_constantIbLb1EESZ_EEDaSU_SV_EUlSU_E_NS1_11comp_targetILNS1_3genE10ELNS1_11target_archE1200ELNS1_3gpuE4ELNS1_3repE0EEENS1_30default_config_static_selectorELNS0_4arch9wavefront6targetE1EEEvT1_,@function
_ZN7rocprim17ROCPRIM_400000_NS6detail17trampoline_kernelINS0_14default_configENS1_27scan_by_key_config_selectorIssEEZZNS1_16scan_by_key_implILNS1_25lookback_scan_determinismE0ELb1ES3_N6thrust23THRUST_200600_302600_NS6detail15normal_iteratorINS9_10device_ptrIsEEEESE_SE_sNS9_4plusIvEENS9_8equal_toIvEEsEE10hipError_tPvRmT2_T3_T4_T5_mT6_T7_P12ihipStream_tbENKUlT_T0_E_clISt17integral_constantIbLb1EESZ_EEDaSU_SV_EUlSU_E_NS1_11comp_targetILNS1_3genE10ELNS1_11target_archE1200ELNS1_3gpuE4ELNS1_3repE0EEENS1_30default_config_static_selectorELNS0_4arch9wavefront6targetE1EEEvT1_: ; @_ZN7rocprim17ROCPRIM_400000_NS6detail17trampoline_kernelINS0_14default_configENS1_27scan_by_key_config_selectorIssEEZZNS1_16scan_by_key_implILNS1_25lookback_scan_determinismE0ELb1ES3_N6thrust23THRUST_200600_302600_NS6detail15normal_iteratorINS9_10device_ptrIsEEEESE_SE_sNS9_4plusIvEENS9_8equal_toIvEEsEE10hipError_tPvRmT2_T3_T4_T5_mT6_T7_P12ihipStream_tbENKUlT_T0_E_clISt17integral_constantIbLb1EESZ_EEDaSU_SV_EUlSU_E_NS1_11comp_targetILNS1_3genE10ELNS1_11target_archE1200ELNS1_3gpuE4ELNS1_3repE0EEENS1_30default_config_static_selectorELNS0_4arch9wavefront6targetE1EEEvT1_
; %bb.0:
	.section	.rodata,"a",@progbits
	.p2align	6, 0x0
	.amdhsa_kernel _ZN7rocprim17ROCPRIM_400000_NS6detail17trampoline_kernelINS0_14default_configENS1_27scan_by_key_config_selectorIssEEZZNS1_16scan_by_key_implILNS1_25lookback_scan_determinismE0ELb1ES3_N6thrust23THRUST_200600_302600_NS6detail15normal_iteratorINS9_10device_ptrIsEEEESE_SE_sNS9_4plusIvEENS9_8equal_toIvEEsEE10hipError_tPvRmT2_T3_T4_T5_mT6_T7_P12ihipStream_tbENKUlT_T0_E_clISt17integral_constantIbLb1EESZ_EEDaSU_SV_EUlSU_E_NS1_11comp_targetILNS1_3genE10ELNS1_11target_archE1200ELNS1_3gpuE4ELNS1_3repE0EEENS1_30default_config_static_selectorELNS0_4arch9wavefront6targetE1EEEvT1_
		.amdhsa_group_segment_fixed_size 0
		.amdhsa_private_segment_fixed_size 0
		.amdhsa_kernarg_size 112
		.amdhsa_user_sgpr_count 6
		.amdhsa_user_sgpr_private_segment_buffer 1
		.amdhsa_user_sgpr_dispatch_ptr 0
		.amdhsa_user_sgpr_queue_ptr 0
		.amdhsa_user_sgpr_kernarg_segment_ptr 1
		.amdhsa_user_sgpr_dispatch_id 0
		.amdhsa_user_sgpr_flat_scratch_init 0
		.amdhsa_user_sgpr_kernarg_preload_length 0
		.amdhsa_user_sgpr_kernarg_preload_offset 0
		.amdhsa_user_sgpr_private_segment_size 0
		.amdhsa_uses_dynamic_stack 0
		.amdhsa_system_sgpr_private_segment_wavefront_offset 0
		.amdhsa_system_sgpr_workgroup_id_x 1
		.amdhsa_system_sgpr_workgroup_id_y 0
		.amdhsa_system_sgpr_workgroup_id_z 0
		.amdhsa_system_sgpr_workgroup_info 0
		.amdhsa_system_vgpr_workitem_id 0
		.amdhsa_next_free_vgpr 1
		.amdhsa_next_free_sgpr 0
		.amdhsa_accum_offset 4
		.amdhsa_reserve_vcc 0
		.amdhsa_reserve_flat_scratch 0
		.amdhsa_float_round_mode_32 0
		.amdhsa_float_round_mode_16_64 0
		.amdhsa_float_denorm_mode_32 3
		.amdhsa_float_denorm_mode_16_64 3
		.amdhsa_dx10_clamp 1
		.amdhsa_ieee_mode 1
		.amdhsa_fp16_overflow 0
		.amdhsa_tg_split 0
		.amdhsa_exception_fp_ieee_invalid_op 0
		.amdhsa_exception_fp_denorm_src 0
		.amdhsa_exception_fp_ieee_div_zero 0
		.amdhsa_exception_fp_ieee_overflow 0
		.amdhsa_exception_fp_ieee_underflow 0
		.amdhsa_exception_fp_ieee_inexact 0
		.amdhsa_exception_int_div_zero 0
	.end_amdhsa_kernel
	.section	.text._ZN7rocprim17ROCPRIM_400000_NS6detail17trampoline_kernelINS0_14default_configENS1_27scan_by_key_config_selectorIssEEZZNS1_16scan_by_key_implILNS1_25lookback_scan_determinismE0ELb1ES3_N6thrust23THRUST_200600_302600_NS6detail15normal_iteratorINS9_10device_ptrIsEEEESE_SE_sNS9_4plusIvEENS9_8equal_toIvEEsEE10hipError_tPvRmT2_T3_T4_T5_mT6_T7_P12ihipStream_tbENKUlT_T0_E_clISt17integral_constantIbLb1EESZ_EEDaSU_SV_EUlSU_E_NS1_11comp_targetILNS1_3genE10ELNS1_11target_archE1200ELNS1_3gpuE4ELNS1_3repE0EEENS1_30default_config_static_selectorELNS0_4arch9wavefront6targetE1EEEvT1_,"axG",@progbits,_ZN7rocprim17ROCPRIM_400000_NS6detail17trampoline_kernelINS0_14default_configENS1_27scan_by_key_config_selectorIssEEZZNS1_16scan_by_key_implILNS1_25lookback_scan_determinismE0ELb1ES3_N6thrust23THRUST_200600_302600_NS6detail15normal_iteratorINS9_10device_ptrIsEEEESE_SE_sNS9_4plusIvEENS9_8equal_toIvEEsEE10hipError_tPvRmT2_T3_T4_T5_mT6_T7_P12ihipStream_tbENKUlT_T0_E_clISt17integral_constantIbLb1EESZ_EEDaSU_SV_EUlSU_E_NS1_11comp_targetILNS1_3genE10ELNS1_11target_archE1200ELNS1_3gpuE4ELNS1_3repE0EEENS1_30default_config_static_selectorELNS0_4arch9wavefront6targetE1EEEvT1_,comdat
.Lfunc_end584:
	.size	_ZN7rocprim17ROCPRIM_400000_NS6detail17trampoline_kernelINS0_14default_configENS1_27scan_by_key_config_selectorIssEEZZNS1_16scan_by_key_implILNS1_25lookback_scan_determinismE0ELb1ES3_N6thrust23THRUST_200600_302600_NS6detail15normal_iteratorINS9_10device_ptrIsEEEESE_SE_sNS9_4plusIvEENS9_8equal_toIvEEsEE10hipError_tPvRmT2_T3_T4_T5_mT6_T7_P12ihipStream_tbENKUlT_T0_E_clISt17integral_constantIbLb1EESZ_EEDaSU_SV_EUlSU_E_NS1_11comp_targetILNS1_3genE10ELNS1_11target_archE1200ELNS1_3gpuE4ELNS1_3repE0EEENS1_30default_config_static_selectorELNS0_4arch9wavefront6targetE1EEEvT1_, .Lfunc_end584-_ZN7rocprim17ROCPRIM_400000_NS6detail17trampoline_kernelINS0_14default_configENS1_27scan_by_key_config_selectorIssEEZZNS1_16scan_by_key_implILNS1_25lookback_scan_determinismE0ELb1ES3_N6thrust23THRUST_200600_302600_NS6detail15normal_iteratorINS9_10device_ptrIsEEEESE_SE_sNS9_4plusIvEENS9_8equal_toIvEEsEE10hipError_tPvRmT2_T3_T4_T5_mT6_T7_P12ihipStream_tbENKUlT_T0_E_clISt17integral_constantIbLb1EESZ_EEDaSU_SV_EUlSU_E_NS1_11comp_targetILNS1_3genE10ELNS1_11target_archE1200ELNS1_3gpuE4ELNS1_3repE0EEENS1_30default_config_static_selectorELNS0_4arch9wavefront6targetE1EEEvT1_
                                        ; -- End function
	.section	.AMDGPU.csdata,"",@progbits
; Kernel info:
; codeLenInByte = 0
; NumSgprs: 4
; NumVgprs: 0
; NumAgprs: 0
; TotalNumVgprs: 0
; ScratchSize: 0
; MemoryBound: 0
; FloatMode: 240
; IeeeMode: 1
; LDSByteSize: 0 bytes/workgroup (compile time only)
; SGPRBlocks: 0
; VGPRBlocks: 0
; NumSGPRsForWavesPerEU: 4
; NumVGPRsForWavesPerEU: 1
; AccumOffset: 4
; Occupancy: 8
; WaveLimiterHint : 0
; COMPUTE_PGM_RSRC2:SCRATCH_EN: 0
; COMPUTE_PGM_RSRC2:USER_SGPR: 6
; COMPUTE_PGM_RSRC2:TRAP_HANDLER: 0
; COMPUTE_PGM_RSRC2:TGID_X_EN: 1
; COMPUTE_PGM_RSRC2:TGID_Y_EN: 0
; COMPUTE_PGM_RSRC2:TGID_Z_EN: 0
; COMPUTE_PGM_RSRC2:TIDIG_COMP_CNT: 0
; COMPUTE_PGM_RSRC3_GFX90A:ACCUM_OFFSET: 0
; COMPUTE_PGM_RSRC3_GFX90A:TG_SPLIT: 0
	.section	.text._ZN7rocprim17ROCPRIM_400000_NS6detail17trampoline_kernelINS0_14default_configENS1_27scan_by_key_config_selectorIssEEZZNS1_16scan_by_key_implILNS1_25lookback_scan_determinismE0ELb1ES3_N6thrust23THRUST_200600_302600_NS6detail15normal_iteratorINS9_10device_ptrIsEEEESE_SE_sNS9_4plusIvEENS9_8equal_toIvEEsEE10hipError_tPvRmT2_T3_T4_T5_mT6_T7_P12ihipStream_tbENKUlT_T0_E_clISt17integral_constantIbLb1EESZ_EEDaSU_SV_EUlSU_E_NS1_11comp_targetILNS1_3genE9ELNS1_11target_archE1100ELNS1_3gpuE3ELNS1_3repE0EEENS1_30default_config_static_selectorELNS0_4arch9wavefront6targetE1EEEvT1_,"axG",@progbits,_ZN7rocprim17ROCPRIM_400000_NS6detail17trampoline_kernelINS0_14default_configENS1_27scan_by_key_config_selectorIssEEZZNS1_16scan_by_key_implILNS1_25lookback_scan_determinismE0ELb1ES3_N6thrust23THRUST_200600_302600_NS6detail15normal_iteratorINS9_10device_ptrIsEEEESE_SE_sNS9_4plusIvEENS9_8equal_toIvEEsEE10hipError_tPvRmT2_T3_T4_T5_mT6_T7_P12ihipStream_tbENKUlT_T0_E_clISt17integral_constantIbLb1EESZ_EEDaSU_SV_EUlSU_E_NS1_11comp_targetILNS1_3genE9ELNS1_11target_archE1100ELNS1_3gpuE3ELNS1_3repE0EEENS1_30default_config_static_selectorELNS0_4arch9wavefront6targetE1EEEvT1_,comdat
	.protected	_ZN7rocprim17ROCPRIM_400000_NS6detail17trampoline_kernelINS0_14default_configENS1_27scan_by_key_config_selectorIssEEZZNS1_16scan_by_key_implILNS1_25lookback_scan_determinismE0ELb1ES3_N6thrust23THRUST_200600_302600_NS6detail15normal_iteratorINS9_10device_ptrIsEEEESE_SE_sNS9_4plusIvEENS9_8equal_toIvEEsEE10hipError_tPvRmT2_T3_T4_T5_mT6_T7_P12ihipStream_tbENKUlT_T0_E_clISt17integral_constantIbLb1EESZ_EEDaSU_SV_EUlSU_E_NS1_11comp_targetILNS1_3genE9ELNS1_11target_archE1100ELNS1_3gpuE3ELNS1_3repE0EEENS1_30default_config_static_selectorELNS0_4arch9wavefront6targetE1EEEvT1_ ; -- Begin function _ZN7rocprim17ROCPRIM_400000_NS6detail17trampoline_kernelINS0_14default_configENS1_27scan_by_key_config_selectorIssEEZZNS1_16scan_by_key_implILNS1_25lookback_scan_determinismE0ELb1ES3_N6thrust23THRUST_200600_302600_NS6detail15normal_iteratorINS9_10device_ptrIsEEEESE_SE_sNS9_4plusIvEENS9_8equal_toIvEEsEE10hipError_tPvRmT2_T3_T4_T5_mT6_T7_P12ihipStream_tbENKUlT_T0_E_clISt17integral_constantIbLb1EESZ_EEDaSU_SV_EUlSU_E_NS1_11comp_targetILNS1_3genE9ELNS1_11target_archE1100ELNS1_3gpuE3ELNS1_3repE0EEENS1_30default_config_static_selectorELNS0_4arch9wavefront6targetE1EEEvT1_
	.globl	_ZN7rocprim17ROCPRIM_400000_NS6detail17trampoline_kernelINS0_14default_configENS1_27scan_by_key_config_selectorIssEEZZNS1_16scan_by_key_implILNS1_25lookback_scan_determinismE0ELb1ES3_N6thrust23THRUST_200600_302600_NS6detail15normal_iteratorINS9_10device_ptrIsEEEESE_SE_sNS9_4plusIvEENS9_8equal_toIvEEsEE10hipError_tPvRmT2_T3_T4_T5_mT6_T7_P12ihipStream_tbENKUlT_T0_E_clISt17integral_constantIbLb1EESZ_EEDaSU_SV_EUlSU_E_NS1_11comp_targetILNS1_3genE9ELNS1_11target_archE1100ELNS1_3gpuE3ELNS1_3repE0EEENS1_30default_config_static_selectorELNS0_4arch9wavefront6targetE1EEEvT1_
	.p2align	8
	.type	_ZN7rocprim17ROCPRIM_400000_NS6detail17trampoline_kernelINS0_14default_configENS1_27scan_by_key_config_selectorIssEEZZNS1_16scan_by_key_implILNS1_25lookback_scan_determinismE0ELb1ES3_N6thrust23THRUST_200600_302600_NS6detail15normal_iteratorINS9_10device_ptrIsEEEESE_SE_sNS9_4plusIvEENS9_8equal_toIvEEsEE10hipError_tPvRmT2_T3_T4_T5_mT6_T7_P12ihipStream_tbENKUlT_T0_E_clISt17integral_constantIbLb1EESZ_EEDaSU_SV_EUlSU_E_NS1_11comp_targetILNS1_3genE9ELNS1_11target_archE1100ELNS1_3gpuE3ELNS1_3repE0EEENS1_30default_config_static_selectorELNS0_4arch9wavefront6targetE1EEEvT1_,@function
_ZN7rocprim17ROCPRIM_400000_NS6detail17trampoline_kernelINS0_14default_configENS1_27scan_by_key_config_selectorIssEEZZNS1_16scan_by_key_implILNS1_25lookback_scan_determinismE0ELb1ES3_N6thrust23THRUST_200600_302600_NS6detail15normal_iteratorINS9_10device_ptrIsEEEESE_SE_sNS9_4plusIvEENS9_8equal_toIvEEsEE10hipError_tPvRmT2_T3_T4_T5_mT6_T7_P12ihipStream_tbENKUlT_T0_E_clISt17integral_constantIbLb1EESZ_EEDaSU_SV_EUlSU_E_NS1_11comp_targetILNS1_3genE9ELNS1_11target_archE1100ELNS1_3gpuE3ELNS1_3repE0EEENS1_30default_config_static_selectorELNS0_4arch9wavefront6targetE1EEEvT1_: ; @_ZN7rocprim17ROCPRIM_400000_NS6detail17trampoline_kernelINS0_14default_configENS1_27scan_by_key_config_selectorIssEEZZNS1_16scan_by_key_implILNS1_25lookback_scan_determinismE0ELb1ES3_N6thrust23THRUST_200600_302600_NS6detail15normal_iteratorINS9_10device_ptrIsEEEESE_SE_sNS9_4plusIvEENS9_8equal_toIvEEsEE10hipError_tPvRmT2_T3_T4_T5_mT6_T7_P12ihipStream_tbENKUlT_T0_E_clISt17integral_constantIbLb1EESZ_EEDaSU_SV_EUlSU_E_NS1_11comp_targetILNS1_3genE9ELNS1_11target_archE1100ELNS1_3gpuE3ELNS1_3repE0EEENS1_30default_config_static_selectorELNS0_4arch9wavefront6targetE1EEEvT1_
; %bb.0:
	.section	.rodata,"a",@progbits
	.p2align	6, 0x0
	.amdhsa_kernel _ZN7rocprim17ROCPRIM_400000_NS6detail17trampoline_kernelINS0_14default_configENS1_27scan_by_key_config_selectorIssEEZZNS1_16scan_by_key_implILNS1_25lookback_scan_determinismE0ELb1ES3_N6thrust23THRUST_200600_302600_NS6detail15normal_iteratorINS9_10device_ptrIsEEEESE_SE_sNS9_4plusIvEENS9_8equal_toIvEEsEE10hipError_tPvRmT2_T3_T4_T5_mT6_T7_P12ihipStream_tbENKUlT_T0_E_clISt17integral_constantIbLb1EESZ_EEDaSU_SV_EUlSU_E_NS1_11comp_targetILNS1_3genE9ELNS1_11target_archE1100ELNS1_3gpuE3ELNS1_3repE0EEENS1_30default_config_static_selectorELNS0_4arch9wavefront6targetE1EEEvT1_
		.amdhsa_group_segment_fixed_size 0
		.amdhsa_private_segment_fixed_size 0
		.amdhsa_kernarg_size 112
		.amdhsa_user_sgpr_count 6
		.amdhsa_user_sgpr_private_segment_buffer 1
		.amdhsa_user_sgpr_dispatch_ptr 0
		.amdhsa_user_sgpr_queue_ptr 0
		.amdhsa_user_sgpr_kernarg_segment_ptr 1
		.amdhsa_user_sgpr_dispatch_id 0
		.amdhsa_user_sgpr_flat_scratch_init 0
		.amdhsa_user_sgpr_kernarg_preload_length 0
		.amdhsa_user_sgpr_kernarg_preload_offset 0
		.amdhsa_user_sgpr_private_segment_size 0
		.amdhsa_uses_dynamic_stack 0
		.amdhsa_system_sgpr_private_segment_wavefront_offset 0
		.amdhsa_system_sgpr_workgroup_id_x 1
		.amdhsa_system_sgpr_workgroup_id_y 0
		.amdhsa_system_sgpr_workgroup_id_z 0
		.amdhsa_system_sgpr_workgroup_info 0
		.amdhsa_system_vgpr_workitem_id 0
		.amdhsa_next_free_vgpr 1
		.amdhsa_next_free_sgpr 0
		.amdhsa_accum_offset 4
		.amdhsa_reserve_vcc 0
		.amdhsa_reserve_flat_scratch 0
		.amdhsa_float_round_mode_32 0
		.amdhsa_float_round_mode_16_64 0
		.amdhsa_float_denorm_mode_32 3
		.amdhsa_float_denorm_mode_16_64 3
		.amdhsa_dx10_clamp 1
		.amdhsa_ieee_mode 1
		.amdhsa_fp16_overflow 0
		.amdhsa_tg_split 0
		.amdhsa_exception_fp_ieee_invalid_op 0
		.amdhsa_exception_fp_denorm_src 0
		.amdhsa_exception_fp_ieee_div_zero 0
		.amdhsa_exception_fp_ieee_overflow 0
		.amdhsa_exception_fp_ieee_underflow 0
		.amdhsa_exception_fp_ieee_inexact 0
		.amdhsa_exception_int_div_zero 0
	.end_amdhsa_kernel
	.section	.text._ZN7rocprim17ROCPRIM_400000_NS6detail17trampoline_kernelINS0_14default_configENS1_27scan_by_key_config_selectorIssEEZZNS1_16scan_by_key_implILNS1_25lookback_scan_determinismE0ELb1ES3_N6thrust23THRUST_200600_302600_NS6detail15normal_iteratorINS9_10device_ptrIsEEEESE_SE_sNS9_4plusIvEENS9_8equal_toIvEEsEE10hipError_tPvRmT2_T3_T4_T5_mT6_T7_P12ihipStream_tbENKUlT_T0_E_clISt17integral_constantIbLb1EESZ_EEDaSU_SV_EUlSU_E_NS1_11comp_targetILNS1_3genE9ELNS1_11target_archE1100ELNS1_3gpuE3ELNS1_3repE0EEENS1_30default_config_static_selectorELNS0_4arch9wavefront6targetE1EEEvT1_,"axG",@progbits,_ZN7rocprim17ROCPRIM_400000_NS6detail17trampoline_kernelINS0_14default_configENS1_27scan_by_key_config_selectorIssEEZZNS1_16scan_by_key_implILNS1_25lookback_scan_determinismE0ELb1ES3_N6thrust23THRUST_200600_302600_NS6detail15normal_iteratorINS9_10device_ptrIsEEEESE_SE_sNS9_4plusIvEENS9_8equal_toIvEEsEE10hipError_tPvRmT2_T3_T4_T5_mT6_T7_P12ihipStream_tbENKUlT_T0_E_clISt17integral_constantIbLb1EESZ_EEDaSU_SV_EUlSU_E_NS1_11comp_targetILNS1_3genE9ELNS1_11target_archE1100ELNS1_3gpuE3ELNS1_3repE0EEENS1_30default_config_static_selectorELNS0_4arch9wavefront6targetE1EEEvT1_,comdat
.Lfunc_end585:
	.size	_ZN7rocprim17ROCPRIM_400000_NS6detail17trampoline_kernelINS0_14default_configENS1_27scan_by_key_config_selectorIssEEZZNS1_16scan_by_key_implILNS1_25lookback_scan_determinismE0ELb1ES3_N6thrust23THRUST_200600_302600_NS6detail15normal_iteratorINS9_10device_ptrIsEEEESE_SE_sNS9_4plusIvEENS9_8equal_toIvEEsEE10hipError_tPvRmT2_T3_T4_T5_mT6_T7_P12ihipStream_tbENKUlT_T0_E_clISt17integral_constantIbLb1EESZ_EEDaSU_SV_EUlSU_E_NS1_11comp_targetILNS1_3genE9ELNS1_11target_archE1100ELNS1_3gpuE3ELNS1_3repE0EEENS1_30default_config_static_selectorELNS0_4arch9wavefront6targetE1EEEvT1_, .Lfunc_end585-_ZN7rocprim17ROCPRIM_400000_NS6detail17trampoline_kernelINS0_14default_configENS1_27scan_by_key_config_selectorIssEEZZNS1_16scan_by_key_implILNS1_25lookback_scan_determinismE0ELb1ES3_N6thrust23THRUST_200600_302600_NS6detail15normal_iteratorINS9_10device_ptrIsEEEESE_SE_sNS9_4plusIvEENS9_8equal_toIvEEsEE10hipError_tPvRmT2_T3_T4_T5_mT6_T7_P12ihipStream_tbENKUlT_T0_E_clISt17integral_constantIbLb1EESZ_EEDaSU_SV_EUlSU_E_NS1_11comp_targetILNS1_3genE9ELNS1_11target_archE1100ELNS1_3gpuE3ELNS1_3repE0EEENS1_30default_config_static_selectorELNS0_4arch9wavefront6targetE1EEEvT1_
                                        ; -- End function
	.section	.AMDGPU.csdata,"",@progbits
; Kernel info:
; codeLenInByte = 0
; NumSgprs: 4
; NumVgprs: 0
; NumAgprs: 0
; TotalNumVgprs: 0
; ScratchSize: 0
; MemoryBound: 0
; FloatMode: 240
; IeeeMode: 1
; LDSByteSize: 0 bytes/workgroup (compile time only)
; SGPRBlocks: 0
; VGPRBlocks: 0
; NumSGPRsForWavesPerEU: 4
; NumVGPRsForWavesPerEU: 1
; AccumOffset: 4
; Occupancy: 8
; WaveLimiterHint : 0
; COMPUTE_PGM_RSRC2:SCRATCH_EN: 0
; COMPUTE_PGM_RSRC2:USER_SGPR: 6
; COMPUTE_PGM_RSRC2:TRAP_HANDLER: 0
; COMPUTE_PGM_RSRC2:TGID_X_EN: 1
; COMPUTE_PGM_RSRC2:TGID_Y_EN: 0
; COMPUTE_PGM_RSRC2:TGID_Z_EN: 0
; COMPUTE_PGM_RSRC2:TIDIG_COMP_CNT: 0
; COMPUTE_PGM_RSRC3_GFX90A:ACCUM_OFFSET: 0
; COMPUTE_PGM_RSRC3_GFX90A:TG_SPLIT: 0
	.section	.text._ZN7rocprim17ROCPRIM_400000_NS6detail17trampoline_kernelINS0_14default_configENS1_27scan_by_key_config_selectorIssEEZZNS1_16scan_by_key_implILNS1_25lookback_scan_determinismE0ELb1ES3_N6thrust23THRUST_200600_302600_NS6detail15normal_iteratorINS9_10device_ptrIsEEEESE_SE_sNS9_4plusIvEENS9_8equal_toIvEEsEE10hipError_tPvRmT2_T3_T4_T5_mT6_T7_P12ihipStream_tbENKUlT_T0_E_clISt17integral_constantIbLb1EESZ_EEDaSU_SV_EUlSU_E_NS1_11comp_targetILNS1_3genE8ELNS1_11target_archE1030ELNS1_3gpuE2ELNS1_3repE0EEENS1_30default_config_static_selectorELNS0_4arch9wavefront6targetE1EEEvT1_,"axG",@progbits,_ZN7rocprim17ROCPRIM_400000_NS6detail17trampoline_kernelINS0_14default_configENS1_27scan_by_key_config_selectorIssEEZZNS1_16scan_by_key_implILNS1_25lookback_scan_determinismE0ELb1ES3_N6thrust23THRUST_200600_302600_NS6detail15normal_iteratorINS9_10device_ptrIsEEEESE_SE_sNS9_4plusIvEENS9_8equal_toIvEEsEE10hipError_tPvRmT2_T3_T4_T5_mT6_T7_P12ihipStream_tbENKUlT_T0_E_clISt17integral_constantIbLb1EESZ_EEDaSU_SV_EUlSU_E_NS1_11comp_targetILNS1_3genE8ELNS1_11target_archE1030ELNS1_3gpuE2ELNS1_3repE0EEENS1_30default_config_static_selectorELNS0_4arch9wavefront6targetE1EEEvT1_,comdat
	.protected	_ZN7rocprim17ROCPRIM_400000_NS6detail17trampoline_kernelINS0_14default_configENS1_27scan_by_key_config_selectorIssEEZZNS1_16scan_by_key_implILNS1_25lookback_scan_determinismE0ELb1ES3_N6thrust23THRUST_200600_302600_NS6detail15normal_iteratorINS9_10device_ptrIsEEEESE_SE_sNS9_4plusIvEENS9_8equal_toIvEEsEE10hipError_tPvRmT2_T3_T4_T5_mT6_T7_P12ihipStream_tbENKUlT_T0_E_clISt17integral_constantIbLb1EESZ_EEDaSU_SV_EUlSU_E_NS1_11comp_targetILNS1_3genE8ELNS1_11target_archE1030ELNS1_3gpuE2ELNS1_3repE0EEENS1_30default_config_static_selectorELNS0_4arch9wavefront6targetE1EEEvT1_ ; -- Begin function _ZN7rocprim17ROCPRIM_400000_NS6detail17trampoline_kernelINS0_14default_configENS1_27scan_by_key_config_selectorIssEEZZNS1_16scan_by_key_implILNS1_25lookback_scan_determinismE0ELb1ES3_N6thrust23THRUST_200600_302600_NS6detail15normal_iteratorINS9_10device_ptrIsEEEESE_SE_sNS9_4plusIvEENS9_8equal_toIvEEsEE10hipError_tPvRmT2_T3_T4_T5_mT6_T7_P12ihipStream_tbENKUlT_T0_E_clISt17integral_constantIbLb1EESZ_EEDaSU_SV_EUlSU_E_NS1_11comp_targetILNS1_3genE8ELNS1_11target_archE1030ELNS1_3gpuE2ELNS1_3repE0EEENS1_30default_config_static_selectorELNS0_4arch9wavefront6targetE1EEEvT1_
	.globl	_ZN7rocprim17ROCPRIM_400000_NS6detail17trampoline_kernelINS0_14default_configENS1_27scan_by_key_config_selectorIssEEZZNS1_16scan_by_key_implILNS1_25lookback_scan_determinismE0ELb1ES3_N6thrust23THRUST_200600_302600_NS6detail15normal_iteratorINS9_10device_ptrIsEEEESE_SE_sNS9_4plusIvEENS9_8equal_toIvEEsEE10hipError_tPvRmT2_T3_T4_T5_mT6_T7_P12ihipStream_tbENKUlT_T0_E_clISt17integral_constantIbLb1EESZ_EEDaSU_SV_EUlSU_E_NS1_11comp_targetILNS1_3genE8ELNS1_11target_archE1030ELNS1_3gpuE2ELNS1_3repE0EEENS1_30default_config_static_selectorELNS0_4arch9wavefront6targetE1EEEvT1_
	.p2align	8
	.type	_ZN7rocprim17ROCPRIM_400000_NS6detail17trampoline_kernelINS0_14default_configENS1_27scan_by_key_config_selectorIssEEZZNS1_16scan_by_key_implILNS1_25lookback_scan_determinismE0ELb1ES3_N6thrust23THRUST_200600_302600_NS6detail15normal_iteratorINS9_10device_ptrIsEEEESE_SE_sNS9_4plusIvEENS9_8equal_toIvEEsEE10hipError_tPvRmT2_T3_T4_T5_mT6_T7_P12ihipStream_tbENKUlT_T0_E_clISt17integral_constantIbLb1EESZ_EEDaSU_SV_EUlSU_E_NS1_11comp_targetILNS1_3genE8ELNS1_11target_archE1030ELNS1_3gpuE2ELNS1_3repE0EEENS1_30default_config_static_selectorELNS0_4arch9wavefront6targetE1EEEvT1_,@function
_ZN7rocprim17ROCPRIM_400000_NS6detail17trampoline_kernelINS0_14default_configENS1_27scan_by_key_config_selectorIssEEZZNS1_16scan_by_key_implILNS1_25lookback_scan_determinismE0ELb1ES3_N6thrust23THRUST_200600_302600_NS6detail15normal_iteratorINS9_10device_ptrIsEEEESE_SE_sNS9_4plusIvEENS9_8equal_toIvEEsEE10hipError_tPvRmT2_T3_T4_T5_mT6_T7_P12ihipStream_tbENKUlT_T0_E_clISt17integral_constantIbLb1EESZ_EEDaSU_SV_EUlSU_E_NS1_11comp_targetILNS1_3genE8ELNS1_11target_archE1030ELNS1_3gpuE2ELNS1_3repE0EEENS1_30default_config_static_selectorELNS0_4arch9wavefront6targetE1EEEvT1_: ; @_ZN7rocprim17ROCPRIM_400000_NS6detail17trampoline_kernelINS0_14default_configENS1_27scan_by_key_config_selectorIssEEZZNS1_16scan_by_key_implILNS1_25lookback_scan_determinismE0ELb1ES3_N6thrust23THRUST_200600_302600_NS6detail15normal_iteratorINS9_10device_ptrIsEEEESE_SE_sNS9_4plusIvEENS9_8equal_toIvEEsEE10hipError_tPvRmT2_T3_T4_T5_mT6_T7_P12ihipStream_tbENKUlT_T0_E_clISt17integral_constantIbLb1EESZ_EEDaSU_SV_EUlSU_E_NS1_11comp_targetILNS1_3genE8ELNS1_11target_archE1030ELNS1_3gpuE2ELNS1_3repE0EEENS1_30default_config_static_selectorELNS0_4arch9wavefront6targetE1EEEvT1_
; %bb.0:
	.section	.rodata,"a",@progbits
	.p2align	6, 0x0
	.amdhsa_kernel _ZN7rocprim17ROCPRIM_400000_NS6detail17trampoline_kernelINS0_14default_configENS1_27scan_by_key_config_selectorIssEEZZNS1_16scan_by_key_implILNS1_25lookback_scan_determinismE0ELb1ES3_N6thrust23THRUST_200600_302600_NS6detail15normal_iteratorINS9_10device_ptrIsEEEESE_SE_sNS9_4plusIvEENS9_8equal_toIvEEsEE10hipError_tPvRmT2_T3_T4_T5_mT6_T7_P12ihipStream_tbENKUlT_T0_E_clISt17integral_constantIbLb1EESZ_EEDaSU_SV_EUlSU_E_NS1_11comp_targetILNS1_3genE8ELNS1_11target_archE1030ELNS1_3gpuE2ELNS1_3repE0EEENS1_30default_config_static_selectorELNS0_4arch9wavefront6targetE1EEEvT1_
		.amdhsa_group_segment_fixed_size 0
		.amdhsa_private_segment_fixed_size 0
		.amdhsa_kernarg_size 112
		.amdhsa_user_sgpr_count 6
		.amdhsa_user_sgpr_private_segment_buffer 1
		.amdhsa_user_sgpr_dispatch_ptr 0
		.amdhsa_user_sgpr_queue_ptr 0
		.amdhsa_user_sgpr_kernarg_segment_ptr 1
		.amdhsa_user_sgpr_dispatch_id 0
		.amdhsa_user_sgpr_flat_scratch_init 0
		.amdhsa_user_sgpr_kernarg_preload_length 0
		.amdhsa_user_sgpr_kernarg_preload_offset 0
		.amdhsa_user_sgpr_private_segment_size 0
		.amdhsa_uses_dynamic_stack 0
		.amdhsa_system_sgpr_private_segment_wavefront_offset 0
		.amdhsa_system_sgpr_workgroup_id_x 1
		.amdhsa_system_sgpr_workgroup_id_y 0
		.amdhsa_system_sgpr_workgroup_id_z 0
		.amdhsa_system_sgpr_workgroup_info 0
		.amdhsa_system_vgpr_workitem_id 0
		.amdhsa_next_free_vgpr 1
		.amdhsa_next_free_sgpr 0
		.amdhsa_accum_offset 4
		.amdhsa_reserve_vcc 0
		.amdhsa_reserve_flat_scratch 0
		.amdhsa_float_round_mode_32 0
		.amdhsa_float_round_mode_16_64 0
		.amdhsa_float_denorm_mode_32 3
		.amdhsa_float_denorm_mode_16_64 3
		.amdhsa_dx10_clamp 1
		.amdhsa_ieee_mode 1
		.amdhsa_fp16_overflow 0
		.amdhsa_tg_split 0
		.amdhsa_exception_fp_ieee_invalid_op 0
		.amdhsa_exception_fp_denorm_src 0
		.amdhsa_exception_fp_ieee_div_zero 0
		.amdhsa_exception_fp_ieee_overflow 0
		.amdhsa_exception_fp_ieee_underflow 0
		.amdhsa_exception_fp_ieee_inexact 0
		.amdhsa_exception_int_div_zero 0
	.end_amdhsa_kernel
	.section	.text._ZN7rocprim17ROCPRIM_400000_NS6detail17trampoline_kernelINS0_14default_configENS1_27scan_by_key_config_selectorIssEEZZNS1_16scan_by_key_implILNS1_25lookback_scan_determinismE0ELb1ES3_N6thrust23THRUST_200600_302600_NS6detail15normal_iteratorINS9_10device_ptrIsEEEESE_SE_sNS9_4plusIvEENS9_8equal_toIvEEsEE10hipError_tPvRmT2_T3_T4_T5_mT6_T7_P12ihipStream_tbENKUlT_T0_E_clISt17integral_constantIbLb1EESZ_EEDaSU_SV_EUlSU_E_NS1_11comp_targetILNS1_3genE8ELNS1_11target_archE1030ELNS1_3gpuE2ELNS1_3repE0EEENS1_30default_config_static_selectorELNS0_4arch9wavefront6targetE1EEEvT1_,"axG",@progbits,_ZN7rocprim17ROCPRIM_400000_NS6detail17trampoline_kernelINS0_14default_configENS1_27scan_by_key_config_selectorIssEEZZNS1_16scan_by_key_implILNS1_25lookback_scan_determinismE0ELb1ES3_N6thrust23THRUST_200600_302600_NS6detail15normal_iteratorINS9_10device_ptrIsEEEESE_SE_sNS9_4plusIvEENS9_8equal_toIvEEsEE10hipError_tPvRmT2_T3_T4_T5_mT6_T7_P12ihipStream_tbENKUlT_T0_E_clISt17integral_constantIbLb1EESZ_EEDaSU_SV_EUlSU_E_NS1_11comp_targetILNS1_3genE8ELNS1_11target_archE1030ELNS1_3gpuE2ELNS1_3repE0EEENS1_30default_config_static_selectorELNS0_4arch9wavefront6targetE1EEEvT1_,comdat
.Lfunc_end586:
	.size	_ZN7rocprim17ROCPRIM_400000_NS6detail17trampoline_kernelINS0_14default_configENS1_27scan_by_key_config_selectorIssEEZZNS1_16scan_by_key_implILNS1_25lookback_scan_determinismE0ELb1ES3_N6thrust23THRUST_200600_302600_NS6detail15normal_iteratorINS9_10device_ptrIsEEEESE_SE_sNS9_4plusIvEENS9_8equal_toIvEEsEE10hipError_tPvRmT2_T3_T4_T5_mT6_T7_P12ihipStream_tbENKUlT_T0_E_clISt17integral_constantIbLb1EESZ_EEDaSU_SV_EUlSU_E_NS1_11comp_targetILNS1_3genE8ELNS1_11target_archE1030ELNS1_3gpuE2ELNS1_3repE0EEENS1_30default_config_static_selectorELNS0_4arch9wavefront6targetE1EEEvT1_, .Lfunc_end586-_ZN7rocprim17ROCPRIM_400000_NS6detail17trampoline_kernelINS0_14default_configENS1_27scan_by_key_config_selectorIssEEZZNS1_16scan_by_key_implILNS1_25lookback_scan_determinismE0ELb1ES3_N6thrust23THRUST_200600_302600_NS6detail15normal_iteratorINS9_10device_ptrIsEEEESE_SE_sNS9_4plusIvEENS9_8equal_toIvEEsEE10hipError_tPvRmT2_T3_T4_T5_mT6_T7_P12ihipStream_tbENKUlT_T0_E_clISt17integral_constantIbLb1EESZ_EEDaSU_SV_EUlSU_E_NS1_11comp_targetILNS1_3genE8ELNS1_11target_archE1030ELNS1_3gpuE2ELNS1_3repE0EEENS1_30default_config_static_selectorELNS0_4arch9wavefront6targetE1EEEvT1_
                                        ; -- End function
	.section	.AMDGPU.csdata,"",@progbits
; Kernel info:
; codeLenInByte = 0
; NumSgprs: 4
; NumVgprs: 0
; NumAgprs: 0
; TotalNumVgprs: 0
; ScratchSize: 0
; MemoryBound: 0
; FloatMode: 240
; IeeeMode: 1
; LDSByteSize: 0 bytes/workgroup (compile time only)
; SGPRBlocks: 0
; VGPRBlocks: 0
; NumSGPRsForWavesPerEU: 4
; NumVGPRsForWavesPerEU: 1
; AccumOffset: 4
; Occupancy: 8
; WaveLimiterHint : 0
; COMPUTE_PGM_RSRC2:SCRATCH_EN: 0
; COMPUTE_PGM_RSRC2:USER_SGPR: 6
; COMPUTE_PGM_RSRC2:TRAP_HANDLER: 0
; COMPUTE_PGM_RSRC2:TGID_X_EN: 1
; COMPUTE_PGM_RSRC2:TGID_Y_EN: 0
; COMPUTE_PGM_RSRC2:TGID_Z_EN: 0
; COMPUTE_PGM_RSRC2:TIDIG_COMP_CNT: 0
; COMPUTE_PGM_RSRC3_GFX90A:ACCUM_OFFSET: 0
; COMPUTE_PGM_RSRC3_GFX90A:TG_SPLIT: 0
	.section	.text._ZN7rocprim17ROCPRIM_400000_NS6detail17trampoline_kernelINS0_14default_configENS1_27scan_by_key_config_selectorIssEEZZNS1_16scan_by_key_implILNS1_25lookback_scan_determinismE0ELb1ES3_N6thrust23THRUST_200600_302600_NS6detail15normal_iteratorINS9_10device_ptrIsEEEESE_SE_sNS9_4plusIvEENS9_8equal_toIvEEsEE10hipError_tPvRmT2_T3_T4_T5_mT6_T7_P12ihipStream_tbENKUlT_T0_E_clISt17integral_constantIbLb1EESY_IbLb0EEEEDaSU_SV_EUlSU_E_NS1_11comp_targetILNS1_3genE0ELNS1_11target_archE4294967295ELNS1_3gpuE0ELNS1_3repE0EEENS1_30default_config_static_selectorELNS0_4arch9wavefront6targetE1EEEvT1_,"axG",@progbits,_ZN7rocprim17ROCPRIM_400000_NS6detail17trampoline_kernelINS0_14default_configENS1_27scan_by_key_config_selectorIssEEZZNS1_16scan_by_key_implILNS1_25lookback_scan_determinismE0ELb1ES3_N6thrust23THRUST_200600_302600_NS6detail15normal_iteratorINS9_10device_ptrIsEEEESE_SE_sNS9_4plusIvEENS9_8equal_toIvEEsEE10hipError_tPvRmT2_T3_T4_T5_mT6_T7_P12ihipStream_tbENKUlT_T0_E_clISt17integral_constantIbLb1EESY_IbLb0EEEEDaSU_SV_EUlSU_E_NS1_11comp_targetILNS1_3genE0ELNS1_11target_archE4294967295ELNS1_3gpuE0ELNS1_3repE0EEENS1_30default_config_static_selectorELNS0_4arch9wavefront6targetE1EEEvT1_,comdat
	.protected	_ZN7rocprim17ROCPRIM_400000_NS6detail17trampoline_kernelINS0_14default_configENS1_27scan_by_key_config_selectorIssEEZZNS1_16scan_by_key_implILNS1_25lookback_scan_determinismE0ELb1ES3_N6thrust23THRUST_200600_302600_NS6detail15normal_iteratorINS9_10device_ptrIsEEEESE_SE_sNS9_4plusIvEENS9_8equal_toIvEEsEE10hipError_tPvRmT2_T3_T4_T5_mT6_T7_P12ihipStream_tbENKUlT_T0_E_clISt17integral_constantIbLb1EESY_IbLb0EEEEDaSU_SV_EUlSU_E_NS1_11comp_targetILNS1_3genE0ELNS1_11target_archE4294967295ELNS1_3gpuE0ELNS1_3repE0EEENS1_30default_config_static_selectorELNS0_4arch9wavefront6targetE1EEEvT1_ ; -- Begin function _ZN7rocprim17ROCPRIM_400000_NS6detail17trampoline_kernelINS0_14default_configENS1_27scan_by_key_config_selectorIssEEZZNS1_16scan_by_key_implILNS1_25lookback_scan_determinismE0ELb1ES3_N6thrust23THRUST_200600_302600_NS6detail15normal_iteratorINS9_10device_ptrIsEEEESE_SE_sNS9_4plusIvEENS9_8equal_toIvEEsEE10hipError_tPvRmT2_T3_T4_T5_mT6_T7_P12ihipStream_tbENKUlT_T0_E_clISt17integral_constantIbLb1EESY_IbLb0EEEEDaSU_SV_EUlSU_E_NS1_11comp_targetILNS1_3genE0ELNS1_11target_archE4294967295ELNS1_3gpuE0ELNS1_3repE0EEENS1_30default_config_static_selectorELNS0_4arch9wavefront6targetE1EEEvT1_
	.globl	_ZN7rocprim17ROCPRIM_400000_NS6detail17trampoline_kernelINS0_14default_configENS1_27scan_by_key_config_selectorIssEEZZNS1_16scan_by_key_implILNS1_25lookback_scan_determinismE0ELb1ES3_N6thrust23THRUST_200600_302600_NS6detail15normal_iteratorINS9_10device_ptrIsEEEESE_SE_sNS9_4plusIvEENS9_8equal_toIvEEsEE10hipError_tPvRmT2_T3_T4_T5_mT6_T7_P12ihipStream_tbENKUlT_T0_E_clISt17integral_constantIbLb1EESY_IbLb0EEEEDaSU_SV_EUlSU_E_NS1_11comp_targetILNS1_3genE0ELNS1_11target_archE4294967295ELNS1_3gpuE0ELNS1_3repE0EEENS1_30default_config_static_selectorELNS0_4arch9wavefront6targetE1EEEvT1_
	.p2align	8
	.type	_ZN7rocprim17ROCPRIM_400000_NS6detail17trampoline_kernelINS0_14default_configENS1_27scan_by_key_config_selectorIssEEZZNS1_16scan_by_key_implILNS1_25lookback_scan_determinismE0ELb1ES3_N6thrust23THRUST_200600_302600_NS6detail15normal_iteratorINS9_10device_ptrIsEEEESE_SE_sNS9_4plusIvEENS9_8equal_toIvEEsEE10hipError_tPvRmT2_T3_T4_T5_mT6_T7_P12ihipStream_tbENKUlT_T0_E_clISt17integral_constantIbLb1EESY_IbLb0EEEEDaSU_SV_EUlSU_E_NS1_11comp_targetILNS1_3genE0ELNS1_11target_archE4294967295ELNS1_3gpuE0ELNS1_3repE0EEENS1_30default_config_static_selectorELNS0_4arch9wavefront6targetE1EEEvT1_,@function
_ZN7rocprim17ROCPRIM_400000_NS6detail17trampoline_kernelINS0_14default_configENS1_27scan_by_key_config_selectorIssEEZZNS1_16scan_by_key_implILNS1_25lookback_scan_determinismE0ELb1ES3_N6thrust23THRUST_200600_302600_NS6detail15normal_iteratorINS9_10device_ptrIsEEEESE_SE_sNS9_4plusIvEENS9_8equal_toIvEEsEE10hipError_tPvRmT2_T3_T4_T5_mT6_T7_P12ihipStream_tbENKUlT_T0_E_clISt17integral_constantIbLb1EESY_IbLb0EEEEDaSU_SV_EUlSU_E_NS1_11comp_targetILNS1_3genE0ELNS1_11target_archE4294967295ELNS1_3gpuE0ELNS1_3repE0EEENS1_30default_config_static_selectorELNS0_4arch9wavefront6targetE1EEEvT1_: ; @_ZN7rocprim17ROCPRIM_400000_NS6detail17trampoline_kernelINS0_14default_configENS1_27scan_by_key_config_selectorIssEEZZNS1_16scan_by_key_implILNS1_25lookback_scan_determinismE0ELb1ES3_N6thrust23THRUST_200600_302600_NS6detail15normal_iteratorINS9_10device_ptrIsEEEESE_SE_sNS9_4plusIvEENS9_8equal_toIvEEsEE10hipError_tPvRmT2_T3_T4_T5_mT6_T7_P12ihipStream_tbENKUlT_T0_E_clISt17integral_constantIbLb1EESY_IbLb0EEEEDaSU_SV_EUlSU_E_NS1_11comp_targetILNS1_3genE0ELNS1_11target_archE4294967295ELNS1_3gpuE0ELNS1_3repE0EEENS1_30default_config_static_selectorELNS0_4arch9wavefront6targetE1EEEvT1_
; %bb.0:
	.section	.rodata,"a",@progbits
	.p2align	6, 0x0
	.amdhsa_kernel _ZN7rocprim17ROCPRIM_400000_NS6detail17trampoline_kernelINS0_14default_configENS1_27scan_by_key_config_selectorIssEEZZNS1_16scan_by_key_implILNS1_25lookback_scan_determinismE0ELb1ES3_N6thrust23THRUST_200600_302600_NS6detail15normal_iteratorINS9_10device_ptrIsEEEESE_SE_sNS9_4plusIvEENS9_8equal_toIvEEsEE10hipError_tPvRmT2_T3_T4_T5_mT6_T7_P12ihipStream_tbENKUlT_T0_E_clISt17integral_constantIbLb1EESY_IbLb0EEEEDaSU_SV_EUlSU_E_NS1_11comp_targetILNS1_3genE0ELNS1_11target_archE4294967295ELNS1_3gpuE0ELNS1_3repE0EEENS1_30default_config_static_selectorELNS0_4arch9wavefront6targetE1EEEvT1_
		.amdhsa_group_segment_fixed_size 0
		.amdhsa_private_segment_fixed_size 0
		.amdhsa_kernarg_size 112
		.amdhsa_user_sgpr_count 6
		.amdhsa_user_sgpr_private_segment_buffer 1
		.amdhsa_user_sgpr_dispatch_ptr 0
		.amdhsa_user_sgpr_queue_ptr 0
		.amdhsa_user_sgpr_kernarg_segment_ptr 1
		.amdhsa_user_sgpr_dispatch_id 0
		.amdhsa_user_sgpr_flat_scratch_init 0
		.amdhsa_user_sgpr_kernarg_preload_length 0
		.amdhsa_user_sgpr_kernarg_preload_offset 0
		.amdhsa_user_sgpr_private_segment_size 0
		.amdhsa_uses_dynamic_stack 0
		.amdhsa_system_sgpr_private_segment_wavefront_offset 0
		.amdhsa_system_sgpr_workgroup_id_x 1
		.amdhsa_system_sgpr_workgroup_id_y 0
		.amdhsa_system_sgpr_workgroup_id_z 0
		.amdhsa_system_sgpr_workgroup_info 0
		.amdhsa_system_vgpr_workitem_id 0
		.amdhsa_next_free_vgpr 1
		.amdhsa_next_free_sgpr 0
		.amdhsa_accum_offset 4
		.amdhsa_reserve_vcc 0
		.amdhsa_reserve_flat_scratch 0
		.amdhsa_float_round_mode_32 0
		.amdhsa_float_round_mode_16_64 0
		.amdhsa_float_denorm_mode_32 3
		.amdhsa_float_denorm_mode_16_64 3
		.amdhsa_dx10_clamp 1
		.amdhsa_ieee_mode 1
		.amdhsa_fp16_overflow 0
		.amdhsa_tg_split 0
		.amdhsa_exception_fp_ieee_invalid_op 0
		.amdhsa_exception_fp_denorm_src 0
		.amdhsa_exception_fp_ieee_div_zero 0
		.amdhsa_exception_fp_ieee_overflow 0
		.amdhsa_exception_fp_ieee_underflow 0
		.amdhsa_exception_fp_ieee_inexact 0
		.amdhsa_exception_int_div_zero 0
	.end_amdhsa_kernel
	.section	.text._ZN7rocprim17ROCPRIM_400000_NS6detail17trampoline_kernelINS0_14default_configENS1_27scan_by_key_config_selectorIssEEZZNS1_16scan_by_key_implILNS1_25lookback_scan_determinismE0ELb1ES3_N6thrust23THRUST_200600_302600_NS6detail15normal_iteratorINS9_10device_ptrIsEEEESE_SE_sNS9_4plusIvEENS9_8equal_toIvEEsEE10hipError_tPvRmT2_T3_T4_T5_mT6_T7_P12ihipStream_tbENKUlT_T0_E_clISt17integral_constantIbLb1EESY_IbLb0EEEEDaSU_SV_EUlSU_E_NS1_11comp_targetILNS1_3genE0ELNS1_11target_archE4294967295ELNS1_3gpuE0ELNS1_3repE0EEENS1_30default_config_static_selectorELNS0_4arch9wavefront6targetE1EEEvT1_,"axG",@progbits,_ZN7rocprim17ROCPRIM_400000_NS6detail17trampoline_kernelINS0_14default_configENS1_27scan_by_key_config_selectorIssEEZZNS1_16scan_by_key_implILNS1_25lookback_scan_determinismE0ELb1ES3_N6thrust23THRUST_200600_302600_NS6detail15normal_iteratorINS9_10device_ptrIsEEEESE_SE_sNS9_4plusIvEENS9_8equal_toIvEEsEE10hipError_tPvRmT2_T3_T4_T5_mT6_T7_P12ihipStream_tbENKUlT_T0_E_clISt17integral_constantIbLb1EESY_IbLb0EEEEDaSU_SV_EUlSU_E_NS1_11comp_targetILNS1_3genE0ELNS1_11target_archE4294967295ELNS1_3gpuE0ELNS1_3repE0EEENS1_30default_config_static_selectorELNS0_4arch9wavefront6targetE1EEEvT1_,comdat
.Lfunc_end587:
	.size	_ZN7rocprim17ROCPRIM_400000_NS6detail17trampoline_kernelINS0_14default_configENS1_27scan_by_key_config_selectorIssEEZZNS1_16scan_by_key_implILNS1_25lookback_scan_determinismE0ELb1ES3_N6thrust23THRUST_200600_302600_NS6detail15normal_iteratorINS9_10device_ptrIsEEEESE_SE_sNS9_4plusIvEENS9_8equal_toIvEEsEE10hipError_tPvRmT2_T3_T4_T5_mT6_T7_P12ihipStream_tbENKUlT_T0_E_clISt17integral_constantIbLb1EESY_IbLb0EEEEDaSU_SV_EUlSU_E_NS1_11comp_targetILNS1_3genE0ELNS1_11target_archE4294967295ELNS1_3gpuE0ELNS1_3repE0EEENS1_30default_config_static_selectorELNS0_4arch9wavefront6targetE1EEEvT1_, .Lfunc_end587-_ZN7rocprim17ROCPRIM_400000_NS6detail17trampoline_kernelINS0_14default_configENS1_27scan_by_key_config_selectorIssEEZZNS1_16scan_by_key_implILNS1_25lookback_scan_determinismE0ELb1ES3_N6thrust23THRUST_200600_302600_NS6detail15normal_iteratorINS9_10device_ptrIsEEEESE_SE_sNS9_4plusIvEENS9_8equal_toIvEEsEE10hipError_tPvRmT2_T3_T4_T5_mT6_T7_P12ihipStream_tbENKUlT_T0_E_clISt17integral_constantIbLb1EESY_IbLb0EEEEDaSU_SV_EUlSU_E_NS1_11comp_targetILNS1_3genE0ELNS1_11target_archE4294967295ELNS1_3gpuE0ELNS1_3repE0EEENS1_30default_config_static_selectorELNS0_4arch9wavefront6targetE1EEEvT1_
                                        ; -- End function
	.section	.AMDGPU.csdata,"",@progbits
; Kernel info:
; codeLenInByte = 0
; NumSgprs: 4
; NumVgprs: 0
; NumAgprs: 0
; TotalNumVgprs: 0
; ScratchSize: 0
; MemoryBound: 0
; FloatMode: 240
; IeeeMode: 1
; LDSByteSize: 0 bytes/workgroup (compile time only)
; SGPRBlocks: 0
; VGPRBlocks: 0
; NumSGPRsForWavesPerEU: 4
; NumVGPRsForWavesPerEU: 1
; AccumOffset: 4
; Occupancy: 8
; WaveLimiterHint : 0
; COMPUTE_PGM_RSRC2:SCRATCH_EN: 0
; COMPUTE_PGM_RSRC2:USER_SGPR: 6
; COMPUTE_PGM_RSRC2:TRAP_HANDLER: 0
; COMPUTE_PGM_RSRC2:TGID_X_EN: 1
; COMPUTE_PGM_RSRC2:TGID_Y_EN: 0
; COMPUTE_PGM_RSRC2:TGID_Z_EN: 0
; COMPUTE_PGM_RSRC2:TIDIG_COMP_CNT: 0
; COMPUTE_PGM_RSRC3_GFX90A:ACCUM_OFFSET: 0
; COMPUTE_PGM_RSRC3_GFX90A:TG_SPLIT: 0
	.section	.text._ZN7rocprim17ROCPRIM_400000_NS6detail17trampoline_kernelINS0_14default_configENS1_27scan_by_key_config_selectorIssEEZZNS1_16scan_by_key_implILNS1_25lookback_scan_determinismE0ELb1ES3_N6thrust23THRUST_200600_302600_NS6detail15normal_iteratorINS9_10device_ptrIsEEEESE_SE_sNS9_4plusIvEENS9_8equal_toIvEEsEE10hipError_tPvRmT2_T3_T4_T5_mT6_T7_P12ihipStream_tbENKUlT_T0_E_clISt17integral_constantIbLb1EESY_IbLb0EEEEDaSU_SV_EUlSU_E_NS1_11comp_targetILNS1_3genE10ELNS1_11target_archE1201ELNS1_3gpuE5ELNS1_3repE0EEENS1_30default_config_static_selectorELNS0_4arch9wavefront6targetE1EEEvT1_,"axG",@progbits,_ZN7rocprim17ROCPRIM_400000_NS6detail17trampoline_kernelINS0_14default_configENS1_27scan_by_key_config_selectorIssEEZZNS1_16scan_by_key_implILNS1_25lookback_scan_determinismE0ELb1ES3_N6thrust23THRUST_200600_302600_NS6detail15normal_iteratorINS9_10device_ptrIsEEEESE_SE_sNS9_4plusIvEENS9_8equal_toIvEEsEE10hipError_tPvRmT2_T3_T4_T5_mT6_T7_P12ihipStream_tbENKUlT_T0_E_clISt17integral_constantIbLb1EESY_IbLb0EEEEDaSU_SV_EUlSU_E_NS1_11comp_targetILNS1_3genE10ELNS1_11target_archE1201ELNS1_3gpuE5ELNS1_3repE0EEENS1_30default_config_static_selectorELNS0_4arch9wavefront6targetE1EEEvT1_,comdat
	.protected	_ZN7rocprim17ROCPRIM_400000_NS6detail17trampoline_kernelINS0_14default_configENS1_27scan_by_key_config_selectorIssEEZZNS1_16scan_by_key_implILNS1_25lookback_scan_determinismE0ELb1ES3_N6thrust23THRUST_200600_302600_NS6detail15normal_iteratorINS9_10device_ptrIsEEEESE_SE_sNS9_4plusIvEENS9_8equal_toIvEEsEE10hipError_tPvRmT2_T3_T4_T5_mT6_T7_P12ihipStream_tbENKUlT_T0_E_clISt17integral_constantIbLb1EESY_IbLb0EEEEDaSU_SV_EUlSU_E_NS1_11comp_targetILNS1_3genE10ELNS1_11target_archE1201ELNS1_3gpuE5ELNS1_3repE0EEENS1_30default_config_static_selectorELNS0_4arch9wavefront6targetE1EEEvT1_ ; -- Begin function _ZN7rocprim17ROCPRIM_400000_NS6detail17trampoline_kernelINS0_14default_configENS1_27scan_by_key_config_selectorIssEEZZNS1_16scan_by_key_implILNS1_25lookback_scan_determinismE0ELb1ES3_N6thrust23THRUST_200600_302600_NS6detail15normal_iteratorINS9_10device_ptrIsEEEESE_SE_sNS9_4plusIvEENS9_8equal_toIvEEsEE10hipError_tPvRmT2_T3_T4_T5_mT6_T7_P12ihipStream_tbENKUlT_T0_E_clISt17integral_constantIbLb1EESY_IbLb0EEEEDaSU_SV_EUlSU_E_NS1_11comp_targetILNS1_3genE10ELNS1_11target_archE1201ELNS1_3gpuE5ELNS1_3repE0EEENS1_30default_config_static_selectorELNS0_4arch9wavefront6targetE1EEEvT1_
	.globl	_ZN7rocprim17ROCPRIM_400000_NS6detail17trampoline_kernelINS0_14default_configENS1_27scan_by_key_config_selectorIssEEZZNS1_16scan_by_key_implILNS1_25lookback_scan_determinismE0ELb1ES3_N6thrust23THRUST_200600_302600_NS6detail15normal_iteratorINS9_10device_ptrIsEEEESE_SE_sNS9_4plusIvEENS9_8equal_toIvEEsEE10hipError_tPvRmT2_T3_T4_T5_mT6_T7_P12ihipStream_tbENKUlT_T0_E_clISt17integral_constantIbLb1EESY_IbLb0EEEEDaSU_SV_EUlSU_E_NS1_11comp_targetILNS1_3genE10ELNS1_11target_archE1201ELNS1_3gpuE5ELNS1_3repE0EEENS1_30default_config_static_selectorELNS0_4arch9wavefront6targetE1EEEvT1_
	.p2align	8
	.type	_ZN7rocprim17ROCPRIM_400000_NS6detail17trampoline_kernelINS0_14default_configENS1_27scan_by_key_config_selectorIssEEZZNS1_16scan_by_key_implILNS1_25lookback_scan_determinismE0ELb1ES3_N6thrust23THRUST_200600_302600_NS6detail15normal_iteratorINS9_10device_ptrIsEEEESE_SE_sNS9_4plusIvEENS9_8equal_toIvEEsEE10hipError_tPvRmT2_T3_T4_T5_mT6_T7_P12ihipStream_tbENKUlT_T0_E_clISt17integral_constantIbLb1EESY_IbLb0EEEEDaSU_SV_EUlSU_E_NS1_11comp_targetILNS1_3genE10ELNS1_11target_archE1201ELNS1_3gpuE5ELNS1_3repE0EEENS1_30default_config_static_selectorELNS0_4arch9wavefront6targetE1EEEvT1_,@function
_ZN7rocprim17ROCPRIM_400000_NS6detail17trampoline_kernelINS0_14default_configENS1_27scan_by_key_config_selectorIssEEZZNS1_16scan_by_key_implILNS1_25lookback_scan_determinismE0ELb1ES3_N6thrust23THRUST_200600_302600_NS6detail15normal_iteratorINS9_10device_ptrIsEEEESE_SE_sNS9_4plusIvEENS9_8equal_toIvEEsEE10hipError_tPvRmT2_T3_T4_T5_mT6_T7_P12ihipStream_tbENKUlT_T0_E_clISt17integral_constantIbLb1EESY_IbLb0EEEEDaSU_SV_EUlSU_E_NS1_11comp_targetILNS1_3genE10ELNS1_11target_archE1201ELNS1_3gpuE5ELNS1_3repE0EEENS1_30default_config_static_selectorELNS0_4arch9wavefront6targetE1EEEvT1_: ; @_ZN7rocprim17ROCPRIM_400000_NS6detail17trampoline_kernelINS0_14default_configENS1_27scan_by_key_config_selectorIssEEZZNS1_16scan_by_key_implILNS1_25lookback_scan_determinismE0ELb1ES3_N6thrust23THRUST_200600_302600_NS6detail15normal_iteratorINS9_10device_ptrIsEEEESE_SE_sNS9_4plusIvEENS9_8equal_toIvEEsEE10hipError_tPvRmT2_T3_T4_T5_mT6_T7_P12ihipStream_tbENKUlT_T0_E_clISt17integral_constantIbLb1EESY_IbLb0EEEEDaSU_SV_EUlSU_E_NS1_11comp_targetILNS1_3genE10ELNS1_11target_archE1201ELNS1_3gpuE5ELNS1_3repE0EEENS1_30default_config_static_selectorELNS0_4arch9wavefront6targetE1EEEvT1_
; %bb.0:
	.section	.rodata,"a",@progbits
	.p2align	6, 0x0
	.amdhsa_kernel _ZN7rocprim17ROCPRIM_400000_NS6detail17trampoline_kernelINS0_14default_configENS1_27scan_by_key_config_selectorIssEEZZNS1_16scan_by_key_implILNS1_25lookback_scan_determinismE0ELb1ES3_N6thrust23THRUST_200600_302600_NS6detail15normal_iteratorINS9_10device_ptrIsEEEESE_SE_sNS9_4plusIvEENS9_8equal_toIvEEsEE10hipError_tPvRmT2_T3_T4_T5_mT6_T7_P12ihipStream_tbENKUlT_T0_E_clISt17integral_constantIbLb1EESY_IbLb0EEEEDaSU_SV_EUlSU_E_NS1_11comp_targetILNS1_3genE10ELNS1_11target_archE1201ELNS1_3gpuE5ELNS1_3repE0EEENS1_30default_config_static_selectorELNS0_4arch9wavefront6targetE1EEEvT1_
		.amdhsa_group_segment_fixed_size 0
		.amdhsa_private_segment_fixed_size 0
		.amdhsa_kernarg_size 112
		.amdhsa_user_sgpr_count 6
		.amdhsa_user_sgpr_private_segment_buffer 1
		.amdhsa_user_sgpr_dispatch_ptr 0
		.amdhsa_user_sgpr_queue_ptr 0
		.amdhsa_user_sgpr_kernarg_segment_ptr 1
		.amdhsa_user_sgpr_dispatch_id 0
		.amdhsa_user_sgpr_flat_scratch_init 0
		.amdhsa_user_sgpr_kernarg_preload_length 0
		.amdhsa_user_sgpr_kernarg_preload_offset 0
		.amdhsa_user_sgpr_private_segment_size 0
		.amdhsa_uses_dynamic_stack 0
		.amdhsa_system_sgpr_private_segment_wavefront_offset 0
		.amdhsa_system_sgpr_workgroup_id_x 1
		.amdhsa_system_sgpr_workgroup_id_y 0
		.amdhsa_system_sgpr_workgroup_id_z 0
		.amdhsa_system_sgpr_workgroup_info 0
		.amdhsa_system_vgpr_workitem_id 0
		.amdhsa_next_free_vgpr 1
		.amdhsa_next_free_sgpr 0
		.amdhsa_accum_offset 4
		.amdhsa_reserve_vcc 0
		.amdhsa_reserve_flat_scratch 0
		.amdhsa_float_round_mode_32 0
		.amdhsa_float_round_mode_16_64 0
		.amdhsa_float_denorm_mode_32 3
		.amdhsa_float_denorm_mode_16_64 3
		.amdhsa_dx10_clamp 1
		.amdhsa_ieee_mode 1
		.amdhsa_fp16_overflow 0
		.amdhsa_tg_split 0
		.amdhsa_exception_fp_ieee_invalid_op 0
		.amdhsa_exception_fp_denorm_src 0
		.amdhsa_exception_fp_ieee_div_zero 0
		.amdhsa_exception_fp_ieee_overflow 0
		.amdhsa_exception_fp_ieee_underflow 0
		.amdhsa_exception_fp_ieee_inexact 0
		.amdhsa_exception_int_div_zero 0
	.end_amdhsa_kernel
	.section	.text._ZN7rocprim17ROCPRIM_400000_NS6detail17trampoline_kernelINS0_14default_configENS1_27scan_by_key_config_selectorIssEEZZNS1_16scan_by_key_implILNS1_25lookback_scan_determinismE0ELb1ES3_N6thrust23THRUST_200600_302600_NS6detail15normal_iteratorINS9_10device_ptrIsEEEESE_SE_sNS9_4plusIvEENS9_8equal_toIvEEsEE10hipError_tPvRmT2_T3_T4_T5_mT6_T7_P12ihipStream_tbENKUlT_T0_E_clISt17integral_constantIbLb1EESY_IbLb0EEEEDaSU_SV_EUlSU_E_NS1_11comp_targetILNS1_3genE10ELNS1_11target_archE1201ELNS1_3gpuE5ELNS1_3repE0EEENS1_30default_config_static_selectorELNS0_4arch9wavefront6targetE1EEEvT1_,"axG",@progbits,_ZN7rocprim17ROCPRIM_400000_NS6detail17trampoline_kernelINS0_14default_configENS1_27scan_by_key_config_selectorIssEEZZNS1_16scan_by_key_implILNS1_25lookback_scan_determinismE0ELb1ES3_N6thrust23THRUST_200600_302600_NS6detail15normal_iteratorINS9_10device_ptrIsEEEESE_SE_sNS9_4plusIvEENS9_8equal_toIvEEsEE10hipError_tPvRmT2_T3_T4_T5_mT6_T7_P12ihipStream_tbENKUlT_T0_E_clISt17integral_constantIbLb1EESY_IbLb0EEEEDaSU_SV_EUlSU_E_NS1_11comp_targetILNS1_3genE10ELNS1_11target_archE1201ELNS1_3gpuE5ELNS1_3repE0EEENS1_30default_config_static_selectorELNS0_4arch9wavefront6targetE1EEEvT1_,comdat
.Lfunc_end588:
	.size	_ZN7rocprim17ROCPRIM_400000_NS6detail17trampoline_kernelINS0_14default_configENS1_27scan_by_key_config_selectorIssEEZZNS1_16scan_by_key_implILNS1_25lookback_scan_determinismE0ELb1ES3_N6thrust23THRUST_200600_302600_NS6detail15normal_iteratorINS9_10device_ptrIsEEEESE_SE_sNS9_4plusIvEENS9_8equal_toIvEEsEE10hipError_tPvRmT2_T3_T4_T5_mT6_T7_P12ihipStream_tbENKUlT_T0_E_clISt17integral_constantIbLb1EESY_IbLb0EEEEDaSU_SV_EUlSU_E_NS1_11comp_targetILNS1_3genE10ELNS1_11target_archE1201ELNS1_3gpuE5ELNS1_3repE0EEENS1_30default_config_static_selectorELNS0_4arch9wavefront6targetE1EEEvT1_, .Lfunc_end588-_ZN7rocprim17ROCPRIM_400000_NS6detail17trampoline_kernelINS0_14default_configENS1_27scan_by_key_config_selectorIssEEZZNS1_16scan_by_key_implILNS1_25lookback_scan_determinismE0ELb1ES3_N6thrust23THRUST_200600_302600_NS6detail15normal_iteratorINS9_10device_ptrIsEEEESE_SE_sNS9_4plusIvEENS9_8equal_toIvEEsEE10hipError_tPvRmT2_T3_T4_T5_mT6_T7_P12ihipStream_tbENKUlT_T0_E_clISt17integral_constantIbLb1EESY_IbLb0EEEEDaSU_SV_EUlSU_E_NS1_11comp_targetILNS1_3genE10ELNS1_11target_archE1201ELNS1_3gpuE5ELNS1_3repE0EEENS1_30default_config_static_selectorELNS0_4arch9wavefront6targetE1EEEvT1_
                                        ; -- End function
	.section	.AMDGPU.csdata,"",@progbits
; Kernel info:
; codeLenInByte = 0
; NumSgprs: 4
; NumVgprs: 0
; NumAgprs: 0
; TotalNumVgprs: 0
; ScratchSize: 0
; MemoryBound: 0
; FloatMode: 240
; IeeeMode: 1
; LDSByteSize: 0 bytes/workgroup (compile time only)
; SGPRBlocks: 0
; VGPRBlocks: 0
; NumSGPRsForWavesPerEU: 4
; NumVGPRsForWavesPerEU: 1
; AccumOffset: 4
; Occupancy: 8
; WaveLimiterHint : 0
; COMPUTE_PGM_RSRC2:SCRATCH_EN: 0
; COMPUTE_PGM_RSRC2:USER_SGPR: 6
; COMPUTE_PGM_RSRC2:TRAP_HANDLER: 0
; COMPUTE_PGM_RSRC2:TGID_X_EN: 1
; COMPUTE_PGM_RSRC2:TGID_Y_EN: 0
; COMPUTE_PGM_RSRC2:TGID_Z_EN: 0
; COMPUTE_PGM_RSRC2:TIDIG_COMP_CNT: 0
; COMPUTE_PGM_RSRC3_GFX90A:ACCUM_OFFSET: 0
; COMPUTE_PGM_RSRC3_GFX90A:TG_SPLIT: 0
	.section	.text._ZN7rocprim17ROCPRIM_400000_NS6detail17trampoline_kernelINS0_14default_configENS1_27scan_by_key_config_selectorIssEEZZNS1_16scan_by_key_implILNS1_25lookback_scan_determinismE0ELb1ES3_N6thrust23THRUST_200600_302600_NS6detail15normal_iteratorINS9_10device_ptrIsEEEESE_SE_sNS9_4plusIvEENS9_8equal_toIvEEsEE10hipError_tPvRmT2_T3_T4_T5_mT6_T7_P12ihipStream_tbENKUlT_T0_E_clISt17integral_constantIbLb1EESY_IbLb0EEEEDaSU_SV_EUlSU_E_NS1_11comp_targetILNS1_3genE5ELNS1_11target_archE942ELNS1_3gpuE9ELNS1_3repE0EEENS1_30default_config_static_selectorELNS0_4arch9wavefront6targetE1EEEvT1_,"axG",@progbits,_ZN7rocprim17ROCPRIM_400000_NS6detail17trampoline_kernelINS0_14default_configENS1_27scan_by_key_config_selectorIssEEZZNS1_16scan_by_key_implILNS1_25lookback_scan_determinismE0ELb1ES3_N6thrust23THRUST_200600_302600_NS6detail15normal_iteratorINS9_10device_ptrIsEEEESE_SE_sNS9_4plusIvEENS9_8equal_toIvEEsEE10hipError_tPvRmT2_T3_T4_T5_mT6_T7_P12ihipStream_tbENKUlT_T0_E_clISt17integral_constantIbLb1EESY_IbLb0EEEEDaSU_SV_EUlSU_E_NS1_11comp_targetILNS1_3genE5ELNS1_11target_archE942ELNS1_3gpuE9ELNS1_3repE0EEENS1_30default_config_static_selectorELNS0_4arch9wavefront6targetE1EEEvT1_,comdat
	.protected	_ZN7rocprim17ROCPRIM_400000_NS6detail17trampoline_kernelINS0_14default_configENS1_27scan_by_key_config_selectorIssEEZZNS1_16scan_by_key_implILNS1_25lookback_scan_determinismE0ELb1ES3_N6thrust23THRUST_200600_302600_NS6detail15normal_iteratorINS9_10device_ptrIsEEEESE_SE_sNS9_4plusIvEENS9_8equal_toIvEEsEE10hipError_tPvRmT2_T3_T4_T5_mT6_T7_P12ihipStream_tbENKUlT_T0_E_clISt17integral_constantIbLb1EESY_IbLb0EEEEDaSU_SV_EUlSU_E_NS1_11comp_targetILNS1_3genE5ELNS1_11target_archE942ELNS1_3gpuE9ELNS1_3repE0EEENS1_30default_config_static_selectorELNS0_4arch9wavefront6targetE1EEEvT1_ ; -- Begin function _ZN7rocprim17ROCPRIM_400000_NS6detail17trampoline_kernelINS0_14default_configENS1_27scan_by_key_config_selectorIssEEZZNS1_16scan_by_key_implILNS1_25lookback_scan_determinismE0ELb1ES3_N6thrust23THRUST_200600_302600_NS6detail15normal_iteratorINS9_10device_ptrIsEEEESE_SE_sNS9_4plusIvEENS9_8equal_toIvEEsEE10hipError_tPvRmT2_T3_T4_T5_mT6_T7_P12ihipStream_tbENKUlT_T0_E_clISt17integral_constantIbLb1EESY_IbLb0EEEEDaSU_SV_EUlSU_E_NS1_11comp_targetILNS1_3genE5ELNS1_11target_archE942ELNS1_3gpuE9ELNS1_3repE0EEENS1_30default_config_static_selectorELNS0_4arch9wavefront6targetE1EEEvT1_
	.globl	_ZN7rocprim17ROCPRIM_400000_NS6detail17trampoline_kernelINS0_14default_configENS1_27scan_by_key_config_selectorIssEEZZNS1_16scan_by_key_implILNS1_25lookback_scan_determinismE0ELb1ES3_N6thrust23THRUST_200600_302600_NS6detail15normal_iteratorINS9_10device_ptrIsEEEESE_SE_sNS9_4plusIvEENS9_8equal_toIvEEsEE10hipError_tPvRmT2_T3_T4_T5_mT6_T7_P12ihipStream_tbENKUlT_T0_E_clISt17integral_constantIbLb1EESY_IbLb0EEEEDaSU_SV_EUlSU_E_NS1_11comp_targetILNS1_3genE5ELNS1_11target_archE942ELNS1_3gpuE9ELNS1_3repE0EEENS1_30default_config_static_selectorELNS0_4arch9wavefront6targetE1EEEvT1_
	.p2align	8
	.type	_ZN7rocprim17ROCPRIM_400000_NS6detail17trampoline_kernelINS0_14default_configENS1_27scan_by_key_config_selectorIssEEZZNS1_16scan_by_key_implILNS1_25lookback_scan_determinismE0ELb1ES3_N6thrust23THRUST_200600_302600_NS6detail15normal_iteratorINS9_10device_ptrIsEEEESE_SE_sNS9_4plusIvEENS9_8equal_toIvEEsEE10hipError_tPvRmT2_T3_T4_T5_mT6_T7_P12ihipStream_tbENKUlT_T0_E_clISt17integral_constantIbLb1EESY_IbLb0EEEEDaSU_SV_EUlSU_E_NS1_11comp_targetILNS1_3genE5ELNS1_11target_archE942ELNS1_3gpuE9ELNS1_3repE0EEENS1_30default_config_static_selectorELNS0_4arch9wavefront6targetE1EEEvT1_,@function
_ZN7rocprim17ROCPRIM_400000_NS6detail17trampoline_kernelINS0_14default_configENS1_27scan_by_key_config_selectorIssEEZZNS1_16scan_by_key_implILNS1_25lookback_scan_determinismE0ELb1ES3_N6thrust23THRUST_200600_302600_NS6detail15normal_iteratorINS9_10device_ptrIsEEEESE_SE_sNS9_4plusIvEENS9_8equal_toIvEEsEE10hipError_tPvRmT2_T3_T4_T5_mT6_T7_P12ihipStream_tbENKUlT_T0_E_clISt17integral_constantIbLb1EESY_IbLb0EEEEDaSU_SV_EUlSU_E_NS1_11comp_targetILNS1_3genE5ELNS1_11target_archE942ELNS1_3gpuE9ELNS1_3repE0EEENS1_30default_config_static_selectorELNS0_4arch9wavefront6targetE1EEEvT1_: ; @_ZN7rocprim17ROCPRIM_400000_NS6detail17trampoline_kernelINS0_14default_configENS1_27scan_by_key_config_selectorIssEEZZNS1_16scan_by_key_implILNS1_25lookback_scan_determinismE0ELb1ES3_N6thrust23THRUST_200600_302600_NS6detail15normal_iteratorINS9_10device_ptrIsEEEESE_SE_sNS9_4plusIvEENS9_8equal_toIvEEsEE10hipError_tPvRmT2_T3_T4_T5_mT6_T7_P12ihipStream_tbENKUlT_T0_E_clISt17integral_constantIbLb1EESY_IbLb0EEEEDaSU_SV_EUlSU_E_NS1_11comp_targetILNS1_3genE5ELNS1_11target_archE942ELNS1_3gpuE9ELNS1_3repE0EEENS1_30default_config_static_selectorELNS0_4arch9wavefront6targetE1EEEvT1_
; %bb.0:
	.section	.rodata,"a",@progbits
	.p2align	6, 0x0
	.amdhsa_kernel _ZN7rocprim17ROCPRIM_400000_NS6detail17trampoline_kernelINS0_14default_configENS1_27scan_by_key_config_selectorIssEEZZNS1_16scan_by_key_implILNS1_25lookback_scan_determinismE0ELb1ES3_N6thrust23THRUST_200600_302600_NS6detail15normal_iteratorINS9_10device_ptrIsEEEESE_SE_sNS9_4plusIvEENS9_8equal_toIvEEsEE10hipError_tPvRmT2_T3_T4_T5_mT6_T7_P12ihipStream_tbENKUlT_T0_E_clISt17integral_constantIbLb1EESY_IbLb0EEEEDaSU_SV_EUlSU_E_NS1_11comp_targetILNS1_3genE5ELNS1_11target_archE942ELNS1_3gpuE9ELNS1_3repE0EEENS1_30default_config_static_selectorELNS0_4arch9wavefront6targetE1EEEvT1_
		.amdhsa_group_segment_fixed_size 0
		.amdhsa_private_segment_fixed_size 0
		.amdhsa_kernarg_size 112
		.amdhsa_user_sgpr_count 6
		.amdhsa_user_sgpr_private_segment_buffer 1
		.amdhsa_user_sgpr_dispatch_ptr 0
		.amdhsa_user_sgpr_queue_ptr 0
		.amdhsa_user_sgpr_kernarg_segment_ptr 1
		.amdhsa_user_sgpr_dispatch_id 0
		.amdhsa_user_sgpr_flat_scratch_init 0
		.amdhsa_user_sgpr_kernarg_preload_length 0
		.amdhsa_user_sgpr_kernarg_preload_offset 0
		.amdhsa_user_sgpr_private_segment_size 0
		.amdhsa_uses_dynamic_stack 0
		.amdhsa_system_sgpr_private_segment_wavefront_offset 0
		.amdhsa_system_sgpr_workgroup_id_x 1
		.amdhsa_system_sgpr_workgroup_id_y 0
		.amdhsa_system_sgpr_workgroup_id_z 0
		.amdhsa_system_sgpr_workgroup_info 0
		.amdhsa_system_vgpr_workitem_id 0
		.amdhsa_next_free_vgpr 1
		.amdhsa_next_free_sgpr 0
		.amdhsa_accum_offset 4
		.amdhsa_reserve_vcc 0
		.amdhsa_reserve_flat_scratch 0
		.amdhsa_float_round_mode_32 0
		.amdhsa_float_round_mode_16_64 0
		.amdhsa_float_denorm_mode_32 3
		.amdhsa_float_denorm_mode_16_64 3
		.amdhsa_dx10_clamp 1
		.amdhsa_ieee_mode 1
		.amdhsa_fp16_overflow 0
		.amdhsa_tg_split 0
		.amdhsa_exception_fp_ieee_invalid_op 0
		.amdhsa_exception_fp_denorm_src 0
		.amdhsa_exception_fp_ieee_div_zero 0
		.amdhsa_exception_fp_ieee_overflow 0
		.amdhsa_exception_fp_ieee_underflow 0
		.amdhsa_exception_fp_ieee_inexact 0
		.amdhsa_exception_int_div_zero 0
	.end_amdhsa_kernel
	.section	.text._ZN7rocprim17ROCPRIM_400000_NS6detail17trampoline_kernelINS0_14default_configENS1_27scan_by_key_config_selectorIssEEZZNS1_16scan_by_key_implILNS1_25lookback_scan_determinismE0ELb1ES3_N6thrust23THRUST_200600_302600_NS6detail15normal_iteratorINS9_10device_ptrIsEEEESE_SE_sNS9_4plusIvEENS9_8equal_toIvEEsEE10hipError_tPvRmT2_T3_T4_T5_mT6_T7_P12ihipStream_tbENKUlT_T0_E_clISt17integral_constantIbLb1EESY_IbLb0EEEEDaSU_SV_EUlSU_E_NS1_11comp_targetILNS1_3genE5ELNS1_11target_archE942ELNS1_3gpuE9ELNS1_3repE0EEENS1_30default_config_static_selectorELNS0_4arch9wavefront6targetE1EEEvT1_,"axG",@progbits,_ZN7rocprim17ROCPRIM_400000_NS6detail17trampoline_kernelINS0_14default_configENS1_27scan_by_key_config_selectorIssEEZZNS1_16scan_by_key_implILNS1_25lookback_scan_determinismE0ELb1ES3_N6thrust23THRUST_200600_302600_NS6detail15normal_iteratorINS9_10device_ptrIsEEEESE_SE_sNS9_4plusIvEENS9_8equal_toIvEEsEE10hipError_tPvRmT2_T3_T4_T5_mT6_T7_P12ihipStream_tbENKUlT_T0_E_clISt17integral_constantIbLb1EESY_IbLb0EEEEDaSU_SV_EUlSU_E_NS1_11comp_targetILNS1_3genE5ELNS1_11target_archE942ELNS1_3gpuE9ELNS1_3repE0EEENS1_30default_config_static_selectorELNS0_4arch9wavefront6targetE1EEEvT1_,comdat
.Lfunc_end589:
	.size	_ZN7rocprim17ROCPRIM_400000_NS6detail17trampoline_kernelINS0_14default_configENS1_27scan_by_key_config_selectorIssEEZZNS1_16scan_by_key_implILNS1_25lookback_scan_determinismE0ELb1ES3_N6thrust23THRUST_200600_302600_NS6detail15normal_iteratorINS9_10device_ptrIsEEEESE_SE_sNS9_4plusIvEENS9_8equal_toIvEEsEE10hipError_tPvRmT2_T3_T4_T5_mT6_T7_P12ihipStream_tbENKUlT_T0_E_clISt17integral_constantIbLb1EESY_IbLb0EEEEDaSU_SV_EUlSU_E_NS1_11comp_targetILNS1_3genE5ELNS1_11target_archE942ELNS1_3gpuE9ELNS1_3repE0EEENS1_30default_config_static_selectorELNS0_4arch9wavefront6targetE1EEEvT1_, .Lfunc_end589-_ZN7rocprim17ROCPRIM_400000_NS6detail17trampoline_kernelINS0_14default_configENS1_27scan_by_key_config_selectorIssEEZZNS1_16scan_by_key_implILNS1_25lookback_scan_determinismE0ELb1ES3_N6thrust23THRUST_200600_302600_NS6detail15normal_iteratorINS9_10device_ptrIsEEEESE_SE_sNS9_4plusIvEENS9_8equal_toIvEEsEE10hipError_tPvRmT2_T3_T4_T5_mT6_T7_P12ihipStream_tbENKUlT_T0_E_clISt17integral_constantIbLb1EESY_IbLb0EEEEDaSU_SV_EUlSU_E_NS1_11comp_targetILNS1_3genE5ELNS1_11target_archE942ELNS1_3gpuE9ELNS1_3repE0EEENS1_30default_config_static_selectorELNS0_4arch9wavefront6targetE1EEEvT1_
                                        ; -- End function
	.section	.AMDGPU.csdata,"",@progbits
; Kernel info:
; codeLenInByte = 0
; NumSgprs: 4
; NumVgprs: 0
; NumAgprs: 0
; TotalNumVgprs: 0
; ScratchSize: 0
; MemoryBound: 0
; FloatMode: 240
; IeeeMode: 1
; LDSByteSize: 0 bytes/workgroup (compile time only)
; SGPRBlocks: 0
; VGPRBlocks: 0
; NumSGPRsForWavesPerEU: 4
; NumVGPRsForWavesPerEU: 1
; AccumOffset: 4
; Occupancy: 8
; WaveLimiterHint : 0
; COMPUTE_PGM_RSRC2:SCRATCH_EN: 0
; COMPUTE_PGM_RSRC2:USER_SGPR: 6
; COMPUTE_PGM_RSRC2:TRAP_HANDLER: 0
; COMPUTE_PGM_RSRC2:TGID_X_EN: 1
; COMPUTE_PGM_RSRC2:TGID_Y_EN: 0
; COMPUTE_PGM_RSRC2:TGID_Z_EN: 0
; COMPUTE_PGM_RSRC2:TIDIG_COMP_CNT: 0
; COMPUTE_PGM_RSRC3_GFX90A:ACCUM_OFFSET: 0
; COMPUTE_PGM_RSRC3_GFX90A:TG_SPLIT: 0
	.section	.text._ZN7rocprim17ROCPRIM_400000_NS6detail17trampoline_kernelINS0_14default_configENS1_27scan_by_key_config_selectorIssEEZZNS1_16scan_by_key_implILNS1_25lookback_scan_determinismE0ELb1ES3_N6thrust23THRUST_200600_302600_NS6detail15normal_iteratorINS9_10device_ptrIsEEEESE_SE_sNS9_4plusIvEENS9_8equal_toIvEEsEE10hipError_tPvRmT2_T3_T4_T5_mT6_T7_P12ihipStream_tbENKUlT_T0_E_clISt17integral_constantIbLb1EESY_IbLb0EEEEDaSU_SV_EUlSU_E_NS1_11comp_targetILNS1_3genE4ELNS1_11target_archE910ELNS1_3gpuE8ELNS1_3repE0EEENS1_30default_config_static_selectorELNS0_4arch9wavefront6targetE1EEEvT1_,"axG",@progbits,_ZN7rocprim17ROCPRIM_400000_NS6detail17trampoline_kernelINS0_14default_configENS1_27scan_by_key_config_selectorIssEEZZNS1_16scan_by_key_implILNS1_25lookback_scan_determinismE0ELb1ES3_N6thrust23THRUST_200600_302600_NS6detail15normal_iteratorINS9_10device_ptrIsEEEESE_SE_sNS9_4plusIvEENS9_8equal_toIvEEsEE10hipError_tPvRmT2_T3_T4_T5_mT6_T7_P12ihipStream_tbENKUlT_T0_E_clISt17integral_constantIbLb1EESY_IbLb0EEEEDaSU_SV_EUlSU_E_NS1_11comp_targetILNS1_3genE4ELNS1_11target_archE910ELNS1_3gpuE8ELNS1_3repE0EEENS1_30default_config_static_selectorELNS0_4arch9wavefront6targetE1EEEvT1_,comdat
	.protected	_ZN7rocprim17ROCPRIM_400000_NS6detail17trampoline_kernelINS0_14default_configENS1_27scan_by_key_config_selectorIssEEZZNS1_16scan_by_key_implILNS1_25lookback_scan_determinismE0ELb1ES3_N6thrust23THRUST_200600_302600_NS6detail15normal_iteratorINS9_10device_ptrIsEEEESE_SE_sNS9_4plusIvEENS9_8equal_toIvEEsEE10hipError_tPvRmT2_T3_T4_T5_mT6_T7_P12ihipStream_tbENKUlT_T0_E_clISt17integral_constantIbLb1EESY_IbLb0EEEEDaSU_SV_EUlSU_E_NS1_11comp_targetILNS1_3genE4ELNS1_11target_archE910ELNS1_3gpuE8ELNS1_3repE0EEENS1_30default_config_static_selectorELNS0_4arch9wavefront6targetE1EEEvT1_ ; -- Begin function _ZN7rocprim17ROCPRIM_400000_NS6detail17trampoline_kernelINS0_14default_configENS1_27scan_by_key_config_selectorIssEEZZNS1_16scan_by_key_implILNS1_25lookback_scan_determinismE0ELb1ES3_N6thrust23THRUST_200600_302600_NS6detail15normal_iteratorINS9_10device_ptrIsEEEESE_SE_sNS9_4plusIvEENS9_8equal_toIvEEsEE10hipError_tPvRmT2_T3_T4_T5_mT6_T7_P12ihipStream_tbENKUlT_T0_E_clISt17integral_constantIbLb1EESY_IbLb0EEEEDaSU_SV_EUlSU_E_NS1_11comp_targetILNS1_3genE4ELNS1_11target_archE910ELNS1_3gpuE8ELNS1_3repE0EEENS1_30default_config_static_selectorELNS0_4arch9wavefront6targetE1EEEvT1_
	.globl	_ZN7rocprim17ROCPRIM_400000_NS6detail17trampoline_kernelINS0_14default_configENS1_27scan_by_key_config_selectorIssEEZZNS1_16scan_by_key_implILNS1_25lookback_scan_determinismE0ELb1ES3_N6thrust23THRUST_200600_302600_NS6detail15normal_iteratorINS9_10device_ptrIsEEEESE_SE_sNS9_4plusIvEENS9_8equal_toIvEEsEE10hipError_tPvRmT2_T3_T4_T5_mT6_T7_P12ihipStream_tbENKUlT_T0_E_clISt17integral_constantIbLb1EESY_IbLb0EEEEDaSU_SV_EUlSU_E_NS1_11comp_targetILNS1_3genE4ELNS1_11target_archE910ELNS1_3gpuE8ELNS1_3repE0EEENS1_30default_config_static_selectorELNS0_4arch9wavefront6targetE1EEEvT1_
	.p2align	8
	.type	_ZN7rocprim17ROCPRIM_400000_NS6detail17trampoline_kernelINS0_14default_configENS1_27scan_by_key_config_selectorIssEEZZNS1_16scan_by_key_implILNS1_25lookback_scan_determinismE0ELb1ES3_N6thrust23THRUST_200600_302600_NS6detail15normal_iteratorINS9_10device_ptrIsEEEESE_SE_sNS9_4plusIvEENS9_8equal_toIvEEsEE10hipError_tPvRmT2_T3_T4_T5_mT6_T7_P12ihipStream_tbENKUlT_T0_E_clISt17integral_constantIbLb1EESY_IbLb0EEEEDaSU_SV_EUlSU_E_NS1_11comp_targetILNS1_3genE4ELNS1_11target_archE910ELNS1_3gpuE8ELNS1_3repE0EEENS1_30default_config_static_selectorELNS0_4arch9wavefront6targetE1EEEvT1_,@function
_ZN7rocprim17ROCPRIM_400000_NS6detail17trampoline_kernelINS0_14default_configENS1_27scan_by_key_config_selectorIssEEZZNS1_16scan_by_key_implILNS1_25lookback_scan_determinismE0ELb1ES3_N6thrust23THRUST_200600_302600_NS6detail15normal_iteratorINS9_10device_ptrIsEEEESE_SE_sNS9_4plusIvEENS9_8equal_toIvEEsEE10hipError_tPvRmT2_T3_T4_T5_mT6_T7_P12ihipStream_tbENKUlT_T0_E_clISt17integral_constantIbLb1EESY_IbLb0EEEEDaSU_SV_EUlSU_E_NS1_11comp_targetILNS1_3genE4ELNS1_11target_archE910ELNS1_3gpuE8ELNS1_3repE0EEENS1_30default_config_static_selectorELNS0_4arch9wavefront6targetE1EEEvT1_: ; @_ZN7rocprim17ROCPRIM_400000_NS6detail17trampoline_kernelINS0_14default_configENS1_27scan_by_key_config_selectorIssEEZZNS1_16scan_by_key_implILNS1_25lookback_scan_determinismE0ELb1ES3_N6thrust23THRUST_200600_302600_NS6detail15normal_iteratorINS9_10device_ptrIsEEEESE_SE_sNS9_4plusIvEENS9_8equal_toIvEEsEE10hipError_tPvRmT2_T3_T4_T5_mT6_T7_P12ihipStream_tbENKUlT_T0_E_clISt17integral_constantIbLb1EESY_IbLb0EEEEDaSU_SV_EUlSU_E_NS1_11comp_targetILNS1_3genE4ELNS1_11target_archE910ELNS1_3gpuE8ELNS1_3repE0EEENS1_30default_config_static_selectorELNS0_4arch9wavefront6targetE1EEEvT1_
; %bb.0:
	s_load_dwordx8 s[44:51], s[4:5], 0x0
	s_load_dword s7, s[4:5], 0x20
	s_load_dwordx4 s[52:55], s[4:5], 0x28
	s_load_dwordx2 s[64:65], s[4:5], 0x38
	s_load_dword s0, s[4:5], 0x40
	s_load_dwordx4 s[56:59], s[4:5], 0x48
	s_waitcnt lgkmcnt(0)
	s_lshl_b64 s[60:61], s[46:47], 1
	s_add_u32 s2, s44, s60
	s_addc_u32 s3, s45, s61
	s_add_u32 s4, s48, s60
	s_mul_i32 s1, s65, s0
	s_mul_hi_u32 s8, s64, s0
	s_addc_u32 s5, s49, s61
	s_add_i32 s8, s8, s1
	s_mul_i32 s9, s64, s0
	s_mul_i32 s0, s6, 0x1600
	s_mov_b32 s1, 0
	s_lshl_b64 s[62:63], s[0:1], 1
	s_add_u32 s66, s2, s62
	s_addc_u32 s67, s3, s63
	s_add_u32 s55, s4, s62
	s_addc_u32 s72, s5, s63
	;; [unrolled: 2-line block ×3, first 2 shown]
	s_add_u32 s4, s56, -1
	s_addc_u32 s5, s57, -1
	v_pk_mov_b32 v[2:3], s[4:5], s[4:5] op_sel:[0,1]
	v_cmp_ge_u64_e64 s[0:1], s[0:1], v[2:3]
	s_mov_b64 s[2:3], -1
	s_and_b64 vcc, exec, s[0:1]
	s_mul_i32 s33, s4, 0xffffea00
	s_barrier
	s_cbranch_vccz .LBB590_116
; %bb.1:
	v_pk_mov_b32 v[2:3], s[66:67], s[66:67] op_sel:[0,1]
	flat_load_ushort v6, v[2:3]
	s_add_i32 s74, s33, s54
	v_cmp_gt_u32_e32 vcc, s74, v0
	s_waitcnt vmcnt(0) lgkmcnt(0)
	v_mov_b32_e32 v7, v6
	s_and_saveexec_b64 s[4:5], vcc
	s_cbranch_execz .LBB590_3
; %bb.2:
	v_lshlrev_b32_e32 v1, 1, v0
	v_mov_b32_e32 v3, s67
	v_add_co_u32_e64 v2, s[2:3], s66, v1
	v_addc_co_u32_e64 v3, s[2:3], 0, v3, s[2:3]
	flat_load_ushort v7, v[2:3]
.LBB590_3:
	s_or_b64 exec, exec, s[4:5]
	v_or_b32_e32 v1, 0x100, v0
	v_cmp_gt_u32_e64 s[2:3], s74, v1
	v_mov_b32_e32 v8, v6
	s_and_saveexec_b64 s[8:9], s[2:3]
	s_cbranch_execz .LBB590_5
; %bb.4:
	v_lshlrev_b32_e32 v1, 1, v0
	v_mov_b32_e32 v3, s67
	v_add_co_u32_e64 v2, s[4:5], s66, v1
	v_addc_co_u32_e64 v3, s[4:5], 0, v3, s[4:5]
	flat_load_ushort v8, v[2:3] offset:512
.LBB590_5:
	s_or_b64 exec, exec, s[8:9]
	v_or_b32_e32 v1, 0x200, v0
	v_cmp_gt_u32_e64 s[4:5], s74, v1
	v_mov_b32_e32 v9, v6
	s_and_saveexec_b64 s[10:11], s[4:5]
	s_cbranch_execz .LBB590_7
; %bb.6:
	v_lshlrev_b32_e32 v1, 1, v0
	v_mov_b32_e32 v3, s67
	v_add_co_u32_e64 v2, s[8:9], s66, v1
	v_addc_co_u32_e64 v3, s[8:9], 0, v3, s[8:9]
	flat_load_ushort v9, v[2:3] offset:1024
.LBB590_7:
	;; [unrolled: 13-line block ×7, first 2 shown]
	s_or_b64 exec, exec, s[18:19]
	v_or_b32_e32 v1, 0x800, v0
	v_cmp_gt_u32_e64 s[16:17], s74, v1
	v_mov_b32_e32 v15, v6
	s_and_saveexec_b64 s[20:21], s[16:17]
	s_cbranch_execz .LBB590_19
; %bb.18:
	v_lshlrev_b32_e32 v2, 1, v1
	v_mov_b32_e32 v3, s67
	v_add_co_u32_e64 v2, s[18:19], s66, v2
	v_addc_co_u32_e64 v3, s[18:19], 0, v3, s[18:19]
	flat_load_ushort v15, v[2:3]
.LBB590_19:
	s_or_b64 exec, exec, s[20:21]
	v_or_b32_e32 v2, 0x900, v0
	v_cmp_gt_u32_e64 s[18:19], s74, v2
	v_mov_b32_e32 v26, v6
	s_and_saveexec_b64 s[22:23], s[18:19]
	s_cbranch_execz .LBB590_21
; %bb.20:
	v_lshlrev_b32_e32 v3, 1, v2
	v_mov_b32_e32 v5, s67
	v_add_co_u32_e64 v4, s[20:21], s66, v3
	v_addc_co_u32_e64 v5, s[20:21], 0, v5, s[20:21]
	flat_load_ushort v26, v[4:5]
.LBB590_21:
	;; [unrolled: 13-line block ×13, first 2 shown]
	s_or_b64 exec, exec, s[48:49]
	v_or_b32_e32 v25, 0x1500, v0
	v_cmp_gt_u32_e64 s[44:45], s74, v25
	s_and_saveexec_b64 s[56:57], s[44:45]
	s_cbranch_execz .LBB590_45
; %bb.44:
	v_lshlrev_b32_e32 v6, 1, v25
	v_mov_b32_e32 v18, s67
	v_add_co_u32_e64 v38, s[48:49], s66, v6
	v_addc_co_u32_e64 v39, s[48:49], 0, v18, s[48:49]
	flat_load_ushort v6, v[38:39]
.LBB590_45:
	s_or_b64 exec, exec, s[56:57]
	v_lshlrev_b32_e32 v18, 1, v0
	s_waitcnt vmcnt(0) lgkmcnt(0)
	ds_write_b16 v18, v7
	ds_write_b16 v18, v8 offset:512
	ds_write_b16 v18, v9 offset:1024
	;; [unrolled: 1-line block ×21, first 2 shown]
	v_pk_mov_b32 v[6:7], s[66:67], s[66:67] op_sel:[0,1]
	s_waitcnt lgkmcnt(0)
	s_barrier
	flat_load_ushort v36, v[6:7]
	v_mad_u32_u24 v38, v0, 42, v18
	s_movk_i32 s48, 0xffd6
	v_mad_i32_i24 v26, v0, s48, v38
	s_movk_i32 s48, 0xff
	v_cmp_ne_u32_e64 s[48:49], s48, v0
	ds_read2_b32 v[14:15], v38 offset1:1
	ds_read2_b32 v[12:13], v38 offset0:2 offset1:3
	ds_read2_b32 v[10:11], v38 offset0:4 offset1:5
	;; [unrolled: 1-line block ×4, first 2 shown]
	ds_read_b32 v39, v38 offset:40
	s_waitcnt lgkmcnt(0)
	ds_write_b16 v26, v14 offset:11776
	s_waitcnt lgkmcnt(0)
	s_barrier
	s_and_saveexec_b64 s[56:57], s[48:49]
	s_cbranch_execz .LBB590_47
; %bb.46:
	s_waitcnt vmcnt(0)
	ds_read_u16 v36, v18 offset:11778
.LBB590_47:
	s_or_b64 exec, exec, s[56:57]
	s_waitcnt lgkmcnt(0)
	s_barrier
	s_waitcnt lgkmcnt(0)
                                        ; implicit-def: $vgpr26
	s_and_saveexec_b64 s[48:49], vcc
	s_cbranch_execz .LBB590_189
; %bb.48:
	v_mov_b32_e32 v27, s72
	v_add_co_u32_e32 v26, vcc, s55, v18
	v_addc_co_u32_e32 v27, vcc, 0, v27, vcc
	flat_load_ushort v26, v[26:27]
	s_or_b64 exec, exec, s[48:49]
                                        ; implicit-def: $vgpr27
	s_and_saveexec_b64 s[48:49], s[2:3]
	s_cbranch_execnz .LBB590_190
.LBB590_49:
	s_or_b64 exec, exec, s[48:49]
                                        ; implicit-def: $vgpr28
	s_and_saveexec_b64 s[2:3], s[4:5]
	s_cbranch_execz .LBB590_191
.LBB590_50:
	v_mov_b32_e32 v29, s72
	v_add_co_u32_e32 v28, vcc, s55, v18
	v_addc_co_u32_e32 v29, vcc, 0, v29, vcc
	flat_load_ushort v28, v[28:29] offset:1024
	s_or_b64 exec, exec, s[2:3]
                                        ; implicit-def: $vgpr29
	s_and_saveexec_b64 s[2:3], s[46:47]
	s_cbranch_execnz .LBB590_192
.LBB590_51:
	s_or_b64 exec, exec, s[2:3]
                                        ; implicit-def: $vgpr30
	s_and_saveexec_b64 s[2:3], s[8:9]
	s_cbranch_execz .LBB590_193
.LBB590_52:
	v_mov_b32_e32 v31, s72
	v_add_co_u32_e32 v30, vcc, s55, v18
	v_addc_co_u32_e32 v31, vcc, 0, v31, vcc
	flat_load_ushort v30, v[30:31] offset:2048
	s_or_b64 exec, exec, s[2:3]
                                        ; implicit-def: $vgpr31
	s_and_saveexec_b64 s[2:3], s[10:11]
	s_cbranch_execnz .LBB590_194
.LBB590_53:
	s_or_b64 exec, exec, s[2:3]
                                        ; implicit-def: $vgpr32
	s_and_saveexec_b64 s[2:3], s[12:13]
	s_cbranch_execz .LBB590_195
.LBB590_54:
	v_mov_b32_e32 v33, s72
	v_add_co_u32_e32 v32, vcc, s55, v18
	v_addc_co_u32_e32 v33, vcc, 0, v33, vcc
	flat_load_ushort v32, v[32:33] offset:3072
	s_or_b64 exec, exec, s[2:3]
                                        ; implicit-def: $vgpr33
	s_and_saveexec_b64 s[2:3], s[14:15]
	s_cbranch_execnz .LBB590_196
.LBB590_55:
	s_or_b64 exec, exec, s[2:3]
                                        ; implicit-def: $vgpr34
	s_and_saveexec_b64 s[2:3], s[16:17]
	s_cbranch_execz .LBB590_197
.LBB590_56:
	v_lshlrev_b32_e32 v1, 1, v1
	v_mov_b32_e32 v35, s72
	v_add_co_u32_e32 v34, vcc, s55, v1
	v_addc_co_u32_e32 v35, vcc, 0, v35, vcc
	flat_load_ushort v34, v[34:35]
	s_or_b64 exec, exec, s[2:3]
                                        ; implicit-def: $vgpr1
	s_and_saveexec_b64 s[2:3], s[18:19]
	s_cbranch_execnz .LBB590_198
.LBB590_57:
	s_or_b64 exec, exec, s[2:3]
                                        ; implicit-def: $vgpr2
	s_and_saveexec_b64 s[2:3], s[20:21]
	s_cbranch_execz .LBB590_199
.LBB590_58:
	v_lshlrev_b32_e32 v2, 1, v3
	v_mov_b32_e32 v3, s72
	v_add_co_u32_e32 v2, vcc, s55, v2
	v_addc_co_u32_e32 v3, vcc, 0, v3, vcc
	flat_load_ushort v2, v[2:3]
	s_or_b64 exec, exec, s[2:3]
                                        ; implicit-def: $vgpr3
	s_and_saveexec_b64 s[2:3], s[22:23]
	s_cbranch_execnz .LBB590_200
.LBB590_59:
	s_or_b64 exec, exec, s[2:3]
                                        ; implicit-def: $vgpr4
	s_and_saveexec_b64 s[2:3], s[24:25]
	s_cbranch_execz .LBB590_201
.LBB590_60:
	v_lshlrev_b32_e32 v4, 1, v5
	v_mov_b32_e32 v5, s72
	v_add_co_u32_e32 v4, vcc, s55, v4
	v_addc_co_u32_e32 v5, vcc, 0, v5, vcc
	flat_load_ushort v4, v[4:5]
	s_or_b64 exec, exec, s[2:3]
                                        ; implicit-def: $vgpr5
	s_and_saveexec_b64 s[2:3], s[26:27]
	s_cbranch_execnz .LBB590_202
.LBB590_61:
	s_or_b64 exec, exec, s[2:3]
                                        ; implicit-def: $vgpr16
	s_and_saveexec_b64 s[2:3], s[28:29]
	s_cbranch_execz .LBB590_203
.LBB590_62:
	v_lshlrev_b32_e32 v16, 1, v17
	v_mov_b32_e32 v17, s72
	v_add_co_u32_e32 v16, vcc, s55, v16
	v_addc_co_u32_e32 v17, vcc, 0, v17, vcc
	flat_load_ushort v16, v[16:17]
	s_or_b64 exec, exec, s[2:3]
                                        ; implicit-def: $vgpr17
	s_and_saveexec_b64 s[2:3], s[30:31]
	s_cbranch_execnz .LBB590_204
.LBB590_63:
	s_or_b64 exec, exec, s[2:3]
                                        ; implicit-def: $vgpr19
	s_and_saveexec_b64 s[2:3], s[34:35]
	s_cbranch_execz .LBB590_205
.LBB590_64:
	v_lshlrev_b32_e32 v19, 1, v20
	v_mov_b32_e32 v20, s72
	v_add_co_u32_e32 v40, vcc, s55, v19
	v_addc_co_u32_e32 v41, vcc, 0, v20, vcc
	flat_load_ushort v19, v[40:41]
	s_or_b64 exec, exec, s[2:3]
                                        ; implicit-def: $vgpr20
	s_and_saveexec_b64 s[2:3], s[36:37]
	s_cbranch_execnz .LBB590_206
.LBB590_65:
	s_or_b64 exec, exec, s[2:3]
                                        ; implicit-def: $vgpr21
	s_and_saveexec_b64 s[2:3], s[38:39]
	s_cbranch_execz .LBB590_207
.LBB590_66:
	v_lshlrev_b32_e32 v21, 1, v22
	v_mov_b32_e32 v22, s72
	v_add_co_u32_e32 v40, vcc, s55, v21
	v_addc_co_u32_e32 v41, vcc, 0, v22, vcc
	flat_load_ushort v21, v[40:41]
	s_or_b64 exec, exec, s[2:3]
                                        ; implicit-def: $vgpr22
	s_and_saveexec_b64 s[2:3], s[40:41]
	s_cbranch_execnz .LBB590_208
.LBB590_67:
	s_or_b64 exec, exec, s[2:3]
                                        ; implicit-def: $vgpr23
	s_and_saveexec_b64 s[2:3], s[42:43]
	s_cbranch_execz .LBB590_69
.LBB590_68:
	v_lshlrev_b32_e32 v23, 1, v24
	v_mov_b32_e32 v24, s72
	v_add_co_u32_e32 v40, vcc, s55, v23
	v_addc_co_u32_e32 v41, vcc, 0, v24, vcc
	flat_load_ushort v23, v[40:41]
.LBB590_69:
	s_or_b64 exec, exec, s[2:3]
	v_mul_u32_u24_e32 v40, 22, v0
                                        ; implicit-def: $vgpr24
	s_and_saveexec_b64 s[2:3], s[44:45]
	s_cbranch_execz .LBB590_71
; %bb.70:
	v_lshlrev_b32_e32 v24, 1, v25
	v_mov_b32_e32 v25, s72
	v_add_co_u32_e32 v24, vcc, s55, v24
	v_addc_co_u32_e32 v25, vcc, 0, v25, vcc
	flat_load_ushort v24, v[24:25]
.LBB590_71:
	s_or_b64 exec, exec, s[2:3]
	s_waitcnt vmcnt(0) lgkmcnt(0)
	ds_write_b16 v18, v26
	ds_write_b16 v18, v27 offset:512
	ds_write_b16 v18, v28 offset:1024
	;; [unrolled: 1-line block ×21, first 2 shown]
	v_cmp_gt_u32_e32 vcc, s74, v40
	s_mov_b64 s[2:3], 0
	s_mov_b32 s73, 0
	v_mov_b32_e32 v1, 0
	s_mov_b64 s[10:11], 0
	v_mov_b32_e32 v18, 0
	v_mov_b32_e32 v22, 0
	;; [unrolled: 1-line block ×20, first 2 shown]
	s_waitcnt lgkmcnt(0)
	s_barrier
	s_waitcnt lgkmcnt(0)
                                        ; implicit-def: $sgpr8_sgpr9
                                        ; implicit-def: $vgpr37
	s_and_saveexec_b64 s[4:5], vcc
	s_cbranch_execz .LBB590_115
; %bb.72:
	ds_read_u16 v1, v38
	v_mov_b32_e32 v3, s7
	v_cmp_eq_u16_sdwa vcc, v14, v14 src0_sel:DWORD src1_sel:WORD_1
	v_cmp_ne_u16_sdwa s[8:9], v14, v14 src0_sel:DWORD src1_sel:WORD_1
	v_or_b32_e32 v2, 1, v40
	s_waitcnt lgkmcnt(0)
	v_cndmask_b32_e32 v1, v3, v1, vcc
	v_and_b32_e32 v1, 0xffff, v1
	v_cndmask_b32_e64 v3, 0, 1, s[8:9]
	v_lshl_or_b32 v1, v3, 16, v1
	v_cmp_gt_u32_e32 vcc, s74, v2
	v_mov_b32_e32 v18, 0
	v_mov_b32_e32 v22, 0
	v_mov_b32_e32 v19, 0
	v_mov_b32_e32 v23, 0
	v_mov_b32_e32 v16, 0
	v_mov_b32_e32 v24, 0
	v_mov_b32_e32 v17, 0
	v_mov_b32_e32 v25, 0
	v_mov_b32_e32 v26, 0
	v_mov_b32_e32 v27, 0
	v_mov_b32_e32 v28, 0
	v_mov_b32_e32 v29, 0
	v_mov_b32_e32 v30, 0
	v_mov_b32_e32 v31, 0
	v_mov_b32_e32 v32, 0
	v_mov_b32_e32 v33, 0
	v_mov_b32_e32 v20, 0
	v_mov_b32_e32 v34, 0
	v_mov_b32_e32 v21, 0
	v_mov_b32_e32 v35, 0
                                        ; implicit-def: $sgpr12_sgpr13
                                        ; implicit-def: $vgpr37
	s_and_saveexec_b64 s[8:9], vcc
	s_cbranch_execz .LBB590_114
; %bb.73:
	ds_read_b128 v[2:5], v38 offset:2
	v_mov_b32_e32 v17, s7
	v_cmp_eq_u16_sdwa vcc, v14, v15 src0_sel:WORD_1 src1_sel:DWORD
	v_cmp_ne_u16_sdwa s[10:11], v14, v15 src0_sel:WORD_1 src1_sel:DWORD
	v_add_u32_e32 v16, 2, v40
	s_waitcnt lgkmcnt(0)
	v_cndmask_b32_e32 v17, v17, v2, vcc
	v_and_b32_e32 v17, 0xffff, v17
	v_cndmask_b32_e64 v14, 0, 1, s[10:11]
	v_lshl_or_b32 v18, v14, 16, v17
	v_cmp_gt_u32_e32 vcc, s74, v16
	s_mov_b64 s[14:15], 0
	v_mov_b32_e32 v22, 0
	v_mov_b32_e32 v19, 0
	;; [unrolled: 1-line block ×19, first 2 shown]
                                        ; implicit-def: $sgpr12_sgpr13
                                        ; implicit-def: $vgpr37
	s_and_saveexec_b64 s[10:11], vcc
	s_cbranch_execz .LBB590_113
; %bb.74:
	v_lshrrev_b32_e32 v2, 16, v2
	v_mov_b32_e32 v16, s7
	v_cmp_eq_u16_sdwa vcc, v15, v15 src0_sel:DWORD src1_sel:WORD_1
	v_cndmask_b32_e32 v2, v16, v2, vcc
	v_cmp_ne_u16_sdwa s[12:13], v15, v15 src0_sel:DWORD src1_sel:WORD_1
	v_add_u32_e32 v14, 3, v40
	v_and_b32_e32 v2, 0xffff, v2
	v_cndmask_b32_e64 v16, 0, 1, s[12:13]
	v_lshl_or_b32 v22, v16, 16, v2
	v_cmp_gt_u32_e32 vcc, s74, v14
	v_mov_b32_e32 v19, 0
	v_mov_b32_e32 v23, 0
	;; [unrolled: 1-line block ×18, first 2 shown]
                                        ; implicit-def: $sgpr16_sgpr17
                                        ; implicit-def: $vgpr37
	s_and_saveexec_b64 s[12:13], vcc
	s_cbranch_execz .LBB590_112
; %bb.75:
	v_mov_b32_e32 v14, s7
	v_cmp_eq_u16_sdwa vcc, v15, v12 src0_sel:WORD_1 src1_sel:DWORD
	v_cndmask_b32_e32 v14, v14, v3, vcc
	v_cmp_ne_u16_sdwa s[14:15], v15, v12 src0_sel:WORD_1 src1_sel:DWORD
	v_add_u32_e32 v2, 4, v40
	v_and_b32_e32 v14, 0xffff, v14
	v_cndmask_b32_e64 v15, 0, 1, s[14:15]
	v_lshl_or_b32 v19, v15, 16, v14
	v_cmp_gt_u32_e32 vcc, s74, v2
	s_mov_b64 s[18:19], 0
	v_mov_b32_e32 v23, 0
	v_mov_b32_e32 v16, 0
	v_mov_b32_e32 v24, 0
	v_mov_b32_e32 v17, 0
	v_mov_b32_e32 v25, 0
	v_mov_b32_e32 v26, 0
	v_mov_b32_e32 v27, 0
	v_mov_b32_e32 v28, 0
	v_mov_b32_e32 v29, 0
	v_mov_b32_e32 v30, 0
	v_mov_b32_e32 v31, 0
	v_mov_b32_e32 v32, 0
	v_mov_b32_e32 v33, 0
	v_mov_b32_e32 v20, 0
	v_mov_b32_e32 v34, 0
	v_mov_b32_e32 v21, 0
	v_mov_b32_e32 v35, 0
                                        ; implicit-def: $sgpr16_sgpr17
                                        ; implicit-def: $vgpr37
	s_and_saveexec_b64 s[14:15], vcc
	s_cbranch_execz .LBB590_111
; %bb.76:
	v_lshrrev_b32_e32 v2, 16, v3
	v_mov_b32_e32 v14, s7
	v_cmp_eq_u16_sdwa vcc, v12, v12 src0_sel:DWORD src1_sel:WORD_1
	v_cndmask_b32_e32 v2, v14, v2, vcc
	v_cmp_ne_u16_sdwa s[16:17], v12, v12 src0_sel:DWORD src1_sel:WORD_1
	v_add_u32_e32 v3, 5, v40
	v_and_b32_e32 v2, 0xffff, v2
	v_cndmask_b32_e64 v14, 0, 1, s[16:17]
	v_lshl_or_b32 v23, v14, 16, v2
	v_cmp_gt_u32_e32 vcc, s74, v3
	v_mov_b32_e32 v16, 0
	v_mov_b32_e32 v24, 0
	;; [unrolled: 1-line block ×16, first 2 shown]
                                        ; implicit-def: $sgpr20_sgpr21
                                        ; implicit-def: $vgpr37
	s_and_saveexec_b64 s[16:17], vcc
	s_cbranch_execz .LBB590_110
; %bb.77:
	v_mov_b32_e32 v3, s7
	v_cmp_eq_u16_sdwa vcc, v12, v13 src0_sel:WORD_1 src1_sel:DWORD
	v_cndmask_b32_e32 v3, v3, v4, vcc
	v_cmp_ne_u16_sdwa s[18:19], v12, v13 src0_sel:WORD_1 src1_sel:DWORD
	v_add_u32_e32 v2, 6, v40
	v_and_b32_e32 v3, 0xffff, v3
	v_cndmask_b32_e64 v12, 0, 1, s[18:19]
	v_lshl_or_b32 v16, v12, 16, v3
	v_cmp_gt_u32_e32 vcc, s74, v2
	s_mov_b64 s[22:23], 0
	v_mov_b32_e32 v24, 0
	v_mov_b32_e32 v17, 0
	;; [unrolled: 1-line block ×15, first 2 shown]
                                        ; implicit-def: $sgpr20_sgpr21
                                        ; implicit-def: $vgpr37
	s_and_saveexec_b64 s[18:19], vcc
	s_cbranch_execz .LBB590_109
; %bb.78:
	v_lshrrev_b32_e32 v2, 16, v4
	v_mov_b32_e32 v4, s7
	v_cmp_eq_u16_sdwa vcc, v13, v13 src0_sel:DWORD src1_sel:WORD_1
	v_cndmask_b32_e32 v2, v4, v2, vcc
	v_cmp_ne_u16_sdwa s[20:21], v13, v13 src0_sel:DWORD src1_sel:WORD_1
	v_add_u32_e32 v3, 7, v40
	v_and_b32_e32 v2, 0xffff, v2
	v_cndmask_b32_e64 v4, 0, 1, s[20:21]
	v_lshl_or_b32 v24, v4, 16, v2
	v_cmp_gt_u32_e32 vcc, s74, v3
	v_mov_b32_e32 v17, 0
	v_mov_b32_e32 v25, 0
	v_mov_b32_e32 v26, 0
	v_mov_b32_e32 v27, 0
	v_mov_b32_e32 v28, 0
	v_mov_b32_e32 v29, 0
	v_mov_b32_e32 v30, 0
	v_mov_b32_e32 v31, 0
	v_mov_b32_e32 v32, 0
	v_mov_b32_e32 v33, 0
	v_mov_b32_e32 v20, 0
	v_mov_b32_e32 v34, 0
	v_mov_b32_e32 v21, 0
	v_mov_b32_e32 v35, 0
                                        ; implicit-def: $sgpr24_sgpr25
                                        ; implicit-def: $vgpr37
	s_and_saveexec_b64 s[20:21], vcc
	s_cbranch_execz .LBB590_108
; %bb.79:
	v_mov_b32_e32 v3, s7
	v_cmp_eq_u16_sdwa vcc, v13, v10 src0_sel:WORD_1 src1_sel:DWORD
	v_cndmask_b32_e32 v3, v3, v5, vcc
	v_cmp_ne_u16_sdwa s[22:23], v13, v10 src0_sel:WORD_1 src1_sel:DWORD
	v_add_u32_e32 v2, 8, v40
	v_and_b32_e32 v3, 0xffff, v3
	v_cndmask_b32_e64 v4, 0, 1, s[22:23]
	v_lshl_or_b32 v17, v4, 16, v3
	v_cmp_gt_u32_e32 vcc, s74, v2
	s_mov_b64 s[26:27], 0
	v_mov_b32_e32 v25, 0
	v_mov_b32_e32 v26, 0
	;; [unrolled: 1-line block ×13, first 2 shown]
                                        ; implicit-def: $sgpr24_sgpr25
                                        ; implicit-def: $vgpr37
	s_and_saveexec_b64 s[22:23], vcc
	s_cbranch_execz .LBB590_107
; %bb.80:
	v_lshrrev_b32_e32 v2, 16, v5
	v_mov_b32_e32 v4, s7
	v_cmp_eq_u16_sdwa vcc, v10, v10 src0_sel:DWORD src1_sel:WORD_1
	v_cndmask_b32_e32 v2, v4, v2, vcc
	v_cmp_ne_u16_sdwa s[24:25], v10, v10 src0_sel:DWORD src1_sel:WORD_1
	v_add_u32_e32 v3, 9, v40
	v_and_b32_e32 v2, 0xffff, v2
	v_cndmask_b32_e64 v4, 0, 1, s[24:25]
	v_lshl_or_b32 v25, v4, 16, v2
	v_cmp_gt_u32_e32 vcc, s74, v3
	v_mov_b32_e32 v26, 0
	v_mov_b32_e32 v27, 0
	;; [unrolled: 1-line block ×12, first 2 shown]
                                        ; implicit-def: $sgpr28_sgpr29
                                        ; implicit-def: $vgpr37
	s_and_saveexec_b64 s[24:25], vcc
	s_cbranch_execz .LBB590_106
; %bb.81:
	ds_read_b128 v[2:5], v38 offset:18
	v_mov_b32_e32 v13, s7
	v_cmp_eq_u16_sdwa vcc, v10, v11 src0_sel:WORD_1 src1_sel:DWORD
	v_cmp_ne_u16_sdwa s[26:27], v10, v11 src0_sel:WORD_1 src1_sel:DWORD
	v_add_u32_e32 v12, 10, v40
	s_waitcnt lgkmcnt(0)
	v_cndmask_b32_e32 v13, v13, v2, vcc
	v_and_b32_e32 v13, 0xffff, v13
	v_cndmask_b32_e64 v10, 0, 1, s[26:27]
	v_lshl_or_b32 v26, v10, 16, v13
	v_cmp_gt_u32_e32 vcc, s74, v12
	s_mov_b64 s[30:31], 0
	v_mov_b32_e32 v27, 0
	v_mov_b32_e32 v28, 0
	;; [unrolled: 1-line block ×11, first 2 shown]
                                        ; implicit-def: $sgpr28_sgpr29
                                        ; implicit-def: $vgpr37
	s_and_saveexec_b64 s[26:27], vcc
	s_cbranch_execz .LBB590_105
; %bb.82:
	v_lshrrev_b32_e32 v2, 16, v2
	v_mov_b32_e32 v12, s7
	v_cmp_eq_u16_sdwa vcc, v11, v11 src0_sel:DWORD src1_sel:WORD_1
	v_cndmask_b32_e32 v2, v12, v2, vcc
	v_cmp_ne_u16_sdwa s[28:29], v11, v11 src0_sel:DWORD src1_sel:WORD_1
	v_add_u32_e32 v10, 11, v40
	v_and_b32_e32 v2, 0xffff, v2
	v_cndmask_b32_e64 v12, 0, 1, s[28:29]
	v_lshl_or_b32 v27, v12, 16, v2
	v_cmp_gt_u32_e32 vcc, s74, v10
	v_mov_b32_e32 v28, 0
	v_mov_b32_e32 v29, 0
	v_mov_b32_e32 v30, 0
	v_mov_b32_e32 v31, 0
	v_mov_b32_e32 v32, 0
	v_mov_b32_e32 v33, 0
	v_mov_b32_e32 v20, 0
	v_mov_b32_e32 v34, 0
	v_mov_b32_e32 v21, 0
	v_mov_b32_e32 v35, 0
                                        ; implicit-def: $sgpr34_sgpr35
                                        ; implicit-def: $vgpr37
	s_and_saveexec_b64 s[28:29], vcc
	s_cbranch_execz .LBB590_104
; %bb.83:
	v_mov_b32_e32 v10, s7
	v_cmp_eq_u16_sdwa vcc, v11, v8 src0_sel:WORD_1 src1_sel:DWORD
	v_cndmask_b32_e32 v10, v10, v3, vcc
	v_cmp_ne_u16_sdwa s[30:31], v11, v8 src0_sel:WORD_1 src1_sel:DWORD
	v_add_u32_e32 v2, 12, v40
	v_and_b32_e32 v10, 0xffff, v10
	v_cndmask_b32_e64 v11, 0, 1, s[30:31]
	v_lshl_or_b32 v28, v11, 16, v10
	v_cmp_gt_u32_e32 vcc, s74, v2
	s_mov_b64 s[36:37], 0
	v_mov_b32_e32 v29, 0
	v_mov_b32_e32 v30, 0
	;; [unrolled: 1-line block ×9, first 2 shown]
                                        ; implicit-def: $sgpr34_sgpr35
                                        ; implicit-def: $vgpr37
	s_and_saveexec_b64 s[30:31], vcc
	s_cbranch_execz .LBB590_103
; %bb.84:
	v_lshrrev_b32_e32 v2, 16, v3
	v_mov_b32_e32 v10, s7
	v_cmp_eq_u16_sdwa vcc, v8, v8 src0_sel:DWORD src1_sel:WORD_1
	v_cndmask_b32_e32 v2, v10, v2, vcc
	v_cmp_ne_u16_sdwa s[34:35], v8, v8 src0_sel:DWORD src1_sel:WORD_1
	v_add_u32_e32 v3, 13, v40
	v_and_b32_e32 v2, 0xffff, v2
	v_cndmask_b32_e64 v10, 0, 1, s[34:35]
	v_lshl_or_b32 v29, v10, 16, v2
	v_cmp_gt_u32_e32 vcc, s74, v3
	v_mov_b32_e32 v30, 0
	v_mov_b32_e32 v31, 0
	;; [unrolled: 1-line block ×8, first 2 shown]
                                        ; implicit-def: $sgpr38_sgpr39
                                        ; implicit-def: $vgpr37
	s_and_saveexec_b64 s[34:35], vcc
	s_cbranch_execz .LBB590_102
; %bb.85:
	v_mov_b32_e32 v3, s7
	v_cmp_eq_u16_sdwa vcc, v8, v9 src0_sel:WORD_1 src1_sel:DWORD
	v_cndmask_b32_e32 v3, v3, v4, vcc
	v_cmp_ne_u16_sdwa s[36:37], v8, v9 src0_sel:WORD_1 src1_sel:DWORD
	v_add_u32_e32 v2, 14, v40
	v_and_b32_e32 v3, 0xffff, v3
	v_cndmask_b32_e64 v8, 0, 1, s[36:37]
	v_lshl_or_b32 v30, v8, 16, v3
	v_cmp_gt_u32_e32 vcc, s74, v2
	s_mov_b64 s[40:41], 0
	v_mov_b32_e32 v31, 0
	v_mov_b32_e32 v32, 0
	v_mov_b32_e32 v33, 0
	v_mov_b32_e32 v20, 0
	v_mov_b32_e32 v34, 0
	v_mov_b32_e32 v21, 0
	v_mov_b32_e32 v35, 0
                                        ; implicit-def: $sgpr38_sgpr39
                                        ; implicit-def: $vgpr37
	s_and_saveexec_b64 s[36:37], vcc
	s_cbranch_execz .LBB590_101
; %bb.86:
	v_lshrrev_b32_e32 v2, 16, v4
	v_mov_b32_e32 v4, s7
	v_cmp_eq_u16_sdwa vcc, v9, v9 src0_sel:DWORD src1_sel:WORD_1
	v_cndmask_b32_e32 v2, v4, v2, vcc
	v_cmp_ne_u16_sdwa s[38:39], v9, v9 src0_sel:DWORD src1_sel:WORD_1
	v_add_u32_e32 v3, 15, v40
	v_and_b32_e32 v2, 0xffff, v2
	v_cndmask_b32_e64 v4, 0, 1, s[38:39]
	v_lshl_or_b32 v31, v4, 16, v2
	v_cmp_gt_u32_e32 vcc, s74, v3
	v_mov_b32_e32 v32, 0
	v_mov_b32_e32 v33, 0
	;; [unrolled: 1-line block ×6, first 2 shown]
                                        ; implicit-def: $sgpr42_sgpr43
                                        ; implicit-def: $vgpr37
	s_and_saveexec_b64 s[38:39], vcc
	s_cbranch_execz .LBB590_100
; %bb.87:
	v_mov_b32_e32 v3, s7
	v_cmp_eq_u16_sdwa vcc, v9, v6 src0_sel:WORD_1 src1_sel:DWORD
	v_cndmask_b32_e32 v3, v3, v5, vcc
	v_cmp_ne_u16_sdwa s[40:41], v9, v6 src0_sel:WORD_1 src1_sel:DWORD
	v_add_u32_e32 v2, 16, v40
	v_and_b32_e32 v3, 0xffff, v3
	v_cndmask_b32_e64 v4, 0, 1, s[40:41]
	v_lshl_or_b32 v32, v4, 16, v3
	v_cmp_gt_u32_e32 vcc, s74, v2
	s_mov_b64 s[44:45], 0
	v_mov_b32_e32 v33, 0
	v_mov_b32_e32 v20, 0
	;; [unrolled: 1-line block ×5, first 2 shown]
                                        ; implicit-def: $sgpr42_sgpr43
                                        ; implicit-def: $vgpr37
	s_and_saveexec_b64 s[40:41], vcc
	s_cbranch_execz .LBB590_99
; %bb.88:
	v_lshrrev_b32_e32 v2, 16, v5
	v_mov_b32_e32 v4, s7
	v_cmp_eq_u16_sdwa vcc, v6, v6 src0_sel:DWORD src1_sel:WORD_1
	v_cndmask_b32_e32 v2, v4, v2, vcc
	v_cmp_ne_u16_sdwa s[42:43], v6, v6 src0_sel:DWORD src1_sel:WORD_1
	v_add_u32_e32 v3, 17, v40
	v_and_b32_e32 v2, 0xffff, v2
	v_cndmask_b32_e64 v4, 0, 1, s[42:43]
	v_lshl_or_b32 v33, v4, 16, v2
	v_cmp_gt_u32_e32 vcc, s74, v3
	v_mov_b32_e32 v20, 0
	v_mov_b32_e32 v34, 0
	;; [unrolled: 1-line block ×4, first 2 shown]
                                        ; implicit-def: $sgpr46_sgpr47
                                        ; implicit-def: $vgpr37
	s_and_saveexec_b64 s[42:43], vcc
	s_cbranch_execz .LBB590_98
; %bb.89:
	ds_read_b64 v[2:3], v38 offset:34
	v_mov_b32_e32 v5, s7
	v_cmp_eq_u16_sdwa vcc, v6, v7 src0_sel:WORD_1 src1_sel:DWORD
	v_cmp_ne_u16_sdwa s[44:45], v6, v7 src0_sel:WORD_1 src1_sel:DWORD
	v_add_u32_e32 v4, 18, v40
	s_waitcnt lgkmcnt(0)
	v_cndmask_b32_e32 v5, v5, v2, vcc
	v_and_b32_e32 v5, 0xffff, v5
	v_cndmask_b32_e64 v6, 0, 1, s[44:45]
	v_lshl_or_b32 v20, v6, 16, v5
	v_cmp_gt_u32_e32 vcc, s74, v4
	s_mov_b64 s[48:49], 0
	v_mov_b32_e32 v34, 0
	v_mov_b32_e32 v21, 0
	;; [unrolled: 1-line block ×3, first 2 shown]
                                        ; implicit-def: $sgpr46_sgpr47
                                        ; implicit-def: $vgpr37
	s_and_saveexec_b64 s[44:45], vcc
	s_cbranch_execz .LBB590_97
; %bb.90:
	v_lshrrev_b32_e32 v2, 16, v2
	v_mov_b32_e32 v5, s7
	v_cmp_eq_u16_sdwa vcc, v7, v7 src0_sel:DWORD src1_sel:WORD_1
	v_cndmask_b32_e32 v2, v5, v2, vcc
	v_cmp_ne_u16_sdwa s[46:47], v7, v7 src0_sel:DWORD src1_sel:WORD_1
	v_add_u32_e32 v4, 19, v40
	v_and_b32_e32 v2, 0xffff, v2
	v_cndmask_b32_e64 v5, 0, 1, s[46:47]
	v_lshl_or_b32 v34, v5, 16, v2
	v_cmp_gt_u32_e32 vcc, s74, v4
	v_mov_b32_e32 v21, 0
	v_mov_b32_e32 v35, 0
                                        ; implicit-def: $sgpr56_sgpr57
                                        ; implicit-def: $vgpr37
	s_and_saveexec_b64 s[46:47], vcc
	s_cbranch_execz .LBB590_96
; %bb.91:
	v_mov_b32_e32 v4, s7
	v_cmp_eq_u16_sdwa vcc, v7, v39 src0_sel:WORD_1 src1_sel:DWORD
	v_cndmask_b32_e32 v4, v4, v3, vcc
	v_cmp_ne_u16_sdwa s[48:49], v7, v39 src0_sel:WORD_1 src1_sel:DWORD
	v_add_u32_e32 v2, 20, v40
	v_and_b32_e32 v4, 0xffff, v4
	v_cndmask_b32_e64 v5, 0, 1, s[48:49]
	v_lshl_or_b32 v21, v5, 16, v4
	v_cmp_gt_u32_e32 vcc, s74, v2
	s_mov_b64 s[68:69], 0
	v_mov_b32_e32 v35, 0
                                        ; implicit-def: $sgpr70_sgpr71
                                        ; implicit-def: $vgpr37
	s_and_saveexec_b64 s[48:49], vcc
	s_cbranch_execz .LBB590_95
; %bb.92:
	v_lshrrev_b32_e32 v2, 16, v3
	v_mov_b32_e32 v4, s7
	v_cmp_eq_u16_sdwa vcc, v39, v39 src0_sel:DWORD src1_sel:WORD_1
	v_cndmask_b32_e32 v2, v4, v2, vcc
	v_cmp_ne_u16_sdwa s[56:57], v39, v39 src0_sel:DWORD src1_sel:WORD_1
	v_add_u32_e32 v3, 21, v40
	v_and_b32_e32 v2, 0xffff, v2
	v_cndmask_b32_e64 v4, 0, 1, s[56:57]
	v_lshl_or_b32 v35, v4, 16, v2
	v_cmp_gt_u32_e32 vcc, s74, v3
	s_mov_b64 s[56:57], 0
                                        ; implicit-def: $sgpr68_sgpr69
                                        ; implicit-def: $vgpr37
	s_and_saveexec_b64 s[70:71], vcc
	s_xor_b64 s[70:71], exec, s[70:71]
	s_cbranch_execz .LBB590_94
; %bb.93:
	ds_read_u16 v2, v38 offset:42
	v_mov_b32_e32 v3, s7
	v_cmp_ne_u16_sdwa vcc, v39, v36 src0_sel:WORD_1 src1_sel:DWORD
	s_mov_b64 s[56:57], exec
	s_and_b64 s[68:69], vcc, exec
	s_waitcnt lgkmcnt(0)
	v_cndmask_b32_e32 v37, v2, v3, vcc
.LBB590_94:
	s_or_b64 exec, exec, s[70:71]
	s_and_b64 s[70:71], s[68:69], exec
	s_and_b64 s[68:69], s[56:57], exec
.LBB590_95:
	s_or_b64 exec, exec, s[48:49]
	s_and_b64 s[56:57], s[70:71], exec
	s_and_b64 s[48:49], s[68:69], exec
.LBB590_96:
	s_or_b64 exec, exec, s[46:47]
	s_and_b64 s[46:47], s[56:57], exec
	s_and_b64 s[48:49], s[48:49], exec
.LBB590_97:
	s_or_b64 exec, exec, s[44:45]
	s_and_b64 s[46:47], s[46:47], exec
	s_and_b64 s[44:45], s[48:49], exec
.LBB590_98:
	s_or_b64 exec, exec, s[42:43]
	s_and_b64 s[42:43], s[46:47], exec
	s_and_b64 s[44:45], s[44:45], exec
.LBB590_99:
	s_or_b64 exec, exec, s[40:41]
	s_and_b64 s[42:43], s[42:43], exec
	s_and_b64 s[40:41], s[44:45], exec
.LBB590_100:
	s_or_b64 exec, exec, s[38:39]
	s_and_b64 s[38:39], s[42:43], exec
	s_and_b64 s[40:41], s[40:41], exec
.LBB590_101:
	s_or_b64 exec, exec, s[36:37]
	s_and_b64 s[38:39], s[38:39], exec
	s_and_b64 s[36:37], s[40:41], exec
.LBB590_102:
	s_or_b64 exec, exec, s[34:35]
	s_and_b64 s[34:35], s[38:39], exec
	s_and_b64 s[36:37], s[36:37], exec
.LBB590_103:
	s_or_b64 exec, exec, s[30:31]
	s_and_b64 s[34:35], s[34:35], exec
	s_and_b64 s[30:31], s[36:37], exec
.LBB590_104:
	s_or_b64 exec, exec, s[28:29]
	s_and_b64 s[28:29], s[34:35], exec
	s_and_b64 s[30:31], s[30:31], exec
.LBB590_105:
	s_or_b64 exec, exec, s[26:27]
	s_and_b64 s[28:29], s[28:29], exec
	s_and_b64 s[26:27], s[30:31], exec
.LBB590_106:
	s_or_b64 exec, exec, s[24:25]
	s_and_b64 s[24:25], s[28:29], exec
	s_and_b64 s[26:27], s[26:27], exec
.LBB590_107:
	s_or_b64 exec, exec, s[22:23]
	s_and_b64 s[24:25], s[24:25], exec
	s_and_b64 s[22:23], s[26:27], exec
.LBB590_108:
	s_or_b64 exec, exec, s[20:21]
	s_and_b64 s[20:21], s[24:25], exec
	s_and_b64 s[22:23], s[22:23], exec
.LBB590_109:
	s_or_b64 exec, exec, s[18:19]
	s_and_b64 s[20:21], s[20:21], exec
	s_and_b64 s[18:19], s[22:23], exec
.LBB590_110:
	s_or_b64 exec, exec, s[16:17]
	s_and_b64 s[16:17], s[20:21], exec
	s_and_b64 s[18:19], s[18:19], exec
.LBB590_111:
	s_or_b64 exec, exec, s[14:15]
	s_and_b64 s[16:17], s[16:17], exec
	s_and_b64 s[14:15], s[18:19], exec
.LBB590_112:
	s_or_b64 exec, exec, s[12:13]
	s_and_b64 s[12:13], s[16:17], exec
	s_and_b64 s[14:15], s[14:15], exec
.LBB590_113:
	s_or_b64 exec, exec, s[10:11]
	s_and_b64 s[12:13], s[12:13], exec
	s_and_b64 s[10:11], s[14:15], exec
.LBB590_114:
	s_or_b64 exec, exec, s[8:9]
	s_and_b64 s[8:9], s[12:13], exec
	s_and_b64 s[10:11], s[10:11], exec
.LBB590_115:
	s_or_b64 exec, exec, s[4:5]
	s_and_b64 vcc, exec, s[2:3]
	v_lshlrev_b32_e32 v36, 1, v0
	s_cbranch_vccnz .LBB590_117
	s_branch .LBB590_122
.LBB590_116:
	s_mov_b64 s[10:11], 0
                                        ; implicit-def: $sgpr8_sgpr9
                                        ; implicit-def: $vgpr37
                                        ; implicit-def: $vgpr1
                                        ; implicit-def: $vgpr18
                                        ; implicit-def: $vgpr22
                                        ; implicit-def: $vgpr19
                                        ; implicit-def: $vgpr23
                                        ; implicit-def: $vgpr16
                                        ; implicit-def: $vgpr24
                                        ; implicit-def: $vgpr17
                                        ; implicit-def: $vgpr25
                                        ; implicit-def: $vgpr26
                                        ; implicit-def: $vgpr27
                                        ; implicit-def: $vgpr28
                                        ; implicit-def: $vgpr29
                                        ; implicit-def: $vgpr30
                                        ; implicit-def: $vgpr31
                                        ; implicit-def: $vgpr32
                                        ; implicit-def: $vgpr33
                                        ; implicit-def: $vgpr20
                                        ; implicit-def: $vgpr34
                                        ; implicit-def: $vgpr21
                                        ; implicit-def: $vgpr35
                                        ; implicit-def: $sgpr73
	s_and_b64 vcc, exec, s[2:3]
	v_lshlrev_b32_e32 v36, 1, v0
	s_cbranch_vccz .LBB590_122
.LBB590_117:
	v_mov_b32_e32 v1, s67
	v_add_co_u32_e32 v2, vcc, s66, v36
	v_addc_co_u32_e32 v3, vcc, 0, v1, vcc
	v_add_co_u32_e32 v4, vcc, 0x1000, v2
	v_addc_co_u32_e32 v5, vcc, 0, v3, vcc
	flat_load_ushort v1, v[2:3]
	flat_load_ushort v6, v[2:3] offset:512
	flat_load_ushort v7, v[2:3] offset:1024
	;; [unrolled: 1-line block ×7, first 2 shown]
	v_add_co_u32_e32 v2, vcc, 0x2000, v2
	v_addc_co_u32_e32 v3, vcc, 0, v3, vcc
	flat_load_ushort v13, v[4:5]
	flat_load_ushort v14, v[4:5] offset:512
	flat_load_ushort v15, v[4:5] offset:1024
	;; [unrolled: 1-line block ×7, first 2 shown]
	s_nop 0
	flat_load_ushort v4, v[2:3]
	flat_load_ushort v5, v[2:3] offset:512
	flat_load_ushort v21, v[2:3] offset:1024
	;; [unrolled: 1-line block ×5, first 2 shown]
	v_mov_b32_e32 v2, s66
	v_mov_b32_e32 v3, s67
	v_add_co_u32_e32 v2, vcc, 0x2000, v2
	v_addc_co_u32_e32 v3, vcc, 0, v3, vcc
	s_movk_i32 s2, 0xffd6
	s_movk_i32 s5, 0x1000
	;; [unrolled: 1-line block ×3, first 2 shown]
	s_waitcnt vmcnt(0) lgkmcnt(0)
	ds_write_b16 v36, v1
	ds_write_b16 v36, v6 offset:512
	ds_write_b16 v36, v7 offset:1024
	;; [unrolled: 1-line block ×21, first 2 shown]
	s_waitcnt lgkmcnt(0)
	s_barrier
	flat_load_ushort v37, v[2:3] offset:3072
	v_mad_u32_u24 v1, v0, 42, v36
	v_mad_i32_i24 v2, v0, s2, v1
	s_movk_i32 s2, 0xff
	v_cmp_ne_u32_e32 vcc, s2, v0
	ds_read2_b32 v[18:19], v1 offset1:1
	ds_read2_b32 v[16:17], v1 offset0:2 offset1:3
	ds_read2_b32 v[14:15], v1 offset0:4 offset1:5
	;; [unrolled: 1-line block ×4, first 2 shown]
	ds_read_b32 v38, v1 offset:40
	s_waitcnt lgkmcnt(0)
	ds_write_b16 v2, v18 offset:11776
	s_waitcnt lgkmcnt(0)
	s_barrier
	s_and_saveexec_b64 s[2:3], vcc
	s_cbranch_execz .LBB590_119
; %bb.118:
	s_waitcnt vmcnt(0)
	ds_read_u16 v37, v36 offset:11778
.LBB590_119:
	s_or_b64 exec, exec, s[2:3]
	v_mov_b32_e32 v3, s72
	v_add_co_u32_e32 v2, vcc, s55, v36
	v_addc_co_u32_e32 v3, vcc, 0, v3, vcc
	v_add_co_u32_e32 v4, vcc, s5, v2
	v_addc_co_u32_e32 v5, vcc, 0, v3, vcc
	s_waitcnt lgkmcnt(0)
	s_barrier
	flat_load_ushort v6, v[2:3]
	flat_load_ushort v7, v[2:3] offset:512
	flat_load_ushort v8, v[2:3] offset:1024
	;; [unrolled: 1-line block ×7, first 2 shown]
	v_add_co_u32_e32 v2, vcc, s4, v2
	v_addc_co_u32_e32 v3, vcc, 0, v3, vcc
	flat_load_ushort v24, v[4:5]
	flat_load_ushort v25, v[4:5] offset:512
	flat_load_ushort v26, v[4:5] offset:1024
	;; [unrolled: 1-line block ×7, first 2 shown]
	s_nop 0
	flat_load_ushort v4, v[2:3]
	flat_load_ushort v5, v[2:3] offset:512
	flat_load_ushort v32, v[2:3] offset:1024
	;; [unrolled: 1-line block ×5, first 2 shown]
	v_cmp_eq_u16_sdwa s[4:5], v18, v18 src0_sel:DWORD src1_sel:WORD_1
	s_waitcnt vmcnt(0) lgkmcnt(0)
	ds_write_b16 v36, v6
	ds_write_b16 v36, v7 offset:512
	ds_write_b16 v36, v8 offset:1024
	;; [unrolled: 1-line block ×21, first 2 shown]
	s_waitcnt lgkmcnt(0)
	s_barrier
	ds_read_b128 v[6:9], v1 offset:2
	ds_read_b128 v[2:5], v1 offset:18
	ds_read_b64 v[20:21], v1 offset:34
	ds_read_u16 v39, v1 offset:42
	v_mov_b32_e32 v22, 0x10000
	v_mov_b32_e32 v23, s7
	s_and_saveexec_b64 s[2:3], s[4:5]
	s_cbranch_execz .LBB590_121
; %bb.120:
	ds_read_u16 v23, v1
	v_mov_b32_e32 v22, 0
.LBB590_121:
	s_or_b64 exec, exec, s[2:3]
	v_mov_b32_e32 v40, s7
	v_cmp_eq_u16_sdwa vcc, v18, v19 src0_sel:WORD_1 src1_sel:DWORD
	s_waitcnt lgkmcnt(3)
	v_lshrrev_b32_e32 v24, 16, v6
	v_cndmask_b32_e32 v6, v40, v6, vcc
	v_cmp_ne_u16_sdwa s[2:3], v18, v19 src0_sel:WORD_1 src1_sel:DWORD
	v_and_b32_e32 v6, 0xffff, v6
	v_cndmask_b32_e64 v18, 0, 1, s[2:3]
	v_cmp_eq_u16_sdwa vcc, v19, v19 src0_sel:DWORD src1_sel:WORD_1
	v_lshl_or_b32 v18, v18, 16, v6
	v_cndmask_b32_e32 v6, v40, v24, vcc
	v_cmp_ne_u16_sdwa s[2:3], v19, v19 src0_sel:DWORD src1_sel:WORD_1
	s_waitcnt lgkmcnt(0)
	v_or_b32_sdwa v1, v22, v23 dst_sel:DWORD dst_unused:UNUSED_PAD src0_sel:DWORD src1_sel:WORD_0
	v_and_b32_e32 v6, 0xffff, v6
	v_cndmask_b32_e64 v22, 0, 1, s[2:3]
	v_cmp_eq_u16_sdwa vcc, v19, v16 src0_sel:WORD_1 src1_sel:DWORD
	v_lshl_or_b32 v22, v22, 16, v6
	v_cndmask_b32_e32 v6, v40, v7, vcc
	v_cmp_ne_u16_sdwa s[2:3], v19, v16 src0_sel:WORD_1 src1_sel:DWORD
	v_lshrrev_b32_e32 v25, 16, v7
	v_and_b32_e32 v6, 0xffff, v6
	v_cndmask_b32_e64 v7, 0, 1, s[2:3]
	v_cmp_eq_u16_sdwa vcc, v16, v16 src0_sel:DWORD src1_sel:WORD_1
	v_lshl_or_b32 v19, v7, 16, v6
	v_cndmask_b32_e32 v6, v40, v25, vcc
	v_cmp_ne_u16_sdwa s[2:3], v16, v16 src0_sel:DWORD src1_sel:WORD_1
	v_and_b32_e32 v6, 0xffff, v6
	v_cndmask_b32_e64 v7, 0, 1, s[2:3]
	v_cmp_eq_u16_sdwa vcc, v16, v17 src0_sel:WORD_1 src1_sel:DWORD
	v_lshl_or_b32 v23, v7, 16, v6
	v_cndmask_b32_e32 v6, v40, v8, vcc
	v_cmp_ne_u16_sdwa s[2:3], v16, v17 src0_sel:WORD_1 src1_sel:DWORD
	v_lshrrev_b32_e32 v26, 16, v8
	v_and_b32_e32 v6, 0xffff, v6
	v_cndmask_b32_e64 v7, 0, 1, s[2:3]
	v_cmp_eq_u16_sdwa vcc, v17, v17 src0_sel:DWORD src1_sel:WORD_1
	v_lshl_or_b32 v16, v7, 16, v6
	v_cndmask_b32_e32 v6, v40, v26, vcc
	v_cmp_ne_u16_sdwa s[2:3], v17, v17 src0_sel:DWORD src1_sel:WORD_1
	;; [unrolled: 13-line block ×3, first 2 shown]
	v_cmp_eq_u16_sdwa vcc, v14, v15 src0_sel:WORD_1 src1_sel:DWORD
	v_lshrrev_b32_e32 v28, 16, v2
	v_and_b32_e32 v6, 0xffff, v6
	v_cndmask_b32_e64 v7, 0, 1, s[2:3]
	v_cndmask_b32_e32 v2, v40, v2, vcc
	v_cmp_ne_u16_sdwa s[2:3], v14, v15 src0_sel:WORD_1 src1_sel:DWORD
	v_lshl_or_b32 v25, v7, 16, v6
	v_and_b32_e32 v2, 0xffff, v2
	v_cndmask_b32_e64 v6, 0, 1, s[2:3]
	v_cmp_eq_u16_sdwa vcc, v15, v15 src0_sel:DWORD src1_sel:WORD_1
	v_lshl_or_b32 v26, v6, 16, v2
	v_cndmask_b32_e32 v2, v40, v28, vcc
	v_cmp_ne_u16_sdwa s[2:3], v15, v15 src0_sel:DWORD src1_sel:WORD_1
	v_and_b32_e32 v2, 0xffff, v2
	v_cndmask_b32_e64 v6, 0, 1, s[2:3]
	v_cmp_eq_u16_sdwa vcc, v15, v12 src0_sel:WORD_1 src1_sel:DWORD
	v_lshl_or_b32 v27, v6, 16, v2
	v_cndmask_b32_e32 v2, v40, v3, vcc
	v_cmp_ne_u16_sdwa s[2:3], v15, v12 src0_sel:WORD_1 src1_sel:DWORD
	v_lshrrev_b32_e32 v29, 16, v3
	v_and_b32_e32 v2, 0xffff, v2
	v_cndmask_b32_e64 v3, 0, 1, s[2:3]
	v_cmp_eq_u16_sdwa vcc, v12, v12 src0_sel:DWORD src1_sel:WORD_1
	v_lshl_or_b32 v28, v3, 16, v2
	v_cndmask_b32_e32 v2, v40, v29, vcc
	v_cmp_ne_u16_sdwa s[2:3], v12, v12 src0_sel:DWORD src1_sel:WORD_1
	v_and_b32_e32 v2, 0xffff, v2
	v_cndmask_b32_e64 v3, 0, 1, s[2:3]
	v_cmp_eq_u16_sdwa vcc, v12, v13 src0_sel:WORD_1 src1_sel:DWORD
	v_lshl_or_b32 v29, v3, 16, v2
	v_cndmask_b32_e32 v2, v40, v4, vcc
	v_cmp_ne_u16_sdwa s[2:3], v12, v13 src0_sel:WORD_1 src1_sel:DWORD
	v_lshrrev_b32_e32 v31, 16, v4
	;; [unrolled: 13-line block ×5, first 2 shown]
	v_and_b32_e32 v2, 0xffff, v2
	v_cndmask_b32_e64 v3, 0, 1, s[2:3]
	v_cmp_eq_u16_sdwa vcc, v38, v38 src0_sel:DWORD src1_sel:WORD_1
	v_lshl_or_b32 v21, v3, 16, v2
	v_cndmask_b32_e32 v2, v40, v35, vcc
	v_cmp_ne_u16_sdwa s[2:3], v38, v38 src0_sel:DWORD src1_sel:WORD_1
	v_and_b32_e32 v2, 0xffff, v2
	v_cndmask_b32_e64 v3, 0, 1, s[2:3]
	v_cmp_ne_u16_sdwa s[8:9], v38, v37 src0_sel:WORD_1 src1_sel:DWORD
	v_lshl_or_b32 v35, v3, 16, v2
	v_cndmask_b32_e64 v37, v39, v40, s[8:9]
	s_mov_b64 s[10:11], -1
                                        ; implicit-def: $sgpr73
.LBB590_122:
	v_mov_b32_e32 v12, s73
	s_and_saveexec_b64 s[2:3], s[10:11]
; %bb.123:
	v_mov_b32_e32 v2, 0x10000
	v_cndmask_b32_e64 v2, 0, v2, s[8:9]
	v_or_b32_sdwa v12, v2, v37 dst_sel:DWORD dst_unused:UNUSED_PAD src0_sel:DWORD src1_sel:WORD_0
; %bb.124:
	s_or_b64 exec, exec, s[2:3]
	v_or3_b32 v2, v12, v35, v21
	s_cmp_lg_u32 s6, 0
	v_or3_b32 v15, v2, v34, v20
	v_lshrrev_b32_e32 v13, 16, v1
	v_lshrrev_b32_e32 v14, 5, v0
	v_cmp_gt_u32_e32 vcc, 64, v0
	s_barrier
	s_cbranch_scc0 .LBB590_209
; %bb.125:
	s_mov_b32 s44, 0x10000
	v_cmp_gt_u32_e64 s[2:3], s44, v18
	v_cndmask_b32_e64 v2, 0, v1, s[2:3]
	v_add_u16_e32 v2, v2, v18
	v_cmp_gt_u32_e64 s[4:5], s44, v22
	v_cndmask_b32_e64 v2, 0, v2, s[4:5]
	v_add_u16_e32 v2, v2, v22
	;; [unrolled: 3-line block ×21, first 2 shown]
	v_or3_b32 v2, v15, v33, v32
	v_or3_b32 v2, v2, v31, v30
	;; [unrolled: 1-line block ×8, first 2 shown]
	v_and_b32_e32 v2, 0x10000, v2
	v_cmp_ne_u32_e64 s[44:45], 0, v2
	v_mov_b32_e32 v5, 0x10000
	v_cndmask_b32_e64 v38, v13, 1, s[44:45]
	v_add_lshl_u32 v2, v14, v0, 2
	ds_write_b16 v2, v37
	ds_write_b8 v2, v38 offset:2
	s_waitcnt lgkmcnt(0)
	s_barrier
	s_and_saveexec_b64 s[46:47], vcc
	s_cbranch_execz .LBB590_139
; %bb.126:
	v_lshlrev_b32_e32 v2, 2, v0
	v_lshrrev_b32_e32 v3, 3, v0
	v_add_lshl_u32 v2, v3, v2, 2
	ds_read_b32 v3, v2
	ds_read_u16 v4, v2 offset:4
	ds_read_u8 v6, v2 offset:6
	ds_read_u16 v7, v2 offset:8
	ds_read_u8 v8, v2 offset:10
	;; [unrolled: 2-line block ×3, first 2 shown]
	v_mov_b32_e32 v11, 0
	s_waitcnt lgkmcnt(4)
	v_cmp_eq_u16_sdwa s[44:45], v6, v11 src0_sel:BYTE_0 src1_sel:DWORD
	v_cndmask_b32_e64 v39, 0, v3, s[44:45]
	v_add_u16_e32 v39, v39, v4
	s_waitcnt lgkmcnt(2)
	v_cmp_eq_u16_sdwa s[44:45], v8, v11 src0_sel:BYTE_0 src1_sel:DWORD
	s_waitcnt lgkmcnt(0)
	v_or_b32_e32 v8, v10, v8
	v_cndmask_b32_e64 v11, 0, v39, s[44:45]
	v_or_b32_e32 v6, v8, v6
	v_add_u16_e32 v7, v11, v7
	v_cmp_eq_u16_e64 s[44:45], 0, v10
	v_and_b32_e32 v6, 1, v6
	v_and_b32_e32 v4, 0x10000, v3
	v_cndmask_b32_e64 v11, 0, v7, s[44:45]
	v_cmp_eq_u32_e64 s[44:45], 1, v6
	v_mbcnt_lo_u32_b32 v6, -1, 0
	v_add_u16_e32 v7, v11, v9
	v_cndmask_b32_e64 v39, v4, v5, s[44:45]
	v_add_u16_e32 v9, v11, v9
	v_and_b32_e32 v5, 0xff000000, v3
	v_mbcnt_hi_u32_b32 v6, -1, v6
	v_or_b32_e32 v10, v39, v5
	v_and_b32_e32 v11, 15, v6
	v_or3_b32 v9, v5, v9, v39
	s_movk_i32 s55, 0xff
	v_lshrrev_b32_e32 v8, 16, v10
	v_mov_b32_dpp v39, v9 row_shr:1 row_mask:0xf bank_mask:0xf
	v_cmp_ne_u32_e64 s[44:45], 0, v11
	s_and_saveexec_b64 s[56:57], s[44:45]
	s_cbranch_execz .LBB590_128
; %bb.127:
	v_and_b32_sdwa v8, v10, s55 dst_sel:DWORD dst_unused:UNUSED_PAD src0_sel:WORD_1 src1_sel:DWORD
	v_cmp_eq_u16_e64 s[44:45], 0, v8
	v_and_b32_e32 v8, 0x10000, v10
	v_mov_b32_e32 v10, 1
	v_cndmask_b32_e64 v9, 0, v39, s[44:45]
	v_and_b32_sdwa v10, v39, v10 dst_sel:DWORD dst_unused:UNUSED_PAD src0_sel:WORD_1 src1_sel:DWORD
	v_cmp_ne_u32_e64 s[44:45], 0, v8
	v_cndmask_b32_e64 v8, v10, 1, s[44:45]
	v_add_u16_e32 v40, v9, v7
	v_lshlrev_b32_e32 v10, 16, v8
	v_add_u16_e32 v7, v9, v7
	v_or3_b32 v9, v10, v7, v5
	v_mov_b32_e32 v7, v40
.LBB590_128:
	s_or_b64 exec, exec, s[56:57]
	v_lshrrev_b32_e32 v10, 16, v9
	v_mov_b32_dpp v39, v9 row_shr:2 row_mask:0xf bank_mask:0xf
	v_cmp_lt_u32_e64 s[44:45], 1, v11
	s_and_saveexec_b64 s[56:57], s[44:45]
	s_cbranch_execz .LBB590_130
; %bb.129:
	v_mov_b32_e32 v8, 0
	v_cmp_eq_u16_sdwa s[44:45], v10, v8 src0_sel:BYTE_0 src1_sel:DWORD
	v_and_b32_e32 v8, 0x10000, v9
	v_mov_b32_e32 v9, 1
	v_cndmask_b32_e64 v10, 0, v39, s[44:45]
	v_and_b32_sdwa v9, v39, v9 dst_sel:DWORD dst_unused:UNUSED_PAD src0_sel:WORD_1 src1_sel:DWORD
	v_cmp_ne_u32_e64 s[44:45], 0, v8
	v_cndmask_b32_e64 v8, v9, 1, s[44:45]
	v_add_u16_e32 v40, v10, v7
	v_lshlrev_b32_e32 v9, 16, v8
	v_add_u16_e32 v7, v10, v7
	v_or3_b32 v9, v9, v7, v5
	v_mov_b32_e32 v10, v8
	v_mov_b32_e32 v7, v40
.LBB590_130:
	s_or_b64 exec, exec, s[56:57]
	v_mov_b32_dpp v39, v9 row_shr:4 row_mask:0xf bank_mask:0xf
	v_cmp_lt_u32_e64 s[44:45], 3, v11
	s_and_saveexec_b64 s[56:57], s[44:45]
	s_cbranch_execz .LBB590_132
; %bb.131:
	v_mov_b32_e32 v8, 0
	v_cmp_eq_u16_sdwa s[44:45], v10, v8 src0_sel:BYTE_0 src1_sel:DWORD
	v_and_b32_e32 v8, 1, v10
	v_mov_b32_e32 v10, 1
	v_cndmask_b32_e64 v9, 0, v39, s[44:45]
	v_and_b32_sdwa v10, v39, v10 dst_sel:DWORD dst_unused:UNUSED_PAD src0_sel:WORD_1 src1_sel:DWORD
	v_cmp_eq_u32_e64 s[44:45], 1, v8
	v_cndmask_b32_e64 v8, v10, 1, s[44:45]
	v_add_u16_e32 v40, v9, v7
	v_lshlrev_b32_e32 v10, 16, v8
	v_add_u16_e32 v7, v9, v7
	v_or3_b32 v9, v10, v7, v5
	v_mov_b32_e32 v10, v8
	v_mov_b32_e32 v7, v40
.LBB590_132:
	s_or_b64 exec, exec, s[56:57]
	v_mov_b32_dpp v39, v9 row_shr:8 row_mask:0xf bank_mask:0xf
	v_cmp_lt_u32_e64 s[44:45], 7, v11
	s_and_saveexec_b64 s[56:57], s[44:45]
	s_cbranch_execz .LBB590_134
; %bb.133:
	v_mov_b32_e32 v8, 0
	v_cmp_eq_u16_sdwa s[44:45], v10, v8 src0_sel:BYTE_0 src1_sel:DWORD
	v_and_b32_e32 v8, 1, v10
	v_mov_b32_e32 v10, 1
	v_cndmask_b32_e64 v9, 0, v39, s[44:45]
	v_and_b32_sdwa v10, v39, v10 dst_sel:DWORD dst_unused:UNUSED_PAD src0_sel:WORD_1 src1_sel:DWORD
	v_cmp_eq_u32_e64 s[44:45], 1, v8
	v_cndmask_b32_e64 v8, v10, 1, s[44:45]
	v_add_u16_e32 v11, v9, v7
	v_lshlrev_b32_e32 v10, 16, v8
	v_add_u16_e32 v7, v9, v7
	v_or3_b32 v9, v10, v7, v5
	v_mov_b32_e32 v10, v8
	v_mov_b32_e32 v7, v11
.LBB590_134:
	s_or_b64 exec, exec, s[56:57]
	v_and_b32_e32 v39, 16, v6
	v_mov_b32_dpp v11, v9 row_bcast:15 row_mask:0xf bank_mask:0xf
	v_cmp_ne_u32_e64 s[44:45], 0, v39
	s_and_saveexec_b64 s[56:57], s[44:45]
	s_cbranch_execz .LBB590_136
; %bb.135:
	v_mov_b32_e32 v8, 0
	v_cmp_eq_u16_sdwa s[44:45], v10, v8 src0_sel:BYTE_0 src1_sel:DWORD
	v_and_b32_e32 v8, 1, v10
	v_mov_b32_e32 v10, 1
	v_cndmask_b32_e64 v9, 0, v11, s[44:45]
	v_and_b32_sdwa v10, v11, v10 dst_sel:DWORD dst_unused:UNUSED_PAD src0_sel:WORD_1 src1_sel:DWORD
	v_cmp_eq_u32_e64 s[44:45], 1, v8
	v_cndmask_b32_e64 v8, v10, 1, s[44:45]
	v_add_u16_e32 v39, v9, v7
	v_lshlrev_b32_e32 v10, 16, v8
	v_add_u16_e32 v7, v9, v7
	v_or3_b32 v9, v10, v7, v5
	v_mov_b32_e32 v10, v8
	v_mov_b32_e32 v7, v39
.LBB590_136:
	s_or_b64 exec, exec, s[56:57]
	v_mov_b32_dpp v9, v9 row_bcast:31 row_mask:0xf bank_mask:0xf
	v_cmp_lt_u32_e64 s[44:45], 31, v6
	s_and_saveexec_b64 s[56:57], s[44:45]
; %bb.137:
	v_mov_b32_e32 v8, 0
	v_cmp_eq_u16_sdwa s[44:45], v10, v8 src0_sel:BYTE_0 src1_sel:DWORD
	v_cndmask_b32_e64 v8, 0, v9, s[44:45]
	v_add_u16_e32 v7, v8, v7
	v_and_b32_e32 v8, 1, v10
	v_mov_b32_e32 v10, 1
	v_and_b32_sdwa v9, v9, v10 dst_sel:DWORD dst_unused:UNUSED_PAD src0_sel:WORD_1 src1_sel:DWORD
	v_cmp_eq_u32_e64 s[44:45], 1, v8
	v_cndmask_b32_e64 v8, v9, 1, s[44:45]
; %bb.138:
	s_or_b64 exec, exec, s[56:57]
	v_and_b32_e32 v8, 0xff, v8
	v_lshlrev_b32_e32 v8, 16, v8
	v_and_b32_e32 v7, 0xffff, v7
	v_or3_b32 v5, v8, v7, v5
	v_add_u32_e32 v7, -1, v6
	v_and_b32_e32 v8, 64, v6
	v_cmp_lt_i32_e64 s[44:45], v7, v8
	v_cndmask_b32_e64 v6, v7, v6, s[44:45]
	v_lshlrev_b32_e32 v6, 2, v6
	ds_bpermute_b32 v5, v6, v5
	v_and_b32_e32 v6, 0xff0000, v3
	v_cmp_eq_u32_e64 s[44:45], 0, v6
	; wave barrier
	s_waitcnt lgkmcnt(0)
	v_cndmask_b32_e64 v6, 0, v5, s[44:45]
	v_add_u16_e32 v3, v6, v3
	v_mov_b32_e32 v6, 1
	v_and_b32_sdwa v5, v5, v6 dst_sel:DWORD dst_unused:UNUSED_PAD src0_sel:WORD_1 src1_sel:DWORD
	v_cmp_eq_u32_e64 s[44:45], 0, v4
	v_cndmask_b32_e64 v4, 1, v5, s[44:45]
	v_cmp_eq_u32_e64 s[44:45], 0, v0
	v_cndmask_b32_e64 v3, v3, v37, s[44:45]
	v_cndmask_b32_e64 v4, v4, v38, s[44:45]
	ds_write_b16 v2, v3
	ds_write_b8 v2, v4 offset:2
	; wave barrier
	ds_read_u16 v5, v2 offset:4
	ds_read_u8 v6, v2 offset:6
	ds_read_u16 v7, v2 offset:8
	ds_read_u8 v8, v2 offset:10
	;; [unrolled: 2-line block ×3, first 2 shown]
	s_waitcnt lgkmcnt(4)
	v_cmp_eq_u16_e64 s[44:45], 0, v6
	v_cndmask_b32_e64 v3, 0, v3, s[44:45]
	v_add_u16_e32 v3, v3, v5
	v_and_b32_e32 v5, 1, v6
	v_cmp_eq_u32_e64 s[44:45], 1, v5
	v_cndmask_b32_e64 v4, v4, 1, s[44:45]
	s_waitcnt lgkmcnt(2)
	v_cmp_eq_u16_e64 s[44:45], 0, v8
	v_and_b32_e32 v5, 1, v8
	ds_write_b16 v2, v3 offset:4
	ds_write_b8 v2, v4 offset:6
	v_cndmask_b32_e64 v3, 0, v3, s[44:45]
	v_cmp_eq_u32_e64 s[44:45], 1, v5
	v_add_u16_e32 v3, v3, v7
	v_cndmask_b32_e64 v4, v4, 1, s[44:45]
	s_waitcnt lgkmcnt(2)
	v_cmp_eq_u16_e64 s[44:45], 0, v10
	ds_write_b16 v2, v3 offset:8
	ds_write_b8 v2, v4 offset:10
	v_cndmask_b32_e64 v3, 0, v3, s[44:45]
	v_and_b32_e32 v5, 1, v10
	v_add_u16_e32 v3, v3, v9
	v_cmp_eq_u32_e64 s[44:45], 1, v5
	v_cndmask_b32_e64 v4, v4, 1, s[44:45]
	ds_write_b16 v2, v3 offset:12
	ds_write_b8 v2, v4 offset:14
.LBB590_139:
	s_or_b64 exec, exec, s[46:47]
	v_cmp_eq_u32_e64 s[44:45], 0, v0
	v_cmp_ne_u32_e64 s[46:47], 0, v0
	s_waitcnt lgkmcnt(0)
	s_barrier
	s_and_saveexec_b64 s[56:57], s[46:47]
	s_cbranch_execz .LBB590_141
; %bb.140:
	v_add_u32_e32 v2, -1, v0
	v_lshrrev_b32_e32 v3, 5, v2
	v_add_lshl_u32 v2, v3, v2, 2
	ds_read_u16 v37, v2
	ds_read_u8 v38, v2 offset:2
.LBB590_141:
	s_or_b64 exec, exec, s[56:57]
	s_and_saveexec_b64 s[56:57], vcc
	s_cbranch_execz .LBB590_188
; %bb.142:
	v_mov_b32_e32 v11, 0
	ds_read_b32 v2, v11 offset:1048
	v_mbcnt_lo_u32_b32 v3, -1, 0
	v_mbcnt_hi_u32_b32 v5, -1, v3
	s_mov_b32 s69, 0
	v_cmp_eq_u32_e64 s[46:47], 0, v5
	s_and_saveexec_b64 s[66:67], s[46:47]
	s_cbranch_execz .LBB590_144
; %bb.143:
	s_add_i32 s68, s6, 64
	s_lshl_b64 s[68:69], s[68:69], 3
	s_add_u32 s68, s52, s68
	v_mov_b32_e32 v3, 1
	s_addc_u32 s69, s53, s69
	s_waitcnt lgkmcnt(0)
	global_store_dwordx2 v11, v[2:3], s[68:69]
.LBB590_144:
	s_or_b64 exec, exec, s[66:67]
	v_xad_u32 v4, v5, -1, s6
	v_add_u32_e32 v10, 64, v4
	v_lshlrev_b64 v[6:7], 3, v[10:11]
	v_mov_b32_e32 v3, s53
	v_add_co_u32_e32 v6, vcc, s52, v6
	v_addc_co_u32_e32 v7, vcc, v3, v7, vcc
	global_load_dwordx2 v[8:9], v[6:7], off glc
	s_waitcnt vmcnt(0)
	v_cmp_eq_u16_sdwa s[68:69], v9, v11 src0_sel:BYTE_0 src1_sel:DWORD
	s_and_saveexec_b64 s[66:67], s[68:69]
	s_cbranch_execz .LBB590_150
; %bb.145:
	s_mov_b32 s55, 1
	s_mov_b64 s[68:69], 0
	v_mov_b32_e32 v3, 0
.LBB590_146:                            ; =>This Loop Header: Depth=1
                                        ;     Child Loop BB590_147 Depth 2
	s_max_u32 s70, s55, 1
.LBB590_147:                            ;   Parent Loop BB590_146 Depth=1
                                        ; =>  This Inner Loop Header: Depth=2
	s_add_i32 s70, s70, -1
	s_cmp_eq_u32 s70, 0
	s_sleep 1
	s_cbranch_scc0 .LBB590_147
; %bb.148:                              ;   in Loop: Header=BB590_146 Depth=1
	global_load_dwordx2 v[8:9], v[6:7], off glc
	s_cmp_lt_u32 s55, 32
	s_cselect_b64 s[70:71], -1, 0
	s_cmp_lg_u64 s[70:71], 0
	s_addc_u32 s55, s55, 0
	s_waitcnt vmcnt(0)
	v_cmp_ne_u16_sdwa s[70:71], v9, v3 src0_sel:BYTE_0 src1_sel:DWORD
	s_or_b64 s[68:69], s[70:71], s[68:69]
	s_andn2_b64 exec, exec, s[68:69]
	s_cbranch_execnz .LBB590_146
; %bb.149:
	s_or_b64 exec, exec, s[68:69]
.LBB590_150:
	s_or_b64 exec, exec, s[66:67]
	v_mov_b32_e32 v3, 2
	v_cmp_eq_u16_sdwa s[66:67], v9, v3 src0_sel:BYTE_0 src1_sel:DWORD
	v_lshlrev_b64 v[6:7], v5, -1
	v_and_b32_e32 v3, s67, v7
	v_or_b32_e32 v3, 0x80000000, v3
	v_ffbl_b32_e32 v3, v3
	v_add_u32_e32 v11, 32, v3
	v_and_b32_e32 v3, 63, v5
	v_cmp_ne_u32_e32 vcc, 63, v3
	v_addc_co_u32_e32 v39, vcc, 0, v5, vcc
	v_and_b32_e32 v50, 0xffffff, v8
	v_lshlrev_b32_e32 v39, 2, v39
	ds_bpermute_b32 v40, v39, v50
	v_and_b32_e32 v10, s66, v6
	v_ffbl_b32_e32 v10, v10
	v_min_u32_e32 v11, v10, v11
	v_lshrrev_b32_e32 v10, 16, v8
	v_cmp_lt_u32_e32 vcc, v3, v11
	v_bfe_u32 v48, v8, 16, 8
	s_and_saveexec_b64 s[66:67], vcc
	s_cbranch_execz .LBB590_152
; %bb.151:
	v_and_b32_e32 v10, 0xff0000, v8
	v_cmp_eq_u32_e32 vcc, 0, v10
	v_and_b32_e32 v10, 0x10000, v10
	v_mov_b32_e32 v43, 1
	s_waitcnt lgkmcnt(0)
	v_cndmask_b32_e32 v41, 0, v40, vcc
	v_and_b32_sdwa v40, v40, v43 dst_sel:DWORD dst_unused:UNUSED_PAD src0_sel:WORD_1 src1_sel:DWORD
	v_cmp_ne_u32_e32 vcc, 0, v10
	v_cndmask_b32_e64 v10, v40, 1, vcc
	v_add_u16_e32 v42, v41, v8
	v_lshlrev_b32_e32 v40, 16, v10
	v_add_u16_e32 v8, v41, v8
	v_or_b32_e32 v50, v40, v8
	v_mov_b32_e32 v8, v42
	v_mov_b32_e32 v48, v10
.LBB590_152:
	s_or_b64 exec, exec, s[66:67]
	v_cmp_gt_u32_e32 vcc, 62, v3
	s_waitcnt lgkmcnt(0)
	v_cndmask_b32_e64 v40, 0, 1, vcc
	v_lshlrev_b32_e32 v40, 1, v40
	v_add_lshl_u32 v40, v40, v5, 2
	ds_bpermute_b32 v42, v40, v50
	v_add_u32_e32 v41, 2, v3
	v_cmp_le_u32_e32 vcc, v41, v11
	s_and_saveexec_b64 s[66:67], vcc
	s_cbranch_execz .LBB590_154
; %bb.153:
	v_cmp_eq_u16_e32 vcc, 0, v48
	v_and_b32_e32 v10, 1, v48
	v_mov_b32_e32 v45, 1
	s_waitcnt lgkmcnt(0)
	v_cndmask_b32_e32 v43, 0, v42, vcc
	v_and_b32_sdwa v42, v42, v45 dst_sel:DWORD dst_unused:UNUSED_PAD src0_sel:WORD_1 src1_sel:DWORD
	v_cmp_eq_u32_e32 vcc, 1, v10
	v_cndmask_b32_e64 v10, v42, 1, vcc
	v_add_u16_e32 v44, v43, v8
	v_lshlrev_b32_e32 v42, 16, v10
	v_add_u16_e32 v8, v43, v8
	v_or_b32_e32 v50, v42, v8
	v_mov_b32_e32 v8, v44
	v_mov_b32_e32 v48, v10
.LBB590_154:
	s_or_b64 exec, exec, s[66:67]
	v_cmp_gt_u32_e32 vcc, 60, v3
	s_waitcnt lgkmcnt(0)
	v_cndmask_b32_e64 v42, 0, 1, vcc
	v_lshlrev_b32_e32 v42, 2, v42
	v_add_lshl_u32 v42, v42, v5, 2
	ds_bpermute_b32 v44, v42, v50
	v_add_u32_e32 v43, 4, v3
	v_cmp_le_u32_e32 vcc, v43, v11
	s_and_saveexec_b64 s[66:67], vcc
	s_cbranch_execz .LBB590_156
; %bb.155:
	v_cmp_eq_u16_e32 vcc, 0, v48
	v_and_b32_e32 v10, 1, v48
	v_mov_b32_e32 v47, 1
	s_waitcnt lgkmcnt(0)
	v_cndmask_b32_e32 v45, 0, v44, vcc
	v_and_b32_sdwa v44, v44, v47 dst_sel:DWORD dst_unused:UNUSED_PAD src0_sel:WORD_1 src1_sel:DWORD
	v_cmp_eq_u32_e32 vcc, 1, v10
	v_cndmask_b32_e64 v10, v44, 1, vcc
	v_add_u16_e32 v46, v45, v8
	v_lshlrev_b32_e32 v44, 16, v10
	v_add_u16_e32 v8, v45, v8
	v_or_b32_e32 v50, v44, v8
	v_mov_b32_e32 v8, v46
	v_mov_b32_e32 v48, v10
.LBB590_156:
	;; [unrolled: 27-line block ×4, first 2 shown]
	s_or_b64 exec, exec, s[66:67]
	v_cmp_gt_u32_e32 vcc, 32, v3
	s_waitcnt lgkmcnt(0)
	v_cndmask_b32_e64 v49, 0, 1, vcc
	v_lshlrev_b32_e32 v49, 5, v49
	v_add_lshl_u32 v49, v49, v5, 2
	ds_bpermute_b32 v5, v49, v50
	v_add_u32_e32 v50, 32, v3
	v_cmp_le_u32_e32 vcc, v50, v11
	s_and_saveexec_b64 s[66:67], vcc
	s_cbranch_execz .LBB590_162
; %bb.161:
	v_cmp_eq_u16_e32 vcc, 0, v48
	s_waitcnt lgkmcnt(0)
	v_cndmask_b32_e32 v10, 0, v5, vcc
	v_add_u16_e32 v8, v10, v8
	v_and_b32_e32 v10, 1, v48
	v_mov_b32_e32 v11, 1
	v_and_b32_sdwa v5, v5, v11 dst_sel:DWORD dst_unused:UNUSED_PAD src0_sel:WORD_1 src1_sel:DWORD
	v_cmp_eq_u32_e32 vcc, 1, v10
	v_cndmask_b32_e64 v10, v5, 1, vcc
.LBB590_162:
	s_or_b64 exec, exec, s[66:67]
	s_waitcnt lgkmcnt(0)
	v_mov_b32_e32 v5, 0
	v_mov_b32_e32 v52, 2
	;; [unrolled: 1-line block ×3, first 2 shown]
	s_branch .LBB590_164
.LBB590_163:                            ;   in Loop: Header=BB590_164 Depth=1
	s_or_b64 exec, exec, s[66:67]
	v_cmp_eq_u16_sdwa vcc, v48, v5 src0_sel:BYTE_0 src1_sel:DWORD
	v_and_b32_e32 v10, 1, v48
	v_cndmask_b32_e32 v8, 0, v8, vcc
	v_and_b32_e32 v11, 1, v11
	v_cmp_eq_u32_e32 vcc, 1, v10
	v_subrev_u32_e32 v4, 64, v4
	v_add_u16_e32 v8, v8, v51
	v_cndmask_b32_e64 v10, v11, 1, vcc
.LBB590_164:                            ; =>This Loop Header: Depth=1
                                        ;     Child Loop BB590_167 Depth 2
                                        ;       Child Loop BB590_168 Depth 3
	v_cmp_ne_u16_sdwa s[66:67], v9, v52 src0_sel:BYTE_0 src1_sel:DWORD
	v_cndmask_b32_e64 v9, 0, 1, s[66:67]
	;;#ASMSTART
	;;#ASMEND
	v_cmp_ne_u32_e32 vcc, 0, v9
	v_mov_b32_e32 v48, v10
	s_cmp_lg_u64 vcc, exec
	v_mov_b32_e32 v51, v8
	s_cbranch_scc1 .LBB590_183
; %bb.165:                              ;   in Loop: Header=BB590_164 Depth=1
	v_lshlrev_b64 v[8:9], 3, v[4:5]
	v_mov_b32_e32 v11, s53
	v_add_co_u32_e32 v10, vcc, s52, v8
	v_addc_co_u32_e32 v11, vcc, v11, v9, vcc
	global_load_dwordx2 v[8:9], v[10:11], off glc
	s_waitcnt vmcnt(0)
	v_cmp_eq_u16_sdwa s[68:69], v9, v5 src0_sel:BYTE_0 src1_sel:DWORD
	s_and_saveexec_b64 s[66:67], s[68:69]
	s_cbranch_execz .LBB590_171
; %bb.166:                              ;   in Loop: Header=BB590_164 Depth=1
	s_mov_b32 s55, 1
	s_mov_b64 s[68:69], 0
.LBB590_167:                            ;   Parent Loop BB590_164 Depth=1
                                        ; =>  This Loop Header: Depth=2
                                        ;       Child Loop BB590_168 Depth 3
	s_max_u32 s70, s55, 1
.LBB590_168:                            ;   Parent Loop BB590_164 Depth=1
                                        ;     Parent Loop BB590_167 Depth=2
                                        ; =>    This Inner Loop Header: Depth=3
	s_add_i32 s70, s70, -1
	s_cmp_eq_u32 s70, 0
	s_sleep 1
	s_cbranch_scc0 .LBB590_168
; %bb.169:                              ;   in Loop: Header=BB590_167 Depth=2
	global_load_dwordx2 v[8:9], v[10:11], off glc
	s_cmp_lt_u32 s55, 32
	s_cselect_b64 s[70:71], -1, 0
	s_cmp_lg_u64 s[70:71], 0
	s_addc_u32 s55, s55, 0
	s_waitcnt vmcnt(0)
	v_cmp_ne_u16_sdwa s[70:71], v9, v5 src0_sel:BYTE_0 src1_sel:DWORD
	s_or_b64 s[68:69], s[70:71], s[68:69]
	s_andn2_b64 exec, exec, s[68:69]
	s_cbranch_execnz .LBB590_167
; %bb.170:                              ;   in Loop: Header=BB590_164 Depth=1
	s_or_b64 exec, exec, s[68:69]
.LBB590_171:                            ;   in Loop: Header=BB590_164 Depth=1
	s_or_b64 exec, exec, s[66:67]
	v_cmp_eq_u16_sdwa s[66:67], v9, v52 src0_sel:BYTE_0 src1_sel:DWORD
	v_and_b32_e32 v10, s67, v7
	s_waitcnt lgkmcnt(0)
	v_and_b32_e32 v55, 0xffffff, v8
	v_or_b32_e32 v10, 0x80000000, v10
	ds_bpermute_b32 v56, v39, v55
	v_and_b32_e32 v11, s66, v6
	v_ffbl_b32_e32 v10, v10
	v_add_u32_e32 v10, 32, v10
	v_ffbl_b32_e32 v11, v11
	v_min_u32_e32 v10, v11, v10
	v_lshrrev_b32_e32 v11, 16, v8
	v_cmp_lt_u32_e32 vcc, v3, v10
	v_bfe_u32 v54, v8, 16, 8
	s_and_saveexec_b64 s[66:67], vcc
	s_cbranch_execz .LBB590_173
; %bb.172:                              ;   in Loop: Header=BB590_164 Depth=1
	v_and_b32_e32 v11, 0xff0000, v8
	v_cmp_eq_u32_e32 vcc, 0, v11
	v_and_b32_e32 v11, 0x10000, v11
	s_waitcnt lgkmcnt(0)
	v_cndmask_b32_e32 v54, 0, v56, vcc
	v_and_b32_sdwa v55, v56, v53 dst_sel:DWORD dst_unused:UNUSED_PAD src0_sel:WORD_1 src1_sel:DWORD
	v_cmp_ne_u32_e32 vcc, 0, v11
	v_cndmask_b32_e64 v11, v55, 1, vcc
	v_add_u16_e32 v57, v54, v8
	v_lshlrev_b32_e32 v55, 16, v11
	v_add_u16_e32 v8, v54, v8
	v_or_b32_e32 v55, v55, v8
	v_mov_b32_e32 v8, v57
	v_mov_b32_e32 v54, v11
.LBB590_173:                            ;   in Loop: Header=BB590_164 Depth=1
	s_or_b64 exec, exec, s[66:67]
	s_waitcnt lgkmcnt(0)
	ds_bpermute_b32 v56, v40, v55
	v_cmp_le_u32_e32 vcc, v41, v10
	s_and_saveexec_b64 s[66:67], vcc
	s_cbranch_execz .LBB590_175
; %bb.174:                              ;   in Loop: Header=BB590_164 Depth=1
	v_cmp_eq_u16_e32 vcc, 0, v54
	v_and_b32_e32 v11, 1, v54
	s_waitcnt lgkmcnt(0)
	v_cndmask_b32_e32 v55, 0, v56, vcc
	v_and_b32_sdwa v54, v56, v53 dst_sel:DWORD dst_unused:UNUSED_PAD src0_sel:WORD_1 src1_sel:DWORD
	v_cmp_eq_u32_e32 vcc, 1, v11
	v_cndmask_b32_e64 v11, v54, 1, vcc
	v_add_u16_e32 v57, v55, v8
	v_lshlrev_b32_e32 v54, 16, v11
	v_add_u16_e32 v8, v55, v8
	v_or_b32_e32 v55, v54, v8
	v_mov_b32_e32 v8, v57
	v_mov_b32_e32 v54, v11
.LBB590_175:                            ;   in Loop: Header=BB590_164 Depth=1
	s_or_b64 exec, exec, s[66:67]
	s_waitcnt lgkmcnt(0)
	ds_bpermute_b32 v56, v42, v55
	v_cmp_le_u32_e32 vcc, v43, v10
	s_and_saveexec_b64 s[66:67], vcc
	s_cbranch_execz .LBB590_177
; %bb.176:                              ;   in Loop: Header=BB590_164 Depth=1
	v_cmp_eq_u16_e32 vcc, 0, v54
	v_and_b32_e32 v11, 1, v54
	s_waitcnt lgkmcnt(0)
	v_cndmask_b32_e32 v55, 0, v56, vcc
	v_and_b32_sdwa v54, v56, v53 dst_sel:DWORD dst_unused:UNUSED_PAD src0_sel:WORD_1 src1_sel:DWORD
	v_cmp_eq_u32_e32 vcc, 1, v11
	v_cndmask_b32_e64 v11, v54, 1, vcc
	v_add_u16_e32 v57, v55, v8
	v_lshlrev_b32_e32 v54, 16, v11
	v_add_u16_e32 v8, v55, v8
	v_or_b32_e32 v55, v54, v8
	v_mov_b32_e32 v8, v57
	v_mov_b32_e32 v54, v11
.LBB590_177:                            ;   in Loop: Header=BB590_164 Depth=1
	;; [unrolled: 21-line block ×4, first 2 shown]
	s_or_b64 exec, exec, s[66:67]
	ds_bpermute_b32 v55, v49, v55
	v_cmp_le_u32_e32 vcc, v50, v10
	s_and_saveexec_b64 s[66:67], vcc
	s_cbranch_execz .LBB590_163
; %bb.182:                              ;   in Loop: Header=BB590_164 Depth=1
	v_cmp_eq_u16_e32 vcc, 0, v54
	s_waitcnt lgkmcnt(0)
	v_cndmask_b32_e32 v10, 0, v55, vcc
	v_add_u16_e32 v8, v10, v8
	v_and_b32_e32 v10, 1, v54
	v_lshrrev_b32_e32 v11, 16, v55
	v_cmp_eq_u32_e32 vcc, 1, v10
	v_cndmask_b32_e64 v11, v11, 1, vcc
	s_branch .LBB590_163
.LBB590_183:                            ;   in Loop: Header=BB590_164 Depth=1
                                        ; implicit-def: $vgpr10
                                        ; implicit-def: $vgpr8
	s_cbranch_execz .LBB590_164
; %bb.184:
	s_and_saveexec_b64 s[66:67], s[46:47]
	s_cbranch_execz .LBB590_186
; %bb.185:
	v_and_b32_e32 v3, 0xff0000, v2
	s_mov_b32 s47, 0
	v_cmp_eq_u32_e32 vcc, 0, v3
	v_and_b32_e32 v4, 0x10000, v2
	v_mov_b32_e32 v5, 1
	s_add_i32 s46, s6, 64
	v_cndmask_b32_e32 v3, 0, v51, vcc
	v_and_b32_sdwa v5, v48, v5 dst_sel:WORD_1 dst_unused:UNUSED_PAD src0_sel:DWORD src1_sel:DWORD
	v_mov_b32_e32 v6, 0x10000
	v_cmp_eq_u32_e32 vcc, 0, v4
	s_lshl_b64 s[46:47], s[46:47], 3
	v_cndmask_b32_e32 v4, v6, v5, vcc
	s_add_u32 s46, s52, s46
	v_add_u16_e32 v2, v3, v2
	s_addc_u32 s47, s53, s47
	v_mov_b32_e32 v5, 0
	v_or_b32_e32 v2, v4, v2
	v_mov_b32_e32 v3, 2
	global_store_dwordx2 v5, v[2:3], s[46:47]
.LBB590_186:
	s_or_b64 exec, exec, s[66:67]
	s_and_b64 exec, exec, s[44:45]
	s_cbranch_execz .LBB590_188
; %bb.187:
	v_mov_b32_e32 v2, 0
	ds_write_b16 v2, v51
	ds_write_b8 v2, v48 offset:2
.LBB590_188:
	s_or_b64 exec, exec, s[56:57]
	v_mov_b32_e32 v2, 0
	s_waitcnt lgkmcnt(0)
	s_barrier
	ds_read_b32 v3, v2
	v_cmp_eq_u16_sdwa vcc, v38, v2 src0_sel:BYTE_0 src1_sel:DWORD
	s_waitcnt lgkmcnt(0)
	v_cndmask_b32_e32 v2, 0, v3, vcc
	v_add_u16_e32 v2, v2, v37
	v_cndmask_b32_e64 v4, v2, v3, s[44:45]
	v_and_b32_e32 v2, 0xff0000, v1
	v_cmp_eq_u32_e32 vcc, 0, v2
	v_cndmask_b32_e32 v2, 0, v4, vcc
	v_add_u16_e32 v5, v2, v1
	v_cndmask_b32_e64 v2, 0, v5, s[2:3]
	v_add_u16_e32 v6, v2, v18
	v_cndmask_b32_e64 v2, 0, v6, s[4:5]
	;; [unrolled: 2-line block ×20, first 2 shown]
	v_add_u16_e32 v50, v2, v35
	s_branch .LBB590_231
.LBB590_189:
	s_or_b64 exec, exec, s[48:49]
                                        ; implicit-def: $vgpr27
	s_and_saveexec_b64 s[48:49], s[2:3]
	s_cbranch_execz .LBB590_49
.LBB590_190:
	v_mov_b32_e32 v27, s72
	v_add_co_u32_e32 v28, vcc, s55, v18
	v_addc_co_u32_e32 v29, vcc, 0, v27, vcc
	flat_load_ushort v27, v[28:29] offset:512
	s_or_b64 exec, exec, s[48:49]
                                        ; implicit-def: $vgpr28
	s_and_saveexec_b64 s[2:3], s[4:5]
	s_cbranch_execnz .LBB590_50
.LBB590_191:
	s_or_b64 exec, exec, s[2:3]
                                        ; implicit-def: $vgpr29
	s_and_saveexec_b64 s[2:3], s[46:47]
	s_cbranch_execz .LBB590_51
.LBB590_192:
	v_mov_b32_e32 v29, s72
	v_add_co_u32_e32 v30, vcc, s55, v18
	v_addc_co_u32_e32 v31, vcc, 0, v29, vcc
	flat_load_ushort v29, v[30:31] offset:1536
	s_or_b64 exec, exec, s[2:3]
                                        ; implicit-def: $vgpr30
	s_and_saveexec_b64 s[2:3], s[8:9]
	s_cbranch_execnz .LBB590_52
.LBB590_193:
	s_or_b64 exec, exec, s[2:3]
                                        ; implicit-def: $vgpr31
	s_and_saveexec_b64 s[2:3], s[10:11]
	s_cbranch_execz .LBB590_53
.LBB590_194:
	v_mov_b32_e32 v31, s72
	v_add_co_u32_e32 v32, vcc, s55, v18
	v_addc_co_u32_e32 v33, vcc, 0, v31, vcc
	flat_load_ushort v31, v[32:33] offset:2560
	s_or_b64 exec, exec, s[2:3]
                                        ; implicit-def: $vgpr32
	s_and_saveexec_b64 s[2:3], s[12:13]
	s_cbranch_execnz .LBB590_54
.LBB590_195:
	s_or_b64 exec, exec, s[2:3]
                                        ; implicit-def: $vgpr33
	s_and_saveexec_b64 s[2:3], s[14:15]
	s_cbranch_execz .LBB590_55
.LBB590_196:
	v_mov_b32_e32 v33, s72
	v_add_co_u32_e32 v34, vcc, s55, v18
	v_addc_co_u32_e32 v35, vcc, 0, v33, vcc
	flat_load_ushort v33, v[34:35] offset:3584
	s_or_b64 exec, exec, s[2:3]
                                        ; implicit-def: $vgpr34
	s_and_saveexec_b64 s[2:3], s[16:17]
	s_cbranch_execnz .LBB590_56
.LBB590_197:
	s_or_b64 exec, exec, s[2:3]
                                        ; implicit-def: $vgpr1
	s_and_saveexec_b64 s[2:3], s[18:19]
	s_cbranch_execz .LBB590_57
.LBB590_198:
	v_lshlrev_b32_e32 v1, 1, v2
	v_mov_b32_e32 v2, s72
	v_add_co_u32_e32 v40, vcc, s55, v1
	v_addc_co_u32_e32 v41, vcc, 0, v2, vcc
	flat_load_ushort v1, v[40:41]
	s_or_b64 exec, exec, s[2:3]
                                        ; implicit-def: $vgpr2
	s_and_saveexec_b64 s[2:3], s[20:21]
	s_cbranch_execnz .LBB590_58
.LBB590_199:
	s_or_b64 exec, exec, s[2:3]
                                        ; implicit-def: $vgpr3
	s_and_saveexec_b64 s[2:3], s[22:23]
	s_cbranch_execz .LBB590_59
.LBB590_200:
	v_lshlrev_b32_e32 v3, 1, v4
	v_mov_b32_e32 v4, s72
	v_add_co_u32_e32 v40, vcc, s55, v3
	v_addc_co_u32_e32 v41, vcc, 0, v4, vcc
	flat_load_ushort v3, v[40:41]
	s_or_b64 exec, exec, s[2:3]
                                        ; implicit-def: $vgpr4
	s_and_saveexec_b64 s[2:3], s[24:25]
	s_cbranch_execnz .LBB590_60
.LBB590_201:
	s_or_b64 exec, exec, s[2:3]
                                        ; implicit-def: $vgpr5
	s_and_saveexec_b64 s[2:3], s[26:27]
	s_cbranch_execz .LBB590_61
.LBB590_202:
	v_lshlrev_b32_e32 v5, 1, v16
	v_mov_b32_e32 v16, s72
	v_add_co_u32_e32 v40, vcc, s55, v5
	v_addc_co_u32_e32 v41, vcc, 0, v16, vcc
	flat_load_ushort v5, v[40:41]
	s_or_b64 exec, exec, s[2:3]
                                        ; implicit-def: $vgpr16
	s_and_saveexec_b64 s[2:3], s[28:29]
	s_cbranch_execnz .LBB590_62
.LBB590_203:
	s_or_b64 exec, exec, s[2:3]
                                        ; implicit-def: $vgpr17
	s_and_saveexec_b64 s[2:3], s[30:31]
	s_cbranch_execz .LBB590_63
.LBB590_204:
	v_lshlrev_b32_e32 v17, 1, v19
	v_mov_b32_e32 v19, s72
	v_add_co_u32_e32 v40, vcc, s55, v17
	v_addc_co_u32_e32 v41, vcc, 0, v19, vcc
	flat_load_ushort v17, v[40:41]
	s_or_b64 exec, exec, s[2:3]
                                        ; implicit-def: $vgpr19
	s_and_saveexec_b64 s[2:3], s[34:35]
	s_cbranch_execnz .LBB590_64
.LBB590_205:
	s_or_b64 exec, exec, s[2:3]
                                        ; implicit-def: $vgpr20
	s_and_saveexec_b64 s[2:3], s[36:37]
	s_cbranch_execz .LBB590_65
.LBB590_206:
	v_lshlrev_b32_e32 v20, 1, v21
	v_mov_b32_e32 v21, s72
	v_add_co_u32_e32 v20, vcc, s55, v20
	v_addc_co_u32_e32 v21, vcc, 0, v21, vcc
	flat_load_ushort v20, v[20:21]
	s_or_b64 exec, exec, s[2:3]
                                        ; implicit-def: $vgpr21
	s_and_saveexec_b64 s[2:3], s[38:39]
	s_cbranch_execnz .LBB590_66
.LBB590_207:
	s_or_b64 exec, exec, s[2:3]
                                        ; implicit-def: $vgpr22
	s_and_saveexec_b64 s[2:3], s[40:41]
	s_cbranch_execz .LBB590_67
.LBB590_208:
	v_lshlrev_b32_e32 v22, 1, v23
	v_mov_b32_e32 v23, s72
	v_add_co_u32_e32 v22, vcc, s55, v22
	v_addc_co_u32_e32 v23, vcc, 0, v23, vcc
	flat_load_ushort v22, v[22:23]
	s_or_b64 exec, exec, s[2:3]
                                        ; implicit-def: $vgpr23
	s_and_saveexec_b64 s[2:3], s[42:43]
	s_cbranch_execz .LBB590_69
	s_branch .LBB590_68
.LBB590_209:
                                        ; implicit-def: $vgpr4
                                        ; implicit-def: $vgpr5
                                        ; implicit-def: $vgpr6
                                        ; implicit-def: $vgpr7
                                        ; implicit-def: $vgpr8
                                        ; implicit-def: $vgpr9
                                        ; implicit-def: $vgpr10
                                        ; implicit-def: $vgpr11
                                        ; implicit-def: $vgpr37
                                        ; implicit-def: $vgpr38
                                        ; implicit-def: $vgpr39
                                        ; implicit-def: $vgpr40
                                        ; implicit-def: $vgpr41
                                        ; implicit-def: $vgpr42
                                        ; implicit-def: $vgpr43
                                        ; implicit-def: $vgpr44
                                        ; implicit-def: $vgpr45
                                        ; implicit-def: $vgpr46
                                        ; implicit-def: $vgpr47
                                        ; implicit-def: $vgpr48
                                        ; implicit-def: $vgpr49
                                        ; implicit-def: $vgpr50
	s_cbranch_execz .LBB590_231
; %bb.210:
	s_cmp_lg_u64 s[64:65], 0
	s_cselect_b32 s3, s59, 0
	s_cselect_b32 s2, s58, 0
	s_cmp_eq_u64 s[2:3], 0
	v_mov_b32_e32 v2, s7
	s_cbranch_scc1 .LBB590_212
; %bb.211:
	v_mov_b32_e32 v2, 0
	global_load_ushort v2, v2, s[2:3]
.LBB590_212:
	s_mov_b32 s42, 0x10000
	v_cmp_gt_u32_e32 vcc, s42, v18
	v_cndmask_b32_e32 v3, 0, v1, vcc
	v_add_u16_e32 v3, v3, v18
	v_cmp_gt_u32_e64 s[2:3], s42, v22
	v_cndmask_b32_e64 v3, 0, v3, s[2:3]
	v_add_u16_e32 v3, v3, v22
	v_cmp_gt_u32_e64 s[4:5], s42, v19
	v_cndmask_b32_e64 v3, 0, v3, s[4:5]
	;; [unrolled: 3-line block ×20, first 2 shown]
	v_add_u16_e32 v4, v3, v12
	v_or3_b32 v3, v15, v33, v32
	v_or3_b32 v3, v3, v31, v30
	;; [unrolled: 1-line block ×8, first 2 shown]
	v_and_b32_e32 v3, 0x10000, v3
	v_cmp_ne_u32_e64 s[42:43], 0, v3
	v_mov_b32_e32 v8, 0x10000
	v_cndmask_b32_e64 v5, v13, 1, s[42:43]
	v_add_lshl_u32 v3, v14, v0, 2
	v_cmp_gt_u32_e64 s[42:43], 64, v0
	ds_write_b16 v3, v4
	ds_write_b8 v3, v5 offset:2
	s_waitcnt lgkmcnt(0)
	s_barrier
	s_and_saveexec_b64 s[44:45], s[42:43]
	s_cbranch_execz .LBB590_226
; %bb.213:
	v_lshlrev_b32_e32 v3, 2, v0
	v_lshrrev_b32_e32 v6, 3, v0
	v_add_lshl_u32 v3, v6, v3, 2
	ds_read_b32 v6, v3
	ds_read_u16 v7, v3 offset:4
	ds_read_u8 v9, v3 offset:6
	ds_read_u16 v10, v3 offset:8
	ds_read_u8 v11, v3 offset:10
	;; [unrolled: 2-line block ×3, first 2 shown]
	v_mov_b32_e32 v14, 0
	s_waitcnt lgkmcnt(4)
	v_cmp_eq_u16_sdwa s[42:43], v9, v14 src0_sel:BYTE_0 src1_sel:DWORD
	v_cndmask_b32_e64 v15, 0, v6, s[42:43]
	v_add_u16_e32 v15, v15, v7
	s_waitcnt lgkmcnt(2)
	v_cmp_eq_u16_sdwa s[42:43], v11, v14 src0_sel:BYTE_0 src1_sel:DWORD
	s_waitcnt lgkmcnt(0)
	v_or_b32_e32 v11, v13, v11
	v_cndmask_b32_e64 v14, 0, v15, s[42:43]
	v_or_b32_e32 v9, v11, v9
	v_add_u16_e32 v10, v14, v10
	v_cmp_eq_u16_e64 s[42:43], 0, v13
	v_and_b32_e32 v9, 1, v9
	v_and_b32_e32 v7, 0x10000, v6
	v_cndmask_b32_e64 v14, 0, v10, s[42:43]
	v_cmp_eq_u32_e64 s[42:43], 1, v9
	v_mbcnt_lo_u32_b32 v9, -1, 0
	v_add_u16_e32 v10, v14, v12
	v_cndmask_b32_e64 v15, v7, v8, s[42:43]
	v_add_u16_e32 v12, v14, v12
	v_and_b32_e32 v8, 0xff000000, v6
	v_mbcnt_hi_u32_b32 v9, -1, v9
	v_or_b32_e32 v13, v15, v8
	v_and_b32_e32 v14, 15, v9
	v_or3_b32 v12, v8, v12, v15
	s_movk_i32 s48, 0xff
	v_lshrrev_b32_e32 v11, 16, v13
	v_mov_b32_dpp v15, v12 row_shr:1 row_mask:0xf bank_mask:0xf
	v_cmp_ne_u32_e64 s[42:43], 0, v14
	s_and_saveexec_b64 s[46:47], s[42:43]
	s_cbranch_execz .LBB590_215
; %bb.214:
	v_and_b32_sdwa v11, v13, s48 dst_sel:DWORD dst_unused:UNUSED_PAD src0_sel:WORD_1 src1_sel:DWORD
	v_cmp_eq_u16_e64 s[42:43], 0, v11
	v_and_b32_e32 v11, 0x10000, v13
	v_mov_b32_e32 v13, 1
	v_cndmask_b32_e64 v12, 0, v15, s[42:43]
	v_and_b32_sdwa v13, v15, v13 dst_sel:DWORD dst_unused:UNUSED_PAD src0_sel:WORD_1 src1_sel:DWORD
	v_cmp_ne_u32_e64 s[42:43], 0, v11
	v_cndmask_b32_e64 v11, v13, 1, s[42:43]
	v_add_u16_e32 v37, v12, v10
	v_lshlrev_b32_e32 v13, 16, v11
	v_add_u16_e32 v10, v12, v10
	v_or3_b32 v12, v13, v10, v8
	v_mov_b32_e32 v10, v37
.LBB590_215:
	s_or_b64 exec, exec, s[46:47]
	v_lshrrev_b32_e32 v13, 16, v12
	v_mov_b32_dpp v15, v12 row_shr:2 row_mask:0xf bank_mask:0xf
	v_cmp_lt_u32_e64 s[42:43], 1, v14
	s_and_saveexec_b64 s[46:47], s[42:43]
	s_cbranch_execz .LBB590_217
; %bb.216:
	v_mov_b32_e32 v11, 0
	v_cmp_eq_u16_sdwa s[42:43], v13, v11 src0_sel:BYTE_0 src1_sel:DWORD
	v_and_b32_e32 v11, 0x10000, v12
	v_mov_b32_e32 v12, 1
	v_cndmask_b32_e64 v13, 0, v15, s[42:43]
	v_and_b32_sdwa v12, v15, v12 dst_sel:DWORD dst_unused:UNUSED_PAD src0_sel:WORD_1 src1_sel:DWORD
	v_cmp_ne_u32_e64 s[42:43], 0, v11
	v_cndmask_b32_e64 v11, v12, 1, s[42:43]
	v_add_u16_e32 v37, v13, v10
	v_lshlrev_b32_e32 v12, 16, v11
	v_add_u16_e32 v10, v13, v10
	v_or3_b32 v12, v12, v10, v8
	v_mov_b32_e32 v13, v11
	v_mov_b32_e32 v10, v37
.LBB590_217:
	s_or_b64 exec, exec, s[46:47]
	v_mov_b32_dpp v15, v12 row_shr:4 row_mask:0xf bank_mask:0xf
	v_cmp_lt_u32_e64 s[42:43], 3, v14
	s_and_saveexec_b64 s[46:47], s[42:43]
	s_cbranch_execz .LBB590_219
; %bb.218:
	v_mov_b32_e32 v11, 0
	v_cmp_eq_u16_sdwa s[42:43], v13, v11 src0_sel:BYTE_0 src1_sel:DWORD
	v_and_b32_e32 v11, 1, v13
	v_mov_b32_e32 v13, 1
	v_cndmask_b32_e64 v12, 0, v15, s[42:43]
	v_and_b32_sdwa v13, v15, v13 dst_sel:DWORD dst_unused:UNUSED_PAD src0_sel:WORD_1 src1_sel:DWORD
	v_cmp_eq_u32_e64 s[42:43], 1, v11
	v_cndmask_b32_e64 v11, v13, 1, s[42:43]
	v_add_u16_e32 v37, v12, v10
	v_lshlrev_b32_e32 v13, 16, v11
	v_add_u16_e32 v10, v12, v10
	v_or3_b32 v12, v13, v10, v8
	v_mov_b32_e32 v13, v11
	v_mov_b32_e32 v10, v37
.LBB590_219:
	s_or_b64 exec, exec, s[46:47]
	v_mov_b32_dpp v15, v12 row_shr:8 row_mask:0xf bank_mask:0xf
	v_cmp_lt_u32_e64 s[42:43], 7, v14
	s_and_saveexec_b64 s[46:47], s[42:43]
	s_cbranch_execz .LBB590_221
; %bb.220:
	v_mov_b32_e32 v11, 0
	v_cmp_eq_u16_sdwa s[42:43], v13, v11 src0_sel:BYTE_0 src1_sel:DWORD
	v_and_b32_e32 v11, 1, v13
	v_mov_b32_e32 v13, 1
	v_cndmask_b32_e64 v12, 0, v15, s[42:43]
	v_and_b32_sdwa v13, v15, v13 dst_sel:DWORD dst_unused:UNUSED_PAD src0_sel:WORD_1 src1_sel:DWORD
	v_cmp_eq_u32_e64 s[42:43], 1, v11
	v_cndmask_b32_e64 v11, v13, 1, s[42:43]
	v_add_u16_e32 v14, v12, v10
	v_lshlrev_b32_e32 v13, 16, v11
	v_add_u16_e32 v10, v12, v10
	v_or3_b32 v12, v13, v10, v8
	v_mov_b32_e32 v13, v11
	v_mov_b32_e32 v10, v14
.LBB590_221:
	s_or_b64 exec, exec, s[46:47]
	v_and_b32_e32 v15, 16, v9
	v_mov_b32_dpp v14, v12 row_bcast:15 row_mask:0xf bank_mask:0xf
	v_cmp_ne_u32_e64 s[42:43], 0, v15
	s_and_saveexec_b64 s[46:47], s[42:43]
	s_cbranch_execz .LBB590_223
; %bb.222:
	v_mov_b32_e32 v11, 0
	v_cmp_eq_u16_sdwa s[42:43], v13, v11 src0_sel:BYTE_0 src1_sel:DWORD
	v_and_b32_e32 v11, 1, v13
	v_mov_b32_e32 v13, 1
	v_cndmask_b32_e64 v12, 0, v14, s[42:43]
	v_and_b32_sdwa v13, v14, v13 dst_sel:DWORD dst_unused:UNUSED_PAD src0_sel:WORD_1 src1_sel:DWORD
	v_cmp_eq_u32_e64 s[42:43], 1, v11
	v_cndmask_b32_e64 v11, v13, 1, s[42:43]
	v_add_u16_e32 v15, v12, v10
	v_lshlrev_b32_e32 v13, 16, v11
	v_add_u16_e32 v10, v12, v10
	v_or3_b32 v12, v13, v10, v8
	v_mov_b32_e32 v13, v11
	v_mov_b32_e32 v10, v15
.LBB590_223:
	s_or_b64 exec, exec, s[46:47]
	v_mov_b32_dpp v12, v12 row_bcast:31 row_mask:0xf bank_mask:0xf
	v_cmp_lt_u32_e64 s[42:43], 31, v9
	s_and_saveexec_b64 s[46:47], s[42:43]
; %bb.224:
	v_mov_b32_e32 v11, 0
	v_cmp_eq_u16_sdwa s[42:43], v13, v11 src0_sel:BYTE_0 src1_sel:DWORD
	v_cndmask_b32_e64 v11, 0, v12, s[42:43]
	v_add_u16_e32 v10, v11, v10
	v_and_b32_e32 v11, 1, v13
	v_mov_b32_e32 v13, 1
	v_and_b32_sdwa v12, v12, v13 dst_sel:DWORD dst_unused:UNUSED_PAD src0_sel:WORD_1 src1_sel:DWORD
	v_cmp_eq_u32_e64 s[42:43], 1, v11
	v_cndmask_b32_e64 v11, v12, 1, s[42:43]
; %bb.225:
	s_or_b64 exec, exec, s[46:47]
	v_and_b32_e32 v11, 0xff, v11
	v_lshlrev_b32_e32 v11, 16, v11
	v_and_b32_e32 v10, 0xffff, v10
	v_or3_b32 v8, v11, v10, v8
	v_add_u32_e32 v10, -1, v9
	v_and_b32_e32 v11, 64, v9
	v_cmp_lt_i32_e64 s[42:43], v10, v11
	v_cndmask_b32_e64 v9, v10, v9, s[42:43]
	v_lshlrev_b32_e32 v9, 2, v9
	ds_bpermute_b32 v8, v9, v8
	v_and_b32_e32 v9, 0xff0000, v6
	v_cmp_eq_u32_e64 s[42:43], 0, v9
	; wave barrier
	s_waitcnt lgkmcnt(0)
	v_cndmask_b32_e64 v9, 0, v8, s[42:43]
	v_add_u16_e32 v6, v9, v6
	v_mov_b32_e32 v9, 1
	v_and_b32_sdwa v8, v8, v9 dst_sel:DWORD dst_unused:UNUSED_PAD src0_sel:WORD_1 src1_sel:DWORD
	v_cmp_eq_u32_e64 s[42:43], 0, v7
	v_cndmask_b32_e64 v7, 1, v8, s[42:43]
	v_cmp_eq_u32_e64 s[42:43], 0, v0
	v_cndmask_b32_e64 v4, v6, v4, s[42:43]
	v_cndmask_b32_e64 v5, v7, v5, s[42:43]
	ds_write_b16 v3, v4
	ds_write_b8 v3, v5 offset:2
	; wave barrier
	ds_read_u16 v6, v3 offset:4
	ds_read_u8 v7, v3 offset:6
	ds_read_u16 v8, v3 offset:8
	ds_read_u8 v9, v3 offset:10
	;; [unrolled: 2-line block ×3, first 2 shown]
	s_waitcnt lgkmcnt(4)
	v_cmp_eq_u16_e64 s[42:43], 0, v7
	v_cndmask_b32_e64 v4, 0, v4, s[42:43]
	v_add_u16_e32 v4, v4, v6
	v_and_b32_e32 v6, 1, v7
	v_cmp_eq_u32_e64 s[42:43], 1, v6
	v_cndmask_b32_e64 v5, v5, 1, s[42:43]
	s_waitcnt lgkmcnt(2)
	v_cmp_eq_u16_e64 s[42:43], 0, v9
	v_and_b32_e32 v6, 1, v9
	ds_write_b16 v3, v4 offset:4
	ds_write_b8 v3, v5 offset:6
	v_cndmask_b32_e64 v4, 0, v4, s[42:43]
	v_cmp_eq_u32_e64 s[42:43], 1, v6
	v_add_u16_e32 v4, v4, v8
	v_cndmask_b32_e64 v5, v5, 1, s[42:43]
	s_waitcnt lgkmcnt(2)
	v_cmp_eq_u16_e64 s[42:43], 0, v11
	ds_write_b16 v3, v4 offset:8
	ds_write_b8 v3, v5 offset:10
	v_cndmask_b32_e64 v4, 0, v4, s[42:43]
	v_and_b32_e32 v6, 1, v11
	v_add_u16_e32 v4, v4, v10
	v_cmp_eq_u32_e64 s[42:43], 1, v6
	v_cndmask_b32_e64 v5, v5, 1, s[42:43]
	ds_write_b16 v3, v4 offset:12
	ds_write_b8 v3, v5 offset:14
.LBB590_226:
	s_or_b64 exec, exec, s[44:45]
	v_cmp_eq_u32_e64 s[42:43], 0, v0
	v_cmp_ne_u32_e64 s[44:45], 0, v0
	s_waitcnt vmcnt(0)
	v_mov_b32_e32 v4, v2
	s_waitcnt lgkmcnt(0)
	s_barrier
	s_and_saveexec_b64 s[46:47], s[44:45]
	s_cbranch_execz .LBB590_228
; %bb.227:
	v_add_u32_e32 v3, -1, v0
	v_lshrrev_b32_e32 v4, 5, v3
	v_add_lshl_u32 v3, v4, v3, 2
	ds_read_u8 v4, v3 offset:2
	ds_read_u16 v3, v3
	s_waitcnt lgkmcnt(1)
	v_cmp_eq_u16_e64 s[44:45], 0, v4
	v_cndmask_b32_e64 v4, 0, v2, s[44:45]
	s_waitcnt lgkmcnt(0)
	v_add_u16_e32 v4, v4, v3
.LBB590_228:
	s_or_b64 exec, exec, s[46:47]
	v_and_b32_e32 v3, 0xff0000, v1
	v_cmp_eq_u32_e64 s[44:45], 0, v3
	v_cndmask_b32_e64 v3, 0, v4, s[44:45]
	v_add_u16_e32 v5, v3, v1
	v_cndmask_b32_e32 v1, 0, v5, vcc
	v_add_u16_e32 v6, v1, v18
	v_cndmask_b32_e64 v1, 0, v6, s[2:3]
	v_add_u16_e32 v7, v1, v22
	v_cndmask_b32_e64 v1, 0, v7, s[4:5]
	;; [unrolled: 2-line block ×19, first 2 shown]
	s_and_saveexec_b64 s[2:3], s[42:43]
	s_cbranch_execz .LBB590_230
; %bb.229:
	v_mov_b32_e32 v12, 0
	ds_read_u8 v3, v12 offset:1050
	ds_read_u16 v13, v12 offset:1048
	s_waitcnt lgkmcnt(1)
	v_cmp_eq_u32_e32 vcc, 0, v3
	v_cndmask_b32_e32 v2, 0, v2, vcc
	v_lshlrev_b32_e32 v14, 16, v3
	s_waitcnt lgkmcnt(0)
	v_add_u32_e32 v2, v2, v13
	v_or_b32_sdwa v2, v14, v2 dst_sel:DWORD dst_unused:UNUSED_PAD src0_sel:DWORD src1_sel:WORD_0
	v_mov_b32_e32 v3, 2
	global_store_dwordx2 v12, v[2:3], s[52:53] offset:512
.LBB590_230:
	s_or_b64 exec, exec, s[2:3]
	v_add_u16_e32 v50, v1, v35
.LBB590_231:
	s_add_u32 s2, s50, s60
	s_addc_u32 s3, s51, s61
	s_add_u32 s4, s2, s62
	v_mul_u32_u24_e32 v1, 22, v0
	s_addc_u32 s5, s3, s63
	s_and_b64 vcc, exec, s[0:1]
	v_lshlrev_b32_e32 v12, 1, v1
	s_cbranch_vccz .LBB590_275
; %bb.232:
	s_mov_b32 s0, 0x5040100
	v_perm_b32 v1, v7, v6, s0
	v_perm_b32 v2, v5, v4, s0
	s_barrier
	ds_write2_b32 v12, v2, v1 offset1:1
	v_perm_b32 v1, v11, v10, s0
	v_perm_b32 v2, v9, v8, s0
	ds_write2_b32 v12, v2, v1 offset0:2 offset1:3
	v_perm_b32 v1, v40, v39, s0
	v_perm_b32 v2, v38, v37, s0
	ds_write2_b32 v12, v2, v1 offset0:4 offset1:5
	;; [unrolled: 3-line block ×4, first 2 shown]
	v_perm_b32 v1, v50, v49, s0
	s_movk_i32 s0, 0xffd6
	v_mad_i32_i24 v2, v0, s0, v12
	ds_write_b32 v12, v1 offset:40
	s_waitcnt lgkmcnt(0)
	s_barrier
	ds_read_u16 v33, v2 offset:512
	ds_read_u16 v32, v2 offset:1024
	;; [unrolled: 1-line block ×21, first 2 shown]
	v_mov_b32_e32 v3, s5
	v_add_co_u32_e32 v2, vcc, s4, v36
	s_add_i32 s33, s33, s54
	v_addc_co_u32_e32 v3, vcc, 0, v3, vcc
	v_mov_b32_e32 v1, 0
	v_cmp_gt_u32_e32 vcc, s33, v0
	s_and_saveexec_b64 s[0:1], vcc
	s_cbranch_execz .LBB590_234
; %bb.233:
	v_mul_i32_i24_e32 v34, 0xffffffd6, v0
	v_add_u32_e32 v34, v12, v34
	ds_read_u16 v34, v34
	s_waitcnt lgkmcnt(0)
	flat_store_short v[2:3], v34
.LBB590_234:
	s_or_b64 exec, exec, s[0:1]
	v_or_b32_e32 v34, 0x100, v0
	v_cmp_gt_u32_e32 vcc, s33, v34
	s_and_saveexec_b64 s[0:1], vcc
	s_cbranch_execz .LBB590_236
; %bb.235:
	s_waitcnt lgkmcnt(0)
	flat_store_short v[2:3], v33 offset:512
.LBB590_236:
	s_or_b64 exec, exec, s[0:1]
	s_waitcnt lgkmcnt(0)
	v_or_b32_e32 v33, 0x200, v0
	v_cmp_gt_u32_e32 vcc, s33, v33
	s_and_saveexec_b64 s[0:1], vcc
	s_cbranch_execz .LBB590_238
; %bb.237:
	flat_store_short v[2:3], v32 offset:1024
.LBB590_238:
	s_or_b64 exec, exec, s[0:1]
	v_or_b32_e32 v32, 0x300, v0
	v_cmp_gt_u32_e32 vcc, s33, v32
	s_and_saveexec_b64 s[0:1], vcc
	s_cbranch_execz .LBB590_240
; %bb.239:
	flat_store_short v[2:3], v31 offset:1536
.LBB590_240:
	s_or_b64 exec, exec, s[0:1]
	;; [unrolled: 8-line block ×6, first 2 shown]
	v_or_b32_e32 v27, 0x800, v0
	v_cmp_gt_u32_e32 vcc, s33, v27
	s_and_saveexec_b64 s[0:1], vcc
	s_cbranch_execz .LBB590_250
; %bb.249:
	v_add_co_u32_e32 v28, vcc, 0x1000, v2
	v_addc_co_u32_e32 v29, vcc, 0, v3, vcc
	flat_store_short v[28:29], v26
.LBB590_250:
	s_or_b64 exec, exec, s[0:1]
	v_or_b32_e32 v26, 0x900, v0
	v_cmp_gt_u32_e32 vcc, s33, v26
	s_and_saveexec_b64 s[0:1], vcc
	s_cbranch_execz .LBB590_252
; %bb.251:
	v_add_co_u32_e32 v26, vcc, 0x1000, v2
	v_addc_co_u32_e32 v27, vcc, 0, v3, vcc
	flat_store_short v[26:27], v25 offset:512
.LBB590_252:
	s_or_b64 exec, exec, s[0:1]
	v_or_b32_e32 v25, 0xa00, v0
	v_cmp_gt_u32_e32 vcc, s33, v25
	s_and_saveexec_b64 s[0:1], vcc
	s_cbranch_execz .LBB590_254
; %bb.253:
	v_add_co_u32_e32 v26, vcc, 0x1000, v2
	v_addc_co_u32_e32 v27, vcc, 0, v3, vcc
	flat_store_short v[26:27], v24 offset:1024
.LBB590_254:
	;; [unrolled: 10-line block ×7, first 2 shown]
	s_or_b64 exec, exec, s[0:1]
	v_or_b32_e32 v19, 0x1000, v0
	v_cmp_gt_u32_e32 vcc, s33, v19
	s_and_saveexec_b64 s[0:1], vcc
	s_cbranch_execz .LBB590_266
; %bb.265:
	v_add_co_u32_e32 v20, vcc, 0x2000, v2
	v_addc_co_u32_e32 v21, vcc, 0, v3, vcc
	flat_store_short v[20:21], v18
.LBB590_266:
	s_or_b64 exec, exec, s[0:1]
	v_or_b32_e32 v18, 0x1100, v0
	v_cmp_gt_u32_e32 vcc, s33, v18
	s_and_saveexec_b64 s[0:1], vcc
	s_cbranch_execz .LBB590_268
; %bb.267:
	v_add_co_u32_e32 v18, vcc, 0x2000, v2
	v_addc_co_u32_e32 v19, vcc, 0, v3, vcc
	flat_store_short v[18:19], v17 offset:512
.LBB590_268:
	s_or_b64 exec, exec, s[0:1]
	v_or_b32_e32 v17, 0x1200, v0
	v_cmp_gt_u32_e32 vcc, s33, v17
	s_and_saveexec_b64 s[0:1], vcc
	s_cbranch_execz .LBB590_270
; %bb.269:
	v_add_co_u32_e32 v18, vcc, 0x2000, v2
	v_addc_co_u32_e32 v19, vcc, 0, v3, vcc
	flat_store_short v[18:19], v16 offset:1024
.LBB590_270:
	;; [unrolled: 10-line block ×4, first 2 shown]
	s_or_b64 exec, exec, s[0:1]
	v_or_b32_e32 v2, 0x1500, v0
	v_cmp_gt_u32_e64 s[0:1], s33, v2
	s_branch .LBB590_277
.LBB590_275:
	s_mov_b64 s[0:1], 0
                                        ; implicit-def: $vgpr13
	s_cbranch_execz .LBB590_277
; %bb.276:
	s_mov_b32 s2, 0x5040100
	v_perm_b32 v1, v7, v6, s2
	v_perm_b32 v2, v5, v4, s2
	s_waitcnt lgkmcnt(0)
	s_barrier
	ds_write2_b32 v12, v2, v1 offset1:1
	v_perm_b32 v1, v11, v10, s2
	v_perm_b32 v2, v9, v8, s2
	ds_write2_b32 v12, v2, v1 offset0:2 offset1:3
	v_perm_b32 v1, v40, v39, s2
	v_perm_b32 v2, v38, v37, s2
	ds_write2_b32 v12, v2, v1 offset0:4 offset1:5
	;; [unrolled: 3-line block ×4, first 2 shown]
	v_perm_b32 v1, v50, v49, s2
	s_movk_i32 s2, 0xffd6
	v_mad_i32_i24 v2, v0, s2, v12
	ds_write_b32 v12, v1 offset:40
	s_waitcnt lgkmcnt(0)
	s_barrier
	ds_read_u16 v4, v2
	ds_read_u16 v5, v2 offset:512
	ds_read_u16 v6, v2 offset:1024
	ds_read_u16 v7, v2 offset:1536
	ds_read_u16 v8, v2 offset:2048
	ds_read_u16 v9, v2 offset:2560
	ds_read_u16 v10, v2 offset:3072
	ds_read_u16 v11, v2 offset:3584
	ds_read_u16 v12, v2 offset:4096
	ds_read_u16 v14, v2 offset:4608
	ds_read_u16 v15, v2 offset:5120
	ds_read_u16 v16, v2 offset:5632
	ds_read_u16 v17, v2 offset:6144
	ds_read_u16 v18, v2 offset:6656
	ds_read_u16 v19, v2 offset:7168
	ds_read_u16 v20, v2 offset:7680
	ds_read_u16 v21, v2 offset:8192
	ds_read_u16 v22, v2 offset:8704
	ds_read_u16 v23, v2 offset:9216
	ds_read_u16 v24, v2 offset:9728
	ds_read_u16 v25, v2 offset:10240
	ds_read_u16 v13, v2 offset:10752
	v_mov_b32_e32 v3, s5
	v_add_co_u32_e32 v2, vcc, s4, v36
	v_addc_co_u32_e32 v3, vcc, 0, v3, vcc
	s_movk_i32 s2, 0x1000
	s_waitcnt lgkmcnt(0)
	flat_store_short v[2:3], v4
	flat_store_short v[2:3], v5 offset:512
	flat_store_short v[2:3], v6 offset:1024
	;; [unrolled: 1-line block ×7, first 2 shown]
	v_add_co_u32_e32 v4, vcc, s2, v2
	v_addc_co_u32_e32 v5, vcc, 0, v3, vcc
	v_add_co_u32_e32 v2, vcc, 0x2000, v2
	v_mov_b32_e32 v1, 0
	v_addc_co_u32_e32 v3, vcc, 0, v3, vcc
	s_or_b64 s[0:1], s[0:1], exec
	flat_store_short v[4:5], v12
	flat_store_short v[4:5], v14 offset:512
	flat_store_short v[4:5], v15 offset:1024
	;; [unrolled: 1-line block ×7, first 2 shown]
	flat_store_short v[2:3], v21
	flat_store_short v[2:3], v22 offset:512
	flat_store_short v[2:3], v23 offset:1024
	;; [unrolled: 1-line block ×4, first 2 shown]
.LBB590_277:
	s_and_saveexec_b64 s[2:3], s[0:1]
	s_cbranch_execz .LBB590_279
; %bb.278:
	v_lshlrev_b64 v[0:1], 1, v[0:1]
	v_mov_b32_e32 v2, s5
	v_add_co_u32_e32 v0, vcc, s4, v0
	v_addc_co_u32_e32 v1, vcc, v2, v1, vcc
	v_add_co_u32_e32 v0, vcc, 0x2000, v0
	v_addc_co_u32_e32 v1, vcc, 0, v1, vcc
	flat_store_short v[0:1], v13 offset:2560
	s_endpgm
.LBB590_279:
	s_endpgm
	.section	.rodata,"a",@progbits
	.p2align	6, 0x0
	.amdhsa_kernel _ZN7rocprim17ROCPRIM_400000_NS6detail17trampoline_kernelINS0_14default_configENS1_27scan_by_key_config_selectorIssEEZZNS1_16scan_by_key_implILNS1_25lookback_scan_determinismE0ELb1ES3_N6thrust23THRUST_200600_302600_NS6detail15normal_iteratorINS9_10device_ptrIsEEEESE_SE_sNS9_4plusIvEENS9_8equal_toIvEEsEE10hipError_tPvRmT2_T3_T4_T5_mT6_T7_P12ihipStream_tbENKUlT_T0_E_clISt17integral_constantIbLb1EESY_IbLb0EEEEDaSU_SV_EUlSU_E_NS1_11comp_targetILNS1_3genE4ELNS1_11target_archE910ELNS1_3gpuE8ELNS1_3repE0EEENS1_30default_config_static_selectorELNS0_4arch9wavefront6targetE1EEEvT1_
		.amdhsa_group_segment_fixed_size 12288
		.amdhsa_private_segment_fixed_size 0
		.amdhsa_kernarg_size 112
		.amdhsa_user_sgpr_count 6
		.amdhsa_user_sgpr_private_segment_buffer 1
		.amdhsa_user_sgpr_dispatch_ptr 0
		.amdhsa_user_sgpr_queue_ptr 0
		.amdhsa_user_sgpr_kernarg_segment_ptr 1
		.amdhsa_user_sgpr_dispatch_id 0
		.amdhsa_user_sgpr_flat_scratch_init 0
		.amdhsa_user_sgpr_kernarg_preload_length 0
		.amdhsa_user_sgpr_kernarg_preload_offset 0
		.amdhsa_user_sgpr_private_segment_size 0
		.amdhsa_uses_dynamic_stack 0
		.amdhsa_system_sgpr_private_segment_wavefront_offset 0
		.amdhsa_system_sgpr_workgroup_id_x 1
		.amdhsa_system_sgpr_workgroup_id_y 0
		.amdhsa_system_sgpr_workgroup_id_z 0
		.amdhsa_system_sgpr_workgroup_info 0
		.amdhsa_system_vgpr_workitem_id 0
		.amdhsa_next_free_vgpr 58
		.amdhsa_next_free_sgpr 75
		.amdhsa_accum_offset 60
		.amdhsa_reserve_vcc 1
		.amdhsa_reserve_flat_scratch 0
		.amdhsa_float_round_mode_32 0
		.amdhsa_float_round_mode_16_64 0
		.amdhsa_float_denorm_mode_32 3
		.amdhsa_float_denorm_mode_16_64 3
		.amdhsa_dx10_clamp 1
		.amdhsa_ieee_mode 1
		.amdhsa_fp16_overflow 0
		.amdhsa_tg_split 0
		.amdhsa_exception_fp_ieee_invalid_op 0
		.amdhsa_exception_fp_denorm_src 0
		.amdhsa_exception_fp_ieee_div_zero 0
		.amdhsa_exception_fp_ieee_overflow 0
		.amdhsa_exception_fp_ieee_underflow 0
		.amdhsa_exception_fp_ieee_inexact 0
		.amdhsa_exception_int_div_zero 0
	.end_amdhsa_kernel
	.section	.text._ZN7rocprim17ROCPRIM_400000_NS6detail17trampoline_kernelINS0_14default_configENS1_27scan_by_key_config_selectorIssEEZZNS1_16scan_by_key_implILNS1_25lookback_scan_determinismE0ELb1ES3_N6thrust23THRUST_200600_302600_NS6detail15normal_iteratorINS9_10device_ptrIsEEEESE_SE_sNS9_4plusIvEENS9_8equal_toIvEEsEE10hipError_tPvRmT2_T3_T4_T5_mT6_T7_P12ihipStream_tbENKUlT_T0_E_clISt17integral_constantIbLb1EESY_IbLb0EEEEDaSU_SV_EUlSU_E_NS1_11comp_targetILNS1_3genE4ELNS1_11target_archE910ELNS1_3gpuE8ELNS1_3repE0EEENS1_30default_config_static_selectorELNS0_4arch9wavefront6targetE1EEEvT1_,"axG",@progbits,_ZN7rocprim17ROCPRIM_400000_NS6detail17trampoline_kernelINS0_14default_configENS1_27scan_by_key_config_selectorIssEEZZNS1_16scan_by_key_implILNS1_25lookback_scan_determinismE0ELb1ES3_N6thrust23THRUST_200600_302600_NS6detail15normal_iteratorINS9_10device_ptrIsEEEESE_SE_sNS9_4plusIvEENS9_8equal_toIvEEsEE10hipError_tPvRmT2_T3_T4_T5_mT6_T7_P12ihipStream_tbENKUlT_T0_E_clISt17integral_constantIbLb1EESY_IbLb0EEEEDaSU_SV_EUlSU_E_NS1_11comp_targetILNS1_3genE4ELNS1_11target_archE910ELNS1_3gpuE8ELNS1_3repE0EEENS1_30default_config_static_selectorELNS0_4arch9wavefront6targetE1EEEvT1_,comdat
.Lfunc_end590:
	.size	_ZN7rocprim17ROCPRIM_400000_NS6detail17trampoline_kernelINS0_14default_configENS1_27scan_by_key_config_selectorIssEEZZNS1_16scan_by_key_implILNS1_25lookback_scan_determinismE0ELb1ES3_N6thrust23THRUST_200600_302600_NS6detail15normal_iteratorINS9_10device_ptrIsEEEESE_SE_sNS9_4plusIvEENS9_8equal_toIvEEsEE10hipError_tPvRmT2_T3_T4_T5_mT6_T7_P12ihipStream_tbENKUlT_T0_E_clISt17integral_constantIbLb1EESY_IbLb0EEEEDaSU_SV_EUlSU_E_NS1_11comp_targetILNS1_3genE4ELNS1_11target_archE910ELNS1_3gpuE8ELNS1_3repE0EEENS1_30default_config_static_selectorELNS0_4arch9wavefront6targetE1EEEvT1_, .Lfunc_end590-_ZN7rocprim17ROCPRIM_400000_NS6detail17trampoline_kernelINS0_14default_configENS1_27scan_by_key_config_selectorIssEEZZNS1_16scan_by_key_implILNS1_25lookback_scan_determinismE0ELb1ES3_N6thrust23THRUST_200600_302600_NS6detail15normal_iteratorINS9_10device_ptrIsEEEESE_SE_sNS9_4plusIvEENS9_8equal_toIvEEsEE10hipError_tPvRmT2_T3_T4_T5_mT6_T7_P12ihipStream_tbENKUlT_T0_E_clISt17integral_constantIbLb1EESY_IbLb0EEEEDaSU_SV_EUlSU_E_NS1_11comp_targetILNS1_3genE4ELNS1_11target_archE910ELNS1_3gpuE8ELNS1_3repE0EEENS1_30default_config_static_selectorELNS0_4arch9wavefront6targetE1EEEvT1_
                                        ; -- End function
	.section	.AMDGPU.csdata,"",@progbits
; Kernel info:
; codeLenInByte = 16336
; NumSgprs: 79
; NumVgprs: 58
; NumAgprs: 0
; TotalNumVgprs: 58
; ScratchSize: 0
; MemoryBound: 0
; FloatMode: 240
; IeeeMode: 1
; LDSByteSize: 12288 bytes/workgroup (compile time only)
; SGPRBlocks: 9
; VGPRBlocks: 7
; NumSGPRsForWavesPerEU: 79
; NumVGPRsForWavesPerEU: 58
; AccumOffset: 60
; Occupancy: 5
; WaveLimiterHint : 1
; COMPUTE_PGM_RSRC2:SCRATCH_EN: 0
; COMPUTE_PGM_RSRC2:USER_SGPR: 6
; COMPUTE_PGM_RSRC2:TRAP_HANDLER: 0
; COMPUTE_PGM_RSRC2:TGID_X_EN: 1
; COMPUTE_PGM_RSRC2:TGID_Y_EN: 0
; COMPUTE_PGM_RSRC2:TGID_Z_EN: 0
; COMPUTE_PGM_RSRC2:TIDIG_COMP_CNT: 0
; COMPUTE_PGM_RSRC3_GFX90A:ACCUM_OFFSET: 14
; COMPUTE_PGM_RSRC3_GFX90A:TG_SPLIT: 0
	.section	.text._ZN7rocprim17ROCPRIM_400000_NS6detail17trampoline_kernelINS0_14default_configENS1_27scan_by_key_config_selectorIssEEZZNS1_16scan_by_key_implILNS1_25lookback_scan_determinismE0ELb1ES3_N6thrust23THRUST_200600_302600_NS6detail15normal_iteratorINS9_10device_ptrIsEEEESE_SE_sNS9_4plusIvEENS9_8equal_toIvEEsEE10hipError_tPvRmT2_T3_T4_T5_mT6_T7_P12ihipStream_tbENKUlT_T0_E_clISt17integral_constantIbLb1EESY_IbLb0EEEEDaSU_SV_EUlSU_E_NS1_11comp_targetILNS1_3genE3ELNS1_11target_archE908ELNS1_3gpuE7ELNS1_3repE0EEENS1_30default_config_static_selectorELNS0_4arch9wavefront6targetE1EEEvT1_,"axG",@progbits,_ZN7rocprim17ROCPRIM_400000_NS6detail17trampoline_kernelINS0_14default_configENS1_27scan_by_key_config_selectorIssEEZZNS1_16scan_by_key_implILNS1_25lookback_scan_determinismE0ELb1ES3_N6thrust23THRUST_200600_302600_NS6detail15normal_iteratorINS9_10device_ptrIsEEEESE_SE_sNS9_4plusIvEENS9_8equal_toIvEEsEE10hipError_tPvRmT2_T3_T4_T5_mT6_T7_P12ihipStream_tbENKUlT_T0_E_clISt17integral_constantIbLb1EESY_IbLb0EEEEDaSU_SV_EUlSU_E_NS1_11comp_targetILNS1_3genE3ELNS1_11target_archE908ELNS1_3gpuE7ELNS1_3repE0EEENS1_30default_config_static_selectorELNS0_4arch9wavefront6targetE1EEEvT1_,comdat
	.protected	_ZN7rocprim17ROCPRIM_400000_NS6detail17trampoline_kernelINS0_14default_configENS1_27scan_by_key_config_selectorIssEEZZNS1_16scan_by_key_implILNS1_25lookback_scan_determinismE0ELb1ES3_N6thrust23THRUST_200600_302600_NS6detail15normal_iteratorINS9_10device_ptrIsEEEESE_SE_sNS9_4plusIvEENS9_8equal_toIvEEsEE10hipError_tPvRmT2_T3_T4_T5_mT6_T7_P12ihipStream_tbENKUlT_T0_E_clISt17integral_constantIbLb1EESY_IbLb0EEEEDaSU_SV_EUlSU_E_NS1_11comp_targetILNS1_3genE3ELNS1_11target_archE908ELNS1_3gpuE7ELNS1_3repE0EEENS1_30default_config_static_selectorELNS0_4arch9wavefront6targetE1EEEvT1_ ; -- Begin function _ZN7rocprim17ROCPRIM_400000_NS6detail17trampoline_kernelINS0_14default_configENS1_27scan_by_key_config_selectorIssEEZZNS1_16scan_by_key_implILNS1_25lookback_scan_determinismE0ELb1ES3_N6thrust23THRUST_200600_302600_NS6detail15normal_iteratorINS9_10device_ptrIsEEEESE_SE_sNS9_4plusIvEENS9_8equal_toIvEEsEE10hipError_tPvRmT2_T3_T4_T5_mT6_T7_P12ihipStream_tbENKUlT_T0_E_clISt17integral_constantIbLb1EESY_IbLb0EEEEDaSU_SV_EUlSU_E_NS1_11comp_targetILNS1_3genE3ELNS1_11target_archE908ELNS1_3gpuE7ELNS1_3repE0EEENS1_30default_config_static_selectorELNS0_4arch9wavefront6targetE1EEEvT1_
	.globl	_ZN7rocprim17ROCPRIM_400000_NS6detail17trampoline_kernelINS0_14default_configENS1_27scan_by_key_config_selectorIssEEZZNS1_16scan_by_key_implILNS1_25lookback_scan_determinismE0ELb1ES3_N6thrust23THRUST_200600_302600_NS6detail15normal_iteratorINS9_10device_ptrIsEEEESE_SE_sNS9_4plusIvEENS9_8equal_toIvEEsEE10hipError_tPvRmT2_T3_T4_T5_mT6_T7_P12ihipStream_tbENKUlT_T0_E_clISt17integral_constantIbLb1EESY_IbLb0EEEEDaSU_SV_EUlSU_E_NS1_11comp_targetILNS1_3genE3ELNS1_11target_archE908ELNS1_3gpuE7ELNS1_3repE0EEENS1_30default_config_static_selectorELNS0_4arch9wavefront6targetE1EEEvT1_
	.p2align	8
	.type	_ZN7rocprim17ROCPRIM_400000_NS6detail17trampoline_kernelINS0_14default_configENS1_27scan_by_key_config_selectorIssEEZZNS1_16scan_by_key_implILNS1_25lookback_scan_determinismE0ELb1ES3_N6thrust23THRUST_200600_302600_NS6detail15normal_iteratorINS9_10device_ptrIsEEEESE_SE_sNS9_4plusIvEENS9_8equal_toIvEEsEE10hipError_tPvRmT2_T3_T4_T5_mT6_T7_P12ihipStream_tbENKUlT_T0_E_clISt17integral_constantIbLb1EESY_IbLb0EEEEDaSU_SV_EUlSU_E_NS1_11comp_targetILNS1_3genE3ELNS1_11target_archE908ELNS1_3gpuE7ELNS1_3repE0EEENS1_30default_config_static_selectorELNS0_4arch9wavefront6targetE1EEEvT1_,@function
_ZN7rocprim17ROCPRIM_400000_NS6detail17trampoline_kernelINS0_14default_configENS1_27scan_by_key_config_selectorIssEEZZNS1_16scan_by_key_implILNS1_25lookback_scan_determinismE0ELb1ES3_N6thrust23THRUST_200600_302600_NS6detail15normal_iteratorINS9_10device_ptrIsEEEESE_SE_sNS9_4plusIvEENS9_8equal_toIvEEsEE10hipError_tPvRmT2_T3_T4_T5_mT6_T7_P12ihipStream_tbENKUlT_T0_E_clISt17integral_constantIbLb1EESY_IbLb0EEEEDaSU_SV_EUlSU_E_NS1_11comp_targetILNS1_3genE3ELNS1_11target_archE908ELNS1_3gpuE7ELNS1_3repE0EEENS1_30default_config_static_selectorELNS0_4arch9wavefront6targetE1EEEvT1_: ; @_ZN7rocprim17ROCPRIM_400000_NS6detail17trampoline_kernelINS0_14default_configENS1_27scan_by_key_config_selectorIssEEZZNS1_16scan_by_key_implILNS1_25lookback_scan_determinismE0ELb1ES3_N6thrust23THRUST_200600_302600_NS6detail15normal_iteratorINS9_10device_ptrIsEEEESE_SE_sNS9_4plusIvEENS9_8equal_toIvEEsEE10hipError_tPvRmT2_T3_T4_T5_mT6_T7_P12ihipStream_tbENKUlT_T0_E_clISt17integral_constantIbLb1EESY_IbLb0EEEEDaSU_SV_EUlSU_E_NS1_11comp_targetILNS1_3genE3ELNS1_11target_archE908ELNS1_3gpuE7ELNS1_3repE0EEENS1_30default_config_static_selectorELNS0_4arch9wavefront6targetE1EEEvT1_
; %bb.0:
	.section	.rodata,"a",@progbits
	.p2align	6, 0x0
	.amdhsa_kernel _ZN7rocprim17ROCPRIM_400000_NS6detail17trampoline_kernelINS0_14default_configENS1_27scan_by_key_config_selectorIssEEZZNS1_16scan_by_key_implILNS1_25lookback_scan_determinismE0ELb1ES3_N6thrust23THRUST_200600_302600_NS6detail15normal_iteratorINS9_10device_ptrIsEEEESE_SE_sNS9_4plusIvEENS9_8equal_toIvEEsEE10hipError_tPvRmT2_T3_T4_T5_mT6_T7_P12ihipStream_tbENKUlT_T0_E_clISt17integral_constantIbLb1EESY_IbLb0EEEEDaSU_SV_EUlSU_E_NS1_11comp_targetILNS1_3genE3ELNS1_11target_archE908ELNS1_3gpuE7ELNS1_3repE0EEENS1_30default_config_static_selectorELNS0_4arch9wavefront6targetE1EEEvT1_
		.amdhsa_group_segment_fixed_size 0
		.amdhsa_private_segment_fixed_size 0
		.amdhsa_kernarg_size 112
		.amdhsa_user_sgpr_count 6
		.amdhsa_user_sgpr_private_segment_buffer 1
		.amdhsa_user_sgpr_dispatch_ptr 0
		.amdhsa_user_sgpr_queue_ptr 0
		.amdhsa_user_sgpr_kernarg_segment_ptr 1
		.amdhsa_user_sgpr_dispatch_id 0
		.amdhsa_user_sgpr_flat_scratch_init 0
		.amdhsa_user_sgpr_kernarg_preload_length 0
		.amdhsa_user_sgpr_kernarg_preload_offset 0
		.amdhsa_user_sgpr_private_segment_size 0
		.amdhsa_uses_dynamic_stack 0
		.amdhsa_system_sgpr_private_segment_wavefront_offset 0
		.amdhsa_system_sgpr_workgroup_id_x 1
		.amdhsa_system_sgpr_workgroup_id_y 0
		.amdhsa_system_sgpr_workgroup_id_z 0
		.amdhsa_system_sgpr_workgroup_info 0
		.amdhsa_system_vgpr_workitem_id 0
		.amdhsa_next_free_vgpr 1
		.amdhsa_next_free_sgpr 0
		.amdhsa_accum_offset 4
		.amdhsa_reserve_vcc 0
		.amdhsa_reserve_flat_scratch 0
		.amdhsa_float_round_mode_32 0
		.amdhsa_float_round_mode_16_64 0
		.amdhsa_float_denorm_mode_32 3
		.amdhsa_float_denorm_mode_16_64 3
		.amdhsa_dx10_clamp 1
		.amdhsa_ieee_mode 1
		.amdhsa_fp16_overflow 0
		.amdhsa_tg_split 0
		.amdhsa_exception_fp_ieee_invalid_op 0
		.amdhsa_exception_fp_denorm_src 0
		.amdhsa_exception_fp_ieee_div_zero 0
		.amdhsa_exception_fp_ieee_overflow 0
		.amdhsa_exception_fp_ieee_underflow 0
		.amdhsa_exception_fp_ieee_inexact 0
		.amdhsa_exception_int_div_zero 0
	.end_amdhsa_kernel
	.section	.text._ZN7rocprim17ROCPRIM_400000_NS6detail17trampoline_kernelINS0_14default_configENS1_27scan_by_key_config_selectorIssEEZZNS1_16scan_by_key_implILNS1_25lookback_scan_determinismE0ELb1ES3_N6thrust23THRUST_200600_302600_NS6detail15normal_iteratorINS9_10device_ptrIsEEEESE_SE_sNS9_4plusIvEENS9_8equal_toIvEEsEE10hipError_tPvRmT2_T3_T4_T5_mT6_T7_P12ihipStream_tbENKUlT_T0_E_clISt17integral_constantIbLb1EESY_IbLb0EEEEDaSU_SV_EUlSU_E_NS1_11comp_targetILNS1_3genE3ELNS1_11target_archE908ELNS1_3gpuE7ELNS1_3repE0EEENS1_30default_config_static_selectorELNS0_4arch9wavefront6targetE1EEEvT1_,"axG",@progbits,_ZN7rocprim17ROCPRIM_400000_NS6detail17trampoline_kernelINS0_14default_configENS1_27scan_by_key_config_selectorIssEEZZNS1_16scan_by_key_implILNS1_25lookback_scan_determinismE0ELb1ES3_N6thrust23THRUST_200600_302600_NS6detail15normal_iteratorINS9_10device_ptrIsEEEESE_SE_sNS9_4plusIvEENS9_8equal_toIvEEsEE10hipError_tPvRmT2_T3_T4_T5_mT6_T7_P12ihipStream_tbENKUlT_T0_E_clISt17integral_constantIbLb1EESY_IbLb0EEEEDaSU_SV_EUlSU_E_NS1_11comp_targetILNS1_3genE3ELNS1_11target_archE908ELNS1_3gpuE7ELNS1_3repE0EEENS1_30default_config_static_selectorELNS0_4arch9wavefront6targetE1EEEvT1_,comdat
.Lfunc_end591:
	.size	_ZN7rocprim17ROCPRIM_400000_NS6detail17trampoline_kernelINS0_14default_configENS1_27scan_by_key_config_selectorIssEEZZNS1_16scan_by_key_implILNS1_25lookback_scan_determinismE0ELb1ES3_N6thrust23THRUST_200600_302600_NS6detail15normal_iteratorINS9_10device_ptrIsEEEESE_SE_sNS9_4plusIvEENS9_8equal_toIvEEsEE10hipError_tPvRmT2_T3_T4_T5_mT6_T7_P12ihipStream_tbENKUlT_T0_E_clISt17integral_constantIbLb1EESY_IbLb0EEEEDaSU_SV_EUlSU_E_NS1_11comp_targetILNS1_3genE3ELNS1_11target_archE908ELNS1_3gpuE7ELNS1_3repE0EEENS1_30default_config_static_selectorELNS0_4arch9wavefront6targetE1EEEvT1_, .Lfunc_end591-_ZN7rocprim17ROCPRIM_400000_NS6detail17trampoline_kernelINS0_14default_configENS1_27scan_by_key_config_selectorIssEEZZNS1_16scan_by_key_implILNS1_25lookback_scan_determinismE0ELb1ES3_N6thrust23THRUST_200600_302600_NS6detail15normal_iteratorINS9_10device_ptrIsEEEESE_SE_sNS9_4plusIvEENS9_8equal_toIvEEsEE10hipError_tPvRmT2_T3_T4_T5_mT6_T7_P12ihipStream_tbENKUlT_T0_E_clISt17integral_constantIbLb1EESY_IbLb0EEEEDaSU_SV_EUlSU_E_NS1_11comp_targetILNS1_3genE3ELNS1_11target_archE908ELNS1_3gpuE7ELNS1_3repE0EEENS1_30default_config_static_selectorELNS0_4arch9wavefront6targetE1EEEvT1_
                                        ; -- End function
	.section	.AMDGPU.csdata,"",@progbits
; Kernel info:
; codeLenInByte = 0
; NumSgprs: 4
; NumVgprs: 0
; NumAgprs: 0
; TotalNumVgprs: 0
; ScratchSize: 0
; MemoryBound: 0
; FloatMode: 240
; IeeeMode: 1
; LDSByteSize: 0 bytes/workgroup (compile time only)
; SGPRBlocks: 0
; VGPRBlocks: 0
; NumSGPRsForWavesPerEU: 4
; NumVGPRsForWavesPerEU: 1
; AccumOffset: 4
; Occupancy: 8
; WaveLimiterHint : 0
; COMPUTE_PGM_RSRC2:SCRATCH_EN: 0
; COMPUTE_PGM_RSRC2:USER_SGPR: 6
; COMPUTE_PGM_RSRC2:TRAP_HANDLER: 0
; COMPUTE_PGM_RSRC2:TGID_X_EN: 1
; COMPUTE_PGM_RSRC2:TGID_Y_EN: 0
; COMPUTE_PGM_RSRC2:TGID_Z_EN: 0
; COMPUTE_PGM_RSRC2:TIDIG_COMP_CNT: 0
; COMPUTE_PGM_RSRC3_GFX90A:ACCUM_OFFSET: 0
; COMPUTE_PGM_RSRC3_GFX90A:TG_SPLIT: 0
	.section	.text._ZN7rocprim17ROCPRIM_400000_NS6detail17trampoline_kernelINS0_14default_configENS1_27scan_by_key_config_selectorIssEEZZNS1_16scan_by_key_implILNS1_25lookback_scan_determinismE0ELb1ES3_N6thrust23THRUST_200600_302600_NS6detail15normal_iteratorINS9_10device_ptrIsEEEESE_SE_sNS9_4plusIvEENS9_8equal_toIvEEsEE10hipError_tPvRmT2_T3_T4_T5_mT6_T7_P12ihipStream_tbENKUlT_T0_E_clISt17integral_constantIbLb1EESY_IbLb0EEEEDaSU_SV_EUlSU_E_NS1_11comp_targetILNS1_3genE2ELNS1_11target_archE906ELNS1_3gpuE6ELNS1_3repE0EEENS1_30default_config_static_selectorELNS0_4arch9wavefront6targetE1EEEvT1_,"axG",@progbits,_ZN7rocprim17ROCPRIM_400000_NS6detail17trampoline_kernelINS0_14default_configENS1_27scan_by_key_config_selectorIssEEZZNS1_16scan_by_key_implILNS1_25lookback_scan_determinismE0ELb1ES3_N6thrust23THRUST_200600_302600_NS6detail15normal_iteratorINS9_10device_ptrIsEEEESE_SE_sNS9_4plusIvEENS9_8equal_toIvEEsEE10hipError_tPvRmT2_T3_T4_T5_mT6_T7_P12ihipStream_tbENKUlT_T0_E_clISt17integral_constantIbLb1EESY_IbLb0EEEEDaSU_SV_EUlSU_E_NS1_11comp_targetILNS1_3genE2ELNS1_11target_archE906ELNS1_3gpuE6ELNS1_3repE0EEENS1_30default_config_static_selectorELNS0_4arch9wavefront6targetE1EEEvT1_,comdat
	.protected	_ZN7rocprim17ROCPRIM_400000_NS6detail17trampoline_kernelINS0_14default_configENS1_27scan_by_key_config_selectorIssEEZZNS1_16scan_by_key_implILNS1_25lookback_scan_determinismE0ELb1ES3_N6thrust23THRUST_200600_302600_NS6detail15normal_iteratorINS9_10device_ptrIsEEEESE_SE_sNS9_4plusIvEENS9_8equal_toIvEEsEE10hipError_tPvRmT2_T3_T4_T5_mT6_T7_P12ihipStream_tbENKUlT_T0_E_clISt17integral_constantIbLb1EESY_IbLb0EEEEDaSU_SV_EUlSU_E_NS1_11comp_targetILNS1_3genE2ELNS1_11target_archE906ELNS1_3gpuE6ELNS1_3repE0EEENS1_30default_config_static_selectorELNS0_4arch9wavefront6targetE1EEEvT1_ ; -- Begin function _ZN7rocprim17ROCPRIM_400000_NS6detail17trampoline_kernelINS0_14default_configENS1_27scan_by_key_config_selectorIssEEZZNS1_16scan_by_key_implILNS1_25lookback_scan_determinismE0ELb1ES3_N6thrust23THRUST_200600_302600_NS6detail15normal_iteratorINS9_10device_ptrIsEEEESE_SE_sNS9_4plusIvEENS9_8equal_toIvEEsEE10hipError_tPvRmT2_T3_T4_T5_mT6_T7_P12ihipStream_tbENKUlT_T0_E_clISt17integral_constantIbLb1EESY_IbLb0EEEEDaSU_SV_EUlSU_E_NS1_11comp_targetILNS1_3genE2ELNS1_11target_archE906ELNS1_3gpuE6ELNS1_3repE0EEENS1_30default_config_static_selectorELNS0_4arch9wavefront6targetE1EEEvT1_
	.globl	_ZN7rocprim17ROCPRIM_400000_NS6detail17trampoline_kernelINS0_14default_configENS1_27scan_by_key_config_selectorIssEEZZNS1_16scan_by_key_implILNS1_25lookback_scan_determinismE0ELb1ES3_N6thrust23THRUST_200600_302600_NS6detail15normal_iteratorINS9_10device_ptrIsEEEESE_SE_sNS9_4plusIvEENS9_8equal_toIvEEsEE10hipError_tPvRmT2_T3_T4_T5_mT6_T7_P12ihipStream_tbENKUlT_T0_E_clISt17integral_constantIbLb1EESY_IbLb0EEEEDaSU_SV_EUlSU_E_NS1_11comp_targetILNS1_3genE2ELNS1_11target_archE906ELNS1_3gpuE6ELNS1_3repE0EEENS1_30default_config_static_selectorELNS0_4arch9wavefront6targetE1EEEvT1_
	.p2align	8
	.type	_ZN7rocprim17ROCPRIM_400000_NS6detail17trampoline_kernelINS0_14default_configENS1_27scan_by_key_config_selectorIssEEZZNS1_16scan_by_key_implILNS1_25lookback_scan_determinismE0ELb1ES3_N6thrust23THRUST_200600_302600_NS6detail15normal_iteratorINS9_10device_ptrIsEEEESE_SE_sNS9_4plusIvEENS9_8equal_toIvEEsEE10hipError_tPvRmT2_T3_T4_T5_mT6_T7_P12ihipStream_tbENKUlT_T0_E_clISt17integral_constantIbLb1EESY_IbLb0EEEEDaSU_SV_EUlSU_E_NS1_11comp_targetILNS1_3genE2ELNS1_11target_archE906ELNS1_3gpuE6ELNS1_3repE0EEENS1_30default_config_static_selectorELNS0_4arch9wavefront6targetE1EEEvT1_,@function
_ZN7rocprim17ROCPRIM_400000_NS6detail17trampoline_kernelINS0_14default_configENS1_27scan_by_key_config_selectorIssEEZZNS1_16scan_by_key_implILNS1_25lookback_scan_determinismE0ELb1ES3_N6thrust23THRUST_200600_302600_NS6detail15normal_iteratorINS9_10device_ptrIsEEEESE_SE_sNS9_4plusIvEENS9_8equal_toIvEEsEE10hipError_tPvRmT2_T3_T4_T5_mT6_T7_P12ihipStream_tbENKUlT_T0_E_clISt17integral_constantIbLb1EESY_IbLb0EEEEDaSU_SV_EUlSU_E_NS1_11comp_targetILNS1_3genE2ELNS1_11target_archE906ELNS1_3gpuE6ELNS1_3repE0EEENS1_30default_config_static_selectorELNS0_4arch9wavefront6targetE1EEEvT1_: ; @_ZN7rocprim17ROCPRIM_400000_NS6detail17trampoline_kernelINS0_14default_configENS1_27scan_by_key_config_selectorIssEEZZNS1_16scan_by_key_implILNS1_25lookback_scan_determinismE0ELb1ES3_N6thrust23THRUST_200600_302600_NS6detail15normal_iteratorINS9_10device_ptrIsEEEESE_SE_sNS9_4plusIvEENS9_8equal_toIvEEsEE10hipError_tPvRmT2_T3_T4_T5_mT6_T7_P12ihipStream_tbENKUlT_T0_E_clISt17integral_constantIbLb1EESY_IbLb0EEEEDaSU_SV_EUlSU_E_NS1_11comp_targetILNS1_3genE2ELNS1_11target_archE906ELNS1_3gpuE6ELNS1_3repE0EEENS1_30default_config_static_selectorELNS0_4arch9wavefront6targetE1EEEvT1_
; %bb.0:
	.section	.rodata,"a",@progbits
	.p2align	6, 0x0
	.amdhsa_kernel _ZN7rocprim17ROCPRIM_400000_NS6detail17trampoline_kernelINS0_14default_configENS1_27scan_by_key_config_selectorIssEEZZNS1_16scan_by_key_implILNS1_25lookback_scan_determinismE0ELb1ES3_N6thrust23THRUST_200600_302600_NS6detail15normal_iteratorINS9_10device_ptrIsEEEESE_SE_sNS9_4plusIvEENS9_8equal_toIvEEsEE10hipError_tPvRmT2_T3_T4_T5_mT6_T7_P12ihipStream_tbENKUlT_T0_E_clISt17integral_constantIbLb1EESY_IbLb0EEEEDaSU_SV_EUlSU_E_NS1_11comp_targetILNS1_3genE2ELNS1_11target_archE906ELNS1_3gpuE6ELNS1_3repE0EEENS1_30default_config_static_selectorELNS0_4arch9wavefront6targetE1EEEvT1_
		.amdhsa_group_segment_fixed_size 0
		.amdhsa_private_segment_fixed_size 0
		.amdhsa_kernarg_size 112
		.amdhsa_user_sgpr_count 6
		.amdhsa_user_sgpr_private_segment_buffer 1
		.amdhsa_user_sgpr_dispatch_ptr 0
		.amdhsa_user_sgpr_queue_ptr 0
		.amdhsa_user_sgpr_kernarg_segment_ptr 1
		.amdhsa_user_sgpr_dispatch_id 0
		.amdhsa_user_sgpr_flat_scratch_init 0
		.amdhsa_user_sgpr_kernarg_preload_length 0
		.amdhsa_user_sgpr_kernarg_preload_offset 0
		.amdhsa_user_sgpr_private_segment_size 0
		.amdhsa_uses_dynamic_stack 0
		.amdhsa_system_sgpr_private_segment_wavefront_offset 0
		.amdhsa_system_sgpr_workgroup_id_x 1
		.amdhsa_system_sgpr_workgroup_id_y 0
		.amdhsa_system_sgpr_workgroup_id_z 0
		.amdhsa_system_sgpr_workgroup_info 0
		.amdhsa_system_vgpr_workitem_id 0
		.amdhsa_next_free_vgpr 1
		.amdhsa_next_free_sgpr 0
		.amdhsa_accum_offset 4
		.amdhsa_reserve_vcc 0
		.amdhsa_reserve_flat_scratch 0
		.amdhsa_float_round_mode_32 0
		.amdhsa_float_round_mode_16_64 0
		.amdhsa_float_denorm_mode_32 3
		.amdhsa_float_denorm_mode_16_64 3
		.amdhsa_dx10_clamp 1
		.amdhsa_ieee_mode 1
		.amdhsa_fp16_overflow 0
		.amdhsa_tg_split 0
		.amdhsa_exception_fp_ieee_invalid_op 0
		.amdhsa_exception_fp_denorm_src 0
		.amdhsa_exception_fp_ieee_div_zero 0
		.amdhsa_exception_fp_ieee_overflow 0
		.amdhsa_exception_fp_ieee_underflow 0
		.amdhsa_exception_fp_ieee_inexact 0
		.amdhsa_exception_int_div_zero 0
	.end_amdhsa_kernel
	.section	.text._ZN7rocprim17ROCPRIM_400000_NS6detail17trampoline_kernelINS0_14default_configENS1_27scan_by_key_config_selectorIssEEZZNS1_16scan_by_key_implILNS1_25lookback_scan_determinismE0ELb1ES3_N6thrust23THRUST_200600_302600_NS6detail15normal_iteratorINS9_10device_ptrIsEEEESE_SE_sNS9_4plusIvEENS9_8equal_toIvEEsEE10hipError_tPvRmT2_T3_T4_T5_mT6_T7_P12ihipStream_tbENKUlT_T0_E_clISt17integral_constantIbLb1EESY_IbLb0EEEEDaSU_SV_EUlSU_E_NS1_11comp_targetILNS1_3genE2ELNS1_11target_archE906ELNS1_3gpuE6ELNS1_3repE0EEENS1_30default_config_static_selectorELNS0_4arch9wavefront6targetE1EEEvT1_,"axG",@progbits,_ZN7rocprim17ROCPRIM_400000_NS6detail17trampoline_kernelINS0_14default_configENS1_27scan_by_key_config_selectorIssEEZZNS1_16scan_by_key_implILNS1_25lookback_scan_determinismE0ELb1ES3_N6thrust23THRUST_200600_302600_NS6detail15normal_iteratorINS9_10device_ptrIsEEEESE_SE_sNS9_4plusIvEENS9_8equal_toIvEEsEE10hipError_tPvRmT2_T3_T4_T5_mT6_T7_P12ihipStream_tbENKUlT_T0_E_clISt17integral_constantIbLb1EESY_IbLb0EEEEDaSU_SV_EUlSU_E_NS1_11comp_targetILNS1_3genE2ELNS1_11target_archE906ELNS1_3gpuE6ELNS1_3repE0EEENS1_30default_config_static_selectorELNS0_4arch9wavefront6targetE1EEEvT1_,comdat
.Lfunc_end592:
	.size	_ZN7rocprim17ROCPRIM_400000_NS6detail17trampoline_kernelINS0_14default_configENS1_27scan_by_key_config_selectorIssEEZZNS1_16scan_by_key_implILNS1_25lookback_scan_determinismE0ELb1ES3_N6thrust23THRUST_200600_302600_NS6detail15normal_iteratorINS9_10device_ptrIsEEEESE_SE_sNS9_4plusIvEENS9_8equal_toIvEEsEE10hipError_tPvRmT2_T3_T4_T5_mT6_T7_P12ihipStream_tbENKUlT_T0_E_clISt17integral_constantIbLb1EESY_IbLb0EEEEDaSU_SV_EUlSU_E_NS1_11comp_targetILNS1_3genE2ELNS1_11target_archE906ELNS1_3gpuE6ELNS1_3repE0EEENS1_30default_config_static_selectorELNS0_4arch9wavefront6targetE1EEEvT1_, .Lfunc_end592-_ZN7rocprim17ROCPRIM_400000_NS6detail17trampoline_kernelINS0_14default_configENS1_27scan_by_key_config_selectorIssEEZZNS1_16scan_by_key_implILNS1_25lookback_scan_determinismE0ELb1ES3_N6thrust23THRUST_200600_302600_NS6detail15normal_iteratorINS9_10device_ptrIsEEEESE_SE_sNS9_4plusIvEENS9_8equal_toIvEEsEE10hipError_tPvRmT2_T3_T4_T5_mT6_T7_P12ihipStream_tbENKUlT_T0_E_clISt17integral_constantIbLb1EESY_IbLb0EEEEDaSU_SV_EUlSU_E_NS1_11comp_targetILNS1_3genE2ELNS1_11target_archE906ELNS1_3gpuE6ELNS1_3repE0EEENS1_30default_config_static_selectorELNS0_4arch9wavefront6targetE1EEEvT1_
                                        ; -- End function
	.section	.AMDGPU.csdata,"",@progbits
; Kernel info:
; codeLenInByte = 0
; NumSgprs: 4
; NumVgprs: 0
; NumAgprs: 0
; TotalNumVgprs: 0
; ScratchSize: 0
; MemoryBound: 0
; FloatMode: 240
; IeeeMode: 1
; LDSByteSize: 0 bytes/workgroup (compile time only)
; SGPRBlocks: 0
; VGPRBlocks: 0
; NumSGPRsForWavesPerEU: 4
; NumVGPRsForWavesPerEU: 1
; AccumOffset: 4
; Occupancy: 8
; WaveLimiterHint : 0
; COMPUTE_PGM_RSRC2:SCRATCH_EN: 0
; COMPUTE_PGM_RSRC2:USER_SGPR: 6
; COMPUTE_PGM_RSRC2:TRAP_HANDLER: 0
; COMPUTE_PGM_RSRC2:TGID_X_EN: 1
; COMPUTE_PGM_RSRC2:TGID_Y_EN: 0
; COMPUTE_PGM_RSRC2:TGID_Z_EN: 0
; COMPUTE_PGM_RSRC2:TIDIG_COMP_CNT: 0
; COMPUTE_PGM_RSRC3_GFX90A:ACCUM_OFFSET: 0
; COMPUTE_PGM_RSRC3_GFX90A:TG_SPLIT: 0
	.section	.text._ZN7rocprim17ROCPRIM_400000_NS6detail17trampoline_kernelINS0_14default_configENS1_27scan_by_key_config_selectorIssEEZZNS1_16scan_by_key_implILNS1_25lookback_scan_determinismE0ELb1ES3_N6thrust23THRUST_200600_302600_NS6detail15normal_iteratorINS9_10device_ptrIsEEEESE_SE_sNS9_4plusIvEENS9_8equal_toIvEEsEE10hipError_tPvRmT2_T3_T4_T5_mT6_T7_P12ihipStream_tbENKUlT_T0_E_clISt17integral_constantIbLb1EESY_IbLb0EEEEDaSU_SV_EUlSU_E_NS1_11comp_targetILNS1_3genE10ELNS1_11target_archE1200ELNS1_3gpuE4ELNS1_3repE0EEENS1_30default_config_static_selectorELNS0_4arch9wavefront6targetE1EEEvT1_,"axG",@progbits,_ZN7rocprim17ROCPRIM_400000_NS6detail17trampoline_kernelINS0_14default_configENS1_27scan_by_key_config_selectorIssEEZZNS1_16scan_by_key_implILNS1_25lookback_scan_determinismE0ELb1ES3_N6thrust23THRUST_200600_302600_NS6detail15normal_iteratorINS9_10device_ptrIsEEEESE_SE_sNS9_4plusIvEENS9_8equal_toIvEEsEE10hipError_tPvRmT2_T3_T4_T5_mT6_T7_P12ihipStream_tbENKUlT_T0_E_clISt17integral_constantIbLb1EESY_IbLb0EEEEDaSU_SV_EUlSU_E_NS1_11comp_targetILNS1_3genE10ELNS1_11target_archE1200ELNS1_3gpuE4ELNS1_3repE0EEENS1_30default_config_static_selectorELNS0_4arch9wavefront6targetE1EEEvT1_,comdat
	.protected	_ZN7rocprim17ROCPRIM_400000_NS6detail17trampoline_kernelINS0_14default_configENS1_27scan_by_key_config_selectorIssEEZZNS1_16scan_by_key_implILNS1_25lookback_scan_determinismE0ELb1ES3_N6thrust23THRUST_200600_302600_NS6detail15normal_iteratorINS9_10device_ptrIsEEEESE_SE_sNS9_4plusIvEENS9_8equal_toIvEEsEE10hipError_tPvRmT2_T3_T4_T5_mT6_T7_P12ihipStream_tbENKUlT_T0_E_clISt17integral_constantIbLb1EESY_IbLb0EEEEDaSU_SV_EUlSU_E_NS1_11comp_targetILNS1_3genE10ELNS1_11target_archE1200ELNS1_3gpuE4ELNS1_3repE0EEENS1_30default_config_static_selectorELNS0_4arch9wavefront6targetE1EEEvT1_ ; -- Begin function _ZN7rocprim17ROCPRIM_400000_NS6detail17trampoline_kernelINS0_14default_configENS1_27scan_by_key_config_selectorIssEEZZNS1_16scan_by_key_implILNS1_25lookback_scan_determinismE0ELb1ES3_N6thrust23THRUST_200600_302600_NS6detail15normal_iteratorINS9_10device_ptrIsEEEESE_SE_sNS9_4plusIvEENS9_8equal_toIvEEsEE10hipError_tPvRmT2_T3_T4_T5_mT6_T7_P12ihipStream_tbENKUlT_T0_E_clISt17integral_constantIbLb1EESY_IbLb0EEEEDaSU_SV_EUlSU_E_NS1_11comp_targetILNS1_3genE10ELNS1_11target_archE1200ELNS1_3gpuE4ELNS1_3repE0EEENS1_30default_config_static_selectorELNS0_4arch9wavefront6targetE1EEEvT1_
	.globl	_ZN7rocprim17ROCPRIM_400000_NS6detail17trampoline_kernelINS0_14default_configENS1_27scan_by_key_config_selectorIssEEZZNS1_16scan_by_key_implILNS1_25lookback_scan_determinismE0ELb1ES3_N6thrust23THRUST_200600_302600_NS6detail15normal_iteratorINS9_10device_ptrIsEEEESE_SE_sNS9_4plusIvEENS9_8equal_toIvEEsEE10hipError_tPvRmT2_T3_T4_T5_mT6_T7_P12ihipStream_tbENKUlT_T0_E_clISt17integral_constantIbLb1EESY_IbLb0EEEEDaSU_SV_EUlSU_E_NS1_11comp_targetILNS1_3genE10ELNS1_11target_archE1200ELNS1_3gpuE4ELNS1_3repE0EEENS1_30default_config_static_selectorELNS0_4arch9wavefront6targetE1EEEvT1_
	.p2align	8
	.type	_ZN7rocprim17ROCPRIM_400000_NS6detail17trampoline_kernelINS0_14default_configENS1_27scan_by_key_config_selectorIssEEZZNS1_16scan_by_key_implILNS1_25lookback_scan_determinismE0ELb1ES3_N6thrust23THRUST_200600_302600_NS6detail15normal_iteratorINS9_10device_ptrIsEEEESE_SE_sNS9_4plusIvEENS9_8equal_toIvEEsEE10hipError_tPvRmT2_T3_T4_T5_mT6_T7_P12ihipStream_tbENKUlT_T0_E_clISt17integral_constantIbLb1EESY_IbLb0EEEEDaSU_SV_EUlSU_E_NS1_11comp_targetILNS1_3genE10ELNS1_11target_archE1200ELNS1_3gpuE4ELNS1_3repE0EEENS1_30default_config_static_selectorELNS0_4arch9wavefront6targetE1EEEvT1_,@function
_ZN7rocprim17ROCPRIM_400000_NS6detail17trampoline_kernelINS0_14default_configENS1_27scan_by_key_config_selectorIssEEZZNS1_16scan_by_key_implILNS1_25lookback_scan_determinismE0ELb1ES3_N6thrust23THRUST_200600_302600_NS6detail15normal_iteratorINS9_10device_ptrIsEEEESE_SE_sNS9_4plusIvEENS9_8equal_toIvEEsEE10hipError_tPvRmT2_T3_T4_T5_mT6_T7_P12ihipStream_tbENKUlT_T0_E_clISt17integral_constantIbLb1EESY_IbLb0EEEEDaSU_SV_EUlSU_E_NS1_11comp_targetILNS1_3genE10ELNS1_11target_archE1200ELNS1_3gpuE4ELNS1_3repE0EEENS1_30default_config_static_selectorELNS0_4arch9wavefront6targetE1EEEvT1_: ; @_ZN7rocprim17ROCPRIM_400000_NS6detail17trampoline_kernelINS0_14default_configENS1_27scan_by_key_config_selectorIssEEZZNS1_16scan_by_key_implILNS1_25lookback_scan_determinismE0ELb1ES3_N6thrust23THRUST_200600_302600_NS6detail15normal_iteratorINS9_10device_ptrIsEEEESE_SE_sNS9_4plusIvEENS9_8equal_toIvEEsEE10hipError_tPvRmT2_T3_T4_T5_mT6_T7_P12ihipStream_tbENKUlT_T0_E_clISt17integral_constantIbLb1EESY_IbLb0EEEEDaSU_SV_EUlSU_E_NS1_11comp_targetILNS1_3genE10ELNS1_11target_archE1200ELNS1_3gpuE4ELNS1_3repE0EEENS1_30default_config_static_selectorELNS0_4arch9wavefront6targetE1EEEvT1_
; %bb.0:
	.section	.rodata,"a",@progbits
	.p2align	6, 0x0
	.amdhsa_kernel _ZN7rocprim17ROCPRIM_400000_NS6detail17trampoline_kernelINS0_14default_configENS1_27scan_by_key_config_selectorIssEEZZNS1_16scan_by_key_implILNS1_25lookback_scan_determinismE0ELb1ES3_N6thrust23THRUST_200600_302600_NS6detail15normal_iteratorINS9_10device_ptrIsEEEESE_SE_sNS9_4plusIvEENS9_8equal_toIvEEsEE10hipError_tPvRmT2_T3_T4_T5_mT6_T7_P12ihipStream_tbENKUlT_T0_E_clISt17integral_constantIbLb1EESY_IbLb0EEEEDaSU_SV_EUlSU_E_NS1_11comp_targetILNS1_3genE10ELNS1_11target_archE1200ELNS1_3gpuE4ELNS1_3repE0EEENS1_30default_config_static_selectorELNS0_4arch9wavefront6targetE1EEEvT1_
		.amdhsa_group_segment_fixed_size 0
		.amdhsa_private_segment_fixed_size 0
		.amdhsa_kernarg_size 112
		.amdhsa_user_sgpr_count 6
		.amdhsa_user_sgpr_private_segment_buffer 1
		.amdhsa_user_sgpr_dispatch_ptr 0
		.amdhsa_user_sgpr_queue_ptr 0
		.amdhsa_user_sgpr_kernarg_segment_ptr 1
		.amdhsa_user_sgpr_dispatch_id 0
		.amdhsa_user_sgpr_flat_scratch_init 0
		.amdhsa_user_sgpr_kernarg_preload_length 0
		.amdhsa_user_sgpr_kernarg_preload_offset 0
		.amdhsa_user_sgpr_private_segment_size 0
		.amdhsa_uses_dynamic_stack 0
		.amdhsa_system_sgpr_private_segment_wavefront_offset 0
		.amdhsa_system_sgpr_workgroup_id_x 1
		.amdhsa_system_sgpr_workgroup_id_y 0
		.amdhsa_system_sgpr_workgroup_id_z 0
		.amdhsa_system_sgpr_workgroup_info 0
		.amdhsa_system_vgpr_workitem_id 0
		.amdhsa_next_free_vgpr 1
		.amdhsa_next_free_sgpr 0
		.amdhsa_accum_offset 4
		.amdhsa_reserve_vcc 0
		.amdhsa_reserve_flat_scratch 0
		.amdhsa_float_round_mode_32 0
		.amdhsa_float_round_mode_16_64 0
		.amdhsa_float_denorm_mode_32 3
		.amdhsa_float_denorm_mode_16_64 3
		.amdhsa_dx10_clamp 1
		.amdhsa_ieee_mode 1
		.amdhsa_fp16_overflow 0
		.amdhsa_tg_split 0
		.amdhsa_exception_fp_ieee_invalid_op 0
		.amdhsa_exception_fp_denorm_src 0
		.amdhsa_exception_fp_ieee_div_zero 0
		.amdhsa_exception_fp_ieee_overflow 0
		.amdhsa_exception_fp_ieee_underflow 0
		.amdhsa_exception_fp_ieee_inexact 0
		.amdhsa_exception_int_div_zero 0
	.end_amdhsa_kernel
	.section	.text._ZN7rocprim17ROCPRIM_400000_NS6detail17trampoline_kernelINS0_14default_configENS1_27scan_by_key_config_selectorIssEEZZNS1_16scan_by_key_implILNS1_25lookback_scan_determinismE0ELb1ES3_N6thrust23THRUST_200600_302600_NS6detail15normal_iteratorINS9_10device_ptrIsEEEESE_SE_sNS9_4plusIvEENS9_8equal_toIvEEsEE10hipError_tPvRmT2_T3_T4_T5_mT6_T7_P12ihipStream_tbENKUlT_T0_E_clISt17integral_constantIbLb1EESY_IbLb0EEEEDaSU_SV_EUlSU_E_NS1_11comp_targetILNS1_3genE10ELNS1_11target_archE1200ELNS1_3gpuE4ELNS1_3repE0EEENS1_30default_config_static_selectorELNS0_4arch9wavefront6targetE1EEEvT1_,"axG",@progbits,_ZN7rocprim17ROCPRIM_400000_NS6detail17trampoline_kernelINS0_14default_configENS1_27scan_by_key_config_selectorIssEEZZNS1_16scan_by_key_implILNS1_25lookback_scan_determinismE0ELb1ES3_N6thrust23THRUST_200600_302600_NS6detail15normal_iteratorINS9_10device_ptrIsEEEESE_SE_sNS9_4plusIvEENS9_8equal_toIvEEsEE10hipError_tPvRmT2_T3_T4_T5_mT6_T7_P12ihipStream_tbENKUlT_T0_E_clISt17integral_constantIbLb1EESY_IbLb0EEEEDaSU_SV_EUlSU_E_NS1_11comp_targetILNS1_3genE10ELNS1_11target_archE1200ELNS1_3gpuE4ELNS1_3repE0EEENS1_30default_config_static_selectorELNS0_4arch9wavefront6targetE1EEEvT1_,comdat
.Lfunc_end593:
	.size	_ZN7rocprim17ROCPRIM_400000_NS6detail17trampoline_kernelINS0_14default_configENS1_27scan_by_key_config_selectorIssEEZZNS1_16scan_by_key_implILNS1_25lookback_scan_determinismE0ELb1ES3_N6thrust23THRUST_200600_302600_NS6detail15normal_iteratorINS9_10device_ptrIsEEEESE_SE_sNS9_4plusIvEENS9_8equal_toIvEEsEE10hipError_tPvRmT2_T3_T4_T5_mT6_T7_P12ihipStream_tbENKUlT_T0_E_clISt17integral_constantIbLb1EESY_IbLb0EEEEDaSU_SV_EUlSU_E_NS1_11comp_targetILNS1_3genE10ELNS1_11target_archE1200ELNS1_3gpuE4ELNS1_3repE0EEENS1_30default_config_static_selectorELNS0_4arch9wavefront6targetE1EEEvT1_, .Lfunc_end593-_ZN7rocprim17ROCPRIM_400000_NS6detail17trampoline_kernelINS0_14default_configENS1_27scan_by_key_config_selectorIssEEZZNS1_16scan_by_key_implILNS1_25lookback_scan_determinismE0ELb1ES3_N6thrust23THRUST_200600_302600_NS6detail15normal_iteratorINS9_10device_ptrIsEEEESE_SE_sNS9_4plusIvEENS9_8equal_toIvEEsEE10hipError_tPvRmT2_T3_T4_T5_mT6_T7_P12ihipStream_tbENKUlT_T0_E_clISt17integral_constantIbLb1EESY_IbLb0EEEEDaSU_SV_EUlSU_E_NS1_11comp_targetILNS1_3genE10ELNS1_11target_archE1200ELNS1_3gpuE4ELNS1_3repE0EEENS1_30default_config_static_selectorELNS0_4arch9wavefront6targetE1EEEvT1_
                                        ; -- End function
	.section	.AMDGPU.csdata,"",@progbits
; Kernel info:
; codeLenInByte = 0
; NumSgprs: 4
; NumVgprs: 0
; NumAgprs: 0
; TotalNumVgprs: 0
; ScratchSize: 0
; MemoryBound: 0
; FloatMode: 240
; IeeeMode: 1
; LDSByteSize: 0 bytes/workgroup (compile time only)
; SGPRBlocks: 0
; VGPRBlocks: 0
; NumSGPRsForWavesPerEU: 4
; NumVGPRsForWavesPerEU: 1
; AccumOffset: 4
; Occupancy: 8
; WaveLimiterHint : 0
; COMPUTE_PGM_RSRC2:SCRATCH_EN: 0
; COMPUTE_PGM_RSRC2:USER_SGPR: 6
; COMPUTE_PGM_RSRC2:TRAP_HANDLER: 0
; COMPUTE_PGM_RSRC2:TGID_X_EN: 1
; COMPUTE_PGM_RSRC2:TGID_Y_EN: 0
; COMPUTE_PGM_RSRC2:TGID_Z_EN: 0
; COMPUTE_PGM_RSRC2:TIDIG_COMP_CNT: 0
; COMPUTE_PGM_RSRC3_GFX90A:ACCUM_OFFSET: 0
; COMPUTE_PGM_RSRC3_GFX90A:TG_SPLIT: 0
	.section	.text._ZN7rocprim17ROCPRIM_400000_NS6detail17trampoline_kernelINS0_14default_configENS1_27scan_by_key_config_selectorIssEEZZNS1_16scan_by_key_implILNS1_25lookback_scan_determinismE0ELb1ES3_N6thrust23THRUST_200600_302600_NS6detail15normal_iteratorINS9_10device_ptrIsEEEESE_SE_sNS9_4plusIvEENS9_8equal_toIvEEsEE10hipError_tPvRmT2_T3_T4_T5_mT6_T7_P12ihipStream_tbENKUlT_T0_E_clISt17integral_constantIbLb1EESY_IbLb0EEEEDaSU_SV_EUlSU_E_NS1_11comp_targetILNS1_3genE9ELNS1_11target_archE1100ELNS1_3gpuE3ELNS1_3repE0EEENS1_30default_config_static_selectorELNS0_4arch9wavefront6targetE1EEEvT1_,"axG",@progbits,_ZN7rocprim17ROCPRIM_400000_NS6detail17trampoline_kernelINS0_14default_configENS1_27scan_by_key_config_selectorIssEEZZNS1_16scan_by_key_implILNS1_25lookback_scan_determinismE0ELb1ES3_N6thrust23THRUST_200600_302600_NS6detail15normal_iteratorINS9_10device_ptrIsEEEESE_SE_sNS9_4plusIvEENS9_8equal_toIvEEsEE10hipError_tPvRmT2_T3_T4_T5_mT6_T7_P12ihipStream_tbENKUlT_T0_E_clISt17integral_constantIbLb1EESY_IbLb0EEEEDaSU_SV_EUlSU_E_NS1_11comp_targetILNS1_3genE9ELNS1_11target_archE1100ELNS1_3gpuE3ELNS1_3repE0EEENS1_30default_config_static_selectorELNS0_4arch9wavefront6targetE1EEEvT1_,comdat
	.protected	_ZN7rocprim17ROCPRIM_400000_NS6detail17trampoline_kernelINS0_14default_configENS1_27scan_by_key_config_selectorIssEEZZNS1_16scan_by_key_implILNS1_25lookback_scan_determinismE0ELb1ES3_N6thrust23THRUST_200600_302600_NS6detail15normal_iteratorINS9_10device_ptrIsEEEESE_SE_sNS9_4plusIvEENS9_8equal_toIvEEsEE10hipError_tPvRmT2_T3_T4_T5_mT6_T7_P12ihipStream_tbENKUlT_T0_E_clISt17integral_constantIbLb1EESY_IbLb0EEEEDaSU_SV_EUlSU_E_NS1_11comp_targetILNS1_3genE9ELNS1_11target_archE1100ELNS1_3gpuE3ELNS1_3repE0EEENS1_30default_config_static_selectorELNS0_4arch9wavefront6targetE1EEEvT1_ ; -- Begin function _ZN7rocprim17ROCPRIM_400000_NS6detail17trampoline_kernelINS0_14default_configENS1_27scan_by_key_config_selectorIssEEZZNS1_16scan_by_key_implILNS1_25lookback_scan_determinismE0ELb1ES3_N6thrust23THRUST_200600_302600_NS6detail15normal_iteratorINS9_10device_ptrIsEEEESE_SE_sNS9_4plusIvEENS9_8equal_toIvEEsEE10hipError_tPvRmT2_T3_T4_T5_mT6_T7_P12ihipStream_tbENKUlT_T0_E_clISt17integral_constantIbLb1EESY_IbLb0EEEEDaSU_SV_EUlSU_E_NS1_11comp_targetILNS1_3genE9ELNS1_11target_archE1100ELNS1_3gpuE3ELNS1_3repE0EEENS1_30default_config_static_selectorELNS0_4arch9wavefront6targetE1EEEvT1_
	.globl	_ZN7rocprim17ROCPRIM_400000_NS6detail17trampoline_kernelINS0_14default_configENS1_27scan_by_key_config_selectorIssEEZZNS1_16scan_by_key_implILNS1_25lookback_scan_determinismE0ELb1ES3_N6thrust23THRUST_200600_302600_NS6detail15normal_iteratorINS9_10device_ptrIsEEEESE_SE_sNS9_4plusIvEENS9_8equal_toIvEEsEE10hipError_tPvRmT2_T3_T4_T5_mT6_T7_P12ihipStream_tbENKUlT_T0_E_clISt17integral_constantIbLb1EESY_IbLb0EEEEDaSU_SV_EUlSU_E_NS1_11comp_targetILNS1_3genE9ELNS1_11target_archE1100ELNS1_3gpuE3ELNS1_3repE0EEENS1_30default_config_static_selectorELNS0_4arch9wavefront6targetE1EEEvT1_
	.p2align	8
	.type	_ZN7rocprim17ROCPRIM_400000_NS6detail17trampoline_kernelINS0_14default_configENS1_27scan_by_key_config_selectorIssEEZZNS1_16scan_by_key_implILNS1_25lookback_scan_determinismE0ELb1ES3_N6thrust23THRUST_200600_302600_NS6detail15normal_iteratorINS9_10device_ptrIsEEEESE_SE_sNS9_4plusIvEENS9_8equal_toIvEEsEE10hipError_tPvRmT2_T3_T4_T5_mT6_T7_P12ihipStream_tbENKUlT_T0_E_clISt17integral_constantIbLb1EESY_IbLb0EEEEDaSU_SV_EUlSU_E_NS1_11comp_targetILNS1_3genE9ELNS1_11target_archE1100ELNS1_3gpuE3ELNS1_3repE0EEENS1_30default_config_static_selectorELNS0_4arch9wavefront6targetE1EEEvT1_,@function
_ZN7rocprim17ROCPRIM_400000_NS6detail17trampoline_kernelINS0_14default_configENS1_27scan_by_key_config_selectorIssEEZZNS1_16scan_by_key_implILNS1_25lookback_scan_determinismE0ELb1ES3_N6thrust23THRUST_200600_302600_NS6detail15normal_iteratorINS9_10device_ptrIsEEEESE_SE_sNS9_4plusIvEENS9_8equal_toIvEEsEE10hipError_tPvRmT2_T3_T4_T5_mT6_T7_P12ihipStream_tbENKUlT_T0_E_clISt17integral_constantIbLb1EESY_IbLb0EEEEDaSU_SV_EUlSU_E_NS1_11comp_targetILNS1_3genE9ELNS1_11target_archE1100ELNS1_3gpuE3ELNS1_3repE0EEENS1_30default_config_static_selectorELNS0_4arch9wavefront6targetE1EEEvT1_: ; @_ZN7rocprim17ROCPRIM_400000_NS6detail17trampoline_kernelINS0_14default_configENS1_27scan_by_key_config_selectorIssEEZZNS1_16scan_by_key_implILNS1_25lookback_scan_determinismE0ELb1ES3_N6thrust23THRUST_200600_302600_NS6detail15normal_iteratorINS9_10device_ptrIsEEEESE_SE_sNS9_4plusIvEENS9_8equal_toIvEEsEE10hipError_tPvRmT2_T3_T4_T5_mT6_T7_P12ihipStream_tbENKUlT_T0_E_clISt17integral_constantIbLb1EESY_IbLb0EEEEDaSU_SV_EUlSU_E_NS1_11comp_targetILNS1_3genE9ELNS1_11target_archE1100ELNS1_3gpuE3ELNS1_3repE0EEENS1_30default_config_static_selectorELNS0_4arch9wavefront6targetE1EEEvT1_
; %bb.0:
	.section	.rodata,"a",@progbits
	.p2align	6, 0x0
	.amdhsa_kernel _ZN7rocprim17ROCPRIM_400000_NS6detail17trampoline_kernelINS0_14default_configENS1_27scan_by_key_config_selectorIssEEZZNS1_16scan_by_key_implILNS1_25lookback_scan_determinismE0ELb1ES3_N6thrust23THRUST_200600_302600_NS6detail15normal_iteratorINS9_10device_ptrIsEEEESE_SE_sNS9_4plusIvEENS9_8equal_toIvEEsEE10hipError_tPvRmT2_T3_T4_T5_mT6_T7_P12ihipStream_tbENKUlT_T0_E_clISt17integral_constantIbLb1EESY_IbLb0EEEEDaSU_SV_EUlSU_E_NS1_11comp_targetILNS1_3genE9ELNS1_11target_archE1100ELNS1_3gpuE3ELNS1_3repE0EEENS1_30default_config_static_selectorELNS0_4arch9wavefront6targetE1EEEvT1_
		.amdhsa_group_segment_fixed_size 0
		.amdhsa_private_segment_fixed_size 0
		.amdhsa_kernarg_size 112
		.amdhsa_user_sgpr_count 6
		.amdhsa_user_sgpr_private_segment_buffer 1
		.amdhsa_user_sgpr_dispatch_ptr 0
		.amdhsa_user_sgpr_queue_ptr 0
		.amdhsa_user_sgpr_kernarg_segment_ptr 1
		.amdhsa_user_sgpr_dispatch_id 0
		.amdhsa_user_sgpr_flat_scratch_init 0
		.amdhsa_user_sgpr_kernarg_preload_length 0
		.amdhsa_user_sgpr_kernarg_preload_offset 0
		.amdhsa_user_sgpr_private_segment_size 0
		.amdhsa_uses_dynamic_stack 0
		.amdhsa_system_sgpr_private_segment_wavefront_offset 0
		.amdhsa_system_sgpr_workgroup_id_x 1
		.amdhsa_system_sgpr_workgroup_id_y 0
		.amdhsa_system_sgpr_workgroup_id_z 0
		.amdhsa_system_sgpr_workgroup_info 0
		.amdhsa_system_vgpr_workitem_id 0
		.amdhsa_next_free_vgpr 1
		.amdhsa_next_free_sgpr 0
		.amdhsa_accum_offset 4
		.amdhsa_reserve_vcc 0
		.amdhsa_reserve_flat_scratch 0
		.amdhsa_float_round_mode_32 0
		.amdhsa_float_round_mode_16_64 0
		.amdhsa_float_denorm_mode_32 3
		.amdhsa_float_denorm_mode_16_64 3
		.amdhsa_dx10_clamp 1
		.amdhsa_ieee_mode 1
		.amdhsa_fp16_overflow 0
		.amdhsa_tg_split 0
		.amdhsa_exception_fp_ieee_invalid_op 0
		.amdhsa_exception_fp_denorm_src 0
		.amdhsa_exception_fp_ieee_div_zero 0
		.amdhsa_exception_fp_ieee_overflow 0
		.amdhsa_exception_fp_ieee_underflow 0
		.amdhsa_exception_fp_ieee_inexact 0
		.amdhsa_exception_int_div_zero 0
	.end_amdhsa_kernel
	.section	.text._ZN7rocprim17ROCPRIM_400000_NS6detail17trampoline_kernelINS0_14default_configENS1_27scan_by_key_config_selectorIssEEZZNS1_16scan_by_key_implILNS1_25lookback_scan_determinismE0ELb1ES3_N6thrust23THRUST_200600_302600_NS6detail15normal_iteratorINS9_10device_ptrIsEEEESE_SE_sNS9_4plusIvEENS9_8equal_toIvEEsEE10hipError_tPvRmT2_T3_T4_T5_mT6_T7_P12ihipStream_tbENKUlT_T0_E_clISt17integral_constantIbLb1EESY_IbLb0EEEEDaSU_SV_EUlSU_E_NS1_11comp_targetILNS1_3genE9ELNS1_11target_archE1100ELNS1_3gpuE3ELNS1_3repE0EEENS1_30default_config_static_selectorELNS0_4arch9wavefront6targetE1EEEvT1_,"axG",@progbits,_ZN7rocprim17ROCPRIM_400000_NS6detail17trampoline_kernelINS0_14default_configENS1_27scan_by_key_config_selectorIssEEZZNS1_16scan_by_key_implILNS1_25lookback_scan_determinismE0ELb1ES3_N6thrust23THRUST_200600_302600_NS6detail15normal_iteratorINS9_10device_ptrIsEEEESE_SE_sNS9_4plusIvEENS9_8equal_toIvEEsEE10hipError_tPvRmT2_T3_T4_T5_mT6_T7_P12ihipStream_tbENKUlT_T0_E_clISt17integral_constantIbLb1EESY_IbLb0EEEEDaSU_SV_EUlSU_E_NS1_11comp_targetILNS1_3genE9ELNS1_11target_archE1100ELNS1_3gpuE3ELNS1_3repE0EEENS1_30default_config_static_selectorELNS0_4arch9wavefront6targetE1EEEvT1_,comdat
.Lfunc_end594:
	.size	_ZN7rocprim17ROCPRIM_400000_NS6detail17trampoline_kernelINS0_14default_configENS1_27scan_by_key_config_selectorIssEEZZNS1_16scan_by_key_implILNS1_25lookback_scan_determinismE0ELb1ES3_N6thrust23THRUST_200600_302600_NS6detail15normal_iteratorINS9_10device_ptrIsEEEESE_SE_sNS9_4plusIvEENS9_8equal_toIvEEsEE10hipError_tPvRmT2_T3_T4_T5_mT6_T7_P12ihipStream_tbENKUlT_T0_E_clISt17integral_constantIbLb1EESY_IbLb0EEEEDaSU_SV_EUlSU_E_NS1_11comp_targetILNS1_3genE9ELNS1_11target_archE1100ELNS1_3gpuE3ELNS1_3repE0EEENS1_30default_config_static_selectorELNS0_4arch9wavefront6targetE1EEEvT1_, .Lfunc_end594-_ZN7rocprim17ROCPRIM_400000_NS6detail17trampoline_kernelINS0_14default_configENS1_27scan_by_key_config_selectorIssEEZZNS1_16scan_by_key_implILNS1_25lookback_scan_determinismE0ELb1ES3_N6thrust23THRUST_200600_302600_NS6detail15normal_iteratorINS9_10device_ptrIsEEEESE_SE_sNS9_4plusIvEENS9_8equal_toIvEEsEE10hipError_tPvRmT2_T3_T4_T5_mT6_T7_P12ihipStream_tbENKUlT_T0_E_clISt17integral_constantIbLb1EESY_IbLb0EEEEDaSU_SV_EUlSU_E_NS1_11comp_targetILNS1_3genE9ELNS1_11target_archE1100ELNS1_3gpuE3ELNS1_3repE0EEENS1_30default_config_static_selectorELNS0_4arch9wavefront6targetE1EEEvT1_
                                        ; -- End function
	.section	.AMDGPU.csdata,"",@progbits
; Kernel info:
; codeLenInByte = 0
; NumSgprs: 4
; NumVgprs: 0
; NumAgprs: 0
; TotalNumVgprs: 0
; ScratchSize: 0
; MemoryBound: 0
; FloatMode: 240
; IeeeMode: 1
; LDSByteSize: 0 bytes/workgroup (compile time only)
; SGPRBlocks: 0
; VGPRBlocks: 0
; NumSGPRsForWavesPerEU: 4
; NumVGPRsForWavesPerEU: 1
; AccumOffset: 4
; Occupancy: 8
; WaveLimiterHint : 0
; COMPUTE_PGM_RSRC2:SCRATCH_EN: 0
; COMPUTE_PGM_RSRC2:USER_SGPR: 6
; COMPUTE_PGM_RSRC2:TRAP_HANDLER: 0
; COMPUTE_PGM_RSRC2:TGID_X_EN: 1
; COMPUTE_PGM_RSRC2:TGID_Y_EN: 0
; COMPUTE_PGM_RSRC2:TGID_Z_EN: 0
; COMPUTE_PGM_RSRC2:TIDIG_COMP_CNT: 0
; COMPUTE_PGM_RSRC3_GFX90A:ACCUM_OFFSET: 0
; COMPUTE_PGM_RSRC3_GFX90A:TG_SPLIT: 0
	.section	.text._ZN7rocprim17ROCPRIM_400000_NS6detail17trampoline_kernelINS0_14default_configENS1_27scan_by_key_config_selectorIssEEZZNS1_16scan_by_key_implILNS1_25lookback_scan_determinismE0ELb1ES3_N6thrust23THRUST_200600_302600_NS6detail15normal_iteratorINS9_10device_ptrIsEEEESE_SE_sNS9_4plusIvEENS9_8equal_toIvEEsEE10hipError_tPvRmT2_T3_T4_T5_mT6_T7_P12ihipStream_tbENKUlT_T0_E_clISt17integral_constantIbLb1EESY_IbLb0EEEEDaSU_SV_EUlSU_E_NS1_11comp_targetILNS1_3genE8ELNS1_11target_archE1030ELNS1_3gpuE2ELNS1_3repE0EEENS1_30default_config_static_selectorELNS0_4arch9wavefront6targetE1EEEvT1_,"axG",@progbits,_ZN7rocprim17ROCPRIM_400000_NS6detail17trampoline_kernelINS0_14default_configENS1_27scan_by_key_config_selectorIssEEZZNS1_16scan_by_key_implILNS1_25lookback_scan_determinismE0ELb1ES3_N6thrust23THRUST_200600_302600_NS6detail15normal_iteratorINS9_10device_ptrIsEEEESE_SE_sNS9_4plusIvEENS9_8equal_toIvEEsEE10hipError_tPvRmT2_T3_T4_T5_mT6_T7_P12ihipStream_tbENKUlT_T0_E_clISt17integral_constantIbLb1EESY_IbLb0EEEEDaSU_SV_EUlSU_E_NS1_11comp_targetILNS1_3genE8ELNS1_11target_archE1030ELNS1_3gpuE2ELNS1_3repE0EEENS1_30default_config_static_selectorELNS0_4arch9wavefront6targetE1EEEvT1_,comdat
	.protected	_ZN7rocprim17ROCPRIM_400000_NS6detail17trampoline_kernelINS0_14default_configENS1_27scan_by_key_config_selectorIssEEZZNS1_16scan_by_key_implILNS1_25lookback_scan_determinismE0ELb1ES3_N6thrust23THRUST_200600_302600_NS6detail15normal_iteratorINS9_10device_ptrIsEEEESE_SE_sNS9_4plusIvEENS9_8equal_toIvEEsEE10hipError_tPvRmT2_T3_T4_T5_mT6_T7_P12ihipStream_tbENKUlT_T0_E_clISt17integral_constantIbLb1EESY_IbLb0EEEEDaSU_SV_EUlSU_E_NS1_11comp_targetILNS1_3genE8ELNS1_11target_archE1030ELNS1_3gpuE2ELNS1_3repE0EEENS1_30default_config_static_selectorELNS0_4arch9wavefront6targetE1EEEvT1_ ; -- Begin function _ZN7rocprim17ROCPRIM_400000_NS6detail17trampoline_kernelINS0_14default_configENS1_27scan_by_key_config_selectorIssEEZZNS1_16scan_by_key_implILNS1_25lookback_scan_determinismE0ELb1ES3_N6thrust23THRUST_200600_302600_NS6detail15normal_iteratorINS9_10device_ptrIsEEEESE_SE_sNS9_4plusIvEENS9_8equal_toIvEEsEE10hipError_tPvRmT2_T3_T4_T5_mT6_T7_P12ihipStream_tbENKUlT_T0_E_clISt17integral_constantIbLb1EESY_IbLb0EEEEDaSU_SV_EUlSU_E_NS1_11comp_targetILNS1_3genE8ELNS1_11target_archE1030ELNS1_3gpuE2ELNS1_3repE0EEENS1_30default_config_static_selectorELNS0_4arch9wavefront6targetE1EEEvT1_
	.globl	_ZN7rocprim17ROCPRIM_400000_NS6detail17trampoline_kernelINS0_14default_configENS1_27scan_by_key_config_selectorIssEEZZNS1_16scan_by_key_implILNS1_25lookback_scan_determinismE0ELb1ES3_N6thrust23THRUST_200600_302600_NS6detail15normal_iteratorINS9_10device_ptrIsEEEESE_SE_sNS9_4plusIvEENS9_8equal_toIvEEsEE10hipError_tPvRmT2_T3_T4_T5_mT6_T7_P12ihipStream_tbENKUlT_T0_E_clISt17integral_constantIbLb1EESY_IbLb0EEEEDaSU_SV_EUlSU_E_NS1_11comp_targetILNS1_3genE8ELNS1_11target_archE1030ELNS1_3gpuE2ELNS1_3repE0EEENS1_30default_config_static_selectorELNS0_4arch9wavefront6targetE1EEEvT1_
	.p2align	8
	.type	_ZN7rocprim17ROCPRIM_400000_NS6detail17trampoline_kernelINS0_14default_configENS1_27scan_by_key_config_selectorIssEEZZNS1_16scan_by_key_implILNS1_25lookback_scan_determinismE0ELb1ES3_N6thrust23THRUST_200600_302600_NS6detail15normal_iteratorINS9_10device_ptrIsEEEESE_SE_sNS9_4plusIvEENS9_8equal_toIvEEsEE10hipError_tPvRmT2_T3_T4_T5_mT6_T7_P12ihipStream_tbENKUlT_T0_E_clISt17integral_constantIbLb1EESY_IbLb0EEEEDaSU_SV_EUlSU_E_NS1_11comp_targetILNS1_3genE8ELNS1_11target_archE1030ELNS1_3gpuE2ELNS1_3repE0EEENS1_30default_config_static_selectorELNS0_4arch9wavefront6targetE1EEEvT1_,@function
_ZN7rocprim17ROCPRIM_400000_NS6detail17trampoline_kernelINS0_14default_configENS1_27scan_by_key_config_selectorIssEEZZNS1_16scan_by_key_implILNS1_25lookback_scan_determinismE0ELb1ES3_N6thrust23THRUST_200600_302600_NS6detail15normal_iteratorINS9_10device_ptrIsEEEESE_SE_sNS9_4plusIvEENS9_8equal_toIvEEsEE10hipError_tPvRmT2_T3_T4_T5_mT6_T7_P12ihipStream_tbENKUlT_T0_E_clISt17integral_constantIbLb1EESY_IbLb0EEEEDaSU_SV_EUlSU_E_NS1_11comp_targetILNS1_3genE8ELNS1_11target_archE1030ELNS1_3gpuE2ELNS1_3repE0EEENS1_30default_config_static_selectorELNS0_4arch9wavefront6targetE1EEEvT1_: ; @_ZN7rocprim17ROCPRIM_400000_NS6detail17trampoline_kernelINS0_14default_configENS1_27scan_by_key_config_selectorIssEEZZNS1_16scan_by_key_implILNS1_25lookback_scan_determinismE0ELb1ES3_N6thrust23THRUST_200600_302600_NS6detail15normal_iteratorINS9_10device_ptrIsEEEESE_SE_sNS9_4plusIvEENS9_8equal_toIvEEsEE10hipError_tPvRmT2_T3_T4_T5_mT6_T7_P12ihipStream_tbENKUlT_T0_E_clISt17integral_constantIbLb1EESY_IbLb0EEEEDaSU_SV_EUlSU_E_NS1_11comp_targetILNS1_3genE8ELNS1_11target_archE1030ELNS1_3gpuE2ELNS1_3repE0EEENS1_30default_config_static_selectorELNS0_4arch9wavefront6targetE1EEEvT1_
; %bb.0:
	.section	.rodata,"a",@progbits
	.p2align	6, 0x0
	.amdhsa_kernel _ZN7rocprim17ROCPRIM_400000_NS6detail17trampoline_kernelINS0_14default_configENS1_27scan_by_key_config_selectorIssEEZZNS1_16scan_by_key_implILNS1_25lookback_scan_determinismE0ELb1ES3_N6thrust23THRUST_200600_302600_NS6detail15normal_iteratorINS9_10device_ptrIsEEEESE_SE_sNS9_4plusIvEENS9_8equal_toIvEEsEE10hipError_tPvRmT2_T3_T4_T5_mT6_T7_P12ihipStream_tbENKUlT_T0_E_clISt17integral_constantIbLb1EESY_IbLb0EEEEDaSU_SV_EUlSU_E_NS1_11comp_targetILNS1_3genE8ELNS1_11target_archE1030ELNS1_3gpuE2ELNS1_3repE0EEENS1_30default_config_static_selectorELNS0_4arch9wavefront6targetE1EEEvT1_
		.amdhsa_group_segment_fixed_size 0
		.amdhsa_private_segment_fixed_size 0
		.amdhsa_kernarg_size 112
		.amdhsa_user_sgpr_count 6
		.amdhsa_user_sgpr_private_segment_buffer 1
		.amdhsa_user_sgpr_dispatch_ptr 0
		.amdhsa_user_sgpr_queue_ptr 0
		.amdhsa_user_sgpr_kernarg_segment_ptr 1
		.amdhsa_user_sgpr_dispatch_id 0
		.amdhsa_user_sgpr_flat_scratch_init 0
		.amdhsa_user_sgpr_kernarg_preload_length 0
		.amdhsa_user_sgpr_kernarg_preload_offset 0
		.amdhsa_user_sgpr_private_segment_size 0
		.amdhsa_uses_dynamic_stack 0
		.amdhsa_system_sgpr_private_segment_wavefront_offset 0
		.amdhsa_system_sgpr_workgroup_id_x 1
		.amdhsa_system_sgpr_workgroup_id_y 0
		.amdhsa_system_sgpr_workgroup_id_z 0
		.amdhsa_system_sgpr_workgroup_info 0
		.amdhsa_system_vgpr_workitem_id 0
		.amdhsa_next_free_vgpr 1
		.amdhsa_next_free_sgpr 0
		.amdhsa_accum_offset 4
		.amdhsa_reserve_vcc 0
		.amdhsa_reserve_flat_scratch 0
		.amdhsa_float_round_mode_32 0
		.amdhsa_float_round_mode_16_64 0
		.amdhsa_float_denorm_mode_32 3
		.amdhsa_float_denorm_mode_16_64 3
		.amdhsa_dx10_clamp 1
		.amdhsa_ieee_mode 1
		.amdhsa_fp16_overflow 0
		.amdhsa_tg_split 0
		.amdhsa_exception_fp_ieee_invalid_op 0
		.amdhsa_exception_fp_denorm_src 0
		.amdhsa_exception_fp_ieee_div_zero 0
		.amdhsa_exception_fp_ieee_overflow 0
		.amdhsa_exception_fp_ieee_underflow 0
		.amdhsa_exception_fp_ieee_inexact 0
		.amdhsa_exception_int_div_zero 0
	.end_amdhsa_kernel
	.section	.text._ZN7rocprim17ROCPRIM_400000_NS6detail17trampoline_kernelINS0_14default_configENS1_27scan_by_key_config_selectorIssEEZZNS1_16scan_by_key_implILNS1_25lookback_scan_determinismE0ELb1ES3_N6thrust23THRUST_200600_302600_NS6detail15normal_iteratorINS9_10device_ptrIsEEEESE_SE_sNS9_4plusIvEENS9_8equal_toIvEEsEE10hipError_tPvRmT2_T3_T4_T5_mT6_T7_P12ihipStream_tbENKUlT_T0_E_clISt17integral_constantIbLb1EESY_IbLb0EEEEDaSU_SV_EUlSU_E_NS1_11comp_targetILNS1_3genE8ELNS1_11target_archE1030ELNS1_3gpuE2ELNS1_3repE0EEENS1_30default_config_static_selectorELNS0_4arch9wavefront6targetE1EEEvT1_,"axG",@progbits,_ZN7rocprim17ROCPRIM_400000_NS6detail17trampoline_kernelINS0_14default_configENS1_27scan_by_key_config_selectorIssEEZZNS1_16scan_by_key_implILNS1_25lookback_scan_determinismE0ELb1ES3_N6thrust23THRUST_200600_302600_NS6detail15normal_iteratorINS9_10device_ptrIsEEEESE_SE_sNS9_4plusIvEENS9_8equal_toIvEEsEE10hipError_tPvRmT2_T3_T4_T5_mT6_T7_P12ihipStream_tbENKUlT_T0_E_clISt17integral_constantIbLb1EESY_IbLb0EEEEDaSU_SV_EUlSU_E_NS1_11comp_targetILNS1_3genE8ELNS1_11target_archE1030ELNS1_3gpuE2ELNS1_3repE0EEENS1_30default_config_static_selectorELNS0_4arch9wavefront6targetE1EEEvT1_,comdat
.Lfunc_end595:
	.size	_ZN7rocprim17ROCPRIM_400000_NS6detail17trampoline_kernelINS0_14default_configENS1_27scan_by_key_config_selectorIssEEZZNS1_16scan_by_key_implILNS1_25lookback_scan_determinismE0ELb1ES3_N6thrust23THRUST_200600_302600_NS6detail15normal_iteratorINS9_10device_ptrIsEEEESE_SE_sNS9_4plusIvEENS9_8equal_toIvEEsEE10hipError_tPvRmT2_T3_T4_T5_mT6_T7_P12ihipStream_tbENKUlT_T0_E_clISt17integral_constantIbLb1EESY_IbLb0EEEEDaSU_SV_EUlSU_E_NS1_11comp_targetILNS1_3genE8ELNS1_11target_archE1030ELNS1_3gpuE2ELNS1_3repE0EEENS1_30default_config_static_selectorELNS0_4arch9wavefront6targetE1EEEvT1_, .Lfunc_end595-_ZN7rocprim17ROCPRIM_400000_NS6detail17trampoline_kernelINS0_14default_configENS1_27scan_by_key_config_selectorIssEEZZNS1_16scan_by_key_implILNS1_25lookback_scan_determinismE0ELb1ES3_N6thrust23THRUST_200600_302600_NS6detail15normal_iteratorINS9_10device_ptrIsEEEESE_SE_sNS9_4plusIvEENS9_8equal_toIvEEsEE10hipError_tPvRmT2_T3_T4_T5_mT6_T7_P12ihipStream_tbENKUlT_T0_E_clISt17integral_constantIbLb1EESY_IbLb0EEEEDaSU_SV_EUlSU_E_NS1_11comp_targetILNS1_3genE8ELNS1_11target_archE1030ELNS1_3gpuE2ELNS1_3repE0EEENS1_30default_config_static_selectorELNS0_4arch9wavefront6targetE1EEEvT1_
                                        ; -- End function
	.section	.AMDGPU.csdata,"",@progbits
; Kernel info:
; codeLenInByte = 0
; NumSgprs: 4
; NumVgprs: 0
; NumAgprs: 0
; TotalNumVgprs: 0
; ScratchSize: 0
; MemoryBound: 0
; FloatMode: 240
; IeeeMode: 1
; LDSByteSize: 0 bytes/workgroup (compile time only)
; SGPRBlocks: 0
; VGPRBlocks: 0
; NumSGPRsForWavesPerEU: 4
; NumVGPRsForWavesPerEU: 1
; AccumOffset: 4
; Occupancy: 8
; WaveLimiterHint : 0
; COMPUTE_PGM_RSRC2:SCRATCH_EN: 0
; COMPUTE_PGM_RSRC2:USER_SGPR: 6
; COMPUTE_PGM_RSRC2:TRAP_HANDLER: 0
; COMPUTE_PGM_RSRC2:TGID_X_EN: 1
; COMPUTE_PGM_RSRC2:TGID_Y_EN: 0
; COMPUTE_PGM_RSRC2:TGID_Z_EN: 0
; COMPUTE_PGM_RSRC2:TIDIG_COMP_CNT: 0
; COMPUTE_PGM_RSRC3_GFX90A:ACCUM_OFFSET: 0
; COMPUTE_PGM_RSRC3_GFX90A:TG_SPLIT: 0
	.section	.text._ZN7rocprim17ROCPRIM_400000_NS6detail17trampoline_kernelINS0_14default_configENS1_27scan_by_key_config_selectorIssEEZZNS1_16scan_by_key_implILNS1_25lookback_scan_determinismE0ELb1ES3_N6thrust23THRUST_200600_302600_NS6detail15normal_iteratorINS9_10device_ptrIsEEEESE_SE_sNS9_4plusIvEENS9_8equal_toIvEEsEE10hipError_tPvRmT2_T3_T4_T5_mT6_T7_P12ihipStream_tbENKUlT_T0_E_clISt17integral_constantIbLb0EESY_IbLb1EEEEDaSU_SV_EUlSU_E_NS1_11comp_targetILNS1_3genE0ELNS1_11target_archE4294967295ELNS1_3gpuE0ELNS1_3repE0EEENS1_30default_config_static_selectorELNS0_4arch9wavefront6targetE1EEEvT1_,"axG",@progbits,_ZN7rocprim17ROCPRIM_400000_NS6detail17trampoline_kernelINS0_14default_configENS1_27scan_by_key_config_selectorIssEEZZNS1_16scan_by_key_implILNS1_25lookback_scan_determinismE0ELb1ES3_N6thrust23THRUST_200600_302600_NS6detail15normal_iteratorINS9_10device_ptrIsEEEESE_SE_sNS9_4plusIvEENS9_8equal_toIvEEsEE10hipError_tPvRmT2_T3_T4_T5_mT6_T7_P12ihipStream_tbENKUlT_T0_E_clISt17integral_constantIbLb0EESY_IbLb1EEEEDaSU_SV_EUlSU_E_NS1_11comp_targetILNS1_3genE0ELNS1_11target_archE4294967295ELNS1_3gpuE0ELNS1_3repE0EEENS1_30default_config_static_selectorELNS0_4arch9wavefront6targetE1EEEvT1_,comdat
	.protected	_ZN7rocprim17ROCPRIM_400000_NS6detail17trampoline_kernelINS0_14default_configENS1_27scan_by_key_config_selectorIssEEZZNS1_16scan_by_key_implILNS1_25lookback_scan_determinismE0ELb1ES3_N6thrust23THRUST_200600_302600_NS6detail15normal_iteratorINS9_10device_ptrIsEEEESE_SE_sNS9_4plusIvEENS9_8equal_toIvEEsEE10hipError_tPvRmT2_T3_T4_T5_mT6_T7_P12ihipStream_tbENKUlT_T0_E_clISt17integral_constantIbLb0EESY_IbLb1EEEEDaSU_SV_EUlSU_E_NS1_11comp_targetILNS1_3genE0ELNS1_11target_archE4294967295ELNS1_3gpuE0ELNS1_3repE0EEENS1_30default_config_static_selectorELNS0_4arch9wavefront6targetE1EEEvT1_ ; -- Begin function _ZN7rocprim17ROCPRIM_400000_NS6detail17trampoline_kernelINS0_14default_configENS1_27scan_by_key_config_selectorIssEEZZNS1_16scan_by_key_implILNS1_25lookback_scan_determinismE0ELb1ES3_N6thrust23THRUST_200600_302600_NS6detail15normal_iteratorINS9_10device_ptrIsEEEESE_SE_sNS9_4plusIvEENS9_8equal_toIvEEsEE10hipError_tPvRmT2_T3_T4_T5_mT6_T7_P12ihipStream_tbENKUlT_T0_E_clISt17integral_constantIbLb0EESY_IbLb1EEEEDaSU_SV_EUlSU_E_NS1_11comp_targetILNS1_3genE0ELNS1_11target_archE4294967295ELNS1_3gpuE0ELNS1_3repE0EEENS1_30default_config_static_selectorELNS0_4arch9wavefront6targetE1EEEvT1_
	.globl	_ZN7rocprim17ROCPRIM_400000_NS6detail17trampoline_kernelINS0_14default_configENS1_27scan_by_key_config_selectorIssEEZZNS1_16scan_by_key_implILNS1_25lookback_scan_determinismE0ELb1ES3_N6thrust23THRUST_200600_302600_NS6detail15normal_iteratorINS9_10device_ptrIsEEEESE_SE_sNS9_4plusIvEENS9_8equal_toIvEEsEE10hipError_tPvRmT2_T3_T4_T5_mT6_T7_P12ihipStream_tbENKUlT_T0_E_clISt17integral_constantIbLb0EESY_IbLb1EEEEDaSU_SV_EUlSU_E_NS1_11comp_targetILNS1_3genE0ELNS1_11target_archE4294967295ELNS1_3gpuE0ELNS1_3repE0EEENS1_30default_config_static_selectorELNS0_4arch9wavefront6targetE1EEEvT1_
	.p2align	8
	.type	_ZN7rocprim17ROCPRIM_400000_NS6detail17trampoline_kernelINS0_14default_configENS1_27scan_by_key_config_selectorIssEEZZNS1_16scan_by_key_implILNS1_25lookback_scan_determinismE0ELb1ES3_N6thrust23THRUST_200600_302600_NS6detail15normal_iteratorINS9_10device_ptrIsEEEESE_SE_sNS9_4plusIvEENS9_8equal_toIvEEsEE10hipError_tPvRmT2_T3_T4_T5_mT6_T7_P12ihipStream_tbENKUlT_T0_E_clISt17integral_constantIbLb0EESY_IbLb1EEEEDaSU_SV_EUlSU_E_NS1_11comp_targetILNS1_3genE0ELNS1_11target_archE4294967295ELNS1_3gpuE0ELNS1_3repE0EEENS1_30default_config_static_selectorELNS0_4arch9wavefront6targetE1EEEvT1_,@function
_ZN7rocprim17ROCPRIM_400000_NS6detail17trampoline_kernelINS0_14default_configENS1_27scan_by_key_config_selectorIssEEZZNS1_16scan_by_key_implILNS1_25lookback_scan_determinismE0ELb1ES3_N6thrust23THRUST_200600_302600_NS6detail15normal_iteratorINS9_10device_ptrIsEEEESE_SE_sNS9_4plusIvEENS9_8equal_toIvEEsEE10hipError_tPvRmT2_T3_T4_T5_mT6_T7_P12ihipStream_tbENKUlT_T0_E_clISt17integral_constantIbLb0EESY_IbLb1EEEEDaSU_SV_EUlSU_E_NS1_11comp_targetILNS1_3genE0ELNS1_11target_archE4294967295ELNS1_3gpuE0ELNS1_3repE0EEENS1_30default_config_static_selectorELNS0_4arch9wavefront6targetE1EEEvT1_: ; @_ZN7rocprim17ROCPRIM_400000_NS6detail17trampoline_kernelINS0_14default_configENS1_27scan_by_key_config_selectorIssEEZZNS1_16scan_by_key_implILNS1_25lookback_scan_determinismE0ELb1ES3_N6thrust23THRUST_200600_302600_NS6detail15normal_iteratorINS9_10device_ptrIsEEEESE_SE_sNS9_4plusIvEENS9_8equal_toIvEEsEE10hipError_tPvRmT2_T3_T4_T5_mT6_T7_P12ihipStream_tbENKUlT_T0_E_clISt17integral_constantIbLb0EESY_IbLb1EEEEDaSU_SV_EUlSU_E_NS1_11comp_targetILNS1_3genE0ELNS1_11target_archE4294967295ELNS1_3gpuE0ELNS1_3repE0EEENS1_30default_config_static_selectorELNS0_4arch9wavefront6targetE1EEEvT1_
; %bb.0:
	.section	.rodata,"a",@progbits
	.p2align	6, 0x0
	.amdhsa_kernel _ZN7rocprim17ROCPRIM_400000_NS6detail17trampoline_kernelINS0_14default_configENS1_27scan_by_key_config_selectorIssEEZZNS1_16scan_by_key_implILNS1_25lookback_scan_determinismE0ELb1ES3_N6thrust23THRUST_200600_302600_NS6detail15normal_iteratorINS9_10device_ptrIsEEEESE_SE_sNS9_4plusIvEENS9_8equal_toIvEEsEE10hipError_tPvRmT2_T3_T4_T5_mT6_T7_P12ihipStream_tbENKUlT_T0_E_clISt17integral_constantIbLb0EESY_IbLb1EEEEDaSU_SV_EUlSU_E_NS1_11comp_targetILNS1_3genE0ELNS1_11target_archE4294967295ELNS1_3gpuE0ELNS1_3repE0EEENS1_30default_config_static_selectorELNS0_4arch9wavefront6targetE1EEEvT1_
		.amdhsa_group_segment_fixed_size 0
		.amdhsa_private_segment_fixed_size 0
		.amdhsa_kernarg_size 112
		.amdhsa_user_sgpr_count 6
		.amdhsa_user_sgpr_private_segment_buffer 1
		.amdhsa_user_sgpr_dispatch_ptr 0
		.amdhsa_user_sgpr_queue_ptr 0
		.amdhsa_user_sgpr_kernarg_segment_ptr 1
		.amdhsa_user_sgpr_dispatch_id 0
		.amdhsa_user_sgpr_flat_scratch_init 0
		.amdhsa_user_sgpr_kernarg_preload_length 0
		.amdhsa_user_sgpr_kernarg_preload_offset 0
		.amdhsa_user_sgpr_private_segment_size 0
		.amdhsa_uses_dynamic_stack 0
		.amdhsa_system_sgpr_private_segment_wavefront_offset 0
		.amdhsa_system_sgpr_workgroup_id_x 1
		.amdhsa_system_sgpr_workgroup_id_y 0
		.amdhsa_system_sgpr_workgroup_id_z 0
		.amdhsa_system_sgpr_workgroup_info 0
		.amdhsa_system_vgpr_workitem_id 0
		.amdhsa_next_free_vgpr 1
		.amdhsa_next_free_sgpr 0
		.amdhsa_accum_offset 4
		.amdhsa_reserve_vcc 0
		.amdhsa_reserve_flat_scratch 0
		.amdhsa_float_round_mode_32 0
		.amdhsa_float_round_mode_16_64 0
		.amdhsa_float_denorm_mode_32 3
		.amdhsa_float_denorm_mode_16_64 3
		.amdhsa_dx10_clamp 1
		.amdhsa_ieee_mode 1
		.amdhsa_fp16_overflow 0
		.amdhsa_tg_split 0
		.amdhsa_exception_fp_ieee_invalid_op 0
		.amdhsa_exception_fp_denorm_src 0
		.amdhsa_exception_fp_ieee_div_zero 0
		.amdhsa_exception_fp_ieee_overflow 0
		.amdhsa_exception_fp_ieee_underflow 0
		.amdhsa_exception_fp_ieee_inexact 0
		.amdhsa_exception_int_div_zero 0
	.end_amdhsa_kernel
	.section	.text._ZN7rocprim17ROCPRIM_400000_NS6detail17trampoline_kernelINS0_14default_configENS1_27scan_by_key_config_selectorIssEEZZNS1_16scan_by_key_implILNS1_25lookback_scan_determinismE0ELb1ES3_N6thrust23THRUST_200600_302600_NS6detail15normal_iteratorINS9_10device_ptrIsEEEESE_SE_sNS9_4plusIvEENS9_8equal_toIvEEsEE10hipError_tPvRmT2_T3_T4_T5_mT6_T7_P12ihipStream_tbENKUlT_T0_E_clISt17integral_constantIbLb0EESY_IbLb1EEEEDaSU_SV_EUlSU_E_NS1_11comp_targetILNS1_3genE0ELNS1_11target_archE4294967295ELNS1_3gpuE0ELNS1_3repE0EEENS1_30default_config_static_selectorELNS0_4arch9wavefront6targetE1EEEvT1_,"axG",@progbits,_ZN7rocprim17ROCPRIM_400000_NS6detail17trampoline_kernelINS0_14default_configENS1_27scan_by_key_config_selectorIssEEZZNS1_16scan_by_key_implILNS1_25lookback_scan_determinismE0ELb1ES3_N6thrust23THRUST_200600_302600_NS6detail15normal_iteratorINS9_10device_ptrIsEEEESE_SE_sNS9_4plusIvEENS9_8equal_toIvEEsEE10hipError_tPvRmT2_T3_T4_T5_mT6_T7_P12ihipStream_tbENKUlT_T0_E_clISt17integral_constantIbLb0EESY_IbLb1EEEEDaSU_SV_EUlSU_E_NS1_11comp_targetILNS1_3genE0ELNS1_11target_archE4294967295ELNS1_3gpuE0ELNS1_3repE0EEENS1_30default_config_static_selectorELNS0_4arch9wavefront6targetE1EEEvT1_,comdat
.Lfunc_end596:
	.size	_ZN7rocprim17ROCPRIM_400000_NS6detail17trampoline_kernelINS0_14default_configENS1_27scan_by_key_config_selectorIssEEZZNS1_16scan_by_key_implILNS1_25lookback_scan_determinismE0ELb1ES3_N6thrust23THRUST_200600_302600_NS6detail15normal_iteratorINS9_10device_ptrIsEEEESE_SE_sNS9_4plusIvEENS9_8equal_toIvEEsEE10hipError_tPvRmT2_T3_T4_T5_mT6_T7_P12ihipStream_tbENKUlT_T0_E_clISt17integral_constantIbLb0EESY_IbLb1EEEEDaSU_SV_EUlSU_E_NS1_11comp_targetILNS1_3genE0ELNS1_11target_archE4294967295ELNS1_3gpuE0ELNS1_3repE0EEENS1_30default_config_static_selectorELNS0_4arch9wavefront6targetE1EEEvT1_, .Lfunc_end596-_ZN7rocprim17ROCPRIM_400000_NS6detail17trampoline_kernelINS0_14default_configENS1_27scan_by_key_config_selectorIssEEZZNS1_16scan_by_key_implILNS1_25lookback_scan_determinismE0ELb1ES3_N6thrust23THRUST_200600_302600_NS6detail15normal_iteratorINS9_10device_ptrIsEEEESE_SE_sNS9_4plusIvEENS9_8equal_toIvEEsEE10hipError_tPvRmT2_T3_T4_T5_mT6_T7_P12ihipStream_tbENKUlT_T0_E_clISt17integral_constantIbLb0EESY_IbLb1EEEEDaSU_SV_EUlSU_E_NS1_11comp_targetILNS1_3genE0ELNS1_11target_archE4294967295ELNS1_3gpuE0ELNS1_3repE0EEENS1_30default_config_static_selectorELNS0_4arch9wavefront6targetE1EEEvT1_
                                        ; -- End function
	.section	.AMDGPU.csdata,"",@progbits
; Kernel info:
; codeLenInByte = 0
; NumSgprs: 4
; NumVgprs: 0
; NumAgprs: 0
; TotalNumVgprs: 0
; ScratchSize: 0
; MemoryBound: 0
; FloatMode: 240
; IeeeMode: 1
; LDSByteSize: 0 bytes/workgroup (compile time only)
; SGPRBlocks: 0
; VGPRBlocks: 0
; NumSGPRsForWavesPerEU: 4
; NumVGPRsForWavesPerEU: 1
; AccumOffset: 4
; Occupancy: 8
; WaveLimiterHint : 0
; COMPUTE_PGM_RSRC2:SCRATCH_EN: 0
; COMPUTE_PGM_RSRC2:USER_SGPR: 6
; COMPUTE_PGM_RSRC2:TRAP_HANDLER: 0
; COMPUTE_PGM_RSRC2:TGID_X_EN: 1
; COMPUTE_PGM_RSRC2:TGID_Y_EN: 0
; COMPUTE_PGM_RSRC2:TGID_Z_EN: 0
; COMPUTE_PGM_RSRC2:TIDIG_COMP_CNT: 0
; COMPUTE_PGM_RSRC3_GFX90A:ACCUM_OFFSET: 0
; COMPUTE_PGM_RSRC3_GFX90A:TG_SPLIT: 0
	.section	.text._ZN7rocprim17ROCPRIM_400000_NS6detail17trampoline_kernelINS0_14default_configENS1_27scan_by_key_config_selectorIssEEZZNS1_16scan_by_key_implILNS1_25lookback_scan_determinismE0ELb1ES3_N6thrust23THRUST_200600_302600_NS6detail15normal_iteratorINS9_10device_ptrIsEEEESE_SE_sNS9_4plusIvEENS9_8equal_toIvEEsEE10hipError_tPvRmT2_T3_T4_T5_mT6_T7_P12ihipStream_tbENKUlT_T0_E_clISt17integral_constantIbLb0EESY_IbLb1EEEEDaSU_SV_EUlSU_E_NS1_11comp_targetILNS1_3genE10ELNS1_11target_archE1201ELNS1_3gpuE5ELNS1_3repE0EEENS1_30default_config_static_selectorELNS0_4arch9wavefront6targetE1EEEvT1_,"axG",@progbits,_ZN7rocprim17ROCPRIM_400000_NS6detail17trampoline_kernelINS0_14default_configENS1_27scan_by_key_config_selectorIssEEZZNS1_16scan_by_key_implILNS1_25lookback_scan_determinismE0ELb1ES3_N6thrust23THRUST_200600_302600_NS6detail15normal_iteratorINS9_10device_ptrIsEEEESE_SE_sNS9_4plusIvEENS9_8equal_toIvEEsEE10hipError_tPvRmT2_T3_T4_T5_mT6_T7_P12ihipStream_tbENKUlT_T0_E_clISt17integral_constantIbLb0EESY_IbLb1EEEEDaSU_SV_EUlSU_E_NS1_11comp_targetILNS1_3genE10ELNS1_11target_archE1201ELNS1_3gpuE5ELNS1_3repE0EEENS1_30default_config_static_selectorELNS0_4arch9wavefront6targetE1EEEvT1_,comdat
	.protected	_ZN7rocprim17ROCPRIM_400000_NS6detail17trampoline_kernelINS0_14default_configENS1_27scan_by_key_config_selectorIssEEZZNS1_16scan_by_key_implILNS1_25lookback_scan_determinismE0ELb1ES3_N6thrust23THRUST_200600_302600_NS6detail15normal_iteratorINS9_10device_ptrIsEEEESE_SE_sNS9_4plusIvEENS9_8equal_toIvEEsEE10hipError_tPvRmT2_T3_T4_T5_mT6_T7_P12ihipStream_tbENKUlT_T0_E_clISt17integral_constantIbLb0EESY_IbLb1EEEEDaSU_SV_EUlSU_E_NS1_11comp_targetILNS1_3genE10ELNS1_11target_archE1201ELNS1_3gpuE5ELNS1_3repE0EEENS1_30default_config_static_selectorELNS0_4arch9wavefront6targetE1EEEvT1_ ; -- Begin function _ZN7rocprim17ROCPRIM_400000_NS6detail17trampoline_kernelINS0_14default_configENS1_27scan_by_key_config_selectorIssEEZZNS1_16scan_by_key_implILNS1_25lookback_scan_determinismE0ELb1ES3_N6thrust23THRUST_200600_302600_NS6detail15normal_iteratorINS9_10device_ptrIsEEEESE_SE_sNS9_4plusIvEENS9_8equal_toIvEEsEE10hipError_tPvRmT2_T3_T4_T5_mT6_T7_P12ihipStream_tbENKUlT_T0_E_clISt17integral_constantIbLb0EESY_IbLb1EEEEDaSU_SV_EUlSU_E_NS1_11comp_targetILNS1_3genE10ELNS1_11target_archE1201ELNS1_3gpuE5ELNS1_3repE0EEENS1_30default_config_static_selectorELNS0_4arch9wavefront6targetE1EEEvT1_
	.globl	_ZN7rocprim17ROCPRIM_400000_NS6detail17trampoline_kernelINS0_14default_configENS1_27scan_by_key_config_selectorIssEEZZNS1_16scan_by_key_implILNS1_25lookback_scan_determinismE0ELb1ES3_N6thrust23THRUST_200600_302600_NS6detail15normal_iteratorINS9_10device_ptrIsEEEESE_SE_sNS9_4plusIvEENS9_8equal_toIvEEsEE10hipError_tPvRmT2_T3_T4_T5_mT6_T7_P12ihipStream_tbENKUlT_T0_E_clISt17integral_constantIbLb0EESY_IbLb1EEEEDaSU_SV_EUlSU_E_NS1_11comp_targetILNS1_3genE10ELNS1_11target_archE1201ELNS1_3gpuE5ELNS1_3repE0EEENS1_30default_config_static_selectorELNS0_4arch9wavefront6targetE1EEEvT1_
	.p2align	8
	.type	_ZN7rocprim17ROCPRIM_400000_NS6detail17trampoline_kernelINS0_14default_configENS1_27scan_by_key_config_selectorIssEEZZNS1_16scan_by_key_implILNS1_25lookback_scan_determinismE0ELb1ES3_N6thrust23THRUST_200600_302600_NS6detail15normal_iteratorINS9_10device_ptrIsEEEESE_SE_sNS9_4plusIvEENS9_8equal_toIvEEsEE10hipError_tPvRmT2_T3_T4_T5_mT6_T7_P12ihipStream_tbENKUlT_T0_E_clISt17integral_constantIbLb0EESY_IbLb1EEEEDaSU_SV_EUlSU_E_NS1_11comp_targetILNS1_3genE10ELNS1_11target_archE1201ELNS1_3gpuE5ELNS1_3repE0EEENS1_30default_config_static_selectorELNS0_4arch9wavefront6targetE1EEEvT1_,@function
_ZN7rocprim17ROCPRIM_400000_NS6detail17trampoline_kernelINS0_14default_configENS1_27scan_by_key_config_selectorIssEEZZNS1_16scan_by_key_implILNS1_25lookback_scan_determinismE0ELb1ES3_N6thrust23THRUST_200600_302600_NS6detail15normal_iteratorINS9_10device_ptrIsEEEESE_SE_sNS9_4plusIvEENS9_8equal_toIvEEsEE10hipError_tPvRmT2_T3_T4_T5_mT6_T7_P12ihipStream_tbENKUlT_T0_E_clISt17integral_constantIbLb0EESY_IbLb1EEEEDaSU_SV_EUlSU_E_NS1_11comp_targetILNS1_3genE10ELNS1_11target_archE1201ELNS1_3gpuE5ELNS1_3repE0EEENS1_30default_config_static_selectorELNS0_4arch9wavefront6targetE1EEEvT1_: ; @_ZN7rocprim17ROCPRIM_400000_NS6detail17trampoline_kernelINS0_14default_configENS1_27scan_by_key_config_selectorIssEEZZNS1_16scan_by_key_implILNS1_25lookback_scan_determinismE0ELb1ES3_N6thrust23THRUST_200600_302600_NS6detail15normal_iteratorINS9_10device_ptrIsEEEESE_SE_sNS9_4plusIvEENS9_8equal_toIvEEsEE10hipError_tPvRmT2_T3_T4_T5_mT6_T7_P12ihipStream_tbENKUlT_T0_E_clISt17integral_constantIbLb0EESY_IbLb1EEEEDaSU_SV_EUlSU_E_NS1_11comp_targetILNS1_3genE10ELNS1_11target_archE1201ELNS1_3gpuE5ELNS1_3repE0EEENS1_30default_config_static_selectorELNS0_4arch9wavefront6targetE1EEEvT1_
; %bb.0:
	.section	.rodata,"a",@progbits
	.p2align	6, 0x0
	.amdhsa_kernel _ZN7rocprim17ROCPRIM_400000_NS6detail17trampoline_kernelINS0_14default_configENS1_27scan_by_key_config_selectorIssEEZZNS1_16scan_by_key_implILNS1_25lookback_scan_determinismE0ELb1ES3_N6thrust23THRUST_200600_302600_NS6detail15normal_iteratorINS9_10device_ptrIsEEEESE_SE_sNS9_4plusIvEENS9_8equal_toIvEEsEE10hipError_tPvRmT2_T3_T4_T5_mT6_T7_P12ihipStream_tbENKUlT_T0_E_clISt17integral_constantIbLb0EESY_IbLb1EEEEDaSU_SV_EUlSU_E_NS1_11comp_targetILNS1_3genE10ELNS1_11target_archE1201ELNS1_3gpuE5ELNS1_3repE0EEENS1_30default_config_static_selectorELNS0_4arch9wavefront6targetE1EEEvT1_
		.amdhsa_group_segment_fixed_size 0
		.amdhsa_private_segment_fixed_size 0
		.amdhsa_kernarg_size 112
		.amdhsa_user_sgpr_count 6
		.amdhsa_user_sgpr_private_segment_buffer 1
		.amdhsa_user_sgpr_dispatch_ptr 0
		.amdhsa_user_sgpr_queue_ptr 0
		.amdhsa_user_sgpr_kernarg_segment_ptr 1
		.amdhsa_user_sgpr_dispatch_id 0
		.amdhsa_user_sgpr_flat_scratch_init 0
		.amdhsa_user_sgpr_kernarg_preload_length 0
		.amdhsa_user_sgpr_kernarg_preload_offset 0
		.amdhsa_user_sgpr_private_segment_size 0
		.amdhsa_uses_dynamic_stack 0
		.amdhsa_system_sgpr_private_segment_wavefront_offset 0
		.amdhsa_system_sgpr_workgroup_id_x 1
		.amdhsa_system_sgpr_workgroup_id_y 0
		.amdhsa_system_sgpr_workgroup_id_z 0
		.amdhsa_system_sgpr_workgroup_info 0
		.amdhsa_system_vgpr_workitem_id 0
		.amdhsa_next_free_vgpr 1
		.amdhsa_next_free_sgpr 0
		.amdhsa_accum_offset 4
		.amdhsa_reserve_vcc 0
		.amdhsa_reserve_flat_scratch 0
		.amdhsa_float_round_mode_32 0
		.amdhsa_float_round_mode_16_64 0
		.amdhsa_float_denorm_mode_32 3
		.amdhsa_float_denorm_mode_16_64 3
		.amdhsa_dx10_clamp 1
		.amdhsa_ieee_mode 1
		.amdhsa_fp16_overflow 0
		.amdhsa_tg_split 0
		.amdhsa_exception_fp_ieee_invalid_op 0
		.amdhsa_exception_fp_denorm_src 0
		.amdhsa_exception_fp_ieee_div_zero 0
		.amdhsa_exception_fp_ieee_overflow 0
		.amdhsa_exception_fp_ieee_underflow 0
		.amdhsa_exception_fp_ieee_inexact 0
		.amdhsa_exception_int_div_zero 0
	.end_amdhsa_kernel
	.section	.text._ZN7rocprim17ROCPRIM_400000_NS6detail17trampoline_kernelINS0_14default_configENS1_27scan_by_key_config_selectorIssEEZZNS1_16scan_by_key_implILNS1_25lookback_scan_determinismE0ELb1ES3_N6thrust23THRUST_200600_302600_NS6detail15normal_iteratorINS9_10device_ptrIsEEEESE_SE_sNS9_4plusIvEENS9_8equal_toIvEEsEE10hipError_tPvRmT2_T3_T4_T5_mT6_T7_P12ihipStream_tbENKUlT_T0_E_clISt17integral_constantIbLb0EESY_IbLb1EEEEDaSU_SV_EUlSU_E_NS1_11comp_targetILNS1_3genE10ELNS1_11target_archE1201ELNS1_3gpuE5ELNS1_3repE0EEENS1_30default_config_static_selectorELNS0_4arch9wavefront6targetE1EEEvT1_,"axG",@progbits,_ZN7rocprim17ROCPRIM_400000_NS6detail17trampoline_kernelINS0_14default_configENS1_27scan_by_key_config_selectorIssEEZZNS1_16scan_by_key_implILNS1_25lookback_scan_determinismE0ELb1ES3_N6thrust23THRUST_200600_302600_NS6detail15normal_iteratorINS9_10device_ptrIsEEEESE_SE_sNS9_4plusIvEENS9_8equal_toIvEEsEE10hipError_tPvRmT2_T3_T4_T5_mT6_T7_P12ihipStream_tbENKUlT_T0_E_clISt17integral_constantIbLb0EESY_IbLb1EEEEDaSU_SV_EUlSU_E_NS1_11comp_targetILNS1_3genE10ELNS1_11target_archE1201ELNS1_3gpuE5ELNS1_3repE0EEENS1_30default_config_static_selectorELNS0_4arch9wavefront6targetE1EEEvT1_,comdat
.Lfunc_end597:
	.size	_ZN7rocprim17ROCPRIM_400000_NS6detail17trampoline_kernelINS0_14default_configENS1_27scan_by_key_config_selectorIssEEZZNS1_16scan_by_key_implILNS1_25lookback_scan_determinismE0ELb1ES3_N6thrust23THRUST_200600_302600_NS6detail15normal_iteratorINS9_10device_ptrIsEEEESE_SE_sNS9_4plusIvEENS9_8equal_toIvEEsEE10hipError_tPvRmT2_T3_T4_T5_mT6_T7_P12ihipStream_tbENKUlT_T0_E_clISt17integral_constantIbLb0EESY_IbLb1EEEEDaSU_SV_EUlSU_E_NS1_11comp_targetILNS1_3genE10ELNS1_11target_archE1201ELNS1_3gpuE5ELNS1_3repE0EEENS1_30default_config_static_selectorELNS0_4arch9wavefront6targetE1EEEvT1_, .Lfunc_end597-_ZN7rocprim17ROCPRIM_400000_NS6detail17trampoline_kernelINS0_14default_configENS1_27scan_by_key_config_selectorIssEEZZNS1_16scan_by_key_implILNS1_25lookback_scan_determinismE0ELb1ES3_N6thrust23THRUST_200600_302600_NS6detail15normal_iteratorINS9_10device_ptrIsEEEESE_SE_sNS9_4plusIvEENS9_8equal_toIvEEsEE10hipError_tPvRmT2_T3_T4_T5_mT6_T7_P12ihipStream_tbENKUlT_T0_E_clISt17integral_constantIbLb0EESY_IbLb1EEEEDaSU_SV_EUlSU_E_NS1_11comp_targetILNS1_3genE10ELNS1_11target_archE1201ELNS1_3gpuE5ELNS1_3repE0EEENS1_30default_config_static_selectorELNS0_4arch9wavefront6targetE1EEEvT1_
                                        ; -- End function
	.section	.AMDGPU.csdata,"",@progbits
; Kernel info:
; codeLenInByte = 0
; NumSgprs: 4
; NumVgprs: 0
; NumAgprs: 0
; TotalNumVgprs: 0
; ScratchSize: 0
; MemoryBound: 0
; FloatMode: 240
; IeeeMode: 1
; LDSByteSize: 0 bytes/workgroup (compile time only)
; SGPRBlocks: 0
; VGPRBlocks: 0
; NumSGPRsForWavesPerEU: 4
; NumVGPRsForWavesPerEU: 1
; AccumOffset: 4
; Occupancy: 8
; WaveLimiterHint : 0
; COMPUTE_PGM_RSRC2:SCRATCH_EN: 0
; COMPUTE_PGM_RSRC2:USER_SGPR: 6
; COMPUTE_PGM_RSRC2:TRAP_HANDLER: 0
; COMPUTE_PGM_RSRC2:TGID_X_EN: 1
; COMPUTE_PGM_RSRC2:TGID_Y_EN: 0
; COMPUTE_PGM_RSRC2:TGID_Z_EN: 0
; COMPUTE_PGM_RSRC2:TIDIG_COMP_CNT: 0
; COMPUTE_PGM_RSRC3_GFX90A:ACCUM_OFFSET: 0
; COMPUTE_PGM_RSRC3_GFX90A:TG_SPLIT: 0
	.section	.text._ZN7rocprim17ROCPRIM_400000_NS6detail17trampoline_kernelINS0_14default_configENS1_27scan_by_key_config_selectorIssEEZZNS1_16scan_by_key_implILNS1_25lookback_scan_determinismE0ELb1ES3_N6thrust23THRUST_200600_302600_NS6detail15normal_iteratorINS9_10device_ptrIsEEEESE_SE_sNS9_4plusIvEENS9_8equal_toIvEEsEE10hipError_tPvRmT2_T3_T4_T5_mT6_T7_P12ihipStream_tbENKUlT_T0_E_clISt17integral_constantIbLb0EESY_IbLb1EEEEDaSU_SV_EUlSU_E_NS1_11comp_targetILNS1_3genE5ELNS1_11target_archE942ELNS1_3gpuE9ELNS1_3repE0EEENS1_30default_config_static_selectorELNS0_4arch9wavefront6targetE1EEEvT1_,"axG",@progbits,_ZN7rocprim17ROCPRIM_400000_NS6detail17trampoline_kernelINS0_14default_configENS1_27scan_by_key_config_selectorIssEEZZNS1_16scan_by_key_implILNS1_25lookback_scan_determinismE0ELb1ES3_N6thrust23THRUST_200600_302600_NS6detail15normal_iteratorINS9_10device_ptrIsEEEESE_SE_sNS9_4plusIvEENS9_8equal_toIvEEsEE10hipError_tPvRmT2_T3_T4_T5_mT6_T7_P12ihipStream_tbENKUlT_T0_E_clISt17integral_constantIbLb0EESY_IbLb1EEEEDaSU_SV_EUlSU_E_NS1_11comp_targetILNS1_3genE5ELNS1_11target_archE942ELNS1_3gpuE9ELNS1_3repE0EEENS1_30default_config_static_selectorELNS0_4arch9wavefront6targetE1EEEvT1_,comdat
	.protected	_ZN7rocprim17ROCPRIM_400000_NS6detail17trampoline_kernelINS0_14default_configENS1_27scan_by_key_config_selectorIssEEZZNS1_16scan_by_key_implILNS1_25lookback_scan_determinismE0ELb1ES3_N6thrust23THRUST_200600_302600_NS6detail15normal_iteratorINS9_10device_ptrIsEEEESE_SE_sNS9_4plusIvEENS9_8equal_toIvEEsEE10hipError_tPvRmT2_T3_T4_T5_mT6_T7_P12ihipStream_tbENKUlT_T0_E_clISt17integral_constantIbLb0EESY_IbLb1EEEEDaSU_SV_EUlSU_E_NS1_11comp_targetILNS1_3genE5ELNS1_11target_archE942ELNS1_3gpuE9ELNS1_3repE0EEENS1_30default_config_static_selectorELNS0_4arch9wavefront6targetE1EEEvT1_ ; -- Begin function _ZN7rocprim17ROCPRIM_400000_NS6detail17trampoline_kernelINS0_14default_configENS1_27scan_by_key_config_selectorIssEEZZNS1_16scan_by_key_implILNS1_25lookback_scan_determinismE0ELb1ES3_N6thrust23THRUST_200600_302600_NS6detail15normal_iteratorINS9_10device_ptrIsEEEESE_SE_sNS9_4plusIvEENS9_8equal_toIvEEsEE10hipError_tPvRmT2_T3_T4_T5_mT6_T7_P12ihipStream_tbENKUlT_T0_E_clISt17integral_constantIbLb0EESY_IbLb1EEEEDaSU_SV_EUlSU_E_NS1_11comp_targetILNS1_3genE5ELNS1_11target_archE942ELNS1_3gpuE9ELNS1_3repE0EEENS1_30default_config_static_selectorELNS0_4arch9wavefront6targetE1EEEvT1_
	.globl	_ZN7rocprim17ROCPRIM_400000_NS6detail17trampoline_kernelINS0_14default_configENS1_27scan_by_key_config_selectorIssEEZZNS1_16scan_by_key_implILNS1_25lookback_scan_determinismE0ELb1ES3_N6thrust23THRUST_200600_302600_NS6detail15normal_iteratorINS9_10device_ptrIsEEEESE_SE_sNS9_4plusIvEENS9_8equal_toIvEEsEE10hipError_tPvRmT2_T3_T4_T5_mT6_T7_P12ihipStream_tbENKUlT_T0_E_clISt17integral_constantIbLb0EESY_IbLb1EEEEDaSU_SV_EUlSU_E_NS1_11comp_targetILNS1_3genE5ELNS1_11target_archE942ELNS1_3gpuE9ELNS1_3repE0EEENS1_30default_config_static_selectorELNS0_4arch9wavefront6targetE1EEEvT1_
	.p2align	8
	.type	_ZN7rocprim17ROCPRIM_400000_NS6detail17trampoline_kernelINS0_14default_configENS1_27scan_by_key_config_selectorIssEEZZNS1_16scan_by_key_implILNS1_25lookback_scan_determinismE0ELb1ES3_N6thrust23THRUST_200600_302600_NS6detail15normal_iteratorINS9_10device_ptrIsEEEESE_SE_sNS9_4plusIvEENS9_8equal_toIvEEsEE10hipError_tPvRmT2_T3_T4_T5_mT6_T7_P12ihipStream_tbENKUlT_T0_E_clISt17integral_constantIbLb0EESY_IbLb1EEEEDaSU_SV_EUlSU_E_NS1_11comp_targetILNS1_3genE5ELNS1_11target_archE942ELNS1_3gpuE9ELNS1_3repE0EEENS1_30default_config_static_selectorELNS0_4arch9wavefront6targetE1EEEvT1_,@function
_ZN7rocprim17ROCPRIM_400000_NS6detail17trampoline_kernelINS0_14default_configENS1_27scan_by_key_config_selectorIssEEZZNS1_16scan_by_key_implILNS1_25lookback_scan_determinismE0ELb1ES3_N6thrust23THRUST_200600_302600_NS6detail15normal_iteratorINS9_10device_ptrIsEEEESE_SE_sNS9_4plusIvEENS9_8equal_toIvEEsEE10hipError_tPvRmT2_T3_T4_T5_mT6_T7_P12ihipStream_tbENKUlT_T0_E_clISt17integral_constantIbLb0EESY_IbLb1EEEEDaSU_SV_EUlSU_E_NS1_11comp_targetILNS1_3genE5ELNS1_11target_archE942ELNS1_3gpuE9ELNS1_3repE0EEENS1_30default_config_static_selectorELNS0_4arch9wavefront6targetE1EEEvT1_: ; @_ZN7rocprim17ROCPRIM_400000_NS6detail17trampoline_kernelINS0_14default_configENS1_27scan_by_key_config_selectorIssEEZZNS1_16scan_by_key_implILNS1_25lookback_scan_determinismE0ELb1ES3_N6thrust23THRUST_200600_302600_NS6detail15normal_iteratorINS9_10device_ptrIsEEEESE_SE_sNS9_4plusIvEENS9_8equal_toIvEEsEE10hipError_tPvRmT2_T3_T4_T5_mT6_T7_P12ihipStream_tbENKUlT_T0_E_clISt17integral_constantIbLb0EESY_IbLb1EEEEDaSU_SV_EUlSU_E_NS1_11comp_targetILNS1_3genE5ELNS1_11target_archE942ELNS1_3gpuE9ELNS1_3repE0EEENS1_30default_config_static_selectorELNS0_4arch9wavefront6targetE1EEEvT1_
; %bb.0:
	.section	.rodata,"a",@progbits
	.p2align	6, 0x0
	.amdhsa_kernel _ZN7rocprim17ROCPRIM_400000_NS6detail17trampoline_kernelINS0_14default_configENS1_27scan_by_key_config_selectorIssEEZZNS1_16scan_by_key_implILNS1_25lookback_scan_determinismE0ELb1ES3_N6thrust23THRUST_200600_302600_NS6detail15normal_iteratorINS9_10device_ptrIsEEEESE_SE_sNS9_4plusIvEENS9_8equal_toIvEEsEE10hipError_tPvRmT2_T3_T4_T5_mT6_T7_P12ihipStream_tbENKUlT_T0_E_clISt17integral_constantIbLb0EESY_IbLb1EEEEDaSU_SV_EUlSU_E_NS1_11comp_targetILNS1_3genE5ELNS1_11target_archE942ELNS1_3gpuE9ELNS1_3repE0EEENS1_30default_config_static_selectorELNS0_4arch9wavefront6targetE1EEEvT1_
		.amdhsa_group_segment_fixed_size 0
		.amdhsa_private_segment_fixed_size 0
		.amdhsa_kernarg_size 112
		.amdhsa_user_sgpr_count 6
		.amdhsa_user_sgpr_private_segment_buffer 1
		.amdhsa_user_sgpr_dispatch_ptr 0
		.amdhsa_user_sgpr_queue_ptr 0
		.amdhsa_user_sgpr_kernarg_segment_ptr 1
		.amdhsa_user_sgpr_dispatch_id 0
		.amdhsa_user_sgpr_flat_scratch_init 0
		.amdhsa_user_sgpr_kernarg_preload_length 0
		.amdhsa_user_sgpr_kernarg_preload_offset 0
		.amdhsa_user_sgpr_private_segment_size 0
		.amdhsa_uses_dynamic_stack 0
		.amdhsa_system_sgpr_private_segment_wavefront_offset 0
		.amdhsa_system_sgpr_workgroup_id_x 1
		.amdhsa_system_sgpr_workgroup_id_y 0
		.amdhsa_system_sgpr_workgroup_id_z 0
		.amdhsa_system_sgpr_workgroup_info 0
		.amdhsa_system_vgpr_workitem_id 0
		.amdhsa_next_free_vgpr 1
		.amdhsa_next_free_sgpr 0
		.amdhsa_accum_offset 4
		.amdhsa_reserve_vcc 0
		.amdhsa_reserve_flat_scratch 0
		.amdhsa_float_round_mode_32 0
		.amdhsa_float_round_mode_16_64 0
		.amdhsa_float_denorm_mode_32 3
		.amdhsa_float_denorm_mode_16_64 3
		.amdhsa_dx10_clamp 1
		.amdhsa_ieee_mode 1
		.amdhsa_fp16_overflow 0
		.amdhsa_tg_split 0
		.amdhsa_exception_fp_ieee_invalid_op 0
		.amdhsa_exception_fp_denorm_src 0
		.amdhsa_exception_fp_ieee_div_zero 0
		.amdhsa_exception_fp_ieee_overflow 0
		.amdhsa_exception_fp_ieee_underflow 0
		.amdhsa_exception_fp_ieee_inexact 0
		.amdhsa_exception_int_div_zero 0
	.end_amdhsa_kernel
	.section	.text._ZN7rocprim17ROCPRIM_400000_NS6detail17trampoline_kernelINS0_14default_configENS1_27scan_by_key_config_selectorIssEEZZNS1_16scan_by_key_implILNS1_25lookback_scan_determinismE0ELb1ES3_N6thrust23THRUST_200600_302600_NS6detail15normal_iteratorINS9_10device_ptrIsEEEESE_SE_sNS9_4plusIvEENS9_8equal_toIvEEsEE10hipError_tPvRmT2_T3_T4_T5_mT6_T7_P12ihipStream_tbENKUlT_T0_E_clISt17integral_constantIbLb0EESY_IbLb1EEEEDaSU_SV_EUlSU_E_NS1_11comp_targetILNS1_3genE5ELNS1_11target_archE942ELNS1_3gpuE9ELNS1_3repE0EEENS1_30default_config_static_selectorELNS0_4arch9wavefront6targetE1EEEvT1_,"axG",@progbits,_ZN7rocprim17ROCPRIM_400000_NS6detail17trampoline_kernelINS0_14default_configENS1_27scan_by_key_config_selectorIssEEZZNS1_16scan_by_key_implILNS1_25lookback_scan_determinismE0ELb1ES3_N6thrust23THRUST_200600_302600_NS6detail15normal_iteratorINS9_10device_ptrIsEEEESE_SE_sNS9_4plusIvEENS9_8equal_toIvEEsEE10hipError_tPvRmT2_T3_T4_T5_mT6_T7_P12ihipStream_tbENKUlT_T0_E_clISt17integral_constantIbLb0EESY_IbLb1EEEEDaSU_SV_EUlSU_E_NS1_11comp_targetILNS1_3genE5ELNS1_11target_archE942ELNS1_3gpuE9ELNS1_3repE0EEENS1_30default_config_static_selectorELNS0_4arch9wavefront6targetE1EEEvT1_,comdat
.Lfunc_end598:
	.size	_ZN7rocprim17ROCPRIM_400000_NS6detail17trampoline_kernelINS0_14default_configENS1_27scan_by_key_config_selectorIssEEZZNS1_16scan_by_key_implILNS1_25lookback_scan_determinismE0ELb1ES3_N6thrust23THRUST_200600_302600_NS6detail15normal_iteratorINS9_10device_ptrIsEEEESE_SE_sNS9_4plusIvEENS9_8equal_toIvEEsEE10hipError_tPvRmT2_T3_T4_T5_mT6_T7_P12ihipStream_tbENKUlT_T0_E_clISt17integral_constantIbLb0EESY_IbLb1EEEEDaSU_SV_EUlSU_E_NS1_11comp_targetILNS1_3genE5ELNS1_11target_archE942ELNS1_3gpuE9ELNS1_3repE0EEENS1_30default_config_static_selectorELNS0_4arch9wavefront6targetE1EEEvT1_, .Lfunc_end598-_ZN7rocprim17ROCPRIM_400000_NS6detail17trampoline_kernelINS0_14default_configENS1_27scan_by_key_config_selectorIssEEZZNS1_16scan_by_key_implILNS1_25lookback_scan_determinismE0ELb1ES3_N6thrust23THRUST_200600_302600_NS6detail15normal_iteratorINS9_10device_ptrIsEEEESE_SE_sNS9_4plusIvEENS9_8equal_toIvEEsEE10hipError_tPvRmT2_T3_T4_T5_mT6_T7_P12ihipStream_tbENKUlT_T0_E_clISt17integral_constantIbLb0EESY_IbLb1EEEEDaSU_SV_EUlSU_E_NS1_11comp_targetILNS1_3genE5ELNS1_11target_archE942ELNS1_3gpuE9ELNS1_3repE0EEENS1_30default_config_static_selectorELNS0_4arch9wavefront6targetE1EEEvT1_
                                        ; -- End function
	.section	.AMDGPU.csdata,"",@progbits
; Kernel info:
; codeLenInByte = 0
; NumSgprs: 4
; NumVgprs: 0
; NumAgprs: 0
; TotalNumVgprs: 0
; ScratchSize: 0
; MemoryBound: 0
; FloatMode: 240
; IeeeMode: 1
; LDSByteSize: 0 bytes/workgroup (compile time only)
; SGPRBlocks: 0
; VGPRBlocks: 0
; NumSGPRsForWavesPerEU: 4
; NumVGPRsForWavesPerEU: 1
; AccumOffset: 4
; Occupancy: 8
; WaveLimiterHint : 0
; COMPUTE_PGM_RSRC2:SCRATCH_EN: 0
; COMPUTE_PGM_RSRC2:USER_SGPR: 6
; COMPUTE_PGM_RSRC2:TRAP_HANDLER: 0
; COMPUTE_PGM_RSRC2:TGID_X_EN: 1
; COMPUTE_PGM_RSRC2:TGID_Y_EN: 0
; COMPUTE_PGM_RSRC2:TGID_Z_EN: 0
; COMPUTE_PGM_RSRC2:TIDIG_COMP_CNT: 0
; COMPUTE_PGM_RSRC3_GFX90A:ACCUM_OFFSET: 0
; COMPUTE_PGM_RSRC3_GFX90A:TG_SPLIT: 0
	.section	.text._ZN7rocprim17ROCPRIM_400000_NS6detail17trampoline_kernelINS0_14default_configENS1_27scan_by_key_config_selectorIssEEZZNS1_16scan_by_key_implILNS1_25lookback_scan_determinismE0ELb1ES3_N6thrust23THRUST_200600_302600_NS6detail15normal_iteratorINS9_10device_ptrIsEEEESE_SE_sNS9_4plusIvEENS9_8equal_toIvEEsEE10hipError_tPvRmT2_T3_T4_T5_mT6_T7_P12ihipStream_tbENKUlT_T0_E_clISt17integral_constantIbLb0EESY_IbLb1EEEEDaSU_SV_EUlSU_E_NS1_11comp_targetILNS1_3genE4ELNS1_11target_archE910ELNS1_3gpuE8ELNS1_3repE0EEENS1_30default_config_static_selectorELNS0_4arch9wavefront6targetE1EEEvT1_,"axG",@progbits,_ZN7rocprim17ROCPRIM_400000_NS6detail17trampoline_kernelINS0_14default_configENS1_27scan_by_key_config_selectorIssEEZZNS1_16scan_by_key_implILNS1_25lookback_scan_determinismE0ELb1ES3_N6thrust23THRUST_200600_302600_NS6detail15normal_iteratorINS9_10device_ptrIsEEEESE_SE_sNS9_4plusIvEENS9_8equal_toIvEEsEE10hipError_tPvRmT2_T3_T4_T5_mT6_T7_P12ihipStream_tbENKUlT_T0_E_clISt17integral_constantIbLb0EESY_IbLb1EEEEDaSU_SV_EUlSU_E_NS1_11comp_targetILNS1_3genE4ELNS1_11target_archE910ELNS1_3gpuE8ELNS1_3repE0EEENS1_30default_config_static_selectorELNS0_4arch9wavefront6targetE1EEEvT1_,comdat
	.protected	_ZN7rocprim17ROCPRIM_400000_NS6detail17trampoline_kernelINS0_14default_configENS1_27scan_by_key_config_selectorIssEEZZNS1_16scan_by_key_implILNS1_25lookback_scan_determinismE0ELb1ES3_N6thrust23THRUST_200600_302600_NS6detail15normal_iteratorINS9_10device_ptrIsEEEESE_SE_sNS9_4plusIvEENS9_8equal_toIvEEsEE10hipError_tPvRmT2_T3_T4_T5_mT6_T7_P12ihipStream_tbENKUlT_T0_E_clISt17integral_constantIbLb0EESY_IbLb1EEEEDaSU_SV_EUlSU_E_NS1_11comp_targetILNS1_3genE4ELNS1_11target_archE910ELNS1_3gpuE8ELNS1_3repE0EEENS1_30default_config_static_selectorELNS0_4arch9wavefront6targetE1EEEvT1_ ; -- Begin function _ZN7rocprim17ROCPRIM_400000_NS6detail17trampoline_kernelINS0_14default_configENS1_27scan_by_key_config_selectorIssEEZZNS1_16scan_by_key_implILNS1_25lookback_scan_determinismE0ELb1ES3_N6thrust23THRUST_200600_302600_NS6detail15normal_iteratorINS9_10device_ptrIsEEEESE_SE_sNS9_4plusIvEENS9_8equal_toIvEEsEE10hipError_tPvRmT2_T3_T4_T5_mT6_T7_P12ihipStream_tbENKUlT_T0_E_clISt17integral_constantIbLb0EESY_IbLb1EEEEDaSU_SV_EUlSU_E_NS1_11comp_targetILNS1_3genE4ELNS1_11target_archE910ELNS1_3gpuE8ELNS1_3repE0EEENS1_30default_config_static_selectorELNS0_4arch9wavefront6targetE1EEEvT1_
	.globl	_ZN7rocprim17ROCPRIM_400000_NS6detail17trampoline_kernelINS0_14default_configENS1_27scan_by_key_config_selectorIssEEZZNS1_16scan_by_key_implILNS1_25lookback_scan_determinismE0ELb1ES3_N6thrust23THRUST_200600_302600_NS6detail15normal_iteratorINS9_10device_ptrIsEEEESE_SE_sNS9_4plusIvEENS9_8equal_toIvEEsEE10hipError_tPvRmT2_T3_T4_T5_mT6_T7_P12ihipStream_tbENKUlT_T0_E_clISt17integral_constantIbLb0EESY_IbLb1EEEEDaSU_SV_EUlSU_E_NS1_11comp_targetILNS1_3genE4ELNS1_11target_archE910ELNS1_3gpuE8ELNS1_3repE0EEENS1_30default_config_static_selectorELNS0_4arch9wavefront6targetE1EEEvT1_
	.p2align	8
	.type	_ZN7rocprim17ROCPRIM_400000_NS6detail17trampoline_kernelINS0_14default_configENS1_27scan_by_key_config_selectorIssEEZZNS1_16scan_by_key_implILNS1_25lookback_scan_determinismE0ELb1ES3_N6thrust23THRUST_200600_302600_NS6detail15normal_iteratorINS9_10device_ptrIsEEEESE_SE_sNS9_4plusIvEENS9_8equal_toIvEEsEE10hipError_tPvRmT2_T3_T4_T5_mT6_T7_P12ihipStream_tbENKUlT_T0_E_clISt17integral_constantIbLb0EESY_IbLb1EEEEDaSU_SV_EUlSU_E_NS1_11comp_targetILNS1_3genE4ELNS1_11target_archE910ELNS1_3gpuE8ELNS1_3repE0EEENS1_30default_config_static_selectorELNS0_4arch9wavefront6targetE1EEEvT1_,@function
_ZN7rocprim17ROCPRIM_400000_NS6detail17trampoline_kernelINS0_14default_configENS1_27scan_by_key_config_selectorIssEEZZNS1_16scan_by_key_implILNS1_25lookback_scan_determinismE0ELb1ES3_N6thrust23THRUST_200600_302600_NS6detail15normal_iteratorINS9_10device_ptrIsEEEESE_SE_sNS9_4plusIvEENS9_8equal_toIvEEsEE10hipError_tPvRmT2_T3_T4_T5_mT6_T7_P12ihipStream_tbENKUlT_T0_E_clISt17integral_constantIbLb0EESY_IbLb1EEEEDaSU_SV_EUlSU_E_NS1_11comp_targetILNS1_3genE4ELNS1_11target_archE910ELNS1_3gpuE8ELNS1_3repE0EEENS1_30default_config_static_selectorELNS0_4arch9wavefront6targetE1EEEvT1_: ; @_ZN7rocprim17ROCPRIM_400000_NS6detail17trampoline_kernelINS0_14default_configENS1_27scan_by_key_config_selectorIssEEZZNS1_16scan_by_key_implILNS1_25lookback_scan_determinismE0ELb1ES3_N6thrust23THRUST_200600_302600_NS6detail15normal_iteratorINS9_10device_ptrIsEEEESE_SE_sNS9_4plusIvEENS9_8equal_toIvEEsEE10hipError_tPvRmT2_T3_T4_T5_mT6_T7_P12ihipStream_tbENKUlT_T0_E_clISt17integral_constantIbLb0EESY_IbLb1EEEEDaSU_SV_EUlSU_E_NS1_11comp_targetILNS1_3genE4ELNS1_11target_archE910ELNS1_3gpuE8ELNS1_3repE0EEENS1_30default_config_static_selectorELNS0_4arch9wavefront6targetE1EEEvT1_
; %bb.0:
	s_load_dword s70, s[4:5], 0x20
	s_load_dwordx4 s[60:63], s[4:5], 0x28
	s_load_dwordx2 s[68:69], s[4:5], 0x38
	v_cmp_ne_u32_e64 s[50:51], 0, v0
	v_cmp_eq_u32_e64 s[0:1], 0, v0
	s_and_saveexec_b64 s[2:3], s[0:1]
	s_cbranch_execz .LBB599_4
; %bb.1:
	s_mov_b64 s[8:9], exec
	v_mbcnt_lo_u32_b32 v1, s8, 0
	v_mbcnt_hi_u32_b32 v1, s9, v1
	v_cmp_eq_u32_e32 vcc, 0, v1
                                        ; implicit-def: $vgpr2
	s_and_saveexec_b64 s[6:7], vcc
	s_cbranch_execz .LBB599_3
; %bb.2:
	s_load_dwordx2 s[10:11], s[4:5], 0x68
	s_bcnt1_i32_b64 s8, s[8:9]
	v_mov_b32_e32 v2, 0
	v_mov_b32_e32 v3, s8
	s_waitcnt lgkmcnt(0)
	global_atomic_add v2, v2, v3, s[10:11] glc
.LBB599_3:
	s_or_b64 exec, exec, s[6:7]
	s_waitcnt vmcnt(0)
	v_readfirstlane_b32 s6, v2
	v_add_u32_e32 v1, s6, v1
	v_mov_b32_e32 v2, 0
	ds_write_b32 v2, v1
.LBB599_4:
	s_or_b64 exec, exec, s[2:3]
	s_load_dwordx8 s[52:59], s[4:5], 0x0
	s_load_dword s2, s[4:5], 0x40
	s_load_dwordx4 s[64:67], s[4:5], 0x48
	v_mov_b32_e32 v3, 0
	s_waitcnt lgkmcnt(0)
	s_lshl_b64 s[54:55], s[54:55], 1
	s_barrier
	ds_read_b32 v1, v3
	s_add_u32 s3, s52, s54
	s_addc_u32 s4, s53, s55
	s_add_u32 s5, s56, s54
	s_mul_i32 s7, s69, s2
	s_mul_hi_u32 s8, s68, s2
	s_addc_u32 s6, s57, s55
	s_add_i32 s7, s8, s7
	s_movk_i32 s8, 0x1600
	s_waitcnt lgkmcnt(0)
	v_mul_lo_u32 v2, v1, s8
	v_lshlrev_b64 v[10:11], 1, v[2:3]
	v_mov_b32_e32 v2, s4
	v_add_co_u32_e32 v6, vcc, s3, v10
	v_addc_co_u32_e32 v7, vcc, v2, v11, vcc
	v_mov_b32_e32 v2, s6
	v_add_co_u32_e32 v23, vcc, s5, v10
	s_mul_i32 s2, s68, s2
	v_addc_co_u32_e32 v38, vcc, v2, v11, vcc
	v_mov_b32_e32 v3, s7
	v_add_co_u32_e32 v2, vcc, s2, v1
	s_add_u32 s6, s64, -1
	v_addc_co_u32_e32 v3, vcc, 0, v3, vcc
	s_addc_u32 s7, s65, -1
	v_cmp_le_u64_e64 s[2:3], s[6:7], v[2:3]
	v_readfirstlane_b32 s63, v1
	s_mov_b64 s[4:5], -1
	s_and_b64 vcc, exec, s[2:3]
	s_mul_i32 s33, s6, 0xffffea00
	s_barrier
	s_barrier
	s_cbranch_vccz .LBB599_120
; %bb.5:
	flat_load_ushort v8, v[6:7]
	s_add_i32 s72, s33, s62
	v_cmp_gt_u32_e32 vcc, s72, v0
	s_waitcnt vmcnt(0) lgkmcnt(0)
	v_mov_b32_e32 v9, v8
	s_and_saveexec_b64 s[6:7], vcc
	s_cbranch_execz .LBB599_7
; %bb.6:
	v_lshlrev_b32_e32 v1, 1, v0
	v_add_co_u32_e64 v2, s[4:5], v6, v1
	v_addc_co_u32_e64 v3, s[4:5], 0, v7, s[4:5]
	flat_load_ushort v9, v[2:3]
.LBB599_7:
	s_or_b64 exec, exec, s[6:7]
	v_or_b32_e32 v1, 0x100, v0
	v_cmp_gt_u32_e64 s[6:7], s72, v1
	v_mov_b32_e32 v12, v8
	s_and_saveexec_b64 s[8:9], s[6:7]
	s_cbranch_execz .LBB599_9
; %bb.8:
	v_lshlrev_b32_e32 v1, 1, v0
	v_add_co_u32_e64 v2, s[4:5], v6, v1
	v_addc_co_u32_e64 v3, s[4:5], 0, v7, s[4:5]
	flat_load_ushort v12, v[2:3] offset:512
.LBB599_9:
	s_or_b64 exec, exec, s[8:9]
	v_or_b32_e32 v1, 0x200, v0
	v_cmp_gt_u32_e64 s[8:9], s72, v1
	v_mov_b32_e32 v13, v8
	s_and_saveexec_b64 s[10:11], s[8:9]
	s_cbranch_execz .LBB599_11
; %bb.10:
	v_lshlrev_b32_e32 v1, 1, v0
	v_add_co_u32_e64 v2, s[4:5], v6, v1
	v_addc_co_u32_e64 v3, s[4:5], 0, v7, s[4:5]
	flat_load_ushort v13, v[2:3] offset:1024
.LBB599_11:
	;; [unrolled: 12-line block ×7, first 2 shown]
	s_or_b64 exec, exec, s[20:21]
	v_or_b32_e32 v1, 0x800, v0
	v_cmp_gt_u32_e64 s[20:21], s72, v1
	v_lshlrev_b32_e32 v1, 1, v1
	v_mov_b32_e32 v19, v8
	s_and_saveexec_b64 s[22:23], s[20:21]
	s_cbranch_execz .LBB599_23
; %bb.22:
	v_add_co_u32_e64 v2, s[4:5], v6, v1
	v_addc_co_u32_e64 v3, s[4:5], 0, v7, s[4:5]
	flat_load_ushort v19, v[2:3]
.LBB599_23:
	s_or_b64 exec, exec, s[22:23]
	v_or_b32_e32 v2, 0x900, v0
	v_cmp_gt_u32_e64 s[22:23], s72, v2
	v_lshlrev_b32_e32 v2, 1, v2
	v_mov_b32_e32 v31, v8
	s_and_saveexec_b64 s[24:25], s[22:23]
	s_cbranch_execz .LBB599_25
; %bb.24:
	v_add_co_u32_e64 v4, s[4:5], v6, v2
	v_addc_co_u32_e64 v5, s[4:5], 0, v7, s[4:5]
	flat_load_ushort v31, v[4:5]
.LBB599_25:
	s_or_b64 exec, exec, s[24:25]
	v_or_b32_e32 v3, 0xa00, v0
	v_cmp_gt_u32_e64 s[24:25], s72, v3
	v_lshlrev_b32_e32 v3, 1, v3
	v_mov_b32_e32 v32, v8
	s_and_saveexec_b64 s[26:27], s[24:25]
	s_cbranch_execz .LBB599_27
; %bb.26:
	v_add_co_u32_e64 v4, s[4:5], v6, v3
	v_addc_co_u32_e64 v5, s[4:5], 0, v7, s[4:5]
	flat_load_ushort v32, v[4:5]
.LBB599_27:
	s_or_b64 exec, exec, s[26:27]
	v_or_b32_e32 v4, 0xb00, v0
	v_cmp_gt_u32_e64 s[26:27], s72, v4
	v_lshlrev_b32_e32 v4, 1, v4
	v_mov_b32_e32 v33, v8
	s_and_saveexec_b64 s[28:29], s[26:27]
	s_cbranch_execz .LBB599_29
; %bb.28:
	v_add_co_u32_e64 v20, s[4:5], v6, v4
	v_addc_co_u32_e64 v21, s[4:5], 0, v7, s[4:5]
	flat_load_ushort v33, v[20:21]
.LBB599_29:
	s_or_b64 exec, exec, s[28:29]
	v_or_b32_e32 v5, 0xc00, v0
	v_cmp_gt_u32_e64 s[28:29], s72, v5
	v_lshlrev_b32_e32 v5, 1, v5
	v_mov_b32_e32 v34, v8
	s_and_saveexec_b64 s[30:31], s[28:29]
	s_cbranch_execz .LBB599_31
; %bb.30:
	v_add_co_u32_e64 v20, s[4:5], v6, v5
	v_addc_co_u32_e64 v21, s[4:5], 0, v7, s[4:5]
	flat_load_ushort v34, v[20:21]
.LBB599_31:
	s_or_b64 exec, exec, s[30:31]
	v_or_b32_e32 v20, 0xd00, v0
	v_cmp_gt_u32_e64 s[30:31], s72, v20
	v_lshlrev_b32_e32 v20, 1, v20
	v_mov_b32_e32 v35, v8
	s_and_saveexec_b64 s[34:35], s[30:31]
	s_cbranch_execz .LBB599_33
; %bb.32:
	v_add_co_u32_e64 v24, s[4:5], v6, v20
	v_addc_co_u32_e64 v25, s[4:5], 0, v7, s[4:5]
	flat_load_ushort v35, v[24:25]
.LBB599_33:
	s_or_b64 exec, exec, s[34:35]
	v_or_b32_e32 v21, 0xe00, v0
	v_cmp_gt_u32_e64 s[34:35], s72, v21
	v_lshlrev_b32_e32 v21, 1, v21
	v_mov_b32_e32 v36, v8
	s_and_saveexec_b64 s[36:37], s[34:35]
	s_cbranch_execz .LBB599_35
; %bb.34:
	v_add_co_u32_e64 v24, s[4:5], v6, v21
	v_addc_co_u32_e64 v25, s[4:5], 0, v7, s[4:5]
	flat_load_ushort v36, v[24:25]
.LBB599_35:
	s_or_b64 exec, exec, s[36:37]
	v_or_b32_e32 v22, 0xf00, v0
	v_cmp_gt_u32_e64 s[36:37], s72, v22
	v_lshlrev_b32_e32 v22, 1, v22
	v_mov_b32_e32 v37, v8
	s_and_saveexec_b64 s[38:39], s[36:37]
	s_cbranch_execz .LBB599_37
; %bb.36:
	v_add_co_u32_e64 v24, s[4:5], v6, v22
	v_addc_co_u32_e64 v25, s[4:5], 0, v7, s[4:5]
	flat_load_ushort v37, v[24:25]
.LBB599_37:
	s_or_b64 exec, exec, s[38:39]
	v_or_b32_e32 v24, 0x1000, v0
	v_cmp_gt_u32_e64 s[38:39], s72, v24
	v_lshlrev_b32_e32 v24, 1, v24
	v_mov_b32_e32 v39, v8
	s_and_saveexec_b64 s[40:41], s[38:39]
	s_cbranch_execz .LBB599_39
; %bb.38:
	v_add_co_u32_e64 v26, s[4:5], v6, v24
	v_addc_co_u32_e64 v27, s[4:5], 0, v7, s[4:5]
	flat_load_ushort v39, v[26:27]
.LBB599_39:
	s_or_b64 exec, exec, s[40:41]
	v_or_b32_e32 v25, 0x1100, v0
	v_cmp_gt_u32_e64 s[40:41], s72, v25
	v_lshlrev_b32_e32 v26, 1, v25
	v_mov_b32_e32 v40, v8
	s_and_saveexec_b64 s[42:43], s[40:41]
	s_cbranch_execz .LBB599_41
; %bb.40:
	v_add_co_u32_e64 v28, s[4:5], v6, v26
	v_addc_co_u32_e64 v29, s[4:5], 0, v7, s[4:5]
	flat_load_ushort v40, v[28:29]
.LBB599_41:
	s_or_b64 exec, exec, s[42:43]
	v_or_b32_e32 v25, 0x1200, v0
	v_cmp_gt_u32_e64 s[42:43], s72, v25
	v_lshlrev_b32_e32 v27, 1, v25
	v_mov_b32_e32 v41, v8
	s_and_saveexec_b64 s[44:45], s[42:43]
	s_cbranch_execz .LBB599_43
; %bb.42:
	v_add_co_u32_e64 v28, s[4:5], v6, v27
	v_addc_co_u32_e64 v29, s[4:5], 0, v7, s[4:5]
	flat_load_ushort v41, v[28:29]
.LBB599_43:
	s_or_b64 exec, exec, s[44:45]
	v_or_b32_e32 v25, 0x1300, v0
	v_cmp_gt_u32_e64 s[44:45], s72, v25
	v_lshlrev_b32_e32 v28, 1, v25
	v_mov_b32_e32 v42, v8
	s_and_saveexec_b64 s[46:47], s[44:45]
	s_cbranch_execz .LBB599_45
; %bb.44:
	v_add_co_u32_e64 v42, s[4:5], v6, v28
	v_addc_co_u32_e64 v43, s[4:5], 0, v7, s[4:5]
	flat_load_ushort v42, v[42:43]
.LBB599_45:
	s_or_b64 exec, exec, s[46:47]
	v_or_b32_e32 v25, 0x1400, v0
	v_cmp_gt_u32_e64 s[46:47], s72, v25
	v_lshlrev_b32_e32 v29, 1, v25
	v_mov_b32_e32 v43, v8
	s_and_saveexec_b64 s[48:49], s[46:47]
	s_cbranch_execz .LBB599_47
; %bb.46:
	v_add_co_u32_e64 v44, s[4:5], v6, v29
	v_addc_co_u32_e64 v45, s[4:5], 0, v7, s[4:5]
	flat_load_ushort v43, v[44:45]
.LBB599_47:
	s_or_b64 exec, exec, s[48:49]
	v_or_b32_e32 v25, 0x1500, v0
	v_cmp_gt_u32_e64 s[48:49], s72, v25
	v_lshlrev_b32_e32 v30, 1, v25
	s_and_saveexec_b64 s[52:53], s[48:49]
	s_cbranch_execz .LBB599_49
; %bb.48:
	v_add_co_u32_e64 v44, s[4:5], v6, v30
	v_addc_co_u32_e64 v45, s[4:5], 0, v7, s[4:5]
	flat_load_ushort v8, v[44:45]
.LBB599_49:
	s_or_b64 exec, exec, s[52:53]
	v_lshlrev_b32_e32 v25, 1, v0
	s_waitcnt vmcnt(0) lgkmcnt(0)
	ds_write_b16 v25, v9
	ds_write_b16 v25, v12 offset:512
	ds_write_b16 v25, v13 offset:1024
	;; [unrolled: 1-line block ×21, first 2 shown]
	s_waitcnt lgkmcnt(0)
	s_barrier
	flat_load_ushort v42, v[6:7]
	v_mad_u32_u24 v44, v0, 42, v25
	s_movk_i32 s4, 0xffd6
	v_mad_i32_i24 v31, v0, s4, v44
	s_movk_i32 s4, 0xff
	v_cmp_ne_u32_e64 s[4:5], s4, v0
	ds_read2_b32 v[18:19], v44 offset1:1
	ds_read2_b32 v[16:17], v44 offset0:2 offset1:3
	ds_read2_b32 v[14:15], v44 offset0:4 offset1:5
	;; [unrolled: 1-line block ×4, first 2 shown]
	ds_read_b32 v45, v44 offset:40
	s_waitcnt lgkmcnt(0)
	ds_write_b16 v31, v18 offset:11776
	s_waitcnt lgkmcnt(0)
	s_barrier
	s_and_saveexec_b64 s[52:53], s[4:5]
	s_cbranch_execz .LBB599_51
; %bb.50:
	s_waitcnt vmcnt(0)
	ds_read_u16 v42, v25 offset:11778
.LBB599_51:
	s_or_b64 exec, exec, s[52:53]
	s_waitcnt lgkmcnt(0)
	s_barrier
	s_waitcnt lgkmcnt(0)
                                        ; implicit-def: $vgpr31
	s_and_saveexec_b64 s[4:5], vcc
	s_cbranch_execz .LBB599_189
; %bb.52:
	v_add_co_u32_e32 v32, vcc, v23, v25
	v_addc_co_u32_e32 v33, vcc, 0, v38, vcc
	flat_load_ushort v31, v[32:33]
	s_or_b64 exec, exec, s[4:5]
                                        ; implicit-def: $vgpr32
	s_and_saveexec_b64 s[4:5], s[6:7]
	s_cbranch_execnz .LBB599_190
.LBB599_53:
	s_or_b64 exec, exec, s[4:5]
                                        ; implicit-def: $vgpr33
	s_and_saveexec_b64 s[4:5], s[8:9]
	s_cbranch_execz .LBB599_191
.LBB599_54:
	v_add_co_u32_e32 v34, vcc, v23, v25
	v_addc_co_u32_e32 v35, vcc, 0, v38, vcc
	flat_load_ushort v33, v[34:35] offset:1024
	s_or_b64 exec, exec, s[4:5]
                                        ; implicit-def: $vgpr34
	s_and_saveexec_b64 s[4:5], s[10:11]
	s_cbranch_execnz .LBB599_192
.LBB599_55:
	s_or_b64 exec, exec, s[4:5]
                                        ; implicit-def: $vgpr35
	s_and_saveexec_b64 s[4:5], s[12:13]
	s_cbranch_execz .LBB599_193
.LBB599_56:
	v_add_co_u32_e32 v36, vcc, v23, v25
	v_addc_co_u32_e32 v37, vcc, 0, v38, vcc
	flat_load_ushort v35, v[36:37] offset:2048
	s_or_b64 exec, exec, s[4:5]
                                        ; implicit-def: $vgpr36
	s_and_saveexec_b64 s[4:5], s[14:15]
	s_cbranch_execnz .LBB599_194
.LBB599_57:
	s_or_b64 exec, exec, s[4:5]
                                        ; implicit-def: $vgpr37
	s_and_saveexec_b64 s[4:5], s[16:17]
	s_cbranch_execz .LBB599_195
.LBB599_58:
	v_add_co_u32_e32 v40, vcc, v23, v25
	v_addc_co_u32_e32 v41, vcc, 0, v38, vcc
	flat_load_ushort v37, v[40:41] offset:3072
	s_or_b64 exec, exec, s[4:5]
                                        ; implicit-def: $vgpr39
	s_and_saveexec_b64 s[4:5], s[18:19]
	s_cbranch_execnz .LBB599_196
.LBB599_59:
	s_or_b64 exec, exec, s[4:5]
                                        ; implicit-def: $vgpr40
	s_and_saveexec_b64 s[4:5], s[20:21]
	s_cbranch_execz .LBB599_197
.LBB599_60:
	v_add_co_u32_e32 v40, vcc, v23, v1
	v_addc_co_u32_e32 v41, vcc, 0, v38, vcc
	flat_load_ushort v40, v[40:41]
	s_or_b64 exec, exec, s[4:5]
                                        ; implicit-def: $vgpr1
	s_and_saveexec_b64 s[4:5], s[22:23]
	s_cbranch_execnz .LBB599_198
.LBB599_61:
	s_or_b64 exec, exec, s[4:5]
                                        ; implicit-def: $vgpr2
	s_and_saveexec_b64 s[4:5], s[24:25]
	s_cbranch_execz .LBB599_199
.LBB599_62:
	v_add_co_u32_e32 v2, vcc, v23, v3
	v_addc_co_u32_e32 v3, vcc, 0, v38, vcc
	flat_load_ushort v2, v[2:3]
	s_or_b64 exec, exec, s[4:5]
                                        ; implicit-def: $vgpr3
	s_and_saveexec_b64 s[4:5], s[26:27]
	s_cbranch_execnz .LBB599_200
.LBB599_63:
	s_or_b64 exec, exec, s[4:5]
                                        ; implicit-def: $vgpr4
	s_and_saveexec_b64 s[4:5], s[28:29]
	s_cbranch_execz .LBB599_201
.LBB599_64:
	v_add_co_u32_e32 v4, vcc, v23, v5
	v_addc_co_u32_e32 v5, vcc, 0, v38, vcc
	flat_load_ushort v4, v[4:5]
	s_or_b64 exec, exec, s[4:5]
                                        ; implicit-def: $vgpr5
	s_and_saveexec_b64 s[4:5], s[30:31]
	s_cbranch_execnz .LBB599_202
.LBB599_65:
	s_or_b64 exec, exec, s[4:5]
                                        ; implicit-def: $vgpr20
	s_and_saveexec_b64 s[4:5], s[34:35]
	s_cbranch_execz .LBB599_203
.LBB599_66:
	v_add_co_u32_e32 v20, vcc, v23, v21
	v_addc_co_u32_e32 v21, vcc, 0, v38, vcc
	flat_load_ushort v20, v[20:21]
	s_or_b64 exec, exec, s[4:5]
                                        ; implicit-def: $vgpr21
	s_and_saveexec_b64 s[4:5], s[36:37]
	s_cbranch_execnz .LBB599_204
.LBB599_67:
	s_or_b64 exec, exec, s[4:5]
                                        ; implicit-def: $vgpr22
	s_and_saveexec_b64 s[4:5], s[38:39]
	s_cbranch_execz .LBB599_205
.LBB599_68:
	v_add_co_u32_e32 v46, vcc, v23, v24
	v_addc_co_u32_e32 v47, vcc, 0, v38, vcc
	flat_load_ushort v22, v[46:47]
	s_or_b64 exec, exec, s[4:5]
                                        ; implicit-def: $vgpr24
	s_and_saveexec_b64 s[4:5], s[40:41]
	s_cbranch_execnz .LBB599_206
.LBB599_69:
	s_or_b64 exec, exec, s[4:5]
                                        ; implicit-def: $vgpr26
	s_and_saveexec_b64 s[4:5], s[42:43]
	s_cbranch_execz .LBB599_207
.LBB599_70:
	v_add_co_u32_e32 v26, vcc, v23, v27
	v_addc_co_u32_e32 v27, vcc, 0, v38, vcc
	flat_load_ushort v26, v[26:27]
	s_or_b64 exec, exec, s[4:5]
                                        ; implicit-def: $vgpr27
	s_and_saveexec_b64 s[4:5], s[44:45]
	s_cbranch_execnz .LBB599_208
.LBB599_71:
	s_or_b64 exec, exec, s[4:5]
                                        ; implicit-def: $vgpr28
	s_and_saveexec_b64 s[4:5], s[46:47]
	s_cbranch_execz .LBB599_73
.LBB599_72:
	v_add_co_u32_e32 v28, vcc, v23, v29
	v_addc_co_u32_e32 v29, vcc, 0, v38, vcc
	flat_load_ushort v28, v[28:29]
.LBB599_73:
	s_or_b64 exec, exec, s[4:5]
	v_mul_u32_u24_e32 v46, 22, v0
                                        ; implicit-def: $vgpr29
	s_and_saveexec_b64 s[4:5], s[48:49]
	s_cbranch_execz .LBB599_75
; %bb.74:
	v_add_co_u32_e32 v48, vcc, v23, v30
	v_addc_co_u32_e32 v49, vcc, 0, v38, vcc
	flat_load_ushort v29, v[48:49]
.LBB599_75:
	s_or_b64 exec, exec, s[4:5]
	s_waitcnt vmcnt(0) lgkmcnt(0)
	ds_write_b16 v25, v31
	ds_write_b16 v25, v32 offset:512
	ds_write_b16 v25, v33 offset:1024
	ds_write_b16 v25, v34 offset:1536
	ds_write_b16 v25, v35 offset:2048
	ds_write_b16 v25, v36 offset:2560
	ds_write_b16 v25, v37 offset:3072
	ds_write_b16 v25, v39 offset:3584
	ds_write_b16 v25, v40 offset:4096
	ds_write_b16 v25, v1 offset:4608
	ds_write_b16 v25, v2 offset:5120
	ds_write_b16 v25, v3 offset:5632
	ds_write_b16 v25, v4 offset:6144
	ds_write_b16 v25, v5 offset:6656
	ds_write_b16 v25, v20 offset:7168
	ds_write_b16 v25, v21 offset:7680
	ds_write_b16 v25, v22 offset:8192
	ds_write_b16 v25, v24 offset:8704
	ds_write_b16 v25, v26 offset:9216
	ds_write_b16 v25, v27 offset:9728
	ds_write_b16 v25, v28 offset:10240
	ds_write_b16 v25, v29 offset:10752
	v_cmp_gt_u32_e32 vcc, s72, v46
	s_mov_b64 s[4:5], 0
	s_mov_b32 s71, 0
	v_mov_b32_e32 v1, 0
	s_mov_b64 s[10:11], 0
	v_mov_b32_e32 v20, 0
	v_mov_b32_e32 v24, 0
	;; [unrolled: 1-line block ×20, first 2 shown]
	s_waitcnt lgkmcnt(0)
	s_barrier
	s_waitcnt lgkmcnt(0)
                                        ; implicit-def: $sgpr8_sgpr9
                                        ; implicit-def: $vgpr43
	s_and_saveexec_b64 s[6:7], vcc
	s_cbranch_execz .LBB599_119
; %bb.76:
	ds_read_u16 v1, v44
	v_mov_b32_e32 v3, s70
	v_cmp_eq_u16_sdwa vcc, v18, v18 src0_sel:DWORD src1_sel:WORD_1
	v_cmp_ne_u16_sdwa s[8:9], v18, v18 src0_sel:DWORD src1_sel:WORD_1
	v_or_b32_e32 v2, 1, v46
	s_waitcnt lgkmcnt(0)
	v_cndmask_b32_e32 v1, v3, v1, vcc
	v_and_b32_e32 v1, 0xffff, v1
	v_cndmask_b32_e64 v3, 0, 1, s[8:9]
	v_lshl_or_b32 v1, v3, 16, v1
	v_cmp_gt_u32_e32 vcc, s72, v2
	v_mov_b32_e32 v20, 0
	v_mov_b32_e32 v24, 0
	v_mov_b32_e32 v21, 0
	v_mov_b32_e32 v25, 0
	v_mov_b32_e32 v26, 0
	v_mov_b32_e32 v27, 0
	v_mov_b32_e32 v28, 0
	v_mov_b32_e32 v29, 0
	v_mov_b32_e32 v30, 0
	v_mov_b32_e32 v31, 0
	v_mov_b32_e32 v32, 0
	v_mov_b32_e32 v33, 0
	v_mov_b32_e32 v34, 0
	v_mov_b32_e32 v35, 0
	v_mov_b32_e32 v36, 0
	v_mov_b32_e32 v37, 0
	v_mov_b32_e32 v22, 0
	v_mov_b32_e32 v39, 0
	v_mov_b32_e32 v40, 0
	v_mov_b32_e32 v41, 0
                                        ; implicit-def: $sgpr12_sgpr13
                                        ; implicit-def: $vgpr43
	s_and_saveexec_b64 s[8:9], vcc
	s_cbranch_execz .LBB599_118
; %bb.77:
	ds_read_b128 v[2:5], v44 offset:2
	v_mov_b32_e32 v20, s70
	v_cmp_eq_u16_sdwa vcc, v18, v19 src0_sel:WORD_1 src1_sel:DWORD
	v_cmp_ne_u16_sdwa s[10:11], v18, v19 src0_sel:WORD_1 src1_sel:DWORD
	v_add_u32_e32 v21, 2, v46
	s_waitcnt lgkmcnt(0)
	v_cndmask_b32_e32 v20, v20, v2, vcc
	v_and_b32_e32 v20, 0xffff, v20
	v_cndmask_b32_e64 v18, 0, 1, s[10:11]
	v_lshl_or_b32 v20, v18, 16, v20
	v_cmp_gt_u32_e32 vcc, s72, v21
	s_mov_b64 s[14:15], 0
	v_mov_b32_e32 v24, 0
	v_mov_b32_e32 v21, 0
	;; [unrolled: 1-line block ×19, first 2 shown]
                                        ; implicit-def: $sgpr12_sgpr13
                                        ; implicit-def: $vgpr43
	s_and_saveexec_b64 s[10:11], vcc
	s_cbranch_execz .LBB599_117
; %bb.78:
	v_lshrrev_b32_e32 v2, 16, v2
	v_mov_b32_e32 v21, s70
	v_cmp_eq_u16_sdwa vcc, v19, v19 src0_sel:DWORD src1_sel:WORD_1
	v_cndmask_b32_e32 v2, v21, v2, vcc
	v_cmp_ne_u16_sdwa s[12:13], v19, v19 src0_sel:DWORD src1_sel:WORD_1
	v_add_u32_e32 v18, 3, v46
	v_and_b32_e32 v2, 0xffff, v2
	v_cndmask_b32_e64 v21, 0, 1, s[12:13]
	v_lshl_or_b32 v24, v21, 16, v2
	v_cmp_gt_u32_e32 vcc, s72, v18
	v_mov_b32_e32 v21, 0
	v_mov_b32_e32 v25, 0
	;; [unrolled: 1-line block ×18, first 2 shown]
                                        ; implicit-def: $sgpr16_sgpr17
                                        ; implicit-def: $vgpr43
	s_and_saveexec_b64 s[12:13], vcc
	s_cbranch_execz .LBB599_116
; %bb.79:
	v_mov_b32_e32 v18, s70
	v_cmp_eq_u16_sdwa vcc, v19, v16 src0_sel:WORD_1 src1_sel:DWORD
	v_cndmask_b32_e32 v18, v18, v3, vcc
	v_cmp_ne_u16_sdwa s[14:15], v19, v16 src0_sel:WORD_1 src1_sel:DWORD
	v_add_u32_e32 v2, 4, v46
	v_and_b32_e32 v18, 0xffff, v18
	v_cndmask_b32_e64 v19, 0, 1, s[14:15]
	v_lshl_or_b32 v21, v19, 16, v18
	v_cmp_gt_u32_e32 vcc, s72, v2
	s_mov_b64 s[18:19], 0
	v_mov_b32_e32 v25, 0
	v_mov_b32_e32 v26, 0
	;; [unrolled: 1-line block ×17, first 2 shown]
                                        ; implicit-def: $sgpr16_sgpr17
                                        ; implicit-def: $vgpr43
	s_and_saveexec_b64 s[14:15], vcc
	s_cbranch_execz .LBB599_115
; %bb.80:
	v_lshrrev_b32_e32 v2, 16, v3
	v_mov_b32_e32 v18, s70
	v_cmp_eq_u16_sdwa vcc, v16, v16 src0_sel:DWORD src1_sel:WORD_1
	v_cndmask_b32_e32 v2, v18, v2, vcc
	v_cmp_ne_u16_sdwa s[16:17], v16, v16 src0_sel:DWORD src1_sel:WORD_1
	v_add_u32_e32 v3, 5, v46
	v_and_b32_e32 v2, 0xffff, v2
	v_cndmask_b32_e64 v18, 0, 1, s[16:17]
	v_lshl_or_b32 v25, v18, 16, v2
	v_cmp_gt_u32_e32 vcc, s72, v3
	v_mov_b32_e32 v26, 0
	v_mov_b32_e32 v27, 0
	;; [unrolled: 1-line block ×16, first 2 shown]
                                        ; implicit-def: $sgpr20_sgpr21
                                        ; implicit-def: $vgpr43
	s_and_saveexec_b64 s[16:17], vcc
	s_cbranch_execz .LBB599_114
; %bb.81:
	v_mov_b32_e32 v3, s70
	v_cmp_eq_u16_sdwa vcc, v16, v17 src0_sel:WORD_1 src1_sel:DWORD
	v_cndmask_b32_e32 v3, v3, v4, vcc
	v_cmp_ne_u16_sdwa s[18:19], v16, v17 src0_sel:WORD_1 src1_sel:DWORD
	v_add_u32_e32 v2, 6, v46
	v_and_b32_e32 v3, 0xffff, v3
	v_cndmask_b32_e64 v16, 0, 1, s[18:19]
	v_lshl_or_b32 v26, v16, 16, v3
	v_cmp_gt_u32_e32 vcc, s72, v2
	s_mov_b64 s[22:23], 0
	v_mov_b32_e32 v27, 0
	v_mov_b32_e32 v28, 0
	;; [unrolled: 1-line block ×15, first 2 shown]
                                        ; implicit-def: $sgpr20_sgpr21
                                        ; implicit-def: $vgpr43
	s_and_saveexec_b64 s[18:19], vcc
	s_cbranch_execz .LBB599_113
; %bb.82:
	v_lshrrev_b32_e32 v2, 16, v4
	v_mov_b32_e32 v4, s70
	v_cmp_eq_u16_sdwa vcc, v17, v17 src0_sel:DWORD src1_sel:WORD_1
	v_cndmask_b32_e32 v2, v4, v2, vcc
	v_cmp_ne_u16_sdwa s[20:21], v17, v17 src0_sel:DWORD src1_sel:WORD_1
	v_add_u32_e32 v3, 7, v46
	v_and_b32_e32 v2, 0xffff, v2
	v_cndmask_b32_e64 v4, 0, 1, s[20:21]
	v_lshl_or_b32 v27, v4, 16, v2
	v_cmp_gt_u32_e32 vcc, s72, v3
	v_mov_b32_e32 v28, 0
	v_mov_b32_e32 v29, 0
	;; [unrolled: 1-line block ×14, first 2 shown]
                                        ; implicit-def: $sgpr24_sgpr25
                                        ; implicit-def: $vgpr43
	s_and_saveexec_b64 s[20:21], vcc
	s_cbranch_execz .LBB599_112
; %bb.83:
	v_mov_b32_e32 v3, s70
	v_cmp_eq_u16_sdwa vcc, v17, v14 src0_sel:WORD_1 src1_sel:DWORD
	v_cndmask_b32_e32 v3, v3, v5, vcc
	v_cmp_ne_u16_sdwa s[22:23], v17, v14 src0_sel:WORD_1 src1_sel:DWORD
	v_add_u32_e32 v2, 8, v46
	v_and_b32_e32 v3, 0xffff, v3
	v_cndmask_b32_e64 v4, 0, 1, s[22:23]
	v_lshl_or_b32 v28, v4, 16, v3
	v_cmp_gt_u32_e32 vcc, s72, v2
	s_mov_b64 s[26:27], 0
	v_mov_b32_e32 v29, 0
	v_mov_b32_e32 v30, 0
	v_mov_b32_e32 v31, 0
	v_mov_b32_e32 v32, 0
	v_mov_b32_e32 v33, 0
	v_mov_b32_e32 v34, 0
	v_mov_b32_e32 v35, 0
	v_mov_b32_e32 v36, 0
	v_mov_b32_e32 v37, 0
	v_mov_b32_e32 v22, 0
	v_mov_b32_e32 v39, 0
	v_mov_b32_e32 v40, 0
	v_mov_b32_e32 v41, 0
                                        ; implicit-def: $sgpr24_sgpr25
                                        ; implicit-def: $vgpr43
	s_and_saveexec_b64 s[22:23], vcc
	s_cbranch_execz .LBB599_111
; %bb.84:
	v_lshrrev_b32_e32 v2, 16, v5
	v_mov_b32_e32 v4, s70
	v_cmp_eq_u16_sdwa vcc, v14, v14 src0_sel:DWORD src1_sel:WORD_1
	v_cndmask_b32_e32 v2, v4, v2, vcc
	v_cmp_ne_u16_sdwa s[24:25], v14, v14 src0_sel:DWORD src1_sel:WORD_1
	v_add_u32_e32 v3, 9, v46
	v_and_b32_e32 v2, 0xffff, v2
	v_cndmask_b32_e64 v4, 0, 1, s[24:25]
	v_lshl_or_b32 v29, v4, 16, v2
	v_cmp_gt_u32_e32 vcc, s72, v3
	v_mov_b32_e32 v30, 0
	v_mov_b32_e32 v31, 0
	;; [unrolled: 1-line block ×12, first 2 shown]
                                        ; implicit-def: $sgpr28_sgpr29
                                        ; implicit-def: $vgpr43
	s_and_saveexec_b64 s[24:25], vcc
	s_cbranch_execz .LBB599_110
; %bb.85:
	ds_read_b128 v[2:5], v44 offset:18
	v_mov_b32_e32 v17, s70
	v_cmp_eq_u16_sdwa vcc, v14, v15 src0_sel:WORD_1 src1_sel:DWORD
	v_cmp_ne_u16_sdwa s[26:27], v14, v15 src0_sel:WORD_1 src1_sel:DWORD
	v_add_u32_e32 v16, 10, v46
	s_waitcnt lgkmcnt(0)
	v_cndmask_b32_e32 v17, v17, v2, vcc
	v_and_b32_e32 v17, 0xffff, v17
	v_cndmask_b32_e64 v14, 0, 1, s[26:27]
	v_lshl_or_b32 v30, v14, 16, v17
	v_cmp_gt_u32_e32 vcc, s72, v16
	s_mov_b64 s[30:31], 0
	v_mov_b32_e32 v31, 0
	v_mov_b32_e32 v32, 0
	;; [unrolled: 1-line block ×11, first 2 shown]
                                        ; implicit-def: $sgpr28_sgpr29
                                        ; implicit-def: $vgpr43
	s_and_saveexec_b64 s[26:27], vcc
	s_cbranch_execz .LBB599_109
; %bb.86:
	v_lshrrev_b32_e32 v2, 16, v2
	v_mov_b32_e32 v16, s70
	v_cmp_eq_u16_sdwa vcc, v15, v15 src0_sel:DWORD src1_sel:WORD_1
	v_cndmask_b32_e32 v2, v16, v2, vcc
	v_cmp_ne_u16_sdwa s[28:29], v15, v15 src0_sel:DWORD src1_sel:WORD_1
	v_add_u32_e32 v14, 11, v46
	v_and_b32_e32 v2, 0xffff, v2
	v_cndmask_b32_e64 v16, 0, 1, s[28:29]
	v_lshl_or_b32 v31, v16, 16, v2
	v_cmp_gt_u32_e32 vcc, s72, v14
	v_mov_b32_e32 v32, 0
	v_mov_b32_e32 v33, 0
	v_mov_b32_e32 v34, 0
	v_mov_b32_e32 v35, 0
	v_mov_b32_e32 v36, 0
	v_mov_b32_e32 v37, 0
	v_mov_b32_e32 v22, 0
	v_mov_b32_e32 v39, 0
	v_mov_b32_e32 v40, 0
	v_mov_b32_e32 v41, 0
                                        ; implicit-def: $sgpr34_sgpr35
                                        ; implicit-def: $vgpr43
	s_and_saveexec_b64 s[28:29], vcc
	s_cbranch_execz .LBB599_108
; %bb.87:
	v_mov_b32_e32 v14, s70
	v_cmp_eq_u16_sdwa vcc, v15, v12 src0_sel:WORD_1 src1_sel:DWORD
	v_cndmask_b32_e32 v14, v14, v3, vcc
	v_cmp_ne_u16_sdwa s[30:31], v15, v12 src0_sel:WORD_1 src1_sel:DWORD
	v_add_u32_e32 v2, 12, v46
	v_and_b32_e32 v14, 0xffff, v14
	v_cndmask_b32_e64 v15, 0, 1, s[30:31]
	v_lshl_or_b32 v32, v15, 16, v14
	v_cmp_gt_u32_e32 vcc, s72, v2
	s_mov_b64 s[36:37], 0
	v_mov_b32_e32 v33, 0
	v_mov_b32_e32 v34, 0
	;; [unrolled: 1-line block ×9, first 2 shown]
                                        ; implicit-def: $sgpr34_sgpr35
                                        ; implicit-def: $vgpr43
	s_and_saveexec_b64 s[30:31], vcc
	s_cbranch_execz .LBB599_107
; %bb.88:
	v_lshrrev_b32_e32 v2, 16, v3
	v_mov_b32_e32 v14, s70
	v_cmp_eq_u16_sdwa vcc, v12, v12 src0_sel:DWORD src1_sel:WORD_1
	v_cndmask_b32_e32 v2, v14, v2, vcc
	v_cmp_ne_u16_sdwa s[34:35], v12, v12 src0_sel:DWORD src1_sel:WORD_1
	v_add_u32_e32 v3, 13, v46
	v_and_b32_e32 v2, 0xffff, v2
	v_cndmask_b32_e64 v14, 0, 1, s[34:35]
	v_lshl_or_b32 v33, v14, 16, v2
	v_cmp_gt_u32_e32 vcc, s72, v3
	v_mov_b32_e32 v34, 0
	v_mov_b32_e32 v35, 0
	;; [unrolled: 1-line block ×8, first 2 shown]
                                        ; implicit-def: $sgpr38_sgpr39
                                        ; implicit-def: $vgpr43
	s_and_saveexec_b64 s[34:35], vcc
	s_cbranch_execz .LBB599_106
; %bb.89:
	v_mov_b32_e32 v3, s70
	v_cmp_eq_u16_sdwa vcc, v12, v13 src0_sel:WORD_1 src1_sel:DWORD
	v_cndmask_b32_e32 v3, v3, v4, vcc
	v_cmp_ne_u16_sdwa s[36:37], v12, v13 src0_sel:WORD_1 src1_sel:DWORD
	v_add_u32_e32 v2, 14, v46
	v_and_b32_e32 v3, 0xffff, v3
	v_cndmask_b32_e64 v12, 0, 1, s[36:37]
	v_lshl_or_b32 v34, v12, 16, v3
	v_cmp_gt_u32_e32 vcc, s72, v2
	s_mov_b64 s[40:41], 0
	v_mov_b32_e32 v35, 0
	v_mov_b32_e32 v36, 0
	;; [unrolled: 1-line block ×7, first 2 shown]
                                        ; implicit-def: $sgpr38_sgpr39
                                        ; implicit-def: $vgpr43
	s_and_saveexec_b64 s[36:37], vcc
	s_cbranch_execz .LBB599_105
; %bb.90:
	v_lshrrev_b32_e32 v2, 16, v4
	v_mov_b32_e32 v4, s70
	v_cmp_eq_u16_sdwa vcc, v13, v13 src0_sel:DWORD src1_sel:WORD_1
	v_cndmask_b32_e32 v2, v4, v2, vcc
	v_cmp_ne_u16_sdwa s[38:39], v13, v13 src0_sel:DWORD src1_sel:WORD_1
	v_add_u32_e32 v3, 15, v46
	v_and_b32_e32 v2, 0xffff, v2
	v_cndmask_b32_e64 v4, 0, 1, s[38:39]
	v_lshl_or_b32 v35, v4, 16, v2
	v_cmp_gt_u32_e32 vcc, s72, v3
	v_mov_b32_e32 v36, 0
	v_mov_b32_e32 v37, 0
	;; [unrolled: 1-line block ×6, first 2 shown]
                                        ; implicit-def: $sgpr42_sgpr43
                                        ; implicit-def: $vgpr43
	s_and_saveexec_b64 s[38:39], vcc
	s_cbranch_execz .LBB599_104
; %bb.91:
	v_mov_b32_e32 v3, s70
	v_cmp_eq_u16_sdwa vcc, v13, v8 src0_sel:WORD_1 src1_sel:DWORD
	v_cndmask_b32_e32 v3, v3, v5, vcc
	v_cmp_ne_u16_sdwa s[40:41], v13, v8 src0_sel:WORD_1 src1_sel:DWORD
	v_add_u32_e32 v2, 16, v46
	v_and_b32_e32 v3, 0xffff, v3
	v_cndmask_b32_e64 v4, 0, 1, s[40:41]
	v_lshl_or_b32 v36, v4, 16, v3
	v_cmp_gt_u32_e32 vcc, s72, v2
	s_mov_b64 s[44:45], 0
	v_mov_b32_e32 v37, 0
	v_mov_b32_e32 v22, 0
	v_mov_b32_e32 v39, 0
	v_mov_b32_e32 v40, 0
	v_mov_b32_e32 v41, 0
                                        ; implicit-def: $sgpr42_sgpr43
                                        ; implicit-def: $vgpr43
	s_and_saveexec_b64 s[40:41], vcc
	s_cbranch_execz .LBB599_103
; %bb.92:
	v_lshrrev_b32_e32 v2, 16, v5
	v_mov_b32_e32 v4, s70
	v_cmp_eq_u16_sdwa vcc, v8, v8 src0_sel:DWORD src1_sel:WORD_1
	v_cndmask_b32_e32 v2, v4, v2, vcc
	v_cmp_ne_u16_sdwa s[42:43], v8, v8 src0_sel:DWORD src1_sel:WORD_1
	v_add_u32_e32 v3, 17, v46
	v_and_b32_e32 v2, 0xffff, v2
	v_cndmask_b32_e64 v4, 0, 1, s[42:43]
	v_lshl_or_b32 v37, v4, 16, v2
	v_cmp_gt_u32_e32 vcc, s72, v3
	v_mov_b32_e32 v22, 0
	v_mov_b32_e32 v39, 0
	v_mov_b32_e32 v40, 0
	v_mov_b32_e32 v41, 0
                                        ; implicit-def: $sgpr46_sgpr47
                                        ; implicit-def: $vgpr43
	s_and_saveexec_b64 s[42:43], vcc
	s_cbranch_execz .LBB599_102
; %bb.93:
	ds_read_b64 v[2:3], v44 offset:34
	v_mov_b32_e32 v5, s70
	v_cmp_eq_u16_sdwa vcc, v8, v9 src0_sel:WORD_1 src1_sel:DWORD
	v_cmp_ne_u16_sdwa s[44:45], v8, v9 src0_sel:WORD_1 src1_sel:DWORD
	v_add_u32_e32 v4, 18, v46
	s_waitcnt lgkmcnt(0)
	v_cndmask_b32_e32 v5, v5, v2, vcc
	v_and_b32_e32 v5, 0xffff, v5
	v_cndmask_b32_e64 v8, 0, 1, s[44:45]
	v_lshl_or_b32 v22, v8, 16, v5
	v_cmp_gt_u32_e32 vcc, s72, v4
	s_mov_b64 s[48:49], 0
	v_mov_b32_e32 v39, 0
	v_mov_b32_e32 v40, 0
	;; [unrolled: 1-line block ×3, first 2 shown]
                                        ; implicit-def: $sgpr46_sgpr47
                                        ; implicit-def: $vgpr43
	s_and_saveexec_b64 s[44:45], vcc
	s_cbranch_execz .LBB599_101
; %bb.94:
	v_lshrrev_b32_e32 v2, 16, v2
	v_mov_b32_e32 v5, s70
	v_cmp_eq_u16_sdwa vcc, v9, v9 src0_sel:DWORD src1_sel:WORD_1
	v_cndmask_b32_e32 v2, v5, v2, vcc
	v_cmp_ne_u16_sdwa s[46:47], v9, v9 src0_sel:DWORD src1_sel:WORD_1
	v_add_u32_e32 v4, 19, v46
	v_and_b32_e32 v2, 0xffff, v2
	v_cndmask_b32_e64 v5, 0, 1, s[46:47]
	v_lshl_or_b32 v39, v5, 16, v2
	v_cmp_gt_u32_e32 vcc, s72, v4
	v_mov_b32_e32 v40, 0
	v_mov_b32_e32 v41, 0
                                        ; implicit-def: $sgpr52_sgpr53
                                        ; implicit-def: $vgpr43
	s_and_saveexec_b64 s[46:47], vcc
	s_cbranch_execz .LBB599_100
; %bb.95:
	v_mov_b32_e32 v4, s70
	v_cmp_eq_u16_sdwa vcc, v9, v45 src0_sel:WORD_1 src1_sel:DWORD
	v_cndmask_b32_e32 v4, v4, v3, vcc
	v_cmp_ne_u16_sdwa s[48:49], v9, v45 src0_sel:WORD_1 src1_sel:DWORD
	v_add_u32_e32 v2, 20, v46
	v_and_b32_e32 v4, 0xffff, v4
	v_cndmask_b32_e64 v5, 0, 1, s[48:49]
	v_lshl_or_b32 v40, v5, 16, v4
	v_cmp_gt_u32_e32 vcc, s72, v2
	s_mov_b64 s[56:57], 0
	v_mov_b32_e32 v41, 0
                                        ; implicit-def: $sgpr64_sgpr65
                                        ; implicit-def: $vgpr43
	s_and_saveexec_b64 s[48:49], vcc
	s_cbranch_execz .LBB599_99
; %bb.96:
	v_lshrrev_b32_e32 v2, 16, v3
	v_mov_b32_e32 v4, s70
	v_cmp_eq_u16_sdwa vcc, v45, v45 src0_sel:DWORD src1_sel:WORD_1
	v_cndmask_b32_e32 v2, v4, v2, vcc
	v_cmp_ne_u16_sdwa s[52:53], v45, v45 src0_sel:DWORD src1_sel:WORD_1
	v_add_u32_e32 v3, 21, v46
	v_and_b32_e32 v2, 0xffff, v2
	v_cndmask_b32_e64 v4, 0, 1, s[52:53]
	v_lshl_or_b32 v41, v4, 16, v2
	v_cmp_gt_u32_e32 vcc, s72, v3
	s_mov_b64 s[52:53], 0
                                        ; implicit-def: $sgpr56_sgpr57
                                        ; implicit-def: $vgpr43
	s_and_saveexec_b64 s[64:65], vcc
	s_xor_b64 s[64:65], exec, s[64:65]
	s_cbranch_execz .LBB599_98
; %bb.97:
	ds_read_u16 v2, v44 offset:42
	v_mov_b32_e32 v3, s70
	v_cmp_ne_u16_sdwa vcc, v45, v42 src0_sel:WORD_1 src1_sel:DWORD
	s_mov_b64 s[52:53], exec
	s_and_b64 s[56:57], vcc, exec
	s_waitcnt lgkmcnt(0)
	v_cndmask_b32_e32 v43, v2, v3, vcc
.LBB599_98:
	s_or_b64 exec, exec, s[64:65]
	s_and_b64 s[64:65], s[56:57], exec
	s_and_b64 s[56:57], s[52:53], exec
.LBB599_99:
	s_or_b64 exec, exec, s[48:49]
	s_and_b64 s[52:53], s[64:65], exec
	s_and_b64 s[48:49], s[56:57], exec
.LBB599_100:
	s_or_b64 exec, exec, s[46:47]
	s_and_b64 s[46:47], s[52:53], exec
	s_and_b64 s[48:49], s[48:49], exec
.LBB599_101:
	s_or_b64 exec, exec, s[44:45]
	s_and_b64 s[46:47], s[46:47], exec
	s_and_b64 s[44:45], s[48:49], exec
.LBB599_102:
	s_or_b64 exec, exec, s[42:43]
	s_and_b64 s[42:43], s[46:47], exec
	s_and_b64 s[44:45], s[44:45], exec
.LBB599_103:
	s_or_b64 exec, exec, s[40:41]
	s_and_b64 s[42:43], s[42:43], exec
	s_and_b64 s[40:41], s[44:45], exec
.LBB599_104:
	s_or_b64 exec, exec, s[38:39]
	s_and_b64 s[38:39], s[42:43], exec
	s_and_b64 s[40:41], s[40:41], exec
.LBB599_105:
	s_or_b64 exec, exec, s[36:37]
	s_and_b64 s[38:39], s[38:39], exec
	s_and_b64 s[36:37], s[40:41], exec
.LBB599_106:
	s_or_b64 exec, exec, s[34:35]
	s_and_b64 s[34:35], s[38:39], exec
	s_and_b64 s[36:37], s[36:37], exec
.LBB599_107:
	s_or_b64 exec, exec, s[30:31]
	s_and_b64 s[34:35], s[34:35], exec
	s_and_b64 s[30:31], s[36:37], exec
.LBB599_108:
	s_or_b64 exec, exec, s[28:29]
	s_and_b64 s[28:29], s[34:35], exec
	s_and_b64 s[30:31], s[30:31], exec
.LBB599_109:
	s_or_b64 exec, exec, s[26:27]
	s_and_b64 s[28:29], s[28:29], exec
	s_and_b64 s[26:27], s[30:31], exec
.LBB599_110:
	s_or_b64 exec, exec, s[24:25]
	s_and_b64 s[24:25], s[28:29], exec
	s_and_b64 s[26:27], s[26:27], exec
.LBB599_111:
	s_or_b64 exec, exec, s[22:23]
	s_and_b64 s[24:25], s[24:25], exec
	s_and_b64 s[22:23], s[26:27], exec
.LBB599_112:
	s_or_b64 exec, exec, s[20:21]
	s_and_b64 s[20:21], s[24:25], exec
	s_and_b64 s[22:23], s[22:23], exec
.LBB599_113:
	s_or_b64 exec, exec, s[18:19]
	s_and_b64 s[20:21], s[20:21], exec
	s_and_b64 s[18:19], s[22:23], exec
.LBB599_114:
	s_or_b64 exec, exec, s[16:17]
	s_and_b64 s[16:17], s[20:21], exec
	s_and_b64 s[18:19], s[18:19], exec
.LBB599_115:
	s_or_b64 exec, exec, s[14:15]
	s_and_b64 s[16:17], s[16:17], exec
	s_and_b64 s[14:15], s[18:19], exec
.LBB599_116:
	s_or_b64 exec, exec, s[12:13]
	s_and_b64 s[12:13], s[16:17], exec
	s_and_b64 s[14:15], s[14:15], exec
.LBB599_117:
	s_or_b64 exec, exec, s[10:11]
	s_and_b64 s[12:13], s[12:13], exec
	s_and_b64 s[10:11], s[14:15], exec
.LBB599_118:
	s_or_b64 exec, exec, s[8:9]
	s_and_b64 s[8:9], s[12:13], exec
	s_and_b64 s[10:11], s[10:11], exec
.LBB599_119:
	s_or_b64 exec, exec, s[6:7]
	s_and_b64 vcc, exec, s[4:5]
	v_lshlrev_b32_e32 v42, 1, v0
	s_cbranch_vccnz .LBB599_121
	s_branch .LBB599_126
.LBB599_120:
	s_mov_b64 s[10:11], 0
                                        ; implicit-def: $sgpr8_sgpr9
                                        ; implicit-def: $vgpr43
                                        ; implicit-def: $vgpr1
                                        ; implicit-def: $vgpr20
                                        ; implicit-def: $vgpr24
                                        ; implicit-def: $vgpr21
                                        ; implicit-def: $vgpr25
                                        ; implicit-def: $vgpr26
                                        ; implicit-def: $vgpr27
                                        ; implicit-def: $vgpr28
                                        ; implicit-def: $vgpr29
                                        ; implicit-def: $vgpr30
                                        ; implicit-def: $vgpr31
                                        ; implicit-def: $vgpr32
                                        ; implicit-def: $vgpr33
                                        ; implicit-def: $vgpr34
                                        ; implicit-def: $vgpr35
                                        ; implicit-def: $vgpr36
                                        ; implicit-def: $vgpr37
                                        ; implicit-def: $vgpr22
                                        ; implicit-def: $vgpr39
                                        ; implicit-def: $vgpr40
                                        ; implicit-def: $vgpr41
                                        ; implicit-def: $sgpr71
	s_and_b64 vcc, exec, s[4:5]
	v_lshlrev_b32_e32 v42, 1, v0
	s_cbranch_vccz .LBB599_126
.LBB599_121:
	v_add_co_u32_e32 v2, vcc, v6, v42
	v_addc_co_u32_e32 v3, vcc, 0, v7, vcc
	v_add_co_u32_e32 v4, vcc, 0x1000, v2
	v_addc_co_u32_e32 v5, vcc, 0, v3, vcc
	flat_load_ushort v1, v[2:3]
	flat_load_ushort v8, v[2:3] offset:512
	flat_load_ushort v9, v[2:3] offset:1024
	flat_load_ushort v12, v[2:3] offset:1536
	flat_load_ushort v13, v[2:3] offset:2048
	flat_load_ushort v14, v[2:3] offset:2560
	flat_load_ushort v15, v[2:3] offset:3072
	flat_load_ushort v16, v[2:3] offset:3584
	v_add_co_u32_e32 v2, vcc, 0x2000, v2
	v_addc_co_u32_e32 v3, vcc, 0, v3, vcc
	flat_load_ushort v17, v[4:5]
	flat_load_ushort v18, v[4:5] offset:512
	flat_load_ushort v19, v[4:5] offset:1024
	;; [unrolled: 1-line block ×7, first 2 shown]
	s_nop 0
	flat_load_ushort v4, v[2:3]
	flat_load_ushort v5, v[2:3] offset:512
	flat_load_ushort v26, v[2:3] offset:1024
	;; [unrolled: 1-line block ×5, first 2 shown]
	v_add_co_u32_e32 v2, vcc, 0x2000, v6
	v_addc_co_u32_e32 v3, vcc, 0, v7, vcc
	s_movk_i32 s4, 0xffd6
	s_movk_i32 s7, 0x1000
	;; [unrolled: 1-line block ×3, first 2 shown]
	s_waitcnt vmcnt(0) lgkmcnt(0)
	ds_write_b16 v42, v1
	ds_write_b16 v42, v8 offset:512
	ds_write_b16 v42, v9 offset:1024
	;; [unrolled: 1-line block ×21, first 2 shown]
	s_waitcnt lgkmcnt(0)
	s_barrier
	flat_load_ushort v43, v[2:3] offset:3072
	v_mad_u32_u24 v1, v0, 42, v42
	v_mad_i32_i24 v2, v0, s4, v1
	s_movk_i32 s4, 0xff
	v_cmp_ne_u32_e32 vcc, s4, v0
	ds_read2_b32 v[20:21], v1 offset1:1
	ds_read2_b32 v[18:19], v1 offset0:2 offset1:3
	ds_read2_b32 v[16:17], v1 offset0:4 offset1:5
	;; [unrolled: 1-line block ×4, first 2 shown]
	ds_read_b32 v44, v1 offset:40
	s_waitcnt lgkmcnt(0)
	ds_write_b16 v2, v20 offset:11776
	s_waitcnt lgkmcnt(0)
	s_barrier
	s_and_saveexec_b64 s[4:5], vcc
	s_cbranch_execz .LBB599_123
; %bb.122:
	s_waitcnt vmcnt(0)
	ds_read_u16 v43, v42 offset:11778
.LBB599_123:
	s_or_b64 exec, exec, s[4:5]
	v_add_co_u32_e32 v2, vcc, v23, v42
	v_addc_co_u32_e32 v3, vcc, 0, v38, vcc
	v_add_co_u32_e32 v4, vcc, s7, v2
	v_addc_co_u32_e32 v5, vcc, 0, v3, vcc
	s_waitcnt lgkmcnt(0)
	s_barrier
	flat_load_ushort v6, v[2:3]
	flat_load_ushort v7, v[2:3] offset:512
	flat_load_ushort v8, v[2:3] offset:1024
	;; [unrolled: 1-line block ×7, first 2 shown]
	v_add_co_u32_e32 v2, vcc, s6, v2
	v_addc_co_u32_e32 v3, vcc, 0, v3, vcc
	flat_load_ushort v26, v[4:5]
	flat_load_ushort v27, v[4:5] offset:512
	flat_load_ushort v28, v[4:5] offset:1024
	;; [unrolled: 1-line block ×7, first 2 shown]
	s_nop 0
	flat_load_ushort v4, v[2:3]
	flat_load_ushort v5, v[2:3] offset:512
	flat_load_ushort v34, v[2:3] offset:1024
	;; [unrolled: 1-line block ×5, first 2 shown]
	v_cmp_eq_u16_sdwa s[6:7], v20, v20 src0_sel:DWORD src1_sel:WORD_1
	s_waitcnt vmcnt(0) lgkmcnt(0)
	ds_write_b16 v42, v6
	ds_write_b16 v42, v7 offset:512
	ds_write_b16 v42, v8 offset:1024
	;; [unrolled: 1-line block ×21, first 2 shown]
	s_waitcnt lgkmcnt(0)
	s_barrier
	ds_read_b128 v[6:9], v1 offset:2
	ds_read_b128 v[2:5], v1 offset:18
	ds_read_b64 v[22:23], v1 offset:34
	ds_read_u16 v38, v1 offset:42
	v_mov_b32_e32 v24, 0x10000
	v_mov_b32_e32 v25, s70
	s_and_saveexec_b64 s[4:5], s[6:7]
	s_cbranch_execz .LBB599_125
; %bb.124:
	ds_read_u16 v25, v1
	v_mov_b32_e32 v24, 0
.LBB599_125:
	s_or_b64 exec, exec, s[4:5]
	v_mov_b32_e32 v45, s70
	v_cmp_eq_u16_sdwa vcc, v20, v21 src0_sel:WORD_1 src1_sel:DWORD
	s_waitcnt lgkmcnt(3)
	v_lshrrev_b32_e32 v26, 16, v6
	v_cndmask_b32_e32 v6, v45, v6, vcc
	v_cmp_ne_u16_sdwa s[4:5], v20, v21 src0_sel:WORD_1 src1_sel:DWORD
	v_and_b32_e32 v6, 0xffff, v6
	v_cndmask_b32_e64 v20, 0, 1, s[4:5]
	v_cmp_eq_u16_sdwa vcc, v21, v21 src0_sel:DWORD src1_sel:WORD_1
	v_lshl_or_b32 v20, v20, 16, v6
	v_cndmask_b32_e32 v6, v45, v26, vcc
	v_cmp_ne_u16_sdwa s[4:5], v21, v21 src0_sel:DWORD src1_sel:WORD_1
	s_waitcnt lgkmcnt(0)
	v_or_b32_sdwa v1, v24, v25 dst_sel:DWORD dst_unused:UNUSED_PAD src0_sel:DWORD src1_sel:WORD_0
	v_and_b32_e32 v6, 0xffff, v6
	v_cndmask_b32_e64 v24, 0, 1, s[4:5]
	v_cmp_eq_u16_sdwa vcc, v21, v18 src0_sel:WORD_1 src1_sel:DWORD
	v_lshl_or_b32 v24, v24, 16, v6
	v_cndmask_b32_e32 v6, v45, v7, vcc
	v_cmp_ne_u16_sdwa s[4:5], v21, v18 src0_sel:WORD_1 src1_sel:DWORD
	v_lshrrev_b32_e32 v27, 16, v7
	v_and_b32_e32 v6, 0xffff, v6
	v_cndmask_b32_e64 v7, 0, 1, s[4:5]
	v_cmp_eq_u16_sdwa vcc, v18, v18 src0_sel:DWORD src1_sel:WORD_1
	v_lshl_or_b32 v21, v7, 16, v6
	v_cndmask_b32_e32 v6, v45, v27, vcc
	v_cmp_ne_u16_sdwa s[4:5], v18, v18 src0_sel:DWORD src1_sel:WORD_1
	v_and_b32_e32 v6, 0xffff, v6
	v_cndmask_b32_e64 v7, 0, 1, s[4:5]
	v_cmp_eq_u16_sdwa vcc, v18, v19 src0_sel:WORD_1 src1_sel:DWORD
	v_lshl_or_b32 v25, v7, 16, v6
	v_cndmask_b32_e32 v6, v45, v8, vcc
	v_cmp_ne_u16_sdwa s[4:5], v18, v19 src0_sel:WORD_1 src1_sel:DWORD
	v_lshrrev_b32_e32 v28, 16, v8
	v_and_b32_e32 v6, 0xffff, v6
	v_cndmask_b32_e64 v7, 0, 1, s[4:5]
	v_cmp_eq_u16_sdwa vcc, v19, v19 src0_sel:DWORD src1_sel:WORD_1
	v_lshl_or_b32 v26, v7, 16, v6
	v_cndmask_b32_e32 v6, v45, v28, vcc
	v_cmp_ne_u16_sdwa s[4:5], v19, v19 src0_sel:DWORD src1_sel:WORD_1
	;; [unrolled: 13-line block ×3, first 2 shown]
	v_cmp_eq_u16_sdwa vcc, v16, v17 src0_sel:WORD_1 src1_sel:DWORD
	v_lshrrev_b32_e32 v31, 16, v2
	v_and_b32_e32 v6, 0xffff, v6
	v_cndmask_b32_e64 v7, 0, 1, s[4:5]
	v_cndmask_b32_e32 v2, v45, v2, vcc
	v_cmp_ne_u16_sdwa s[4:5], v16, v17 src0_sel:WORD_1 src1_sel:DWORD
	v_lshl_or_b32 v29, v7, 16, v6
	v_and_b32_e32 v2, 0xffff, v2
	v_cndmask_b32_e64 v6, 0, 1, s[4:5]
	v_cmp_eq_u16_sdwa vcc, v17, v17 src0_sel:DWORD src1_sel:WORD_1
	v_lshl_or_b32 v30, v6, 16, v2
	v_cndmask_b32_e32 v2, v45, v31, vcc
	v_cmp_ne_u16_sdwa s[4:5], v17, v17 src0_sel:DWORD src1_sel:WORD_1
	v_and_b32_e32 v2, 0xffff, v2
	v_cndmask_b32_e64 v6, 0, 1, s[4:5]
	v_cmp_eq_u16_sdwa vcc, v17, v14 src0_sel:WORD_1 src1_sel:DWORD
	v_lshl_or_b32 v31, v6, 16, v2
	v_cndmask_b32_e32 v2, v45, v3, vcc
	v_cmp_ne_u16_sdwa s[4:5], v17, v14 src0_sel:WORD_1 src1_sel:DWORD
	v_lshrrev_b32_e32 v33, 16, v3
	v_and_b32_e32 v2, 0xffff, v2
	v_cndmask_b32_e64 v3, 0, 1, s[4:5]
	v_cmp_eq_u16_sdwa vcc, v14, v14 src0_sel:DWORD src1_sel:WORD_1
	v_lshl_or_b32 v32, v3, 16, v2
	v_cndmask_b32_e32 v2, v45, v33, vcc
	v_cmp_ne_u16_sdwa s[4:5], v14, v14 src0_sel:DWORD src1_sel:WORD_1
	v_and_b32_e32 v2, 0xffff, v2
	v_cndmask_b32_e64 v3, 0, 1, s[4:5]
	v_cmp_eq_u16_sdwa vcc, v14, v15 src0_sel:WORD_1 src1_sel:DWORD
	v_lshl_or_b32 v33, v3, 16, v2
	v_cndmask_b32_e32 v2, v45, v4, vcc
	v_cmp_ne_u16_sdwa s[4:5], v14, v15 src0_sel:WORD_1 src1_sel:DWORD
	v_lshrrev_b32_e32 v35, 16, v4
	;; [unrolled: 13-line block ×5, first 2 shown]
	v_and_b32_e32 v2, 0xffff, v2
	v_cndmask_b32_e64 v3, 0, 1, s[4:5]
	v_cmp_eq_u16_sdwa vcc, v44, v44 src0_sel:DWORD src1_sel:WORD_1
	v_lshl_or_b32 v40, v3, 16, v2
	v_cndmask_b32_e32 v2, v45, v41, vcc
	v_cmp_ne_u16_sdwa s[4:5], v44, v44 src0_sel:DWORD src1_sel:WORD_1
	v_and_b32_e32 v2, 0xffff, v2
	v_cndmask_b32_e64 v3, 0, 1, s[4:5]
	v_cmp_ne_u16_sdwa s[8:9], v44, v43 src0_sel:WORD_1 src1_sel:DWORD
	v_lshl_or_b32 v41, v3, 16, v2
	v_cndmask_b32_e64 v43, v38, v45, s[8:9]
	s_mov_b64 s[10:11], -1
                                        ; implicit-def: $sgpr71
.LBB599_126:
	v_mov_b32_e32 v14, s71
	s_and_saveexec_b64 s[4:5], s[10:11]
; %bb.127:
	v_mov_b32_e32 v2, 0x10000
	v_cndmask_b32_e64 v2, 0, v2, s[8:9]
	v_or_b32_sdwa v14, v2, v43 dst_sel:DWORD dst_unused:UNUSED_PAD src0_sel:DWORD src1_sel:WORD_0
; %bb.128:
	s_or_b64 exec, exec, s[4:5]
	v_or3_b32 v2, v14, v41, v40
	s_cmp_lg_u32 s63, 0
	v_or3_b32 v17, v2, v39, v22
	v_lshrrev_b32_e32 v15, 16, v1
	v_lshrrev_b32_e32 v16, 5, v0
	v_cmp_gt_u32_e32 vcc, 64, v0
	s_barrier
	s_cbranch_scc0 .LBB599_209
; %bb.129:
	s_mov_b32 s4, 0x10000
	v_cmp_gt_u32_e64 s[6:7], s4, v20
	v_cndmask_b32_e64 v2, 0, v1, s[6:7]
	v_add_u16_e32 v2, v2, v20
	v_cmp_gt_u32_e64 s[8:9], s4, v24
	v_cndmask_b32_e64 v2, 0, v2, s[8:9]
	v_add_u16_e32 v2, v2, v24
	;; [unrolled: 3-line block ×21, first 2 shown]
	v_or3_b32 v2, v17, v37, v36
	v_or3_b32 v2, v2, v35, v34
	;; [unrolled: 1-line block ×8, first 2 shown]
	v_and_b32_e32 v2, 0x10000, v2
	v_cmp_ne_u32_e64 s[4:5], 0, v2
	v_mov_b32_e32 v5, 0x10000
	v_cndmask_b32_e64 v19, v15, 1, s[4:5]
	v_add_lshl_u32 v2, v16, v0, 2
	ds_write_b16 v2, v18
	ds_write_b8 v2, v19 offset:2
	s_waitcnt lgkmcnt(0)
	s_barrier
	s_and_saveexec_b64 s[48:49], vcc
	s_cbranch_execz .LBB599_143
; %bb.130:
	v_lshlrev_b32_e32 v2, 2, v0
	v_lshrrev_b32_e32 v3, 3, v0
	v_add_lshl_u32 v2, v3, v2, 2
	ds_read_b32 v3, v2
	ds_read_u16 v4, v2 offset:4
	ds_read_u8 v6, v2 offset:6
	ds_read_u16 v7, v2 offset:8
	ds_read_u8 v8, v2 offset:10
	;; [unrolled: 2-line block ×3, first 2 shown]
	v_mov_b32_e32 v13, 0
	s_waitcnt lgkmcnt(4)
	v_cmp_eq_u16_sdwa s[4:5], v6, v13 src0_sel:BYTE_0 src1_sel:DWORD
	v_cndmask_b32_e64 v23, 0, v3, s[4:5]
	v_add_u16_e32 v23, v23, v4
	s_waitcnt lgkmcnt(2)
	v_cmp_eq_u16_sdwa s[4:5], v8, v13 src0_sel:BYTE_0 src1_sel:DWORD
	s_waitcnt lgkmcnt(0)
	v_or_b32_e32 v8, v12, v8
	v_cndmask_b32_e64 v13, 0, v23, s[4:5]
	v_or_b32_e32 v6, v8, v6
	v_add_u16_e32 v7, v13, v7
	v_cmp_eq_u16_e64 s[4:5], 0, v12
	v_and_b32_e32 v6, 1, v6
	v_and_b32_e32 v4, 0x10000, v3
	v_cndmask_b32_e64 v13, 0, v7, s[4:5]
	v_cmp_eq_u32_e64 s[4:5], 1, v6
	v_mbcnt_lo_u32_b32 v6, -1, 0
	v_add_u16_e32 v7, v13, v9
	v_cndmask_b32_e64 v23, v4, v5, s[4:5]
	v_add_u16_e32 v9, v13, v9
	v_and_b32_e32 v5, 0xff000000, v3
	v_mbcnt_hi_u32_b32 v6, -1, v6
	v_or_b32_e32 v12, v23, v5
	v_and_b32_e32 v13, 15, v6
	v_or3_b32 v9, v5, v9, v23
	s_movk_i32 s56, 0xff
	v_lshrrev_b32_e32 v8, 16, v12
	v_mov_b32_dpp v23, v9 row_shr:1 row_mask:0xf bank_mask:0xf
	v_cmp_ne_u32_e64 s[4:5], 0, v13
	s_and_saveexec_b64 s[52:53], s[4:5]
	s_cbranch_execz .LBB599_132
; %bb.131:
	v_and_b32_sdwa v8, v12, s56 dst_sel:DWORD dst_unused:UNUSED_PAD src0_sel:WORD_1 src1_sel:DWORD
	v_cmp_eq_u16_e64 s[4:5], 0, v8
	v_and_b32_e32 v8, 0x10000, v12
	v_mov_b32_e32 v12, 1
	v_cndmask_b32_e64 v9, 0, v23, s[4:5]
	v_and_b32_sdwa v12, v23, v12 dst_sel:DWORD dst_unused:UNUSED_PAD src0_sel:WORD_1 src1_sel:DWORD
	v_cmp_ne_u32_e64 s[4:5], 0, v8
	v_cndmask_b32_e64 v8, v12, 1, s[4:5]
	v_add_u16_e32 v38, v9, v7
	v_lshlrev_b32_e32 v12, 16, v8
	v_add_u16_e32 v7, v9, v7
	v_or3_b32 v9, v12, v7, v5
	v_mov_b32_e32 v7, v38
.LBB599_132:
	s_or_b64 exec, exec, s[52:53]
	v_lshrrev_b32_e32 v12, 16, v9
	v_mov_b32_dpp v23, v9 row_shr:2 row_mask:0xf bank_mask:0xf
	v_cmp_lt_u32_e64 s[4:5], 1, v13
	s_and_saveexec_b64 s[52:53], s[4:5]
	s_cbranch_execz .LBB599_134
; %bb.133:
	v_mov_b32_e32 v8, 0
	v_cmp_eq_u16_sdwa s[4:5], v12, v8 src0_sel:BYTE_0 src1_sel:DWORD
	v_and_b32_e32 v8, 0x10000, v9
	v_mov_b32_e32 v9, 1
	v_cndmask_b32_e64 v12, 0, v23, s[4:5]
	v_and_b32_sdwa v9, v23, v9 dst_sel:DWORD dst_unused:UNUSED_PAD src0_sel:WORD_1 src1_sel:DWORD
	v_cmp_ne_u32_e64 s[4:5], 0, v8
	v_cndmask_b32_e64 v8, v9, 1, s[4:5]
	v_add_u16_e32 v38, v12, v7
	v_lshlrev_b32_e32 v9, 16, v8
	v_add_u16_e32 v7, v12, v7
	v_or3_b32 v9, v9, v7, v5
	v_mov_b32_e32 v12, v8
	v_mov_b32_e32 v7, v38
.LBB599_134:
	s_or_b64 exec, exec, s[52:53]
	v_mov_b32_dpp v23, v9 row_shr:4 row_mask:0xf bank_mask:0xf
	v_cmp_lt_u32_e64 s[4:5], 3, v13
	s_and_saveexec_b64 s[52:53], s[4:5]
	s_cbranch_execz .LBB599_136
; %bb.135:
	v_mov_b32_e32 v8, 0
	v_cmp_eq_u16_sdwa s[4:5], v12, v8 src0_sel:BYTE_0 src1_sel:DWORD
	v_and_b32_e32 v8, 1, v12
	v_mov_b32_e32 v12, 1
	v_cndmask_b32_e64 v9, 0, v23, s[4:5]
	v_and_b32_sdwa v12, v23, v12 dst_sel:DWORD dst_unused:UNUSED_PAD src0_sel:WORD_1 src1_sel:DWORD
	v_cmp_eq_u32_e64 s[4:5], 1, v8
	v_cndmask_b32_e64 v8, v12, 1, s[4:5]
	v_add_u16_e32 v38, v9, v7
	v_lshlrev_b32_e32 v12, 16, v8
	v_add_u16_e32 v7, v9, v7
	v_or3_b32 v9, v12, v7, v5
	v_mov_b32_e32 v12, v8
	v_mov_b32_e32 v7, v38
.LBB599_136:
	s_or_b64 exec, exec, s[52:53]
	v_mov_b32_dpp v23, v9 row_shr:8 row_mask:0xf bank_mask:0xf
	v_cmp_lt_u32_e64 s[4:5], 7, v13
	s_and_saveexec_b64 s[52:53], s[4:5]
	s_cbranch_execz .LBB599_138
; %bb.137:
	v_mov_b32_e32 v8, 0
	v_cmp_eq_u16_sdwa s[4:5], v12, v8 src0_sel:BYTE_0 src1_sel:DWORD
	v_and_b32_e32 v8, 1, v12
	v_mov_b32_e32 v12, 1
	v_cndmask_b32_e64 v9, 0, v23, s[4:5]
	v_and_b32_sdwa v12, v23, v12 dst_sel:DWORD dst_unused:UNUSED_PAD src0_sel:WORD_1 src1_sel:DWORD
	v_cmp_eq_u32_e64 s[4:5], 1, v8
	v_cndmask_b32_e64 v8, v12, 1, s[4:5]
	v_add_u16_e32 v13, v9, v7
	v_lshlrev_b32_e32 v12, 16, v8
	v_add_u16_e32 v7, v9, v7
	v_or3_b32 v9, v12, v7, v5
	v_mov_b32_e32 v12, v8
	v_mov_b32_e32 v7, v13
.LBB599_138:
	s_or_b64 exec, exec, s[52:53]
	v_and_b32_e32 v23, 16, v6
	v_mov_b32_dpp v13, v9 row_bcast:15 row_mask:0xf bank_mask:0xf
	v_cmp_ne_u32_e64 s[4:5], 0, v23
	s_and_saveexec_b64 s[52:53], s[4:5]
	s_cbranch_execz .LBB599_140
; %bb.139:
	v_mov_b32_e32 v8, 0
	v_cmp_eq_u16_sdwa s[4:5], v12, v8 src0_sel:BYTE_0 src1_sel:DWORD
	v_and_b32_e32 v8, 1, v12
	v_mov_b32_e32 v12, 1
	v_cndmask_b32_e64 v9, 0, v13, s[4:5]
	v_and_b32_sdwa v12, v13, v12 dst_sel:DWORD dst_unused:UNUSED_PAD src0_sel:WORD_1 src1_sel:DWORD
	v_cmp_eq_u32_e64 s[4:5], 1, v8
	v_cndmask_b32_e64 v8, v12, 1, s[4:5]
	v_add_u16_e32 v23, v9, v7
	v_lshlrev_b32_e32 v12, 16, v8
	v_add_u16_e32 v7, v9, v7
	v_or3_b32 v9, v12, v7, v5
	v_mov_b32_e32 v12, v8
	v_mov_b32_e32 v7, v23
.LBB599_140:
	s_or_b64 exec, exec, s[52:53]
	v_mov_b32_dpp v9, v9 row_bcast:31 row_mask:0xf bank_mask:0xf
	v_cmp_lt_u32_e64 s[4:5], 31, v6
	s_and_saveexec_b64 s[52:53], s[4:5]
; %bb.141:
	v_mov_b32_e32 v8, 0
	v_cmp_eq_u16_sdwa s[4:5], v12, v8 src0_sel:BYTE_0 src1_sel:DWORD
	v_cndmask_b32_e64 v8, 0, v9, s[4:5]
	v_add_u16_e32 v7, v8, v7
	v_and_b32_e32 v8, 1, v12
	v_mov_b32_e32 v12, 1
	v_and_b32_sdwa v9, v9, v12 dst_sel:DWORD dst_unused:UNUSED_PAD src0_sel:WORD_1 src1_sel:DWORD
	v_cmp_eq_u32_e64 s[4:5], 1, v8
	v_cndmask_b32_e64 v8, v9, 1, s[4:5]
; %bb.142:
	s_or_b64 exec, exec, s[52:53]
	v_and_b32_e32 v8, 0xff, v8
	v_lshlrev_b32_e32 v8, 16, v8
	v_and_b32_e32 v7, 0xffff, v7
	v_or3_b32 v5, v8, v7, v5
	v_add_u32_e32 v7, -1, v6
	v_and_b32_e32 v8, 64, v6
	v_cmp_lt_i32_e64 s[4:5], v7, v8
	v_cndmask_b32_e64 v6, v7, v6, s[4:5]
	v_lshlrev_b32_e32 v6, 2, v6
	ds_bpermute_b32 v5, v6, v5
	v_and_b32_e32 v6, 0xff0000, v3
	v_cmp_eq_u32_e64 s[4:5], 0, v6
	; wave barrier
	s_waitcnt lgkmcnt(0)
	v_cndmask_b32_e64 v6, 0, v5, s[4:5]
	v_add_u16_e32 v3, v6, v3
	v_mov_b32_e32 v6, 1
	v_and_b32_sdwa v5, v5, v6 dst_sel:DWORD dst_unused:UNUSED_PAD src0_sel:WORD_1 src1_sel:DWORD
	v_cmp_eq_u32_e64 s[4:5], 0, v4
	v_cndmask_b32_e64 v4, 1, v5, s[4:5]
	v_cndmask_b32_e64 v3, v3, v18, s[0:1]
	;; [unrolled: 1-line block ×3, first 2 shown]
	ds_write_b16 v2, v3
	ds_write_b8 v2, v4 offset:2
	; wave barrier
	ds_read_u16 v5, v2 offset:4
	ds_read_u8 v6, v2 offset:6
	ds_read_u16 v7, v2 offset:8
	ds_read_u8 v8, v2 offset:10
	ds_read_u16 v9, v2 offset:12
	ds_read_u8 v12, v2 offset:14
	s_waitcnt lgkmcnt(4)
	v_cmp_eq_u16_e64 s[4:5], 0, v6
	v_cndmask_b32_e64 v3, 0, v3, s[4:5]
	v_add_u16_e32 v3, v3, v5
	v_and_b32_e32 v5, 1, v6
	v_cmp_eq_u32_e64 s[4:5], 1, v5
	v_cndmask_b32_e64 v4, v4, 1, s[4:5]
	s_waitcnt lgkmcnt(2)
	v_cmp_eq_u16_e64 s[4:5], 0, v8
	v_and_b32_e32 v5, 1, v8
	ds_write_b16 v2, v3 offset:4
	ds_write_b8 v2, v4 offset:6
	v_cndmask_b32_e64 v3, 0, v3, s[4:5]
	v_cmp_eq_u32_e64 s[4:5], 1, v5
	v_add_u16_e32 v3, v3, v7
	v_cndmask_b32_e64 v4, v4, 1, s[4:5]
	s_waitcnt lgkmcnt(2)
	v_cmp_eq_u16_e64 s[4:5], 0, v12
	ds_write_b16 v2, v3 offset:8
	ds_write_b8 v2, v4 offset:10
	v_cndmask_b32_e64 v3, 0, v3, s[4:5]
	v_and_b32_e32 v5, 1, v12
	v_add_u16_e32 v3, v3, v9
	v_cmp_eq_u32_e64 s[4:5], 1, v5
	v_cndmask_b32_e64 v4, v4, 1, s[4:5]
	ds_write_b16 v2, v3 offset:12
	ds_write_b8 v2, v4 offset:14
.LBB599_143:
	s_or_b64 exec, exec, s[48:49]
	s_waitcnt lgkmcnt(0)
	s_barrier
	s_and_saveexec_b64 s[4:5], s[50:51]
	s_cbranch_execz .LBB599_145
; %bb.144:
	v_add_u32_e32 v2, -1, v0
	v_lshrrev_b32_e32 v3, 5, v2
	v_add_lshl_u32 v2, v3, v2, 2
	ds_read_u16 v18, v2
	ds_read_u8 v19, v2 offset:2
.LBB599_145:
	s_or_b64 exec, exec, s[4:5]
	s_and_saveexec_b64 s[4:5], vcc
	s_cbranch_execz .LBB599_188
; %bb.146:
	v_mov_b32_e32 v9, 0
	ds_read_b32 v2, v9 offset:1048
	v_mbcnt_lo_u32_b32 v3, -1, 0
	v_mbcnt_hi_u32_b32 v5, -1, v3
	s_mov_b32 s57, 0
	v_cmp_eq_u32_e64 s[48:49], 0, v5
	s_and_saveexec_b64 s[52:53], s[48:49]
	s_cbranch_execz .LBB599_148
; %bb.147:
	s_add_i32 s56, s63, 64
	s_lshl_b64 s[56:57], s[56:57], 3
	s_add_u32 s56, s60, s56
	v_mov_b32_e32 v3, 1
	s_addc_u32 s57, s61, s57
	s_waitcnt lgkmcnt(0)
	global_store_dwordx2 v9, v[2:3], s[56:57]
.LBB599_148:
	s_or_b64 exec, exec, s[52:53]
	v_xad_u32 v4, v5, -1, s63
	v_add_u32_e32 v8, 64, v4
	v_lshlrev_b64 v[6:7], 3, v[8:9]
	v_mov_b32_e32 v3, s61
	v_add_co_u32_e32 v12, vcc, s60, v6
	v_addc_co_u32_e32 v13, vcc, v3, v7, vcc
	global_load_dwordx2 v[6:7], v[12:13], off glc
	s_waitcnt vmcnt(0)
	v_cmp_eq_u16_sdwa s[56:57], v7, v9 src0_sel:BYTE_0 src1_sel:DWORD
	s_and_saveexec_b64 s[52:53], s[56:57]
	s_cbranch_execz .LBB599_152
; %bb.149:
	s_mov_b64 s[56:57], 0
	v_mov_b32_e32 v3, 0
.LBB599_150:                            ; =>This Inner Loop Header: Depth=1
	global_load_dwordx2 v[6:7], v[12:13], off glc
	s_waitcnt vmcnt(0)
	v_cmp_ne_u16_sdwa s[64:65], v7, v3 src0_sel:BYTE_0 src1_sel:DWORD
	s_or_b64 s[56:57], s[64:65], s[56:57]
	s_andn2_b64 exec, exec, s[56:57]
	s_cbranch_execnz .LBB599_150
; %bb.151:
	s_or_b64 exec, exec, s[56:57]
.LBB599_152:
	s_or_b64 exec, exec, s[52:53]
	v_mov_b32_e32 v3, 2
	v_cmp_eq_u16_sdwa s[52:53], v7, v3 src0_sel:BYTE_0 src1_sel:DWORD
	v_lshlrev_b64 v[8:9], v5, -1
	v_and_b32_e32 v3, s53, v9
	v_or_b32_e32 v3, 0x80000000, v3
	v_ffbl_b32_e32 v3, v3
	v_add_u32_e32 v13, 32, v3
	v_and_b32_e32 v3, 63, v5
	v_cmp_ne_u32_e32 vcc, 63, v3
	v_addc_co_u32_e32 v23, vcc, 0, v5, vcc
	v_and_b32_e32 v52, 0xffffff, v6
	v_lshlrev_b32_e32 v23, 2, v23
	ds_bpermute_b32 v38, v23, v52
	v_and_b32_e32 v12, s52, v8
	v_ffbl_b32_e32 v12, v12
	v_min_u32_e32 v13, v12, v13
	v_lshrrev_b32_e32 v12, 16, v6
	v_cmp_lt_u32_e32 vcc, v3, v13
	v_bfe_u32 v50, v6, 16, 8
	s_and_saveexec_b64 s[52:53], vcc
	s_cbranch_execz .LBB599_154
; %bb.153:
	v_and_b32_e32 v12, 0xff0000, v6
	v_cmp_eq_u32_e32 vcc, 0, v12
	v_and_b32_e32 v12, 0x10000, v12
	v_mov_b32_e32 v45, 1
	s_waitcnt lgkmcnt(0)
	v_cndmask_b32_e32 v43, 0, v38, vcc
	v_and_b32_sdwa v38, v38, v45 dst_sel:DWORD dst_unused:UNUSED_PAD src0_sel:WORD_1 src1_sel:DWORD
	v_cmp_ne_u32_e32 vcc, 0, v12
	v_cndmask_b32_e64 v12, v38, 1, vcc
	v_add_u16_e32 v44, v43, v6
	v_lshlrev_b32_e32 v38, 16, v12
	v_add_u16_e32 v6, v43, v6
	v_or_b32_e32 v52, v38, v6
	v_mov_b32_e32 v6, v44
	v_mov_b32_e32 v50, v12
.LBB599_154:
	s_or_b64 exec, exec, s[52:53]
	v_cmp_gt_u32_e32 vcc, 62, v3
	s_waitcnt lgkmcnt(0)
	v_cndmask_b32_e64 v38, 0, 1, vcc
	v_lshlrev_b32_e32 v38, 1, v38
	v_add_lshl_u32 v38, v38, v5, 2
	ds_bpermute_b32 v44, v38, v52
	v_add_u32_e32 v43, 2, v3
	v_cmp_le_u32_e32 vcc, v43, v13
	s_and_saveexec_b64 s[52:53], vcc
	s_cbranch_execz .LBB599_156
; %bb.155:
	v_cmp_eq_u16_e32 vcc, 0, v50
	v_and_b32_e32 v12, 1, v50
	v_mov_b32_e32 v47, 1
	s_waitcnt lgkmcnt(0)
	v_cndmask_b32_e32 v45, 0, v44, vcc
	v_and_b32_sdwa v44, v44, v47 dst_sel:DWORD dst_unused:UNUSED_PAD src0_sel:WORD_1 src1_sel:DWORD
	v_cmp_eq_u32_e32 vcc, 1, v12
	v_cndmask_b32_e64 v12, v44, 1, vcc
	v_add_u16_e32 v46, v45, v6
	v_lshlrev_b32_e32 v44, 16, v12
	v_add_u16_e32 v6, v45, v6
	v_or_b32_e32 v52, v44, v6
	v_mov_b32_e32 v6, v46
	v_mov_b32_e32 v50, v12
.LBB599_156:
	s_or_b64 exec, exec, s[52:53]
	v_cmp_gt_u32_e32 vcc, 60, v3
	s_waitcnt lgkmcnt(0)
	v_cndmask_b32_e64 v44, 0, 1, vcc
	v_lshlrev_b32_e32 v44, 2, v44
	v_add_lshl_u32 v44, v44, v5, 2
	ds_bpermute_b32 v46, v44, v52
	v_add_u32_e32 v45, 4, v3
	v_cmp_le_u32_e32 vcc, v45, v13
	s_and_saveexec_b64 s[52:53], vcc
	s_cbranch_execz .LBB599_158
; %bb.157:
	v_cmp_eq_u16_e32 vcc, 0, v50
	v_and_b32_e32 v12, 1, v50
	v_mov_b32_e32 v49, 1
	s_waitcnt lgkmcnt(0)
	v_cndmask_b32_e32 v47, 0, v46, vcc
	v_and_b32_sdwa v46, v46, v49 dst_sel:DWORD dst_unused:UNUSED_PAD src0_sel:WORD_1 src1_sel:DWORD
	v_cmp_eq_u32_e32 vcc, 1, v12
	v_cndmask_b32_e64 v12, v46, 1, vcc
	v_add_u16_e32 v48, v47, v6
	v_lshlrev_b32_e32 v46, 16, v12
	v_add_u16_e32 v6, v47, v6
	v_or_b32_e32 v52, v46, v6
	v_mov_b32_e32 v6, v48
	v_mov_b32_e32 v50, v12
.LBB599_158:
	;; [unrolled: 27-line block ×4, first 2 shown]
	s_or_b64 exec, exec, s[52:53]
	v_cmp_gt_u32_e32 vcc, 32, v3
	s_waitcnt lgkmcnt(0)
	v_cndmask_b32_e64 v51, 0, 1, vcc
	v_lshlrev_b32_e32 v51, 5, v51
	v_add_lshl_u32 v51, v51, v5, 2
	ds_bpermute_b32 v5, v51, v52
	v_add_u32_e32 v52, 32, v3
	v_cmp_le_u32_e32 vcc, v52, v13
	s_and_saveexec_b64 s[52:53], vcc
	s_cbranch_execz .LBB599_164
; %bb.163:
	v_cmp_eq_u16_e32 vcc, 0, v50
	s_waitcnt lgkmcnt(0)
	v_cndmask_b32_e32 v12, 0, v5, vcc
	v_add_u16_e32 v6, v12, v6
	v_and_b32_e32 v12, 1, v50
	v_mov_b32_e32 v13, 1
	v_and_b32_sdwa v5, v5, v13 dst_sel:DWORD dst_unused:UNUSED_PAD src0_sel:WORD_1 src1_sel:DWORD
	v_cmp_eq_u32_e32 vcc, 1, v12
	v_cndmask_b32_e64 v12, v5, 1, vcc
.LBB599_164:
	s_or_b64 exec, exec, s[52:53]
	s_waitcnt lgkmcnt(0)
	v_mov_b32_e32 v5, 0
	v_mov_b32_e32 v54, 2
	;; [unrolled: 1-line block ×3, first 2 shown]
	s_branch .LBB599_166
.LBB599_165:                            ;   in Loop: Header=BB599_166 Depth=1
	s_or_b64 exec, exec, s[52:53]
	v_cmp_eq_u16_sdwa vcc, v50, v5 src0_sel:BYTE_0 src1_sel:DWORD
	v_and_b32_e32 v12, 1, v50
	v_cndmask_b32_e32 v6, 0, v6, vcc
	v_and_b32_e32 v13, 1, v13
	v_cmp_eq_u32_e32 vcc, 1, v12
	v_subrev_u32_e32 v4, 64, v4
	v_add_u16_e32 v6, v6, v53
	v_cndmask_b32_e64 v12, v13, 1, vcc
.LBB599_166:                            ; =>This Loop Header: Depth=1
                                        ;     Child Loop BB599_169 Depth 2
	v_cmp_ne_u16_sdwa s[52:53], v7, v54 src0_sel:BYTE_0 src1_sel:DWORD
	v_cndmask_b32_e64 v7, 0, 1, s[52:53]
	;;#ASMSTART
	;;#ASMEND
	v_cmp_ne_u32_e32 vcc, 0, v7
	v_mov_b32_e32 v50, v12
	s_cmp_lg_u64 vcc, exec
	v_mov_b32_e32 v53, v6
	s_cbranch_scc1 .LBB599_183
; %bb.167:                              ;   in Loop: Header=BB599_166 Depth=1
	v_lshlrev_b64 v[6:7], 3, v[4:5]
	v_mov_b32_e32 v13, s61
	v_add_co_u32_e32 v12, vcc, s60, v6
	v_addc_co_u32_e32 v13, vcc, v13, v7, vcc
	global_load_dwordx2 v[6:7], v[12:13], off glc
	s_waitcnt vmcnt(0)
	v_cmp_eq_u16_sdwa s[56:57], v7, v5 src0_sel:BYTE_0 src1_sel:DWORD
	s_and_saveexec_b64 s[52:53], s[56:57]
	s_cbranch_execz .LBB599_171
; %bb.168:                              ;   in Loop: Header=BB599_166 Depth=1
	s_mov_b64 s[56:57], 0
.LBB599_169:                            ;   Parent Loop BB599_166 Depth=1
                                        ; =>  This Inner Loop Header: Depth=2
	global_load_dwordx2 v[6:7], v[12:13], off glc
	s_waitcnt vmcnt(0)
	v_cmp_ne_u16_sdwa s[64:65], v7, v5 src0_sel:BYTE_0 src1_sel:DWORD
	s_or_b64 s[56:57], s[64:65], s[56:57]
	s_andn2_b64 exec, exec, s[56:57]
	s_cbranch_execnz .LBB599_169
; %bb.170:                              ;   in Loop: Header=BB599_166 Depth=1
	s_or_b64 exec, exec, s[56:57]
.LBB599_171:                            ;   in Loop: Header=BB599_166 Depth=1
	s_or_b64 exec, exec, s[52:53]
	v_cmp_eq_u16_sdwa s[52:53], v7, v54 src0_sel:BYTE_0 src1_sel:DWORD
	v_and_b32_e32 v12, s53, v9
	s_waitcnt lgkmcnt(0)
	v_and_b32_e32 v57, 0xffffff, v6
	v_or_b32_e32 v12, 0x80000000, v12
	ds_bpermute_b32 v58, v23, v57
	v_and_b32_e32 v13, s52, v8
	v_ffbl_b32_e32 v12, v12
	v_add_u32_e32 v12, 32, v12
	v_ffbl_b32_e32 v13, v13
	v_min_u32_e32 v12, v13, v12
	v_lshrrev_b32_e32 v13, 16, v6
	v_cmp_lt_u32_e32 vcc, v3, v12
	v_bfe_u32 v56, v6, 16, 8
	s_and_saveexec_b64 s[52:53], vcc
	s_cbranch_execz .LBB599_173
; %bb.172:                              ;   in Loop: Header=BB599_166 Depth=1
	v_and_b32_e32 v13, 0xff0000, v6
	v_cmp_eq_u32_e32 vcc, 0, v13
	v_and_b32_e32 v13, 0x10000, v13
	s_waitcnt lgkmcnt(0)
	v_cndmask_b32_e32 v56, 0, v58, vcc
	v_and_b32_sdwa v57, v58, v55 dst_sel:DWORD dst_unused:UNUSED_PAD src0_sel:WORD_1 src1_sel:DWORD
	v_cmp_ne_u32_e32 vcc, 0, v13
	v_cndmask_b32_e64 v13, v57, 1, vcc
	v_add_u16_e32 v59, v56, v6
	v_lshlrev_b32_e32 v57, 16, v13
	v_add_u16_e32 v6, v56, v6
	v_or_b32_e32 v57, v57, v6
	v_mov_b32_e32 v6, v59
	v_mov_b32_e32 v56, v13
.LBB599_173:                            ;   in Loop: Header=BB599_166 Depth=1
	s_or_b64 exec, exec, s[52:53]
	s_waitcnt lgkmcnt(0)
	ds_bpermute_b32 v58, v38, v57
	v_cmp_le_u32_e32 vcc, v43, v12
	s_and_saveexec_b64 s[52:53], vcc
	s_cbranch_execz .LBB599_175
; %bb.174:                              ;   in Loop: Header=BB599_166 Depth=1
	v_cmp_eq_u16_e32 vcc, 0, v56
	v_and_b32_e32 v13, 1, v56
	s_waitcnt lgkmcnt(0)
	v_cndmask_b32_e32 v57, 0, v58, vcc
	v_and_b32_sdwa v56, v58, v55 dst_sel:DWORD dst_unused:UNUSED_PAD src0_sel:WORD_1 src1_sel:DWORD
	v_cmp_eq_u32_e32 vcc, 1, v13
	v_cndmask_b32_e64 v13, v56, 1, vcc
	v_add_u16_e32 v59, v57, v6
	v_lshlrev_b32_e32 v56, 16, v13
	v_add_u16_e32 v6, v57, v6
	v_or_b32_e32 v57, v56, v6
	v_mov_b32_e32 v6, v59
	v_mov_b32_e32 v56, v13
.LBB599_175:                            ;   in Loop: Header=BB599_166 Depth=1
	s_or_b64 exec, exec, s[52:53]
	s_waitcnt lgkmcnt(0)
	ds_bpermute_b32 v58, v44, v57
	v_cmp_le_u32_e32 vcc, v45, v12
	s_and_saveexec_b64 s[52:53], vcc
	s_cbranch_execz .LBB599_177
; %bb.176:                              ;   in Loop: Header=BB599_166 Depth=1
	v_cmp_eq_u16_e32 vcc, 0, v56
	v_and_b32_e32 v13, 1, v56
	s_waitcnt lgkmcnt(0)
	v_cndmask_b32_e32 v57, 0, v58, vcc
	v_and_b32_sdwa v56, v58, v55 dst_sel:DWORD dst_unused:UNUSED_PAD src0_sel:WORD_1 src1_sel:DWORD
	v_cmp_eq_u32_e32 vcc, 1, v13
	v_cndmask_b32_e64 v13, v56, 1, vcc
	v_add_u16_e32 v59, v57, v6
	v_lshlrev_b32_e32 v56, 16, v13
	v_add_u16_e32 v6, v57, v6
	v_or_b32_e32 v57, v56, v6
	v_mov_b32_e32 v6, v59
	v_mov_b32_e32 v56, v13
.LBB599_177:                            ;   in Loop: Header=BB599_166 Depth=1
	;; [unrolled: 21-line block ×4, first 2 shown]
	s_or_b64 exec, exec, s[52:53]
	ds_bpermute_b32 v57, v51, v57
	v_cmp_le_u32_e32 vcc, v52, v12
	s_and_saveexec_b64 s[52:53], vcc
	s_cbranch_execz .LBB599_165
; %bb.182:                              ;   in Loop: Header=BB599_166 Depth=1
	v_cmp_eq_u16_e32 vcc, 0, v56
	s_waitcnt lgkmcnt(0)
	v_cndmask_b32_e32 v12, 0, v57, vcc
	v_add_u16_e32 v6, v12, v6
	v_and_b32_e32 v12, 1, v56
	v_lshrrev_b32_e32 v13, 16, v57
	v_cmp_eq_u32_e32 vcc, 1, v12
	v_cndmask_b32_e64 v13, v13, 1, vcc
	s_branch .LBB599_165
.LBB599_183:                            ;   in Loop: Header=BB599_166 Depth=1
                                        ; implicit-def: $vgpr12
                                        ; implicit-def: $vgpr6
	s_cbranch_execz .LBB599_166
; %bb.184:
	s_and_saveexec_b64 s[52:53], s[48:49]
	s_cbranch_execz .LBB599_186
; %bb.185:
	v_and_b32_e32 v3, 0xff0000, v2
	s_mov_b32 s49, 0
	v_cmp_eq_u32_e32 vcc, 0, v3
	v_and_b32_e32 v4, 0x10000, v2
	v_mov_b32_e32 v5, 1
	s_add_i32 s48, s63, 64
	v_cndmask_b32_e32 v3, 0, v53, vcc
	v_and_b32_sdwa v5, v50, v5 dst_sel:WORD_1 dst_unused:UNUSED_PAD src0_sel:DWORD src1_sel:DWORD
	v_mov_b32_e32 v6, 0x10000
	v_cmp_eq_u32_e32 vcc, 0, v4
	s_lshl_b64 s[48:49], s[48:49], 3
	v_cndmask_b32_e32 v4, v6, v5, vcc
	s_add_u32 s48, s60, s48
	v_add_u16_e32 v2, v3, v2
	s_addc_u32 s49, s61, s49
	v_mov_b32_e32 v5, 0
	v_or_b32_e32 v2, v4, v2
	v_mov_b32_e32 v3, 2
	global_store_dwordx2 v5, v[2:3], s[48:49]
.LBB599_186:
	s_or_b64 exec, exec, s[52:53]
	s_and_b64 exec, exec, s[0:1]
	s_cbranch_execz .LBB599_188
; %bb.187:
	v_mov_b32_e32 v2, 0
	ds_write_b16 v2, v53
	ds_write_b8 v2, v50 offset:2
.LBB599_188:
	s_or_b64 exec, exec, s[4:5]
	v_mov_b32_e32 v2, 0
	s_waitcnt lgkmcnt(0)
	s_barrier
	ds_read_b32 v3, v2
	v_cmp_eq_u16_sdwa vcc, v19, v2 src0_sel:BYTE_0 src1_sel:DWORD
	s_waitcnt lgkmcnt(0)
	v_cndmask_b32_e32 v2, 0, v3, vcc
	v_add_u16_e32 v2, v2, v18
	v_cndmask_b32_e64 v4, v2, v3, s[0:1]
	v_and_b32_e32 v2, 0xff0000, v1
	v_cmp_eq_u32_e32 vcc, 0, v2
	v_cndmask_b32_e32 v2, 0, v4, vcc
	v_add_u16_e32 v5, v2, v1
	v_cndmask_b32_e64 v2, 0, v5, s[6:7]
	v_add_u16_e32 v6, v2, v20
	v_cndmask_b32_e64 v2, 0, v6, s[8:9]
	;; [unrolled: 2-line block ×20, first 2 shown]
	v_add_u16_e32 v52, v2, v41
	s_branch .LBB599_231
.LBB599_189:
	s_or_b64 exec, exec, s[4:5]
                                        ; implicit-def: $vgpr32
	s_and_saveexec_b64 s[4:5], s[6:7]
	s_cbranch_execz .LBB599_53
.LBB599_190:
	v_add_co_u32_e32 v32, vcc, v23, v25
	v_addc_co_u32_e32 v33, vcc, 0, v38, vcc
	flat_load_ushort v32, v[32:33] offset:512
	s_or_b64 exec, exec, s[4:5]
                                        ; implicit-def: $vgpr33
	s_and_saveexec_b64 s[4:5], s[8:9]
	s_cbranch_execnz .LBB599_54
.LBB599_191:
	s_or_b64 exec, exec, s[4:5]
                                        ; implicit-def: $vgpr34
	s_and_saveexec_b64 s[4:5], s[10:11]
	s_cbranch_execz .LBB599_55
.LBB599_192:
	v_add_co_u32_e32 v34, vcc, v23, v25
	v_addc_co_u32_e32 v35, vcc, 0, v38, vcc
	flat_load_ushort v34, v[34:35] offset:1536
	s_or_b64 exec, exec, s[4:5]
                                        ; implicit-def: $vgpr35
	s_and_saveexec_b64 s[4:5], s[12:13]
	s_cbranch_execnz .LBB599_56
.LBB599_193:
	s_or_b64 exec, exec, s[4:5]
                                        ; implicit-def: $vgpr36
	s_and_saveexec_b64 s[4:5], s[14:15]
	s_cbranch_execz .LBB599_57
.LBB599_194:
	v_add_co_u32_e32 v36, vcc, v23, v25
	v_addc_co_u32_e32 v37, vcc, 0, v38, vcc
	flat_load_ushort v36, v[36:37] offset:2560
	s_or_b64 exec, exec, s[4:5]
                                        ; implicit-def: $vgpr37
	s_and_saveexec_b64 s[4:5], s[16:17]
	s_cbranch_execnz .LBB599_58
.LBB599_195:
	s_or_b64 exec, exec, s[4:5]
                                        ; implicit-def: $vgpr39
	s_and_saveexec_b64 s[4:5], s[18:19]
	s_cbranch_execz .LBB599_59
.LBB599_196:
	v_add_co_u32_e32 v40, vcc, v23, v25
	v_addc_co_u32_e32 v41, vcc, 0, v38, vcc
	flat_load_ushort v39, v[40:41] offset:3584
	s_or_b64 exec, exec, s[4:5]
                                        ; implicit-def: $vgpr40
	s_and_saveexec_b64 s[4:5], s[20:21]
	s_cbranch_execnz .LBB599_60
.LBB599_197:
	s_or_b64 exec, exec, s[4:5]
                                        ; implicit-def: $vgpr1
	s_and_saveexec_b64 s[4:5], s[22:23]
	s_cbranch_execz .LBB599_61
.LBB599_198:
	v_add_co_u32_e32 v46, vcc, v23, v2
	v_addc_co_u32_e32 v47, vcc, 0, v38, vcc
	flat_load_ushort v1, v[46:47]
	s_or_b64 exec, exec, s[4:5]
                                        ; implicit-def: $vgpr2
	s_and_saveexec_b64 s[4:5], s[24:25]
	s_cbranch_execnz .LBB599_62
.LBB599_199:
	s_or_b64 exec, exec, s[4:5]
                                        ; implicit-def: $vgpr3
	s_and_saveexec_b64 s[4:5], s[26:27]
	s_cbranch_execz .LBB599_63
.LBB599_200:
	v_add_co_u32_e32 v46, vcc, v23, v4
	v_addc_co_u32_e32 v47, vcc, 0, v38, vcc
	flat_load_ushort v3, v[46:47]
	s_or_b64 exec, exec, s[4:5]
                                        ; implicit-def: $vgpr4
	s_and_saveexec_b64 s[4:5], s[28:29]
	s_cbranch_execnz .LBB599_64
.LBB599_201:
	s_or_b64 exec, exec, s[4:5]
                                        ; implicit-def: $vgpr5
	s_and_saveexec_b64 s[4:5], s[30:31]
	s_cbranch_execz .LBB599_65
.LBB599_202:
	v_add_co_u32_e32 v46, vcc, v23, v20
	v_addc_co_u32_e32 v47, vcc, 0, v38, vcc
	flat_load_ushort v5, v[46:47]
	s_or_b64 exec, exec, s[4:5]
                                        ; implicit-def: $vgpr20
	s_and_saveexec_b64 s[4:5], s[34:35]
	s_cbranch_execnz .LBB599_66
.LBB599_203:
	s_or_b64 exec, exec, s[4:5]
                                        ; implicit-def: $vgpr21
	s_and_saveexec_b64 s[4:5], s[36:37]
	s_cbranch_execz .LBB599_67
.LBB599_204:
	v_add_co_u32_e32 v46, vcc, v23, v22
	v_addc_co_u32_e32 v47, vcc, 0, v38, vcc
	flat_load_ushort v21, v[46:47]
	s_or_b64 exec, exec, s[4:5]
                                        ; implicit-def: $vgpr22
	s_and_saveexec_b64 s[4:5], s[38:39]
	s_cbranch_execnz .LBB599_68
.LBB599_205:
	s_or_b64 exec, exec, s[4:5]
                                        ; implicit-def: $vgpr24
	s_and_saveexec_b64 s[4:5], s[40:41]
	s_cbranch_execz .LBB599_69
.LBB599_206:
	v_add_co_u32_e32 v46, vcc, v23, v26
	v_addc_co_u32_e32 v47, vcc, 0, v38, vcc
	flat_load_ushort v24, v[46:47]
	s_or_b64 exec, exec, s[4:5]
                                        ; implicit-def: $vgpr26
	s_and_saveexec_b64 s[4:5], s[42:43]
	s_cbranch_execnz .LBB599_70
.LBB599_207:
	s_or_b64 exec, exec, s[4:5]
                                        ; implicit-def: $vgpr27
	s_and_saveexec_b64 s[4:5], s[44:45]
	s_cbranch_execz .LBB599_71
.LBB599_208:
	v_add_co_u32_e32 v46, vcc, v23, v28
	v_addc_co_u32_e32 v47, vcc, 0, v38, vcc
	flat_load_ushort v27, v[46:47]
	s_or_b64 exec, exec, s[4:5]
                                        ; implicit-def: $vgpr28
	s_and_saveexec_b64 s[4:5], s[46:47]
	s_cbranch_execz .LBB599_73
	s_branch .LBB599_72
.LBB599_209:
                                        ; implicit-def: $vgpr4
                                        ; implicit-def: $vgpr5
                                        ; implicit-def: $vgpr6
                                        ; implicit-def: $vgpr7
                                        ; implicit-def: $vgpr8
                                        ; implicit-def: $vgpr9
                                        ; implicit-def: $vgpr12
                                        ; implicit-def: $vgpr13
                                        ; implicit-def: $vgpr18
                                        ; implicit-def: $vgpr19
                                        ; implicit-def: $vgpr23
                                        ; implicit-def: $vgpr38
                                        ; implicit-def: $vgpr43
                                        ; implicit-def: $vgpr44
                                        ; implicit-def: $vgpr45
                                        ; implicit-def: $vgpr46
                                        ; implicit-def: $vgpr47
                                        ; implicit-def: $vgpr48
                                        ; implicit-def: $vgpr49
                                        ; implicit-def: $vgpr50
                                        ; implicit-def: $vgpr51
                                        ; implicit-def: $vgpr52
	s_cbranch_execz .LBB599_231
; %bb.210:
	s_cmp_lg_u64 s[68:69], 0
	s_cselect_b32 s5, s67, 0
	s_cselect_b32 s4, s66, 0
	s_cmp_eq_u64 s[4:5], 0
	v_mov_b32_e32 v2, s70
	s_cbranch_scc1 .LBB599_212
; %bb.211:
	v_mov_b32_e32 v2, 0
	global_load_ushort v2, v2, s[4:5]
.LBB599_212:
	s_mov_b32 s4, 0x10000
	v_cmp_gt_u32_e32 vcc, s4, v20
	v_cndmask_b32_e32 v3, 0, v1, vcc
	v_add_u16_e32 v3, v3, v20
	v_cmp_gt_u32_e64 s[6:7], s4, v24
	v_cndmask_b32_e64 v3, 0, v3, s[6:7]
	v_add_u16_e32 v3, v3, v24
	v_cmp_gt_u32_e64 s[8:9], s4, v21
	v_cndmask_b32_e64 v3, 0, v3, s[8:9]
	;; [unrolled: 3-line block ×20, first 2 shown]
	v_add_u16_e32 v4, v3, v14
	v_or3_b32 v3, v17, v37, v36
	v_or3_b32 v3, v3, v35, v34
	;; [unrolled: 1-line block ×8, first 2 shown]
	v_and_b32_e32 v3, 0x10000, v3
	v_cmp_ne_u32_e64 s[4:5], 0, v3
	v_mov_b32_e32 v8, 0x10000
	v_cndmask_b32_e64 v5, v15, 1, s[4:5]
	v_add_lshl_u32 v3, v16, v0, 2
	v_cmp_gt_u32_e64 s[4:5], 64, v0
	ds_write_b16 v3, v4
	ds_write_b8 v3, v5 offset:2
	s_waitcnt lgkmcnt(0)
	s_barrier
	s_and_saveexec_b64 s[46:47], s[4:5]
	s_cbranch_execz .LBB599_226
; %bb.213:
	v_lshlrev_b32_e32 v3, 2, v0
	v_lshrrev_b32_e32 v6, 3, v0
	v_add_lshl_u32 v3, v6, v3, 2
	ds_read_b32 v6, v3
	ds_read_u16 v7, v3 offset:4
	ds_read_u8 v9, v3 offset:6
	ds_read_u16 v12, v3 offset:8
	ds_read_u8 v13, v3 offset:10
	;; [unrolled: 2-line block ×3, first 2 shown]
	v_mov_b32_e32 v16, 0
	s_waitcnt lgkmcnt(4)
	v_cmp_eq_u16_sdwa s[4:5], v9, v16 src0_sel:BYTE_0 src1_sel:DWORD
	v_cndmask_b32_e64 v17, 0, v6, s[4:5]
	v_add_u16_e32 v17, v17, v7
	s_waitcnt lgkmcnt(2)
	v_cmp_eq_u16_sdwa s[4:5], v13, v16 src0_sel:BYTE_0 src1_sel:DWORD
	s_waitcnt lgkmcnt(0)
	v_or_b32_e32 v13, v15, v13
	v_cndmask_b32_e64 v16, 0, v17, s[4:5]
	v_or_b32_e32 v9, v13, v9
	v_add_u16_e32 v12, v16, v12
	v_cmp_eq_u16_e64 s[4:5], 0, v15
	v_and_b32_e32 v9, 1, v9
	v_and_b32_e32 v7, 0x10000, v6
	v_cndmask_b32_e64 v16, 0, v12, s[4:5]
	v_cmp_eq_u32_e64 s[4:5], 1, v9
	v_mbcnt_lo_u32_b32 v9, -1, 0
	v_add_u16_e32 v12, v16, v14
	v_cndmask_b32_e64 v17, v7, v8, s[4:5]
	v_add_u16_e32 v14, v16, v14
	v_and_b32_e32 v8, 0xff000000, v6
	v_mbcnt_hi_u32_b32 v9, -1, v9
	v_or_b32_e32 v15, v17, v8
	v_and_b32_e32 v16, 15, v9
	v_or3_b32 v14, v8, v14, v17
	s_movk_i32 s52, 0xff
	v_lshrrev_b32_e32 v13, 16, v15
	v_mov_b32_dpp v17, v14 row_shr:1 row_mask:0xf bank_mask:0xf
	v_cmp_ne_u32_e64 s[4:5], 0, v16
	s_and_saveexec_b64 s[48:49], s[4:5]
	s_cbranch_execz .LBB599_215
; %bb.214:
	v_and_b32_sdwa v13, v15, s52 dst_sel:DWORD dst_unused:UNUSED_PAD src0_sel:WORD_1 src1_sel:DWORD
	v_cmp_eq_u16_e64 s[4:5], 0, v13
	v_and_b32_e32 v13, 0x10000, v15
	v_mov_b32_e32 v15, 1
	v_cndmask_b32_e64 v14, 0, v17, s[4:5]
	v_and_b32_sdwa v15, v17, v15 dst_sel:DWORD dst_unused:UNUSED_PAD src0_sel:WORD_1 src1_sel:DWORD
	v_cmp_ne_u32_e64 s[4:5], 0, v13
	v_cndmask_b32_e64 v13, v15, 1, s[4:5]
	v_add_u16_e32 v18, v14, v12
	v_lshlrev_b32_e32 v15, 16, v13
	v_add_u16_e32 v12, v14, v12
	v_or3_b32 v14, v15, v12, v8
	v_mov_b32_e32 v12, v18
.LBB599_215:
	s_or_b64 exec, exec, s[48:49]
	v_lshrrev_b32_e32 v15, 16, v14
	v_mov_b32_dpp v17, v14 row_shr:2 row_mask:0xf bank_mask:0xf
	v_cmp_lt_u32_e64 s[4:5], 1, v16
	s_and_saveexec_b64 s[48:49], s[4:5]
	s_cbranch_execz .LBB599_217
; %bb.216:
	v_mov_b32_e32 v13, 0
	v_cmp_eq_u16_sdwa s[4:5], v15, v13 src0_sel:BYTE_0 src1_sel:DWORD
	v_and_b32_e32 v13, 0x10000, v14
	v_mov_b32_e32 v14, 1
	v_cndmask_b32_e64 v15, 0, v17, s[4:5]
	v_and_b32_sdwa v14, v17, v14 dst_sel:DWORD dst_unused:UNUSED_PAD src0_sel:WORD_1 src1_sel:DWORD
	v_cmp_ne_u32_e64 s[4:5], 0, v13
	v_cndmask_b32_e64 v13, v14, 1, s[4:5]
	v_add_u16_e32 v18, v15, v12
	v_lshlrev_b32_e32 v14, 16, v13
	v_add_u16_e32 v12, v15, v12
	v_or3_b32 v14, v14, v12, v8
	v_mov_b32_e32 v15, v13
	v_mov_b32_e32 v12, v18
.LBB599_217:
	s_or_b64 exec, exec, s[48:49]
	v_mov_b32_dpp v17, v14 row_shr:4 row_mask:0xf bank_mask:0xf
	v_cmp_lt_u32_e64 s[4:5], 3, v16
	s_and_saveexec_b64 s[48:49], s[4:5]
	s_cbranch_execz .LBB599_219
; %bb.218:
	v_mov_b32_e32 v13, 0
	v_cmp_eq_u16_sdwa s[4:5], v15, v13 src0_sel:BYTE_0 src1_sel:DWORD
	v_and_b32_e32 v13, 1, v15
	v_mov_b32_e32 v15, 1
	v_cndmask_b32_e64 v14, 0, v17, s[4:5]
	v_and_b32_sdwa v15, v17, v15 dst_sel:DWORD dst_unused:UNUSED_PAD src0_sel:WORD_1 src1_sel:DWORD
	v_cmp_eq_u32_e64 s[4:5], 1, v13
	v_cndmask_b32_e64 v13, v15, 1, s[4:5]
	v_add_u16_e32 v18, v14, v12
	v_lshlrev_b32_e32 v15, 16, v13
	v_add_u16_e32 v12, v14, v12
	v_or3_b32 v14, v15, v12, v8
	v_mov_b32_e32 v15, v13
	v_mov_b32_e32 v12, v18
.LBB599_219:
	s_or_b64 exec, exec, s[48:49]
	v_mov_b32_dpp v17, v14 row_shr:8 row_mask:0xf bank_mask:0xf
	v_cmp_lt_u32_e64 s[4:5], 7, v16
	s_and_saveexec_b64 s[48:49], s[4:5]
	s_cbranch_execz .LBB599_221
; %bb.220:
	v_mov_b32_e32 v13, 0
	v_cmp_eq_u16_sdwa s[4:5], v15, v13 src0_sel:BYTE_0 src1_sel:DWORD
	v_and_b32_e32 v13, 1, v15
	v_mov_b32_e32 v15, 1
	v_cndmask_b32_e64 v14, 0, v17, s[4:5]
	v_and_b32_sdwa v15, v17, v15 dst_sel:DWORD dst_unused:UNUSED_PAD src0_sel:WORD_1 src1_sel:DWORD
	v_cmp_eq_u32_e64 s[4:5], 1, v13
	v_cndmask_b32_e64 v13, v15, 1, s[4:5]
	v_add_u16_e32 v16, v14, v12
	v_lshlrev_b32_e32 v15, 16, v13
	v_add_u16_e32 v12, v14, v12
	v_or3_b32 v14, v15, v12, v8
	v_mov_b32_e32 v15, v13
	v_mov_b32_e32 v12, v16
.LBB599_221:
	s_or_b64 exec, exec, s[48:49]
	v_and_b32_e32 v17, 16, v9
	v_mov_b32_dpp v16, v14 row_bcast:15 row_mask:0xf bank_mask:0xf
	v_cmp_ne_u32_e64 s[4:5], 0, v17
	s_and_saveexec_b64 s[48:49], s[4:5]
	s_cbranch_execz .LBB599_223
; %bb.222:
	v_mov_b32_e32 v13, 0
	v_cmp_eq_u16_sdwa s[4:5], v15, v13 src0_sel:BYTE_0 src1_sel:DWORD
	v_and_b32_e32 v13, 1, v15
	v_mov_b32_e32 v15, 1
	v_cndmask_b32_e64 v14, 0, v16, s[4:5]
	v_and_b32_sdwa v15, v16, v15 dst_sel:DWORD dst_unused:UNUSED_PAD src0_sel:WORD_1 src1_sel:DWORD
	v_cmp_eq_u32_e64 s[4:5], 1, v13
	v_cndmask_b32_e64 v13, v15, 1, s[4:5]
	v_add_u16_e32 v17, v14, v12
	v_lshlrev_b32_e32 v15, 16, v13
	v_add_u16_e32 v12, v14, v12
	v_or3_b32 v14, v15, v12, v8
	v_mov_b32_e32 v15, v13
	v_mov_b32_e32 v12, v17
.LBB599_223:
	s_or_b64 exec, exec, s[48:49]
	v_mov_b32_dpp v14, v14 row_bcast:31 row_mask:0xf bank_mask:0xf
	v_cmp_lt_u32_e64 s[4:5], 31, v9
	s_and_saveexec_b64 s[48:49], s[4:5]
; %bb.224:
	v_mov_b32_e32 v13, 0
	v_cmp_eq_u16_sdwa s[4:5], v15, v13 src0_sel:BYTE_0 src1_sel:DWORD
	v_cndmask_b32_e64 v13, 0, v14, s[4:5]
	v_add_u16_e32 v12, v13, v12
	v_and_b32_e32 v13, 1, v15
	v_mov_b32_e32 v15, 1
	v_and_b32_sdwa v14, v14, v15 dst_sel:DWORD dst_unused:UNUSED_PAD src0_sel:WORD_1 src1_sel:DWORD
	v_cmp_eq_u32_e64 s[4:5], 1, v13
	v_cndmask_b32_e64 v13, v14, 1, s[4:5]
; %bb.225:
	s_or_b64 exec, exec, s[48:49]
	v_and_b32_e32 v13, 0xff, v13
	v_lshlrev_b32_e32 v13, 16, v13
	v_and_b32_e32 v12, 0xffff, v12
	v_or3_b32 v8, v13, v12, v8
	v_add_u32_e32 v12, -1, v9
	v_and_b32_e32 v13, 64, v9
	v_cmp_lt_i32_e64 s[4:5], v12, v13
	v_cndmask_b32_e64 v9, v12, v9, s[4:5]
	v_lshlrev_b32_e32 v9, 2, v9
	ds_bpermute_b32 v8, v9, v8
	v_and_b32_e32 v9, 0xff0000, v6
	v_cmp_eq_u32_e64 s[4:5], 0, v9
	; wave barrier
	s_waitcnt lgkmcnt(0)
	v_cndmask_b32_e64 v9, 0, v8, s[4:5]
	v_add_u16_e32 v6, v9, v6
	v_mov_b32_e32 v9, 1
	v_and_b32_sdwa v8, v8, v9 dst_sel:DWORD dst_unused:UNUSED_PAD src0_sel:WORD_1 src1_sel:DWORD
	v_cmp_eq_u32_e64 s[4:5], 0, v7
	v_cndmask_b32_e64 v7, 1, v8, s[4:5]
	v_cndmask_b32_e64 v4, v6, v4, s[0:1]
	;; [unrolled: 1-line block ×3, first 2 shown]
	ds_write_b16 v3, v4
	ds_write_b8 v3, v5 offset:2
	; wave barrier
	ds_read_u16 v6, v3 offset:4
	ds_read_u8 v7, v3 offset:6
	ds_read_u16 v8, v3 offset:8
	ds_read_u8 v9, v3 offset:10
	;; [unrolled: 2-line block ×3, first 2 shown]
	s_waitcnt lgkmcnt(4)
	v_cmp_eq_u16_e64 s[4:5], 0, v7
	v_cndmask_b32_e64 v4, 0, v4, s[4:5]
	v_add_u16_e32 v4, v4, v6
	v_and_b32_e32 v6, 1, v7
	v_cmp_eq_u32_e64 s[4:5], 1, v6
	v_cndmask_b32_e64 v5, v5, 1, s[4:5]
	s_waitcnt lgkmcnt(2)
	v_cmp_eq_u16_e64 s[4:5], 0, v9
	v_and_b32_e32 v6, 1, v9
	ds_write_b16 v3, v4 offset:4
	ds_write_b8 v3, v5 offset:6
	v_cndmask_b32_e64 v4, 0, v4, s[4:5]
	v_cmp_eq_u32_e64 s[4:5], 1, v6
	v_add_u16_e32 v4, v4, v8
	v_cndmask_b32_e64 v5, v5, 1, s[4:5]
	s_waitcnt lgkmcnt(2)
	v_cmp_eq_u16_e64 s[4:5], 0, v13
	ds_write_b16 v3, v4 offset:8
	ds_write_b8 v3, v5 offset:10
	v_cndmask_b32_e64 v4, 0, v4, s[4:5]
	v_and_b32_e32 v6, 1, v13
	v_add_u16_e32 v4, v4, v12
	v_cmp_eq_u32_e64 s[4:5], 1, v6
	v_cndmask_b32_e64 v5, v5, 1, s[4:5]
	ds_write_b16 v3, v4 offset:12
	ds_write_b8 v3, v5 offset:14
.LBB599_226:
	s_or_b64 exec, exec, s[46:47]
	s_waitcnt vmcnt(0)
	v_mov_b32_e32 v4, v2
	s_waitcnt lgkmcnt(0)
	s_barrier
	s_and_saveexec_b64 s[46:47], s[50:51]
	s_cbranch_execz .LBB599_228
; %bb.227:
	v_add_u32_e32 v3, -1, v0
	v_lshrrev_b32_e32 v4, 5, v3
	v_add_lshl_u32 v3, v4, v3, 2
	ds_read_u8 v4, v3 offset:2
	ds_read_u16 v3, v3
	s_waitcnt lgkmcnt(1)
	v_cmp_eq_u16_e64 s[4:5], 0, v4
	v_cndmask_b32_e64 v4, 0, v2, s[4:5]
	s_waitcnt lgkmcnt(0)
	v_add_u16_e32 v4, v4, v3
.LBB599_228:
	s_or_b64 exec, exec, s[46:47]
	v_and_b32_e32 v3, 0xff0000, v1
	v_cmp_eq_u32_e64 s[4:5], 0, v3
	v_cndmask_b32_e64 v3, 0, v4, s[4:5]
	v_add_u16_e32 v5, v3, v1
	v_cndmask_b32_e32 v1, 0, v5, vcc
	v_add_u16_e32 v6, v1, v20
	v_cndmask_b32_e64 v1, 0, v6, s[6:7]
	v_add_u16_e32 v7, v1, v24
	v_cndmask_b32_e64 v1, 0, v7, s[8:9]
	v_add_u16_e32 v8, v1, v21
	v_cndmask_b32_e64 v1, 0, v8, s[10:11]
	v_add_u16_e32 v9, v1, v25
	v_cndmask_b32_e64 v1, 0, v9, s[12:13]
	v_add_u16_e32 v12, v1, v26
	v_cndmask_b32_e64 v1, 0, v12, s[14:15]
	v_add_u16_e32 v13, v1, v27
	v_cndmask_b32_e64 v1, 0, v13, s[16:17]
	v_add_u16_e32 v18, v1, v28
	v_cndmask_b32_e64 v1, 0, v18, s[18:19]
	v_add_u16_e32 v19, v1, v29
	v_cndmask_b32_e64 v1, 0, v19, s[20:21]
	v_add_u16_e32 v23, v1, v30
	v_cndmask_b32_e64 v1, 0, v23, s[22:23]
	v_add_u16_e32 v38, v1, v31
	v_cndmask_b32_e64 v1, 0, v38, s[24:25]
	v_add_u16_e32 v43, v1, v32
	v_cndmask_b32_e64 v1, 0, v43, s[26:27]
	v_add_u16_e32 v44, v1, v33
	v_cndmask_b32_e64 v1, 0, v44, s[28:29]
	v_add_u16_e32 v45, v1, v34
	v_cndmask_b32_e64 v1, 0, v45, s[30:31]
	v_add_u16_e32 v46, v1, v35
	v_cndmask_b32_e64 v1, 0, v46, s[34:35]
	v_add_u16_e32 v47, v1, v36
	v_cndmask_b32_e64 v1, 0, v47, s[36:37]
	v_add_u16_e32 v48, v1, v37
	v_cndmask_b32_e64 v1, 0, v48, s[38:39]
	v_add_u16_e32 v49, v1, v22
	v_cndmask_b32_e64 v1, 0, v49, s[40:41]
	v_add_u16_e32 v50, v1, v39
	v_cndmask_b32_e64 v1, 0, v50, s[42:43]
	v_add_u16_e32 v51, v1, v40
	v_cndmask_b32_e64 v1, 0, v51, s[44:45]
	s_and_saveexec_b64 s[4:5], s[0:1]
	s_cbranch_execz .LBB599_230
; %bb.229:
	v_mov_b32_e32 v14, 0
	ds_read_u8 v3, v14 offset:1050
	ds_read_u16 v15, v14 offset:1048
	s_waitcnt lgkmcnt(1)
	v_cmp_eq_u32_e32 vcc, 0, v3
	v_cndmask_b32_e32 v2, 0, v2, vcc
	v_lshlrev_b32_e32 v16, 16, v3
	s_waitcnt lgkmcnt(0)
	v_add_u32_e32 v2, v2, v15
	v_or_b32_sdwa v2, v16, v2 dst_sel:DWORD dst_unused:UNUSED_PAD src0_sel:DWORD src1_sel:WORD_0
	v_mov_b32_e32 v3, 2
	global_store_dwordx2 v14, v[2:3], s[60:61] offset:512
.LBB599_230:
	s_or_b64 exec, exec, s[4:5]
	v_add_u16_e32 v52, v1, v41
.LBB599_231:
	s_add_u32 s0, s58, s54
	s_addc_u32 s1, s59, s55
	v_mov_b32_e32 v1, s1
	v_add_co_u32_e32 v10, vcc, s0, v10
	v_addc_co_u32_e32 v11, vcc, v1, v11, vcc
	v_mul_u32_u24_e32 v1, 22, v0
	s_and_b64 vcc, exec, s[2:3]
	v_lshlrev_b32_e32 v14, 1, v1
	s_cbranch_vccz .LBB599_275
; %bb.232:
	s_mov_b32 s0, 0x5040100
	v_perm_b32 v1, v7, v6, s0
	v_perm_b32 v2, v5, v4, s0
	s_barrier
	ds_write2_b32 v14, v2, v1 offset1:1
	v_perm_b32 v1, v13, v12, s0
	v_perm_b32 v2, v9, v8, s0
	ds_write2_b32 v14, v2, v1 offset0:2 offset1:3
	v_perm_b32 v1, v38, v23, s0
	v_perm_b32 v2, v19, v18, s0
	ds_write2_b32 v14, v2, v1 offset0:4 offset1:5
	;; [unrolled: 3-line block ×4, first 2 shown]
	v_perm_b32 v1, v52, v51, s0
	s_movk_i32 s0, 0xffd6
	v_mad_i32_i24 v2, v0, s0, v14
	ds_write_b32 v14, v1 offset:40
	s_waitcnt lgkmcnt(0)
	s_barrier
	ds_read_u16 v39, v2 offset:512
	ds_read_u16 v37, v2 offset:1024
	;; [unrolled: 1-line block ×21, first 2 shown]
	v_add_co_u32_e32 v2, vcc, v10, v42
	s_add_i32 s33, s33, s62
	v_addc_co_u32_e32 v3, vcc, 0, v11, vcc
	v_mov_b32_e32 v1, 0
	v_cmp_gt_u32_e32 vcc, s33, v0
	s_and_saveexec_b64 s[0:1], vcc
	s_cbranch_execz .LBB599_234
; %bb.233:
	v_mul_i32_i24_e32 v40, 0xffffffd6, v0
	v_add_u32_e32 v40, v14, v40
	ds_read_u16 v40, v40
	s_waitcnt lgkmcnt(0)
	flat_store_short v[2:3], v40
.LBB599_234:
	s_or_b64 exec, exec, s[0:1]
	v_or_b32_e32 v40, 0x100, v0
	v_cmp_gt_u32_e32 vcc, s33, v40
	s_and_saveexec_b64 s[0:1], vcc
	s_cbranch_execz .LBB599_236
; %bb.235:
	s_waitcnt lgkmcnt(0)
	flat_store_short v[2:3], v39 offset:512
.LBB599_236:
	s_or_b64 exec, exec, s[0:1]
	s_waitcnt lgkmcnt(0)
	v_or_b32_e32 v39, 0x200, v0
	v_cmp_gt_u32_e32 vcc, s33, v39
	s_and_saveexec_b64 s[0:1], vcc
	s_cbranch_execz .LBB599_238
; %bb.237:
	flat_store_short v[2:3], v37 offset:1024
.LBB599_238:
	s_or_b64 exec, exec, s[0:1]
	v_or_b32_e32 v37, 0x300, v0
	v_cmp_gt_u32_e32 vcc, s33, v37
	s_and_saveexec_b64 s[0:1], vcc
	s_cbranch_execz .LBB599_240
; %bb.239:
	flat_store_short v[2:3], v36 offset:1536
.LBB599_240:
	s_or_b64 exec, exec, s[0:1]
	v_or_b32_e32 v36, 0x400, v0
	v_cmp_gt_u32_e32 vcc, s33, v36
	s_and_saveexec_b64 s[0:1], vcc
	s_cbranch_execz .LBB599_242
; %bb.241:
	flat_store_short v[2:3], v35 offset:2048
.LBB599_242:
	s_or_b64 exec, exec, s[0:1]
	v_or_b32_e32 v35, 0x500, v0
	v_cmp_gt_u32_e32 vcc, s33, v35
	s_and_saveexec_b64 s[0:1], vcc
	s_cbranch_execz .LBB599_244
; %bb.243:
	flat_store_short v[2:3], v34 offset:2560
.LBB599_244:
	s_or_b64 exec, exec, s[0:1]
	v_or_b32_e32 v34, 0x600, v0
	v_cmp_gt_u32_e32 vcc, s33, v34
	s_and_saveexec_b64 s[0:1], vcc
	s_cbranch_execz .LBB599_246
; %bb.245:
	flat_store_short v[2:3], v33 offset:3072
.LBB599_246:
	s_or_b64 exec, exec, s[0:1]
	v_or_b32_e32 v33, 0x700, v0
	v_cmp_gt_u32_e32 vcc, s33, v33
	s_and_saveexec_b64 s[0:1], vcc
	s_cbranch_execz .LBB599_248
; %bb.247:
	flat_store_short v[2:3], v32 offset:3584
.LBB599_248:
	s_or_b64 exec, exec, s[0:1]
	v_or_b32_e32 v32, 0x800, v0
	v_cmp_gt_u32_e32 vcc, s33, v32
	s_and_saveexec_b64 s[0:1], vcc
	s_cbranch_execz .LBB599_250
; %bb.249:
	v_add_co_u32_e32 v32, vcc, 0x1000, v2
	v_addc_co_u32_e32 v33, vcc, 0, v3, vcc
	flat_store_short v[32:33], v31
.LBB599_250:
	s_or_b64 exec, exec, s[0:1]
	v_or_b32_e32 v31, 0x900, v0
	v_cmp_gt_u32_e32 vcc, s33, v31
	s_and_saveexec_b64 s[0:1], vcc
	s_cbranch_execz .LBB599_252
; %bb.251:
	v_add_co_u32_e32 v32, vcc, 0x1000, v2
	v_addc_co_u32_e32 v33, vcc, 0, v3, vcc
	flat_store_short v[32:33], v30 offset:512
.LBB599_252:
	s_or_b64 exec, exec, s[0:1]
	v_or_b32_e32 v30, 0xa00, v0
	v_cmp_gt_u32_e32 vcc, s33, v30
	s_and_saveexec_b64 s[0:1], vcc
	s_cbranch_execz .LBB599_254
; %bb.253:
	v_add_co_u32_e32 v30, vcc, 0x1000, v2
	v_addc_co_u32_e32 v31, vcc, 0, v3, vcc
	flat_store_short v[30:31], v29 offset:1024
.LBB599_254:
	s_or_b64 exec, exec, s[0:1]
	v_or_b32_e32 v29, 0xb00, v0
	v_cmp_gt_u32_e32 vcc, s33, v29
	s_and_saveexec_b64 s[0:1], vcc
	s_cbranch_execz .LBB599_256
; %bb.255:
	v_add_co_u32_e32 v30, vcc, 0x1000, v2
	v_addc_co_u32_e32 v31, vcc, 0, v3, vcc
	flat_store_short v[30:31], v28 offset:1536
.LBB599_256:
	s_or_b64 exec, exec, s[0:1]
	v_or_b32_e32 v28, 0xc00, v0
	v_cmp_gt_u32_e32 vcc, s33, v28
	s_and_saveexec_b64 s[0:1], vcc
	s_cbranch_execz .LBB599_258
; %bb.257:
	v_add_co_u32_e32 v28, vcc, 0x1000, v2
	v_addc_co_u32_e32 v29, vcc, 0, v3, vcc
	flat_store_short v[28:29], v27 offset:2048
.LBB599_258:
	s_or_b64 exec, exec, s[0:1]
	v_or_b32_e32 v27, 0xd00, v0
	v_cmp_gt_u32_e32 vcc, s33, v27
	s_and_saveexec_b64 s[0:1], vcc
	s_cbranch_execz .LBB599_260
; %bb.259:
	v_add_co_u32_e32 v28, vcc, 0x1000, v2
	v_addc_co_u32_e32 v29, vcc, 0, v3, vcc
	flat_store_short v[28:29], v26 offset:2560
.LBB599_260:
	s_or_b64 exec, exec, s[0:1]
	v_or_b32_e32 v26, 0xe00, v0
	v_cmp_gt_u32_e32 vcc, s33, v26
	s_and_saveexec_b64 s[0:1], vcc
	s_cbranch_execz .LBB599_262
; %bb.261:
	v_add_co_u32_e32 v26, vcc, 0x1000, v2
	v_addc_co_u32_e32 v27, vcc, 0, v3, vcc
	flat_store_short v[26:27], v25 offset:3072
.LBB599_262:
	s_or_b64 exec, exec, s[0:1]
	v_or_b32_e32 v25, 0xf00, v0
	v_cmp_gt_u32_e32 vcc, s33, v25
	s_and_saveexec_b64 s[0:1], vcc
	s_cbranch_execz .LBB599_264
; %bb.263:
	v_add_co_u32_e32 v26, vcc, 0x1000, v2
	v_addc_co_u32_e32 v27, vcc, 0, v3, vcc
	flat_store_short v[26:27], v24 offset:3584
.LBB599_264:
	s_or_b64 exec, exec, s[0:1]
	v_or_b32_e32 v24, 0x1000, v0
	v_cmp_gt_u32_e32 vcc, s33, v24
	s_and_saveexec_b64 s[0:1], vcc
	s_cbranch_execz .LBB599_266
; %bb.265:
	v_add_co_u32_e32 v24, vcc, 0x2000, v2
	v_addc_co_u32_e32 v25, vcc, 0, v3, vcc
	flat_store_short v[24:25], v22
.LBB599_266:
	s_or_b64 exec, exec, s[0:1]
	v_or_b32_e32 v22, 0x1100, v0
	v_cmp_gt_u32_e32 vcc, s33, v22
	s_and_saveexec_b64 s[0:1], vcc
	s_cbranch_execz .LBB599_268
; %bb.267:
	v_add_co_u32_e32 v24, vcc, 0x2000, v2
	v_addc_co_u32_e32 v25, vcc, 0, v3, vcc
	flat_store_short v[24:25], v21 offset:512
.LBB599_268:
	s_or_b64 exec, exec, s[0:1]
	v_or_b32_e32 v21, 0x1200, v0
	v_cmp_gt_u32_e32 vcc, s33, v21
	s_and_saveexec_b64 s[0:1], vcc
	s_cbranch_execz .LBB599_270
; %bb.269:
	v_add_co_u32_e32 v24, vcc, 0x2000, v2
	v_addc_co_u32_e32 v25, vcc, 0, v3, vcc
	flat_store_short v[24:25], v20 offset:1024
.LBB599_270:
	;; [unrolled: 10-line block ×4, first 2 shown]
	s_or_b64 exec, exec, s[0:1]
	v_or_b32_e32 v2, 0x1500, v0
	v_cmp_gt_u32_e64 s[0:1], s33, v2
	s_branch .LBB599_277
.LBB599_275:
	s_mov_b64 s[0:1], 0
                                        ; implicit-def: $vgpr15
	s_cbranch_execz .LBB599_277
; %bb.276:
	s_mov_b32 s2, 0x5040100
	v_perm_b32 v1, v7, v6, s2
	v_perm_b32 v2, v5, v4, s2
	s_waitcnt lgkmcnt(0)
	s_barrier
	ds_write2_b32 v14, v2, v1 offset1:1
	v_perm_b32 v1, v13, v12, s2
	v_perm_b32 v2, v9, v8, s2
	ds_write2_b32 v14, v2, v1 offset0:2 offset1:3
	v_perm_b32 v1, v38, v23, s2
	v_perm_b32 v2, v19, v18, s2
	ds_write2_b32 v14, v2, v1 offset0:4 offset1:5
	;; [unrolled: 3-line block ×4, first 2 shown]
	v_perm_b32 v1, v52, v51, s2
	s_movk_i32 s2, 0xffd6
	v_mad_i32_i24 v2, v0, s2, v14
	ds_write_b32 v14, v1 offset:40
	s_waitcnt lgkmcnt(0)
	s_barrier
	ds_read_u16 v4, v2
	ds_read_u16 v5, v2 offset:512
	ds_read_u16 v6, v2 offset:1024
	;; [unrolled: 1-line block ×21, first 2 shown]
	v_add_co_u32_e32 v2, vcc, v10, v42
	v_addc_co_u32_e32 v3, vcc, 0, v11, vcc
	s_movk_i32 s2, 0x1000
	s_waitcnt lgkmcnt(0)
	flat_store_short v[2:3], v4
	flat_store_short v[2:3], v5 offset:512
	flat_store_short v[2:3], v6 offset:1024
	;; [unrolled: 1-line block ×7, first 2 shown]
	v_add_co_u32_e32 v4, vcc, s2, v2
	v_addc_co_u32_e32 v5, vcc, 0, v3, vcc
	v_add_co_u32_e32 v2, vcc, 0x2000, v2
	v_mov_b32_e32 v1, 0
	v_addc_co_u32_e32 v3, vcc, 0, v3, vcc
	s_or_b64 s[0:1], s[0:1], exec
	flat_store_short v[4:5], v14
	flat_store_short v[4:5], v16 offset:512
	flat_store_short v[4:5], v17 offset:1024
	;; [unrolled: 1-line block ×7, first 2 shown]
	flat_store_short v[2:3], v23
	flat_store_short v[2:3], v24 offset:512
	flat_store_short v[2:3], v25 offset:1024
	;; [unrolled: 1-line block ×4, first 2 shown]
.LBB599_277:
	s_and_saveexec_b64 s[2:3], s[0:1]
	s_cbranch_execz .LBB599_279
; %bb.278:
	v_lshlrev_b64 v[0:1], 1, v[0:1]
	v_add_co_u32_e32 v0, vcc, v10, v0
	v_addc_co_u32_e32 v1, vcc, v11, v1, vcc
	v_add_co_u32_e32 v0, vcc, 0x2000, v0
	v_addc_co_u32_e32 v1, vcc, 0, v1, vcc
	flat_store_short v[0:1], v15 offset:2560
	s_endpgm
.LBB599_279:
	s_endpgm
	.section	.rodata,"a",@progbits
	.p2align	6, 0x0
	.amdhsa_kernel _ZN7rocprim17ROCPRIM_400000_NS6detail17trampoline_kernelINS0_14default_configENS1_27scan_by_key_config_selectorIssEEZZNS1_16scan_by_key_implILNS1_25lookback_scan_determinismE0ELb1ES3_N6thrust23THRUST_200600_302600_NS6detail15normal_iteratorINS9_10device_ptrIsEEEESE_SE_sNS9_4plusIvEENS9_8equal_toIvEEsEE10hipError_tPvRmT2_T3_T4_T5_mT6_T7_P12ihipStream_tbENKUlT_T0_E_clISt17integral_constantIbLb0EESY_IbLb1EEEEDaSU_SV_EUlSU_E_NS1_11comp_targetILNS1_3genE4ELNS1_11target_archE910ELNS1_3gpuE8ELNS1_3repE0EEENS1_30default_config_static_selectorELNS0_4arch9wavefront6targetE1EEEvT1_
		.amdhsa_group_segment_fixed_size 12288
		.amdhsa_private_segment_fixed_size 0
		.amdhsa_kernarg_size 112
		.amdhsa_user_sgpr_count 6
		.amdhsa_user_sgpr_private_segment_buffer 1
		.amdhsa_user_sgpr_dispatch_ptr 0
		.amdhsa_user_sgpr_queue_ptr 0
		.amdhsa_user_sgpr_kernarg_segment_ptr 1
		.amdhsa_user_sgpr_dispatch_id 0
		.amdhsa_user_sgpr_flat_scratch_init 0
		.amdhsa_user_sgpr_kernarg_preload_length 0
		.amdhsa_user_sgpr_kernarg_preload_offset 0
		.amdhsa_user_sgpr_private_segment_size 0
		.amdhsa_uses_dynamic_stack 0
		.amdhsa_system_sgpr_private_segment_wavefront_offset 0
		.amdhsa_system_sgpr_workgroup_id_x 1
		.amdhsa_system_sgpr_workgroup_id_y 0
		.amdhsa_system_sgpr_workgroup_id_z 0
		.amdhsa_system_sgpr_workgroup_info 0
		.amdhsa_system_vgpr_workitem_id 0
		.amdhsa_next_free_vgpr 60
		.amdhsa_next_free_sgpr 73
		.amdhsa_accum_offset 60
		.amdhsa_reserve_vcc 1
		.amdhsa_reserve_flat_scratch 0
		.amdhsa_float_round_mode_32 0
		.amdhsa_float_round_mode_16_64 0
		.amdhsa_float_denorm_mode_32 3
		.amdhsa_float_denorm_mode_16_64 3
		.amdhsa_dx10_clamp 1
		.amdhsa_ieee_mode 1
		.amdhsa_fp16_overflow 0
		.amdhsa_tg_split 0
		.amdhsa_exception_fp_ieee_invalid_op 0
		.amdhsa_exception_fp_denorm_src 0
		.amdhsa_exception_fp_ieee_div_zero 0
		.amdhsa_exception_fp_ieee_overflow 0
		.amdhsa_exception_fp_ieee_underflow 0
		.amdhsa_exception_fp_ieee_inexact 0
		.amdhsa_exception_int_div_zero 0
	.end_amdhsa_kernel
	.section	.text._ZN7rocprim17ROCPRIM_400000_NS6detail17trampoline_kernelINS0_14default_configENS1_27scan_by_key_config_selectorIssEEZZNS1_16scan_by_key_implILNS1_25lookback_scan_determinismE0ELb1ES3_N6thrust23THRUST_200600_302600_NS6detail15normal_iteratorINS9_10device_ptrIsEEEESE_SE_sNS9_4plusIvEENS9_8equal_toIvEEsEE10hipError_tPvRmT2_T3_T4_T5_mT6_T7_P12ihipStream_tbENKUlT_T0_E_clISt17integral_constantIbLb0EESY_IbLb1EEEEDaSU_SV_EUlSU_E_NS1_11comp_targetILNS1_3genE4ELNS1_11target_archE910ELNS1_3gpuE8ELNS1_3repE0EEENS1_30default_config_static_selectorELNS0_4arch9wavefront6targetE1EEEvT1_,"axG",@progbits,_ZN7rocprim17ROCPRIM_400000_NS6detail17trampoline_kernelINS0_14default_configENS1_27scan_by_key_config_selectorIssEEZZNS1_16scan_by_key_implILNS1_25lookback_scan_determinismE0ELb1ES3_N6thrust23THRUST_200600_302600_NS6detail15normal_iteratorINS9_10device_ptrIsEEEESE_SE_sNS9_4plusIvEENS9_8equal_toIvEEsEE10hipError_tPvRmT2_T3_T4_T5_mT6_T7_P12ihipStream_tbENKUlT_T0_E_clISt17integral_constantIbLb0EESY_IbLb1EEEEDaSU_SV_EUlSU_E_NS1_11comp_targetILNS1_3genE4ELNS1_11target_archE910ELNS1_3gpuE8ELNS1_3repE0EEENS1_30default_config_static_selectorELNS0_4arch9wavefront6targetE1EEEvT1_,comdat
.Lfunc_end599:
	.size	_ZN7rocprim17ROCPRIM_400000_NS6detail17trampoline_kernelINS0_14default_configENS1_27scan_by_key_config_selectorIssEEZZNS1_16scan_by_key_implILNS1_25lookback_scan_determinismE0ELb1ES3_N6thrust23THRUST_200600_302600_NS6detail15normal_iteratorINS9_10device_ptrIsEEEESE_SE_sNS9_4plusIvEENS9_8equal_toIvEEsEE10hipError_tPvRmT2_T3_T4_T5_mT6_T7_P12ihipStream_tbENKUlT_T0_E_clISt17integral_constantIbLb0EESY_IbLb1EEEEDaSU_SV_EUlSU_E_NS1_11comp_targetILNS1_3genE4ELNS1_11target_archE910ELNS1_3gpuE8ELNS1_3repE0EEENS1_30default_config_static_selectorELNS0_4arch9wavefront6targetE1EEEvT1_, .Lfunc_end599-_ZN7rocprim17ROCPRIM_400000_NS6detail17trampoline_kernelINS0_14default_configENS1_27scan_by_key_config_selectorIssEEZZNS1_16scan_by_key_implILNS1_25lookback_scan_determinismE0ELb1ES3_N6thrust23THRUST_200600_302600_NS6detail15normal_iteratorINS9_10device_ptrIsEEEESE_SE_sNS9_4plusIvEENS9_8equal_toIvEEsEE10hipError_tPvRmT2_T3_T4_T5_mT6_T7_P12ihipStream_tbENKUlT_T0_E_clISt17integral_constantIbLb0EESY_IbLb1EEEEDaSU_SV_EUlSU_E_NS1_11comp_targetILNS1_3genE4ELNS1_11target_archE910ELNS1_3gpuE8ELNS1_3repE0EEENS1_30default_config_static_selectorELNS0_4arch9wavefront6targetE1EEEvT1_
                                        ; -- End function
	.section	.AMDGPU.csdata,"",@progbits
; Kernel info:
; codeLenInByte = 16092
; NumSgprs: 77
; NumVgprs: 60
; NumAgprs: 0
; TotalNumVgprs: 60
; ScratchSize: 0
; MemoryBound: 0
; FloatMode: 240
; IeeeMode: 1
; LDSByteSize: 12288 bytes/workgroup (compile time only)
; SGPRBlocks: 9
; VGPRBlocks: 7
; NumSGPRsForWavesPerEU: 77
; NumVGPRsForWavesPerEU: 60
; AccumOffset: 60
; Occupancy: 5
; WaveLimiterHint : 1
; COMPUTE_PGM_RSRC2:SCRATCH_EN: 0
; COMPUTE_PGM_RSRC2:USER_SGPR: 6
; COMPUTE_PGM_RSRC2:TRAP_HANDLER: 0
; COMPUTE_PGM_RSRC2:TGID_X_EN: 1
; COMPUTE_PGM_RSRC2:TGID_Y_EN: 0
; COMPUTE_PGM_RSRC2:TGID_Z_EN: 0
; COMPUTE_PGM_RSRC2:TIDIG_COMP_CNT: 0
; COMPUTE_PGM_RSRC3_GFX90A:ACCUM_OFFSET: 14
; COMPUTE_PGM_RSRC3_GFX90A:TG_SPLIT: 0
	.section	.text._ZN7rocprim17ROCPRIM_400000_NS6detail17trampoline_kernelINS0_14default_configENS1_27scan_by_key_config_selectorIssEEZZNS1_16scan_by_key_implILNS1_25lookback_scan_determinismE0ELb1ES3_N6thrust23THRUST_200600_302600_NS6detail15normal_iteratorINS9_10device_ptrIsEEEESE_SE_sNS9_4plusIvEENS9_8equal_toIvEEsEE10hipError_tPvRmT2_T3_T4_T5_mT6_T7_P12ihipStream_tbENKUlT_T0_E_clISt17integral_constantIbLb0EESY_IbLb1EEEEDaSU_SV_EUlSU_E_NS1_11comp_targetILNS1_3genE3ELNS1_11target_archE908ELNS1_3gpuE7ELNS1_3repE0EEENS1_30default_config_static_selectorELNS0_4arch9wavefront6targetE1EEEvT1_,"axG",@progbits,_ZN7rocprim17ROCPRIM_400000_NS6detail17trampoline_kernelINS0_14default_configENS1_27scan_by_key_config_selectorIssEEZZNS1_16scan_by_key_implILNS1_25lookback_scan_determinismE0ELb1ES3_N6thrust23THRUST_200600_302600_NS6detail15normal_iteratorINS9_10device_ptrIsEEEESE_SE_sNS9_4plusIvEENS9_8equal_toIvEEsEE10hipError_tPvRmT2_T3_T4_T5_mT6_T7_P12ihipStream_tbENKUlT_T0_E_clISt17integral_constantIbLb0EESY_IbLb1EEEEDaSU_SV_EUlSU_E_NS1_11comp_targetILNS1_3genE3ELNS1_11target_archE908ELNS1_3gpuE7ELNS1_3repE0EEENS1_30default_config_static_selectorELNS0_4arch9wavefront6targetE1EEEvT1_,comdat
	.protected	_ZN7rocprim17ROCPRIM_400000_NS6detail17trampoline_kernelINS0_14default_configENS1_27scan_by_key_config_selectorIssEEZZNS1_16scan_by_key_implILNS1_25lookback_scan_determinismE0ELb1ES3_N6thrust23THRUST_200600_302600_NS6detail15normal_iteratorINS9_10device_ptrIsEEEESE_SE_sNS9_4plusIvEENS9_8equal_toIvEEsEE10hipError_tPvRmT2_T3_T4_T5_mT6_T7_P12ihipStream_tbENKUlT_T0_E_clISt17integral_constantIbLb0EESY_IbLb1EEEEDaSU_SV_EUlSU_E_NS1_11comp_targetILNS1_3genE3ELNS1_11target_archE908ELNS1_3gpuE7ELNS1_3repE0EEENS1_30default_config_static_selectorELNS0_4arch9wavefront6targetE1EEEvT1_ ; -- Begin function _ZN7rocprim17ROCPRIM_400000_NS6detail17trampoline_kernelINS0_14default_configENS1_27scan_by_key_config_selectorIssEEZZNS1_16scan_by_key_implILNS1_25lookback_scan_determinismE0ELb1ES3_N6thrust23THRUST_200600_302600_NS6detail15normal_iteratorINS9_10device_ptrIsEEEESE_SE_sNS9_4plusIvEENS9_8equal_toIvEEsEE10hipError_tPvRmT2_T3_T4_T5_mT6_T7_P12ihipStream_tbENKUlT_T0_E_clISt17integral_constantIbLb0EESY_IbLb1EEEEDaSU_SV_EUlSU_E_NS1_11comp_targetILNS1_3genE3ELNS1_11target_archE908ELNS1_3gpuE7ELNS1_3repE0EEENS1_30default_config_static_selectorELNS0_4arch9wavefront6targetE1EEEvT1_
	.globl	_ZN7rocprim17ROCPRIM_400000_NS6detail17trampoline_kernelINS0_14default_configENS1_27scan_by_key_config_selectorIssEEZZNS1_16scan_by_key_implILNS1_25lookback_scan_determinismE0ELb1ES3_N6thrust23THRUST_200600_302600_NS6detail15normal_iteratorINS9_10device_ptrIsEEEESE_SE_sNS9_4plusIvEENS9_8equal_toIvEEsEE10hipError_tPvRmT2_T3_T4_T5_mT6_T7_P12ihipStream_tbENKUlT_T0_E_clISt17integral_constantIbLb0EESY_IbLb1EEEEDaSU_SV_EUlSU_E_NS1_11comp_targetILNS1_3genE3ELNS1_11target_archE908ELNS1_3gpuE7ELNS1_3repE0EEENS1_30default_config_static_selectorELNS0_4arch9wavefront6targetE1EEEvT1_
	.p2align	8
	.type	_ZN7rocprim17ROCPRIM_400000_NS6detail17trampoline_kernelINS0_14default_configENS1_27scan_by_key_config_selectorIssEEZZNS1_16scan_by_key_implILNS1_25lookback_scan_determinismE0ELb1ES3_N6thrust23THRUST_200600_302600_NS6detail15normal_iteratorINS9_10device_ptrIsEEEESE_SE_sNS9_4plusIvEENS9_8equal_toIvEEsEE10hipError_tPvRmT2_T3_T4_T5_mT6_T7_P12ihipStream_tbENKUlT_T0_E_clISt17integral_constantIbLb0EESY_IbLb1EEEEDaSU_SV_EUlSU_E_NS1_11comp_targetILNS1_3genE3ELNS1_11target_archE908ELNS1_3gpuE7ELNS1_3repE0EEENS1_30default_config_static_selectorELNS0_4arch9wavefront6targetE1EEEvT1_,@function
_ZN7rocprim17ROCPRIM_400000_NS6detail17trampoline_kernelINS0_14default_configENS1_27scan_by_key_config_selectorIssEEZZNS1_16scan_by_key_implILNS1_25lookback_scan_determinismE0ELb1ES3_N6thrust23THRUST_200600_302600_NS6detail15normal_iteratorINS9_10device_ptrIsEEEESE_SE_sNS9_4plusIvEENS9_8equal_toIvEEsEE10hipError_tPvRmT2_T3_T4_T5_mT6_T7_P12ihipStream_tbENKUlT_T0_E_clISt17integral_constantIbLb0EESY_IbLb1EEEEDaSU_SV_EUlSU_E_NS1_11comp_targetILNS1_3genE3ELNS1_11target_archE908ELNS1_3gpuE7ELNS1_3repE0EEENS1_30default_config_static_selectorELNS0_4arch9wavefront6targetE1EEEvT1_: ; @_ZN7rocprim17ROCPRIM_400000_NS6detail17trampoline_kernelINS0_14default_configENS1_27scan_by_key_config_selectorIssEEZZNS1_16scan_by_key_implILNS1_25lookback_scan_determinismE0ELb1ES3_N6thrust23THRUST_200600_302600_NS6detail15normal_iteratorINS9_10device_ptrIsEEEESE_SE_sNS9_4plusIvEENS9_8equal_toIvEEsEE10hipError_tPvRmT2_T3_T4_T5_mT6_T7_P12ihipStream_tbENKUlT_T0_E_clISt17integral_constantIbLb0EESY_IbLb1EEEEDaSU_SV_EUlSU_E_NS1_11comp_targetILNS1_3genE3ELNS1_11target_archE908ELNS1_3gpuE7ELNS1_3repE0EEENS1_30default_config_static_selectorELNS0_4arch9wavefront6targetE1EEEvT1_
; %bb.0:
	.section	.rodata,"a",@progbits
	.p2align	6, 0x0
	.amdhsa_kernel _ZN7rocprim17ROCPRIM_400000_NS6detail17trampoline_kernelINS0_14default_configENS1_27scan_by_key_config_selectorIssEEZZNS1_16scan_by_key_implILNS1_25lookback_scan_determinismE0ELb1ES3_N6thrust23THRUST_200600_302600_NS6detail15normal_iteratorINS9_10device_ptrIsEEEESE_SE_sNS9_4plusIvEENS9_8equal_toIvEEsEE10hipError_tPvRmT2_T3_T4_T5_mT6_T7_P12ihipStream_tbENKUlT_T0_E_clISt17integral_constantIbLb0EESY_IbLb1EEEEDaSU_SV_EUlSU_E_NS1_11comp_targetILNS1_3genE3ELNS1_11target_archE908ELNS1_3gpuE7ELNS1_3repE0EEENS1_30default_config_static_selectorELNS0_4arch9wavefront6targetE1EEEvT1_
		.amdhsa_group_segment_fixed_size 0
		.amdhsa_private_segment_fixed_size 0
		.amdhsa_kernarg_size 112
		.amdhsa_user_sgpr_count 6
		.amdhsa_user_sgpr_private_segment_buffer 1
		.amdhsa_user_sgpr_dispatch_ptr 0
		.amdhsa_user_sgpr_queue_ptr 0
		.amdhsa_user_sgpr_kernarg_segment_ptr 1
		.amdhsa_user_sgpr_dispatch_id 0
		.amdhsa_user_sgpr_flat_scratch_init 0
		.amdhsa_user_sgpr_kernarg_preload_length 0
		.amdhsa_user_sgpr_kernarg_preload_offset 0
		.amdhsa_user_sgpr_private_segment_size 0
		.amdhsa_uses_dynamic_stack 0
		.amdhsa_system_sgpr_private_segment_wavefront_offset 0
		.amdhsa_system_sgpr_workgroup_id_x 1
		.amdhsa_system_sgpr_workgroup_id_y 0
		.amdhsa_system_sgpr_workgroup_id_z 0
		.amdhsa_system_sgpr_workgroup_info 0
		.amdhsa_system_vgpr_workitem_id 0
		.amdhsa_next_free_vgpr 1
		.amdhsa_next_free_sgpr 0
		.amdhsa_accum_offset 4
		.amdhsa_reserve_vcc 0
		.amdhsa_reserve_flat_scratch 0
		.amdhsa_float_round_mode_32 0
		.amdhsa_float_round_mode_16_64 0
		.amdhsa_float_denorm_mode_32 3
		.amdhsa_float_denorm_mode_16_64 3
		.amdhsa_dx10_clamp 1
		.amdhsa_ieee_mode 1
		.amdhsa_fp16_overflow 0
		.amdhsa_tg_split 0
		.amdhsa_exception_fp_ieee_invalid_op 0
		.amdhsa_exception_fp_denorm_src 0
		.amdhsa_exception_fp_ieee_div_zero 0
		.amdhsa_exception_fp_ieee_overflow 0
		.amdhsa_exception_fp_ieee_underflow 0
		.amdhsa_exception_fp_ieee_inexact 0
		.amdhsa_exception_int_div_zero 0
	.end_amdhsa_kernel
	.section	.text._ZN7rocprim17ROCPRIM_400000_NS6detail17trampoline_kernelINS0_14default_configENS1_27scan_by_key_config_selectorIssEEZZNS1_16scan_by_key_implILNS1_25lookback_scan_determinismE0ELb1ES3_N6thrust23THRUST_200600_302600_NS6detail15normal_iteratorINS9_10device_ptrIsEEEESE_SE_sNS9_4plusIvEENS9_8equal_toIvEEsEE10hipError_tPvRmT2_T3_T4_T5_mT6_T7_P12ihipStream_tbENKUlT_T0_E_clISt17integral_constantIbLb0EESY_IbLb1EEEEDaSU_SV_EUlSU_E_NS1_11comp_targetILNS1_3genE3ELNS1_11target_archE908ELNS1_3gpuE7ELNS1_3repE0EEENS1_30default_config_static_selectorELNS0_4arch9wavefront6targetE1EEEvT1_,"axG",@progbits,_ZN7rocprim17ROCPRIM_400000_NS6detail17trampoline_kernelINS0_14default_configENS1_27scan_by_key_config_selectorIssEEZZNS1_16scan_by_key_implILNS1_25lookback_scan_determinismE0ELb1ES3_N6thrust23THRUST_200600_302600_NS6detail15normal_iteratorINS9_10device_ptrIsEEEESE_SE_sNS9_4plusIvEENS9_8equal_toIvEEsEE10hipError_tPvRmT2_T3_T4_T5_mT6_T7_P12ihipStream_tbENKUlT_T0_E_clISt17integral_constantIbLb0EESY_IbLb1EEEEDaSU_SV_EUlSU_E_NS1_11comp_targetILNS1_3genE3ELNS1_11target_archE908ELNS1_3gpuE7ELNS1_3repE0EEENS1_30default_config_static_selectorELNS0_4arch9wavefront6targetE1EEEvT1_,comdat
.Lfunc_end600:
	.size	_ZN7rocprim17ROCPRIM_400000_NS6detail17trampoline_kernelINS0_14default_configENS1_27scan_by_key_config_selectorIssEEZZNS1_16scan_by_key_implILNS1_25lookback_scan_determinismE0ELb1ES3_N6thrust23THRUST_200600_302600_NS6detail15normal_iteratorINS9_10device_ptrIsEEEESE_SE_sNS9_4plusIvEENS9_8equal_toIvEEsEE10hipError_tPvRmT2_T3_T4_T5_mT6_T7_P12ihipStream_tbENKUlT_T0_E_clISt17integral_constantIbLb0EESY_IbLb1EEEEDaSU_SV_EUlSU_E_NS1_11comp_targetILNS1_3genE3ELNS1_11target_archE908ELNS1_3gpuE7ELNS1_3repE0EEENS1_30default_config_static_selectorELNS0_4arch9wavefront6targetE1EEEvT1_, .Lfunc_end600-_ZN7rocprim17ROCPRIM_400000_NS6detail17trampoline_kernelINS0_14default_configENS1_27scan_by_key_config_selectorIssEEZZNS1_16scan_by_key_implILNS1_25lookback_scan_determinismE0ELb1ES3_N6thrust23THRUST_200600_302600_NS6detail15normal_iteratorINS9_10device_ptrIsEEEESE_SE_sNS9_4plusIvEENS9_8equal_toIvEEsEE10hipError_tPvRmT2_T3_T4_T5_mT6_T7_P12ihipStream_tbENKUlT_T0_E_clISt17integral_constantIbLb0EESY_IbLb1EEEEDaSU_SV_EUlSU_E_NS1_11comp_targetILNS1_3genE3ELNS1_11target_archE908ELNS1_3gpuE7ELNS1_3repE0EEENS1_30default_config_static_selectorELNS0_4arch9wavefront6targetE1EEEvT1_
                                        ; -- End function
	.section	.AMDGPU.csdata,"",@progbits
; Kernel info:
; codeLenInByte = 0
; NumSgprs: 4
; NumVgprs: 0
; NumAgprs: 0
; TotalNumVgprs: 0
; ScratchSize: 0
; MemoryBound: 0
; FloatMode: 240
; IeeeMode: 1
; LDSByteSize: 0 bytes/workgroup (compile time only)
; SGPRBlocks: 0
; VGPRBlocks: 0
; NumSGPRsForWavesPerEU: 4
; NumVGPRsForWavesPerEU: 1
; AccumOffset: 4
; Occupancy: 8
; WaveLimiterHint : 0
; COMPUTE_PGM_RSRC2:SCRATCH_EN: 0
; COMPUTE_PGM_RSRC2:USER_SGPR: 6
; COMPUTE_PGM_RSRC2:TRAP_HANDLER: 0
; COMPUTE_PGM_RSRC2:TGID_X_EN: 1
; COMPUTE_PGM_RSRC2:TGID_Y_EN: 0
; COMPUTE_PGM_RSRC2:TGID_Z_EN: 0
; COMPUTE_PGM_RSRC2:TIDIG_COMP_CNT: 0
; COMPUTE_PGM_RSRC3_GFX90A:ACCUM_OFFSET: 0
; COMPUTE_PGM_RSRC3_GFX90A:TG_SPLIT: 0
	.section	.text._ZN7rocprim17ROCPRIM_400000_NS6detail17trampoline_kernelINS0_14default_configENS1_27scan_by_key_config_selectorIssEEZZNS1_16scan_by_key_implILNS1_25lookback_scan_determinismE0ELb1ES3_N6thrust23THRUST_200600_302600_NS6detail15normal_iteratorINS9_10device_ptrIsEEEESE_SE_sNS9_4plusIvEENS9_8equal_toIvEEsEE10hipError_tPvRmT2_T3_T4_T5_mT6_T7_P12ihipStream_tbENKUlT_T0_E_clISt17integral_constantIbLb0EESY_IbLb1EEEEDaSU_SV_EUlSU_E_NS1_11comp_targetILNS1_3genE2ELNS1_11target_archE906ELNS1_3gpuE6ELNS1_3repE0EEENS1_30default_config_static_selectorELNS0_4arch9wavefront6targetE1EEEvT1_,"axG",@progbits,_ZN7rocprim17ROCPRIM_400000_NS6detail17trampoline_kernelINS0_14default_configENS1_27scan_by_key_config_selectorIssEEZZNS1_16scan_by_key_implILNS1_25lookback_scan_determinismE0ELb1ES3_N6thrust23THRUST_200600_302600_NS6detail15normal_iteratorINS9_10device_ptrIsEEEESE_SE_sNS9_4plusIvEENS9_8equal_toIvEEsEE10hipError_tPvRmT2_T3_T4_T5_mT6_T7_P12ihipStream_tbENKUlT_T0_E_clISt17integral_constantIbLb0EESY_IbLb1EEEEDaSU_SV_EUlSU_E_NS1_11comp_targetILNS1_3genE2ELNS1_11target_archE906ELNS1_3gpuE6ELNS1_3repE0EEENS1_30default_config_static_selectorELNS0_4arch9wavefront6targetE1EEEvT1_,comdat
	.protected	_ZN7rocprim17ROCPRIM_400000_NS6detail17trampoline_kernelINS0_14default_configENS1_27scan_by_key_config_selectorIssEEZZNS1_16scan_by_key_implILNS1_25lookback_scan_determinismE0ELb1ES3_N6thrust23THRUST_200600_302600_NS6detail15normal_iteratorINS9_10device_ptrIsEEEESE_SE_sNS9_4plusIvEENS9_8equal_toIvEEsEE10hipError_tPvRmT2_T3_T4_T5_mT6_T7_P12ihipStream_tbENKUlT_T0_E_clISt17integral_constantIbLb0EESY_IbLb1EEEEDaSU_SV_EUlSU_E_NS1_11comp_targetILNS1_3genE2ELNS1_11target_archE906ELNS1_3gpuE6ELNS1_3repE0EEENS1_30default_config_static_selectorELNS0_4arch9wavefront6targetE1EEEvT1_ ; -- Begin function _ZN7rocprim17ROCPRIM_400000_NS6detail17trampoline_kernelINS0_14default_configENS1_27scan_by_key_config_selectorIssEEZZNS1_16scan_by_key_implILNS1_25lookback_scan_determinismE0ELb1ES3_N6thrust23THRUST_200600_302600_NS6detail15normal_iteratorINS9_10device_ptrIsEEEESE_SE_sNS9_4plusIvEENS9_8equal_toIvEEsEE10hipError_tPvRmT2_T3_T4_T5_mT6_T7_P12ihipStream_tbENKUlT_T0_E_clISt17integral_constantIbLb0EESY_IbLb1EEEEDaSU_SV_EUlSU_E_NS1_11comp_targetILNS1_3genE2ELNS1_11target_archE906ELNS1_3gpuE6ELNS1_3repE0EEENS1_30default_config_static_selectorELNS0_4arch9wavefront6targetE1EEEvT1_
	.globl	_ZN7rocprim17ROCPRIM_400000_NS6detail17trampoline_kernelINS0_14default_configENS1_27scan_by_key_config_selectorIssEEZZNS1_16scan_by_key_implILNS1_25lookback_scan_determinismE0ELb1ES3_N6thrust23THRUST_200600_302600_NS6detail15normal_iteratorINS9_10device_ptrIsEEEESE_SE_sNS9_4plusIvEENS9_8equal_toIvEEsEE10hipError_tPvRmT2_T3_T4_T5_mT6_T7_P12ihipStream_tbENKUlT_T0_E_clISt17integral_constantIbLb0EESY_IbLb1EEEEDaSU_SV_EUlSU_E_NS1_11comp_targetILNS1_3genE2ELNS1_11target_archE906ELNS1_3gpuE6ELNS1_3repE0EEENS1_30default_config_static_selectorELNS0_4arch9wavefront6targetE1EEEvT1_
	.p2align	8
	.type	_ZN7rocprim17ROCPRIM_400000_NS6detail17trampoline_kernelINS0_14default_configENS1_27scan_by_key_config_selectorIssEEZZNS1_16scan_by_key_implILNS1_25lookback_scan_determinismE0ELb1ES3_N6thrust23THRUST_200600_302600_NS6detail15normal_iteratorINS9_10device_ptrIsEEEESE_SE_sNS9_4plusIvEENS9_8equal_toIvEEsEE10hipError_tPvRmT2_T3_T4_T5_mT6_T7_P12ihipStream_tbENKUlT_T0_E_clISt17integral_constantIbLb0EESY_IbLb1EEEEDaSU_SV_EUlSU_E_NS1_11comp_targetILNS1_3genE2ELNS1_11target_archE906ELNS1_3gpuE6ELNS1_3repE0EEENS1_30default_config_static_selectorELNS0_4arch9wavefront6targetE1EEEvT1_,@function
_ZN7rocprim17ROCPRIM_400000_NS6detail17trampoline_kernelINS0_14default_configENS1_27scan_by_key_config_selectorIssEEZZNS1_16scan_by_key_implILNS1_25lookback_scan_determinismE0ELb1ES3_N6thrust23THRUST_200600_302600_NS6detail15normal_iteratorINS9_10device_ptrIsEEEESE_SE_sNS9_4plusIvEENS9_8equal_toIvEEsEE10hipError_tPvRmT2_T3_T4_T5_mT6_T7_P12ihipStream_tbENKUlT_T0_E_clISt17integral_constantIbLb0EESY_IbLb1EEEEDaSU_SV_EUlSU_E_NS1_11comp_targetILNS1_3genE2ELNS1_11target_archE906ELNS1_3gpuE6ELNS1_3repE0EEENS1_30default_config_static_selectorELNS0_4arch9wavefront6targetE1EEEvT1_: ; @_ZN7rocprim17ROCPRIM_400000_NS6detail17trampoline_kernelINS0_14default_configENS1_27scan_by_key_config_selectorIssEEZZNS1_16scan_by_key_implILNS1_25lookback_scan_determinismE0ELb1ES3_N6thrust23THRUST_200600_302600_NS6detail15normal_iteratorINS9_10device_ptrIsEEEESE_SE_sNS9_4plusIvEENS9_8equal_toIvEEsEE10hipError_tPvRmT2_T3_T4_T5_mT6_T7_P12ihipStream_tbENKUlT_T0_E_clISt17integral_constantIbLb0EESY_IbLb1EEEEDaSU_SV_EUlSU_E_NS1_11comp_targetILNS1_3genE2ELNS1_11target_archE906ELNS1_3gpuE6ELNS1_3repE0EEENS1_30default_config_static_selectorELNS0_4arch9wavefront6targetE1EEEvT1_
; %bb.0:
	.section	.rodata,"a",@progbits
	.p2align	6, 0x0
	.amdhsa_kernel _ZN7rocprim17ROCPRIM_400000_NS6detail17trampoline_kernelINS0_14default_configENS1_27scan_by_key_config_selectorIssEEZZNS1_16scan_by_key_implILNS1_25lookback_scan_determinismE0ELb1ES3_N6thrust23THRUST_200600_302600_NS6detail15normal_iteratorINS9_10device_ptrIsEEEESE_SE_sNS9_4plusIvEENS9_8equal_toIvEEsEE10hipError_tPvRmT2_T3_T4_T5_mT6_T7_P12ihipStream_tbENKUlT_T0_E_clISt17integral_constantIbLb0EESY_IbLb1EEEEDaSU_SV_EUlSU_E_NS1_11comp_targetILNS1_3genE2ELNS1_11target_archE906ELNS1_3gpuE6ELNS1_3repE0EEENS1_30default_config_static_selectorELNS0_4arch9wavefront6targetE1EEEvT1_
		.amdhsa_group_segment_fixed_size 0
		.amdhsa_private_segment_fixed_size 0
		.amdhsa_kernarg_size 112
		.amdhsa_user_sgpr_count 6
		.amdhsa_user_sgpr_private_segment_buffer 1
		.amdhsa_user_sgpr_dispatch_ptr 0
		.amdhsa_user_sgpr_queue_ptr 0
		.amdhsa_user_sgpr_kernarg_segment_ptr 1
		.amdhsa_user_sgpr_dispatch_id 0
		.amdhsa_user_sgpr_flat_scratch_init 0
		.amdhsa_user_sgpr_kernarg_preload_length 0
		.amdhsa_user_sgpr_kernarg_preload_offset 0
		.amdhsa_user_sgpr_private_segment_size 0
		.amdhsa_uses_dynamic_stack 0
		.amdhsa_system_sgpr_private_segment_wavefront_offset 0
		.amdhsa_system_sgpr_workgroup_id_x 1
		.amdhsa_system_sgpr_workgroup_id_y 0
		.amdhsa_system_sgpr_workgroup_id_z 0
		.amdhsa_system_sgpr_workgroup_info 0
		.amdhsa_system_vgpr_workitem_id 0
		.amdhsa_next_free_vgpr 1
		.amdhsa_next_free_sgpr 0
		.amdhsa_accum_offset 4
		.amdhsa_reserve_vcc 0
		.amdhsa_reserve_flat_scratch 0
		.amdhsa_float_round_mode_32 0
		.amdhsa_float_round_mode_16_64 0
		.amdhsa_float_denorm_mode_32 3
		.amdhsa_float_denorm_mode_16_64 3
		.amdhsa_dx10_clamp 1
		.amdhsa_ieee_mode 1
		.amdhsa_fp16_overflow 0
		.amdhsa_tg_split 0
		.amdhsa_exception_fp_ieee_invalid_op 0
		.amdhsa_exception_fp_denorm_src 0
		.amdhsa_exception_fp_ieee_div_zero 0
		.amdhsa_exception_fp_ieee_overflow 0
		.amdhsa_exception_fp_ieee_underflow 0
		.amdhsa_exception_fp_ieee_inexact 0
		.amdhsa_exception_int_div_zero 0
	.end_amdhsa_kernel
	.section	.text._ZN7rocprim17ROCPRIM_400000_NS6detail17trampoline_kernelINS0_14default_configENS1_27scan_by_key_config_selectorIssEEZZNS1_16scan_by_key_implILNS1_25lookback_scan_determinismE0ELb1ES3_N6thrust23THRUST_200600_302600_NS6detail15normal_iteratorINS9_10device_ptrIsEEEESE_SE_sNS9_4plusIvEENS9_8equal_toIvEEsEE10hipError_tPvRmT2_T3_T4_T5_mT6_T7_P12ihipStream_tbENKUlT_T0_E_clISt17integral_constantIbLb0EESY_IbLb1EEEEDaSU_SV_EUlSU_E_NS1_11comp_targetILNS1_3genE2ELNS1_11target_archE906ELNS1_3gpuE6ELNS1_3repE0EEENS1_30default_config_static_selectorELNS0_4arch9wavefront6targetE1EEEvT1_,"axG",@progbits,_ZN7rocprim17ROCPRIM_400000_NS6detail17trampoline_kernelINS0_14default_configENS1_27scan_by_key_config_selectorIssEEZZNS1_16scan_by_key_implILNS1_25lookback_scan_determinismE0ELb1ES3_N6thrust23THRUST_200600_302600_NS6detail15normal_iteratorINS9_10device_ptrIsEEEESE_SE_sNS9_4plusIvEENS9_8equal_toIvEEsEE10hipError_tPvRmT2_T3_T4_T5_mT6_T7_P12ihipStream_tbENKUlT_T0_E_clISt17integral_constantIbLb0EESY_IbLb1EEEEDaSU_SV_EUlSU_E_NS1_11comp_targetILNS1_3genE2ELNS1_11target_archE906ELNS1_3gpuE6ELNS1_3repE0EEENS1_30default_config_static_selectorELNS0_4arch9wavefront6targetE1EEEvT1_,comdat
.Lfunc_end601:
	.size	_ZN7rocprim17ROCPRIM_400000_NS6detail17trampoline_kernelINS0_14default_configENS1_27scan_by_key_config_selectorIssEEZZNS1_16scan_by_key_implILNS1_25lookback_scan_determinismE0ELb1ES3_N6thrust23THRUST_200600_302600_NS6detail15normal_iteratorINS9_10device_ptrIsEEEESE_SE_sNS9_4plusIvEENS9_8equal_toIvEEsEE10hipError_tPvRmT2_T3_T4_T5_mT6_T7_P12ihipStream_tbENKUlT_T0_E_clISt17integral_constantIbLb0EESY_IbLb1EEEEDaSU_SV_EUlSU_E_NS1_11comp_targetILNS1_3genE2ELNS1_11target_archE906ELNS1_3gpuE6ELNS1_3repE0EEENS1_30default_config_static_selectorELNS0_4arch9wavefront6targetE1EEEvT1_, .Lfunc_end601-_ZN7rocprim17ROCPRIM_400000_NS6detail17trampoline_kernelINS0_14default_configENS1_27scan_by_key_config_selectorIssEEZZNS1_16scan_by_key_implILNS1_25lookback_scan_determinismE0ELb1ES3_N6thrust23THRUST_200600_302600_NS6detail15normal_iteratorINS9_10device_ptrIsEEEESE_SE_sNS9_4plusIvEENS9_8equal_toIvEEsEE10hipError_tPvRmT2_T3_T4_T5_mT6_T7_P12ihipStream_tbENKUlT_T0_E_clISt17integral_constantIbLb0EESY_IbLb1EEEEDaSU_SV_EUlSU_E_NS1_11comp_targetILNS1_3genE2ELNS1_11target_archE906ELNS1_3gpuE6ELNS1_3repE0EEENS1_30default_config_static_selectorELNS0_4arch9wavefront6targetE1EEEvT1_
                                        ; -- End function
	.section	.AMDGPU.csdata,"",@progbits
; Kernel info:
; codeLenInByte = 0
; NumSgprs: 4
; NumVgprs: 0
; NumAgprs: 0
; TotalNumVgprs: 0
; ScratchSize: 0
; MemoryBound: 0
; FloatMode: 240
; IeeeMode: 1
; LDSByteSize: 0 bytes/workgroup (compile time only)
; SGPRBlocks: 0
; VGPRBlocks: 0
; NumSGPRsForWavesPerEU: 4
; NumVGPRsForWavesPerEU: 1
; AccumOffset: 4
; Occupancy: 8
; WaveLimiterHint : 0
; COMPUTE_PGM_RSRC2:SCRATCH_EN: 0
; COMPUTE_PGM_RSRC2:USER_SGPR: 6
; COMPUTE_PGM_RSRC2:TRAP_HANDLER: 0
; COMPUTE_PGM_RSRC2:TGID_X_EN: 1
; COMPUTE_PGM_RSRC2:TGID_Y_EN: 0
; COMPUTE_PGM_RSRC2:TGID_Z_EN: 0
; COMPUTE_PGM_RSRC2:TIDIG_COMP_CNT: 0
; COMPUTE_PGM_RSRC3_GFX90A:ACCUM_OFFSET: 0
; COMPUTE_PGM_RSRC3_GFX90A:TG_SPLIT: 0
	.section	.text._ZN7rocprim17ROCPRIM_400000_NS6detail17trampoline_kernelINS0_14default_configENS1_27scan_by_key_config_selectorIssEEZZNS1_16scan_by_key_implILNS1_25lookback_scan_determinismE0ELb1ES3_N6thrust23THRUST_200600_302600_NS6detail15normal_iteratorINS9_10device_ptrIsEEEESE_SE_sNS9_4plusIvEENS9_8equal_toIvEEsEE10hipError_tPvRmT2_T3_T4_T5_mT6_T7_P12ihipStream_tbENKUlT_T0_E_clISt17integral_constantIbLb0EESY_IbLb1EEEEDaSU_SV_EUlSU_E_NS1_11comp_targetILNS1_3genE10ELNS1_11target_archE1200ELNS1_3gpuE4ELNS1_3repE0EEENS1_30default_config_static_selectorELNS0_4arch9wavefront6targetE1EEEvT1_,"axG",@progbits,_ZN7rocprim17ROCPRIM_400000_NS6detail17trampoline_kernelINS0_14default_configENS1_27scan_by_key_config_selectorIssEEZZNS1_16scan_by_key_implILNS1_25lookback_scan_determinismE0ELb1ES3_N6thrust23THRUST_200600_302600_NS6detail15normal_iteratorINS9_10device_ptrIsEEEESE_SE_sNS9_4plusIvEENS9_8equal_toIvEEsEE10hipError_tPvRmT2_T3_T4_T5_mT6_T7_P12ihipStream_tbENKUlT_T0_E_clISt17integral_constantIbLb0EESY_IbLb1EEEEDaSU_SV_EUlSU_E_NS1_11comp_targetILNS1_3genE10ELNS1_11target_archE1200ELNS1_3gpuE4ELNS1_3repE0EEENS1_30default_config_static_selectorELNS0_4arch9wavefront6targetE1EEEvT1_,comdat
	.protected	_ZN7rocprim17ROCPRIM_400000_NS6detail17trampoline_kernelINS0_14default_configENS1_27scan_by_key_config_selectorIssEEZZNS1_16scan_by_key_implILNS1_25lookback_scan_determinismE0ELb1ES3_N6thrust23THRUST_200600_302600_NS6detail15normal_iteratorINS9_10device_ptrIsEEEESE_SE_sNS9_4plusIvEENS9_8equal_toIvEEsEE10hipError_tPvRmT2_T3_T4_T5_mT6_T7_P12ihipStream_tbENKUlT_T0_E_clISt17integral_constantIbLb0EESY_IbLb1EEEEDaSU_SV_EUlSU_E_NS1_11comp_targetILNS1_3genE10ELNS1_11target_archE1200ELNS1_3gpuE4ELNS1_3repE0EEENS1_30default_config_static_selectorELNS0_4arch9wavefront6targetE1EEEvT1_ ; -- Begin function _ZN7rocprim17ROCPRIM_400000_NS6detail17trampoline_kernelINS0_14default_configENS1_27scan_by_key_config_selectorIssEEZZNS1_16scan_by_key_implILNS1_25lookback_scan_determinismE0ELb1ES3_N6thrust23THRUST_200600_302600_NS6detail15normal_iteratorINS9_10device_ptrIsEEEESE_SE_sNS9_4plusIvEENS9_8equal_toIvEEsEE10hipError_tPvRmT2_T3_T4_T5_mT6_T7_P12ihipStream_tbENKUlT_T0_E_clISt17integral_constantIbLb0EESY_IbLb1EEEEDaSU_SV_EUlSU_E_NS1_11comp_targetILNS1_3genE10ELNS1_11target_archE1200ELNS1_3gpuE4ELNS1_3repE0EEENS1_30default_config_static_selectorELNS0_4arch9wavefront6targetE1EEEvT1_
	.globl	_ZN7rocprim17ROCPRIM_400000_NS6detail17trampoline_kernelINS0_14default_configENS1_27scan_by_key_config_selectorIssEEZZNS1_16scan_by_key_implILNS1_25lookback_scan_determinismE0ELb1ES3_N6thrust23THRUST_200600_302600_NS6detail15normal_iteratorINS9_10device_ptrIsEEEESE_SE_sNS9_4plusIvEENS9_8equal_toIvEEsEE10hipError_tPvRmT2_T3_T4_T5_mT6_T7_P12ihipStream_tbENKUlT_T0_E_clISt17integral_constantIbLb0EESY_IbLb1EEEEDaSU_SV_EUlSU_E_NS1_11comp_targetILNS1_3genE10ELNS1_11target_archE1200ELNS1_3gpuE4ELNS1_3repE0EEENS1_30default_config_static_selectorELNS0_4arch9wavefront6targetE1EEEvT1_
	.p2align	8
	.type	_ZN7rocprim17ROCPRIM_400000_NS6detail17trampoline_kernelINS0_14default_configENS1_27scan_by_key_config_selectorIssEEZZNS1_16scan_by_key_implILNS1_25lookback_scan_determinismE0ELb1ES3_N6thrust23THRUST_200600_302600_NS6detail15normal_iteratorINS9_10device_ptrIsEEEESE_SE_sNS9_4plusIvEENS9_8equal_toIvEEsEE10hipError_tPvRmT2_T3_T4_T5_mT6_T7_P12ihipStream_tbENKUlT_T0_E_clISt17integral_constantIbLb0EESY_IbLb1EEEEDaSU_SV_EUlSU_E_NS1_11comp_targetILNS1_3genE10ELNS1_11target_archE1200ELNS1_3gpuE4ELNS1_3repE0EEENS1_30default_config_static_selectorELNS0_4arch9wavefront6targetE1EEEvT1_,@function
_ZN7rocprim17ROCPRIM_400000_NS6detail17trampoline_kernelINS0_14default_configENS1_27scan_by_key_config_selectorIssEEZZNS1_16scan_by_key_implILNS1_25lookback_scan_determinismE0ELb1ES3_N6thrust23THRUST_200600_302600_NS6detail15normal_iteratorINS9_10device_ptrIsEEEESE_SE_sNS9_4plusIvEENS9_8equal_toIvEEsEE10hipError_tPvRmT2_T3_T4_T5_mT6_T7_P12ihipStream_tbENKUlT_T0_E_clISt17integral_constantIbLb0EESY_IbLb1EEEEDaSU_SV_EUlSU_E_NS1_11comp_targetILNS1_3genE10ELNS1_11target_archE1200ELNS1_3gpuE4ELNS1_3repE0EEENS1_30default_config_static_selectorELNS0_4arch9wavefront6targetE1EEEvT1_: ; @_ZN7rocprim17ROCPRIM_400000_NS6detail17trampoline_kernelINS0_14default_configENS1_27scan_by_key_config_selectorIssEEZZNS1_16scan_by_key_implILNS1_25lookback_scan_determinismE0ELb1ES3_N6thrust23THRUST_200600_302600_NS6detail15normal_iteratorINS9_10device_ptrIsEEEESE_SE_sNS9_4plusIvEENS9_8equal_toIvEEsEE10hipError_tPvRmT2_T3_T4_T5_mT6_T7_P12ihipStream_tbENKUlT_T0_E_clISt17integral_constantIbLb0EESY_IbLb1EEEEDaSU_SV_EUlSU_E_NS1_11comp_targetILNS1_3genE10ELNS1_11target_archE1200ELNS1_3gpuE4ELNS1_3repE0EEENS1_30default_config_static_selectorELNS0_4arch9wavefront6targetE1EEEvT1_
; %bb.0:
	.section	.rodata,"a",@progbits
	.p2align	6, 0x0
	.amdhsa_kernel _ZN7rocprim17ROCPRIM_400000_NS6detail17trampoline_kernelINS0_14default_configENS1_27scan_by_key_config_selectorIssEEZZNS1_16scan_by_key_implILNS1_25lookback_scan_determinismE0ELb1ES3_N6thrust23THRUST_200600_302600_NS6detail15normal_iteratorINS9_10device_ptrIsEEEESE_SE_sNS9_4plusIvEENS9_8equal_toIvEEsEE10hipError_tPvRmT2_T3_T4_T5_mT6_T7_P12ihipStream_tbENKUlT_T0_E_clISt17integral_constantIbLb0EESY_IbLb1EEEEDaSU_SV_EUlSU_E_NS1_11comp_targetILNS1_3genE10ELNS1_11target_archE1200ELNS1_3gpuE4ELNS1_3repE0EEENS1_30default_config_static_selectorELNS0_4arch9wavefront6targetE1EEEvT1_
		.amdhsa_group_segment_fixed_size 0
		.amdhsa_private_segment_fixed_size 0
		.amdhsa_kernarg_size 112
		.amdhsa_user_sgpr_count 6
		.amdhsa_user_sgpr_private_segment_buffer 1
		.amdhsa_user_sgpr_dispatch_ptr 0
		.amdhsa_user_sgpr_queue_ptr 0
		.amdhsa_user_sgpr_kernarg_segment_ptr 1
		.amdhsa_user_sgpr_dispatch_id 0
		.amdhsa_user_sgpr_flat_scratch_init 0
		.amdhsa_user_sgpr_kernarg_preload_length 0
		.amdhsa_user_sgpr_kernarg_preload_offset 0
		.amdhsa_user_sgpr_private_segment_size 0
		.amdhsa_uses_dynamic_stack 0
		.amdhsa_system_sgpr_private_segment_wavefront_offset 0
		.amdhsa_system_sgpr_workgroup_id_x 1
		.amdhsa_system_sgpr_workgroup_id_y 0
		.amdhsa_system_sgpr_workgroup_id_z 0
		.amdhsa_system_sgpr_workgroup_info 0
		.amdhsa_system_vgpr_workitem_id 0
		.amdhsa_next_free_vgpr 1
		.amdhsa_next_free_sgpr 0
		.amdhsa_accum_offset 4
		.amdhsa_reserve_vcc 0
		.amdhsa_reserve_flat_scratch 0
		.amdhsa_float_round_mode_32 0
		.amdhsa_float_round_mode_16_64 0
		.amdhsa_float_denorm_mode_32 3
		.amdhsa_float_denorm_mode_16_64 3
		.amdhsa_dx10_clamp 1
		.amdhsa_ieee_mode 1
		.amdhsa_fp16_overflow 0
		.amdhsa_tg_split 0
		.amdhsa_exception_fp_ieee_invalid_op 0
		.amdhsa_exception_fp_denorm_src 0
		.amdhsa_exception_fp_ieee_div_zero 0
		.amdhsa_exception_fp_ieee_overflow 0
		.amdhsa_exception_fp_ieee_underflow 0
		.amdhsa_exception_fp_ieee_inexact 0
		.amdhsa_exception_int_div_zero 0
	.end_amdhsa_kernel
	.section	.text._ZN7rocprim17ROCPRIM_400000_NS6detail17trampoline_kernelINS0_14default_configENS1_27scan_by_key_config_selectorIssEEZZNS1_16scan_by_key_implILNS1_25lookback_scan_determinismE0ELb1ES3_N6thrust23THRUST_200600_302600_NS6detail15normal_iteratorINS9_10device_ptrIsEEEESE_SE_sNS9_4plusIvEENS9_8equal_toIvEEsEE10hipError_tPvRmT2_T3_T4_T5_mT6_T7_P12ihipStream_tbENKUlT_T0_E_clISt17integral_constantIbLb0EESY_IbLb1EEEEDaSU_SV_EUlSU_E_NS1_11comp_targetILNS1_3genE10ELNS1_11target_archE1200ELNS1_3gpuE4ELNS1_3repE0EEENS1_30default_config_static_selectorELNS0_4arch9wavefront6targetE1EEEvT1_,"axG",@progbits,_ZN7rocprim17ROCPRIM_400000_NS6detail17trampoline_kernelINS0_14default_configENS1_27scan_by_key_config_selectorIssEEZZNS1_16scan_by_key_implILNS1_25lookback_scan_determinismE0ELb1ES3_N6thrust23THRUST_200600_302600_NS6detail15normal_iteratorINS9_10device_ptrIsEEEESE_SE_sNS9_4plusIvEENS9_8equal_toIvEEsEE10hipError_tPvRmT2_T3_T4_T5_mT6_T7_P12ihipStream_tbENKUlT_T0_E_clISt17integral_constantIbLb0EESY_IbLb1EEEEDaSU_SV_EUlSU_E_NS1_11comp_targetILNS1_3genE10ELNS1_11target_archE1200ELNS1_3gpuE4ELNS1_3repE0EEENS1_30default_config_static_selectorELNS0_4arch9wavefront6targetE1EEEvT1_,comdat
.Lfunc_end602:
	.size	_ZN7rocprim17ROCPRIM_400000_NS6detail17trampoline_kernelINS0_14default_configENS1_27scan_by_key_config_selectorIssEEZZNS1_16scan_by_key_implILNS1_25lookback_scan_determinismE0ELb1ES3_N6thrust23THRUST_200600_302600_NS6detail15normal_iteratorINS9_10device_ptrIsEEEESE_SE_sNS9_4plusIvEENS9_8equal_toIvEEsEE10hipError_tPvRmT2_T3_T4_T5_mT6_T7_P12ihipStream_tbENKUlT_T0_E_clISt17integral_constantIbLb0EESY_IbLb1EEEEDaSU_SV_EUlSU_E_NS1_11comp_targetILNS1_3genE10ELNS1_11target_archE1200ELNS1_3gpuE4ELNS1_3repE0EEENS1_30default_config_static_selectorELNS0_4arch9wavefront6targetE1EEEvT1_, .Lfunc_end602-_ZN7rocprim17ROCPRIM_400000_NS6detail17trampoline_kernelINS0_14default_configENS1_27scan_by_key_config_selectorIssEEZZNS1_16scan_by_key_implILNS1_25lookback_scan_determinismE0ELb1ES3_N6thrust23THRUST_200600_302600_NS6detail15normal_iteratorINS9_10device_ptrIsEEEESE_SE_sNS9_4plusIvEENS9_8equal_toIvEEsEE10hipError_tPvRmT2_T3_T4_T5_mT6_T7_P12ihipStream_tbENKUlT_T0_E_clISt17integral_constantIbLb0EESY_IbLb1EEEEDaSU_SV_EUlSU_E_NS1_11comp_targetILNS1_3genE10ELNS1_11target_archE1200ELNS1_3gpuE4ELNS1_3repE0EEENS1_30default_config_static_selectorELNS0_4arch9wavefront6targetE1EEEvT1_
                                        ; -- End function
	.section	.AMDGPU.csdata,"",@progbits
; Kernel info:
; codeLenInByte = 0
; NumSgprs: 4
; NumVgprs: 0
; NumAgprs: 0
; TotalNumVgprs: 0
; ScratchSize: 0
; MemoryBound: 0
; FloatMode: 240
; IeeeMode: 1
; LDSByteSize: 0 bytes/workgroup (compile time only)
; SGPRBlocks: 0
; VGPRBlocks: 0
; NumSGPRsForWavesPerEU: 4
; NumVGPRsForWavesPerEU: 1
; AccumOffset: 4
; Occupancy: 8
; WaveLimiterHint : 0
; COMPUTE_PGM_RSRC2:SCRATCH_EN: 0
; COMPUTE_PGM_RSRC2:USER_SGPR: 6
; COMPUTE_PGM_RSRC2:TRAP_HANDLER: 0
; COMPUTE_PGM_RSRC2:TGID_X_EN: 1
; COMPUTE_PGM_RSRC2:TGID_Y_EN: 0
; COMPUTE_PGM_RSRC2:TGID_Z_EN: 0
; COMPUTE_PGM_RSRC2:TIDIG_COMP_CNT: 0
; COMPUTE_PGM_RSRC3_GFX90A:ACCUM_OFFSET: 0
; COMPUTE_PGM_RSRC3_GFX90A:TG_SPLIT: 0
	.section	.text._ZN7rocprim17ROCPRIM_400000_NS6detail17trampoline_kernelINS0_14default_configENS1_27scan_by_key_config_selectorIssEEZZNS1_16scan_by_key_implILNS1_25lookback_scan_determinismE0ELb1ES3_N6thrust23THRUST_200600_302600_NS6detail15normal_iteratorINS9_10device_ptrIsEEEESE_SE_sNS9_4plusIvEENS9_8equal_toIvEEsEE10hipError_tPvRmT2_T3_T4_T5_mT6_T7_P12ihipStream_tbENKUlT_T0_E_clISt17integral_constantIbLb0EESY_IbLb1EEEEDaSU_SV_EUlSU_E_NS1_11comp_targetILNS1_3genE9ELNS1_11target_archE1100ELNS1_3gpuE3ELNS1_3repE0EEENS1_30default_config_static_selectorELNS0_4arch9wavefront6targetE1EEEvT1_,"axG",@progbits,_ZN7rocprim17ROCPRIM_400000_NS6detail17trampoline_kernelINS0_14default_configENS1_27scan_by_key_config_selectorIssEEZZNS1_16scan_by_key_implILNS1_25lookback_scan_determinismE0ELb1ES3_N6thrust23THRUST_200600_302600_NS6detail15normal_iteratorINS9_10device_ptrIsEEEESE_SE_sNS9_4plusIvEENS9_8equal_toIvEEsEE10hipError_tPvRmT2_T3_T4_T5_mT6_T7_P12ihipStream_tbENKUlT_T0_E_clISt17integral_constantIbLb0EESY_IbLb1EEEEDaSU_SV_EUlSU_E_NS1_11comp_targetILNS1_3genE9ELNS1_11target_archE1100ELNS1_3gpuE3ELNS1_3repE0EEENS1_30default_config_static_selectorELNS0_4arch9wavefront6targetE1EEEvT1_,comdat
	.protected	_ZN7rocprim17ROCPRIM_400000_NS6detail17trampoline_kernelINS0_14default_configENS1_27scan_by_key_config_selectorIssEEZZNS1_16scan_by_key_implILNS1_25lookback_scan_determinismE0ELb1ES3_N6thrust23THRUST_200600_302600_NS6detail15normal_iteratorINS9_10device_ptrIsEEEESE_SE_sNS9_4plusIvEENS9_8equal_toIvEEsEE10hipError_tPvRmT2_T3_T4_T5_mT6_T7_P12ihipStream_tbENKUlT_T0_E_clISt17integral_constantIbLb0EESY_IbLb1EEEEDaSU_SV_EUlSU_E_NS1_11comp_targetILNS1_3genE9ELNS1_11target_archE1100ELNS1_3gpuE3ELNS1_3repE0EEENS1_30default_config_static_selectorELNS0_4arch9wavefront6targetE1EEEvT1_ ; -- Begin function _ZN7rocprim17ROCPRIM_400000_NS6detail17trampoline_kernelINS0_14default_configENS1_27scan_by_key_config_selectorIssEEZZNS1_16scan_by_key_implILNS1_25lookback_scan_determinismE0ELb1ES3_N6thrust23THRUST_200600_302600_NS6detail15normal_iteratorINS9_10device_ptrIsEEEESE_SE_sNS9_4plusIvEENS9_8equal_toIvEEsEE10hipError_tPvRmT2_T3_T4_T5_mT6_T7_P12ihipStream_tbENKUlT_T0_E_clISt17integral_constantIbLb0EESY_IbLb1EEEEDaSU_SV_EUlSU_E_NS1_11comp_targetILNS1_3genE9ELNS1_11target_archE1100ELNS1_3gpuE3ELNS1_3repE0EEENS1_30default_config_static_selectorELNS0_4arch9wavefront6targetE1EEEvT1_
	.globl	_ZN7rocprim17ROCPRIM_400000_NS6detail17trampoline_kernelINS0_14default_configENS1_27scan_by_key_config_selectorIssEEZZNS1_16scan_by_key_implILNS1_25lookback_scan_determinismE0ELb1ES3_N6thrust23THRUST_200600_302600_NS6detail15normal_iteratorINS9_10device_ptrIsEEEESE_SE_sNS9_4plusIvEENS9_8equal_toIvEEsEE10hipError_tPvRmT2_T3_T4_T5_mT6_T7_P12ihipStream_tbENKUlT_T0_E_clISt17integral_constantIbLb0EESY_IbLb1EEEEDaSU_SV_EUlSU_E_NS1_11comp_targetILNS1_3genE9ELNS1_11target_archE1100ELNS1_3gpuE3ELNS1_3repE0EEENS1_30default_config_static_selectorELNS0_4arch9wavefront6targetE1EEEvT1_
	.p2align	8
	.type	_ZN7rocprim17ROCPRIM_400000_NS6detail17trampoline_kernelINS0_14default_configENS1_27scan_by_key_config_selectorIssEEZZNS1_16scan_by_key_implILNS1_25lookback_scan_determinismE0ELb1ES3_N6thrust23THRUST_200600_302600_NS6detail15normal_iteratorINS9_10device_ptrIsEEEESE_SE_sNS9_4plusIvEENS9_8equal_toIvEEsEE10hipError_tPvRmT2_T3_T4_T5_mT6_T7_P12ihipStream_tbENKUlT_T0_E_clISt17integral_constantIbLb0EESY_IbLb1EEEEDaSU_SV_EUlSU_E_NS1_11comp_targetILNS1_3genE9ELNS1_11target_archE1100ELNS1_3gpuE3ELNS1_3repE0EEENS1_30default_config_static_selectorELNS0_4arch9wavefront6targetE1EEEvT1_,@function
_ZN7rocprim17ROCPRIM_400000_NS6detail17trampoline_kernelINS0_14default_configENS1_27scan_by_key_config_selectorIssEEZZNS1_16scan_by_key_implILNS1_25lookback_scan_determinismE0ELb1ES3_N6thrust23THRUST_200600_302600_NS6detail15normal_iteratorINS9_10device_ptrIsEEEESE_SE_sNS9_4plusIvEENS9_8equal_toIvEEsEE10hipError_tPvRmT2_T3_T4_T5_mT6_T7_P12ihipStream_tbENKUlT_T0_E_clISt17integral_constantIbLb0EESY_IbLb1EEEEDaSU_SV_EUlSU_E_NS1_11comp_targetILNS1_3genE9ELNS1_11target_archE1100ELNS1_3gpuE3ELNS1_3repE0EEENS1_30default_config_static_selectorELNS0_4arch9wavefront6targetE1EEEvT1_: ; @_ZN7rocprim17ROCPRIM_400000_NS6detail17trampoline_kernelINS0_14default_configENS1_27scan_by_key_config_selectorIssEEZZNS1_16scan_by_key_implILNS1_25lookback_scan_determinismE0ELb1ES3_N6thrust23THRUST_200600_302600_NS6detail15normal_iteratorINS9_10device_ptrIsEEEESE_SE_sNS9_4plusIvEENS9_8equal_toIvEEsEE10hipError_tPvRmT2_T3_T4_T5_mT6_T7_P12ihipStream_tbENKUlT_T0_E_clISt17integral_constantIbLb0EESY_IbLb1EEEEDaSU_SV_EUlSU_E_NS1_11comp_targetILNS1_3genE9ELNS1_11target_archE1100ELNS1_3gpuE3ELNS1_3repE0EEENS1_30default_config_static_selectorELNS0_4arch9wavefront6targetE1EEEvT1_
; %bb.0:
	.section	.rodata,"a",@progbits
	.p2align	6, 0x0
	.amdhsa_kernel _ZN7rocprim17ROCPRIM_400000_NS6detail17trampoline_kernelINS0_14default_configENS1_27scan_by_key_config_selectorIssEEZZNS1_16scan_by_key_implILNS1_25lookback_scan_determinismE0ELb1ES3_N6thrust23THRUST_200600_302600_NS6detail15normal_iteratorINS9_10device_ptrIsEEEESE_SE_sNS9_4plusIvEENS9_8equal_toIvEEsEE10hipError_tPvRmT2_T3_T4_T5_mT6_T7_P12ihipStream_tbENKUlT_T0_E_clISt17integral_constantIbLb0EESY_IbLb1EEEEDaSU_SV_EUlSU_E_NS1_11comp_targetILNS1_3genE9ELNS1_11target_archE1100ELNS1_3gpuE3ELNS1_3repE0EEENS1_30default_config_static_selectorELNS0_4arch9wavefront6targetE1EEEvT1_
		.amdhsa_group_segment_fixed_size 0
		.amdhsa_private_segment_fixed_size 0
		.amdhsa_kernarg_size 112
		.amdhsa_user_sgpr_count 6
		.amdhsa_user_sgpr_private_segment_buffer 1
		.amdhsa_user_sgpr_dispatch_ptr 0
		.amdhsa_user_sgpr_queue_ptr 0
		.amdhsa_user_sgpr_kernarg_segment_ptr 1
		.amdhsa_user_sgpr_dispatch_id 0
		.amdhsa_user_sgpr_flat_scratch_init 0
		.amdhsa_user_sgpr_kernarg_preload_length 0
		.amdhsa_user_sgpr_kernarg_preload_offset 0
		.amdhsa_user_sgpr_private_segment_size 0
		.amdhsa_uses_dynamic_stack 0
		.amdhsa_system_sgpr_private_segment_wavefront_offset 0
		.amdhsa_system_sgpr_workgroup_id_x 1
		.amdhsa_system_sgpr_workgroup_id_y 0
		.amdhsa_system_sgpr_workgroup_id_z 0
		.amdhsa_system_sgpr_workgroup_info 0
		.amdhsa_system_vgpr_workitem_id 0
		.amdhsa_next_free_vgpr 1
		.amdhsa_next_free_sgpr 0
		.amdhsa_accum_offset 4
		.amdhsa_reserve_vcc 0
		.amdhsa_reserve_flat_scratch 0
		.amdhsa_float_round_mode_32 0
		.amdhsa_float_round_mode_16_64 0
		.amdhsa_float_denorm_mode_32 3
		.amdhsa_float_denorm_mode_16_64 3
		.amdhsa_dx10_clamp 1
		.amdhsa_ieee_mode 1
		.amdhsa_fp16_overflow 0
		.amdhsa_tg_split 0
		.amdhsa_exception_fp_ieee_invalid_op 0
		.amdhsa_exception_fp_denorm_src 0
		.amdhsa_exception_fp_ieee_div_zero 0
		.amdhsa_exception_fp_ieee_overflow 0
		.amdhsa_exception_fp_ieee_underflow 0
		.amdhsa_exception_fp_ieee_inexact 0
		.amdhsa_exception_int_div_zero 0
	.end_amdhsa_kernel
	.section	.text._ZN7rocprim17ROCPRIM_400000_NS6detail17trampoline_kernelINS0_14default_configENS1_27scan_by_key_config_selectorIssEEZZNS1_16scan_by_key_implILNS1_25lookback_scan_determinismE0ELb1ES3_N6thrust23THRUST_200600_302600_NS6detail15normal_iteratorINS9_10device_ptrIsEEEESE_SE_sNS9_4plusIvEENS9_8equal_toIvEEsEE10hipError_tPvRmT2_T3_T4_T5_mT6_T7_P12ihipStream_tbENKUlT_T0_E_clISt17integral_constantIbLb0EESY_IbLb1EEEEDaSU_SV_EUlSU_E_NS1_11comp_targetILNS1_3genE9ELNS1_11target_archE1100ELNS1_3gpuE3ELNS1_3repE0EEENS1_30default_config_static_selectorELNS0_4arch9wavefront6targetE1EEEvT1_,"axG",@progbits,_ZN7rocprim17ROCPRIM_400000_NS6detail17trampoline_kernelINS0_14default_configENS1_27scan_by_key_config_selectorIssEEZZNS1_16scan_by_key_implILNS1_25lookback_scan_determinismE0ELb1ES3_N6thrust23THRUST_200600_302600_NS6detail15normal_iteratorINS9_10device_ptrIsEEEESE_SE_sNS9_4plusIvEENS9_8equal_toIvEEsEE10hipError_tPvRmT2_T3_T4_T5_mT6_T7_P12ihipStream_tbENKUlT_T0_E_clISt17integral_constantIbLb0EESY_IbLb1EEEEDaSU_SV_EUlSU_E_NS1_11comp_targetILNS1_3genE9ELNS1_11target_archE1100ELNS1_3gpuE3ELNS1_3repE0EEENS1_30default_config_static_selectorELNS0_4arch9wavefront6targetE1EEEvT1_,comdat
.Lfunc_end603:
	.size	_ZN7rocprim17ROCPRIM_400000_NS6detail17trampoline_kernelINS0_14default_configENS1_27scan_by_key_config_selectorIssEEZZNS1_16scan_by_key_implILNS1_25lookback_scan_determinismE0ELb1ES3_N6thrust23THRUST_200600_302600_NS6detail15normal_iteratorINS9_10device_ptrIsEEEESE_SE_sNS9_4plusIvEENS9_8equal_toIvEEsEE10hipError_tPvRmT2_T3_T4_T5_mT6_T7_P12ihipStream_tbENKUlT_T0_E_clISt17integral_constantIbLb0EESY_IbLb1EEEEDaSU_SV_EUlSU_E_NS1_11comp_targetILNS1_3genE9ELNS1_11target_archE1100ELNS1_3gpuE3ELNS1_3repE0EEENS1_30default_config_static_selectorELNS0_4arch9wavefront6targetE1EEEvT1_, .Lfunc_end603-_ZN7rocprim17ROCPRIM_400000_NS6detail17trampoline_kernelINS0_14default_configENS1_27scan_by_key_config_selectorIssEEZZNS1_16scan_by_key_implILNS1_25lookback_scan_determinismE0ELb1ES3_N6thrust23THRUST_200600_302600_NS6detail15normal_iteratorINS9_10device_ptrIsEEEESE_SE_sNS9_4plusIvEENS9_8equal_toIvEEsEE10hipError_tPvRmT2_T3_T4_T5_mT6_T7_P12ihipStream_tbENKUlT_T0_E_clISt17integral_constantIbLb0EESY_IbLb1EEEEDaSU_SV_EUlSU_E_NS1_11comp_targetILNS1_3genE9ELNS1_11target_archE1100ELNS1_3gpuE3ELNS1_3repE0EEENS1_30default_config_static_selectorELNS0_4arch9wavefront6targetE1EEEvT1_
                                        ; -- End function
	.section	.AMDGPU.csdata,"",@progbits
; Kernel info:
; codeLenInByte = 0
; NumSgprs: 4
; NumVgprs: 0
; NumAgprs: 0
; TotalNumVgprs: 0
; ScratchSize: 0
; MemoryBound: 0
; FloatMode: 240
; IeeeMode: 1
; LDSByteSize: 0 bytes/workgroup (compile time only)
; SGPRBlocks: 0
; VGPRBlocks: 0
; NumSGPRsForWavesPerEU: 4
; NumVGPRsForWavesPerEU: 1
; AccumOffset: 4
; Occupancy: 8
; WaveLimiterHint : 0
; COMPUTE_PGM_RSRC2:SCRATCH_EN: 0
; COMPUTE_PGM_RSRC2:USER_SGPR: 6
; COMPUTE_PGM_RSRC2:TRAP_HANDLER: 0
; COMPUTE_PGM_RSRC2:TGID_X_EN: 1
; COMPUTE_PGM_RSRC2:TGID_Y_EN: 0
; COMPUTE_PGM_RSRC2:TGID_Z_EN: 0
; COMPUTE_PGM_RSRC2:TIDIG_COMP_CNT: 0
; COMPUTE_PGM_RSRC3_GFX90A:ACCUM_OFFSET: 0
; COMPUTE_PGM_RSRC3_GFX90A:TG_SPLIT: 0
	.section	.text._ZN7rocprim17ROCPRIM_400000_NS6detail17trampoline_kernelINS0_14default_configENS1_27scan_by_key_config_selectorIssEEZZNS1_16scan_by_key_implILNS1_25lookback_scan_determinismE0ELb1ES3_N6thrust23THRUST_200600_302600_NS6detail15normal_iteratorINS9_10device_ptrIsEEEESE_SE_sNS9_4plusIvEENS9_8equal_toIvEEsEE10hipError_tPvRmT2_T3_T4_T5_mT6_T7_P12ihipStream_tbENKUlT_T0_E_clISt17integral_constantIbLb0EESY_IbLb1EEEEDaSU_SV_EUlSU_E_NS1_11comp_targetILNS1_3genE8ELNS1_11target_archE1030ELNS1_3gpuE2ELNS1_3repE0EEENS1_30default_config_static_selectorELNS0_4arch9wavefront6targetE1EEEvT1_,"axG",@progbits,_ZN7rocprim17ROCPRIM_400000_NS6detail17trampoline_kernelINS0_14default_configENS1_27scan_by_key_config_selectorIssEEZZNS1_16scan_by_key_implILNS1_25lookback_scan_determinismE0ELb1ES3_N6thrust23THRUST_200600_302600_NS6detail15normal_iteratorINS9_10device_ptrIsEEEESE_SE_sNS9_4plusIvEENS9_8equal_toIvEEsEE10hipError_tPvRmT2_T3_T4_T5_mT6_T7_P12ihipStream_tbENKUlT_T0_E_clISt17integral_constantIbLb0EESY_IbLb1EEEEDaSU_SV_EUlSU_E_NS1_11comp_targetILNS1_3genE8ELNS1_11target_archE1030ELNS1_3gpuE2ELNS1_3repE0EEENS1_30default_config_static_selectorELNS0_4arch9wavefront6targetE1EEEvT1_,comdat
	.protected	_ZN7rocprim17ROCPRIM_400000_NS6detail17trampoline_kernelINS0_14default_configENS1_27scan_by_key_config_selectorIssEEZZNS1_16scan_by_key_implILNS1_25lookback_scan_determinismE0ELb1ES3_N6thrust23THRUST_200600_302600_NS6detail15normal_iteratorINS9_10device_ptrIsEEEESE_SE_sNS9_4plusIvEENS9_8equal_toIvEEsEE10hipError_tPvRmT2_T3_T4_T5_mT6_T7_P12ihipStream_tbENKUlT_T0_E_clISt17integral_constantIbLb0EESY_IbLb1EEEEDaSU_SV_EUlSU_E_NS1_11comp_targetILNS1_3genE8ELNS1_11target_archE1030ELNS1_3gpuE2ELNS1_3repE0EEENS1_30default_config_static_selectorELNS0_4arch9wavefront6targetE1EEEvT1_ ; -- Begin function _ZN7rocprim17ROCPRIM_400000_NS6detail17trampoline_kernelINS0_14default_configENS1_27scan_by_key_config_selectorIssEEZZNS1_16scan_by_key_implILNS1_25lookback_scan_determinismE0ELb1ES3_N6thrust23THRUST_200600_302600_NS6detail15normal_iteratorINS9_10device_ptrIsEEEESE_SE_sNS9_4plusIvEENS9_8equal_toIvEEsEE10hipError_tPvRmT2_T3_T4_T5_mT6_T7_P12ihipStream_tbENKUlT_T0_E_clISt17integral_constantIbLb0EESY_IbLb1EEEEDaSU_SV_EUlSU_E_NS1_11comp_targetILNS1_3genE8ELNS1_11target_archE1030ELNS1_3gpuE2ELNS1_3repE0EEENS1_30default_config_static_selectorELNS0_4arch9wavefront6targetE1EEEvT1_
	.globl	_ZN7rocprim17ROCPRIM_400000_NS6detail17trampoline_kernelINS0_14default_configENS1_27scan_by_key_config_selectorIssEEZZNS1_16scan_by_key_implILNS1_25lookback_scan_determinismE0ELb1ES3_N6thrust23THRUST_200600_302600_NS6detail15normal_iteratorINS9_10device_ptrIsEEEESE_SE_sNS9_4plusIvEENS9_8equal_toIvEEsEE10hipError_tPvRmT2_T3_T4_T5_mT6_T7_P12ihipStream_tbENKUlT_T0_E_clISt17integral_constantIbLb0EESY_IbLb1EEEEDaSU_SV_EUlSU_E_NS1_11comp_targetILNS1_3genE8ELNS1_11target_archE1030ELNS1_3gpuE2ELNS1_3repE0EEENS1_30default_config_static_selectorELNS0_4arch9wavefront6targetE1EEEvT1_
	.p2align	8
	.type	_ZN7rocprim17ROCPRIM_400000_NS6detail17trampoline_kernelINS0_14default_configENS1_27scan_by_key_config_selectorIssEEZZNS1_16scan_by_key_implILNS1_25lookback_scan_determinismE0ELb1ES3_N6thrust23THRUST_200600_302600_NS6detail15normal_iteratorINS9_10device_ptrIsEEEESE_SE_sNS9_4plusIvEENS9_8equal_toIvEEsEE10hipError_tPvRmT2_T3_T4_T5_mT6_T7_P12ihipStream_tbENKUlT_T0_E_clISt17integral_constantIbLb0EESY_IbLb1EEEEDaSU_SV_EUlSU_E_NS1_11comp_targetILNS1_3genE8ELNS1_11target_archE1030ELNS1_3gpuE2ELNS1_3repE0EEENS1_30default_config_static_selectorELNS0_4arch9wavefront6targetE1EEEvT1_,@function
_ZN7rocprim17ROCPRIM_400000_NS6detail17trampoline_kernelINS0_14default_configENS1_27scan_by_key_config_selectorIssEEZZNS1_16scan_by_key_implILNS1_25lookback_scan_determinismE0ELb1ES3_N6thrust23THRUST_200600_302600_NS6detail15normal_iteratorINS9_10device_ptrIsEEEESE_SE_sNS9_4plusIvEENS9_8equal_toIvEEsEE10hipError_tPvRmT2_T3_T4_T5_mT6_T7_P12ihipStream_tbENKUlT_T0_E_clISt17integral_constantIbLb0EESY_IbLb1EEEEDaSU_SV_EUlSU_E_NS1_11comp_targetILNS1_3genE8ELNS1_11target_archE1030ELNS1_3gpuE2ELNS1_3repE0EEENS1_30default_config_static_selectorELNS0_4arch9wavefront6targetE1EEEvT1_: ; @_ZN7rocprim17ROCPRIM_400000_NS6detail17trampoline_kernelINS0_14default_configENS1_27scan_by_key_config_selectorIssEEZZNS1_16scan_by_key_implILNS1_25lookback_scan_determinismE0ELb1ES3_N6thrust23THRUST_200600_302600_NS6detail15normal_iteratorINS9_10device_ptrIsEEEESE_SE_sNS9_4plusIvEENS9_8equal_toIvEEsEE10hipError_tPvRmT2_T3_T4_T5_mT6_T7_P12ihipStream_tbENKUlT_T0_E_clISt17integral_constantIbLb0EESY_IbLb1EEEEDaSU_SV_EUlSU_E_NS1_11comp_targetILNS1_3genE8ELNS1_11target_archE1030ELNS1_3gpuE2ELNS1_3repE0EEENS1_30default_config_static_selectorELNS0_4arch9wavefront6targetE1EEEvT1_
; %bb.0:
	.section	.rodata,"a",@progbits
	.p2align	6, 0x0
	.amdhsa_kernel _ZN7rocprim17ROCPRIM_400000_NS6detail17trampoline_kernelINS0_14default_configENS1_27scan_by_key_config_selectorIssEEZZNS1_16scan_by_key_implILNS1_25lookback_scan_determinismE0ELb1ES3_N6thrust23THRUST_200600_302600_NS6detail15normal_iteratorINS9_10device_ptrIsEEEESE_SE_sNS9_4plusIvEENS9_8equal_toIvEEsEE10hipError_tPvRmT2_T3_T4_T5_mT6_T7_P12ihipStream_tbENKUlT_T0_E_clISt17integral_constantIbLb0EESY_IbLb1EEEEDaSU_SV_EUlSU_E_NS1_11comp_targetILNS1_3genE8ELNS1_11target_archE1030ELNS1_3gpuE2ELNS1_3repE0EEENS1_30default_config_static_selectorELNS0_4arch9wavefront6targetE1EEEvT1_
		.amdhsa_group_segment_fixed_size 0
		.amdhsa_private_segment_fixed_size 0
		.amdhsa_kernarg_size 112
		.amdhsa_user_sgpr_count 6
		.amdhsa_user_sgpr_private_segment_buffer 1
		.amdhsa_user_sgpr_dispatch_ptr 0
		.amdhsa_user_sgpr_queue_ptr 0
		.amdhsa_user_sgpr_kernarg_segment_ptr 1
		.amdhsa_user_sgpr_dispatch_id 0
		.amdhsa_user_sgpr_flat_scratch_init 0
		.amdhsa_user_sgpr_kernarg_preload_length 0
		.amdhsa_user_sgpr_kernarg_preload_offset 0
		.amdhsa_user_sgpr_private_segment_size 0
		.amdhsa_uses_dynamic_stack 0
		.amdhsa_system_sgpr_private_segment_wavefront_offset 0
		.amdhsa_system_sgpr_workgroup_id_x 1
		.amdhsa_system_sgpr_workgroup_id_y 0
		.amdhsa_system_sgpr_workgroup_id_z 0
		.amdhsa_system_sgpr_workgroup_info 0
		.amdhsa_system_vgpr_workitem_id 0
		.amdhsa_next_free_vgpr 1
		.amdhsa_next_free_sgpr 0
		.amdhsa_accum_offset 4
		.amdhsa_reserve_vcc 0
		.amdhsa_reserve_flat_scratch 0
		.amdhsa_float_round_mode_32 0
		.amdhsa_float_round_mode_16_64 0
		.amdhsa_float_denorm_mode_32 3
		.amdhsa_float_denorm_mode_16_64 3
		.amdhsa_dx10_clamp 1
		.amdhsa_ieee_mode 1
		.amdhsa_fp16_overflow 0
		.amdhsa_tg_split 0
		.amdhsa_exception_fp_ieee_invalid_op 0
		.amdhsa_exception_fp_denorm_src 0
		.amdhsa_exception_fp_ieee_div_zero 0
		.amdhsa_exception_fp_ieee_overflow 0
		.amdhsa_exception_fp_ieee_underflow 0
		.amdhsa_exception_fp_ieee_inexact 0
		.amdhsa_exception_int_div_zero 0
	.end_amdhsa_kernel
	.section	.text._ZN7rocprim17ROCPRIM_400000_NS6detail17trampoline_kernelINS0_14default_configENS1_27scan_by_key_config_selectorIssEEZZNS1_16scan_by_key_implILNS1_25lookback_scan_determinismE0ELb1ES3_N6thrust23THRUST_200600_302600_NS6detail15normal_iteratorINS9_10device_ptrIsEEEESE_SE_sNS9_4plusIvEENS9_8equal_toIvEEsEE10hipError_tPvRmT2_T3_T4_T5_mT6_T7_P12ihipStream_tbENKUlT_T0_E_clISt17integral_constantIbLb0EESY_IbLb1EEEEDaSU_SV_EUlSU_E_NS1_11comp_targetILNS1_3genE8ELNS1_11target_archE1030ELNS1_3gpuE2ELNS1_3repE0EEENS1_30default_config_static_selectorELNS0_4arch9wavefront6targetE1EEEvT1_,"axG",@progbits,_ZN7rocprim17ROCPRIM_400000_NS6detail17trampoline_kernelINS0_14default_configENS1_27scan_by_key_config_selectorIssEEZZNS1_16scan_by_key_implILNS1_25lookback_scan_determinismE0ELb1ES3_N6thrust23THRUST_200600_302600_NS6detail15normal_iteratorINS9_10device_ptrIsEEEESE_SE_sNS9_4plusIvEENS9_8equal_toIvEEsEE10hipError_tPvRmT2_T3_T4_T5_mT6_T7_P12ihipStream_tbENKUlT_T0_E_clISt17integral_constantIbLb0EESY_IbLb1EEEEDaSU_SV_EUlSU_E_NS1_11comp_targetILNS1_3genE8ELNS1_11target_archE1030ELNS1_3gpuE2ELNS1_3repE0EEENS1_30default_config_static_selectorELNS0_4arch9wavefront6targetE1EEEvT1_,comdat
.Lfunc_end604:
	.size	_ZN7rocprim17ROCPRIM_400000_NS6detail17trampoline_kernelINS0_14default_configENS1_27scan_by_key_config_selectorIssEEZZNS1_16scan_by_key_implILNS1_25lookback_scan_determinismE0ELb1ES3_N6thrust23THRUST_200600_302600_NS6detail15normal_iteratorINS9_10device_ptrIsEEEESE_SE_sNS9_4plusIvEENS9_8equal_toIvEEsEE10hipError_tPvRmT2_T3_T4_T5_mT6_T7_P12ihipStream_tbENKUlT_T0_E_clISt17integral_constantIbLb0EESY_IbLb1EEEEDaSU_SV_EUlSU_E_NS1_11comp_targetILNS1_3genE8ELNS1_11target_archE1030ELNS1_3gpuE2ELNS1_3repE0EEENS1_30default_config_static_selectorELNS0_4arch9wavefront6targetE1EEEvT1_, .Lfunc_end604-_ZN7rocprim17ROCPRIM_400000_NS6detail17trampoline_kernelINS0_14default_configENS1_27scan_by_key_config_selectorIssEEZZNS1_16scan_by_key_implILNS1_25lookback_scan_determinismE0ELb1ES3_N6thrust23THRUST_200600_302600_NS6detail15normal_iteratorINS9_10device_ptrIsEEEESE_SE_sNS9_4plusIvEENS9_8equal_toIvEEsEE10hipError_tPvRmT2_T3_T4_T5_mT6_T7_P12ihipStream_tbENKUlT_T0_E_clISt17integral_constantIbLb0EESY_IbLb1EEEEDaSU_SV_EUlSU_E_NS1_11comp_targetILNS1_3genE8ELNS1_11target_archE1030ELNS1_3gpuE2ELNS1_3repE0EEENS1_30default_config_static_selectorELNS0_4arch9wavefront6targetE1EEEvT1_
                                        ; -- End function
	.section	.AMDGPU.csdata,"",@progbits
; Kernel info:
; codeLenInByte = 0
; NumSgprs: 4
; NumVgprs: 0
; NumAgprs: 0
; TotalNumVgprs: 0
; ScratchSize: 0
; MemoryBound: 0
; FloatMode: 240
; IeeeMode: 1
; LDSByteSize: 0 bytes/workgroup (compile time only)
; SGPRBlocks: 0
; VGPRBlocks: 0
; NumSGPRsForWavesPerEU: 4
; NumVGPRsForWavesPerEU: 1
; AccumOffset: 4
; Occupancy: 8
; WaveLimiterHint : 0
; COMPUTE_PGM_RSRC2:SCRATCH_EN: 0
; COMPUTE_PGM_RSRC2:USER_SGPR: 6
; COMPUTE_PGM_RSRC2:TRAP_HANDLER: 0
; COMPUTE_PGM_RSRC2:TGID_X_EN: 1
; COMPUTE_PGM_RSRC2:TGID_Y_EN: 0
; COMPUTE_PGM_RSRC2:TGID_Z_EN: 0
; COMPUTE_PGM_RSRC2:TIDIG_COMP_CNT: 0
; COMPUTE_PGM_RSRC3_GFX90A:ACCUM_OFFSET: 0
; COMPUTE_PGM_RSRC3_GFX90A:TG_SPLIT: 0
	.section	.text._ZN7rocprim17ROCPRIM_400000_NS6detail17trampoline_kernelINS0_14default_configENS1_27scan_by_key_config_selectorIssEEZZNS1_16scan_by_key_implILNS1_25lookback_scan_determinismE0ELb1ES3_N6thrust23THRUST_200600_302600_NS6detail15normal_iteratorINS9_10device_ptrIsEEEESE_SE_sNS9_10multipliesIsEENS9_8equal_toIsEEsEE10hipError_tPvRmT2_T3_T4_T5_mT6_T7_P12ihipStream_tbENKUlT_T0_E_clISt17integral_constantIbLb0EESZ_EEDaSU_SV_EUlSU_E_NS1_11comp_targetILNS1_3genE0ELNS1_11target_archE4294967295ELNS1_3gpuE0ELNS1_3repE0EEENS1_30default_config_static_selectorELNS0_4arch9wavefront6targetE1EEEvT1_,"axG",@progbits,_ZN7rocprim17ROCPRIM_400000_NS6detail17trampoline_kernelINS0_14default_configENS1_27scan_by_key_config_selectorIssEEZZNS1_16scan_by_key_implILNS1_25lookback_scan_determinismE0ELb1ES3_N6thrust23THRUST_200600_302600_NS6detail15normal_iteratorINS9_10device_ptrIsEEEESE_SE_sNS9_10multipliesIsEENS9_8equal_toIsEEsEE10hipError_tPvRmT2_T3_T4_T5_mT6_T7_P12ihipStream_tbENKUlT_T0_E_clISt17integral_constantIbLb0EESZ_EEDaSU_SV_EUlSU_E_NS1_11comp_targetILNS1_3genE0ELNS1_11target_archE4294967295ELNS1_3gpuE0ELNS1_3repE0EEENS1_30default_config_static_selectorELNS0_4arch9wavefront6targetE1EEEvT1_,comdat
	.protected	_ZN7rocprim17ROCPRIM_400000_NS6detail17trampoline_kernelINS0_14default_configENS1_27scan_by_key_config_selectorIssEEZZNS1_16scan_by_key_implILNS1_25lookback_scan_determinismE0ELb1ES3_N6thrust23THRUST_200600_302600_NS6detail15normal_iteratorINS9_10device_ptrIsEEEESE_SE_sNS9_10multipliesIsEENS9_8equal_toIsEEsEE10hipError_tPvRmT2_T3_T4_T5_mT6_T7_P12ihipStream_tbENKUlT_T0_E_clISt17integral_constantIbLb0EESZ_EEDaSU_SV_EUlSU_E_NS1_11comp_targetILNS1_3genE0ELNS1_11target_archE4294967295ELNS1_3gpuE0ELNS1_3repE0EEENS1_30default_config_static_selectorELNS0_4arch9wavefront6targetE1EEEvT1_ ; -- Begin function _ZN7rocprim17ROCPRIM_400000_NS6detail17trampoline_kernelINS0_14default_configENS1_27scan_by_key_config_selectorIssEEZZNS1_16scan_by_key_implILNS1_25lookback_scan_determinismE0ELb1ES3_N6thrust23THRUST_200600_302600_NS6detail15normal_iteratorINS9_10device_ptrIsEEEESE_SE_sNS9_10multipliesIsEENS9_8equal_toIsEEsEE10hipError_tPvRmT2_T3_T4_T5_mT6_T7_P12ihipStream_tbENKUlT_T0_E_clISt17integral_constantIbLb0EESZ_EEDaSU_SV_EUlSU_E_NS1_11comp_targetILNS1_3genE0ELNS1_11target_archE4294967295ELNS1_3gpuE0ELNS1_3repE0EEENS1_30default_config_static_selectorELNS0_4arch9wavefront6targetE1EEEvT1_
	.globl	_ZN7rocprim17ROCPRIM_400000_NS6detail17trampoline_kernelINS0_14default_configENS1_27scan_by_key_config_selectorIssEEZZNS1_16scan_by_key_implILNS1_25lookback_scan_determinismE0ELb1ES3_N6thrust23THRUST_200600_302600_NS6detail15normal_iteratorINS9_10device_ptrIsEEEESE_SE_sNS9_10multipliesIsEENS9_8equal_toIsEEsEE10hipError_tPvRmT2_T3_T4_T5_mT6_T7_P12ihipStream_tbENKUlT_T0_E_clISt17integral_constantIbLb0EESZ_EEDaSU_SV_EUlSU_E_NS1_11comp_targetILNS1_3genE0ELNS1_11target_archE4294967295ELNS1_3gpuE0ELNS1_3repE0EEENS1_30default_config_static_selectorELNS0_4arch9wavefront6targetE1EEEvT1_
	.p2align	8
	.type	_ZN7rocprim17ROCPRIM_400000_NS6detail17trampoline_kernelINS0_14default_configENS1_27scan_by_key_config_selectorIssEEZZNS1_16scan_by_key_implILNS1_25lookback_scan_determinismE0ELb1ES3_N6thrust23THRUST_200600_302600_NS6detail15normal_iteratorINS9_10device_ptrIsEEEESE_SE_sNS9_10multipliesIsEENS9_8equal_toIsEEsEE10hipError_tPvRmT2_T3_T4_T5_mT6_T7_P12ihipStream_tbENKUlT_T0_E_clISt17integral_constantIbLb0EESZ_EEDaSU_SV_EUlSU_E_NS1_11comp_targetILNS1_3genE0ELNS1_11target_archE4294967295ELNS1_3gpuE0ELNS1_3repE0EEENS1_30default_config_static_selectorELNS0_4arch9wavefront6targetE1EEEvT1_,@function
_ZN7rocprim17ROCPRIM_400000_NS6detail17trampoline_kernelINS0_14default_configENS1_27scan_by_key_config_selectorIssEEZZNS1_16scan_by_key_implILNS1_25lookback_scan_determinismE0ELb1ES3_N6thrust23THRUST_200600_302600_NS6detail15normal_iteratorINS9_10device_ptrIsEEEESE_SE_sNS9_10multipliesIsEENS9_8equal_toIsEEsEE10hipError_tPvRmT2_T3_T4_T5_mT6_T7_P12ihipStream_tbENKUlT_T0_E_clISt17integral_constantIbLb0EESZ_EEDaSU_SV_EUlSU_E_NS1_11comp_targetILNS1_3genE0ELNS1_11target_archE4294967295ELNS1_3gpuE0ELNS1_3repE0EEENS1_30default_config_static_selectorELNS0_4arch9wavefront6targetE1EEEvT1_: ; @_ZN7rocprim17ROCPRIM_400000_NS6detail17trampoline_kernelINS0_14default_configENS1_27scan_by_key_config_selectorIssEEZZNS1_16scan_by_key_implILNS1_25lookback_scan_determinismE0ELb1ES3_N6thrust23THRUST_200600_302600_NS6detail15normal_iteratorINS9_10device_ptrIsEEEESE_SE_sNS9_10multipliesIsEENS9_8equal_toIsEEsEE10hipError_tPvRmT2_T3_T4_T5_mT6_T7_P12ihipStream_tbENKUlT_T0_E_clISt17integral_constantIbLb0EESZ_EEDaSU_SV_EUlSU_E_NS1_11comp_targetILNS1_3genE0ELNS1_11target_archE4294967295ELNS1_3gpuE0ELNS1_3repE0EEENS1_30default_config_static_selectorELNS0_4arch9wavefront6targetE1EEEvT1_
; %bb.0:
	.section	.rodata,"a",@progbits
	.p2align	6, 0x0
	.amdhsa_kernel _ZN7rocprim17ROCPRIM_400000_NS6detail17trampoline_kernelINS0_14default_configENS1_27scan_by_key_config_selectorIssEEZZNS1_16scan_by_key_implILNS1_25lookback_scan_determinismE0ELb1ES3_N6thrust23THRUST_200600_302600_NS6detail15normal_iteratorINS9_10device_ptrIsEEEESE_SE_sNS9_10multipliesIsEENS9_8equal_toIsEEsEE10hipError_tPvRmT2_T3_T4_T5_mT6_T7_P12ihipStream_tbENKUlT_T0_E_clISt17integral_constantIbLb0EESZ_EEDaSU_SV_EUlSU_E_NS1_11comp_targetILNS1_3genE0ELNS1_11target_archE4294967295ELNS1_3gpuE0ELNS1_3repE0EEENS1_30default_config_static_selectorELNS0_4arch9wavefront6targetE1EEEvT1_
		.amdhsa_group_segment_fixed_size 0
		.amdhsa_private_segment_fixed_size 0
		.amdhsa_kernarg_size 112
		.amdhsa_user_sgpr_count 6
		.amdhsa_user_sgpr_private_segment_buffer 1
		.amdhsa_user_sgpr_dispatch_ptr 0
		.amdhsa_user_sgpr_queue_ptr 0
		.amdhsa_user_sgpr_kernarg_segment_ptr 1
		.amdhsa_user_sgpr_dispatch_id 0
		.amdhsa_user_sgpr_flat_scratch_init 0
		.amdhsa_user_sgpr_kernarg_preload_length 0
		.amdhsa_user_sgpr_kernarg_preload_offset 0
		.amdhsa_user_sgpr_private_segment_size 0
		.amdhsa_uses_dynamic_stack 0
		.amdhsa_system_sgpr_private_segment_wavefront_offset 0
		.amdhsa_system_sgpr_workgroup_id_x 1
		.amdhsa_system_sgpr_workgroup_id_y 0
		.amdhsa_system_sgpr_workgroup_id_z 0
		.amdhsa_system_sgpr_workgroup_info 0
		.amdhsa_system_vgpr_workitem_id 0
		.amdhsa_next_free_vgpr 1
		.amdhsa_next_free_sgpr 0
		.amdhsa_accum_offset 4
		.amdhsa_reserve_vcc 0
		.amdhsa_reserve_flat_scratch 0
		.amdhsa_float_round_mode_32 0
		.amdhsa_float_round_mode_16_64 0
		.amdhsa_float_denorm_mode_32 3
		.amdhsa_float_denorm_mode_16_64 3
		.amdhsa_dx10_clamp 1
		.amdhsa_ieee_mode 1
		.amdhsa_fp16_overflow 0
		.amdhsa_tg_split 0
		.amdhsa_exception_fp_ieee_invalid_op 0
		.amdhsa_exception_fp_denorm_src 0
		.amdhsa_exception_fp_ieee_div_zero 0
		.amdhsa_exception_fp_ieee_overflow 0
		.amdhsa_exception_fp_ieee_underflow 0
		.amdhsa_exception_fp_ieee_inexact 0
		.amdhsa_exception_int_div_zero 0
	.end_amdhsa_kernel
	.section	.text._ZN7rocprim17ROCPRIM_400000_NS6detail17trampoline_kernelINS0_14default_configENS1_27scan_by_key_config_selectorIssEEZZNS1_16scan_by_key_implILNS1_25lookback_scan_determinismE0ELb1ES3_N6thrust23THRUST_200600_302600_NS6detail15normal_iteratorINS9_10device_ptrIsEEEESE_SE_sNS9_10multipliesIsEENS9_8equal_toIsEEsEE10hipError_tPvRmT2_T3_T4_T5_mT6_T7_P12ihipStream_tbENKUlT_T0_E_clISt17integral_constantIbLb0EESZ_EEDaSU_SV_EUlSU_E_NS1_11comp_targetILNS1_3genE0ELNS1_11target_archE4294967295ELNS1_3gpuE0ELNS1_3repE0EEENS1_30default_config_static_selectorELNS0_4arch9wavefront6targetE1EEEvT1_,"axG",@progbits,_ZN7rocprim17ROCPRIM_400000_NS6detail17trampoline_kernelINS0_14default_configENS1_27scan_by_key_config_selectorIssEEZZNS1_16scan_by_key_implILNS1_25lookback_scan_determinismE0ELb1ES3_N6thrust23THRUST_200600_302600_NS6detail15normal_iteratorINS9_10device_ptrIsEEEESE_SE_sNS9_10multipliesIsEENS9_8equal_toIsEEsEE10hipError_tPvRmT2_T3_T4_T5_mT6_T7_P12ihipStream_tbENKUlT_T0_E_clISt17integral_constantIbLb0EESZ_EEDaSU_SV_EUlSU_E_NS1_11comp_targetILNS1_3genE0ELNS1_11target_archE4294967295ELNS1_3gpuE0ELNS1_3repE0EEENS1_30default_config_static_selectorELNS0_4arch9wavefront6targetE1EEEvT1_,comdat
.Lfunc_end605:
	.size	_ZN7rocprim17ROCPRIM_400000_NS6detail17trampoline_kernelINS0_14default_configENS1_27scan_by_key_config_selectorIssEEZZNS1_16scan_by_key_implILNS1_25lookback_scan_determinismE0ELb1ES3_N6thrust23THRUST_200600_302600_NS6detail15normal_iteratorINS9_10device_ptrIsEEEESE_SE_sNS9_10multipliesIsEENS9_8equal_toIsEEsEE10hipError_tPvRmT2_T3_T4_T5_mT6_T7_P12ihipStream_tbENKUlT_T0_E_clISt17integral_constantIbLb0EESZ_EEDaSU_SV_EUlSU_E_NS1_11comp_targetILNS1_3genE0ELNS1_11target_archE4294967295ELNS1_3gpuE0ELNS1_3repE0EEENS1_30default_config_static_selectorELNS0_4arch9wavefront6targetE1EEEvT1_, .Lfunc_end605-_ZN7rocprim17ROCPRIM_400000_NS6detail17trampoline_kernelINS0_14default_configENS1_27scan_by_key_config_selectorIssEEZZNS1_16scan_by_key_implILNS1_25lookback_scan_determinismE0ELb1ES3_N6thrust23THRUST_200600_302600_NS6detail15normal_iteratorINS9_10device_ptrIsEEEESE_SE_sNS9_10multipliesIsEENS9_8equal_toIsEEsEE10hipError_tPvRmT2_T3_T4_T5_mT6_T7_P12ihipStream_tbENKUlT_T0_E_clISt17integral_constantIbLb0EESZ_EEDaSU_SV_EUlSU_E_NS1_11comp_targetILNS1_3genE0ELNS1_11target_archE4294967295ELNS1_3gpuE0ELNS1_3repE0EEENS1_30default_config_static_selectorELNS0_4arch9wavefront6targetE1EEEvT1_
                                        ; -- End function
	.section	.AMDGPU.csdata,"",@progbits
; Kernel info:
; codeLenInByte = 0
; NumSgprs: 4
; NumVgprs: 0
; NumAgprs: 0
; TotalNumVgprs: 0
; ScratchSize: 0
; MemoryBound: 0
; FloatMode: 240
; IeeeMode: 1
; LDSByteSize: 0 bytes/workgroup (compile time only)
; SGPRBlocks: 0
; VGPRBlocks: 0
; NumSGPRsForWavesPerEU: 4
; NumVGPRsForWavesPerEU: 1
; AccumOffset: 4
; Occupancy: 8
; WaveLimiterHint : 0
; COMPUTE_PGM_RSRC2:SCRATCH_EN: 0
; COMPUTE_PGM_RSRC2:USER_SGPR: 6
; COMPUTE_PGM_RSRC2:TRAP_HANDLER: 0
; COMPUTE_PGM_RSRC2:TGID_X_EN: 1
; COMPUTE_PGM_RSRC2:TGID_Y_EN: 0
; COMPUTE_PGM_RSRC2:TGID_Z_EN: 0
; COMPUTE_PGM_RSRC2:TIDIG_COMP_CNT: 0
; COMPUTE_PGM_RSRC3_GFX90A:ACCUM_OFFSET: 0
; COMPUTE_PGM_RSRC3_GFX90A:TG_SPLIT: 0
	.section	.text._ZN7rocprim17ROCPRIM_400000_NS6detail17trampoline_kernelINS0_14default_configENS1_27scan_by_key_config_selectorIssEEZZNS1_16scan_by_key_implILNS1_25lookback_scan_determinismE0ELb1ES3_N6thrust23THRUST_200600_302600_NS6detail15normal_iteratorINS9_10device_ptrIsEEEESE_SE_sNS9_10multipliesIsEENS9_8equal_toIsEEsEE10hipError_tPvRmT2_T3_T4_T5_mT6_T7_P12ihipStream_tbENKUlT_T0_E_clISt17integral_constantIbLb0EESZ_EEDaSU_SV_EUlSU_E_NS1_11comp_targetILNS1_3genE10ELNS1_11target_archE1201ELNS1_3gpuE5ELNS1_3repE0EEENS1_30default_config_static_selectorELNS0_4arch9wavefront6targetE1EEEvT1_,"axG",@progbits,_ZN7rocprim17ROCPRIM_400000_NS6detail17trampoline_kernelINS0_14default_configENS1_27scan_by_key_config_selectorIssEEZZNS1_16scan_by_key_implILNS1_25lookback_scan_determinismE0ELb1ES3_N6thrust23THRUST_200600_302600_NS6detail15normal_iteratorINS9_10device_ptrIsEEEESE_SE_sNS9_10multipliesIsEENS9_8equal_toIsEEsEE10hipError_tPvRmT2_T3_T4_T5_mT6_T7_P12ihipStream_tbENKUlT_T0_E_clISt17integral_constantIbLb0EESZ_EEDaSU_SV_EUlSU_E_NS1_11comp_targetILNS1_3genE10ELNS1_11target_archE1201ELNS1_3gpuE5ELNS1_3repE0EEENS1_30default_config_static_selectorELNS0_4arch9wavefront6targetE1EEEvT1_,comdat
	.protected	_ZN7rocprim17ROCPRIM_400000_NS6detail17trampoline_kernelINS0_14default_configENS1_27scan_by_key_config_selectorIssEEZZNS1_16scan_by_key_implILNS1_25lookback_scan_determinismE0ELb1ES3_N6thrust23THRUST_200600_302600_NS6detail15normal_iteratorINS9_10device_ptrIsEEEESE_SE_sNS9_10multipliesIsEENS9_8equal_toIsEEsEE10hipError_tPvRmT2_T3_T4_T5_mT6_T7_P12ihipStream_tbENKUlT_T0_E_clISt17integral_constantIbLb0EESZ_EEDaSU_SV_EUlSU_E_NS1_11comp_targetILNS1_3genE10ELNS1_11target_archE1201ELNS1_3gpuE5ELNS1_3repE0EEENS1_30default_config_static_selectorELNS0_4arch9wavefront6targetE1EEEvT1_ ; -- Begin function _ZN7rocprim17ROCPRIM_400000_NS6detail17trampoline_kernelINS0_14default_configENS1_27scan_by_key_config_selectorIssEEZZNS1_16scan_by_key_implILNS1_25lookback_scan_determinismE0ELb1ES3_N6thrust23THRUST_200600_302600_NS6detail15normal_iteratorINS9_10device_ptrIsEEEESE_SE_sNS9_10multipliesIsEENS9_8equal_toIsEEsEE10hipError_tPvRmT2_T3_T4_T5_mT6_T7_P12ihipStream_tbENKUlT_T0_E_clISt17integral_constantIbLb0EESZ_EEDaSU_SV_EUlSU_E_NS1_11comp_targetILNS1_3genE10ELNS1_11target_archE1201ELNS1_3gpuE5ELNS1_3repE0EEENS1_30default_config_static_selectorELNS0_4arch9wavefront6targetE1EEEvT1_
	.globl	_ZN7rocprim17ROCPRIM_400000_NS6detail17trampoline_kernelINS0_14default_configENS1_27scan_by_key_config_selectorIssEEZZNS1_16scan_by_key_implILNS1_25lookback_scan_determinismE0ELb1ES3_N6thrust23THRUST_200600_302600_NS6detail15normal_iteratorINS9_10device_ptrIsEEEESE_SE_sNS9_10multipliesIsEENS9_8equal_toIsEEsEE10hipError_tPvRmT2_T3_T4_T5_mT6_T7_P12ihipStream_tbENKUlT_T0_E_clISt17integral_constantIbLb0EESZ_EEDaSU_SV_EUlSU_E_NS1_11comp_targetILNS1_3genE10ELNS1_11target_archE1201ELNS1_3gpuE5ELNS1_3repE0EEENS1_30default_config_static_selectorELNS0_4arch9wavefront6targetE1EEEvT1_
	.p2align	8
	.type	_ZN7rocprim17ROCPRIM_400000_NS6detail17trampoline_kernelINS0_14default_configENS1_27scan_by_key_config_selectorIssEEZZNS1_16scan_by_key_implILNS1_25lookback_scan_determinismE0ELb1ES3_N6thrust23THRUST_200600_302600_NS6detail15normal_iteratorINS9_10device_ptrIsEEEESE_SE_sNS9_10multipliesIsEENS9_8equal_toIsEEsEE10hipError_tPvRmT2_T3_T4_T5_mT6_T7_P12ihipStream_tbENKUlT_T0_E_clISt17integral_constantIbLb0EESZ_EEDaSU_SV_EUlSU_E_NS1_11comp_targetILNS1_3genE10ELNS1_11target_archE1201ELNS1_3gpuE5ELNS1_3repE0EEENS1_30default_config_static_selectorELNS0_4arch9wavefront6targetE1EEEvT1_,@function
_ZN7rocprim17ROCPRIM_400000_NS6detail17trampoline_kernelINS0_14default_configENS1_27scan_by_key_config_selectorIssEEZZNS1_16scan_by_key_implILNS1_25lookback_scan_determinismE0ELb1ES3_N6thrust23THRUST_200600_302600_NS6detail15normal_iteratorINS9_10device_ptrIsEEEESE_SE_sNS9_10multipliesIsEENS9_8equal_toIsEEsEE10hipError_tPvRmT2_T3_T4_T5_mT6_T7_P12ihipStream_tbENKUlT_T0_E_clISt17integral_constantIbLb0EESZ_EEDaSU_SV_EUlSU_E_NS1_11comp_targetILNS1_3genE10ELNS1_11target_archE1201ELNS1_3gpuE5ELNS1_3repE0EEENS1_30default_config_static_selectorELNS0_4arch9wavefront6targetE1EEEvT1_: ; @_ZN7rocprim17ROCPRIM_400000_NS6detail17trampoline_kernelINS0_14default_configENS1_27scan_by_key_config_selectorIssEEZZNS1_16scan_by_key_implILNS1_25lookback_scan_determinismE0ELb1ES3_N6thrust23THRUST_200600_302600_NS6detail15normal_iteratorINS9_10device_ptrIsEEEESE_SE_sNS9_10multipliesIsEENS9_8equal_toIsEEsEE10hipError_tPvRmT2_T3_T4_T5_mT6_T7_P12ihipStream_tbENKUlT_T0_E_clISt17integral_constantIbLb0EESZ_EEDaSU_SV_EUlSU_E_NS1_11comp_targetILNS1_3genE10ELNS1_11target_archE1201ELNS1_3gpuE5ELNS1_3repE0EEENS1_30default_config_static_selectorELNS0_4arch9wavefront6targetE1EEEvT1_
; %bb.0:
	.section	.rodata,"a",@progbits
	.p2align	6, 0x0
	.amdhsa_kernel _ZN7rocprim17ROCPRIM_400000_NS6detail17trampoline_kernelINS0_14default_configENS1_27scan_by_key_config_selectorIssEEZZNS1_16scan_by_key_implILNS1_25lookback_scan_determinismE0ELb1ES3_N6thrust23THRUST_200600_302600_NS6detail15normal_iteratorINS9_10device_ptrIsEEEESE_SE_sNS9_10multipliesIsEENS9_8equal_toIsEEsEE10hipError_tPvRmT2_T3_T4_T5_mT6_T7_P12ihipStream_tbENKUlT_T0_E_clISt17integral_constantIbLb0EESZ_EEDaSU_SV_EUlSU_E_NS1_11comp_targetILNS1_3genE10ELNS1_11target_archE1201ELNS1_3gpuE5ELNS1_3repE0EEENS1_30default_config_static_selectorELNS0_4arch9wavefront6targetE1EEEvT1_
		.amdhsa_group_segment_fixed_size 0
		.amdhsa_private_segment_fixed_size 0
		.amdhsa_kernarg_size 112
		.amdhsa_user_sgpr_count 6
		.amdhsa_user_sgpr_private_segment_buffer 1
		.amdhsa_user_sgpr_dispatch_ptr 0
		.amdhsa_user_sgpr_queue_ptr 0
		.amdhsa_user_sgpr_kernarg_segment_ptr 1
		.amdhsa_user_sgpr_dispatch_id 0
		.amdhsa_user_sgpr_flat_scratch_init 0
		.amdhsa_user_sgpr_kernarg_preload_length 0
		.amdhsa_user_sgpr_kernarg_preload_offset 0
		.amdhsa_user_sgpr_private_segment_size 0
		.amdhsa_uses_dynamic_stack 0
		.amdhsa_system_sgpr_private_segment_wavefront_offset 0
		.amdhsa_system_sgpr_workgroup_id_x 1
		.amdhsa_system_sgpr_workgroup_id_y 0
		.amdhsa_system_sgpr_workgroup_id_z 0
		.amdhsa_system_sgpr_workgroup_info 0
		.amdhsa_system_vgpr_workitem_id 0
		.amdhsa_next_free_vgpr 1
		.amdhsa_next_free_sgpr 0
		.amdhsa_accum_offset 4
		.amdhsa_reserve_vcc 0
		.amdhsa_reserve_flat_scratch 0
		.amdhsa_float_round_mode_32 0
		.amdhsa_float_round_mode_16_64 0
		.amdhsa_float_denorm_mode_32 3
		.amdhsa_float_denorm_mode_16_64 3
		.amdhsa_dx10_clamp 1
		.amdhsa_ieee_mode 1
		.amdhsa_fp16_overflow 0
		.amdhsa_tg_split 0
		.amdhsa_exception_fp_ieee_invalid_op 0
		.amdhsa_exception_fp_denorm_src 0
		.amdhsa_exception_fp_ieee_div_zero 0
		.amdhsa_exception_fp_ieee_overflow 0
		.amdhsa_exception_fp_ieee_underflow 0
		.amdhsa_exception_fp_ieee_inexact 0
		.amdhsa_exception_int_div_zero 0
	.end_amdhsa_kernel
	.section	.text._ZN7rocprim17ROCPRIM_400000_NS6detail17trampoline_kernelINS0_14default_configENS1_27scan_by_key_config_selectorIssEEZZNS1_16scan_by_key_implILNS1_25lookback_scan_determinismE0ELb1ES3_N6thrust23THRUST_200600_302600_NS6detail15normal_iteratorINS9_10device_ptrIsEEEESE_SE_sNS9_10multipliesIsEENS9_8equal_toIsEEsEE10hipError_tPvRmT2_T3_T4_T5_mT6_T7_P12ihipStream_tbENKUlT_T0_E_clISt17integral_constantIbLb0EESZ_EEDaSU_SV_EUlSU_E_NS1_11comp_targetILNS1_3genE10ELNS1_11target_archE1201ELNS1_3gpuE5ELNS1_3repE0EEENS1_30default_config_static_selectorELNS0_4arch9wavefront6targetE1EEEvT1_,"axG",@progbits,_ZN7rocprim17ROCPRIM_400000_NS6detail17trampoline_kernelINS0_14default_configENS1_27scan_by_key_config_selectorIssEEZZNS1_16scan_by_key_implILNS1_25lookback_scan_determinismE0ELb1ES3_N6thrust23THRUST_200600_302600_NS6detail15normal_iteratorINS9_10device_ptrIsEEEESE_SE_sNS9_10multipliesIsEENS9_8equal_toIsEEsEE10hipError_tPvRmT2_T3_T4_T5_mT6_T7_P12ihipStream_tbENKUlT_T0_E_clISt17integral_constantIbLb0EESZ_EEDaSU_SV_EUlSU_E_NS1_11comp_targetILNS1_3genE10ELNS1_11target_archE1201ELNS1_3gpuE5ELNS1_3repE0EEENS1_30default_config_static_selectorELNS0_4arch9wavefront6targetE1EEEvT1_,comdat
.Lfunc_end606:
	.size	_ZN7rocprim17ROCPRIM_400000_NS6detail17trampoline_kernelINS0_14default_configENS1_27scan_by_key_config_selectorIssEEZZNS1_16scan_by_key_implILNS1_25lookback_scan_determinismE0ELb1ES3_N6thrust23THRUST_200600_302600_NS6detail15normal_iteratorINS9_10device_ptrIsEEEESE_SE_sNS9_10multipliesIsEENS9_8equal_toIsEEsEE10hipError_tPvRmT2_T3_T4_T5_mT6_T7_P12ihipStream_tbENKUlT_T0_E_clISt17integral_constantIbLb0EESZ_EEDaSU_SV_EUlSU_E_NS1_11comp_targetILNS1_3genE10ELNS1_11target_archE1201ELNS1_3gpuE5ELNS1_3repE0EEENS1_30default_config_static_selectorELNS0_4arch9wavefront6targetE1EEEvT1_, .Lfunc_end606-_ZN7rocprim17ROCPRIM_400000_NS6detail17trampoline_kernelINS0_14default_configENS1_27scan_by_key_config_selectorIssEEZZNS1_16scan_by_key_implILNS1_25lookback_scan_determinismE0ELb1ES3_N6thrust23THRUST_200600_302600_NS6detail15normal_iteratorINS9_10device_ptrIsEEEESE_SE_sNS9_10multipliesIsEENS9_8equal_toIsEEsEE10hipError_tPvRmT2_T3_T4_T5_mT6_T7_P12ihipStream_tbENKUlT_T0_E_clISt17integral_constantIbLb0EESZ_EEDaSU_SV_EUlSU_E_NS1_11comp_targetILNS1_3genE10ELNS1_11target_archE1201ELNS1_3gpuE5ELNS1_3repE0EEENS1_30default_config_static_selectorELNS0_4arch9wavefront6targetE1EEEvT1_
                                        ; -- End function
	.section	.AMDGPU.csdata,"",@progbits
; Kernel info:
; codeLenInByte = 0
; NumSgprs: 4
; NumVgprs: 0
; NumAgprs: 0
; TotalNumVgprs: 0
; ScratchSize: 0
; MemoryBound: 0
; FloatMode: 240
; IeeeMode: 1
; LDSByteSize: 0 bytes/workgroup (compile time only)
; SGPRBlocks: 0
; VGPRBlocks: 0
; NumSGPRsForWavesPerEU: 4
; NumVGPRsForWavesPerEU: 1
; AccumOffset: 4
; Occupancy: 8
; WaveLimiterHint : 0
; COMPUTE_PGM_RSRC2:SCRATCH_EN: 0
; COMPUTE_PGM_RSRC2:USER_SGPR: 6
; COMPUTE_PGM_RSRC2:TRAP_HANDLER: 0
; COMPUTE_PGM_RSRC2:TGID_X_EN: 1
; COMPUTE_PGM_RSRC2:TGID_Y_EN: 0
; COMPUTE_PGM_RSRC2:TGID_Z_EN: 0
; COMPUTE_PGM_RSRC2:TIDIG_COMP_CNT: 0
; COMPUTE_PGM_RSRC3_GFX90A:ACCUM_OFFSET: 0
; COMPUTE_PGM_RSRC3_GFX90A:TG_SPLIT: 0
	.section	.text._ZN7rocprim17ROCPRIM_400000_NS6detail17trampoline_kernelINS0_14default_configENS1_27scan_by_key_config_selectorIssEEZZNS1_16scan_by_key_implILNS1_25lookback_scan_determinismE0ELb1ES3_N6thrust23THRUST_200600_302600_NS6detail15normal_iteratorINS9_10device_ptrIsEEEESE_SE_sNS9_10multipliesIsEENS9_8equal_toIsEEsEE10hipError_tPvRmT2_T3_T4_T5_mT6_T7_P12ihipStream_tbENKUlT_T0_E_clISt17integral_constantIbLb0EESZ_EEDaSU_SV_EUlSU_E_NS1_11comp_targetILNS1_3genE5ELNS1_11target_archE942ELNS1_3gpuE9ELNS1_3repE0EEENS1_30default_config_static_selectorELNS0_4arch9wavefront6targetE1EEEvT1_,"axG",@progbits,_ZN7rocprim17ROCPRIM_400000_NS6detail17trampoline_kernelINS0_14default_configENS1_27scan_by_key_config_selectorIssEEZZNS1_16scan_by_key_implILNS1_25lookback_scan_determinismE0ELb1ES3_N6thrust23THRUST_200600_302600_NS6detail15normal_iteratorINS9_10device_ptrIsEEEESE_SE_sNS9_10multipliesIsEENS9_8equal_toIsEEsEE10hipError_tPvRmT2_T3_T4_T5_mT6_T7_P12ihipStream_tbENKUlT_T0_E_clISt17integral_constantIbLb0EESZ_EEDaSU_SV_EUlSU_E_NS1_11comp_targetILNS1_3genE5ELNS1_11target_archE942ELNS1_3gpuE9ELNS1_3repE0EEENS1_30default_config_static_selectorELNS0_4arch9wavefront6targetE1EEEvT1_,comdat
	.protected	_ZN7rocprim17ROCPRIM_400000_NS6detail17trampoline_kernelINS0_14default_configENS1_27scan_by_key_config_selectorIssEEZZNS1_16scan_by_key_implILNS1_25lookback_scan_determinismE0ELb1ES3_N6thrust23THRUST_200600_302600_NS6detail15normal_iteratorINS9_10device_ptrIsEEEESE_SE_sNS9_10multipliesIsEENS9_8equal_toIsEEsEE10hipError_tPvRmT2_T3_T4_T5_mT6_T7_P12ihipStream_tbENKUlT_T0_E_clISt17integral_constantIbLb0EESZ_EEDaSU_SV_EUlSU_E_NS1_11comp_targetILNS1_3genE5ELNS1_11target_archE942ELNS1_3gpuE9ELNS1_3repE0EEENS1_30default_config_static_selectorELNS0_4arch9wavefront6targetE1EEEvT1_ ; -- Begin function _ZN7rocprim17ROCPRIM_400000_NS6detail17trampoline_kernelINS0_14default_configENS1_27scan_by_key_config_selectorIssEEZZNS1_16scan_by_key_implILNS1_25lookback_scan_determinismE0ELb1ES3_N6thrust23THRUST_200600_302600_NS6detail15normal_iteratorINS9_10device_ptrIsEEEESE_SE_sNS9_10multipliesIsEENS9_8equal_toIsEEsEE10hipError_tPvRmT2_T3_T4_T5_mT6_T7_P12ihipStream_tbENKUlT_T0_E_clISt17integral_constantIbLb0EESZ_EEDaSU_SV_EUlSU_E_NS1_11comp_targetILNS1_3genE5ELNS1_11target_archE942ELNS1_3gpuE9ELNS1_3repE0EEENS1_30default_config_static_selectorELNS0_4arch9wavefront6targetE1EEEvT1_
	.globl	_ZN7rocprim17ROCPRIM_400000_NS6detail17trampoline_kernelINS0_14default_configENS1_27scan_by_key_config_selectorIssEEZZNS1_16scan_by_key_implILNS1_25lookback_scan_determinismE0ELb1ES3_N6thrust23THRUST_200600_302600_NS6detail15normal_iteratorINS9_10device_ptrIsEEEESE_SE_sNS9_10multipliesIsEENS9_8equal_toIsEEsEE10hipError_tPvRmT2_T3_T4_T5_mT6_T7_P12ihipStream_tbENKUlT_T0_E_clISt17integral_constantIbLb0EESZ_EEDaSU_SV_EUlSU_E_NS1_11comp_targetILNS1_3genE5ELNS1_11target_archE942ELNS1_3gpuE9ELNS1_3repE0EEENS1_30default_config_static_selectorELNS0_4arch9wavefront6targetE1EEEvT1_
	.p2align	8
	.type	_ZN7rocprim17ROCPRIM_400000_NS6detail17trampoline_kernelINS0_14default_configENS1_27scan_by_key_config_selectorIssEEZZNS1_16scan_by_key_implILNS1_25lookback_scan_determinismE0ELb1ES3_N6thrust23THRUST_200600_302600_NS6detail15normal_iteratorINS9_10device_ptrIsEEEESE_SE_sNS9_10multipliesIsEENS9_8equal_toIsEEsEE10hipError_tPvRmT2_T3_T4_T5_mT6_T7_P12ihipStream_tbENKUlT_T0_E_clISt17integral_constantIbLb0EESZ_EEDaSU_SV_EUlSU_E_NS1_11comp_targetILNS1_3genE5ELNS1_11target_archE942ELNS1_3gpuE9ELNS1_3repE0EEENS1_30default_config_static_selectorELNS0_4arch9wavefront6targetE1EEEvT1_,@function
_ZN7rocprim17ROCPRIM_400000_NS6detail17trampoline_kernelINS0_14default_configENS1_27scan_by_key_config_selectorIssEEZZNS1_16scan_by_key_implILNS1_25lookback_scan_determinismE0ELb1ES3_N6thrust23THRUST_200600_302600_NS6detail15normal_iteratorINS9_10device_ptrIsEEEESE_SE_sNS9_10multipliesIsEENS9_8equal_toIsEEsEE10hipError_tPvRmT2_T3_T4_T5_mT6_T7_P12ihipStream_tbENKUlT_T0_E_clISt17integral_constantIbLb0EESZ_EEDaSU_SV_EUlSU_E_NS1_11comp_targetILNS1_3genE5ELNS1_11target_archE942ELNS1_3gpuE9ELNS1_3repE0EEENS1_30default_config_static_selectorELNS0_4arch9wavefront6targetE1EEEvT1_: ; @_ZN7rocprim17ROCPRIM_400000_NS6detail17trampoline_kernelINS0_14default_configENS1_27scan_by_key_config_selectorIssEEZZNS1_16scan_by_key_implILNS1_25lookback_scan_determinismE0ELb1ES3_N6thrust23THRUST_200600_302600_NS6detail15normal_iteratorINS9_10device_ptrIsEEEESE_SE_sNS9_10multipliesIsEENS9_8equal_toIsEEsEE10hipError_tPvRmT2_T3_T4_T5_mT6_T7_P12ihipStream_tbENKUlT_T0_E_clISt17integral_constantIbLb0EESZ_EEDaSU_SV_EUlSU_E_NS1_11comp_targetILNS1_3genE5ELNS1_11target_archE942ELNS1_3gpuE9ELNS1_3repE0EEENS1_30default_config_static_selectorELNS0_4arch9wavefront6targetE1EEEvT1_
; %bb.0:
	.section	.rodata,"a",@progbits
	.p2align	6, 0x0
	.amdhsa_kernel _ZN7rocprim17ROCPRIM_400000_NS6detail17trampoline_kernelINS0_14default_configENS1_27scan_by_key_config_selectorIssEEZZNS1_16scan_by_key_implILNS1_25lookback_scan_determinismE0ELb1ES3_N6thrust23THRUST_200600_302600_NS6detail15normal_iteratorINS9_10device_ptrIsEEEESE_SE_sNS9_10multipliesIsEENS9_8equal_toIsEEsEE10hipError_tPvRmT2_T3_T4_T5_mT6_T7_P12ihipStream_tbENKUlT_T0_E_clISt17integral_constantIbLb0EESZ_EEDaSU_SV_EUlSU_E_NS1_11comp_targetILNS1_3genE5ELNS1_11target_archE942ELNS1_3gpuE9ELNS1_3repE0EEENS1_30default_config_static_selectorELNS0_4arch9wavefront6targetE1EEEvT1_
		.amdhsa_group_segment_fixed_size 0
		.amdhsa_private_segment_fixed_size 0
		.amdhsa_kernarg_size 112
		.amdhsa_user_sgpr_count 6
		.amdhsa_user_sgpr_private_segment_buffer 1
		.amdhsa_user_sgpr_dispatch_ptr 0
		.amdhsa_user_sgpr_queue_ptr 0
		.amdhsa_user_sgpr_kernarg_segment_ptr 1
		.amdhsa_user_sgpr_dispatch_id 0
		.amdhsa_user_sgpr_flat_scratch_init 0
		.amdhsa_user_sgpr_kernarg_preload_length 0
		.amdhsa_user_sgpr_kernarg_preload_offset 0
		.amdhsa_user_sgpr_private_segment_size 0
		.amdhsa_uses_dynamic_stack 0
		.amdhsa_system_sgpr_private_segment_wavefront_offset 0
		.amdhsa_system_sgpr_workgroup_id_x 1
		.amdhsa_system_sgpr_workgroup_id_y 0
		.amdhsa_system_sgpr_workgroup_id_z 0
		.amdhsa_system_sgpr_workgroup_info 0
		.amdhsa_system_vgpr_workitem_id 0
		.amdhsa_next_free_vgpr 1
		.amdhsa_next_free_sgpr 0
		.amdhsa_accum_offset 4
		.amdhsa_reserve_vcc 0
		.amdhsa_reserve_flat_scratch 0
		.amdhsa_float_round_mode_32 0
		.amdhsa_float_round_mode_16_64 0
		.amdhsa_float_denorm_mode_32 3
		.amdhsa_float_denorm_mode_16_64 3
		.amdhsa_dx10_clamp 1
		.amdhsa_ieee_mode 1
		.amdhsa_fp16_overflow 0
		.amdhsa_tg_split 0
		.amdhsa_exception_fp_ieee_invalid_op 0
		.amdhsa_exception_fp_denorm_src 0
		.amdhsa_exception_fp_ieee_div_zero 0
		.amdhsa_exception_fp_ieee_overflow 0
		.amdhsa_exception_fp_ieee_underflow 0
		.amdhsa_exception_fp_ieee_inexact 0
		.amdhsa_exception_int_div_zero 0
	.end_amdhsa_kernel
	.section	.text._ZN7rocprim17ROCPRIM_400000_NS6detail17trampoline_kernelINS0_14default_configENS1_27scan_by_key_config_selectorIssEEZZNS1_16scan_by_key_implILNS1_25lookback_scan_determinismE0ELb1ES3_N6thrust23THRUST_200600_302600_NS6detail15normal_iteratorINS9_10device_ptrIsEEEESE_SE_sNS9_10multipliesIsEENS9_8equal_toIsEEsEE10hipError_tPvRmT2_T3_T4_T5_mT6_T7_P12ihipStream_tbENKUlT_T0_E_clISt17integral_constantIbLb0EESZ_EEDaSU_SV_EUlSU_E_NS1_11comp_targetILNS1_3genE5ELNS1_11target_archE942ELNS1_3gpuE9ELNS1_3repE0EEENS1_30default_config_static_selectorELNS0_4arch9wavefront6targetE1EEEvT1_,"axG",@progbits,_ZN7rocprim17ROCPRIM_400000_NS6detail17trampoline_kernelINS0_14default_configENS1_27scan_by_key_config_selectorIssEEZZNS1_16scan_by_key_implILNS1_25lookback_scan_determinismE0ELb1ES3_N6thrust23THRUST_200600_302600_NS6detail15normal_iteratorINS9_10device_ptrIsEEEESE_SE_sNS9_10multipliesIsEENS9_8equal_toIsEEsEE10hipError_tPvRmT2_T3_T4_T5_mT6_T7_P12ihipStream_tbENKUlT_T0_E_clISt17integral_constantIbLb0EESZ_EEDaSU_SV_EUlSU_E_NS1_11comp_targetILNS1_3genE5ELNS1_11target_archE942ELNS1_3gpuE9ELNS1_3repE0EEENS1_30default_config_static_selectorELNS0_4arch9wavefront6targetE1EEEvT1_,comdat
.Lfunc_end607:
	.size	_ZN7rocprim17ROCPRIM_400000_NS6detail17trampoline_kernelINS0_14default_configENS1_27scan_by_key_config_selectorIssEEZZNS1_16scan_by_key_implILNS1_25lookback_scan_determinismE0ELb1ES3_N6thrust23THRUST_200600_302600_NS6detail15normal_iteratorINS9_10device_ptrIsEEEESE_SE_sNS9_10multipliesIsEENS9_8equal_toIsEEsEE10hipError_tPvRmT2_T3_T4_T5_mT6_T7_P12ihipStream_tbENKUlT_T0_E_clISt17integral_constantIbLb0EESZ_EEDaSU_SV_EUlSU_E_NS1_11comp_targetILNS1_3genE5ELNS1_11target_archE942ELNS1_3gpuE9ELNS1_3repE0EEENS1_30default_config_static_selectorELNS0_4arch9wavefront6targetE1EEEvT1_, .Lfunc_end607-_ZN7rocprim17ROCPRIM_400000_NS6detail17trampoline_kernelINS0_14default_configENS1_27scan_by_key_config_selectorIssEEZZNS1_16scan_by_key_implILNS1_25lookback_scan_determinismE0ELb1ES3_N6thrust23THRUST_200600_302600_NS6detail15normal_iteratorINS9_10device_ptrIsEEEESE_SE_sNS9_10multipliesIsEENS9_8equal_toIsEEsEE10hipError_tPvRmT2_T3_T4_T5_mT6_T7_P12ihipStream_tbENKUlT_T0_E_clISt17integral_constantIbLb0EESZ_EEDaSU_SV_EUlSU_E_NS1_11comp_targetILNS1_3genE5ELNS1_11target_archE942ELNS1_3gpuE9ELNS1_3repE0EEENS1_30default_config_static_selectorELNS0_4arch9wavefront6targetE1EEEvT1_
                                        ; -- End function
	.section	.AMDGPU.csdata,"",@progbits
; Kernel info:
; codeLenInByte = 0
; NumSgprs: 4
; NumVgprs: 0
; NumAgprs: 0
; TotalNumVgprs: 0
; ScratchSize: 0
; MemoryBound: 0
; FloatMode: 240
; IeeeMode: 1
; LDSByteSize: 0 bytes/workgroup (compile time only)
; SGPRBlocks: 0
; VGPRBlocks: 0
; NumSGPRsForWavesPerEU: 4
; NumVGPRsForWavesPerEU: 1
; AccumOffset: 4
; Occupancy: 8
; WaveLimiterHint : 0
; COMPUTE_PGM_RSRC2:SCRATCH_EN: 0
; COMPUTE_PGM_RSRC2:USER_SGPR: 6
; COMPUTE_PGM_RSRC2:TRAP_HANDLER: 0
; COMPUTE_PGM_RSRC2:TGID_X_EN: 1
; COMPUTE_PGM_RSRC2:TGID_Y_EN: 0
; COMPUTE_PGM_RSRC2:TGID_Z_EN: 0
; COMPUTE_PGM_RSRC2:TIDIG_COMP_CNT: 0
; COMPUTE_PGM_RSRC3_GFX90A:ACCUM_OFFSET: 0
; COMPUTE_PGM_RSRC3_GFX90A:TG_SPLIT: 0
	.section	.text._ZN7rocprim17ROCPRIM_400000_NS6detail17trampoline_kernelINS0_14default_configENS1_27scan_by_key_config_selectorIssEEZZNS1_16scan_by_key_implILNS1_25lookback_scan_determinismE0ELb1ES3_N6thrust23THRUST_200600_302600_NS6detail15normal_iteratorINS9_10device_ptrIsEEEESE_SE_sNS9_10multipliesIsEENS9_8equal_toIsEEsEE10hipError_tPvRmT2_T3_T4_T5_mT6_T7_P12ihipStream_tbENKUlT_T0_E_clISt17integral_constantIbLb0EESZ_EEDaSU_SV_EUlSU_E_NS1_11comp_targetILNS1_3genE4ELNS1_11target_archE910ELNS1_3gpuE8ELNS1_3repE0EEENS1_30default_config_static_selectorELNS0_4arch9wavefront6targetE1EEEvT1_,"axG",@progbits,_ZN7rocprim17ROCPRIM_400000_NS6detail17trampoline_kernelINS0_14default_configENS1_27scan_by_key_config_selectorIssEEZZNS1_16scan_by_key_implILNS1_25lookback_scan_determinismE0ELb1ES3_N6thrust23THRUST_200600_302600_NS6detail15normal_iteratorINS9_10device_ptrIsEEEESE_SE_sNS9_10multipliesIsEENS9_8equal_toIsEEsEE10hipError_tPvRmT2_T3_T4_T5_mT6_T7_P12ihipStream_tbENKUlT_T0_E_clISt17integral_constantIbLb0EESZ_EEDaSU_SV_EUlSU_E_NS1_11comp_targetILNS1_3genE4ELNS1_11target_archE910ELNS1_3gpuE8ELNS1_3repE0EEENS1_30default_config_static_selectorELNS0_4arch9wavefront6targetE1EEEvT1_,comdat
	.protected	_ZN7rocprim17ROCPRIM_400000_NS6detail17trampoline_kernelINS0_14default_configENS1_27scan_by_key_config_selectorIssEEZZNS1_16scan_by_key_implILNS1_25lookback_scan_determinismE0ELb1ES3_N6thrust23THRUST_200600_302600_NS6detail15normal_iteratorINS9_10device_ptrIsEEEESE_SE_sNS9_10multipliesIsEENS9_8equal_toIsEEsEE10hipError_tPvRmT2_T3_T4_T5_mT6_T7_P12ihipStream_tbENKUlT_T0_E_clISt17integral_constantIbLb0EESZ_EEDaSU_SV_EUlSU_E_NS1_11comp_targetILNS1_3genE4ELNS1_11target_archE910ELNS1_3gpuE8ELNS1_3repE0EEENS1_30default_config_static_selectorELNS0_4arch9wavefront6targetE1EEEvT1_ ; -- Begin function _ZN7rocprim17ROCPRIM_400000_NS6detail17trampoline_kernelINS0_14default_configENS1_27scan_by_key_config_selectorIssEEZZNS1_16scan_by_key_implILNS1_25lookback_scan_determinismE0ELb1ES3_N6thrust23THRUST_200600_302600_NS6detail15normal_iteratorINS9_10device_ptrIsEEEESE_SE_sNS9_10multipliesIsEENS9_8equal_toIsEEsEE10hipError_tPvRmT2_T3_T4_T5_mT6_T7_P12ihipStream_tbENKUlT_T0_E_clISt17integral_constantIbLb0EESZ_EEDaSU_SV_EUlSU_E_NS1_11comp_targetILNS1_3genE4ELNS1_11target_archE910ELNS1_3gpuE8ELNS1_3repE0EEENS1_30default_config_static_selectorELNS0_4arch9wavefront6targetE1EEEvT1_
	.globl	_ZN7rocprim17ROCPRIM_400000_NS6detail17trampoline_kernelINS0_14default_configENS1_27scan_by_key_config_selectorIssEEZZNS1_16scan_by_key_implILNS1_25lookback_scan_determinismE0ELb1ES3_N6thrust23THRUST_200600_302600_NS6detail15normal_iteratorINS9_10device_ptrIsEEEESE_SE_sNS9_10multipliesIsEENS9_8equal_toIsEEsEE10hipError_tPvRmT2_T3_T4_T5_mT6_T7_P12ihipStream_tbENKUlT_T0_E_clISt17integral_constantIbLb0EESZ_EEDaSU_SV_EUlSU_E_NS1_11comp_targetILNS1_3genE4ELNS1_11target_archE910ELNS1_3gpuE8ELNS1_3repE0EEENS1_30default_config_static_selectorELNS0_4arch9wavefront6targetE1EEEvT1_
	.p2align	8
	.type	_ZN7rocprim17ROCPRIM_400000_NS6detail17trampoline_kernelINS0_14default_configENS1_27scan_by_key_config_selectorIssEEZZNS1_16scan_by_key_implILNS1_25lookback_scan_determinismE0ELb1ES3_N6thrust23THRUST_200600_302600_NS6detail15normal_iteratorINS9_10device_ptrIsEEEESE_SE_sNS9_10multipliesIsEENS9_8equal_toIsEEsEE10hipError_tPvRmT2_T3_T4_T5_mT6_T7_P12ihipStream_tbENKUlT_T0_E_clISt17integral_constantIbLb0EESZ_EEDaSU_SV_EUlSU_E_NS1_11comp_targetILNS1_3genE4ELNS1_11target_archE910ELNS1_3gpuE8ELNS1_3repE0EEENS1_30default_config_static_selectorELNS0_4arch9wavefront6targetE1EEEvT1_,@function
_ZN7rocprim17ROCPRIM_400000_NS6detail17trampoline_kernelINS0_14default_configENS1_27scan_by_key_config_selectorIssEEZZNS1_16scan_by_key_implILNS1_25lookback_scan_determinismE0ELb1ES3_N6thrust23THRUST_200600_302600_NS6detail15normal_iteratorINS9_10device_ptrIsEEEESE_SE_sNS9_10multipliesIsEENS9_8equal_toIsEEsEE10hipError_tPvRmT2_T3_T4_T5_mT6_T7_P12ihipStream_tbENKUlT_T0_E_clISt17integral_constantIbLb0EESZ_EEDaSU_SV_EUlSU_E_NS1_11comp_targetILNS1_3genE4ELNS1_11target_archE910ELNS1_3gpuE8ELNS1_3repE0EEENS1_30default_config_static_selectorELNS0_4arch9wavefront6targetE1EEEvT1_: ; @_ZN7rocprim17ROCPRIM_400000_NS6detail17trampoline_kernelINS0_14default_configENS1_27scan_by_key_config_selectorIssEEZZNS1_16scan_by_key_implILNS1_25lookback_scan_determinismE0ELb1ES3_N6thrust23THRUST_200600_302600_NS6detail15normal_iteratorINS9_10device_ptrIsEEEESE_SE_sNS9_10multipliesIsEENS9_8equal_toIsEEsEE10hipError_tPvRmT2_T3_T4_T5_mT6_T7_P12ihipStream_tbENKUlT_T0_E_clISt17integral_constantIbLb0EESZ_EEDaSU_SV_EUlSU_E_NS1_11comp_targetILNS1_3genE4ELNS1_11target_archE910ELNS1_3gpuE8ELNS1_3repE0EEENS1_30default_config_static_selectorELNS0_4arch9wavefront6targetE1EEEvT1_
; %bb.0:
	s_load_dwordx8 s[44:51], s[4:5], 0x0
	s_load_dword s7, s[4:5], 0x20
	s_load_dwordx4 s[52:55], s[4:5], 0x28
	s_load_dwordx2 s[64:65], s[4:5], 0x38
	s_load_dword s0, s[4:5], 0x40
	s_load_dwordx4 s[56:59], s[4:5], 0x48
	s_waitcnt lgkmcnt(0)
	s_lshl_b64 s[60:61], s[46:47], 1
	s_add_u32 s2, s44, s60
	s_addc_u32 s3, s45, s61
	s_add_u32 s4, s48, s60
	s_mul_i32 s1, s65, s0
	s_mul_hi_u32 s8, s64, s0
	s_addc_u32 s5, s49, s61
	s_add_i32 s8, s8, s1
	s_mul_i32 s9, s64, s0
	s_mul_i32 s0, s6, 0x1600
	s_mov_b32 s1, 0
	s_lshl_b64 s[62:63], s[0:1], 1
	s_add_u32 s66, s2, s62
	s_addc_u32 s67, s3, s63
	s_add_u32 s55, s4, s62
	s_addc_u32 s72, s5, s63
	;; [unrolled: 2-line block ×3, first 2 shown]
	s_add_u32 s4, s56, -1
	s_addc_u32 s5, s57, -1
	v_pk_mov_b32 v[2:3], s[4:5], s[4:5] op_sel:[0,1]
	v_cmp_ge_u64_e64 s[0:1], s[0:1], v[2:3]
	s_mov_b64 s[2:3], -1
	s_and_b64 vcc, exec, s[0:1]
	s_mul_i32 s33, s4, 0xffffea00
	s_barrier
	s_cbranch_vccz .LBB608_116
; %bb.1:
	v_pk_mov_b32 v[2:3], s[66:67], s[66:67] op_sel:[0,1]
	flat_load_ushort v6, v[2:3]
	s_add_i32 s74, s33, s54
	v_cmp_gt_u32_e32 vcc, s74, v0
	s_waitcnt vmcnt(0) lgkmcnt(0)
	v_mov_b32_e32 v7, v6
	s_and_saveexec_b64 s[4:5], vcc
	s_cbranch_execz .LBB608_3
; %bb.2:
	v_lshlrev_b32_e32 v1, 1, v0
	v_mov_b32_e32 v3, s67
	v_add_co_u32_e64 v2, s[2:3], s66, v1
	v_addc_co_u32_e64 v3, s[2:3], 0, v3, s[2:3]
	flat_load_ushort v7, v[2:3]
.LBB608_3:
	s_or_b64 exec, exec, s[4:5]
	v_or_b32_e32 v1, 0x100, v0
	v_cmp_gt_u32_e64 s[2:3], s74, v1
	v_mov_b32_e32 v8, v6
	s_and_saveexec_b64 s[8:9], s[2:3]
	s_cbranch_execz .LBB608_5
; %bb.4:
	v_lshlrev_b32_e32 v1, 1, v0
	v_mov_b32_e32 v3, s67
	v_add_co_u32_e64 v2, s[4:5], s66, v1
	v_addc_co_u32_e64 v3, s[4:5], 0, v3, s[4:5]
	flat_load_ushort v8, v[2:3] offset:512
.LBB608_5:
	s_or_b64 exec, exec, s[8:9]
	v_or_b32_e32 v1, 0x200, v0
	v_cmp_gt_u32_e64 s[4:5], s74, v1
	v_mov_b32_e32 v9, v6
	s_and_saveexec_b64 s[10:11], s[4:5]
	s_cbranch_execz .LBB608_7
; %bb.6:
	v_lshlrev_b32_e32 v1, 1, v0
	v_mov_b32_e32 v3, s67
	v_add_co_u32_e64 v2, s[8:9], s66, v1
	v_addc_co_u32_e64 v3, s[8:9], 0, v3, s[8:9]
	flat_load_ushort v9, v[2:3] offset:1024
.LBB608_7:
	;; [unrolled: 13-line block ×7, first 2 shown]
	s_or_b64 exec, exec, s[18:19]
	v_or_b32_e32 v1, 0x800, v0
	v_cmp_gt_u32_e64 s[16:17], s74, v1
	v_lshlrev_b32_e32 v1, 1, v1
	v_mov_b32_e32 v15, v6
	s_and_saveexec_b64 s[20:21], s[16:17]
	s_cbranch_execz .LBB608_19
; %bb.18:
	v_mov_b32_e32 v3, s67
	v_add_co_u32_e64 v2, s[18:19], s66, v1
	v_addc_co_u32_e64 v3, s[18:19], 0, v3, s[18:19]
	flat_load_ushort v15, v[2:3]
.LBB608_19:
	s_or_b64 exec, exec, s[20:21]
	v_or_b32_e32 v2, 0x900, v0
	v_cmp_gt_u32_e64 s[18:19], s74, v2
	v_lshlrev_b32_e32 v2, 1, v2
	v_mov_b32_e32 v26, v6
	s_and_saveexec_b64 s[22:23], s[18:19]
	s_cbranch_execz .LBB608_21
; %bb.20:
	v_mov_b32_e32 v3, s67
	v_add_co_u32_e64 v4, s[20:21], s66, v2
	v_addc_co_u32_e64 v5, s[20:21], 0, v3, s[20:21]
	flat_load_ushort v26, v[4:5]
.LBB608_21:
	;; [unrolled: 13-line block ×13, first 2 shown]
	s_or_b64 exec, exec, s[48:49]
	v_or_b32_e32 v20, 0x1500, v0
	v_cmp_gt_u32_e64 s[44:45], s74, v20
	v_lshlrev_b32_e32 v25, 1, v20
	s_and_saveexec_b64 s[56:57], s[44:45]
	s_cbranch_execz .LBB608_45
; %bb.44:
	v_mov_b32_e32 v6, s67
	v_add_co_u32_e64 v38, s[48:49], s66, v25
	v_addc_co_u32_e64 v39, s[48:49], 0, v6, s[48:49]
	flat_load_ushort v6, v[38:39]
.LBB608_45:
	s_or_b64 exec, exec, s[56:57]
	v_lshlrev_b32_e32 v20, 1, v0
	s_waitcnt vmcnt(0) lgkmcnt(0)
	ds_write_b16 v20, v7
	ds_write_b16 v20, v8 offset:512
	ds_write_b16 v20, v9 offset:1024
	;; [unrolled: 1-line block ×21, first 2 shown]
	v_pk_mov_b32 v[6:7], s[66:67], s[66:67] op_sel:[0,1]
	s_waitcnt lgkmcnt(0)
	s_barrier
	flat_load_ushort v36, v[6:7]
	v_mad_u32_u24 v38, v0, 42, v20
	s_movk_i32 s48, 0xffd6
	v_mad_i32_i24 v26, v0, s48, v38
	s_movk_i32 s48, 0xff
	v_cmp_ne_u32_e64 s[48:49], s48, v0
	ds_read2_b32 v[14:15], v38 offset1:1
	ds_read2_b32 v[12:13], v38 offset0:2 offset1:3
	ds_read2_b32 v[10:11], v38 offset0:4 offset1:5
	;; [unrolled: 1-line block ×4, first 2 shown]
	ds_read_b32 v39, v38 offset:40
	s_waitcnt lgkmcnt(0)
	ds_write_b16 v26, v14 offset:11776
	s_waitcnt lgkmcnt(0)
	s_barrier
	s_and_saveexec_b64 s[56:57], s[48:49]
	s_cbranch_execz .LBB608_47
; %bb.46:
	s_waitcnt vmcnt(0)
	ds_read_u16 v36, v20 offset:11778
.LBB608_47:
	s_or_b64 exec, exec, s[56:57]
	s_waitcnt lgkmcnt(0)
	s_barrier
	s_waitcnt lgkmcnt(0)
                                        ; implicit-def: $vgpr26
	s_and_saveexec_b64 s[48:49], vcc
	s_cbranch_execz .LBB608_185
; %bb.48:
	v_mov_b32_e32 v27, s72
	v_add_co_u32_e32 v26, vcc, s55, v20
	v_addc_co_u32_e32 v27, vcc, 0, v27, vcc
	flat_load_ushort v26, v[26:27]
	s_or_b64 exec, exec, s[48:49]
                                        ; implicit-def: $vgpr27
	s_and_saveexec_b64 s[48:49], s[2:3]
	s_cbranch_execnz .LBB608_186
.LBB608_49:
	s_or_b64 exec, exec, s[48:49]
                                        ; implicit-def: $vgpr28
	s_and_saveexec_b64 s[2:3], s[4:5]
	s_cbranch_execz .LBB608_187
.LBB608_50:
	v_mov_b32_e32 v29, s72
	v_add_co_u32_e32 v28, vcc, s55, v20
	v_addc_co_u32_e32 v29, vcc, 0, v29, vcc
	flat_load_ushort v28, v[28:29] offset:1024
	s_or_b64 exec, exec, s[2:3]
                                        ; implicit-def: $vgpr29
	s_and_saveexec_b64 s[2:3], s[46:47]
	s_cbranch_execnz .LBB608_188
.LBB608_51:
	s_or_b64 exec, exec, s[2:3]
                                        ; implicit-def: $vgpr30
	s_and_saveexec_b64 s[2:3], s[8:9]
	s_cbranch_execz .LBB608_189
.LBB608_52:
	v_mov_b32_e32 v31, s72
	v_add_co_u32_e32 v30, vcc, s55, v20
	v_addc_co_u32_e32 v31, vcc, 0, v31, vcc
	flat_load_ushort v30, v[30:31] offset:2048
	s_or_b64 exec, exec, s[2:3]
                                        ; implicit-def: $vgpr31
	s_and_saveexec_b64 s[2:3], s[10:11]
	s_cbranch_execnz .LBB608_190
.LBB608_53:
	s_or_b64 exec, exec, s[2:3]
                                        ; implicit-def: $vgpr32
	s_and_saveexec_b64 s[2:3], s[12:13]
	s_cbranch_execz .LBB608_191
.LBB608_54:
	v_mov_b32_e32 v33, s72
	v_add_co_u32_e32 v32, vcc, s55, v20
	v_addc_co_u32_e32 v33, vcc, 0, v33, vcc
	flat_load_ushort v32, v[32:33] offset:3072
	s_or_b64 exec, exec, s[2:3]
                                        ; implicit-def: $vgpr33
	s_and_saveexec_b64 s[2:3], s[14:15]
	s_cbranch_execnz .LBB608_192
.LBB608_55:
	s_or_b64 exec, exec, s[2:3]
                                        ; implicit-def: $vgpr34
	s_and_saveexec_b64 s[2:3], s[16:17]
	s_cbranch_execz .LBB608_193
.LBB608_56:
	v_mov_b32_e32 v35, s72
	v_add_co_u32_e32 v34, vcc, s55, v1
	v_addc_co_u32_e32 v35, vcc, 0, v35, vcc
	flat_load_ushort v34, v[34:35]
	s_or_b64 exec, exec, s[2:3]
                                        ; implicit-def: $vgpr1
	s_and_saveexec_b64 s[2:3], s[18:19]
	s_cbranch_execnz .LBB608_194
.LBB608_57:
	s_or_b64 exec, exec, s[2:3]
                                        ; implicit-def: $vgpr2
	s_and_saveexec_b64 s[2:3], s[20:21]
	s_cbranch_execz .LBB608_195
.LBB608_58:
	v_mov_b32_e32 v35, s72
	v_add_co_u32_e32 v2, vcc, s55, v3
	v_addc_co_u32_e32 v3, vcc, 0, v35, vcc
	flat_load_ushort v2, v[2:3]
	s_or_b64 exec, exec, s[2:3]
                                        ; implicit-def: $vgpr3
	s_and_saveexec_b64 s[2:3], s[22:23]
	s_cbranch_execnz .LBB608_196
.LBB608_59:
	s_or_b64 exec, exec, s[2:3]
                                        ; implicit-def: $vgpr4
	s_and_saveexec_b64 s[2:3], s[24:25]
	s_cbranch_execz .LBB608_197
.LBB608_60:
	v_mov_b32_e32 v35, s72
	v_add_co_u32_e32 v4, vcc, s55, v5
	v_addc_co_u32_e32 v5, vcc, 0, v35, vcc
	flat_load_ushort v4, v[4:5]
	s_or_b64 exec, exec, s[2:3]
                                        ; implicit-def: $vgpr5
	s_and_saveexec_b64 s[2:3], s[26:27]
	s_cbranch_execnz .LBB608_198
.LBB608_61:
	s_or_b64 exec, exec, s[2:3]
                                        ; implicit-def: $vgpr16
	s_and_saveexec_b64 s[2:3], s[28:29]
	s_cbranch_execz .LBB608_199
.LBB608_62:
	v_mov_b32_e32 v35, s72
	v_add_co_u32_e32 v16, vcc, s55, v17
	v_addc_co_u32_e32 v17, vcc, 0, v35, vcc
	flat_load_ushort v16, v[16:17]
	s_or_b64 exec, exec, s[2:3]
                                        ; implicit-def: $vgpr17
	s_and_saveexec_b64 s[2:3], s[30:31]
	s_cbranch_execnz .LBB608_200
.LBB608_63:
	s_or_b64 exec, exec, s[2:3]
                                        ; implicit-def: $vgpr18
	s_and_saveexec_b64 s[2:3], s[34:35]
	s_cbranch_execz .LBB608_201
.LBB608_64:
	v_mov_b32_e32 v35, s72
	v_add_co_u32_e32 v18, vcc, s55, v19
	v_addc_co_u32_e32 v19, vcc, 0, v35, vcc
	flat_load_ushort v18, v[18:19]
	s_or_b64 exec, exec, s[2:3]
                                        ; implicit-def: $vgpr19
	s_and_saveexec_b64 s[2:3], s[36:37]
	s_cbranch_execnz .LBB608_202
.LBB608_65:
	s_or_b64 exec, exec, s[2:3]
                                        ; implicit-def: $vgpr21
	s_and_saveexec_b64 s[2:3], s[38:39]
	s_cbranch_execz .LBB608_203
.LBB608_66:
	v_mov_b32_e32 v21, s72
	v_add_co_u32_e32 v40, vcc, s55, v22
	v_addc_co_u32_e32 v41, vcc, 0, v21, vcc
	flat_load_ushort v21, v[40:41]
	s_or_b64 exec, exec, s[2:3]
                                        ; implicit-def: $vgpr22
	s_and_saveexec_b64 s[2:3], s[40:41]
	s_cbranch_execnz .LBB608_204
.LBB608_67:
	s_or_b64 exec, exec, s[2:3]
                                        ; implicit-def: $vgpr23
	s_and_saveexec_b64 s[2:3], s[42:43]
	s_cbranch_execz .LBB608_69
.LBB608_68:
	v_mov_b32_e32 v23, s72
	v_add_co_u32_e32 v40, vcc, s55, v24
	v_addc_co_u32_e32 v41, vcc, 0, v23, vcc
	flat_load_ushort v23, v[40:41]
.LBB608_69:
	s_or_b64 exec, exec, s[2:3]
	v_mul_u32_u24_e32 v40, 22, v0
                                        ; implicit-def: $vgpr24
	s_and_saveexec_b64 s[2:3], s[44:45]
	s_cbranch_execz .LBB608_71
; %bb.70:
	v_mov_b32_e32 v35, s72
	v_add_co_u32_e32 v24, vcc, s55, v25
	v_addc_co_u32_e32 v25, vcc, 0, v35, vcc
	flat_load_ushort v24, v[24:25]
.LBB608_71:
	s_or_b64 exec, exec, s[2:3]
	s_waitcnt vmcnt(0) lgkmcnt(0)
	ds_write_b16 v20, v26
	ds_write_b16 v20, v27 offset:512
	ds_write_b16 v20, v28 offset:1024
	;; [unrolled: 1-line block ×21, first 2 shown]
	v_cmp_gt_u32_e32 vcc, s74, v40
	s_mov_b64 s[2:3], 0
	s_mov_b32 s73, 0
	v_mov_b32_e32 v1, 0
	s_mov_b64 s[10:11], 0
	v_mov_b32_e32 v18, 0
	v_mov_b32_e32 v22, 0
	v_mov_b32_e32 v19, 0
	v_mov_b32_e32 v23, 0
	v_mov_b32_e32 v16, 0
	v_mov_b32_e32 v24, 0
	v_mov_b32_e32 v17, 0
	v_mov_b32_e32 v25, 0
	v_mov_b32_e32 v26, 0
	v_mov_b32_e32 v27, 0
	v_mov_b32_e32 v28, 0
	v_mov_b32_e32 v29, 0
	v_mov_b32_e32 v30, 0
	v_mov_b32_e32 v31, 0
	v_mov_b32_e32 v32, 0
	v_mov_b32_e32 v33, 0
	v_mov_b32_e32 v20, 0
	v_mov_b32_e32 v34, 0
	v_mov_b32_e32 v21, 0
	v_mov_b32_e32 v35, 0
	s_waitcnt lgkmcnt(0)
	s_barrier
	s_waitcnt lgkmcnt(0)
                                        ; implicit-def: $sgpr8_sgpr9
                                        ; implicit-def: $vgpr37
	s_and_saveexec_b64 s[4:5], vcc
	s_cbranch_execz .LBB608_115
; %bb.72:
	ds_read_u16 v1, v38
	v_mov_b32_e32 v3, s7
	v_cmp_eq_u16_sdwa vcc, v14, v14 src0_sel:DWORD src1_sel:WORD_1
	v_cmp_ne_u16_sdwa s[8:9], v14, v14 src0_sel:DWORD src1_sel:WORD_1
	v_or_b32_e32 v2, 1, v40
	s_waitcnt lgkmcnt(0)
	v_cndmask_b32_e32 v1, v3, v1, vcc
	v_and_b32_e32 v1, 0xffff, v1
	v_cndmask_b32_e64 v3, 0, 1, s[8:9]
	v_lshl_or_b32 v1, v3, 16, v1
	v_cmp_gt_u32_e32 vcc, s74, v2
	v_mov_b32_e32 v18, 0
	v_mov_b32_e32 v22, 0
	;; [unrolled: 1-line block ×20, first 2 shown]
                                        ; implicit-def: $sgpr12_sgpr13
                                        ; implicit-def: $vgpr37
	s_and_saveexec_b64 s[8:9], vcc
	s_cbranch_execz .LBB608_114
; %bb.73:
	ds_read_b128 v[2:5], v38 offset:2
	v_mov_b32_e32 v17, s7
	v_cmp_eq_u16_sdwa vcc, v14, v15 src0_sel:WORD_1 src1_sel:DWORD
	v_cmp_ne_u16_sdwa s[10:11], v14, v15 src0_sel:WORD_1 src1_sel:DWORD
	v_add_u32_e32 v16, 2, v40
	s_waitcnt lgkmcnt(0)
	v_cndmask_b32_e32 v17, v17, v2, vcc
	v_and_b32_e32 v17, 0xffff, v17
	v_cndmask_b32_e64 v14, 0, 1, s[10:11]
	v_lshl_or_b32 v18, v14, 16, v17
	v_cmp_gt_u32_e32 vcc, s74, v16
	s_mov_b64 s[14:15], 0
	v_mov_b32_e32 v22, 0
	v_mov_b32_e32 v19, 0
	;; [unrolled: 1-line block ×19, first 2 shown]
                                        ; implicit-def: $sgpr12_sgpr13
                                        ; implicit-def: $vgpr37
	s_and_saveexec_b64 s[10:11], vcc
	s_cbranch_execz .LBB608_113
; %bb.74:
	v_lshrrev_b32_e32 v2, 16, v2
	v_mov_b32_e32 v16, s7
	v_cmp_eq_u16_sdwa vcc, v15, v15 src0_sel:DWORD src1_sel:WORD_1
	v_cndmask_b32_e32 v2, v16, v2, vcc
	v_cmp_ne_u16_sdwa s[12:13], v15, v15 src0_sel:DWORD src1_sel:WORD_1
	v_add_u32_e32 v14, 3, v40
	v_and_b32_e32 v2, 0xffff, v2
	v_cndmask_b32_e64 v16, 0, 1, s[12:13]
	v_lshl_or_b32 v22, v16, 16, v2
	v_cmp_gt_u32_e32 vcc, s74, v14
	v_mov_b32_e32 v19, 0
	v_mov_b32_e32 v23, 0
	;; [unrolled: 1-line block ×18, first 2 shown]
                                        ; implicit-def: $sgpr16_sgpr17
                                        ; implicit-def: $vgpr37
	s_and_saveexec_b64 s[12:13], vcc
	s_cbranch_execz .LBB608_112
; %bb.75:
	v_mov_b32_e32 v14, s7
	v_cmp_eq_u16_sdwa vcc, v15, v12 src0_sel:WORD_1 src1_sel:DWORD
	v_cndmask_b32_e32 v14, v14, v3, vcc
	v_cmp_ne_u16_sdwa s[14:15], v15, v12 src0_sel:WORD_1 src1_sel:DWORD
	v_add_u32_e32 v2, 4, v40
	v_and_b32_e32 v14, 0xffff, v14
	v_cndmask_b32_e64 v15, 0, 1, s[14:15]
	v_lshl_or_b32 v19, v15, 16, v14
	v_cmp_gt_u32_e32 vcc, s74, v2
	s_mov_b64 s[18:19], 0
	v_mov_b32_e32 v23, 0
	v_mov_b32_e32 v16, 0
	v_mov_b32_e32 v24, 0
	v_mov_b32_e32 v17, 0
	v_mov_b32_e32 v25, 0
	v_mov_b32_e32 v26, 0
	v_mov_b32_e32 v27, 0
	v_mov_b32_e32 v28, 0
	v_mov_b32_e32 v29, 0
	v_mov_b32_e32 v30, 0
	v_mov_b32_e32 v31, 0
	v_mov_b32_e32 v32, 0
	v_mov_b32_e32 v33, 0
	v_mov_b32_e32 v20, 0
	v_mov_b32_e32 v34, 0
	v_mov_b32_e32 v21, 0
	v_mov_b32_e32 v35, 0
                                        ; implicit-def: $sgpr16_sgpr17
                                        ; implicit-def: $vgpr37
	s_and_saveexec_b64 s[14:15], vcc
	s_cbranch_execz .LBB608_111
; %bb.76:
	v_lshrrev_b32_e32 v2, 16, v3
	v_mov_b32_e32 v14, s7
	v_cmp_eq_u16_sdwa vcc, v12, v12 src0_sel:DWORD src1_sel:WORD_1
	v_cndmask_b32_e32 v2, v14, v2, vcc
	v_cmp_ne_u16_sdwa s[16:17], v12, v12 src0_sel:DWORD src1_sel:WORD_1
	v_add_u32_e32 v3, 5, v40
	v_and_b32_e32 v2, 0xffff, v2
	v_cndmask_b32_e64 v14, 0, 1, s[16:17]
	v_lshl_or_b32 v23, v14, 16, v2
	v_cmp_gt_u32_e32 vcc, s74, v3
	v_mov_b32_e32 v16, 0
	v_mov_b32_e32 v24, 0
	;; [unrolled: 1-line block ×16, first 2 shown]
                                        ; implicit-def: $sgpr20_sgpr21
                                        ; implicit-def: $vgpr37
	s_and_saveexec_b64 s[16:17], vcc
	s_cbranch_execz .LBB608_110
; %bb.77:
	v_mov_b32_e32 v3, s7
	v_cmp_eq_u16_sdwa vcc, v12, v13 src0_sel:WORD_1 src1_sel:DWORD
	v_cndmask_b32_e32 v3, v3, v4, vcc
	v_cmp_ne_u16_sdwa s[18:19], v12, v13 src0_sel:WORD_1 src1_sel:DWORD
	v_add_u32_e32 v2, 6, v40
	v_and_b32_e32 v3, 0xffff, v3
	v_cndmask_b32_e64 v12, 0, 1, s[18:19]
	v_lshl_or_b32 v16, v12, 16, v3
	v_cmp_gt_u32_e32 vcc, s74, v2
	s_mov_b64 s[22:23], 0
	v_mov_b32_e32 v24, 0
	v_mov_b32_e32 v17, 0
	;; [unrolled: 1-line block ×15, first 2 shown]
                                        ; implicit-def: $sgpr20_sgpr21
                                        ; implicit-def: $vgpr37
	s_and_saveexec_b64 s[18:19], vcc
	s_cbranch_execz .LBB608_109
; %bb.78:
	v_lshrrev_b32_e32 v2, 16, v4
	v_mov_b32_e32 v4, s7
	v_cmp_eq_u16_sdwa vcc, v13, v13 src0_sel:DWORD src1_sel:WORD_1
	v_cndmask_b32_e32 v2, v4, v2, vcc
	v_cmp_ne_u16_sdwa s[20:21], v13, v13 src0_sel:DWORD src1_sel:WORD_1
	v_add_u32_e32 v3, 7, v40
	v_and_b32_e32 v2, 0xffff, v2
	v_cndmask_b32_e64 v4, 0, 1, s[20:21]
	v_lshl_or_b32 v24, v4, 16, v2
	v_cmp_gt_u32_e32 vcc, s74, v3
	v_mov_b32_e32 v17, 0
	v_mov_b32_e32 v25, 0
	;; [unrolled: 1-line block ×14, first 2 shown]
                                        ; implicit-def: $sgpr24_sgpr25
                                        ; implicit-def: $vgpr37
	s_and_saveexec_b64 s[20:21], vcc
	s_cbranch_execz .LBB608_108
; %bb.79:
	v_mov_b32_e32 v3, s7
	v_cmp_eq_u16_sdwa vcc, v13, v10 src0_sel:WORD_1 src1_sel:DWORD
	v_cndmask_b32_e32 v3, v3, v5, vcc
	v_cmp_ne_u16_sdwa s[22:23], v13, v10 src0_sel:WORD_1 src1_sel:DWORD
	v_add_u32_e32 v2, 8, v40
	v_and_b32_e32 v3, 0xffff, v3
	v_cndmask_b32_e64 v4, 0, 1, s[22:23]
	v_lshl_or_b32 v17, v4, 16, v3
	v_cmp_gt_u32_e32 vcc, s74, v2
	s_mov_b64 s[26:27], 0
	v_mov_b32_e32 v25, 0
	v_mov_b32_e32 v26, 0
	;; [unrolled: 1-line block ×13, first 2 shown]
                                        ; implicit-def: $sgpr24_sgpr25
                                        ; implicit-def: $vgpr37
	s_and_saveexec_b64 s[22:23], vcc
	s_cbranch_execz .LBB608_107
; %bb.80:
	v_lshrrev_b32_e32 v2, 16, v5
	v_mov_b32_e32 v4, s7
	v_cmp_eq_u16_sdwa vcc, v10, v10 src0_sel:DWORD src1_sel:WORD_1
	v_cndmask_b32_e32 v2, v4, v2, vcc
	v_cmp_ne_u16_sdwa s[24:25], v10, v10 src0_sel:DWORD src1_sel:WORD_1
	v_add_u32_e32 v3, 9, v40
	v_and_b32_e32 v2, 0xffff, v2
	v_cndmask_b32_e64 v4, 0, 1, s[24:25]
	v_lshl_or_b32 v25, v4, 16, v2
	v_cmp_gt_u32_e32 vcc, s74, v3
	v_mov_b32_e32 v26, 0
	v_mov_b32_e32 v27, 0
	;; [unrolled: 1-line block ×12, first 2 shown]
                                        ; implicit-def: $sgpr28_sgpr29
                                        ; implicit-def: $vgpr37
	s_and_saveexec_b64 s[24:25], vcc
	s_cbranch_execz .LBB608_106
; %bb.81:
	ds_read_b128 v[2:5], v38 offset:18
	v_mov_b32_e32 v13, s7
	v_cmp_eq_u16_sdwa vcc, v10, v11 src0_sel:WORD_1 src1_sel:DWORD
	v_cmp_ne_u16_sdwa s[26:27], v10, v11 src0_sel:WORD_1 src1_sel:DWORD
	v_add_u32_e32 v12, 10, v40
	s_waitcnt lgkmcnt(0)
	v_cndmask_b32_e32 v13, v13, v2, vcc
	v_and_b32_e32 v13, 0xffff, v13
	v_cndmask_b32_e64 v10, 0, 1, s[26:27]
	v_lshl_or_b32 v26, v10, 16, v13
	v_cmp_gt_u32_e32 vcc, s74, v12
	s_mov_b64 s[30:31], 0
	v_mov_b32_e32 v27, 0
	v_mov_b32_e32 v28, 0
	;; [unrolled: 1-line block ×11, first 2 shown]
                                        ; implicit-def: $sgpr28_sgpr29
                                        ; implicit-def: $vgpr37
	s_and_saveexec_b64 s[26:27], vcc
	s_cbranch_execz .LBB608_105
; %bb.82:
	v_lshrrev_b32_e32 v2, 16, v2
	v_mov_b32_e32 v12, s7
	v_cmp_eq_u16_sdwa vcc, v11, v11 src0_sel:DWORD src1_sel:WORD_1
	v_cndmask_b32_e32 v2, v12, v2, vcc
	v_cmp_ne_u16_sdwa s[28:29], v11, v11 src0_sel:DWORD src1_sel:WORD_1
	v_add_u32_e32 v10, 11, v40
	v_and_b32_e32 v2, 0xffff, v2
	v_cndmask_b32_e64 v12, 0, 1, s[28:29]
	v_lshl_or_b32 v27, v12, 16, v2
	v_cmp_gt_u32_e32 vcc, s74, v10
	v_mov_b32_e32 v28, 0
	v_mov_b32_e32 v29, 0
	;; [unrolled: 1-line block ×10, first 2 shown]
                                        ; implicit-def: $sgpr34_sgpr35
                                        ; implicit-def: $vgpr37
	s_and_saveexec_b64 s[28:29], vcc
	s_cbranch_execz .LBB608_104
; %bb.83:
	v_mov_b32_e32 v10, s7
	v_cmp_eq_u16_sdwa vcc, v11, v8 src0_sel:WORD_1 src1_sel:DWORD
	v_cndmask_b32_e32 v10, v10, v3, vcc
	v_cmp_ne_u16_sdwa s[30:31], v11, v8 src0_sel:WORD_1 src1_sel:DWORD
	v_add_u32_e32 v2, 12, v40
	v_and_b32_e32 v10, 0xffff, v10
	v_cndmask_b32_e64 v11, 0, 1, s[30:31]
	v_lshl_or_b32 v28, v11, 16, v10
	v_cmp_gt_u32_e32 vcc, s74, v2
	s_mov_b64 s[36:37], 0
	v_mov_b32_e32 v29, 0
	v_mov_b32_e32 v30, 0
	v_mov_b32_e32 v31, 0
	v_mov_b32_e32 v32, 0
	v_mov_b32_e32 v33, 0
	v_mov_b32_e32 v20, 0
	v_mov_b32_e32 v34, 0
	v_mov_b32_e32 v21, 0
	v_mov_b32_e32 v35, 0
                                        ; implicit-def: $sgpr34_sgpr35
                                        ; implicit-def: $vgpr37
	s_and_saveexec_b64 s[30:31], vcc
	s_cbranch_execz .LBB608_103
; %bb.84:
	v_lshrrev_b32_e32 v2, 16, v3
	v_mov_b32_e32 v10, s7
	v_cmp_eq_u16_sdwa vcc, v8, v8 src0_sel:DWORD src1_sel:WORD_1
	v_cndmask_b32_e32 v2, v10, v2, vcc
	v_cmp_ne_u16_sdwa s[34:35], v8, v8 src0_sel:DWORD src1_sel:WORD_1
	v_add_u32_e32 v3, 13, v40
	v_and_b32_e32 v2, 0xffff, v2
	v_cndmask_b32_e64 v10, 0, 1, s[34:35]
	v_lshl_or_b32 v29, v10, 16, v2
	v_cmp_gt_u32_e32 vcc, s74, v3
	v_mov_b32_e32 v30, 0
	v_mov_b32_e32 v31, 0
	;; [unrolled: 1-line block ×8, first 2 shown]
                                        ; implicit-def: $sgpr38_sgpr39
                                        ; implicit-def: $vgpr37
	s_and_saveexec_b64 s[34:35], vcc
	s_cbranch_execz .LBB608_102
; %bb.85:
	v_mov_b32_e32 v3, s7
	v_cmp_eq_u16_sdwa vcc, v8, v9 src0_sel:WORD_1 src1_sel:DWORD
	v_cndmask_b32_e32 v3, v3, v4, vcc
	v_cmp_ne_u16_sdwa s[36:37], v8, v9 src0_sel:WORD_1 src1_sel:DWORD
	v_add_u32_e32 v2, 14, v40
	v_and_b32_e32 v3, 0xffff, v3
	v_cndmask_b32_e64 v8, 0, 1, s[36:37]
	v_lshl_or_b32 v30, v8, 16, v3
	v_cmp_gt_u32_e32 vcc, s74, v2
	s_mov_b64 s[40:41], 0
	v_mov_b32_e32 v31, 0
	v_mov_b32_e32 v32, 0
	;; [unrolled: 1-line block ×7, first 2 shown]
                                        ; implicit-def: $sgpr38_sgpr39
                                        ; implicit-def: $vgpr37
	s_and_saveexec_b64 s[36:37], vcc
	s_cbranch_execz .LBB608_101
; %bb.86:
	v_lshrrev_b32_e32 v2, 16, v4
	v_mov_b32_e32 v4, s7
	v_cmp_eq_u16_sdwa vcc, v9, v9 src0_sel:DWORD src1_sel:WORD_1
	v_cndmask_b32_e32 v2, v4, v2, vcc
	v_cmp_ne_u16_sdwa s[38:39], v9, v9 src0_sel:DWORD src1_sel:WORD_1
	v_add_u32_e32 v3, 15, v40
	v_and_b32_e32 v2, 0xffff, v2
	v_cndmask_b32_e64 v4, 0, 1, s[38:39]
	v_lshl_or_b32 v31, v4, 16, v2
	v_cmp_gt_u32_e32 vcc, s74, v3
	v_mov_b32_e32 v32, 0
	v_mov_b32_e32 v33, 0
	;; [unrolled: 1-line block ×6, first 2 shown]
                                        ; implicit-def: $sgpr42_sgpr43
                                        ; implicit-def: $vgpr37
	s_and_saveexec_b64 s[38:39], vcc
	s_cbranch_execz .LBB608_100
; %bb.87:
	v_mov_b32_e32 v3, s7
	v_cmp_eq_u16_sdwa vcc, v9, v6 src0_sel:WORD_1 src1_sel:DWORD
	v_cndmask_b32_e32 v3, v3, v5, vcc
	v_cmp_ne_u16_sdwa s[40:41], v9, v6 src0_sel:WORD_1 src1_sel:DWORD
	v_add_u32_e32 v2, 16, v40
	v_and_b32_e32 v3, 0xffff, v3
	v_cndmask_b32_e64 v4, 0, 1, s[40:41]
	v_lshl_or_b32 v32, v4, 16, v3
	v_cmp_gt_u32_e32 vcc, s74, v2
	s_mov_b64 s[44:45], 0
	v_mov_b32_e32 v33, 0
	v_mov_b32_e32 v20, 0
	;; [unrolled: 1-line block ×5, first 2 shown]
                                        ; implicit-def: $sgpr42_sgpr43
                                        ; implicit-def: $vgpr37
	s_and_saveexec_b64 s[40:41], vcc
	s_cbranch_execz .LBB608_99
; %bb.88:
	v_lshrrev_b32_e32 v2, 16, v5
	v_mov_b32_e32 v4, s7
	v_cmp_eq_u16_sdwa vcc, v6, v6 src0_sel:DWORD src1_sel:WORD_1
	v_cndmask_b32_e32 v2, v4, v2, vcc
	v_cmp_ne_u16_sdwa s[42:43], v6, v6 src0_sel:DWORD src1_sel:WORD_1
	v_add_u32_e32 v3, 17, v40
	v_and_b32_e32 v2, 0xffff, v2
	v_cndmask_b32_e64 v4, 0, 1, s[42:43]
	v_lshl_or_b32 v33, v4, 16, v2
	v_cmp_gt_u32_e32 vcc, s74, v3
	v_mov_b32_e32 v20, 0
	v_mov_b32_e32 v34, 0
	;; [unrolled: 1-line block ×4, first 2 shown]
                                        ; implicit-def: $sgpr46_sgpr47
                                        ; implicit-def: $vgpr37
	s_and_saveexec_b64 s[42:43], vcc
	s_cbranch_execz .LBB608_98
; %bb.89:
	ds_read_b64 v[2:3], v38 offset:34
	v_mov_b32_e32 v5, s7
	v_cmp_eq_u16_sdwa vcc, v6, v7 src0_sel:WORD_1 src1_sel:DWORD
	v_cmp_ne_u16_sdwa s[44:45], v6, v7 src0_sel:WORD_1 src1_sel:DWORD
	v_add_u32_e32 v4, 18, v40
	s_waitcnt lgkmcnt(0)
	v_cndmask_b32_e32 v5, v5, v2, vcc
	v_and_b32_e32 v5, 0xffff, v5
	v_cndmask_b32_e64 v6, 0, 1, s[44:45]
	v_lshl_or_b32 v20, v6, 16, v5
	v_cmp_gt_u32_e32 vcc, s74, v4
	s_mov_b64 s[48:49], 0
	v_mov_b32_e32 v34, 0
	v_mov_b32_e32 v21, 0
	;; [unrolled: 1-line block ×3, first 2 shown]
                                        ; implicit-def: $sgpr46_sgpr47
                                        ; implicit-def: $vgpr37
	s_and_saveexec_b64 s[44:45], vcc
	s_cbranch_execz .LBB608_97
; %bb.90:
	v_lshrrev_b32_e32 v2, 16, v2
	v_mov_b32_e32 v5, s7
	v_cmp_eq_u16_sdwa vcc, v7, v7 src0_sel:DWORD src1_sel:WORD_1
	v_cndmask_b32_e32 v2, v5, v2, vcc
	v_cmp_ne_u16_sdwa s[46:47], v7, v7 src0_sel:DWORD src1_sel:WORD_1
	v_add_u32_e32 v4, 19, v40
	v_and_b32_e32 v2, 0xffff, v2
	v_cndmask_b32_e64 v5, 0, 1, s[46:47]
	v_lshl_or_b32 v34, v5, 16, v2
	v_cmp_gt_u32_e32 vcc, s74, v4
	v_mov_b32_e32 v21, 0
	v_mov_b32_e32 v35, 0
                                        ; implicit-def: $sgpr56_sgpr57
                                        ; implicit-def: $vgpr37
	s_and_saveexec_b64 s[46:47], vcc
	s_cbranch_execz .LBB608_96
; %bb.91:
	v_mov_b32_e32 v4, s7
	v_cmp_eq_u16_sdwa vcc, v7, v39 src0_sel:WORD_1 src1_sel:DWORD
	v_cndmask_b32_e32 v4, v4, v3, vcc
	v_cmp_ne_u16_sdwa s[48:49], v7, v39 src0_sel:WORD_1 src1_sel:DWORD
	v_add_u32_e32 v2, 20, v40
	v_and_b32_e32 v4, 0xffff, v4
	v_cndmask_b32_e64 v5, 0, 1, s[48:49]
	v_lshl_or_b32 v21, v5, 16, v4
	v_cmp_gt_u32_e32 vcc, s74, v2
	s_mov_b64 s[68:69], 0
	v_mov_b32_e32 v35, 0
                                        ; implicit-def: $sgpr70_sgpr71
                                        ; implicit-def: $vgpr37
	s_and_saveexec_b64 s[48:49], vcc
	s_cbranch_execz .LBB608_95
; %bb.92:
	v_lshrrev_b32_e32 v2, 16, v3
	v_mov_b32_e32 v4, s7
	v_cmp_eq_u16_sdwa vcc, v39, v39 src0_sel:DWORD src1_sel:WORD_1
	v_cndmask_b32_e32 v2, v4, v2, vcc
	v_cmp_ne_u16_sdwa s[56:57], v39, v39 src0_sel:DWORD src1_sel:WORD_1
	v_add_u32_e32 v3, 21, v40
	v_and_b32_e32 v2, 0xffff, v2
	v_cndmask_b32_e64 v4, 0, 1, s[56:57]
	v_lshl_or_b32 v35, v4, 16, v2
	v_cmp_gt_u32_e32 vcc, s74, v3
	s_mov_b64 s[56:57], 0
                                        ; implicit-def: $sgpr68_sgpr69
                                        ; implicit-def: $vgpr37
	s_and_saveexec_b64 s[70:71], vcc
	s_xor_b64 s[70:71], exec, s[70:71]
	s_cbranch_execz .LBB608_94
; %bb.93:
	ds_read_u16 v2, v38 offset:42
	v_mov_b32_e32 v3, s7
	v_cmp_ne_u16_sdwa vcc, v39, v36 src0_sel:WORD_1 src1_sel:DWORD
	s_mov_b64 s[56:57], exec
	s_and_b64 s[68:69], vcc, exec
	s_waitcnt lgkmcnt(0)
	v_cndmask_b32_e32 v37, v2, v3, vcc
.LBB608_94:
	s_or_b64 exec, exec, s[70:71]
	s_and_b64 s[70:71], s[68:69], exec
	s_and_b64 s[68:69], s[56:57], exec
.LBB608_95:
	s_or_b64 exec, exec, s[48:49]
	s_and_b64 s[56:57], s[70:71], exec
	s_and_b64 s[48:49], s[68:69], exec
.LBB608_96:
	s_or_b64 exec, exec, s[46:47]
	s_and_b64 s[46:47], s[56:57], exec
	s_and_b64 s[48:49], s[48:49], exec
.LBB608_97:
	s_or_b64 exec, exec, s[44:45]
	s_and_b64 s[46:47], s[46:47], exec
	s_and_b64 s[44:45], s[48:49], exec
.LBB608_98:
	s_or_b64 exec, exec, s[42:43]
	s_and_b64 s[42:43], s[46:47], exec
	s_and_b64 s[44:45], s[44:45], exec
.LBB608_99:
	s_or_b64 exec, exec, s[40:41]
	s_and_b64 s[42:43], s[42:43], exec
	s_and_b64 s[40:41], s[44:45], exec
.LBB608_100:
	s_or_b64 exec, exec, s[38:39]
	s_and_b64 s[38:39], s[42:43], exec
	s_and_b64 s[40:41], s[40:41], exec
.LBB608_101:
	s_or_b64 exec, exec, s[36:37]
	s_and_b64 s[38:39], s[38:39], exec
	s_and_b64 s[36:37], s[40:41], exec
.LBB608_102:
	s_or_b64 exec, exec, s[34:35]
	s_and_b64 s[34:35], s[38:39], exec
	s_and_b64 s[36:37], s[36:37], exec
.LBB608_103:
	s_or_b64 exec, exec, s[30:31]
	s_and_b64 s[34:35], s[34:35], exec
	s_and_b64 s[30:31], s[36:37], exec
.LBB608_104:
	s_or_b64 exec, exec, s[28:29]
	s_and_b64 s[28:29], s[34:35], exec
	s_and_b64 s[30:31], s[30:31], exec
.LBB608_105:
	s_or_b64 exec, exec, s[26:27]
	s_and_b64 s[28:29], s[28:29], exec
	s_and_b64 s[26:27], s[30:31], exec
.LBB608_106:
	s_or_b64 exec, exec, s[24:25]
	s_and_b64 s[24:25], s[28:29], exec
	s_and_b64 s[26:27], s[26:27], exec
.LBB608_107:
	s_or_b64 exec, exec, s[22:23]
	s_and_b64 s[24:25], s[24:25], exec
	s_and_b64 s[22:23], s[26:27], exec
.LBB608_108:
	s_or_b64 exec, exec, s[20:21]
	s_and_b64 s[20:21], s[24:25], exec
	s_and_b64 s[22:23], s[22:23], exec
.LBB608_109:
	s_or_b64 exec, exec, s[18:19]
	s_and_b64 s[20:21], s[20:21], exec
	s_and_b64 s[18:19], s[22:23], exec
.LBB608_110:
	s_or_b64 exec, exec, s[16:17]
	s_and_b64 s[16:17], s[20:21], exec
	s_and_b64 s[18:19], s[18:19], exec
.LBB608_111:
	s_or_b64 exec, exec, s[14:15]
	s_and_b64 s[16:17], s[16:17], exec
	s_and_b64 s[14:15], s[18:19], exec
.LBB608_112:
	s_or_b64 exec, exec, s[12:13]
	s_and_b64 s[12:13], s[16:17], exec
	s_and_b64 s[14:15], s[14:15], exec
.LBB608_113:
	s_or_b64 exec, exec, s[10:11]
	s_and_b64 s[12:13], s[12:13], exec
	s_and_b64 s[10:11], s[14:15], exec
.LBB608_114:
	s_or_b64 exec, exec, s[8:9]
	s_and_b64 s[8:9], s[12:13], exec
	s_and_b64 s[10:11], s[10:11], exec
.LBB608_115:
	s_or_b64 exec, exec, s[4:5]
	s_and_b64 vcc, exec, s[2:3]
	v_lshlrev_b32_e32 v36, 1, v0
	s_cbranch_vccnz .LBB608_117
	s_branch .LBB608_122
.LBB608_116:
	s_mov_b64 s[10:11], 0
                                        ; implicit-def: $sgpr8_sgpr9
                                        ; implicit-def: $vgpr37
                                        ; implicit-def: $vgpr1
                                        ; implicit-def: $vgpr18
                                        ; implicit-def: $vgpr22
                                        ; implicit-def: $vgpr19
                                        ; implicit-def: $vgpr23
                                        ; implicit-def: $vgpr16
                                        ; implicit-def: $vgpr24
                                        ; implicit-def: $vgpr17
                                        ; implicit-def: $vgpr25
                                        ; implicit-def: $vgpr26
                                        ; implicit-def: $vgpr27
                                        ; implicit-def: $vgpr28
                                        ; implicit-def: $vgpr29
                                        ; implicit-def: $vgpr30
                                        ; implicit-def: $vgpr31
                                        ; implicit-def: $vgpr32
                                        ; implicit-def: $vgpr33
                                        ; implicit-def: $vgpr20
                                        ; implicit-def: $vgpr34
                                        ; implicit-def: $vgpr21
                                        ; implicit-def: $vgpr35
                                        ; implicit-def: $sgpr73
	s_and_b64 vcc, exec, s[2:3]
	v_lshlrev_b32_e32 v36, 1, v0
	s_cbranch_vccz .LBB608_122
.LBB608_117:
	v_mov_b32_e32 v1, s67
	v_add_co_u32_e32 v2, vcc, s66, v36
	v_addc_co_u32_e32 v3, vcc, 0, v1, vcc
	v_add_co_u32_e32 v4, vcc, 0x1000, v2
	v_addc_co_u32_e32 v5, vcc, 0, v3, vcc
	flat_load_ushort v1, v[2:3]
	flat_load_ushort v6, v[2:3] offset:512
	flat_load_ushort v7, v[2:3] offset:1024
	;; [unrolled: 1-line block ×7, first 2 shown]
	v_add_co_u32_e32 v2, vcc, 0x2000, v2
	v_addc_co_u32_e32 v3, vcc, 0, v3, vcc
	flat_load_ushort v13, v[4:5]
	flat_load_ushort v14, v[4:5] offset:512
	flat_load_ushort v15, v[4:5] offset:1024
	;; [unrolled: 1-line block ×7, first 2 shown]
	s_nop 0
	flat_load_ushort v4, v[2:3]
	flat_load_ushort v5, v[2:3] offset:512
	flat_load_ushort v21, v[2:3] offset:1024
	;; [unrolled: 1-line block ×5, first 2 shown]
	v_mov_b32_e32 v2, s66
	v_mov_b32_e32 v3, s67
	v_add_co_u32_e32 v2, vcc, 0x2000, v2
	v_addc_co_u32_e32 v3, vcc, 0, v3, vcc
	s_movk_i32 s2, 0xffd6
	s_movk_i32 s5, 0x1000
	;; [unrolled: 1-line block ×3, first 2 shown]
	s_waitcnt vmcnt(0) lgkmcnt(0)
	ds_write_b16 v36, v1
	ds_write_b16 v36, v6 offset:512
	ds_write_b16 v36, v7 offset:1024
	;; [unrolled: 1-line block ×21, first 2 shown]
	s_waitcnt lgkmcnt(0)
	s_barrier
	flat_load_ushort v37, v[2:3] offset:3072
	v_mad_u32_u24 v1, v0, 42, v36
	v_mad_i32_i24 v2, v0, s2, v1
	s_movk_i32 s2, 0xff
	v_cmp_ne_u32_e32 vcc, s2, v0
	ds_read2_b32 v[18:19], v1 offset1:1
	ds_read2_b32 v[16:17], v1 offset0:2 offset1:3
	ds_read2_b32 v[14:15], v1 offset0:4 offset1:5
	;; [unrolled: 1-line block ×4, first 2 shown]
	ds_read_b32 v38, v1 offset:40
	s_waitcnt lgkmcnt(0)
	ds_write_b16 v2, v18 offset:11776
	s_waitcnt lgkmcnt(0)
	s_barrier
	s_and_saveexec_b64 s[2:3], vcc
	s_cbranch_execz .LBB608_119
; %bb.118:
	s_waitcnt vmcnt(0)
	ds_read_u16 v37, v36 offset:11778
.LBB608_119:
	s_or_b64 exec, exec, s[2:3]
	v_mov_b32_e32 v3, s72
	v_add_co_u32_e32 v2, vcc, s55, v36
	v_addc_co_u32_e32 v3, vcc, 0, v3, vcc
	v_add_co_u32_e32 v4, vcc, s5, v2
	v_addc_co_u32_e32 v5, vcc, 0, v3, vcc
	s_waitcnt lgkmcnt(0)
	s_barrier
	flat_load_ushort v6, v[2:3]
	flat_load_ushort v7, v[2:3] offset:512
	flat_load_ushort v8, v[2:3] offset:1024
	flat_load_ushort v9, v[2:3] offset:1536
	flat_load_ushort v20, v[2:3] offset:2048
	flat_load_ushort v21, v[2:3] offset:2560
	flat_load_ushort v22, v[2:3] offset:3072
	flat_load_ushort v23, v[2:3] offset:3584
	v_add_co_u32_e32 v2, vcc, s4, v2
	v_addc_co_u32_e32 v3, vcc, 0, v3, vcc
	flat_load_ushort v24, v[4:5]
	flat_load_ushort v25, v[4:5] offset:512
	flat_load_ushort v26, v[4:5] offset:1024
	;; [unrolled: 1-line block ×7, first 2 shown]
	s_nop 0
	flat_load_ushort v4, v[2:3]
	flat_load_ushort v5, v[2:3] offset:512
	flat_load_ushort v32, v[2:3] offset:1024
	;; [unrolled: 1-line block ×5, first 2 shown]
	v_cmp_eq_u16_sdwa s[4:5], v18, v18 src0_sel:DWORD src1_sel:WORD_1
	s_waitcnt vmcnt(0) lgkmcnt(0)
	ds_write_b16 v36, v6
	ds_write_b16 v36, v7 offset:512
	ds_write_b16 v36, v8 offset:1024
	;; [unrolled: 1-line block ×21, first 2 shown]
	s_waitcnt lgkmcnt(0)
	s_barrier
	ds_read_b128 v[6:9], v1 offset:2
	ds_read_b128 v[2:5], v1 offset:18
	ds_read_b64 v[20:21], v1 offset:34
	ds_read_u16 v39, v1 offset:42
	v_mov_b32_e32 v22, 0x10000
	v_mov_b32_e32 v23, s7
	s_and_saveexec_b64 s[2:3], s[4:5]
	s_cbranch_execz .LBB608_121
; %bb.120:
	ds_read_u16 v23, v1
	v_mov_b32_e32 v22, 0
.LBB608_121:
	s_or_b64 exec, exec, s[2:3]
	v_mov_b32_e32 v40, s7
	v_cmp_eq_u16_sdwa vcc, v18, v19 src0_sel:WORD_1 src1_sel:DWORD
	s_waitcnt lgkmcnt(3)
	v_lshrrev_b32_e32 v24, 16, v6
	v_cndmask_b32_e32 v6, v40, v6, vcc
	v_cmp_ne_u16_sdwa s[2:3], v18, v19 src0_sel:WORD_1 src1_sel:DWORD
	v_and_b32_e32 v6, 0xffff, v6
	v_cndmask_b32_e64 v18, 0, 1, s[2:3]
	v_cmp_eq_u16_sdwa vcc, v19, v19 src0_sel:DWORD src1_sel:WORD_1
	v_lshl_or_b32 v18, v18, 16, v6
	v_cndmask_b32_e32 v6, v40, v24, vcc
	v_cmp_ne_u16_sdwa s[2:3], v19, v19 src0_sel:DWORD src1_sel:WORD_1
	s_waitcnt lgkmcnt(0)
	v_or_b32_sdwa v1, v22, v23 dst_sel:DWORD dst_unused:UNUSED_PAD src0_sel:DWORD src1_sel:WORD_0
	v_and_b32_e32 v6, 0xffff, v6
	v_cndmask_b32_e64 v22, 0, 1, s[2:3]
	v_cmp_eq_u16_sdwa vcc, v19, v16 src0_sel:WORD_1 src1_sel:DWORD
	v_lshl_or_b32 v22, v22, 16, v6
	v_cndmask_b32_e32 v6, v40, v7, vcc
	v_cmp_ne_u16_sdwa s[2:3], v19, v16 src0_sel:WORD_1 src1_sel:DWORD
	v_lshrrev_b32_e32 v25, 16, v7
	v_and_b32_e32 v6, 0xffff, v6
	v_cndmask_b32_e64 v7, 0, 1, s[2:3]
	v_cmp_eq_u16_sdwa vcc, v16, v16 src0_sel:DWORD src1_sel:WORD_1
	v_lshl_or_b32 v19, v7, 16, v6
	v_cndmask_b32_e32 v6, v40, v25, vcc
	v_cmp_ne_u16_sdwa s[2:3], v16, v16 src0_sel:DWORD src1_sel:WORD_1
	v_and_b32_e32 v6, 0xffff, v6
	v_cndmask_b32_e64 v7, 0, 1, s[2:3]
	v_cmp_eq_u16_sdwa vcc, v16, v17 src0_sel:WORD_1 src1_sel:DWORD
	v_lshl_or_b32 v23, v7, 16, v6
	v_cndmask_b32_e32 v6, v40, v8, vcc
	v_cmp_ne_u16_sdwa s[2:3], v16, v17 src0_sel:WORD_1 src1_sel:DWORD
	v_lshrrev_b32_e32 v26, 16, v8
	v_and_b32_e32 v6, 0xffff, v6
	v_cndmask_b32_e64 v7, 0, 1, s[2:3]
	v_cmp_eq_u16_sdwa vcc, v17, v17 src0_sel:DWORD src1_sel:WORD_1
	v_lshl_or_b32 v16, v7, 16, v6
	v_cndmask_b32_e32 v6, v40, v26, vcc
	v_cmp_ne_u16_sdwa s[2:3], v17, v17 src0_sel:DWORD src1_sel:WORD_1
	;; [unrolled: 13-line block ×3, first 2 shown]
	v_cmp_eq_u16_sdwa vcc, v14, v15 src0_sel:WORD_1 src1_sel:DWORD
	v_lshrrev_b32_e32 v28, 16, v2
	v_and_b32_e32 v6, 0xffff, v6
	v_cndmask_b32_e64 v7, 0, 1, s[2:3]
	v_cndmask_b32_e32 v2, v40, v2, vcc
	v_cmp_ne_u16_sdwa s[2:3], v14, v15 src0_sel:WORD_1 src1_sel:DWORD
	v_lshl_or_b32 v25, v7, 16, v6
	v_and_b32_e32 v2, 0xffff, v2
	v_cndmask_b32_e64 v6, 0, 1, s[2:3]
	v_cmp_eq_u16_sdwa vcc, v15, v15 src0_sel:DWORD src1_sel:WORD_1
	v_lshl_or_b32 v26, v6, 16, v2
	v_cndmask_b32_e32 v2, v40, v28, vcc
	v_cmp_ne_u16_sdwa s[2:3], v15, v15 src0_sel:DWORD src1_sel:WORD_1
	v_and_b32_e32 v2, 0xffff, v2
	v_cndmask_b32_e64 v6, 0, 1, s[2:3]
	v_cmp_eq_u16_sdwa vcc, v15, v12 src0_sel:WORD_1 src1_sel:DWORD
	v_lshl_or_b32 v27, v6, 16, v2
	v_cndmask_b32_e32 v2, v40, v3, vcc
	v_cmp_ne_u16_sdwa s[2:3], v15, v12 src0_sel:WORD_1 src1_sel:DWORD
	v_lshrrev_b32_e32 v29, 16, v3
	v_and_b32_e32 v2, 0xffff, v2
	v_cndmask_b32_e64 v3, 0, 1, s[2:3]
	v_cmp_eq_u16_sdwa vcc, v12, v12 src0_sel:DWORD src1_sel:WORD_1
	v_lshl_or_b32 v28, v3, 16, v2
	v_cndmask_b32_e32 v2, v40, v29, vcc
	v_cmp_ne_u16_sdwa s[2:3], v12, v12 src0_sel:DWORD src1_sel:WORD_1
	v_and_b32_e32 v2, 0xffff, v2
	v_cndmask_b32_e64 v3, 0, 1, s[2:3]
	v_cmp_eq_u16_sdwa vcc, v12, v13 src0_sel:WORD_1 src1_sel:DWORD
	v_lshl_or_b32 v29, v3, 16, v2
	v_cndmask_b32_e32 v2, v40, v4, vcc
	v_cmp_ne_u16_sdwa s[2:3], v12, v13 src0_sel:WORD_1 src1_sel:DWORD
	v_lshrrev_b32_e32 v31, 16, v4
	;; [unrolled: 13-line block ×5, first 2 shown]
	v_and_b32_e32 v2, 0xffff, v2
	v_cndmask_b32_e64 v3, 0, 1, s[2:3]
	v_cmp_eq_u16_sdwa vcc, v38, v38 src0_sel:DWORD src1_sel:WORD_1
	v_lshl_or_b32 v21, v3, 16, v2
	v_cndmask_b32_e32 v2, v40, v35, vcc
	v_cmp_ne_u16_sdwa s[2:3], v38, v38 src0_sel:DWORD src1_sel:WORD_1
	v_and_b32_e32 v2, 0xffff, v2
	v_cndmask_b32_e64 v3, 0, 1, s[2:3]
	v_cmp_ne_u16_sdwa s[8:9], v38, v37 src0_sel:WORD_1 src1_sel:DWORD
	v_lshl_or_b32 v35, v3, 16, v2
	v_cndmask_b32_e64 v37, v39, v40, s[8:9]
	s_mov_b64 s[10:11], -1
                                        ; implicit-def: $sgpr73
.LBB608_122:
	v_mov_b32_e32 v12, s73
	s_and_saveexec_b64 s[2:3], s[10:11]
; %bb.123:
	v_mov_b32_e32 v2, 0x10000
	v_cndmask_b32_e64 v2, 0, v2, s[8:9]
	v_or_b32_sdwa v12, v2, v37 dst_sel:DWORD dst_unused:UNUSED_PAD src0_sel:DWORD src1_sel:WORD_0
; %bb.124:
	s_or_b64 exec, exec, s[2:3]
	v_or3_b32 v2, v12, v35, v21
	s_cmp_lg_u32 s6, 0
	v_or3_b32 v15, v2, v34, v20
	v_lshrrev_b32_e32 v13, 16, v1
	v_lshrrev_b32_e32 v14, 5, v0
	v_cmp_gt_u32_e32 vcc, 64, v0
	s_barrier
	s_cbranch_scc0 .LBB608_205
; %bb.125:
	s_mov_b32 s44, 0x10000
	v_cmp_gt_u32_e64 s[2:3], s44, v18
	v_cndmask_b32_e64 v2, 1, v1, s[2:3]
	v_mul_lo_u16_e32 v2, v2, v18
	v_cmp_gt_u32_e64 s[4:5], s44, v22
	v_cndmask_b32_e64 v2, 1, v2, s[4:5]
	v_mul_lo_u16_e32 v2, v2, v22
	;; [unrolled: 3-line block ×21, first 2 shown]
	v_or3_b32 v2, v15, v33, v32
	v_or3_b32 v2, v2, v31, v30
	;; [unrolled: 1-line block ×8, first 2 shown]
	v_and_b32_e32 v2, 0x10000, v2
	v_cmp_ne_u32_e64 s[44:45], 0, v2
	v_mov_b32_e32 v5, 0x10000
	v_cndmask_b32_e64 v38, v13, 1, s[44:45]
	v_add_lshl_u32 v2, v14, v0, 2
	ds_write_b16 v2, v37
	ds_write_b8 v2, v38 offset:2
	s_waitcnt lgkmcnt(0)
	s_barrier
	s_and_saveexec_b64 s[46:47], vcc
	s_cbranch_execz .LBB608_139
; %bb.126:
	v_lshlrev_b32_e32 v2, 2, v0
	v_lshrrev_b32_e32 v3, 3, v0
	v_add_lshl_u32 v2, v3, v2, 2
	ds_read_b32 v3, v2
	ds_read_u16 v4, v2 offset:4
	ds_read_u8 v6, v2 offset:6
	ds_read_u16 v7, v2 offset:8
	ds_read_u8 v8, v2 offset:10
	;; [unrolled: 2-line block ×3, first 2 shown]
	v_mov_b32_e32 v11, 0
	s_waitcnt lgkmcnt(4)
	v_cmp_eq_u16_sdwa s[44:45], v6, v11 src0_sel:BYTE_0 src1_sel:DWORD
	v_cndmask_b32_e64 v39, 1, v3, s[44:45]
	v_mul_lo_u16_e32 v39, v39, v4
	s_waitcnt lgkmcnt(2)
	v_cmp_eq_u16_sdwa s[44:45], v8, v11 src0_sel:BYTE_0 src1_sel:DWORD
	s_waitcnt lgkmcnt(0)
	v_or_b32_e32 v8, v10, v8
	v_cndmask_b32_e64 v11, 1, v39, s[44:45]
	v_or_b32_e32 v6, v8, v6
	v_mul_lo_u16_e32 v7, v11, v7
	v_cmp_eq_u16_e64 s[44:45], 0, v10
	v_and_b32_e32 v6, 1, v6
	v_and_b32_e32 v4, 0x10000, v3
	v_cndmask_b32_e64 v11, 1, v7, s[44:45]
	v_cmp_eq_u32_e64 s[44:45], 1, v6
	v_mbcnt_lo_u32_b32 v6, -1, 0
	v_mul_lo_u16_e32 v7, v11, v9
	v_cndmask_b32_e64 v39, v4, v5, s[44:45]
	v_mul_lo_u16_e32 v9, v11, v9
	v_and_b32_e32 v5, 0xff000000, v3
	v_mbcnt_hi_u32_b32 v6, -1, v6
	v_or_b32_e32 v10, v39, v5
	v_and_b32_e32 v11, 15, v6
	v_or3_b32 v9, v5, v9, v39
	s_movk_i32 s55, 0xff
	v_lshrrev_b32_e32 v8, 16, v10
	v_mov_b32_dpp v39, v9 row_shr:1 row_mask:0xf bank_mask:0xf
	v_cmp_ne_u32_e64 s[44:45], 0, v11
	s_and_saveexec_b64 s[56:57], s[44:45]
	s_cbranch_execz .LBB608_128
; %bb.127:
	v_and_b32_sdwa v8, v10, s55 dst_sel:DWORD dst_unused:UNUSED_PAD src0_sel:WORD_1 src1_sel:DWORD
	v_cmp_eq_u16_e64 s[44:45], 0, v8
	v_and_b32_e32 v8, 0x10000, v10
	v_mov_b32_e32 v10, 1
	v_cndmask_b32_e64 v9, 1, v39, s[44:45]
	v_and_b32_sdwa v10, v39, v10 dst_sel:DWORD dst_unused:UNUSED_PAD src0_sel:WORD_1 src1_sel:DWORD
	v_cmp_ne_u32_e64 s[44:45], 0, v8
	v_cndmask_b32_e64 v8, v10, 1, s[44:45]
	v_mul_lo_u16_e32 v40, v9, v7
	v_lshlrev_b32_e32 v10, 16, v8
	v_mul_lo_u16_e32 v7, v9, v7
	v_or3_b32 v9, v10, v7, v5
	v_mov_b32_e32 v7, v40
.LBB608_128:
	s_or_b64 exec, exec, s[56:57]
	v_lshrrev_b32_e32 v10, 16, v9
	v_mov_b32_dpp v39, v9 row_shr:2 row_mask:0xf bank_mask:0xf
	v_cmp_lt_u32_e64 s[44:45], 1, v11
	s_and_saveexec_b64 s[56:57], s[44:45]
	s_cbranch_execz .LBB608_130
; %bb.129:
	v_mov_b32_e32 v8, 0
	v_cmp_eq_u16_sdwa s[44:45], v10, v8 src0_sel:BYTE_0 src1_sel:DWORD
	v_and_b32_e32 v8, 0x10000, v9
	v_mov_b32_e32 v9, 1
	v_cndmask_b32_e64 v10, 1, v39, s[44:45]
	v_and_b32_sdwa v9, v39, v9 dst_sel:DWORD dst_unused:UNUSED_PAD src0_sel:WORD_1 src1_sel:DWORD
	v_cmp_ne_u32_e64 s[44:45], 0, v8
	v_cndmask_b32_e64 v8, v9, 1, s[44:45]
	v_mul_lo_u16_e32 v40, v10, v7
	v_lshlrev_b32_e32 v9, 16, v8
	v_mul_lo_u16_e32 v7, v10, v7
	v_or3_b32 v9, v9, v7, v5
	v_mov_b32_e32 v10, v8
	v_mov_b32_e32 v7, v40
.LBB608_130:
	s_or_b64 exec, exec, s[56:57]
	v_mov_b32_dpp v39, v9 row_shr:4 row_mask:0xf bank_mask:0xf
	v_cmp_lt_u32_e64 s[44:45], 3, v11
	s_and_saveexec_b64 s[56:57], s[44:45]
	s_cbranch_execz .LBB608_132
; %bb.131:
	v_mov_b32_e32 v8, 0
	v_cmp_eq_u16_sdwa s[44:45], v10, v8 src0_sel:BYTE_0 src1_sel:DWORD
	v_and_b32_e32 v8, 1, v10
	v_mov_b32_e32 v10, 1
	v_cndmask_b32_e64 v9, 1, v39, s[44:45]
	v_and_b32_sdwa v10, v39, v10 dst_sel:DWORD dst_unused:UNUSED_PAD src0_sel:WORD_1 src1_sel:DWORD
	v_cmp_eq_u32_e64 s[44:45], 1, v8
	v_cndmask_b32_e64 v8, v10, 1, s[44:45]
	v_mul_lo_u16_e32 v40, v9, v7
	v_lshlrev_b32_e32 v10, 16, v8
	v_mul_lo_u16_e32 v7, v9, v7
	v_or3_b32 v9, v10, v7, v5
	v_mov_b32_e32 v10, v8
	v_mov_b32_e32 v7, v40
.LBB608_132:
	s_or_b64 exec, exec, s[56:57]
	v_mov_b32_dpp v39, v9 row_shr:8 row_mask:0xf bank_mask:0xf
	v_cmp_lt_u32_e64 s[44:45], 7, v11
	s_and_saveexec_b64 s[56:57], s[44:45]
	s_cbranch_execz .LBB608_134
; %bb.133:
	v_mov_b32_e32 v8, 0
	v_cmp_eq_u16_sdwa s[44:45], v10, v8 src0_sel:BYTE_0 src1_sel:DWORD
	v_and_b32_e32 v8, 1, v10
	v_mov_b32_e32 v10, 1
	v_cndmask_b32_e64 v9, 1, v39, s[44:45]
	v_and_b32_sdwa v10, v39, v10 dst_sel:DWORD dst_unused:UNUSED_PAD src0_sel:WORD_1 src1_sel:DWORD
	v_cmp_eq_u32_e64 s[44:45], 1, v8
	v_cndmask_b32_e64 v8, v10, 1, s[44:45]
	v_mul_lo_u16_e32 v11, v9, v7
	v_lshlrev_b32_e32 v10, 16, v8
	v_mul_lo_u16_e32 v7, v9, v7
	v_or3_b32 v9, v10, v7, v5
	v_mov_b32_e32 v10, v8
	v_mov_b32_e32 v7, v11
.LBB608_134:
	s_or_b64 exec, exec, s[56:57]
	v_and_b32_e32 v39, 16, v6
	v_mov_b32_dpp v11, v9 row_bcast:15 row_mask:0xf bank_mask:0xf
	v_cmp_ne_u32_e64 s[44:45], 0, v39
	s_and_saveexec_b64 s[56:57], s[44:45]
	s_cbranch_execz .LBB608_136
; %bb.135:
	v_mov_b32_e32 v8, 0
	v_cmp_eq_u16_sdwa s[44:45], v10, v8 src0_sel:BYTE_0 src1_sel:DWORD
	v_and_b32_e32 v8, 1, v10
	v_mov_b32_e32 v10, 1
	v_cndmask_b32_e64 v9, 1, v11, s[44:45]
	v_and_b32_sdwa v10, v11, v10 dst_sel:DWORD dst_unused:UNUSED_PAD src0_sel:WORD_1 src1_sel:DWORD
	v_cmp_eq_u32_e64 s[44:45], 1, v8
	v_cndmask_b32_e64 v8, v10, 1, s[44:45]
	v_mul_lo_u16_e32 v39, v9, v7
	v_lshlrev_b32_e32 v10, 16, v8
	v_mul_lo_u16_e32 v7, v9, v7
	v_or3_b32 v9, v10, v7, v5
	v_mov_b32_e32 v10, v8
	v_mov_b32_e32 v7, v39
.LBB608_136:
	s_or_b64 exec, exec, s[56:57]
	v_mov_b32_dpp v9, v9 row_bcast:31 row_mask:0xf bank_mask:0xf
	v_cmp_lt_u32_e64 s[44:45], 31, v6
	s_and_saveexec_b64 s[56:57], s[44:45]
; %bb.137:
	v_mov_b32_e32 v8, 0
	v_cmp_eq_u16_sdwa s[44:45], v10, v8 src0_sel:BYTE_0 src1_sel:DWORD
	v_cndmask_b32_e64 v8, 1, v9, s[44:45]
	v_mul_lo_u16_e32 v7, v8, v7
	v_and_b32_e32 v8, 1, v10
	v_mov_b32_e32 v10, 1
	v_and_b32_sdwa v9, v9, v10 dst_sel:DWORD dst_unused:UNUSED_PAD src0_sel:WORD_1 src1_sel:DWORD
	v_cmp_eq_u32_e64 s[44:45], 1, v8
	v_cndmask_b32_e64 v8, v9, 1, s[44:45]
; %bb.138:
	s_or_b64 exec, exec, s[56:57]
	v_and_b32_e32 v8, 0xff, v8
	v_lshlrev_b32_e32 v8, 16, v8
	v_and_b32_e32 v7, 0xffff, v7
	v_or3_b32 v5, v8, v7, v5
	v_add_u32_e32 v7, -1, v6
	v_and_b32_e32 v8, 64, v6
	v_cmp_lt_i32_e64 s[44:45], v7, v8
	v_cndmask_b32_e64 v6, v7, v6, s[44:45]
	v_lshlrev_b32_e32 v6, 2, v6
	ds_bpermute_b32 v5, v6, v5
	v_and_b32_e32 v6, 0xff0000, v3
	v_cmp_eq_u32_e64 s[44:45], 0, v6
	; wave barrier
	s_waitcnt lgkmcnt(0)
	v_cndmask_b32_e64 v6, 1, v5, s[44:45]
	v_mul_lo_u16_e32 v3, v6, v3
	v_mov_b32_e32 v6, 1
	v_and_b32_sdwa v5, v5, v6 dst_sel:DWORD dst_unused:UNUSED_PAD src0_sel:WORD_1 src1_sel:DWORD
	v_cmp_eq_u32_e64 s[44:45], 0, v4
	v_cndmask_b32_e64 v4, 1, v5, s[44:45]
	v_cmp_eq_u32_e64 s[44:45], 0, v0
	v_cndmask_b32_e64 v3, v3, v37, s[44:45]
	v_cndmask_b32_e64 v4, v4, v38, s[44:45]
	ds_write_b16 v2, v3
	ds_write_b8 v2, v4 offset:2
	; wave barrier
	ds_read_u16 v5, v2 offset:4
	ds_read_u8 v6, v2 offset:6
	ds_read_u16 v7, v2 offset:8
	ds_read_u8 v8, v2 offset:10
	;; [unrolled: 2-line block ×3, first 2 shown]
	s_waitcnt lgkmcnt(4)
	v_cmp_eq_u16_e64 s[44:45], 0, v6
	v_cndmask_b32_e64 v3, 1, v3, s[44:45]
	v_mul_lo_u16_e32 v3, v3, v5
	v_and_b32_e32 v5, 1, v6
	v_cmp_eq_u32_e64 s[44:45], 1, v5
	v_cndmask_b32_e64 v4, v4, 1, s[44:45]
	s_waitcnt lgkmcnt(2)
	v_cmp_eq_u16_e64 s[44:45], 0, v8
	v_and_b32_e32 v5, 1, v8
	ds_write_b16 v2, v3 offset:4
	ds_write_b8 v2, v4 offset:6
	v_cndmask_b32_e64 v3, 1, v3, s[44:45]
	v_cmp_eq_u32_e64 s[44:45], 1, v5
	v_mul_lo_u16_e32 v3, v3, v7
	v_cndmask_b32_e64 v4, v4, 1, s[44:45]
	s_waitcnt lgkmcnt(2)
	v_cmp_eq_u16_e64 s[44:45], 0, v10
	ds_write_b16 v2, v3 offset:8
	ds_write_b8 v2, v4 offset:10
	v_cndmask_b32_e64 v3, 1, v3, s[44:45]
	v_and_b32_e32 v5, 1, v10
	v_mul_lo_u16_e32 v3, v3, v9
	v_cmp_eq_u32_e64 s[44:45], 1, v5
	v_cndmask_b32_e64 v4, v4, 1, s[44:45]
	ds_write_b16 v2, v3 offset:12
	ds_write_b8 v2, v4 offset:14
.LBB608_139:
	s_or_b64 exec, exec, s[46:47]
	v_cmp_eq_u32_e64 s[44:45], 0, v0
	v_cmp_ne_u32_e64 s[46:47], 0, v0
	s_waitcnt lgkmcnt(0)
	s_barrier
	s_and_saveexec_b64 s[56:57], s[46:47]
	s_cbranch_execz .LBB608_141
; %bb.140:
	v_add_u32_e32 v2, -1, v0
	v_lshrrev_b32_e32 v3, 5, v2
	v_add_lshl_u32 v2, v3, v2, 2
	ds_read_u16 v37, v2
	ds_read_u8 v38, v2 offset:2
.LBB608_141:
	s_or_b64 exec, exec, s[56:57]
	s_and_saveexec_b64 s[56:57], vcc
	s_cbranch_execz .LBB608_184
; %bb.142:
	v_mov_b32_e32 v9, 0
	ds_read_b32 v2, v9 offset:1048
	v_mbcnt_lo_u32_b32 v3, -1, 0
	v_mbcnt_hi_u32_b32 v5, -1, v3
	s_mov_b32 s69, 0
	v_cmp_eq_u32_e64 s[46:47], 0, v5
	s_and_saveexec_b64 s[66:67], s[46:47]
	s_cbranch_execz .LBB608_144
; %bb.143:
	s_add_i32 s68, s6, 64
	s_lshl_b64 s[68:69], s[68:69], 3
	s_add_u32 s68, s52, s68
	v_mov_b32_e32 v3, 1
	s_addc_u32 s69, s53, s69
	s_waitcnt lgkmcnt(0)
	global_store_dwordx2 v9, v[2:3], s[68:69]
.LBB608_144:
	s_or_b64 exec, exec, s[66:67]
	v_xad_u32 v4, v5, -1, s6
	v_add_u32_e32 v8, 64, v4
	v_lshlrev_b64 v[6:7], 3, v[8:9]
	v_mov_b32_e32 v3, s53
	v_add_co_u32_e32 v10, vcc, s52, v6
	v_addc_co_u32_e32 v11, vcc, v3, v7, vcc
	global_load_dwordx2 v[6:7], v[10:11], off glc
	s_waitcnt vmcnt(0)
	v_cmp_eq_u16_sdwa s[68:69], v7, v9 src0_sel:BYTE_0 src1_sel:DWORD
	s_and_saveexec_b64 s[66:67], s[68:69]
	s_cbranch_execz .LBB608_148
; %bb.145:
	s_mov_b64 s[68:69], 0
	v_mov_b32_e32 v3, 0
.LBB608_146:                            ; =>This Inner Loop Header: Depth=1
	global_load_dwordx2 v[6:7], v[10:11], off glc
	s_waitcnt vmcnt(0)
	v_cmp_ne_u16_sdwa s[70:71], v7, v3 src0_sel:BYTE_0 src1_sel:DWORD
	s_or_b64 s[68:69], s[70:71], s[68:69]
	s_andn2_b64 exec, exec, s[68:69]
	s_cbranch_execnz .LBB608_146
; %bb.147:
	s_or_b64 exec, exec, s[68:69]
.LBB608_148:
	s_or_b64 exec, exec, s[66:67]
	v_mov_b32_e32 v3, 2
	v_cmp_eq_u16_sdwa s[66:67], v7, v3 src0_sel:BYTE_0 src1_sel:DWORD
	v_lshlrev_b64 v[8:9], v5, -1
	v_and_b32_e32 v3, s67, v9
	v_or_b32_e32 v3, 0x80000000, v3
	v_ffbl_b32_e32 v3, v3
	v_add_u32_e32 v11, 32, v3
	v_and_b32_e32 v3, 63, v5
	v_cmp_ne_u32_e32 vcc, 63, v3
	v_addc_co_u32_e32 v39, vcc, 0, v5, vcc
	v_and_b32_e32 v50, 0xffffff, v6
	v_lshlrev_b32_e32 v39, 2, v39
	ds_bpermute_b32 v40, v39, v50
	v_and_b32_e32 v10, s66, v8
	v_ffbl_b32_e32 v10, v10
	v_min_u32_e32 v11, v10, v11
	v_lshrrev_b32_e32 v10, 16, v6
	v_cmp_lt_u32_e32 vcc, v3, v11
	v_bfe_u32 v48, v6, 16, 8
	s_and_saveexec_b64 s[66:67], vcc
	s_cbranch_execz .LBB608_150
; %bb.149:
	v_and_b32_e32 v10, 0xff0000, v6
	v_cmp_eq_u32_e32 vcc, 0, v10
	v_and_b32_e32 v10, 0x10000, v10
	v_mov_b32_e32 v43, 1
	s_waitcnt lgkmcnt(0)
	v_cndmask_b32_e32 v41, 1, v40, vcc
	v_and_b32_sdwa v40, v40, v43 dst_sel:DWORD dst_unused:UNUSED_PAD src0_sel:WORD_1 src1_sel:DWORD
	v_cmp_ne_u32_e32 vcc, 0, v10
	v_cndmask_b32_e64 v10, v40, 1, vcc
	v_mul_lo_u16_e32 v42, v41, v6
	v_lshlrev_b32_e32 v40, 16, v10
	v_mul_lo_u16_e32 v6, v41, v6
	v_or_b32_e32 v50, v40, v6
	v_mov_b32_e32 v6, v42
	v_mov_b32_e32 v48, v10
.LBB608_150:
	s_or_b64 exec, exec, s[66:67]
	v_cmp_gt_u32_e32 vcc, 62, v3
	s_waitcnt lgkmcnt(0)
	v_cndmask_b32_e64 v40, 0, 1, vcc
	v_lshlrev_b32_e32 v40, 1, v40
	v_add_lshl_u32 v40, v40, v5, 2
	ds_bpermute_b32 v42, v40, v50
	v_add_u32_e32 v41, 2, v3
	v_cmp_le_u32_e32 vcc, v41, v11
	s_and_saveexec_b64 s[66:67], vcc
	s_cbranch_execz .LBB608_152
; %bb.151:
	v_cmp_eq_u16_e32 vcc, 0, v48
	v_and_b32_e32 v10, 1, v48
	v_mov_b32_e32 v45, 1
	s_waitcnt lgkmcnt(0)
	v_cndmask_b32_e32 v43, 1, v42, vcc
	v_and_b32_sdwa v42, v42, v45 dst_sel:DWORD dst_unused:UNUSED_PAD src0_sel:WORD_1 src1_sel:DWORD
	v_cmp_eq_u32_e32 vcc, 1, v10
	v_cndmask_b32_e64 v10, v42, 1, vcc
	v_mul_lo_u16_e32 v44, v43, v6
	v_lshlrev_b32_e32 v42, 16, v10
	v_mul_lo_u16_e32 v6, v43, v6
	v_or_b32_e32 v50, v42, v6
	v_mov_b32_e32 v6, v44
	v_mov_b32_e32 v48, v10
.LBB608_152:
	s_or_b64 exec, exec, s[66:67]
	v_cmp_gt_u32_e32 vcc, 60, v3
	s_waitcnt lgkmcnt(0)
	v_cndmask_b32_e64 v42, 0, 1, vcc
	v_lshlrev_b32_e32 v42, 2, v42
	v_add_lshl_u32 v42, v42, v5, 2
	ds_bpermute_b32 v44, v42, v50
	v_add_u32_e32 v43, 4, v3
	v_cmp_le_u32_e32 vcc, v43, v11
	s_and_saveexec_b64 s[66:67], vcc
	s_cbranch_execz .LBB608_154
; %bb.153:
	v_cmp_eq_u16_e32 vcc, 0, v48
	v_and_b32_e32 v10, 1, v48
	v_mov_b32_e32 v47, 1
	s_waitcnt lgkmcnt(0)
	v_cndmask_b32_e32 v45, 1, v44, vcc
	v_and_b32_sdwa v44, v44, v47 dst_sel:DWORD dst_unused:UNUSED_PAD src0_sel:WORD_1 src1_sel:DWORD
	v_cmp_eq_u32_e32 vcc, 1, v10
	v_cndmask_b32_e64 v10, v44, 1, vcc
	v_mul_lo_u16_e32 v46, v45, v6
	v_lshlrev_b32_e32 v44, 16, v10
	v_mul_lo_u16_e32 v6, v45, v6
	v_or_b32_e32 v50, v44, v6
	v_mov_b32_e32 v6, v46
	v_mov_b32_e32 v48, v10
.LBB608_154:
	;; [unrolled: 27-line block ×4, first 2 shown]
	s_or_b64 exec, exec, s[66:67]
	v_cmp_gt_u32_e32 vcc, 32, v3
	s_waitcnt lgkmcnt(0)
	v_cndmask_b32_e64 v49, 0, 1, vcc
	v_lshlrev_b32_e32 v49, 5, v49
	v_add_lshl_u32 v49, v49, v5, 2
	ds_bpermute_b32 v5, v49, v50
	v_add_u32_e32 v50, 32, v3
	v_cmp_le_u32_e32 vcc, v50, v11
	s_and_saveexec_b64 s[66:67], vcc
	s_cbranch_execz .LBB608_160
; %bb.159:
	v_cmp_eq_u16_e32 vcc, 0, v48
	s_waitcnt lgkmcnt(0)
	v_cndmask_b32_e32 v10, 1, v5, vcc
	v_mul_lo_u16_e32 v6, v10, v6
	v_and_b32_e32 v10, 1, v48
	v_mov_b32_e32 v11, 1
	v_and_b32_sdwa v5, v5, v11 dst_sel:DWORD dst_unused:UNUSED_PAD src0_sel:WORD_1 src1_sel:DWORD
	v_cmp_eq_u32_e32 vcc, 1, v10
	v_cndmask_b32_e64 v10, v5, 1, vcc
.LBB608_160:
	s_or_b64 exec, exec, s[66:67]
	s_waitcnt lgkmcnt(0)
	v_mov_b32_e32 v5, 0
	v_mov_b32_e32 v52, 2
	;; [unrolled: 1-line block ×3, first 2 shown]
	s_branch .LBB608_162
.LBB608_161:                            ;   in Loop: Header=BB608_162 Depth=1
	s_or_b64 exec, exec, s[66:67]
	v_cmp_eq_u16_sdwa vcc, v48, v5 src0_sel:BYTE_0 src1_sel:DWORD
	v_and_b32_e32 v10, 1, v48
	v_cndmask_b32_e32 v6, 1, v6, vcc
	v_and_b32_e32 v11, 1, v11
	v_cmp_eq_u32_e32 vcc, 1, v10
	v_subrev_u32_e32 v4, 64, v4
	v_mul_lo_u16_e32 v6, v6, v51
	v_cndmask_b32_e64 v10, v11, 1, vcc
.LBB608_162:                            ; =>This Loop Header: Depth=1
                                        ;     Child Loop BB608_165 Depth 2
	v_cmp_ne_u16_sdwa s[66:67], v7, v52 src0_sel:BYTE_0 src1_sel:DWORD
	v_cndmask_b32_e64 v7, 0, 1, s[66:67]
	;;#ASMSTART
	;;#ASMEND
	v_cmp_ne_u32_e32 vcc, 0, v7
	v_mov_b32_e32 v48, v10
	s_cmp_lg_u64 vcc, exec
	v_mov_b32_e32 v51, v6
	s_cbranch_scc1 .LBB608_179
; %bb.163:                              ;   in Loop: Header=BB608_162 Depth=1
	v_lshlrev_b64 v[6:7], 3, v[4:5]
	v_mov_b32_e32 v11, s53
	v_add_co_u32_e32 v10, vcc, s52, v6
	v_addc_co_u32_e32 v11, vcc, v11, v7, vcc
	global_load_dwordx2 v[6:7], v[10:11], off glc
	s_waitcnt vmcnt(0)
	v_cmp_eq_u16_sdwa s[68:69], v7, v5 src0_sel:BYTE_0 src1_sel:DWORD
	s_and_saveexec_b64 s[66:67], s[68:69]
	s_cbranch_execz .LBB608_167
; %bb.164:                              ;   in Loop: Header=BB608_162 Depth=1
	s_mov_b64 s[68:69], 0
.LBB608_165:                            ;   Parent Loop BB608_162 Depth=1
                                        ; =>  This Inner Loop Header: Depth=2
	global_load_dwordx2 v[6:7], v[10:11], off glc
	s_waitcnt vmcnt(0)
	v_cmp_ne_u16_sdwa s[70:71], v7, v5 src0_sel:BYTE_0 src1_sel:DWORD
	s_or_b64 s[68:69], s[70:71], s[68:69]
	s_andn2_b64 exec, exec, s[68:69]
	s_cbranch_execnz .LBB608_165
; %bb.166:                              ;   in Loop: Header=BB608_162 Depth=1
	s_or_b64 exec, exec, s[68:69]
.LBB608_167:                            ;   in Loop: Header=BB608_162 Depth=1
	s_or_b64 exec, exec, s[66:67]
	v_cmp_eq_u16_sdwa s[66:67], v7, v52 src0_sel:BYTE_0 src1_sel:DWORD
	v_and_b32_e32 v10, s67, v9
	s_waitcnt lgkmcnt(0)
	v_and_b32_e32 v55, 0xffffff, v6
	v_or_b32_e32 v10, 0x80000000, v10
	ds_bpermute_b32 v56, v39, v55
	v_and_b32_e32 v11, s66, v8
	v_ffbl_b32_e32 v10, v10
	v_add_u32_e32 v10, 32, v10
	v_ffbl_b32_e32 v11, v11
	v_min_u32_e32 v10, v11, v10
	v_lshrrev_b32_e32 v11, 16, v6
	v_cmp_lt_u32_e32 vcc, v3, v10
	v_bfe_u32 v54, v6, 16, 8
	s_and_saveexec_b64 s[66:67], vcc
	s_cbranch_execz .LBB608_169
; %bb.168:                              ;   in Loop: Header=BB608_162 Depth=1
	v_and_b32_e32 v11, 0xff0000, v6
	v_cmp_eq_u32_e32 vcc, 0, v11
	v_and_b32_e32 v11, 0x10000, v11
	s_waitcnt lgkmcnt(0)
	v_cndmask_b32_e32 v54, 1, v56, vcc
	v_and_b32_sdwa v55, v56, v53 dst_sel:DWORD dst_unused:UNUSED_PAD src0_sel:WORD_1 src1_sel:DWORD
	v_cmp_ne_u32_e32 vcc, 0, v11
	v_cndmask_b32_e64 v11, v55, 1, vcc
	v_mul_lo_u16_e32 v57, v54, v6
	v_lshlrev_b32_e32 v55, 16, v11
	v_mul_lo_u16_e32 v6, v54, v6
	v_or_b32_e32 v55, v55, v6
	v_mov_b32_e32 v6, v57
	v_mov_b32_e32 v54, v11
.LBB608_169:                            ;   in Loop: Header=BB608_162 Depth=1
	s_or_b64 exec, exec, s[66:67]
	s_waitcnt lgkmcnt(0)
	ds_bpermute_b32 v56, v40, v55
	v_cmp_le_u32_e32 vcc, v41, v10
	s_and_saveexec_b64 s[66:67], vcc
	s_cbranch_execz .LBB608_171
; %bb.170:                              ;   in Loop: Header=BB608_162 Depth=1
	v_cmp_eq_u16_e32 vcc, 0, v54
	v_and_b32_e32 v11, 1, v54
	s_waitcnt lgkmcnt(0)
	v_cndmask_b32_e32 v55, 1, v56, vcc
	v_and_b32_sdwa v54, v56, v53 dst_sel:DWORD dst_unused:UNUSED_PAD src0_sel:WORD_1 src1_sel:DWORD
	v_cmp_eq_u32_e32 vcc, 1, v11
	v_cndmask_b32_e64 v11, v54, 1, vcc
	v_mul_lo_u16_e32 v57, v55, v6
	v_lshlrev_b32_e32 v54, 16, v11
	v_mul_lo_u16_e32 v6, v55, v6
	v_or_b32_e32 v55, v54, v6
	v_mov_b32_e32 v6, v57
	v_mov_b32_e32 v54, v11
.LBB608_171:                            ;   in Loop: Header=BB608_162 Depth=1
	s_or_b64 exec, exec, s[66:67]
	s_waitcnt lgkmcnt(0)
	ds_bpermute_b32 v56, v42, v55
	v_cmp_le_u32_e32 vcc, v43, v10
	s_and_saveexec_b64 s[66:67], vcc
	s_cbranch_execz .LBB608_173
; %bb.172:                              ;   in Loop: Header=BB608_162 Depth=1
	v_cmp_eq_u16_e32 vcc, 0, v54
	v_and_b32_e32 v11, 1, v54
	s_waitcnt lgkmcnt(0)
	v_cndmask_b32_e32 v55, 1, v56, vcc
	v_and_b32_sdwa v54, v56, v53 dst_sel:DWORD dst_unused:UNUSED_PAD src0_sel:WORD_1 src1_sel:DWORD
	v_cmp_eq_u32_e32 vcc, 1, v11
	v_cndmask_b32_e64 v11, v54, 1, vcc
	v_mul_lo_u16_e32 v57, v55, v6
	v_lshlrev_b32_e32 v54, 16, v11
	v_mul_lo_u16_e32 v6, v55, v6
	v_or_b32_e32 v55, v54, v6
	v_mov_b32_e32 v6, v57
	v_mov_b32_e32 v54, v11
.LBB608_173:                            ;   in Loop: Header=BB608_162 Depth=1
	;; [unrolled: 21-line block ×4, first 2 shown]
	s_or_b64 exec, exec, s[66:67]
	ds_bpermute_b32 v55, v49, v55
	v_cmp_le_u32_e32 vcc, v50, v10
	s_and_saveexec_b64 s[66:67], vcc
	s_cbranch_execz .LBB608_161
; %bb.178:                              ;   in Loop: Header=BB608_162 Depth=1
	v_cmp_eq_u16_e32 vcc, 0, v54
	s_waitcnt lgkmcnt(0)
	v_cndmask_b32_e32 v10, 1, v55, vcc
	v_mul_lo_u16_e32 v6, v10, v6
	v_and_b32_e32 v10, 1, v54
	v_lshrrev_b32_e32 v11, 16, v55
	v_cmp_eq_u32_e32 vcc, 1, v10
	v_cndmask_b32_e64 v11, v11, 1, vcc
	s_branch .LBB608_161
.LBB608_179:                            ;   in Loop: Header=BB608_162 Depth=1
                                        ; implicit-def: $vgpr10
                                        ; implicit-def: $vgpr6
	s_cbranch_execz .LBB608_162
; %bb.180:
	s_and_saveexec_b64 s[66:67], s[46:47]
	s_cbranch_execz .LBB608_182
; %bb.181:
	v_and_b32_e32 v3, 0xff0000, v2
	s_mov_b32 s47, 0
	v_cmp_eq_u32_e32 vcc, 0, v3
	v_and_b32_e32 v4, 0x10000, v2
	v_mov_b32_e32 v5, 1
	s_add_i32 s46, s6, 64
	v_cndmask_b32_e32 v3, 1, v51, vcc
	v_and_b32_sdwa v5, v48, v5 dst_sel:WORD_1 dst_unused:UNUSED_PAD src0_sel:DWORD src1_sel:DWORD
	v_mov_b32_e32 v6, 0x10000
	v_cmp_eq_u32_e32 vcc, 0, v4
	s_lshl_b64 s[46:47], s[46:47], 3
	v_cndmask_b32_e32 v4, v6, v5, vcc
	s_add_u32 s46, s52, s46
	v_mul_lo_u16_e32 v2, v3, v2
	s_addc_u32 s47, s53, s47
	v_mov_b32_e32 v5, 0
	v_or_b32_e32 v2, v4, v2
	v_mov_b32_e32 v3, 2
	global_store_dwordx2 v5, v[2:3], s[46:47]
.LBB608_182:
	s_or_b64 exec, exec, s[66:67]
	s_and_b64 exec, exec, s[44:45]
	s_cbranch_execz .LBB608_184
; %bb.183:
	v_mov_b32_e32 v2, 0
	ds_write_b16 v2, v51
	ds_write_b8 v2, v48 offset:2
.LBB608_184:
	s_or_b64 exec, exec, s[56:57]
	v_mov_b32_e32 v2, 0
	s_waitcnt lgkmcnt(0)
	s_barrier
	ds_read_b32 v3, v2
	v_cmp_eq_u16_sdwa vcc, v38, v2 src0_sel:BYTE_0 src1_sel:DWORD
	s_waitcnt lgkmcnt(0)
	v_cndmask_b32_e32 v2, 1, v3, vcc
	v_mul_lo_u16_e32 v2, v2, v37
	v_cndmask_b32_e64 v4, v2, v3, s[44:45]
	v_and_b32_e32 v2, 0xff0000, v1
	v_cmp_eq_u32_e32 vcc, 0, v2
	v_cndmask_b32_e32 v2, 1, v4, vcc
	v_mul_lo_u16_e32 v5, v2, v1
	v_cndmask_b32_e64 v2, 1, v5, s[2:3]
	v_mul_lo_u16_e32 v6, v2, v18
	v_cndmask_b32_e64 v2, 1, v6, s[4:5]
	;; [unrolled: 2-line block ×20, first 2 shown]
	v_mul_lo_u16_e32 v50, v2, v35
	s_branch .LBB608_227
.LBB608_185:
	s_or_b64 exec, exec, s[48:49]
                                        ; implicit-def: $vgpr27
	s_and_saveexec_b64 s[48:49], s[2:3]
	s_cbranch_execz .LBB608_49
.LBB608_186:
	v_mov_b32_e32 v27, s72
	v_add_co_u32_e32 v28, vcc, s55, v20
	v_addc_co_u32_e32 v29, vcc, 0, v27, vcc
	flat_load_ushort v27, v[28:29] offset:512
	s_or_b64 exec, exec, s[48:49]
                                        ; implicit-def: $vgpr28
	s_and_saveexec_b64 s[2:3], s[4:5]
	s_cbranch_execnz .LBB608_50
.LBB608_187:
	s_or_b64 exec, exec, s[2:3]
                                        ; implicit-def: $vgpr29
	s_and_saveexec_b64 s[2:3], s[46:47]
	s_cbranch_execz .LBB608_51
.LBB608_188:
	v_mov_b32_e32 v29, s72
	v_add_co_u32_e32 v30, vcc, s55, v20
	v_addc_co_u32_e32 v31, vcc, 0, v29, vcc
	flat_load_ushort v29, v[30:31] offset:1536
	s_or_b64 exec, exec, s[2:3]
                                        ; implicit-def: $vgpr30
	s_and_saveexec_b64 s[2:3], s[8:9]
	s_cbranch_execnz .LBB608_52
.LBB608_189:
	s_or_b64 exec, exec, s[2:3]
                                        ; implicit-def: $vgpr31
	s_and_saveexec_b64 s[2:3], s[10:11]
	s_cbranch_execz .LBB608_53
.LBB608_190:
	v_mov_b32_e32 v31, s72
	v_add_co_u32_e32 v32, vcc, s55, v20
	v_addc_co_u32_e32 v33, vcc, 0, v31, vcc
	flat_load_ushort v31, v[32:33] offset:2560
	s_or_b64 exec, exec, s[2:3]
                                        ; implicit-def: $vgpr32
	s_and_saveexec_b64 s[2:3], s[12:13]
	s_cbranch_execnz .LBB608_54
.LBB608_191:
	s_or_b64 exec, exec, s[2:3]
                                        ; implicit-def: $vgpr33
	s_and_saveexec_b64 s[2:3], s[14:15]
	s_cbranch_execz .LBB608_55
.LBB608_192:
	v_mov_b32_e32 v33, s72
	v_add_co_u32_e32 v34, vcc, s55, v20
	v_addc_co_u32_e32 v35, vcc, 0, v33, vcc
	flat_load_ushort v33, v[34:35] offset:3584
	s_or_b64 exec, exec, s[2:3]
                                        ; implicit-def: $vgpr34
	s_and_saveexec_b64 s[2:3], s[16:17]
	s_cbranch_execnz .LBB608_56
.LBB608_193:
	s_or_b64 exec, exec, s[2:3]
                                        ; implicit-def: $vgpr1
	s_and_saveexec_b64 s[2:3], s[18:19]
	s_cbranch_execz .LBB608_57
.LBB608_194:
	v_mov_b32_e32 v1, s72
	v_add_co_u32_e32 v40, vcc, s55, v2
	v_addc_co_u32_e32 v41, vcc, 0, v1, vcc
	flat_load_ushort v1, v[40:41]
	s_or_b64 exec, exec, s[2:3]
                                        ; implicit-def: $vgpr2
	s_and_saveexec_b64 s[2:3], s[20:21]
	s_cbranch_execnz .LBB608_58
.LBB608_195:
	s_or_b64 exec, exec, s[2:3]
                                        ; implicit-def: $vgpr3
	s_and_saveexec_b64 s[2:3], s[22:23]
	s_cbranch_execz .LBB608_59
.LBB608_196:
	v_mov_b32_e32 v3, s72
	v_add_co_u32_e32 v40, vcc, s55, v4
	v_addc_co_u32_e32 v41, vcc, 0, v3, vcc
	flat_load_ushort v3, v[40:41]
	s_or_b64 exec, exec, s[2:3]
                                        ; implicit-def: $vgpr4
	s_and_saveexec_b64 s[2:3], s[24:25]
	s_cbranch_execnz .LBB608_60
.LBB608_197:
	s_or_b64 exec, exec, s[2:3]
                                        ; implicit-def: $vgpr5
	s_and_saveexec_b64 s[2:3], s[26:27]
	s_cbranch_execz .LBB608_61
.LBB608_198:
	v_mov_b32_e32 v5, s72
	v_add_co_u32_e32 v40, vcc, s55, v16
	v_addc_co_u32_e32 v41, vcc, 0, v5, vcc
	flat_load_ushort v5, v[40:41]
	s_or_b64 exec, exec, s[2:3]
                                        ; implicit-def: $vgpr16
	s_and_saveexec_b64 s[2:3], s[28:29]
	s_cbranch_execnz .LBB608_62
.LBB608_199:
	s_or_b64 exec, exec, s[2:3]
                                        ; implicit-def: $vgpr17
	s_and_saveexec_b64 s[2:3], s[30:31]
	s_cbranch_execz .LBB608_63
.LBB608_200:
	v_mov_b32_e32 v17, s72
	v_add_co_u32_e32 v40, vcc, s55, v18
	v_addc_co_u32_e32 v41, vcc, 0, v17, vcc
	flat_load_ushort v17, v[40:41]
	s_or_b64 exec, exec, s[2:3]
                                        ; implicit-def: $vgpr18
	s_and_saveexec_b64 s[2:3], s[34:35]
	s_cbranch_execnz .LBB608_64
.LBB608_201:
	s_or_b64 exec, exec, s[2:3]
                                        ; implicit-def: $vgpr19
	s_and_saveexec_b64 s[2:3], s[36:37]
	s_cbranch_execz .LBB608_65
.LBB608_202:
	v_mov_b32_e32 v19, s72
	v_add_co_u32_e32 v40, vcc, s55, v21
	v_addc_co_u32_e32 v41, vcc, 0, v19, vcc
	flat_load_ushort v19, v[40:41]
	s_or_b64 exec, exec, s[2:3]
                                        ; implicit-def: $vgpr21
	s_and_saveexec_b64 s[2:3], s[38:39]
	s_cbranch_execnz .LBB608_66
.LBB608_203:
	s_or_b64 exec, exec, s[2:3]
                                        ; implicit-def: $vgpr22
	s_and_saveexec_b64 s[2:3], s[40:41]
	s_cbranch_execz .LBB608_67
.LBB608_204:
	v_mov_b32_e32 v35, s72
	v_add_co_u32_e32 v22, vcc, s55, v23
	v_addc_co_u32_e32 v23, vcc, 0, v35, vcc
	flat_load_ushort v22, v[22:23]
	s_or_b64 exec, exec, s[2:3]
                                        ; implicit-def: $vgpr23
	s_and_saveexec_b64 s[2:3], s[42:43]
	s_cbranch_execz .LBB608_69
	s_branch .LBB608_68
.LBB608_205:
                                        ; implicit-def: $vgpr4
                                        ; implicit-def: $vgpr5
                                        ; implicit-def: $vgpr6
                                        ; implicit-def: $vgpr7
                                        ; implicit-def: $vgpr8
                                        ; implicit-def: $vgpr9
                                        ; implicit-def: $vgpr10
                                        ; implicit-def: $vgpr11
                                        ; implicit-def: $vgpr37
                                        ; implicit-def: $vgpr38
                                        ; implicit-def: $vgpr39
                                        ; implicit-def: $vgpr40
                                        ; implicit-def: $vgpr41
                                        ; implicit-def: $vgpr42
                                        ; implicit-def: $vgpr43
                                        ; implicit-def: $vgpr44
                                        ; implicit-def: $vgpr45
                                        ; implicit-def: $vgpr46
                                        ; implicit-def: $vgpr47
                                        ; implicit-def: $vgpr48
                                        ; implicit-def: $vgpr49
                                        ; implicit-def: $vgpr50
	s_cbranch_execz .LBB608_227
; %bb.206:
	s_cmp_lg_u64 s[64:65], 0
	s_cselect_b32 s3, s59, 0
	s_cselect_b32 s2, s58, 0
	s_cmp_eq_u64 s[2:3], 0
	v_mov_b32_e32 v2, s7
	s_cbranch_scc1 .LBB608_208
; %bb.207:
	v_mov_b32_e32 v2, 0
	global_load_ushort v2, v2, s[2:3]
.LBB608_208:
	s_mov_b32 s42, 0x10000
	v_cmp_gt_u32_e32 vcc, s42, v18
	v_cndmask_b32_e32 v3, 1, v1, vcc
	v_mul_lo_u16_e32 v3, v3, v18
	v_cmp_gt_u32_e64 s[2:3], s42, v22
	v_cndmask_b32_e64 v3, 1, v3, s[2:3]
	v_mul_lo_u16_e32 v3, v3, v22
	v_cmp_gt_u32_e64 s[4:5], s42, v19
	v_cndmask_b32_e64 v3, 1, v3, s[4:5]
	;; [unrolled: 3-line block ×20, first 2 shown]
	v_mul_lo_u16_e32 v4, v3, v12
	v_or3_b32 v3, v15, v33, v32
	v_or3_b32 v3, v3, v31, v30
	;; [unrolled: 1-line block ×8, first 2 shown]
	v_and_b32_e32 v3, 0x10000, v3
	v_cmp_ne_u32_e64 s[42:43], 0, v3
	v_mov_b32_e32 v8, 0x10000
	v_cndmask_b32_e64 v5, v13, 1, s[42:43]
	v_add_lshl_u32 v3, v14, v0, 2
	v_cmp_gt_u32_e64 s[42:43], 64, v0
	ds_write_b16 v3, v4
	ds_write_b8 v3, v5 offset:2
	s_waitcnt lgkmcnt(0)
	s_barrier
	s_and_saveexec_b64 s[44:45], s[42:43]
	s_cbranch_execz .LBB608_222
; %bb.209:
	v_lshlrev_b32_e32 v3, 2, v0
	v_lshrrev_b32_e32 v6, 3, v0
	v_add_lshl_u32 v3, v6, v3, 2
	ds_read_b32 v6, v3
	ds_read_u16 v7, v3 offset:4
	ds_read_u8 v9, v3 offset:6
	ds_read_u16 v10, v3 offset:8
	ds_read_u8 v11, v3 offset:10
	;; [unrolled: 2-line block ×3, first 2 shown]
	v_mov_b32_e32 v14, 0
	s_waitcnt lgkmcnt(4)
	v_cmp_eq_u16_sdwa s[42:43], v9, v14 src0_sel:BYTE_0 src1_sel:DWORD
	v_cndmask_b32_e64 v15, 1, v6, s[42:43]
	v_mul_lo_u16_e32 v15, v15, v7
	s_waitcnt lgkmcnt(2)
	v_cmp_eq_u16_sdwa s[42:43], v11, v14 src0_sel:BYTE_0 src1_sel:DWORD
	s_waitcnt lgkmcnt(0)
	v_or_b32_e32 v11, v13, v11
	v_cndmask_b32_e64 v14, 1, v15, s[42:43]
	v_or_b32_e32 v9, v11, v9
	v_mul_lo_u16_e32 v10, v14, v10
	v_cmp_eq_u16_e64 s[42:43], 0, v13
	v_and_b32_e32 v9, 1, v9
	v_and_b32_e32 v7, 0x10000, v6
	v_cndmask_b32_e64 v14, 1, v10, s[42:43]
	v_cmp_eq_u32_e64 s[42:43], 1, v9
	v_mbcnt_lo_u32_b32 v9, -1, 0
	v_mul_lo_u16_e32 v10, v14, v12
	v_cndmask_b32_e64 v15, v7, v8, s[42:43]
	v_mul_lo_u16_e32 v12, v14, v12
	v_and_b32_e32 v8, 0xff000000, v6
	v_mbcnt_hi_u32_b32 v9, -1, v9
	v_or_b32_e32 v13, v15, v8
	v_and_b32_e32 v14, 15, v9
	v_or3_b32 v12, v8, v12, v15
	s_movk_i32 s48, 0xff
	v_lshrrev_b32_e32 v11, 16, v13
	v_mov_b32_dpp v15, v12 row_shr:1 row_mask:0xf bank_mask:0xf
	v_cmp_ne_u32_e64 s[42:43], 0, v14
	s_and_saveexec_b64 s[46:47], s[42:43]
	s_cbranch_execz .LBB608_211
; %bb.210:
	v_and_b32_sdwa v11, v13, s48 dst_sel:DWORD dst_unused:UNUSED_PAD src0_sel:WORD_1 src1_sel:DWORD
	v_cmp_eq_u16_e64 s[42:43], 0, v11
	v_and_b32_e32 v11, 0x10000, v13
	v_mov_b32_e32 v13, 1
	v_cndmask_b32_e64 v12, 1, v15, s[42:43]
	v_and_b32_sdwa v13, v15, v13 dst_sel:DWORD dst_unused:UNUSED_PAD src0_sel:WORD_1 src1_sel:DWORD
	v_cmp_ne_u32_e64 s[42:43], 0, v11
	v_cndmask_b32_e64 v11, v13, 1, s[42:43]
	v_mul_lo_u16_e32 v37, v12, v10
	v_lshlrev_b32_e32 v13, 16, v11
	v_mul_lo_u16_e32 v10, v12, v10
	v_or3_b32 v12, v13, v10, v8
	v_mov_b32_e32 v10, v37
.LBB608_211:
	s_or_b64 exec, exec, s[46:47]
	v_lshrrev_b32_e32 v13, 16, v12
	v_mov_b32_dpp v15, v12 row_shr:2 row_mask:0xf bank_mask:0xf
	v_cmp_lt_u32_e64 s[42:43], 1, v14
	s_and_saveexec_b64 s[46:47], s[42:43]
	s_cbranch_execz .LBB608_213
; %bb.212:
	v_mov_b32_e32 v11, 0
	v_cmp_eq_u16_sdwa s[42:43], v13, v11 src0_sel:BYTE_0 src1_sel:DWORD
	v_and_b32_e32 v11, 0x10000, v12
	v_mov_b32_e32 v12, 1
	v_cndmask_b32_e64 v13, 1, v15, s[42:43]
	v_and_b32_sdwa v12, v15, v12 dst_sel:DWORD dst_unused:UNUSED_PAD src0_sel:WORD_1 src1_sel:DWORD
	v_cmp_ne_u32_e64 s[42:43], 0, v11
	v_cndmask_b32_e64 v11, v12, 1, s[42:43]
	v_mul_lo_u16_e32 v37, v13, v10
	v_lshlrev_b32_e32 v12, 16, v11
	v_mul_lo_u16_e32 v10, v13, v10
	v_or3_b32 v12, v12, v10, v8
	v_mov_b32_e32 v13, v11
	v_mov_b32_e32 v10, v37
.LBB608_213:
	s_or_b64 exec, exec, s[46:47]
	v_mov_b32_dpp v15, v12 row_shr:4 row_mask:0xf bank_mask:0xf
	v_cmp_lt_u32_e64 s[42:43], 3, v14
	s_and_saveexec_b64 s[46:47], s[42:43]
	s_cbranch_execz .LBB608_215
; %bb.214:
	v_mov_b32_e32 v11, 0
	v_cmp_eq_u16_sdwa s[42:43], v13, v11 src0_sel:BYTE_0 src1_sel:DWORD
	v_and_b32_e32 v11, 1, v13
	v_mov_b32_e32 v13, 1
	v_cndmask_b32_e64 v12, 1, v15, s[42:43]
	v_and_b32_sdwa v13, v15, v13 dst_sel:DWORD dst_unused:UNUSED_PAD src0_sel:WORD_1 src1_sel:DWORD
	v_cmp_eq_u32_e64 s[42:43], 1, v11
	v_cndmask_b32_e64 v11, v13, 1, s[42:43]
	v_mul_lo_u16_e32 v37, v12, v10
	v_lshlrev_b32_e32 v13, 16, v11
	v_mul_lo_u16_e32 v10, v12, v10
	v_or3_b32 v12, v13, v10, v8
	v_mov_b32_e32 v13, v11
	v_mov_b32_e32 v10, v37
.LBB608_215:
	s_or_b64 exec, exec, s[46:47]
	v_mov_b32_dpp v15, v12 row_shr:8 row_mask:0xf bank_mask:0xf
	v_cmp_lt_u32_e64 s[42:43], 7, v14
	s_and_saveexec_b64 s[46:47], s[42:43]
	s_cbranch_execz .LBB608_217
; %bb.216:
	v_mov_b32_e32 v11, 0
	v_cmp_eq_u16_sdwa s[42:43], v13, v11 src0_sel:BYTE_0 src1_sel:DWORD
	v_and_b32_e32 v11, 1, v13
	v_mov_b32_e32 v13, 1
	v_cndmask_b32_e64 v12, 1, v15, s[42:43]
	v_and_b32_sdwa v13, v15, v13 dst_sel:DWORD dst_unused:UNUSED_PAD src0_sel:WORD_1 src1_sel:DWORD
	v_cmp_eq_u32_e64 s[42:43], 1, v11
	v_cndmask_b32_e64 v11, v13, 1, s[42:43]
	v_mul_lo_u16_e32 v14, v12, v10
	v_lshlrev_b32_e32 v13, 16, v11
	v_mul_lo_u16_e32 v10, v12, v10
	v_or3_b32 v12, v13, v10, v8
	v_mov_b32_e32 v13, v11
	v_mov_b32_e32 v10, v14
.LBB608_217:
	s_or_b64 exec, exec, s[46:47]
	v_and_b32_e32 v15, 16, v9
	v_mov_b32_dpp v14, v12 row_bcast:15 row_mask:0xf bank_mask:0xf
	v_cmp_ne_u32_e64 s[42:43], 0, v15
	s_and_saveexec_b64 s[46:47], s[42:43]
	s_cbranch_execz .LBB608_219
; %bb.218:
	v_mov_b32_e32 v11, 0
	v_cmp_eq_u16_sdwa s[42:43], v13, v11 src0_sel:BYTE_0 src1_sel:DWORD
	v_and_b32_e32 v11, 1, v13
	v_mov_b32_e32 v13, 1
	v_cndmask_b32_e64 v12, 1, v14, s[42:43]
	v_and_b32_sdwa v13, v14, v13 dst_sel:DWORD dst_unused:UNUSED_PAD src0_sel:WORD_1 src1_sel:DWORD
	v_cmp_eq_u32_e64 s[42:43], 1, v11
	v_cndmask_b32_e64 v11, v13, 1, s[42:43]
	v_mul_lo_u16_e32 v15, v12, v10
	v_lshlrev_b32_e32 v13, 16, v11
	v_mul_lo_u16_e32 v10, v12, v10
	v_or3_b32 v12, v13, v10, v8
	v_mov_b32_e32 v13, v11
	v_mov_b32_e32 v10, v15
.LBB608_219:
	s_or_b64 exec, exec, s[46:47]
	v_mov_b32_dpp v12, v12 row_bcast:31 row_mask:0xf bank_mask:0xf
	v_cmp_lt_u32_e64 s[42:43], 31, v9
	s_and_saveexec_b64 s[46:47], s[42:43]
; %bb.220:
	v_mov_b32_e32 v11, 0
	v_cmp_eq_u16_sdwa s[42:43], v13, v11 src0_sel:BYTE_0 src1_sel:DWORD
	v_cndmask_b32_e64 v11, 1, v12, s[42:43]
	v_mul_lo_u16_e32 v10, v11, v10
	v_and_b32_e32 v11, 1, v13
	v_mov_b32_e32 v13, 1
	v_and_b32_sdwa v12, v12, v13 dst_sel:DWORD dst_unused:UNUSED_PAD src0_sel:WORD_1 src1_sel:DWORD
	v_cmp_eq_u32_e64 s[42:43], 1, v11
	v_cndmask_b32_e64 v11, v12, 1, s[42:43]
; %bb.221:
	s_or_b64 exec, exec, s[46:47]
	v_and_b32_e32 v11, 0xff, v11
	v_lshlrev_b32_e32 v11, 16, v11
	v_and_b32_e32 v10, 0xffff, v10
	v_or3_b32 v8, v11, v10, v8
	v_add_u32_e32 v10, -1, v9
	v_and_b32_e32 v11, 64, v9
	v_cmp_lt_i32_e64 s[42:43], v10, v11
	v_cndmask_b32_e64 v9, v10, v9, s[42:43]
	v_lshlrev_b32_e32 v9, 2, v9
	ds_bpermute_b32 v8, v9, v8
	v_and_b32_e32 v9, 0xff0000, v6
	v_cmp_eq_u32_e64 s[42:43], 0, v9
	; wave barrier
	s_waitcnt lgkmcnt(0)
	v_cndmask_b32_e64 v9, 1, v8, s[42:43]
	v_mul_lo_u16_e32 v6, v9, v6
	v_mov_b32_e32 v9, 1
	v_and_b32_sdwa v8, v8, v9 dst_sel:DWORD dst_unused:UNUSED_PAD src0_sel:WORD_1 src1_sel:DWORD
	v_cmp_eq_u32_e64 s[42:43], 0, v7
	v_cndmask_b32_e64 v7, 1, v8, s[42:43]
	v_cmp_eq_u32_e64 s[42:43], 0, v0
	v_cndmask_b32_e64 v4, v6, v4, s[42:43]
	v_cndmask_b32_e64 v5, v7, v5, s[42:43]
	ds_write_b16 v3, v4
	ds_write_b8 v3, v5 offset:2
	; wave barrier
	ds_read_u16 v6, v3 offset:4
	ds_read_u8 v7, v3 offset:6
	ds_read_u16 v8, v3 offset:8
	ds_read_u8 v9, v3 offset:10
	;; [unrolled: 2-line block ×3, first 2 shown]
	s_waitcnt lgkmcnt(4)
	v_cmp_eq_u16_e64 s[42:43], 0, v7
	v_cndmask_b32_e64 v4, 1, v4, s[42:43]
	v_mul_lo_u16_e32 v4, v4, v6
	v_and_b32_e32 v6, 1, v7
	v_cmp_eq_u32_e64 s[42:43], 1, v6
	v_cndmask_b32_e64 v5, v5, 1, s[42:43]
	s_waitcnt lgkmcnt(2)
	v_cmp_eq_u16_e64 s[42:43], 0, v9
	v_and_b32_e32 v6, 1, v9
	ds_write_b16 v3, v4 offset:4
	ds_write_b8 v3, v5 offset:6
	v_cndmask_b32_e64 v4, 1, v4, s[42:43]
	v_cmp_eq_u32_e64 s[42:43], 1, v6
	v_mul_lo_u16_e32 v4, v4, v8
	v_cndmask_b32_e64 v5, v5, 1, s[42:43]
	s_waitcnt lgkmcnt(2)
	v_cmp_eq_u16_e64 s[42:43], 0, v11
	ds_write_b16 v3, v4 offset:8
	ds_write_b8 v3, v5 offset:10
	v_cndmask_b32_e64 v4, 1, v4, s[42:43]
	v_and_b32_e32 v6, 1, v11
	v_mul_lo_u16_e32 v4, v4, v10
	v_cmp_eq_u32_e64 s[42:43], 1, v6
	v_cndmask_b32_e64 v5, v5, 1, s[42:43]
	ds_write_b16 v3, v4 offset:12
	ds_write_b8 v3, v5 offset:14
.LBB608_222:
	s_or_b64 exec, exec, s[44:45]
	v_cmp_eq_u32_e64 s[42:43], 0, v0
	v_cmp_ne_u32_e64 s[44:45], 0, v0
	s_waitcnt vmcnt(0)
	v_mov_b32_e32 v4, v2
	s_waitcnt lgkmcnt(0)
	s_barrier
	s_and_saveexec_b64 s[46:47], s[44:45]
	s_cbranch_execz .LBB608_224
; %bb.223:
	v_add_u32_e32 v3, -1, v0
	v_lshrrev_b32_e32 v4, 5, v3
	v_add_lshl_u32 v3, v4, v3, 2
	ds_read_u8 v4, v3 offset:2
	ds_read_u16 v3, v3
	s_waitcnt lgkmcnt(1)
	v_cmp_eq_u16_e64 s[44:45], 0, v4
	v_cndmask_b32_e64 v4, 1, v2, s[44:45]
	s_waitcnt lgkmcnt(0)
	v_mul_lo_u16_e32 v4, v4, v3
.LBB608_224:
	s_or_b64 exec, exec, s[46:47]
	v_and_b32_e32 v3, 0xff0000, v1
	v_cmp_eq_u32_e64 s[44:45], 0, v3
	v_cndmask_b32_e64 v3, 1, v4, s[44:45]
	v_mul_lo_u16_e32 v5, v3, v1
	v_cndmask_b32_e32 v1, 1, v5, vcc
	v_mul_lo_u16_e32 v6, v1, v18
	v_cndmask_b32_e64 v1, 1, v6, s[2:3]
	v_mul_lo_u16_e32 v7, v1, v22
	v_cndmask_b32_e64 v1, 1, v7, s[4:5]
	;; [unrolled: 2-line block ×19, first 2 shown]
	s_and_saveexec_b64 s[2:3], s[42:43]
	s_cbranch_execz .LBB608_226
; %bb.225:
	v_mov_b32_e32 v12, 0
	ds_read_u8 v3, v12 offset:1050
	ds_read_u16 v13, v12 offset:1048
	s_waitcnt lgkmcnt(1)
	v_cmp_eq_u32_e32 vcc, 0, v3
	v_cndmask_b32_e32 v2, 1, v2, vcc
	v_lshlrev_b32_e32 v14, 16, v3
	s_waitcnt lgkmcnt(0)
	v_mul_lo_u32 v2, v2, v13
	v_or_b32_sdwa v2, v14, v2 dst_sel:DWORD dst_unused:UNUSED_PAD src0_sel:DWORD src1_sel:WORD_0
	v_mov_b32_e32 v3, 2
	global_store_dwordx2 v12, v[2:3], s[52:53] offset:512
.LBB608_226:
	s_or_b64 exec, exec, s[2:3]
	v_mul_lo_u16_e32 v50, v1, v35
.LBB608_227:
	s_add_u32 s2, s50, s60
	s_addc_u32 s3, s51, s61
	s_add_u32 s4, s2, s62
	v_mul_u32_u24_e32 v1, 22, v0
	s_addc_u32 s5, s3, s63
	s_and_b64 vcc, exec, s[0:1]
	v_lshlrev_b32_e32 v12, 1, v1
	s_cbranch_vccz .LBB608_271
; %bb.228:
	s_mov_b32 s0, 0x5040100
	v_perm_b32 v1, v7, v6, s0
	v_perm_b32 v2, v5, v4, s0
	s_barrier
	ds_write2_b32 v12, v2, v1 offset1:1
	v_perm_b32 v1, v11, v10, s0
	v_perm_b32 v2, v9, v8, s0
	ds_write2_b32 v12, v2, v1 offset0:2 offset1:3
	v_perm_b32 v1, v40, v39, s0
	v_perm_b32 v2, v38, v37, s0
	ds_write2_b32 v12, v2, v1 offset0:4 offset1:5
	v_perm_b32 v1, v44, v43, s0
	v_perm_b32 v2, v42, v41, s0
	ds_write2_b32 v12, v2, v1 offset0:6 offset1:7
	v_perm_b32 v1, v48, v47, s0
	v_perm_b32 v2, v46, v45, s0
	ds_write2_b32 v12, v2, v1 offset0:8 offset1:9
	v_perm_b32 v1, v50, v49, s0
	s_movk_i32 s0, 0xffd6
	v_mad_i32_i24 v2, v0, s0, v12
	ds_write_b32 v12, v1 offset:40
	s_waitcnt lgkmcnt(0)
	s_barrier
	ds_read_u16 v33, v2 offset:512
	ds_read_u16 v32, v2 offset:1024
	;; [unrolled: 1-line block ×21, first 2 shown]
	v_mov_b32_e32 v3, s5
	v_add_co_u32_e32 v2, vcc, s4, v36
	s_add_i32 s33, s33, s54
	v_addc_co_u32_e32 v3, vcc, 0, v3, vcc
	v_mov_b32_e32 v1, 0
	v_cmp_gt_u32_e32 vcc, s33, v0
	s_and_saveexec_b64 s[0:1], vcc
	s_cbranch_execz .LBB608_230
; %bb.229:
	v_mul_i32_i24_e32 v34, 0xffffffd6, v0
	v_add_u32_e32 v34, v12, v34
	ds_read_u16 v34, v34
	s_waitcnt lgkmcnt(0)
	flat_store_short v[2:3], v34
.LBB608_230:
	s_or_b64 exec, exec, s[0:1]
	v_or_b32_e32 v34, 0x100, v0
	v_cmp_gt_u32_e32 vcc, s33, v34
	s_and_saveexec_b64 s[0:1], vcc
	s_cbranch_execz .LBB608_232
; %bb.231:
	s_waitcnt lgkmcnt(0)
	flat_store_short v[2:3], v33 offset:512
.LBB608_232:
	s_or_b64 exec, exec, s[0:1]
	s_waitcnt lgkmcnt(0)
	v_or_b32_e32 v33, 0x200, v0
	v_cmp_gt_u32_e32 vcc, s33, v33
	s_and_saveexec_b64 s[0:1], vcc
	s_cbranch_execz .LBB608_234
; %bb.233:
	flat_store_short v[2:3], v32 offset:1024
.LBB608_234:
	s_or_b64 exec, exec, s[0:1]
	v_or_b32_e32 v32, 0x300, v0
	v_cmp_gt_u32_e32 vcc, s33, v32
	s_and_saveexec_b64 s[0:1], vcc
	s_cbranch_execz .LBB608_236
; %bb.235:
	flat_store_short v[2:3], v31 offset:1536
.LBB608_236:
	s_or_b64 exec, exec, s[0:1]
	;; [unrolled: 8-line block ×6, first 2 shown]
	v_or_b32_e32 v27, 0x800, v0
	v_cmp_gt_u32_e32 vcc, s33, v27
	s_and_saveexec_b64 s[0:1], vcc
	s_cbranch_execz .LBB608_246
; %bb.245:
	v_add_co_u32_e32 v28, vcc, 0x1000, v2
	v_addc_co_u32_e32 v29, vcc, 0, v3, vcc
	flat_store_short v[28:29], v26
.LBB608_246:
	s_or_b64 exec, exec, s[0:1]
	v_or_b32_e32 v26, 0x900, v0
	v_cmp_gt_u32_e32 vcc, s33, v26
	s_and_saveexec_b64 s[0:1], vcc
	s_cbranch_execz .LBB608_248
; %bb.247:
	v_add_co_u32_e32 v26, vcc, 0x1000, v2
	v_addc_co_u32_e32 v27, vcc, 0, v3, vcc
	flat_store_short v[26:27], v25 offset:512
.LBB608_248:
	s_or_b64 exec, exec, s[0:1]
	v_or_b32_e32 v25, 0xa00, v0
	v_cmp_gt_u32_e32 vcc, s33, v25
	s_and_saveexec_b64 s[0:1], vcc
	s_cbranch_execz .LBB608_250
; %bb.249:
	v_add_co_u32_e32 v26, vcc, 0x1000, v2
	v_addc_co_u32_e32 v27, vcc, 0, v3, vcc
	flat_store_short v[26:27], v24 offset:1024
.LBB608_250:
	;; [unrolled: 10-line block ×7, first 2 shown]
	s_or_b64 exec, exec, s[0:1]
	v_or_b32_e32 v19, 0x1000, v0
	v_cmp_gt_u32_e32 vcc, s33, v19
	s_and_saveexec_b64 s[0:1], vcc
	s_cbranch_execz .LBB608_262
; %bb.261:
	v_add_co_u32_e32 v20, vcc, 0x2000, v2
	v_addc_co_u32_e32 v21, vcc, 0, v3, vcc
	flat_store_short v[20:21], v18
.LBB608_262:
	s_or_b64 exec, exec, s[0:1]
	v_or_b32_e32 v18, 0x1100, v0
	v_cmp_gt_u32_e32 vcc, s33, v18
	s_and_saveexec_b64 s[0:1], vcc
	s_cbranch_execz .LBB608_264
; %bb.263:
	v_add_co_u32_e32 v18, vcc, 0x2000, v2
	v_addc_co_u32_e32 v19, vcc, 0, v3, vcc
	flat_store_short v[18:19], v17 offset:512
.LBB608_264:
	s_or_b64 exec, exec, s[0:1]
	v_or_b32_e32 v17, 0x1200, v0
	v_cmp_gt_u32_e32 vcc, s33, v17
	s_and_saveexec_b64 s[0:1], vcc
	s_cbranch_execz .LBB608_266
; %bb.265:
	v_add_co_u32_e32 v18, vcc, 0x2000, v2
	v_addc_co_u32_e32 v19, vcc, 0, v3, vcc
	flat_store_short v[18:19], v16 offset:1024
.LBB608_266:
	;; [unrolled: 10-line block ×4, first 2 shown]
	s_or_b64 exec, exec, s[0:1]
	v_or_b32_e32 v2, 0x1500, v0
	v_cmp_gt_u32_e64 s[0:1], s33, v2
	s_branch .LBB608_273
.LBB608_271:
	s_mov_b64 s[0:1], 0
                                        ; implicit-def: $vgpr13
	s_cbranch_execz .LBB608_273
; %bb.272:
	s_mov_b32 s2, 0x5040100
	v_perm_b32 v1, v7, v6, s2
	v_perm_b32 v2, v5, v4, s2
	s_waitcnt lgkmcnt(0)
	s_barrier
	ds_write2_b32 v12, v2, v1 offset1:1
	v_perm_b32 v1, v11, v10, s2
	v_perm_b32 v2, v9, v8, s2
	ds_write2_b32 v12, v2, v1 offset0:2 offset1:3
	v_perm_b32 v1, v40, v39, s2
	v_perm_b32 v2, v38, v37, s2
	ds_write2_b32 v12, v2, v1 offset0:4 offset1:5
	;; [unrolled: 3-line block ×4, first 2 shown]
	v_perm_b32 v1, v50, v49, s2
	s_movk_i32 s2, 0xffd6
	v_mad_i32_i24 v2, v0, s2, v12
	ds_write_b32 v12, v1 offset:40
	s_waitcnt lgkmcnt(0)
	s_barrier
	ds_read_u16 v4, v2
	ds_read_u16 v5, v2 offset:512
	ds_read_u16 v6, v2 offset:1024
	;; [unrolled: 1-line block ×21, first 2 shown]
	v_mov_b32_e32 v3, s5
	v_add_co_u32_e32 v2, vcc, s4, v36
	v_addc_co_u32_e32 v3, vcc, 0, v3, vcc
	s_movk_i32 s2, 0x1000
	s_waitcnt lgkmcnt(0)
	flat_store_short v[2:3], v4
	flat_store_short v[2:3], v5 offset:512
	flat_store_short v[2:3], v6 offset:1024
	;; [unrolled: 1-line block ×7, first 2 shown]
	v_add_co_u32_e32 v4, vcc, s2, v2
	v_addc_co_u32_e32 v5, vcc, 0, v3, vcc
	v_add_co_u32_e32 v2, vcc, 0x2000, v2
	v_mov_b32_e32 v1, 0
	v_addc_co_u32_e32 v3, vcc, 0, v3, vcc
	s_or_b64 s[0:1], s[0:1], exec
	flat_store_short v[4:5], v12
	flat_store_short v[4:5], v14 offset:512
	flat_store_short v[4:5], v15 offset:1024
	;; [unrolled: 1-line block ×7, first 2 shown]
	flat_store_short v[2:3], v21
	flat_store_short v[2:3], v22 offset:512
	flat_store_short v[2:3], v23 offset:1024
	;; [unrolled: 1-line block ×4, first 2 shown]
.LBB608_273:
	s_and_saveexec_b64 s[2:3], s[0:1]
	s_cbranch_execz .LBB608_275
; %bb.274:
	v_lshlrev_b64 v[0:1], 1, v[0:1]
	v_mov_b32_e32 v2, s5
	v_add_co_u32_e32 v0, vcc, s4, v0
	v_addc_co_u32_e32 v1, vcc, v2, v1, vcc
	v_add_co_u32_e32 v0, vcc, 0x2000, v0
	v_addc_co_u32_e32 v1, vcc, 0, v1, vcc
	flat_store_short v[0:1], v13 offset:2560
	s_endpgm
.LBB608_275:
	s_endpgm
	.section	.rodata,"a",@progbits
	.p2align	6, 0x0
	.amdhsa_kernel _ZN7rocprim17ROCPRIM_400000_NS6detail17trampoline_kernelINS0_14default_configENS1_27scan_by_key_config_selectorIssEEZZNS1_16scan_by_key_implILNS1_25lookback_scan_determinismE0ELb1ES3_N6thrust23THRUST_200600_302600_NS6detail15normal_iteratorINS9_10device_ptrIsEEEESE_SE_sNS9_10multipliesIsEENS9_8equal_toIsEEsEE10hipError_tPvRmT2_T3_T4_T5_mT6_T7_P12ihipStream_tbENKUlT_T0_E_clISt17integral_constantIbLb0EESZ_EEDaSU_SV_EUlSU_E_NS1_11comp_targetILNS1_3genE4ELNS1_11target_archE910ELNS1_3gpuE8ELNS1_3repE0EEENS1_30default_config_static_selectorELNS0_4arch9wavefront6targetE1EEEvT1_
		.amdhsa_group_segment_fixed_size 12288
		.amdhsa_private_segment_fixed_size 0
		.amdhsa_kernarg_size 112
		.amdhsa_user_sgpr_count 6
		.amdhsa_user_sgpr_private_segment_buffer 1
		.amdhsa_user_sgpr_dispatch_ptr 0
		.amdhsa_user_sgpr_queue_ptr 0
		.amdhsa_user_sgpr_kernarg_segment_ptr 1
		.amdhsa_user_sgpr_dispatch_id 0
		.amdhsa_user_sgpr_flat_scratch_init 0
		.amdhsa_user_sgpr_kernarg_preload_length 0
		.amdhsa_user_sgpr_kernarg_preload_offset 0
		.amdhsa_user_sgpr_private_segment_size 0
		.amdhsa_uses_dynamic_stack 0
		.amdhsa_system_sgpr_private_segment_wavefront_offset 0
		.amdhsa_system_sgpr_workgroup_id_x 1
		.amdhsa_system_sgpr_workgroup_id_y 0
		.amdhsa_system_sgpr_workgroup_id_z 0
		.amdhsa_system_sgpr_workgroup_info 0
		.amdhsa_system_vgpr_workitem_id 0
		.amdhsa_next_free_vgpr 58
		.amdhsa_next_free_sgpr 75
		.amdhsa_accum_offset 60
		.amdhsa_reserve_vcc 1
		.amdhsa_reserve_flat_scratch 0
		.amdhsa_float_round_mode_32 0
		.amdhsa_float_round_mode_16_64 0
		.amdhsa_float_denorm_mode_32 3
		.amdhsa_float_denorm_mode_16_64 3
		.amdhsa_dx10_clamp 1
		.amdhsa_ieee_mode 1
		.amdhsa_fp16_overflow 0
		.amdhsa_tg_split 0
		.amdhsa_exception_fp_ieee_invalid_op 0
		.amdhsa_exception_fp_denorm_src 0
		.amdhsa_exception_fp_ieee_div_zero 0
		.amdhsa_exception_fp_ieee_overflow 0
		.amdhsa_exception_fp_ieee_underflow 0
		.amdhsa_exception_fp_ieee_inexact 0
		.amdhsa_exception_int_div_zero 0
	.end_amdhsa_kernel
	.section	.text._ZN7rocprim17ROCPRIM_400000_NS6detail17trampoline_kernelINS0_14default_configENS1_27scan_by_key_config_selectorIssEEZZNS1_16scan_by_key_implILNS1_25lookback_scan_determinismE0ELb1ES3_N6thrust23THRUST_200600_302600_NS6detail15normal_iteratorINS9_10device_ptrIsEEEESE_SE_sNS9_10multipliesIsEENS9_8equal_toIsEEsEE10hipError_tPvRmT2_T3_T4_T5_mT6_T7_P12ihipStream_tbENKUlT_T0_E_clISt17integral_constantIbLb0EESZ_EEDaSU_SV_EUlSU_E_NS1_11comp_targetILNS1_3genE4ELNS1_11target_archE910ELNS1_3gpuE8ELNS1_3repE0EEENS1_30default_config_static_selectorELNS0_4arch9wavefront6targetE1EEEvT1_,"axG",@progbits,_ZN7rocprim17ROCPRIM_400000_NS6detail17trampoline_kernelINS0_14default_configENS1_27scan_by_key_config_selectorIssEEZZNS1_16scan_by_key_implILNS1_25lookback_scan_determinismE0ELb1ES3_N6thrust23THRUST_200600_302600_NS6detail15normal_iteratorINS9_10device_ptrIsEEEESE_SE_sNS9_10multipliesIsEENS9_8equal_toIsEEsEE10hipError_tPvRmT2_T3_T4_T5_mT6_T7_P12ihipStream_tbENKUlT_T0_E_clISt17integral_constantIbLb0EESZ_EEDaSU_SV_EUlSU_E_NS1_11comp_targetILNS1_3genE4ELNS1_11target_archE910ELNS1_3gpuE8ELNS1_3repE0EEENS1_30default_config_static_selectorELNS0_4arch9wavefront6targetE1EEEvT1_,comdat
.Lfunc_end608:
	.size	_ZN7rocprim17ROCPRIM_400000_NS6detail17trampoline_kernelINS0_14default_configENS1_27scan_by_key_config_selectorIssEEZZNS1_16scan_by_key_implILNS1_25lookback_scan_determinismE0ELb1ES3_N6thrust23THRUST_200600_302600_NS6detail15normal_iteratorINS9_10device_ptrIsEEEESE_SE_sNS9_10multipliesIsEENS9_8equal_toIsEEsEE10hipError_tPvRmT2_T3_T4_T5_mT6_T7_P12ihipStream_tbENKUlT_T0_E_clISt17integral_constantIbLb0EESZ_EEDaSU_SV_EUlSU_E_NS1_11comp_targetILNS1_3genE4ELNS1_11target_archE910ELNS1_3gpuE8ELNS1_3repE0EEENS1_30default_config_static_selectorELNS0_4arch9wavefront6targetE1EEEvT1_, .Lfunc_end608-_ZN7rocprim17ROCPRIM_400000_NS6detail17trampoline_kernelINS0_14default_configENS1_27scan_by_key_config_selectorIssEEZZNS1_16scan_by_key_implILNS1_25lookback_scan_determinismE0ELb1ES3_N6thrust23THRUST_200600_302600_NS6detail15normal_iteratorINS9_10device_ptrIsEEEESE_SE_sNS9_10multipliesIsEENS9_8equal_toIsEEsEE10hipError_tPvRmT2_T3_T4_T5_mT6_T7_P12ihipStream_tbENKUlT_T0_E_clISt17integral_constantIbLb0EESZ_EEDaSU_SV_EUlSU_E_NS1_11comp_targetILNS1_3genE4ELNS1_11target_archE910ELNS1_3gpuE8ELNS1_3repE0EEENS1_30default_config_static_selectorELNS0_4arch9wavefront6targetE1EEEvT1_
                                        ; -- End function
	.section	.AMDGPU.csdata,"",@progbits
; Kernel info:
; codeLenInByte = 16204
; NumSgprs: 79
; NumVgprs: 58
; NumAgprs: 0
; TotalNumVgprs: 58
; ScratchSize: 0
; MemoryBound: 0
; FloatMode: 240
; IeeeMode: 1
; LDSByteSize: 12288 bytes/workgroup (compile time only)
; SGPRBlocks: 9
; VGPRBlocks: 7
; NumSGPRsForWavesPerEU: 79
; NumVGPRsForWavesPerEU: 58
; AccumOffset: 60
; Occupancy: 5
; WaveLimiterHint : 1
; COMPUTE_PGM_RSRC2:SCRATCH_EN: 0
; COMPUTE_PGM_RSRC2:USER_SGPR: 6
; COMPUTE_PGM_RSRC2:TRAP_HANDLER: 0
; COMPUTE_PGM_RSRC2:TGID_X_EN: 1
; COMPUTE_PGM_RSRC2:TGID_Y_EN: 0
; COMPUTE_PGM_RSRC2:TGID_Z_EN: 0
; COMPUTE_PGM_RSRC2:TIDIG_COMP_CNT: 0
; COMPUTE_PGM_RSRC3_GFX90A:ACCUM_OFFSET: 14
; COMPUTE_PGM_RSRC3_GFX90A:TG_SPLIT: 0
	.section	.text._ZN7rocprim17ROCPRIM_400000_NS6detail17trampoline_kernelINS0_14default_configENS1_27scan_by_key_config_selectorIssEEZZNS1_16scan_by_key_implILNS1_25lookback_scan_determinismE0ELb1ES3_N6thrust23THRUST_200600_302600_NS6detail15normal_iteratorINS9_10device_ptrIsEEEESE_SE_sNS9_10multipliesIsEENS9_8equal_toIsEEsEE10hipError_tPvRmT2_T3_T4_T5_mT6_T7_P12ihipStream_tbENKUlT_T0_E_clISt17integral_constantIbLb0EESZ_EEDaSU_SV_EUlSU_E_NS1_11comp_targetILNS1_3genE3ELNS1_11target_archE908ELNS1_3gpuE7ELNS1_3repE0EEENS1_30default_config_static_selectorELNS0_4arch9wavefront6targetE1EEEvT1_,"axG",@progbits,_ZN7rocprim17ROCPRIM_400000_NS6detail17trampoline_kernelINS0_14default_configENS1_27scan_by_key_config_selectorIssEEZZNS1_16scan_by_key_implILNS1_25lookback_scan_determinismE0ELb1ES3_N6thrust23THRUST_200600_302600_NS6detail15normal_iteratorINS9_10device_ptrIsEEEESE_SE_sNS9_10multipliesIsEENS9_8equal_toIsEEsEE10hipError_tPvRmT2_T3_T4_T5_mT6_T7_P12ihipStream_tbENKUlT_T0_E_clISt17integral_constantIbLb0EESZ_EEDaSU_SV_EUlSU_E_NS1_11comp_targetILNS1_3genE3ELNS1_11target_archE908ELNS1_3gpuE7ELNS1_3repE0EEENS1_30default_config_static_selectorELNS0_4arch9wavefront6targetE1EEEvT1_,comdat
	.protected	_ZN7rocprim17ROCPRIM_400000_NS6detail17trampoline_kernelINS0_14default_configENS1_27scan_by_key_config_selectorIssEEZZNS1_16scan_by_key_implILNS1_25lookback_scan_determinismE0ELb1ES3_N6thrust23THRUST_200600_302600_NS6detail15normal_iteratorINS9_10device_ptrIsEEEESE_SE_sNS9_10multipliesIsEENS9_8equal_toIsEEsEE10hipError_tPvRmT2_T3_T4_T5_mT6_T7_P12ihipStream_tbENKUlT_T0_E_clISt17integral_constantIbLb0EESZ_EEDaSU_SV_EUlSU_E_NS1_11comp_targetILNS1_3genE3ELNS1_11target_archE908ELNS1_3gpuE7ELNS1_3repE0EEENS1_30default_config_static_selectorELNS0_4arch9wavefront6targetE1EEEvT1_ ; -- Begin function _ZN7rocprim17ROCPRIM_400000_NS6detail17trampoline_kernelINS0_14default_configENS1_27scan_by_key_config_selectorIssEEZZNS1_16scan_by_key_implILNS1_25lookback_scan_determinismE0ELb1ES3_N6thrust23THRUST_200600_302600_NS6detail15normal_iteratorINS9_10device_ptrIsEEEESE_SE_sNS9_10multipliesIsEENS9_8equal_toIsEEsEE10hipError_tPvRmT2_T3_T4_T5_mT6_T7_P12ihipStream_tbENKUlT_T0_E_clISt17integral_constantIbLb0EESZ_EEDaSU_SV_EUlSU_E_NS1_11comp_targetILNS1_3genE3ELNS1_11target_archE908ELNS1_3gpuE7ELNS1_3repE0EEENS1_30default_config_static_selectorELNS0_4arch9wavefront6targetE1EEEvT1_
	.globl	_ZN7rocprim17ROCPRIM_400000_NS6detail17trampoline_kernelINS0_14default_configENS1_27scan_by_key_config_selectorIssEEZZNS1_16scan_by_key_implILNS1_25lookback_scan_determinismE0ELb1ES3_N6thrust23THRUST_200600_302600_NS6detail15normal_iteratorINS9_10device_ptrIsEEEESE_SE_sNS9_10multipliesIsEENS9_8equal_toIsEEsEE10hipError_tPvRmT2_T3_T4_T5_mT6_T7_P12ihipStream_tbENKUlT_T0_E_clISt17integral_constantIbLb0EESZ_EEDaSU_SV_EUlSU_E_NS1_11comp_targetILNS1_3genE3ELNS1_11target_archE908ELNS1_3gpuE7ELNS1_3repE0EEENS1_30default_config_static_selectorELNS0_4arch9wavefront6targetE1EEEvT1_
	.p2align	8
	.type	_ZN7rocprim17ROCPRIM_400000_NS6detail17trampoline_kernelINS0_14default_configENS1_27scan_by_key_config_selectorIssEEZZNS1_16scan_by_key_implILNS1_25lookback_scan_determinismE0ELb1ES3_N6thrust23THRUST_200600_302600_NS6detail15normal_iteratorINS9_10device_ptrIsEEEESE_SE_sNS9_10multipliesIsEENS9_8equal_toIsEEsEE10hipError_tPvRmT2_T3_T4_T5_mT6_T7_P12ihipStream_tbENKUlT_T0_E_clISt17integral_constantIbLb0EESZ_EEDaSU_SV_EUlSU_E_NS1_11comp_targetILNS1_3genE3ELNS1_11target_archE908ELNS1_3gpuE7ELNS1_3repE0EEENS1_30default_config_static_selectorELNS0_4arch9wavefront6targetE1EEEvT1_,@function
_ZN7rocprim17ROCPRIM_400000_NS6detail17trampoline_kernelINS0_14default_configENS1_27scan_by_key_config_selectorIssEEZZNS1_16scan_by_key_implILNS1_25lookback_scan_determinismE0ELb1ES3_N6thrust23THRUST_200600_302600_NS6detail15normal_iteratorINS9_10device_ptrIsEEEESE_SE_sNS9_10multipliesIsEENS9_8equal_toIsEEsEE10hipError_tPvRmT2_T3_T4_T5_mT6_T7_P12ihipStream_tbENKUlT_T0_E_clISt17integral_constantIbLb0EESZ_EEDaSU_SV_EUlSU_E_NS1_11comp_targetILNS1_3genE3ELNS1_11target_archE908ELNS1_3gpuE7ELNS1_3repE0EEENS1_30default_config_static_selectorELNS0_4arch9wavefront6targetE1EEEvT1_: ; @_ZN7rocprim17ROCPRIM_400000_NS6detail17trampoline_kernelINS0_14default_configENS1_27scan_by_key_config_selectorIssEEZZNS1_16scan_by_key_implILNS1_25lookback_scan_determinismE0ELb1ES3_N6thrust23THRUST_200600_302600_NS6detail15normal_iteratorINS9_10device_ptrIsEEEESE_SE_sNS9_10multipliesIsEENS9_8equal_toIsEEsEE10hipError_tPvRmT2_T3_T4_T5_mT6_T7_P12ihipStream_tbENKUlT_T0_E_clISt17integral_constantIbLb0EESZ_EEDaSU_SV_EUlSU_E_NS1_11comp_targetILNS1_3genE3ELNS1_11target_archE908ELNS1_3gpuE7ELNS1_3repE0EEENS1_30default_config_static_selectorELNS0_4arch9wavefront6targetE1EEEvT1_
; %bb.0:
	.section	.rodata,"a",@progbits
	.p2align	6, 0x0
	.amdhsa_kernel _ZN7rocprim17ROCPRIM_400000_NS6detail17trampoline_kernelINS0_14default_configENS1_27scan_by_key_config_selectorIssEEZZNS1_16scan_by_key_implILNS1_25lookback_scan_determinismE0ELb1ES3_N6thrust23THRUST_200600_302600_NS6detail15normal_iteratorINS9_10device_ptrIsEEEESE_SE_sNS9_10multipliesIsEENS9_8equal_toIsEEsEE10hipError_tPvRmT2_T3_T4_T5_mT6_T7_P12ihipStream_tbENKUlT_T0_E_clISt17integral_constantIbLb0EESZ_EEDaSU_SV_EUlSU_E_NS1_11comp_targetILNS1_3genE3ELNS1_11target_archE908ELNS1_3gpuE7ELNS1_3repE0EEENS1_30default_config_static_selectorELNS0_4arch9wavefront6targetE1EEEvT1_
		.amdhsa_group_segment_fixed_size 0
		.amdhsa_private_segment_fixed_size 0
		.amdhsa_kernarg_size 112
		.amdhsa_user_sgpr_count 6
		.amdhsa_user_sgpr_private_segment_buffer 1
		.amdhsa_user_sgpr_dispatch_ptr 0
		.amdhsa_user_sgpr_queue_ptr 0
		.amdhsa_user_sgpr_kernarg_segment_ptr 1
		.amdhsa_user_sgpr_dispatch_id 0
		.amdhsa_user_sgpr_flat_scratch_init 0
		.amdhsa_user_sgpr_kernarg_preload_length 0
		.amdhsa_user_sgpr_kernarg_preload_offset 0
		.amdhsa_user_sgpr_private_segment_size 0
		.amdhsa_uses_dynamic_stack 0
		.amdhsa_system_sgpr_private_segment_wavefront_offset 0
		.amdhsa_system_sgpr_workgroup_id_x 1
		.amdhsa_system_sgpr_workgroup_id_y 0
		.amdhsa_system_sgpr_workgroup_id_z 0
		.amdhsa_system_sgpr_workgroup_info 0
		.amdhsa_system_vgpr_workitem_id 0
		.amdhsa_next_free_vgpr 1
		.amdhsa_next_free_sgpr 0
		.amdhsa_accum_offset 4
		.amdhsa_reserve_vcc 0
		.amdhsa_reserve_flat_scratch 0
		.amdhsa_float_round_mode_32 0
		.amdhsa_float_round_mode_16_64 0
		.amdhsa_float_denorm_mode_32 3
		.amdhsa_float_denorm_mode_16_64 3
		.amdhsa_dx10_clamp 1
		.amdhsa_ieee_mode 1
		.amdhsa_fp16_overflow 0
		.amdhsa_tg_split 0
		.amdhsa_exception_fp_ieee_invalid_op 0
		.amdhsa_exception_fp_denorm_src 0
		.amdhsa_exception_fp_ieee_div_zero 0
		.amdhsa_exception_fp_ieee_overflow 0
		.amdhsa_exception_fp_ieee_underflow 0
		.amdhsa_exception_fp_ieee_inexact 0
		.amdhsa_exception_int_div_zero 0
	.end_amdhsa_kernel
	.section	.text._ZN7rocprim17ROCPRIM_400000_NS6detail17trampoline_kernelINS0_14default_configENS1_27scan_by_key_config_selectorIssEEZZNS1_16scan_by_key_implILNS1_25lookback_scan_determinismE0ELb1ES3_N6thrust23THRUST_200600_302600_NS6detail15normal_iteratorINS9_10device_ptrIsEEEESE_SE_sNS9_10multipliesIsEENS9_8equal_toIsEEsEE10hipError_tPvRmT2_T3_T4_T5_mT6_T7_P12ihipStream_tbENKUlT_T0_E_clISt17integral_constantIbLb0EESZ_EEDaSU_SV_EUlSU_E_NS1_11comp_targetILNS1_3genE3ELNS1_11target_archE908ELNS1_3gpuE7ELNS1_3repE0EEENS1_30default_config_static_selectorELNS0_4arch9wavefront6targetE1EEEvT1_,"axG",@progbits,_ZN7rocprim17ROCPRIM_400000_NS6detail17trampoline_kernelINS0_14default_configENS1_27scan_by_key_config_selectorIssEEZZNS1_16scan_by_key_implILNS1_25lookback_scan_determinismE0ELb1ES3_N6thrust23THRUST_200600_302600_NS6detail15normal_iteratorINS9_10device_ptrIsEEEESE_SE_sNS9_10multipliesIsEENS9_8equal_toIsEEsEE10hipError_tPvRmT2_T3_T4_T5_mT6_T7_P12ihipStream_tbENKUlT_T0_E_clISt17integral_constantIbLb0EESZ_EEDaSU_SV_EUlSU_E_NS1_11comp_targetILNS1_3genE3ELNS1_11target_archE908ELNS1_3gpuE7ELNS1_3repE0EEENS1_30default_config_static_selectorELNS0_4arch9wavefront6targetE1EEEvT1_,comdat
.Lfunc_end609:
	.size	_ZN7rocprim17ROCPRIM_400000_NS6detail17trampoline_kernelINS0_14default_configENS1_27scan_by_key_config_selectorIssEEZZNS1_16scan_by_key_implILNS1_25lookback_scan_determinismE0ELb1ES3_N6thrust23THRUST_200600_302600_NS6detail15normal_iteratorINS9_10device_ptrIsEEEESE_SE_sNS9_10multipliesIsEENS9_8equal_toIsEEsEE10hipError_tPvRmT2_T3_T4_T5_mT6_T7_P12ihipStream_tbENKUlT_T0_E_clISt17integral_constantIbLb0EESZ_EEDaSU_SV_EUlSU_E_NS1_11comp_targetILNS1_3genE3ELNS1_11target_archE908ELNS1_3gpuE7ELNS1_3repE0EEENS1_30default_config_static_selectorELNS0_4arch9wavefront6targetE1EEEvT1_, .Lfunc_end609-_ZN7rocprim17ROCPRIM_400000_NS6detail17trampoline_kernelINS0_14default_configENS1_27scan_by_key_config_selectorIssEEZZNS1_16scan_by_key_implILNS1_25lookback_scan_determinismE0ELb1ES3_N6thrust23THRUST_200600_302600_NS6detail15normal_iteratorINS9_10device_ptrIsEEEESE_SE_sNS9_10multipliesIsEENS9_8equal_toIsEEsEE10hipError_tPvRmT2_T3_T4_T5_mT6_T7_P12ihipStream_tbENKUlT_T0_E_clISt17integral_constantIbLb0EESZ_EEDaSU_SV_EUlSU_E_NS1_11comp_targetILNS1_3genE3ELNS1_11target_archE908ELNS1_3gpuE7ELNS1_3repE0EEENS1_30default_config_static_selectorELNS0_4arch9wavefront6targetE1EEEvT1_
                                        ; -- End function
	.section	.AMDGPU.csdata,"",@progbits
; Kernel info:
; codeLenInByte = 0
; NumSgprs: 4
; NumVgprs: 0
; NumAgprs: 0
; TotalNumVgprs: 0
; ScratchSize: 0
; MemoryBound: 0
; FloatMode: 240
; IeeeMode: 1
; LDSByteSize: 0 bytes/workgroup (compile time only)
; SGPRBlocks: 0
; VGPRBlocks: 0
; NumSGPRsForWavesPerEU: 4
; NumVGPRsForWavesPerEU: 1
; AccumOffset: 4
; Occupancy: 8
; WaveLimiterHint : 0
; COMPUTE_PGM_RSRC2:SCRATCH_EN: 0
; COMPUTE_PGM_RSRC2:USER_SGPR: 6
; COMPUTE_PGM_RSRC2:TRAP_HANDLER: 0
; COMPUTE_PGM_RSRC2:TGID_X_EN: 1
; COMPUTE_PGM_RSRC2:TGID_Y_EN: 0
; COMPUTE_PGM_RSRC2:TGID_Z_EN: 0
; COMPUTE_PGM_RSRC2:TIDIG_COMP_CNT: 0
; COMPUTE_PGM_RSRC3_GFX90A:ACCUM_OFFSET: 0
; COMPUTE_PGM_RSRC3_GFX90A:TG_SPLIT: 0
	.section	.text._ZN7rocprim17ROCPRIM_400000_NS6detail17trampoline_kernelINS0_14default_configENS1_27scan_by_key_config_selectorIssEEZZNS1_16scan_by_key_implILNS1_25lookback_scan_determinismE0ELb1ES3_N6thrust23THRUST_200600_302600_NS6detail15normal_iteratorINS9_10device_ptrIsEEEESE_SE_sNS9_10multipliesIsEENS9_8equal_toIsEEsEE10hipError_tPvRmT2_T3_T4_T5_mT6_T7_P12ihipStream_tbENKUlT_T0_E_clISt17integral_constantIbLb0EESZ_EEDaSU_SV_EUlSU_E_NS1_11comp_targetILNS1_3genE2ELNS1_11target_archE906ELNS1_3gpuE6ELNS1_3repE0EEENS1_30default_config_static_selectorELNS0_4arch9wavefront6targetE1EEEvT1_,"axG",@progbits,_ZN7rocprim17ROCPRIM_400000_NS6detail17trampoline_kernelINS0_14default_configENS1_27scan_by_key_config_selectorIssEEZZNS1_16scan_by_key_implILNS1_25lookback_scan_determinismE0ELb1ES3_N6thrust23THRUST_200600_302600_NS6detail15normal_iteratorINS9_10device_ptrIsEEEESE_SE_sNS9_10multipliesIsEENS9_8equal_toIsEEsEE10hipError_tPvRmT2_T3_T4_T5_mT6_T7_P12ihipStream_tbENKUlT_T0_E_clISt17integral_constantIbLb0EESZ_EEDaSU_SV_EUlSU_E_NS1_11comp_targetILNS1_3genE2ELNS1_11target_archE906ELNS1_3gpuE6ELNS1_3repE0EEENS1_30default_config_static_selectorELNS0_4arch9wavefront6targetE1EEEvT1_,comdat
	.protected	_ZN7rocprim17ROCPRIM_400000_NS6detail17trampoline_kernelINS0_14default_configENS1_27scan_by_key_config_selectorIssEEZZNS1_16scan_by_key_implILNS1_25lookback_scan_determinismE0ELb1ES3_N6thrust23THRUST_200600_302600_NS6detail15normal_iteratorINS9_10device_ptrIsEEEESE_SE_sNS9_10multipliesIsEENS9_8equal_toIsEEsEE10hipError_tPvRmT2_T3_T4_T5_mT6_T7_P12ihipStream_tbENKUlT_T0_E_clISt17integral_constantIbLb0EESZ_EEDaSU_SV_EUlSU_E_NS1_11comp_targetILNS1_3genE2ELNS1_11target_archE906ELNS1_3gpuE6ELNS1_3repE0EEENS1_30default_config_static_selectorELNS0_4arch9wavefront6targetE1EEEvT1_ ; -- Begin function _ZN7rocprim17ROCPRIM_400000_NS6detail17trampoline_kernelINS0_14default_configENS1_27scan_by_key_config_selectorIssEEZZNS1_16scan_by_key_implILNS1_25lookback_scan_determinismE0ELb1ES3_N6thrust23THRUST_200600_302600_NS6detail15normal_iteratorINS9_10device_ptrIsEEEESE_SE_sNS9_10multipliesIsEENS9_8equal_toIsEEsEE10hipError_tPvRmT2_T3_T4_T5_mT6_T7_P12ihipStream_tbENKUlT_T0_E_clISt17integral_constantIbLb0EESZ_EEDaSU_SV_EUlSU_E_NS1_11comp_targetILNS1_3genE2ELNS1_11target_archE906ELNS1_3gpuE6ELNS1_3repE0EEENS1_30default_config_static_selectorELNS0_4arch9wavefront6targetE1EEEvT1_
	.globl	_ZN7rocprim17ROCPRIM_400000_NS6detail17trampoline_kernelINS0_14default_configENS1_27scan_by_key_config_selectorIssEEZZNS1_16scan_by_key_implILNS1_25lookback_scan_determinismE0ELb1ES3_N6thrust23THRUST_200600_302600_NS6detail15normal_iteratorINS9_10device_ptrIsEEEESE_SE_sNS9_10multipliesIsEENS9_8equal_toIsEEsEE10hipError_tPvRmT2_T3_T4_T5_mT6_T7_P12ihipStream_tbENKUlT_T0_E_clISt17integral_constantIbLb0EESZ_EEDaSU_SV_EUlSU_E_NS1_11comp_targetILNS1_3genE2ELNS1_11target_archE906ELNS1_3gpuE6ELNS1_3repE0EEENS1_30default_config_static_selectorELNS0_4arch9wavefront6targetE1EEEvT1_
	.p2align	8
	.type	_ZN7rocprim17ROCPRIM_400000_NS6detail17trampoline_kernelINS0_14default_configENS1_27scan_by_key_config_selectorIssEEZZNS1_16scan_by_key_implILNS1_25lookback_scan_determinismE0ELb1ES3_N6thrust23THRUST_200600_302600_NS6detail15normal_iteratorINS9_10device_ptrIsEEEESE_SE_sNS9_10multipliesIsEENS9_8equal_toIsEEsEE10hipError_tPvRmT2_T3_T4_T5_mT6_T7_P12ihipStream_tbENKUlT_T0_E_clISt17integral_constantIbLb0EESZ_EEDaSU_SV_EUlSU_E_NS1_11comp_targetILNS1_3genE2ELNS1_11target_archE906ELNS1_3gpuE6ELNS1_3repE0EEENS1_30default_config_static_selectorELNS0_4arch9wavefront6targetE1EEEvT1_,@function
_ZN7rocprim17ROCPRIM_400000_NS6detail17trampoline_kernelINS0_14default_configENS1_27scan_by_key_config_selectorIssEEZZNS1_16scan_by_key_implILNS1_25lookback_scan_determinismE0ELb1ES3_N6thrust23THRUST_200600_302600_NS6detail15normal_iteratorINS9_10device_ptrIsEEEESE_SE_sNS9_10multipliesIsEENS9_8equal_toIsEEsEE10hipError_tPvRmT2_T3_T4_T5_mT6_T7_P12ihipStream_tbENKUlT_T0_E_clISt17integral_constantIbLb0EESZ_EEDaSU_SV_EUlSU_E_NS1_11comp_targetILNS1_3genE2ELNS1_11target_archE906ELNS1_3gpuE6ELNS1_3repE0EEENS1_30default_config_static_selectorELNS0_4arch9wavefront6targetE1EEEvT1_: ; @_ZN7rocprim17ROCPRIM_400000_NS6detail17trampoline_kernelINS0_14default_configENS1_27scan_by_key_config_selectorIssEEZZNS1_16scan_by_key_implILNS1_25lookback_scan_determinismE0ELb1ES3_N6thrust23THRUST_200600_302600_NS6detail15normal_iteratorINS9_10device_ptrIsEEEESE_SE_sNS9_10multipliesIsEENS9_8equal_toIsEEsEE10hipError_tPvRmT2_T3_T4_T5_mT6_T7_P12ihipStream_tbENKUlT_T0_E_clISt17integral_constantIbLb0EESZ_EEDaSU_SV_EUlSU_E_NS1_11comp_targetILNS1_3genE2ELNS1_11target_archE906ELNS1_3gpuE6ELNS1_3repE0EEENS1_30default_config_static_selectorELNS0_4arch9wavefront6targetE1EEEvT1_
; %bb.0:
	.section	.rodata,"a",@progbits
	.p2align	6, 0x0
	.amdhsa_kernel _ZN7rocprim17ROCPRIM_400000_NS6detail17trampoline_kernelINS0_14default_configENS1_27scan_by_key_config_selectorIssEEZZNS1_16scan_by_key_implILNS1_25lookback_scan_determinismE0ELb1ES3_N6thrust23THRUST_200600_302600_NS6detail15normal_iteratorINS9_10device_ptrIsEEEESE_SE_sNS9_10multipliesIsEENS9_8equal_toIsEEsEE10hipError_tPvRmT2_T3_T4_T5_mT6_T7_P12ihipStream_tbENKUlT_T0_E_clISt17integral_constantIbLb0EESZ_EEDaSU_SV_EUlSU_E_NS1_11comp_targetILNS1_3genE2ELNS1_11target_archE906ELNS1_3gpuE6ELNS1_3repE0EEENS1_30default_config_static_selectorELNS0_4arch9wavefront6targetE1EEEvT1_
		.amdhsa_group_segment_fixed_size 0
		.amdhsa_private_segment_fixed_size 0
		.amdhsa_kernarg_size 112
		.amdhsa_user_sgpr_count 6
		.amdhsa_user_sgpr_private_segment_buffer 1
		.amdhsa_user_sgpr_dispatch_ptr 0
		.amdhsa_user_sgpr_queue_ptr 0
		.amdhsa_user_sgpr_kernarg_segment_ptr 1
		.amdhsa_user_sgpr_dispatch_id 0
		.amdhsa_user_sgpr_flat_scratch_init 0
		.amdhsa_user_sgpr_kernarg_preload_length 0
		.amdhsa_user_sgpr_kernarg_preload_offset 0
		.amdhsa_user_sgpr_private_segment_size 0
		.amdhsa_uses_dynamic_stack 0
		.amdhsa_system_sgpr_private_segment_wavefront_offset 0
		.amdhsa_system_sgpr_workgroup_id_x 1
		.amdhsa_system_sgpr_workgroup_id_y 0
		.amdhsa_system_sgpr_workgroup_id_z 0
		.amdhsa_system_sgpr_workgroup_info 0
		.amdhsa_system_vgpr_workitem_id 0
		.amdhsa_next_free_vgpr 1
		.amdhsa_next_free_sgpr 0
		.amdhsa_accum_offset 4
		.amdhsa_reserve_vcc 0
		.amdhsa_reserve_flat_scratch 0
		.amdhsa_float_round_mode_32 0
		.amdhsa_float_round_mode_16_64 0
		.amdhsa_float_denorm_mode_32 3
		.amdhsa_float_denorm_mode_16_64 3
		.amdhsa_dx10_clamp 1
		.amdhsa_ieee_mode 1
		.amdhsa_fp16_overflow 0
		.amdhsa_tg_split 0
		.amdhsa_exception_fp_ieee_invalid_op 0
		.amdhsa_exception_fp_denorm_src 0
		.amdhsa_exception_fp_ieee_div_zero 0
		.amdhsa_exception_fp_ieee_overflow 0
		.amdhsa_exception_fp_ieee_underflow 0
		.amdhsa_exception_fp_ieee_inexact 0
		.amdhsa_exception_int_div_zero 0
	.end_amdhsa_kernel
	.section	.text._ZN7rocprim17ROCPRIM_400000_NS6detail17trampoline_kernelINS0_14default_configENS1_27scan_by_key_config_selectorIssEEZZNS1_16scan_by_key_implILNS1_25lookback_scan_determinismE0ELb1ES3_N6thrust23THRUST_200600_302600_NS6detail15normal_iteratorINS9_10device_ptrIsEEEESE_SE_sNS9_10multipliesIsEENS9_8equal_toIsEEsEE10hipError_tPvRmT2_T3_T4_T5_mT6_T7_P12ihipStream_tbENKUlT_T0_E_clISt17integral_constantIbLb0EESZ_EEDaSU_SV_EUlSU_E_NS1_11comp_targetILNS1_3genE2ELNS1_11target_archE906ELNS1_3gpuE6ELNS1_3repE0EEENS1_30default_config_static_selectorELNS0_4arch9wavefront6targetE1EEEvT1_,"axG",@progbits,_ZN7rocprim17ROCPRIM_400000_NS6detail17trampoline_kernelINS0_14default_configENS1_27scan_by_key_config_selectorIssEEZZNS1_16scan_by_key_implILNS1_25lookback_scan_determinismE0ELb1ES3_N6thrust23THRUST_200600_302600_NS6detail15normal_iteratorINS9_10device_ptrIsEEEESE_SE_sNS9_10multipliesIsEENS9_8equal_toIsEEsEE10hipError_tPvRmT2_T3_T4_T5_mT6_T7_P12ihipStream_tbENKUlT_T0_E_clISt17integral_constantIbLb0EESZ_EEDaSU_SV_EUlSU_E_NS1_11comp_targetILNS1_3genE2ELNS1_11target_archE906ELNS1_3gpuE6ELNS1_3repE0EEENS1_30default_config_static_selectorELNS0_4arch9wavefront6targetE1EEEvT1_,comdat
.Lfunc_end610:
	.size	_ZN7rocprim17ROCPRIM_400000_NS6detail17trampoline_kernelINS0_14default_configENS1_27scan_by_key_config_selectorIssEEZZNS1_16scan_by_key_implILNS1_25lookback_scan_determinismE0ELb1ES3_N6thrust23THRUST_200600_302600_NS6detail15normal_iteratorINS9_10device_ptrIsEEEESE_SE_sNS9_10multipliesIsEENS9_8equal_toIsEEsEE10hipError_tPvRmT2_T3_T4_T5_mT6_T7_P12ihipStream_tbENKUlT_T0_E_clISt17integral_constantIbLb0EESZ_EEDaSU_SV_EUlSU_E_NS1_11comp_targetILNS1_3genE2ELNS1_11target_archE906ELNS1_3gpuE6ELNS1_3repE0EEENS1_30default_config_static_selectorELNS0_4arch9wavefront6targetE1EEEvT1_, .Lfunc_end610-_ZN7rocprim17ROCPRIM_400000_NS6detail17trampoline_kernelINS0_14default_configENS1_27scan_by_key_config_selectorIssEEZZNS1_16scan_by_key_implILNS1_25lookback_scan_determinismE0ELb1ES3_N6thrust23THRUST_200600_302600_NS6detail15normal_iteratorINS9_10device_ptrIsEEEESE_SE_sNS9_10multipliesIsEENS9_8equal_toIsEEsEE10hipError_tPvRmT2_T3_T4_T5_mT6_T7_P12ihipStream_tbENKUlT_T0_E_clISt17integral_constantIbLb0EESZ_EEDaSU_SV_EUlSU_E_NS1_11comp_targetILNS1_3genE2ELNS1_11target_archE906ELNS1_3gpuE6ELNS1_3repE0EEENS1_30default_config_static_selectorELNS0_4arch9wavefront6targetE1EEEvT1_
                                        ; -- End function
	.section	.AMDGPU.csdata,"",@progbits
; Kernel info:
; codeLenInByte = 0
; NumSgprs: 4
; NumVgprs: 0
; NumAgprs: 0
; TotalNumVgprs: 0
; ScratchSize: 0
; MemoryBound: 0
; FloatMode: 240
; IeeeMode: 1
; LDSByteSize: 0 bytes/workgroup (compile time only)
; SGPRBlocks: 0
; VGPRBlocks: 0
; NumSGPRsForWavesPerEU: 4
; NumVGPRsForWavesPerEU: 1
; AccumOffset: 4
; Occupancy: 8
; WaveLimiterHint : 0
; COMPUTE_PGM_RSRC2:SCRATCH_EN: 0
; COMPUTE_PGM_RSRC2:USER_SGPR: 6
; COMPUTE_PGM_RSRC2:TRAP_HANDLER: 0
; COMPUTE_PGM_RSRC2:TGID_X_EN: 1
; COMPUTE_PGM_RSRC2:TGID_Y_EN: 0
; COMPUTE_PGM_RSRC2:TGID_Z_EN: 0
; COMPUTE_PGM_RSRC2:TIDIG_COMP_CNT: 0
; COMPUTE_PGM_RSRC3_GFX90A:ACCUM_OFFSET: 0
; COMPUTE_PGM_RSRC3_GFX90A:TG_SPLIT: 0
	.section	.text._ZN7rocprim17ROCPRIM_400000_NS6detail17trampoline_kernelINS0_14default_configENS1_27scan_by_key_config_selectorIssEEZZNS1_16scan_by_key_implILNS1_25lookback_scan_determinismE0ELb1ES3_N6thrust23THRUST_200600_302600_NS6detail15normal_iteratorINS9_10device_ptrIsEEEESE_SE_sNS9_10multipliesIsEENS9_8equal_toIsEEsEE10hipError_tPvRmT2_T3_T4_T5_mT6_T7_P12ihipStream_tbENKUlT_T0_E_clISt17integral_constantIbLb0EESZ_EEDaSU_SV_EUlSU_E_NS1_11comp_targetILNS1_3genE10ELNS1_11target_archE1200ELNS1_3gpuE4ELNS1_3repE0EEENS1_30default_config_static_selectorELNS0_4arch9wavefront6targetE1EEEvT1_,"axG",@progbits,_ZN7rocprim17ROCPRIM_400000_NS6detail17trampoline_kernelINS0_14default_configENS1_27scan_by_key_config_selectorIssEEZZNS1_16scan_by_key_implILNS1_25lookback_scan_determinismE0ELb1ES3_N6thrust23THRUST_200600_302600_NS6detail15normal_iteratorINS9_10device_ptrIsEEEESE_SE_sNS9_10multipliesIsEENS9_8equal_toIsEEsEE10hipError_tPvRmT2_T3_T4_T5_mT6_T7_P12ihipStream_tbENKUlT_T0_E_clISt17integral_constantIbLb0EESZ_EEDaSU_SV_EUlSU_E_NS1_11comp_targetILNS1_3genE10ELNS1_11target_archE1200ELNS1_3gpuE4ELNS1_3repE0EEENS1_30default_config_static_selectorELNS0_4arch9wavefront6targetE1EEEvT1_,comdat
	.protected	_ZN7rocprim17ROCPRIM_400000_NS6detail17trampoline_kernelINS0_14default_configENS1_27scan_by_key_config_selectorIssEEZZNS1_16scan_by_key_implILNS1_25lookback_scan_determinismE0ELb1ES3_N6thrust23THRUST_200600_302600_NS6detail15normal_iteratorINS9_10device_ptrIsEEEESE_SE_sNS9_10multipliesIsEENS9_8equal_toIsEEsEE10hipError_tPvRmT2_T3_T4_T5_mT6_T7_P12ihipStream_tbENKUlT_T0_E_clISt17integral_constantIbLb0EESZ_EEDaSU_SV_EUlSU_E_NS1_11comp_targetILNS1_3genE10ELNS1_11target_archE1200ELNS1_3gpuE4ELNS1_3repE0EEENS1_30default_config_static_selectorELNS0_4arch9wavefront6targetE1EEEvT1_ ; -- Begin function _ZN7rocprim17ROCPRIM_400000_NS6detail17trampoline_kernelINS0_14default_configENS1_27scan_by_key_config_selectorIssEEZZNS1_16scan_by_key_implILNS1_25lookback_scan_determinismE0ELb1ES3_N6thrust23THRUST_200600_302600_NS6detail15normal_iteratorINS9_10device_ptrIsEEEESE_SE_sNS9_10multipliesIsEENS9_8equal_toIsEEsEE10hipError_tPvRmT2_T3_T4_T5_mT6_T7_P12ihipStream_tbENKUlT_T0_E_clISt17integral_constantIbLb0EESZ_EEDaSU_SV_EUlSU_E_NS1_11comp_targetILNS1_3genE10ELNS1_11target_archE1200ELNS1_3gpuE4ELNS1_3repE0EEENS1_30default_config_static_selectorELNS0_4arch9wavefront6targetE1EEEvT1_
	.globl	_ZN7rocprim17ROCPRIM_400000_NS6detail17trampoline_kernelINS0_14default_configENS1_27scan_by_key_config_selectorIssEEZZNS1_16scan_by_key_implILNS1_25lookback_scan_determinismE0ELb1ES3_N6thrust23THRUST_200600_302600_NS6detail15normal_iteratorINS9_10device_ptrIsEEEESE_SE_sNS9_10multipliesIsEENS9_8equal_toIsEEsEE10hipError_tPvRmT2_T3_T4_T5_mT6_T7_P12ihipStream_tbENKUlT_T0_E_clISt17integral_constantIbLb0EESZ_EEDaSU_SV_EUlSU_E_NS1_11comp_targetILNS1_3genE10ELNS1_11target_archE1200ELNS1_3gpuE4ELNS1_3repE0EEENS1_30default_config_static_selectorELNS0_4arch9wavefront6targetE1EEEvT1_
	.p2align	8
	.type	_ZN7rocprim17ROCPRIM_400000_NS6detail17trampoline_kernelINS0_14default_configENS1_27scan_by_key_config_selectorIssEEZZNS1_16scan_by_key_implILNS1_25lookback_scan_determinismE0ELb1ES3_N6thrust23THRUST_200600_302600_NS6detail15normal_iteratorINS9_10device_ptrIsEEEESE_SE_sNS9_10multipliesIsEENS9_8equal_toIsEEsEE10hipError_tPvRmT2_T3_T4_T5_mT6_T7_P12ihipStream_tbENKUlT_T0_E_clISt17integral_constantIbLb0EESZ_EEDaSU_SV_EUlSU_E_NS1_11comp_targetILNS1_3genE10ELNS1_11target_archE1200ELNS1_3gpuE4ELNS1_3repE0EEENS1_30default_config_static_selectorELNS0_4arch9wavefront6targetE1EEEvT1_,@function
_ZN7rocprim17ROCPRIM_400000_NS6detail17trampoline_kernelINS0_14default_configENS1_27scan_by_key_config_selectorIssEEZZNS1_16scan_by_key_implILNS1_25lookback_scan_determinismE0ELb1ES3_N6thrust23THRUST_200600_302600_NS6detail15normal_iteratorINS9_10device_ptrIsEEEESE_SE_sNS9_10multipliesIsEENS9_8equal_toIsEEsEE10hipError_tPvRmT2_T3_T4_T5_mT6_T7_P12ihipStream_tbENKUlT_T0_E_clISt17integral_constantIbLb0EESZ_EEDaSU_SV_EUlSU_E_NS1_11comp_targetILNS1_3genE10ELNS1_11target_archE1200ELNS1_3gpuE4ELNS1_3repE0EEENS1_30default_config_static_selectorELNS0_4arch9wavefront6targetE1EEEvT1_: ; @_ZN7rocprim17ROCPRIM_400000_NS6detail17trampoline_kernelINS0_14default_configENS1_27scan_by_key_config_selectorIssEEZZNS1_16scan_by_key_implILNS1_25lookback_scan_determinismE0ELb1ES3_N6thrust23THRUST_200600_302600_NS6detail15normal_iteratorINS9_10device_ptrIsEEEESE_SE_sNS9_10multipliesIsEENS9_8equal_toIsEEsEE10hipError_tPvRmT2_T3_T4_T5_mT6_T7_P12ihipStream_tbENKUlT_T0_E_clISt17integral_constantIbLb0EESZ_EEDaSU_SV_EUlSU_E_NS1_11comp_targetILNS1_3genE10ELNS1_11target_archE1200ELNS1_3gpuE4ELNS1_3repE0EEENS1_30default_config_static_selectorELNS0_4arch9wavefront6targetE1EEEvT1_
; %bb.0:
	.section	.rodata,"a",@progbits
	.p2align	6, 0x0
	.amdhsa_kernel _ZN7rocprim17ROCPRIM_400000_NS6detail17trampoline_kernelINS0_14default_configENS1_27scan_by_key_config_selectorIssEEZZNS1_16scan_by_key_implILNS1_25lookback_scan_determinismE0ELb1ES3_N6thrust23THRUST_200600_302600_NS6detail15normal_iteratorINS9_10device_ptrIsEEEESE_SE_sNS9_10multipliesIsEENS9_8equal_toIsEEsEE10hipError_tPvRmT2_T3_T4_T5_mT6_T7_P12ihipStream_tbENKUlT_T0_E_clISt17integral_constantIbLb0EESZ_EEDaSU_SV_EUlSU_E_NS1_11comp_targetILNS1_3genE10ELNS1_11target_archE1200ELNS1_3gpuE4ELNS1_3repE0EEENS1_30default_config_static_selectorELNS0_4arch9wavefront6targetE1EEEvT1_
		.amdhsa_group_segment_fixed_size 0
		.amdhsa_private_segment_fixed_size 0
		.amdhsa_kernarg_size 112
		.amdhsa_user_sgpr_count 6
		.amdhsa_user_sgpr_private_segment_buffer 1
		.amdhsa_user_sgpr_dispatch_ptr 0
		.amdhsa_user_sgpr_queue_ptr 0
		.amdhsa_user_sgpr_kernarg_segment_ptr 1
		.amdhsa_user_sgpr_dispatch_id 0
		.amdhsa_user_sgpr_flat_scratch_init 0
		.amdhsa_user_sgpr_kernarg_preload_length 0
		.amdhsa_user_sgpr_kernarg_preload_offset 0
		.amdhsa_user_sgpr_private_segment_size 0
		.amdhsa_uses_dynamic_stack 0
		.amdhsa_system_sgpr_private_segment_wavefront_offset 0
		.amdhsa_system_sgpr_workgroup_id_x 1
		.amdhsa_system_sgpr_workgroup_id_y 0
		.amdhsa_system_sgpr_workgroup_id_z 0
		.amdhsa_system_sgpr_workgroup_info 0
		.amdhsa_system_vgpr_workitem_id 0
		.amdhsa_next_free_vgpr 1
		.amdhsa_next_free_sgpr 0
		.amdhsa_accum_offset 4
		.amdhsa_reserve_vcc 0
		.amdhsa_reserve_flat_scratch 0
		.amdhsa_float_round_mode_32 0
		.amdhsa_float_round_mode_16_64 0
		.amdhsa_float_denorm_mode_32 3
		.amdhsa_float_denorm_mode_16_64 3
		.amdhsa_dx10_clamp 1
		.amdhsa_ieee_mode 1
		.amdhsa_fp16_overflow 0
		.amdhsa_tg_split 0
		.amdhsa_exception_fp_ieee_invalid_op 0
		.amdhsa_exception_fp_denorm_src 0
		.amdhsa_exception_fp_ieee_div_zero 0
		.amdhsa_exception_fp_ieee_overflow 0
		.amdhsa_exception_fp_ieee_underflow 0
		.amdhsa_exception_fp_ieee_inexact 0
		.amdhsa_exception_int_div_zero 0
	.end_amdhsa_kernel
	.section	.text._ZN7rocprim17ROCPRIM_400000_NS6detail17trampoline_kernelINS0_14default_configENS1_27scan_by_key_config_selectorIssEEZZNS1_16scan_by_key_implILNS1_25lookback_scan_determinismE0ELb1ES3_N6thrust23THRUST_200600_302600_NS6detail15normal_iteratorINS9_10device_ptrIsEEEESE_SE_sNS9_10multipliesIsEENS9_8equal_toIsEEsEE10hipError_tPvRmT2_T3_T4_T5_mT6_T7_P12ihipStream_tbENKUlT_T0_E_clISt17integral_constantIbLb0EESZ_EEDaSU_SV_EUlSU_E_NS1_11comp_targetILNS1_3genE10ELNS1_11target_archE1200ELNS1_3gpuE4ELNS1_3repE0EEENS1_30default_config_static_selectorELNS0_4arch9wavefront6targetE1EEEvT1_,"axG",@progbits,_ZN7rocprim17ROCPRIM_400000_NS6detail17trampoline_kernelINS0_14default_configENS1_27scan_by_key_config_selectorIssEEZZNS1_16scan_by_key_implILNS1_25lookback_scan_determinismE0ELb1ES3_N6thrust23THRUST_200600_302600_NS6detail15normal_iteratorINS9_10device_ptrIsEEEESE_SE_sNS9_10multipliesIsEENS9_8equal_toIsEEsEE10hipError_tPvRmT2_T3_T4_T5_mT6_T7_P12ihipStream_tbENKUlT_T0_E_clISt17integral_constantIbLb0EESZ_EEDaSU_SV_EUlSU_E_NS1_11comp_targetILNS1_3genE10ELNS1_11target_archE1200ELNS1_3gpuE4ELNS1_3repE0EEENS1_30default_config_static_selectorELNS0_4arch9wavefront6targetE1EEEvT1_,comdat
.Lfunc_end611:
	.size	_ZN7rocprim17ROCPRIM_400000_NS6detail17trampoline_kernelINS0_14default_configENS1_27scan_by_key_config_selectorIssEEZZNS1_16scan_by_key_implILNS1_25lookback_scan_determinismE0ELb1ES3_N6thrust23THRUST_200600_302600_NS6detail15normal_iteratorINS9_10device_ptrIsEEEESE_SE_sNS9_10multipliesIsEENS9_8equal_toIsEEsEE10hipError_tPvRmT2_T3_T4_T5_mT6_T7_P12ihipStream_tbENKUlT_T0_E_clISt17integral_constantIbLb0EESZ_EEDaSU_SV_EUlSU_E_NS1_11comp_targetILNS1_3genE10ELNS1_11target_archE1200ELNS1_3gpuE4ELNS1_3repE0EEENS1_30default_config_static_selectorELNS0_4arch9wavefront6targetE1EEEvT1_, .Lfunc_end611-_ZN7rocprim17ROCPRIM_400000_NS6detail17trampoline_kernelINS0_14default_configENS1_27scan_by_key_config_selectorIssEEZZNS1_16scan_by_key_implILNS1_25lookback_scan_determinismE0ELb1ES3_N6thrust23THRUST_200600_302600_NS6detail15normal_iteratorINS9_10device_ptrIsEEEESE_SE_sNS9_10multipliesIsEENS9_8equal_toIsEEsEE10hipError_tPvRmT2_T3_T4_T5_mT6_T7_P12ihipStream_tbENKUlT_T0_E_clISt17integral_constantIbLb0EESZ_EEDaSU_SV_EUlSU_E_NS1_11comp_targetILNS1_3genE10ELNS1_11target_archE1200ELNS1_3gpuE4ELNS1_3repE0EEENS1_30default_config_static_selectorELNS0_4arch9wavefront6targetE1EEEvT1_
                                        ; -- End function
	.section	.AMDGPU.csdata,"",@progbits
; Kernel info:
; codeLenInByte = 0
; NumSgprs: 4
; NumVgprs: 0
; NumAgprs: 0
; TotalNumVgprs: 0
; ScratchSize: 0
; MemoryBound: 0
; FloatMode: 240
; IeeeMode: 1
; LDSByteSize: 0 bytes/workgroup (compile time only)
; SGPRBlocks: 0
; VGPRBlocks: 0
; NumSGPRsForWavesPerEU: 4
; NumVGPRsForWavesPerEU: 1
; AccumOffset: 4
; Occupancy: 8
; WaveLimiterHint : 0
; COMPUTE_PGM_RSRC2:SCRATCH_EN: 0
; COMPUTE_PGM_RSRC2:USER_SGPR: 6
; COMPUTE_PGM_RSRC2:TRAP_HANDLER: 0
; COMPUTE_PGM_RSRC2:TGID_X_EN: 1
; COMPUTE_PGM_RSRC2:TGID_Y_EN: 0
; COMPUTE_PGM_RSRC2:TGID_Z_EN: 0
; COMPUTE_PGM_RSRC2:TIDIG_COMP_CNT: 0
; COMPUTE_PGM_RSRC3_GFX90A:ACCUM_OFFSET: 0
; COMPUTE_PGM_RSRC3_GFX90A:TG_SPLIT: 0
	.section	.text._ZN7rocprim17ROCPRIM_400000_NS6detail17trampoline_kernelINS0_14default_configENS1_27scan_by_key_config_selectorIssEEZZNS1_16scan_by_key_implILNS1_25lookback_scan_determinismE0ELb1ES3_N6thrust23THRUST_200600_302600_NS6detail15normal_iteratorINS9_10device_ptrIsEEEESE_SE_sNS9_10multipliesIsEENS9_8equal_toIsEEsEE10hipError_tPvRmT2_T3_T4_T5_mT6_T7_P12ihipStream_tbENKUlT_T0_E_clISt17integral_constantIbLb0EESZ_EEDaSU_SV_EUlSU_E_NS1_11comp_targetILNS1_3genE9ELNS1_11target_archE1100ELNS1_3gpuE3ELNS1_3repE0EEENS1_30default_config_static_selectorELNS0_4arch9wavefront6targetE1EEEvT1_,"axG",@progbits,_ZN7rocprim17ROCPRIM_400000_NS6detail17trampoline_kernelINS0_14default_configENS1_27scan_by_key_config_selectorIssEEZZNS1_16scan_by_key_implILNS1_25lookback_scan_determinismE0ELb1ES3_N6thrust23THRUST_200600_302600_NS6detail15normal_iteratorINS9_10device_ptrIsEEEESE_SE_sNS9_10multipliesIsEENS9_8equal_toIsEEsEE10hipError_tPvRmT2_T3_T4_T5_mT6_T7_P12ihipStream_tbENKUlT_T0_E_clISt17integral_constantIbLb0EESZ_EEDaSU_SV_EUlSU_E_NS1_11comp_targetILNS1_3genE9ELNS1_11target_archE1100ELNS1_3gpuE3ELNS1_3repE0EEENS1_30default_config_static_selectorELNS0_4arch9wavefront6targetE1EEEvT1_,comdat
	.protected	_ZN7rocprim17ROCPRIM_400000_NS6detail17trampoline_kernelINS0_14default_configENS1_27scan_by_key_config_selectorIssEEZZNS1_16scan_by_key_implILNS1_25lookback_scan_determinismE0ELb1ES3_N6thrust23THRUST_200600_302600_NS6detail15normal_iteratorINS9_10device_ptrIsEEEESE_SE_sNS9_10multipliesIsEENS9_8equal_toIsEEsEE10hipError_tPvRmT2_T3_T4_T5_mT6_T7_P12ihipStream_tbENKUlT_T0_E_clISt17integral_constantIbLb0EESZ_EEDaSU_SV_EUlSU_E_NS1_11comp_targetILNS1_3genE9ELNS1_11target_archE1100ELNS1_3gpuE3ELNS1_3repE0EEENS1_30default_config_static_selectorELNS0_4arch9wavefront6targetE1EEEvT1_ ; -- Begin function _ZN7rocprim17ROCPRIM_400000_NS6detail17trampoline_kernelINS0_14default_configENS1_27scan_by_key_config_selectorIssEEZZNS1_16scan_by_key_implILNS1_25lookback_scan_determinismE0ELb1ES3_N6thrust23THRUST_200600_302600_NS6detail15normal_iteratorINS9_10device_ptrIsEEEESE_SE_sNS9_10multipliesIsEENS9_8equal_toIsEEsEE10hipError_tPvRmT2_T3_T4_T5_mT6_T7_P12ihipStream_tbENKUlT_T0_E_clISt17integral_constantIbLb0EESZ_EEDaSU_SV_EUlSU_E_NS1_11comp_targetILNS1_3genE9ELNS1_11target_archE1100ELNS1_3gpuE3ELNS1_3repE0EEENS1_30default_config_static_selectorELNS0_4arch9wavefront6targetE1EEEvT1_
	.globl	_ZN7rocprim17ROCPRIM_400000_NS6detail17trampoline_kernelINS0_14default_configENS1_27scan_by_key_config_selectorIssEEZZNS1_16scan_by_key_implILNS1_25lookback_scan_determinismE0ELb1ES3_N6thrust23THRUST_200600_302600_NS6detail15normal_iteratorINS9_10device_ptrIsEEEESE_SE_sNS9_10multipliesIsEENS9_8equal_toIsEEsEE10hipError_tPvRmT2_T3_T4_T5_mT6_T7_P12ihipStream_tbENKUlT_T0_E_clISt17integral_constantIbLb0EESZ_EEDaSU_SV_EUlSU_E_NS1_11comp_targetILNS1_3genE9ELNS1_11target_archE1100ELNS1_3gpuE3ELNS1_3repE0EEENS1_30default_config_static_selectorELNS0_4arch9wavefront6targetE1EEEvT1_
	.p2align	8
	.type	_ZN7rocprim17ROCPRIM_400000_NS6detail17trampoline_kernelINS0_14default_configENS1_27scan_by_key_config_selectorIssEEZZNS1_16scan_by_key_implILNS1_25lookback_scan_determinismE0ELb1ES3_N6thrust23THRUST_200600_302600_NS6detail15normal_iteratorINS9_10device_ptrIsEEEESE_SE_sNS9_10multipliesIsEENS9_8equal_toIsEEsEE10hipError_tPvRmT2_T3_T4_T5_mT6_T7_P12ihipStream_tbENKUlT_T0_E_clISt17integral_constantIbLb0EESZ_EEDaSU_SV_EUlSU_E_NS1_11comp_targetILNS1_3genE9ELNS1_11target_archE1100ELNS1_3gpuE3ELNS1_3repE0EEENS1_30default_config_static_selectorELNS0_4arch9wavefront6targetE1EEEvT1_,@function
_ZN7rocprim17ROCPRIM_400000_NS6detail17trampoline_kernelINS0_14default_configENS1_27scan_by_key_config_selectorIssEEZZNS1_16scan_by_key_implILNS1_25lookback_scan_determinismE0ELb1ES3_N6thrust23THRUST_200600_302600_NS6detail15normal_iteratorINS9_10device_ptrIsEEEESE_SE_sNS9_10multipliesIsEENS9_8equal_toIsEEsEE10hipError_tPvRmT2_T3_T4_T5_mT6_T7_P12ihipStream_tbENKUlT_T0_E_clISt17integral_constantIbLb0EESZ_EEDaSU_SV_EUlSU_E_NS1_11comp_targetILNS1_3genE9ELNS1_11target_archE1100ELNS1_3gpuE3ELNS1_3repE0EEENS1_30default_config_static_selectorELNS0_4arch9wavefront6targetE1EEEvT1_: ; @_ZN7rocprim17ROCPRIM_400000_NS6detail17trampoline_kernelINS0_14default_configENS1_27scan_by_key_config_selectorIssEEZZNS1_16scan_by_key_implILNS1_25lookback_scan_determinismE0ELb1ES3_N6thrust23THRUST_200600_302600_NS6detail15normal_iteratorINS9_10device_ptrIsEEEESE_SE_sNS9_10multipliesIsEENS9_8equal_toIsEEsEE10hipError_tPvRmT2_T3_T4_T5_mT6_T7_P12ihipStream_tbENKUlT_T0_E_clISt17integral_constantIbLb0EESZ_EEDaSU_SV_EUlSU_E_NS1_11comp_targetILNS1_3genE9ELNS1_11target_archE1100ELNS1_3gpuE3ELNS1_3repE0EEENS1_30default_config_static_selectorELNS0_4arch9wavefront6targetE1EEEvT1_
; %bb.0:
	.section	.rodata,"a",@progbits
	.p2align	6, 0x0
	.amdhsa_kernel _ZN7rocprim17ROCPRIM_400000_NS6detail17trampoline_kernelINS0_14default_configENS1_27scan_by_key_config_selectorIssEEZZNS1_16scan_by_key_implILNS1_25lookback_scan_determinismE0ELb1ES3_N6thrust23THRUST_200600_302600_NS6detail15normal_iteratorINS9_10device_ptrIsEEEESE_SE_sNS9_10multipliesIsEENS9_8equal_toIsEEsEE10hipError_tPvRmT2_T3_T4_T5_mT6_T7_P12ihipStream_tbENKUlT_T0_E_clISt17integral_constantIbLb0EESZ_EEDaSU_SV_EUlSU_E_NS1_11comp_targetILNS1_3genE9ELNS1_11target_archE1100ELNS1_3gpuE3ELNS1_3repE0EEENS1_30default_config_static_selectorELNS0_4arch9wavefront6targetE1EEEvT1_
		.amdhsa_group_segment_fixed_size 0
		.amdhsa_private_segment_fixed_size 0
		.amdhsa_kernarg_size 112
		.amdhsa_user_sgpr_count 6
		.amdhsa_user_sgpr_private_segment_buffer 1
		.amdhsa_user_sgpr_dispatch_ptr 0
		.amdhsa_user_sgpr_queue_ptr 0
		.amdhsa_user_sgpr_kernarg_segment_ptr 1
		.amdhsa_user_sgpr_dispatch_id 0
		.amdhsa_user_sgpr_flat_scratch_init 0
		.amdhsa_user_sgpr_kernarg_preload_length 0
		.amdhsa_user_sgpr_kernarg_preload_offset 0
		.amdhsa_user_sgpr_private_segment_size 0
		.amdhsa_uses_dynamic_stack 0
		.amdhsa_system_sgpr_private_segment_wavefront_offset 0
		.amdhsa_system_sgpr_workgroup_id_x 1
		.amdhsa_system_sgpr_workgroup_id_y 0
		.amdhsa_system_sgpr_workgroup_id_z 0
		.amdhsa_system_sgpr_workgroup_info 0
		.amdhsa_system_vgpr_workitem_id 0
		.amdhsa_next_free_vgpr 1
		.amdhsa_next_free_sgpr 0
		.amdhsa_accum_offset 4
		.amdhsa_reserve_vcc 0
		.amdhsa_reserve_flat_scratch 0
		.amdhsa_float_round_mode_32 0
		.amdhsa_float_round_mode_16_64 0
		.amdhsa_float_denorm_mode_32 3
		.amdhsa_float_denorm_mode_16_64 3
		.amdhsa_dx10_clamp 1
		.amdhsa_ieee_mode 1
		.amdhsa_fp16_overflow 0
		.amdhsa_tg_split 0
		.amdhsa_exception_fp_ieee_invalid_op 0
		.amdhsa_exception_fp_denorm_src 0
		.amdhsa_exception_fp_ieee_div_zero 0
		.amdhsa_exception_fp_ieee_overflow 0
		.amdhsa_exception_fp_ieee_underflow 0
		.amdhsa_exception_fp_ieee_inexact 0
		.amdhsa_exception_int_div_zero 0
	.end_amdhsa_kernel
	.section	.text._ZN7rocprim17ROCPRIM_400000_NS6detail17trampoline_kernelINS0_14default_configENS1_27scan_by_key_config_selectorIssEEZZNS1_16scan_by_key_implILNS1_25lookback_scan_determinismE0ELb1ES3_N6thrust23THRUST_200600_302600_NS6detail15normal_iteratorINS9_10device_ptrIsEEEESE_SE_sNS9_10multipliesIsEENS9_8equal_toIsEEsEE10hipError_tPvRmT2_T3_T4_T5_mT6_T7_P12ihipStream_tbENKUlT_T0_E_clISt17integral_constantIbLb0EESZ_EEDaSU_SV_EUlSU_E_NS1_11comp_targetILNS1_3genE9ELNS1_11target_archE1100ELNS1_3gpuE3ELNS1_3repE0EEENS1_30default_config_static_selectorELNS0_4arch9wavefront6targetE1EEEvT1_,"axG",@progbits,_ZN7rocprim17ROCPRIM_400000_NS6detail17trampoline_kernelINS0_14default_configENS1_27scan_by_key_config_selectorIssEEZZNS1_16scan_by_key_implILNS1_25lookback_scan_determinismE0ELb1ES3_N6thrust23THRUST_200600_302600_NS6detail15normal_iteratorINS9_10device_ptrIsEEEESE_SE_sNS9_10multipliesIsEENS9_8equal_toIsEEsEE10hipError_tPvRmT2_T3_T4_T5_mT6_T7_P12ihipStream_tbENKUlT_T0_E_clISt17integral_constantIbLb0EESZ_EEDaSU_SV_EUlSU_E_NS1_11comp_targetILNS1_3genE9ELNS1_11target_archE1100ELNS1_3gpuE3ELNS1_3repE0EEENS1_30default_config_static_selectorELNS0_4arch9wavefront6targetE1EEEvT1_,comdat
.Lfunc_end612:
	.size	_ZN7rocprim17ROCPRIM_400000_NS6detail17trampoline_kernelINS0_14default_configENS1_27scan_by_key_config_selectorIssEEZZNS1_16scan_by_key_implILNS1_25lookback_scan_determinismE0ELb1ES3_N6thrust23THRUST_200600_302600_NS6detail15normal_iteratorINS9_10device_ptrIsEEEESE_SE_sNS9_10multipliesIsEENS9_8equal_toIsEEsEE10hipError_tPvRmT2_T3_T4_T5_mT6_T7_P12ihipStream_tbENKUlT_T0_E_clISt17integral_constantIbLb0EESZ_EEDaSU_SV_EUlSU_E_NS1_11comp_targetILNS1_3genE9ELNS1_11target_archE1100ELNS1_3gpuE3ELNS1_3repE0EEENS1_30default_config_static_selectorELNS0_4arch9wavefront6targetE1EEEvT1_, .Lfunc_end612-_ZN7rocprim17ROCPRIM_400000_NS6detail17trampoline_kernelINS0_14default_configENS1_27scan_by_key_config_selectorIssEEZZNS1_16scan_by_key_implILNS1_25lookback_scan_determinismE0ELb1ES3_N6thrust23THRUST_200600_302600_NS6detail15normal_iteratorINS9_10device_ptrIsEEEESE_SE_sNS9_10multipliesIsEENS9_8equal_toIsEEsEE10hipError_tPvRmT2_T3_T4_T5_mT6_T7_P12ihipStream_tbENKUlT_T0_E_clISt17integral_constantIbLb0EESZ_EEDaSU_SV_EUlSU_E_NS1_11comp_targetILNS1_3genE9ELNS1_11target_archE1100ELNS1_3gpuE3ELNS1_3repE0EEENS1_30default_config_static_selectorELNS0_4arch9wavefront6targetE1EEEvT1_
                                        ; -- End function
	.section	.AMDGPU.csdata,"",@progbits
; Kernel info:
; codeLenInByte = 0
; NumSgprs: 4
; NumVgprs: 0
; NumAgprs: 0
; TotalNumVgprs: 0
; ScratchSize: 0
; MemoryBound: 0
; FloatMode: 240
; IeeeMode: 1
; LDSByteSize: 0 bytes/workgroup (compile time only)
; SGPRBlocks: 0
; VGPRBlocks: 0
; NumSGPRsForWavesPerEU: 4
; NumVGPRsForWavesPerEU: 1
; AccumOffset: 4
; Occupancy: 8
; WaveLimiterHint : 0
; COMPUTE_PGM_RSRC2:SCRATCH_EN: 0
; COMPUTE_PGM_RSRC2:USER_SGPR: 6
; COMPUTE_PGM_RSRC2:TRAP_HANDLER: 0
; COMPUTE_PGM_RSRC2:TGID_X_EN: 1
; COMPUTE_PGM_RSRC2:TGID_Y_EN: 0
; COMPUTE_PGM_RSRC2:TGID_Z_EN: 0
; COMPUTE_PGM_RSRC2:TIDIG_COMP_CNT: 0
; COMPUTE_PGM_RSRC3_GFX90A:ACCUM_OFFSET: 0
; COMPUTE_PGM_RSRC3_GFX90A:TG_SPLIT: 0
	.section	.text._ZN7rocprim17ROCPRIM_400000_NS6detail17trampoline_kernelINS0_14default_configENS1_27scan_by_key_config_selectorIssEEZZNS1_16scan_by_key_implILNS1_25lookback_scan_determinismE0ELb1ES3_N6thrust23THRUST_200600_302600_NS6detail15normal_iteratorINS9_10device_ptrIsEEEESE_SE_sNS9_10multipliesIsEENS9_8equal_toIsEEsEE10hipError_tPvRmT2_T3_T4_T5_mT6_T7_P12ihipStream_tbENKUlT_T0_E_clISt17integral_constantIbLb0EESZ_EEDaSU_SV_EUlSU_E_NS1_11comp_targetILNS1_3genE8ELNS1_11target_archE1030ELNS1_3gpuE2ELNS1_3repE0EEENS1_30default_config_static_selectorELNS0_4arch9wavefront6targetE1EEEvT1_,"axG",@progbits,_ZN7rocprim17ROCPRIM_400000_NS6detail17trampoline_kernelINS0_14default_configENS1_27scan_by_key_config_selectorIssEEZZNS1_16scan_by_key_implILNS1_25lookback_scan_determinismE0ELb1ES3_N6thrust23THRUST_200600_302600_NS6detail15normal_iteratorINS9_10device_ptrIsEEEESE_SE_sNS9_10multipliesIsEENS9_8equal_toIsEEsEE10hipError_tPvRmT2_T3_T4_T5_mT6_T7_P12ihipStream_tbENKUlT_T0_E_clISt17integral_constantIbLb0EESZ_EEDaSU_SV_EUlSU_E_NS1_11comp_targetILNS1_3genE8ELNS1_11target_archE1030ELNS1_3gpuE2ELNS1_3repE0EEENS1_30default_config_static_selectorELNS0_4arch9wavefront6targetE1EEEvT1_,comdat
	.protected	_ZN7rocprim17ROCPRIM_400000_NS6detail17trampoline_kernelINS0_14default_configENS1_27scan_by_key_config_selectorIssEEZZNS1_16scan_by_key_implILNS1_25lookback_scan_determinismE0ELb1ES3_N6thrust23THRUST_200600_302600_NS6detail15normal_iteratorINS9_10device_ptrIsEEEESE_SE_sNS9_10multipliesIsEENS9_8equal_toIsEEsEE10hipError_tPvRmT2_T3_T4_T5_mT6_T7_P12ihipStream_tbENKUlT_T0_E_clISt17integral_constantIbLb0EESZ_EEDaSU_SV_EUlSU_E_NS1_11comp_targetILNS1_3genE8ELNS1_11target_archE1030ELNS1_3gpuE2ELNS1_3repE0EEENS1_30default_config_static_selectorELNS0_4arch9wavefront6targetE1EEEvT1_ ; -- Begin function _ZN7rocprim17ROCPRIM_400000_NS6detail17trampoline_kernelINS0_14default_configENS1_27scan_by_key_config_selectorIssEEZZNS1_16scan_by_key_implILNS1_25lookback_scan_determinismE0ELb1ES3_N6thrust23THRUST_200600_302600_NS6detail15normal_iteratorINS9_10device_ptrIsEEEESE_SE_sNS9_10multipliesIsEENS9_8equal_toIsEEsEE10hipError_tPvRmT2_T3_T4_T5_mT6_T7_P12ihipStream_tbENKUlT_T0_E_clISt17integral_constantIbLb0EESZ_EEDaSU_SV_EUlSU_E_NS1_11comp_targetILNS1_3genE8ELNS1_11target_archE1030ELNS1_3gpuE2ELNS1_3repE0EEENS1_30default_config_static_selectorELNS0_4arch9wavefront6targetE1EEEvT1_
	.globl	_ZN7rocprim17ROCPRIM_400000_NS6detail17trampoline_kernelINS0_14default_configENS1_27scan_by_key_config_selectorIssEEZZNS1_16scan_by_key_implILNS1_25lookback_scan_determinismE0ELb1ES3_N6thrust23THRUST_200600_302600_NS6detail15normal_iteratorINS9_10device_ptrIsEEEESE_SE_sNS9_10multipliesIsEENS9_8equal_toIsEEsEE10hipError_tPvRmT2_T3_T4_T5_mT6_T7_P12ihipStream_tbENKUlT_T0_E_clISt17integral_constantIbLb0EESZ_EEDaSU_SV_EUlSU_E_NS1_11comp_targetILNS1_3genE8ELNS1_11target_archE1030ELNS1_3gpuE2ELNS1_3repE0EEENS1_30default_config_static_selectorELNS0_4arch9wavefront6targetE1EEEvT1_
	.p2align	8
	.type	_ZN7rocprim17ROCPRIM_400000_NS6detail17trampoline_kernelINS0_14default_configENS1_27scan_by_key_config_selectorIssEEZZNS1_16scan_by_key_implILNS1_25lookback_scan_determinismE0ELb1ES3_N6thrust23THRUST_200600_302600_NS6detail15normal_iteratorINS9_10device_ptrIsEEEESE_SE_sNS9_10multipliesIsEENS9_8equal_toIsEEsEE10hipError_tPvRmT2_T3_T4_T5_mT6_T7_P12ihipStream_tbENKUlT_T0_E_clISt17integral_constantIbLb0EESZ_EEDaSU_SV_EUlSU_E_NS1_11comp_targetILNS1_3genE8ELNS1_11target_archE1030ELNS1_3gpuE2ELNS1_3repE0EEENS1_30default_config_static_selectorELNS0_4arch9wavefront6targetE1EEEvT1_,@function
_ZN7rocprim17ROCPRIM_400000_NS6detail17trampoline_kernelINS0_14default_configENS1_27scan_by_key_config_selectorIssEEZZNS1_16scan_by_key_implILNS1_25lookback_scan_determinismE0ELb1ES3_N6thrust23THRUST_200600_302600_NS6detail15normal_iteratorINS9_10device_ptrIsEEEESE_SE_sNS9_10multipliesIsEENS9_8equal_toIsEEsEE10hipError_tPvRmT2_T3_T4_T5_mT6_T7_P12ihipStream_tbENKUlT_T0_E_clISt17integral_constantIbLb0EESZ_EEDaSU_SV_EUlSU_E_NS1_11comp_targetILNS1_3genE8ELNS1_11target_archE1030ELNS1_3gpuE2ELNS1_3repE0EEENS1_30default_config_static_selectorELNS0_4arch9wavefront6targetE1EEEvT1_: ; @_ZN7rocprim17ROCPRIM_400000_NS6detail17trampoline_kernelINS0_14default_configENS1_27scan_by_key_config_selectorIssEEZZNS1_16scan_by_key_implILNS1_25lookback_scan_determinismE0ELb1ES3_N6thrust23THRUST_200600_302600_NS6detail15normal_iteratorINS9_10device_ptrIsEEEESE_SE_sNS9_10multipliesIsEENS9_8equal_toIsEEsEE10hipError_tPvRmT2_T3_T4_T5_mT6_T7_P12ihipStream_tbENKUlT_T0_E_clISt17integral_constantIbLb0EESZ_EEDaSU_SV_EUlSU_E_NS1_11comp_targetILNS1_3genE8ELNS1_11target_archE1030ELNS1_3gpuE2ELNS1_3repE0EEENS1_30default_config_static_selectorELNS0_4arch9wavefront6targetE1EEEvT1_
; %bb.0:
	.section	.rodata,"a",@progbits
	.p2align	6, 0x0
	.amdhsa_kernel _ZN7rocprim17ROCPRIM_400000_NS6detail17trampoline_kernelINS0_14default_configENS1_27scan_by_key_config_selectorIssEEZZNS1_16scan_by_key_implILNS1_25lookback_scan_determinismE0ELb1ES3_N6thrust23THRUST_200600_302600_NS6detail15normal_iteratorINS9_10device_ptrIsEEEESE_SE_sNS9_10multipliesIsEENS9_8equal_toIsEEsEE10hipError_tPvRmT2_T3_T4_T5_mT6_T7_P12ihipStream_tbENKUlT_T0_E_clISt17integral_constantIbLb0EESZ_EEDaSU_SV_EUlSU_E_NS1_11comp_targetILNS1_3genE8ELNS1_11target_archE1030ELNS1_3gpuE2ELNS1_3repE0EEENS1_30default_config_static_selectorELNS0_4arch9wavefront6targetE1EEEvT1_
		.amdhsa_group_segment_fixed_size 0
		.amdhsa_private_segment_fixed_size 0
		.amdhsa_kernarg_size 112
		.amdhsa_user_sgpr_count 6
		.amdhsa_user_sgpr_private_segment_buffer 1
		.amdhsa_user_sgpr_dispatch_ptr 0
		.amdhsa_user_sgpr_queue_ptr 0
		.amdhsa_user_sgpr_kernarg_segment_ptr 1
		.amdhsa_user_sgpr_dispatch_id 0
		.amdhsa_user_sgpr_flat_scratch_init 0
		.amdhsa_user_sgpr_kernarg_preload_length 0
		.amdhsa_user_sgpr_kernarg_preload_offset 0
		.amdhsa_user_sgpr_private_segment_size 0
		.amdhsa_uses_dynamic_stack 0
		.amdhsa_system_sgpr_private_segment_wavefront_offset 0
		.amdhsa_system_sgpr_workgroup_id_x 1
		.amdhsa_system_sgpr_workgroup_id_y 0
		.amdhsa_system_sgpr_workgroup_id_z 0
		.amdhsa_system_sgpr_workgroup_info 0
		.amdhsa_system_vgpr_workitem_id 0
		.amdhsa_next_free_vgpr 1
		.amdhsa_next_free_sgpr 0
		.amdhsa_accum_offset 4
		.amdhsa_reserve_vcc 0
		.amdhsa_reserve_flat_scratch 0
		.amdhsa_float_round_mode_32 0
		.amdhsa_float_round_mode_16_64 0
		.amdhsa_float_denorm_mode_32 3
		.amdhsa_float_denorm_mode_16_64 3
		.amdhsa_dx10_clamp 1
		.amdhsa_ieee_mode 1
		.amdhsa_fp16_overflow 0
		.amdhsa_tg_split 0
		.amdhsa_exception_fp_ieee_invalid_op 0
		.amdhsa_exception_fp_denorm_src 0
		.amdhsa_exception_fp_ieee_div_zero 0
		.amdhsa_exception_fp_ieee_overflow 0
		.amdhsa_exception_fp_ieee_underflow 0
		.amdhsa_exception_fp_ieee_inexact 0
		.amdhsa_exception_int_div_zero 0
	.end_amdhsa_kernel
	.section	.text._ZN7rocprim17ROCPRIM_400000_NS6detail17trampoline_kernelINS0_14default_configENS1_27scan_by_key_config_selectorIssEEZZNS1_16scan_by_key_implILNS1_25lookback_scan_determinismE0ELb1ES3_N6thrust23THRUST_200600_302600_NS6detail15normal_iteratorINS9_10device_ptrIsEEEESE_SE_sNS9_10multipliesIsEENS9_8equal_toIsEEsEE10hipError_tPvRmT2_T3_T4_T5_mT6_T7_P12ihipStream_tbENKUlT_T0_E_clISt17integral_constantIbLb0EESZ_EEDaSU_SV_EUlSU_E_NS1_11comp_targetILNS1_3genE8ELNS1_11target_archE1030ELNS1_3gpuE2ELNS1_3repE0EEENS1_30default_config_static_selectorELNS0_4arch9wavefront6targetE1EEEvT1_,"axG",@progbits,_ZN7rocprim17ROCPRIM_400000_NS6detail17trampoline_kernelINS0_14default_configENS1_27scan_by_key_config_selectorIssEEZZNS1_16scan_by_key_implILNS1_25lookback_scan_determinismE0ELb1ES3_N6thrust23THRUST_200600_302600_NS6detail15normal_iteratorINS9_10device_ptrIsEEEESE_SE_sNS9_10multipliesIsEENS9_8equal_toIsEEsEE10hipError_tPvRmT2_T3_T4_T5_mT6_T7_P12ihipStream_tbENKUlT_T0_E_clISt17integral_constantIbLb0EESZ_EEDaSU_SV_EUlSU_E_NS1_11comp_targetILNS1_3genE8ELNS1_11target_archE1030ELNS1_3gpuE2ELNS1_3repE0EEENS1_30default_config_static_selectorELNS0_4arch9wavefront6targetE1EEEvT1_,comdat
.Lfunc_end613:
	.size	_ZN7rocprim17ROCPRIM_400000_NS6detail17trampoline_kernelINS0_14default_configENS1_27scan_by_key_config_selectorIssEEZZNS1_16scan_by_key_implILNS1_25lookback_scan_determinismE0ELb1ES3_N6thrust23THRUST_200600_302600_NS6detail15normal_iteratorINS9_10device_ptrIsEEEESE_SE_sNS9_10multipliesIsEENS9_8equal_toIsEEsEE10hipError_tPvRmT2_T3_T4_T5_mT6_T7_P12ihipStream_tbENKUlT_T0_E_clISt17integral_constantIbLb0EESZ_EEDaSU_SV_EUlSU_E_NS1_11comp_targetILNS1_3genE8ELNS1_11target_archE1030ELNS1_3gpuE2ELNS1_3repE0EEENS1_30default_config_static_selectorELNS0_4arch9wavefront6targetE1EEEvT1_, .Lfunc_end613-_ZN7rocprim17ROCPRIM_400000_NS6detail17trampoline_kernelINS0_14default_configENS1_27scan_by_key_config_selectorIssEEZZNS1_16scan_by_key_implILNS1_25lookback_scan_determinismE0ELb1ES3_N6thrust23THRUST_200600_302600_NS6detail15normal_iteratorINS9_10device_ptrIsEEEESE_SE_sNS9_10multipliesIsEENS9_8equal_toIsEEsEE10hipError_tPvRmT2_T3_T4_T5_mT6_T7_P12ihipStream_tbENKUlT_T0_E_clISt17integral_constantIbLb0EESZ_EEDaSU_SV_EUlSU_E_NS1_11comp_targetILNS1_3genE8ELNS1_11target_archE1030ELNS1_3gpuE2ELNS1_3repE0EEENS1_30default_config_static_selectorELNS0_4arch9wavefront6targetE1EEEvT1_
                                        ; -- End function
	.section	.AMDGPU.csdata,"",@progbits
; Kernel info:
; codeLenInByte = 0
; NumSgprs: 4
; NumVgprs: 0
; NumAgprs: 0
; TotalNumVgprs: 0
; ScratchSize: 0
; MemoryBound: 0
; FloatMode: 240
; IeeeMode: 1
; LDSByteSize: 0 bytes/workgroup (compile time only)
; SGPRBlocks: 0
; VGPRBlocks: 0
; NumSGPRsForWavesPerEU: 4
; NumVGPRsForWavesPerEU: 1
; AccumOffset: 4
; Occupancy: 8
; WaveLimiterHint : 0
; COMPUTE_PGM_RSRC2:SCRATCH_EN: 0
; COMPUTE_PGM_RSRC2:USER_SGPR: 6
; COMPUTE_PGM_RSRC2:TRAP_HANDLER: 0
; COMPUTE_PGM_RSRC2:TGID_X_EN: 1
; COMPUTE_PGM_RSRC2:TGID_Y_EN: 0
; COMPUTE_PGM_RSRC2:TGID_Z_EN: 0
; COMPUTE_PGM_RSRC2:TIDIG_COMP_CNT: 0
; COMPUTE_PGM_RSRC3_GFX90A:ACCUM_OFFSET: 0
; COMPUTE_PGM_RSRC3_GFX90A:TG_SPLIT: 0
	.section	.text._ZN7rocprim17ROCPRIM_400000_NS6detail17trampoline_kernelINS0_14default_configENS1_27scan_by_key_config_selectorIssEEZZNS1_16scan_by_key_implILNS1_25lookback_scan_determinismE0ELb1ES3_N6thrust23THRUST_200600_302600_NS6detail15normal_iteratorINS9_10device_ptrIsEEEESE_SE_sNS9_10multipliesIsEENS9_8equal_toIsEEsEE10hipError_tPvRmT2_T3_T4_T5_mT6_T7_P12ihipStream_tbENKUlT_T0_E_clISt17integral_constantIbLb1EESZ_EEDaSU_SV_EUlSU_E_NS1_11comp_targetILNS1_3genE0ELNS1_11target_archE4294967295ELNS1_3gpuE0ELNS1_3repE0EEENS1_30default_config_static_selectorELNS0_4arch9wavefront6targetE1EEEvT1_,"axG",@progbits,_ZN7rocprim17ROCPRIM_400000_NS6detail17trampoline_kernelINS0_14default_configENS1_27scan_by_key_config_selectorIssEEZZNS1_16scan_by_key_implILNS1_25lookback_scan_determinismE0ELb1ES3_N6thrust23THRUST_200600_302600_NS6detail15normal_iteratorINS9_10device_ptrIsEEEESE_SE_sNS9_10multipliesIsEENS9_8equal_toIsEEsEE10hipError_tPvRmT2_T3_T4_T5_mT6_T7_P12ihipStream_tbENKUlT_T0_E_clISt17integral_constantIbLb1EESZ_EEDaSU_SV_EUlSU_E_NS1_11comp_targetILNS1_3genE0ELNS1_11target_archE4294967295ELNS1_3gpuE0ELNS1_3repE0EEENS1_30default_config_static_selectorELNS0_4arch9wavefront6targetE1EEEvT1_,comdat
	.protected	_ZN7rocprim17ROCPRIM_400000_NS6detail17trampoline_kernelINS0_14default_configENS1_27scan_by_key_config_selectorIssEEZZNS1_16scan_by_key_implILNS1_25lookback_scan_determinismE0ELb1ES3_N6thrust23THRUST_200600_302600_NS6detail15normal_iteratorINS9_10device_ptrIsEEEESE_SE_sNS9_10multipliesIsEENS9_8equal_toIsEEsEE10hipError_tPvRmT2_T3_T4_T5_mT6_T7_P12ihipStream_tbENKUlT_T0_E_clISt17integral_constantIbLb1EESZ_EEDaSU_SV_EUlSU_E_NS1_11comp_targetILNS1_3genE0ELNS1_11target_archE4294967295ELNS1_3gpuE0ELNS1_3repE0EEENS1_30default_config_static_selectorELNS0_4arch9wavefront6targetE1EEEvT1_ ; -- Begin function _ZN7rocprim17ROCPRIM_400000_NS6detail17trampoline_kernelINS0_14default_configENS1_27scan_by_key_config_selectorIssEEZZNS1_16scan_by_key_implILNS1_25lookback_scan_determinismE0ELb1ES3_N6thrust23THRUST_200600_302600_NS6detail15normal_iteratorINS9_10device_ptrIsEEEESE_SE_sNS9_10multipliesIsEENS9_8equal_toIsEEsEE10hipError_tPvRmT2_T3_T4_T5_mT6_T7_P12ihipStream_tbENKUlT_T0_E_clISt17integral_constantIbLb1EESZ_EEDaSU_SV_EUlSU_E_NS1_11comp_targetILNS1_3genE0ELNS1_11target_archE4294967295ELNS1_3gpuE0ELNS1_3repE0EEENS1_30default_config_static_selectorELNS0_4arch9wavefront6targetE1EEEvT1_
	.globl	_ZN7rocprim17ROCPRIM_400000_NS6detail17trampoline_kernelINS0_14default_configENS1_27scan_by_key_config_selectorIssEEZZNS1_16scan_by_key_implILNS1_25lookback_scan_determinismE0ELb1ES3_N6thrust23THRUST_200600_302600_NS6detail15normal_iteratorINS9_10device_ptrIsEEEESE_SE_sNS9_10multipliesIsEENS9_8equal_toIsEEsEE10hipError_tPvRmT2_T3_T4_T5_mT6_T7_P12ihipStream_tbENKUlT_T0_E_clISt17integral_constantIbLb1EESZ_EEDaSU_SV_EUlSU_E_NS1_11comp_targetILNS1_3genE0ELNS1_11target_archE4294967295ELNS1_3gpuE0ELNS1_3repE0EEENS1_30default_config_static_selectorELNS0_4arch9wavefront6targetE1EEEvT1_
	.p2align	8
	.type	_ZN7rocprim17ROCPRIM_400000_NS6detail17trampoline_kernelINS0_14default_configENS1_27scan_by_key_config_selectorIssEEZZNS1_16scan_by_key_implILNS1_25lookback_scan_determinismE0ELb1ES3_N6thrust23THRUST_200600_302600_NS6detail15normal_iteratorINS9_10device_ptrIsEEEESE_SE_sNS9_10multipliesIsEENS9_8equal_toIsEEsEE10hipError_tPvRmT2_T3_T4_T5_mT6_T7_P12ihipStream_tbENKUlT_T0_E_clISt17integral_constantIbLb1EESZ_EEDaSU_SV_EUlSU_E_NS1_11comp_targetILNS1_3genE0ELNS1_11target_archE4294967295ELNS1_3gpuE0ELNS1_3repE0EEENS1_30default_config_static_selectorELNS0_4arch9wavefront6targetE1EEEvT1_,@function
_ZN7rocprim17ROCPRIM_400000_NS6detail17trampoline_kernelINS0_14default_configENS1_27scan_by_key_config_selectorIssEEZZNS1_16scan_by_key_implILNS1_25lookback_scan_determinismE0ELb1ES3_N6thrust23THRUST_200600_302600_NS6detail15normal_iteratorINS9_10device_ptrIsEEEESE_SE_sNS9_10multipliesIsEENS9_8equal_toIsEEsEE10hipError_tPvRmT2_T3_T4_T5_mT6_T7_P12ihipStream_tbENKUlT_T0_E_clISt17integral_constantIbLb1EESZ_EEDaSU_SV_EUlSU_E_NS1_11comp_targetILNS1_3genE0ELNS1_11target_archE4294967295ELNS1_3gpuE0ELNS1_3repE0EEENS1_30default_config_static_selectorELNS0_4arch9wavefront6targetE1EEEvT1_: ; @_ZN7rocprim17ROCPRIM_400000_NS6detail17trampoline_kernelINS0_14default_configENS1_27scan_by_key_config_selectorIssEEZZNS1_16scan_by_key_implILNS1_25lookback_scan_determinismE0ELb1ES3_N6thrust23THRUST_200600_302600_NS6detail15normal_iteratorINS9_10device_ptrIsEEEESE_SE_sNS9_10multipliesIsEENS9_8equal_toIsEEsEE10hipError_tPvRmT2_T3_T4_T5_mT6_T7_P12ihipStream_tbENKUlT_T0_E_clISt17integral_constantIbLb1EESZ_EEDaSU_SV_EUlSU_E_NS1_11comp_targetILNS1_3genE0ELNS1_11target_archE4294967295ELNS1_3gpuE0ELNS1_3repE0EEENS1_30default_config_static_selectorELNS0_4arch9wavefront6targetE1EEEvT1_
; %bb.0:
	.section	.rodata,"a",@progbits
	.p2align	6, 0x0
	.amdhsa_kernel _ZN7rocprim17ROCPRIM_400000_NS6detail17trampoline_kernelINS0_14default_configENS1_27scan_by_key_config_selectorIssEEZZNS1_16scan_by_key_implILNS1_25lookback_scan_determinismE0ELb1ES3_N6thrust23THRUST_200600_302600_NS6detail15normal_iteratorINS9_10device_ptrIsEEEESE_SE_sNS9_10multipliesIsEENS9_8equal_toIsEEsEE10hipError_tPvRmT2_T3_T4_T5_mT6_T7_P12ihipStream_tbENKUlT_T0_E_clISt17integral_constantIbLb1EESZ_EEDaSU_SV_EUlSU_E_NS1_11comp_targetILNS1_3genE0ELNS1_11target_archE4294967295ELNS1_3gpuE0ELNS1_3repE0EEENS1_30default_config_static_selectorELNS0_4arch9wavefront6targetE1EEEvT1_
		.amdhsa_group_segment_fixed_size 0
		.amdhsa_private_segment_fixed_size 0
		.amdhsa_kernarg_size 112
		.amdhsa_user_sgpr_count 6
		.amdhsa_user_sgpr_private_segment_buffer 1
		.amdhsa_user_sgpr_dispatch_ptr 0
		.amdhsa_user_sgpr_queue_ptr 0
		.amdhsa_user_sgpr_kernarg_segment_ptr 1
		.amdhsa_user_sgpr_dispatch_id 0
		.amdhsa_user_sgpr_flat_scratch_init 0
		.amdhsa_user_sgpr_kernarg_preload_length 0
		.amdhsa_user_sgpr_kernarg_preload_offset 0
		.amdhsa_user_sgpr_private_segment_size 0
		.amdhsa_uses_dynamic_stack 0
		.amdhsa_system_sgpr_private_segment_wavefront_offset 0
		.amdhsa_system_sgpr_workgroup_id_x 1
		.amdhsa_system_sgpr_workgroup_id_y 0
		.amdhsa_system_sgpr_workgroup_id_z 0
		.amdhsa_system_sgpr_workgroup_info 0
		.amdhsa_system_vgpr_workitem_id 0
		.amdhsa_next_free_vgpr 1
		.amdhsa_next_free_sgpr 0
		.amdhsa_accum_offset 4
		.amdhsa_reserve_vcc 0
		.amdhsa_reserve_flat_scratch 0
		.amdhsa_float_round_mode_32 0
		.amdhsa_float_round_mode_16_64 0
		.amdhsa_float_denorm_mode_32 3
		.amdhsa_float_denorm_mode_16_64 3
		.amdhsa_dx10_clamp 1
		.amdhsa_ieee_mode 1
		.amdhsa_fp16_overflow 0
		.amdhsa_tg_split 0
		.amdhsa_exception_fp_ieee_invalid_op 0
		.amdhsa_exception_fp_denorm_src 0
		.amdhsa_exception_fp_ieee_div_zero 0
		.amdhsa_exception_fp_ieee_overflow 0
		.amdhsa_exception_fp_ieee_underflow 0
		.amdhsa_exception_fp_ieee_inexact 0
		.amdhsa_exception_int_div_zero 0
	.end_amdhsa_kernel
	.section	.text._ZN7rocprim17ROCPRIM_400000_NS6detail17trampoline_kernelINS0_14default_configENS1_27scan_by_key_config_selectorIssEEZZNS1_16scan_by_key_implILNS1_25lookback_scan_determinismE0ELb1ES3_N6thrust23THRUST_200600_302600_NS6detail15normal_iteratorINS9_10device_ptrIsEEEESE_SE_sNS9_10multipliesIsEENS9_8equal_toIsEEsEE10hipError_tPvRmT2_T3_T4_T5_mT6_T7_P12ihipStream_tbENKUlT_T0_E_clISt17integral_constantIbLb1EESZ_EEDaSU_SV_EUlSU_E_NS1_11comp_targetILNS1_3genE0ELNS1_11target_archE4294967295ELNS1_3gpuE0ELNS1_3repE0EEENS1_30default_config_static_selectorELNS0_4arch9wavefront6targetE1EEEvT1_,"axG",@progbits,_ZN7rocprim17ROCPRIM_400000_NS6detail17trampoline_kernelINS0_14default_configENS1_27scan_by_key_config_selectorIssEEZZNS1_16scan_by_key_implILNS1_25lookback_scan_determinismE0ELb1ES3_N6thrust23THRUST_200600_302600_NS6detail15normal_iteratorINS9_10device_ptrIsEEEESE_SE_sNS9_10multipliesIsEENS9_8equal_toIsEEsEE10hipError_tPvRmT2_T3_T4_T5_mT6_T7_P12ihipStream_tbENKUlT_T0_E_clISt17integral_constantIbLb1EESZ_EEDaSU_SV_EUlSU_E_NS1_11comp_targetILNS1_3genE0ELNS1_11target_archE4294967295ELNS1_3gpuE0ELNS1_3repE0EEENS1_30default_config_static_selectorELNS0_4arch9wavefront6targetE1EEEvT1_,comdat
.Lfunc_end614:
	.size	_ZN7rocprim17ROCPRIM_400000_NS6detail17trampoline_kernelINS0_14default_configENS1_27scan_by_key_config_selectorIssEEZZNS1_16scan_by_key_implILNS1_25lookback_scan_determinismE0ELb1ES3_N6thrust23THRUST_200600_302600_NS6detail15normal_iteratorINS9_10device_ptrIsEEEESE_SE_sNS9_10multipliesIsEENS9_8equal_toIsEEsEE10hipError_tPvRmT2_T3_T4_T5_mT6_T7_P12ihipStream_tbENKUlT_T0_E_clISt17integral_constantIbLb1EESZ_EEDaSU_SV_EUlSU_E_NS1_11comp_targetILNS1_3genE0ELNS1_11target_archE4294967295ELNS1_3gpuE0ELNS1_3repE0EEENS1_30default_config_static_selectorELNS0_4arch9wavefront6targetE1EEEvT1_, .Lfunc_end614-_ZN7rocprim17ROCPRIM_400000_NS6detail17trampoline_kernelINS0_14default_configENS1_27scan_by_key_config_selectorIssEEZZNS1_16scan_by_key_implILNS1_25lookback_scan_determinismE0ELb1ES3_N6thrust23THRUST_200600_302600_NS6detail15normal_iteratorINS9_10device_ptrIsEEEESE_SE_sNS9_10multipliesIsEENS9_8equal_toIsEEsEE10hipError_tPvRmT2_T3_T4_T5_mT6_T7_P12ihipStream_tbENKUlT_T0_E_clISt17integral_constantIbLb1EESZ_EEDaSU_SV_EUlSU_E_NS1_11comp_targetILNS1_3genE0ELNS1_11target_archE4294967295ELNS1_3gpuE0ELNS1_3repE0EEENS1_30default_config_static_selectorELNS0_4arch9wavefront6targetE1EEEvT1_
                                        ; -- End function
	.section	.AMDGPU.csdata,"",@progbits
; Kernel info:
; codeLenInByte = 0
; NumSgprs: 4
; NumVgprs: 0
; NumAgprs: 0
; TotalNumVgprs: 0
; ScratchSize: 0
; MemoryBound: 0
; FloatMode: 240
; IeeeMode: 1
; LDSByteSize: 0 bytes/workgroup (compile time only)
; SGPRBlocks: 0
; VGPRBlocks: 0
; NumSGPRsForWavesPerEU: 4
; NumVGPRsForWavesPerEU: 1
; AccumOffset: 4
; Occupancy: 8
; WaveLimiterHint : 0
; COMPUTE_PGM_RSRC2:SCRATCH_EN: 0
; COMPUTE_PGM_RSRC2:USER_SGPR: 6
; COMPUTE_PGM_RSRC2:TRAP_HANDLER: 0
; COMPUTE_PGM_RSRC2:TGID_X_EN: 1
; COMPUTE_PGM_RSRC2:TGID_Y_EN: 0
; COMPUTE_PGM_RSRC2:TGID_Z_EN: 0
; COMPUTE_PGM_RSRC2:TIDIG_COMP_CNT: 0
; COMPUTE_PGM_RSRC3_GFX90A:ACCUM_OFFSET: 0
; COMPUTE_PGM_RSRC3_GFX90A:TG_SPLIT: 0
	.section	.text._ZN7rocprim17ROCPRIM_400000_NS6detail17trampoline_kernelINS0_14default_configENS1_27scan_by_key_config_selectorIssEEZZNS1_16scan_by_key_implILNS1_25lookback_scan_determinismE0ELb1ES3_N6thrust23THRUST_200600_302600_NS6detail15normal_iteratorINS9_10device_ptrIsEEEESE_SE_sNS9_10multipliesIsEENS9_8equal_toIsEEsEE10hipError_tPvRmT2_T3_T4_T5_mT6_T7_P12ihipStream_tbENKUlT_T0_E_clISt17integral_constantIbLb1EESZ_EEDaSU_SV_EUlSU_E_NS1_11comp_targetILNS1_3genE10ELNS1_11target_archE1201ELNS1_3gpuE5ELNS1_3repE0EEENS1_30default_config_static_selectorELNS0_4arch9wavefront6targetE1EEEvT1_,"axG",@progbits,_ZN7rocprim17ROCPRIM_400000_NS6detail17trampoline_kernelINS0_14default_configENS1_27scan_by_key_config_selectorIssEEZZNS1_16scan_by_key_implILNS1_25lookback_scan_determinismE0ELb1ES3_N6thrust23THRUST_200600_302600_NS6detail15normal_iteratorINS9_10device_ptrIsEEEESE_SE_sNS9_10multipliesIsEENS9_8equal_toIsEEsEE10hipError_tPvRmT2_T3_T4_T5_mT6_T7_P12ihipStream_tbENKUlT_T0_E_clISt17integral_constantIbLb1EESZ_EEDaSU_SV_EUlSU_E_NS1_11comp_targetILNS1_3genE10ELNS1_11target_archE1201ELNS1_3gpuE5ELNS1_3repE0EEENS1_30default_config_static_selectorELNS0_4arch9wavefront6targetE1EEEvT1_,comdat
	.protected	_ZN7rocprim17ROCPRIM_400000_NS6detail17trampoline_kernelINS0_14default_configENS1_27scan_by_key_config_selectorIssEEZZNS1_16scan_by_key_implILNS1_25lookback_scan_determinismE0ELb1ES3_N6thrust23THRUST_200600_302600_NS6detail15normal_iteratorINS9_10device_ptrIsEEEESE_SE_sNS9_10multipliesIsEENS9_8equal_toIsEEsEE10hipError_tPvRmT2_T3_T4_T5_mT6_T7_P12ihipStream_tbENKUlT_T0_E_clISt17integral_constantIbLb1EESZ_EEDaSU_SV_EUlSU_E_NS1_11comp_targetILNS1_3genE10ELNS1_11target_archE1201ELNS1_3gpuE5ELNS1_3repE0EEENS1_30default_config_static_selectorELNS0_4arch9wavefront6targetE1EEEvT1_ ; -- Begin function _ZN7rocprim17ROCPRIM_400000_NS6detail17trampoline_kernelINS0_14default_configENS1_27scan_by_key_config_selectorIssEEZZNS1_16scan_by_key_implILNS1_25lookback_scan_determinismE0ELb1ES3_N6thrust23THRUST_200600_302600_NS6detail15normal_iteratorINS9_10device_ptrIsEEEESE_SE_sNS9_10multipliesIsEENS9_8equal_toIsEEsEE10hipError_tPvRmT2_T3_T4_T5_mT6_T7_P12ihipStream_tbENKUlT_T0_E_clISt17integral_constantIbLb1EESZ_EEDaSU_SV_EUlSU_E_NS1_11comp_targetILNS1_3genE10ELNS1_11target_archE1201ELNS1_3gpuE5ELNS1_3repE0EEENS1_30default_config_static_selectorELNS0_4arch9wavefront6targetE1EEEvT1_
	.globl	_ZN7rocprim17ROCPRIM_400000_NS6detail17trampoline_kernelINS0_14default_configENS1_27scan_by_key_config_selectorIssEEZZNS1_16scan_by_key_implILNS1_25lookback_scan_determinismE0ELb1ES3_N6thrust23THRUST_200600_302600_NS6detail15normal_iteratorINS9_10device_ptrIsEEEESE_SE_sNS9_10multipliesIsEENS9_8equal_toIsEEsEE10hipError_tPvRmT2_T3_T4_T5_mT6_T7_P12ihipStream_tbENKUlT_T0_E_clISt17integral_constantIbLb1EESZ_EEDaSU_SV_EUlSU_E_NS1_11comp_targetILNS1_3genE10ELNS1_11target_archE1201ELNS1_3gpuE5ELNS1_3repE0EEENS1_30default_config_static_selectorELNS0_4arch9wavefront6targetE1EEEvT1_
	.p2align	8
	.type	_ZN7rocprim17ROCPRIM_400000_NS6detail17trampoline_kernelINS0_14default_configENS1_27scan_by_key_config_selectorIssEEZZNS1_16scan_by_key_implILNS1_25lookback_scan_determinismE0ELb1ES3_N6thrust23THRUST_200600_302600_NS6detail15normal_iteratorINS9_10device_ptrIsEEEESE_SE_sNS9_10multipliesIsEENS9_8equal_toIsEEsEE10hipError_tPvRmT2_T3_T4_T5_mT6_T7_P12ihipStream_tbENKUlT_T0_E_clISt17integral_constantIbLb1EESZ_EEDaSU_SV_EUlSU_E_NS1_11comp_targetILNS1_3genE10ELNS1_11target_archE1201ELNS1_3gpuE5ELNS1_3repE0EEENS1_30default_config_static_selectorELNS0_4arch9wavefront6targetE1EEEvT1_,@function
_ZN7rocprim17ROCPRIM_400000_NS6detail17trampoline_kernelINS0_14default_configENS1_27scan_by_key_config_selectorIssEEZZNS1_16scan_by_key_implILNS1_25lookback_scan_determinismE0ELb1ES3_N6thrust23THRUST_200600_302600_NS6detail15normal_iteratorINS9_10device_ptrIsEEEESE_SE_sNS9_10multipliesIsEENS9_8equal_toIsEEsEE10hipError_tPvRmT2_T3_T4_T5_mT6_T7_P12ihipStream_tbENKUlT_T0_E_clISt17integral_constantIbLb1EESZ_EEDaSU_SV_EUlSU_E_NS1_11comp_targetILNS1_3genE10ELNS1_11target_archE1201ELNS1_3gpuE5ELNS1_3repE0EEENS1_30default_config_static_selectorELNS0_4arch9wavefront6targetE1EEEvT1_: ; @_ZN7rocprim17ROCPRIM_400000_NS6detail17trampoline_kernelINS0_14default_configENS1_27scan_by_key_config_selectorIssEEZZNS1_16scan_by_key_implILNS1_25lookback_scan_determinismE0ELb1ES3_N6thrust23THRUST_200600_302600_NS6detail15normal_iteratorINS9_10device_ptrIsEEEESE_SE_sNS9_10multipliesIsEENS9_8equal_toIsEEsEE10hipError_tPvRmT2_T3_T4_T5_mT6_T7_P12ihipStream_tbENKUlT_T0_E_clISt17integral_constantIbLb1EESZ_EEDaSU_SV_EUlSU_E_NS1_11comp_targetILNS1_3genE10ELNS1_11target_archE1201ELNS1_3gpuE5ELNS1_3repE0EEENS1_30default_config_static_selectorELNS0_4arch9wavefront6targetE1EEEvT1_
; %bb.0:
	.section	.rodata,"a",@progbits
	.p2align	6, 0x0
	.amdhsa_kernel _ZN7rocprim17ROCPRIM_400000_NS6detail17trampoline_kernelINS0_14default_configENS1_27scan_by_key_config_selectorIssEEZZNS1_16scan_by_key_implILNS1_25lookback_scan_determinismE0ELb1ES3_N6thrust23THRUST_200600_302600_NS6detail15normal_iteratorINS9_10device_ptrIsEEEESE_SE_sNS9_10multipliesIsEENS9_8equal_toIsEEsEE10hipError_tPvRmT2_T3_T4_T5_mT6_T7_P12ihipStream_tbENKUlT_T0_E_clISt17integral_constantIbLb1EESZ_EEDaSU_SV_EUlSU_E_NS1_11comp_targetILNS1_3genE10ELNS1_11target_archE1201ELNS1_3gpuE5ELNS1_3repE0EEENS1_30default_config_static_selectorELNS0_4arch9wavefront6targetE1EEEvT1_
		.amdhsa_group_segment_fixed_size 0
		.amdhsa_private_segment_fixed_size 0
		.amdhsa_kernarg_size 112
		.amdhsa_user_sgpr_count 6
		.amdhsa_user_sgpr_private_segment_buffer 1
		.amdhsa_user_sgpr_dispatch_ptr 0
		.amdhsa_user_sgpr_queue_ptr 0
		.amdhsa_user_sgpr_kernarg_segment_ptr 1
		.amdhsa_user_sgpr_dispatch_id 0
		.amdhsa_user_sgpr_flat_scratch_init 0
		.amdhsa_user_sgpr_kernarg_preload_length 0
		.amdhsa_user_sgpr_kernarg_preload_offset 0
		.amdhsa_user_sgpr_private_segment_size 0
		.amdhsa_uses_dynamic_stack 0
		.amdhsa_system_sgpr_private_segment_wavefront_offset 0
		.amdhsa_system_sgpr_workgroup_id_x 1
		.amdhsa_system_sgpr_workgroup_id_y 0
		.amdhsa_system_sgpr_workgroup_id_z 0
		.amdhsa_system_sgpr_workgroup_info 0
		.amdhsa_system_vgpr_workitem_id 0
		.amdhsa_next_free_vgpr 1
		.amdhsa_next_free_sgpr 0
		.amdhsa_accum_offset 4
		.amdhsa_reserve_vcc 0
		.amdhsa_reserve_flat_scratch 0
		.amdhsa_float_round_mode_32 0
		.amdhsa_float_round_mode_16_64 0
		.amdhsa_float_denorm_mode_32 3
		.amdhsa_float_denorm_mode_16_64 3
		.amdhsa_dx10_clamp 1
		.amdhsa_ieee_mode 1
		.amdhsa_fp16_overflow 0
		.amdhsa_tg_split 0
		.amdhsa_exception_fp_ieee_invalid_op 0
		.amdhsa_exception_fp_denorm_src 0
		.amdhsa_exception_fp_ieee_div_zero 0
		.amdhsa_exception_fp_ieee_overflow 0
		.amdhsa_exception_fp_ieee_underflow 0
		.amdhsa_exception_fp_ieee_inexact 0
		.amdhsa_exception_int_div_zero 0
	.end_amdhsa_kernel
	.section	.text._ZN7rocprim17ROCPRIM_400000_NS6detail17trampoline_kernelINS0_14default_configENS1_27scan_by_key_config_selectorIssEEZZNS1_16scan_by_key_implILNS1_25lookback_scan_determinismE0ELb1ES3_N6thrust23THRUST_200600_302600_NS6detail15normal_iteratorINS9_10device_ptrIsEEEESE_SE_sNS9_10multipliesIsEENS9_8equal_toIsEEsEE10hipError_tPvRmT2_T3_T4_T5_mT6_T7_P12ihipStream_tbENKUlT_T0_E_clISt17integral_constantIbLb1EESZ_EEDaSU_SV_EUlSU_E_NS1_11comp_targetILNS1_3genE10ELNS1_11target_archE1201ELNS1_3gpuE5ELNS1_3repE0EEENS1_30default_config_static_selectorELNS0_4arch9wavefront6targetE1EEEvT1_,"axG",@progbits,_ZN7rocprim17ROCPRIM_400000_NS6detail17trampoline_kernelINS0_14default_configENS1_27scan_by_key_config_selectorIssEEZZNS1_16scan_by_key_implILNS1_25lookback_scan_determinismE0ELb1ES3_N6thrust23THRUST_200600_302600_NS6detail15normal_iteratorINS9_10device_ptrIsEEEESE_SE_sNS9_10multipliesIsEENS9_8equal_toIsEEsEE10hipError_tPvRmT2_T3_T4_T5_mT6_T7_P12ihipStream_tbENKUlT_T0_E_clISt17integral_constantIbLb1EESZ_EEDaSU_SV_EUlSU_E_NS1_11comp_targetILNS1_3genE10ELNS1_11target_archE1201ELNS1_3gpuE5ELNS1_3repE0EEENS1_30default_config_static_selectorELNS0_4arch9wavefront6targetE1EEEvT1_,comdat
.Lfunc_end615:
	.size	_ZN7rocprim17ROCPRIM_400000_NS6detail17trampoline_kernelINS0_14default_configENS1_27scan_by_key_config_selectorIssEEZZNS1_16scan_by_key_implILNS1_25lookback_scan_determinismE0ELb1ES3_N6thrust23THRUST_200600_302600_NS6detail15normal_iteratorINS9_10device_ptrIsEEEESE_SE_sNS9_10multipliesIsEENS9_8equal_toIsEEsEE10hipError_tPvRmT2_T3_T4_T5_mT6_T7_P12ihipStream_tbENKUlT_T0_E_clISt17integral_constantIbLb1EESZ_EEDaSU_SV_EUlSU_E_NS1_11comp_targetILNS1_3genE10ELNS1_11target_archE1201ELNS1_3gpuE5ELNS1_3repE0EEENS1_30default_config_static_selectorELNS0_4arch9wavefront6targetE1EEEvT1_, .Lfunc_end615-_ZN7rocprim17ROCPRIM_400000_NS6detail17trampoline_kernelINS0_14default_configENS1_27scan_by_key_config_selectorIssEEZZNS1_16scan_by_key_implILNS1_25lookback_scan_determinismE0ELb1ES3_N6thrust23THRUST_200600_302600_NS6detail15normal_iteratorINS9_10device_ptrIsEEEESE_SE_sNS9_10multipliesIsEENS9_8equal_toIsEEsEE10hipError_tPvRmT2_T3_T4_T5_mT6_T7_P12ihipStream_tbENKUlT_T0_E_clISt17integral_constantIbLb1EESZ_EEDaSU_SV_EUlSU_E_NS1_11comp_targetILNS1_3genE10ELNS1_11target_archE1201ELNS1_3gpuE5ELNS1_3repE0EEENS1_30default_config_static_selectorELNS0_4arch9wavefront6targetE1EEEvT1_
                                        ; -- End function
	.section	.AMDGPU.csdata,"",@progbits
; Kernel info:
; codeLenInByte = 0
; NumSgprs: 4
; NumVgprs: 0
; NumAgprs: 0
; TotalNumVgprs: 0
; ScratchSize: 0
; MemoryBound: 0
; FloatMode: 240
; IeeeMode: 1
; LDSByteSize: 0 bytes/workgroup (compile time only)
; SGPRBlocks: 0
; VGPRBlocks: 0
; NumSGPRsForWavesPerEU: 4
; NumVGPRsForWavesPerEU: 1
; AccumOffset: 4
; Occupancy: 8
; WaveLimiterHint : 0
; COMPUTE_PGM_RSRC2:SCRATCH_EN: 0
; COMPUTE_PGM_RSRC2:USER_SGPR: 6
; COMPUTE_PGM_RSRC2:TRAP_HANDLER: 0
; COMPUTE_PGM_RSRC2:TGID_X_EN: 1
; COMPUTE_PGM_RSRC2:TGID_Y_EN: 0
; COMPUTE_PGM_RSRC2:TGID_Z_EN: 0
; COMPUTE_PGM_RSRC2:TIDIG_COMP_CNT: 0
; COMPUTE_PGM_RSRC3_GFX90A:ACCUM_OFFSET: 0
; COMPUTE_PGM_RSRC3_GFX90A:TG_SPLIT: 0
	.section	.text._ZN7rocprim17ROCPRIM_400000_NS6detail17trampoline_kernelINS0_14default_configENS1_27scan_by_key_config_selectorIssEEZZNS1_16scan_by_key_implILNS1_25lookback_scan_determinismE0ELb1ES3_N6thrust23THRUST_200600_302600_NS6detail15normal_iteratorINS9_10device_ptrIsEEEESE_SE_sNS9_10multipliesIsEENS9_8equal_toIsEEsEE10hipError_tPvRmT2_T3_T4_T5_mT6_T7_P12ihipStream_tbENKUlT_T0_E_clISt17integral_constantIbLb1EESZ_EEDaSU_SV_EUlSU_E_NS1_11comp_targetILNS1_3genE5ELNS1_11target_archE942ELNS1_3gpuE9ELNS1_3repE0EEENS1_30default_config_static_selectorELNS0_4arch9wavefront6targetE1EEEvT1_,"axG",@progbits,_ZN7rocprim17ROCPRIM_400000_NS6detail17trampoline_kernelINS0_14default_configENS1_27scan_by_key_config_selectorIssEEZZNS1_16scan_by_key_implILNS1_25lookback_scan_determinismE0ELb1ES3_N6thrust23THRUST_200600_302600_NS6detail15normal_iteratorINS9_10device_ptrIsEEEESE_SE_sNS9_10multipliesIsEENS9_8equal_toIsEEsEE10hipError_tPvRmT2_T3_T4_T5_mT6_T7_P12ihipStream_tbENKUlT_T0_E_clISt17integral_constantIbLb1EESZ_EEDaSU_SV_EUlSU_E_NS1_11comp_targetILNS1_3genE5ELNS1_11target_archE942ELNS1_3gpuE9ELNS1_3repE0EEENS1_30default_config_static_selectorELNS0_4arch9wavefront6targetE1EEEvT1_,comdat
	.protected	_ZN7rocprim17ROCPRIM_400000_NS6detail17trampoline_kernelINS0_14default_configENS1_27scan_by_key_config_selectorIssEEZZNS1_16scan_by_key_implILNS1_25lookback_scan_determinismE0ELb1ES3_N6thrust23THRUST_200600_302600_NS6detail15normal_iteratorINS9_10device_ptrIsEEEESE_SE_sNS9_10multipliesIsEENS9_8equal_toIsEEsEE10hipError_tPvRmT2_T3_T4_T5_mT6_T7_P12ihipStream_tbENKUlT_T0_E_clISt17integral_constantIbLb1EESZ_EEDaSU_SV_EUlSU_E_NS1_11comp_targetILNS1_3genE5ELNS1_11target_archE942ELNS1_3gpuE9ELNS1_3repE0EEENS1_30default_config_static_selectorELNS0_4arch9wavefront6targetE1EEEvT1_ ; -- Begin function _ZN7rocprim17ROCPRIM_400000_NS6detail17trampoline_kernelINS0_14default_configENS1_27scan_by_key_config_selectorIssEEZZNS1_16scan_by_key_implILNS1_25lookback_scan_determinismE0ELb1ES3_N6thrust23THRUST_200600_302600_NS6detail15normal_iteratorINS9_10device_ptrIsEEEESE_SE_sNS9_10multipliesIsEENS9_8equal_toIsEEsEE10hipError_tPvRmT2_T3_T4_T5_mT6_T7_P12ihipStream_tbENKUlT_T0_E_clISt17integral_constantIbLb1EESZ_EEDaSU_SV_EUlSU_E_NS1_11comp_targetILNS1_3genE5ELNS1_11target_archE942ELNS1_3gpuE9ELNS1_3repE0EEENS1_30default_config_static_selectorELNS0_4arch9wavefront6targetE1EEEvT1_
	.globl	_ZN7rocprim17ROCPRIM_400000_NS6detail17trampoline_kernelINS0_14default_configENS1_27scan_by_key_config_selectorIssEEZZNS1_16scan_by_key_implILNS1_25lookback_scan_determinismE0ELb1ES3_N6thrust23THRUST_200600_302600_NS6detail15normal_iteratorINS9_10device_ptrIsEEEESE_SE_sNS9_10multipliesIsEENS9_8equal_toIsEEsEE10hipError_tPvRmT2_T3_T4_T5_mT6_T7_P12ihipStream_tbENKUlT_T0_E_clISt17integral_constantIbLb1EESZ_EEDaSU_SV_EUlSU_E_NS1_11comp_targetILNS1_3genE5ELNS1_11target_archE942ELNS1_3gpuE9ELNS1_3repE0EEENS1_30default_config_static_selectorELNS0_4arch9wavefront6targetE1EEEvT1_
	.p2align	8
	.type	_ZN7rocprim17ROCPRIM_400000_NS6detail17trampoline_kernelINS0_14default_configENS1_27scan_by_key_config_selectorIssEEZZNS1_16scan_by_key_implILNS1_25lookback_scan_determinismE0ELb1ES3_N6thrust23THRUST_200600_302600_NS6detail15normal_iteratorINS9_10device_ptrIsEEEESE_SE_sNS9_10multipliesIsEENS9_8equal_toIsEEsEE10hipError_tPvRmT2_T3_T4_T5_mT6_T7_P12ihipStream_tbENKUlT_T0_E_clISt17integral_constantIbLb1EESZ_EEDaSU_SV_EUlSU_E_NS1_11comp_targetILNS1_3genE5ELNS1_11target_archE942ELNS1_3gpuE9ELNS1_3repE0EEENS1_30default_config_static_selectorELNS0_4arch9wavefront6targetE1EEEvT1_,@function
_ZN7rocprim17ROCPRIM_400000_NS6detail17trampoline_kernelINS0_14default_configENS1_27scan_by_key_config_selectorIssEEZZNS1_16scan_by_key_implILNS1_25lookback_scan_determinismE0ELb1ES3_N6thrust23THRUST_200600_302600_NS6detail15normal_iteratorINS9_10device_ptrIsEEEESE_SE_sNS9_10multipliesIsEENS9_8equal_toIsEEsEE10hipError_tPvRmT2_T3_T4_T5_mT6_T7_P12ihipStream_tbENKUlT_T0_E_clISt17integral_constantIbLb1EESZ_EEDaSU_SV_EUlSU_E_NS1_11comp_targetILNS1_3genE5ELNS1_11target_archE942ELNS1_3gpuE9ELNS1_3repE0EEENS1_30default_config_static_selectorELNS0_4arch9wavefront6targetE1EEEvT1_: ; @_ZN7rocprim17ROCPRIM_400000_NS6detail17trampoline_kernelINS0_14default_configENS1_27scan_by_key_config_selectorIssEEZZNS1_16scan_by_key_implILNS1_25lookback_scan_determinismE0ELb1ES3_N6thrust23THRUST_200600_302600_NS6detail15normal_iteratorINS9_10device_ptrIsEEEESE_SE_sNS9_10multipliesIsEENS9_8equal_toIsEEsEE10hipError_tPvRmT2_T3_T4_T5_mT6_T7_P12ihipStream_tbENKUlT_T0_E_clISt17integral_constantIbLb1EESZ_EEDaSU_SV_EUlSU_E_NS1_11comp_targetILNS1_3genE5ELNS1_11target_archE942ELNS1_3gpuE9ELNS1_3repE0EEENS1_30default_config_static_selectorELNS0_4arch9wavefront6targetE1EEEvT1_
; %bb.0:
	.section	.rodata,"a",@progbits
	.p2align	6, 0x0
	.amdhsa_kernel _ZN7rocprim17ROCPRIM_400000_NS6detail17trampoline_kernelINS0_14default_configENS1_27scan_by_key_config_selectorIssEEZZNS1_16scan_by_key_implILNS1_25lookback_scan_determinismE0ELb1ES3_N6thrust23THRUST_200600_302600_NS6detail15normal_iteratorINS9_10device_ptrIsEEEESE_SE_sNS9_10multipliesIsEENS9_8equal_toIsEEsEE10hipError_tPvRmT2_T3_T4_T5_mT6_T7_P12ihipStream_tbENKUlT_T0_E_clISt17integral_constantIbLb1EESZ_EEDaSU_SV_EUlSU_E_NS1_11comp_targetILNS1_3genE5ELNS1_11target_archE942ELNS1_3gpuE9ELNS1_3repE0EEENS1_30default_config_static_selectorELNS0_4arch9wavefront6targetE1EEEvT1_
		.amdhsa_group_segment_fixed_size 0
		.amdhsa_private_segment_fixed_size 0
		.amdhsa_kernarg_size 112
		.amdhsa_user_sgpr_count 6
		.amdhsa_user_sgpr_private_segment_buffer 1
		.amdhsa_user_sgpr_dispatch_ptr 0
		.amdhsa_user_sgpr_queue_ptr 0
		.amdhsa_user_sgpr_kernarg_segment_ptr 1
		.amdhsa_user_sgpr_dispatch_id 0
		.amdhsa_user_sgpr_flat_scratch_init 0
		.amdhsa_user_sgpr_kernarg_preload_length 0
		.amdhsa_user_sgpr_kernarg_preload_offset 0
		.amdhsa_user_sgpr_private_segment_size 0
		.amdhsa_uses_dynamic_stack 0
		.amdhsa_system_sgpr_private_segment_wavefront_offset 0
		.amdhsa_system_sgpr_workgroup_id_x 1
		.amdhsa_system_sgpr_workgroup_id_y 0
		.amdhsa_system_sgpr_workgroup_id_z 0
		.amdhsa_system_sgpr_workgroup_info 0
		.amdhsa_system_vgpr_workitem_id 0
		.amdhsa_next_free_vgpr 1
		.amdhsa_next_free_sgpr 0
		.amdhsa_accum_offset 4
		.amdhsa_reserve_vcc 0
		.amdhsa_reserve_flat_scratch 0
		.amdhsa_float_round_mode_32 0
		.amdhsa_float_round_mode_16_64 0
		.amdhsa_float_denorm_mode_32 3
		.amdhsa_float_denorm_mode_16_64 3
		.amdhsa_dx10_clamp 1
		.amdhsa_ieee_mode 1
		.amdhsa_fp16_overflow 0
		.amdhsa_tg_split 0
		.amdhsa_exception_fp_ieee_invalid_op 0
		.amdhsa_exception_fp_denorm_src 0
		.amdhsa_exception_fp_ieee_div_zero 0
		.amdhsa_exception_fp_ieee_overflow 0
		.amdhsa_exception_fp_ieee_underflow 0
		.amdhsa_exception_fp_ieee_inexact 0
		.amdhsa_exception_int_div_zero 0
	.end_amdhsa_kernel
	.section	.text._ZN7rocprim17ROCPRIM_400000_NS6detail17trampoline_kernelINS0_14default_configENS1_27scan_by_key_config_selectorIssEEZZNS1_16scan_by_key_implILNS1_25lookback_scan_determinismE0ELb1ES3_N6thrust23THRUST_200600_302600_NS6detail15normal_iteratorINS9_10device_ptrIsEEEESE_SE_sNS9_10multipliesIsEENS9_8equal_toIsEEsEE10hipError_tPvRmT2_T3_T4_T5_mT6_T7_P12ihipStream_tbENKUlT_T0_E_clISt17integral_constantIbLb1EESZ_EEDaSU_SV_EUlSU_E_NS1_11comp_targetILNS1_3genE5ELNS1_11target_archE942ELNS1_3gpuE9ELNS1_3repE0EEENS1_30default_config_static_selectorELNS0_4arch9wavefront6targetE1EEEvT1_,"axG",@progbits,_ZN7rocprim17ROCPRIM_400000_NS6detail17trampoline_kernelINS0_14default_configENS1_27scan_by_key_config_selectorIssEEZZNS1_16scan_by_key_implILNS1_25lookback_scan_determinismE0ELb1ES3_N6thrust23THRUST_200600_302600_NS6detail15normal_iteratorINS9_10device_ptrIsEEEESE_SE_sNS9_10multipliesIsEENS9_8equal_toIsEEsEE10hipError_tPvRmT2_T3_T4_T5_mT6_T7_P12ihipStream_tbENKUlT_T0_E_clISt17integral_constantIbLb1EESZ_EEDaSU_SV_EUlSU_E_NS1_11comp_targetILNS1_3genE5ELNS1_11target_archE942ELNS1_3gpuE9ELNS1_3repE0EEENS1_30default_config_static_selectorELNS0_4arch9wavefront6targetE1EEEvT1_,comdat
.Lfunc_end616:
	.size	_ZN7rocprim17ROCPRIM_400000_NS6detail17trampoline_kernelINS0_14default_configENS1_27scan_by_key_config_selectorIssEEZZNS1_16scan_by_key_implILNS1_25lookback_scan_determinismE0ELb1ES3_N6thrust23THRUST_200600_302600_NS6detail15normal_iteratorINS9_10device_ptrIsEEEESE_SE_sNS9_10multipliesIsEENS9_8equal_toIsEEsEE10hipError_tPvRmT2_T3_T4_T5_mT6_T7_P12ihipStream_tbENKUlT_T0_E_clISt17integral_constantIbLb1EESZ_EEDaSU_SV_EUlSU_E_NS1_11comp_targetILNS1_3genE5ELNS1_11target_archE942ELNS1_3gpuE9ELNS1_3repE0EEENS1_30default_config_static_selectorELNS0_4arch9wavefront6targetE1EEEvT1_, .Lfunc_end616-_ZN7rocprim17ROCPRIM_400000_NS6detail17trampoline_kernelINS0_14default_configENS1_27scan_by_key_config_selectorIssEEZZNS1_16scan_by_key_implILNS1_25lookback_scan_determinismE0ELb1ES3_N6thrust23THRUST_200600_302600_NS6detail15normal_iteratorINS9_10device_ptrIsEEEESE_SE_sNS9_10multipliesIsEENS9_8equal_toIsEEsEE10hipError_tPvRmT2_T3_T4_T5_mT6_T7_P12ihipStream_tbENKUlT_T0_E_clISt17integral_constantIbLb1EESZ_EEDaSU_SV_EUlSU_E_NS1_11comp_targetILNS1_3genE5ELNS1_11target_archE942ELNS1_3gpuE9ELNS1_3repE0EEENS1_30default_config_static_selectorELNS0_4arch9wavefront6targetE1EEEvT1_
                                        ; -- End function
	.section	.AMDGPU.csdata,"",@progbits
; Kernel info:
; codeLenInByte = 0
; NumSgprs: 4
; NumVgprs: 0
; NumAgprs: 0
; TotalNumVgprs: 0
; ScratchSize: 0
; MemoryBound: 0
; FloatMode: 240
; IeeeMode: 1
; LDSByteSize: 0 bytes/workgroup (compile time only)
; SGPRBlocks: 0
; VGPRBlocks: 0
; NumSGPRsForWavesPerEU: 4
; NumVGPRsForWavesPerEU: 1
; AccumOffset: 4
; Occupancy: 8
; WaveLimiterHint : 0
; COMPUTE_PGM_RSRC2:SCRATCH_EN: 0
; COMPUTE_PGM_RSRC2:USER_SGPR: 6
; COMPUTE_PGM_RSRC2:TRAP_HANDLER: 0
; COMPUTE_PGM_RSRC2:TGID_X_EN: 1
; COMPUTE_PGM_RSRC2:TGID_Y_EN: 0
; COMPUTE_PGM_RSRC2:TGID_Z_EN: 0
; COMPUTE_PGM_RSRC2:TIDIG_COMP_CNT: 0
; COMPUTE_PGM_RSRC3_GFX90A:ACCUM_OFFSET: 0
; COMPUTE_PGM_RSRC3_GFX90A:TG_SPLIT: 0
	.section	.text._ZN7rocprim17ROCPRIM_400000_NS6detail17trampoline_kernelINS0_14default_configENS1_27scan_by_key_config_selectorIssEEZZNS1_16scan_by_key_implILNS1_25lookback_scan_determinismE0ELb1ES3_N6thrust23THRUST_200600_302600_NS6detail15normal_iteratorINS9_10device_ptrIsEEEESE_SE_sNS9_10multipliesIsEENS9_8equal_toIsEEsEE10hipError_tPvRmT2_T3_T4_T5_mT6_T7_P12ihipStream_tbENKUlT_T0_E_clISt17integral_constantIbLb1EESZ_EEDaSU_SV_EUlSU_E_NS1_11comp_targetILNS1_3genE4ELNS1_11target_archE910ELNS1_3gpuE8ELNS1_3repE0EEENS1_30default_config_static_selectorELNS0_4arch9wavefront6targetE1EEEvT1_,"axG",@progbits,_ZN7rocprim17ROCPRIM_400000_NS6detail17trampoline_kernelINS0_14default_configENS1_27scan_by_key_config_selectorIssEEZZNS1_16scan_by_key_implILNS1_25lookback_scan_determinismE0ELb1ES3_N6thrust23THRUST_200600_302600_NS6detail15normal_iteratorINS9_10device_ptrIsEEEESE_SE_sNS9_10multipliesIsEENS9_8equal_toIsEEsEE10hipError_tPvRmT2_T3_T4_T5_mT6_T7_P12ihipStream_tbENKUlT_T0_E_clISt17integral_constantIbLb1EESZ_EEDaSU_SV_EUlSU_E_NS1_11comp_targetILNS1_3genE4ELNS1_11target_archE910ELNS1_3gpuE8ELNS1_3repE0EEENS1_30default_config_static_selectorELNS0_4arch9wavefront6targetE1EEEvT1_,comdat
	.protected	_ZN7rocprim17ROCPRIM_400000_NS6detail17trampoline_kernelINS0_14default_configENS1_27scan_by_key_config_selectorIssEEZZNS1_16scan_by_key_implILNS1_25lookback_scan_determinismE0ELb1ES3_N6thrust23THRUST_200600_302600_NS6detail15normal_iteratorINS9_10device_ptrIsEEEESE_SE_sNS9_10multipliesIsEENS9_8equal_toIsEEsEE10hipError_tPvRmT2_T3_T4_T5_mT6_T7_P12ihipStream_tbENKUlT_T0_E_clISt17integral_constantIbLb1EESZ_EEDaSU_SV_EUlSU_E_NS1_11comp_targetILNS1_3genE4ELNS1_11target_archE910ELNS1_3gpuE8ELNS1_3repE0EEENS1_30default_config_static_selectorELNS0_4arch9wavefront6targetE1EEEvT1_ ; -- Begin function _ZN7rocprim17ROCPRIM_400000_NS6detail17trampoline_kernelINS0_14default_configENS1_27scan_by_key_config_selectorIssEEZZNS1_16scan_by_key_implILNS1_25lookback_scan_determinismE0ELb1ES3_N6thrust23THRUST_200600_302600_NS6detail15normal_iteratorINS9_10device_ptrIsEEEESE_SE_sNS9_10multipliesIsEENS9_8equal_toIsEEsEE10hipError_tPvRmT2_T3_T4_T5_mT6_T7_P12ihipStream_tbENKUlT_T0_E_clISt17integral_constantIbLb1EESZ_EEDaSU_SV_EUlSU_E_NS1_11comp_targetILNS1_3genE4ELNS1_11target_archE910ELNS1_3gpuE8ELNS1_3repE0EEENS1_30default_config_static_selectorELNS0_4arch9wavefront6targetE1EEEvT1_
	.globl	_ZN7rocprim17ROCPRIM_400000_NS6detail17trampoline_kernelINS0_14default_configENS1_27scan_by_key_config_selectorIssEEZZNS1_16scan_by_key_implILNS1_25lookback_scan_determinismE0ELb1ES3_N6thrust23THRUST_200600_302600_NS6detail15normal_iteratorINS9_10device_ptrIsEEEESE_SE_sNS9_10multipliesIsEENS9_8equal_toIsEEsEE10hipError_tPvRmT2_T3_T4_T5_mT6_T7_P12ihipStream_tbENKUlT_T0_E_clISt17integral_constantIbLb1EESZ_EEDaSU_SV_EUlSU_E_NS1_11comp_targetILNS1_3genE4ELNS1_11target_archE910ELNS1_3gpuE8ELNS1_3repE0EEENS1_30default_config_static_selectorELNS0_4arch9wavefront6targetE1EEEvT1_
	.p2align	8
	.type	_ZN7rocprim17ROCPRIM_400000_NS6detail17trampoline_kernelINS0_14default_configENS1_27scan_by_key_config_selectorIssEEZZNS1_16scan_by_key_implILNS1_25lookback_scan_determinismE0ELb1ES3_N6thrust23THRUST_200600_302600_NS6detail15normal_iteratorINS9_10device_ptrIsEEEESE_SE_sNS9_10multipliesIsEENS9_8equal_toIsEEsEE10hipError_tPvRmT2_T3_T4_T5_mT6_T7_P12ihipStream_tbENKUlT_T0_E_clISt17integral_constantIbLb1EESZ_EEDaSU_SV_EUlSU_E_NS1_11comp_targetILNS1_3genE4ELNS1_11target_archE910ELNS1_3gpuE8ELNS1_3repE0EEENS1_30default_config_static_selectorELNS0_4arch9wavefront6targetE1EEEvT1_,@function
_ZN7rocprim17ROCPRIM_400000_NS6detail17trampoline_kernelINS0_14default_configENS1_27scan_by_key_config_selectorIssEEZZNS1_16scan_by_key_implILNS1_25lookback_scan_determinismE0ELb1ES3_N6thrust23THRUST_200600_302600_NS6detail15normal_iteratorINS9_10device_ptrIsEEEESE_SE_sNS9_10multipliesIsEENS9_8equal_toIsEEsEE10hipError_tPvRmT2_T3_T4_T5_mT6_T7_P12ihipStream_tbENKUlT_T0_E_clISt17integral_constantIbLb1EESZ_EEDaSU_SV_EUlSU_E_NS1_11comp_targetILNS1_3genE4ELNS1_11target_archE910ELNS1_3gpuE8ELNS1_3repE0EEENS1_30default_config_static_selectorELNS0_4arch9wavefront6targetE1EEEvT1_: ; @_ZN7rocprim17ROCPRIM_400000_NS6detail17trampoline_kernelINS0_14default_configENS1_27scan_by_key_config_selectorIssEEZZNS1_16scan_by_key_implILNS1_25lookback_scan_determinismE0ELb1ES3_N6thrust23THRUST_200600_302600_NS6detail15normal_iteratorINS9_10device_ptrIsEEEESE_SE_sNS9_10multipliesIsEENS9_8equal_toIsEEsEE10hipError_tPvRmT2_T3_T4_T5_mT6_T7_P12ihipStream_tbENKUlT_T0_E_clISt17integral_constantIbLb1EESZ_EEDaSU_SV_EUlSU_E_NS1_11comp_targetILNS1_3genE4ELNS1_11target_archE910ELNS1_3gpuE8ELNS1_3repE0EEENS1_30default_config_static_selectorELNS0_4arch9wavefront6targetE1EEEvT1_
; %bb.0:
	s_load_dword s70, s[4:5], 0x20
	s_load_dwordx4 s[60:63], s[4:5], 0x28
	s_load_dwordx2 s[68:69], s[4:5], 0x38
	v_cmp_ne_u32_e64 s[50:51], 0, v0
	v_cmp_eq_u32_e64 s[0:1], 0, v0
	s_and_saveexec_b64 s[2:3], s[0:1]
	s_cbranch_execz .LBB617_4
; %bb.1:
	s_mov_b64 s[8:9], exec
	v_mbcnt_lo_u32_b32 v1, s8, 0
	v_mbcnt_hi_u32_b32 v1, s9, v1
	v_cmp_eq_u32_e32 vcc, 0, v1
                                        ; implicit-def: $vgpr2
	s_and_saveexec_b64 s[6:7], vcc
	s_cbranch_execz .LBB617_3
; %bb.2:
	s_load_dwordx2 s[10:11], s[4:5], 0x68
	s_bcnt1_i32_b64 s8, s[8:9]
	v_mov_b32_e32 v2, 0
	v_mov_b32_e32 v3, s8
	s_waitcnt lgkmcnt(0)
	global_atomic_add v2, v2, v3, s[10:11] glc
.LBB617_3:
	s_or_b64 exec, exec, s[6:7]
	s_waitcnt vmcnt(0)
	v_readfirstlane_b32 s6, v2
	v_add_u32_e32 v1, s6, v1
	v_mov_b32_e32 v2, 0
	ds_write_b32 v2, v1
.LBB617_4:
	s_or_b64 exec, exec, s[2:3]
	s_load_dwordx8 s[52:59], s[4:5], 0x0
	s_load_dword s2, s[4:5], 0x40
	s_load_dwordx4 s[64:67], s[4:5], 0x48
	v_mov_b32_e32 v3, 0
	s_waitcnt lgkmcnt(0)
	s_lshl_b64 s[54:55], s[54:55], 1
	s_barrier
	ds_read_b32 v1, v3
	s_add_u32 s3, s52, s54
	s_addc_u32 s4, s53, s55
	s_add_u32 s5, s56, s54
	s_mul_i32 s7, s69, s2
	s_mul_hi_u32 s8, s68, s2
	s_addc_u32 s6, s57, s55
	s_add_i32 s7, s8, s7
	s_movk_i32 s8, 0x1600
	s_waitcnt lgkmcnt(0)
	v_mul_lo_u32 v2, v1, s8
	v_lshlrev_b64 v[10:11], 1, v[2:3]
	v_mov_b32_e32 v2, s4
	v_add_co_u32_e32 v6, vcc, s3, v10
	v_addc_co_u32_e32 v7, vcc, v2, v11, vcc
	v_mov_b32_e32 v2, s6
	v_add_co_u32_e32 v23, vcc, s5, v10
	s_mul_i32 s2, s68, s2
	v_addc_co_u32_e32 v39, vcc, v2, v11, vcc
	v_mov_b32_e32 v3, s7
	v_add_co_u32_e32 v2, vcc, s2, v1
	s_add_u32 s6, s64, -1
	v_addc_co_u32_e32 v3, vcc, 0, v3, vcc
	s_addc_u32 s7, s65, -1
	v_cmp_le_u64_e64 s[2:3], s[6:7], v[2:3]
	v_readfirstlane_b32 s63, v1
	s_mov_b64 s[4:5], -1
	s_and_b64 vcc, exec, s[2:3]
	s_mul_i32 s33, s6, 0xffffea00
	s_barrier
	s_barrier
	s_cbranch_vccz .LBB617_120
; %bb.5:
	flat_load_ushort v8, v[6:7]
	s_add_i32 s72, s33, s62
	v_cmp_gt_u32_e32 vcc, s72, v0
	s_waitcnt vmcnt(0) lgkmcnt(0)
	v_mov_b32_e32 v9, v8
	s_and_saveexec_b64 s[6:7], vcc
	s_cbranch_execz .LBB617_7
; %bb.6:
	v_lshlrev_b32_e32 v1, 1, v0
	v_add_co_u32_e64 v2, s[4:5], v6, v1
	v_addc_co_u32_e64 v3, s[4:5], 0, v7, s[4:5]
	flat_load_ushort v9, v[2:3]
.LBB617_7:
	s_or_b64 exec, exec, s[6:7]
	v_or_b32_e32 v1, 0x100, v0
	v_cmp_gt_u32_e64 s[6:7], s72, v1
	v_mov_b32_e32 v12, v8
	s_and_saveexec_b64 s[8:9], s[6:7]
	s_cbranch_execz .LBB617_9
; %bb.8:
	v_lshlrev_b32_e32 v1, 1, v0
	v_add_co_u32_e64 v2, s[4:5], v6, v1
	v_addc_co_u32_e64 v3, s[4:5], 0, v7, s[4:5]
	flat_load_ushort v12, v[2:3] offset:512
.LBB617_9:
	s_or_b64 exec, exec, s[8:9]
	v_or_b32_e32 v1, 0x200, v0
	v_cmp_gt_u32_e64 s[8:9], s72, v1
	v_mov_b32_e32 v13, v8
	s_and_saveexec_b64 s[10:11], s[8:9]
	s_cbranch_execz .LBB617_11
; %bb.10:
	v_lshlrev_b32_e32 v1, 1, v0
	v_add_co_u32_e64 v2, s[4:5], v6, v1
	v_addc_co_u32_e64 v3, s[4:5], 0, v7, s[4:5]
	flat_load_ushort v13, v[2:3] offset:1024
.LBB617_11:
	;; [unrolled: 12-line block ×7, first 2 shown]
	s_or_b64 exec, exec, s[20:21]
	v_or_b32_e32 v1, 0x800, v0
	v_cmp_gt_u32_e64 s[20:21], s72, v1
	v_mov_b32_e32 v19, v8
	s_and_saveexec_b64 s[22:23], s[20:21]
	s_cbranch_execz .LBB617_23
; %bb.22:
	v_lshlrev_b32_e32 v2, 1, v1
	v_add_co_u32_e64 v2, s[4:5], v6, v2
	v_addc_co_u32_e64 v3, s[4:5], 0, v7, s[4:5]
	flat_load_ushort v19, v[2:3]
.LBB617_23:
	s_or_b64 exec, exec, s[22:23]
	v_or_b32_e32 v2, 0x900, v0
	v_cmp_gt_u32_e64 s[22:23], s72, v2
	v_mov_b32_e32 v31, v8
	s_and_saveexec_b64 s[24:25], s[22:23]
	s_cbranch_execz .LBB617_25
; %bb.24:
	v_lshlrev_b32_e32 v3, 1, v2
	v_add_co_u32_e64 v4, s[4:5], v6, v3
	v_addc_co_u32_e64 v5, s[4:5], 0, v7, s[4:5]
	flat_load_ushort v31, v[4:5]
.LBB617_25:
	;; [unrolled: 12-line block ×13, first 2 shown]
	s_or_b64 exec, exec, s[48:49]
	v_or_b32_e32 v30, 0x1500, v0
	v_cmp_gt_u32_e64 s[48:49], s72, v30
	s_and_saveexec_b64 s[52:53], s[48:49]
	s_cbranch_execz .LBB617_49
; %bb.48:
	v_lshlrev_b32_e32 v8, 1, v30
	v_add_co_u32_e64 v44, s[4:5], v6, v8
	v_addc_co_u32_e64 v45, s[4:5], 0, v7, s[4:5]
	flat_load_ushort v8, v[44:45]
.LBB617_49:
	s_or_b64 exec, exec, s[52:53]
	v_lshlrev_b32_e32 v22, 1, v0
	s_waitcnt vmcnt(0) lgkmcnt(0)
	ds_write_b16 v22, v9
	ds_write_b16 v22, v12 offset:512
	ds_write_b16 v22, v13 offset:1024
	ds_write_b16 v22, v14 offset:1536
	ds_write_b16 v22, v15 offset:2048
	ds_write_b16 v22, v16 offset:2560
	ds_write_b16 v22, v17 offset:3072
	ds_write_b16 v22, v18 offset:3584
	ds_write_b16 v22, v19 offset:4096
	ds_write_b16 v22, v31 offset:4608
	ds_write_b16 v22, v32 offset:5120
	ds_write_b16 v22, v33 offset:5632
	ds_write_b16 v22, v34 offset:6144
	ds_write_b16 v22, v35 offset:6656
	ds_write_b16 v22, v36 offset:7168
	ds_write_b16 v22, v37 offset:7680
	ds_write_b16 v22, v38 offset:8192
	ds_write_b16 v22, v40 offset:8704
	ds_write_b16 v22, v41 offset:9216
	ds_write_b16 v22, v42 offset:9728
	ds_write_b16 v22, v43 offset:10240
	ds_write_b16 v22, v8 offset:10752
	s_waitcnt lgkmcnt(0)
	s_barrier
	flat_load_ushort v42, v[6:7]
	v_mad_u32_u24 v44, v0, 42, v22
	s_movk_i32 s4, 0xffd6
	v_mad_i32_i24 v31, v0, s4, v44
	s_movk_i32 s4, 0xff
	v_cmp_ne_u32_e64 s[4:5], s4, v0
	ds_read2_b32 v[18:19], v44 offset1:1
	ds_read2_b32 v[16:17], v44 offset0:2 offset1:3
	ds_read2_b32 v[14:15], v44 offset0:4 offset1:5
	;; [unrolled: 1-line block ×4, first 2 shown]
	ds_read_b32 v45, v44 offset:40
	s_waitcnt lgkmcnt(0)
	ds_write_b16 v31, v18 offset:11776
	s_waitcnt lgkmcnt(0)
	s_barrier
	s_and_saveexec_b64 s[52:53], s[4:5]
	s_cbranch_execz .LBB617_51
; %bb.50:
	s_waitcnt vmcnt(0)
	ds_read_u16 v42, v22 offset:11778
.LBB617_51:
	s_or_b64 exec, exec, s[52:53]
	s_waitcnt lgkmcnt(0)
	s_barrier
	s_waitcnt lgkmcnt(0)
                                        ; implicit-def: $vgpr31
	s_and_saveexec_b64 s[4:5], vcc
	s_cbranch_execz .LBB617_193
; %bb.52:
	v_add_co_u32_e32 v32, vcc, v23, v22
	v_addc_co_u32_e32 v33, vcc, 0, v39, vcc
	flat_load_ushort v31, v[32:33]
	s_or_b64 exec, exec, s[4:5]
                                        ; implicit-def: $vgpr32
	s_and_saveexec_b64 s[4:5], s[6:7]
	s_cbranch_execnz .LBB617_194
.LBB617_53:
	s_or_b64 exec, exec, s[4:5]
                                        ; implicit-def: $vgpr33
	s_and_saveexec_b64 s[4:5], s[8:9]
	s_cbranch_execz .LBB617_195
.LBB617_54:
	v_add_co_u32_e32 v34, vcc, v23, v22
	v_addc_co_u32_e32 v35, vcc, 0, v39, vcc
	flat_load_ushort v33, v[34:35] offset:1024
	s_or_b64 exec, exec, s[4:5]
                                        ; implicit-def: $vgpr34
	s_and_saveexec_b64 s[4:5], s[10:11]
	s_cbranch_execnz .LBB617_196
.LBB617_55:
	s_or_b64 exec, exec, s[4:5]
                                        ; implicit-def: $vgpr35
	s_and_saveexec_b64 s[4:5], s[12:13]
	s_cbranch_execz .LBB617_197
.LBB617_56:
	v_add_co_u32_e32 v36, vcc, v23, v22
	v_addc_co_u32_e32 v37, vcc, 0, v39, vcc
	flat_load_ushort v35, v[36:37] offset:2048
	s_or_b64 exec, exec, s[4:5]
                                        ; implicit-def: $vgpr36
	s_and_saveexec_b64 s[4:5], s[14:15]
	s_cbranch_execnz .LBB617_198
.LBB617_57:
	s_or_b64 exec, exec, s[4:5]
                                        ; implicit-def: $vgpr37
	s_and_saveexec_b64 s[4:5], s[16:17]
	s_cbranch_execz .LBB617_199
.LBB617_58:
	v_add_co_u32_e32 v40, vcc, v23, v22
	v_addc_co_u32_e32 v41, vcc, 0, v39, vcc
	flat_load_ushort v37, v[40:41] offset:3072
	s_or_b64 exec, exec, s[4:5]
                                        ; implicit-def: $vgpr38
	s_and_saveexec_b64 s[4:5], s[18:19]
	s_cbranch_execnz .LBB617_200
.LBB617_59:
	s_or_b64 exec, exec, s[4:5]
                                        ; implicit-def: $vgpr40
	s_and_saveexec_b64 s[4:5], s[20:21]
	s_cbranch_execz .LBB617_201
.LBB617_60:
	v_lshlrev_b32_e32 v1, 1, v1
	v_add_co_u32_e32 v40, vcc, v23, v1
	v_addc_co_u32_e32 v41, vcc, 0, v39, vcc
	flat_load_ushort v40, v[40:41]
	s_or_b64 exec, exec, s[4:5]
                                        ; implicit-def: $vgpr1
	s_and_saveexec_b64 s[4:5], s[22:23]
	s_cbranch_execnz .LBB617_202
.LBB617_61:
	s_or_b64 exec, exec, s[4:5]
                                        ; implicit-def: $vgpr2
	s_and_saveexec_b64 s[4:5], s[24:25]
	s_cbranch_execz .LBB617_203
.LBB617_62:
	v_lshlrev_b32_e32 v2, 1, v3
	v_add_co_u32_e32 v2, vcc, v23, v2
	v_addc_co_u32_e32 v3, vcc, 0, v39, vcc
	flat_load_ushort v2, v[2:3]
	s_or_b64 exec, exec, s[4:5]
                                        ; implicit-def: $vgpr3
	s_and_saveexec_b64 s[4:5], s[26:27]
	s_cbranch_execnz .LBB617_204
.LBB617_63:
	s_or_b64 exec, exec, s[4:5]
                                        ; implicit-def: $vgpr4
	s_and_saveexec_b64 s[4:5], s[28:29]
	s_cbranch_execz .LBB617_205
.LBB617_64:
	v_lshlrev_b32_e32 v4, 1, v5
	v_add_co_u32_e32 v4, vcc, v23, v4
	v_addc_co_u32_e32 v5, vcc, 0, v39, vcc
	flat_load_ushort v4, v[4:5]
	s_or_b64 exec, exec, s[4:5]
                                        ; implicit-def: $vgpr5
	s_and_saveexec_b64 s[4:5], s[30:31]
	s_cbranch_execnz .LBB617_206
.LBB617_65:
	s_or_b64 exec, exec, s[4:5]
                                        ; implicit-def: $vgpr20
	s_and_saveexec_b64 s[4:5], s[34:35]
	s_cbranch_execz .LBB617_207
.LBB617_66:
	v_lshlrev_b32_e32 v20, 1, v21
	v_add_co_u32_e32 v20, vcc, v23, v20
	v_addc_co_u32_e32 v21, vcc, 0, v39, vcc
	flat_load_ushort v20, v[20:21]
	s_or_b64 exec, exec, s[4:5]
                                        ; implicit-def: $vgpr21
	s_and_saveexec_b64 s[4:5], s[36:37]
	s_cbranch_execnz .LBB617_208
.LBB617_67:
	s_or_b64 exec, exec, s[4:5]
                                        ; implicit-def: $vgpr24
	s_and_saveexec_b64 s[4:5], s[38:39]
	s_cbranch_execz .LBB617_209
.LBB617_68:
	v_lshlrev_b32_e32 v24, 1, v25
	v_add_co_u32_e32 v24, vcc, v23, v24
	v_addc_co_u32_e32 v25, vcc, 0, v39, vcc
	flat_load_ushort v24, v[24:25]
	s_or_b64 exec, exec, s[4:5]
                                        ; implicit-def: $vgpr25
	s_and_saveexec_b64 s[4:5], s[40:41]
	s_cbranch_execnz .LBB617_210
.LBB617_69:
	s_or_b64 exec, exec, s[4:5]
                                        ; implicit-def: $vgpr26
	s_and_saveexec_b64 s[4:5], s[42:43]
	s_cbranch_execz .LBB617_211
.LBB617_70:
	v_lshlrev_b32_e32 v26, 1, v27
	v_add_co_u32_e32 v26, vcc, v23, v26
	v_addc_co_u32_e32 v27, vcc, 0, v39, vcc
	flat_load_ushort v26, v[26:27]
	s_or_b64 exec, exec, s[4:5]
                                        ; implicit-def: $vgpr27
	s_and_saveexec_b64 s[4:5], s[44:45]
	s_cbranch_execnz .LBB617_212
.LBB617_71:
	s_or_b64 exec, exec, s[4:5]
                                        ; implicit-def: $vgpr28
	s_and_saveexec_b64 s[4:5], s[46:47]
	s_cbranch_execz .LBB617_73
.LBB617_72:
	v_lshlrev_b32_e32 v28, 1, v29
	v_add_co_u32_e32 v28, vcc, v23, v28
	v_addc_co_u32_e32 v29, vcc, 0, v39, vcc
	flat_load_ushort v28, v[28:29]
.LBB617_73:
	s_or_b64 exec, exec, s[4:5]
	v_mul_u32_u24_e32 v46, 22, v0
                                        ; implicit-def: $vgpr29
	s_and_saveexec_b64 s[4:5], s[48:49]
	s_cbranch_execz .LBB617_75
; %bb.74:
	v_lshlrev_b32_e32 v29, 1, v30
	v_add_co_u32_e32 v48, vcc, v23, v29
	v_addc_co_u32_e32 v49, vcc, 0, v39, vcc
	flat_load_ushort v29, v[48:49]
.LBB617_75:
	s_or_b64 exec, exec, s[4:5]
	s_waitcnt vmcnt(0) lgkmcnt(0)
	ds_write_b16 v22, v31
	ds_write_b16 v22, v32 offset:512
	ds_write_b16 v22, v33 offset:1024
	;; [unrolled: 1-line block ×21, first 2 shown]
	v_cmp_gt_u32_e32 vcc, s72, v46
	s_mov_b64 s[4:5], 0
	s_mov_b32 s71, 0
	v_mov_b32_e32 v1, 0
	s_mov_b64 s[10:11], 0
	v_mov_b32_e32 v20, 0
	v_mov_b32_e32 v24, 0
	;; [unrolled: 1-line block ×20, first 2 shown]
	s_waitcnt lgkmcnt(0)
	s_barrier
	s_waitcnt lgkmcnt(0)
                                        ; implicit-def: $sgpr8_sgpr9
                                        ; implicit-def: $vgpr43
	s_and_saveexec_b64 s[6:7], vcc
	s_cbranch_execz .LBB617_119
; %bb.76:
	ds_read_u16 v1, v44
	v_mov_b32_e32 v3, s70
	v_cmp_eq_u16_sdwa vcc, v18, v18 src0_sel:DWORD src1_sel:WORD_1
	v_cmp_ne_u16_sdwa s[8:9], v18, v18 src0_sel:DWORD src1_sel:WORD_1
	v_or_b32_e32 v2, 1, v46
	s_waitcnt lgkmcnt(0)
	v_cndmask_b32_e32 v1, v3, v1, vcc
	v_and_b32_e32 v1, 0xffff, v1
	v_cndmask_b32_e64 v3, 0, 1, s[8:9]
	v_lshl_or_b32 v1, v3, 16, v1
	v_cmp_gt_u32_e32 vcc, s72, v2
	v_mov_b32_e32 v20, 0
	v_mov_b32_e32 v24, 0
	;; [unrolled: 1-line block ×20, first 2 shown]
                                        ; implicit-def: $sgpr12_sgpr13
                                        ; implicit-def: $vgpr43
	s_and_saveexec_b64 s[8:9], vcc
	s_cbranch_execz .LBB617_118
; %bb.77:
	ds_read_b128 v[2:5], v44 offset:2
	v_mov_b32_e32 v20, s70
	v_cmp_eq_u16_sdwa vcc, v18, v19 src0_sel:WORD_1 src1_sel:DWORD
	v_cmp_ne_u16_sdwa s[10:11], v18, v19 src0_sel:WORD_1 src1_sel:DWORD
	v_add_u32_e32 v21, 2, v46
	s_waitcnt lgkmcnt(0)
	v_cndmask_b32_e32 v20, v20, v2, vcc
	v_and_b32_e32 v20, 0xffff, v20
	v_cndmask_b32_e64 v18, 0, 1, s[10:11]
	v_lshl_or_b32 v20, v18, 16, v20
	v_cmp_gt_u32_e32 vcc, s72, v21
	s_mov_b64 s[14:15], 0
	v_mov_b32_e32 v24, 0
	v_mov_b32_e32 v21, 0
	;; [unrolled: 1-line block ×19, first 2 shown]
                                        ; implicit-def: $sgpr12_sgpr13
                                        ; implicit-def: $vgpr43
	s_and_saveexec_b64 s[10:11], vcc
	s_cbranch_execz .LBB617_117
; %bb.78:
	v_lshrrev_b32_e32 v2, 16, v2
	v_mov_b32_e32 v21, s70
	v_cmp_eq_u16_sdwa vcc, v19, v19 src0_sel:DWORD src1_sel:WORD_1
	v_cndmask_b32_e32 v2, v21, v2, vcc
	v_cmp_ne_u16_sdwa s[12:13], v19, v19 src0_sel:DWORD src1_sel:WORD_1
	v_add_u32_e32 v18, 3, v46
	v_and_b32_e32 v2, 0xffff, v2
	v_cndmask_b32_e64 v21, 0, 1, s[12:13]
	v_lshl_or_b32 v24, v21, 16, v2
	v_cmp_gt_u32_e32 vcc, s72, v18
	v_mov_b32_e32 v21, 0
	v_mov_b32_e32 v25, 0
	;; [unrolled: 1-line block ×18, first 2 shown]
                                        ; implicit-def: $sgpr16_sgpr17
                                        ; implicit-def: $vgpr43
	s_and_saveexec_b64 s[12:13], vcc
	s_cbranch_execz .LBB617_116
; %bb.79:
	v_mov_b32_e32 v18, s70
	v_cmp_eq_u16_sdwa vcc, v19, v16 src0_sel:WORD_1 src1_sel:DWORD
	v_cndmask_b32_e32 v18, v18, v3, vcc
	v_cmp_ne_u16_sdwa s[14:15], v19, v16 src0_sel:WORD_1 src1_sel:DWORD
	v_add_u32_e32 v2, 4, v46
	v_and_b32_e32 v18, 0xffff, v18
	v_cndmask_b32_e64 v19, 0, 1, s[14:15]
	v_lshl_or_b32 v21, v19, 16, v18
	v_cmp_gt_u32_e32 vcc, s72, v2
	s_mov_b64 s[18:19], 0
	v_mov_b32_e32 v25, 0
	v_mov_b32_e32 v26, 0
	;; [unrolled: 1-line block ×17, first 2 shown]
                                        ; implicit-def: $sgpr16_sgpr17
                                        ; implicit-def: $vgpr43
	s_and_saveexec_b64 s[14:15], vcc
	s_cbranch_execz .LBB617_115
; %bb.80:
	v_lshrrev_b32_e32 v2, 16, v3
	v_mov_b32_e32 v18, s70
	v_cmp_eq_u16_sdwa vcc, v16, v16 src0_sel:DWORD src1_sel:WORD_1
	v_cndmask_b32_e32 v2, v18, v2, vcc
	v_cmp_ne_u16_sdwa s[16:17], v16, v16 src0_sel:DWORD src1_sel:WORD_1
	v_add_u32_e32 v3, 5, v46
	v_and_b32_e32 v2, 0xffff, v2
	v_cndmask_b32_e64 v18, 0, 1, s[16:17]
	v_lshl_or_b32 v25, v18, 16, v2
	v_cmp_gt_u32_e32 vcc, s72, v3
	v_mov_b32_e32 v26, 0
	v_mov_b32_e32 v27, 0
	;; [unrolled: 1-line block ×16, first 2 shown]
                                        ; implicit-def: $sgpr20_sgpr21
                                        ; implicit-def: $vgpr43
	s_and_saveexec_b64 s[16:17], vcc
	s_cbranch_execz .LBB617_114
; %bb.81:
	v_mov_b32_e32 v3, s70
	v_cmp_eq_u16_sdwa vcc, v16, v17 src0_sel:WORD_1 src1_sel:DWORD
	v_cndmask_b32_e32 v3, v3, v4, vcc
	v_cmp_ne_u16_sdwa s[18:19], v16, v17 src0_sel:WORD_1 src1_sel:DWORD
	v_add_u32_e32 v2, 6, v46
	v_and_b32_e32 v3, 0xffff, v3
	v_cndmask_b32_e64 v16, 0, 1, s[18:19]
	v_lshl_or_b32 v26, v16, 16, v3
	v_cmp_gt_u32_e32 vcc, s72, v2
	s_mov_b64 s[22:23], 0
	v_mov_b32_e32 v27, 0
	v_mov_b32_e32 v28, 0
	;; [unrolled: 1-line block ×15, first 2 shown]
                                        ; implicit-def: $sgpr20_sgpr21
                                        ; implicit-def: $vgpr43
	s_and_saveexec_b64 s[18:19], vcc
	s_cbranch_execz .LBB617_113
; %bb.82:
	v_lshrrev_b32_e32 v2, 16, v4
	v_mov_b32_e32 v4, s70
	v_cmp_eq_u16_sdwa vcc, v17, v17 src0_sel:DWORD src1_sel:WORD_1
	v_cndmask_b32_e32 v2, v4, v2, vcc
	v_cmp_ne_u16_sdwa s[20:21], v17, v17 src0_sel:DWORD src1_sel:WORD_1
	v_add_u32_e32 v3, 7, v46
	v_and_b32_e32 v2, 0xffff, v2
	v_cndmask_b32_e64 v4, 0, 1, s[20:21]
	v_lshl_or_b32 v27, v4, 16, v2
	v_cmp_gt_u32_e32 vcc, s72, v3
	v_mov_b32_e32 v28, 0
	v_mov_b32_e32 v29, 0
	;; [unrolled: 1-line block ×14, first 2 shown]
                                        ; implicit-def: $sgpr24_sgpr25
                                        ; implicit-def: $vgpr43
	s_and_saveexec_b64 s[20:21], vcc
	s_cbranch_execz .LBB617_112
; %bb.83:
	v_mov_b32_e32 v3, s70
	v_cmp_eq_u16_sdwa vcc, v17, v14 src0_sel:WORD_1 src1_sel:DWORD
	v_cndmask_b32_e32 v3, v3, v5, vcc
	v_cmp_ne_u16_sdwa s[22:23], v17, v14 src0_sel:WORD_1 src1_sel:DWORD
	v_add_u32_e32 v2, 8, v46
	v_and_b32_e32 v3, 0xffff, v3
	v_cndmask_b32_e64 v4, 0, 1, s[22:23]
	v_lshl_or_b32 v28, v4, 16, v3
	v_cmp_gt_u32_e32 vcc, s72, v2
	s_mov_b64 s[26:27], 0
	v_mov_b32_e32 v29, 0
	v_mov_b32_e32 v30, 0
	;; [unrolled: 1-line block ×13, first 2 shown]
                                        ; implicit-def: $sgpr24_sgpr25
                                        ; implicit-def: $vgpr43
	s_and_saveexec_b64 s[22:23], vcc
	s_cbranch_execz .LBB617_111
; %bb.84:
	v_lshrrev_b32_e32 v2, 16, v5
	v_mov_b32_e32 v4, s70
	v_cmp_eq_u16_sdwa vcc, v14, v14 src0_sel:DWORD src1_sel:WORD_1
	v_cndmask_b32_e32 v2, v4, v2, vcc
	v_cmp_ne_u16_sdwa s[24:25], v14, v14 src0_sel:DWORD src1_sel:WORD_1
	v_add_u32_e32 v3, 9, v46
	v_and_b32_e32 v2, 0xffff, v2
	v_cndmask_b32_e64 v4, 0, 1, s[24:25]
	v_lshl_or_b32 v29, v4, 16, v2
	v_cmp_gt_u32_e32 vcc, s72, v3
	v_mov_b32_e32 v30, 0
	v_mov_b32_e32 v31, 0
	;; [unrolled: 1-line block ×12, first 2 shown]
                                        ; implicit-def: $sgpr28_sgpr29
                                        ; implicit-def: $vgpr43
	s_and_saveexec_b64 s[24:25], vcc
	s_cbranch_execz .LBB617_110
; %bb.85:
	ds_read_b128 v[2:5], v44 offset:18
	v_mov_b32_e32 v17, s70
	v_cmp_eq_u16_sdwa vcc, v14, v15 src0_sel:WORD_1 src1_sel:DWORD
	v_cmp_ne_u16_sdwa s[26:27], v14, v15 src0_sel:WORD_1 src1_sel:DWORD
	v_add_u32_e32 v16, 10, v46
	s_waitcnt lgkmcnt(0)
	v_cndmask_b32_e32 v17, v17, v2, vcc
	v_and_b32_e32 v17, 0xffff, v17
	v_cndmask_b32_e64 v14, 0, 1, s[26:27]
	v_lshl_or_b32 v30, v14, 16, v17
	v_cmp_gt_u32_e32 vcc, s72, v16
	s_mov_b64 s[30:31], 0
	v_mov_b32_e32 v31, 0
	v_mov_b32_e32 v32, 0
	;; [unrolled: 1-line block ×11, first 2 shown]
                                        ; implicit-def: $sgpr28_sgpr29
                                        ; implicit-def: $vgpr43
	s_and_saveexec_b64 s[26:27], vcc
	s_cbranch_execz .LBB617_109
; %bb.86:
	v_lshrrev_b32_e32 v2, 16, v2
	v_mov_b32_e32 v16, s70
	v_cmp_eq_u16_sdwa vcc, v15, v15 src0_sel:DWORD src1_sel:WORD_1
	v_cndmask_b32_e32 v2, v16, v2, vcc
	v_cmp_ne_u16_sdwa s[28:29], v15, v15 src0_sel:DWORD src1_sel:WORD_1
	v_add_u32_e32 v14, 11, v46
	v_and_b32_e32 v2, 0xffff, v2
	v_cndmask_b32_e64 v16, 0, 1, s[28:29]
	v_lshl_or_b32 v31, v16, 16, v2
	v_cmp_gt_u32_e32 vcc, s72, v14
	v_mov_b32_e32 v32, 0
	v_mov_b32_e32 v33, 0
	;; [unrolled: 1-line block ×10, first 2 shown]
                                        ; implicit-def: $sgpr34_sgpr35
                                        ; implicit-def: $vgpr43
	s_and_saveexec_b64 s[28:29], vcc
	s_cbranch_execz .LBB617_108
; %bb.87:
	v_mov_b32_e32 v14, s70
	v_cmp_eq_u16_sdwa vcc, v15, v12 src0_sel:WORD_1 src1_sel:DWORD
	v_cndmask_b32_e32 v14, v14, v3, vcc
	v_cmp_ne_u16_sdwa s[30:31], v15, v12 src0_sel:WORD_1 src1_sel:DWORD
	v_add_u32_e32 v2, 12, v46
	v_and_b32_e32 v14, 0xffff, v14
	v_cndmask_b32_e64 v15, 0, 1, s[30:31]
	v_lshl_or_b32 v32, v15, 16, v14
	v_cmp_gt_u32_e32 vcc, s72, v2
	s_mov_b64 s[36:37], 0
	v_mov_b32_e32 v33, 0
	v_mov_b32_e32 v34, 0
	;; [unrolled: 1-line block ×9, first 2 shown]
                                        ; implicit-def: $sgpr34_sgpr35
                                        ; implicit-def: $vgpr43
	s_and_saveexec_b64 s[30:31], vcc
	s_cbranch_execz .LBB617_107
; %bb.88:
	v_lshrrev_b32_e32 v2, 16, v3
	v_mov_b32_e32 v14, s70
	v_cmp_eq_u16_sdwa vcc, v12, v12 src0_sel:DWORD src1_sel:WORD_1
	v_cndmask_b32_e32 v2, v14, v2, vcc
	v_cmp_ne_u16_sdwa s[34:35], v12, v12 src0_sel:DWORD src1_sel:WORD_1
	v_add_u32_e32 v3, 13, v46
	v_and_b32_e32 v2, 0xffff, v2
	v_cndmask_b32_e64 v14, 0, 1, s[34:35]
	v_lshl_or_b32 v33, v14, 16, v2
	v_cmp_gt_u32_e32 vcc, s72, v3
	v_mov_b32_e32 v34, 0
	v_mov_b32_e32 v35, 0
	;; [unrolled: 1-line block ×8, first 2 shown]
                                        ; implicit-def: $sgpr38_sgpr39
                                        ; implicit-def: $vgpr43
	s_and_saveexec_b64 s[34:35], vcc
	s_cbranch_execz .LBB617_106
; %bb.89:
	v_mov_b32_e32 v3, s70
	v_cmp_eq_u16_sdwa vcc, v12, v13 src0_sel:WORD_1 src1_sel:DWORD
	v_cndmask_b32_e32 v3, v3, v4, vcc
	v_cmp_ne_u16_sdwa s[36:37], v12, v13 src0_sel:WORD_1 src1_sel:DWORD
	v_add_u32_e32 v2, 14, v46
	v_and_b32_e32 v3, 0xffff, v3
	v_cndmask_b32_e64 v12, 0, 1, s[36:37]
	v_lshl_or_b32 v34, v12, 16, v3
	v_cmp_gt_u32_e32 vcc, s72, v2
	s_mov_b64 s[40:41], 0
	v_mov_b32_e32 v35, 0
	v_mov_b32_e32 v36, 0
	;; [unrolled: 1-line block ×7, first 2 shown]
                                        ; implicit-def: $sgpr38_sgpr39
                                        ; implicit-def: $vgpr43
	s_and_saveexec_b64 s[36:37], vcc
	s_cbranch_execz .LBB617_105
; %bb.90:
	v_lshrrev_b32_e32 v2, 16, v4
	v_mov_b32_e32 v4, s70
	v_cmp_eq_u16_sdwa vcc, v13, v13 src0_sel:DWORD src1_sel:WORD_1
	v_cndmask_b32_e32 v2, v4, v2, vcc
	v_cmp_ne_u16_sdwa s[38:39], v13, v13 src0_sel:DWORD src1_sel:WORD_1
	v_add_u32_e32 v3, 15, v46
	v_and_b32_e32 v2, 0xffff, v2
	v_cndmask_b32_e64 v4, 0, 1, s[38:39]
	v_lshl_or_b32 v35, v4, 16, v2
	v_cmp_gt_u32_e32 vcc, s72, v3
	v_mov_b32_e32 v36, 0
	v_mov_b32_e32 v37, 0
	;; [unrolled: 1-line block ×6, first 2 shown]
                                        ; implicit-def: $sgpr42_sgpr43
                                        ; implicit-def: $vgpr43
	s_and_saveexec_b64 s[38:39], vcc
	s_cbranch_execz .LBB617_104
; %bb.91:
	v_mov_b32_e32 v3, s70
	v_cmp_eq_u16_sdwa vcc, v13, v8 src0_sel:WORD_1 src1_sel:DWORD
	v_cndmask_b32_e32 v3, v3, v5, vcc
	v_cmp_ne_u16_sdwa s[40:41], v13, v8 src0_sel:WORD_1 src1_sel:DWORD
	v_add_u32_e32 v2, 16, v46
	v_and_b32_e32 v3, 0xffff, v3
	v_cndmask_b32_e64 v4, 0, 1, s[40:41]
	v_lshl_or_b32 v36, v4, 16, v3
	v_cmp_gt_u32_e32 vcc, s72, v2
	s_mov_b64 s[44:45], 0
	v_mov_b32_e32 v37, 0
	v_mov_b32_e32 v22, 0
	;; [unrolled: 1-line block ×5, first 2 shown]
                                        ; implicit-def: $sgpr42_sgpr43
                                        ; implicit-def: $vgpr43
	s_and_saveexec_b64 s[40:41], vcc
	s_cbranch_execz .LBB617_103
; %bb.92:
	v_lshrrev_b32_e32 v2, 16, v5
	v_mov_b32_e32 v4, s70
	v_cmp_eq_u16_sdwa vcc, v8, v8 src0_sel:DWORD src1_sel:WORD_1
	v_cndmask_b32_e32 v2, v4, v2, vcc
	v_cmp_ne_u16_sdwa s[42:43], v8, v8 src0_sel:DWORD src1_sel:WORD_1
	v_add_u32_e32 v3, 17, v46
	v_and_b32_e32 v2, 0xffff, v2
	v_cndmask_b32_e64 v4, 0, 1, s[42:43]
	v_lshl_or_b32 v37, v4, 16, v2
	v_cmp_gt_u32_e32 vcc, s72, v3
	v_mov_b32_e32 v22, 0
	v_mov_b32_e32 v38, 0
	;; [unrolled: 1-line block ×4, first 2 shown]
                                        ; implicit-def: $sgpr46_sgpr47
                                        ; implicit-def: $vgpr43
	s_and_saveexec_b64 s[42:43], vcc
	s_cbranch_execz .LBB617_102
; %bb.93:
	ds_read_b64 v[2:3], v44 offset:34
	v_mov_b32_e32 v5, s70
	v_cmp_eq_u16_sdwa vcc, v8, v9 src0_sel:WORD_1 src1_sel:DWORD
	v_cmp_ne_u16_sdwa s[44:45], v8, v9 src0_sel:WORD_1 src1_sel:DWORD
	v_add_u32_e32 v4, 18, v46
	s_waitcnt lgkmcnt(0)
	v_cndmask_b32_e32 v5, v5, v2, vcc
	v_and_b32_e32 v5, 0xffff, v5
	v_cndmask_b32_e64 v8, 0, 1, s[44:45]
	v_lshl_or_b32 v22, v8, 16, v5
	v_cmp_gt_u32_e32 vcc, s72, v4
	s_mov_b64 s[48:49], 0
	v_mov_b32_e32 v38, 0
	v_mov_b32_e32 v40, 0
	;; [unrolled: 1-line block ×3, first 2 shown]
                                        ; implicit-def: $sgpr46_sgpr47
                                        ; implicit-def: $vgpr43
	s_and_saveexec_b64 s[44:45], vcc
	s_cbranch_execz .LBB617_101
; %bb.94:
	v_lshrrev_b32_e32 v2, 16, v2
	v_mov_b32_e32 v5, s70
	v_cmp_eq_u16_sdwa vcc, v9, v9 src0_sel:DWORD src1_sel:WORD_1
	v_cndmask_b32_e32 v2, v5, v2, vcc
	v_cmp_ne_u16_sdwa s[46:47], v9, v9 src0_sel:DWORD src1_sel:WORD_1
	v_add_u32_e32 v4, 19, v46
	v_and_b32_e32 v2, 0xffff, v2
	v_cndmask_b32_e64 v5, 0, 1, s[46:47]
	v_lshl_or_b32 v38, v5, 16, v2
	v_cmp_gt_u32_e32 vcc, s72, v4
	v_mov_b32_e32 v40, 0
	v_mov_b32_e32 v41, 0
                                        ; implicit-def: $sgpr52_sgpr53
                                        ; implicit-def: $vgpr43
	s_and_saveexec_b64 s[46:47], vcc
	s_cbranch_execz .LBB617_100
; %bb.95:
	v_mov_b32_e32 v4, s70
	v_cmp_eq_u16_sdwa vcc, v9, v45 src0_sel:WORD_1 src1_sel:DWORD
	v_cndmask_b32_e32 v4, v4, v3, vcc
	v_cmp_ne_u16_sdwa s[48:49], v9, v45 src0_sel:WORD_1 src1_sel:DWORD
	v_add_u32_e32 v2, 20, v46
	v_and_b32_e32 v4, 0xffff, v4
	v_cndmask_b32_e64 v5, 0, 1, s[48:49]
	v_lshl_or_b32 v40, v5, 16, v4
	v_cmp_gt_u32_e32 vcc, s72, v2
	s_mov_b64 s[56:57], 0
	v_mov_b32_e32 v41, 0
                                        ; implicit-def: $sgpr64_sgpr65
                                        ; implicit-def: $vgpr43
	s_and_saveexec_b64 s[48:49], vcc
	s_cbranch_execz .LBB617_99
; %bb.96:
	v_lshrrev_b32_e32 v2, 16, v3
	v_mov_b32_e32 v4, s70
	v_cmp_eq_u16_sdwa vcc, v45, v45 src0_sel:DWORD src1_sel:WORD_1
	v_cndmask_b32_e32 v2, v4, v2, vcc
	v_cmp_ne_u16_sdwa s[52:53], v45, v45 src0_sel:DWORD src1_sel:WORD_1
	v_add_u32_e32 v3, 21, v46
	v_and_b32_e32 v2, 0xffff, v2
	v_cndmask_b32_e64 v4, 0, 1, s[52:53]
	v_lshl_or_b32 v41, v4, 16, v2
	v_cmp_gt_u32_e32 vcc, s72, v3
	s_mov_b64 s[52:53], 0
                                        ; implicit-def: $sgpr56_sgpr57
                                        ; implicit-def: $vgpr43
	s_and_saveexec_b64 s[64:65], vcc
	s_xor_b64 s[64:65], exec, s[64:65]
	s_cbranch_execz .LBB617_98
; %bb.97:
	ds_read_u16 v2, v44 offset:42
	v_mov_b32_e32 v3, s70
	v_cmp_ne_u16_sdwa vcc, v45, v42 src0_sel:WORD_1 src1_sel:DWORD
	s_mov_b64 s[52:53], exec
	s_and_b64 s[56:57], vcc, exec
	s_waitcnt lgkmcnt(0)
	v_cndmask_b32_e32 v43, v2, v3, vcc
.LBB617_98:
	s_or_b64 exec, exec, s[64:65]
	s_and_b64 s[64:65], s[56:57], exec
	s_and_b64 s[56:57], s[52:53], exec
.LBB617_99:
	s_or_b64 exec, exec, s[48:49]
	s_and_b64 s[52:53], s[64:65], exec
	s_and_b64 s[48:49], s[56:57], exec
.LBB617_100:
	s_or_b64 exec, exec, s[46:47]
	s_and_b64 s[46:47], s[52:53], exec
	s_and_b64 s[48:49], s[48:49], exec
.LBB617_101:
	s_or_b64 exec, exec, s[44:45]
	s_and_b64 s[46:47], s[46:47], exec
	s_and_b64 s[44:45], s[48:49], exec
.LBB617_102:
	s_or_b64 exec, exec, s[42:43]
	s_and_b64 s[42:43], s[46:47], exec
	s_and_b64 s[44:45], s[44:45], exec
.LBB617_103:
	s_or_b64 exec, exec, s[40:41]
	s_and_b64 s[42:43], s[42:43], exec
	s_and_b64 s[40:41], s[44:45], exec
.LBB617_104:
	s_or_b64 exec, exec, s[38:39]
	s_and_b64 s[38:39], s[42:43], exec
	s_and_b64 s[40:41], s[40:41], exec
.LBB617_105:
	s_or_b64 exec, exec, s[36:37]
	s_and_b64 s[38:39], s[38:39], exec
	s_and_b64 s[36:37], s[40:41], exec
.LBB617_106:
	s_or_b64 exec, exec, s[34:35]
	s_and_b64 s[34:35], s[38:39], exec
	s_and_b64 s[36:37], s[36:37], exec
.LBB617_107:
	s_or_b64 exec, exec, s[30:31]
	s_and_b64 s[34:35], s[34:35], exec
	s_and_b64 s[30:31], s[36:37], exec
.LBB617_108:
	s_or_b64 exec, exec, s[28:29]
	s_and_b64 s[28:29], s[34:35], exec
	s_and_b64 s[30:31], s[30:31], exec
.LBB617_109:
	s_or_b64 exec, exec, s[26:27]
	s_and_b64 s[28:29], s[28:29], exec
	s_and_b64 s[26:27], s[30:31], exec
.LBB617_110:
	s_or_b64 exec, exec, s[24:25]
	s_and_b64 s[24:25], s[28:29], exec
	s_and_b64 s[26:27], s[26:27], exec
.LBB617_111:
	s_or_b64 exec, exec, s[22:23]
	s_and_b64 s[24:25], s[24:25], exec
	s_and_b64 s[22:23], s[26:27], exec
.LBB617_112:
	s_or_b64 exec, exec, s[20:21]
	s_and_b64 s[20:21], s[24:25], exec
	s_and_b64 s[22:23], s[22:23], exec
.LBB617_113:
	s_or_b64 exec, exec, s[18:19]
	s_and_b64 s[20:21], s[20:21], exec
	s_and_b64 s[18:19], s[22:23], exec
.LBB617_114:
	s_or_b64 exec, exec, s[16:17]
	s_and_b64 s[16:17], s[20:21], exec
	s_and_b64 s[18:19], s[18:19], exec
.LBB617_115:
	s_or_b64 exec, exec, s[14:15]
	s_and_b64 s[16:17], s[16:17], exec
	s_and_b64 s[14:15], s[18:19], exec
.LBB617_116:
	s_or_b64 exec, exec, s[12:13]
	s_and_b64 s[12:13], s[16:17], exec
	s_and_b64 s[14:15], s[14:15], exec
.LBB617_117:
	s_or_b64 exec, exec, s[10:11]
	s_and_b64 s[12:13], s[12:13], exec
	s_and_b64 s[10:11], s[14:15], exec
.LBB617_118:
	s_or_b64 exec, exec, s[8:9]
	s_and_b64 s[8:9], s[12:13], exec
	s_and_b64 s[10:11], s[10:11], exec
.LBB617_119:
	s_or_b64 exec, exec, s[6:7]
	s_and_b64 vcc, exec, s[4:5]
	v_lshlrev_b32_e32 v42, 1, v0
	s_cbranch_vccnz .LBB617_121
	s_branch .LBB617_126
.LBB617_120:
	s_mov_b64 s[10:11], 0
                                        ; implicit-def: $sgpr8_sgpr9
                                        ; implicit-def: $vgpr43
                                        ; implicit-def: $vgpr1
                                        ; implicit-def: $vgpr20
                                        ; implicit-def: $vgpr24
                                        ; implicit-def: $vgpr21
                                        ; implicit-def: $vgpr25
                                        ; implicit-def: $vgpr26
                                        ; implicit-def: $vgpr27
                                        ; implicit-def: $vgpr28
                                        ; implicit-def: $vgpr29
                                        ; implicit-def: $vgpr30
                                        ; implicit-def: $vgpr31
                                        ; implicit-def: $vgpr32
                                        ; implicit-def: $vgpr33
                                        ; implicit-def: $vgpr34
                                        ; implicit-def: $vgpr35
                                        ; implicit-def: $vgpr36
                                        ; implicit-def: $vgpr37
                                        ; implicit-def: $vgpr22
                                        ; implicit-def: $vgpr38
                                        ; implicit-def: $vgpr40
                                        ; implicit-def: $vgpr41
                                        ; implicit-def: $sgpr71
	s_and_b64 vcc, exec, s[4:5]
	v_lshlrev_b32_e32 v42, 1, v0
	s_cbranch_vccz .LBB617_126
.LBB617_121:
	v_add_co_u32_e32 v2, vcc, v6, v42
	v_addc_co_u32_e32 v3, vcc, 0, v7, vcc
	v_add_co_u32_e32 v4, vcc, 0x1000, v2
	v_addc_co_u32_e32 v5, vcc, 0, v3, vcc
	flat_load_ushort v1, v[2:3]
	flat_load_ushort v8, v[2:3] offset:512
	flat_load_ushort v9, v[2:3] offset:1024
	;; [unrolled: 1-line block ×7, first 2 shown]
	v_add_co_u32_e32 v2, vcc, 0x2000, v2
	v_addc_co_u32_e32 v3, vcc, 0, v3, vcc
	flat_load_ushort v17, v[4:5]
	flat_load_ushort v18, v[4:5] offset:512
	flat_load_ushort v19, v[4:5] offset:1024
	;; [unrolled: 1-line block ×7, first 2 shown]
	s_nop 0
	flat_load_ushort v4, v[2:3]
	flat_load_ushort v5, v[2:3] offset:512
	flat_load_ushort v26, v[2:3] offset:1024
	;; [unrolled: 1-line block ×5, first 2 shown]
	v_add_co_u32_e32 v2, vcc, 0x2000, v6
	v_addc_co_u32_e32 v3, vcc, 0, v7, vcc
	s_movk_i32 s4, 0xffd6
	s_movk_i32 s7, 0x1000
	;; [unrolled: 1-line block ×3, first 2 shown]
	s_waitcnt vmcnt(0) lgkmcnt(0)
	ds_write_b16 v42, v1
	ds_write_b16 v42, v8 offset:512
	ds_write_b16 v42, v9 offset:1024
	;; [unrolled: 1-line block ×21, first 2 shown]
	s_waitcnt lgkmcnt(0)
	s_barrier
	flat_load_ushort v43, v[2:3] offset:3072
	v_mad_u32_u24 v1, v0, 42, v42
	v_mad_i32_i24 v2, v0, s4, v1
	s_movk_i32 s4, 0xff
	v_cmp_ne_u32_e32 vcc, s4, v0
	ds_read2_b32 v[20:21], v1 offset1:1
	ds_read2_b32 v[18:19], v1 offset0:2 offset1:3
	ds_read2_b32 v[16:17], v1 offset0:4 offset1:5
	;; [unrolled: 1-line block ×4, first 2 shown]
	ds_read_b32 v44, v1 offset:40
	s_waitcnt lgkmcnt(0)
	ds_write_b16 v2, v20 offset:11776
	s_waitcnt lgkmcnt(0)
	s_barrier
	s_and_saveexec_b64 s[4:5], vcc
	s_cbranch_execz .LBB617_123
; %bb.122:
	s_waitcnt vmcnt(0)
	ds_read_u16 v43, v42 offset:11778
.LBB617_123:
	s_or_b64 exec, exec, s[4:5]
	v_add_co_u32_e32 v2, vcc, v23, v42
	v_addc_co_u32_e32 v3, vcc, 0, v39, vcc
	v_add_co_u32_e32 v4, vcc, s7, v2
	v_addc_co_u32_e32 v5, vcc, 0, v3, vcc
	s_waitcnt lgkmcnt(0)
	s_barrier
	flat_load_ushort v6, v[2:3]
	flat_load_ushort v7, v[2:3] offset:512
	flat_load_ushort v8, v[2:3] offset:1024
	;; [unrolled: 1-line block ×7, first 2 shown]
	v_add_co_u32_e32 v2, vcc, s6, v2
	v_addc_co_u32_e32 v3, vcc, 0, v3, vcc
	flat_load_ushort v26, v[4:5]
	flat_load_ushort v27, v[4:5] offset:512
	flat_load_ushort v28, v[4:5] offset:1024
	;; [unrolled: 1-line block ×7, first 2 shown]
	s_nop 0
	flat_load_ushort v4, v[2:3]
	flat_load_ushort v5, v[2:3] offset:512
	flat_load_ushort v34, v[2:3] offset:1024
	flat_load_ushort v35, v[2:3] offset:1536
	flat_load_ushort v36, v[2:3] offset:2048
	flat_load_ushort v37, v[2:3] offset:2560
	v_cmp_eq_u16_sdwa s[6:7], v20, v20 src0_sel:DWORD src1_sel:WORD_1
	s_waitcnt vmcnt(0) lgkmcnt(0)
	ds_write_b16 v42, v6
	ds_write_b16 v42, v7 offset:512
	ds_write_b16 v42, v8 offset:1024
	;; [unrolled: 1-line block ×21, first 2 shown]
	s_waitcnt lgkmcnt(0)
	s_barrier
	ds_read_b128 v[6:9], v1 offset:2
	ds_read_b128 v[2:5], v1 offset:18
	ds_read_b64 v[22:23], v1 offset:34
	ds_read_u16 v39, v1 offset:42
	v_mov_b32_e32 v24, 0x10000
	v_mov_b32_e32 v25, s70
	s_and_saveexec_b64 s[4:5], s[6:7]
	s_cbranch_execz .LBB617_125
; %bb.124:
	ds_read_u16 v25, v1
	v_mov_b32_e32 v24, 0
.LBB617_125:
	s_or_b64 exec, exec, s[4:5]
	v_mov_b32_e32 v45, s70
	v_cmp_eq_u16_sdwa vcc, v20, v21 src0_sel:WORD_1 src1_sel:DWORD
	s_waitcnt lgkmcnt(3)
	v_lshrrev_b32_e32 v26, 16, v6
	v_cndmask_b32_e32 v6, v45, v6, vcc
	v_cmp_ne_u16_sdwa s[4:5], v20, v21 src0_sel:WORD_1 src1_sel:DWORD
	v_and_b32_e32 v6, 0xffff, v6
	v_cndmask_b32_e64 v20, 0, 1, s[4:5]
	v_cmp_eq_u16_sdwa vcc, v21, v21 src0_sel:DWORD src1_sel:WORD_1
	v_lshl_or_b32 v20, v20, 16, v6
	v_cndmask_b32_e32 v6, v45, v26, vcc
	v_cmp_ne_u16_sdwa s[4:5], v21, v21 src0_sel:DWORD src1_sel:WORD_1
	s_waitcnt lgkmcnt(0)
	v_or_b32_sdwa v1, v24, v25 dst_sel:DWORD dst_unused:UNUSED_PAD src0_sel:DWORD src1_sel:WORD_0
	v_and_b32_e32 v6, 0xffff, v6
	v_cndmask_b32_e64 v24, 0, 1, s[4:5]
	v_cmp_eq_u16_sdwa vcc, v21, v18 src0_sel:WORD_1 src1_sel:DWORD
	v_lshl_or_b32 v24, v24, 16, v6
	v_cndmask_b32_e32 v6, v45, v7, vcc
	v_cmp_ne_u16_sdwa s[4:5], v21, v18 src0_sel:WORD_1 src1_sel:DWORD
	v_lshrrev_b32_e32 v27, 16, v7
	v_and_b32_e32 v6, 0xffff, v6
	v_cndmask_b32_e64 v7, 0, 1, s[4:5]
	v_cmp_eq_u16_sdwa vcc, v18, v18 src0_sel:DWORD src1_sel:WORD_1
	v_lshl_or_b32 v21, v7, 16, v6
	v_cndmask_b32_e32 v6, v45, v27, vcc
	v_cmp_ne_u16_sdwa s[4:5], v18, v18 src0_sel:DWORD src1_sel:WORD_1
	v_and_b32_e32 v6, 0xffff, v6
	v_cndmask_b32_e64 v7, 0, 1, s[4:5]
	v_cmp_eq_u16_sdwa vcc, v18, v19 src0_sel:WORD_1 src1_sel:DWORD
	v_lshl_or_b32 v25, v7, 16, v6
	v_cndmask_b32_e32 v6, v45, v8, vcc
	v_cmp_ne_u16_sdwa s[4:5], v18, v19 src0_sel:WORD_1 src1_sel:DWORD
	v_lshrrev_b32_e32 v28, 16, v8
	v_and_b32_e32 v6, 0xffff, v6
	v_cndmask_b32_e64 v7, 0, 1, s[4:5]
	v_cmp_eq_u16_sdwa vcc, v19, v19 src0_sel:DWORD src1_sel:WORD_1
	v_lshl_or_b32 v26, v7, 16, v6
	v_cndmask_b32_e32 v6, v45, v28, vcc
	v_cmp_ne_u16_sdwa s[4:5], v19, v19 src0_sel:DWORD src1_sel:WORD_1
	;; [unrolled: 13-line block ×3, first 2 shown]
	v_cmp_eq_u16_sdwa vcc, v16, v17 src0_sel:WORD_1 src1_sel:DWORD
	v_lshrrev_b32_e32 v31, 16, v2
	v_and_b32_e32 v6, 0xffff, v6
	v_cndmask_b32_e64 v7, 0, 1, s[4:5]
	v_cndmask_b32_e32 v2, v45, v2, vcc
	v_cmp_ne_u16_sdwa s[4:5], v16, v17 src0_sel:WORD_1 src1_sel:DWORD
	v_lshl_or_b32 v29, v7, 16, v6
	v_and_b32_e32 v2, 0xffff, v2
	v_cndmask_b32_e64 v6, 0, 1, s[4:5]
	v_cmp_eq_u16_sdwa vcc, v17, v17 src0_sel:DWORD src1_sel:WORD_1
	v_lshl_or_b32 v30, v6, 16, v2
	v_cndmask_b32_e32 v2, v45, v31, vcc
	v_cmp_ne_u16_sdwa s[4:5], v17, v17 src0_sel:DWORD src1_sel:WORD_1
	v_and_b32_e32 v2, 0xffff, v2
	v_cndmask_b32_e64 v6, 0, 1, s[4:5]
	v_cmp_eq_u16_sdwa vcc, v17, v14 src0_sel:WORD_1 src1_sel:DWORD
	v_lshl_or_b32 v31, v6, 16, v2
	v_cndmask_b32_e32 v2, v45, v3, vcc
	v_cmp_ne_u16_sdwa s[4:5], v17, v14 src0_sel:WORD_1 src1_sel:DWORD
	v_lshrrev_b32_e32 v33, 16, v3
	v_and_b32_e32 v2, 0xffff, v2
	v_cndmask_b32_e64 v3, 0, 1, s[4:5]
	v_cmp_eq_u16_sdwa vcc, v14, v14 src0_sel:DWORD src1_sel:WORD_1
	v_lshl_or_b32 v32, v3, 16, v2
	v_cndmask_b32_e32 v2, v45, v33, vcc
	v_cmp_ne_u16_sdwa s[4:5], v14, v14 src0_sel:DWORD src1_sel:WORD_1
	v_and_b32_e32 v2, 0xffff, v2
	v_cndmask_b32_e64 v3, 0, 1, s[4:5]
	v_cmp_eq_u16_sdwa vcc, v14, v15 src0_sel:WORD_1 src1_sel:DWORD
	v_lshl_or_b32 v33, v3, 16, v2
	v_cndmask_b32_e32 v2, v45, v4, vcc
	v_cmp_ne_u16_sdwa s[4:5], v14, v15 src0_sel:WORD_1 src1_sel:DWORD
	v_lshrrev_b32_e32 v35, 16, v4
	;; [unrolled: 13-line block ×5, first 2 shown]
	v_and_b32_e32 v2, 0xffff, v2
	v_cndmask_b32_e64 v3, 0, 1, s[4:5]
	v_cmp_eq_u16_sdwa vcc, v44, v44 src0_sel:DWORD src1_sel:WORD_1
	v_lshl_or_b32 v40, v3, 16, v2
	v_cndmask_b32_e32 v2, v45, v41, vcc
	v_cmp_ne_u16_sdwa s[4:5], v44, v44 src0_sel:DWORD src1_sel:WORD_1
	v_and_b32_e32 v2, 0xffff, v2
	v_cndmask_b32_e64 v3, 0, 1, s[4:5]
	v_cmp_ne_u16_sdwa s[8:9], v44, v43 src0_sel:WORD_1 src1_sel:DWORD
	v_lshl_or_b32 v41, v3, 16, v2
	v_cndmask_b32_e64 v43, v39, v45, s[8:9]
	s_mov_b64 s[10:11], -1
                                        ; implicit-def: $sgpr71
.LBB617_126:
	v_mov_b32_e32 v14, s71
	s_and_saveexec_b64 s[4:5], s[10:11]
; %bb.127:
	v_mov_b32_e32 v2, 0x10000
	v_cndmask_b32_e64 v2, 0, v2, s[8:9]
	v_or_b32_sdwa v14, v2, v43 dst_sel:DWORD dst_unused:UNUSED_PAD src0_sel:DWORD src1_sel:WORD_0
; %bb.128:
	s_or_b64 exec, exec, s[4:5]
	v_or3_b32 v2, v14, v41, v40
	s_cmp_lg_u32 s63, 0
	v_or3_b32 v17, v2, v38, v22
	v_lshrrev_b32_e32 v15, 16, v1
	v_lshrrev_b32_e32 v16, 5, v0
	v_cmp_gt_u32_e32 vcc, 64, v0
	s_barrier
	s_cbranch_scc0 .LBB617_213
; %bb.129:
	s_mov_b32 s4, 0x10000
	v_cmp_gt_u32_e64 s[6:7], s4, v20
	v_cndmask_b32_e64 v2, 1, v1, s[6:7]
	v_mul_lo_u16_e32 v2, v2, v20
	v_cmp_gt_u32_e64 s[8:9], s4, v24
	v_cndmask_b32_e64 v2, 1, v2, s[8:9]
	v_mul_lo_u16_e32 v2, v2, v24
	;; [unrolled: 3-line block ×21, first 2 shown]
	v_or3_b32 v2, v17, v37, v36
	v_or3_b32 v2, v2, v35, v34
	;; [unrolled: 1-line block ×8, first 2 shown]
	v_and_b32_e32 v2, 0x10000, v2
	v_cmp_ne_u32_e64 s[4:5], 0, v2
	v_mov_b32_e32 v5, 0x10000
	v_cndmask_b32_e64 v19, v15, 1, s[4:5]
	v_add_lshl_u32 v2, v16, v0, 2
	ds_write_b16 v2, v18
	ds_write_b8 v2, v19 offset:2
	s_waitcnt lgkmcnt(0)
	s_barrier
	s_and_saveexec_b64 s[48:49], vcc
	s_cbranch_execz .LBB617_143
; %bb.130:
	v_lshlrev_b32_e32 v2, 2, v0
	v_lshrrev_b32_e32 v3, 3, v0
	v_add_lshl_u32 v2, v3, v2, 2
	ds_read_b32 v3, v2
	ds_read_u16 v4, v2 offset:4
	ds_read_u8 v6, v2 offset:6
	ds_read_u16 v7, v2 offset:8
	ds_read_u8 v8, v2 offset:10
	;; [unrolled: 2-line block ×3, first 2 shown]
	v_mov_b32_e32 v13, 0
	s_waitcnt lgkmcnt(4)
	v_cmp_eq_u16_sdwa s[4:5], v6, v13 src0_sel:BYTE_0 src1_sel:DWORD
	v_cndmask_b32_e64 v23, 1, v3, s[4:5]
	v_mul_lo_u16_e32 v23, v23, v4
	s_waitcnt lgkmcnt(2)
	v_cmp_eq_u16_sdwa s[4:5], v8, v13 src0_sel:BYTE_0 src1_sel:DWORD
	s_waitcnt lgkmcnt(0)
	v_or_b32_e32 v8, v12, v8
	v_cndmask_b32_e64 v13, 1, v23, s[4:5]
	v_or_b32_e32 v6, v8, v6
	v_mul_lo_u16_e32 v7, v13, v7
	v_cmp_eq_u16_e64 s[4:5], 0, v12
	v_and_b32_e32 v6, 1, v6
	v_and_b32_e32 v4, 0x10000, v3
	v_cndmask_b32_e64 v13, 1, v7, s[4:5]
	v_cmp_eq_u32_e64 s[4:5], 1, v6
	v_mbcnt_lo_u32_b32 v6, -1, 0
	v_mul_lo_u16_e32 v7, v13, v9
	v_cndmask_b32_e64 v23, v4, v5, s[4:5]
	v_mul_lo_u16_e32 v9, v13, v9
	v_and_b32_e32 v5, 0xff000000, v3
	v_mbcnt_hi_u32_b32 v6, -1, v6
	v_or_b32_e32 v12, v23, v5
	v_and_b32_e32 v13, 15, v6
	v_or3_b32 v9, v5, v9, v23
	s_movk_i32 s56, 0xff
	v_lshrrev_b32_e32 v8, 16, v12
	v_mov_b32_dpp v23, v9 row_shr:1 row_mask:0xf bank_mask:0xf
	v_cmp_ne_u32_e64 s[4:5], 0, v13
	s_and_saveexec_b64 s[52:53], s[4:5]
	s_cbranch_execz .LBB617_132
; %bb.131:
	v_and_b32_sdwa v8, v12, s56 dst_sel:DWORD dst_unused:UNUSED_PAD src0_sel:WORD_1 src1_sel:DWORD
	v_cmp_eq_u16_e64 s[4:5], 0, v8
	v_and_b32_e32 v8, 0x10000, v12
	v_mov_b32_e32 v12, 1
	v_cndmask_b32_e64 v9, 1, v23, s[4:5]
	v_and_b32_sdwa v12, v23, v12 dst_sel:DWORD dst_unused:UNUSED_PAD src0_sel:WORD_1 src1_sel:DWORD
	v_cmp_ne_u32_e64 s[4:5], 0, v8
	v_cndmask_b32_e64 v8, v12, 1, s[4:5]
	v_mul_lo_u16_e32 v39, v9, v7
	v_lshlrev_b32_e32 v12, 16, v8
	v_mul_lo_u16_e32 v7, v9, v7
	v_or3_b32 v9, v12, v7, v5
	v_mov_b32_e32 v7, v39
.LBB617_132:
	s_or_b64 exec, exec, s[52:53]
	v_lshrrev_b32_e32 v12, 16, v9
	v_mov_b32_dpp v23, v9 row_shr:2 row_mask:0xf bank_mask:0xf
	v_cmp_lt_u32_e64 s[4:5], 1, v13
	s_and_saveexec_b64 s[52:53], s[4:5]
	s_cbranch_execz .LBB617_134
; %bb.133:
	v_mov_b32_e32 v8, 0
	v_cmp_eq_u16_sdwa s[4:5], v12, v8 src0_sel:BYTE_0 src1_sel:DWORD
	v_and_b32_e32 v8, 0x10000, v9
	v_mov_b32_e32 v9, 1
	v_cndmask_b32_e64 v12, 1, v23, s[4:5]
	v_and_b32_sdwa v9, v23, v9 dst_sel:DWORD dst_unused:UNUSED_PAD src0_sel:WORD_1 src1_sel:DWORD
	v_cmp_ne_u32_e64 s[4:5], 0, v8
	v_cndmask_b32_e64 v8, v9, 1, s[4:5]
	v_mul_lo_u16_e32 v39, v12, v7
	v_lshlrev_b32_e32 v9, 16, v8
	v_mul_lo_u16_e32 v7, v12, v7
	v_or3_b32 v9, v9, v7, v5
	v_mov_b32_e32 v12, v8
	v_mov_b32_e32 v7, v39
.LBB617_134:
	s_or_b64 exec, exec, s[52:53]
	v_mov_b32_dpp v23, v9 row_shr:4 row_mask:0xf bank_mask:0xf
	v_cmp_lt_u32_e64 s[4:5], 3, v13
	s_and_saveexec_b64 s[52:53], s[4:5]
	s_cbranch_execz .LBB617_136
; %bb.135:
	v_mov_b32_e32 v8, 0
	v_cmp_eq_u16_sdwa s[4:5], v12, v8 src0_sel:BYTE_0 src1_sel:DWORD
	v_and_b32_e32 v8, 1, v12
	v_mov_b32_e32 v12, 1
	v_cndmask_b32_e64 v9, 1, v23, s[4:5]
	v_and_b32_sdwa v12, v23, v12 dst_sel:DWORD dst_unused:UNUSED_PAD src0_sel:WORD_1 src1_sel:DWORD
	v_cmp_eq_u32_e64 s[4:5], 1, v8
	v_cndmask_b32_e64 v8, v12, 1, s[4:5]
	v_mul_lo_u16_e32 v39, v9, v7
	v_lshlrev_b32_e32 v12, 16, v8
	v_mul_lo_u16_e32 v7, v9, v7
	v_or3_b32 v9, v12, v7, v5
	v_mov_b32_e32 v12, v8
	v_mov_b32_e32 v7, v39
.LBB617_136:
	s_or_b64 exec, exec, s[52:53]
	v_mov_b32_dpp v23, v9 row_shr:8 row_mask:0xf bank_mask:0xf
	v_cmp_lt_u32_e64 s[4:5], 7, v13
	s_and_saveexec_b64 s[52:53], s[4:5]
	s_cbranch_execz .LBB617_138
; %bb.137:
	v_mov_b32_e32 v8, 0
	v_cmp_eq_u16_sdwa s[4:5], v12, v8 src0_sel:BYTE_0 src1_sel:DWORD
	v_and_b32_e32 v8, 1, v12
	v_mov_b32_e32 v12, 1
	v_cndmask_b32_e64 v9, 1, v23, s[4:5]
	v_and_b32_sdwa v12, v23, v12 dst_sel:DWORD dst_unused:UNUSED_PAD src0_sel:WORD_1 src1_sel:DWORD
	v_cmp_eq_u32_e64 s[4:5], 1, v8
	v_cndmask_b32_e64 v8, v12, 1, s[4:5]
	v_mul_lo_u16_e32 v13, v9, v7
	v_lshlrev_b32_e32 v12, 16, v8
	v_mul_lo_u16_e32 v7, v9, v7
	v_or3_b32 v9, v12, v7, v5
	v_mov_b32_e32 v12, v8
	v_mov_b32_e32 v7, v13
.LBB617_138:
	s_or_b64 exec, exec, s[52:53]
	v_and_b32_e32 v23, 16, v6
	v_mov_b32_dpp v13, v9 row_bcast:15 row_mask:0xf bank_mask:0xf
	v_cmp_ne_u32_e64 s[4:5], 0, v23
	s_and_saveexec_b64 s[52:53], s[4:5]
	s_cbranch_execz .LBB617_140
; %bb.139:
	v_mov_b32_e32 v8, 0
	v_cmp_eq_u16_sdwa s[4:5], v12, v8 src0_sel:BYTE_0 src1_sel:DWORD
	v_and_b32_e32 v8, 1, v12
	v_mov_b32_e32 v12, 1
	v_cndmask_b32_e64 v9, 1, v13, s[4:5]
	v_and_b32_sdwa v12, v13, v12 dst_sel:DWORD dst_unused:UNUSED_PAD src0_sel:WORD_1 src1_sel:DWORD
	v_cmp_eq_u32_e64 s[4:5], 1, v8
	v_cndmask_b32_e64 v8, v12, 1, s[4:5]
	v_mul_lo_u16_e32 v23, v9, v7
	v_lshlrev_b32_e32 v12, 16, v8
	v_mul_lo_u16_e32 v7, v9, v7
	v_or3_b32 v9, v12, v7, v5
	v_mov_b32_e32 v12, v8
	v_mov_b32_e32 v7, v23
.LBB617_140:
	s_or_b64 exec, exec, s[52:53]
	v_mov_b32_dpp v9, v9 row_bcast:31 row_mask:0xf bank_mask:0xf
	v_cmp_lt_u32_e64 s[4:5], 31, v6
	s_and_saveexec_b64 s[52:53], s[4:5]
; %bb.141:
	v_mov_b32_e32 v8, 0
	v_cmp_eq_u16_sdwa s[4:5], v12, v8 src0_sel:BYTE_0 src1_sel:DWORD
	v_cndmask_b32_e64 v8, 1, v9, s[4:5]
	v_mul_lo_u16_e32 v7, v8, v7
	v_and_b32_e32 v8, 1, v12
	v_mov_b32_e32 v12, 1
	v_and_b32_sdwa v9, v9, v12 dst_sel:DWORD dst_unused:UNUSED_PAD src0_sel:WORD_1 src1_sel:DWORD
	v_cmp_eq_u32_e64 s[4:5], 1, v8
	v_cndmask_b32_e64 v8, v9, 1, s[4:5]
; %bb.142:
	s_or_b64 exec, exec, s[52:53]
	v_and_b32_e32 v8, 0xff, v8
	v_lshlrev_b32_e32 v8, 16, v8
	v_and_b32_e32 v7, 0xffff, v7
	v_or3_b32 v5, v8, v7, v5
	v_add_u32_e32 v7, -1, v6
	v_and_b32_e32 v8, 64, v6
	v_cmp_lt_i32_e64 s[4:5], v7, v8
	v_cndmask_b32_e64 v6, v7, v6, s[4:5]
	v_lshlrev_b32_e32 v6, 2, v6
	ds_bpermute_b32 v5, v6, v5
	v_and_b32_e32 v6, 0xff0000, v3
	v_cmp_eq_u32_e64 s[4:5], 0, v6
	; wave barrier
	s_waitcnt lgkmcnt(0)
	v_cndmask_b32_e64 v6, 1, v5, s[4:5]
	v_mul_lo_u16_e32 v3, v6, v3
	v_mov_b32_e32 v6, 1
	v_and_b32_sdwa v5, v5, v6 dst_sel:DWORD dst_unused:UNUSED_PAD src0_sel:WORD_1 src1_sel:DWORD
	v_cmp_eq_u32_e64 s[4:5], 0, v4
	v_cndmask_b32_e64 v4, 1, v5, s[4:5]
	v_cndmask_b32_e64 v3, v3, v18, s[0:1]
	;; [unrolled: 1-line block ×3, first 2 shown]
	ds_write_b16 v2, v3
	ds_write_b8 v2, v4 offset:2
	; wave barrier
	ds_read_u16 v5, v2 offset:4
	ds_read_u8 v6, v2 offset:6
	ds_read_u16 v7, v2 offset:8
	ds_read_u8 v8, v2 offset:10
	;; [unrolled: 2-line block ×3, first 2 shown]
	s_waitcnt lgkmcnt(4)
	v_cmp_eq_u16_e64 s[4:5], 0, v6
	v_cndmask_b32_e64 v3, 1, v3, s[4:5]
	v_mul_lo_u16_e32 v3, v3, v5
	v_and_b32_e32 v5, 1, v6
	v_cmp_eq_u32_e64 s[4:5], 1, v5
	v_cndmask_b32_e64 v4, v4, 1, s[4:5]
	s_waitcnt lgkmcnt(2)
	v_cmp_eq_u16_e64 s[4:5], 0, v8
	v_and_b32_e32 v5, 1, v8
	ds_write_b16 v2, v3 offset:4
	ds_write_b8 v2, v4 offset:6
	v_cndmask_b32_e64 v3, 1, v3, s[4:5]
	v_cmp_eq_u32_e64 s[4:5], 1, v5
	v_mul_lo_u16_e32 v3, v3, v7
	v_cndmask_b32_e64 v4, v4, 1, s[4:5]
	s_waitcnt lgkmcnt(2)
	v_cmp_eq_u16_e64 s[4:5], 0, v12
	ds_write_b16 v2, v3 offset:8
	ds_write_b8 v2, v4 offset:10
	v_cndmask_b32_e64 v3, 1, v3, s[4:5]
	v_and_b32_e32 v5, 1, v12
	v_mul_lo_u16_e32 v3, v3, v9
	v_cmp_eq_u32_e64 s[4:5], 1, v5
	v_cndmask_b32_e64 v4, v4, 1, s[4:5]
	ds_write_b16 v2, v3 offset:12
	ds_write_b8 v2, v4 offset:14
.LBB617_143:
	s_or_b64 exec, exec, s[48:49]
	s_waitcnt lgkmcnt(0)
	s_barrier
	s_and_saveexec_b64 s[4:5], s[50:51]
	s_cbranch_execz .LBB617_145
; %bb.144:
	v_add_u32_e32 v2, -1, v0
	v_lshrrev_b32_e32 v3, 5, v2
	v_add_lshl_u32 v2, v3, v2, 2
	ds_read_u16 v18, v2
	ds_read_u8 v19, v2 offset:2
.LBB617_145:
	s_or_b64 exec, exec, s[4:5]
	s_and_saveexec_b64 s[4:5], vcc
	s_cbranch_execz .LBB617_192
; %bb.146:
	v_mov_b32_e32 v13, 0
	ds_read_b32 v2, v13 offset:1048
	v_mbcnt_lo_u32_b32 v3, -1, 0
	v_mbcnt_hi_u32_b32 v5, -1, v3
	s_mov_b32 s57, 0
	v_cmp_eq_u32_e64 s[48:49], 0, v5
	s_and_saveexec_b64 s[52:53], s[48:49]
	s_cbranch_execz .LBB617_148
; %bb.147:
	s_add_i32 s56, s63, 64
	s_lshl_b64 s[56:57], s[56:57], 3
	s_add_u32 s56, s60, s56
	v_mov_b32_e32 v3, 1
	s_addc_u32 s57, s61, s57
	s_waitcnt lgkmcnt(0)
	global_store_dwordx2 v13, v[2:3], s[56:57]
.LBB617_148:
	s_or_b64 exec, exec, s[52:53]
	v_xad_u32 v4, v5, -1, s63
	v_add_u32_e32 v12, 64, v4
	v_lshlrev_b64 v[6:7], 3, v[12:13]
	v_mov_b32_e32 v3, s61
	v_add_co_u32_e32 v6, vcc, s60, v6
	v_addc_co_u32_e32 v7, vcc, v3, v7, vcc
	global_load_dwordx2 v[8:9], v[6:7], off glc
	s_waitcnt vmcnt(0)
	v_cmp_eq_u16_sdwa s[56:57], v9, v13 src0_sel:BYTE_0 src1_sel:DWORD
	s_and_saveexec_b64 s[52:53], s[56:57]
	s_cbranch_execz .LBB617_154
; %bb.149:
	s_mov_b32 s64, 1
	s_mov_b64 s[56:57], 0
	v_mov_b32_e32 v3, 0
.LBB617_150:                            ; =>This Loop Header: Depth=1
                                        ;     Child Loop BB617_151 Depth 2
	s_max_u32 s65, s64, 1
.LBB617_151:                            ;   Parent Loop BB617_150 Depth=1
                                        ; =>  This Inner Loop Header: Depth=2
	s_add_i32 s65, s65, -1
	s_cmp_eq_u32 s65, 0
	s_sleep 1
	s_cbranch_scc0 .LBB617_151
; %bb.152:                              ;   in Loop: Header=BB617_150 Depth=1
	global_load_dwordx2 v[8:9], v[6:7], off glc
	s_cmp_lt_u32 s64, 32
	s_cselect_b64 s[72:73], -1, 0
	s_cmp_lg_u64 s[72:73], 0
	s_addc_u32 s64, s64, 0
	s_waitcnt vmcnt(0)
	v_cmp_ne_u16_sdwa s[72:73], v9, v3 src0_sel:BYTE_0 src1_sel:DWORD
	s_or_b64 s[56:57], s[72:73], s[56:57]
	s_andn2_b64 exec, exec, s[56:57]
	s_cbranch_execnz .LBB617_150
; %bb.153:
	s_or_b64 exec, exec, s[56:57]
.LBB617_154:
	s_or_b64 exec, exec, s[52:53]
	v_mov_b32_e32 v3, 2
	v_cmp_eq_u16_sdwa s[52:53], v9, v3 src0_sel:BYTE_0 src1_sel:DWORD
	v_lshlrev_b64 v[6:7], v5, -1
	v_and_b32_e32 v3, s53, v7
	v_or_b32_e32 v3, 0x80000000, v3
	v_ffbl_b32_e32 v3, v3
	v_add_u32_e32 v13, 32, v3
	v_and_b32_e32 v3, 63, v5
	v_cmp_ne_u32_e32 vcc, 63, v3
	v_addc_co_u32_e32 v23, vcc, 0, v5, vcc
	v_and_b32_e32 v52, 0xffffff, v8
	v_lshlrev_b32_e32 v23, 2, v23
	ds_bpermute_b32 v39, v23, v52
	v_and_b32_e32 v12, s52, v6
	v_ffbl_b32_e32 v12, v12
	v_min_u32_e32 v13, v12, v13
	v_lshrrev_b32_e32 v12, 16, v8
	v_cmp_lt_u32_e32 vcc, v3, v13
	v_bfe_u32 v50, v8, 16, 8
	s_and_saveexec_b64 s[52:53], vcc
	s_cbranch_execz .LBB617_156
; %bb.155:
	v_and_b32_e32 v12, 0xff0000, v8
	v_cmp_eq_u32_e32 vcc, 0, v12
	v_and_b32_e32 v12, 0x10000, v12
	v_mov_b32_e32 v45, 1
	s_waitcnt lgkmcnt(0)
	v_cndmask_b32_e32 v43, 1, v39, vcc
	v_and_b32_sdwa v39, v39, v45 dst_sel:DWORD dst_unused:UNUSED_PAD src0_sel:WORD_1 src1_sel:DWORD
	v_cmp_ne_u32_e32 vcc, 0, v12
	v_cndmask_b32_e64 v12, v39, 1, vcc
	v_mul_lo_u16_e32 v44, v43, v8
	v_lshlrev_b32_e32 v39, 16, v12
	v_mul_lo_u16_e32 v8, v43, v8
	v_or_b32_e32 v52, v39, v8
	v_mov_b32_e32 v8, v44
	v_mov_b32_e32 v50, v12
.LBB617_156:
	s_or_b64 exec, exec, s[52:53]
	v_cmp_gt_u32_e32 vcc, 62, v3
	s_waitcnt lgkmcnt(0)
	v_cndmask_b32_e64 v39, 0, 1, vcc
	v_lshlrev_b32_e32 v39, 1, v39
	v_add_lshl_u32 v39, v39, v5, 2
	ds_bpermute_b32 v44, v39, v52
	v_add_u32_e32 v43, 2, v3
	v_cmp_le_u32_e32 vcc, v43, v13
	s_and_saveexec_b64 s[52:53], vcc
	s_cbranch_execz .LBB617_158
; %bb.157:
	v_cmp_eq_u16_e32 vcc, 0, v50
	v_and_b32_e32 v12, 1, v50
	v_mov_b32_e32 v47, 1
	s_waitcnt lgkmcnt(0)
	v_cndmask_b32_e32 v45, 1, v44, vcc
	v_and_b32_sdwa v44, v44, v47 dst_sel:DWORD dst_unused:UNUSED_PAD src0_sel:WORD_1 src1_sel:DWORD
	v_cmp_eq_u32_e32 vcc, 1, v12
	v_cndmask_b32_e64 v12, v44, 1, vcc
	v_mul_lo_u16_e32 v46, v45, v8
	v_lshlrev_b32_e32 v44, 16, v12
	v_mul_lo_u16_e32 v8, v45, v8
	v_or_b32_e32 v52, v44, v8
	v_mov_b32_e32 v8, v46
	v_mov_b32_e32 v50, v12
.LBB617_158:
	s_or_b64 exec, exec, s[52:53]
	v_cmp_gt_u32_e32 vcc, 60, v3
	s_waitcnt lgkmcnt(0)
	v_cndmask_b32_e64 v44, 0, 1, vcc
	v_lshlrev_b32_e32 v44, 2, v44
	v_add_lshl_u32 v44, v44, v5, 2
	ds_bpermute_b32 v46, v44, v52
	v_add_u32_e32 v45, 4, v3
	v_cmp_le_u32_e32 vcc, v45, v13
	s_and_saveexec_b64 s[52:53], vcc
	s_cbranch_execz .LBB617_160
; %bb.159:
	v_cmp_eq_u16_e32 vcc, 0, v50
	v_and_b32_e32 v12, 1, v50
	v_mov_b32_e32 v49, 1
	s_waitcnt lgkmcnt(0)
	v_cndmask_b32_e32 v47, 1, v46, vcc
	v_and_b32_sdwa v46, v46, v49 dst_sel:DWORD dst_unused:UNUSED_PAD src0_sel:WORD_1 src1_sel:DWORD
	v_cmp_eq_u32_e32 vcc, 1, v12
	v_cndmask_b32_e64 v12, v46, 1, vcc
	v_mul_lo_u16_e32 v48, v47, v8
	v_lshlrev_b32_e32 v46, 16, v12
	v_mul_lo_u16_e32 v8, v47, v8
	v_or_b32_e32 v52, v46, v8
	v_mov_b32_e32 v8, v48
	v_mov_b32_e32 v50, v12
.LBB617_160:
	;; [unrolled: 27-line block ×4, first 2 shown]
	s_or_b64 exec, exec, s[52:53]
	v_cmp_gt_u32_e32 vcc, 32, v3
	s_waitcnt lgkmcnt(0)
	v_cndmask_b32_e64 v51, 0, 1, vcc
	v_lshlrev_b32_e32 v51, 5, v51
	v_add_lshl_u32 v51, v51, v5, 2
	ds_bpermute_b32 v5, v51, v52
	v_add_u32_e32 v52, 32, v3
	v_cmp_le_u32_e32 vcc, v52, v13
	s_and_saveexec_b64 s[52:53], vcc
	s_cbranch_execz .LBB617_166
; %bb.165:
	v_cmp_eq_u16_e32 vcc, 0, v50
	s_waitcnt lgkmcnt(0)
	v_cndmask_b32_e32 v12, 1, v5, vcc
	v_mul_lo_u16_e32 v8, v12, v8
	v_and_b32_e32 v12, 1, v50
	v_mov_b32_e32 v13, 1
	v_and_b32_sdwa v5, v5, v13 dst_sel:DWORD dst_unused:UNUSED_PAD src0_sel:WORD_1 src1_sel:DWORD
	v_cmp_eq_u32_e32 vcc, 1, v12
	v_cndmask_b32_e64 v12, v5, 1, vcc
.LBB617_166:
	s_or_b64 exec, exec, s[52:53]
	s_waitcnt lgkmcnt(0)
	v_mov_b32_e32 v5, 0
	v_mov_b32_e32 v54, 2
	v_mov_b32_e32 v55, 1
	s_branch .LBB617_168
.LBB617_167:                            ;   in Loop: Header=BB617_168 Depth=1
	s_or_b64 exec, exec, s[52:53]
	v_cmp_eq_u16_sdwa vcc, v50, v5 src0_sel:BYTE_0 src1_sel:DWORD
	v_and_b32_e32 v12, 1, v50
	v_cndmask_b32_e32 v8, 1, v8, vcc
	v_and_b32_e32 v13, 1, v13
	v_cmp_eq_u32_e32 vcc, 1, v12
	v_subrev_u32_e32 v4, 64, v4
	v_mul_lo_u16_e32 v8, v8, v53
	v_cndmask_b32_e64 v12, v13, 1, vcc
.LBB617_168:                            ; =>This Loop Header: Depth=1
                                        ;     Child Loop BB617_171 Depth 2
                                        ;       Child Loop BB617_172 Depth 3
	v_cmp_ne_u16_sdwa s[52:53], v9, v54 src0_sel:BYTE_0 src1_sel:DWORD
	v_cndmask_b32_e64 v9, 0, 1, s[52:53]
	;;#ASMSTART
	;;#ASMEND
	v_cmp_ne_u32_e32 vcc, 0, v9
	v_mov_b32_e32 v50, v12
	s_cmp_lg_u64 vcc, exec
	v_mov_b32_e32 v53, v8
	s_cbranch_scc1 .LBB617_187
; %bb.169:                              ;   in Loop: Header=BB617_168 Depth=1
	v_lshlrev_b64 v[8:9], 3, v[4:5]
	v_mov_b32_e32 v13, s61
	v_add_co_u32_e32 v12, vcc, s60, v8
	v_addc_co_u32_e32 v13, vcc, v13, v9, vcc
	global_load_dwordx2 v[8:9], v[12:13], off glc
	s_waitcnt vmcnt(0)
	v_cmp_eq_u16_sdwa s[56:57], v9, v5 src0_sel:BYTE_0 src1_sel:DWORD
	s_and_saveexec_b64 s[52:53], s[56:57]
	s_cbranch_execz .LBB617_175
; %bb.170:                              ;   in Loop: Header=BB617_168 Depth=1
	s_mov_b32 s64, 1
	s_mov_b64 s[56:57], 0
.LBB617_171:                            ;   Parent Loop BB617_168 Depth=1
                                        ; =>  This Loop Header: Depth=2
                                        ;       Child Loop BB617_172 Depth 3
	s_max_u32 s65, s64, 1
.LBB617_172:                            ;   Parent Loop BB617_168 Depth=1
                                        ;     Parent Loop BB617_171 Depth=2
                                        ; =>    This Inner Loop Header: Depth=3
	s_add_i32 s65, s65, -1
	s_cmp_eq_u32 s65, 0
	s_sleep 1
	s_cbranch_scc0 .LBB617_172
; %bb.173:                              ;   in Loop: Header=BB617_171 Depth=2
	global_load_dwordx2 v[8:9], v[12:13], off glc
	s_cmp_lt_u32 s64, 32
	s_cselect_b64 s[72:73], -1, 0
	s_cmp_lg_u64 s[72:73], 0
	s_addc_u32 s64, s64, 0
	s_waitcnt vmcnt(0)
	v_cmp_ne_u16_sdwa s[72:73], v9, v5 src0_sel:BYTE_0 src1_sel:DWORD
	s_or_b64 s[56:57], s[72:73], s[56:57]
	s_andn2_b64 exec, exec, s[56:57]
	s_cbranch_execnz .LBB617_171
; %bb.174:                              ;   in Loop: Header=BB617_168 Depth=1
	s_or_b64 exec, exec, s[56:57]
.LBB617_175:                            ;   in Loop: Header=BB617_168 Depth=1
	s_or_b64 exec, exec, s[52:53]
	v_cmp_eq_u16_sdwa s[52:53], v9, v54 src0_sel:BYTE_0 src1_sel:DWORD
	v_and_b32_e32 v12, s53, v7
	s_waitcnt lgkmcnt(0)
	v_and_b32_e32 v57, 0xffffff, v8
	v_or_b32_e32 v12, 0x80000000, v12
	ds_bpermute_b32 v58, v23, v57
	v_and_b32_e32 v13, s52, v6
	v_ffbl_b32_e32 v12, v12
	v_add_u32_e32 v12, 32, v12
	v_ffbl_b32_e32 v13, v13
	v_min_u32_e32 v12, v13, v12
	v_lshrrev_b32_e32 v13, 16, v8
	v_cmp_lt_u32_e32 vcc, v3, v12
	v_bfe_u32 v56, v8, 16, 8
	s_and_saveexec_b64 s[52:53], vcc
	s_cbranch_execz .LBB617_177
; %bb.176:                              ;   in Loop: Header=BB617_168 Depth=1
	v_and_b32_e32 v13, 0xff0000, v8
	v_cmp_eq_u32_e32 vcc, 0, v13
	v_and_b32_e32 v13, 0x10000, v13
	s_waitcnt lgkmcnt(0)
	v_cndmask_b32_e32 v56, 1, v58, vcc
	v_and_b32_sdwa v57, v58, v55 dst_sel:DWORD dst_unused:UNUSED_PAD src0_sel:WORD_1 src1_sel:DWORD
	v_cmp_ne_u32_e32 vcc, 0, v13
	v_cndmask_b32_e64 v13, v57, 1, vcc
	v_mul_lo_u16_e32 v59, v56, v8
	v_lshlrev_b32_e32 v57, 16, v13
	v_mul_lo_u16_e32 v8, v56, v8
	v_or_b32_e32 v57, v57, v8
	v_mov_b32_e32 v8, v59
	v_mov_b32_e32 v56, v13
.LBB617_177:                            ;   in Loop: Header=BB617_168 Depth=1
	s_or_b64 exec, exec, s[52:53]
	s_waitcnt lgkmcnt(0)
	ds_bpermute_b32 v58, v39, v57
	v_cmp_le_u32_e32 vcc, v43, v12
	s_and_saveexec_b64 s[52:53], vcc
	s_cbranch_execz .LBB617_179
; %bb.178:                              ;   in Loop: Header=BB617_168 Depth=1
	v_cmp_eq_u16_e32 vcc, 0, v56
	v_and_b32_e32 v13, 1, v56
	s_waitcnt lgkmcnt(0)
	v_cndmask_b32_e32 v57, 1, v58, vcc
	v_and_b32_sdwa v56, v58, v55 dst_sel:DWORD dst_unused:UNUSED_PAD src0_sel:WORD_1 src1_sel:DWORD
	v_cmp_eq_u32_e32 vcc, 1, v13
	v_cndmask_b32_e64 v13, v56, 1, vcc
	v_mul_lo_u16_e32 v59, v57, v8
	v_lshlrev_b32_e32 v56, 16, v13
	v_mul_lo_u16_e32 v8, v57, v8
	v_or_b32_e32 v57, v56, v8
	v_mov_b32_e32 v8, v59
	v_mov_b32_e32 v56, v13
.LBB617_179:                            ;   in Loop: Header=BB617_168 Depth=1
	s_or_b64 exec, exec, s[52:53]
	s_waitcnt lgkmcnt(0)
	ds_bpermute_b32 v58, v44, v57
	v_cmp_le_u32_e32 vcc, v45, v12
	s_and_saveexec_b64 s[52:53], vcc
	s_cbranch_execz .LBB617_181
; %bb.180:                              ;   in Loop: Header=BB617_168 Depth=1
	v_cmp_eq_u16_e32 vcc, 0, v56
	v_and_b32_e32 v13, 1, v56
	s_waitcnt lgkmcnt(0)
	v_cndmask_b32_e32 v57, 1, v58, vcc
	v_and_b32_sdwa v56, v58, v55 dst_sel:DWORD dst_unused:UNUSED_PAD src0_sel:WORD_1 src1_sel:DWORD
	v_cmp_eq_u32_e32 vcc, 1, v13
	v_cndmask_b32_e64 v13, v56, 1, vcc
	v_mul_lo_u16_e32 v59, v57, v8
	v_lshlrev_b32_e32 v56, 16, v13
	v_mul_lo_u16_e32 v8, v57, v8
	v_or_b32_e32 v57, v56, v8
	v_mov_b32_e32 v8, v59
	v_mov_b32_e32 v56, v13
.LBB617_181:                            ;   in Loop: Header=BB617_168 Depth=1
	;; [unrolled: 21-line block ×4, first 2 shown]
	s_or_b64 exec, exec, s[52:53]
	ds_bpermute_b32 v57, v51, v57
	v_cmp_le_u32_e32 vcc, v52, v12
	s_and_saveexec_b64 s[52:53], vcc
	s_cbranch_execz .LBB617_167
; %bb.186:                              ;   in Loop: Header=BB617_168 Depth=1
	v_cmp_eq_u16_e32 vcc, 0, v56
	s_waitcnt lgkmcnt(0)
	v_cndmask_b32_e32 v12, 1, v57, vcc
	v_mul_lo_u16_e32 v8, v12, v8
	v_and_b32_e32 v12, 1, v56
	v_lshrrev_b32_e32 v13, 16, v57
	v_cmp_eq_u32_e32 vcc, 1, v12
	v_cndmask_b32_e64 v13, v13, 1, vcc
	s_branch .LBB617_167
.LBB617_187:                            ;   in Loop: Header=BB617_168 Depth=1
                                        ; implicit-def: $vgpr12
                                        ; implicit-def: $vgpr8
	s_cbranch_execz .LBB617_168
; %bb.188:
	s_and_saveexec_b64 s[52:53], s[48:49]
	s_cbranch_execz .LBB617_190
; %bb.189:
	v_and_b32_e32 v3, 0xff0000, v2
	s_mov_b32 s49, 0
	v_cmp_eq_u32_e32 vcc, 0, v3
	v_and_b32_e32 v4, 0x10000, v2
	v_mov_b32_e32 v5, 1
	s_add_i32 s48, s63, 64
	v_cndmask_b32_e32 v3, 1, v53, vcc
	v_and_b32_sdwa v5, v50, v5 dst_sel:WORD_1 dst_unused:UNUSED_PAD src0_sel:DWORD src1_sel:DWORD
	v_mov_b32_e32 v6, 0x10000
	v_cmp_eq_u32_e32 vcc, 0, v4
	s_lshl_b64 s[48:49], s[48:49], 3
	v_cndmask_b32_e32 v4, v6, v5, vcc
	s_add_u32 s48, s60, s48
	v_mul_lo_u16_e32 v2, v3, v2
	s_addc_u32 s49, s61, s49
	v_mov_b32_e32 v5, 0
	v_or_b32_e32 v2, v4, v2
	v_mov_b32_e32 v3, 2
	global_store_dwordx2 v5, v[2:3], s[48:49]
.LBB617_190:
	s_or_b64 exec, exec, s[52:53]
	s_and_b64 exec, exec, s[0:1]
	s_cbranch_execz .LBB617_192
; %bb.191:
	v_mov_b32_e32 v2, 0
	ds_write_b16 v2, v53
	ds_write_b8 v2, v50 offset:2
.LBB617_192:
	s_or_b64 exec, exec, s[4:5]
	v_mov_b32_e32 v2, 0
	s_waitcnt lgkmcnt(0)
	s_barrier
	ds_read_b32 v3, v2
	v_cmp_eq_u16_sdwa vcc, v19, v2 src0_sel:BYTE_0 src1_sel:DWORD
	s_waitcnt lgkmcnt(0)
	v_cndmask_b32_e32 v2, 1, v3, vcc
	v_mul_lo_u16_e32 v2, v2, v18
	v_cndmask_b32_e64 v4, v2, v3, s[0:1]
	v_and_b32_e32 v2, 0xff0000, v1
	v_cmp_eq_u32_e32 vcc, 0, v2
	v_cndmask_b32_e32 v2, 1, v4, vcc
	v_mul_lo_u16_e32 v5, v2, v1
	v_cndmask_b32_e64 v2, 1, v5, s[6:7]
	v_mul_lo_u16_e32 v6, v2, v20
	v_cndmask_b32_e64 v2, 1, v6, s[8:9]
	;; [unrolled: 2-line block ×20, first 2 shown]
	v_mul_lo_u16_e32 v52, v2, v41
	s_branch .LBB617_235
.LBB617_193:
	s_or_b64 exec, exec, s[4:5]
                                        ; implicit-def: $vgpr32
	s_and_saveexec_b64 s[4:5], s[6:7]
	s_cbranch_execz .LBB617_53
.LBB617_194:
	v_add_co_u32_e32 v32, vcc, v23, v22
	v_addc_co_u32_e32 v33, vcc, 0, v39, vcc
	flat_load_ushort v32, v[32:33] offset:512
	s_or_b64 exec, exec, s[4:5]
                                        ; implicit-def: $vgpr33
	s_and_saveexec_b64 s[4:5], s[8:9]
	s_cbranch_execnz .LBB617_54
.LBB617_195:
	s_or_b64 exec, exec, s[4:5]
                                        ; implicit-def: $vgpr34
	s_and_saveexec_b64 s[4:5], s[10:11]
	s_cbranch_execz .LBB617_55
.LBB617_196:
	v_add_co_u32_e32 v34, vcc, v23, v22
	v_addc_co_u32_e32 v35, vcc, 0, v39, vcc
	flat_load_ushort v34, v[34:35] offset:1536
	s_or_b64 exec, exec, s[4:5]
                                        ; implicit-def: $vgpr35
	s_and_saveexec_b64 s[4:5], s[12:13]
	s_cbranch_execnz .LBB617_56
.LBB617_197:
	s_or_b64 exec, exec, s[4:5]
                                        ; implicit-def: $vgpr36
	s_and_saveexec_b64 s[4:5], s[14:15]
	s_cbranch_execz .LBB617_57
.LBB617_198:
	v_add_co_u32_e32 v36, vcc, v23, v22
	v_addc_co_u32_e32 v37, vcc, 0, v39, vcc
	flat_load_ushort v36, v[36:37] offset:2560
	s_or_b64 exec, exec, s[4:5]
                                        ; implicit-def: $vgpr37
	s_and_saveexec_b64 s[4:5], s[16:17]
	s_cbranch_execnz .LBB617_58
.LBB617_199:
	s_or_b64 exec, exec, s[4:5]
                                        ; implicit-def: $vgpr38
	s_and_saveexec_b64 s[4:5], s[18:19]
	s_cbranch_execz .LBB617_59
.LBB617_200:
	v_add_co_u32_e32 v40, vcc, v23, v22
	v_addc_co_u32_e32 v41, vcc, 0, v39, vcc
	flat_load_ushort v38, v[40:41] offset:3584
	s_or_b64 exec, exec, s[4:5]
                                        ; implicit-def: $vgpr40
	s_and_saveexec_b64 s[4:5], s[20:21]
	s_cbranch_execnz .LBB617_60
.LBB617_201:
	s_or_b64 exec, exec, s[4:5]
                                        ; implicit-def: $vgpr1
	s_and_saveexec_b64 s[4:5], s[22:23]
	s_cbranch_execz .LBB617_61
.LBB617_202:
	v_lshlrev_b32_e32 v1, 1, v2
	v_add_co_u32_e32 v46, vcc, v23, v1
	v_addc_co_u32_e32 v47, vcc, 0, v39, vcc
	flat_load_ushort v1, v[46:47]
	s_or_b64 exec, exec, s[4:5]
                                        ; implicit-def: $vgpr2
	s_and_saveexec_b64 s[4:5], s[24:25]
	s_cbranch_execnz .LBB617_62
.LBB617_203:
	s_or_b64 exec, exec, s[4:5]
                                        ; implicit-def: $vgpr3
	s_and_saveexec_b64 s[4:5], s[26:27]
	s_cbranch_execz .LBB617_63
.LBB617_204:
	v_lshlrev_b32_e32 v3, 1, v4
	v_add_co_u32_e32 v46, vcc, v23, v3
	v_addc_co_u32_e32 v47, vcc, 0, v39, vcc
	flat_load_ushort v3, v[46:47]
	s_or_b64 exec, exec, s[4:5]
                                        ; implicit-def: $vgpr4
	s_and_saveexec_b64 s[4:5], s[28:29]
	s_cbranch_execnz .LBB617_64
.LBB617_205:
	s_or_b64 exec, exec, s[4:5]
                                        ; implicit-def: $vgpr5
	s_and_saveexec_b64 s[4:5], s[30:31]
	s_cbranch_execz .LBB617_65
.LBB617_206:
	v_lshlrev_b32_e32 v5, 1, v20
	v_add_co_u32_e32 v46, vcc, v23, v5
	v_addc_co_u32_e32 v47, vcc, 0, v39, vcc
	flat_load_ushort v5, v[46:47]
	s_or_b64 exec, exec, s[4:5]
                                        ; implicit-def: $vgpr20
	s_and_saveexec_b64 s[4:5], s[34:35]
	s_cbranch_execnz .LBB617_66
.LBB617_207:
	s_or_b64 exec, exec, s[4:5]
                                        ; implicit-def: $vgpr21
	s_and_saveexec_b64 s[4:5], s[36:37]
	s_cbranch_execz .LBB617_67
.LBB617_208:
	v_lshlrev_b32_e32 v21, 1, v24
	v_add_co_u32_e32 v46, vcc, v23, v21
	v_addc_co_u32_e32 v47, vcc, 0, v39, vcc
	flat_load_ushort v21, v[46:47]
	s_or_b64 exec, exec, s[4:5]
                                        ; implicit-def: $vgpr24
	s_and_saveexec_b64 s[4:5], s[38:39]
	s_cbranch_execnz .LBB617_68
.LBB617_209:
	s_or_b64 exec, exec, s[4:5]
                                        ; implicit-def: $vgpr25
	s_and_saveexec_b64 s[4:5], s[40:41]
	s_cbranch_execz .LBB617_69
.LBB617_210:
	v_lshlrev_b32_e32 v25, 1, v26
	v_add_co_u32_e32 v46, vcc, v23, v25
	v_addc_co_u32_e32 v47, vcc, 0, v39, vcc
	flat_load_ushort v25, v[46:47]
	s_or_b64 exec, exec, s[4:5]
                                        ; implicit-def: $vgpr26
	s_and_saveexec_b64 s[4:5], s[42:43]
	s_cbranch_execnz .LBB617_70
.LBB617_211:
	s_or_b64 exec, exec, s[4:5]
                                        ; implicit-def: $vgpr27
	s_and_saveexec_b64 s[4:5], s[44:45]
	s_cbranch_execz .LBB617_71
.LBB617_212:
	v_lshlrev_b32_e32 v27, 1, v28
	v_add_co_u32_e32 v46, vcc, v23, v27
	v_addc_co_u32_e32 v47, vcc, 0, v39, vcc
	flat_load_ushort v27, v[46:47]
	s_or_b64 exec, exec, s[4:5]
                                        ; implicit-def: $vgpr28
	s_and_saveexec_b64 s[4:5], s[46:47]
	s_cbranch_execz .LBB617_73
	s_branch .LBB617_72
.LBB617_213:
                                        ; implicit-def: $vgpr4
                                        ; implicit-def: $vgpr5
                                        ; implicit-def: $vgpr6
                                        ; implicit-def: $vgpr7
                                        ; implicit-def: $vgpr8
                                        ; implicit-def: $vgpr9
                                        ; implicit-def: $vgpr12
                                        ; implicit-def: $vgpr13
                                        ; implicit-def: $vgpr18
                                        ; implicit-def: $vgpr19
                                        ; implicit-def: $vgpr23
                                        ; implicit-def: $vgpr39
                                        ; implicit-def: $vgpr43
                                        ; implicit-def: $vgpr44
                                        ; implicit-def: $vgpr45
                                        ; implicit-def: $vgpr46
                                        ; implicit-def: $vgpr47
                                        ; implicit-def: $vgpr48
                                        ; implicit-def: $vgpr49
                                        ; implicit-def: $vgpr50
                                        ; implicit-def: $vgpr51
                                        ; implicit-def: $vgpr52
	s_cbranch_execz .LBB617_235
; %bb.214:
	s_cmp_lg_u64 s[68:69], 0
	s_cselect_b32 s5, s67, 0
	s_cselect_b32 s4, s66, 0
	s_cmp_eq_u64 s[4:5], 0
	v_mov_b32_e32 v2, s70
	s_cbranch_scc1 .LBB617_216
; %bb.215:
	v_mov_b32_e32 v2, 0
	global_load_ushort v2, v2, s[4:5]
.LBB617_216:
	s_mov_b32 s4, 0x10000
	v_cmp_gt_u32_e32 vcc, s4, v20
	v_cndmask_b32_e32 v3, 1, v1, vcc
	v_mul_lo_u16_e32 v3, v3, v20
	v_cmp_gt_u32_e64 s[6:7], s4, v24
	v_cndmask_b32_e64 v3, 1, v3, s[6:7]
	v_mul_lo_u16_e32 v3, v3, v24
	v_cmp_gt_u32_e64 s[8:9], s4, v21
	v_cndmask_b32_e64 v3, 1, v3, s[8:9]
	;; [unrolled: 3-line block ×20, first 2 shown]
	v_mul_lo_u16_e32 v4, v3, v14
	v_or3_b32 v3, v17, v37, v36
	v_or3_b32 v3, v3, v35, v34
	;; [unrolled: 1-line block ×8, first 2 shown]
	v_and_b32_e32 v3, 0x10000, v3
	v_cmp_ne_u32_e64 s[4:5], 0, v3
	v_mov_b32_e32 v8, 0x10000
	v_cndmask_b32_e64 v5, v15, 1, s[4:5]
	v_add_lshl_u32 v3, v16, v0, 2
	v_cmp_gt_u32_e64 s[4:5], 64, v0
	ds_write_b16 v3, v4
	ds_write_b8 v3, v5 offset:2
	s_waitcnt lgkmcnt(0)
	s_barrier
	s_and_saveexec_b64 s[46:47], s[4:5]
	s_cbranch_execz .LBB617_230
; %bb.217:
	v_lshlrev_b32_e32 v3, 2, v0
	v_lshrrev_b32_e32 v6, 3, v0
	v_add_lshl_u32 v3, v6, v3, 2
	ds_read_b32 v6, v3
	ds_read_u16 v7, v3 offset:4
	ds_read_u8 v9, v3 offset:6
	ds_read_u16 v12, v3 offset:8
	ds_read_u8 v13, v3 offset:10
	;; [unrolled: 2-line block ×3, first 2 shown]
	v_mov_b32_e32 v16, 0
	s_waitcnt lgkmcnt(4)
	v_cmp_eq_u16_sdwa s[4:5], v9, v16 src0_sel:BYTE_0 src1_sel:DWORD
	v_cndmask_b32_e64 v17, 1, v6, s[4:5]
	v_mul_lo_u16_e32 v17, v17, v7
	s_waitcnt lgkmcnt(2)
	v_cmp_eq_u16_sdwa s[4:5], v13, v16 src0_sel:BYTE_0 src1_sel:DWORD
	s_waitcnt lgkmcnt(0)
	v_or_b32_e32 v13, v15, v13
	v_cndmask_b32_e64 v16, 1, v17, s[4:5]
	v_or_b32_e32 v9, v13, v9
	v_mul_lo_u16_e32 v12, v16, v12
	v_cmp_eq_u16_e64 s[4:5], 0, v15
	v_and_b32_e32 v9, 1, v9
	v_and_b32_e32 v7, 0x10000, v6
	v_cndmask_b32_e64 v16, 1, v12, s[4:5]
	v_cmp_eq_u32_e64 s[4:5], 1, v9
	v_mbcnt_lo_u32_b32 v9, -1, 0
	v_mul_lo_u16_e32 v12, v16, v14
	v_cndmask_b32_e64 v17, v7, v8, s[4:5]
	v_mul_lo_u16_e32 v14, v16, v14
	v_and_b32_e32 v8, 0xff000000, v6
	v_mbcnt_hi_u32_b32 v9, -1, v9
	v_or_b32_e32 v15, v17, v8
	v_and_b32_e32 v16, 15, v9
	v_or3_b32 v14, v8, v14, v17
	s_movk_i32 s52, 0xff
	v_lshrrev_b32_e32 v13, 16, v15
	v_mov_b32_dpp v17, v14 row_shr:1 row_mask:0xf bank_mask:0xf
	v_cmp_ne_u32_e64 s[4:5], 0, v16
	s_and_saveexec_b64 s[48:49], s[4:5]
	s_cbranch_execz .LBB617_219
; %bb.218:
	v_and_b32_sdwa v13, v15, s52 dst_sel:DWORD dst_unused:UNUSED_PAD src0_sel:WORD_1 src1_sel:DWORD
	v_cmp_eq_u16_e64 s[4:5], 0, v13
	v_and_b32_e32 v13, 0x10000, v15
	v_mov_b32_e32 v15, 1
	v_cndmask_b32_e64 v14, 1, v17, s[4:5]
	v_and_b32_sdwa v15, v17, v15 dst_sel:DWORD dst_unused:UNUSED_PAD src0_sel:WORD_1 src1_sel:DWORD
	v_cmp_ne_u32_e64 s[4:5], 0, v13
	v_cndmask_b32_e64 v13, v15, 1, s[4:5]
	v_mul_lo_u16_e32 v18, v14, v12
	v_lshlrev_b32_e32 v15, 16, v13
	v_mul_lo_u16_e32 v12, v14, v12
	v_or3_b32 v14, v15, v12, v8
	v_mov_b32_e32 v12, v18
.LBB617_219:
	s_or_b64 exec, exec, s[48:49]
	v_lshrrev_b32_e32 v15, 16, v14
	v_mov_b32_dpp v17, v14 row_shr:2 row_mask:0xf bank_mask:0xf
	v_cmp_lt_u32_e64 s[4:5], 1, v16
	s_and_saveexec_b64 s[48:49], s[4:5]
	s_cbranch_execz .LBB617_221
; %bb.220:
	v_mov_b32_e32 v13, 0
	v_cmp_eq_u16_sdwa s[4:5], v15, v13 src0_sel:BYTE_0 src1_sel:DWORD
	v_and_b32_e32 v13, 0x10000, v14
	v_mov_b32_e32 v14, 1
	v_cndmask_b32_e64 v15, 1, v17, s[4:5]
	v_and_b32_sdwa v14, v17, v14 dst_sel:DWORD dst_unused:UNUSED_PAD src0_sel:WORD_1 src1_sel:DWORD
	v_cmp_ne_u32_e64 s[4:5], 0, v13
	v_cndmask_b32_e64 v13, v14, 1, s[4:5]
	v_mul_lo_u16_e32 v18, v15, v12
	v_lshlrev_b32_e32 v14, 16, v13
	v_mul_lo_u16_e32 v12, v15, v12
	v_or3_b32 v14, v14, v12, v8
	v_mov_b32_e32 v15, v13
	v_mov_b32_e32 v12, v18
.LBB617_221:
	s_or_b64 exec, exec, s[48:49]
	v_mov_b32_dpp v17, v14 row_shr:4 row_mask:0xf bank_mask:0xf
	v_cmp_lt_u32_e64 s[4:5], 3, v16
	s_and_saveexec_b64 s[48:49], s[4:5]
	s_cbranch_execz .LBB617_223
; %bb.222:
	v_mov_b32_e32 v13, 0
	v_cmp_eq_u16_sdwa s[4:5], v15, v13 src0_sel:BYTE_0 src1_sel:DWORD
	v_and_b32_e32 v13, 1, v15
	v_mov_b32_e32 v15, 1
	v_cndmask_b32_e64 v14, 1, v17, s[4:5]
	v_and_b32_sdwa v15, v17, v15 dst_sel:DWORD dst_unused:UNUSED_PAD src0_sel:WORD_1 src1_sel:DWORD
	v_cmp_eq_u32_e64 s[4:5], 1, v13
	v_cndmask_b32_e64 v13, v15, 1, s[4:5]
	v_mul_lo_u16_e32 v18, v14, v12
	v_lshlrev_b32_e32 v15, 16, v13
	v_mul_lo_u16_e32 v12, v14, v12
	v_or3_b32 v14, v15, v12, v8
	v_mov_b32_e32 v15, v13
	v_mov_b32_e32 v12, v18
.LBB617_223:
	s_or_b64 exec, exec, s[48:49]
	v_mov_b32_dpp v17, v14 row_shr:8 row_mask:0xf bank_mask:0xf
	v_cmp_lt_u32_e64 s[4:5], 7, v16
	s_and_saveexec_b64 s[48:49], s[4:5]
	s_cbranch_execz .LBB617_225
; %bb.224:
	v_mov_b32_e32 v13, 0
	v_cmp_eq_u16_sdwa s[4:5], v15, v13 src0_sel:BYTE_0 src1_sel:DWORD
	v_and_b32_e32 v13, 1, v15
	v_mov_b32_e32 v15, 1
	v_cndmask_b32_e64 v14, 1, v17, s[4:5]
	v_and_b32_sdwa v15, v17, v15 dst_sel:DWORD dst_unused:UNUSED_PAD src0_sel:WORD_1 src1_sel:DWORD
	v_cmp_eq_u32_e64 s[4:5], 1, v13
	v_cndmask_b32_e64 v13, v15, 1, s[4:5]
	v_mul_lo_u16_e32 v16, v14, v12
	v_lshlrev_b32_e32 v15, 16, v13
	v_mul_lo_u16_e32 v12, v14, v12
	v_or3_b32 v14, v15, v12, v8
	v_mov_b32_e32 v15, v13
	v_mov_b32_e32 v12, v16
.LBB617_225:
	s_or_b64 exec, exec, s[48:49]
	v_and_b32_e32 v17, 16, v9
	v_mov_b32_dpp v16, v14 row_bcast:15 row_mask:0xf bank_mask:0xf
	v_cmp_ne_u32_e64 s[4:5], 0, v17
	s_and_saveexec_b64 s[48:49], s[4:5]
	s_cbranch_execz .LBB617_227
; %bb.226:
	v_mov_b32_e32 v13, 0
	v_cmp_eq_u16_sdwa s[4:5], v15, v13 src0_sel:BYTE_0 src1_sel:DWORD
	v_and_b32_e32 v13, 1, v15
	v_mov_b32_e32 v15, 1
	v_cndmask_b32_e64 v14, 1, v16, s[4:5]
	v_and_b32_sdwa v15, v16, v15 dst_sel:DWORD dst_unused:UNUSED_PAD src0_sel:WORD_1 src1_sel:DWORD
	v_cmp_eq_u32_e64 s[4:5], 1, v13
	v_cndmask_b32_e64 v13, v15, 1, s[4:5]
	v_mul_lo_u16_e32 v17, v14, v12
	v_lshlrev_b32_e32 v15, 16, v13
	v_mul_lo_u16_e32 v12, v14, v12
	v_or3_b32 v14, v15, v12, v8
	v_mov_b32_e32 v15, v13
	v_mov_b32_e32 v12, v17
.LBB617_227:
	s_or_b64 exec, exec, s[48:49]
	v_mov_b32_dpp v14, v14 row_bcast:31 row_mask:0xf bank_mask:0xf
	v_cmp_lt_u32_e64 s[4:5], 31, v9
	s_and_saveexec_b64 s[48:49], s[4:5]
; %bb.228:
	v_mov_b32_e32 v13, 0
	v_cmp_eq_u16_sdwa s[4:5], v15, v13 src0_sel:BYTE_0 src1_sel:DWORD
	v_cndmask_b32_e64 v13, 1, v14, s[4:5]
	v_mul_lo_u16_e32 v12, v13, v12
	v_and_b32_e32 v13, 1, v15
	v_mov_b32_e32 v15, 1
	v_and_b32_sdwa v14, v14, v15 dst_sel:DWORD dst_unused:UNUSED_PAD src0_sel:WORD_1 src1_sel:DWORD
	v_cmp_eq_u32_e64 s[4:5], 1, v13
	v_cndmask_b32_e64 v13, v14, 1, s[4:5]
; %bb.229:
	s_or_b64 exec, exec, s[48:49]
	v_and_b32_e32 v13, 0xff, v13
	v_lshlrev_b32_e32 v13, 16, v13
	v_and_b32_e32 v12, 0xffff, v12
	v_or3_b32 v8, v13, v12, v8
	v_add_u32_e32 v12, -1, v9
	v_and_b32_e32 v13, 64, v9
	v_cmp_lt_i32_e64 s[4:5], v12, v13
	v_cndmask_b32_e64 v9, v12, v9, s[4:5]
	v_lshlrev_b32_e32 v9, 2, v9
	ds_bpermute_b32 v8, v9, v8
	v_and_b32_e32 v9, 0xff0000, v6
	v_cmp_eq_u32_e64 s[4:5], 0, v9
	; wave barrier
	s_waitcnt lgkmcnt(0)
	v_cndmask_b32_e64 v9, 1, v8, s[4:5]
	v_mul_lo_u16_e32 v6, v9, v6
	v_mov_b32_e32 v9, 1
	v_and_b32_sdwa v8, v8, v9 dst_sel:DWORD dst_unused:UNUSED_PAD src0_sel:WORD_1 src1_sel:DWORD
	v_cmp_eq_u32_e64 s[4:5], 0, v7
	v_cndmask_b32_e64 v7, 1, v8, s[4:5]
	v_cndmask_b32_e64 v4, v6, v4, s[0:1]
	;; [unrolled: 1-line block ×3, first 2 shown]
	ds_write_b16 v3, v4
	ds_write_b8 v3, v5 offset:2
	; wave barrier
	ds_read_u16 v6, v3 offset:4
	ds_read_u8 v7, v3 offset:6
	ds_read_u16 v8, v3 offset:8
	ds_read_u8 v9, v3 offset:10
	;; [unrolled: 2-line block ×3, first 2 shown]
	s_waitcnt lgkmcnt(4)
	v_cmp_eq_u16_e64 s[4:5], 0, v7
	v_cndmask_b32_e64 v4, 1, v4, s[4:5]
	v_mul_lo_u16_e32 v4, v4, v6
	v_and_b32_e32 v6, 1, v7
	v_cmp_eq_u32_e64 s[4:5], 1, v6
	v_cndmask_b32_e64 v5, v5, 1, s[4:5]
	s_waitcnt lgkmcnt(2)
	v_cmp_eq_u16_e64 s[4:5], 0, v9
	v_and_b32_e32 v6, 1, v9
	ds_write_b16 v3, v4 offset:4
	ds_write_b8 v3, v5 offset:6
	v_cndmask_b32_e64 v4, 1, v4, s[4:5]
	v_cmp_eq_u32_e64 s[4:5], 1, v6
	v_mul_lo_u16_e32 v4, v4, v8
	v_cndmask_b32_e64 v5, v5, 1, s[4:5]
	s_waitcnt lgkmcnt(2)
	v_cmp_eq_u16_e64 s[4:5], 0, v13
	ds_write_b16 v3, v4 offset:8
	ds_write_b8 v3, v5 offset:10
	v_cndmask_b32_e64 v4, 1, v4, s[4:5]
	v_and_b32_e32 v6, 1, v13
	v_mul_lo_u16_e32 v4, v4, v12
	v_cmp_eq_u32_e64 s[4:5], 1, v6
	v_cndmask_b32_e64 v5, v5, 1, s[4:5]
	ds_write_b16 v3, v4 offset:12
	ds_write_b8 v3, v5 offset:14
.LBB617_230:
	s_or_b64 exec, exec, s[46:47]
	s_waitcnt vmcnt(0)
	v_mov_b32_e32 v4, v2
	s_waitcnt lgkmcnt(0)
	s_barrier
	s_and_saveexec_b64 s[46:47], s[50:51]
	s_cbranch_execz .LBB617_232
; %bb.231:
	v_add_u32_e32 v3, -1, v0
	v_lshrrev_b32_e32 v4, 5, v3
	v_add_lshl_u32 v3, v4, v3, 2
	ds_read_u8 v4, v3 offset:2
	ds_read_u16 v3, v3
	s_waitcnt lgkmcnt(1)
	v_cmp_eq_u16_e64 s[4:5], 0, v4
	v_cndmask_b32_e64 v4, 1, v2, s[4:5]
	s_waitcnt lgkmcnt(0)
	v_mul_lo_u16_e32 v4, v4, v3
.LBB617_232:
	s_or_b64 exec, exec, s[46:47]
	v_and_b32_e32 v3, 0xff0000, v1
	v_cmp_eq_u32_e64 s[4:5], 0, v3
	v_cndmask_b32_e64 v3, 1, v4, s[4:5]
	v_mul_lo_u16_e32 v5, v3, v1
	v_cndmask_b32_e32 v1, 1, v5, vcc
	v_mul_lo_u16_e32 v6, v1, v20
	v_cndmask_b32_e64 v1, 1, v6, s[6:7]
	v_mul_lo_u16_e32 v7, v1, v24
	v_cndmask_b32_e64 v1, 1, v7, s[8:9]
	;; [unrolled: 2-line block ×19, first 2 shown]
	s_and_saveexec_b64 s[4:5], s[0:1]
	s_cbranch_execz .LBB617_234
; %bb.233:
	v_mov_b32_e32 v14, 0
	ds_read_u8 v3, v14 offset:1050
	ds_read_u16 v15, v14 offset:1048
	s_waitcnt lgkmcnt(1)
	v_cmp_eq_u32_e32 vcc, 0, v3
	v_cndmask_b32_e32 v2, 1, v2, vcc
	v_lshlrev_b32_e32 v16, 16, v3
	s_waitcnt lgkmcnt(0)
	v_mul_lo_u32 v2, v2, v15
	v_or_b32_sdwa v2, v16, v2 dst_sel:DWORD dst_unused:UNUSED_PAD src0_sel:DWORD src1_sel:WORD_0
	v_mov_b32_e32 v3, 2
	global_store_dwordx2 v14, v[2:3], s[60:61] offset:512
.LBB617_234:
	s_or_b64 exec, exec, s[4:5]
	v_mul_lo_u16_e32 v52, v1, v41
.LBB617_235:
	s_add_u32 s0, s58, s54
	s_addc_u32 s1, s59, s55
	v_mov_b32_e32 v1, s1
	v_add_co_u32_e32 v10, vcc, s0, v10
	v_addc_co_u32_e32 v11, vcc, v1, v11, vcc
	v_mul_u32_u24_e32 v1, 22, v0
	s_and_b64 vcc, exec, s[2:3]
	v_lshlrev_b32_e32 v14, 1, v1
	s_cbranch_vccz .LBB617_279
; %bb.236:
	s_mov_b32 s0, 0x5040100
	v_perm_b32 v1, v7, v6, s0
	v_perm_b32 v2, v5, v4, s0
	s_barrier
	ds_write2_b32 v14, v2, v1 offset1:1
	v_perm_b32 v1, v13, v12, s0
	v_perm_b32 v2, v9, v8, s0
	ds_write2_b32 v14, v2, v1 offset0:2 offset1:3
	v_perm_b32 v1, v39, v23, s0
	v_perm_b32 v2, v19, v18, s0
	ds_write2_b32 v14, v2, v1 offset0:4 offset1:5
	;; [unrolled: 3-line block ×4, first 2 shown]
	v_perm_b32 v1, v52, v51, s0
	s_movk_i32 s0, 0xffd6
	v_mad_i32_i24 v2, v0, s0, v14
	ds_write_b32 v14, v1 offset:40
	s_waitcnt lgkmcnt(0)
	s_barrier
	ds_read_u16 v38, v2 offset:512
	ds_read_u16 v37, v2 offset:1024
	ds_read_u16 v36, v2 offset:1536
	ds_read_u16 v35, v2 offset:2048
	ds_read_u16 v34, v2 offset:2560
	ds_read_u16 v33, v2 offset:3072
	ds_read_u16 v32, v2 offset:3584
	ds_read_u16 v31, v2 offset:4096
	ds_read_u16 v30, v2 offset:4608
	ds_read_u16 v29, v2 offset:5120
	ds_read_u16 v28, v2 offset:5632
	ds_read_u16 v27, v2 offset:6144
	ds_read_u16 v26, v2 offset:6656
	ds_read_u16 v25, v2 offset:7168
	ds_read_u16 v24, v2 offset:7680
	ds_read_u16 v22, v2 offset:8192
	ds_read_u16 v21, v2 offset:8704
	ds_read_u16 v20, v2 offset:9216
	ds_read_u16 v17, v2 offset:9728
	ds_read_u16 v16, v2 offset:10240
	ds_read_u16 v15, v2 offset:10752
	v_add_co_u32_e32 v2, vcc, v10, v42
	s_add_i32 s33, s33, s62
	v_addc_co_u32_e32 v3, vcc, 0, v11, vcc
	v_mov_b32_e32 v1, 0
	v_cmp_gt_u32_e32 vcc, s33, v0
	s_and_saveexec_b64 s[0:1], vcc
	s_cbranch_execz .LBB617_238
; %bb.237:
	v_mul_i32_i24_e32 v40, 0xffffffd6, v0
	v_add_u32_e32 v40, v14, v40
	ds_read_u16 v40, v40
	s_waitcnt lgkmcnt(0)
	flat_store_short v[2:3], v40
.LBB617_238:
	s_or_b64 exec, exec, s[0:1]
	v_or_b32_e32 v40, 0x100, v0
	v_cmp_gt_u32_e32 vcc, s33, v40
	s_and_saveexec_b64 s[0:1], vcc
	s_cbranch_execz .LBB617_240
; %bb.239:
	s_waitcnt lgkmcnt(0)
	flat_store_short v[2:3], v38 offset:512
.LBB617_240:
	s_or_b64 exec, exec, s[0:1]
	s_waitcnt lgkmcnt(0)
	v_or_b32_e32 v38, 0x200, v0
	v_cmp_gt_u32_e32 vcc, s33, v38
	s_and_saveexec_b64 s[0:1], vcc
	s_cbranch_execz .LBB617_242
; %bb.241:
	flat_store_short v[2:3], v37 offset:1024
.LBB617_242:
	s_or_b64 exec, exec, s[0:1]
	v_or_b32_e32 v37, 0x300, v0
	v_cmp_gt_u32_e32 vcc, s33, v37
	s_and_saveexec_b64 s[0:1], vcc
	s_cbranch_execz .LBB617_244
; %bb.243:
	flat_store_short v[2:3], v36 offset:1536
.LBB617_244:
	s_or_b64 exec, exec, s[0:1]
	;; [unrolled: 8-line block ×6, first 2 shown]
	v_or_b32_e32 v32, 0x800, v0
	v_cmp_gt_u32_e32 vcc, s33, v32
	s_and_saveexec_b64 s[0:1], vcc
	s_cbranch_execz .LBB617_254
; %bb.253:
	v_add_co_u32_e32 v32, vcc, 0x1000, v2
	v_addc_co_u32_e32 v33, vcc, 0, v3, vcc
	flat_store_short v[32:33], v31
.LBB617_254:
	s_or_b64 exec, exec, s[0:1]
	v_or_b32_e32 v31, 0x900, v0
	v_cmp_gt_u32_e32 vcc, s33, v31
	s_and_saveexec_b64 s[0:1], vcc
	s_cbranch_execz .LBB617_256
; %bb.255:
	v_add_co_u32_e32 v32, vcc, 0x1000, v2
	v_addc_co_u32_e32 v33, vcc, 0, v3, vcc
	flat_store_short v[32:33], v30 offset:512
.LBB617_256:
	s_or_b64 exec, exec, s[0:1]
	v_or_b32_e32 v30, 0xa00, v0
	v_cmp_gt_u32_e32 vcc, s33, v30
	s_and_saveexec_b64 s[0:1], vcc
	s_cbranch_execz .LBB617_258
; %bb.257:
	v_add_co_u32_e32 v30, vcc, 0x1000, v2
	v_addc_co_u32_e32 v31, vcc, 0, v3, vcc
	flat_store_short v[30:31], v29 offset:1024
.LBB617_258:
	;; [unrolled: 10-line block ×7, first 2 shown]
	s_or_b64 exec, exec, s[0:1]
	v_or_b32_e32 v24, 0x1000, v0
	v_cmp_gt_u32_e32 vcc, s33, v24
	s_and_saveexec_b64 s[0:1], vcc
	s_cbranch_execz .LBB617_270
; %bb.269:
	v_add_co_u32_e32 v24, vcc, 0x2000, v2
	v_addc_co_u32_e32 v25, vcc, 0, v3, vcc
	flat_store_short v[24:25], v22
.LBB617_270:
	s_or_b64 exec, exec, s[0:1]
	v_or_b32_e32 v22, 0x1100, v0
	v_cmp_gt_u32_e32 vcc, s33, v22
	s_and_saveexec_b64 s[0:1], vcc
	s_cbranch_execz .LBB617_272
; %bb.271:
	v_add_co_u32_e32 v24, vcc, 0x2000, v2
	v_addc_co_u32_e32 v25, vcc, 0, v3, vcc
	flat_store_short v[24:25], v21 offset:512
.LBB617_272:
	s_or_b64 exec, exec, s[0:1]
	v_or_b32_e32 v21, 0x1200, v0
	v_cmp_gt_u32_e32 vcc, s33, v21
	s_and_saveexec_b64 s[0:1], vcc
	s_cbranch_execz .LBB617_274
; %bb.273:
	v_add_co_u32_e32 v24, vcc, 0x2000, v2
	v_addc_co_u32_e32 v25, vcc, 0, v3, vcc
	flat_store_short v[24:25], v20 offset:1024
.LBB617_274:
	;; [unrolled: 10-line block ×4, first 2 shown]
	s_or_b64 exec, exec, s[0:1]
	v_or_b32_e32 v2, 0x1500, v0
	v_cmp_gt_u32_e64 s[0:1], s33, v2
	s_branch .LBB617_281
.LBB617_279:
	s_mov_b64 s[0:1], 0
                                        ; implicit-def: $vgpr15
	s_cbranch_execz .LBB617_281
; %bb.280:
	s_mov_b32 s2, 0x5040100
	v_perm_b32 v1, v7, v6, s2
	v_perm_b32 v2, v5, v4, s2
	s_waitcnt lgkmcnt(0)
	s_barrier
	ds_write2_b32 v14, v2, v1 offset1:1
	v_perm_b32 v1, v13, v12, s2
	v_perm_b32 v2, v9, v8, s2
	ds_write2_b32 v14, v2, v1 offset0:2 offset1:3
	v_perm_b32 v1, v39, v23, s2
	v_perm_b32 v2, v19, v18, s2
	ds_write2_b32 v14, v2, v1 offset0:4 offset1:5
	;; [unrolled: 3-line block ×4, first 2 shown]
	v_perm_b32 v1, v52, v51, s2
	s_movk_i32 s2, 0xffd6
	v_mad_i32_i24 v2, v0, s2, v14
	ds_write_b32 v14, v1 offset:40
	s_waitcnt lgkmcnt(0)
	s_barrier
	ds_read_u16 v4, v2
	ds_read_u16 v5, v2 offset:512
	ds_read_u16 v6, v2 offset:1024
	;; [unrolled: 1-line block ×21, first 2 shown]
	v_add_co_u32_e32 v2, vcc, v10, v42
	v_addc_co_u32_e32 v3, vcc, 0, v11, vcc
	s_movk_i32 s2, 0x1000
	s_waitcnt lgkmcnt(0)
	flat_store_short v[2:3], v4
	flat_store_short v[2:3], v5 offset:512
	flat_store_short v[2:3], v6 offset:1024
	;; [unrolled: 1-line block ×7, first 2 shown]
	v_add_co_u32_e32 v4, vcc, s2, v2
	v_addc_co_u32_e32 v5, vcc, 0, v3, vcc
	v_add_co_u32_e32 v2, vcc, 0x2000, v2
	v_mov_b32_e32 v1, 0
	v_addc_co_u32_e32 v3, vcc, 0, v3, vcc
	s_or_b64 s[0:1], s[0:1], exec
	flat_store_short v[4:5], v14
	flat_store_short v[4:5], v16 offset:512
	flat_store_short v[4:5], v17 offset:1024
	;; [unrolled: 1-line block ×7, first 2 shown]
	flat_store_short v[2:3], v23
	flat_store_short v[2:3], v24 offset:512
	flat_store_short v[2:3], v25 offset:1024
	;; [unrolled: 1-line block ×4, first 2 shown]
.LBB617_281:
	s_and_saveexec_b64 s[2:3], s[0:1]
	s_cbranch_execz .LBB617_283
; %bb.282:
	v_lshlrev_b64 v[0:1], 1, v[0:1]
	v_add_co_u32_e32 v0, vcc, v10, v0
	v_addc_co_u32_e32 v1, vcc, v11, v1, vcc
	v_add_co_u32_e32 v0, vcc, 0x2000, v0
	v_addc_co_u32_e32 v1, vcc, 0, v1, vcc
	flat_store_short v[0:1], v15 offset:2560
	s_endpgm
.LBB617_283:
	s_endpgm
	.section	.rodata,"a",@progbits
	.p2align	6, 0x0
	.amdhsa_kernel _ZN7rocprim17ROCPRIM_400000_NS6detail17trampoline_kernelINS0_14default_configENS1_27scan_by_key_config_selectorIssEEZZNS1_16scan_by_key_implILNS1_25lookback_scan_determinismE0ELb1ES3_N6thrust23THRUST_200600_302600_NS6detail15normal_iteratorINS9_10device_ptrIsEEEESE_SE_sNS9_10multipliesIsEENS9_8equal_toIsEEsEE10hipError_tPvRmT2_T3_T4_T5_mT6_T7_P12ihipStream_tbENKUlT_T0_E_clISt17integral_constantIbLb1EESZ_EEDaSU_SV_EUlSU_E_NS1_11comp_targetILNS1_3genE4ELNS1_11target_archE910ELNS1_3gpuE8ELNS1_3repE0EEENS1_30default_config_static_selectorELNS0_4arch9wavefront6targetE1EEEvT1_
		.amdhsa_group_segment_fixed_size 12288
		.amdhsa_private_segment_fixed_size 0
		.amdhsa_kernarg_size 112
		.amdhsa_user_sgpr_count 6
		.amdhsa_user_sgpr_private_segment_buffer 1
		.amdhsa_user_sgpr_dispatch_ptr 0
		.amdhsa_user_sgpr_queue_ptr 0
		.amdhsa_user_sgpr_kernarg_segment_ptr 1
		.amdhsa_user_sgpr_dispatch_id 0
		.amdhsa_user_sgpr_flat_scratch_init 0
		.amdhsa_user_sgpr_kernarg_preload_length 0
		.amdhsa_user_sgpr_kernarg_preload_offset 0
		.amdhsa_user_sgpr_private_segment_size 0
		.amdhsa_uses_dynamic_stack 0
		.amdhsa_system_sgpr_private_segment_wavefront_offset 0
		.amdhsa_system_sgpr_workgroup_id_x 1
		.amdhsa_system_sgpr_workgroup_id_y 0
		.amdhsa_system_sgpr_workgroup_id_z 0
		.amdhsa_system_sgpr_workgroup_info 0
		.amdhsa_system_vgpr_workitem_id 0
		.amdhsa_next_free_vgpr 60
		.amdhsa_next_free_sgpr 74
		.amdhsa_accum_offset 60
		.amdhsa_reserve_vcc 1
		.amdhsa_reserve_flat_scratch 0
		.amdhsa_float_round_mode_32 0
		.amdhsa_float_round_mode_16_64 0
		.amdhsa_float_denorm_mode_32 3
		.amdhsa_float_denorm_mode_16_64 3
		.amdhsa_dx10_clamp 1
		.amdhsa_ieee_mode 1
		.amdhsa_fp16_overflow 0
		.amdhsa_tg_split 0
		.amdhsa_exception_fp_ieee_invalid_op 0
		.amdhsa_exception_fp_denorm_src 0
		.amdhsa_exception_fp_ieee_div_zero 0
		.amdhsa_exception_fp_ieee_overflow 0
		.amdhsa_exception_fp_ieee_underflow 0
		.amdhsa_exception_fp_ieee_inexact 0
		.amdhsa_exception_int_div_zero 0
	.end_amdhsa_kernel
	.section	.text._ZN7rocprim17ROCPRIM_400000_NS6detail17trampoline_kernelINS0_14default_configENS1_27scan_by_key_config_selectorIssEEZZNS1_16scan_by_key_implILNS1_25lookback_scan_determinismE0ELb1ES3_N6thrust23THRUST_200600_302600_NS6detail15normal_iteratorINS9_10device_ptrIsEEEESE_SE_sNS9_10multipliesIsEENS9_8equal_toIsEEsEE10hipError_tPvRmT2_T3_T4_T5_mT6_T7_P12ihipStream_tbENKUlT_T0_E_clISt17integral_constantIbLb1EESZ_EEDaSU_SV_EUlSU_E_NS1_11comp_targetILNS1_3genE4ELNS1_11target_archE910ELNS1_3gpuE8ELNS1_3repE0EEENS1_30default_config_static_selectorELNS0_4arch9wavefront6targetE1EEEvT1_,"axG",@progbits,_ZN7rocprim17ROCPRIM_400000_NS6detail17trampoline_kernelINS0_14default_configENS1_27scan_by_key_config_selectorIssEEZZNS1_16scan_by_key_implILNS1_25lookback_scan_determinismE0ELb1ES3_N6thrust23THRUST_200600_302600_NS6detail15normal_iteratorINS9_10device_ptrIsEEEESE_SE_sNS9_10multipliesIsEENS9_8equal_toIsEEsEE10hipError_tPvRmT2_T3_T4_T5_mT6_T7_P12ihipStream_tbENKUlT_T0_E_clISt17integral_constantIbLb1EESZ_EEDaSU_SV_EUlSU_E_NS1_11comp_targetILNS1_3genE4ELNS1_11target_archE910ELNS1_3gpuE8ELNS1_3repE0EEENS1_30default_config_static_selectorELNS0_4arch9wavefront6targetE1EEEvT1_,comdat
.Lfunc_end617:
	.size	_ZN7rocprim17ROCPRIM_400000_NS6detail17trampoline_kernelINS0_14default_configENS1_27scan_by_key_config_selectorIssEEZZNS1_16scan_by_key_implILNS1_25lookback_scan_determinismE0ELb1ES3_N6thrust23THRUST_200600_302600_NS6detail15normal_iteratorINS9_10device_ptrIsEEEESE_SE_sNS9_10multipliesIsEENS9_8equal_toIsEEsEE10hipError_tPvRmT2_T3_T4_T5_mT6_T7_P12ihipStream_tbENKUlT_T0_E_clISt17integral_constantIbLb1EESZ_EEDaSU_SV_EUlSU_E_NS1_11comp_targetILNS1_3genE4ELNS1_11target_archE910ELNS1_3gpuE8ELNS1_3repE0EEENS1_30default_config_static_selectorELNS0_4arch9wavefront6targetE1EEEvT1_, .Lfunc_end617-_ZN7rocprim17ROCPRIM_400000_NS6detail17trampoline_kernelINS0_14default_configENS1_27scan_by_key_config_selectorIssEEZZNS1_16scan_by_key_implILNS1_25lookback_scan_determinismE0ELb1ES3_N6thrust23THRUST_200600_302600_NS6detail15normal_iteratorINS9_10device_ptrIsEEEESE_SE_sNS9_10multipliesIsEENS9_8equal_toIsEEsEE10hipError_tPvRmT2_T3_T4_T5_mT6_T7_P12ihipStream_tbENKUlT_T0_E_clISt17integral_constantIbLb1EESZ_EEDaSU_SV_EUlSU_E_NS1_11comp_targetILNS1_3genE4ELNS1_11target_archE910ELNS1_3gpuE8ELNS1_3repE0EEENS1_30default_config_static_selectorELNS0_4arch9wavefront6targetE1EEEvT1_
                                        ; -- End function
	.section	.AMDGPU.csdata,"",@progbits
; Kernel info:
; codeLenInByte = 16232
; NumSgprs: 78
; NumVgprs: 60
; NumAgprs: 0
; TotalNumVgprs: 60
; ScratchSize: 0
; MemoryBound: 0
; FloatMode: 240
; IeeeMode: 1
; LDSByteSize: 12288 bytes/workgroup (compile time only)
; SGPRBlocks: 9
; VGPRBlocks: 7
; NumSGPRsForWavesPerEU: 78
; NumVGPRsForWavesPerEU: 60
; AccumOffset: 60
; Occupancy: 5
; WaveLimiterHint : 1
; COMPUTE_PGM_RSRC2:SCRATCH_EN: 0
; COMPUTE_PGM_RSRC2:USER_SGPR: 6
; COMPUTE_PGM_RSRC2:TRAP_HANDLER: 0
; COMPUTE_PGM_RSRC2:TGID_X_EN: 1
; COMPUTE_PGM_RSRC2:TGID_Y_EN: 0
; COMPUTE_PGM_RSRC2:TGID_Z_EN: 0
; COMPUTE_PGM_RSRC2:TIDIG_COMP_CNT: 0
; COMPUTE_PGM_RSRC3_GFX90A:ACCUM_OFFSET: 14
; COMPUTE_PGM_RSRC3_GFX90A:TG_SPLIT: 0
	.section	.text._ZN7rocprim17ROCPRIM_400000_NS6detail17trampoline_kernelINS0_14default_configENS1_27scan_by_key_config_selectorIssEEZZNS1_16scan_by_key_implILNS1_25lookback_scan_determinismE0ELb1ES3_N6thrust23THRUST_200600_302600_NS6detail15normal_iteratorINS9_10device_ptrIsEEEESE_SE_sNS9_10multipliesIsEENS9_8equal_toIsEEsEE10hipError_tPvRmT2_T3_T4_T5_mT6_T7_P12ihipStream_tbENKUlT_T0_E_clISt17integral_constantIbLb1EESZ_EEDaSU_SV_EUlSU_E_NS1_11comp_targetILNS1_3genE3ELNS1_11target_archE908ELNS1_3gpuE7ELNS1_3repE0EEENS1_30default_config_static_selectorELNS0_4arch9wavefront6targetE1EEEvT1_,"axG",@progbits,_ZN7rocprim17ROCPRIM_400000_NS6detail17trampoline_kernelINS0_14default_configENS1_27scan_by_key_config_selectorIssEEZZNS1_16scan_by_key_implILNS1_25lookback_scan_determinismE0ELb1ES3_N6thrust23THRUST_200600_302600_NS6detail15normal_iteratorINS9_10device_ptrIsEEEESE_SE_sNS9_10multipliesIsEENS9_8equal_toIsEEsEE10hipError_tPvRmT2_T3_T4_T5_mT6_T7_P12ihipStream_tbENKUlT_T0_E_clISt17integral_constantIbLb1EESZ_EEDaSU_SV_EUlSU_E_NS1_11comp_targetILNS1_3genE3ELNS1_11target_archE908ELNS1_3gpuE7ELNS1_3repE0EEENS1_30default_config_static_selectorELNS0_4arch9wavefront6targetE1EEEvT1_,comdat
	.protected	_ZN7rocprim17ROCPRIM_400000_NS6detail17trampoline_kernelINS0_14default_configENS1_27scan_by_key_config_selectorIssEEZZNS1_16scan_by_key_implILNS1_25lookback_scan_determinismE0ELb1ES3_N6thrust23THRUST_200600_302600_NS6detail15normal_iteratorINS9_10device_ptrIsEEEESE_SE_sNS9_10multipliesIsEENS9_8equal_toIsEEsEE10hipError_tPvRmT2_T3_T4_T5_mT6_T7_P12ihipStream_tbENKUlT_T0_E_clISt17integral_constantIbLb1EESZ_EEDaSU_SV_EUlSU_E_NS1_11comp_targetILNS1_3genE3ELNS1_11target_archE908ELNS1_3gpuE7ELNS1_3repE0EEENS1_30default_config_static_selectorELNS0_4arch9wavefront6targetE1EEEvT1_ ; -- Begin function _ZN7rocprim17ROCPRIM_400000_NS6detail17trampoline_kernelINS0_14default_configENS1_27scan_by_key_config_selectorIssEEZZNS1_16scan_by_key_implILNS1_25lookback_scan_determinismE0ELb1ES3_N6thrust23THRUST_200600_302600_NS6detail15normal_iteratorINS9_10device_ptrIsEEEESE_SE_sNS9_10multipliesIsEENS9_8equal_toIsEEsEE10hipError_tPvRmT2_T3_T4_T5_mT6_T7_P12ihipStream_tbENKUlT_T0_E_clISt17integral_constantIbLb1EESZ_EEDaSU_SV_EUlSU_E_NS1_11comp_targetILNS1_3genE3ELNS1_11target_archE908ELNS1_3gpuE7ELNS1_3repE0EEENS1_30default_config_static_selectorELNS0_4arch9wavefront6targetE1EEEvT1_
	.globl	_ZN7rocprim17ROCPRIM_400000_NS6detail17trampoline_kernelINS0_14default_configENS1_27scan_by_key_config_selectorIssEEZZNS1_16scan_by_key_implILNS1_25lookback_scan_determinismE0ELb1ES3_N6thrust23THRUST_200600_302600_NS6detail15normal_iteratorINS9_10device_ptrIsEEEESE_SE_sNS9_10multipliesIsEENS9_8equal_toIsEEsEE10hipError_tPvRmT2_T3_T4_T5_mT6_T7_P12ihipStream_tbENKUlT_T0_E_clISt17integral_constantIbLb1EESZ_EEDaSU_SV_EUlSU_E_NS1_11comp_targetILNS1_3genE3ELNS1_11target_archE908ELNS1_3gpuE7ELNS1_3repE0EEENS1_30default_config_static_selectorELNS0_4arch9wavefront6targetE1EEEvT1_
	.p2align	8
	.type	_ZN7rocprim17ROCPRIM_400000_NS6detail17trampoline_kernelINS0_14default_configENS1_27scan_by_key_config_selectorIssEEZZNS1_16scan_by_key_implILNS1_25lookback_scan_determinismE0ELb1ES3_N6thrust23THRUST_200600_302600_NS6detail15normal_iteratorINS9_10device_ptrIsEEEESE_SE_sNS9_10multipliesIsEENS9_8equal_toIsEEsEE10hipError_tPvRmT2_T3_T4_T5_mT6_T7_P12ihipStream_tbENKUlT_T0_E_clISt17integral_constantIbLb1EESZ_EEDaSU_SV_EUlSU_E_NS1_11comp_targetILNS1_3genE3ELNS1_11target_archE908ELNS1_3gpuE7ELNS1_3repE0EEENS1_30default_config_static_selectorELNS0_4arch9wavefront6targetE1EEEvT1_,@function
_ZN7rocprim17ROCPRIM_400000_NS6detail17trampoline_kernelINS0_14default_configENS1_27scan_by_key_config_selectorIssEEZZNS1_16scan_by_key_implILNS1_25lookback_scan_determinismE0ELb1ES3_N6thrust23THRUST_200600_302600_NS6detail15normal_iteratorINS9_10device_ptrIsEEEESE_SE_sNS9_10multipliesIsEENS9_8equal_toIsEEsEE10hipError_tPvRmT2_T3_T4_T5_mT6_T7_P12ihipStream_tbENKUlT_T0_E_clISt17integral_constantIbLb1EESZ_EEDaSU_SV_EUlSU_E_NS1_11comp_targetILNS1_3genE3ELNS1_11target_archE908ELNS1_3gpuE7ELNS1_3repE0EEENS1_30default_config_static_selectorELNS0_4arch9wavefront6targetE1EEEvT1_: ; @_ZN7rocprim17ROCPRIM_400000_NS6detail17trampoline_kernelINS0_14default_configENS1_27scan_by_key_config_selectorIssEEZZNS1_16scan_by_key_implILNS1_25lookback_scan_determinismE0ELb1ES3_N6thrust23THRUST_200600_302600_NS6detail15normal_iteratorINS9_10device_ptrIsEEEESE_SE_sNS9_10multipliesIsEENS9_8equal_toIsEEsEE10hipError_tPvRmT2_T3_T4_T5_mT6_T7_P12ihipStream_tbENKUlT_T0_E_clISt17integral_constantIbLb1EESZ_EEDaSU_SV_EUlSU_E_NS1_11comp_targetILNS1_3genE3ELNS1_11target_archE908ELNS1_3gpuE7ELNS1_3repE0EEENS1_30default_config_static_selectorELNS0_4arch9wavefront6targetE1EEEvT1_
; %bb.0:
	.section	.rodata,"a",@progbits
	.p2align	6, 0x0
	.amdhsa_kernel _ZN7rocprim17ROCPRIM_400000_NS6detail17trampoline_kernelINS0_14default_configENS1_27scan_by_key_config_selectorIssEEZZNS1_16scan_by_key_implILNS1_25lookback_scan_determinismE0ELb1ES3_N6thrust23THRUST_200600_302600_NS6detail15normal_iteratorINS9_10device_ptrIsEEEESE_SE_sNS9_10multipliesIsEENS9_8equal_toIsEEsEE10hipError_tPvRmT2_T3_T4_T5_mT6_T7_P12ihipStream_tbENKUlT_T0_E_clISt17integral_constantIbLb1EESZ_EEDaSU_SV_EUlSU_E_NS1_11comp_targetILNS1_3genE3ELNS1_11target_archE908ELNS1_3gpuE7ELNS1_3repE0EEENS1_30default_config_static_selectorELNS0_4arch9wavefront6targetE1EEEvT1_
		.amdhsa_group_segment_fixed_size 0
		.amdhsa_private_segment_fixed_size 0
		.amdhsa_kernarg_size 112
		.amdhsa_user_sgpr_count 6
		.amdhsa_user_sgpr_private_segment_buffer 1
		.amdhsa_user_sgpr_dispatch_ptr 0
		.amdhsa_user_sgpr_queue_ptr 0
		.amdhsa_user_sgpr_kernarg_segment_ptr 1
		.amdhsa_user_sgpr_dispatch_id 0
		.amdhsa_user_sgpr_flat_scratch_init 0
		.amdhsa_user_sgpr_kernarg_preload_length 0
		.amdhsa_user_sgpr_kernarg_preload_offset 0
		.amdhsa_user_sgpr_private_segment_size 0
		.amdhsa_uses_dynamic_stack 0
		.amdhsa_system_sgpr_private_segment_wavefront_offset 0
		.amdhsa_system_sgpr_workgroup_id_x 1
		.amdhsa_system_sgpr_workgroup_id_y 0
		.amdhsa_system_sgpr_workgroup_id_z 0
		.amdhsa_system_sgpr_workgroup_info 0
		.amdhsa_system_vgpr_workitem_id 0
		.amdhsa_next_free_vgpr 1
		.amdhsa_next_free_sgpr 0
		.amdhsa_accum_offset 4
		.amdhsa_reserve_vcc 0
		.amdhsa_reserve_flat_scratch 0
		.amdhsa_float_round_mode_32 0
		.amdhsa_float_round_mode_16_64 0
		.amdhsa_float_denorm_mode_32 3
		.amdhsa_float_denorm_mode_16_64 3
		.amdhsa_dx10_clamp 1
		.amdhsa_ieee_mode 1
		.amdhsa_fp16_overflow 0
		.amdhsa_tg_split 0
		.amdhsa_exception_fp_ieee_invalid_op 0
		.amdhsa_exception_fp_denorm_src 0
		.amdhsa_exception_fp_ieee_div_zero 0
		.amdhsa_exception_fp_ieee_overflow 0
		.amdhsa_exception_fp_ieee_underflow 0
		.amdhsa_exception_fp_ieee_inexact 0
		.amdhsa_exception_int_div_zero 0
	.end_amdhsa_kernel
	.section	.text._ZN7rocprim17ROCPRIM_400000_NS6detail17trampoline_kernelINS0_14default_configENS1_27scan_by_key_config_selectorIssEEZZNS1_16scan_by_key_implILNS1_25lookback_scan_determinismE0ELb1ES3_N6thrust23THRUST_200600_302600_NS6detail15normal_iteratorINS9_10device_ptrIsEEEESE_SE_sNS9_10multipliesIsEENS9_8equal_toIsEEsEE10hipError_tPvRmT2_T3_T4_T5_mT6_T7_P12ihipStream_tbENKUlT_T0_E_clISt17integral_constantIbLb1EESZ_EEDaSU_SV_EUlSU_E_NS1_11comp_targetILNS1_3genE3ELNS1_11target_archE908ELNS1_3gpuE7ELNS1_3repE0EEENS1_30default_config_static_selectorELNS0_4arch9wavefront6targetE1EEEvT1_,"axG",@progbits,_ZN7rocprim17ROCPRIM_400000_NS6detail17trampoline_kernelINS0_14default_configENS1_27scan_by_key_config_selectorIssEEZZNS1_16scan_by_key_implILNS1_25lookback_scan_determinismE0ELb1ES3_N6thrust23THRUST_200600_302600_NS6detail15normal_iteratorINS9_10device_ptrIsEEEESE_SE_sNS9_10multipliesIsEENS9_8equal_toIsEEsEE10hipError_tPvRmT2_T3_T4_T5_mT6_T7_P12ihipStream_tbENKUlT_T0_E_clISt17integral_constantIbLb1EESZ_EEDaSU_SV_EUlSU_E_NS1_11comp_targetILNS1_3genE3ELNS1_11target_archE908ELNS1_3gpuE7ELNS1_3repE0EEENS1_30default_config_static_selectorELNS0_4arch9wavefront6targetE1EEEvT1_,comdat
.Lfunc_end618:
	.size	_ZN7rocprim17ROCPRIM_400000_NS6detail17trampoline_kernelINS0_14default_configENS1_27scan_by_key_config_selectorIssEEZZNS1_16scan_by_key_implILNS1_25lookback_scan_determinismE0ELb1ES3_N6thrust23THRUST_200600_302600_NS6detail15normal_iteratorINS9_10device_ptrIsEEEESE_SE_sNS9_10multipliesIsEENS9_8equal_toIsEEsEE10hipError_tPvRmT2_T3_T4_T5_mT6_T7_P12ihipStream_tbENKUlT_T0_E_clISt17integral_constantIbLb1EESZ_EEDaSU_SV_EUlSU_E_NS1_11comp_targetILNS1_3genE3ELNS1_11target_archE908ELNS1_3gpuE7ELNS1_3repE0EEENS1_30default_config_static_selectorELNS0_4arch9wavefront6targetE1EEEvT1_, .Lfunc_end618-_ZN7rocprim17ROCPRIM_400000_NS6detail17trampoline_kernelINS0_14default_configENS1_27scan_by_key_config_selectorIssEEZZNS1_16scan_by_key_implILNS1_25lookback_scan_determinismE0ELb1ES3_N6thrust23THRUST_200600_302600_NS6detail15normal_iteratorINS9_10device_ptrIsEEEESE_SE_sNS9_10multipliesIsEENS9_8equal_toIsEEsEE10hipError_tPvRmT2_T3_T4_T5_mT6_T7_P12ihipStream_tbENKUlT_T0_E_clISt17integral_constantIbLb1EESZ_EEDaSU_SV_EUlSU_E_NS1_11comp_targetILNS1_3genE3ELNS1_11target_archE908ELNS1_3gpuE7ELNS1_3repE0EEENS1_30default_config_static_selectorELNS0_4arch9wavefront6targetE1EEEvT1_
                                        ; -- End function
	.section	.AMDGPU.csdata,"",@progbits
; Kernel info:
; codeLenInByte = 0
; NumSgprs: 4
; NumVgprs: 0
; NumAgprs: 0
; TotalNumVgprs: 0
; ScratchSize: 0
; MemoryBound: 0
; FloatMode: 240
; IeeeMode: 1
; LDSByteSize: 0 bytes/workgroup (compile time only)
; SGPRBlocks: 0
; VGPRBlocks: 0
; NumSGPRsForWavesPerEU: 4
; NumVGPRsForWavesPerEU: 1
; AccumOffset: 4
; Occupancy: 8
; WaveLimiterHint : 0
; COMPUTE_PGM_RSRC2:SCRATCH_EN: 0
; COMPUTE_PGM_RSRC2:USER_SGPR: 6
; COMPUTE_PGM_RSRC2:TRAP_HANDLER: 0
; COMPUTE_PGM_RSRC2:TGID_X_EN: 1
; COMPUTE_PGM_RSRC2:TGID_Y_EN: 0
; COMPUTE_PGM_RSRC2:TGID_Z_EN: 0
; COMPUTE_PGM_RSRC2:TIDIG_COMP_CNT: 0
; COMPUTE_PGM_RSRC3_GFX90A:ACCUM_OFFSET: 0
; COMPUTE_PGM_RSRC3_GFX90A:TG_SPLIT: 0
	.section	.text._ZN7rocprim17ROCPRIM_400000_NS6detail17trampoline_kernelINS0_14default_configENS1_27scan_by_key_config_selectorIssEEZZNS1_16scan_by_key_implILNS1_25lookback_scan_determinismE0ELb1ES3_N6thrust23THRUST_200600_302600_NS6detail15normal_iteratorINS9_10device_ptrIsEEEESE_SE_sNS9_10multipliesIsEENS9_8equal_toIsEEsEE10hipError_tPvRmT2_T3_T4_T5_mT6_T7_P12ihipStream_tbENKUlT_T0_E_clISt17integral_constantIbLb1EESZ_EEDaSU_SV_EUlSU_E_NS1_11comp_targetILNS1_3genE2ELNS1_11target_archE906ELNS1_3gpuE6ELNS1_3repE0EEENS1_30default_config_static_selectorELNS0_4arch9wavefront6targetE1EEEvT1_,"axG",@progbits,_ZN7rocprim17ROCPRIM_400000_NS6detail17trampoline_kernelINS0_14default_configENS1_27scan_by_key_config_selectorIssEEZZNS1_16scan_by_key_implILNS1_25lookback_scan_determinismE0ELb1ES3_N6thrust23THRUST_200600_302600_NS6detail15normal_iteratorINS9_10device_ptrIsEEEESE_SE_sNS9_10multipliesIsEENS9_8equal_toIsEEsEE10hipError_tPvRmT2_T3_T4_T5_mT6_T7_P12ihipStream_tbENKUlT_T0_E_clISt17integral_constantIbLb1EESZ_EEDaSU_SV_EUlSU_E_NS1_11comp_targetILNS1_3genE2ELNS1_11target_archE906ELNS1_3gpuE6ELNS1_3repE0EEENS1_30default_config_static_selectorELNS0_4arch9wavefront6targetE1EEEvT1_,comdat
	.protected	_ZN7rocprim17ROCPRIM_400000_NS6detail17trampoline_kernelINS0_14default_configENS1_27scan_by_key_config_selectorIssEEZZNS1_16scan_by_key_implILNS1_25lookback_scan_determinismE0ELb1ES3_N6thrust23THRUST_200600_302600_NS6detail15normal_iteratorINS9_10device_ptrIsEEEESE_SE_sNS9_10multipliesIsEENS9_8equal_toIsEEsEE10hipError_tPvRmT2_T3_T4_T5_mT6_T7_P12ihipStream_tbENKUlT_T0_E_clISt17integral_constantIbLb1EESZ_EEDaSU_SV_EUlSU_E_NS1_11comp_targetILNS1_3genE2ELNS1_11target_archE906ELNS1_3gpuE6ELNS1_3repE0EEENS1_30default_config_static_selectorELNS0_4arch9wavefront6targetE1EEEvT1_ ; -- Begin function _ZN7rocprim17ROCPRIM_400000_NS6detail17trampoline_kernelINS0_14default_configENS1_27scan_by_key_config_selectorIssEEZZNS1_16scan_by_key_implILNS1_25lookback_scan_determinismE0ELb1ES3_N6thrust23THRUST_200600_302600_NS6detail15normal_iteratorINS9_10device_ptrIsEEEESE_SE_sNS9_10multipliesIsEENS9_8equal_toIsEEsEE10hipError_tPvRmT2_T3_T4_T5_mT6_T7_P12ihipStream_tbENKUlT_T0_E_clISt17integral_constantIbLb1EESZ_EEDaSU_SV_EUlSU_E_NS1_11comp_targetILNS1_3genE2ELNS1_11target_archE906ELNS1_3gpuE6ELNS1_3repE0EEENS1_30default_config_static_selectorELNS0_4arch9wavefront6targetE1EEEvT1_
	.globl	_ZN7rocprim17ROCPRIM_400000_NS6detail17trampoline_kernelINS0_14default_configENS1_27scan_by_key_config_selectorIssEEZZNS1_16scan_by_key_implILNS1_25lookback_scan_determinismE0ELb1ES3_N6thrust23THRUST_200600_302600_NS6detail15normal_iteratorINS9_10device_ptrIsEEEESE_SE_sNS9_10multipliesIsEENS9_8equal_toIsEEsEE10hipError_tPvRmT2_T3_T4_T5_mT6_T7_P12ihipStream_tbENKUlT_T0_E_clISt17integral_constantIbLb1EESZ_EEDaSU_SV_EUlSU_E_NS1_11comp_targetILNS1_3genE2ELNS1_11target_archE906ELNS1_3gpuE6ELNS1_3repE0EEENS1_30default_config_static_selectorELNS0_4arch9wavefront6targetE1EEEvT1_
	.p2align	8
	.type	_ZN7rocprim17ROCPRIM_400000_NS6detail17trampoline_kernelINS0_14default_configENS1_27scan_by_key_config_selectorIssEEZZNS1_16scan_by_key_implILNS1_25lookback_scan_determinismE0ELb1ES3_N6thrust23THRUST_200600_302600_NS6detail15normal_iteratorINS9_10device_ptrIsEEEESE_SE_sNS9_10multipliesIsEENS9_8equal_toIsEEsEE10hipError_tPvRmT2_T3_T4_T5_mT6_T7_P12ihipStream_tbENKUlT_T0_E_clISt17integral_constantIbLb1EESZ_EEDaSU_SV_EUlSU_E_NS1_11comp_targetILNS1_3genE2ELNS1_11target_archE906ELNS1_3gpuE6ELNS1_3repE0EEENS1_30default_config_static_selectorELNS0_4arch9wavefront6targetE1EEEvT1_,@function
_ZN7rocprim17ROCPRIM_400000_NS6detail17trampoline_kernelINS0_14default_configENS1_27scan_by_key_config_selectorIssEEZZNS1_16scan_by_key_implILNS1_25lookback_scan_determinismE0ELb1ES3_N6thrust23THRUST_200600_302600_NS6detail15normal_iteratorINS9_10device_ptrIsEEEESE_SE_sNS9_10multipliesIsEENS9_8equal_toIsEEsEE10hipError_tPvRmT2_T3_T4_T5_mT6_T7_P12ihipStream_tbENKUlT_T0_E_clISt17integral_constantIbLb1EESZ_EEDaSU_SV_EUlSU_E_NS1_11comp_targetILNS1_3genE2ELNS1_11target_archE906ELNS1_3gpuE6ELNS1_3repE0EEENS1_30default_config_static_selectorELNS0_4arch9wavefront6targetE1EEEvT1_: ; @_ZN7rocprim17ROCPRIM_400000_NS6detail17trampoline_kernelINS0_14default_configENS1_27scan_by_key_config_selectorIssEEZZNS1_16scan_by_key_implILNS1_25lookback_scan_determinismE0ELb1ES3_N6thrust23THRUST_200600_302600_NS6detail15normal_iteratorINS9_10device_ptrIsEEEESE_SE_sNS9_10multipliesIsEENS9_8equal_toIsEEsEE10hipError_tPvRmT2_T3_T4_T5_mT6_T7_P12ihipStream_tbENKUlT_T0_E_clISt17integral_constantIbLb1EESZ_EEDaSU_SV_EUlSU_E_NS1_11comp_targetILNS1_3genE2ELNS1_11target_archE906ELNS1_3gpuE6ELNS1_3repE0EEENS1_30default_config_static_selectorELNS0_4arch9wavefront6targetE1EEEvT1_
; %bb.0:
	.section	.rodata,"a",@progbits
	.p2align	6, 0x0
	.amdhsa_kernel _ZN7rocprim17ROCPRIM_400000_NS6detail17trampoline_kernelINS0_14default_configENS1_27scan_by_key_config_selectorIssEEZZNS1_16scan_by_key_implILNS1_25lookback_scan_determinismE0ELb1ES3_N6thrust23THRUST_200600_302600_NS6detail15normal_iteratorINS9_10device_ptrIsEEEESE_SE_sNS9_10multipliesIsEENS9_8equal_toIsEEsEE10hipError_tPvRmT2_T3_T4_T5_mT6_T7_P12ihipStream_tbENKUlT_T0_E_clISt17integral_constantIbLb1EESZ_EEDaSU_SV_EUlSU_E_NS1_11comp_targetILNS1_3genE2ELNS1_11target_archE906ELNS1_3gpuE6ELNS1_3repE0EEENS1_30default_config_static_selectorELNS0_4arch9wavefront6targetE1EEEvT1_
		.amdhsa_group_segment_fixed_size 0
		.amdhsa_private_segment_fixed_size 0
		.amdhsa_kernarg_size 112
		.amdhsa_user_sgpr_count 6
		.amdhsa_user_sgpr_private_segment_buffer 1
		.amdhsa_user_sgpr_dispatch_ptr 0
		.amdhsa_user_sgpr_queue_ptr 0
		.amdhsa_user_sgpr_kernarg_segment_ptr 1
		.amdhsa_user_sgpr_dispatch_id 0
		.amdhsa_user_sgpr_flat_scratch_init 0
		.amdhsa_user_sgpr_kernarg_preload_length 0
		.amdhsa_user_sgpr_kernarg_preload_offset 0
		.amdhsa_user_sgpr_private_segment_size 0
		.amdhsa_uses_dynamic_stack 0
		.amdhsa_system_sgpr_private_segment_wavefront_offset 0
		.amdhsa_system_sgpr_workgroup_id_x 1
		.amdhsa_system_sgpr_workgroup_id_y 0
		.amdhsa_system_sgpr_workgroup_id_z 0
		.amdhsa_system_sgpr_workgroup_info 0
		.amdhsa_system_vgpr_workitem_id 0
		.amdhsa_next_free_vgpr 1
		.amdhsa_next_free_sgpr 0
		.amdhsa_accum_offset 4
		.amdhsa_reserve_vcc 0
		.amdhsa_reserve_flat_scratch 0
		.amdhsa_float_round_mode_32 0
		.amdhsa_float_round_mode_16_64 0
		.amdhsa_float_denorm_mode_32 3
		.amdhsa_float_denorm_mode_16_64 3
		.amdhsa_dx10_clamp 1
		.amdhsa_ieee_mode 1
		.amdhsa_fp16_overflow 0
		.amdhsa_tg_split 0
		.amdhsa_exception_fp_ieee_invalid_op 0
		.amdhsa_exception_fp_denorm_src 0
		.amdhsa_exception_fp_ieee_div_zero 0
		.amdhsa_exception_fp_ieee_overflow 0
		.amdhsa_exception_fp_ieee_underflow 0
		.amdhsa_exception_fp_ieee_inexact 0
		.amdhsa_exception_int_div_zero 0
	.end_amdhsa_kernel
	.section	.text._ZN7rocprim17ROCPRIM_400000_NS6detail17trampoline_kernelINS0_14default_configENS1_27scan_by_key_config_selectorIssEEZZNS1_16scan_by_key_implILNS1_25lookback_scan_determinismE0ELb1ES3_N6thrust23THRUST_200600_302600_NS6detail15normal_iteratorINS9_10device_ptrIsEEEESE_SE_sNS9_10multipliesIsEENS9_8equal_toIsEEsEE10hipError_tPvRmT2_T3_T4_T5_mT6_T7_P12ihipStream_tbENKUlT_T0_E_clISt17integral_constantIbLb1EESZ_EEDaSU_SV_EUlSU_E_NS1_11comp_targetILNS1_3genE2ELNS1_11target_archE906ELNS1_3gpuE6ELNS1_3repE0EEENS1_30default_config_static_selectorELNS0_4arch9wavefront6targetE1EEEvT1_,"axG",@progbits,_ZN7rocprim17ROCPRIM_400000_NS6detail17trampoline_kernelINS0_14default_configENS1_27scan_by_key_config_selectorIssEEZZNS1_16scan_by_key_implILNS1_25lookback_scan_determinismE0ELb1ES3_N6thrust23THRUST_200600_302600_NS6detail15normal_iteratorINS9_10device_ptrIsEEEESE_SE_sNS9_10multipliesIsEENS9_8equal_toIsEEsEE10hipError_tPvRmT2_T3_T4_T5_mT6_T7_P12ihipStream_tbENKUlT_T0_E_clISt17integral_constantIbLb1EESZ_EEDaSU_SV_EUlSU_E_NS1_11comp_targetILNS1_3genE2ELNS1_11target_archE906ELNS1_3gpuE6ELNS1_3repE0EEENS1_30default_config_static_selectorELNS0_4arch9wavefront6targetE1EEEvT1_,comdat
.Lfunc_end619:
	.size	_ZN7rocprim17ROCPRIM_400000_NS6detail17trampoline_kernelINS0_14default_configENS1_27scan_by_key_config_selectorIssEEZZNS1_16scan_by_key_implILNS1_25lookback_scan_determinismE0ELb1ES3_N6thrust23THRUST_200600_302600_NS6detail15normal_iteratorINS9_10device_ptrIsEEEESE_SE_sNS9_10multipliesIsEENS9_8equal_toIsEEsEE10hipError_tPvRmT2_T3_T4_T5_mT6_T7_P12ihipStream_tbENKUlT_T0_E_clISt17integral_constantIbLb1EESZ_EEDaSU_SV_EUlSU_E_NS1_11comp_targetILNS1_3genE2ELNS1_11target_archE906ELNS1_3gpuE6ELNS1_3repE0EEENS1_30default_config_static_selectorELNS0_4arch9wavefront6targetE1EEEvT1_, .Lfunc_end619-_ZN7rocprim17ROCPRIM_400000_NS6detail17trampoline_kernelINS0_14default_configENS1_27scan_by_key_config_selectorIssEEZZNS1_16scan_by_key_implILNS1_25lookback_scan_determinismE0ELb1ES3_N6thrust23THRUST_200600_302600_NS6detail15normal_iteratorINS9_10device_ptrIsEEEESE_SE_sNS9_10multipliesIsEENS9_8equal_toIsEEsEE10hipError_tPvRmT2_T3_T4_T5_mT6_T7_P12ihipStream_tbENKUlT_T0_E_clISt17integral_constantIbLb1EESZ_EEDaSU_SV_EUlSU_E_NS1_11comp_targetILNS1_3genE2ELNS1_11target_archE906ELNS1_3gpuE6ELNS1_3repE0EEENS1_30default_config_static_selectorELNS0_4arch9wavefront6targetE1EEEvT1_
                                        ; -- End function
	.section	.AMDGPU.csdata,"",@progbits
; Kernel info:
; codeLenInByte = 0
; NumSgprs: 4
; NumVgprs: 0
; NumAgprs: 0
; TotalNumVgprs: 0
; ScratchSize: 0
; MemoryBound: 0
; FloatMode: 240
; IeeeMode: 1
; LDSByteSize: 0 bytes/workgroup (compile time only)
; SGPRBlocks: 0
; VGPRBlocks: 0
; NumSGPRsForWavesPerEU: 4
; NumVGPRsForWavesPerEU: 1
; AccumOffset: 4
; Occupancy: 8
; WaveLimiterHint : 0
; COMPUTE_PGM_RSRC2:SCRATCH_EN: 0
; COMPUTE_PGM_RSRC2:USER_SGPR: 6
; COMPUTE_PGM_RSRC2:TRAP_HANDLER: 0
; COMPUTE_PGM_RSRC2:TGID_X_EN: 1
; COMPUTE_PGM_RSRC2:TGID_Y_EN: 0
; COMPUTE_PGM_RSRC2:TGID_Z_EN: 0
; COMPUTE_PGM_RSRC2:TIDIG_COMP_CNT: 0
; COMPUTE_PGM_RSRC3_GFX90A:ACCUM_OFFSET: 0
; COMPUTE_PGM_RSRC3_GFX90A:TG_SPLIT: 0
	.section	.text._ZN7rocprim17ROCPRIM_400000_NS6detail17trampoline_kernelINS0_14default_configENS1_27scan_by_key_config_selectorIssEEZZNS1_16scan_by_key_implILNS1_25lookback_scan_determinismE0ELb1ES3_N6thrust23THRUST_200600_302600_NS6detail15normal_iteratorINS9_10device_ptrIsEEEESE_SE_sNS9_10multipliesIsEENS9_8equal_toIsEEsEE10hipError_tPvRmT2_T3_T4_T5_mT6_T7_P12ihipStream_tbENKUlT_T0_E_clISt17integral_constantIbLb1EESZ_EEDaSU_SV_EUlSU_E_NS1_11comp_targetILNS1_3genE10ELNS1_11target_archE1200ELNS1_3gpuE4ELNS1_3repE0EEENS1_30default_config_static_selectorELNS0_4arch9wavefront6targetE1EEEvT1_,"axG",@progbits,_ZN7rocprim17ROCPRIM_400000_NS6detail17trampoline_kernelINS0_14default_configENS1_27scan_by_key_config_selectorIssEEZZNS1_16scan_by_key_implILNS1_25lookback_scan_determinismE0ELb1ES3_N6thrust23THRUST_200600_302600_NS6detail15normal_iteratorINS9_10device_ptrIsEEEESE_SE_sNS9_10multipliesIsEENS9_8equal_toIsEEsEE10hipError_tPvRmT2_T3_T4_T5_mT6_T7_P12ihipStream_tbENKUlT_T0_E_clISt17integral_constantIbLb1EESZ_EEDaSU_SV_EUlSU_E_NS1_11comp_targetILNS1_3genE10ELNS1_11target_archE1200ELNS1_3gpuE4ELNS1_3repE0EEENS1_30default_config_static_selectorELNS0_4arch9wavefront6targetE1EEEvT1_,comdat
	.protected	_ZN7rocprim17ROCPRIM_400000_NS6detail17trampoline_kernelINS0_14default_configENS1_27scan_by_key_config_selectorIssEEZZNS1_16scan_by_key_implILNS1_25lookback_scan_determinismE0ELb1ES3_N6thrust23THRUST_200600_302600_NS6detail15normal_iteratorINS9_10device_ptrIsEEEESE_SE_sNS9_10multipliesIsEENS9_8equal_toIsEEsEE10hipError_tPvRmT2_T3_T4_T5_mT6_T7_P12ihipStream_tbENKUlT_T0_E_clISt17integral_constantIbLb1EESZ_EEDaSU_SV_EUlSU_E_NS1_11comp_targetILNS1_3genE10ELNS1_11target_archE1200ELNS1_3gpuE4ELNS1_3repE0EEENS1_30default_config_static_selectorELNS0_4arch9wavefront6targetE1EEEvT1_ ; -- Begin function _ZN7rocprim17ROCPRIM_400000_NS6detail17trampoline_kernelINS0_14default_configENS1_27scan_by_key_config_selectorIssEEZZNS1_16scan_by_key_implILNS1_25lookback_scan_determinismE0ELb1ES3_N6thrust23THRUST_200600_302600_NS6detail15normal_iteratorINS9_10device_ptrIsEEEESE_SE_sNS9_10multipliesIsEENS9_8equal_toIsEEsEE10hipError_tPvRmT2_T3_T4_T5_mT6_T7_P12ihipStream_tbENKUlT_T0_E_clISt17integral_constantIbLb1EESZ_EEDaSU_SV_EUlSU_E_NS1_11comp_targetILNS1_3genE10ELNS1_11target_archE1200ELNS1_3gpuE4ELNS1_3repE0EEENS1_30default_config_static_selectorELNS0_4arch9wavefront6targetE1EEEvT1_
	.globl	_ZN7rocprim17ROCPRIM_400000_NS6detail17trampoline_kernelINS0_14default_configENS1_27scan_by_key_config_selectorIssEEZZNS1_16scan_by_key_implILNS1_25lookback_scan_determinismE0ELb1ES3_N6thrust23THRUST_200600_302600_NS6detail15normal_iteratorINS9_10device_ptrIsEEEESE_SE_sNS9_10multipliesIsEENS9_8equal_toIsEEsEE10hipError_tPvRmT2_T3_T4_T5_mT6_T7_P12ihipStream_tbENKUlT_T0_E_clISt17integral_constantIbLb1EESZ_EEDaSU_SV_EUlSU_E_NS1_11comp_targetILNS1_3genE10ELNS1_11target_archE1200ELNS1_3gpuE4ELNS1_3repE0EEENS1_30default_config_static_selectorELNS0_4arch9wavefront6targetE1EEEvT1_
	.p2align	8
	.type	_ZN7rocprim17ROCPRIM_400000_NS6detail17trampoline_kernelINS0_14default_configENS1_27scan_by_key_config_selectorIssEEZZNS1_16scan_by_key_implILNS1_25lookback_scan_determinismE0ELb1ES3_N6thrust23THRUST_200600_302600_NS6detail15normal_iteratorINS9_10device_ptrIsEEEESE_SE_sNS9_10multipliesIsEENS9_8equal_toIsEEsEE10hipError_tPvRmT2_T3_T4_T5_mT6_T7_P12ihipStream_tbENKUlT_T0_E_clISt17integral_constantIbLb1EESZ_EEDaSU_SV_EUlSU_E_NS1_11comp_targetILNS1_3genE10ELNS1_11target_archE1200ELNS1_3gpuE4ELNS1_3repE0EEENS1_30default_config_static_selectorELNS0_4arch9wavefront6targetE1EEEvT1_,@function
_ZN7rocprim17ROCPRIM_400000_NS6detail17trampoline_kernelINS0_14default_configENS1_27scan_by_key_config_selectorIssEEZZNS1_16scan_by_key_implILNS1_25lookback_scan_determinismE0ELb1ES3_N6thrust23THRUST_200600_302600_NS6detail15normal_iteratorINS9_10device_ptrIsEEEESE_SE_sNS9_10multipliesIsEENS9_8equal_toIsEEsEE10hipError_tPvRmT2_T3_T4_T5_mT6_T7_P12ihipStream_tbENKUlT_T0_E_clISt17integral_constantIbLb1EESZ_EEDaSU_SV_EUlSU_E_NS1_11comp_targetILNS1_3genE10ELNS1_11target_archE1200ELNS1_3gpuE4ELNS1_3repE0EEENS1_30default_config_static_selectorELNS0_4arch9wavefront6targetE1EEEvT1_: ; @_ZN7rocprim17ROCPRIM_400000_NS6detail17trampoline_kernelINS0_14default_configENS1_27scan_by_key_config_selectorIssEEZZNS1_16scan_by_key_implILNS1_25lookback_scan_determinismE0ELb1ES3_N6thrust23THRUST_200600_302600_NS6detail15normal_iteratorINS9_10device_ptrIsEEEESE_SE_sNS9_10multipliesIsEENS9_8equal_toIsEEsEE10hipError_tPvRmT2_T3_T4_T5_mT6_T7_P12ihipStream_tbENKUlT_T0_E_clISt17integral_constantIbLb1EESZ_EEDaSU_SV_EUlSU_E_NS1_11comp_targetILNS1_3genE10ELNS1_11target_archE1200ELNS1_3gpuE4ELNS1_3repE0EEENS1_30default_config_static_selectorELNS0_4arch9wavefront6targetE1EEEvT1_
; %bb.0:
	.section	.rodata,"a",@progbits
	.p2align	6, 0x0
	.amdhsa_kernel _ZN7rocprim17ROCPRIM_400000_NS6detail17trampoline_kernelINS0_14default_configENS1_27scan_by_key_config_selectorIssEEZZNS1_16scan_by_key_implILNS1_25lookback_scan_determinismE0ELb1ES3_N6thrust23THRUST_200600_302600_NS6detail15normal_iteratorINS9_10device_ptrIsEEEESE_SE_sNS9_10multipliesIsEENS9_8equal_toIsEEsEE10hipError_tPvRmT2_T3_T4_T5_mT6_T7_P12ihipStream_tbENKUlT_T0_E_clISt17integral_constantIbLb1EESZ_EEDaSU_SV_EUlSU_E_NS1_11comp_targetILNS1_3genE10ELNS1_11target_archE1200ELNS1_3gpuE4ELNS1_3repE0EEENS1_30default_config_static_selectorELNS0_4arch9wavefront6targetE1EEEvT1_
		.amdhsa_group_segment_fixed_size 0
		.amdhsa_private_segment_fixed_size 0
		.amdhsa_kernarg_size 112
		.amdhsa_user_sgpr_count 6
		.amdhsa_user_sgpr_private_segment_buffer 1
		.amdhsa_user_sgpr_dispatch_ptr 0
		.amdhsa_user_sgpr_queue_ptr 0
		.amdhsa_user_sgpr_kernarg_segment_ptr 1
		.amdhsa_user_sgpr_dispatch_id 0
		.amdhsa_user_sgpr_flat_scratch_init 0
		.amdhsa_user_sgpr_kernarg_preload_length 0
		.amdhsa_user_sgpr_kernarg_preload_offset 0
		.amdhsa_user_sgpr_private_segment_size 0
		.amdhsa_uses_dynamic_stack 0
		.amdhsa_system_sgpr_private_segment_wavefront_offset 0
		.amdhsa_system_sgpr_workgroup_id_x 1
		.amdhsa_system_sgpr_workgroup_id_y 0
		.amdhsa_system_sgpr_workgroup_id_z 0
		.amdhsa_system_sgpr_workgroup_info 0
		.amdhsa_system_vgpr_workitem_id 0
		.amdhsa_next_free_vgpr 1
		.amdhsa_next_free_sgpr 0
		.amdhsa_accum_offset 4
		.amdhsa_reserve_vcc 0
		.amdhsa_reserve_flat_scratch 0
		.amdhsa_float_round_mode_32 0
		.amdhsa_float_round_mode_16_64 0
		.amdhsa_float_denorm_mode_32 3
		.amdhsa_float_denorm_mode_16_64 3
		.amdhsa_dx10_clamp 1
		.amdhsa_ieee_mode 1
		.amdhsa_fp16_overflow 0
		.amdhsa_tg_split 0
		.amdhsa_exception_fp_ieee_invalid_op 0
		.amdhsa_exception_fp_denorm_src 0
		.amdhsa_exception_fp_ieee_div_zero 0
		.amdhsa_exception_fp_ieee_overflow 0
		.amdhsa_exception_fp_ieee_underflow 0
		.amdhsa_exception_fp_ieee_inexact 0
		.amdhsa_exception_int_div_zero 0
	.end_amdhsa_kernel
	.section	.text._ZN7rocprim17ROCPRIM_400000_NS6detail17trampoline_kernelINS0_14default_configENS1_27scan_by_key_config_selectorIssEEZZNS1_16scan_by_key_implILNS1_25lookback_scan_determinismE0ELb1ES3_N6thrust23THRUST_200600_302600_NS6detail15normal_iteratorINS9_10device_ptrIsEEEESE_SE_sNS9_10multipliesIsEENS9_8equal_toIsEEsEE10hipError_tPvRmT2_T3_T4_T5_mT6_T7_P12ihipStream_tbENKUlT_T0_E_clISt17integral_constantIbLb1EESZ_EEDaSU_SV_EUlSU_E_NS1_11comp_targetILNS1_3genE10ELNS1_11target_archE1200ELNS1_3gpuE4ELNS1_3repE0EEENS1_30default_config_static_selectorELNS0_4arch9wavefront6targetE1EEEvT1_,"axG",@progbits,_ZN7rocprim17ROCPRIM_400000_NS6detail17trampoline_kernelINS0_14default_configENS1_27scan_by_key_config_selectorIssEEZZNS1_16scan_by_key_implILNS1_25lookback_scan_determinismE0ELb1ES3_N6thrust23THRUST_200600_302600_NS6detail15normal_iteratorINS9_10device_ptrIsEEEESE_SE_sNS9_10multipliesIsEENS9_8equal_toIsEEsEE10hipError_tPvRmT2_T3_T4_T5_mT6_T7_P12ihipStream_tbENKUlT_T0_E_clISt17integral_constantIbLb1EESZ_EEDaSU_SV_EUlSU_E_NS1_11comp_targetILNS1_3genE10ELNS1_11target_archE1200ELNS1_3gpuE4ELNS1_3repE0EEENS1_30default_config_static_selectorELNS0_4arch9wavefront6targetE1EEEvT1_,comdat
.Lfunc_end620:
	.size	_ZN7rocprim17ROCPRIM_400000_NS6detail17trampoline_kernelINS0_14default_configENS1_27scan_by_key_config_selectorIssEEZZNS1_16scan_by_key_implILNS1_25lookback_scan_determinismE0ELb1ES3_N6thrust23THRUST_200600_302600_NS6detail15normal_iteratorINS9_10device_ptrIsEEEESE_SE_sNS9_10multipliesIsEENS9_8equal_toIsEEsEE10hipError_tPvRmT2_T3_T4_T5_mT6_T7_P12ihipStream_tbENKUlT_T0_E_clISt17integral_constantIbLb1EESZ_EEDaSU_SV_EUlSU_E_NS1_11comp_targetILNS1_3genE10ELNS1_11target_archE1200ELNS1_3gpuE4ELNS1_3repE0EEENS1_30default_config_static_selectorELNS0_4arch9wavefront6targetE1EEEvT1_, .Lfunc_end620-_ZN7rocprim17ROCPRIM_400000_NS6detail17trampoline_kernelINS0_14default_configENS1_27scan_by_key_config_selectorIssEEZZNS1_16scan_by_key_implILNS1_25lookback_scan_determinismE0ELb1ES3_N6thrust23THRUST_200600_302600_NS6detail15normal_iteratorINS9_10device_ptrIsEEEESE_SE_sNS9_10multipliesIsEENS9_8equal_toIsEEsEE10hipError_tPvRmT2_T3_T4_T5_mT6_T7_P12ihipStream_tbENKUlT_T0_E_clISt17integral_constantIbLb1EESZ_EEDaSU_SV_EUlSU_E_NS1_11comp_targetILNS1_3genE10ELNS1_11target_archE1200ELNS1_3gpuE4ELNS1_3repE0EEENS1_30default_config_static_selectorELNS0_4arch9wavefront6targetE1EEEvT1_
                                        ; -- End function
	.section	.AMDGPU.csdata,"",@progbits
; Kernel info:
; codeLenInByte = 0
; NumSgprs: 4
; NumVgprs: 0
; NumAgprs: 0
; TotalNumVgprs: 0
; ScratchSize: 0
; MemoryBound: 0
; FloatMode: 240
; IeeeMode: 1
; LDSByteSize: 0 bytes/workgroup (compile time only)
; SGPRBlocks: 0
; VGPRBlocks: 0
; NumSGPRsForWavesPerEU: 4
; NumVGPRsForWavesPerEU: 1
; AccumOffset: 4
; Occupancy: 8
; WaveLimiterHint : 0
; COMPUTE_PGM_RSRC2:SCRATCH_EN: 0
; COMPUTE_PGM_RSRC2:USER_SGPR: 6
; COMPUTE_PGM_RSRC2:TRAP_HANDLER: 0
; COMPUTE_PGM_RSRC2:TGID_X_EN: 1
; COMPUTE_PGM_RSRC2:TGID_Y_EN: 0
; COMPUTE_PGM_RSRC2:TGID_Z_EN: 0
; COMPUTE_PGM_RSRC2:TIDIG_COMP_CNT: 0
; COMPUTE_PGM_RSRC3_GFX90A:ACCUM_OFFSET: 0
; COMPUTE_PGM_RSRC3_GFX90A:TG_SPLIT: 0
	.section	.text._ZN7rocprim17ROCPRIM_400000_NS6detail17trampoline_kernelINS0_14default_configENS1_27scan_by_key_config_selectorIssEEZZNS1_16scan_by_key_implILNS1_25lookback_scan_determinismE0ELb1ES3_N6thrust23THRUST_200600_302600_NS6detail15normal_iteratorINS9_10device_ptrIsEEEESE_SE_sNS9_10multipliesIsEENS9_8equal_toIsEEsEE10hipError_tPvRmT2_T3_T4_T5_mT6_T7_P12ihipStream_tbENKUlT_T0_E_clISt17integral_constantIbLb1EESZ_EEDaSU_SV_EUlSU_E_NS1_11comp_targetILNS1_3genE9ELNS1_11target_archE1100ELNS1_3gpuE3ELNS1_3repE0EEENS1_30default_config_static_selectorELNS0_4arch9wavefront6targetE1EEEvT1_,"axG",@progbits,_ZN7rocprim17ROCPRIM_400000_NS6detail17trampoline_kernelINS0_14default_configENS1_27scan_by_key_config_selectorIssEEZZNS1_16scan_by_key_implILNS1_25lookback_scan_determinismE0ELb1ES3_N6thrust23THRUST_200600_302600_NS6detail15normal_iteratorINS9_10device_ptrIsEEEESE_SE_sNS9_10multipliesIsEENS9_8equal_toIsEEsEE10hipError_tPvRmT2_T3_T4_T5_mT6_T7_P12ihipStream_tbENKUlT_T0_E_clISt17integral_constantIbLb1EESZ_EEDaSU_SV_EUlSU_E_NS1_11comp_targetILNS1_3genE9ELNS1_11target_archE1100ELNS1_3gpuE3ELNS1_3repE0EEENS1_30default_config_static_selectorELNS0_4arch9wavefront6targetE1EEEvT1_,comdat
	.protected	_ZN7rocprim17ROCPRIM_400000_NS6detail17trampoline_kernelINS0_14default_configENS1_27scan_by_key_config_selectorIssEEZZNS1_16scan_by_key_implILNS1_25lookback_scan_determinismE0ELb1ES3_N6thrust23THRUST_200600_302600_NS6detail15normal_iteratorINS9_10device_ptrIsEEEESE_SE_sNS9_10multipliesIsEENS9_8equal_toIsEEsEE10hipError_tPvRmT2_T3_T4_T5_mT6_T7_P12ihipStream_tbENKUlT_T0_E_clISt17integral_constantIbLb1EESZ_EEDaSU_SV_EUlSU_E_NS1_11comp_targetILNS1_3genE9ELNS1_11target_archE1100ELNS1_3gpuE3ELNS1_3repE0EEENS1_30default_config_static_selectorELNS0_4arch9wavefront6targetE1EEEvT1_ ; -- Begin function _ZN7rocprim17ROCPRIM_400000_NS6detail17trampoline_kernelINS0_14default_configENS1_27scan_by_key_config_selectorIssEEZZNS1_16scan_by_key_implILNS1_25lookback_scan_determinismE0ELb1ES3_N6thrust23THRUST_200600_302600_NS6detail15normal_iteratorINS9_10device_ptrIsEEEESE_SE_sNS9_10multipliesIsEENS9_8equal_toIsEEsEE10hipError_tPvRmT2_T3_T4_T5_mT6_T7_P12ihipStream_tbENKUlT_T0_E_clISt17integral_constantIbLb1EESZ_EEDaSU_SV_EUlSU_E_NS1_11comp_targetILNS1_3genE9ELNS1_11target_archE1100ELNS1_3gpuE3ELNS1_3repE0EEENS1_30default_config_static_selectorELNS0_4arch9wavefront6targetE1EEEvT1_
	.globl	_ZN7rocprim17ROCPRIM_400000_NS6detail17trampoline_kernelINS0_14default_configENS1_27scan_by_key_config_selectorIssEEZZNS1_16scan_by_key_implILNS1_25lookback_scan_determinismE0ELb1ES3_N6thrust23THRUST_200600_302600_NS6detail15normal_iteratorINS9_10device_ptrIsEEEESE_SE_sNS9_10multipliesIsEENS9_8equal_toIsEEsEE10hipError_tPvRmT2_T3_T4_T5_mT6_T7_P12ihipStream_tbENKUlT_T0_E_clISt17integral_constantIbLb1EESZ_EEDaSU_SV_EUlSU_E_NS1_11comp_targetILNS1_3genE9ELNS1_11target_archE1100ELNS1_3gpuE3ELNS1_3repE0EEENS1_30default_config_static_selectorELNS0_4arch9wavefront6targetE1EEEvT1_
	.p2align	8
	.type	_ZN7rocprim17ROCPRIM_400000_NS6detail17trampoline_kernelINS0_14default_configENS1_27scan_by_key_config_selectorIssEEZZNS1_16scan_by_key_implILNS1_25lookback_scan_determinismE0ELb1ES3_N6thrust23THRUST_200600_302600_NS6detail15normal_iteratorINS9_10device_ptrIsEEEESE_SE_sNS9_10multipliesIsEENS9_8equal_toIsEEsEE10hipError_tPvRmT2_T3_T4_T5_mT6_T7_P12ihipStream_tbENKUlT_T0_E_clISt17integral_constantIbLb1EESZ_EEDaSU_SV_EUlSU_E_NS1_11comp_targetILNS1_3genE9ELNS1_11target_archE1100ELNS1_3gpuE3ELNS1_3repE0EEENS1_30default_config_static_selectorELNS0_4arch9wavefront6targetE1EEEvT1_,@function
_ZN7rocprim17ROCPRIM_400000_NS6detail17trampoline_kernelINS0_14default_configENS1_27scan_by_key_config_selectorIssEEZZNS1_16scan_by_key_implILNS1_25lookback_scan_determinismE0ELb1ES3_N6thrust23THRUST_200600_302600_NS6detail15normal_iteratorINS9_10device_ptrIsEEEESE_SE_sNS9_10multipliesIsEENS9_8equal_toIsEEsEE10hipError_tPvRmT2_T3_T4_T5_mT6_T7_P12ihipStream_tbENKUlT_T0_E_clISt17integral_constantIbLb1EESZ_EEDaSU_SV_EUlSU_E_NS1_11comp_targetILNS1_3genE9ELNS1_11target_archE1100ELNS1_3gpuE3ELNS1_3repE0EEENS1_30default_config_static_selectorELNS0_4arch9wavefront6targetE1EEEvT1_: ; @_ZN7rocprim17ROCPRIM_400000_NS6detail17trampoline_kernelINS0_14default_configENS1_27scan_by_key_config_selectorIssEEZZNS1_16scan_by_key_implILNS1_25lookback_scan_determinismE0ELb1ES3_N6thrust23THRUST_200600_302600_NS6detail15normal_iteratorINS9_10device_ptrIsEEEESE_SE_sNS9_10multipliesIsEENS9_8equal_toIsEEsEE10hipError_tPvRmT2_T3_T4_T5_mT6_T7_P12ihipStream_tbENKUlT_T0_E_clISt17integral_constantIbLb1EESZ_EEDaSU_SV_EUlSU_E_NS1_11comp_targetILNS1_3genE9ELNS1_11target_archE1100ELNS1_3gpuE3ELNS1_3repE0EEENS1_30default_config_static_selectorELNS0_4arch9wavefront6targetE1EEEvT1_
; %bb.0:
	.section	.rodata,"a",@progbits
	.p2align	6, 0x0
	.amdhsa_kernel _ZN7rocprim17ROCPRIM_400000_NS6detail17trampoline_kernelINS0_14default_configENS1_27scan_by_key_config_selectorIssEEZZNS1_16scan_by_key_implILNS1_25lookback_scan_determinismE0ELb1ES3_N6thrust23THRUST_200600_302600_NS6detail15normal_iteratorINS9_10device_ptrIsEEEESE_SE_sNS9_10multipliesIsEENS9_8equal_toIsEEsEE10hipError_tPvRmT2_T3_T4_T5_mT6_T7_P12ihipStream_tbENKUlT_T0_E_clISt17integral_constantIbLb1EESZ_EEDaSU_SV_EUlSU_E_NS1_11comp_targetILNS1_3genE9ELNS1_11target_archE1100ELNS1_3gpuE3ELNS1_3repE0EEENS1_30default_config_static_selectorELNS0_4arch9wavefront6targetE1EEEvT1_
		.amdhsa_group_segment_fixed_size 0
		.amdhsa_private_segment_fixed_size 0
		.amdhsa_kernarg_size 112
		.amdhsa_user_sgpr_count 6
		.amdhsa_user_sgpr_private_segment_buffer 1
		.amdhsa_user_sgpr_dispatch_ptr 0
		.amdhsa_user_sgpr_queue_ptr 0
		.amdhsa_user_sgpr_kernarg_segment_ptr 1
		.amdhsa_user_sgpr_dispatch_id 0
		.amdhsa_user_sgpr_flat_scratch_init 0
		.amdhsa_user_sgpr_kernarg_preload_length 0
		.amdhsa_user_sgpr_kernarg_preload_offset 0
		.amdhsa_user_sgpr_private_segment_size 0
		.amdhsa_uses_dynamic_stack 0
		.amdhsa_system_sgpr_private_segment_wavefront_offset 0
		.amdhsa_system_sgpr_workgroup_id_x 1
		.amdhsa_system_sgpr_workgroup_id_y 0
		.amdhsa_system_sgpr_workgroup_id_z 0
		.amdhsa_system_sgpr_workgroup_info 0
		.amdhsa_system_vgpr_workitem_id 0
		.amdhsa_next_free_vgpr 1
		.amdhsa_next_free_sgpr 0
		.amdhsa_accum_offset 4
		.amdhsa_reserve_vcc 0
		.amdhsa_reserve_flat_scratch 0
		.amdhsa_float_round_mode_32 0
		.amdhsa_float_round_mode_16_64 0
		.amdhsa_float_denorm_mode_32 3
		.amdhsa_float_denorm_mode_16_64 3
		.amdhsa_dx10_clamp 1
		.amdhsa_ieee_mode 1
		.amdhsa_fp16_overflow 0
		.amdhsa_tg_split 0
		.amdhsa_exception_fp_ieee_invalid_op 0
		.amdhsa_exception_fp_denorm_src 0
		.amdhsa_exception_fp_ieee_div_zero 0
		.amdhsa_exception_fp_ieee_overflow 0
		.amdhsa_exception_fp_ieee_underflow 0
		.amdhsa_exception_fp_ieee_inexact 0
		.amdhsa_exception_int_div_zero 0
	.end_amdhsa_kernel
	.section	.text._ZN7rocprim17ROCPRIM_400000_NS6detail17trampoline_kernelINS0_14default_configENS1_27scan_by_key_config_selectorIssEEZZNS1_16scan_by_key_implILNS1_25lookback_scan_determinismE0ELb1ES3_N6thrust23THRUST_200600_302600_NS6detail15normal_iteratorINS9_10device_ptrIsEEEESE_SE_sNS9_10multipliesIsEENS9_8equal_toIsEEsEE10hipError_tPvRmT2_T3_T4_T5_mT6_T7_P12ihipStream_tbENKUlT_T0_E_clISt17integral_constantIbLb1EESZ_EEDaSU_SV_EUlSU_E_NS1_11comp_targetILNS1_3genE9ELNS1_11target_archE1100ELNS1_3gpuE3ELNS1_3repE0EEENS1_30default_config_static_selectorELNS0_4arch9wavefront6targetE1EEEvT1_,"axG",@progbits,_ZN7rocprim17ROCPRIM_400000_NS6detail17trampoline_kernelINS0_14default_configENS1_27scan_by_key_config_selectorIssEEZZNS1_16scan_by_key_implILNS1_25lookback_scan_determinismE0ELb1ES3_N6thrust23THRUST_200600_302600_NS6detail15normal_iteratorINS9_10device_ptrIsEEEESE_SE_sNS9_10multipliesIsEENS9_8equal_toIsEEsEE10hipError_tPvRmT2_T3_T4_T5_mT6_T7_P12ihipStream_tbENKUlT_T0_E_clISt17integral_constantIbLb1EESZ_EEDaSU_SV_EUlSU_E_NS1_11comp_targetILNS1_3genE9ELNS1_11target_archE1100ELNS1_3gpuE3ELNS1_3repE0EEENS1_30default_config_static_selectorELNS0_4arch9wavefront6targetE1EEEvT1_,comdat
.Lfunc_end621:
	.size	_ZN7rocprim17ROCPRIM_400000_NS6detail17trampoline_kernelINS0_14default_configENS1_27scan_by_key_config_selectorIssEEZZNS1_16scan_by_key_implILNS1_25lookback_scan_determinismE0ELb1ES3_N6thrust23THRUST_200600_302600_NS6detail15normal_iteratorINS9_10device_ptrIsEEEESE_SE_sNS9_10multipliesIsEENS9_8equal_toIsEEsEE10hipError_tPvRmT2_T3_T4_T5_mT6_T7_P12ihipStream_tbENKUlT_T0_E_clISt17integral_constantIbLb1EESZ_EEDaSU_SV_EUlSU_E_NS1_11comp_targetILNS1_3genE9ELNS1_11target_archE1100ELNS1_3gpuE3ELNS1_3repE0EEENS1_30default_config_static_selectorELNS0_4arch9wavefront6targetE1EEEvT1_, .Lfunc_end621-_ZN7rocprim17ROCPRIM_400000_NS6detail17trampoline_kernelINS0_14default_configENS1_27scan_by_key_config_selectorIssEEZZNS1_16scan_by_key_implILNS1_25lookback_scan_determinismE0ELb1ES3_N6thrust23THRUST_200600_302600_NS6detail15normal_iteratorINS9_10device_ptrIsEEEESE_SE_sNS9_10multipliesIsEENS9_8equal_toIsEEsEE10hipError_tPvRmT2_T3_T4_T5_mT6_T7_P12ihipStream_tbENKUlT_T0_E_clISt17integral_constantIbLb1EESZ_EEDaSU_SV_EUlSU_E_NS1_11comp_targetILNS1_3genE9ELNS1_11target_archE1100ELNS1_3gpuE3ELNS1_3repE0EEENS1_30default_config_static_selectorELNS0_4arch9wavefront6targetE1EEEvT1_
                                        ; -- End function
	.section	.AMDGPU.csdata,"",@progbits
; Kernel info:
; codeLenInByte = 0
; NumSgprs: 4
; NumVgprs: 0
; NumAgprs: 0
; TotalNumVgprs: 0
; ScratchSize: 0
; MemoryBound: 0
; FloatMode: 240
; IeeeMode: 1
; LDSByteSize: 0 bytes/workgroup (compile time only)
; SGPRBlocks: 0
; VGPRBlocks: 0
; NumSGPRsForWavesPerEU: 4
; NumVGPRsForWavesPerEU: 1
; AccumOffset: 4
; Occupancy: 8
; WaveLimiterHint : 0
; COMPUTE_PGM_RSRC2:SCRATCH_EN: 0
; COMPUTE_PGM_RSRC2:USER_SGPR: 6
; COMPUTE_PGM_RSRC2:TRAP_HANDLER: 0
; COMPUTE_PGM_RSRC2:TGID_X_EN: 1
; COMPUTE_PGM_RSRC2:TGID_Y_EN: 0
; COMPUTE_PGM_RSRC2:TGID_Z_EN: 0
; COMPUTE_PGM_RSRC2:TIDIG_COMP_CNT: 0
; COMPUTE_PGM_RSRC3_GFX90A:ACCUM_OFFSET: 0
; COMPUTE_PGM_RSRC3_GFX90A:TG_SPLIT: 0
	.section	.text._ZN7rocprim17ROCPRIM_400000_NS6detail17trampoline_kernelINS0_14default_configENS1_27scan_by_key_config_selectorIssEEZZNS1_16scan_by_key_implILNS1_25lookback_scan_determinismE0ELb1ES3_N6thrust23THRUST_200600_302600_NS6detail15normal_iteratorINS9_10device_ptrIsEEEESE_SE_sNS9_10multipliesIsEENS9_8equal_toIsEEsEE10hipError_tPvRmT2_T3_T4_T5_mT6_T7_P12ihipStream_tbENKUlT_T0_E_clISt17integral_constantIbLb1EESZ_EEDaSU_SV_EUlSU_E_NS1_11comp_targetILNS1_3genE8ELNS1_11target_archE1030ELNS1_3gpuE2ELNS1_3repE0EEENS1_30default_config_static_selectorELNS0_4arch9wavefront6targetE1EEEvT1_,"axG",@progbits,_ZN7rocprim17ROCPRIM_400000_NS6detail17trampoline_kernelINS0_14default_configENS1_27scan_by_key_config_selectorIssEEZZNS1_16scan_by_key_implILNS1_25lookback_scan_determinismE0ELb1ES3_N6thrust23THRUST_200600_302600_NS6detail15normal_iteratorINS9_10device_ptrIsEEEESE_SE_sNS9_10multipliesIsEENS9_8equal_toIsEEsEE10hipError_tPvRmT2_T3_T4_T5_mT6_T7_P12ihipStream_tbENKUlT_T0_E_clISt17integral_constantIbLb1EESZ_EEDaSU_SV_EUlSU_E_NS1_11comp_targetILNS1_3genE8ELNS1_11target_archE1030ELNS1_3gpuE2ELNS1_3repE0EEENS1_30default_config_static_selectorELNS0_4arch9wavefront6targetE1EEEvT1_,comdat
	.protected	_ZN7rocprim17ROCPRIM_400000_NS6detail17trampoline_kernelINS0_14default_configENS1_27scan_by_key_config_selectorIssEEZZNS1_16scan_by_key_implILNS1_25lookback_scan_determinismE0ELb1ES3_N6thrust23THRUST_200600_302600_NS6detail15normal_iteratorINS9_10device_ptrIsEEEESE_SE_sNS9_10multipliesIsEENS9_8equal_toIsEEsEE10hipError_tPvRmT2_T3_T4_T5_mT6_T7_P12ihipStream_tbENKUlT_T0_E_clISt17integral_constantIbLb1EESZ_EEDaSU_SV_EUlSU_E_NS1_11comp_targetILNS1_3genE8ELNS1_11target_archE1030ELNS1_3gpuE2ELNS1_3repE0EEENS1_30default_config_static_selectorELNS0_4arch9wavefront6targetE1EEEvT1_ ; -- Begin function _ZN7rocprim17ROCPRIM_400000_NS6detail17trampoline_kernelINS0_14default_configENS1_27scan_by_key_config_selectorIssEEZZNS1_16scan_by_key_implILNS1_25lookback_scan_determinismE0ELb1ES3_N6thrust23THRUST_200600_302600_NS6detail15normal_iteratorINS9_10device_ptrIsEEEESE_SE_sNS9_10multipliesIsEENS9_8equal_toIsEEsEE10hipError_tPvRmT2_T3_T4_T5_mT6_T7_P12ihipStream_tbENKUlT_T0_E_clISt17integral_constantIbLb1EESZ_EEDaSU_SV_EUlSU_E_NS1_11comp_targetILNS1_3genE8ELNS1_11target_archE1030ELNS1_3gpuE2ELNS1_3repE0EEENS1_30default_config_static_selectorELNS0_4arch9wavefront6targetE1EEEvT1_
	.globl	_ZN7rocprim17ROCPRIM_400000_NS6detail17trampoline_kernelINS0_14default_configENS1_27scan_by_key_config_selectorIssEEZZNS1_16scan_by_key_implILNS1_25lookback_scan_determinismE0ELb1ES3_N6thrust23THRUST_200600_302600_NS6detail15normal_iteratorINS9_10device_ptrIsEEEESE_SE_sNS9_10multipliesIsEENS9_8equal_toIsEEsEE10hipError_tPvRmT2_T3_T4_T5_mT6_T7_P12ihipStream_tbENKUlT_T0_E_clISt17integral_constantIbLb1EESZ_EEDaSU_SV_EUlSU_E_NS1_11comp_targetILNS1_3genE8ELNS1_11target_archE1030ELNS1_3gpuE2ELNS1_3repE0EEENS1_30default_config_static_selectorELNS0_4arch9wavefront6targetE1EEEvT1_
	.p2align	8
	.type	_ZN7rocprim17ROCPRIM_400000_NS6detail17trampoline_kernelINS0_14default_configENS1_27scan_by_key_config_selectorIssEEZZNS1_16scan_by_key_implILNS1_25lookback_scan_determinismE0ELb1ES3_N6thrust23THRUST_200600_302600_NS6detail15normal_iteratorINS9_10device_ptrIsEEEESE_SE_sNS9_10multipliesIsEENS9_8equal_toIsEEsEE10hipError_tPvRmT2_T3_T4_T5_mT6_T7_P12ihipStream_tbENKUlT_T0_E_clISt17integral_constantIbLb1EESZ_EEDaSU_SV_EUlSU_E_NS1_11comp_targetILNS1_3genE8ELNS1_11target_archE1030ELNS1_3gpuE2ELNS1_3repE0EEENS1_30default_config_static_selectorELNS0_4arch9wavefront6targetE1EEEvT1_,@function
_ZN7rocprim17ROCPRIM_400000_NS6detail17trampoline_kernelINS0_14default_configENS1_27scan_by_key_config_selectorIssEEZZNS1_16scan_by_key_implILNS1_25lookback_scan_determinismE0ELb1ES3_N6thrust23THRUST_200600_302600_NS6detail15normal_iteratorINS9_10device_ptrIsEEEESE_SE_sNS9_10multipliesIsEENS9_8equal_toIsEEsEE10hipError_tPvRmT2_T3_T4_T5_mT6_T7_P12ihipStream_tbENKUlT_T0_E_clISt17integral_constantIbLb1EESZ_EEDaSU_SV_EUlSU_E_NS1_11comp_targetILNS1_3genE8ELNS1_11target_archE1030ELNS1_3gpuE2ELNS1_3repE0EEENS1_30default_config_static_selectorELNS0_4arch9wavefront6targetE1EEEvT1_: ; @_ZN7rocprim17ROCPRIM_400000_NS6detail17trampoline_kernelINS0_14default_configENS1_27scan_by_key_config_selectorIssEEZZNS1_16scan_by_key_implILNS1_25lookback_scan_determinismE0ELb1ES3_N6thrust23THRUST_200600_302600_NS6detail15normal_iteratorINS9_10device_ptrIsEEEESE_SE_sNS9_10multipliesIsEENS9_8equal_toIsEEsEE10hipError_tPvRmT2_T3_T4_T5_mT6_T7_P12ihipStream_tbENKUlT_T0_E_clISt17integral_constantIbLb1EESZ_EEDaSU_SV_EUlSU_E_NS1_11comp_targetILNS1_3genE8ELNS1_11target_archE1030ELNS1_3gpuE2ELNS1_3repE0EEENS1_30default_config_static_selectorELNS0_4arch9wavefront6targetE1EEEvT1_
; %bb.0:
	.section	.rodata,"a",@progbits
	.p2align	6, 0x0
	.amdhsa_kernel _ZN7rocprim17ROCPRIM_400000_NS6detail17trampoline_kernelINS0_14default_configENS1_27scan_by_key_config_selectorIssEEZZNS1_16scan_by_key_implILNS1_25lookback_scan_determinismE0ELb1ES3_N6thrust23THRUST_200600_302600_NS6detail15normal_iteratorINS9_10device_ptrIsEEEESE_SE_sNS9_10multipliesIsEENS9_8equal_toIsEEsEE10hipError_tPvRmT2_T3_T4_T5_mT6_T7_P12ihipStream_tbENKUlT_T0_E_clISt17integral_constantIbLb1EESZ_EEDaSU_SV_EUlSU_E_NS1_11comp_targetILNS1_3genE8ELNS1_11target_archE1030ELNS1_3gpuE2ELNS1_3repE0EEENS1_30default_config_static_selectorELNS0_4arch9wavefront6targetE1EEEvT1_
		.amdhsa_group_segment_fixed_size 0
		.amdhsa_private_segment_fixed_size 0
		.amdhsa_kernarg_size 112
		.amdhsa_user_sgpr_count 6
		.amdhsa_user_sgpr_private_segment_buffer 1
		.amdhsa_user_sgpr_dispatch_ptr 0
		.amdhsa_user_sgpr_queue_ptr 0
		.amdhsa_user_sgpr_kernarg_segment_ptr 1
		.amdhsa_user_sgpr_dispatch_id 0
		.amdhsa_user_sgpr_flat_scratch_init 0
		.amdhsa_user_sgpr_kernarg_preload_length 0
		.amdhsa_user_sgpr_kernarg_preload_offset 0
		.amdhsa_user_sgpr_private_segment_size 0
		.amdhsa_uses_dynamic_stack 0
		.amdhsa_system_sgpr_private_segment_wavefront_offset 0
		.amdhsa_system_sgpr_workgroup_id_x 1
		.amdhsa_system_sgpr_workgroup_id_y 0
		.amdhsa_system_sgpr_workgroup_id_z 0
		.amdhsa_system_sgpr_workgroup_info 0
		.amdhsa_system_vgpr_workitem_id 0
		.amdhsa_next_free_vgpr 1
		.amdhsa_next_free_sgpr 0
		.amdhsa_accum_offset 4
		.amdhsa_reserve_vcc 0
		.amdhsa_reserve_flat_scratch 0
		.amdhsa_float_round_mode_32 0
		.amdhsa_float_round_mode_16_64 0
		.amdhsa_float_denorm_mode_32 3
		.amdhsa_float_denorm_mode_16_64 3
		.amdhsa_dx10_clamp 1
		.amdhsa_ieee_mode 1
		.amdhsa_fp16_overflow 0
		.amdhsa_tg_split 0
		.amdhsa_exception_fp_ieee_invalid_op 0
		.amdhsa_exception_fp_denorm_src 0
		.amdhsa_exception_fp_ieee_div_zero 0
		.amdhsa_exception_fp_ieee_overflow 0
		.amdhsa_exception_fp_ieee_underflow 0
		.amdhsa_exception_fp_ieee_inexact 0
		.amdhsa_exception_int_div_zero 0
	.end_amdhsa_kernel
	.section	.text._ZN7rocprim17ROCPRIM_400000_NS6detail17trampoline_kernelINS0_14default_configENS1_27scan_by_key_config_selectorIssEEZZNS1_16scan_by_key_implILNS1_25lookback_scan_determinismE0ELb1ES3_N6thrust23THRUST_200600_302600_NS6detail15normal_iteratorINS9_10device_ptrIsEEEESE_SE_sNS9_10multipliesIsEENS9_8equal_toIsEEsEE10hipError_tPvRmT2_T3_T4_T5_mT6_T7_P12ihipStream_tbENKUlT_T0_E_clISt17integral_constantIbLb1EESZ_EEDaSU_SV_EUlSU_E_NS1_11comp_targetILNS1_3genE8ELNS1_11target_archE1030ELNS1_3gpuE2ELNS1_3repE0EEENS1_30default_config_static_selectorELNS0_4arch9wavefront6targetE1EEEvT1_,"axG",@progbits,_ZN7rocprim17ROCPRIM_400000_NS6detail17trampoline_kernelINS0_14default_configENS1_27scan_by_key_config_selectorIssEEZZNS1_16scan_by_key_implILNS1_25lookback_scan_determinismE0ELb1ES3_N6thrust23THRUST_200600_302600_NS6detail15normal_iteratorINS9_10device_ptrIsEEEESE_SE_sNS9_10multipliesIsEENS9_8equal_toIsEEsEE10hipError_tPvRmT2_T3_T4_T5_mT6_T7_P12ihipStream_tbENKUlT_T0_E_clISt17integral_constantIbLb1EESZ_EEDaSU_SV_EUlSU_E_NS1_11comp_targetILNS1_3genE8ELNS1_11target_archE1030ELNS1_3gpuE2ELNS1_3repE0EEENS1_30default_config_static_selectorELNS0_4arch9wavefront6targetE1EEEvT1_,comdat
.Lfunc_end622:
	.size	_ZN7rocprim17ROCPRIM_400000_NS6detail17trampoline_kernelINS0_14default_configENS1_27scan_by_key_config_selectorIssEEZZNS1_16scan_by_key_implILNS1_25lookback_scan_determinismE0ELb1ES3_N6thrust23THRUST_200600_302600_NS6detail15normal_iteratorINS9_10device_ptrIsEEEESE_SE_sNS9_10multipliesIsEENS9_8equal_toIsEEsEE10hipError_tPvRmT2_T3_T4_T5_mT6_T7_P12ihipStream_tbENKUlT_T0_E_clISt17integral_constantIbLb1EESZ_EEDaSU_SV_EUlSU_E_NS1_11comp_targetILNS1_3genE8ELNS1_11target_archE1030ELNS1_3gpuE2ELNS1_3repE0EEENS1_30default_config_static_selectorELNS0_4arch9wavefront6targetE1EEEvT1_, .Lfunc_end622-_ZN7rocprim17ROCPRIM_400000_NS6detail17trampoline_kernelINS0_14default_configENS1_27scan_by_key_config_selectorIssEEZZNS1_16scan_by_key_implILNS1_25lookback_scan_determinismE0ELb1ES3_N6thrust23THRUST_200600_302600_NS6detail15normal_iteratorINS9_10device_ptrIsEEEESE_SE_sNS9_10multipliesIsEENS9_8equal_toIsEEsEE10hipError_tPvRmT2_T3_T4_T5_mT6_T7_P12ihipStream_tbENKUlT_T0_E_clISt17integral_constantIbLb1EESZ_EEDaSU_SV_EUlSU_E_NS1_11comp_targetILNS1_3genE8ELNS1_11target_archE1030ELNS1_3gpuE2ELNS1_3repE0EEENS1_30default_config_static_selectorELNS0_4arch9wavefront6targetE1EEEvT1_
                                        ; -- End function
	.section	.AMDGPU.csdata,"",@progbits
; Kernel info:
; codeLenInByte = 0
; NumSgprs: 4
; NumVgprs: 0
; NumAgprs: 0
; TotalNumVgprs: 0
; ScratchSize: 0
; MemoryBound: 0
; FloatMode: 240
; IeeeMode: 1
; LDSByteSize: 0 bytes/workgroup (compile time only)
; SGPRBlocks: 0
; VGPRBlocks: 0
; NumSGPRsForWavesPerEU: 4
; NumVGPRsForWavesPerEU: 1
; AccumOffset: 4
; Occupancy: 8
; WaveLimiterHint : 0
; COMPUTE_PGM_RSRC2:SCRATCH_EN: 0
; COMPUTE_PGM_RSRC2:USER_SGPR: 6
; COMPUTE_PGM_RSRC2:TRAP_HANDLER: 0
; COMPUTE_PGM_RSRC2:TGID_X_EN: 1
; COMPUTE_PGM_RSRC2:TGID_Y_EN: 0
; COMPUTE_PGM_RSRC2:TGID_Z_EN: 0
; COMPUTE_PGM_RSRC2:TIDIG_COMP_CNT: 0
; COMPUTE_PGM_RSRC3_GFX90A:ACCUM_OFFSET: 0
; COMPUTE_PGM_RSRC3_GFX90A:TG_SPLIT: 0
	.section	.text._ZN7rocprim17ROCPRIM_400000_NS6detail17trampoline_kernelINS0_14default_configENS1_27scan_by_key_config_selectorIssEEZZNS1_16scan_by_key_implILNS1_25lookback_scan_determinismE0ELb1ES3_N6thrust23THRUST_200600_302600_NS6detail15normal_iteratorINS9_10device_ptrIsEEEESE_SE_sNS9_10multipliesIsEENS9_8equal_toIsEEsEE10hipError_tPvRmT2_T3_T4_T5_mT6_T7_P12ihipStream_tbENKUlT_T0_E_clISt17integral_constantIbLb1EESY_IbLb0EEEEDaSU_SV_EUlSU_E_NS1_11comp_targetILNS1_3genE0ELNS1_11target_archE4294967295ELNS1_3gpuE0ELNS1_3repE0EEENS1_30default_config_static_selectorELNS0_4arch9wavefront6targetE1EEEvT1_,"axG",@progbits,_ZN7rocprim17ROCPRIM_400000_NS6detail17trampoline_kernelINS0_14default_configENS1_27scan_by_key_config_selectorIssEEZZNS1_16scan_by_key_implILNS1_25lookback_scan_determinismE0ELb1ES3_N6thrust23THRUST_200600_302600_NS6detail15normal_iteratorINS9_10device_ptrIsEEEESE_SE_sNS9_10multipliesIsEENS9_8equal_toIsEEsEE10hipError_tPvRmT2_T3_T4_T5_mT6_T7_P12ihipStream_tbENKUlT_T0_E_clISt17integral_constantIbLb1EESY_IbLb0EEEEDaSU_SV_EUlSU_E_NS1_11comp_targetILNS1_3genE0ELNS1_11target_archE4294967295ELNS1_3gpuE0ELNS1_3repE0EEENS1_30default_config_static_selectorELNS0_4arch9wavefront6targetE1EEEvT1_,comdat
	.protected	_ZN7rocprim17ROCPRIM_400000_NS6detail17trampoline_kernelINS0_14default_configENS1_27scan_by_key_config_selectorIssEEZZNS1_16scan_by_key_implILNS1_25lookback_scan_determinismE0ELb1ES3_N6thrust23THRUST_200600_302600_NS6detail15normal_iteratorINS9_10device_ptrIsEEEESE_SE_sNS9_10multipliesIsEENS9_8equal_toIsEEsEE10hipError_tPvRmT2_T3_T4_T5_mT6_T7_P12ihipStream_tbENKUlT_T0_E_clISt17integral_constantIbLb1EESY_IbLb0EEEEDaSU_SV_EUlSU_E_NS1_11comp_targetILNS1_3genE0ELNS1_11target_archE4294967295ELNS1_3gpuE0ELNS1_3repE0EEENS1_30default_config_static_selectorELNS0_4arch9wavefront6targetE1EEEvT1_ ; -- Begin function _ZN7rocprim17ROCPRIM_400000_NS6detail17trampoline_kernelINS0_14default_configENS1_27scan_by_key_config_selectorIssEEZZNS1_16scan_by_key_implILNS1_25lookback_scan_determinismE0ELb1ES3_N6thrust23THRUST_200600_302600_NS6detail15normal_iteratorINS9_10device_ptrIsEEEESE_SE_sNS9_10multipliesIsEENS9_8equal_toIsEEsEE10hipError_tPvRmT2_T3_T4_T5_mT6_T7_P12ihipStream_tbENKUlT_T0_E_clISt17integral_constantIbLb1EESY_IbLb0EEEEDaSU_SV_EUlSU_E_NS1_11comp_targetILNS1_3genE0ELNS1_11target_archE4294967295ELNS1_3gpuE0ELNS1_3repE0EEENS1_30default_config_static_selectorELNS0_4arch9wavefront6targetE1EEEvT1_
	.globl	_ZN7rocprim17ROCPRIM_400000_NS6detail17trampoline_kernelINS0_14default_configENS1_27scan_by_key_config_selectorIssEEZZNS1_16scan_by_key_implILNS1_25lookback_scan_determinismE0ELb1ES3_N6thrust23THRUST_200600_302600_NS6detail15normal_iteratorINS9_10device_ptrIsEEEESE_SE_sNS9_10multipliesIsEENS9_8equal_toIsEEsEE10hipError_tPvRmT2_T3_T4_T5_mT6_T7_P12ihipStream_tbENKUlT_T0_E_clISt17integral_constantIbLb1EESY_IbLb0EEEEDaSU_SV_EUlSU_E_NS1_11comp_targetILNS1_3genE0ELNS1_11target_archE4294967295ELNS1_3gpuE0ELNS1_3repE0EEENS1_30default_config_static_selectorELNS0_4arch9wavefront6targetE1EEEvT1_
	.p2align	8
	.type	_ZN7rocprim17ROCPRIM_400000_NS6detail17trampoline_kernelINS0_14default_configENS1_27scan_by_key_config_selectorIssEEZZNS1_16scan_by_key_implILNS1_25lookback_scan_determinismE0ELb1ES3_N6thrust23THRUST_200600_302600_NS6detail15normal_iteratorINS9_10device_ptrIsEEEESE_SE_sNS9_10multipliesIsEENS9_8equal_toIsEEsEE10hipError_tPvRmT2_T3_T4_T5_mT6_T7_P12ihipStream_tbENKUlT_T0_E_clISt17integral_constantIbLb1EESY_IbLb0EEEEDaSU_SV_EUlSU_E_NS1_11comp_targetILNS1_3genE0ELNS1_11target_archE4294967295ELNS1_3gpuE0ELNS1_3repE0EEENS1_30default_config_static_selectorELNS0_4arch9wavefront6targetE1EEEvT1_,@function
_ZN7rocprim17ROCPRIM_400000_NS6detail17trampoline_kernelINS0_14default_configENS1_27scan_by_key_config_selectorIssEEZZNS1_16scan_by_key_implILNS1_25lookback_scan_determinismE0ELb1ES3_N6thrust23THRUST_200600_302600_NS6detail15normal_iteratorINS9_10device_ptrIsEEEESE_SE_sNS9_10multipliesIsEENS9_8equal_toIsEEsEE10hipError_tPvRmT2_T3_T4_T5_mT6_T7_P12ihipStream_tbENKUlT_T0_E_clISt17integral_constantIbLb1EESY_IbLb0EEEEDaSU_SV_EUlSU_E_NS1_11comp_targetILNS1_3genE0ELNS1_11target_archE4294967295ELNS1_3gpuE0ELNS1_3repE0EEENS1_30default_config_static_selectorELNS0_4arch9wavefront6targetE1EEEvT1_: ; @_ZN7rocprim17ROCPRIM_400000_NS6detail17trampoline_kernelINS0_14default_configENS1_27scan_by_key_config_selectorIssEEZZNS1_16scan_by_key_implILNS1_25lookback_scan_determinismE0ELb1ES3_N6thrust23THRUST_200600_302600_NS6detail15normal_iteratorINS9_10device_ptrIsEEEESE_SE_sNS9_10multipliesIsEENS9_8equal_toIsEEsEE10hipError_tPvRmT2_T3_T4_T5_mT6_T7_P12ihipStream_tbENKUlT_T0_E_clISt17integral_constantIbLb1EESY_IbLb0EEEEDaSU_SV_EUlSU_E_NS1_11comp_targetILNS1_3genE0ELNS1_11target_archE4294967295ELNS1_3gpuE0ELNS1_3repE0EEENS1_30default_config_static_selectorELNS0_4arch9wavefront6targetE1EEEvT1_
; %bb.0:
	.section	.rodata,"a",@progbits
	.p2align	6, 0x0
	.amdhsa_kernel _ZN7rocprim17ROCPRIM_400000_NS6detail17trampoline_kernelINS0_14default_configENS1_27scan_by_key_config_selectorIssEEZZNS1_16scan_by_key_implILNS1_25lookback_scan_determinismE0ELb1ES3_N6thrust23THRUST_200600_302600_NS6detail15normal_iteratorINS9_10device_ptrIsEEEESE_SE_sNS9_10multipliesIsEENS9_8equal_toIsEEsEE10hipError_tPvRmT2_T3_T4_T5_mT6_T7_P12ihipStream_tbENKUlT_T0_E_clISt17integral_constantIbLb1EESY_IbLb0EEEEDaSU_SV_EUlSU_E_NS1_11comp_targetILNS1_3genE0ELNS1_11target_archE4294967295ELNS1_3gpuE0ELNS1_3repE0EEENS1_30default_config_static_selectorELNS0_4arch9wavefront6targetE1EEEvT1_
		.amdhsa_group_segment_fixed_size 0
		.amdhsa_private_segment_fixed_size 0
		.amdhsa_kernarg_size 112
		.amdhsa_user_sgpr_count 6
		.amdhsa_user_sgpr_private_segment_buffer 1
		.amdhsa_user_sgpr_dispatch_ptr 0
		.amdhsa_user_sgpr_queue_ptr 0
		.amdhsa_user_sgpr_kernarg_segment_ptr 1
		.amdhsa_user_sgpr_dispatch_id 0
		.amdhsa_user_sgpr_flat_scratch_init 0
		.amdhsa_user_sgpr_kernarg_preload_length 0
		.amdhsa_user_sgpr_kernarg_preload_offset 0
		.amdhsa_user_sgpr_private_segment_size 0
		.amdhsa_uses_dynamic_stack 0
		.amdhsa_system_sgpr_private_segment_wavefront_offset 0
		.amdhsa_system_sgpr_workgroup_id_x 1
		.amdhsa_system_sgpr_workgroup_id_y 0
		.amdhsa_system_sgpr_workgroup_id_z 0
		.amdhsa_system_sgpr_workgroup_info 0
		.amdhsa_system_vgpr_workitem_id 0
		.amdhsa_next_free_vgpr 1
		.amdhsa_next_free_sgpr 0
		.amdhsa_accum_offset 4
		.amdhsa_reserve_vcc 0
		.amdhsa_reserve_flat_scratch 0
		.amdhsa_float_round_mode_32 0
		.amdhsa_float_round_mode_16_64 0
		.amdhsa_float_denorm_mode_32 3
		.amdhsa_float_denorm_mode_16_64 3
		.amdhsa_dx10_clamp 1
		.amdhsa_ieee_mode 1
		.amdhsa_fp16_overflow 0
		.amdhsa_tg_split 0
		.amdhsa_exception_fp_ieee_invalid_op 0
		.amdhsa_exception_fp_denorm_src 0
		.amdhsa_exception_fp_ieee_div_zero 0
		.amdhsa_exception_fp_ieee_overflow 0
		.amdhsa_exception_fp_ieee_underflow 0
		.amdhsa_exception_fp_ieee_inexact 0
		.amdhsa_exception_int_div_zero 0
	.end_amdhsa_kernel
	.section	.text._ZN7rocprim17ROCPRIM_400000_NS6detail17trampoline_kernelINS0_14default_configENS1_27scan_by_key_config_selectorIssEEZZNS1_16scan_by_key_implILNS1_25lookback_scan_determinismE0ELb1ES3_N6thrust23THRUST_200600_302600_NS6detail15normal_iteratorINS9_10device_ptrIsEEEESE_SE_sNS9_10multipliesIsEENS9_8equal_toIsEEsEE10hipError_tPvRmT2_T3_T4_T5_mT6_T7_P12ihipStream_tbENKUlT_T0_E_clISt17integral_constantIbLb1EESY_IbLb0EEEEDaSU_SV_EUlSU_E_NS1_11comp_targetILNS1_3genE0ELNS1_11target_archE4294967295ELNS1_3gpuE0ELNS1_3repE0EEENS1_30default_config_static_selectorELNS0_4arch9wavefront6targetE1EEEvT1_,"axG",@progbits,_ZN7rocprim17ROCPRIM_400000_NS6detail17trampoline_kernelINS0_14default_configENS1_27scan_by_key_config_selectorIssEEZZNS1_16scan_by_key_implILNS1_25lookback_scan_determinismE0ELb1ES3_N6thrust23THRUST_200600_302600_NS6detail15normal_iteratorINS9_10device_ptrIsEEEESE_SE_sNS9_10multipliesIsEENS9_8equal_toIsEEsEE10hipError_tPvRmT2_T3_T4_T5_mT6_T7_P12ihipStream_tbENKUlT_T0_E_clISt17integral_constantIbLb1EESY_IbLb0EEEEDaSU_SV_EUlSU_E_NS1_11comp_targetILNS1_3genE0ELNS1_11target_archE4294967295ELNS1_3gpuE0ELNS1_3repE0EEENS1_30default_config_static_selectorELNS0_4arch9wavefront6targetE1EEEvT1_,comdat
.Lfunc_end623:
	.size	_ZN7rocprim17ROCPRIM_400000_NS6detail17trampoline_kernelINS0_14default_configENS1_27scan_by_key_config_selectorIssEEZZNS1_16scan_by_key_implILNS1_25lookback_scan_determinismE0ELb1ES3_N6thrust23THRUST_200600_302600_NS6detail15normal_iteratorINS9_10device_ptrIsEEEESE_SE_sNS9_10multipliesIsEENS9_8equal_toIsEEsEE10hipError_tPvRmT2_T3_T4_T5_mT6_T7_P12ihipStream_tbENKUlT_T0_E_clISt17integral_constantIbLb1EESY_IbLb0EEEEDaSU_SV_EUlSU_E_NS1_11comp_targetILNS1_3genE0ELNS1_11target_archE4294967295ELNS1_3gpuE0ELNS1_3repE0EEENS1_30default_config_static_selectorELNS0_4arch9wavefront6targetE1EEEvT1_, .Lfunc_end623-_ZN7rocprim17ROCPRIM_400000_NS6detail17trampoline_kernelINS0_14default_configENS1_27scan_by_key_config_selectorIssEEZZNS1_16scan_by_key_implILNS1_25lookback_scan_determinismE0ELb1ES3_N6thrust23THRUST_200600_302600_NS6detail15normal_iteratorINS9_10device_ptrIsEEEESE_SE_sNS9_10multipliesIsEENS9_8equal_toIsEEsEE10hipError_tPvRmT2_T3_T4_T5_mT6_T7_P12ihipStream_tbENKUlT_T0_E_clISt17integral_constantIbLb1EESY_IbLb0EEEEDaSU_SV_EUlSU_E_NS1_11comp_targetILNS1_3genE0ELNS1_11target_archE4294967295ELNS1_3gpuE0ELNS1_3repE0EEENS1_30default_config_static_selectorELNS0_4arch9wavefront6targetE1EEEvT1_
                                        ; -- End function
	.section	.AMDGPU.csdata,"",@progbits
; Kernel info:
; codeLenInByte = 0
; NumSgprs: 4
; NumVgprs: 0
; NumAgprs: 0
; TotalNumVgprs: 0
; ScratchSize: 0
; MemoryBound: 0
; FloatMode: 240
; IeeeMode: 1
; LDSByteSize: 0 bytes/workgroup (compile time only)
; SGPRBlocks: 0
; VGPRBlocks: 0
; NumSGPRsForWavesPerEU: 4
; NumVGPRsForWavesPerEU: 1
; AccumOffset: 4
; Occupancy: 8
; WaveLimiterHint : 0
; COMPUTE_PGM_RSRC2:SCRATCH_EN: 0
; COMPUTE_PGM_RSRC2:USER_SGPR: 6
; COMPUTE_PGM_RSRC2:TRAP_HANDLER: 0
; COMPUTE_PGM_RSRC2:TGID_X_EN: 1
; COMPUTE_PGM_RSRC2:TGID_Y_EN: 0
; COMPUTE_PGM_RSRC2:TGID_Z_EN: 0
; COMPUTE_PGM_RSRC2:TIDIG_COMP_CNT: 0
; COMPUTE_PGM_RSRC3_GFX90A:ACCUM_OFFSET: 0
; COMPUTE_PGM_RSRC3_GFX90A:TG_SPLIT: 0
	.section	.text._ZN7rocprim17ROCPRIM_400000_NS6detail17trampoline_kernelINS0_14default_configENS1_27scan_by_key_config_selectorIssEEZZNS1_16scan_by_key_implILNS1_25lookback_scan_determinismE0ELb1ES3_N6thrust23THRUST_200600_302600_NS6detail15normal_iteratorINS9_10device_ptrIsEEEESE_SE_sNS9_10multipliesIsEENS9_8equal_toIsEEsEE10hipError_tPvRmT2_T3_T4_T5_mT6_T7_P12ihipStream_tbENKUlT_T0_E_clISt17integral_constantIbLb1EESY_IbLb0EEEEDaSU_SV_EUlSU_E_NS1_11comp_targetILNS1_3genE10ELNS1_11target_archE1201ELNS1_3gpuE5ELNS1_3repE0EEENS1_30default_config_static_selectorELNS0_4arch9wavefront6targetE1EEEvT1_,"axG",@progbits,_ZN7rocprim17ROCPRIM_400000_NS6detail17trampoline_kernelINS0_14default_configENS1_27scan_by_key_config_selectorIssEEZZNS1_16scan_by_key_implILNS1_25lookback_scan_determinismE0ELb1ES3_N6thrust23THRUST_200600_302600_NS6detail15normal_iteratorINS9_10device_ptrIsEEEESE_SE_sNS9_10multipliesIsEENS9_8equal_toIsEEsEE10hipError_tPvRmT2_T3_T4_T5_mT6_T7_P12ihipStream_tbENKUlT_T0_E_clISt17integral_constantIbLb1EESY_IbLb0EEEEDaSU_SV_EUlSU_E_NS1_11comp_targetILNS1_3genE10ELNS1_11target_archE1201ELNS1_3gpuE5ELNS1_3repE0EEENS1_30default_config_static_selectorELNS0_4arch9wavefront6targetE1EEEvT1_,comdat
	.protected	_ZN7rocprim17ROCPRIM_400000_NS6detail17trampoline_kernelINS0_14default_configENS1_27scan_by_key_config_selectorIssEEZZNS1_16scan_by_key_implILNS1_25lookback_scan_determinismE0ELb1ES3_N6thrust23THRUST_200600_302600_NS6detail15normal_iteratorINS9_10device_ptrIsEEEESE_SE_sNS9_10multipliesIsEENS9_8equal_toIsEEsEE10hipError_tPvRmT2_T3_T4_T5_mT6_T7_P12ihipStream_tbENKUlT_T0_E_clISt17integral_constantIbLb1EESY_IbLb0EEEEDaSU_SV_EUlSU_E_NS1_11comp_targetILNS1_3genE10ELNS1_11target_archE1201ELNS1_3gpuE5ELNS1_3repE0EEENS1_30default_config_static_selectorELNS0_4arch9wavefront6targetE1EEEvT1_ ; -- Begin function _ZN7rocprim17ROCPRIM_400000_NS6detail17trampoline_kernelINS0_14default_configENS1_27scan_by_key_config_selectorIssEEZZNS1_16scan_by_key_implILNS1_25lookback_scan_determinismE0ELb1ES3_N6thrust23THRUST_200600_302600_NS6detail15normal_iteratorINS9_10device_ptrIsEEEESE_SE_sNS9_10multipliesIsEENS9_8equal_toIsEEsEE10hipError_tPvRmT2_T3_T4_T5_mT6_T7_P12ihipStream_tbENKUlT_T0_E_clISt17integral_constantIbLb1EESY_IbLb0EEEEDaSU_SV_EUlSU_E_NS1_11comp_targetILNS1_3genE10ELNS1_11target_archE1201ELNS1_3gpuE5ELNS1_3repE0EEENS1_30default_config_static_selectorELNS0_4arch9wavefront6targetE1EEEvT1_
	.globl	_ZN7rocprim17ROCPRIM_400000_NS6detail17trampoline_kernelINS0_14default_configENS1_27scan_by_key_config_selectorIssEEZZNS1_16scan_by_key_implILNS1_25lookback_scan_determinismE0ELb1ES3_N6thrust23THRUST_200600_302600_NS6detail15normal_iteratorINS9_10device_ptrIsEEEESE_SE_sNS9_10multipliesIsEENS9_8equal_toIsEEsEE10hipError_tPvRmT2_T3_T4_T5_mT6_T7_P12ihipStream_tbENKUlT_T0_E_clISt17integral_constantIbLb1EESY_IbLb0EEEEDaSU_SV_EUlSU_E_NS1_11comp_targetILNS1_3genE10ELNS1_11target_archE1201ELNS1_3gpuE5ELNS1_3repE0EEENS1_30default_config_static_selectorELNS0_4arch9wavefront6targetE1EEEvT1_
	.p2align	8
	.type	_ZN7rocprim17ROCPRIM_400000_NS6detail17trampoline_kernelINS0_14default_configENS1_27scan_by_key_config_selectorIssEEZZNS1_16scan_by_key_implILNS1_25lookback_scan_determinismE0ELb1ES3_N6thrust23THRUST_200600_302600_NS6detail15normal_iteratorINS9_10device_ptrIsEEEESE_SE_sNS9_10multipliesIsEENS9_8equal_toIsEEsEE10hipError_tPvRmT2_T3_T4_T5_mT6_T7_P12ihipStream_tbENKUlT_T0_E_clISt17integral_constantIbLb1EESY_IbLb0EEEEDaSU_SV_EUlSU_E_NS1_11comp_targetILNS1_3genE10ELNS1_11target_archE1201ELNS1_3gpuE5ELNS1_3repE0EEENS1_30default_config_static_selectorELNS0_4arch9wavefront6targetE1EEEvT1_,@function
_ZN7rocprim17ROCPRIM_400000_NS6detail17trampoline_kernelINS0_14default_configENS1_27scan_by_key_config_selectorIssEEZZNS1_16scan_by_key_implILNS1_25lookback_scan_determinismE0ELb1ES3_N6thrust23THRUST_200600_302600_NS6detail15normal_iteratorINS9_10device_ptrIsEEEESE_SE_sNS9_10multipliesIsEENS9_8equal_toIsEEsEE10hipError_tPvRmT2_T3_T4_T5_mT6_T7_P12ihipStream_tbENKUlT_T0_E_clISt17integral_constantIbLb1EESY_IbLb0EEEEDaSU_SV_EUlSU_E_NS1_11comp_targetILNS1_3genE10ELNS1_11target_archE1201ELNS1_3gpuE5ELNS1_3repE0EEENS1_30default_config_static_selectorELNS0_4arch9wavefront6targetE1EEEvT1_: ; @_ZN7rocprim17ROCPRIM_400000_NS6detail17trampoline_kernelINS0_14default_configENS1_27scan_by_key_config_selectorIssEEZZNS1_16scan_by_key_implILNS1_25lookback_scan_determinismE0ELb1ES3_N6thrust23THRUST_200600_302600_NS6detail15normal_iteratorINS9_10device_ptrIsEEEESE_SE_sNS9_10multipliesIsEENS9_8equal_toIsEEsEE10hipError_tPvRmT2_T3_T4_T5_mT6_T7_P12ihipStream_tbENKUlT_T0_E_clISt17integral_constantIbLb1EESY_IbLb0EEEEDaSU_SV_EUlSU_E_NS1_11comp_targetILNS1_3genE10ELNS1_11target_archE1201ELNS1_3gpuE5ELNS1_3repE0EEENS1_30default_config_static_selectorELNS0_4arch9wavefront6targetE1EEEvT1_
; %bb.0:
	.section	.rodata,"a",@progbits
	.p2align	6, 0x0
	.amdhsa_kernel _ZN7rocprim17ROCPRIM_400000_NS6detail17trampoline_kernelINS0_14default_configENS1_27scan_by_key_config_selectorIssEEZZNS1_16scan_by_key_implILNS1_25lookback_scan_determinismE0ELb1ES3_N6thrust23THRUST_200600_302600_NS6detail15normal_iteratorINS9_10device_ptrIsEEEESE_SE_sNS9_10multipliesIsEENS9_8equal_toIsEEsEE10hipError_tPvRmT2_T3_T4_T5_mT6_T7_P12ihipStream_tbENKUlT_T0_E_clISt17integral_constantIbLb1EESY_IbLb0EEEEDaSU_SV_EUlSU_E_NS1_11comp_targetILNS1_3genE10ELNS1_11target_archE1201ELNS1_3gpuE5ELNS1_3repE0EEENS1_30default_config_static_selectorELNS0_4arch9wavefront6targetE1EEEvT1_
		.amdhsa_group_segment_fixed_size 0
		.amdhsa_private_segment_fixed_size 0
		.amdhsa_kernarg_size 112
		.amdhsa_user_sgpr_count 6
		.amdhsa_user_sgpr_private_segment_buffer 1
		.amdhsa_user_sgpr_dispatch_ptr 0
		.amdhsa_user_sgpr_queue_ptr 0
		.amdhsa_user_sgpr_kernarg_segment_ptr 1
		.amdhsa_user_sgpr_dispatch_id 0
		.amdhsa_user_sgpr_flat_scratch_init 0
		.amdhsa_user_sgpr_kernarg_preload_length 0
		.amdhsa_user_sgpr_kernarg_preload_offset 0
		.amdhsa_user_sgpr_private_segment_size 0
		.amdhsa_uses_dynamic_stack 0
		.amdhsa_system_sgpr_private_segment_wavefront_offset 0
		.amdhsa_system_sgpr_workgroup_id_x 1
		.amdhsa_system_sgpr_workgroup_id_y 0
		.amdhsa_system_sgpr_workgroup_id_z 0
		.amdhsa_system_sgpr_workgroup_info 0
		.amdhsa_system_vgpr_workitem_id 0
		.amdhsa_next_free_vgpr 1
		.amdhsa_next_free_sgpr 0
		.amdhsa_accum_offset 4
		.amdhsa_reserve_vcc 0
		.amdhsa_reserve_flat_scratch 0
		.amdhsa_float_round_mode_32 0
		.amdhsa_float_round_mode_16_64 0
		.amdhsa_float_denorm_mode_32 3
		.amdhsa_float_denorm_mode_16_64 3
		.amdhsa_dx10_clamp 1
		.amdhsa_ieee_mode 1
		.amdhsa_fp16_overflow 0
		.amdhsa_tg_split 0
		.amdhsa_exception_fp_ieee_invalid_op 0
		.amdhsa_exception_fp_denorm_src 0
		.amdhsa_exception_fp_ieee_div_zero 0
		.amdhsa_exception_fp_ieee_overflow 0
		.amdhsa_exception_fp_ieee_underflow 0
		.amdhsa_exception_fp_ieee_inexact 0
		.amdhsa_exception_int_div_zero 0
	.end_amdhsa_kernel
	.section	.text._ZN7rocprim17ROCPRIM_400000_NS6detail17trampoline_kernelINS0_14default_configENS1_27scan_by_key_config_selectorIssEEZZNS1_16scan_by_key_implILNS1_25lookback_scan_determinismE0ELb1ES3_N6thrust23THRUST_200600_302600_NS6detail15normal_iteratorINS9_10device_ptrIsEEEESE_SE_sNS9_10multipliesIsEENS9_8equal_toIsEEsEE10hipError_tPvRmT2_T3_T4_T5_mT6_T7_P12ihipStream_tbENKUlT_T0_E_clISt17integral_constantIbLb1EESY_IbLb0EEEEDaSU_SV_EUlSU_E_NS1_11comp_targetILNS1_3genE10ELNS1_11target_archE1201ELNS1_3gpuE5ELNS1_3repE0EEENS1_30default_config_static_selectorELNS0_4arch9wavefront6targetE1EEEvT1_,"axG",@progbits,_ZN7rocprim17ROCPRIM_400000_NS6detail17trampoline_kernelINS0_14default_configENS1_27scan_by_key_config_selectorIssEEZZNS1_16scan_by_key_implILNS1_25lookback_scan_determinismE0ELb1ES3_N6thrust23THRUST_200600_302600_NS6detail15normal_iteratorINS9_10device_ptrIsEEEESE_SE_sNS9_10multipliesIsEENS9_8equal_toIsEEsEE10hipError_tPvRmT2_T3_T4_T5_mT6_T7_P12ihipStream_tbENKUlT_T0_E_clISt17integral_constantIbLb1EESY_IbLb0EEEEDaSU_SV_EUlSU_E_NS1_11comp_targetILNS1_3genE10ELNS1_11target_archE1201ELNS1_3gpuE5ELNS1_3repE0EEENS1_30default_config_static_selectorELNS0_4arch9wavefront6targetE1EEEvT1_,comdat
.Lfunc_end624:
	.size	_ZN7rocprim17ROCPRIM_400000_NS6detail17trampoline_kernelINS0_14default_configENS1_27scan_by_key_config_selectorIssEEZZNS1_16scan_by_key_implILNS1_25lookback_scan_determinismE0ELb1ES3_N6thrust23THRUST_200600_302600_NS6detail15normal_iteratorINS9_10device_ptrIsEEEESE_SE_sNS9_10multipliesIsEENS9_8equal_toIsEEsEE10hipError_tPvRmT2_T3_T4_T5_mT6_T7_P12ihipStream_tbENKUlT_T0_E_clISt17integral_constantIbLb1EESY_IbLb0EEEEDaSU_SV_EUlSU_E_NS1_11comp_targetILNS1_3genE10ELNS1_11target_archE1201ELNS1_3gpuE5ELNS1_3repE0EEENS1_30default_config_static_selectorELNS0_4arch9wavefront6targetE1EEEvT1_, .Lfunc_end624-_ZN7rocprim17ROCPRIM_400000_NS6detail17trampoline_kernelINS0_14default_configENS1_27scan_by_key_config_selectorIssEEZZNS1_16scan_by_key_implILNS1_25lookback_scan_determinismE0ELb1ES3_N6thrust23THRUST_200600_302600_NS6detail15normal_iteratorINS9_10device_ptrIsEEEESE_SE_sNS9_10multipliesIsEENS9_8equal_toIsEEsEE10hipError_tPvRmT2_T3_T4_T5_mT6_T7_P12ihipStream_tbENKUlT_T0_E_clISt17integral_constantIbLb1EESY_IbLb0EEEEDaSU_SV_EUlSU_E_NS1_11comp_targetILNS1_3genE10ELNS1_11target_archE1201ELNS1_3gpuE5ELNS1_3repE0EEENS1_30default_config_static_selectorELNS0_4arch9wavefront6targetE1EEEvT1_
                                        ; -- End function
	.section	.AMDGPU.csdata,"",@progbits
; Kernel info:
; codeLenInByte = 0
; NumSgprs: 4
; NumVgprs: 0
; NumAgprs: 0
; TotalNumVgprs: 0
; ScratchSize: 0
; MemoryBound: 0
; FloatMode: 240
; IeeeMode: 1
; LDSByteSize: 0 bytes/workgroup (compile time only)
; SGPRBlocks: 0
; VGPRBlocks: 0
; NumSGPRsForWavesPerEU: 4
; NumVGPRsForWavesPerEU: 1
; AccumOffset: 4
; Occupancy: 8
; WaveLimiterHint : 0
; COMPUTE_PGM_RSRC2:SCRATCH_EN: 0
; COMPUTE_PGM_RSRC2:USER_SGPR: 6
; COMPUTE_PGM_RSRC2:TRAP_HANDLER: 0
; COMPUTE_PGM_RSRC2:TGID_X_EN: 1
; COMPUTE_PGM_RSRC2:TGID_Y_EN: 0
; COMPUTE_PGM_RSRC2:TGID_Z_EN: 0
; COMPUTE_PGM_RSRC2:TIDIG_COMP_CNT: 0
; COMPUTE_PGM_RSRC3_GFX90A:ACCUM_OFFSET: 0
; COMPUTE_PGM_RSRC3_GFX90A:TG_SPLIT: 0
	.section	.text._ZN7rocprim17ROCPRIM_400000_NS6detail17trampoline_kernelINS0_14default_configENS1_27scan_by_key_config_selectorIssEEZZNS1_16scan_by_key_implILNS1_25lookback_scan_determinismE0ELb1ES3_N6thrust23THRUST_200600_302600_NS6detail15normal_iteratorINS9_10device_ptrIsEEEESE_SE_sNS9_10multipliesIsEENS9_8equal_toIsEEsEE10hipError_tPvRmT2_T3_T4_T5_mT6_T7_P12ihipStream_tbENKUlT_T0_E_clISt17integral_constantIbLb1EESY_IbLb0EEEEDaSU_SV_EUlSU_E_NS1_11comp_targetILNS1_3genE5ELNS1_11target_archE942ELNS1_3gpuE9ELNS1_3repE0EEENS1_30default_config_static_selectorELNS0_4arch9wavefront6targetE1EEEvT1_,"axG",@progbits,_ZN7rocprim17ROCPRIM_400000_NS6detail17trampoline_kernelINS0_14default_configENS1_27scan_by_key_config_selectorIssEEZZNS1_16scan_by_key_implILNS1_25lookback_scan_determinismE0ELb1ES3_N6thrust23THRUST_200600_302600_NS6detail15normal_iteratorINS9_10device_ptrIsEEEESE_SE_sNS9_10multipliesIsEENS9_8equal_toIsEEsEE10hipError_tPvRmT2_T3_T4_T5_mT6_T7_P12ihipStream_tbENKUlT_T0_E_clISt17integral_constantIbLb1EESY_IbLb0EEEEDaSU_SV_EUlSU_E_NS1_11comp_targetILNS1_3genE5ELNS1_11target_archE942ELNS1_3gpuE9ELNS1_3repE0EEENS1_30default_config_static_selectorELNS0_4arch9wavefront6targetE1EEEvT1_,comdat
	.protected	_ZN7rocprim17ROCPRIM_400000_NS6detail17trampoline_kernelINS0_14default_configENS1_27scan_by_key_config_selectorIssEEZZNS1_16scan_by_key_implILNS1_25lookback_scan_determinismE0ELb1ES3_N6thrust23THRUST_200600_302600_NS6detail15normal_iteratorINS9_10device_ptrIsEEEESE_SE_sNS9_10multipliesIsEENS9_8equal_toIsEEsEE10hipError_tPvRmT2_T3_T4_T5_mT6_T7_P12ihipStream_tbENKUlT_T0_E_clISt17integral_constantIbLb1EESY_IbLb0EEEEDaSU_SV_EUlSU_E_NS1_11comp_targetILNS1_3genE5ELNS1_11target_archE942ELNS1_3gpuE9ELNS1_3repE0EEENS1_30default_config_static_selectorELNS0_4arch9wavefront6targetE1EEEvT1_ ; -- Begin function _ZN7rocprim17ROCPRIM_400000_NS6detail17trampoline_kernelINS0_14default_configENS1_27scan_by_key_config_selectorIssEEZZNS1_16scan_by_key_implILNS1_25lookback_scan_determinismE0ELb1ES3_N6thrust23THRUST_200600_302600_NS6detail15normal_iteratorINS9_10device_ptrIsEEEESE_SE_sNS9_10multipliesIsEENS9_8equal_toIsEEsEE10hipError_tPvRmT2_T3_T4_T5_mT6_T7_P12ihipStream_tbENKUlT_T0_E_clISt17integral_constantIbLb1EESY_IbLb0EEEEDaSU_SV_EUlSU_E_NS1_11comp_targetILNS1_3genE5ELNS1_11target_archE942ELNS1_3gpuE9ELNS1_3repE0EEENS1_30default_config_static_selectorELNS0_4arch9wavefront6targetE1EEEvT1_
	.globl	_ZN7rocprim17ROCPRIM_400000_NS6detail17trampoline_kernelINS0_14default_configENS1_27scan_by_key_config_selectorIssEEZZNS1_16scan_by_key_implILNS1_25lookback_scan_determinismE0ELb1ES3_N6thrust23THRUST_200600_302600_NS6detail15normal_iteratorINS9_10device_ptrIsEEEESE_SE_sNS9_10multipliesIsEENS9_8equal_toIsEEsEE10hipError_tPvRmT2_T3_T4_T5_mT6_T7_P12ihipStream_tbENKUlT_T0_E_clISt17integral_constantIbLb1EESY_IbLb0EEEEDaSU_SV_EUlSU_E_NS1_11comp_targetILNS1_3genE5ELNS1_11target_archE942ELNS1_3gpuE9ELNS1_3repE0EEENS1_30default_config_static_selectorELNS0_4arch9wavefront6targetE1EEEvT1_
	.p2align	8
	.type	_ZN7rocprim17ROCPRIM_400000_NS6detail17trampoline_kernelINS0_14default_configENS1_27scan_by_key_config_selectorIssEEZZNS1_16scan_by_key_implILNS1_25lookback_scan_determinismE0ELb1ES3_N6thrust23THRUST_200600_302600_NS6detail15normal_iteratorINS9_10device_ptrIsEEEESE_SE_sNS9_10multipliesIsEENS9_8equal_toIsEEsEE10hipError_tPvRmT2_T3_T4_T5_mT6_T7_P12ihipStream_tbENKUlT_T0_E_clISt17integral_constantIbLb1EESY_IbLb0EEEEDaSU_SV_EUlSU_E_NS1_11comp_targetILNS1_3genE5ELNS1_11target_archE942ELNS1_3gpuE9ELNS1_3repE0EEENS1_30default_config_static_selectorELNS0_4arch9wavefront6targetE1EEEvT1_,@function
_ZN7rocprim17ROCPRIM_400000_NS6detail17trampoline_kernelINS0_14default_configENS1_27scan_by_key_config_selectorIssEEZZNS1_16scan_by_key_implILNS1_25lookback_scan_determinismE0ELb1ES3_N6thrust23THRUST_200600_302600_NS6detail15normal_iteratorINS9_10device_ptrIsEEEESE_SE_sNS9_10multipliesIsEENS9_8equal_toIsEEsEE10hipError_tPvRmT2_T3_T4_T5_mT6_T7_P12ihipStream_tbENKUlT_T0_E_clISt17integral_constantIbLb1EESY_IbLb0EEEEDaSU_SV_EUlSU_E_NS1_11comp_targetILNS1_3genE5ELNS1_11target_archE942ELNS1_3gpuE9ELNS1_3repE0EEENS1_30default_config_static_selectorELNS0_4arch9wavefront6targetE1EEEvT1_: ; @_ZN7rocprim17ROCPRIM_400000_NS6detail17trampoline_kernelINS0_14default_configENS1_27scan_by_key_config_selectorIssEEZZNS1_16scan_by_key_implILNS1_25lookback_scan_determinismE0ELb1ES3_N6thrust23THRUST_200600_302600_NS6detail15normal_iteratorINS9_10device_ptrIsEEEESE_SE_sNS9_10multipliesIsEENS9_8equal_toIsEEsEE10hipError_tPvRmT2_T3_T4_T5_mT6_T7_P12ihipStream_tbENKUlT_T0_E_clISt17integral_constantIbLb1EESY_IbLb0EEEEDaSU_SV_EUlSU_E_NS1_11comp_targetILNS1_3genE5ELNS1_11target_archE942ELNS1_3gpuE9ELNS1_3repE0EEENS1_30default_config_static_selectorELNS0_4arch9wavefront6targetE1EEEvT1_
; %bb.0:
	.section	.rodata,"a",@progbits
	.p2align	6, 0x0
	.amdhsa_kernel _ZN7rocprim17ROCPRIM_400000_NS6detail17trampoline_kernelINS0_14default_configENS1_27scan_by_key_config_selectorIssEEZZNS1_16scan_by_key_implILNS1_25lookback_scan_determinismE0ELb1ES3_N6thrust23THRUST_200600_302600_NS6detail15normal_iteratorINS9_10device_ptrIsEEEESE_SE_sNS9_10multipliesIsEENS9_8equal_toIsEEsEE10hipError_tPvRmT2_T3_T4_T5_mT6_T7_P12ihipStream_tbENKUlT_T0_E_clISt17integral_constantIbLb1EESY_IbLb0EEEEDaSU_SV_EUlSU_E_NS1_11comp_targetILNS1_3genE5ELNS1_11target_archE942ELNS1_3gpuE9ELNS1_3repE0EEENS1_30default_config_static_selectorELNS0_4arch9wavefront6targetE1EEEvT1_
		.amdhsa_group_segment_fixed_size 0
		.amdhsa_private_segment_fixed_size 0
		.amdhsa_kernarg_size 112
		.amdhsa_user_sgpr_count 6
		.amdhsa_user_sgpr_private_segment_buffer 1
		.amdhsa_user_sgpr_dispatch_ptr 0
		.amdhsa_user_sgpr_queue_ptr 0
		.amdhsa_user_sgpr_kernarg_segment_ptr 1
		.amdhsa_user_sgpr_dispatch_id 0
		.amdhsa_user_sgpr_flat_scratch_init 0
		.amdhsa_user_sgpr_kernarg_preload_length 0
		.amdhsa_user_sgpr_kernarg_preload_offset 0
		.amdhsa_user_sgpr_private_segment_size 0
		.amdhsa_uses_dynamic_stack 0
		.amdhsa_system_sgpr_private_segment_wavefront_offset 0
		.amdhsa_system_sgpr_workgroup_id_x 1
		.amdhsa_system_sgpr_workgroup_id_y 0
		.amdhsa_system_sgpr_workgroup_id_z 0
		.amdhsa_system_sgpr_workgroup_info 0
		.amdhsa_system_vgpr_workitem_id 0
		.amdhsa_next_free_vgpr 1
		.amdhsa_next_free_sgpr 0
		.amdhsa_accum_offset 4
		.amdhsa_reserve_vcc 0
		.amdhsa_reserve_flat_scratch 0
		.amdhsa_float_round_mode_32 0
		.amdhsa_float_round_mode_16_64 0
		.amdhsa_float_denorm_mode_32 3
		.amdhsa_float_denorm_mode_16_64 3
		.amdhsa_dx10_clamp 1
		.amdhsa_ieee_mode 1
		.amdhsa_fp16_overflow 0
		.amdhsa_tg_split 0
		.amdhsa_exception_fp_ieee_invalid_op 0
		.amdhsa_exception_fp_denorm_src 0
		.amdhsa_exception_fp_ieee_div_zero 0
		.amdhsa_exception_fp_ieee_overflow 0
		.amdhsa_exception_fp_ieee_underflow 0
		.amdhsa_exception_fp_ieee_inexact 0
		.amdhsa_exception_int_div_zero 0
	.end_amdhsa_kernel
	.section	.text._ZN7rocprim17ROCPRIM_400000_NS6detail17trampoline_kernelINS0_14default_configENS1_27scan_by_key_config_selectorIssEEZZNS1_16scan_by_key_implILNS1_25lookback_scan_determinismE0ELb1ES3_N6thrust23THRUST_200600_302600_NS6detail15normal_iteratorINS9_10device_ptrIsEEEESE_SE_sNS9_10multipliesIsEENS9_8equal_toIsEEsEE10hipError_tPvRmT2_T3_T4_T5_mT6_T7_P12ihipStream_tbENKUlT_T0_E_clISt17integral_constantIbLb1EESY_IbLb0EEEEDaSU_SV_EUlSU_E_NS1_11comp_targetILNS1_3genE5ELNS1_11target_archE942ELNS1_3gpuE9ELNS1_3repE0EEENS1_30default_config_static_selectorELNS0_4arch9wavefront6targetE1EEEvT1_,"axG",@progbits,_ZN7rocprim17ROCPRIM_400000_NS6detail17trampoline_kernelINS0_14default_configENS1_27scan_by_key_config_selectorIssEEZZNS1_16scan_by_key_implILNS1_25lookback_scan_determinismE0ELb1ES3_N6thrust23THRUST_200600_302600_NS6detail15normal_iteratorINS9_10device_ptrIsEEEESE_SE_sNS9_10multipliesIsEENS9_8equal_toIsEEsEE10hipError_tPvRmT2_T3_T4_T5_mT6_T7_P12ihipStream_tbENKUlT_T0_E_clISt17integral_constantIbLb1EESY_IbLb0EEEEDaSU_SV_EUlSU_E_NS1_11comp_targetILNS1_3genE5ELNS1_11target_archE942ELNS1_3gpuE9ELNS1_3repE0EEENS1_30default_config_static_selectorELNS0_4arch9wavefront6targetE1EEEvT1_,comdat
.Lfunc_end625:
	.size	_ZN7rocprim17ROCPRIM_400000_NS6detail17trampoline_kernelINS0_14default_configENS1_27scan_by_key_config_selectorIssEEZZNS1_16scan_by_key_implILNS1_25lookback_scan_determinismE0ELb1ES3_N6thrust23THRUST_200600_302600_NS6detail15normal_iteratorINS9_10device_ptrIsEEEESE_SE_sNS9_10multipliesIsEENS9_8equal_toIsEEsEE10hipError_tPvRmT2_T3_T4_T5_mT6_T7_P12ihipStream_tbENKUlT_T0_E_clISt17integral_constantIbLb1EESY_IbLb0EEEEDaSU_SV_EUlSU_E_NS1_11comp_targetILNS1_3genE5ELNS1_11target_archE942ELNS1_3gpuE9ELNS1_3repE0EEENS1_30default_config_static_selectorELNS0_4arch9wavefront6targetE1EEEvT1_, .Lfunc_end625-_ZN7rocprim17ROCPRIM_400000_NS6detail17trampoline_kernelINS0_14default_configENS1_27scan_by_key_config_selectorIssEEZZNS1_16scan_by_key_implILNS1_25lookback_scan_determinismE0ELb1ES3_N6thrust23THRUST_200600_302600_NS6detail15normal_iteratorINS9_10device_ptrIsEEEESE_SE_sNS9_10multipliesIsEENS9_8equal_toIsEEsEE10hipError_tPvRmT2_T3_T4_T5_mT6_T7_P12ihipStream_tbENKUlT_T0_E_clISt17integral_constantIbLb1EESY_IbLb0EEEEDaSU_SV_EUlSU_E_NS1_11comp_targetILNS1_3genE5ELNS1_11target_archE942ELNS1_3gpuE9ELNS1_3repE0EEENS1_30default_config_static_selectorELNS0_4arch9wavefront6targetE1EEEvT1_
                                        ; -- End function
	.section	.AMDGPU.csdata,"",@progbits
; Kernel info:
; codeLenInByte = 0
; NumSgprs: 4
; NumVgprs: 0
; NumAgprs: 0
; TotalNumVgprs: 0
; ScratchSize: 0
; MemoryBound: 0
; FloatMode: 240
; IeeeMode: 1
; LDSByteSize: 0 bytes/workgroup (compile time only)
; SGPRBlocks: 0
; VGPRBlocks: 0
; NumSGPRsForWavesPerEU: 4
; NumVGPRsForWavesPerEU: 1
; AccumOffset: 4
; Occupancy: 8
; WaveLimiterHint : 0
; COMPUTE_PGM_RSRC2:SCRATCH_EN: 0
; COMPUTE_PGM_RSRC2:USER_SGPR: 6
; COMPUTE_PGM_RSRC2:TRAP_HANDLER: 0
; COMPUTE_PGM_RSRC2:TGID_X_EN: 1
; COMPUTE_PGM_RSRC2:TGID_Y_EN: 0
; COMPUTE_PGM_RSRC2:TGID_Z_EN: 0
; COMPUTE_PGM_RSRC2:TIDIG_COMP_CNT: 0
; COMPUTE_PGM_RSRC3_GFX90A:ACCUM_OFFSET: 0
; COMPUTE_PGM_RSRC3_GFX90A:TG_SPLIT: 0
	.section	.text._ZN7rocprim17ROCPRIM_400000_NS6detail17trampoline_kernelINS0_14default_configENS1_27scan_by_key_config_selectorIssEEZZNS1_16scan_by_key_implILNS1_25lookback_scan_determinismE0ELb1ES3_N6thrust23THRUST_200600_302600_NS6detail15normal_iteratorINS9_10device_ptrIsEEEESE_SE_sNS9_10multipliesIsEENS9_8equal_toIsEEsEE10hipError_tPvRmT2_T3_T4_T5_mT6_T7_P12ihipStream_tbENKUlT_T0_E_clISt17integral_constantIbLb1EESY_IbLb0EEEEDaSU_SV_EUlSU_E_NS1_11comp_targetILNS1_3genE4ELNS1_11target_archE910ELNS1_3gpuE8ELNS1_3repE0EEENS1_30default_config_static_selectorELNS0_4arch9wavefront6targetE1EEEvT1_,"axG",@progbits,_ZN7rocprim17ROCPRIM_400000_NS6detail17trampoline_kernelINS0_14default_configENS1_27scan_by_key_config_selectorIssEEZZNS1_16scan_by_key_implILNS1_25lookback_scan_determinismE0ELb1ES3_N6thrust23THRUST_200600_302600_NS6detail15normal_iteratorINS9_10device_ptrIsEEEESE_SE_sNS9_10multipliesIsEENS9_8equal_toIsEEsEE10hipError_tPvRmT2_T3_T4_T5_mT6_T7_P12ihipStream_tbENKUlT_T0_E_clISt17integral_constantIbLb1EESY_IbLb0EEEEDaSU_SV_EUlSU_E_NS1_11comp_targetILNS1_3genE4ELNS1_11target_archE910ELNS1_3gpuE8ELNS1_3repE0EEENS1_30default_config_static_selectorELNS0_4arch9wavefront6targetE1EEEvT1_,comdat
	.protected	_ZN7rocprim17ROCPRIM_400000_NS6detail17trampoline_kernelINS0_14default_configENS1_27scan_by_key_config_selectorIssEEZZNS1_16scan_by_key_implILNS1_25lookback_scan_determinismE0ELb1ES3_N6thrust23THRUST_200600_302600_NS6detail15normal_iteratorINS9_10device_ptrIsEEEESE_SE_sNS9_10multipliesIsEENS9_8equal_toIsEEsEE10hipError_tPvRmT2_T3_T4_T5_mT6_T7_P12ihipStream_tbENKUlT_T0_E_clISt17integral_constantIbLb1EESY_IbLb0EEEEDaSU_SV_EUlSU_E_NS1_11comp_targetILNS1_3genE4ELNS1_11target_archE910ELNS1_3gpuE8ELNS1_3repE0EEENS1_30default_config_static_selectorELNS0_4arch9wavefront6targetE1EEEvT1_ ; -- Begin function _ZN7rocprim17ROCPRIM_400000_NS6detail17trampoline_kernelINS0_14default_configENS1_27scan_by_key_config_selectorIssEEZZNS1_16scan_by_key_implILNS1_25lookback_scan_determinismE0ELb1ES3_N6thrust23THRUST_200600_302600_NS6detail15normal_iteratorINS9_10device_ptrIsEEEESE_SE_sNS9_10multipliesIsEENS9_8equal_toIsEEsEE10hipError_tPvRmT2_T3_T4_T5_mT6_T7_P12ihipStream_tbENKUlT_T0_E_clISt17integral_constantIbLb1EESY_IbLb0EEEEDaSU_SV_EUlSU_E_NS1_11comp_targetILNS1_3genE4ELNS1_11target_archE910ELNS1_3gpuE8ELNS1_3repE0EEENS1_30default_config_static_selectorELNS0_4arch9wavefront6targetE1EEEvT1_
	.globl	_ZN7rocprim17ROCPRIM_400000_NS6detail17trampoline_kernelINS0_14default_configENS1_27scan_by_key_config_selectorIssEEZZNS1_16scan_by_key_implILNS1_25lookback_scan_determinismE0ELb1ES3_N6thrust23THRUST_200600_302600_NS6detail15normal_iteratorINS9_10device_ptrIsEEEESE_SE_sNS9_10multipliesIsEENS9_8equal_toIsEEsEE10hipError_tPvRmT2_T3_T4_T5_mT6_T7_P12ihipStream_tbENKUlT_T0_E_clISt17integral_constantIbLb1EESY_IbLb0EEEEDaSU_SV_EUlSU_E_NS1_11comp_targetILNS1_3genE4ELNS1_11target_archE910ELNS1_3gpuE8ELNS1_3repE0EEENS1_30default_config_static_selectorELNS0_4arch9wavefront6targetE1EEEvT1_
	.p2align	8
	.type	_ZN7rocprim17ROCPRIM_400000_NS6detail17trampoline_kernelINS0_14default_configENS1_27scan_by_key_config_selectorIssEEZZNS1_16scan_by_key_implILNS1_25lookback_scan_determinismE0ELb1ES3_N6thrust23THRUST_200600_302600_NS6detail15normal_iteratorINS9_10device_ptrIsEEEESE_SE_sNS9_10multipliesIsEENS9_8equal_toIsEEsEE10hipError_tPvRmT2_T3_T4_T5_mT6_T7_P12ihipStream_tbENKUlT_T0_E_clISt17integral_constantIbLb1EESY_IbLb0EEEEDaSU_SV_EUlSU_E_NS1_11comp_targetILNS1_3genE4ELNS1_11target_archE910ELNS1_3gpuE8ELNS1_3repE0EEENS1_30default_config_static_selectorELNS0_4arch9wavefront6targetE1EEEvT1_,@function
_ZN7rocprim17ROCPRIM_400000_NS6detail17trampoline_kernelINS0_14default_configENS1_27scan_by_key_config_selectorIssEEZZNS1_16scan_by_key_implILNS1_25lookback_scan_determinismE0ELb1ES3_N6thrust23THRUST_200600_302600_NS6detail15normal_iteratorINS9_10device_ptrIsEEEESE_SE_sNS9_10multipliesIsEENS9_8equal_toIsEEsEE10hipError_tPvRmT2_T3_T4_T5_mT6_T7_P12ihipStream_tbENKUlT_T0_E_clISt17integral_constantIbLb1EESY_IbLb0EEEEDaSU_SV_EUlSU_E_NS1_11comp_targetILNS1_3genE4ELNS1_11target_archE910ELNS1_3gpuE8ELNS1_3repE0EEENS1_30default_config_static_selectorELNS0_4arch9wavefront6targetE1EEEvT1_: ; @_ZN7rocprim17ROCPRIM_400000_NS6detail17trampoline_kernelINS0_14default_configENS1_27scan_by_key_config_selectorIssEEZZNS1_16scan_by_key_implILNS1_25lookback_scan_determinismE0ELb1ES3_N6thrust23THRUST_200600_302600_NS6detail15normal_iteratorINS9_10device_ptrIsEEEESE_SE_sNS9_10multipliesIsEENS9_8equal_toIsEEsEE10hipError_tPvRmT2_T3_T4_T5_mT6_T7_P12ihipStream_tbENKUlT_T0_E_clISt17integral_constantIbLb1EESY_IbLb0EEEEDaSU_SV_EUlSU_E_NS1_11comp_targetILNS1_3genE4ELNS1_11target_archE910ELNS1_3gpuE8ELNS1_3repE0EEENS1_30default_config_static_selectorELNS0_4arch9wavefront6targetE1EEEvT1_
; %bb.0:
	s_load_dwordx8 s[44:51], s[4:5], 0x0
	s_load_dword s7, s[4:5], 0x20
	s_load_dwordx4 s[52:55], s[4:5], 0x28
	s_load_dwordx2 s[64:65], s[4:5], 0x38
	s_load_dword s0, s[4:5], 0x40
	s_load_dwordx4 s[56:59], s[4:5], 0x48
	s_waitcnt lgkmcnt(0)
	s_lshl_b64 s[60:61], s[46:47], 1
	s_add_u32 s2, s44, s60
	s_addc_u32 s3, s45, s61
	s_add_u32 s4, s48, s60
	s_mul_i32 s1, s65, s0
	s_mul_hi_u32 s8, s64, s0
	s_addc_u32 s5, s49, s61
	s_add_i32 s8, s8, s1
	s_mul_i32 s9, s64, s0
	s_mul_i32 s0, s6, 0x1600
	s_mov_b32 s1, 0
	s_lshl_b64 s[62:63], s[0:1], 1
	s_add_u32 s66, s2, s62
	s_addc_u32 s67, s3, s63
	s_add_u32 s55, s4, s62
	s_addc_u32 s72, s5, s63
	;; [unrolled: 2-line block ×3, first 2 shown]
	s_add_u32 s4, s56, -1
	s_addc_u32 s5, s57, -1
	v_pk_mov_b32 v[2:3], s[4:5], s[4:5] op_sel:[0,1]
	v_cmp_ge_u64_e64 s[0:1], s[0:1], v[2:3]
	s_mov_b64 s[2:3], -1
	s_and_b64 vcc, exec, s[0:1]
	s_mul_i32 s33, s4, 0xffffea00
	s_barrier
	s_cbranch_vccz .LBB626_116
; %bb.1:
	v_pk_mov_b32 v[2:3], s[66:67], s[66:67] op_sel:[0,1]
	flat_load_ushort v6, v[2:3]
	s_add_i32 s74, s33, s54
	v_cmp_gt_u32_e32 vcc, s74, v0
	s_waitcnt vmcnt(0) lgkmcnt(0)
	v_mov_b32_e32 v7, v6
	s_and_saveexec_b64 s[4:5], vcc
	s_cbranch_execz .LBB626_3
; %bb.2:
	v_lshlrev_b32_e32 v1, 1, v0
	v_mov_b32_e32 v3, s67
	v_add_co_u32_e64 v2, s[2:3], s66, v1
	v_addc_co_u32_e64 v3, s[2:3], 0, v3, s[2:3]
	flat_load_ushort v7, v[2:3]
.LBB626_3:
	s_or_b64 exec, exec, s[4:5]
	v_or_b32_e32 v1, 0x100, v0
	v_cmp_gt_u32_e64 s[2:3], s74, v1
	v_mov_b32_e32 v8, v6
	s_and_saveexec_b64 s[8:9], s[2:3]
	s_cbranch_execz .LBB626_5
; %bb.4:
	v_lshlrev_b32_e32 v1, 1, v0
	v_mov_b32_e32 v3, s67
	v_add_co_u32_e64 v2, s[4:5], s66, v1
	v_addc_co_u32_e64 v3, s[4:5], 0, v3, s[4:5]
	flat_load_ushort v8, v[2:3] offset:512
.LBB626_5:
	s_or_b64 exec, exec, s[8:9]
	v_or_b32_e32 v1, 0x200, v0
	v_cmp_gt_u32_e64 s[4:5], s74, v1
	v_mov_b32_e32 v9, v6
	s_and_saveexec_b64 s[10:11], s[4:5]
	s_cbranch_execz .LBB626_7
; %bb.6:
	v_lshlrev_b32_e32 v1, 1, v0
	v_mov_b32_e32 v3, s67
	v_add_co_u32_e64 v2, s[8:9], s66, v1
	v_addc_co_u32_e64 v3, s[8:9], 0, v3, s[8:9]
	flat_load_ushort v9, v[2:3] offset:1024
.LBB626_7:
	;; [unrolled: 13-line block ×7, first 2 shown]
	s_or_b64 exec, exec, s[18:19]
	v_or_b32_e32 v1, 0x800, v0
	v_cmp_gt_u32_e64 s[16:17], s74, v1
	v_mov_b32_e32 v15, v6
	s_and_saveexec_b64 s[20:21], s[16:17]
	s_cbranch_execz .LBB626_19
; %bb.18:
	v_lshlrev_b32_e32 v2, 1, v1
	v_mov_b32_e32 v3, s67
	v_add_co_u32_e64 v2, s[18:19], s66, v2
	v_addc_co_u32_e64 v3, s[18:19], 0, v3, s[18:19]
	flat_load_ushort v15, v[2:3]
.LBB626_19:
	s_or_b64 exec, exec, s[20:21]
	v_or_b32_e32 v2, 0x900, v0
	v_cmp_gt_u32_e64 s[18:19], s74, v2
	v_mov_b32_e32 v26, v6
	s_and_saveexec_b64 s[22:23], s[18:19]
	s_cbranch_execz .LBB626_21
; %bb.20:
	v_lshlrev_b32_e32 v3, 1, v2
	v_mov_b32_e32 v5, s67
	v_add_co_u32_e64 v4, s[20:21], s66, v3
	v_addc_co_u32_e64 v5, s[20:21], 0, v5, s[20:21]
	flat_load_ushort v26, v[4:5]
.LBB626_21:
	;; [unrolled: 13-line block ×13, first 2 shown]
	s_or_b64 exec, exec, s[48:49]
	v_or_b32_e32 v25, 0x1500, v0
	v_cmp_gt_u32_e64 s[44:45], s74, v25
	s_and_saveexec_b64 s[56:57], s[44:45]
	s_cbranch_execz .LBB626_45
; %bb.44:
	v_lshlrev_b32_e32 v6, 1, v25
	v_mov_b32_e32 v18, s67
	v_add_co_u32_e64 v38, s[48:49], s66, v6
	v_addc_co_u32_e64 v39, s[48:49], 0, v18, s[48:49]
	flat_load_ushort v6, v[38:39]
.LBB626_45:
	s_or_b64 exec, exec, s[56:57]
	v_lshlrev_b32_e32 v18, 1, v0
	s_waitcnt vmcnt(0) lgkmcnt(0)
	ds_write_b16 v18, v7
	ds_write_b16 v18, v8 offset:512
	ds_write_b16 v18, v9 offset:1024
	;; [unrolled: 1-line block ×21, first 2 shown]
	v_pk_mov_b32 v[6:7], s[66:67], s[66:67] op_sel:[0,1]
	s_waitcnt lgkmcnt(0)
	s_barrier
	flat_load_ushort v36, v[6:7]
	v_mad_u32_u24 v38, v0, 42, v18
	s_movk_i32 s48, 0xffd6
	v_mad_i32_i24 v26, v0, s48, v38
	s_movk_i32 s48, 0xff
	v_cmp_ne_u32_e64 s[48:49], s48, v0
	ds_read2_b32 v[14:15], v38 offset1:1
	ds_read2_b32 v[12:13], v38 offset0:2 offset1:3
	ds_read2_b32 v[10:11], v38 offset0:4 offset1:5
	;; [unrolled: 1-line block ×4, first 2 shown]
	ds_read_b32 v39, v38 offset:40
	s_waitcnt lgkmcnt(0)
	ds_write_b16 v26, v14 offset:11776
	s_waitcnt lgkmcnt(0)
	s_barrier
	s_and_saveexec_b64 s[56:57], s[48:49]
	s_cbranch_execz .LBB626_47
; %bb.46:
	s_waitcnt vmcnt(0)
	ds_read_u16 v36, v18 offset:11778
.LBB626_47:
	s_or_b64 exec, exec, s[56:57]
	s_waitcnt lgkmcnt(0)
	s_barrier
	s_waitcnt lgkmcnt(0)
                                        ; implicit-def: $vgpr26
	s_and_saveexec_b64 s[48:49], vcc
	s_cbranch_execz .LBB626_189
; %bb.48:
	v_mov_b32_e32 v27, s72
	v_add_co_u32_e32 v26, vcc, s55, v18
	v_addc_co_u32_e32 v27, vcc, 0, v27, vcc
	flat_load_ushort v26, v[26:27]
	s_or_b64 exec, exec, s[48:49]
                                        ; implicit-def: $vgpr27
	s_and_saveexec_b64 s[48:49], s[2:3]
	s_cbranch_execnz .LBB626_190
.LBB626_49:
	s_or_b64 exec, exec, s[48:49]
                                        ; implicit-def: $vgpr28
	s_and_saveexec_b64 s[2:3], s[4:5]
	s_cbranch_execz .LBB626_191
.LBB626_50:
	v_mov_b32_e32 v29, s72
	v_add_co_u32_e32 v28, vcc, s55, v18
	v_addc_co_u32_e32 v29, vcc, 0, v29, vcc
	flat_load_ushort v28, v[28:29] offset:1024
	s_or_b64 exec, exec, s[2:3]
                                        ; implicit-def: $vgpr29
	s_and_saveexec_b64 s[2:3], s[46:47]
	s_cbranch_execnz .LBB626_192
.LBB626_51:
	s_or_b64 exec, exec, s[2:3]
                                        ; implicit-def: $vgpr30
	s_and_saveexec_b64 s[2:3], s[8:9]
	s_cbranch_execz .LBB626_193
.LBB626_52:
	v_mov_b32_e32 v31, s72
	v_add_co_u32_e32 v30, vcc, s55, v18
	v_addc_co_u32_e32 v31, vcc, 0, v31, vcc
	flat_load_ushort v30, v[30:31] offset:2048
	s_or_b64 exec, exec, s[2:3]
                                        ; implicit-def: $vgpr31
	s_and_saveexec_b64 s[2:3], s[10:11]
	s_cbranch_execnz .LBB626_194
.LBB626_53:
	s_or_b64 exec, exec, s[2:3]
                                        ; implicit-def: $vgpr32
	s_and_saveexec_b64 s[2:3], s[12:13]
	s_cbranch_execz .LBB626_195
.LBB626_54:
	v_mov_b32_e32 v33, s72
	v_add_co_u32_e32 v32, vcc, s55, v18
	v_addc_co_u32_e32 v33, vcc, 0, v33, vcc
	flat_load_ushort v32, v[32:33] offset:3072
	s_or_b64 exec, exec, s[2:3]
                                        ; implicit-def: $vgpr33
	s_and_saveexec_b64 s[2:3], s[14:15]
	s_cbranch_execnz .LBB626_196
.LBB626_55:
	s_or_b64 exec, exec, s[2:3]
                                        ; implicit-def: $vgpr34
	s_and_saveexec_b64 s[2:3], s[16:17]
	s_cbranch_execz .LBB626_197
.LBB626_56:
	v_lshlrev_b32_e32 v1, 1, v1
	v_mov_b32_e32 v35, s72
	v_add_co_u32_e32 v34, vcc, s55, v1
	v_addc_co_u32_e32 v35, vcc, 0, v35, vcc
	flat_load_ushort v34, v[34:35]
	s_or_b64 exec, exec, s[2:3]
                                        ; implicit-def: $vgpr1
	s_and_saveexec_b64 s[2:3], s[18:19]
	s_cbranch_execnz .LBB626_198
.LBB626_57:
	s_or_b64 exec, exec, s[2:3]
                                        ; implicit-def: $vgpr2
	s_and_saveexec_b64 s[2:3], s[20:21]
	s_cbranch_execz .LBB626_199
.LBB626_58:
	v_lshlrev_b32_e32 v2, 1, v3
	v_mov_b32_e32 v3, s72
	v_add_co_u32_e32 v2, vcc, s55, v2
	v_addc_co_u32_e32 v3, vcc, 0, v3, vcc
	flat_load_ushort v2, v[2:3]
	s_or_b64 exec, exec, s[2:3]
                                        ; implicit-def: $vgpr3
	s_and_saveexec_b64 s[2:3], s[22:23]
	s_cbranch_execnz .LBB626_200
.LBB626_59:
	s_or_b64 exec, exec, s[2:3]
                                        ; implicit-def: $vgpr4
	s_and_saveexec_b64 s[2:3], s[24:25]
	s_cbranch_execz .LBB626_201
.LBB626_60:
	v_lshlrev_b32_e32 v4, 1, v5
	v_mov_b32_e32 v5, s72
	v_add_co_u32_e32 v4, vcc, s55, v4
	v_addc_co_u32_e32 v5, vcc, 0, v5, vcc
	flat_load_ushort v4, v[4:5]
	s_or_b64 exec, exec, s[2:3]
                                        ; implicit-def: $vgpr5
	s_and_saveexec_b64 s[2:3], s[26:27]
	s_cbranch_execnz .LBB626_202
.LBB626_61:
	s_or_b64 exec, exec, s[2:3]
                                        ; implicit-def: $vgpr16
	s_and_saveexec_b64 s[2:3], s[28:29]
	s_cbranch_execz .LBB626_203
.LBB626_62:
	v_lshlrev_b32_e32 v16, 1, v17
	v_mov_b32_e32 v17, s72
	v_add_co_u32_e32 v16, vcc, s55, v16
	v_addc_co_u32_e32 v17, vcc, 0, v17, vcc
	flat_load_ushort v16, v[16:17]
	s_or_b64 exec, exec, s[2:3]
                                        ; implicit-def: $vgpr17
	s_and_saveexec_b64 s[2:3], s[30:31]
	s_cbranch_execnz .LBB626_204
.LBB626_63:
	s_or_b64 exec, exec, s[2:3]
                                        ; implicit-def: $vgpr19
	s_and_saveexec_b64 s[2:3], s[34:35]
	s_cbranch_execz .LBB626_205
.LBB626_64:
	v_lshlrev_b32_e32 v19, 1, v20
	v_mov_b32_e32 v20, s72
	v_add_co_u32_e32 v40, vcc, s55, v19
	v_addc_co_u32_e32 v41, vcc, 0, v20, vcc
	flat_load_ushort v19, v[40:41]
	s_or_b64 exec, exec, s[2:3]
                                        ; implicit-def: $vgpr20
	s_and_saveexec_b64 s[2:3], s[36:37]
	s_cbranch_execnz .LBB626_206
.LBB626_65:
	s_or_b64 exec, exec, s[2:3]
                                        ; implicit-def: $vgpr21
	s_and_saveexec_b64 s[2:3], s[38:39]
	s_cbranch_execz .LBB626_207
.LBB626_66:
	v_lshlrev_b32_e32 v21, 1, v22
	v_mov_b32_e32 v22, s72
	v_add_co_u32_e32 v40, vcc, s55, v21
	v_addc_co_u32_e32 v41, vcc, 0, v22, vcc
	flat_load_ushort v21, v[40:41]
	s_or_b64 exec, exec, s[2:3]
                                        ; implicit-def: $vgpr22
	s_and_saveexec_b64 s[2:3], s[40:41]
	s_cbranch_execnz .LBB626_208
.LBB626_67:
	s_or_b64 exec, exec, s[2:3]
                                        ; implicit-def: $vgpr23
	s_and_saveexec_b64 s[2:3], s[42:43]
	s_cbranch_execz .LBB626_69
.LBB626_68:
	v_lshlrev_b32_e32 v23, 1, v24
	v_mov_b32_e32 v24, s72
	v_add_co_u32_e32 v40, vcc, s55, v23
	v_addc_co_u32_e32 v41, vcc, 0, v24, vcc
	flat_load_ushort v23, v[40:41]
.LBB626_69:
	s_or_b64 exec, exec, s[2:3]
	v_mul_u32_u24_e32 v40, 22, v0
                                        ; implicit-def: $vgpr24
	s_and_saveexec_b64 s[2:3], s[44:45]
	s_cbranch_execz .LBB626_71
; %bb.70:
	v_lshlrev_b32_e32 v24, 1, v25
	v_mov_b32_e32 v25, s72
	v_add_co_u32_e32 v24, vcc, s55, v24
	v_addc_co_u32_e32 v25, vcc, 0, v25, vcc
	flat_load_ushort v24, v[24:25]
.LBB626_71:
	s_or_b64 exec, exec, s[2:3]
	s_waitcnt vmcnt(0) lgkmcnt(0)
	ds_write_b16 v18, v26
	ds_write_b16 v18, v27 offset:512
	ds_write_b16 v18, v28 offset:1024
	;; [unrolled: 1-line block ×21, first 2 shown]
	v_cmp_gt_u32_e32 vcc, s74, v40
	s_mov_b64 s[2:3], 0
	s_mov_b32 s73, 0
	v_mov_b32_e32 v1, 0
	s_mov_b64 s[10:11], 0
	v_mov_b32_e32 v18, 0
	v_mov_b32_e32 v22, 0
	v_mov_b32_e32 v19, 0
	v_mov_b32_e32 v23, 0
	v_mov_b32_e32 v16, 0
	v_mov_b32_e32 v24, 0
	v_mov_b32_e32 v17, 0
	v_mov_b32_e32 v25, 0
	v_mov_b32_e32 v26, 0
	v_mov_b32_e32 v27, 0
	v_mov_b32_e32 v28, 0
	v_mov_b32_e32 v29, 0
	v_mov_b32_e32 v30, 0
	v_mov_b32_e32 v31, 0
	v_mov_b32_e32 v32, 0
	v_mov_b32_e32 v33, 0
	v_mov_b32_e32 v20, 0
	v_mov_b32_e32 v34, 0
	v_mov_b32_e32 v21, 0
	v_mov_b32_e32 v35, 0
	s_waitcnt lgkmcnt(0)
	s_barrier
	s_waitcnt lgkmcnt(0)
                                        ; implicit-def: $sgpr8_sgpr9
                                        ; implicit-def: $vgpr37
	s_and_saveexec_b64 s[4:5], vcc
	s_cbranch_execz .LBB626_115
; %bb.72:
	ds_read_u16 v1, v38
	v_mov_b32_e32 v3, s7
	v_cmp_eq_u16_sdwa vcc, v14, v14 src0_sel:DWORD src1_sel:WORD_1
	v_cmp_ne_u16_sdwa s[8:9], v14, v14 src0_sel:DWORD src1_sel:WORD_1
	v_or_b32_e32 v2, 1, v40
	s_waitcnt lgkmcnt(0)
	v_cndmask_b32_e32 v1, v3, v1, vcc
	v_and_b32_e32 v1, 0xffff, v1
	v_cndmask_b32_e64 v3, 0, 1, s[8:9]
	v_lshl_or_b32 v1, v3, 16, v1
	v_cmp_gt_u32_e32 vcc, s74, v2
	v_mov_b32_e32 v18, 0
	v_mov_b32_e32 v22, 0
	;; [unrolled: 1-line block ×20, first 2 shown]
                                        ; implicit-def: $sgpr12_sgpr13
                                        ; implicit-def: $vgpr37
	s_and_saveexec_b64 s[8:9], vcc
	s_cbranch_execz .LBB626_114
; %bb.73:
	ds_read_b128 v[2:5], v38 offset:2
	v_mov_b32_e32 v17, s7
	v_cmp_eq_u16_sdwa vcc, v14, v15 src0_sel:WORD_1 src1_sel:DWORD
	v_cmp_ne_u16_sdwa s[10:11], v14, v15 src0_sel:WORD_1 src1_sel:DWORD
	v_add_u32_e32 v16, 2, v40
	s_waitcnt lgkmcnt(0)
	v_cndmask_b32_e32 v17, v17, v2, vcc
	v_and_b32_e32 v17, 0xffff, v17
	v_cndmask_b32_e64 v14, 0, 1, s[10:11]
	v_lshl_or_b32 v18, v14, 16, v17
	v_cmp_gt_u32_e32 vcc, s74, v16
	s_mov_b64 s[14:15], 0
	v_mov_b32_e32 v22, 0
	v_mov_b32_e32 v19, 0
	;; [unrolled: 1-line block ×19, first 2 shown]
                                        ; implicit-def: $sgpr12_sgpr13
                                        ; implicit-def: $vgpr37
	s_and_saveexec_b64 s[10:11], vcc
	s_cbranch_execz .LBB626_113
; %bb.74:
	v_lshrrev_b32_e32 v2, 16, v2
	v_mov_b32_e32 v16, s7
	v_cmp_eq_u16_sdwa vcc, v15, v15 src0_sel:DWORD src1_sel:WORD_1
	v_cndmask_b32_e32 v2, v16, v2, vcc
	v_cmp_ne_u16_sdwa s[12:13], v15, v15 src0_sel:DWORD src1_sel:WORD_1
	v_add_u32_e32 v14, 3, v40
	v_and_b32_e32 v2, 0xffff, v2
	v_cndmask_b32_e64 v16, 0, 1, s[12:13]
	v_lshl_or_b32 v22, v16, 16, v2
	v_cmp_gt_u32_e32 vcc, s74, v14
	v_mov_b32_e32 v19, 0
	v_mov_b32_e32 v23, 0
	;; [unrolled: 1-line block ×18, first 2 shown]
                                        ; implicit-def: $sgpr16_sgpr17
                                        ; implicit-def: $vgpr37
	s_and_saveexec_b64 s[12:13], vcc
	s_cbranch_execz .LBB626_112
; %bb.75:
	v_mov_b32_e32 v14, s7
	v_cmp_eq_u16_sdwa vcc, v15, v12 src0_sel:WORD_1 src1_sel:DWORD
	v_cndmask_b32_e32 v14, v14, v3, vcc
	v_cmp_ne_u16_sdwa s[14:15], v15, v12 src0_sel:WORD_1 src1_sel:DWORD
	v_add_u32_e32 v2, 4, v40
	v_and_b32_e32 v14, 0xffff, v14
	v_cndmask_b32_e64 v15, 0, 1, s[14:15]
	v_lshl_or_b32 v19, v15, 16, v14
	v_cmp_gt_u32_e32 vcc, s74, v2
	s_mov_b64 s[18:19], 0
	v_mov_b32_e32 v23, 0
	v_mov_b32_e32 v16, 0
	;; [unrolled: 1-line block ×17, first 2 shown]
                                        ; implicit-def: $sgpr16_sgpr17
                                        ; implicit-def: $vgpr37
	s_and_saveexec_b64 s[14:15], vcc
	s_cbranch_execz .LBB626_111
; %bb.76:
	v_lshrrev_b32_e32 v2, 16, v3
	v_mov_b32_e32 v14, s7
	v_cmp_eq_u16_sdwa vcc, v12, v12 src0_sel:DWORD src1_sel:WORD_1
	v_cndmask_b32_e32 v2, v14, v2, vcc
	v_cmp_ne_u16_sdwa s[16:17], v12, v12 src0_sel:DWORD src1_sel:WORD_1
	v_add_u32_e32 v3, 5, v40
	v_and_b32_e32 v2, 0xffff, v2
	v_cndmask_b32_e64 v14, 0, 1, s[16:17]
	v_lshl_or_b32 v23, v14, 16, v2
	v_cmp_gt_u32_e32 vcc, s74, v3
	v_mov_b32_e32 v16, 0
	v_mov_b32_e32 v24, 0
	;; [unrolled: 1-line block ×16, first 2 shown]
                                        ; implicit-def: $sgpr20_sgpr21
                                        ; implicit-def: $vgpr37
	s_and_saveexec_b64 s[16:17], vcc
	s_cbranch_execz .LBB626_110
; %bb.77:
	v_mov_b32_e32 v3, s7
	v_cmp_eq_u16_sdwa vcc, v12, v13 src0_sel:WORD_1 src1_sel:DWORD
	v_cndmask_b32_e32 v3, v3, v4, vcc
	v_cmp_ne_u16_sdwa s[18:19], v12, v13 src0_sel:WORD_1 src1_sel:DWORD
	v_add_u32_e32 v2, 6, v40
	v_and_b32_e32 v3, 0xffff, v3
	v_cndmask_b32_e64 v12, 0, 1, s[18:19]
	v_lshl_or_b32 v16, v12, 16, v3
	v_cmp_gt_u32_e32 vcc, s74, v2
	s_mov_b64 s[22:23], 0
	v_mov_b32_e32 v24, 0
	v_mov_b32_e32 v17, 0
	;; [unrolled: 1-line block ×15, first 2 shown]
                                        ; implicit-def: $sgpr20_sgpr21
                                        ; implicit-def: $vgpr37
	s_and_saveexec_b64 s[18:19], vcc
	s_cbranch_execz .LBB626_109
; %bb.78:
	v_lshrrev_b32_e32 v2, 16, v4
	v_mov_b32_e32 v4, s7
	v_cmp_eq_u16_sdwa vcc, v13, v13 src0_sel:DWORD src1_sel:WORD_1
	v_cndmask_b32_e32 v2, v4, v2, vcc
	v_cmp_ne_u16_sdwa s[20:21], v13, v13 src0_sel:DWORD src1_sel:WORD_1
	v_add_u32_e32 v3, 7, v40
	v_and_b32_e32 v2, 0xffff, v2
	v_cndmask_b32_e64 v4, 0, 1, s[20:21]
	v_lshl_or_b32 v24, v4, 16, v2
	v_cmp_gt_u32_e32 vcc, s74, v3
	v_mov_b32_e32 v17, 0
	v_mov_b32_e32 v25, 0
	;; [unrolled: 1-line block ×14, first 2 shown]
                                        ; implicit-def: $sgpr24_sgpr25
                                        ; implicit-def: $vgpr37
	s_and_saveexec_b64 s[20:21], vcc
	s_cbranch_execz .LBB626_108
; %bb.79:
	v_mov_b32_e32 v3, s7
	v_cmp_eq_u16_sdwa vcc, v13, v10 src0_sel:WORD_1 src1_sel:DWORD
	v_cndmask_b32_e32 v3, v3, v5, vcc
	v_cmp_ne_u16_sdwa s[22:23], v13, v10 src0_sel:WORD_1 src1_sel:DWORD
	v_add_u32_e32 v2, 8, v40
	v_and_b32_e32 v3, 0xffff, v3
	v_cndmask_b32_e64 v4, 0, 1, s[22:23]
	v_lshl_or_b32 v17, v4, 16, v3
	v_cmp_gt_u32_e32 vcc, s74, v2
	s_mov_b64 s[26:27], 0
	v_mov_b32_e32 v25, 0
	v_mov_b32_e32 v26, 0
	;; [unrolled: 1-line block ×13, first 2 shown]
                                        ; implicit-def: $sgpr24_sgpr25
                                        ; implicit-def: $vgpr37
	s_and_saveexec_b64 s[22:23], vcc
	s_cbranch_execz .LBB626_107
; %bb.80:
	v_lshrrev_b32_e32 v2, 16, v5
	v_mov_b32_e32 v4, s7
	v_cmp_eq_u16_sdwa vcc, v10, v10 src0_sel:DWORD src1_sel:WORD_1
	v_cndmask_b32_e32 v2, v4, v2, vcc
	v_cmp_ne_u16_sdwa s[24:25], v10, v10 src0_sel:DWORD src1_sel:WORD_1
	v_add_u32_e32 v3, 9, v40
	v_and_b32_e32 v2, 0xffff, v2
	v_cndmask_b32_e64 v4, 0, 1, s[24:25]
	v_lshl_or_b32 v25, v4, 16, v2
	v_cmp_gt_u32_e32 vcc, s74, v3
	v_mov_b32_e32 v26, 0
	v_mov_b32_e32 v27, 0
	;; [unrolled: 1-line block ×12, first 2 shown]
                                        ; implicit-def: $sgpr28_sgpr29
                                        ; implicit-def: $vgpr37
	s_and_saveexec_b64 s[24:25], vcc
	s_cbranch_execz .LBB626_106
; %bb.81:
	ds_read_b128 v[2:5], v38 offset:18
	v_mov_b32_e32 v13, s7
	v_cmp_eq_u16_sdwa vcc, v10, v11 src0_sel:WORD_1 src1_sel:DWORD
	v_cmp_ne_u16_sdwa s[26:27], v10, v11 src0_sel:WORD_1 src1_sel:DWORD
	v_add_u32_e32 v12, 10, v40
	s_waitcnt lgkmcnt(0)
	v_cndmask_b32_e32 v13, v13, v2, vcc
	v_and_b32_e32 v13, 0xffff, v13
	v_cndmask_b32_e64 v10, 0, 1, s[26:27]
	v_lshl_or_b32 v26, v10, 16, v13
	v_cmp_gt_u32_e32 vcc, s74, v12
	s_mov_b64 s[30:31], 0
	v_mov_b32_e32 v27, 0
	v_mov_b32_e32 v28, 0
	;; [unrolled: 1-line block ×11, first 2 shown]
                                        ; implicit-def: $sgpr28_sgpr29
                                        ; implicit-def: $vgpr37
	s_and_saveexec_b64 s[26:27], vcc
	s_cbranch_execz .LBB626_105
; %bb.82:
	v_lshrrev_b32_e32 v2, 16, v2
	v_mov_b32_e32 v12, s7
	v_cmp_eq_u16_sdwa vcc, v11, v11 src0_sel:DWORD src1_sel:WORD_1
	v_cndmask_b32_e32 v2, v12, v2, vcc
	v_cmp_ne_u16_sdwa s[28:29], v11, v11 src0_sel:DWORD src1_sel:WORD_1
	v_add_u32_e32 v10, 11, v40
	v_and_b32_e32 v2, 0xffff, v2
	v_cndmask_b32_e64 v12, 0, 1, s[28:29]
	v_lshl_or_b32 v27, v12, 16, v2
	v_cmp_gt_u32_e32 vcc, s74, v10
	v_mov_b32_e32 v28, 0
	v_mov_b32_e32 v29, 0
	;; [unrolled: 1-line block ×10, first 2 shown]
                                        ; implicit-def: $sgpr34_sgpr35
                                        ; implicit-def: $vgpr37
	s_and_saveexec_b64 s[28:29], vcc
	s_cbranch_execz .LBB626_104
; %bb.83:
	v_mov_b32_e32 v10, s7
	v_cmp_eq_u16_sdwa vcc, v11, v8 src0_sel:WORD_1 src1_sel:DWORD
	v_cndmask_b32_e32 v10, v10, v3, vcc
	v_cmp_ne_u16_sdwa s[30:31], v11, v8 src0_sel:WORD_1 src1_sel:DWORD
	v_add_u32_e32 v2, 12, v40
	v_and_b32_e32 v10, 0xffff, v10
	v_cndmask_b32_e64 v11, 0, 1, s[30:31]
	v_lshl_or_b32 v28, v11, 16, v10
	v_cmp_gt_u32_e32 vcc, s74, v2
	s_mov_b64 s[36:37], 0
	v_mov_b32_e32 v29, 0
	v_mov_b32_e32 v30, 0
	;; [unrolled: 1-line block ×9, first 2 shown]
                                        ; implicit-def: $sgpr34_sgpr35
                                        ; implicit-def: $vgpr37
	s_and_saveexec_b64 s[30:31], vcc
	s_cbranch_execz .LBB626_103
; %bb.84:
	v_lshrrev_b32_e32 v2, 16, v3
	v_mov_b32_e32 v10, s7
	v_cmp_eq_u16_sdwa vcc, v8, v8 src0_sel:DWORD src1_sel:WORD_1
	v_cndmask_b32_e32 v2, v10, v2, vcc
	v_cmp_ne_u16_sdwa s[34:35], v8, v8 src0_sel:DWORD src1_sel:WORD_1
	v_add_u32_e32 v3, 13, v40
	v_and_b32_e32 v2, 0xffff, v2
	v_cndmask_b32_e64 v10, 0, 1, s[34:35]
	v_lshl_or_b32 v29, v10, 16, v2
	v_cmp_gt_u32_e32 vcc, s74, v3
	v_mov_b32_e32 v30, 0
	v_mov_b32_e32 v31, 0
	;; [unrolled: 1-line block ×8, first 2 shown]
                                        ; implicit-def: $sgpr38_sgpr39
                                        ; implicit-def: $vgpr37
	s_and_saveexec_b64 s[34:35], vcc
	s_cbranch_execz .LBB626_102
; %bb.85:
	v_mov_b32_e32 v3, s7
	v_cmp_eq_u16_sdwa vcc, v8, v9 src0_sel:WORD_1 src1_sel:DWORD
	v_cndmask_b32_e32 v3, v3, v4, vcc
	v_cmp_ne_u16_sdwa s[36:37], v8, v9 src0_sel:WORD_1 src1_sel:DWORD
	v_add_u32_e32 v2, 14, v40
	v_and_b32_e32 v3, 0xffff, v3
	v_cndmask_b32_e64 v8, 0, 1, s[36:37]
	v_lshl_or_b32 v30, v8, 16, v3
	v_cmp_gt_u32_e32 vcc, s74, v2
	s_mov_b64 s[40:41], 0
	v_mov_b32_e32 v31, 0
	v_mov_b32_e32 v32, 0
	;; [unrolled: 1-line block ×7, first 2 shown]
                                        ; implicit-def: $sgpr38_sgpr39
                                        ; implicit-def: $vgpr37
	s_and_saveexec_b64 s[36:37], vcc
	s_cbranch_execz .LBB626_101
; %bb.86:
	v_lshrrev_b32_e32 v2, 16, v4
	v_mov_b32_e32 v4, s7
	v_cmp_eq_u16_sdwa vcc, v9, v9 src0_sel:DWORD src1_sel:WORD_1
	v_cndmask_b32_e32 v2, v4, v2, vcc
	v_cmp_ne_u16_sdwa s[38:39], v9, v9 src0_sel:DWORD src1_sel:WORD_1
	v_add_u32_e32 v3, 15, v40
	v_and_b32_e32 v2, 0xffff, v2
	v_cndmask_b32_e64 v4, 0, 1, s[38:39]
	v_lshl_or_b32 v31, v4, 16, v2
	v_cmp_gt_u32_e32 vcc, s74, v3
	v_mov_b32_e32 v32, 0
	v_mov_b32_e32 v33, 0
	;; [unrolled: 1-line block ×6, first 2 shown]
                                        ; implicit-def: $sgpr42_sgpr43
                                        ; implicit-def: $vgpr37
	s_and_saveexec_b64 s[38:39], vcc
	s_cbranch_execz .LBB626_100
; %bb.87:
	v_mov_b32_e32 v3, s7
	v_cmp_eq_u16_sdwa vcc, v9, v6 src0_sel:WORD_1 src1_sel:DWORD
	v_cndmask_b32_e32 v3, v3, v5, vcc
	v_cmp_ne_u16_sdwa s[40:41], v9, v6 src0_sel:WORD_1 src1_sel:DWORD
	v_add_u32_e32 v2, 16, v40
	v_and_b32_e32 v3, 0xffff, v3
	v_cndmask_b32_e64 v4, 0, 1, s[40:41]
	v_lshl_or_b32 v32, v4, 16, v3
	v_cmp_gt_u32_e32 vcc, s74, v2
	s_mov_b64 s[44:45], 0
	v_mov_b32_e32 v33, 0
	v_mov_b32_e32 v20, 0
	;; [unrolled: 1-line block ×5, first 2 shown]
                                        ; implicit-def: $sgpr42_sgpr43
                                        ; implicit-def: $vgpr37
	s_and_saveexec_b64 s[40:41], vcc
	s_cbranch_execz .LBB626_99
; %bb.88:
	v_lshrrev_b32_e32 v2, 16, v5
	v_mov_b32_e32 v4, s7
	v_cmp_eq_u16_sdwa vcc, v6, v6 src0_sel:DWORD src1_sel:WORD_1
	v_cndmask_b32_e32 v2, v4, v2, vcc
	v_cmp_ne_u16_sdwa s[42:43], v6, v6 src0_sel:DWORD src1_sel:WORD_1
	v_add_u32_e32 v3, 17, v40
	v_and_b32_e32 v2, 0xffff, v2
	v_cndmask_b32_e64 v4, 0, 1, s[42:43]
	v_lshl_or_b32 v33, v4, 16, v2
	v_cmp_gt_u32_e32 vcc, s74, v3
	v_mov_b32_e32 v20, 0
	v_mov_b32_e32 v34, 0
	v_mov_b32_e32 v21, 0
	v_mov_b32_e32 v35, 0
                                        ; implicit-def: $sgpr46_sgpr47
                                        ; implicit-def: $vgpr37
	s_and_saveexec_b64 s[42:43], vcc
	s_cbranch_execz .LBB626_98
; %bb.89:
	ds_read_b64 v[2:3], v38 offset:34
	v_mov_b32_e32 v5, s7
	v_cmp_eq_u16_sdwa vcc, v6, v7 src0_sel:WORD_1 src1_sel:DWORD
	v_cmp_ne_u16_sdwa s[44:45], v6, v7 src0_sel:WORD_1 src1_sel:DWORD
	v_add_u32_e32 v4, 18, v40
	s_waitcnt lgkmcnt(0)
	v_cndmask_b32_e32 v5, v5, v2, vcc
	v_and_b32_e32 v5, 0xffff, v5
	v_cndmask_b32_e64 v6, 0, 1, s[44:45]
	v_lshl_or_b32 v20, v6, 16, v5
	v_cmp_gt_u32_e32 vcc, s74, v4
	s_mov_b64 s[48:49], 0
	v_mov_b32_e32 v34, 0
	v_mov_b32_e32 v21, 0
	;; [unrolled: 1-line block ×3, first 2 shown]
                                        ; implicit-def: $sgpr46_sgpr47
                                        ; implicit-def: $vgpr37
	s_and_saveexec_b64 s[44:45], vcc
	s_cbranch_execz .LBB626_97
; %bb.90:
	v_lshrrev_b32_e32 v2, 16, v2
	v_mov_b32_e32 v5, s7
	v_cmp_eq_u16_sdwa vcc, v7, v7 src0_sel:DWORD src1_sel:WORD_1
	v_cndmask_b32_e32 v2, v5, v2, vcc
	v_cmp_ne_u16_sdwa s[46:47], v7, v7 src0_sel:DWORD src1_sel:WORD_1
	v_add_u32_e32 v4, 19, v40
	v_and_b32_e32 v2, 0xffff, v2
	v_cndmask_b32_e64 v5, 0, 1, s[46:47]
	v_lshl_or_b32 v34, v5, 16, v2
	v_cmp_gt_u32_e32 vcc, s74, v4
	v_mov_b32_e32 v21, 0
	v_mov_b32_e32 v35, 0
                                        ; implicit-def: $sgpr56_sgpr57
                                        ; implicit-def: $vgpr37
	s_and_saveexec_b64 s[46:47], vcc
	s_cbranch_execz .LBB626_96
; %bb.91:
	v_mov_b32_e32 v4, s7
	v_cmp_eq_u16_sdwa vcc, v7, v39 src0_sel:WORD_1 src1_sel:DWORD
	v_cndmask_b32_e32 v4, v4, v3, vcc
	v_cmp_ne_u16_sdwa s[48:49], v7, v39 src0_sel:WORD_1 src1_sel:DWORD
	v_add_u32_e32 v2, 20, v40
	v_and_b32_e32 v4, 0xffff, v4
	v_cndmask_b32_e64 v5, 0, 1, s[48:49]
	v_lshl_or_b32 v21, v5, 16, v4
	v_cmp_gt_u32_e32 vcc, s74, v2
	s_mov_b64 s[68:69], 0
	v_mov_b32_e32 v35, 0
                                        ; implicit-def: $sgpr70_sgpr71
                                        ; implicit-def: $vgpr37
	s_and_saveexec_b64 s[48:49], vcc
	s_cbranch_execz .LBB626_95
; %bb.92:
	v_lshrrev_b32_e32 v2, 16, v3
	v_mov_b32_e32 v4, s7
	v_cmp_eq_u16_sdwa vcc, v39, v39 src0_sel:DWORD src1_sel:WORD_1
	v_cndmask_b32_e32 v2, v4, v2, vcc
	v_cmp_ne_u16_sdwa s[56:57], v39, v39 src0_sel:DWORD src1_sel:WORD_1
	v_add_u32_e32 v3, 21, v40
	v_and_b32_e32 v2, 0xffff, v2
	v_cndmask_b32_e64 v4, 0, 1, s[56:57]
	v_lshl_or_b32 v35, v4, 16, v2
	v_cmp_gt_u32_e32 vcc, s74, v3
	s_mov_b64 s[56:57], 0
                                        ; implicit-def: $sgpr68_sgpr69
                                        ; implicit-def: $vgpr37
	s_and_saveexec_b64 s[70:71], vcc
	s_xor_b64 s[70:71], exec, s[70:71]
	s_cbranch_execz .LBB626_94
; %bb.93:
	ds_read_u16 v2, v38 offset:42
	v_mov_b32_e32 v3, s7
	v_cmp_ne_u16_sdwa vcc, v39, v36 src0_sel:WORD_1 src1_sel:DWORD
	s_mov_b64 s[56:57], exec
	s_and_b64 s[68:69], vcc, exec
	s_waitcnt lgkmcnt(0)
	v_cndmask_b32_e32 v37, v2, v3, vcc
.LBB626_94:
	s_or_b64 exec, exec, s[70:71]
	s_and_b64 s[70:71], s[68:69], exec
	s_and_b64 s[68:69], s[56:57], exec
.LBB626_95:
	s_or_b64 exec, exec, s[48:49]
	s_and_b64 s[56:57], s[70:71], exec
	s_and_b64 s[48:49], s[68:69], exec
.LBB626_96:
	s_or_b64 exec, exec, s[46:47]
	s_and_b64 s[46:47], s[56:57], exec
	s_and_b64 s[48:49], s[48:49], exec
.LBB626_97:
	s_or_b64 exec, exec, s[44:45]
	s_and_b64 s[46:47], s[46:47], exec
	s_and_b64 s[44:45], s[48:49], exec
.LBB626_98:
	s_or_b64 exec, exec, s[42:43]
	s_and_b64 s[42:43], s[46:47], exec
	s_and_b64 s[44:45], s[44:45], exec
.LBB626_99:
	s_or_b64 exec, exec, s[40:41]
	s_and_b64 s[42:43], s[42:43], exec
	s_and_b64 s[40:41], s[44:45], exec
.LBB626_100:
	s_or_b64 exec, exec, s[38:39]
	s_and_b64 s[38:39], s[42:43], exec
	s_and_b64 s[40:41], s[40:41], exec
.LBB626_101:
	s_or_b64 exec, exec, s[36:37]
	s_and_b64 s[38:39], s[38:39], exec
	s_and_b64 s[36:37], s[40:41], exec
.LBB626_102:
	s_or_b64 exec, exec, s[34:35]
	s_and_b64 s[34:35], s[38:39], exec
	s_and_b64 s[36:37], s[36:37], exec
.LBB626_103:
	s_or_b64 exec, exec, s[30:31]
	s_and_b64 s[34:35], s[34:35], exec
	s_and_b64 s[30:31], s[36:37], exec
.LBB626_104:
	s_or_b64 exec, exec, s[28:29]
	s_and_b64 s[28:29], s[34:35], exec
	s_and_b64 s[30:31], s[30:31], exec
.LBB626_105:
	s_or_b64 exec, exec, s[26:27]
	s_and_b64 s[28:29], s[28:29], exec
	s_and_b64 s[26:27], s[30:31], exec
.LBB626_106:
	s_or_b64 exec, exec, s[24:25]
	s_and_b64 s[24:25], s[28:29], exec
	s_and_b64 s[26:27], s[26:27], exec
.LBB626_107:
	s_or_b64 exec, exec, s[22:23]
	s_and_b64 s[24:25], s[24:25], exec
	s_and_b64 s[22:23], s[26:27], exec
.LBB626_108:
	s_or_b64 exec, exec, s[20:21]
	s_and_b64 s[20:21], s[24:25], exec
	s_and_b64 s[22:23], s[22:23], exec
.LBB626_109:
	s_or_b64 exec, exec, s[18:19]
	s_and_b64 s[20:21], s[20:21], exec
	s_and_b64 s[18:19], s[22:23], exec
.LBB626_110:
	s_or_b64 exec, exec, s[16:17]
	s_and_b64 s[16:17], s[20:21], exec
	s_and_b64 s[18:19], s[18:19], exec
.LBB626_111:
	s_or_b64 exec, exec, s[14:15]
	s_and_b64 s[16:17], s[16:17], exec
	s_and_b64 s[14:15], s[18:19], exec
.LBB626_112:
	s_or_b64 exec, exec, s[12:13]
	s_and_b64 s[12:13], s[16:17], exec
	s_and_b64 s[14:15], s[14:15], exec
.LBB626_113:
	s_or_b64 exec, exec, s[10:11]
	s_and_b64 s[12:13], s[12:13], exec
	s_and_b64 s[10:11], s[14:15], exec
.LBB626_114:
	s_or_b64 exec, exec, s[8:9]
	s_and_b64 s[8:9], s[12:13], exec
	s_and_b64 s[10:11], s[10:11], exec
.LBB626_115:
	s_or_b64 exec, exec, s[4:5]
	s_and_b64 vcc, exec, s[2:3]
	v_lshlrev_b32_e32 v36, 1, v0
	s_cbranch_vccnz .LBB626_117
	s_branch .LBB626_122
.LBB626_116:
	s_mov_b64 s[10:11], 0
                                        ; implicit-def: $sgpr8_sgpr9
                                        ; implicit-def: $vgpr37
                                        ; implicit-def: $vgpr1
                                        ; implicit-def: $vgpr18
                                        ; implicit-def: $vgpr22
                                        ; implicit-def: $vgpr19
                                        ; implicit-def: $vgpr23
                                        ; implicit-def: $vgpr16
                                        ; implicit-def: $vgpr24
                                        ; implicit-def: $vgpr17
                                        ; implicit-def: $vgpr25
                                        ; implicit-def: $vgpr26
                                        ; implicit-def: $vgpr27
                                        ; implicit-def: $vgpr28
                                        ; implicit-def: $vgpr29
                                        ; implicit-def: $vgpr30
                                        ; implicit-def: $vgpr31
                                        ; implicit-def: $vgpr32
                                        ; implicit-def: $vgpr33
                                        ; implicit-def: $vgpr20
                                        ; implicit-def: $vgpr34
                                        ; implicit-def: $vgpr21
                                        ; implicit-def: $vgpr35
                                        ; implicit-def: $sgpr73
	s_and_b64 vcc, exec, s[2:3]
	v_lshlrev_b32_e32 v36, 1, v0
	s_cbranch_vccz .LBB626_122
.LBB626_117:
	v_mov_b32_e32 v1, s67
	v_add_co_u32_e32 v2, vcc, s66, v36
	v_addc_co_u32_e32 v3, vcc, 0, v1, vcc
	v_add_co_u32_e32 v4, vcc, 0x1000, v2
	v_addc_co_u32_e32 v5, vcc, 0, v3, vcc
	flat_load_ushort v1, v[2:3]
	flat_load_ushort v6, v[2:3] offset:512
	flat_load_ushort v7, v[2:3] offset:1024
	;; [unrolled: 1-line block ×7, first 2 shown]
	v_add_co_u32_e32 v2, vcc, 0x2000, v2
	v_addc_co_u32_e32 v3, vcc, 0, v3, vcc
	flat_load_ushort v13, v[4:5]
	flat_load_ushort v14, v[4:5] offset:512
	flat_load_ushort v15, v[4:5] offset:1024
	;; [unrolled: 1-line block ×7, first 2 shown]
	s_nop 0
	flat_load_ushort v4, v[2:3]
	flat_load_ushort v5, v[2:3] offset:512
	flat_load_ushort v21, v[2:3] offset:1024
	;; [unrolled: 1-line block ×5, first 2 shown]
	v_mov_b32_e32 v2, s66
	v_mov_b32_e32 v3, s67
	v_add_co_u32_e32 v2, vcc, 0x2000, v2
	v_addc_co_u32_e32 v3, vcc, 0, v3, vcc
	s_movk_i32 s2, 0xffd6
	s_movk_i32 s5, 0x1000
	;; [unrolled: 1-line block ×3, first 2 shown]
	s_waitcnt vmcnt(0) lgkmcnt(0)
	ds_write_b16 v36, v1
	ds_write_b16 v36, v6 offset:512
	ds_write_b16 v36, v7 offset:1024
	;; [unrolled: 1-line block ×21, first 2 shown]
	s_waitcnt lgkmcnt(0)
	s_barrier
	flat_load_ushort v37, v[2:3] offset:3072
	v_mad_u32_u24 v1, v0, 42, v36
	v_mad_i32_i24 v2, v0, s2, v1
	s_movk_i32 s2, 0xff
	v_cmp_ne_u32_e32 vcc, s2, v0
	ds_read2_b32 v[18:19], v1 offset1:1
	ds_read2_b32 v[16:17], v1 offset0:2 offset1:3
	ds_read2_b32 v[14:15], v1 offset0:4 offset1:5
	;; [unrolled: 1-line block ×4, first 2 shown]
	ds_read_b32 v38, v1 offset:40
	s_waitcnt lgkmcnt(0)
	ds_write_b16 v2, v18 offset:11776
	s_waitcnt lgkmcnt(0)
	s_barrier
	s_and_saveexec_b64 s[2:3], vcc
	s_cbranch_execz .LBB626_119
; %bb.118:
	s_waitcnt vmcnt(0)
	ds_read_u16 v37, v36 offset:11778
.LBB626_119:
	s_or_b64 exec, exec, s[2:3]
	v_mov_b32_e32 v3, s72
	v_add_co_u32_e32 v2, vcc, s55, v36
	v_addc_co_u32_e32 v3, vcc, 0, v3, vcc
	v_add_co_u32_e32 v4, vcc, s5, v2
	v_addc_co_u32_e32 v5, vcc, 0, v3, vcc
	s_waitcnt lgkmcnt(0)
	s_barrier
	flat_load_ushort v6, v[2:3]
	flat_load_ushort v7, v[2:3] offset:512
	flat_load_ushort v8, v[2:3] offset:1024
	;; [unrolled: 1-line block ×7, first 2 shown]
	v_add_co_u32_e32 v2, vcc, s4, v2
	v_addc_co_u32_e32 v3, vcc, 0, v3, vcc
	flat_load_ushort v24, v[4:5]
	flat_load_ushort v25, v[4:5] offset:512
	flat_load_ushort v26, v[4:5] offset:1024
	;; [unrolled: 1-line block ×7, first 2 shown]
	s_nop 0
	flat_load_ushort v4, v[2:3]
	flat_load_ushort v5, v[2:3] offset:512
	flat_load_ushort v32, v[2:3] offset:1024
	;; [unrolled: 1-line block ×5, first 2 shown]
	v_cmp_eq_u16_sdwa s[4:5], v18, v18 src0_sel:DWORD src1_sel:WORD_1
	s_waitcnt vmcnt(0) lgkmcnt(0)
	ds_write_b16 v36, v6
	ds_write_b16 v36, v7 offset:512
	ds_write_b16 v36, v8 offset:1024
	;; [unrolled: 1-line block ×21, first 2 shown]
	s_waitcnt lgkmcnt(0)
	s_barrier
	ds_read_b128 v[6:9], v1 offset:2
	ds_read_b128 v[2:5], v1 offset:18
	ds_read_b64 v[20:21], v1 offset:34
	ds_read_u16 v39, v1 offset:42
	v_mov_b32_e32 v22, 0x10000
	v_mov_b32_e32 v23, s7
	s_and_saveexec_b64 s[2:3], s[4:5]
	s_cbranch_execz .LBB626_121
; %bb.120:
	ds_read_u16 v23, v1
	v_mov_b32_e32 v22, 0
.LBB626_121:
	s_or_b64 exec, exec, s[2:3]
	v_mov_b32_e32 v40, s7
	v_cmp_eq_u16_sdwa vcc, v18, v19 src0_sel:WORD_1 src1_sel:DWORD
	s_waitcnt lgkmcnt(3)
	v_lshrrev_b32_e32 v24, 16, v6
	v_cndmask_b32_e32 v6, v40, v6, vcc
	v_cmp_ne_u16_sdwa s[2:3], v18, v19 src0_sel:WORD_1 src1_sel:DWORD
	v_and_b32_e32 v6, 0xffff, v6
	v_cndmask_b32_e64 v18, 0, 1, s[2:3]
	v_cmp_eq_u16_sdwa vcc, v19, v19 src0_sel:DWORD src1_sel:WORD_1
	v_lshl_or_b32 v18, v18, 16, v6
	v_cndmask_b32_e32 v6, v40, v24, vcc
	v_cmp_ne_u16_sdwa s[2:3], v19, v19 src0_sel:DWORD src1_sel:WORD_1
	s_waitcnt lgkmcnt(0)
	v_or_b32_sdwa v1, v22, v23 dst_sel:DWORD dst_unused:UNUSED_PAD src0_sel:DWORD src1_sel:WORD_0
	v_and_b32_e32 v6, 0xffff, v6
	v_cndmask_b32_e64 v22, 0, 1, s[2:3]
	v_cmp_eq_u16_sdwa vcc, v19, v16 src0_sel:WORD_1 src1_sel:DWORD
	v_lshl_or_b32 v22, v22, 16, v6
	v_cndmask_b32_e32 v6, v40, v7, vcc
	v_cmp_ne_u16_sdwa s[2:3], v19, v16 src0_sel:WORD_1 src1_sel:DWORD
	v_lshrrev_b32_e32 v25, 16, v7
	v_and_b32_e32 v6, 0xffff, v6
	v_cndmask_b32_e64 v7, 0, 1, s[2:3]
	v_cmp_eq_u16_sdwa vcc, v16, v16 src0_sel:DWORD src1_sel:WORD_1
	v_lshl_or_b32 v19, v7, 16, v6
	v_cndmask_b32_e32 v6, v40, v25, vcc
	v_cmp_ne_u16_sdwa s[2:3], v16, v16 src0_sel:DWORD src1_sel:WORD_1
	v_and_b32_e32 v6, 0xffff, v6
	v_cndmask_b32_e64 v7, 0, 1, s[2:3]
	v_cmp_eq_u16_sdwa vcc, v16, v17 src0_sel:WORD_1 src1_sel:DWORD
	v_lshl_or_b32 v23, v7, 16, v6
	v_cndmask_b32_e32 v6, v40, v8, vcc
	v_cmp_ne_u16_sdwa s[2:3], v16, v17 src0_sel:WORD_1 src1_sel:DWORD
	v_lshrrev_b32_e32 v26, 16, v8
	v_and_b32_e32 v6, 0xffff, v6
	v_cndmask_b32_e64 v7, 0, 1, s[2:3]
	v_cmp_eq_u16_sdwa vcc, v17, v17 src0_sel:DWORD src1_sel:WORD_1
	v_lshl_or_b32 v16, v7, 16, v6
	v_cndmask_b32_e32 v6, v40, v26, vcc
	v_cmp_ne_u16_sdwa s[2:3], v17, v17 src0_sel:DWORD src1_sel:WORD_1
	;; [unrolled: 13-line block ×3, first 2 shown]
	v_cmp_eq_u16_sdwa vcc, v14, v15 src0_sel:WORD_1 src1_sel:DWORD
	v_lshrrev_b32_e32 v28, 16, v2
	v_and_b32_e32 v6, 0xffff, v6
	v_cndmask_b32_e64 v7, 0, 1, s[2:3]
	v_cndmask_b32_e32 v2, v40, v2, vcc
	v_cmp_ne_u16_sdwa s[2:3], v14, v15 src0_sel:WORD_1 src1_sel:DWORD
	v_lshl_or_b32 v25, v7, 16, v6
	v_and_b32_e32 v2, 0xffff, v2
	v_cndmask_b32_e64 v6, 0, 1, s[2:3]
	v_cmp_eq_u16_sdwa vcc, v15, v15 src0_sel:DWORD src1_sel:WORD_1
	v_lshl_or_b32 v26, v6, 16, v2
	v_cndmask_b32_e32 v2, v40, v28, vcc
	v_cmp_ne_u16_sdwa s[2:3], v15, v15 src0_sel:DWORD src1_sel:WORD_1
	v_and_b32_e32 v2, 0xffff, v2
	v_cndmask_b32_e64 v6, 0, 1, s[2:3]
	v_cmp_eq_u16_sdwa vcc, v15, v12 src0_sel:WORD_1 src1_sel:DWORD
	v_lshl_or_b32 v27, v6, 16, v2
	v_cndmask_b32_e32 v2, v40, v3, vcc
	v_cmp_ne_u16_sdwa s[2:3], v15, v12 src0_sel:WORD_1 src1_sel:DWORD
	v_lshrrev_b32_e32 v29, 16, v3
	v_and_b32_e32 v2, 0xffff, v2
	v_cndmask_b32_e64 v3, 0, 1, s[2:3]
	v_cmp_eq_u16_sdwa vcc, v12, v12 src0_sel:DWORD src1_sel:WORD_1
	v_lshl_or_b32 v28, v3, 16, v2
	v_cndmask_b32_e32 v2, v40, v29, vcc
	v_cmp_ne_u16_sdwa s[2:3], v12, v12 src0_sel:DWORD src1_sel:WORD_1
	v_and_b32_e32 v2, 0xffff, v2
	v_cndmask_b32_e64 v3, 0, 1, s[2:3]
	v_cmp_eq_u16_sdwa vcc, v12, v13 src0_sel:WORD_1 src1_sel:DWORD
	v_lshl_or_b32 v29, v3, 16, v2
	v_cndmask_b32_e32 v2, v40, v4, vcc
	v_cmp_ne_u16_sdwa s[2:3], v12, v13 src0_sel:WORD_1 src1_sel:DWORD
	v_lshrrev_b32_e32 v31, 16, v4
	;; [unrolled: 13-line block ×5, first 2 shown]
	v_and_b32_e32 v2, 0xffff, v2
	v_cndmask_b32_e64 v3, 0, 1, s[2:3]
	v_cmp_eq_u16_sdwa vcc, v38, v38 src0_sel:DWORD src1_sel:WORD_1
	v_lshl_or_b32 v21, v3, 16, v2
	v_cndmask_b32_e32 v2, v40, v35, vcc
	v_cmp_ne_u16_sdwa s[2:3], v38, v38 src0_sel:DWORD src1_sel:WORD_1
	v_and_b32_e32 v2, 0xffff, v2
	v_cndmask_b32_e64 v3, 0, 1, s[2:3]
	v_cmp_ne_u16_sdwa s[8:9], v38, v37 src0_sel:WORD_1 src1_sel:DWORD
	v_lshl_or_b32 v35, v3, 16, v2
	v_cndmask_b32_e64 v37, v39, v40, s[8:9]
	s_mov_b64 s[10:11], -1
                                        ; implicit-def: $sgpr73
.LBB626_122:
	v_mov_b32_e32 v12, s73
	s_and_saveexec_b64 s[2:3], s[10:11]
; %bb.123:
	v_mov_b32_e32 v2, 0x10000
	v_cndmask_b32_e64 v2, 0, v2, s[8:9]
	v_or_b32_sdwa v12, v2, v37 dst_sel:DWORD dst_unused:UNUSED_PAD src0_sel:DWORD src1_sel:WORD_0
; %bb.124:
	s_or_b64 exec, exec, s[2:3]
	v_or3_b32 v2, v12, v35, v21
	s_cmp_lg_u32 s6, 0
	v_or3_b32 v15, v2, v34, v20
	v_lshrrev_b32_e32 v13, 16, v1
	v_lshrrev_b32_e32 v14, 5, v0
	v_cmp_gt_u32_e32 vcc, 64, v0
	s_barrier
	s_cbranch_scc0 .LBB626_209
; %bb.125:
	s_mov_b32 s44, 0x10000
	v_cmp_gt_u32_e64 s[2:3], s44, v18
	v_cndmask_b32_e64 v2, 1, v1, s[2:3]
	v_mul_lo_u16_e32 v2, v2, v18
	v_cmp_gt_u32_e64 s[4:5], s44, v22
	v_cndmask_b32_e64 v2, 1, v2, s[4:5]
	v_mul_lo_u16_e32 v2, v2, v22
	;; [unrolled: 3-line block ×21, first 2 shown]
	v_or3_b32 v2, v15, v33, v32
	v_or3_b32 v2, v2, v31, v30
	;; [unrolled: 1-line block ×8, first 2 shown]
	v_and_b32_e32 v2, 0x10000, v2
	v_cmp_ne_u32_e64 s[44:45], 0, v2
	v_mov_b32_e32 v5, 0x10000
	v_cndmask_b32_e64 v38, v13, 1, s[44:45]
	v_add_lshl_u32 v2, v14, v0, 2
	ds_write_b16 v2, v37
	ds_write_b8 v2, v38 offset:2
	s_waitcnt lgkmcnt(0)
	s_barrier
	s_and_saveexec_b64 s[46:47], vcc
	s_cbranch_execz .LBB626_139
; %bb.126:
	v_lshlrev_b32_e32 v2, 2, v0
	v_lshrrev_b32_e32 v3, 3, v0
	v_add_lshl_u32 v2, v3, v2, 2
	ds_read_b32 v3, v2
	ds_read_u16 v4, v2 offset:4
	ds_read_u8 v6, v2 offset:6
	ds_read_u16 v7, v2 offset:8
	ds_read_u8 v8, v2 offset:10
	;; [unrolled: 2-line block ×3, first 2 shown]
	v_mov_b32_e32 v11, 0
	s_waitcnt lgkmcnt(4)
	v_cmp_eq_u16_sdwa s[44:45], v6, v11 src0_sel:BYTE_0 src1_sel:DWORD
	v_cndmask_b32_e64 v39, 1, v3, s[44:45]
	v_mul_lo_u16_e32 v39, v39, v4
	s_waitcnt lgkmcnt(2)
	v_cmp_eq_u16_sdwa s[44:45], v8, v11 src0_sel:BYTE_0 src1_sel:DWORD
	s_waitcnt lgkmcnt(0)
	v_or_b32_e32 v8, v10, v8
	v_cndmask_b32_e64 v11, 1, v39, s[44:45]
	v_or_b32_e32 v6, v8, v6
	v_mul_lo_u16_e32 v7, v11, v7
	v_cmp_eq_u16_e64 s[44:45], 0, v10
	v_and_b32_e32 v6, 1, v6
	v_and_b32_e32 v4, 0x10000, v3
	v_cndmask_b32_e64 v11, 1, v7, s[44:45]
	v_cmp_eq_u32_e64 s[44:45], 1, v6
	v_mbcnt_lo_u32_b32 v6, -1, 0
	v_mul_lo_u16_e32 v7, v11, v9
	v_cndmask_b32_e64 v39, v4, v5, s[44:45]
	v_mul_lo_u16_e32 v9, v11, v9
	v_and_b32_e32 v5, 0xff000000, v3
	v_mbcnt_hi_u32_b32 v6, -1, v6
	v_or_b32_e32 v10, v39, v5
	v_and_b32_e32 v11, 15, v6
	v_or3_b32 v9, v5, v9, v39
	s_movk_i32 s55, 0xff
	v_lshrrev_b32_e32 v8, 16, v10
	v_mov_b32_dpp v39, v9 row_shr:1 row_mask:0xf bank_mask:0xf
	v_cmp_ne_u32_e64 s[44:45], 0, v11
	s_and_saveexec_b64 s[56:57], s[44:45]
	s_cbranch_execz .LBB626_128
; %bb.127:
	v_and_b32_sdwa v8, v10, s55 dst_sel:DWORD dst_unused:UNUSED_PAD src0_sel:WORD_1 src1_sel:DWORD
	v_cmp_eq_u16_e64 s[44:45], 0, v8
	v_and_b32_e32 v8, 0x10000, v10
	v_mov_b32_e32 v10, 1
	v_cndmask_b32_e64 v9, 1, v39, s[44:45]
	v_and_b32_sdwa v10, v39, v10 dst_sel:DWORD dst_unused:UNUSED_PAD src0_sel:WORD_1 src1_sel:DWORD
	v_cmp_ne_u32_e64 s[44:45], 0, v8
	v_cndmask_b32_e64 v8, v10, 1, s[44:45]
	v_mul_lo_u16_e32 v40, v9, v7
	v_lshlrev_b32_e32 v10, 16, v8
	v_mul_lo_u16_e32 v7, v9, v7
	v_or3_b32 v9, v10, v7, v5
	v_mov_b32_e32 v7, v40
.LBB626_128:
	s_or_b64 exec, exec, s[56:57]
	v_lshrrev_b32_e32 v10, 16, v9
	v_mov_b32_dpp v39, v9 row_shr:2 row_mask:0xf bank_mask:0xf
	v_cmp_lt_u32_e64 s[44:45], 1, v11
	s_and_saveexec_b64 s[56:57], s[44:45]
	s_cbranch_execz .LBB626_130
; %bb.129:
	v_mov_b32_e32 v8, 0
	v_cmp_eq_u16_sdwa s[44:45], v10, v8 src0_sel:BYTE_0 src1_sel:DWORD
	v_and_b32_e32 v8, 0x10000, v9
	v_mov_b32_e32 v9, 1
	v_cndmask_b32_e64 v10, 1, v39, s[44:45]
	v_and_b32_sdwa v9, v39, v9 dst_sel:DWORD dst_unused:UNUSED_PAD src0_sel:WORD_1 src1_sel:DWORD
	v_cmp_ne_u32_e64 s[44:45], 0, v8
	v_cndmask_b32_e64 v8, v9, 1, s[44:45]
	v_mul_lo_u16_e32 v40, v10, v7
	v_lshlrev_b32_e32 v9, 16, v8
	v_mul_lo_u16_e32 v7, v10, v7
	v_or3_b32 v9, v9, v7, v5
	v_mov_b32_e32 v10, v8
	v_mov_b32_e32 v7, v40
.LBB626_130:
	s_or_b64 exec, exec, s[56:57]
	v_mov_b32_dpp v39, v9 row_shr:4 row_mask:0xf bank_mask:0xf
	v_cmp_lt_u32_e64 s[44:45], 3, v11
	s_and_saveexec_b64 s[56:57], s[44:45]
	s_cbranch_execz .LBB626_132
; %bb.131:
	v_mov_b32_e32 v8, 0
	v_cmp_eq_u16_sdwa s[44:45], v10, v8 src0_sel:BYTE_0 src1_sel:DWORD
	v_and_b32_e32 v8, 1, v10
	v_mov_b32_e32 v10, 1
	v_cndmask_b32_e64 v9, 1, v39, s[44:45]
	v_and_b32_sdwa v10, v39, v10 dst_sel:DWORD dst_unused:UNUSED_PAD src0_sel:WORD_1 src1_sel:DWORD
	v_cmp_eq_u32_e64 s[44:45], 1, v8
	v_cndmask_b32_e64 v8, v10, 1, s[44:45]
	v_mul_lo_u16_e32 v40, v9, v7
	v_lshlrev_b32_e32 v10, 16, v8
	v_mul_lo_u16_e32 v7, v9, v7
	v_or3_b32 v9, v10, v7, v5
	v_mov_b32_e32 v10, v8
	v_mov_b32_e32 v7, v40
.LBB626_132:
	s_or_b64 exec, exec, s[56:57]
	v_mov_b32_dpp v39, v9 row_shr:8 row_mask:0xf bank_mask:0xf
	v_cmp_lt_u32_e64 s[44:45], 7, v11
	s_and_saveexec_b64 s[56:57], s[44:45]
	s_cbranch_execz .LBB626_134
; %bb.133:
	v_mov_b32_e32 v8, 0
	v_cmp_eq_u16_sdwa s[44:45], v10, v8 src0_sel:BYTE_0 src1_sel:DWORD
	v_and_b32_e32 v8, 1, v10
	v_mov_b32_e32 v10, 1
	v_cndmask_b32_e64 v9, 1, v39, s[44:45]
	v_and_b32_sdwa v10, v39, v10 dst_sel:DWORD dst_unused:UNUSED_PAD src0_sel:WORD_1 src1_sel:DWORD
	v_cmp_eq_u32_e64 s[44:45], 1, v8
	v_cndmask_b32_e64 v8, v10, 1, s[44:45]
	v_mul_lo_u16_e32 v11, v9, v7
	v_lshlrev_b32_e32 v10, 16, v8
	v_mul_lo_u16_e32 v7, v9, v7
	v_or3_b32 v9, v10, v7, v5
	v_mov_b32_e32 v10, v8
	v_mov_b32_e32 v7, v11
.LBB626_134:
	s_or_b64 exec, exec, s[56:57]
	v_and_b32_e32 v39, 16, v6
	v_mov_b32_dpp v11, v9 row_bcast:15 row_mask:0xf bank_mask:0xf
	v_cmp_ne_u32_e64 s[44:45], 0, v39
	s_and_saveexec_b64 s[56:57], s[44:45]
	s_cbranch_execz .LBB626_136
; %bb.135:
	v_mov_b32_e32 v8, 0
	v_cmp_eq_u16_sdwa s[44:45], v10, v8 src0_sel:BYTE_0 src1_sel:DWORD
	v_and_b32_e32 v8, 1, v10
	v_mov_b32_e32 v10, 1
	v_cndmask_b32_e64 v9, 1, v11, s[44:45]
	v_and_b32_sdwa v10, v11, v10 dst_sel:DWORD dst_unused:UNUSED_PAD src0_sel:WORD_1 src1_sel:DWORD
	v_cmp_eq_u32_e64 s[44:45], 1, v8
	v_cndmask_b32_e64 v8, v10, 1, s[44:45]
	v_mul_lo_u16_e32 v39, v9, v7
	v_lshlrev_b32_e32 v10, 16, v8
	v_mul_lo_u16_e32 v7, v9, v7
	v_or3_b32 v9, v10, v7, v5
	v_mov_b32_e32 v10, v8
	v_mov_b32_e32 v7, v39
.LBB626_136:
	s_or_b64 exec, exec, s[56:57]
	v_mov_b32_dpp v9, v9 row_bcast:31 row_mask:0xf bank_mask:0xf
	v_cmp_lt_u32_e64 s[44:45], 31, v6
	s_and_saveexec_b64 s[56:57], s[44:45]
; %bb.137:
	v_mov_b32_e32 v8, 0
	v_cmp_eq_u16_sdwa s[44:45], v10, v8 src0_sel:BYTE_0 src1_sel:DWORD
	v_cndmask_b32_e64 v8, 1, v9, s[44:45]
	v_mul_lo_u16_e32 v7, v8, v7
	v_and_b32_e32 v8, 1, v10
	v_mov_b32_e32 v10, 1
	v_and_b32_sdwa v9, v9, v10 dst_sel:DWORD dst_unused:UNUSED_PAD src0_sel:WORD_1 src1_sel:DWORD
	v_cmp_eq_u32_e64 s[44:45], 1, v8
	v_cndmask_b32_e64 v8, v9, 1, s[44:45]
; %bb.138:
	s_or_b64 exec, exec, s[56:57]
	v_and_b32_e32 v8, 0xff, v8
	v_lshlrev_b32_e32 v8, 16, v8
	v_and_b32_e32 v7, 0xffff, v7
	v_or3_b32 v5, v8, v7, v5
	v_add_u32_e32 v7, -1, v6
	v_and_b32_e32 v8, 64, v6
	v_cmp_lt_i32_e64 s[44:45], v7, v8
	v_cndmask_b32_e64 v6, v7, v6, s[44:45]
	v_lshlrev_b32_e32 v6, 2, v6
	ds_bpermute_b32 v5, v6, v5
	v_and_b32_e32 v6, 0xff0000, v3
	v_cmp_eq_u32_e64 s[44:45], 0, v6
	; wave barrier
	s_waitcnt lgkmcnt(0)
	v_cndmask_b32_e64 v6, 1, v5, s[44:45]
	v_mul_lo_u16_e32 v3, v6, v3
	v_mov_b32_e32 v6, 1
	v_and_b32_sdwa v5, v5, v6 dst_sel:DWORD dst_unused:UNUSED_PAD src0_sel:WORD_1 src1_sel:DWORD
	v_cmp_eq_u32_e64 s[44:45], 0, v4
	v_cndmask_b32_e64 v4, 1, v5, s[44:45]
	v_cmp_eq_u32_e64 s[44:45], 0, v0
	v_cndmask_b32_e64 v3, v3, v37, s[44:45]
	v_cndmask_b32_e64 v4, v4, v38, s[44:45]
	ds_write_b16 v2, v3
	ds_write_b8 v2, v4 offset:2
	; wave barrier
	ds_read_u16 v5, v2 offset:4
	ds_read_u8 v6, v2 offset:6
	ds_read_u16 v7, v2 offset:8
	ds_read_u8 v8, v2 offset:10
	;; [unrolled: 2-line block ×3, first 2 shown]
	s_waitcnt lgkmcnt(4)
	v_cmp_eq_u16_e64 s[44:45], 0, v6
	v_cndmask_b32_e64 v3, 1, v3, s[44:45]
	v_mul_lo_u16_e32 v3, v3, v5
	v_and_b32_e32 v5, 1, v6
	v_cmp_eq_u32_e64 s[44:45], 1, v5
	v_cndmask_b32_e64 v4, v4, 1, s[44:45]
	s_waitcnt lgkmcnt(2)
	v_cmp_eq_u16_e64 s[44:45], 0, v8
	v_and_b32_e32 v5, 1, v8
	ds_write_b16 v2, v3 offset:4
	ds_write_b8 v2, v4 offset:6
	v_cndmask_b32_e64 v3, 1, v3, s[44:45]
	v_cmp_eq_u32_e64 s[44:45], 1, v5
	v_mul_lo_u16_e32 v3, v3, v7
	v_cndmask_b32_e64 v4, v4, 1, s[44:45]
	s_waitcnt lgkmcnt(2)
	v_cmp_eq_u16_e64 s[44:45], 0, v10
	ds_write_b16 v2, v3 offset:8
	ds_write_b8 v2, v4 offset:10
	v_cndmask_b32_e64 v3, 1, v3, s[44:45]
	v_and_b32_e32 v5, 1, v10
	v_mul_lo_u16_e32 v3, v3, v9
	v_cmp_eq_u32_e64 s[44:45], 1, v5
	v_cndmask_b32_e64 v4, v4, 1, s[44:45]
	ds_write_b16 v2, v3 offset:12
	ds_write_b8 v2, v4 offset:14
.LBB626_139:
	s_or_b64 exec, exec, s[46:47]
	v_cmp_eq_u32_e64 s[44:45], 0, v0
	v_cmp_ne_u32_e64 s[46:47], 0, v0
	s_waitcnt lgkmcnt(0)
	s_barrier
	s_and_saveexec_b64 s[56:57], s[46:47]
	s_cbranch_execz .LBB626_141
; %bb.140:
	v_add_u32_e32 v2, -1, v0
	v_lshrrev_b32_e32 v3, 5, v2
	v_add_lshl_u32 v2, v3, v2, 2
	ds_read_u16 v37, v2
	ds_read_u8 v38, v2 offset:2
.LBB626_141:
	s_or_b64 exec, exec, s[56:57]
	s_and_saveexec_b64 s[56:57], vcc
	s_cbranch_execz .LBB626_188
; %bb.142:
	v_mov_b32_e32 v11, 0
	ds_read_b32 v2, v11 offset:1048
	v_mbcnt_lo_u32_b32 v3, -1, 0
	v_mbcnt_hi_u32_b32 v5, -1, v3
	s_mov_b32 s69, 0
	v_cmp_eq_u32_e64 s[46:47], 0, v5
	s_and_saveexec_b64 s[66:67], s[46:47]
	s_cbranch_execz .LBB626_144
; %bb.143:
	s_add_i32 s68, s6, 64
	s_lshl_b64 s[68:69], s[68:69], 3
	s_add_u32 s68, s52, s68
	v_mov_b32_e32 v3, 1
	s_addc_u32 s69, s53, s69
	s_waitcnt lgkmcnt(0)
	global_store_dwordx2 v11, v[2:3], s[68:69]
.LBB626_144:
	s_or_b64 exec, exec, s[66:67]
	v_xad_u32 v4, v5, -1, s6
	v_add_u32_e32 v10, 64, v4
	v_lshlrev_b64 v[6:7], 3, v[10:11]
	v_mov_b32_e32 v3, s53
	v_add_co_u32_e32 v6, vcc, s52, v6
	v_addc_co_u32_e32 v7, vcc, v3, v7, vcc
	global_load_dwordx2 v[8:9], v[6:7], off glc
	s_waitcnt vmcnt(0)
	v_cmp_eq_u16_sdwa s[68:69], v9, v11 src0_sel:BYTE_0 src1_sel:DWORD
	s_and_saveexec_b64 s[66:67], s[68:69]
	s_cbranch_execz .LBB626_150
; %bb.145:
	s_mov_b32 s55, 1
	s_mov_b64 s[68:69], 0
	v_mov_b32_e32 v3, 0
.LBB626_146:                            ; =>This Loop Header: Depth=1
                                        ;     Child Loop BB626_147 Depth 2
	s_max_u32 s70, s55, 1
.LBB626_147:                            ;   Parent Loop BB626_146 Depth=1
                                        ; =>  This Inner Loop Header: Depth=2
	s_add_i32 s70, s70, -1
	s_cmp_eq_u32 s70, 0
	s_sleep 1
	s_cbranch_scc0 .LBB626_147
; %bb.148:                              ;   in Loop: Header=BB626_146 Depth=1
	global_load_dwordx2 v[8:9], v[6:7], off glc
	s_cmp_lt_u32 s55, 32
	s_cselect_b64 s[70:71], -1, 0
	s_cmp_lg_u64 s[70:71], 0
	s_addc_u32 s55, s55, 0
	s_waitcnt vmcnt(0)
	v_cmp_ne_u16_sdwa s[70:71], v9, v3 src0_sel:BYTE_0 src1_sel:DWORD
	s_or_b64 s[68:69], s[70:71], s[68:69]
	s_andn2_b64 exec, exec, s[68:69]
	s_cbranch_execnz .LBB626_146
; %bb.149:
	s_or_b64 exec, exec, s[68:69]
.LBB626_150:
	s_or_b64 exec, exec, s[66:67]
	v_mov_b32_e32 v3, 2
	v_cmp_eq_u16_sdwa s[66:67], v9, v3 src0_sel:BYTE_0 src1_sel:DWORD
	v_lshlrev_b64 v[6:7], v5, -1
	v_and_b32_e32 v3, s67, v7
	v_or_b32_e32 v3, 0x80000000, v3
	v_ffbl_b32_e32 v3, v3
	v_add_u32_e32 v11, 32, v3
	v_and_b32_e32 v3, 63, v5
	v_cmp_ne_u32_e32 vcc, 63, v3
	v_addc_co_u32_e32 v39, vcc, 0, v5, vcc
	v_and_b32_e32 v50, 0xffffff, v8
	v_lshlrev_b32_e32 v39, 2, v39
	ds_bpermute_b32 v40, v39, v50
	v_and_b32_e32 v10, s66, v6
	v_ffbl_b32_e32 v10, v10
	v_min_u32_e32 v11, v10, v11
	v_lshrrev_b32_e32 v10, 16, v8
	v_cmp_lt_u32_e32 vcc, v3, v11
	v_bfe_u32 v48, v8, 16, 8
	s_and_saveexec_b64 s[66:67], vcc
	s_cbranch_execz .LBB626_152
; %bb.151:
	v_and_b32_e32 v10, 0xff0000, v8
	v_cmp_eq_u32_e32 vcc, 0, v10
	v_and_b32_e32 v10, 0x10000, v10
	v_mov_b32_e32 v43, 1
	s_waitcnt lgkmcnt(0)
	v_cndmask_b32_e32 v41, 1, v40, vcc
	v_and_b32_sdwa v40, v40, v43 dst_sel:DWORD dst_unused:UNUSED_PAD src0_sel:WORD_1 src1_sel:DWORD
	v_cmp_ne_u32_e32 vcc, 0, v10
	v_cndmask_b32_e64 v10, v40, 1, vcc
	v_mul_lo_u16_e32 v42, v41, v8
	v_lshlrev_b32_e32 v40, 16, v10
	v_mul_lo_u16_e32 v8, v41, v8
	v_or_b32_e32 v50, v40, v8
	v_mov_b32_e32 v8, v42
	v_mov_b32_e32 v48, v10
.LBB626_152:
	s_or_b64 exec, exec, s[66:67]
	v_cmp_gt_u32_e32 vcc, 62, v3
	s_waitcnt lgkmcnt(0)
	v_cndmask_b32_e64 v40, 0, 1, vcc
	v_lshlrev_b32_e32 v40, 1, v40
	v_add_lshl_u32 v40, v40, v5, 2
	ds_bpermute_b32 v42, v40, v50
	v_add_u32_e32 v41, 2, v3
	v_cmp_le_u32_e32 vcc, v41, v11
	s_and_saveexec_b64 s[66:67], vcc
	s_cbranch_execz .LBB626_154
; %bb.153:
	v_cmp_eq_u16_e32 vcc, 0, v48
	v_and_b32_e32 v10, 1, v48
	v_mov_b32_e32 v45, 1
	s_waitcnt lgkmcnt(0)
	v_cndmask_b32_e32 v43, 1, v42, vcc
	v_and_b32_sdwa v42, v42, v45 dst_sel:DWORD dst_unused:UNUSED_PAD src0_sel:WORD_1 src1_sel:DWORD
	v_cmp_eq_u32_e32 vcc, 1, v10
	v_cndmask_b32_e64 v10, v42, 1, vcc
	v_mul_lo_u16_e32 v44, v43, v8
	v_lshlrev_b32_e32 v42, 16, v10
	v_mul_lo_u16_e32 v8, v43, v8
	v_or_b32_e32 v50, v42, v8
	v_mov_b32_e32 v8, v44
	v_mov_b32_e32 v48, v10
.LBB626_154:
	s_or_b64 exec, exec, s[66:67]
	v_cmp_gt_u32_e32 vcc, 60, v3
	s_waitcnt lgkmcnt(0)
	v_cndmask_b32_e64 v42, 0, 1, vcc
	v_lshlrev_b32_e32 v42, 2, v42
	v_add_lshl_u32 v42, v42, v5, 2
	ds_bpermute_b32 v44, v42, v50
	v_add_u32_e32 v43, 4, v3
	v_cmp_le_u32_e32 vcc, v43, v11
	s_and_saveexec_b64 s[66:67], vcc
	s_cbranch_execz .LBB626_156
; %bb.155:
	v_cmp_eq_u16_e32 vcc, 0, v48
	v_and_b32_e32 v10, 1, v48
	v_mov_b32_e32 v47, 1
	s_waitcnt lgkmcnt(0)
	v_cndmask_b32_e32 v45, 1, v44, vcc
	v_and_b32_sdwa v44, v44, v47 dst_sel:DWORD dst_unused:UNUSED_PAD src0_sel:WORD_1 src1_sel:DWORD
	v_cmp_eq_u32_e32 vcc, 1, v10
	v_cndmask_b32_e64 v10, v44, 1, vcc
	v_mul_lo_u16_e32 v46, v45, v8
	v_lshlrev_b32_e32 v44, 16, v10
	v_mul_lo_u16_e32 v8, v45, v8
	v_or_b32_e32 v50, v44, v8
	v_mov_b32_e32 v8, v46
	v_mov_b32_e32 v48, v10
.LBB626_156:
	;; [unrolled: 27-line block ×4, first 2 shown]
	s_or_b64 exec, exec, s[66:67]
	v_cmp_gt_u32_e32 vcc, 32, v3
	s_waitcnt lgkmcnt(0)
	v_cndmask_b32_e64 v49, 0, 1, vcc
	v_lshlrev_b32_e32 v49, 5, v49
	v_add_lshl_u32 v49, v49, v5, 2
	ds_bpermute_b32 v5, v49, v50
	v_add_u32_e32 v50, 32, v3
	v_cmp_le_u32_e32 vcc, v50, v11
	s_and_saveexec_b64 s[66:67], vcc
	s_cbranch_execz .LBB626_162
; %bb.161:
	v_cmp_eq_u16_e32 vcc, 0, v48
	s_waitcnt lgkmcnt(0)
	v_cndmask_b32_e32 v10, 1, v5, vcc
	v_mul_lo_u16_e32 v8, v10, v8
	v_and_b32_e32 v10, 1, v48
	v_mov_b32_e32 v11, 1
	v_and_b32_sdwa v5, v5, v11 dst_sel:DWORD dst_unused:UNUSED_PAD src0_sel:WORD_1 src1_sel:DWORD
	v_cmp_eq_u32_e32 vcc, 1, v10
	v_cndmask_b32_e64 v10, v5, 1, vcc
.LBB626_162:
	s_or_b64 exec, exec, s[66:67]
	s_waitcnt lgkmcnt(0)
	v_mov_b32_e32 v5, 0
	v_mov_b32_e32 v52, 2
	v_mov_b32_e32 v53, 1
	s_branch .LBB626_164
.LBB626_163:                            ;   in Loop: Header=BB626_164 Depth=1
	s_or_b64 exec, exec, s[66:67]
	v_cmp_eq_u16_sdwa vcc, v48, v5 src0_sel:BYTE_0 src1_sel:DWORD
	v_and_b32_e32 v10, 1, v48
	v_cndmask_b32_e32 v8, 1, v8, vcc
	v_and_b32_e32 v11, 1, v11
	v_cmp_eq_u32_e32 vcc, 1, v10
	v_subrev_u32_e32 v4, 64, v4
	v_mul_lo_u16_e32 v8, v8, v51
	v_cndmask_b32_e64 v10, v11, 1, vcc
.LBB626_164:                            ; =>This Loop Header: Depth=1
                                        ;     Child Loop BB626_167 Depth 2
                                        ;       Child Loop BB626_168 Depth 3
	v_cmp_ne_u16_sdwa s[66:67], v9, v52 src0_sel:BYTE_0 src1_sel:DWORD
	v_cndmask_b32_e64 v9, 0, 1, s[66:67]
	;;#ASMSTART
	;;#ASMEND
	v_cmp_ne_u32_e32 vcc, 0, v9
	v_mov_b32_e32 v48, v10
	s_cmp_lg_u64 vcc, exec
	v_mov_b32_e32 v51, v8
	s_cbranch_scc1 .LBB626_183
; %bb.165:                              ;   in Loop: Header=BB626_164 Depth=1
	v_lshlrev_b64 v[8:9], 3, v[4:5]
	v_mov_b32_e32 v11, s53
	v_add_co_u32_e32 v10, vcc, s52, v8
	v_addc_co_u32_e32 v11, vcc, v11, v9, vcc
	global_load_dwordx2 v[8:9], v[10:11], off glc
	s_waitcnt vmcnt(0)
	v_cmp_eq_u16_sdwa s[68:69], v9, v5 src0_sel:BYTE_0 src1_sel:DWORD
	s_and_saveexec_b64 s[66:67], s[68:69]
	s_cbranch_execz .LBB626_171
; %bb.166:                              ;   in Loop: Header=BB626_164 Depth=1
	s_mov_b32 s55, 1
	s_mov_b64 s[68:69], 0
.LBB626_167:                            ;   Parent Loop BB626_164 Depth=1
                                        ; =>  This Loop Header: Depth=2
                                        ;       Child Loop BB626_168 Depth 3
	s_max_u32 s70, s55, 1
.LBB626_168:                            ;   Parent Loop BB626_164 Depth=1
                                        ;     Parent Loop BB626_167 Depth=2
                                        ; =>    This Inner Loop Header: Depth=3
	s_add_i32 s70, s70, -1
	s_cmp_eq_u32 s70, 0
	s_sleep 1
	s_cbranch_scc0 .LBB626_168
; %bb.169:                              ;   in Loop: Header=BB626_167 Depth=2
	global_load_dwordx2 v[8:9], v[10:11], off glc
	s_cmp_lt_u32 s55, 32
	s_cselect_b64 s[70:71], -1, 0
	s_cmp_lg_u64 s[70:71], 0
	s_addc_u32 s55, s55, 0
	s_waitcnt vmcnt(0)
	v_cmp_ne_u16_sdwa s[70:71], v9, v5 src0_sel:BYTE_0 src1_sel:DWORD
	s_or_b64 s[68:69], s[70:71], s[68:69]
	s_andn2_b64 exec, exec, s[68:69]
	s_cbranch_execnz .LBB626_167
; %bb.170:                              ;   in Loop: Header=BB626_164 Depth=1
	s_or_b64 exec, exec, s[68:69]
.LBB626_171:                            ;   in Loop: Header=BB626_164 Depth=1
	s_or_b64 exec, exec, s[66:67]
	v_cmp_eq_u16_sdwa s[66:67], v9, v52 src0_sel:BYTE_0 src1_sel:DWORD
	v_and_b32_e32 v10, s67, v7
	s_waitcnt lgkmcnt(0)
	v_and_b32_e32 v55, 0xffffff, v8
	v_or_b32_e32 v10, 0x80000000, v10
	ds_bpermute_b32 v56, v39, v55
	v_and_b32_e32 v11, s66, v6
	v_ffbl_b32_e32 v10, v10
	v_add_u32_e32 v10, 32, v10
	v_ffbl_b32_e32 v11, v11
	v_min_u32_e32 v10, v11, v10
	v_lshrrev_b32_e32 v11, 16, v8
	v_cmp_lt_u32_e32 vcc, v3, v10
	v_bfe_u32 v54, v8, 16, 8
	s_and_saveexec_b64 s[66:67], vcc
	s_cbranch_execz .LBB626_173
; %bb.172:                              ;   in Loop: Header=BB626_164 Depth=1
	v_and_b32_e32 v11, 0xff0000, v8
	v_cmp_eq_u32_e32 vcc, 0, v11
	v_and_b32_e32 v11, 0x10000, v11
	s_waitcnt lgkmcnt(0)
	v_cndmask_b32_e32 v54, 1, v56, vcc
	v_and_b32_sdwa v55, v56, v53 dst_sel:DWORD dst_unused:UNUSED_PAD src0_sel:WORD_1 src1_sel:DWORD
	v_cmp_ne_u32_e32 vcc, 0, v11
	v_cndmask_b32_e64 v11, v55, 1, vcc
	v_mul_lo_u16_e32 v57, v54, v8
	v_lshlrev_b32_e32 v55, 16, v11
	v_mul_lo_u16_e32 v8, v54, v8
	v_or_b32_e32 v55, v55, v8
	v_mov_b32_e32 v8, v57
	v_mov_b32_e32 v54, v11
.LBB626_173:                            ;   in Loop: Header=BB626_164 Depth=1
	s_or_b64 exec, exec, s[66:67]
	s_waitcnt lgkmcnt(0)
	ds_bpermute_b32 v56, v40, v55
	v_cmp_le_u32_e32 vcc, v41, v10
	s_and_saveexec_b64 s[66:67], vcc
	s_cbranch_execz .LBB626_175
; %bb.174:                              ;   in Loop: Header=BB626_164 Depth=1
	v_cmp_eq_u16_e32 vcc, 0, v54
	v_and_b32_e32 v11, 1, v54
	s_waitcnt lgkmcnt(0)
	v_cndmask_b32_e32 v55, 1, v56, vcc
	v_and_b32_sdwa v54, v56, v53 dst_sel:DWORD dst_unused:UNUSED_PAD src0_sel:WORD_1 src1_sel:DWORD
	v_cmp_eq_u32_e32 vcc, 1, v11
	v_cndmask_b32_e64 v11, v54, 1, vcc
	v_mul_lo_u16_e32 v57, v55, v8
	v_lshlrev_b32_e32 v54, 16, v11
	v_mul_lo_u16_e32 v8, v55, v8
	v_or_b32_e32 v55, v54, v8
	v_mov_b32_e32 v8, v57
	v_mov_b32_e32 v54, v11
.LBB626_175:                            ;   in Loop: Header=BB626_164 Depth=1
	s_or_b64 exec, exec, s[66:67]
	s_waitcnt lgkmcnt(0)
	ds_bpermute_b32 v56, v42, v55
	v_cmp_le_u32_e32 vcc, v43, v10
	s_and_saveexec_b64 s[66:67], vcc
	s_cbranch_execz .LBB626_177
; %bb.176:                              ;   in Loop: Header=BB626_164 Depth=1
	v_cmp_eq_u16_e32 vcc, 0, v54
	v_and_b32_e32 v11, 1, v54
	s_waitcnt lgkmcnt(0)
	v_cndmask_b32_e32 v55, 1, v56, vcc
	v_and_b32_sdwa v54, v56, v53 dst_sel:DWORD dst_unused:UNUSED_PAD src0_sel:WORD_1 src1_sel:DWORD
	v_cmp_eq_u32_e32 vcc, 1, v11
	v_cndmask_b32_e64 v11, v54, 1, vcc
	v_mul_lo_u16_e32 v57, v55, v8
	v_lshlrev_b32_e32 v54, 16, v11
	v_mul_lo_u16_e32 v8, v55, v8
	v_or_b32_e32 v55, v54, v8
	v_mov_b32_e32 v8, v57
	v_mov_b32_e32 v54, v11
.LBB626_177:                            ;   in Loop: Header=BB626_164 Depth=1
	;; [unrolled: 21-line block ×4, first 2 shown]
	s_or_b64 exec, exec, s[66:67]
	ds_bpermute_b32 v55, v49, v55
	v_cmp_le_u32_e32 vcc, v50, v10
	s_and_saveexec_b64 s[66:67], vcc
	s_cbranch_execz .LBB626_163
; %bb.182:                              ;   in Loop: Header=BB626_164 Depth=1
	v_cmp_eq_u16_e32 vcc, 0, v54
	s_waitcnt lgkmcnt(0)
	v_cndmask_b32_e32 v10, 1, v55, vcc
	v_mul_lo_u16_e32 v8, v10, v8
	v_and_b32_e32 v10, 1, v54
	v_lshrrev_b32_e32 v11, 16, v55
	v_cmp_eq_u32_e32 vcc, 1, v10
	v_cndmask_b32_e64 v11, v11, 1, vcc
	s_branch .LBB626_163
.LBB626_183:                            ;   in Loop: Header=BB626_164 Depth=1
                                        ; implicit-def: $vgpr10
                                        ; implicit-def: $vgpr8
	s_cbranch_execz .LBB626_164
; %bb.184:
	s_and_saveexec_b64 s[66:67], s[46:47]
	s_cbranch_execz .LBB626_186
; %bb.185:
	v_and_b32_e32 v3, 0xff0000, v2
	s_mov_b32 s47, 0
	v_cmp_eq_u32_e32 vcc, 0, v3
	v_and_b32_e32 v4, 0x10000, v2
	v_mov_b32_e32 v5, 1
	s_add_i32 s46, s6, 64
	v_cndmask_b32_e32 v3, 1, v51, vcc
	v_and_b32_sdwa v5, v48, v5 dst_sel:WORD_1 dst_unused:UNUSED_PAD src0_sel:DWORD src1_sel:DWORD
	v_mov_b32_e32 v6, 0x10000
	v_cmp_eq_u32_e32 vcc, 0, v4
	s_lshl_b64 s[46:47], s[46:47], 3
	v_cndmask_b32_e32 v4, v6, v5, vcc
	s_add_u32 s46, s52, s46
	v_mul_lo_u16_e32 v2, v3, v2
	s_addc_u32 s47, s53, s47
	v_mov_b32_e32 v5, 0
	v_or_b32_e32 v2, v4, v2
	v_mov_b32_e32 v3, 2
	global_store_dwordx2 v5, v[2:3], s[46:47]
.LBB626_186:
	s_or_b64 exec, exec, s[66:67]
	s_and_b64 exec, exec, s[44:45]
	s_cbranch_execz .LBB626_188
; %bb.187:
	v_mov_b32_e32 v2, 0
	ds_write_b16 v2, v51
	ds_write_b8 v2, v48 offset:2
.LBB626_188:
	s_or_b64 exec, exec, s[56:57]
	v_mov_b32_e32 v2, 0
	s_waitcnt lgkmcnt(0)
	s_barrier
	ds_read_b32 v3, v2
	v_cmp_eq_u16_sdwa vcc, v38, v2 src0_sel:BYTE_0 src1_sel:DWORD
	s_waitcnt lgkmcnt(0)
	v_cndmask_b32_e32 v2, 1, v3, vcc
	v_mul_lo_u16_e32 v2, v2, v37
	v_cndmask_b32_e64 v4, v2, v3, s[44:45]
	v_and_b32_e32 v2, 0xff0000, v1
	v_cmp_eq_u32_e32 vcc, 0, v2
	v_cndmask_b32_e32 v2, 1, v4, vcc
	v_mul_lo_u16_e32 v5, v2, v1
	v_cndmask_b32_e64 v2, 1, v5, s[2:3]
	v_mul_lo_u16_e32 v6, v2, v18
	v_cndmask_b32_e64 v2, 1, v6, s[4:5]
	;; [unrolled: 2-line block ×20, first 2 shown]
	v_mul_lo_u16_e32 v50, v2, v35
	s_branch .LBB626_231
.LBB626_189:
	s_or_b64 exec, exec, s[48:49]
                                        ; implicit-def: $vgpr27
	s_and_saveexec_b64 s[48:49], s[2:3]
	s_cbranch_execz .LBB626_49
.LBB626_190:
	v_mov_b32_e32 v27, s72
	v_add_co_u32_e32 v28, vcc, s55, v18
	v_addc_co_u32_e32 v29, vcc, 0, v27, vcc
	flat_load_ushort v27, v[28:29] offset:512
	s_or_b64 exec, exec, s[48:49]
                                        ; implicit-def: $vgpr28
	s_and_saveexec_b64 s[2:3], s[4:5]
	s_cbranch_execnz .LBB626_50
.LBB626_191:
	s_or_b64 exec, exec, s[2:3]
                                        ; implicit-def: $vgpr29
	s_and_saveexec_b64 s[2:3], s[46:47]
	s_cbranch_execz .LBB626_51
.LBB626_192:
	v_mov_b32_e32 v29, s72
	v_add_co_u32_e32 v30, vcc, s55, v18
	v_addc_co_u32_e32 v31, vcc, 0, v29, vcc
	flat_load_ushort v29, v[30:31] offset:1536
	s_or_b64 exec, exec, s[2:3]
                                        ; implicit-def: $vgpr30
	s_and_saveexec_b64 s[2:3], s[8:9]
	s_cbranch_execnz .LBB626_52
.LBB626_193:
	s_or_b64 exec, exec, s[2:3]
                                        ; implicit-def: $vgpr31
	s_and_saveexec_b64 s[2:3], s[10:11]
	s_cbranch_execz .LBB626_53
.LBB626_194:
	v_mov_b32_e32 v31, s72
	v_add_co_u32_e32 v32, vcc, s55, v18
	v_addc_co_u32_e32 v33, vcc, 0, v31, vcc
	flat_load_ushort v31, v[32:33] offset:2560
	s_or_b64 exec, exec, s[2:3]
                                        ; implicit-def: $vgpr32
	s_and_saveexec_b64 s[2:3], s[12:13]
	s_cbranch_execnz .LBB626_54
.LBB626_195:
	s_or_b64 exec, exec, s[2:3]
                                        ; implicit-def: $vgpr33
	s_and_saveexec_b64 s[2:3], s[14:15]
	s_cbranch_execz .LBB626_55
.LBB626_196:
	v_mov_b32_e32 v33, s72
	v_add_co_u32_e32 v34, vcc, s55, v18
	v_addc_co_u32_e32 v35, vcc, 0, v33, vcc
	flat_load_ushort v33, v[34:35] offset:3584
	s_or_b64 exec, exec, s[2:3]
                                        ; implicit-def: $vgpr34
	s_and_saveexec_b64 s[2:3], s[16:17]
	s_cbranch_execnz .LBB626_56
.LBB626_197:
	s_or_b64 exec, exec, s[2:3]
                                        ; implicit-def: $vgpr1
	s_and_saveexec_b64 s[2:3], s[18:19]
	s_cbranch_execz .LBB626_57
.LBB626_198:
	v_lshlrev_b32_e32 v1, 1, v2
	v_mov_b32_e32 v2, s72
	v_add_co_u32_e32 v40, vcc, s55, v1
	v_addc_co_u32_e32 v41, vcc, 0, v2, vcc
	flat_load_ushort v1, v[40:41]
	s_or_b64 exec, exec, s[2:3]
                                        ; implicit-def: $vgpr2
	s_and_saveexec_b64 s[2:3], s[20:21]
	s_cbranch_execnz .LBB626_58
.LBB626_199:
	s_or_b64 exec, exec, s[2:3]
                                        ; implicit-def: $vgpr3
	s_and_saveexec_b64 s[2:3], s[22:23]
	s_cbranch_execz .LBB626_59
.LBB626_200:
	v_lshlrev_b32_e32 v3, 1, v4
	v_mov_b32_e32 v4, s72
	v_add_co_u32_e32 v40, vcc, s55, v3
	v_addc_co_u32_e32 v41, vcc, 0, v4, vcc
	flat_load_ushort v3, v[40:41]
	s_or_b64 exec, exec, s[2:3]
                                        ; implicit-def: $vgpr4
	s_and_saveexec_b64 s[2:3], s[24:25]
	s_cbranch_execnz .LBB626_60
.LBB626_201:
	s_or_b64 exec, exec, s[2:3]
                                        ; implicit-def: $vgpr5
	s_and_saveexec_b64 s[2:3], s[26:27]
	s_cbranch_execz .LBB626_61
.LBB626_202:
	v_lshlrev_b32_e32 v5, 1, v16
	v_mov_b32_e32 v16, s72
	v_add_co_u32_e32 v40, vcc, s55, v5
	v_addc_co_u32_e32 v41, vcc, 0, v16, vcc
	flat_load_ushort v5, v[40:41]
	s_or_b64 exec, exec, s[2:3]
                                        ; implicit-def: $vgpr16
	s_and_saveexec_b64 s[2:3], s[28:29]
	s_cbranch_execnz .LBB626_62
.LBB626_203:
	s_or_b64 exec, exec, s[2:3]
                                        ; implicit-def: $vgpr17
	s_and_saveexec_b64 s[2:3], s[30:31]
	s_cbranch_execz .LBB626_63
.LBB626_204:
	v_lshlrev_b32_e32 v17, 1, v19
	v_mov_b32_e32 v19, s72
	v_add_co_u32_e32 v40, vcc, s55, v17
	v_addc_co_u32_e32 v41, vcc, 0, v19, vcc
	flat_load_ushort v17, v[40:41]
	s_or_b64 exec, exec, s[2:3]
                                        ; implicit-def: $vgpr19
	s_and_saveexec_b64 s[2:3], s[34:35]
	s_cbranch_execnz .LBB626_64
.LBB626_205:
	s_or_b64 exec, exec, s[2:3]
                                        ; implicit-def: $vgpr20
	s_and_saveexec_b64 s[2:3], s[36:37]
	s_cbranch_execz .LBB626_65
.LBB626_206:
	v_lshlrev_b32_e32 v20, 1, v21
	v_mov_b32_e32 v21, s72
	v_add_co_u32_e32 v20, vcc, s55, v20
	v_addc_co_u32_e32 v21, vcc, 0, v21, vcc
	flat_load_ushort v20, v[20:21]
	s_or_b64 exec, exec, s[2:3]
                                        ; implicit-def: $vgpr21
	s_and_saveexec_b64 s[2:3], s[38:39]
	s_cbranch_execnz .LBB626_66
.LBB626_207:
	s_or_b64 exec, exec, s[2:3]
                                        ; implicit-def: $vgpr22
	s_and_saveexec_b64 s[2:3], s[40:41]
	s_cbranch_execz .LBB626_67
.LBB626_208:
	v_lshlrev_b32_e32 v22, 1, v23
	v_mov_b32_e32 v23, s72
	v_add_co_u32_e32 v22, vcc, s55, v22
	v_addc_co_u32_e32 v23, vcc, 0, v23, vcc
	flat_load_ushort v22, v[22:23]
	s_or_b64 exec, exec, s[2:3]
                                        ; implicit-def: $vgpr23
	s_and_saveexec_b64 s[2:3], s[42:43]
	s_cbranch_execz .LBB626_69
	s_branch .LBB626_68
.LBB626_209:
                                        ; implicit-def: $vgpr4
                                        ; implicit-def: $vgpr5
                                        ; implicit-def: $vgpr6
                                        ; implicit-def: $vgpr7
                                        ; implicit-def: $vgpr8
                                        ; implicit-def: $vgpr9
                                        ; implicit-def: $vgpr10
                                        ; implicit-def: $vgpr11
                                        ; implicit-def: $vgpr37
                                        ; implicit-def: $vgpr38
                                        ; implicit-def: $vgpr39
                                        ; implicit-def: $vgpr40
                                        ; implicit-def: $vgpr41
                                        ; implicit-def: $vgpr42
                                        ; implicit-def: $vgpr43
                                        ; implicit-def: $vgpr44
                                        ; implicit-def: $vgpr45
                                        ; implicit-def: $vgpr46
                                        ; implicit-def: $vgpr47
                                        ; implicit-def: $vgpr48
                                        ; implicit-def: $vgpr49
                                        ; implicit-def: $vgpr50
	s_cbranch_execz .LBB626_231
; %bb.210:
	s_cmp_lg_u64 s[64:65], 0
	s_cselect_b32 s3, s59, 0
	s_cselect_b32 s2, s58, 0
	s_cmp_eq_u64 s[2:3], 0
	v_mov_b32_e32 v2, s7
	s_cbranch_scc1 .LBB626_212
; %bb.211:
	v_mov_b32_e32 v2, 0
	global_load_ushort v2, v2, s[2:3]
.LBB626_212:
	s_mov_b32 s42, 0x10000
	v_cmp_gt_u32_e32 vcc, s42, v18
	v_cndmask_b32_e32 v3, 1, v1, vcc
	v_mul_lo_u16_e32 v3, v3, v18
	v_cmp_gt_u32_e64 s[2:3], s42, v22
	v_cndmask_b32_e64 v3, 1, v3, s[2:3]
	v_mul_lo_u16_e32 v3, v3, v22
	v_cmp_gt_u32_e64 s[4:5], s42, v19
	v_cndmask_b32_e64 v3, 1, v3, s[4:5]
	;; [unrolled: 3-line block ×20, first 2 shown]
	v_mul_lo_u16_e32 v4, v3, v12
	v_or3_b32 v3, v15, v33, v32
	v_or3_b32 v3, v3, v31, v30
	;; [unrolled: 1-line block ×8, first 2 shown]
	v_and_b32_e32 v3, 0x10000, v3
	v_cmp_ne_u32_e64 s[42:43], 0, v3
	v_mov_b32_e32 v8, 0x10000
	v_cndmask_b32_e64 v5, v13, 1, s[42:43]
	v_add_lshl_u32 v3, v14, v0, 2
	v_cmp_gt_u32_e64 s[42:43], 64, v0
	ds_write_b16 v3, v4
	ds_write_b8 v3, v5 offset:2
	s_waitcnt lgkmcnt(0)
	s_barrier
	s_and_saveexec_b64 s[44:45], s[42:43]
	s_cbranch_execz .LBB626_226
; %bb.213:
	v_lshlrev_b32_e32 v3, 2, v0
	v_lshrrev_b32_e32 v6, 3, v0
	v_add_lshl_u32 v3, v6, v3, 2
	ds_read_b32 v6, v3
	ds_read_u16 v7, v3 offset:4
	ds_read_u8 v9, v3 offset:6
	ds_read_u16 v10, v3 offset:8
	ds_read_u8 v11, v3 offset:10
	;; [unrolled: 2-line block ×3, first 2 shown]
	v_mov_b32_e32 v14, 0
	s_waitcnt lgkmcnt(4)
	v_cmp_eq_u16_sdwa s[42:43], v9, v14 src0_sel:BYTE_0 src1_sel:DWORD
	v_cndmask_b32_e64 v15, 1, v6, s[42:43]
	v_mul_lo_u16_e32 v15, v15, v7
	s_waitcnt lgkmcnt(2)
	v_cmp_eq_u16_sdwa s[42:43], v11, v14 src0_sel:BYTE_0 src1_sel:DWORD
	s_waitcnt lgkmcnt(0)
	v_or_b32_e32 v11, v13, v11
	v_cndmask_b32_e64 v14, 1, v15, s[42:43]
	v_or_b32_e32 v9, v11, v9
	v_mul_lo_u16_e32 v10, v14, v10
	v_cmp_eq_u16_e64 s[42:43], 0, v13
	v_and_b32_e32 v9, 1, v9
	v_and_b32_e32 v7, 0x10000, v6
	v_cndmask_b32_e64 v14, 1, v10, s[42:43]
	v_cmp_eq_u32_e64 s[42:43], 1, v9
	v_mbcnt_lo_u32_b32 v9, -1, 0
	v_mul_lo_u16_e32 v10, v14, v12
	v_cndmask_b32_e64 v15, v7, v8, s[42:43]
	v_mul_lo_u16_e32 v12, v14, v12
	v_and_b32_e32 v8, 0xff000000, v6
	v_mbcnt_hi_u32_b32 v9, -1, v9
	v_or_b32_e32 v13, v15, v8
	v_and_b32_e32 v14, 15, v9
	v_or3_b32 v12, v8, v12, v15
	s_movk_i32 s48, 0xff
	v_lshrrev_b32_e32 v11, 16, v13
	v_mov_b32_dpp v15, v12 row_shr:1 row_mask:0xf bank_mask:0xf
	v_cmp_ne_u32_e64 s[42:43], 0, v14
	s_and_saveexec_b64 s[46:47], s[42:43]
	s_cbranch_execz .LBB626_215
; %bb.214:
	v_and_b32_sdwa v11, v13, s48 dst_sel:DWORD dst_unused:UNUSED_PAD src0_sel:WORD_1 src1_sel:DWORD
	v_cmp_eq_u16_e64 s[42:43], 0, v11
	v_and_b32_e32 v11, 0x10000, v13
	v_mov_b32_e32 v13, 1
	v_cndmask_b32_e64 v12, 1, v15, s[42:43]
	v_and_b32_sdwa v13, v15, v13 dst_sel:DWORD dst_unused:UNUSED_PAD src0_sel:WORD_1 src1_sel:DWORD
	v_cmp_ne_u32_e64 s[42:43], 0, v11
	v_cndmask_b32_e64 v11, v13, 1, s[42:43]
	v_mul_lo_u16_e32 v37, v12, v10
	v_lshlrev_b32_e32 v13, 16, v11
	v_mul_lo_u16_e32 v10, v12, v10
	v_or3_b32 v12, v13, v10, v8
	v_mov_b32_e32 v10, v37
.LBB626_215:
	s_or_b64 exec, exec, s[46:47]
	v_lshrrev_b32_e32 v13, 16, v12
	v_mov_b32_dpp v15, v12 row_shr:2 row_mask:0xf bank_mask:0xf
	v_cmp_lt_u32_e64 s[42:43], 1, v14
	s_and_saveexec_b64 s[46:47], s[42:43]
	s_cbranch_execz .LBB626_217
; %bb.216:
	v_mov_b32_e32 v11, 0
	v_cmp_eq_u16_sdwa s[42:43], v13, v11 src0_sel:BYTE_0 src1_sel:DWORD
	v_and_b32_e32 v11, 0x10000, v12
	v_mov_b32_e32 v12, 1
	v_cndmask_b32_e64 v13, 1, v15, s[42:43]
	v_and_b32_sdwa v12, v15, v12 dst_sel:DWORD dst_unused:UNUSED_PAD src0_sel:WORD_1 src1_sel:DWORD
	v_cmp_ne_u32_e64 s[42:43], 0, v11
	v_cndmask_b32_e64 v11, v12, 1, s[42:43]
	v_mul_lo_u16_e32 v37, v13, v10
	v_lshlrev_b32_e32 v12, 16, v11
	v_mul_lo_u16_e32 v10, v13, v10
	v_or3_b32 v12, v12, v10, v8
	v_mov_b32_e32 v13, v11
	v_mov_b32_e32 v10, v37
.LBB626_217:
	s_or_b64 exec, exec, s[46:47]
	v_mov_b32_dpp v15, v12 row_shr:4 row_mask:0xf bank_mask:0xf
	v_cmp_lt_u32_e64 s[42:43], 3, v14
	s_and_saveexec_b64 s[46:47], s[42:43]
	s_cbranch_execz .LBB626_219
; %bb.218:
	v_mov_b32_e32 v11, 0
	v_cmp_eq_u16_sdwa s[42:43], v13, v11 src0_sel:BYTE_0 src1_sel:DWORD
	v_and_b32_e32 v11, 1, v13
	v_mov_b32_e32 v13, 1
	v_cndmask_b32_e64 v12, 1, v15, s[42:43]
	v_and_b32_sdwa v13, v15, v13 dst_sel:DWORD dst_unused:UNUSED_PAD src0_sel:WORD_1 src1_sel:DWORD
	v_cmp_eq_u32_e64 s[42:43], 1, v11
	v_cndmask_b32_e64 v11, v13, 1, s[42:43]
	v_mul_lo_u16_e32 v37, v12, v10
	v_lshlrev_b32_e32 v13, 16, v11
	v_mul_lo_u16_e32 v10, v12, v10
	v_or3_b32 v12, v13, v10, v8
	v_mov_b32_e32 v13, v11
	v_mov_b32_e32 v10, v37
.LBB626_219:
	s_or_b64 exec, exec, s[46:47]
	v_mov_b32_dpp v15, v12 row_shr:8 row_mask:0xf bank_mask:0xf
	v_cmp_lt_u32_e64 s[42:43], 7, v14
	s_and_saveexec_b64 s[46:47], s[42:43]
	s_cbranch_execz .LBB626_221
; %bb.220:
	v_mov_b32_e32 v11, 0
	v_cmp_eq_u16_sdwa s[42:43], v13, v11 src0_sel:BYTE_0 src1_sel:DWORD
	v_and_b32_e32 v11, 1, v13
	v_mov_b32_e32 v13, 1
	v_cndmask_b32_e64 v12, 1, v15, s[42:43]
	v_and_b32_sdwa v13, v15, v13 dst_sel:DWORD dst_unused:UNUSED_PAD src0_sel:WORD_1 src1_sel:DWORD
	v_cmp_eq_u32_e64 s[42:43], 1, v11
	v_cndmask_b32_e64 v11, v13, 1, s[42:43]
	v_mul_lo_u16_e32 v14, v12, v10
	v_lshlrev_b32_e32 v13, 16, v11
	v_mul_lo_u16_e32 v10, v12, v10
	v_or3_b32 v12, v13, v10, v8
	v_mov_b32_e32 v13, v11
	v_mov_b32_e32 v10, v14
.LBB626_221:
	s_or_b64 exec, exec, s[46:47]
	v_and_b32_e32 v15, 16, v9
	v_mov_b32_dpp v14, v12 row_bcast:15 row_mask:0xf bank_mask:0xf
	v_cmp_ne_u32_e64 s[42:43], 0, v15
	s_and_saveexec_b64 s[46:47], s[42:43]
	s_cbranch_execz .LBB626_223
; %bb.222:
	v_mov_b32_e32 v11, 0
	v_cmp_eq_u16_sdwa s[42:43], v13, v11 src0_sel:BYTE_0 src1_sel:DWORD
	v_and_b32_e32 v11, 1, v13
	v_mov_b32_e32 v13, 1
	v_cndmask_b32_e64 v12, 1, v14, s[42:43]
	v_and_b32_sdwa v13, v14, v13 dst_sel:DWORD dst_unused:UNUSED_PAD src0_sel:WORD_1 src1_sel:DWORD
	v_cmp_eq_u32_e64 s[42:43], 1, v11
	v_cndmask_b32_e64 v11, v13, 1, s[42:43]
	v_mul_lo_u16_e32 v15, v12, v10
	v_lshlrev_b32_e32 v13, 16, v11
	v_mul_lo_u16_e32 v10, v12, v10
	v_or3_b32 v12, v13, v10, v8
	v_mov_b32_e32 v13, v11
	v_mov_b32_e32 v10, v15
.LBB626_223:
	s_or_b64 exec, exec, s[46:47]
	v_mov_b32_dpp v12, v12 row_bcast:31 row_mask:0xf bank_mask:0xf
	v_cmp_lt_u32_e64 s[42:43], 31, v9
	s_and_saveexec_b64 s[46:47], s[42:43]
; %bb.224:
	v_mov_b32_e32 v11, 0
	v_cmp_eq_u16_sdwa s[42:43], v13, v11 src0_sel:BYTE_0 src1_sel:DWORD
	v_cndmask_b32_e64 v11, 1, v12, s[42:43]
	v_mul_lo_u16_e32 v10, v11, v10
	v_and_b32_e32 v11, 1, v13
	v_mov_b32_e32 v13, 1
	v_and_b32_sdwa v12, v12, v13 dst_sel:DWORD dst_unused:UNUSED_PAD src0_sel:WORD_1 src1_sel:DWORD
	v_cmp_eq_u32_e64 s[42:43], 1, v11
	v_cndmask_b32_e64 v11, v12, 1, s[42:43]
; %bb.225:
	s_or_b64 exec, exec, s[46:47]
	v_and_b32_e32 v11, 0xff, v11
	v_lshlrev_b32_e32 v11, 16, v11
	v_and_b32_e32 v10, 0xffff, v10
	v_or3_b32 v8, v11, v10, v8
	v_add_u32_e32 v10, -1, v9
	v_and_b32_e32 v11, 64, v9
	v_cmp_lt_i32_e64 s[42:43], v10, v11
	v_cndmask_b32_e64 v9, v10, v9, s[42:43]
	v_lshlrev_b32_e32 v9, 2, v9
	ds_bpermute_b32 v8, v9, v8
	v_and_b32_e32 v9, 0xff0000, v6
	v_cmp_eq_u32_e64 s[42:43], 0, v9
	; wave barrier
	s_waitcnt lgkmcnt(0)
	v_cndmask_b32_e64 v9, 1, v8, s[42:43]
	v_mul_lo_u16_e32 v6, v9, v6
	v_mov_b32_e32 v9, 1
	v_and_b32_sdwa v8, v8, v9 dst_sel:DWORD dst_unused:UNUSED_PAD src0_sel:WORD_1 src1_sel:DWORD
	v_cmp_eq_u32_e64 s[42:43], 0, v7
	v_cndmask_b32_e64 v7, 1, v8, s[42:43]
	v_cmp_eq_u32_e64 s[42:43], 0, v0
	v_cndmask_b32_e64 v4, v6, v4, s[42:43]
	v_cndmask_b32_e64 v5, v7, v5, s[42:43]
	ds_write_b16 v3, v4
	ds_write_b8 v3, v5 offset:2
	; wave barrier
	ds_read_u16 v6, v3 offset:4
	ds_read_u8 v7, v3 offset:6
	ds_read_u16 v8, v3 offset:8
	ds_read_u8 v9, v3 offset:10
	ds_read_u16 v10, v3 offset:12
	ds_read_u8 v11, v3 offset:14
	s_waitcnt lgkmcnt(4)
	v_cmp_eq_u16_e64 s[42:43], 0, v7
	v_cndmask_b32_e64 v4, 1, v4, s[42:43]
	v_mul_lo_u16_e32 v4, v4, v6
	v_and_b32_e32 v6, 1, v7
	v_cmp_eq_u32_e64 s[42:43], 1, v6
	v_cndmask_b32_e64 v5, v5, 1, s[42:43]
	s_waitcnt lgkmcnt(2)
	v_cmp_eq_u16_e64 s[42:43], 0, v9
	v_and_b32_e32 v6, 1, v9
	ds_write_b16 v3, v4 offset:4
	ds_write_b8 v3, v5 offset:6
	v_cndmask_b32_e64 v4, 1, v4, s[42:43]
	v_cmp_eq_u32_e64 s[42:43], 1, v6
	v_mul_lo_u16_e32 v4, v4, v8
	v_cndmask_b32_e64 v5, v5, 1, s[42:43]
	s_waitcnt lgkmcnt(2)
	v_cmp_eq_u16_e64 s[42:43], 0, v11
	ds_write_b16 v3, v4 offset:8
	ds_write_b8 v3, v5 offset:10
	v_cndmask_b32_e64 v4, 1, v4, s[42:43]
	v_and_b32_e32 v6, 1, v11
	v_mul_lo_u16_e32 v4, v4, v10
	v_cmp_eq_u32_e64 s[42:43], 1, v6
	v_cndmask_b32_e64 v5, v5, 1, s[42:43]
	ds_write_b16 v3, v4 offset:12
	ds_write_b8 v3, v5 offset:14
.LBB626_226:
	s_or_b64 exec, exec, s[44:45]
	v_cmp_eq_u32_e64 s[42:43], 0, v0
	v_cmp_ne_u32_e64 s[44:45], 0, v0
	s_waitcnt vmcnt(0)
	v_mov_b32_e32 v4, v2
	s_waitcnt lgkmcnt(0)
	s_barrier
	s_and_saveexec_b64 s[46:47], s[44:45]
	s_cbranch_execz .LBB626_228
; %bb.227:
	v_add_u32_e32 v3, -1, v0
	v_lshrrev_b32_e32 v4, 5, v3
	v_add_lshl_u32 v3, v4, v3, 2
	ds_read_u8 v4, v3 offset:2
	ds_read_u16 v3, v3
	s_waitcnt lgkmcnt(1)
	v_cmp_eq_u16_e64 s[44:45], 0, v4
	v_cndmask_b32_e64 v4, 1, v2, s[44:45]
	s_waitcnt lgkmcnt(0)
	v_mul_lo_u16_e32 v4, v4, v3
.LBB626_228:
	s_or_b64 exec, exec, s[46:47]
	v_and_b32_e32 v3, 0xff0000, v1
	v_cmp_eq_u32_e64 s[44:45], 0, v3
	v_cndmask_b32_e64 v3, 1, v4, s[44:45]
	v_mul_lo_u16_e32 v5, v3, v1
	v_cndmask_b32_e32 v1, 1, v5, vcc
	v_mul_lo_u16_e32 v6, v1, v18
	v_cndmask_b32_e64 v1, 1, v6, s[2:3]
	v_mul_lo_u16_e32 v7, v1, v22
	v_cndmask_b32_e64 v1, 1, v7, s[4:5]
	;; [unrolled: 2-line block ×19, first 2 shown]
	s_and_saveexec_b64 s[2:3], s[42:43]
	s_cbranch_execz .LBB626_230
; %bb.229:
	v_mov_b32_e32 v12, 0
	ds_read_u8 v3, v12 offset:1050
	ds_read_u16 v13, v12 offset:1048
	s_waitcnt lgkmcnt(1)
	v_cmp_eq_u32_e32 vcc, 0, v3
	v_cndmask_b32_e32 v2, 1, v2, vcc
	v_lshlrev_b32_e32 v14, 16, v3
	s_waitcnt lgkmcnt(0)
	v_mul_lo_u32 v2, v2, v13
	v_or_b32_sdwa v2, v14, v2 dst_sel:DWORD dst_unused:UNUSED_PAD src0_sel:DWORD src1_sel:WORD_0
	v_mov_b32_e32 v3, 2
	global_store_dwordx2 v12, v[2:3], s[52:53] offset:512
.LBB626_230:
	s_or_b64 exec, exec, s[2:3]
	v_mul_lo_u16_e32 v50, v1, v35
.LBB626_231:
	s_add_u32 s2, s50, s60
	s_addc_u32 s3, s51, s61
	s_add_u32 s4, s2, s62
	v_mul_u32_u24_e32 v1, 22, v0
	s_addc_u32 s5, s3, s63
	s_and_b64 vcc, exec, s[0:1]
	v_lshlrev_b32_e32 v12, 1, v1
	s_cbranch_vccz .LBB626_275
; %bb.232:
	s_mov_b32 s0, 0x5040100
	v_perm_b32 v1, v7, v6, s0
	v_perm_b32 v2, v5, v4, s0
	s_barrier
	ds_write2_b32 v12, v2, v1 offset1:1
	v_perm_b32 v1, v11, v10, s0
	v_perm_b32 v2, v9, v8, s0
	ds_write2_b32 v12, v2, v1 offset0:2 offset1:3
	v_perm_b32 v1, v40, v39, s0
	v_perm_b32 v2, v38, v37, s0
	ds_write2_b32 v12, v2, v1 offset0:4 offset1:5
	;; [unrolled: 3-line block ×4, first 2 shown]
	v_perm_b32 v1, v50, v49, s0
	s_movk_i32 s0, 0xffd6
	v_mad_i32_i24 v2, v0, s0, v12
	ds_write_b32 v12, v1 offset:40
	s_waitcnt lgkmcnt(0)
	s_barrier
	ds_read_u16 v33, v2 offset:512
	ds_read_u16 v32, v2 offset:1024
	;; [unrolled: 1-line block ×21, first 2 shown]
	v_mov_b32_e32 v3, s5
	v_add_co_u32_e32 v2, vcc, s4, v36
	s_add_i32 s33, s33, s54
	v_addc_co_u32_e32 v3, vcc, 0, v3, vcc
	v_mov_b32_e32 v1, 0
	v_cmp_gt_u32_e32 vcc, s33, v0
	s_and_saveexec_b64 s[0:1], vcc
	s_cbranch_execz .LBB626_234
; %bb.233:
	v_mul_i32_i24_e32 v34, 0xffffffd6, v0
	v_add_u32_e32 v34, v12, v34
	ds_read_u16 v34, v34
	s_waitcnt lgkmcnt(0)
	flat_store_short v[2:3], v34
.LBB626_234:
	s_or_b64 exec, exec, s[0:1]
	v_or_b32_e32 v34, 0x100, v0
	v_cmp_gt_u32_e32 vcc, s33, v34
	s_and_saveexec_b64 s[0:1], vcc
	s_cbranch_execz .LBB626_236
; %bb.235:
	s_waitcnt lgkmcnt(0)
	flat_store_short v[2:3], v33 offset:512
.LBB626_236:
	s_or_b64 exec, exec, s[0:1]
	s_waitcnt lgkmcnt(0)
	v_or_b32_e32 v33, 0x200, v0
	v_cmp_gt_u32_e32 vcc, s33, v33
	s_and_saveexec_b64 s[0:1], vcc
	s_cbranch_execz .LBB626_238
; %bb.237:
	flat_store_short v[2:3], v32 offset:1024
.LBB626_238:
	s_or_b64 exec, exec, s[0:1]
	v_or_b32_e32 v32, 0x300, v0
	v_cmp_gt_u32_e32 vcc, s33, v32
	s_and_saveexec_b64 s[0:1], vcc
	s_cbranch_execz .LBB626_240
; %bb.239:
	flat_store_short v[2:3], v31 offset:1536
.LBB626_240:
	s_or_b64 exec, exec, s[0:1]
	;; [unrolled: 8-line block ×6, first 2 shown]
	v_or_b32_e32 v27, 0x800, v0
	v_cmp_gt_u32_e32 vcc, s33, v27
	s_and_saveexec_b64 s[0:1], vcc
	s_cbranch_execz .LBB626_250
; %bb.249:
	v_add_co_u32_e32 v28, vcc, 0x1000, v2
	v_addc_co_u32_e32 v29, vcc, 0, v3, vcc
	flat_store_short v[28:29], v26
.LBB626_250:
	s_or_b64 exec, exec, s[0:1]
	v_or_b32_e32 v26, 0x900, v0
	v_cmp_gt_u32_e32 vcc, s33, v26
	s_and_saveexec_b64 s[0:1], vcc
	s_cbranch_execz .LBB626_252
; %bb.251:
	v_add_co_u32_e32 v26, vcc, 0x1000, v2
	v_addc_co_u32_e32 v27, vcc, 0, v3, vcc
	flat_store_short v[26:27], v25 offset:512
.LBB626_252:
	s_or_b64 exec, exec, s[0:1]
	v_or_b32_e32 v25, 0xa00, v0
	v_cmp_gt_u32_e32 vcc, s33, v25
	s_and_saveexec_b64 s[0:1], vcc
	s_cbranch_execz .LBB626_254
; %bb.253:
	v_add_co_u32_e32 v26, vcc, 0x1000, v2
	v_addc_co_u32_e32 v27, vcc, 0, v3, vcc
	flat_store_short v[26:27], v24 offset:1024
.LBB626_254:
	;; [unrolled: 10-line block ×7, first 2 shown]
	s_or_b64 exec, exec, s[0:1]
	v_or_b32_e32 v19, 0x1000, v0
	v_cmp_gt_u32_e32 vcc, s33, v19
	s_and_saveexec_b64 s[0:1], vcc
	s_cbranch_execz .LBB626_266
; %bb.265:
	v_add_co_u32_e32 v20, vcc, 0x2000, v2
	v_addc_co_u32_e32 v21, vcc, 0, v3, vcc
	flat_store_short v[20:21], v18
.LBB626_266:
	s_or_b64 exec, exec, s[0:1]
	v_or_b32_e32 v18, 0x1100, v0
	v_cmp_gt_u32_e32 vcc, s33, v18
	s_and_saveexec_b64 s[0:1], vcc
	s_cbranch_execz .LBB626_268
; %bb.267:
	v_add_co_u32_e32 v18, vcc, 0x2000, v2
	v_addc_co_u32_e32 v19, vcc, 0, v3, vcc
	flat_store_short v[18:19], v17 offset:512
.LBB626_268:
	s_or_b64 exec, exec, s[0:1]
	v_or_b32_e32 v17, 0x1200, v0
	v_cmp_gt_u32_e32 vcc, s33, v17
	s_and_saveexec_b64 s[0:1], vcc
	s_cbranch_execz .LBB626_270
; %bb.269:
	v_add_co_u32_e32 v18, vcc, 0x2000, v2
	v_addc_co_u32_e32 v19, vcc, 0, v3, vcc
	flat_store_short v[18:19], v16 offset:1024
.LBB626_270:
	;; [unrolled: 10-line block ×4, first 2 shown]
	s_or_b64 exec, exec, s[0:1]
	v_or_b32_e32 v2, 0x1500, v0
	v_cmp_gt_u32_e64 s[0:1], s33, v2
	s_branch .LBB626_277
.LBB626_275:
	s_mov_b64 s[0:1], 0
                                        ; implicit-def: $vgpr13
	s_cbranch_execz .LBB626_277
; %bb.276:
	s_mov_b32 s2, 0x5040100
	v_perm_b32 v1, v7, v6, s2
	v_perm_b32 v2, v5, v4, s2
	s_waitcnt lgkmcnt(0)
	s_barrier
	ds_write2_b32 v12, v2, v1 offset1:1
	v_perm_b32 v1, v11, v10, s2
	v_perm_b32 v2, v9, v8, s2
	ds_write2_b32 v12, v2, v1 offset0:2 offset1:3
	v_perm_b32 v1, v40, v39, s2
	v_perm_b32 v2, v38, v37, s2
	ds_write2_b32 v12, v2, v1 offset0:4 offset1:5
	v_perm_b32 v1, v44, v43, s2
	v_perm_b32 v2, v42, v41, s2
	ds_write2_b32 v12, v2, v1 offset0:6 offset1:7
	v_perm_b32 v1, v48, v47, s2
	v_perm_b32 v2, v46, v45, s2
	ds_write2_b32 v12, v2, v1 offset0:8 offset1:9
	v_perm_b32 v1, v50, v49, s2
	s_movk_i32 s2, 0xffd6
	v_mad_i32_i24 v2, v0, s2, v12
	ds_write_b32 v12, v1 offset:40
	s_waitcnt lgkmcnt(0)
	s_barrier
	ds_read_u16 v4, v2
	ds_read_u16 v5, v2 offset:512
	ds_read_u16 v6, v2 offset:1024
	;; [unrolled: 1-line block ×21, first 2 shown]
	v_mov_b32_e32 v3, s5
	v_add_co_u32_e32 v2, vcc, s4, v36
	v_addc_co_u32_e32 v3, vcc, 0, v3, vcc
	s_movk_i32 s2, 0x1000
	s_waitcnt lgkmcnt(0)
	flat_store_short v[2:3], v4
	flat_store_short v[2:3], v5 offset:512
	flat_store_short v[2:3], v6 offset:1024
	;; [unrolled: 1-line block ×7, first 2 shown]
	v_add_co_u32_e32 v4, vcc, s2, v2
	v_addc_co_u32_e32 v5, vcc, 0, v3, vcc
	v_add_co_u32_e32 v2, vcc, 0x2000, v2
	v_mov_b32_e32 v1, 0
	v_addc_co_u32_e32 v3, vcc, 0, v3, vcc
	s_or_b64 s[0:1], s[0:1], exec
	flat_store_short v[4:5], v12
	flat_store_short v[4:5], v14 offset:512
	flat_store_short v[4:5], v15 offset:1024
	;; [unrolled: 1-line block ×7, first 2 shown]
	flat_store_short v[2:3], v21
	flat_store_short v[2:3], v22 offset:512
	flat_store_short v[2:3], v23 offset:1024
	;; [unrolled: 1-line block ×4, first 2 shown]
.LBB626_277:
	s_and_saveexec_b64 s[2:3], s[0:1]
	s_cbranch_execz .LBB626_279
; %bb.278:
	v_lshlrev_b64 v[0:1], 1, v[0:1]
	v_mov_b32_e32 v2, s5
	v_add_co_u32_e32 v0, vcc, s4, v0
	v_addc_co_u32_e32 v1, vcc, v2, v1, vcc
	v_add_co_u32_e32 v0, vcc, 0x2000, v0
	v_addc_co_u32_e32 v1, vcc, 0, v1, vcc
	flat_store_short v[0:1], v13 offset:2560
	s_endpgm
.LBB626_279:
	s_endpgm
	.section	.rodata,"a",@progbits
	.p2align	6, 0x0
	.amdhsa_kernel _ZN7rocprim17ROCPRIM_400000_NS6detail17trampoline_kernelINS0_14default_configENS1_27scan_by_key_config_selectorIssEEZZNS1_16scan_by_key_implILNS1_25lookback_scan_determinismE0ELb1ES3_N6thrust23THRUST_200600_302600_NS6detail15normal_iteratorINS9_10device_ptrIsEEEESE_SE_sNS9_10multipliesIsEENS9_8equal_toIsEEsEE10hipError_tPvRmT2_T3_T4_T5_mT6_T7_P12ihipStream_tbENKUlT_T0_E_clISt17integral_constantIbLb1EESY_IbLb0EEEEDaSU_SV_EUlSU_E_NS1_11comp_targetILNS1_3genE4ELNS1_11target_archE910ELNS1_3gpuE8ELNS1_3repE0EEENS1_30default_config_static_selectorELNS0_4arch9wavefront6targetE1EEEvT1_
		.amdhsa_group_segment_fixed_size 12288
		.amdhsa_private_segment_fixed_size 0
		.amdhsa_kernarg_size 112
		.amdhsa_user_sgpr_count 6
		.amdhsa_user_sgpr_private_segment_buffer 1
		.amdhsa_user_sgpr_dispatch_ptr 0
		.amdhsa_user_sgpr_queue_ptr 0
		.amdhsa_user_sgpr_kernarg_segment_ptr 1
		.amdhsa_user_sgpr_dispatch_id 0
		.amdhsa_user_sgpr_flat_scratch_init 0
		.amdhsa_user_sgpr_kernarg_preload_length 0
		.amdhsa_user_sgpr_kernarg_preload_offset 0
		.amdhsa_user_sgpr_private_segment_size 0
		.amdhsa_uses_dynamic_stack 0
		.amdhsa_system_sgpr_private_segment_wavefront_offset 0
		.amdhsa_system_sgpr_workgroup_id_x 1
		.amdhsa_system_sgpr_workgroup_id_y 0
		.amdhsa_system_sgpr_workgroup_id_z 0
		.amdhsa_system_sgpr_workgroup_info 0
		.amdhsa_system_vgpr_workitem_id 0
		.amdhsa_next_free_vgpr 58
		.amdhsa_next_free_sgpr 75
		.amdhsa_accum_offset 60
		.amdhsa_reserve_vcc 1
		.amdhsa_reserve_flat_scratch 0
		.amdhsa_float_round_mode_32 0
		.amdhsa_float_round_mode_16_64 0
		.amdhsa_float_denorm_mode_32 3
		.amdhsa_float_denorm_mode_16_64 3
		.amdhsa_dx10_clamp 1
		.amdhsa_ieee_mode 1
		.amdhsa_fp16_overflow 0
		.amdhsa_tg_split 0
		.amdhsa_exception_fp_ieee_invalid_op 0
		.amdhsa_exception_fp_denorm_src 0
		.amdhsa_exception_fp_ieee_div_zero 0
		.amdhsa_exception_fp_ieee_overflow 0
		.amdhsa_exception_fp_ieee_underflow 0
		.amdhsa_exception_fp_ieee_inexact 0
		.amdhsa_exception_int_div_zero 0
	.end_amdhsa_kernel
	.section	.text._ZN7rocprim17ROCPRIM_400000_NS6detail17trampoline_kernelINS0_14default_configENS1_27scan_by_key_config_selectorIssEEZZNS1_16scan_by_key_implILNS1_25lookback_scan_determinismE0ELb1ES3_N6thrust23THRUST_200600_302600_NS6detail15normal_iteratorINS9_10device_ptrIsEEEESE_SE_sNS9_10multipliesIsEENS9_8equal_toIsEEsEE10hipError_tPvRmT2_T3_T4_T5_mT6_T7_P12ihipStream_tbENKUlT_T0_E_clISt17integral_constantIbLb1EESY_IbLb0EEEEDaSU_SV_EUlSU_E_NS1_11comp_targetILNS1_3genE4ELNS1_11target_archE910ELNS1_3gpuE8ELNS1_3repE0EEENS1_30default_config_static_selectorELNS0_4arch9wavefront6targetE1EEEvT1_,"axG",@progbits,_ZN7rocprim17ROCPRIM_400000_NS6detail17trampoline_kernelINS0_14default_configENS1_27scan_by_key_config_selectorIssEEZZNS1_16scan_by_key_implILNS1_25lookback_scan_determinismE0ELb1ES3_N6thrust23THRUST_200600_302600_NS6detail15normal_iteratorINS9_10device_ptrIsEEEESE_SE_sNS9_10multipliesIsEENS9_8equal_toIsEEsEE10hipError_tPvRmT2_T3_T4_T5_mT6_T7_P12ihipStream_tbENKUlT_T0_E_clISt17integral_constantIbLb1EESY_IbLb0EEEEDaSU_SV_EUlSU_E_NS1_11comp_targetILNS1_3genE4ELNS1_11target_archE910ELNS1_3gpuE8ELNS1_3repE0EEENS1_30default_config_static_selectorELNS0_4arch9wavefront6targetE1EEEvT1_,comdat
.Lfunc_end626:
	.size	_ZN7rocprim17ROCPRIM_400000_NS6detail17trampoline_kernelINS0_14default_configENS1_27scan_by_key_config_selectorIssEEZZNS1_16scan_by_key_implILNS1_25lookback_scan_determinismE0ELb1ES3_N6thrust23THRUST_200600_302600_NS6detail15normal_iteratorINS9_10device_ptrIsEEEESE_SE_sNS9_10multipliesIsEENS9_8equal_toIsEEsEE10hipError_tPvRmT2_T3_T4_T5_mT6_T7_P12ihipStream_tbENKUlT_T0_E_clISt17integral_constantIbLb1EESY_IbLb0EEEEDaSU_SV_EUlSU_E_NS1_11comp_targetILNS1_3genE4ELNS1_11target_archE910ELNS1_3gpuE8ELNS1_3repE0EEENS1_30default_config_static_selectorELNS0_4arch9wavefront6targetE1EEEvT1_, .Lfunc_end626-_ZN7rocprim17ROCPRIM_400000_NS6detail17trampoline_kernelINS0_14default_configENS1_27scan_by_key_config_selectorIssEEZZNS1_16scan_by_key_implILNS1_25lookback_scan_determinismE0ELb1ES3_N6thrust23THRUST_200600_302600_NS6detail15normal_iteratorINS9_10device_ptrIsEEEESE_SE_sNS9_10multipliesIsEENS9_8equal_toIsEEsEE10hipError_tPvRmT2_T3_T4_T5_mT6_T7_P12ihipStream_tbENKUlT_T0_E_clISt17integral_constantIbLb1EESY_IbLb0EEEEDaSU_SV_EUlSU_E_NS1_11comp_targetILNS1_3genE4ELNS1_11target_archE910ELNS1_3gpuE8ELNS1_3repE0EEENS1_30default_config_static_selectorELNS0_4arch9wavefront6targetE1EEEvT1_
                                        ; -- End function
	.section	.AMDGPU.csdata,"",@progbits
; Kernel info:
; codeLenInByte = 16340
; NumSgprs: 79
; NumVgprs: 58
; NumAgprs: 0
; TotalNumVgprs: 58
; ScratchSize: 0
; MemoryBound: 0
; FloatMode: 240
; IeeeMode: 1
; LDSByteSize: 12288 bytes/workgroup (compile time only)
; SGPRBlocks: 9
; VGPRBlocks: 7
; NumSGPRsForWavesPerEU: 79
; NumVGPRsForWavesPerEU: 58
; AccumOffset: 60
; Occupancy: 5
; WaveLimiterHint : 1
; COMPUTE_PGM_RSRC2:SCRATCH_EN: 0
; COMPUTE_PGM_RSRC2:USER_SGPR: 6
; COMPUTE_PGM_RSRC2:TRAP_HANDLER: 0
; COMPUTE_PGM_RSRC2:TGID_X_EN: 1
; COMPUTE_PGM_RSRC2:TGID_Y_EN: 0
; COMPUTE_PGM_RSRC2:TGID_Z_EN: 0
; COMPUTE_PGM_RSRC2:TIDIG_COMP_CNT: 0
; COMPUTE_PGM_RSRC3_GFX90A:ACCUM_OFFSET: 14
; COMPUTE_PGM_RSRC3_GFX90A:TG_SPLIT: 0
	.section	.text._ZN7rocprim17ROCPRIM_400000_NS6detail17trampoline_kernelINS0_14default_configENS1_27scan_by_key_config_selectorIssEEZZNS1_16scan_by_key_implILNS1_25lookback_scan_determinismE0ELb1ES3_N6thrust23THRUST_200600_302600_NS6detail15normal_iteratorINS9_10device_ptrIsEEEESE_SE_sNS9_10multipliesIsEENS9_8equal_toIsEEsEE10hipError_tPvRmT2_T3_T4_T5_mT6_T7_P12ihipStream_tbENKUlT_T0_E_clISt17integral_constantIbLb1EESY_IbLb0EEEEDaSU_SV_EUlSU_E_NS1_11comp_targetILNS1_3genE3ELNS1_11target_archE908ELNS1_3gpuE7ELNS1_3repE0EEENS1_30default_config_static_selectorELNS0_4arch9wavefront6targetE1EEEvT1_,"axG",@progbits,_ZN7rocprim17ROCPRIM_400000_NS6detail17trampoline_kernelINS0_14default_configENS1_27scan_by_key_config_selectorIssEEZZNS1_16scan_by_key_implILNS1_25lookback_scan_determinismE0ELb1ES3_N6thrust23THRUST_200600_302600_NS6detail15normal_iteratorINS9_10device_ptrIsEEEESE_SE_sNS9_10multipliesIsEENS9_8equal_toIsEEsEE10hipError_tPvRmT2_T3_T4_T5_mT6_T7_P12ihipStream_tbENKUlT_T0_E_clISt17integral_constantIbLb1EESY_IbLb0EEEEDaSU_SV_EUlSU_E_NS1_11comp_targetILNS1_3genE3ELNS1_11target_archE908ELNS1_3gpuE7ELNS1_3repE0EEENS1_30default_config_static_selectorELNS0_4arch9wavefront6targetE1EEEvT1_,comdat
	.protected	_ZN7rocprim17ROCPRIM_400000_NS6detail17trampoline_kernelINS0_14default_configENS1_27scan_by_key_config_selectorIssEEZZNS1_16scan_by_key_implILNS1_25lookback_scan_determinismE0ELb1ES3_N6thrust23THRUST_200600_302600_NS6detail15normal_iteratorINS9_10device_ptrIsEEEESE_SE_sNS9_10multipliesIsEENS9_8equal_toIsEEsEE10hipError_tPvRmT2_T3_T4_T5_mT6_T7_P12ihipStream_tbENKUlT_T0_E_clISt17integral_constantIbLb1EESY_IbLb0EEEEDaSU_SV_EUlSU_E_NS1_11comp_targetILNS1_3genE3ELNS1_11target_archE908ELNS1_3gpuE7ELNS1_3repE0EEENS1_30default_config_static_selectorELNS0_4arch9wavefront6targetE1EEEvT1_ ; -- Begin function _ZN7rocprim17ROCPRIM_400000_NS6detail17trampoline_kernelINS0_14default_configENS1_27scan_by_key_config_selectorIssEEZZNS1_16scan_by_key_implILNS1_25lookback_scan_determinismE0ELb1ES3_N6thrust23THRUST_200600_302600_NS6detail15normal_iteratorINS9_10device_ptrIsEEEESE_SE_sNS9_10multipliesIsEENS9_8equal_toIsEEsEE10hipError_tPvRmT2_T3_T4_T5_mT6_T7_P12ihipStream_tbENKUlT_T0_E_clISt17integral_constantIbLb1EESY_IbLb0EEEEDaSU_SV_EUlSU_E_NS1_11comp_targetILNS1_3genE3ELNS1_11target_archE908ELNS1_3gpuE7ELNS1_3repE0EEENS1_30default_config_static_selectorELNS0_4arch9wavefront6targetE1EEEvT1_
	.globl	_ZN7rocprim17ROCPRIM_400000_NS6detail17trampoline_kernelINS0_14default_configENS1_27scan_by_key_config_selectorIssEEZZNS1_16scan_by_key_implILNS1_25lookback_scan_determinismE0ELb1ES3_N6thrust23THRUST_200600_302600_NS6detail15normal_iteratorINS9_10device_ptrIsEEEESE_SE_sNS9_10multipliesIsEENS9_8equal_toIsEEsEE10hipError_tPvRmT2_T3_T4_T5_mT6_T7_P12ihipStream_tbENKUlT_T0_E_clISt17integral_constantIbLb1EESY_IbLb0EEEEDaSU_SV_EUlSU_E_NS1_11comp_targetILNS1_3genE3ELNS1_11target_archE908ELNS1_3gpuE7ELNS1_3repE0EEENS1_30default_config_static_selectorELNS0_4arch9wavefront6targetE1EEEvT1_
	.p2align	8
	.type	_ZN7rocprim17ROCPRIM_400000_NS6detail17trampoline_kernelINS0_14default_configENS1_27scan_by_key_config_selectorIssEEZZNS1_16scan_by_key_implILNS1_25lookback_scan_determinismE0ELb1ES3_N6thrust23THRUST_200600_302600_NS6detail15normal_iteratorINS9_10device_ptrIsEEEESE_SE_sNS9_10multipliesIsEENS9_8equal_toIsEEsEE10hipError_tPvRmT2_T3_T4_T5_mT6_T7_P12ihipStream_tbENKUlT_T0_E_clISt17integral_constantIbLb1EESY_IbLb0EEEEDaSU_SV_EUlSU_E_NS1_11comp_targetILNS1_3genE3ELNS1_11target_archE908ELNS1_3gpuE7ELNS1_3repE0EEENS1_30default_config_static_selectorELNS0_4arch9wavefront6targetE1EEEvT1_,@function
_ZN7rocprim17ROCPRIM_400000_NS6detail17trampoline_kernelINS0_14default_configENS1_27scan_by_key_config_selectorIssEEZZNS1_16scan_by_key_implILNS1_25lookback_scan_determinismE0ELb1ES3_N6thrust23THRUST_200600_302600_NS6detail15normal_iteratorINS9_10device_ptrIsEEEESE_SE_sNS9_10multipliesIsEENS9_8equal_toIsEEsEE10hipError_tPvRmT2_T3_T4_T5_mT6_T7_P12ihipStream_tbENKUlT_T0_E_clISt17integral_constantIbLb1EESY_IbLb0EEEEDaSU_SV_EUlSU_E_NS1_11comp_targetILNS1_3genE3ELNS1_11target_archE908ELNS1_3gpuE7ELNS1_3repE0EEENS1_30default_config_static_selectorELNS0_4arch9wavefront6targetE1EEEvT1_: ; @_ZN7rocprim17ROCPRIM_400000_NS6detail17trampoline_kernelINS0_14default_configENS1_27scan_by_key_config_selectorIssEEZZNS1_16scan_by_key_implILNS1_25lookback_scan_determinismE0ELb1ES3_N6thrust23THRUST_200600_302600_NS6detail15normal_iteratorINS9_10device_ptrIsEEEESE_SE_sNS9_10multipliesIsEENS9_8equal_toIsEEsEE10hipError_tPvRmT2_T3_T4_T5_mT6_T7_P12ihipStream_tbENKUlT_T0_E_clISt17integral_constantIbLb1EESY_IbLb0EEEEDaSU_SV_EUlSU_E_NS1_11comp_targetILNS1_3genE3ELNS1_11target_archE908ELNS1_3gpuE7ELNS1_3repE0EEENS1_30default_config_static_selectorELNS0_4arch9wavefront6targetE1EEEvT1_
; %bb.0:
	.section	.rodata,"a",@progbits
	.p2align	6, 0x0
	.amdhsa_kernel _ZN7rocprim17ROCPRIM_400000_NS6detail17trampoline_kernelINS0_14default_configENS1_27scan_by_key_config_selectorIssEEZZNS1_16scan_by_key_implILNS1_25lookback_scan_determinismE0ELb1ES3_N6thrust23THRUST_200600_302600_NS6detail15normal_iteratorINS9_10device_ptrIsEEEESE_SE_sNS9_10multipliesIsEENS9_8equal_toIsEEsEE10hipError_tPvRmT2_T3_T4_T5_mT6_T7_P12ihipStream_tbENKUlT_T0_E_clISt17integral_constantIbLb1EESY_IbLb0EEEEDaSU_SV_EUlSU_E_NS1_11comp_targetILNS1_3genE3ELNS1_11target_archE908ELNS1_3gpuE7ELNS1_3repE0EEENS1_30default_config_static_selectorELNS0_4arch9wavefront6targetE1EEEvT1_
		.amdhsa_group_segment_fixed_size 0
		.amdhsa_private_segment_fixed_size 0
		.amdhsa_kernarg_size 112
		.amdhsa_user_sgpr_count 6
		.amdhsa_user_sgpr_private_segment_buffer 1
		.amdhsa_user_sgpr_dispatch_ptr 0
		.amdhsa_user_sgpr_queue_ptr 0
		.amdhsa_user_sgpr_kernarg_segment_ptr 1
		.amdhsa_user_sgpr_dispatch_id 0
		.amdhsa_user_sgpr_flat_scratch_init 0
		.amdhsa_user_sgpr_kernarg_preload_length 0
		.amdhsa_user_sgpr_kernarg_preload_offset 0
		.amdhsa_user_sgpr_private_segment_size 0
		.amdhsa_uses_dynamic_stack 0
		.amdhsa_system_sgpr_private_segment_wavefront_offset 0
		.amdhsa_system_sgpr_workgroup_id_x 1
		.amdhsa_system_sgpr_workgroup_id_y 0
		.amdhsa_system_sgpr_workgroup_id_z 0
		.amdhsa_system_sgpr_workgroup_info 0
		.amdhsa_system_vgpr_workitem_id 0
		.amdhsa_next_free_vgpr 1
		.amdhsa_next_free_sgpr 0
		.amdhsa_accum_offset 4
		.amdhsa_reserve_vcc 0
		.amdhsa_reserve_flat_scratch 0
		.amdhsa_float_round_mode_32 0
		.amdhsa_float_round_mode_16_64 0
		.amdhsa_float_denorm_mode_32 3
		.amdhsa_float_denorm_mode_16_64 3
		.amdhsa_dx10_clamp 1
		.amdhsa_ieee_mode 1
		.amdhsa_fp16_overflow 0
		.amdhsa_tg_split 0
		.amdhsa_exception_fp_ieee_invalid_op 0
		.amdhsa_exception_fp_denorm_src 0
		.amdhsa_exception_fp_ieee_div_zero 0
		.amdhsa_exception_fp_ieee_overflow 0
		.amdhsa_exception_fp_ieee_underflow 0
		.amdhsa_exception_fp_ieee_inexact 0
		.amdhsa_exception_int_div_zero 0
	.end_amdhsa_kernel
	.section	.text._ZN7rocprim17ROCPRIM_400000_NS6detail17trampoline_kernelINS0_14default_configENS1_27scan_by_key_config_selectorIssEEZZNS1_16scan_by_key_implILNS1_25lookback_scan_determinismE0ELb1ES3_N6thrust23THRUST_200600_302600_NS6detail15normal_iteratorINS9_10device_ptrIsEEEESE_SE_sNS9_10multipliesIsEENS9_8equal_toIsEEsEE10hipError_tPvRmT2_T3_T4_T5_mT6_T7_P12ihipStream_tbENKUlT_T0_E_clISt17integral_constantIbLb1EESY_IbLb0EEEEDaSU_SV_EUlSU_E_NS1_11comp_targetILNS1_3genE3ELNS1_11target_archE908ELNS1_3gpuE7ELNS1_3repE0EEENS1_30default_config_static_selectorELNS0_4arch9wavefront6targetE1EEEvT1_,"axG",@progbits,_ZN7rocprim17ROCPRIM_400000_NS6detail17trampoline_kernelINS0_14default_configENS1_27scan_by_key_config_selectorIssEEZZNS1_16scan_by_key_implILNS1_25lookback_scan_determinismE0ELb1ES3_N6thrust23THRUST_200600_302600_NS6detail15normal_iteratorINS9_10device_ptrIsEEEESE_SE_sNS9_10multipliesIsEENS9_8equal_toIsEEsEE10hipError_tPvRmT2_T3_T4_T5_mT6_T7_P12ihipStream_tbENKUlT_T0_E_clISt17integral_constantIbLb1EESY_IbLb0EEEEDaSU_SV_EUlSU_E_NS1_11comp_targetILNS1_3genE3ELNS1_11target_archE908ELNS1_3gpuE7ELNS1_3repE0EEENS1_30default_config_static_selectorELNS0_4arch9wavefront6targetE1EEEvT1_,comdat
.Lfunc_end627:
	.size	_ZN7rocprim17ROCPRIM_400000_NS6detail17trampoline_kernelINS0_14default_configENS1_27scan_by_key_config_selectorIssEEZZNS1_16scan_by_key_implILNS1_25lookback_scan_determinismE0ELb1ES3_N6thrust23THRUST_200600_302600_NS6detail15normal_iteratorINS9_10device_ptrIsEEEESE_SE_sNS9_10multipliesIsEENS9_8equal_toIsEEsEE10hipError_tPvRmT2_T3_T4_T5_mT6_T7_P12ihipStream_tbENKUlT_T0_E_clISt17integral_constantIbLb1EESY_IbLb0EEEEDaSU_SV_EUlSU_E_NS1_11comp_targetILNS1_3genE3ELNS1_11target_archE908ELNS1_3gpuE7ELNS1_3repE0EEENS1_30default_config_static_selectorELNS0_4arch9wavefront6targetE1EEEvT1_, .Lfunc_end627-_ZN7rocprim17ROCPRIM_400000_NS6detail17trampoline_kernelINS0_14default_configENS1_27scan_by_key_config_selectorIssEEZZNS1_16scan_by_key_implILNS1_25lookback_scan_determinismE0ELb1ES3_N6thrust23THRUST_200600_302600_NS6detail15normal_iteratorINS9_10device_ptrIsEEEESE_SE_sNS9_10multipliesIsEENS9_8equal_toIsEEsEE10hipError_tPvRmT2_T3_T4_T5_mT6_T7_P12ihipStream_tbENKUlT_T0_E_clISt17integral_constantIbLb1EESY_IbLb0EEEEDaSU_SV_EUlSU_E_NS1_11comp_targetILNS1_3genE3ELNS1_11target_archE908ELNS1_3gpuE7ELNS1_3repE0EEENS1_30default_config_static_selectorELNS0_4arch9wavefront6targetE1EEEvT1_
                                        ; -- End function
	.section	.AMDGPU.csdata,"",@progbits
; Kernel info:
; codeLenInByte = 0
; NumSgprs: 4
; NumVgprs: 0
; NumAgprs: 0
; TotalNumVgprs: 0
; ScratchSize: 0
; MemoryBound: 0
; FloatMode: 240
; IeeeMode: 1
; LDSByteSize: 0 bytes/workgroup (compile time only)
; SGPRBlocks: 0
; VGPRBlocks: 0
; NumSGPRsForWavesPerEU: 4
; NumVGPRsForWavesPerEU: 1
; AccumOffset: 4
; Occupancy: 8
; WaveLimiterHint : 0
; COMPUTE_PGM_RSRC2:SCRATCH_EN: 0
; COMPUTE_PGM_RSRC2:USER_SGPR: 6
; COMPUTE_PGM_RSRC2:TRAP_HANDLER: 0
; COMPUTE_PGM_RSRC2:TGID_X_EN: 1
; COMPUTE_PGM_RSRC2:TGID_Y_EN: 0
; COMPUTE_PGM_RSRC2:TGID_Z_EN: 0
; COMPUTE_PGM_RSRC2:TIDIG_COMP_CNT: 0
; COMPUTE_PGM_RSRC3_GFX90A:ACCUM_OFFSET: 0
; COMPUTE_PGM_RSRC3_GFX90A:TG_SPLIT: 0
	.section	.text._ZN7rocprim17ROCPRIM_400000_NS6detail17trampoline_kernelINS0_14default_configENS1_27scan_by_key_config_selectorIssEEZZNS1_16scan_by_key_implILNS1_25lookback_scan_determinismE0ELb1ES3_N6thrust23THRUST_200600_302600_NS6detail15normal_iteratorINS9_10device_ptrIsEEEESE_SE_sNS9_10multipliesIsEENS9_8equal_toIsEEsEE10hipError_tPvRmT2_T3_T4_T5_mT6_T7_P12ihipStream_tbENKUlT_T0_E_clISt17integral_constantIbLb1EESY_IbLb0EEEEDaSU_SV_EUlSU_E_NS1_11comp_targetILNS1_3genE2ELNS1_11target_archE906ELNS1_3gpuE6ELNS1_3repE0EEENS1_30default_config_static_selectorELNS0_4arch9wavefront6targetE1EEEvT1_,"axG",@progbits,_ZN7rocprim17ROCPRIM_400000_NS6detail17trampoline_kernelINS0_14default_configENS1_27scan_by_key_config_selectorIssEEZZNS1_16scan_by_key_implILNS1_25lookback_scan_determinismE0ELb1ES3_N6thrust23THRUST_200600_302600_NS6detail15normal_iteratorINS9_10device_ptrIsEEEESE_SE_sNS9_10multipliesIsEENS9_8equal_toIsEEsEE10hipError_tPvRmT2_T3_T4_T5_mT6_T7_P12ihipStream_tbENKUlT_T0_E_clISt17integral_constantIbLb1EESY_IbLb0EEEEDaSU_SV_EUlSU_E_NS1_11comp_targetILNS1_3genE2ELNS1_11target_archE906ELNS1_3gpuE6ELNS1_3repE0EEENS1_30default_config_static_selectorELNS0_4arch9wavefront6targetE1EEEvT1_,comdat
	.protected	_ZN7rocprim17ROCPRIM_400000_NS6detail17trampoline_kernelINS0_14default_configENS1_27scan_by_key_config_selectorIssEEZZNS1_16scan_by_key_implILNS1_25lookback_scan_determinismE0ELb1ES3_N6thrust23THRUST_200600_302600_NS6detail15normal_iteratorINS9_10device_ptrIsEEEESE_SE_sNS9_10multipliesIsEENS9_8equal_toIsEEsEE10hipError_tPvRmT2_T3_T4_T5_mT6_T7_P12ihipStream_tbENKUlT_T0_E_clISt17integral_constantIbLb1EESY_IbLb0EEEEDaSU_SV_EUlSU_E_NS1_11comp_targetILNS1_3genE2ELNS1_11target_archE906ELNS1_3gpuE6ELNS1_3repE0EEENS1_30default_config_static_selectorELNS0_4arch9wavefront6targetE1EEEvT1_ ; -- Begin function _ZN7rocprim17ROCPRIM_400000_NS6detail17trampoline_kernelINS0_14default_configENS1_27scan_by_key_config_selectorIssEEZZNS1_16scan_by_key_implILNS1_25lookback_scan_determinismE0ELb1ES3_N6thrust23THRUST_200600_302600_NS6detail15normal_iteratorINS9_10device_ptrIsEEEESE_SE_sNS9_10multipliesIsEENS9_8equal_toIsEEsEE10hipError_tPvRmT2_T3_T4_T5_mT6_T7_P12ihipStream_tbENKUlT_T0_E_clISt17integral_constantIbLb1EESY_IbLb0EEEEDaSU_SV_EUlSU_E_NS1_11comp_targetILNS1_3genE2ELNS1_11target_archE906ELNS1_3gpuE6ELNS1_3repE0EEENS1_30default_config_static_selectorELNS0_4arch9wavefront6targetE1EEEvT1_
	.globl	_ZN7rocprim17ROCPRIM_400000_NS6detail17trampoline_kernelINS0_14default_configENS1_27scan_by_key_config_selectorIssEEZZNS1_16scan_by_key_implILNS1_25lookback_scan_determinismE0ELb1ES3_N6thrust23THRUST_200600_302600_NS6detail15normal_iteratorINS9_10device_ptrIsEEEESE_SE_sNS9_10multipliesIsEENS9_8equal_toIsEEsEE10hipError_tPvRmT2_T3_T4_T5_mT6_T7_P12ihipStream_tbENKUlT_T0_E_clISt17integral_constantIbLb1EESY_IbLb0EEEEDaSU_SV_EUlSU_E_NS1_11comp_targetILNS1_3genE2ELNS1_11target_archE906ELNS1_3gpuE6ELNS1_3repE0EEENS1_30default_config_static_selectorELNS0_4arch9wavefront6targetE1EEEvT1_
	.p2align	8
	.type	_ZN7rocprim17ROCPRIM_400000_NS6detail17trampoline_kernelINS0_14default_configENS1_27scan_by_key_config_selectorIssEEZZNS1_16scan_by_key_implILNS1_25lookback_scan_determinismE0ELb1ES3_N6thrust23THRUST_200600_302600_NS6detail15normal_iteratorINS9_10device_ptrIsEEEESE_SE_sNS9_10multipliesIsEENS9_8equal_toIsEEsEE10hipError_tPvRmT2_T3_T4_T5_mT6_T7_P12ihipStream_tbENKUlT_T0_E_clISt17integral_constantIbLb1EESY_IbLb0EEEEDaSU_SV_EUlSU_E_NS1_11comp_targetILNS1_3genE2ELNS1_11target_archE906ELNS1_3gpuE6ELNS1_3repE0EEENS1_30default_config_static_selectorELNS0_4arch9wavefront6targetE1EEEvT1_,@function
_ZN7rocprim17ROCPRIM_400000_NS6detail17trampoline_kernelINS0_14default_configENS1_27scan_by_key_config_selectorIssEEZZNS1_16scan_by_key_implILNS1_25lookback_scan_determinismE0ELb1ES3_N6thrust23THRUST_200600_302600_NS6detail15normal_iteratorINS9_10device_ptrIsEEEESE_SE_sNS9_10multipliesIsEENS9_8equal_toIsEEsEE10hipError_tPvRmT2_T3_T4_T5_mT6_T7_P12ihipStream_tbENKUlT_T0_E_clISt17integral_constantIbLb1EESY_IbLb0EEEEDaSU_SV_EUlSU_E_NS1_11comp_targetILNS1_3genE2ELNS1_11target_archE906ELNS1_3gpuE6ELNS1_3repE0EEENS1_30default_config_static_selectorELNS0_4arch9wavefront6targetE1EEEvT1_: ; @_ZN7rocprim17ROCPRIM_400000_NS6detail17trampoline_kernelINS0_14default_configENS1_27scan_by_key_config_selectorIssEEZZNS1_16scan_by_key_implILNS1_25lookback_scan_determinismE0ELb1ES3_N6thrust23THRUST_200600_302600_NS6detail15normal_iteratorINS9_10device_ptrIsEEEESE_SE_sNS9_10multipliesIsEENS9_8equal_toIsEEsEE10hipError_tPvRmT2_T3_T4_T5_mT6_T7_P12ihipStream_tbENKUlT_T0_E_clISt17integral_constantIbLb1EESY_IbLb0EEEEDaSU_SV_EUlSU_E_NS1_11comp_targetILNS1_3genE2ELNS1_11target_archE906ELNS1_3gpuE6ELNS1_3repE0EEENS1_30default_config_static_selectorELNS0_4arch9wavefront6targetE1EEEvT1_
; %bb.0:
	.section	.rodata,"a",@progbits
	.p2align	6, 0x0
	.amdhsa_kernel _ZN7rocprim17ROCPRIM_400000_NS6detail17trampoline_kernelINS0_14default_configENS1_27scan_by_key_config_selectorIssEEZZNS1_16scan_by_key_implILNS1_25lookback_scan_determinismE0ELb1ES3_N6thrust23THRUST_200600_302600_NS6detail15normal_iteratorINS9_10device_ptrIsEEEESE_SE_sNS9_10multipliesIsEENS9_8equal_toIsEEsEE10hipError_tPvRmT2_T3_T4_T5_mT6_T7_P12ihipStream_tbENKUlT_T0_E_clISt17integral_constantIbLb1EESY_IbLb0EEEEDaSU_SV_EUlSU_E_NS1_11comp_targetILNS1_3genE2ELNS1_11target_archE906ELNS1_3gpuE6ELNS1_3repE0EEENS1_30default_config_static_selectorELNS0_4arch9wavefront6targetE1EEEvT1_
		.amdhsa_group_segment_fixed_size 0
		.amdhsa_private_segment_fixed_size 0
		.amdhsa_kernarg_size 112
		.amdhsa_user_sgpr_count 6
		.amdhsa_user_sgpr_private_segment_buffer 1
		.amdhsa_user_sgpr_dispatch_ptr 0
		.amdhsa_user_sgpr_queue_ptr 0
		.amdhsa_user_sgpr_kernarg_segment_ptr 1
		.amdhsa_user_sgpr_dispatch_id 0
		.amdhsa_user_sgpr_flat_scratch_init 0
		.amdhsa_user_sgpr_kernarg_preload_length 0
		.amdhsa_user_sgpr_kernarg_preload_offset 0
		.amdhsa_user_sgpr_private_segment_size 0
		.amdhsa_uses_dynamic_stack 0
		.amdhsa_system_sgpr_private_segment_wavefront_offset 0
		.amdhsa_system_sgpr_workgroup_id_x 1
		.amdhsa_system_sgpr_workgroup_id_y 0
		.amdhsa_system_sgpr_workgroup_id_z 0
		.amdhsa_system_sgpr_workgroup_info 0
		.amdhsa_system_vgpr_workitem_id 0
		.amdhsa_next_free_vgpr 1
		.amdhsa_next_free_sgpr 0
		.amdhsa_accum_offset 4
		.amdhsa_reserve_vcc 0
		.amdhsa_reserve_flat_scratch 0
		.amdhsa_float_round_mode_32 0
		.amdhsa_float_round_mode_16_64 0
		.amdhsa_float_denorm_mode_32 3
		.amdhsa_float_denorm_mode_16_64 3
		.amdhsa_dx10_clamp 1
		.amdhsa_ieee_mode 1
		.amdhsa_fp16_overflow 0
		.amdhsa_tg_split 0
		.amdhsa_exception_fp_ieee_invalid_op 0
		.amdhsa_exception_fp_denorm_src 0
		.amdhsa_exception_fp_ieee_div_zero 0
		.amdhsa_exception_fp_ieee_overflow 0
		.amdhsa_exception_fp_ieee_underflow 0
		.amdhsa_exception_fp_ieee_inexact 0
		.amdhsa_exception_int_div_zero 0
	.end_amdhsa_kernel
	.section	.text._ZN7rocprim17ROCPRIM_400000_NS6detail17trampoline_kernelINS0_14default_configENS1_27scan_by_key_config_selectorIssEEZZNS1_16scan_by_key_implILNS1_25lookback_scan_determinismE0ELb1ES3_N6thrust23THRUST_200600_302600_NS6detail15normal_iteratorINS9_10device_ptrIsEEEESE_SE_sNS9_10multipliesIsEENS9_8equal_toIsEEsEE10hipError_tPvRmT2_T3_T4_T5_mT6_T7_P12ihipStream_tbENKUlT_T0_E_clISt17integral_constantIbLb1EESY_IbLb0EEEEDaSU_SV_EUlSU_E_NS1_11comp_targetILNS1_3genE2ELNS1_11target_archE906ELNS1_3gpuE6ELNS1_3repE0EEENS1_30default_config_static_selectorELNS0_4arch9wavefront6targetE1EEEvT1_,"axG",@progbits,_ZN7rocprim17ROCPRIM_400000_NS6detail17trampoline_kernelINS0_14default_configENS1_27scan_by_key_config_selectorIssEEZZNS1_16scan_by_key_implILNS1_25lookback_scan_determinismE0ELb1ES3_N6thrust23THRUST_200600_302600_NS6detail15normal_iteratorINS9_10device_ptrIsEEEESE_SE_sNS9_10multipliesIsEENS9_8equal_toIsEEsEE10hipError_tPvRmT2_T3_T4_T5_mT6_T7_P12ihipStream_tbENKUlT_T0_E_clISt17integral_constantIbLb1EESY_IbLb0EEEEDaSU_SV_EUlSU_E_NS1_11comp_targetILNS1_3genE2ELNS1_11target_archE906ELNS1_3gpuE6ELNS1_3repE0EEENS1_30default_config_static_selectorELNS0_4arch9wavefront6targetE1EEEvT1_,comdat
.Lfunc_end628:
	.size	_ZN7rocprim17ROCPRIM_400000_NS6detail17trampoline_kernelINS0_14default_configENS1_27scan_by_key_config_selectorIssEEZZNS1_16scan_by_key_implILNS1_25lookback_scan_determinismE0ELb1ES3_N6thrust23THRUST_200600_302600_NS6detail15normal_iteratorINS9_10device_ptrIsEEEESE_SE_sNS9_10multipliesIsEENS9_8equal_toIsEEsEE10hipError_tPvRmT2_T3_T4_T5_mT6_T7_P12ihipStream_tbENKUlT_T0_E_clISt17integral_constantIbLb1EESY_IbLb0EEEEDaSU_SV_EUlSU_E_NS1_11comp_targetILNS1_3genE2ELNS1_11target_archE906ELNS1_3gpuE6ELNS1_3repE0EEENS1_30default_config_static_selectorELNS0_4arch9wavefront6targetE1EEEvT1_, .Lfunc_end628-_ZN7rocprim17ROCPRIM_400000_NS6detail17trampoline_kernelINS0_14default_configENS1_27scan_by_key_config_selectorIssEEZZNS1_16scan_by_key_implILNS1_25lookback_scan_determinismE0ELb1ES3_N6thrust23THRUST_200600_302600_NS6detail15normal_iteratorINS9_10device_ptrIsEEEESE_SE_sNS9_10multipliesIsEENS9_8equal_toIsEEsEE10hipError_tPvRmT2_T3_T4_T5_mT6_T7_P12ihipStream_tbENKUlT_T0_E_clISt17integral_constantIbLb1EESY_IbLb0EEEEDaSU_SV_EUlSU_E_NS1_11comp_targetILNS1_3genE2ELNS1_11target_archE906ELNS1_3gpuE6ELNS1_3repE0EEENS1_30default_config_static_selectorELNS0_4arch9wavefront6targetE1EEEvT1_
                                        ; -- End function
	.section	.AMDGPU.csdata,"",@progbits
; Kernel info:
; codeLenInByte = 0
; NumSgprs: 4
; NumVgprs: 0
; NumAgprs: 0
; TotalNumVgprs: 0
; ScratchSize: 0
; MemoryBound: 0
; FloatMode: 240
; IeeeMode: 1
; LDSByteSize: 0 bytes/workgroup (compile time only)
; SGPRBlocks: 0
; VGPRBlocks: 0
; NumSGPRsForWavesPerEU: 4
; NumVGPRsForWavesPerEU: 1
; AccumOffset: 4
; Occupancy: 8
; WaveLimiterHint : 0
; COMPUTE_PGM_RSRC2:SCRATCH_EN: 0
; COMPUTE_PGM_RSRC2:USER_SGPR: 6
; COMPUTE_PGM_RSRC2:TRAP_HANDLER: 0
; COMPUTE_PGM_RSRC2:TGID_X_EN: 1
; COMPUTE_PGM_RSRC2:TGID_Y_EN: 0
; COMPUTE_PGM_RSRC2:TGID_Z_EN: 0
; COMPUTE_PGM_RSRC2:TIDIG_COMP_CNT: 0
; COMPUTE_PGM_RSRC3_GFX90A:ACCUM_OFFSET: 0
; COMPUTE_PGM_RSRC3_GFX90A:TG_SPLIT: 0
	.section	.text._ZN7rocprim17ROCPRIM_400000_NS6detail17trampoline_kernelINS0_14default_configENS1_27scan_by_key_config_selectorIssEEZZNS1_16scan_by_key_implILNS1_25lookback_scan_determinismE0ELb1ES3_N6thrust23THRUST_200600_302600_NS6detail15normal_iteratorINS9_10device_ptrIsEEEESE_SE_sNS9_10multipliesIsEENS9_8equal_toIsEEsEE10hipError_tPvRmT2_T3_T4_T5_mT6_T7_P12ihipStream_tbENKUlT_T0_E_clISt17integral_constantIbLb1EESY_IbLb0EEEEDaSU_SV_EUlSU_E_NS1_11comp_targetILNS1_3genE10ELNS1_11target_archE1200ELNS1_3gpuE4ELNS1_3repE0EEENS1_30default_config_static_selectorELNS0_4arch9wavefront6targetE1EEEvT1_,"axG",@progbits,_ZN7rocprim17ROCPRIM_400000_NS6detail17trampoline_kernelINS0_14default_configENS1_27scan_by_key_config_selectorIssEEZZNS1_16scan_by_key_implILNS1_25lookback_scan_determinismE0ELb1ES3_N6thrust23THRUST_200600_302600_NS6detail15normal_iteratorINS9_10device_ptrIsEEEESE_SE_sNS9_10multipliesIsEENS9_8equal_toIsEEsEE10hipError_tPvRmT2_T3_T4_T5_mT6_T7_P12ihipStream_tbENKUlT_T0_E_clISt17integral_constantIbLb1EESY_IbLb0EEEEDaSU_SV_EUlSU_E_NS1_11comp_targetILNS1_3genE10ELNS1_11target_archE1200ELNS1_3gpuE4ELNS1_3repE0EEENS1_30default_config_static_selectorELNS0_4arch9wavefront6targetE1EEEvT1_,comdat
	.protected	_ZN7rocprim17ROCPRIM_400000_NS6detail17trampoline_kernelINS0_14default_configENS1_27scan_by_key_config_selectorIssEEZZNS1_16scan_by_key_implILNS1_25lookback_scan_determinismE0ELb1ES3_N6thrust23THRUST_200600_302600_NS6detail15normal_iteratorINS9_10device_ptrIsEEEESE_SE_sNS9_10multipliesIsEENS9_8equal_toIsEEsEE10hipError_tPvRmT2_T3_T4_T5_mT6_T7_P12ihipStream_tbENKUlT_T0_E_clISt17integral_constantIbLb1EESY_IbLb0EEEEDaSU_SV_EUlSU_E_NS1_11comp_targetILNS1_3genE10ELNS1_11target_archE1200ELNS1_3gpuE4ELNS1_3repE0EEENS1_30default_config_static_selectorELNS0_4arch9wavefront6targetE1EEEvT1_ ; -- Begin function _ZN7rocprim17ROCPRIM_400000_NS6detail17trampoline_kernelINS0_14default_configENS1_27scan_by_key_config_selectorIssEEZZNS1_16scan_by_key_implILNS1_25lookback_scan_determinismE0ELb1ES3_N6thrust23THRUST_200600_302600_NS6detail15normal_iteratorINS9_10device_ptrIsEEEESE_SE_sNS9_10multipliesIsEENS9_8equal_toIsEEsEE10hipError_tPvRmT2_T3_T4_T5_mT6_T7_P12ihipStream_tbENKUlT_T0_E_clISt17integral_constantIbLb1EESY_IbLb0EEEEDaSU_SV_EUlSU_E_NS1_11comp_targetILNS1_3genE10ELNS1_11target_archE1200ELNS1_3gpuE4ELNS1_3repE0EEENS1_30default_config_static_selectorELNS0_4arch9wavefront6targetE1EEEvT1_
	.globl	_ZN7rocprim17ROCPRIM_400000_NS6detail17trampoline_kernelINS0_14default_configENS1_27scan_by_key_config_selectorIssEEZZNS1_16scan_by_key_implILNS1_25lookback_scan_determinismE0ELb1ES3_N6thrust23THRUST_200600_302600_NS6detail15normal_iteratorINS9_10device_ptrIsEEEESE_SE_sNS9_10multipliesIsEENS9_8equal_toIsEEsEE10hipError_tPvRmT2_T3_T4_T5_mT6_T7_P12ihipStream_tbENKUlT_T0_E_clISt17integral_constantIbLb1EESY_IbLb0EEEEDaSU_SV_EUlSU_E_NS1_11comp_targetILNS1_3genE10ELNS1_11target_archE1200ELNS1_3gpuE4ELNS1_3repE0EEENS1_30default_config_static_selectorELNS0_4arch9wavefront6targetE1EEEvT1_
	.p2align	8
	.type	_ZN7rocprim17ROCPRIM_400000_NS6detail17trampoline_kernelINS0_14default_configENS1_27scan_by_key_config_selectorIssEEZZNS1_16scan_by_key_implILNS1_25lookback_scan_determinismE0ELb1ES3_N6thrust23THRUST_200600_302600_NS6detail15normal_iteratorINS9_10device_ptrIsEEEESE_SE_sNS9_10multipliesIsEENS9_8equal_toIsEEsEE10hipError_tPvRmT2_T3_T4_T5_mT6_T7_P12ihipStream_tbENKUlT_T0_E_clISt17integral_constantIbLb1EESY_IbLb0EEEEDaSU_SV_EUlSU_E_NS1_11comp_targetILNS1_3genE10ELNS1_11target_archE1200ELNS1_3gpuE4ELNS1_3repE0EEENS1_30default_config_static_selectorELNS0_4arch9wavefront6targetE1EEEvT1_,@function
_ZN7rocprim17ROCPRIM_400000_NS6detail17trampoline_kernelINS0_14default_configENS1_27scan_by_key_config_selectorIssEEZZNS1_16scan_by_key_implILNS1_25lookback_scan_determinismE0ELb1ES3_N6thrust23THRUST_200600_302600_NS6detail15normal_iteratorINS9_10device_ptrIsEEEESE_SE_sNS9_10multipliesIsEENS9_8equal_toIsEEsEE10hipError_tPvRmT2_T3_T4_T5_mT6_T7_P12ihipStream_tbENKUlT_T0_E_clISt17integral_constantIbLb1EESY_IbLb0EEEEDaSU_SV_EUlSU_E_NS1_11comp_targetILNS1_3genE10ELNS1_11target_archE1200ELNS1_3gpuE4ELNS1_3repE0EEENS1_30default_config_static_selectorELNS0_4arch9wavefront6targetE1EEEvT1_: ; @_ZN7rocprim17ROCPRIM_400000_NS6detail17trampoline_kernelINS0_14default_configENS1_27scan_by_key_config_selectorIssEEZZNS1_16scan_by_key_implILNS1_25lookback_scan_determinismE0ELb1ES3_N6thrust23THRUST_200600_302600_NS6detail15normal_iteratorINS9_10device_ptrIsEEEESE_SE_sNS9_10multipliesIsEENS9_8equal_toIsEEsEE10hipError_tPvRmT2_T3_T4_T5_mT6_T7_P12ihipStream_tbENKUlT_T0_E_clISt17integral_constantIbLb1EESY_IbLb0EEEEDaSU_SV_EUlSU_E_NS1_11comp_targetILNS1_3genE10ELNS1_11target_archE1200ELNS1_3gpuE4ELNS1_3repE0EEENS1_30default_config_static_selectorELNS0_4arch9wavefront6targetE1EEEvT1_
; %bb.0:
	.section	.rodata,"a",@progbits
	.p2align	6, 0x0
	.amdhsa_kernel _ZN7rocprim17ROCPRIM_400000_NS6detail17trampoline_kernelINS0_14default_configENS1_27scan_by_key_config_selectorIssEEZZNS1_16scan_by_key_implILNS1_25lookback_scan_determinismE0ELb1ES3_N6thrust23THRUST_200600_302600_NS6detail15normal_iteratorINS9_10device_ptrIsEEEESE_SE_sNS9_10multipliesIsEENS9_8equal_toIsEEsEE10hipError_tPvRmT2_T3_T4_T5_mT6_T7_P12ihipStream_tbENKUlT_T0_E_clISt17integral_constantIbLb1EESY_IbLb0EEEEDaSU_SV_EUlSU_E_NS1_11comp_targetILNS1_3genE10ELNS1_11target_archE1200ELNS1_3gpuE4ELNS1_3repE0EEENS1_30default_config_static_selectorELNS0_4arch9wavefront6targetE1EEEvT1_
		.amdhsa_group_segment_fixed_size 0
		.amdhsa_private_segment_fixed_size 0
		.amdhsa_kernarg_size 112
		.amdhsa_user_sgpr_count 6
		.amdhsa_user_sgpr_private_segment_buffer 1
		.amdhsa_user_sgpr_dispatch_ptr 0
		.amdhsa_user_sgpr_queue_ptr 0
		.amdhsa_user_sgpr_kernarg_segment_ptr 1
		.amdhsa_user_sgpr_dispatch_id 0
		.amdhsa_user_sgpr_flat_scratch_init 0
		.amdhsa_user_sgpr_kernarg_preload_length 0
		.amdhsa_user_sgpr_kernarg_preload_offset 0
		.amdhsa_user_sgpr_private_segment_size 0
		.amdhsa_uses_dynamic_stack 0
		.amdhsa_system_sgpr_private_segment_wavefront_offset 0
		.amdhsa_system_sgpr_workgroup_id_x 1
		.amdhsa_system_sgpr_workgroup_id_y 0
		.amdhsa_system_sgpr_workgroup_id_z 0
		.amdhsa_system_sgpr_workgroup_info 0
		.amdhsa_system_vgpr_workitem_id 0
		.amdhsa_next_free_vgpr 1
		.amdhsa_next_free_sgpr 0
		.amdhsa_accum_offset 4
		.amdhsa_reserve_vcc 0
		.amdhsa_reserve_flat_scratch 0
		.amdhsa_float_round_mode_32 0
		.amdhsa_float_round_mode_16_64 0
		.amdhsa_float_denorm_mode_32 3
		.amdhsa_float_denorm_mode_16_64 3
		.amdhsa_dx10_clamp 1
		.amdhsa_ieee_mode 1
		.amdhsa_fp16_overflow 0
		.amdhsa_tg_split 0
		.amdhsa_exception_fp_ieee_invalid_op 0
		.amdhsa_exception_fp_denorm_src 0
		.amdhsa_exception_fp_ieee_div_zero 0
		.amdhsa_exception_fp_ieee_overflow 0
		.amdhsa_exception_fp_ieee_underflow 0
		.amdhsa_exception_fp_ieee_inexact 0
		.amdhsa_exception_int_div_zero 0
	.end_amdhsa_kernel
	.section	.text._ZN7rocprim17ROCPRIM_400000_NS6detail17trampoline_kernelINS0_14default_configENS1_27scan_by_key_config_selectorIssEEZZNS1_16scan_by_key_implILNS1_25lookback_scan_determinismE0ELb1ES3_N6thrust23THRUST_200600_302600_NS6detail15normal_iteratorINS9_10device_ptrIsEEEESE_SE_sNS9_10multipliesIsEENS9_8equal_toIsEEsEE10hipError_tPvRmT2_T3_T4_T5_mT6_T7_P12ihipStream_tbENKUlT_T0_E_clISt17integral_constantIbLb1EESY_IbLb0EEEEDaSU_SV_EUlSU_E_NS1_11comp_targetILNS1_3genE10ELNS1_11target_archE1200ELNS1_3gpuE4ELNS1_3repE0EEENS1_30default_config_static_selectorELNS0_4arch9wavefront6targetE1EEEvT1_,"axG",@progbits,_ZN7rocprim17ROCPRIM_400000_NS6detail17trampoline_kernelINS0_14default_configENS1_27scan_by_key_config_selectorIssEEZZNS1_16scan_by_key_implILNS1_25lookback_scan_determinismE0ELb1ES3_N6thrust23THRUST_200600_302600_NS6detail15normal_iteratorINS9_10device_ptrIsEEEESE_SE_sNS9_10multipliesIsEENS9_8equal_toIsEEsEE10hipError_tPvRmT2_T3_T4_T5_mT6_T7_P12ihipStream_tbENKUlT_T0_E_clISt17integral_constantIbLb1EESY_IbLb0EEEEDaSU_SV_EUlSU_E_NS1_11comp_targetILNS1_3genE10ELNS1_11target_archE1200ELNS1_3gpuE4ELNS1_3repE0EEENS1_30default_config_static_selectorELNS0_4arch9wavefront6targetE1EEEvT1_,comdat
.Lfunc_end629:
	.size	_ZN7rocprim17ROCPRIM_400000_NS6detail17trampoline_kernelINS0_14default_configENS1_27scan_by_key_config_selectorIssEEZZNS1_16scan_by_key_implILNS1_25lookback_scan_determinismE0ELb1ES3_N6thrust23THRUST_200600_302600_NS6detail15normal_iteratorINS9_10device_ptrIsEEEESE_SE_sNS9_10multipliesIsEENS9_8equal_toIsEEsEE10hipError_tPvRmT2_T3_T4_T5_mT6_T7_P12ihipStream_tbENKUlT_T0_E_clISt17integral_constantIbLb1EESY_IbLb0EEEEDaSU_SV_EUlSU_E_NS1_11comp_targetILNS1_3genE10ELNS1_11target_archE1200ELNS1_3gpuE4ELNS1_3repE0EEENS1_30default_config_static_selectorELNS0_4arch9wavefront6targetE1EEEvT1_, .Lfunc_end629-_ZN7rocprim17ROCPRIM_400000_NS6detail17trampoline_kernelINS0_14default_configENS1_27scan_by_key_config_selectorIssEEZZNS1_16scan_by_key_implILNS1_25lookback_scan_determinismE0ELb1ES3_N6thrust23THRUST_200600_302600_NS6detail15normal_iteratorINS9_10device_ptrIsEEEESE_SE_sNS9_10multipliesIsEENS9_8equal_toIsEEsEE10hipError_tPvRmT2_T3_T4_T5_mT6_T7_P12ihipStream_tbENKUlT_T0_E_clISt17integral_constantIbLb1EESY_IbLb0EEEEDaSU_SV_EUlSU_E_NS1_11comp_targetILNS1_3genE10ELNS1_11target_archE1200ELNS1_3gpuE4ELNS1_3repE0EEENS1_30default_config_static_selectorELNS0_4arch9wavefront6targetE1EEEvT1_
                                        ; -- End function
	.section	.AMDGPU.csdata,"",@progbits
; Kernel info:
; codeLenInByte = 0
; NumSgprs: 4
; NumVgprs: 0
; NumAgprs: 0
; TotalNumVgprs: 0
; ScratchSize: 0
; MemoryBound: 0
; FloatMode: 240
; IeeeMode: 1
; LDSByteSize: 0 bytes/workgroup (compile time only)
; SGPRBlocks: 0
; VGPRBlocks: 0
; NumSGPRsForWavesPerEU: 4
; NumVGPRsForWavesPerEU: 1
; AccumOffset: 4
; Occupancy: 8
; WaveLimiterHint : 0
; COMPUTE_PGM_RSRC2:SCRATCH_EN: 0
; COMPUTE_PGM_RSRC2:USER_SGPR: 6
; COMPUTE_PGM_RSRC2:TRAP_HANDLER: 0
; COMPUTE_PGM_RSRC2:TGID_X_EN: 1
; COMPUTE_PGM_RSRC2:TGID_Y_EN: 0
; COMPUTE_PGM_RSRC2:TGID_Z_EN: 0
; COMPUTE_PGM_RSRC2:TIDIG_COMP_CNT: 0
; COMPUTE_PGM_RSRC3_GFX90A:ACCUM_OFFSET: 0
; COMPUTE_PGM_RSRC3_GFX90A:TG_SPLIT: 0
	.section	.text._ZN7rocprim17ROCPRIM_400000_NS6detail17trampoline_kernelINS0_14default_configENS1_27scan_by_key_config_selectorIssEEZZNS1_16scan_by_key_implILNS1_25lookback_scan_determinismE0ELb1ES3_N6thrust23THRUST_200600_302600_NS6detail15normal_iteratorINS9_10device_ptrIsEEEESE_SE_sNS9_10multipliesIsEENS9_8equal_toIsEEsEE10hipError_tPvRmT2_T3_T4_T5_mT6_T7_P12ihipStream_tbENKUlT_T0_E_clISt17integral_constantIbLb1EESY_IbLb0EEEEDaSU_SV_EUlSU_E_NS1_11comp_targetILNS1_3genE9ELNS1_11target_archE1100ELNS1_3gpuE3ELNS1_3repE0EEENS1_30default_config_static_selectorELNS0_4arch9wavefront6targetE1EEEvT1_,"axG",@progbits,_ZN7rocprim17ROCPRIM_400000_NS6detail17trampoline_kernelINS0_14default_configENS1_27scan_by_key_config_selectorIssEEZZNS1_16scan_by_key_implILNS1_25lookback_scan_determinismE0ELb1ES3_N6thrust23THRUST_200600_302600_NS6detail15normal_iteratorINS9_10device_ptrIsEEEESE_SE_sNS9_10multipliesIsEENS9_8equal_toIsEEsEE10hipError_tPvRmT2_T3_T4_T5_mT6_T7_P12ihipStream_tbENKUlT_T0_E_clISt17integral_constantIbLb1EESY_IbLb0EEEEDaSU_SV_EUlSU_E_NS1_11comp_targetILNS1_3genE9ELNS1_11target_archE1100ELNS1_3gpuE3ELNS1_3repE0EEENS1_30default_config_static_selectorELNS0_4arch9wavefront6targetE1EEEvT1_,comdat
	.protected	_ZN7rocprim17ROCPRIM_400000_NS6detail17trampoline_kernelINS0_14default_configENS1_27scan_by_key_config_selectorIssEEZZNS1_16scan_by_key_implILNS1_25lookback_scan_determinismE0ELb1ES3_N6thrust23THRUST_200600_302600_NS6detail15normal_iteratorINS9_10device_ptrIsEEEESE_SE_sNS9_10multipliesIsEENS9_8equal_toIsEEsEE10hipError_tPvRmT2_T3_T4_T5_mT6_T7_P12ihipStream_tbENKUlT_T0_E_clISt17integral_constantIbLb1EESY_IbLb0EEEEDaSU_SV_EUlSU_E_NS1_11comp_targetILNS1_3genE9ELNS1_11target_archE1100ELNS1_3gpuE3ELNS1_3repE0EEENS1_30default_config_static_selectorELNS0_4arch9wavefront6targetE1EEEvT1_ ; -- Begin function _ZN7rocprim17ROCPRIM_400000_NS6detail17trampoline_kernelINS0_14default_configENS1_27scan_by_key_config_selectorIssEEZZNS1_16scan_by_key_implILNS1_25lookback_scan_determinismE0ELb1ES3_N6thrust23THRUST_200600_302600_NS6detail15normal_iteratorINS9_10device_ptrIsEEEESE_SE_sNS9_10multipliesIsEENS9_8equal_toIsEEsEE10hipError_tPvRmT2_T3_T4_T5_mT6_T7_P12ihipStream_tbENKUlT_T0_E_clISt17integral_constantIbLb1EESY_IbLb0EEEEDaSU_SV_EUlSU_E_NS1_11comp_targetILNS1_3genE9ELNS1_11target_archE1100ELNS1_3gpuE3ELNS1_3repE0EEENS1_30default_config_static_selectorELNS0_4arch9wavefront6targetE1EEEvT1_
	.globl	_ZN7rocprim17ROCPRIM_400000_NS6detail17trampoline_kernelINS0_14default_configENS1_27scan_by_key_config_selectorIssEEZZNS1_16scan_by_key_implILNS1_25lookback_scan_determinismE0ELb1ES3_N6thrust23THRUST_200600_302600_NS6detail15normal_iteratorINS9_10device_ptrIsEEEESE_SE_sNS9_10multipliesIsEENS9_8equal_toIsEEsEE10hipError_tPvRmT2_T3_T4_T5_mT6_T7_P12ihipStream_tbENKUlT_T0_E_clISt17integral_constantIbLb1EESY_IbLb0EEEEDaSU_SV_EUlSU_E_NS1_11comp_targetILNS1_3genE9ELNS1_11target_archE1100ELNS1_3gpuE3ELNS1_3repE0EEENS1_30default_config_static_selectorELNS0_4arch9wavefront6targetE1EEEvT1_
	.p2align	8
	.type	_ZN7rocprim17ROCPRIM_400000_NS6detail17trampoline_kernelINS0_14default_configENS1_27scan_by_key_config_selectorIssEEZZNS1_16scan_by_key_implILNS1_25lookback_scan_determinismE0ELb1ES3_N6thrust23THRUST_200600_302600_NS6detail15normal_iteratorINS9_10device_ptrIsEEEESE_SE_sNS9_10multipliesIsEENS9_8equal_toIsEEsEE10hipError_tPvRmT2_T3_T4_T5_mT6_T7_P12ihipStream_tbENKUlT_T0_E_clISt17integral_constantIbLb1EESY_IbLb0EEEEDaSU_SV_EUlSU_E_NS1_11comp_targetILNS1_3genE9ELNS1_11target_archE1100ELNS1_3gpuE3ELNS1_3repE0EEENS1_30default_config_static_selectorELNS0_4arch9wavefront6targetE1EEEvT1_,@function
_ZN7rocprim17ROCPRIM_400000_NS6detail17trampoline_kernelINS0_14default_configENS1_27scan_by_key_config_selectorIssEEZZNS1_16scan_by_key_implILNS1_25lookback_scan_determinismE0ELb1ES3_N6thrust23THRUST_200600_302600_NS6detail15normal_iteratorINS9_10device_ptrIsEEEESE_SE_sNS9_10multipliesIsEENS9_8equal_toIsEEsEE10hipError_tPvRmT2_T3_T4_T5_mT6_T7_P12ihipStream_tbENKUlT_T0_E_clISt17integral_constantIbLb1EESY_IbLb0EEEEDaSU_SV_EUlSU_E_NS1_11comp_targetILNS1_3genE9ELNS1_11target_archE1100ELNS1_3gpuE3ELNS1_3repE0EEENS1_30default_config_static_selectorELNS0_4arch9wavefront6targetE1EEEvT1_: ; @_ZN7rocprim17ROCPRIM_400000_NS6detail17trampoline_kernelINS0_14default_configENS1_27scan_by_key_config_selectorIssEEZZNS1_16scan_by_key_implILNS1_25lookback_scan_determinismE0ELb1ES3_N6thrust23THRUST_200600_302600_NS6detail15normal_iteratorINS9_10device_ptrIsEEEESE_SE_sNS9_10multipliesIsEENS9_8equal_toIsEEsEE10hipError_tPvRmT2_T3_T4_T5_mT6_T7_P12ihipStream_tbENKUlT_T0_E_clISt17integral_constantIbLb1EESY_IbLb0EEEEDaSU_SV_EUlSU_E_NS1_11comp_targetILNS1_3genE9ELNS1_11target_archE1100ELNS1_3gpuE3ELNS1_3repE0EEENS1_30default_config_static_selectorELNS0_4arch9wavefront6targetE1EEEvT1_
; %bb.0:
	.section	.rodata,"a",@progbits
	.p2align	6, 0x0
	.amdhsa_kernel _ZN7rocprim17ROCPRIM_400000_NS6detail17trampoline_kernelINS0_14default_configENS1_27scan_by_key_config_selectorIssEEZZNS1_16scan_by_key_implILNS1_25lookback_scan_determinismE0ELb1ES3_N6thrust23THRUST_200600_302600_NS6detail15normal_iteratorINS9_10device_ptrIsEEEESE_SE_sNS9_10multipliesIsEENS9_8equal_toIsEEsEE10hipError_tPvRmT2_T3_T4_T5_mT6_T7_P12ihipStream_tbENKUlT_T0_E_clISt17integral_constantIbLb1EESY_IbLb0EEEEDaSU_SV_EUlSU_E_NS1_11comp_targetILNS1_3genE9ELNS1_11target_archE1100ELNS1_3gpuE3ELNS1_3repE0EEENS1_30default_config_static_selectorELNS0_4arch9wavefront6targetE1EEEvT1_
		.amdhsa_group_segment_fixed_size 0
		.amdhsa_private_segment_fixed_size 0
		.amdhsa_kernarg_size 112
		.amdhsa_user_sgpr_count 6
		.amdhsa_user_sgpr_private_segment_buffer 1
		.amdhsa_user_sgpr_dispatch_ptr 0
		.amdhsa_user_sgpr_queue_ptr 0
		.amdhsa_user_sgpr_kernarg_segment_ptr 1
		.amdhsa_user_sgpr_dispatch_id 0
		.amdhsa_user_sgpr_flat_scratch_init 0
		.amdhsa_user_sgpr_kernarg_preload_length 0
		.amdhsa_user_sgpr_kernarg_preload_offset 0
		.amdhsa_user_sgpr_private_segment_size 0
		.amdhsa_uses_dynamic_stack 0
		.amdhsa_system_sgpr_private_segment_wavefront_offset 0
		.amdhsa_system_sgpr_workgroup_id_x 1
		.amdhsa_system_sgpr_workgroup_id_y 0
		.amdhsa_system_sgpr_workgroup_id_z 0
		.amdhsa_system_sgpr_workgroup_info 0
		.amdhsa_system_vgpr_workitem_id 0
		.amdhsa_next_free_vgpr 1
		.amdhsa_next_free_sgpr 0
		.amdhsa_accum_offset 4
		.amdhsa_reserve_vcc 0
		.amdhsa_reserve_flat_scratch 0
		.amdhsa_float_round_mode_32 0
		.amdhsa_float_round_mode_16_64 0
		.amdhsa_float_denorm_mode_32 3
		.amdhsa_float_denorm_mode_16_64 3
		.amdhsa_dx10_clamp 1
		.amdhsa_ieee_mode 1
		.amdhsa_fp16_overflow 0
		.amdhsa_tg_split 0
		.amdhsa_exception_fp_ieee_invalid_op 0
		.amdhsa_exception_fp_denorm_src 0
		.amdhsa_exception_fp_ieee_div_zero 0
		.amdhsa_exception_fp_ieee_overflow 0
		.amdhsa_exception_fp_ieee_underflow 0
		.amdhsa_exception_fp_ieee_inexact 0
		.amdhsa_exception_int_div_zero 0
	.end_amdhsa_kernel
	.section	.text._ZN7rocprim17ROCPRIM_400000_NS6detail17trampoline_kernelINS0_14default_configENS1_27scan_by_key_config_selectorIssEEZZNS1_16scan_by_key_implILNS1_25lookback_scan_determinismE0ELb1ES3_N6thrust23THRUST_200600_302600_NS6detail15normal_iteratorINS9_10device_ptrIsEEEESE_SE_sNS9_10multipliesIsEENS9_8equal_toIsEEsEE10hipError_tPvRmT2_T3_T4_T5_mT6_T7_P12ihipStream_tbENKUlT_T0_E_clISt17integral_constantIbLb1EESY_IbLb0EEEEDaSU_SV_EUlSU_E_NS1_11comp_targetILNS1_3genE9ELNS1_11target_archE1100ELNS1_3gpuE3ELNS1_3repE0EEENS1_30default_config_static_selectorELNS0_4arch9wavefront6targetE1EEEvT1_,"axG",@progbits,_ZN7rocprim17ROCPRIM_400000_NS6detail17trampoline_kernelINS0_14default_configENS1_27scan_by_key_config_selectorIssEEZZNS1_16scan_by_key_implILNS1_25lookback_scan_determinismE0ELb1ES3_N6thrust23THRUST_200600_302600_NS6detail15normal_iteratorINS9_10device_ptrIsEEEESE_SE_sNS9_10multipliesIsEENS9_8equal_toIsEEsEE10hipError_tPvRmT2_T3_T4_T5_mT6_T7_P12ihipStream_tbENKUlT_T0_E_clISt17integral_constantIbLb1EESY_IbLb0EEEEDaSU_SV_EUlSU_E_NS1_11comp_targetILNS1_3genE9ELNS1_11target_archE1100ELNS1_3gpuE3ELNS1_3repE0EEENS1_30default_config_static_selectorELNS0_4arch9wavefront6targetE1EEEvT1_,comdat
.Lfunc_end630:
	.size	_ZN7rocprim17ROCPRIM_400000_NS6detail17trampoline_kernelINS0_14default_configENS1_27scan_by_key_config_selectorIssEEZZNS1_16scan_by_key_implILNS1_25lookback_scan_determinismE0ELb1ES3_N6thrust23THRUST_200600_302600_NS6detail15normal_iteratorINS9_10device_ptrIsEEEESE_SE_sNS9_10multipliesIsEENS9_8equal_toIsEEsEE10hipError_tPvRmT2_T3_T4_T5_mT6_T7_P12ihipStream_tbENKUlT_T0_E_clISt17integral_constantIbLb1EESY_IbLb0EEEEDaSU_SV_EUlSU_E_NS1_11comp_targetILNS1_3genE9ELNS1_11target_archE1100ELNS1_3gpuE3ELNS1_3repE0EEENS1_30default_config_static_selectorELNS0_4arch9wavefront6targetE1EEEvT1_, .Lfunc_end630-_ZN7rocprim17ROCPRIM_400000_NS6detail17trampoline_kernelINS0_14default_configENS1_27scan_by_key_config_selectorIssEEZZNS1_16scan_by_key_implILNS1_25lookback_scan_determinismE0ELb1ES3_N6thrust23THRUST_200600_302600_NS6detail15normal_iteratorINS9_10device_ptrIsEEEESE_SE_sNS9_10multipliesIsEENS9_8equal_toIsEEsEE10hipError_tPvRmT2_T3_T4_T5_mT6_T7_P12ihipStream_tbENKUlT_T0_E_clISt17integral_constantIbLb1EESY_IbLb0EEEEDaSU_SV_EUlSU_E_NS1_11comp_targetILNS1_3genE9ELNS1_11target_archE1100ELNS1_3gpuE3ELNS1_3repE0EEENS1_30default_config_static_selectorELNS0_4arch9wavefront6targetE1EEEvT1_
                                        ; -- End function
	.section	.AMDGPU.csdata,"",@progbits
; Kernel info:
; codeLenInByte = 0
; NumSgprs: 4
; NumVgprs: 0
; NumAgprs: 0
; TotalNumVgprs: 0
; ScratchSize: 0
; MemoryBound: 0
; FloatMode: 240
; IeeeMode: 1
; LDSByteSize: 0 bytes/workgroup (compile time only)
; SGPRBlocks: 0
; VGPRBlocks: 0
; NumSGPRsForWavesPerEU: 4
; NumVGPRsForWavesPerEU: 1
; AccumOffset: 4
; Occupancy: 8
; WaveLimiterHint : 0
; COMPUTE_PGM_RSRC2:SCRATCH_EN: 0
; COMPUTE_PGM_RSRC2:USER_SGPR: 6
; COMPUTE_PGM_RSRC2:TRAP_HANDLER: 0
; COMPUTE_PGM_RSRC2:TGID_X_EN: 1
; COMPUTE_PGM_RSRC2:TGID_Y_EN: 0
; COMPUTE_PGM_RSRC2:TGID_Z_EN: 0
; COMPUTE_PGM_RSRC2:TIDIG_COMP_CNT: 0
; COMPUTE_PGM_RSRC3_GFX90A:ACCUM_OFFSET: 0
; COMPUTE_PGM_RSRC3_GFX90A:TG_SPLIT: 0
	.section	.text._ZN7rocprim17ROCPRIM_400000_NS6detail17trampoline_kernelINS0_14default_configENS1_27scan_by_key_config_selectorIssEEZZNS1_16scan_by_key_implILNS1_25lookback_scan_determinismE0ELb1ES3_N6thrust23THRUST_200600_302600_NS6detail15normal_iteratorINS9_10device_ptrIsEEEESE_SE_sNS9_10multipliesIsEENS9_8equal_toIsEEsEE10hipError_tPvRmT2_T3_T4_T5_mT6_T7_P12ihipStream_tbENKUlT_T0_E_clISt17integral_constantIbLb1EESY_IbLb0EEEEDaSU_SV_EUlSU_E_NS1_11comp_targetILNS1_3genE8ELNS1_11target_archE1030ELNS1_3gpuE2ELNS1_3repE0EEENS1_30default_config_static_selectorELNS0_4arch9wavefront6targetE1EEEvT1_,"axG",@progbits,_ZN7rocprim17ROCPRIM_400000_NS6detail17trampoline_kernelINS0_14default_configENS1_27scan_by_key_config_selectorIssEEZZNS1_16scan_by_key_implILNS1_25lookback_scan_determinismE0ELb1ES3_N6thrust23THRUST_200600_302600_NS6detail15normal_iteratorINS9_10device_ptrIsEEEESE_SE_sNS9_10multipliesIsEENS9_8equal_toIsEEsEE10hipError_tPvRmT2_T3_T4_T5_mT6_T7_P12ihipStream_tbENKUlT_T0_E_clISt17integral_constantIbLb1EESY_IbLb0EEEEDaSU_SV_EUlSU_E_NS1_11comp_targetILNS1_3genE8ELNS1_11target_archE1030ELNS1_3gpuE2ELNS1_3repE0EEENS1_30default_config_static_selectorELNS0_4arch9wavefront6targetE1EEEvT1_,comdat
	.protected	_ZN7rocprim17ROCPRIM_400000_NS6detail17trampoline_kernelINS0_14default_configENS1_27scan_by_key_config_selectorIssEEZZNS1_16scan_by_key_implILNS1_25lookback_scan_determinismE0ELb1ES3_N6thrust23THRUST_200600_302600_NS6detail15normal_iteratorINS9_10device_ptrIsEEEESE_SE_sNS9_10multipliesIsEENS9_8equal_toIsEEsEE10hipError_tPvRmT2_T3_T4_T5_mT6_T7_P12ihipStream_tbENKUlT_T0_E_clISt17integral_constantIbLb1EESY_IbLb0EEEEDaSU_SV_EUlSU_E_NS1_11comp_targetILNS1_3genE8ELNS1_11target_archE1030ELNS1_3gpuE2ELNS1_3repE0EEENS1_30default_config_static_selectorELNS0_4arch9wavefront6targetE1EEEvT1_ ; -- Begin function _ZN7rocprim17ROCPRIM_400000_NS6detail17trampoline_kernelINS0_14default_configENS1_27scan_by_key_config_selectorIssEEZZNS1_16scan_by_key_implILNS1_25lookback_scan_determinismE0ELb1ES3_N6thrust23THRUST_200600_302600_NS6detail15normal_iteratorINS9_10device_ptrIsEEEESE_SE_sNS9_10multipliesIsEENS9_8equal_toIsEEsEE10hipError_tPvRmT2_T3_T4_T5_mT6_T7_P12ihipStream_tbENKUlT_T0_E_clISt17integral_constantIbLb1EESY_IbLb0EEEEDaSU_SV_EUlSU_E_NS1_11comp_targetILNS1_3genE8ELNS1_11target_archE1030ELNS1_3gpuE2ELNS1_3repE0EEENS1_30default_config_static_selectorELNS0_4arch9wavefront6targetE1EEEvT1_
	.globl	_ZN7rocprim17ROCPRIM_400000_NS6detail17trampoline_kernelINS0_14default_configENS1_27scan_by_key_config_selectorIssEEZZNS1_16scan_by_key_implILNS1_25lookback_scan_determinismE0ELb1ES3_N6thrust23THRUST_200600_302600_NS6detail15normal_iteratorINS9_10device_ptrIsEEEESE_SE_sNS9_10multipliesIsEENS9_8equal_toIsEEsEE10hipError_tPvRmT2_T3_T4_T5_mT6_T7_P12ihipStream_tbENKUlT_T0_E_clISt17integral_constantIbLb1EESY_IbLb0EEEEDaSU_SV_EUlSU_E_NS1_11comp_targetILNS1_3genE8ELNS1_11target_archE1030ELNS1_3gpuE2ELNS1_3repE0EEENS1_30default_config_static_selectorELNS0_4arch9wavefront6targetE1EEEvT1_
	.p2align	8
	.type	_ZN7rocprim17ROCPRIM_400000_NS6detail17trampoline_kernelINS0_14default_configENS1_27scan_by_key_config_selectorIssEEZZNS1_16scan_by_key_implILNS1_25lookback_scan_determinismE0ELb1ES3_N6thrust23THRUST_200600_302600_NS6detail15normal_iteratorINS9_10device_ptrIsEEEESE_SE_sNS9_10multipliesIsEENS9_8equal_toIsEEsEE10hipError_tPvRmT2_T3_T4_T5_mT6_T7_P12ihipStream_tbENKUlT_T0_E_clISt17integral_constantIbLb1EESY_IbLb0EEEEDaSU_SV_EUlSU_E_NS1_11comp_targetILNS1_3genE8ELNS1_11target_archE1030ELNS1_3gpuE2ELNS1_3repE0EEENS1_30default_config_static_selectorELNS0_4arch9wavefront6targetE1EEEvT1_,@function
_ZN7rocprim17ROCPRIM_400000_NS6detail17trampoline_kernelINS0_14default_configENS1_27scan_by_key_config_selectorIssEEZZNS1_16scan_by_key_implILNS1_25lookback_scan_determinismE0ELb1ES3_N6thrust23THRUST_200600_302600_NS6detail15normal_iteratorINS9_10device_ptrIsEEEESE_SE_sNS9_10multipliesIsEENS9_8equal_toIsEEsEE10hipError_tPvRmT2_T3_T4_T5_mT6_T7_P12ihipStream_tbENKUlT_T0_E_clISt17integral_constantIbLb1EESY_IbLb0EEEEDaSU_SV_EUlSU_E_NS1_11comp_targetILNS1_3genE8ELNS1_11target_archE1030ELNS1_3gpuE2ELNS1_3repE0EEENS1_30default_config_static_selectorELNS0_4arch9wavefront6targetE1EEEvT1_: ; @_ZN7rocprim17ROCPRIM_400000_NS6detail17trampoline_kernelINS0_14default_configENS1_27scan_by_key_config_selectorIssEEZZNS1_16scan_by_key_implILNS1_25lookback_scan_determinismE0ELb1ES3_N6thrust23THRUST_200600_302600_NS6detail15normal_iteratorINS9_10device_ptrIsEEEESE_SE_sNS9_10multipliesIsEENS9_8equal_toIsEEsEE10hipError_tPvRmT2_T3_T4_T5_mT6_T7_P12ihipStream_tbENKUlT_T0_E_clISt17integral_constantIbLb1EESY_IbLb0EEEEDaSU_SV_EUlSU_E_NS1_11comp_targetILNS1_3genE8ELNS1_11target_archE1030ELNS1_3gpuE2ELNS1_3repE0EEENS1_30default_config_static_selectorELNS0_4arch9wavefront6targetE1EEEvT1_
; %bb.0:
	.section	.rodata,"a",@progbits
	.p2align	6, 0x0
	.amdhsa_kernel _ZN7rocprim17ROCPRIM_400000_NS6detail17trampoline_kernelINS0_14default_configENS1_27scan_by_key_config_selectorIssEEZZNS1_16scan_by_key_implILNS1_25lookback_scan_determinismE0ELb1ES3_N6thrust23THRUST_200600_302600_NS6detail15normal_iteratorINS9_10device_ptrIsEEEESE_SE_sNS9_10multipliesIsEENS9_8equal_toIsEEsEE10hipError_tPvRmT2_T3_T4_T5_mT6_T7_P12ihipStream_tbENKUlT_T0_E_clISt17integral_constantIbLb1EESY_IbLb0EEEEDaSU_SV_EUlSU_E_NS1_11comp_targetILNS1_3genE8ELNS1_11target_archE1030ELNS1_3gpuE2ELNS1_3repE0EEENS1_30default_config_static_selectorELNS0_4arch9wavefront6targetE1EEEvT1_
		.amdhsa_group_segment_fixed_size 0
		.amdhsa_private_segment_fixed_size 0
		.amdhsa_kernarg_size 112
		.amdhsa_user_sgpr_count 6
		.amdhsa_user_sgpr_private_segment_buffer 1
		.amdhsa_user_sgpr_dispatch_ptr 0
		.amdhsa_user_sgpr_queue_ptr 0
		.amdhsa_user_sgpr_kernarg_segment_ptr 1
		.amdhsa_user_sgpr_dispatch_id 0
		.amdhsa_user_sgpr_flat_scratch_init 0
		.amdhsa_user_sgpr_kernarg_preload_length 0
		.amdhsa_user_sgpr_kernarg_preload_offset 0
		.amdhsa_user_sgpr_private_segment_size 0
		.amdhsa_uses_dynamic_stack 0
		.amdhsa_system_sgpr_private_segment_wavefront_offset 0
		.amdhsa_system_sgpr_workgroup_id_x 1
		.amdhsa_system_sgpr_workgroup_id_y 0
		.amdhsa_system_sgpr_workgroup_id_z 0
		.amdhsa_system_sgpr_workgroup_info 0
		.amdhsa_system_vgpr_workitem_id 0
		.amdhsa_next_free_vgpr 1
		.amdhsa_next_free_sgpr 0
		.amdhsa_accum_offset 4
		.amdhsa_reserve_vcc 0
		.amdhsa_reserve_flat_scratch 0
		.amdhsa_float_round_mode_32 0
		.amdhsa_float_round_mode_16_64 0
		.amdhsa_float_denorm_mode_32 3
		.amdhsa_float_denorm_mode_16_64 3
		.amdhsa_dx10_clamp 1
		.amdhsa_ieee_mode 1
		.amdhsa_fp16_overflow 0
		.amdhsa_tg_split 0
		.amdhsa_exception_fp_ieee_invalid_op 0
		.amdhsa_exception_fp_denorm_src 0
		.amdhsa_exception_fp_ieee_div_zero 0
		.amdhsa_exception_fp_ieee_overflow 0
		.amdhsa_exception_fp_ieee_underflow 0
		.amdhsa_exception_fp_ieee_inexact 0
		.amdhsa_exception_int_div_zero 0
	.end_amdhsa_kernel
	.section	.text._ZN7rocprim17ROCPRIM_400000_NS6detail17trampoline_kernelINS0_14default_configENS1_27scan_by_key_config_selectorIssEEZZNS1_16scan_by_key_implILNS1_25lookback_scan_determinismE0ELb1ES3_N6thrust23THRUST_200600_302600_NS6detail15normal_iteratorINS9_10device_ptrIsEEEESE_SE_sNS9_10multipliesIsEENS9_8equal_toIsEEsEE10hipError_tPvRmT2_T3_T4_T5_mT6_T7_P12ihipStream_tbENKUlT_T0_E_clISt17integral_constantIbLb1EESY_IbLb0EEEEDaSU_SV_EUlSU_E_NS1_11comp_targetILNS1_3genE8ELNS1_11target_archE1030ELNS1_3gpuE2ELNS1_3repE0EEENS1_30default_config_static_selectorELNS0_4arch9wavefront6targetE1EEEvT1_,"axG",@progbits,_ZN7rocprim17ROCPRIM_400000_NS6detail17trampoline_kernelINS0_14default_configENS1_27scan_by_key_config_selectorIssEEZZNS1_16scan_by_key_implILNS1_25lookback_scan_determinismE0ELb1ES3_N6thrust23THRUST_200600_302600_NS6detail15normal_iteratorINS9_10device_ptrIsEEEESE_SE_sNS9_10multipliesIsEENS9_8equal_toIsEEsEE10hipError_tPvRmT2_T3_T4_T5_mT6_T7_P12ihipStream_tbENKUlT_T0_E_clISt17integral_constantIbLb1EESY_IbLb0EEEEDaSU_SV_EUlSU_E_NS1_11comp_targetILNS1_3genE8ELNS1_11target_archE1030ELNS1_3gpuE2ELNS1_3repE0EEENS1_30default_config_static_selectorELNS0_4arch9wavefront6targetE1EEEvT1_,comdat
.Lfunc_end631:
	.size	_ZN7rocprim17ROCPRIM_400000_NS6detail17trampoline_kernelINS0_14default_configENS1_27scan_by_key_config_selectorIssEEZZNS1_16scan_by_key_implILNS1_25lookback_scan_determinismE0ELb1ES3_N6thrust23THRUST_200600_302600_NS6detail15normal_iteratorINS9_10device_ptrIsEEEESE_SE_sNS9_10multipliesIsEENS9_8equal_toIsEEsEE10hipError_tPvRmT2_T3_T4_T5_mT6_T7_P12ihipStream_tbENKUlT_T0_E_clISt17integral_constantIbLb1EESY_IbLb0EEEEDaSU_SV_EUlSU_E_NS1_11comp_targetILNS1_3genE8ELNS1_11target_archE1030ELNS1_3gpuE2ELNS1_3repE0EEENS1_30default_config_static_selectorELNS0_4arch9wavefront6targetE1EEEvT1_, .Lfunc_end631-_ZN7rocprim17ROCPRIM_400000_NS6detail17trampoline_kernelINS0_14default_configENS1_27scan_by_key_config_selectorIssEEZZNS1_16scan_by_key_implILNS1_25lookback_scan_determinismE0ELb1ES3_N6thrust23THRUST_200600_302600_NS6detail15normal_iteratorINS9_10device_ptrIsEEEESE_SE_sNS9_10multipliesIsEENS9_8equal_toIsEEsEE10hipError_tPvRmT2_T3_T4_T5_mT6_T7_P12ihipStream_tbENKUlT_T0_E_clISt17integral_constantIbLb1EESY_IbLb0EEEEDaSU_SV_EUlSU_E_NS1_11comp_targetILNS1_3genE8ELNS1_11target_archE1030ELNS1_3gpuE2ELNS1_3repE0EEENS1_30default_config_static_selectorELNS0_4arch9wavefront6targetE1EEEvT1_
                                        ; -- End function
	.section	.AMDGPU.csdata,"",@progbits
; Kernel info:
; codeLenInByte = 0
; NumSgprs: 4
; NumVgprs: 0
; NumAgprs: 0
; TotalNumVgprs: 0
; ScratchSize: 0
; MemoryBound: 0
; FloatMode: 240
; IeeeMode: 1
; LDSByteSize: 0 bytes/workgroup (compile time only)
; SGPRBlocks: 0
; VGPRBlocks: 0
; NumSGPRsForWavesPerEU: 4
; NumVGPRsForWavesPerEU: 1
; AccumOffset: 4
; Occupancy: 8
; WaveLimiterHint : 0
; COMPUTE_PGM_RSRC2:SCRATCH_EN: 0
; COMPUTE_PGM_RSRC2:USER_SGPR: 6
; COMPUTE_PGM_RSRC2:TRAP_HANDLER: 0
; COMPUTE_PGM_RSRC2:TGID_X_EN: 1
; COMPUTE_PGM_RSRC2:TGID_Y_EN: 0
; COMPUTE_PGM_RSRC2:TGID_Z_EN: 0
; COMPUTE_PGM_RSRC2:TIDIG_COMP_CNT: 0
; COMPUTE_PGM_RSRC3_GFX90A:ACCUM_OFFSET: 0
; COMPUTE_PGM_RSRC3_GFX90A:TG_SPLIT: 0
	.section	.text._ZN7rocprim17ROCPRIM_400000_NS6detail17trampoline_kernelINS0_14default_configENS1_27scan_by_key_config_selectorIssEEZZNS1_16scan_by_key_implILNS1_25lookback_scan_determinismE0ELb1ES3_N6thrust23THRUST_200600_302600_NS6detail15normal_iteratorINS9_10device_ptrIsEEEESE_SE_sNS9_10multipliesIsEENS9_8equal_toIsEEsEE10hipError_tPvRmT2_T3_T4_T5_mT6_T7_P12ihipStream_tbENKUlT_T0_E_clISt17integral_constantIbLb0EESY_IbLb1EEEEDaSU_SV_EUlSU_E_NS1_11comp_targetILNS1_3genE0ELNS1_11target_archE4294967295ELNS1_3gpuE0ELNS1_3repE0EEENS1_30default_config_static_selectorELNS0_4arch9wavefront6targetE1EEEvT1_,"axG",@progbits,_ZN7rocprim17ROCPRIM_400000_NS6detail17trampoline_kernelINS0_14default_configENS1_27scan_by_key_config_selectorIssEEZZNS1_16scan_by_key_implILNS1_25lookback_scan_determinismE0ELb1ES3_N6thrust23THRUST_200600_302600_NS6detail15normal_iteratorINS9_10device_ptrIsEEEESE_SE_sNS9_10multipliesIsEENS9_8equal_toIsEEsEE10hipError_tPvRmT2_T3_T4_T5_mT6_T7_P12ihipStream_tbENKUlT_T0_E_clISt17integral_constantIbLb0EESY_IbLb1EEEEDaSU_SV_EUlSU_E_NS1_11comp_targetILNS1_3genE0ELNS1_11target_archE4294967295ELNS1_3gpuE0ELNS1_3repE0EEENS1_30default_config_static_selectorELNS0_4arch9wavefront6targetE1EEEvT1_,comdat
	.protected	_ZN7rocprim17ROCPRIM_400000_NS6detail17trampoline_kernelINS0_14default_configENS1_27scan_by_key_config_selectorIssEEZZNS1_16scan_by_key_implILNS1_25lookback_scan_determinismE0ELb1ES3_N6thrust23THRUST_200600_302600_NS6detail15normal_iteratorINS9_10device_ptrIsEEEESE_SE_sNS9_10multipliesIsEENS9_8equal_toIsEEsEE10hipError_tPvRmT2_T3_T4_T5_mT6_T7_P12ihipStream_tbENKUlT_T0_E_clISt17integral_constantIbLb0EESY_IbLb1EEEEDaSU_SV_EUlSU_E_NS1_11comp_targetILNS1_3genE0ELNS1_11target_archE4294967295ELNS1_3gpuE0ELNS1_3repE0EEENS1_30default_config_static_selectorELNS0_4arch9wavefront6targetE1EEEvT1_ ; -- Begin function _ZN7rocprim17ROCPRIM_400000_NS6detail17trampoline_kernelINS0_14default_configENS1_27scan_by_key_config_selectorIssEEZZNS1_16scan_by_key_implILNS1_25lookback_scan_determinismE0ELb1ES3_N6thrust23THRUST_200600_302600_NS6detail15normal_iteratorINS9_10device_ptrIsEEEESE_SE_sNS9_10multipliesIsEENS9_8equal_toIsEEsEE10hipError_tPvRmT2_T3_T4_T5_mT6_T7_P12ihipStream_tbENKUlT_T0_E_clISt17integral_constantIbLb0EESY_IbLb1EEEEDaSU_SV_EUlSU_E_NS1_11comp_targetILNS1_3genE0ELNS1_11target_archE4294967295ELNS1_3gpuE0ELNS1_3repE0EEENS1_30default_config_static_selectorELNS0_4arch9wavefront6targetE1EEEvT1_
	.globl	_ZN7rocprim17ROCPRIM_400000_NS6detail17trampoline_kernelINS0_14default_configENS1_27scan_by_key_config_selectorIssEEZZNS1_16scan_by_key_implILNS1_25lookback_scan_determinismE0ELb1ES3_N6thrust23THRUST_200600_302600_NS6detail15normal_iteratorINS9_10device_ptrIsEEEESE_SE_sNS9_10multipliesIsEENS9_8equal_toIsEEsEE10hipError_tPvRmT2_T3_T4_T5_mT6_T7_P12ihipStream_tbENKUlT_T0_E_clISt17integral_constantIbLb0EESY_IbLb1EEEEDaSU_SV_EUlSU_E_NS1_11comp_targetILNS1_3genE0ELNS1_11target_archE4294967295ELNS1_3gpuE0ELNS1_3repE0EEENS1_30default_config_static_selectorELNS0_4arch9wavefront6targetE1EEEvT1_
	.p2align	8
	.type	_ZN7rocprim17ROCPRIM_400000_NS6detail17trampoline_kernelINS0_14default_configENS1_27scan_by_key_config_selectorIssEEZZNS1_16scan_by_key_implILNS1_25lookback_scan_determinismE0ELb1ES3_N6thrust23THRUST_200600_302600_NS6detail15normal_iteratorINS9_10device_ptrIsEEEESE_SE_sNS9_10multipliesIsEENS9_8equal_toIsEEsEE10hipError_tPvRmT2_T3_T4_T5_mT6_T7_P12ihipStream_tbENKUlT_T0_E_clISt17integral_constantIbLb0EESY_IbLb1EEEEDaSU_SV_EUlSU_E_NS1_11comp_targetILNS1_3genE0ELNS1_11target_archE4294967295ELNS1_3gpuE0ELNS1_3repE0EEENS1_30default_config_static_selectorELNS0_4arch9wavefront6targetE1EEEvT1_,@function
_ZN7rocprim17ROCPRIM_400000_NS6detail17trampoline_kernelINS0_14default_configENS1_27scan_by_key_config_selectorIssEEZZNS1_16scan_by_key_implILNS1_25lookback_scan_determinismE0ELb1ES3_N6thrust23THRUST_200600_302600_NS6detail15normal_iteratorINS9_10device_ptrIsEEEESE_SE_sNS9_10multipliesIsEENS9_8equal_toIsEEsEE10hipError_tPvRmT2_T3_T4_T5_mT6_T7_P12ihipStream_tbENKUlT_T0_E_clISt17integral_constantIbLb0EESY_IbLb1EEEEDaSU_SV_EUlSU_E_NS1_11comp_targetILNS1_3genE0ELNS1_11target_archE4294967295ELNS1_3gpuE0ELNS1_3repE0EEENS1_30default_config_static_selectorELNS0_4arch9wavefront6targetE1EEEvT1_: ; @_ZN7rocprim17ROCPRIM_400000_NS6detail17trampoline_kernelINS0_14default_configENS1_27scan_by_key_config_selectorIssEEZZNS1_16scan_by_key_implILNS1_25lookback_scan_determinismE0ELb1ES3_N6thrust23THRUST_200600_302600_NS6detail15normal_iteratorINS9_10device_ptrIsEEEESE_SE_sNS9_10multipliesIsEENS9_8equal_toIsEEsEE10hipError_tPvRmT2_T3_T4_T5_mT6_T7_P12ihipStream_tbENKUlT_T0_E_clISt17integral_constantIbLb0EESY_IbLb1EEEEDaSU_SV_EUlSU_E_NS1_11comp_targetILNS1_3genE0ELNS1_11target_archE4294967295ELNS1_3gpuE0ELNS1_3repE0EEENS1_30default_config_static_selectorELNS0_4arch9wavefront6targetE1EEEvT1_
; %bb.0:
	.section	.rodata,"a",@progbits
	.p2align	6, 0x0
	.amdhsa_kernel _ZN7rocprim17ROCPRIM_400000_NS6detail17trampoline_kernelINS0_14default_configENS1_27scan_by_key_config_selectorIssEEZZNS1_16scan_by_key_implILNS1_25lookback_scan_determinismE0ELb1ES3_N6thrust23THRUST_200600_302600_NS6detail15normal_iteratorINS9_10device_ptrIsEEEESE_SE_sNS9_10multipliesIsEENS9_8equal_toIsEEsEE10hipError_tPvRmT2_T3_T4_T5_mT6_T7_P12ihipStream_tbENKUlT_T0_E_clISt17integral_constantIbLb0EESY_IbLb1EEEEDaSU_SV_EUlSU_E_NS1_11comp_targetILNS1_3genE0ELNS1_11target_archE4294967295ELNS1_3gpuE0ELNS1_3repE0EEENS1_30default_config_static_selectorELNS0_4arch9wavefront6targetE1EEEvT1_
		.amdhsa_group_segment_fixed_size 0
		.amdhsa_private_segment_fixed_size 0
		.amdhsa_kernarg_size 112
		.amdhsa_user_sgpr_count 6
		.amdhsa_user_sgpr_private_segment_buffer 1
		.amdhsa_user_sgpr_dispatch_ptr 0
		.amdhsa_user_sgpr_queue_ptr 0
		.amdhsa_user_sgpr_kernarg_segment_ptr 1
		.amdhsa_user_sgpr_dispatch_id 0
		.amdhsa_user_sgpr_flat_scratch_init 0
		.amdhsa_user_sgpr_kernarg_preload_length 0
		.amdhsa_user_sgpr_kernarg_preload_offset 0
		.amdhsa_user_sgpr_private_segment_size 0
		.amdhsa_uses_dynamic_stack 0
		.amdhsa_system_sgpr_private_segment_wavefront_offset 0
		.amdhsa_system_sgpr_workgroup_id_x 1
		.amdhsa_system_sgpr_workgroup_id_y 0
		.amdhsa_system_sgpr_workgroup_id_z 0
		.amdhsa_system_sgpr_workgroup_info 0
		.amdhsa_system_vgpr_workitem_id 0
		.amdhsa_next_free_vgpr 1
		.amdhsa_next_free_sgpr 0
		.amdhsa_accum_offset 4
		.amdhsa_reserve_vcc 0
		.amdhsa_reserve_flat_scratch 0
		.amdhsa_float_round_mode_32 0
		.amdhsa_float_round_mode_16_64 0
		.amdhsa_float_denorm_mode_32 3
		.amdhsa_float_denorm_mode_16_64 3
		.amdhsa_dx10_clamp 1
		.amdhsa_ieee_mode 1
		.amdhsa_fp16_overflow 0
		.amdhsa_tg_split 0
		.amdhsa_exception_fp_ieee_invalid_op 0
		.amdhsa_exception_fp_denorm_src 0
		.amdhsa_exception_fp_ieee_div_zero 0
		.amdhsa_exception_fp_ieee_overflow 0
		.amdhsa_exception_fp_ieee_underflow 0
		.amdhsa_exception_fp_ieee_inexact 0
		.amdhsa_exception_int_div_zero 0
	.end_amdhsa_kernel
	.section	.text._ZN7rocprim17ROCPRIM_400000_NS6detail17trampoline_kernelINS0_14default_configENS1_27scan_by_key_config_selectorIssEEZZNS1_16scan_by_key_implILNS1_25lookback_scan_determinismE0ELb1ES3_N6thrust23THRUST_200600_302600_NS6detail15normal_iteratorINS9_10device_ptrIsEEEESE_SE_sNS9_10multipliesIsEENS9_8equal_toIsEEsEE10hipError_tPvRmT2_T3_T4_T5_mT6_T7_P12ihipStream_tbENKUlT_T0_E_clISt17integral_constantIbLb0EESY_IbLb1EEEEDaSU_SV_EUlSU_E_NS1_11comp_targetILNS1_3genE0ELNS1_11target_archE4294967295ELNS1_3gpuE0ELNS1_3repE0EEENS1_30default_config_static_selectorELNS0_4arch9wavefront6targetE1EEEvT1_,"axG",@progbits,_ZN7rocprim17ROCPRIM_400000_NS6detail17trampoline_kernelINS0_14default_configENS1_27scan_by_key_config_selectorIssEEZZNS1_16scan_by_key_implILNS1_25lookback_scan_determinismE0ELb1ES3_N6thrust23THRUST_200600_302600_NS6detail15normal_iteratorINS9_10device_ptrIsEEEESE_SE_sNS9_10multipliesIsEENS9_8equal_toIsEEsEE10hipError_tPvRmT2_T3_T4_T5_mT6_T7_P12ihipStream_tbENKUlT_T0_E_clISt17integral_constantIbLb0EESY_IbLb1EEEEDaSU_SV_EUlSU_E_NS1_11comp_targetILNS1_3genE0ELNS1_11target_archE4294967295ELNS1_3gpuE0ELNS1_3repE0EEENS1_30default_config_static_selectorELNS0_4arch9wavefront6targetE1EEEvT1_,comdat
.Lfunc_end632:
	.size	_ZN7rocprim17ROCPRIM_400000_NS6detail17trampoline_kernelINS0_14default_configENS1_27scan_by_key_config_selectorIssEEZZNS1_16scan_by_key_implILNS1_25lookback_scan_determinismE0ELb1ES3_N6thrust23THRUST_200600_302600_NS6detail15normal_iteratorINS9_10device_ptrIsEEEESE_SE_sNS9_10multipliesIsEENS9_8equal_toIsEEsEE10hipError_tPvRmT2_T3_T4_T5_mT6_T7_P12ihipStream_tbENKUlT_T0_E_clISt17integral_constantIbLb0EESY_IbLb1EEEEDaSU_SV_EUlSU_E_NS1_11comp_targetILNS1_3genE0ELNS1_11target_archE4294967295ELNS1_3gpuE0ELNS1_3repE0EEENS1_30default_config_static_selectorELNS0_4arch9wavefront6targetE1EEEvT1_, .Lfunc_end632-_ZN7rocprim17ROCPRIM_400000_NS6detail17trampoline_kernelINS0_14default_configENS1_27scan_by_key_config_selectorIssEEZZNS1_16scan_by_key_implILNS1_25lookback_scan_determinismE0ELb1ES3_N6thrust23THRUST_200600_302600_NS6detail15normal_iteratorINS9_10device_ptrIsEEEESE_SE_sNS9_10multipliesIsEENS9_8equal_toIsEEsEE10hipError_tPvRmT2_T3_T4_T5_mT6_T7_P12ihipStream_tbENKUlT_T0_E_clISt17integral_constantIbLb0EESY_IbLb1EEEEDaSU_SV_EUlSU_E_NS1_11comp_targetILNS1_3genE0ELNS1_11target_archE4294967295ELNS1_3gpuE0ELNS1_3repE0EEENS1_30default_config_static_selectorELNS0_4arch9wavefront6targetE1EEEvT1_
                                        ; -- End function
	.section	.AMDGPU.csdata,"",@progbits
; Kernel info:
; codeLenInByte = 0
; NumSgprs: 4
; NumVgprs: 0
; NumAgprs: 0
; TotalNumVgprs: 0
; ScratchSize: 0
; MemoryBound: 0
; FloatMode: 240
; IeeeMode: 1
; LDSByteSize: 0 bytes/workgroup (compile time only)
; SGPRBlocks: 0
; VGPRBlocks: 0
; NumSGPRsForWavesPerEU: 4
; NumVGPRsForWavesPerEU: 1
; AccumOffset: 4
; Occupancy: 8
; WaveLimiterHint : 0
; COMPUTE_PGM_RSRC2:SCRATCH_EN: 0
; COMPUTE_PGM_RSRC2:USER_SGPR: 6
; COMPUTE_PGM_RSRC2:TRAP_HANDLER: 0
; COMPUTE_PGM_RSRC2:TGID_X_EN: 1
; COMPUTE_PGM_RSRC2:TGID_Y_EN: 0
; COMPUTE_PGM_RSRC2:TGID_Z_EN: 0
; COMPUTE_PGM_RSRC2:TIDIG_COMP_CNT: 0
; COMPUTE_PGM_RSRC3_GFX90A:ACCUM_OFFSET: 0
; COMPUTE_PGM_RSRC3_GFX90A:TG_SPLIT: 0
	.section	.text._ZN7rocprim17ROCPRIM_400000_NS6detail17trampoline_kernelINS0_14default_configENS1_27scan_by_key_config_selectorIssEEZZNS1_16scan_by_key_implILNS1_25lookback_scan_determinismE0ELb1ES3_N6thrust23THRUST_200600_302600_NS6detail15normal_iteratorINS9_10device_ptrIsEEEESE_SE_sNS9_10multipliesIsEENS9_8equal_toIsEEsEE10hipError_tPvRmT2_T3_T4_T5_mT6_T7_P12ihipStream_tbENKUlT_T0_E_clISt17integral_constantIbLb0EESY_IbLb1EEEEDaSU_SV_EUlSU_E_NS1_11comp_targetILNS1_3genE10ELNS1_11target_archE1201ELNS1_3gpuE5ELNS1_3repE0EEENS1_30default_config_static_selectorELNS0_4arch9wavefront6targetE1EEEvT1_,"axG",@progbits,_ZN7rocprim17ROCPRIM_400000_NS6detail17trampoline_kernelINS0_14default_configENS1_27scan_by_key_config_selectorIssEEZZNS1_16scan_by_key_implILNS1_25lookback_scan_determinismE0ELb1ES3_N6thrust23THRUST_200600_302600_NS6detail15normal_iteratorINS9_10device_ptrIsEEEESE_SE_sNS9_10multipliesIsEENS9_8equal_toIsEEsEE10hipError_tPvRmT2_T3_T4_T5_mT6_T7_P12ihipStream_tbENKUlT_T0_E_clISt17integral_constantIbLb0EESY_IbLb1EEEEDaSU_SV_EUlSU_E_NS1_11comp_targetILNS1_3genE10ELNS1_11target_archE1201ELNS1_3gpuE5ELNS1_3repE0EEENS1_30default_config_static_selectorELNS0_4arch9wavefront6targetE1EEEvT1_,comdat
	.protected	_ZN7rocprim17ROCPRIM_400000_NS6detail17trampoline_kernelINS0_14default_configENS1_27scan_by_key_config_selectorIssEEZZNS1_16scan_by_key_implILNS1_25lookback_scan_determinismE0ELb1ES3_N6thrust23THRUST_200600_302600_NS6detail15normal_iteratorINS9_10device_ptrIsEEEESE_SE_sNS9_10multipliesIsEENS9_8equal_toIsEEsEE10hipError_tPvRmT2_T3_T4_T5_mT6_T7_P12ihipStream_tbENKUlT_T0_E_clISt17integral_constantIbLb0EESY_IbLb1EEEEDaSU_SV_EUlSU_E_NS1_11comp_targetILNS1_3genE10ELNS1_11target_archE1201ELNS1_3gpuE5ELNS1_3repE0EEENS1_30default_config_static_selectorELNS0_4arch9wavefront6targetE1EEEvT1_ ; -- Begin function _ZN7rocprim17ROCPRIM_400000_NS6detail17trampoline_kernelINS0_14default_configENS1_27scan_by_key_config_selectorIssEEZZNS1_16scan_by_key_implILNS1_25lookback_scan_determinismE0ELb1ES3_N6thrust23THRUST_200600_302600_NS6detail15normal_iteratorINS9_10device_ptrIsEEEESE_SE_sNS9_10multipliesIsEENS9_8equal_toIsEEsEE10hipError_tPvRmT2_T3_T4_T5_mT6_T7_P12ihipStream_tbENKUlT_T0_E_clISt17integral_constantIbLb0EESY_IbLb1EEEEDaSU_SV_EUlSU_E_NS1_11comp_targetILNS1_3genE10ELNS1_11target_archE1201ELNS1_3gpuE5ELNS1_3repE0EEENS1_30default_config_static_selectorELNS0_4arch9wavefront6targetE1EEEvT1_
	.globl	_ZN7rocprim17ROCPRIM_400000_NS6detail17trampoline_kernelINS0_14default_configENS1_27scan_by_key_config_selectorIssEEZZNS1_16scan_by_key_implILNS1_25lookback_scan_determinismE0ELb1ES3_N6thrust23THRUST_200600_302600_NS6detail15normal_iteratorINS9_10device_ptrIsEEEESE_SE_sNS9_10multipliesIsEENS9_8equal_toIsEEsEE10hipError_tPvRmT2_T3_T4_T5_mT6_T7_P12ihipStream_tbENKUlT_T0_E_clISt17integral_constantIbLb0EESY_IbLb1EEEEDaSU_SV_EUlSU_E_NS1_11comp_targetILNS1_3genE10ELNS1_11target_archE1201ELNS1_3gpuE5ELNS1_3repE0EEENS1_30default_config_static_selectorELNS0_4arch9wavefront6targetE1EEEvT1_
	.p2align	8
	.type	_ZN7rocprim17ROCPRIM_400000_NS6detail17trampoline_kernelINS0_14default_configENS1_27scan_by_key_config_selectorIssEEZZNS1_16scan_by_key_implILNS1_25lookback_scan_determinismE0ELb1ES3_N6thrust23THRUST_200600_302600_NS6detail15normal_iteratorINS9_10device_ptrIsEEEESE_SE_sNS9_10multipliesIsEENS9_8equal_toIsEEsEE10hipError_tPvRmT2_T3_T4_T5_mT6_T7_P12ihipStream_tbENKUlT_T0_E_clISt17integral_constantIbLb0EESY_IbLb1EEEEDaSU_SV_EUlSU_E_NS1_11comp_targetILNS1_3genE10ELNS1_11target_archE1201ELNS1_3gpuE5ELNS1_3repE0EEENS1_30default_config_static_selectorELNS0_4arch9wavefront6targetE1EEEvT1_,@function
_ZN7rocprim17ROCPRIM_400000_NS6detail17trampoline_kernelINS0_14default_configENS1_27scan_by_key_config_selectorIssEEZZNS1_16scan_by_key_implILNS1_25lookback_scan_determinismE0ELb1ES3_N6thrust23THRUST_200600_302600_NS6detail15normal_iteratorINS9_10device_ptrIsEEEESE_SE_sNS9_10multipliesIsEENS9_8equal_toIsEEsEE10hipError_tPvRmT2_T3_T4_T5_mT6_T7_P12ihipStream_tbENKUlT_T0_E_clISt17integral_constantIbLb0EESY_IbLb1EEEEDaSU_SV_EUlSU_E_NS1_11comp_targetILNS1_3genE10ELNS1_11target_archE1201ELNS1_3gpuE5ELNS1_3repE0EEENS1_30default_config_static_selectorELNS0_4arch9wavefront6targetE1EEEvT1_: ; @_ZN7rocprim17ROCPRIM_400000_NS6detail17trampoline_kernelINS0_14default_configENS1_27scan_by_key_config_selectorIssEEZZNS1_16scan_by_key_implILNS1_25lookback_scan_determinismE0ELb1ES3_N6thrust23THRUST_200600_302600_NS6detail15normal_iteratorINS9_10device_ptrIsEEEESE_SE_sNS9_10multipliesIsEENS9_8equal_toIsEEsEE10hipError_tPvRmT2_T3_T4_T5_mT6_T7_P12ihipStream_tbENKUlT_T0_E_clISt17integral_constantIbLb0EESY_IbLb1EEEEDaSU_SV_EUlSU_E_NS1_11comp_targetILNS1_3genE10ELNS1_11target_archE1201ELNS1_3gpuE5ELNS1_3repE0EEENS1_30default_config_static_selectorELNS0_4arch9wavefront6targetE1EEEvT1_
; %bb.0:
	.section	.rodata,"a",@progbits
	.p2align	6, 0x0
	.amdhsa_kernel _ZN7rocprim17ROCPRIM_400000_NS6detail17trampoline_kernelINS0_14default_configENS1_27scan_by_key_config_selectorIssEEZZNS1_16scan_by_key_implILNS1_25lookback_scan_determinismE0ELb1ES3_N6thrust23THRUST_200600_302600_NS6detail15normal_iteratorINS9_10device_ptrIsEEEESE_SE_sNS9_10multipliesIsEENS9_8equal_toIsEEsEE10hipError_tPvRmT2_T3_T4_T5_mT6_T7_P12ihipStream_tbENKUlT_T0_E_clISt17integral_constantIbLb0EESY_IbLb1EEEEDaSU_SV_EUlSU_E_NS1_11comp_targetILNS1_3genE10ELNS1_11target_archE1201ELNS1_3gpuE5ELNS1_3repE0EEENS1_30default_config_static_selectorELNS0_4arch9wavefront6targetE1EEEvT1_
		.amdhsa_group_segment_fixed_size 0
		.amdhsa_private_segment_fixed_size 0
		.amdhsa_kernarg_size 112
		.amdhsa_user_sgpr_count 6
		.amdhsa_user_sgpr_private_segment_buffer 1
		.amdhsa_user_sgpr_dispatch_ptr 0
		.amdhsa_user_sgpr_queue_ptr 0
		.amdhsa_user_sgpr_kernarg_segment_ptr 1
		.amdhsa_user_sgpr_dispatch_id 0
		.amdhsa_user_sgpr_flat_scratch_init 0
		.amdhsa_user_sgpr_kernarg_preload_length 0
		.amdhsa_user_sgpr_kernarg_preload_offset 0
		.amdhsa_user_sgpr_private_segment_size 0
		.amdhsa_uses_dynamic_stack 0
		.amdhsa_system_sgpr_private_segment_wavefront_offset 0
		.amdhsa_system_sgpr_workgroup_id_x 1
		.amdhsa_system_sgpr_workgroup_id_y 0
		.amdhsa_system_sgpr_workgroup_id_z 0
		.amdhsa_system_sgpr_workgroup_info 0
		.amdhsa_system_vgpr_workitem_id 0
		.amdhsa_next_free_vgpr 1
		.amdhsa_next_free_sgpr 0
		.amdhsa_accum_offset 4
		.amdhsa_reserve_vcc 0
		.amdhsa_reserve_flat_scratch 0
		.amdhsa_float_round_mode_32 0
		.amdhsa_float_round_mode_16_64 0
		.amdhsa_float_denorm_mode_32 3
		.amdhsa_float_denorm_mode_16_64 3
		.amdhsa_dx10_clamp 1
		.amdhsa_ieee_mode 1
		.amdhsa_fp16_overflow 0
		.amdhsa_tg_split 0
		.amdhsa_exception_fp_ieee_invalid_op 0
		.amdhsa_exception_fp_denorm_src 0
		.amdhsa_exception_fp_ieee_div_zero 0
		.amdhsa_exception_fp_ieee_overflow 0
		.amdhsa_exception_fp_ieee_underflow 0
		.amdhsa_exception_fp_ieee_inexact 0
		.amdhsa_exception_int_div_zero 0
	.end_amdhsa_kernel
	.section	.text._ZN7rocprim17ROCPRIM_400000_NS6detail17trampoline_kernelINS0_14default_configENS1_27scan_by_key_config_selectorIssEEZZNS1_16scan_by_key_implILNS1_25lookback_scan_determinismE0ELb1ES3_N6thrust23THRUST_200600_302600_NS6detail15normal_iteratorINS9_10device_ptrIsEEEESE_SE_sNS9_10multipliesIsEENS9_8equal_toIsEEsEE10hipError_tPvRmT2_T3_T4_T5_mT6_T7_P12ihipStream_tbENKUlT_T0_E_clISt17integral_constantIbLb0EESY_IbLb1EEEEDaSU_SV_EUlSU_E_NS1_11comp_targetILNS1_3genE10ELNS1_11target_archE1201ELNS1_3gpuE5ELNS1_3repE0EEENS1_30default_config_static_selectorELNS0_4arch9wavefront6targetE1EEEvT1_,"axG",@progbits,_ZN7rocprim17ROCPRIM_400000_NS6detail17trampoline_kernelINS0_14default_configENS1_27scan_by_key_config_selectorIssEEZZNS1_16scan_by_key_implILNS1_25lookback_scan_determinismE0ELb1ES3_N6thrust23THRUST_200600_302600_NS6detail15normal_iteratorINS9_10device_ptrIsEEEESE_SE_sNS9_10multipliesIsEENS9_8equal_toIsEEsEE10hipError_tPvRmT2_T3_T4_T5_mT6_T7_P12ihipStream_tbENKUlT_T0_E_clISt17integral_constantIbLb0EESY_IbLb1EEEEDaSU_SV_EUlSU_E_NS1_11comp_targetILNS1_3genE10ELNS1_11target_archE1201ELNS1_3gpuE5ELNS1_3repE0EEENS1_30default_config_static_selectorELNS0_4arch9wavefront6targetE1EEEvT1_,comdat
.Lfunc_end633:
	.size	_ZN7rocprim17ROCPRIM_400000_NS6detail17trampoline_kernelINS0_14default_configENS1_27scan_by_key_config_selectorIssEEZZNS1_16scan_by_key_implILNS1_25lookback_scan_determinismE0ELb1ES3_N6thrust23THRUST_200600_302600_NS6detail15normal_iteratorINS9_10device_ptrIsEEEESE_SE_sNS9_10multipliesIsEENS9_8equal_toIsEEsEE10hipError_tPvRmT2_T3_T4_T5_mT6_T7_P12ihipStream_tbENKUlT_T0_E_clISt17integral_constantIbLb0EESY_IbLb1EEEEDaSU_SV_EUlSU_E_NS1_11comp_targetILNS1_3genE10ELNS1_11target_archE1201ELNS1_3gpuE5ELNS1_3repE0EEENS1_30default_config_static_selectorELNS0_4arch9wavefront6targetE1EEEvT1_, .Lfunc_end633-_ZN7rocprim17ROCPRIM_400000_NS6detail17trampoline_kernelINS0_14default_configENS1_27scan_by_key_config_selectorIssEEZZNS1_16scan_by_key_implILNS1_25lookback_scan_determinismE0ELb1ES3_N6thrust23THRUST_200600_302600_NS6detail15normal_iteratorINS9_10device_ptrIsEEEESE_SE_sNS9_10multipliesIsEENS9_8equal_toIsEEsEE10hipError_tPvRmT2_T3_T4_T5_mT6_T7_P12ihipStream_tbENKUlT_T0_E_clISt17integral_constantIbLb0EESY_IbLb1EEEEDaSU_SV_EUlSU_E_NS1_11comp_targetILNS1_3genE10ELNS1_11target_archE1201ELNS1_3gpuE5ELNS1_3repE0EEENS1_30default_config_static_selectorELNS0_4arch9wavefront6targetE1EEEvT1_
                                        ; -- End function
	.section	.AMDGPU.csdata,"",@progbits
; Kernel info:
; codeLenInByte = 0
; NumSgprs: 4
; NumVgprs: 0
; NumAgprs: 0
; TotalNumVgprs: 0
; ScratchSize: 0
; MemoryBound: 0
; FloatMode: 240
; IeeeMode: 1
; LDSByteSize: 0 bytes/workgroup (compile time only)
; SGPRBlocks: 0
; VGPRBlocks: 0
; NumSGPRsForWavesPerEU: 4
; NumVGPRsForWavesPerEU: 1
; AccumOffset: 4
; Occupancy: 8
; WaveLimiterHint : 0
; COMPUTE_PGM_RSRC2:SCRATCH_EN: 0
; COMPUTE_PGM_RSRC2:USER_SGPR: 6
; COMPUTE_PGM_RSRC2:TRAP_HANDLER: 0
; COMPUTE_PGM_RSRC2:TGID_X_EN: 1
; COMPUTE_PGM_RSRC2:TGID_Y_EN: 0
; COMPUTE_PGM_RSRC2:TGID_Z_EN: 0
; COMPUTE_PGM_RSRC2:TIDIG_COMP_CNT: 0
; COMPUTE_PGM_RSRC3_GFX90A:ACCUM_OFFSET: 0
; COMPUTE_PGM_RSRC3_GFX90A:TG_SPLIT: 0
	.section	.text._ZN7rocprim17ROCPRIM_400000_NS6detail17trampoline_kernelINS0_14default_configENS1_27scan_by_key_config_selectorIssEEZZNS1_16scan_by_key_implILNS1_25lookback_scan_determinismE0ELb1ES3_N6thrust23THRUST_200600_302600_NS6detail15normal_iteratorINS9_10device_ptrIsEEEESE_SE_sNS9_10multipliesIsEENS9_8equal_toIsEEsEE10hipError_tPvRmT2_T3_T4_T5_mT6_T7_P12ihipStream_tbENKUlT_T0_E_clISt17integral_constantIbLb0EESY_IbLb1EEEEDaSU_SV_EUlSU_E_NS1_11comp_targetILNS1_3genE5ELNS1_11target_archE942ELNS1_3gpuE9ELNS1_3repE0EEENS1_30default_config_static_selectorELNS0_4arch9wavefront6targetE1EEEvT1_,"axG",@progbits,_ZN7rocprim17ROCPRIM_400000_NS6detail17trampoline_kernelINS0_14default_configENS1_27scan_by_key_config_selectorIssEEZZNS1_16scan_by_key_implILNS1_25lookback_scan_determinismE0ELb1ES3_N6thrust23THRUST_200600_302600_NS6detail15normal_iteratorINS9_10device_ptrIsEEEESE_SE_sNS9_10multipliesIsEENS9_8equal_toIsEEsEE10hipError_tPvRmT2_T3_T4_T5_mT6_T7_P12ihipStream_tbENKUlT_T0_E_clISt17integral_constantIbLb0EESY_IbLb1EEEEDaSU_SV_EUlSU_E_NS1_11comp_targetILNS1_3genE5ELNS1_11target_archE942ELNS1_3gpuE9ELNS1_3repE0EEENS1_30default_config_static_selectorELNS0_4arch9wavefront6targetE1EEEvT1_,comdat
	.protected	_ZN7rocprim17ROCPRIM_400000_NS6detail17trampoline_kernelINS0_14default_configENS1_27scan_by_key_config_selectorIssEEZZNS1_16scan_by_key_implILNS1_25lookback_scan_determinismE0ELb1ES3_N6thrust23THRUST_200600_302600_NS6detail15normal_iteratorINS9_10device_ptrIsEEEESE_SE_sNS9_10multipliesIsEENS9_8equal_toIsEEsEE10hipError_tPvRmT2_T3_T4_T5_mT6_T7_P12ihipStream_tbENKUlT_T0_E_clISt17integral_constantIbLb0EESY_IbLb1EEEEDaSU_SV_EUlSU_E_NS1_11comp_targetILNS1_3genE5ELNS1_11target_archE942ELNS1_3gpuE9ELNS1_3repE0EEENS1_30default_config_static_selectorELNS0_4arch9wavefront6targetE1EEEvT1_ ; -- Begin function _ZN7rocprim17ROCPRIM_400000_NS6detail17trampoline_kernelINS0_14default_configENS1_27scan_by_key_config_selectorIssEEZZNS1_16scan_by_key_implILNS1_25lookback_scan_determinismE0ELb1ES3_N6thrust23THRUST_200600_302600_NS6detail15normal_iteratorINS9_10device_ptrIsEEEESE_SE_sNS9_10multipliesIsEENS9_8equal_toIsEEsEE10hipError_tPvRmT2_T3_T4_T5_mT6_T7_P12ihipStream_tbENKUlT_T0_E_clISt17integral_constantIbLb0EESY_IbLb1EEEEDaSU_SV_EUlSU_E_NS1_11comp_targetILNS1_3genE5ELNS1_11target_archE942ELNS1_3gpuE9ELNS1_3repE0EEENS1_30default_config_static_selectorELNS0_4arch9wavefront6targetE1EEEvT1_
	.globl	_ZN7rocprim17ROCPRIM_400000_NS6detail17trampoline_kernelINS0_14default_configENS1_27scan_by_key_config_selectorIssEEZZNS1_16scan_by_key_implILNS1_25lookback_scan_determinismE0ELb1ES3_N6thrust23THRUST_200600_302600_NS6detail15normal_iteratorINS9_10device_ptrIsEEEESE_SE_sNS9_10multipliesIsEENS9_8equal_toIsEEsEE10hipError_tPvRmT2_T3_T4_T5_mT6_T7_P12ihipStream_tbENKUlT_T0_E_clISt17integral_constantIbLb0EESY_IbLb1EEEEDaSU_SV_EUlSU_E_NS1_11comp_targetILNS1_3genE5ELNS1_11target_archE942ELNS1_3gpuE9ELNS1_3repE0EEENS1_30default_config_static_selectorELNS0_4arch9wavefront6targetE1EEEvT1_
	.p2align	8
	.type	_ZN7rocprim17ROCPRIM_400000_NS6detail17trampoline_kernelINS0_14default_configENS1_27scan_by_key_config_selectorIssEEZZNS1_16scan_by_key_implILNS1_25lookback_scan_determinismE0ELb1ES3_N6thrust23THRUST_200600_302600_NS6detail15normal_iteratorINS9_10device_ptrIsEEEESE_SE_sNS9_10multipliesIsEENS9_8equal_toIsEEsEE10hipError_tPvRmT2_T3_T4_T5_mT6_T7_P12ihipStream_tbENKUlT_T0_E_clISt17integral_constantIbLb0EESY_IbLb1EEEEDaSU_SV_EUlSU_E_NS1_11comp_targetILNS1_3genE5ELNS1_11target_archE942ELNS1_3gpuE9ELNS1_3repE0EEENS1_30default_config_static_selectorELNS0_4arch9wavefront6targetE1EEEvT1_,@function
_ZN7rocprim17ROCPRIM_400000_NS6detail17trampoline_kernelINS0_14default_configENS1_27scan_by_key_config_selectorIssEEZZNS1_16scan_by_key_implILNS1_25lookback_scan_determinismE0ELb1ES3_N6thrust23THRUST_200600_302600_NS6detail15normal_iteratorINS9_10device_ptrIsEEEESE_SE_sNS9_10multipliesIsEENS9_8equal_toIsEEsEE10hipError_tPvRmT2_T3_T4_T5_mT6_T7_P12ihipStream_tbENKUlT_T0_E_clISt17integral_constantIbLb0EESY_IbLb1EEEEDaSU_SV_EUlSU_E_NS1_11comp_targetILNS1_3genE5ELNS1_11target_archE942ELNS1_3gpuE9ELNS1_3repE0EEENS1_30default_config_static_selectorELNS0_4arch9wavefront6targetE1EEEvT1_: ; @_ZN7rocprim17ROCPRIM_400000_NS6detail17trampoline_kernelINS0_14default_configENS1_27scan_by_key_config_selectorIssEEZZNS1_16scan_by_key_implILNS1_25lookback_scan_determinismE0ELb1ES3_N6thrust23THRUST_200600_302600_NS6detail15normal_iteratorINS9_10device_ptrIsEEEESE_SE_sNS9_10multipliesIsEENS9_8equal_toIsEEsEE10hipError_tPvRmT2_T3_T4_T5_mT6_T7_P12ihipStream_tbENKUlT_T0_E_clISt17integral_constantIbLb0EESY_IbLb1EEEEDaSU_SV_EUlSU_E_NS1_11comp_targetILNS1_3genE5ELNS1_11target_archE942ELNS1_3gpuE9ELNS1_3repE0EEENS1_30default_config_static_selectorELNS0_4arch9wavefront6targetE1EEEvT1_
; %bb.0:
	.section	.rodata,"a",@progbits
	.p2align	6, 0x0
	.amdhsa_kernel _ZN7rocprim17ROCPRIM_400000_NS6detail17trampoline_kernelINS0_14default_configENS1_27scan_by_key_config_selectorIssEEZZNS1_16scan_by_key_implILNS1_25lookback_scan_determinismE0ELb1ES3_N6thrust23THRUST_200600_302600_NS6detail15normal_iteratorINS9_10device_ptrIsEEEESE_SE_sNS9_10multipliesIsEENS9_8equal_toIsEEsEE10hipError_tPvRmT2_T3_T4_T5_mT6_T7_P12ihipStream_tbENKUlT_T0_E_clISt17integral_constantIbLb0EESY_IbLb1EEEEDaSU_SV_EUlSU_E_NS1_11comp_targetILNS1_3genE5ELNS1_11target_archE942ELNS1_3gpuE9ELNS1_3repE0EEENS1_30default_config_static_selectorELNS0_4arch9wavefront6targetE1EEEvT1_
		.amdhsa_group_segment_fixed_size 0
		.amdhsa_private_segment_fixed_size 0
		.amdhsa_kernarg_size 112
		.amdhsa_user_sgpr_count 6
		.amdhsa_user_sgpr_private_segment_buffer 1
		.amdhsa_user_sgpr_dispatch_ptr 0
		.amdhsa_user_sgpr_queue_ptr 0
		.amdhsa_user_sgpr_kernarg_segment_ptr 1
		.amdhsa_user_sgpr_dispatch_id 0
		.amdhsa_user_sgpr_flat_scratch_init 0
		.amdhsa_user_sgpr_kernarg_preload_length 0
		.amdhsa_user_sgpr_kernarg_preload_offset 0
		.amdhsa_user_sgpr_private_segment_size 0
		.amdhsa_uses_dynamic_stack 0
		.amdhsa_system_sgpr_private_segment_wavefront_offset 0
		.amdhsa_system_sgpr_workgroup_id_x 1
		.amdhsa_system_sgpr_workgroup_id_y 0
		.amdhsa_system_sgpr_workgroup_id_z 0
		.amdhsa_system_sgpr_workgroup_info 0
		.amdhsa_system_vgpr_workitem_id 0
		.amdhsa_next_free_vgpr 1
		.amdhsa_next_free_sgpr 0
		.amdhsa_accum_offset 4
		.amdhsa_reserve_vcc 0
		.amdhsa_reserve_flat_scratch 0
		.amdhsa_float_round_mode_32 0
		.amdhsa_float_round_mode_16_64 0
		.amdhsa_float_denorm_mode_32 3
		.amdhsa_float_denorm_mode_16_64 3
		.amdhsa_dx10_clamp 1
		.amdhsa_ieee_mode 1
		.amdhsa_fp16_overflow 0
		.amdhsa_tg_split 0
		.amdhsa_exception_fp_ieee_invalid_op 0
		.amdhsa_exception_fp_denorm_src 0
		.amdhsa_exception_fp_ieee_div_zero 0
		.amdhsa_exception_fp_ieee_overflow 0
		.amdhsa_exception_fp_ieee_underflow 0
		.amdhsa_exception_fp_ieee_inexact 0
		.amdhsa_exception_int_div_zero 0
	.end_amdhsa_kernel
	.section	.text._ZN7rocprim17ROCPRIM_400000_NS6detail17trampoline_kernelINS0_14default_configENS1_27scan_by_key_config_selectorIssEEZZNS1_16scan_by_key_implILNS1_25lookback_scan_determinismE0ELb1ES3_N6thrust23THRUST_200600_302600_NS6detail15normal_iteratorINS9_10device_ptrIsEEEESE_SE_sNS9_10multipliesIsEENS9_8equal_toIsEEsEE10hipError_tPvRmT2_T3_T4_T5_mT6_T7_P12ihipStream_tbENKUlT_T0_E_clISt17integral_constantIbLb0EESY_IbLb1EEEEDaSU_SV_EUlSU_E_NS1_11comp_targetILNS1_3genE5ELNS1_11target_archE942ELNS1_3gpuE9ELNS1_3repE0EEENS1_30default_config_static_selectorELNS0_4arch9wavefront6targetE1EEEvT1_,"axG",@progbits,_ZN7rocprim17ROCPRIM_400000_NS6detail17trampoline_kernelINS0_14default_configENS1_27scan_by_key_config_selectorIssEEZZNS1_16scan_by_key_implILNS1_25lookback_scan_determinismE0ELb1ES3_N6thrust23THRUST_200600_302600_NS6detail15normal_iteratorINS9_10device_ptrIsEEEESE_SE_sNS9_10multipliesIsEENS9_8equal_toIsEEsEE10hipError_tPvRmT2_T3_T4_T5_mT6_T7_P12ihipStream_tbENKUlT_T0_E_clISt17integral_constantIbLb0EESY_IbLb1EEEEDaSU_SV_EUlSU_E_NS1_11comp_targetILNS1_3genE5ELNS1_11target_archE942ELNS1_3gpuE9ELNS1_3repE0EEENS1_30default_config_static_selectorELNS0_4arch9wavefront6targetE1EEEvT1_,comdat
.Lfunc_end634:
	.size	_ZN7rocprim17ROCPRIM_400000_NS6detail17trampoline_kernelINS0_14default_configENS1_27scan_by_key_config_selectorIssEEZZNS1_16scan_by_key_implILNS1_25lookback_scan_determinismE0ELb1ES3_N6thrust23THRUST_200600_302600_NS6detail15normal_iteratorINS9_10device_ptrIsEEEESE_SE_sNS9_10multipliesIsEENS9_8equal_toIsEEsEE10hipError_tPvRmT2_T3_T4_T5_mT6_T7_P12ihipStream_tbENKUlT_T0_E_clISt17integral_constantIbLb0EESY_IbLb1EEEEDaSU_SV_EUlSU_E_NS1_11comp_targetILNS1_3genE5ELNS1_11target_archE942ELNS1_3gpuE9ELNS1_3repE0EEENS1_30default_config_static_selectorELNS0_4arch9wavefront6targetE1EEEvT1_, .Lfunc_end634-_ZN7rocprim17ROCPRIM_400000_NS6detail17trampoline_kernelINS0_14default_configENS1_27scan_by_key_config_selectorIssEEZZNS1_16scan_by_key_implILNS1_25lookback_scan_determinismE0ELb1ES3_N6thrust23THRUST_200600_302600_NS6detail15normal_iteratorINS9_10device_ptrIsEEEESE_SE_sNS9_10multipliesIsEENS9_8equal_toIsEEsEE10hipError_tPvRmT2_T3_T4_T5_mT6_T7_P12ihipStream_tbENKUlT_T0_E_clISt17integral_constantIbLb0EESY_IbLb1EEEEDaSU_SV_EUlSU_E_NS1_11comp_targetILNS1_3genE5ELNS1_11target_archE942ELNS1_3gpuE9ELNS1_3repE0EEENS1_30default_config_static_selectorELNS0_4arch9wavefront6targetE1EEEvT1_
                                        ; -- End function
	.section	.AMDGPU.csdata,"",@progbits
; Kernel info:
; codeLenInByte = 0
; NumSgprs: 4
; NumVgprs: 0
; NumAgprs: 0
; TotalNumVgprs: 0
; ScratchSize: 0
; MemoryBound: 0
; FloatMode: 240
; IeeeMode: 1
; LDSByteSize: 0 bytes/workgroup (compile time only)
; SGPRBlocks: 0
; VGPRBlocks: 0
; NumSGPRsForWavesPerEU: 4
; NumVGPRsForWavesPerEU: 1
; AccumOffset: 4
; Occupancy: 8
; WaveLimiterHint : 0
; COMPUTE_PGM_RSRC2:SCRATCH_EN: 0
; COMPUTE_PGM_RSRC2:USER_SGPR: 6
; COMPUTE_PGM_RSRC2:TRAP_HANDLER: 0
; COMPUTE_PGM_RSRC2:TGID_X_EN: 1
; COMPUTE_PGM_RSRC2:TGID_Y_EN: 0
; COMPUTE_PGM_RSRC2:TGID_Z_EN: 0
; COMPUTE_PGM_RSRC2:TIDIG_COMP_CNT: 0
; COMPUTE_PGM_RSRC3_GFX90A:ACCUM_OFFSET: 0
; COMPUTE_PGM_RSRC3_GFX90A:TG_SPLIT: 0
	.section	.text._ZN7rocprim17ROCPRIM_400000_NS6detail17trampoline_kernelINS0_14default_configENS1_27scan_by_key_config_selectorIssEEZZNS1_16scan_by_key_implILNS1_25lookback_scan_determinismE0ELb1ES3_N6thrust23THRUST_200600_302600_NS6detail15normal_iteratorINS9_10device_ptrIsEEEESE_SE_sNS9_10multipliesIsEENS9_8equal_toIsEEsEE10hipError_tPvRmT2_T3_T4_T5_mT6_T7_P12ihipStream_tbENKUlT_T0_E_clISt17integral_constantIbLb0EESY_IbLb1EEEEDaSU_SV_EUlSU_E_NS1_11comp_targetILNS1_3genE4ELNS1_11target_archE910ELNS1_3gpuE8ELNS1_3repE0EEENS1_30default_config_static_selectorELNS0_4arch9wavefront6targetE1EEEvT1_,"axG",@progbits,_ZN7rocprim17ROCPRIM_400000_NS6detail17trampoline_kernelINS0_14default_configENS1_27scan_by_key_config_selectorIssEEZZNS1_16scan_by_key_implILNS1_25lookback_scan_determinismE0ELb1ES3_N6thrust23THRUST_200600_302600_NS6detail15normal_iteratorINS9_10device_ptrIsEEEESE_SE_sNS9_10multipliesIsEENS9_8equal_toIsEEsEE10hipError_tPvRmT2_T3_T4_T5_mT6_T7_P12ihipStream_tbENKUlT_T0_E_clISt17integral_constantIbLb0EESY_IbLb1EEEEDaSU_SV_EUlSU_E_NS1_11comp_targetILNS1_3genE4ELNS1_11target_archE910ELNS1_3gpuE8ELNS1_3repE0EEENS1_30default_config_static_selectorELNS0_4arch9wavefront6targetE1EEEvT1_,comdat
	.protected	_ZN7rocprim17ROCPRIM_400000_NS6detail17trampoline_kernelINS0_14default_configENS1_27scan_by_key_config_selectorIssEEZZNS1_16scan_by_key_implILNS1_25lookback_scan_determinismE0ELb1ES3_N6thrust23THRUST_200600_302600_NS6detail15normal_iteratorINS9_10device_ptrIsEEEESE_SE_sNS9_10multipliesIsEENS9_8equal_toIsEEsEE10hipError_tPvRmT2_T3_T4_T5_mT6_T7_P12ihipStream_tbENKUlT_T0_E_clISt17integral_constantIbLb0EESY_IbLb1EEEEDaSU_SV_EUlSU_E_NS1_11comp_targetILNS1_3genE4ELNS1_11target_archE910ELNS1_3gpuE8ELNS1_3repE0EEENS1_30default_config_static_selectorELNS0_4arch9wavefront6targetE1EEEvT1_ ; -- Begin function _ZN7rocprim17ROCPRIM_400000_NS6detail17trampoline_kernelINS0_14default_configENS1_27scan_by_key_config_selectorIssEEZZNS1_16scan_by_key_implILNS1_25lookback_scan_determinismE0ELb1ES3_N6thrust23THRUST_200600_302600_NS6detail15normal_iteratorINS9_10device_ptrIsEEEESE_SE_sNS9_10multipliesIsEENS9_8equal_toIsEEsEE10hipError_tPvRmT2_T3_T4_T5_mT6_T7_P12ihipStream_tbENKUlT_T0_E_clISt17integral_constantIbLb0EESY_IbLb1EEEEDaSU_SV_EUlSU_E_NS1_11comp_targetILNS1_3genE4ELNS1_11target_archE910ELNS1_3gpuE8ELNS1_3repE0EEENS1_30default_config_static_selectorELNS0_4arch9wavefront6targetE1EEEvT1_
	.globl	_ZN7rocprim17ROCPRIM_400000_NS6detail17trampoline_kernelINS0_14default_configENS1_27scan_by_key_config_selectorIssEEZZNS1_16scan_by_key_implILNS1_25lookback_scan_determinismE0ELb1ES3_N6thrust23THRUST_200600_302600_NS6detail15normal_iteratorINS9_10device_ptrIsEEEESE_SE_sNS9_10multipliesIsEENS9_8equal_toIsEEsEE10hipError_tPvRmT2_T3_T4_T5_mT6_T7_P12ihipStream_tbENKUlT_T0_E_clISt17integral_constantIbLb0EESY_IbLb1EEEEDaSU_SV_EUlSU_E_NS1_11comp_targetILNS1_3genE4ELNS1_11target_archE910ELNS1_3gpuE8ELNS1_3repE0EEENS1_30default_config_static_selectorELNS0_4arch9wavefront6targetE1EEEvT1_
	.p2align	8
	.type	_ZN7rocprim17ROCPRIM_400000_NS6detail17trampoline_kernelINS0_14default_configENS1_27scan_by_key_config_selectorIssEEZZNS1_16scan_by_key_implILNS1_25lookback_scan_determinismE0ELb1ES3_N6thrust23THRUST_200600_302600_NS6detail15normal_iteratorINS9_10device_ptrIsEEEESE_SE_sNS9_10multipliesIsEENS9_8equal_toIsEEsEE10hipError_tPvRmT2_T3_T4_T5_mT6_T7_P12ihipStream_tbENKUlT_T0_E_clISt17integral_constantIbLb0EESY_IbLb1EEEEDaSU_SV_EUlSU_E_NS1_11comp_targetILNS1_3genE4ELNS1_11target_archE910ELNS1_3gpuE8ELNS1_3repE0EEENS1_30default_config_static_selectorELNS0_4arch9wavefront6targetE1EEEvT1_,@function
_ZN7rocprim17ROCPRIM_400000_NS6detail17trampoline_kernelINS0_14default_configENS1_27scan_by_key_config_selectorIssEEZZNS1_16scan_by_key_implILNS1_25lookback_scan_determinismE0ELb1ES3_N6thrust23THRUST_200600_302600_NS6detail15normal_iteratorINS9_10device_ptrIsEEEESE_SE_sNS9_10multipliesIsEENS9_8equal_toIsEEsEE10hipError_tPvRmT2_T3_T4_T5_mT6_T7_P12ihipStream_tbENKUlT_T0_E_clISt17integral_constantIbLb0EESY_IbLb1EEEEDaSU_SV_EUlSU_E_NS1_11comp_targetILNS1_3genE4ELNS1_11target_archE910ELNS1_3gpuE8ELNS1_3repE0EEENS1_30default_config_static_selectorELNS0_4arch9wavefront6targetE1EEEvT1_: ; @_ZN7rocprim17ROCPRIM_400000_NS6detail17trampoline_kernelINS0_14default_configENS1_27scan_by_key_config_selectorIssEEZZNS1_16scan_by_key_implILNS1_25lookback_scan_determinismE0ELb1ES3_N6thrust23THRUST_200600_302600_NS6detail15normal_iteratorINS9_10device_ptrIsEEEESE_SE_sNS9_10multipliesIsEENS9_8equal_toIsEEsEE10hipError_tPvRmT2_T3_T4_T5_mT6_T7_P12ihipStream_tbENKUlT_T0_E_clISt17integral_constantIbLb0EESY_IbLb1EEEEDaSU_SV_EUlSU_E_NS1_11comp_targetILNS1_3genE4ELNS1_11target_archE910ELNS1_3gpuE8ELNS1_3repE0EEENS1_30default_config_static_selectorELNS0_4arch9wavefront6targetE1EEEvT1_
; %bb.0:
	s_load_dword s70, s[4:5], 0x20
	s_load_dwordx4 s[60:63], s[4:5], 0x28
	s_load_dwordx2 s[68:69], s[4:5], 0x38
	v_cmp_ne_u32_e64 s[50:51], 0, v0
	v_cmp_eq_u32_e64 s[0:1], 0, v0
	s_and_saveexec_b64 s[2:3], s[0:1]
	s_cbranch_execz .LBB635_4
; %bb.1:
	s_mov_b64 s[8:9], exec
	v_mbcnt_lo_u32_b32 v1, s8, 0
	v_mbcnt_hi_u32_b32 v1, s9, v1
	v_cmp_eq_u32_e32 vcc, 0, v1
                                        ; implicit-def: $vgpr2
	s_and_saveexec_b64 s[6:7], vcc
	s_cbranch_execz .LBB635_3
; %bb.2:
	s_load_dwordx2 s[10:11], s[4:5], 0x68
	s_bcnt1_i32_b64 s8, s[8:9]
	v_mov_b32_e32 v2, 0
	v_mov_b32_e32 v3, s8
	s_waitcnt lgkmcnt(0)
	global_atomic_add v2, v2, v3, s[10:11] glc
.LBB635_3:
	s_or_b64 exec, exec, s[6:7]
	s_waitcnt vmcnt(0)
	v_readfirstlane_b32 s6, v2
	v_add_u32_e32 v1, s6, v1
	v_mov_b32_e32 v2, 0
	ds_write_b32 v2, v1
.LBB635_4:
	s_or_b64 exec, exec, s[2:3]
	s_load_dwordx8 s[52:59], s[4:5], 0x0
	s_load_dword s2, s[4:5], 0x40
	s_load_dwordx4 s[64:67], s[4:5], 0x48
	v_mov_b32_e32 v3, 0
	s_waitcnt lgkmcnt(0)
	s_lshl_b64 s[54:55], s[54:55], 1
	s_barrier
	ds_read_b32 v1, v3
	s_add_u32 s3, s52, s54
	s_addc_u32 s4, s53, s55
	s_add_u32 s5, s56, s54
	s_mul_i32 s7, s69, s2
	s_mul_hi_u32 s8, s68, s2
	s_addc_u32 s6, s57, s55
	s_add_i32 s7, s8, s7
	s_movk_i32 s8, 0x1600
	s_waitcnt lgkmcnt(0)
	v_mul_lo_u32 v2, v1, s8
	v_lshlrev_b64 v[10:11], 1, v[2:3]
	v_mov_b32_e32 v2, s4
	v_add_co_u32_e32 v6, vcc, s3, v10
	v_addc_co_u32_e32 v7, vcc, v2, v11, vcc
	v_mov_b32_e32 v2, s6
	v_add_co_u32_e32 v23, vcc, s5, v10
	s_mul_i32 s2, s68, s2
	v_addc_co_u32_e32 v38, vcc, v2, v11, vcc
	v_mov_b32_e32 v3, s7
	v_add_co_u32_e32 v2, vcc, s2, v1
	s_add_u32 s6, s64, -1
	v_addc_co_u32_e32 v3, vcc, 0, v3, vcc
	s_addc_u32 s7, s65, -1
	v_cmp_le_u64_e64 s[2:3], s[6:7], v[2:3]
	v_readfirstlane_b32 s63, v1
	s_mov_b64 s[4:5], -1
	s_and_b64 vcc, exec, s[2:3]
	s_mul_i32 s33, s6, 0xffffea00
	s_barrier
	s_barrier
	s_cbranch_vccz .LBB635_120
; %bb.5:
	flat_load_ushort v8, v[6:7]
	s_add_i32 s72, s33, s62
	v_cmp_gt_u32_e32 vcc, s72, v0
	s_waitcnt vmcnt(0) lgkmcnt(0)
	v_mov_b32_e32 v9, v8
	s_and_saveexec_b64 s[6:7], vcc
	s_cbranch_execz .LBB635_7
; %bb.6:
	v_lshlrev_b32_e32 v1, 1, v0
	v_add_co_u32_e64 v2, s[4:5], v6, v1
	v_addc_co_u32_e64 v3, s[4:5], 0, v7, s[4:5]
	flat_load_ushort v9, v[2:3]
.LBB635_7:
	s_or_b64 exec, exec, s[6:7]
	v_or_b32_e32 v1, 0x100, v0
	v_cmp_gt_u32_e64 s[6:7], s72, v1
	v_mov_b32_e32 v12, v8
	s_and_saveexec_b64 s[8:9], s[6:7]
	s_cbranch_execz .LBB635_9
; %bb.8:
	v_lshlrev_b32_e32 v1, 1, v0
	v_add_co_u32_e64 v2, s[4:5], v6, v1
	v_addc_co_u32_e64 v3, s[4:5], 0, v7, s[4:5]
	flat_load_ushort v12, v[2:3] offset:512
.LBB635_9:
	s_or_b64 exec, exec, s[8:9]
	v_or_b32_e32 v1, 0x200, v0
	v_cmp_gt_u32_e64 s[8:9], s72, v1
	v_mov_b32_e32 v13, v8
	s_and_saveexec_b64 s[10:11], s[8:9]
	s_cbranch_execz .LBB635_11
; %bb.10:
	v_lshlrev_b32_e32 v1, 1, v0
	v_add_co_u32_e64 v2, s[4:5], v6, v1
	v_addc_co_u32_e64 v3, s[4:5], 0, v7, s[4:5]
	flat_load_ushort v13, v[2:3] offset:1024
.LBB635_11:
	;; [unrolled: 12-line block ×7, first 2 shown]
	s_or_b64 exec, exec, s[20:21]
	v_or_b32_e32 v1, 0x800, v0
	v_cmp_gt_u32_e64 s[20:21], s72, v1
	v_lshlrev_b32_e32 v1, 1, v1
	v_mov_b32_e32 v19, v8
	s_and_saveexec_b64 s[22:23], s[20:21]
	s_cbranch_execz .LBB635_23
; %bb.22:
	v_add_co_u32_e64 v2, s[4:5], v6, v1
	v_addc_co_u32_e64 v3, s[4:5], 0, v7, s[4:5]
	flat_load_ushort v19, v[2:3]
.LBB635_23:
	s_or_b64 exec, exec, s[22:23]
	v_or_b32_e32 v2, 0x900, v0
	v_cmp_gt_u32_e64 s[22:23], s72, v2
	v_lshlrev_b32_e32 v2, 1, v2
	v_mov_b32_e32 v31, v8
	s_and_saveexec_b64 s[24:25], s[22:23]
	s_cbranch_execz .LBB635_25
; %bb.24:
	v_add_co_u32_e64 v4, s[4:5], v6, v2
	v_addc_co_u32_e64 v5, s[4:5], 0, v7, s[4:5]
	flat_load_ushort v31, v[4:5]
.LBB635_25:
	;; [unrolled: 12-line block ×13, first 2 shown]
	s_or_b64 exec, exec, s[48:49]
	v_or_b32_e32 v25, 0x1500, v0
	v_cmp_gt_u32_e64 s[48:49], s72, v25
	v_lshlrev_b32_e32 v30, 1, v25
	s_and_saveexec_b64 s[52:53], s[48:49]
	s_cbranch_execz .LBB635_49
; %bb.48:
	v_add_co_u32_e64 v44, s[4:5], v6, v30
	v_addc_co_u32_e64 v45, s[4:5], 0, v7, s[4:5]
	flat_load_ushort v8, v[44:45]
.LBB635_49:
	s_or_b64 exec, exec, s[52:53]
	v_lshlrev_b32_e32 v25, 1, v0
	s_waitcnt vmcnt(0) lgkmcnt(0)
	ds_write_b16 v25, v9
	ds_write_b16 v25, v12 offset:512
	ds_write_b16 v25, v13 offset:1024
	;; [unrolled: 1-line block ×21, first 2 shown]
	s_waitcnt lgkmcnt(0)
	s_barrier
	flat_load_ushort v42, v[6:7]
	v_mad_u32_u24 v44, v0, 42, v25
	s_movk_i32 s4, 0xffd6
	v_mad_i32_i24 v31, v0, s4, v44
	s_movk_i32 s4, 0xff
	v_cmp_ne_u32_e64 s[4:5], s4, v0
	ds_read2_b32 v[18:19], v44 offset1:1
	ds_read2_b32 v[16:17], v44 offset0:2 offset1:3
	ds_read2_b32 v[14:15], v44 offset0:4 offset1:5
	;; [unrolled: 1-line block ×4, first 2 shown]
	ds_read_b32 v45, v44 offset:40
	s_waitcnt lgkmcnt(0)
	ds_write_b16 v31, v18 offset:11776
	s_waitcnt lgkmcnt(0)
	s_barrier
	s_and_saveexec_b64 s[52:53], s[4:5]
	s_cbranch_execz .LBB635_51
; %bb.50:
	s_waitcnt vmcnt(0)
	ds_read_u16 v42, v25 offset:11778
.LBB635_51:
	s_or_b64 exec, exec, s[52:53]
	s_waitcnt lgkmcnt(0)
	s_barrier
	s_waitcnt lgkmcnt(0)
                                        ; implicit-def: $vgpr31
	s_and_saveexec_b64 s[4:5], vcc
	s_cbranch_execz .LBB635_189
; %bb.52:
	v_add_co_u32_e32 v32, vcc, v23, v25
	v_addc_co_u32_e32 v33, vcc, 0, v38, vcc
	flat_load_ushort v31, v[32:33]
	s_or_b64 exec, exec, s[4:5]
                                        ; implicit-def: $vgpr32
	s_and_saveexec_b64 s[4:5], s[6:7]
	s_cbranch_execnz .LBB635_190
.LBB635_53:
	s_or_b64 exec, exec, s[4:5]
                                        ; implicit-def: $vgpr33
	s_and_saveexec_b64 s[4:5], s[8:9]
	s_cbranch_execz .LBB635_191
.LBB635_54:
	v_add_co_u32_e32 v34, vcc, v23, v25
	v_addc_co_u32_e32 v35, vcc, 0, v38, vcc
	flat_load_ushort v33, v[34:35] offset:1024
	s_or_b64 exec, exec, s[4:5]
                                        ; implicit-def: $vgpr34
	s_and_saveexec_b64 s[4:5], s[10:11]
	s_cbranch_execnz .LBB635_192
.LBB635_55:
	s_or_b64 exec, exec, s[4:5]
                                        ; implicit-def: $vgpr35
	s_and_saveexec_b64 s[4:5], s[12:13]
	s_cbranch_execz .LBB635_193
.LBB635_56:
	v_add_co_u32_e32 v36, vcc, v23, v25
	v_addc_co_u32_e32 v37, vcc, 0, v38, vcc
	flat_load_ushort v35, v[36:37] offset:2048
	s_or_b64 exec, exec, s[4:5]
                                        ; implicit-def: $vgpr36
	s_and_saveexec_b64 s[4:5], s[14:15]
	s_cbranch_execnz .LBB635_194
.LBB635_57:
	s_or_b64 exec, exec, s[4:5]
                                        ; implicit-def: $vgpr37
	s_and_saveexec_b64 s[4:5], s[16:17]
	s_cbranch_execz .LBB635_195
.LBB635_58:
	v_add_co_u32_e32 v40, vcc, v23, v25
	v_addc_co_u32_e32 v41, vcc, 0, v38, vcc
	flat_load_ushort v37, v[40:41] offset:3072
	s_or_b64 exec, exec, s[4:5]
                                        ; implicit-def: $vgpr39
	s_and_saveexec_b64 s[4:5], s[18:19]
	s_cbranch_execnz .LBB635_196
.LBB635_59:
	s_or_b64 exec, exec, s[4:5]
                                        ; implicit-def: $vgpr40
	s_and_saveexec_b64 s[4:5], s[20:21]
	s_cbranch_execz .LBB635_197
.LBB635_60:
	v_add_co_u32_e32 v40, vcc, v23, v1
	v_addc_co_u32_e32 v41, vcc, 0, v38, vcc
	flat_load_ushort v40, v[40:41]
	s_or_b64 exec, exec, s[4:5]
                                        ; implicit-def: $vgpr1
	s_and_saveexec_b64 s[4:5], s[22:23]
	s_cbranch_execnz .LBB635_198
.LBB635_61:
	s_or_b64 exec, exec, s[4:5]
                                        ; implicit-def: $vgpr2
	s_and_saveexec_b64 s[4:5], s[24:25]
	s_cbranch_execz .LBB635_199
.LBB635_62:
	v_add_co_u32_e32 v2, vcc, v23, v3
	v_addc_co_u32_e32 v3, vcc, 0, v38, vcc
	flat_load_ushort v2, v[2:3]
	s_or_b64 exec, exec, s[4:5]
                                        ; implicit-def: $vgpr3
	s_and_saveexec_b64 s[4:5], s[26:27]
	s_cbranch_execnz .LBB635_200
.LBB635_63:
	s_or_b64 exec, exec, s[4:5]
                                        ; implicit-def: $vgpr4
	s_and_saveexec_b64 s[4:5], s[28:29]
	s_cbranch_execz .LBB635_201
.LBB635_64:
	v_add_co_u32_e32 v4, vcc, v23, v5
	v_addc_co_u32_e32 v5, vcc, 0, v38, vcc
	flat_load_ushort v4, v[4:5]
	s_or_b64 exec, exec, s[4:5]
                                        ; implicit-def: $vgpr5
	s_and_saveexec_b64 s[4:5], s[30:31]
	s_cbranch_execnz .LBB635_202
.LBB635_65:
	s_or_b64 exec, exec, s[4:5]
                                        ; implicit-def: $vgpr20
	s_and_saveexec_b64 s[4:5], s[34:35]
	s_cbranch_execz .LBB635_203
.LBB635_66:
	v_add_co_u32_e32 v20, vcc, v23, v21
	v_addc_co_u32_e32 v21, vcc, 0, v38, vcc
	flat_load_ushort v20, v[20:21]
	s_or_b64 exec, exec, s[4:5]
                                        ; implicit-def: $vgpr21
	s_and_saveexec_b64 s[4:5], s[36:37]
	s_cbranch_execnz .LBB635_204
.LBB635_67:
	s_or_b64 exec, exec, s[4:5]
                                        ; implicit-def: $vgpr22
	s_and_saveexec_b64 s[4:5], s[38:39]
	s_cbranch_execz .LBB635_205
.LBB635_68:
	v_add_co_u32_e32 v46, vcc, v23, v24
	v_addc_co_u32_e32 v47, vcc, 0, v38, vcc
	flat_load_ushort v22, v[46:47]
	s_or_b64 exec, exec, s[4:5]
                                        ; implicit-def: $vgpr24
	s_and_saveexec_b64 s[4:5], s[40:41]
	s_cbranch_execnz .LBB635_206
.LBB635_69:
	s_or_b64 exec, exec, s[4:5]
                                        ; implicit-def: $vgpr26
	s_and_saveexec_b64 s[4:5], s[42:43]
	s_cbranch_execz .LBB635_207
.LBB635_70:
	v_add_co_u32_e32 v26, vcc, v23, v27
	v_addc_co_u32_e32 v27, vcc, 0, v38, vcc
	flat_load_ushort v26, v[26:27]
	s_or_b64 exec, exec, s[4:5]
                                        ; implicit-def: $vgpr27
	s_and_saveexec_b64 s[4:5], s[44:45]
	s_cbranch_execnz .LBB635_208
.LBB635_71:
	s_or_b64 exec, exec, s[4:5]
                                        ; implicit-def: $vgpr28
	s_and_saveexec_b64 s[4:5], s[46:47]
	s_cbranch_execz .LBB635_73
.LBB635_72:
	v_add_co_u32_e32 v28, vcc, v23, v29
	v_addc_co_u32_e32 v29, vcc, 0, v38, vcc
	flat_load_ushort v28, v[28:29]
.LBB635_73:
	s_or_b64 exec, exec, s[4:5]
	v_mul_u32_u24_e32 v46, 22, v0
                                        ; implicit-def: $vgpr29
	s_and_saveexec_b64 s[4:5], s[48:49]
	s_cbranch_execz .LBB635_75
; %bb.74:
	v_add_co_u32_e32 v48, vcc, v23, v30
	v_addc_co_u32_e32 v49, vcc, 0, v38, vcc
	flat_load_ushort v29, v[48:49]
.LBB635_75:
	s_or_b64 exec, exec, s[4:5]
	s_waitcnt vmcnt(0) lgkmcnt(0)
	ds_write_b16 v25, v31
	ds_write_b16 v25, v32 offset:512
	ds_write_b16 v25, v33 offset:1024
	;; [unrolled: 1-line block ×21, first 2 shown]
	v_cmp_gt_u32_e32 vcc, s72, v46
	s_mov_b64 s[4:5], 0
	s_mov_b32 s71, 0
	v_mov_b32_e32 v1, 0
	s_mov_b64 s[10:11], 0
	v_mov_b32_e32 v20, 0
	v_mov_b32_e32 v24, 0
	;; [unrolled: 1-line block ×20, first 2 shown]
	s_waitcnt lgkmcnt(0)
	s_barrier
	s_waitcnt lgkmcnt(0)
                                        ; implicit-def: $sgpr8_sgpr9
                                        ; implicit-def: $vgpr43
	s_and_saveexec_b64 s[6:7], vcc
	s_cbranch_execz .LBB635_119
; %bb.76:
	ds_read_u16 v1, v44
	v_mov_b32_e32 v3, s70
	v_cmp_eq_u16_sdwa vcc, v18, v18 src0_sel:DWORD src1_sel:WORD_1
	v_cmp_ne_u16_sdwa s[8:9], v18, v18 src0_sel:DWORD src1_sel:WORD_1
	v_or_b32_e32 v2, 1, v46
	s_waitcnt lgkmcnt(0)
	v_cndmask_b32_e32 v1, v3, v1, vcc
	v_and_b32_e32 v1, 0xffff, v1
	v_cndmask_b32_e64 v3, 0, 1, s[8:9]
	v_lshl_or_b32 v1, v3, 16, v1
	v_cmp_gt_u32_e32 vcc, s72, v2
	v_mov_b32_e32 v20, 0
	v_mov_b32_e32 v24, 0
	;; [unrolled: 1-line block ×20, first 2 shown]
                                        ; implicit-def: $sgpr12_sgpr13
                                        ; implicit-def: $vgpr43
	s_and_saveexec_b64 s[8:9], vcc
	s_cbranch_execz .LBB635_118
; %bb.77:
	ds_read_b128 v[2:5], v44 offset:2
	v_mov_b32_e32 v20, s70
	v_cmp_eq_u16_sdwa vcc, v18, v19 src0_sel:WORD_1 src1_sel:DWORD
	v_cmp_ne_u16_sdwa s[10:11], v18, v19 src0_sel:WORD_1 src1_sel:DWORD
	v_add_u32_e32 v21, 2, v46
	s_waitcnt lgkmcnt(0)
	v_cndmask_b32_e32 v20, v20, v2, vcc
	v_and_b32_e32 v20, 0xffff, v20
	v_cndmask_b32_e64 v18, 0, 1, s[10:11]
	v_lshl_or_b32 v20, v18, 16, v20
	v_cmp_gt_u32_e32 vcc, s72, v21
	s_mov_b64 s[14:15], 0
	v_mov_b32_e32 v24, 0
	v_mov_b32_e32 v21, 0
	;; [unrolled: 1-line block ×19, first 2 shown]
                                        ; implicit-def: $sgpr12_sgpr13
                                        ; implicit-def: $vgpr43
	s_and_saveexec_b64 s[10:11], vcc
	s_cbranch_execz .LBB635_117
; %bb.78:
	v_lshrrev_b32_e32 v2, 16, v2
	v_mov_b32_e32 v21, s70
	v_cmp_eq_u16_sdwa vcc, v19, v19 src0_sel:DWORD src1_sel:WORD_1
	v_cndmask_b32_e32 v2, v21, v2, vcc
	v_cmp_ne_u16_sdwa s[12:13], v19, v19 src0_sel:DWORD src1_sel:WORD_1
	v_add_u32_e32 v18, 3, v46
	v_and_b32_e32 v2, 0xffff, v2
	v_cndmask_b32_e64 v21, 0, 1, s[12:13]
	v_lshl_or_b32 v24, v21, 16, v2
	v_cmp_gt_u32_e32 vcc, s72, v18
	v_mov_b32_e32 v21, 0
	v_mov_b32_e32 v25, 0
	;; [unrolled: 1-line block ×18, first 2 shown]
                                        ; implicit-def: $sgpr16_sgpr17
                                        ; implicit-def: $vgpr43
	s_and_saveexec_b64 s[12:13], vcc
	s_cbranch_execz .LBB635_116
; %bb.79:
	v_mov_b32_e32 v18, s70
	v_cmp_eq_u16_sdwa vcc, v19, v16 src0_sel:WORD_1 src1_sel:DWORD
	v_cndmask_b32_e32 v18, v18, v3, vcc
	v_cmp_ne_u16_sdwa s[14:15], v19, v16 src0_sel:WORD_1 src1_sel:DWORD
	v_add_u32_e32 v2, 4, v46
	v_and_b32_e32 v18, 0xffff, v18
	v_cndmask_b32_e64 v19, 0, 1, s[14:15]
	v_lshl_or_b32 v21, v19, 16, v18
	v_cmp_gt_u32_e32 vcc, s72, v2
	s_mov_b64 s[18:19], 0
	v_mov_b32_e32 v25, 0
	v_mov_b32_e32 v26, 0
	;; [unrolled: 1-line block ×17, first 2 shown]
                                        ; implicit-def: $sgpr16_sgpr17
                                        ; implicit-def: $vgpr43
	s_and_saveexec_b64 s[14:15], vcc
	s_cbranch_execz .LBB635_115
; %bb.80:
	v_lshrrev_b32_e32 v2, 16, v3
	v_mov_b32_e32 v18, s70
	v_cmp_eq_u16_sdwa vcc, v16, v16 src0_sel:DWORD src1_sel:WORD_1
	v_cndmask_b32_e32 v2, v18, v2, vcc
	v_cmp_ne_u16_sdwa s[16:17], v16, v16 src0_sel:DWORD src1_sel:WORD_1
	v_add_u32_e32 v3, 5, v46
	v_and_b32_e32 v2, 0xffff, v2
	v_cndmask_b32_e64 v18, 0, 1, s[16:17]
	v_lshl_or_b32 v25, v18, 16, v2
	v_cmp_gt_u32_e32 vcc, s72, v3
	v_mov_b32_e32 v26, 0
	v_mov_b32_e32 v27, 0
	;; [unrolled: 1-line block ×16, first 2 shown]
                                        ; implicit-def: $sgpr20_sgpr21
                                        ; implicit-def: $vgpr43
	s_and_saveexec_b64 s[16:17], vcc
	s_cbranch_execz .LBB635_114
; %bb.81:
	v_mov_b32_e32 v3, s70
	v_cmp_eq_u16_sdwa vcc, v16, v17 src0_sel:WORD_1 src1_sel:DWORD
	v_cndmask_b32_e32 v3, v3, v4, vcc
	v_cmp_ne_u16_sdwa s[18:19], v16, v17 src0_sel:WORD_1 src1_sel:DWORD
	v_add_u32_e32 v2, 6, v46
	v_and_b32_e32 v3, 0xffff, v3
	v_cndmask_b32_e64 v16, 0, 1, s[18:19]
	v_lshl_or_b32 v26, v16, 16, v3
	v_cmp_gt_u32_e32 vcc, s72, v2
	s_mov_b64 s[22:23], 0
	v_mov_b32_e32 v27, 0
	v_mov_b32_e32 v28, 0
	v_mov_b32_e32 v29, 0
	v_mov_b32_e32 v30, 0
	v_mov_b32_e32 v31, 0
	v_mov_b32_e32 v32, 0
	v_mov_b32_e32 v33, 0
	v_mov_b32_e32 v34, 0
	v_mov_b32_e32 v35, 0
	v_mov_b32_e32 v36, 0
	v_mov_b32_e32 v37, 0
	v_mov_b32_e32 v22, 0
	v_mov_b32_e32 v39, 0
	v_mov_b32_e32 v40, 0
	v_mov_b32_e32 v41, 0
                                        ; implicit-def: $sgpr20_sgpr21
                                        ; implicit-def: $vgpr43
	s_and_saveexec_b64 s[18:19], vcc
	s_cbranch_execz .LBB635_113
; %bb.82:
	v_lshrrev_b32_e32 v2, 16, v4
	v_mov_b32_e32 v4, s70
	v_cmp_eq_u16_sdwa vcc, v17, v17 src0_sel:DWORD src1_sel:WORD_1
	v_cndmask_b32_e32 v2, v4, v2, vcc
	v_cmp_ne_u16_sdwa s[20:21], v17, v17 src0_sel:DWORD src1_sel:WORD_1
	v_add_u32_e32 v3, 7, v46
	v_and_b32_e32 v2, 0xffff, v2
	v_cndmask_b32_e64 v4, 0, 1, s[20:21]
	v_lshl_or_b32 v27, v4, 16, v2
	v_cmp_gt_u32_e32 vcc, s72, v3
	v_mov_b32_e32 v28, 0
	v_mov_b32_e32 v29, 0
	;; [unrolled: 1-line block ×14, first 2 shown]
                                        ; implicit-def: $sgpr24_sgpr25
                                        ; implicit-def: $vgpr43
	s_and_saveexec_b64 s[20:21], vcc
	s_cbranch_execz .LBB635_112
; %bb.83:
	v_mov_b32_e32 v3, s70
	v_cmp_eq_u16_sdwa vcc, v17, v14 src0_sel:WORD_1 src1_sel:DWORD
	v_cndmask_b32_e32 v3, v3, v5, vcc
	v_cmp_ne_u16_sdwa s[22:23], v17, v14 src0_sel:WORD_1 src1_sel:DWORD
	v_add_u32_e32 v2, 8, v46
	v_and_b32_e32 v3, 0xffff, v3
	v_cndmask_b32_e64 v4, 0, 1, s[22:23]
	v_lshl_or_b32 v28, v4, 16, v3
	v_cmp_gt_u32_e32 vcc, s72, v2
	s_mov_b64 s[26:27], 0
	v_mov_b32_e32 v29, 0
	v_mov_b32_e32 v30, 0
	v_mov_b32_e32 v31, 0
	v_mov_b32_e32 v32, 0
	v_mov_b32_e32 v33, 0
	v_mov_b32_e32 v34, 0
	v_mov_b32_e32 v35, 0
	v_mov_b32_e32 v36, 0
	v_mov_b32_e32 v37, 0
	v_mov_b32_e32 v22, 0
	v_mov_b32_e32 v39, 0
	v_mov_b32_e32 v40, 0
	v_mov_b32_e32 v41, 0
                                        ; implicit-def: $sgpr24_sgpr25
                                        ; implicit-def: $vgpr43
	s_and_saveexec_b64 s[22:23], vcc
	s_cbranch_execz .LBB635_111
; %bb.84:
	v_lshrrev_b32_e32 v2, 16, v5
	v_mov_b32_e32 v4, s70
	v_cmp_eq_u16_sdwa vcc, v14, v14 src0_sel:DWORD src1_sel:WORD_1
	v_cndmask_b32_e32 v2, v4, v2, vcc
	v_cmp_ne_u16_sdwa s[24:25], v14, v14 src0_sel:DWORD src1_sel:WORD_1
	v_add_u32_e32 v3, 9, v46
	v_and_b32_e32 v2, 0xffff, v2
	v_cndmask_b32_e64 v4, 0, 1, s[24:25]
	v_lshl_or_b32 v29, v4, 16, v2
	v_cmp_gt_u32_e32 vcc, s72, v3
	v_mov_b32_e32 v30, 0
	v_mov_b32_e32 v31, 0
	;; [unrolled: 1-line block ×12, first 2 shown]
                                        ; implicit-def: $sgpr28_sgpr29
                                        ; implicit-def: $vgpr43
	s_and_saveexec_b64 s[24:25], vcc
	s_cbranch_execz .LBB635_110
; %bb.85:
	ds_read_b128 v[2:5], v44 offset:18
	v_mov_b32_e32 v17, s70
	v_cmp_eq_u16_sdwa vcc, v14, v15 src0_sel:WORD_1 src1_sel:DWORD
	v_cmp_ne_u16_sdwa s[26:27], v14, v15 src0_sel:WORD_1 src1_sel:DWORD
	v_add_u32_e32 v16, 10, v46
	s_waitcnt lgkmcnt(0)
	v_cndmask_b32_e32 v17, v17, v2, vcc
	v_and_b32_e32 v17, 0xffff, v17
	v_cndmask_b32_e64 v14, 0, 1, s[26:27]
	v_lshl_or_b32 v30, v14, 16, v17
	v_cmp_gt_u32_e32 vcc, s72, v16
	s_mov_b64 s[30:31], 0
	v_mov_b32_e32 v31, 0
	v_mov_b32_e32 v32, 0
	;; [unrolled: 1-line block ×11, first 2 shown]
                                        ; implicit-def: $sgpr28_sgpr29
                                        ; implicit-def: $vgpr43
	s_and_saveexec_b64 s[26:27], vcc
	s_cbranch_execz .LBB635_109
; %bb.86:
	v_lshrrev_b32_e32 v2, 16, v2
	v_mov_b32_e32 v16, s70
	v_cmp_eq_u16_sdwa vcc, v15, v15 src0_sel:DWORD src1_sel:WORD_1
	v_cndmask_b32_e32 v2, v16, v2, vcc
	v_cmp_ne_u16_sdwa s[28:29], v15, v15 src0_sel:DWORD src1_sel:WORD_1
	v_add_u32_e32 v14, 11, v46
	v_and_b32_e32 v2, 0xffff, v2
	v_cndmask_b32_e64 v16, 0, 1, s[28:29]
	v_lshl_or_b32 v31, v16, 16, v2
	v_cmp_gt_u32_e32 vcc, s72, v14
	v_mov_b32_e32 v32, 0
	v_mov_b32_e32 v33, 0
	;; [unrolled: 1-line block ×10, first 2 shown]
                                        ; implicit-def: $sgpr34_sgpr35
                                        ; implicit-def: $vgpr43
	s_and_saveexec_b64 s[28:29], vcc
	s_cbranch_execz .LBB635_108
; %bb.87:
	v_mov_b32_e32 v14, s70
	v_cmp_eq_u16_sdwa vcc, v15, v12 src0_sel:WORD_1 src1_sel:DWORD
	v_cndmask_b32_e32 v14, v14, v3, vcc
	v_cmp_ne_u16_sdwa s[30:31], v15, v12 src0_sel:WORD_1 src1_sel:DWORD
	v_add_u32_e32 v2, 12, v46
	v_and_b32_e32 v14, 0xffff, v14
	v_cndmask_b32_e64 v15, 0, 1, s[30:31]
	v_lshl_or_b32 v32, v15, 16, v14
	v_cmp_gt_u32_e32 vcc, s72, v2
	s_mov_b64 s[36:37], 0
	v_mov_b32_e32 v33, 0
	v_mov_b32_e32 v34, 0
	v_mov_b32_e32 v35, 0
	v_mov_b32_e32 v36, 0
	v_mov_b32_e32 v37, 0
	v_mov_b32_e32 v22, 0
	v_mov_b32_e32 v39, 0
	v_mov_b32_e32 v40, 0
	v_mov_b32_e32 v41, 0
                                        ; implicit-def: $sgpr34_sgpr35
                                        ; implicit-def: $vgpr43
	s_and_saveexec_b64 s[30:31], vcc
	s_cbranch_execz .LBB635_107
; %bb.88:
	v_lshrrev_b32_e32 v2, 16, v3
	v_mov_b32_e32 v14, s70
	v_cmp_eq_u16_sdwa vcc, v12, v12 src0_sel:DWORD src1_sel:WORD_1
	v_cndmask_b32_e32 v2, v14, v2, vcc
	v_cmp_ne_u16_sdwa s[34:35], v12, v12 src0_sel:DWORD src1_sel:WORD_1
	v_add_u32_e32 v3, 13, v46
	v_and_b32_e32 v2, 0xffff, v2
	v_cndmask_b32_e64 v14, 0, 1, s[34:35]
	v_lshl_or_b32 v33, v14, 16, v2
	v_cmp_gt_u32_e32 vcc, s72, v3
	v_mov_b32_e32 v34, 0
	v_mov_b32_e32 v35, 0
	;; [unrolled: 1-line block ×8, first 2 shown]
                                        ; implicit-def: $sgpr38_sgpr39
                                        ; implicit-def: $vgpr43
	s_and_saveexec_b64 s[34:35], vcc
	s_cbranch_execz .LBB635_106
; %bb.89:
	v_mov_b32_e32 v3, s70
	v_cmp_eq_u16_sdwa vcc, v12, v13 src0_sel:WORD_1 src1_sel:DWORD
	v_cndmask_b32_e32 v3, v3, v4, vcc
	v_cmp_ne_u16_sdwa s[36:37], v12, v13 src0_sel:WORD_1 src1_sel:DWORD
	v_add_u32_e32 v2, 14, v46
	v_and_b32_e32 v3, 0xffff, v3
	v_cndmask_b32_e64 v12, 0, 1, s[36:37]
	v_lshl_or_b32 v34, v12, 16, v3
	v_cmp_gt_u32_e32 vcc, s72, v2
	s_mov_b64 s[40:41], 0
	v_mov_b32_e32 v35, 0
	v_mov_b32_e32 v36, 0
	;; [unrolled: 1-line block ×7, first 2 shown]
                                        ; implicit-def: $sgpr38_sgpr39
                                        ; implicit-def: $vgpr43
	s_and_saveexec_b64 s[36:37], vcc
	s_cbranch_execz .LBB635_105
; %bb.90:
	v_lshrrev_b32_e32 v2, 16, v4
	v_mov_b32_e32 v4, s70
	v_cmp_eq_u16_sdwa vcc, v13, v13 src0_sel:DWORD src1_sel:WORD_1
	v_cndmask_b32_e32 v2, v4, v2, vcc
	v_cmp_ne_u16_sdwa s[38:39], v13, v13 src0_sel:DWORD src1_sel:WORD_1
	v_add_u32_e32 v3, 15, v46
	v_and_b32_e32 v2, 0xffff, v2
	v_cndmask_b32_e64 v4, 0, 1, s[38:39]
	v_lshl_or_b32 v35, v4, 16, v2
	v_cmp_gt_u32_e32 vcc, s72, v3
	v_mov_b32_e32 v36, 0
	v_mov_b32_e32 v37, 0
	;; [unrolled: 1-line block ×6, first 2 shown]
                                        ; implicit-def: $sgpr42_sgpr43
                                        ; implicit-def: $vgpr43
	s_and_saveexec_b64 s[38:39], vcc
	s_cbranch_execz .LBB635_104
; %bb.91:
	v_mov_b32_e32 v3, s70
	v_cmp_eq_u16_sdwa vcc, v13, v8 src0_sel:WORD_1 src1_sel:DWORD
	v_cndmask_b32_e32 v3, v3, v5, vcc
	v_cmp_ne_u16_sdwa s[40:41], v13, v8 src0_sel:WORD_1 src1_sel:DWORD
	v_add_u32_e32 v2, 16, v46
	v_and_b32_e32 v3, 0xffff, v3
	v_cndmask_b32_e64 v4, 0, 1, s[40:41]
	v_lshl_or_b32 v36, v4, 16, v3
	v_cmp_gt_u32_e32 vcc, s72, v2
	s_mov_b64 s[44:45], 0
	v_mov_b32_e32 v37, 0
	v_mov_b32_e32 v22, 0
	;; [unrolled: 1-line block ×5, first 2 shown]
                                        ; implicit-def: $sgpr42_sgpr43
                                        ; implicit-def: $vgpr43
	s_and_saveexec_b64 s[40:41], vcc
	s_cbranch_execz .LBB635_103
; %bb.92:
	v_lshrrev_b32_e32 v2, 16, v5
	v_mov_b32_e32 v4, s70
	v_cmp_eq_u16_sdwa vcc, v8, v8 src0_sel:DWORD src1_sel:WORD_1
	v_cndmask_b32_e32 v2, v4, v2, vcc
	v_cmp_ne_u16_sdwa s[42:43], v8, v8 src0_sel:DWORD src1_sel:WORD_1
	v_add_u32_e32 v3, 17, v46
	v_and_b32_e32 v2, 0xffff, v2
	v_cndmask_b32_e64 v4, 0, 1, s[42:43]
	v_lshl_or_b32 v37, v4, 16, v2
	v_cmp_gt_u32_e32 vcc, s72, v3
	v_mov_b32_e32 v22, 0
	v_mov_b32_e32 v39, 0
	;; [unrolled: 1-line block ×4, first 2 shown]
                                        ; implicit-def: $sgpr46_sgpr47
                                        ; implicit-def: $vgpr43
	s_and_saveexec_b64 s[42:43], vcc
	s_cbranch_execz .LBB635_102
; %bb.93:
	ds_read_b64 v[2:3], v44 offset:34
	v_mov_b32_e32 v5, s70
	v_cmp_eq_u16_sdwa vcc, v8, v9 src0_sel:WORD_1 src1_sel:DWORD
	v_cmp_ne_u16_sdwa s[44:45], v8, v9 src0_sel:WORD_1 src1_sel:DWORD
	v_add_u32_e32 v4, 18, v46
	s_waitcnt lgkmcnt(0)
	v_cndmask_b32_e32 v5, v5, v2, vcc
	v_and_b32_e32 v5, 0xffff, v5
	v_cndmask_b32_e64 v8, 0, 1, s[44:45]
	v_lshl_or_b32 v22, v8, 16, v5
	v_cmp_gt_u32_e32 vcc, s72, v4
	s_mov_b64 s[48:49], 0
	v_mov_b32_e32 v39, 0
	v_mov_b32_e32 v40, 0
	;; [unrolled: 1-line block ×3, first 2 shown]
                                        ; implicit-def: $sgpr46_sgpr47
                                        ; implicit-def: $vgpr43
	s_and_saveexec_b64 s[44:45], vcc
	s_cbranch_execz .LBB635_101
; %bb.94:
	v_lshrrev_b32_e32 v2, 16, v2
	v_mov_b32_e32 v5, s70
	v_cmp_eq_u16_sdwa vcc, v9, v9 src0_sel:DWORD src1_sel:WORD_1
	v_cndmask_b32_e32 v2, v5, v2, vcc
	v_cmp_ne_u16_sdwa s[46:47], v9, v9 src0_sel:DWORD src1_sel:WORD_1
	v_add_u32_e32 v4, 19, v46
	v_and_b32_e32 v2, 0xffff, v2
	v_cndmask_b32_e64 v5, 0, 1, s[46:47]
	v_lshl_or_b32 v39, v5, 16, v2
	v_cmp_gt_u32_e32 vcc, s72, v4
	v_mov_b32_e32 v40, 0
	v_mov_b32_e32 v41, 0
                                        ; implicit-def: $sgpr52_sgpr53
                                        ; implicit-def: $vgpr43
	s_and_saveexec_b64 s[46:47], vcc
	s_cbranch_execz .LBB635_100
; %bb.95:
	v_mov_b32_e32 v4, s70
	v_cmp_eq_u16_sdwa vcc, v9, v45 src0_sel:WORD_1 src1_sel:DWORD
	v_cndmask_b32_e32 v4, v4, v3, vcc
	v_cmp_ne_u16_sdwa s[48:49], v9, v45 src0_sel:WORD_1 src1_sel:DWORD
	v_add_u32_e32 v2, 20, v46
	v_and_b32_e32 v4, 0xffff, v4
	v_cndmask_b32_e64 v5, 0, 1, s[48:49]
	v_lshl_or_b32 v40, v5, 16, v4
	v_cmp_gt_u32_e32 vcc, s72, v2
	s_mov_b64 s[56:57], 0
	v_mov_b32_e32 v41, 0
                                        ; implicit-def: $sgpr64_sgpr65
                                        ; implicit-def: $vgpr43
	s_and_saveexec_b64 s[48:49], vcc
	s_cbranch_execz .LBB635_99
; %bb.96:
	v_lshrrev_b32_e32 v2, 16, v3
	v_mov_b32_e32 v4, s70
	v_cmp_eq_u16_sdwa vcc, v45, v45 src0_sel:DWORD src1_sel:WORD_1
	v_cndmask_b32_e32 v2, v4, v2, vcc
	v_cmp_ne_u16_sdwa s[52:53], v45, v45 src0_sel:DWORD src1_sel:WORD_1
	v_add_u32_e32 v3, 21, v46
	v_and_b32_e32 v2, 0xffff, v2
	v_cndmask_b32_e64 v4, 0, 1, s[52:53]
	v_lshl_or_b32 v41, v4, 16, v2
	v_cmp_gt_u32_e32 vcc, s72, v3
	s_mov_b64 s[52:53], 0
                                        ; implicit-def: $sgpr56_sgpr57
                                        ; implicit-def: $vgpr43
	s_and_saveexec_b64 s[64:65], vcc
	s_xor_b64 s[64:65], exec, s[64:65]
	s_cbranch_execz .LBB635_98
; %bb.97:
	ds_read_u16 v2, v44 offset:42
	v_mov_b32_e32 v3, s70
	v_cmp_ne_u16_sdwa vcc, v45, v42 src0_sel:WORD_1 src1_sel:DWORD
	s_mov_b64 s[52:53], exec
	s_and_b64 s[56:57], vcc, exec
	s_waitcnt lgkmcnt(0)
	v_cndmask_b32_e32 v43, v2, v3, vcc
.LBB635_98:
	s_or_b64 exec, exec, s[64:65]
	s_and_b64 s[64:65], s[56:57], exec
	s_and_b64 s[56:57], s[52:53], exec
.LBB635_99:
	s_or_b64 exec, exec, s[48:49]
	s_and_b64 s[52:53], s[64:65], exec
	s_and_b64 s[48:49], s[56:57], exec
.LBB635_100:
	s_or_b64 exec, exec, s[46:47]
	s_and_b64 s[46:47], s[52:53], exec
	s_and_b64 s[48:49], s[48:49], exec
.LBB635_101:
	s_or_b64 exec, exec, s[44:45]
	s_and_b64 s[46:47], s[46:47], exec
	s_and_b64 s[44:45], s[48:49], exec
.LBB635_102:
	s_or_b64 exec, exec, s[42:43]
	s_and_b64 s[42:43], s[46:47], exec
	s_and_b64 s[44:45], s[44:45], exec
.LBB635_103:
	s_or_b64 exec, exec, s[40:41]
	s_and_b64 s[42:43], s[42:43], exec
	s_and_b64 s[40:41], s[44:45], exec
.LBB635_104:
	s_or_b64 exec, exec, s[38:39]
	s_and_b64 s[38:39], s[42:43], exec
	s_and_b64 s[40:41], s[40:41], exec
.LBB635_105:
	s_or_b64 exec, exec, s[36:37]
	s_and_b64 s[38:39], s[38:39], exec
	s_and_b64 s[36:37], s[40:41], exec
.LBB635_106:
	s_or_b64 exec, exec, s[34:35]
	s_and_b64 s[34:35], s[38:39], exec
	s_and_b64 s[36:37], s[36:37], exec
.LBB635_107:
	s_or_b64 exec, exec, s[30:31]
	s_and_b64 s[34:35], s[34:35], exec
	s_and_b64 s[30:31], s[36:37], exec
.LBB635_108:
	s_or_b64 exec, exec, s[28:29]
	s_and_b64 s[28:29], s[34:35], exec
	s_and_b64 s[30:31], s[30:31], exec
.LBB635_109:
	s_or_b64 exec, exec, s[26:27]
	s_and_b64 s[28:29], s[28:29], exec
	s_and_b64 s[26:27], s[30:31], exec
.LBB635_110:
	s_or_b64 exec, exec, s[24:25]
	s_and_b64 s[24:25], s[28:29], exec
	s_and_b64 s[26:27], s[26:27], exec
.LBB635_111:
	s_or_b64 exec, exec, s[22:23]
	s_and_b64 s[24:25], s[24:25], exec
	s_and_b64 s[22:23], s[26:27], exec
.LBB635_112:
	s_or_b64 exec, exec, s[20:21]
	s_and_b64 s[20:21], s[24:25], exec
	s_and_b64 s[22:23], s[22:23], exec
.LBB635_113:
	s_or_b64 exec, exec, s[18:19]
	s_and_b64 s[20:21], s[20:21], exec
	s_and_b64 s[18:19], s[22:23], exec
.LBB635_114:
	s_or_b64 exec, exec, s[16:17]
	s_and_b64 s[16:17], s[20:21], exec
	s_and_b64 s[18:19], s[18:19], exec
.LBB635_115:
	s_or_b64 exec, exec, s[14:15]
	s_and_b64 s[16:17], s[16:17], exec
	s_and_b64 s[14:15], s[18:19], exec
.LBB635_116:
	s_or_b64 exec, exec, s[12:13]
	s_and_b64 s[12:13], s[16:17], exec
	s_and_b64 s[14:15], s[14:15], exec
.LBB635_117:
	s_or_b64 exec, exec, s[10:11]
	s_and_b64 s[12:13], s[12:13], exec
	s_and_b64 s[10:11], s[14:15], exec
.LBB635_118:
	s_or_b64 exec, exec, s[8:9]
	s_and_b64 s[8:9], s[12:13], exec
	s_and_b64 s[10:11], s[10:11], exec
.LBB635_119:
	s_or_b64 exec, exec, s[6:7]
	s_and_b64 vcc, exec, s[4:5]
	v_lshlrev_b32_e32 v42, 1, v0
	s_cbranch_vccnz .LBB635_121
	s_branch .LBB635_126
.LBB635_120:
	s_mov_b64 s[10:11], 0
                                        ; implicit-def: $sgpr8_sgpr9
                                        ; implicit-def: $vgpr43
                                        ; implicit-def: $vgpr1
                                        ; implicit-def: $vgpr20
                                        ; implicit-def: $vgpr24
                                        ; implicit-def: $vgpr21
                                        ; implicit-def: $vgpr25
                                        ; implicit-def: $vgpr26
                                        ; implicit-def: $vgpr27
                                        ; implicit-def: $vgpr28
                                        ; implicit-def: $vgpr29
                                        ; implicit-def: $vgpr30
                                        ; implicit-def: $vgpr31
                                        ; implicit-def: $vgpr32
                                        ; implicit-def: $vgpr33
                                        ; implicit-def: $vgpr34
                                        ; implicit-def: $vgpr35
                                        ; implicit-def: $vgpr36
                                        ; implicit-def: $vgpr37
                                        ; implicit-def: $vgpr22
                                        ; implicit-def: $vgpr39
                                        ; implicit-def: $vgpr40
                                        ; implicit-def: $vgpr41
                                        ; implicit-def: $sgpr71
	s_and_b64 vcc, exec, s[4:5]
	v_lshlrev_b32_e32 v42, 1, v0
	s_cbranch_vccz .LBB635_126
.LBB635_121:
	v_add_co_u32_e32 v2, vcc, v6, v42
	v_addc_co_u32_e32 v3, vcc, 0, v7, vcc
	v_add_co_u32_e32 v4, vcc, 0x1000, v2
	v_addc_co_u32_e32 v5, vcc, 0, v3, vcc
	flat_load_ushort v1, v[2:3]
	flat_load_ushort v8, v[2:3] offset:512
	flat_load_ushort v9, v[2:3] offset:1024
	;; [unrolled: 1-line block ×7, first 2 shown]
	v_add_co_u32_e32 v2, vcc, 0x2000, v2
	v_addc_co_u32_e32 v3, vcc, 0, v3, vcc
	flat_load_ushort v17, v[4:5]
	flat_load_ushort v18, v[4:5] offset:512
	flat_load_ushort v19, v[4:5] offset:1024
	;; [unrolled: 1-line block ×7, first 2 shown]
	s_nop 0
	flat_load_ushort v4, v[2:3]
	flat_load_ushort v5, v[2:3] offset:512
	flat_load_ushort v26, v[2:3] offset:1024
	;; [unrolled: 1-line block ×5, first 2 shown]
	v_add_co_u32_e32 v2, vcc, 0x2000, v6
	v_addc_co_u32_e32 v3, vcc, 0, v7, vcc
	s_movk_i32 s4, 0xffd6
	s_movk_i32 s7, 0x1000
	;; [unrolled: 1-line block ×3, first 2 shown]
	s_waitcnt vmcnt(0) lgkmcnt(0)
	ds_write_b16 v42, v1
	ds_write_b16 v42, v8 offset:512
	ds_write_b16 v42, v9 offset:1024
	;; [unrolled: 1-line block ×21, first 2 shown]
	s_waitcnt lgkmcnt(0)
	s_barrier
	flat_load_ushort v43, v[2:3] offset:3072
	v_mad_u32_u24 v1, v0, 42, v42
	v_mad_i32_i24 v2, v0, s4, v1
	s_movk_i32 s4, 0xff
	v_cmp_ne_u32_e32 vcc, s4, v0
	ds_read2_b32 v[20:21], v1 offset1:1
	ds_read2_b32 v[18:19], v1 offset0:2 offset1:3
	ds_read2_b32 v[16:17], v1 offset0:4 offset1:5
	;; [unrolled: 1-line block ×4, first 2 shown]
	ds_read_b32 v44, v1 offset:40
	s_waitcnt lgkmcnt(0)
	ds_write_b16 v2, v20 offset:11776
	s_waitcnt lgkmcnt(0)
	s_barrier
	s_and_saveexec_b64 s[4:5], vcc
	s_cbranch_execz .LBB635_123
; %bb.122:
	s_waitcnt vmcnt(0)
	ds_read_u16 v43, v42 offset:11778
.LBB635_123:
	s_or_b64 exec, exec, s[4:5]
	v_add_co_u32_e32 v2, vcc, v23, v42
	v_addc_co_u32_e32 v3, vcc, 0, v38, vcc
	v_add_co_u32_e32 v4, vcc, s7, v2
	v_addc_co_u32_e32 v5, vcc, 0, v3, vcc
	s_waitcnt lgkmcnt(0)
	s_barrier
	flat_load_ushort v6, v[2:3]
	flat_load_ushort v7, v[2:3] offset:512
	flat_load_ushort v8, v[2:3] offset:1024
	;; [unrolled: 1-line block ×7, first 2 shown]
	v_add_co_u32_e32 v2, vcc, s6, v2
	v_addc_co_u32_e32 v3, vcc, 0, v3, vcc
	flat_load_ushort v26, v[4:5]
	flat_load_ushort v27, v[4:5] offset:512
	flat_load_ushort v28, v[4:5] offset:1024
	;; [unrolled: 1-line block ×7, first 2 shown]
	s_nop 0
	flat_load_ushort v4, v[2:3]
	flat_load_ushort v5, v[2:3] offset:512
	flat_load_ushort v34, v[2:3] offset:1024
	;; [unrolled: 1-line block ×5, first 2 shown]
	v_cmp_eq_u16_sdwa s[6:7], v20, v20 src0_sel:DWORD src1_sel:WORD_1
	s_waitcnt vmcnt(0) lgkmcnt(0)
	ds_write_b16 v42, v6
	ds_write_b16 v42, v7 offset:512
	ds_write_b16 v42, v8 offset:1024
	;; [unrolled: 1-line block ×21, first 2 shown]
	s_waitcnt lgkmcnt(0)
	s_barrier
	ds_read_b128 v[6:9], v1 offset:2
	ds_read_b128 v[2:5], v1 offset:18
	ds_read_b64 v[22:23], v1 offset:34
	ds_read_u16 v38, v1 offset:42
	v_mov_b32_e32 v24, 0x10000
	v_mov_b32_e32 v25, s70
	s_and_saveexec_b64 s[4:5], s[6:7]
	s_cbranch_execz .LBB635_125
; %bb.124:
	ds_read_u16 v25, v1
	v_mov_b32_e32 v24, 0
.LBB635_125:
	s_or_b64 exec, exec, s[4:5]
	v_mov_b32_e32 v45, s70
	v_cmp_eq_u16_sdwa vcc, v20, v21 src0_sel:WORD_1 src1_sel:DWORD
	s_waitcnt lgkmcnt(3)
	v_lshrrev_b32_e32 v26, 16, v6
	v_cndmask_b32_e32 v6, v45, v6, vcc
	v_cmp_ne_u16_sdwa s[4:5], v20, v21 src0_sel:WORD_1 src1_sel:DWORD
	v_and_b32_e32 v6, 0xffff, v6
	v_cndmask_b32_e64 v20, 0, 1, s[4:5]
	v_cmp_eq_u16_sdwa vcc, v21, v21 src0_sel:DWORD src1_sel:WORD_1
	v_lshl_or_b32 v20, v20, 16, v6
	v_cndmask_b32_e32 v6, v45, v26, vcc
	v_cmp_ne_u16_sdwa s[4:5], v21, v21 src0_sel:DWORD src1_sel:WORD_1
	s_waitcnt lgkmcnt(0)
	v_or_b32_sdwa v1, v24, v25 dst_sel:DWORD dst_unused:UNUSED_PAD src0_sel:DWORD src1_sel:WORD_0
	v_and_b32_e32 v6, 0xffff, v6
	v_cndmask_b32_e64 v24, 0, 1, s[4:5]
	v_cmp_eq_u16_sdwa vcc, v21, v18 src0_sel:WORD_1 src1_sel:DWORD
	v_lshl_or_b32 v24, v24, 16, v6
	v_cndmask_b32_e32 v6, v45, v7, vcc
	v_cmp_ne_u16_sdwa s[4:5], v21, v18 src0_sel:WORD_1 src1_sel:DWORD
	v_lshrrev_b32_e32 v27, 16, v7
	v_and_b32_e32 v6, 0xffff, v6
	v_cndmask_b32_e64 v7, 0, 1, s[4:5]
	v_cmp_eq_u16_sdwa vcc, v18, v18 src0_sel:DWORD src1_sel:WORD_1
	v_lshl_or_b32 v21, v7, 16, v6
	v_cndmask_b32_e32 v6, v45, v27, vcc
	v_cmp_ne_u16_sdwa s[4:5], v18, v18 src0_sel:DWORD src1_sel:WORD_1
	v_and_b32_e32 v6, 0xffff, v6
	v_cndmask_b32_e64 v7, 0, 1, s[4:5]
	v_cmp_eq_u16_sdwa vcc, v18, v19 src0_sel:WORD_1 src1_sel:DWORD
	v_lshl_or_b32 v25, v7, 16, v6
	v_cndmask_b32_e32 v6, v45, v8, vcc
	v_cmp_ne_u16_sdwa s[4:5], v18, v19 src0_sel:WORD_1 src1_sel:DWORD
	v_lshrrev_b32_e32 v28, 16, v8
	v_and_b32_e32 v6, 0xffff, v6
	v_cndmask_b32_e64 v7, 0, 1, s[4:5]
	v_cmp_eq_u16_sdwa vcc, v19, v19 src0_sel:DWORD src1_sel:WORD_1
	v_lshl_or_b32 v26, v7, 16, v6
	v_cndmask_b32_e32 v6, v45, v28, vcc
	v_cmp_ne_u16_sdwa s[4:5], v19, v19 src0_sel:DWORD src1_sel:WORD_1
	;; [unrolled: 13-line block ×3, first 2 shown]
	v_cmp_eq_u16_sdwa vcc, v16, v17 src0_sel:WORD_1 src1_sel:DWORD
	v_lshrrev_b32_e32 v31, 16, v2
	v_and_b32_e32 v6, 0xffff, v6
	v_cndmask_b32_e64 v7, 0, 1, s[4:5]
	v_cndmask_b32_e32 v2, v45, v2, vcc
	v_cmp_ne_u16_sdwa s[4:5], v16, v17 src0_sel:WORD_1 src1_sel:DWORD
	v_lshl_or_b32 v29, v7, 16, v6
	v_and_b32_e32 v2, 0xffff, v2
	v_cndmask_b32_e64 v6, 0, 1, s[4:5]
	v_cmp_eq_u16_sdwa vcc, v17, v17 src0_sel:DWORD src1_sel:WORD_1
	v_lshl_or_b32 v30, v6, 16, v2
	v_cndmask_b32_e32 v2, v45, v31, vcc
	v_cmp_ne_u16_sdwa s[4:5], v17, v17 src0_sel:DWORD src1_sel:WORD_1
	v_and_b32_e32 v2, 0xffff, v2
	v_cndmask_b32_e64 v6, 0, 1, s[4:5]
	v_cmp_eq_u16_sdwa vcc, v17, v14 src0_sel:WORD_1 src1_sel:DWORD
	v_lshl_or_b32 v31, v6, 16, v2
	v_cndmask_b32_e32 v2, v45, v3, vcc
	v_cmp_ne_u16_sdwa s[4:5], v17, v14 src0_sel:WORD_1 src1_sel:DWORD
	v_lshrrev_b32_e32 v33, 16, v3
	v_and_b32_e32 v2, 0xffff, v2
	v_cndmask_b32_e64 v3, 0, 1, s[4:5]
	v_cmp_eq_u16_sdwa vcc, v14, v14 src0_sel:DWORD src1_sel:WORD_1
	v_lshl_or_b32 v32, v3, 16, v2
	v_cndmask_b32_e32 v2, v45, v33, vcc
	v_cmp_ne_u16_sdwa s[4:5], v14, v14 src0_sel:DWORD src1_sel:WORD_1
	v_and_b32_e32 v2, 0xffff, v2
	v_cndmask_b32_e64 v3, 0, 1, s[4:5]
	v_cmp_eq_u16_sdwa vcc, v14, v15 src0_sel:WORD_1 src1_sel:DWORD
	v_lshl_or_b32 v33, v3, 16, v2
	v_cndmask_b32_e32 v2, v45, v4, vcc
	v_cmp_ne_u16_sdwa s[4:5], v14, v15 src0_sel:WORD_1 src1_sel:DWORD
	v_lshrrev_b32_e32 v35, 16, v4
	v_and_b32_e32 v2, 0xffff, v2
	v_cndmask_b32_e64 v3, 0, 1, s[4:5]
	v_cmp_eq_u16_sdwa vcc, v15, v15 src0_sel:DWORD src1_sel:WORD_1
	v_lshl_or_b32 v34, v3, 16, v2
	v_cndmask_b32_e32 v2, v45, v35, vcc
	v_cmp_ne_u16_sdwa s[4:5], v15, v15 src0_sel:DWORD src1_sel:WORD_1
	v_and_b32_e32 v2, 0xffff, v2
	v_cndmask_b32_e64 v3, 0, 1, s[4:5]
	v_cmp_eq_u16_sdwa vcc, v15, v12 src0_sel:WORD_1 src1_sel:DWORD
	v_lshl_or_b32 v35, v3, 16, v2
	v_cndmask_b32_e32 v2, v45, v5, vcc
	v_cmp_ne_u16_sdwa s[4:5], v15, v12 src0_sel:WORD_1 src1_sel:DWORD
	v_lshrrev_b32_e32 v37, 16, v5
	v_and_b32_e32 v2, 0xffff, v2
	v_cndmask_b32_e64 v3, 0, 1, s[4:5]
	v_cmp_eq_u16_sdwa vcc, v12, v12 src0_sel:DWORD src1_sel:WORD_1
	v_lshl_or_b32 v36, v3, 16, v2
	v_cndmask_b32_e32 v2, v45, v37, vcc
	v_cmp_ne_u16_sdwa s[4:5], v12, v12 src0_sel:DWORD src1_sel:WORD_1
	v_and_b32_e32 v2, 0xffff, v2
	v_cndmask_b32_e64 v3, 0, 1, s[4:5]
	v_cmp_eq_u16_sdwa vcc, v12, v13 src0_sel:WORD_1 src1_sel:DWORD
	v_lshl_or_b32 v37, v3, 16, v2
	v_cndmask_b32_e32 v2, v45, v22, vcc
	v_cmp_ne_u16_sdwa s[4:5], v12, v13 src0_sel:WORD_1 src1_sel:DWORD
	v_lshrrev_b32_e32 v39, 16, v22
	v_and_b32_e32 v2, 0xffff, v2
	v_cndmask_b32_e64 v3, 0, 1, s[4:5]
	v_cmp_eq_u16_sdwa vcc, v13, v13 src0_sel:DWORD src1_sel:WORD_1
	v_lshl_or_b32 v22, v3, 16, v2
	v_cndmask_b32_e32 v2, v45, v39, vcc
	v_cmp_ne_u16_sdwa s[4:5], v13, v13 src0_sel:DWORD src1_sel:WORD_1
	v_and_b32_e32 v2, 0xffff, v2
	v_cndmask_b32_e64 v3, 0, 1, s[4:5]
	v_cmp_eq_u16_sdwa vcc, v13, v44 src0_sel:WORD_1 src1_sel:DWORD
	v_lshl_or_b32 v39, v3, 16, v2
	v_cndmask_b32_e32 v2, v45, v23, vcc
	v_cmp_ne_u16_sdwa s[4:5], v13, v44 src0_sel:WORD_1 src1_sel:DWORD
	v_lshrrev_b32_e32 v41, 16, v23
	v_and_b32_e32 v2, 0xffff, v2
	v_cndmask_b32_e64 v3, 0, 1, s[4:5]
	v_cmp_eq_u16_sdwa vcc, v44, v44 src0_sel:DWORD src1_sel:WORD_1
	v_lshl_or_b32 v40, v3, 16, v2
	v_cndmask_b32_e32 v2, v45, v41, vcc
	v_cmp_ne_u16_sdwa s[4:5], v44, v44 src0_sel:DWORD src1_sel:WORD_1
	v_and_b32_e32 v2, 0xffff, v2
	v_cndmask_b32_e64 v3, 0, 1, s[4:5]
	v_cmp_ne_u16_sdwa s[8:9], v44, v43 src0_sel:WORD_1 src1_sel:DWORD
	v_lshl_or_b32 v41, v3, 16, v2
	v_cndmask_b32_e64 v43, v38, v45, s[8:9]
	s_mov_b64 s[10:11], -1
                                        ; implicit-def: $sgpr71
.LBB635_126:
	v_mov_b32_e32 v14, s71
	s_and_saveexec_b64 s[4:5], s[10:11]
; %bb.127:
	v_mov_b32_e32 v2, 0x10000
	v_cndmask_b32_e64 v2, 0, v2, s[8:9]
	v_or_b32_sdwa v14, v2, v43 dst_sel:DWORD dst_unused:UNUSED_PAD src0_sel:DWORD src1_sel:WORD_0
; %bb.128:
	s_or_b64 exec, exec, s[4:5]
	v_or3_b32 v2, v14, v41, v40
	s_cmp_lg_u32 s63, 0
	v_or3_b32 v17, v2, v39, v22
	v_lshrrev_b32_e32 v15, 16, v1
	v_lshrrev_b32_e32 v16, 5, v0
	v_cmp_gt_u32_e32 vcc, 64, v0
	s_barrier
	s_cbranch_scc0 .LBB635_209
; %bb.129:
	s_mov_b32 s4, 0x10000
	v_cmp_gt_u32_e64 s[6:7], s4, v20
	v_cndmask_b32_e64 v2, 1, v1, s[6:7]
	v_mul_lo_u16_e32 v2, v2, v20
	v_cmp_gt_u32_e64 s[8:9], s4, v24
	v_cndmask_b32_e64 v2, 1, v2, s[8:9]
	v_mul_lo_u16_e32 v2, v2, v24
	;; [unrolled: 3-line block ×21, first 2 shown]
	v_or3_b32 v2, v17, v37, v36
	v_or3_b32 v2, v2, v35, v34
	;; [unrolled: 1-line block ×8, first 2 shown]
	v_and_b32_e32 v2, 0x10000, v2
	v_cmp_ne_u32_e64 s[4:5], 0, v2
	v_mov_b32_e32 v5, 0x10000
	v_cndmask_b32_e64 v19, v15, 1, s[4:5]
	v_add_lshl_u32 v2, v16, v0, 2
	ds_write_b16 v2, v18
	ds_write_b8 v2, v19 offset:2
	s_waitcnt lgkmcnt(0)
	s_barrier
	s_and_saveexec_b64 s[48:49], vcc
	s_cbranch_execz .LBB635_143
; %bb.130:
	v_lshlrev_b32_e32 v2, 2, v0
	v_lshrrev_b32_e32 v3, 3, v0
	v_add_lshl_u32 v2, v3, v2, 2
	ds_read_b32 v3, v2
	ds_read_u16 v4, v2 offset:4
	ds_read_u8 v6, v2 offset:6
	ds_read_u16 v7, v2 offset:8
	ds_read_u8 v8, v2 offset:10
	;; [unrolled: 2-line block ×3, first 2 shown]
	v_mov_b32_e32 v13, 0
	s_waitcnt lgkmcnt(4)
	v_cmp_eq_u16_sdwa s[4:5], v6, v13 src0_sel:BYTE_0 src1_sel:DWORD
	v_cndmask_b32_e64 v23, 1, v3, s[4:5]
	v_mul_lo_u16_e32 v23, v23, v4
	s_waitcnt lgkmcnt(2)
	v_cmp_eq_u16_sdwa s[4:5], v8, v13 src0_sel:BYTE_0 src1_sel:DWORD
	s_waitcnt lgkmcnt(0)
	v_or_b32_e32 v8, v12, v8
	v_cndmask_b32_e64 v13, 1, v23, s[4:5]
	v_or_b32_e32 v6, v8, v6
	v_mul_lo_u16_e32 v7, v13, v7
	v_cmp_eq_u16_e64 s[4:5], 0, v12
	v_and_b32_e32 v6, 1, v6
	v_and_b32_e32 v4, 0x10000, v3
	v_cndmask_b32_e64 v13, 1, v7, s[4:5]
	v_cmp_eq_u32_e64 s[4:5], 1, v6
	v_mbcnt_lo_u32_b32 v6, -1, 0
	v_mul_lo_u16_e32 v7, v13, v9
	v_cndmask_b32_e64 v23, v4, v5, s[4:5]
	v_mul_lo_u16_e32 v9, v13, v9
	v_and_b32_e32 v5, 0xff000000, v3
	v_mbcnt_hi_u32_b32 v6, -1, v6
	v_or_b32_e32 v12, v23, v5
	v_and_b32_e32 v13, 15, v6
	v_or3_b32 v9, v5, v9, v23
	s_movk_i32 s56, 0xff
	v_lshrrev_b32_e32 v8, 16, v12
	v_mov_b32_dpp v23, v9 row_shr:1 row_mask:0xf bank_mask:0xf
	v_cmp_ne_u32_e64 s[4:5], 0, v13
	s_and_saveexec_b64 s[52:53], s[4:5]
	s_cbranch_execz .LBB635_132
; %bb.131:
	v_and_b32_sdwa v8, v12, s56 dst_sel:DWORD dst_unused:UNUSED_PAD src0_sel:WORD_1 src1_sel:DWORD
	v_cmp_eq_u16_e64 s[4:5], 0, v8
	v_and_b32_e32 v8, 0x10000, v12
	v_mov_b32_e32 v12, 1
	v_cndmask_b32_e64 v9, 1, v23, s[4:5]
	v_and_b32_sdwa v12, v23, v12 dst_sel:DWORD dst_unused:UNUSED_PAD src0_sel:WORD_1 src1_sel:DWORD
	v_cmp_ne_u32_e64 s[4:5], 0, v8
	v_cndmask_b32_e64 v8, v12, 1, s[4:5]
	v_mul_lo_u16_e32 v38, v9, v7
	v_lshlrev_b32_e32 v12, 16, v8
	v_mul_lo_u16_e32 v7, v9, v7
	v_or3_b32 v9, v12, v7, v5
	v_mov_b32_e32 v7, v38
.LBB635_132:
	s_or_b64 exec, exec, s[52:53]
	v_lshrrev_b32_e32 v12, 16, v9
	v_mov_b32_dpp v23, v9 row_shr:2 row_mask:0xf bank_mask:0xf
	v_cmp_lt_u32_e64 s[4:5], 1, v13
	s_and_saveexec_b64 s[52:53], s[4:5]
	s_cbranch_execz .LBB635_134
; %bb.133:
	v_mov_b32_e32 v8, 0
	v_cmp_eq_u16_sdwa s[4:5], v12, v8 src0_sel:BYTE_0 src1_sel:DWORD
	v_and_b32_e32 v8, 0x10000, v9
	v_mov_b32_e32 v9, 1
	v_cndmask_b32_e64 v12, 1, v23, s[4:5]
	v_and_b32_sdwa v9, v23, v9 dst_sel:DWORD dst_unused:UNUSED_PAD src0_sel:WORD_1 src1_sel:DWORD
	v_cmp_ne_u32_e64 s[4:5], 0, v8
	v_cndmask_b32_e64 v8, v9, 1, s[4:5]
	v_mul_lo_u16_e32 v38, v12, v7
	v_lshlrev_b32_e32 v9, 16, v8
	v_mul_lo_u16_e32 v7, v12, v7
	v_or3_b32 v9, v9, v7, v5
	v_mov_b32_e32 v12, v8
	v_mov_b32_e32 v7, v38
.LBB635_134:
	s_or_b64 exec, exec, s[52:53]
	v_mov_b32_dpp v23, v9 row_shr:4 row_mask:0xf bank_mask:0xf
	v_cmp_lt_u32_e64 s[4:5], 3, v13
	s_and_saveexec_b64 s[52:53], s[4:5]
	s_cbranch_execz .LBB635_136
; %bb.135:
	v_mov_b32_e32 v8, 0
	v_cmp_eq_u16_sdwa s[4:5], v12, v8 src0_sel:BYTE_0 src1_sel:DWORD
	v_and_b32_e32 v8, 1, v12
	v_mov_b32_e32 v12, 1
	v_cndmask_b32_e64 v9, 1, v23, s[4:5]
	v_and_b32_sdwa v12, v23, v12 dst_sel:DWORD dst_unused:UNUSED_PAD src0_sel:WORD_1 src1_sel:DWORD
	v_cmp_eq_u32_e64 s[4:5], 1, v8
	v_cndmask_b32_e64 v8, v12, 1, s[4:5]
	v_mul_lo_u16_e32 v38, v9, v7
	v_lshlrev_b32_e32 v12, 16, v8
	v_mul_lo_u16_e32 v7, v9, v7
	v_or3_b32 v9, v12, v7, v5
	v_mov_b32_e32 v12, v8
	v_mov_b32_e32 v7, v38
.LBB635_136:
	s_or_b64 exec, exec, s[52:53]
	v_mov_b32_dpp v23, v9 row_shr:8 row_mask:0xf bank_mask:0xf
	v_cmp_lt_u32_e64 s[4:5], 7, v13
	s_and_saveexec_b64 s[52:53], s[4:5]
	s_cbranch_execz .LBB635_138
; %bb.137:
	v_mov_b32_e32 v8, 0
	v_cmp_eq_u16_sdwa s[4:5], v12, v8 src0_sel:BYTE_0 src1_sel:DWORD
	v_and_b32_e32 v8, 1, v12
	v_mov_b32_e32 v12, 1
	v_cndmask_b32_e64 v9, 1, v23, s[4:5]
	v_and_b32_sdwa v12, v23, v12 dst_sel:DWORD dst_unused:UNUSED_PAD src0_sel:WORD_1 src1_sel:DWORD
	v_cmp_eq_u32_e64 s[4:5], 1, v8
	v_cndmask_b32_e64 v8, v12, 1, s[4:5]
	v_mul_lo_u16_e32 v13, v9, v7
	v_lshlrev_b32_e32 v12, 16, v8
	v_mul_lo_u16_e32 v7, v9, v7
	v_or3_b32 v9, v12, v7, v5
	v_mov_b32_e32 v12, v8
	v_mov_b32_e32 v7, v13
.LBB635_138:
	s_or_b64 exec, exec, s[52:53]
	v_and_b32_e32 v23, 16, v6
	v_mov_b32_dpp v13, v9 row_bcast:15 row_mask:0xf bank_mask:0xf
	v_cmp_ne_u32_e64 s[4:5], 0, v23
	s_and_saveexec_b64 s[52:53], s[4:5]
	s_cbranch_execz .LBB635_140
; %bb.139:
	v_mov_b32_e32 v8, 0
	v_cmp_eq_u16_sdwa s[4:5], v12, v8 src0_sel:BYTE_0 src1_sel:DWORD
	v_and_b32_e32 v8, 1, v12
	v_mov_b32_e32 v12, 1
	v_cndmask_b32_e64 v9, 1, v13, s[4:5]
	v_and_b32_sdwa v12, v13, v12 dst_sel:DWORD dst_unused:UNUSED_PAD src0_sel:WORD_1 src1_sel:DWORD
	v_cmp_eq_u32_e64 s[4:5], 1, v8
	v_cndmask_b32_e64 v8, v12, 1, s[4:5]
	v_mul_lo_u16_e32 v23, v9, v7
	v_lshlrev_b32_e32 v12, 16, v8
	v_mul_lo_u16_e32 v7, v9, v7
	v_or3_b32 v9, v12, v7, v5
	v_mov_b32_e32 v12, v8
	v_mov_b32_e32 v7, v23
.LBB635_140:
	s_or_b64 exec, exec, s[52:53]
	v_mov_b32_dpp v9, v9 row_bcast:31 row_mask:0xf bank_mask:0xf
	v_cmp_lt_u32_e64 s[4:5], 31, v6
	s_and_saveexec_b64 s[52:53], s[4:5]
; %bb.141:
	v_mov_b32_e32 v8, 0
	v_cmp_eq_u16_sdwa s[4:5], v12, v8 src0_sel:BYTE_0 src1_sel:DWORD
	v_cndmask_b32_e64 v8, 1, v9, s[4:5]
	v_mul_lo_u16_e32 v7, v8, v7
	v_and_b32_e32 v8, 1, v12
	v_mov_b32_e32 v12, 1
	v_and_b32_sdwa v9, v9, v12 dst_sel:DWORD dst_unused:UNUSED_PAD src0_sel:WORD_1 src1_sel:DWORD
	v_cmp_eq_u32_e64 s[4:5], 1, v8
	v_cndmask_b32_e64 v8, v9, 1, s[4:5]
; %bb.142:
	s_or_b64 exec, exec, s[52:53]
	v_and_b32_e32 v8, 0xff, v8
	v_lshlrev_b32_e32 v8, 16, v8
	v_and_b32_e32 v7, 0xffff, v7
	v_or3_b32 v5, v8, v7, v5
	v_add_u32_e32 v7, -1, v6
	v_and_b32_e32 v8, 64, v6
	v_cmp_lt_i32_e64 s[4:5], v7, v8
	v_cndmask_b32_e64 v6, v7, v6, s[4:5]
	v_lshlrev_b32_e32 v6, 2, v6
	ds_bpermute_b32 v5, v6, v5
	v_and_b32_e32 v6, 0xff0000, v3
	v_cmp_eq_u32_e64 s[4:5], 0, v6
	; wave barrier
	s_waitcnt lgkmcnt(0)
	v_cndmask_b32_e64 v6, 1, v5, s[4:5]
	v_mul_lo_u16_e32 v3, v6, v3
	v_mov_b32_e32 v6, 1
	v_and_b32_sdwa v5, v5, v6 dst_sel:DWORD dst_unused:UNUSED_PAD src0_sel:WORD_1 src1_sel:DWORD
	v_cmp_eq_u32_e64 s[4:5], 0, v4
	v_cndmask_b32_e64 v4, 1, v5, s[4:5]
	v_cndmask_b32_e64 v3, v3, v18, s[0:1]
	;; [unrolled: 1-line block ×3, first 2 shown]
	ds_write_b16 v2, v3
	ds_write_b8 v2, v4 offset:2
	; wave barrier
	ds_read_u16 v5, v2 offset:4
	ds_read_u8 v6, v2 offset:6
	ds_read_u16 v7, v2 offset:8
	ds_read_u8 v8, v2 offset:10
	;; [unrolled: 2-line block ×3, first 2 shown]
	s_waitcnt lgkmcnt(4)
	v_cmp_eq_u16_e64 s[4:5], 0, v6
	v_cndmask_b32_e64 v3, 1, v3, s[4:5]
	v_mul_lo_u16_e32 v3, v3, v5
	v_and_b32_e32 v5, 1, v6
	v_cmp_eq_u32_e64 s[4:5], 1, v5
	v_cndmask_b32_e64 v4, v4, 1, s[4:5]
	s_waitcnt lgkmcnt(2)
	v_cmp_eq_u16_e64 s[4:5], 0, v8
	v_and_b32_e32 v5, 1, v8
	ds_write_b16 v2, v3 offset:4
	ds_write_b8 v2, v4 offset:6
	v_cndmask_b32_e64 v3, 1, v3, s[4:5]
	v_cmp_eq_u32_e64 s[4:5], 1, v5
	v_mul_lo_u16_e32 v3, v3, v7
	v_cndmask_b32_e64 v4, v4, 1, s[4:5]
	s_waitcnt lgkmcnt(2)
	v_cmp_eq_u16_e64 s[4:5], 0, v12
	ds_write_b16 v2, v3 offset:8
	ds_write_b8 v2, v4 offset:10
	v_cndmask_b32_e64 v3, 1, v3, s[4:5]
	v_and_b32_e32 v5, 1, v12
	v_mul_lo_u16_e32 v3, v3, v9
	v_cmp_eq_u32_e64 s[4:5], 1, v5
	v_cndmask_b32_e64 v4, v4, 1, s[4:5]
	ds_write_b16 v2, v3 offset:12
	ds_write_b8 v2, v4 offset:14
.LBB635_143:
	s_or_b64 exec, exec, s[48:49]
	s_waitcnt lgkmcnt(0)
	s_barrier
	s_and_saveexec_b64 s[4:5], s[50:51]
	s_cbranch_execz .LBB635_145
; %bb.144:
	v_add_u32_e32 v2, -1, v0
	v_lshrrev_b32_e32 v3, 5, v2
	v_add_lshl_u32 v2, v3, v2, 2
	ds_read_u16 v18, v2
	ds_read_u8 v19, v2 offset:2
.LBB635_145:
	s_or_b64 exec, exec, s[4:5]
	s_and_saveexec_b64 s[4:5], vcc
	s_cbranch_execz .LBB635_188
; %bb.146:
	v_mov_b32_e32 v9, 0
	ds_read_b32 v2, v9 offset:1048
	v_mbcnt_lo_u32_b32 v3, -1, 0
	v_mbcnt_hi_u32_b32 v5, -1, v3
	s_mov_b32 s57, 0
	v_cmp_eq_u32_e64 s[48:49], 0, v5
	s_and_saveexec_b64 s[52:53], s[48:49]
	s_cbranch_execz .LBB635_148
; %bb.147:
	s_add_i32 s56, s63, 64
	s_lshl_b64 s[56:57], s[56:57], 3
	s_add_u32 s56, s60, s56
	v_mov_b32_e32 v3, 1
	s_addc_u32 s57, s61, s57
	s_waitcnt lgkmcnt(0)
	global_store_dwordx2 v9, v[2:3], s[56:57]
.LBB635_148:
	s_or_b64 exec, exec, s[52:53]
	v_xad_u32 v4, v5, -1, s63
	v_add_u32_e32 v8, 64, v4
	v_lshlrev_b64 v[6:7], 3, v[8:9]
	v_mov_b32_e32 v3, s61
	v_add_co_u32_e32 v12, vcc, s60, v6
	v_addc_co_u32_e32 v13, vcc, v3, v7, vcc
	global_load_dwordx2 v[6:7], v[12:13], off glc
	s_waitcnt vmcnt(0)
	v_cmp_eq_u16_sdwa s[56:57], v7, v9 src0_sel:BYTE_0 src1_sel:DWORD
	s_and_saveexec_b64 s[52:53], s[56:57]
	s_cbranch_execz .LBB635_152
; %bb.149:
	s_mov_b64 s[56:57], 0
	v_mov_b32_e32 v3, 0
.LBB635_150:                            ; =>This Inner Loop Header: Depth=1
	global_load_dwordx2 v[6:7], v[12:13], off glc
	s_waitcnt vmcnt(0)
	v_cmp_ne_u16_sdwa s[64:65], v7, v3 src0_sel:BYTE_0 src1_sel:DWORD
	s_or_b64 s[56:57], s[64:65], s[56:57]
	s_andn2_b64 exec, exec, s[56:57]
	s_cbranch_execnz .LBB635_150
; %bb.151:
	s_or_b64 exec, exec, s[56:57]
.LBB635_152:
	s_or_b64 exec, exec, s[52:53]
	v_mov_b32_e32 v3, 2
	v_cmp_eq_u16_sdwa s[52:53], v7, v3 src0_sel:BYTE_0 src1_sel:DWORD
	v_lshlrev_b64 v[8:9], v5, -1
	v_and_b32_e32 v3, s53, v9
	v_or_b32_e32 v3, 0x80000000, v3
	v_ffbl_b32_e32 v3, v3
	v_add_u32_e32 v13, 32, v3
	v_and_b32_e32 v3, 63, v5
	v_cmp_ne_u32_e32 vcc, 63, v3
	v_addc_co_u32_e32 v23, vcc, 0, v5, vcc
	v_and_b32_e32 v52, 0xffffff, v6
	v_lshlrev_b32_e32 v23, 2, v23
	ds_bpermute_b32 v38, v23, v52
	v_and_b32_e32 v12, s52, v8
	v_ffbl_b32_e32 v12, v12
	v_min_u32_e32 v13, v12, v13
	v_lshrrev_b32_e32 v12, 16, v6
	v_cmp_lt_u32_e32 vcc, v3, v13
	v_bfe_u32 v50, v6, 16, 8
	s_and_saveexec_b64 s[52:53], vcc
	s_cbranch_execz .LBB635_154
; %bb.153:
	v_and_b32_e32 v12, 0xff0000, v6
	v_cmp_eq_u32_e32 vcc, 0, v12
	v_and_b32_e32 v12, 0x10000, v12
	v_mov_b32_e32 v45, 1
	s_waitcnt lgkmcnt(0)
	v_cndmask_b32_e32 v43, 1, v38, vcc
	v_and_b32_sdwa v38, v38, v45 dst_sel:DWORD dst_unused:UNUSED_PAD src0_sel:WORD_1 src1_sel:DWORD
	v_cmp_ne_u32_e32 vcc, 0, v12
	v_cndmask_b32_e64 v12, v38, 1, vcc
	v_mul_lo_u16_e32 v44, v43, v6
	v_lshlrev_b32_e32 v38, 16, v12
	v_mul_lo_u16_e32 v6, v43, v6
	v_or_b32_e32 v52, v38, v6
	v_mov_b32_e32 v6, v44
	v_mov_b32_e32 v50, v12
.LBB635_154:
	s_or_b64 exec, exec, s[52:53]
	v_cmp_gt_u32_e32 vcc, 62, v3
	s_waitcnt lgkmcnt(0)
	v_cndmask_b32_e64 v38, 0, 1, vcc
	v_lshlrev_b32_e32 v38, 1, v38
	v_add_lshl_u32 v38, v38, v5, 2
	ds_bpermute_b32 v44, v38, v52
	v_add_u32_e32 v43, 2, v3
	v_cmp_le_u32_e32 vcc, v43, v13
	s_and_saveexec_b64 s[52:53], vcc
	s_cbranch_execz .LBB635_156
; %bb.155:
	v_cmp_eq_u16_e32 vcc, 0, v50
	v_and_b32_e32 v12, 1, v50
	v_mov_b32_e32 v47, 1
	s_waitcnt lgkmcnt(0)
	v_cndmask_b32_e32 v45, 1, v44, vcc
	v_and_b32_sdwa v44, v44, v47 dst_sel:DWORD dst_unused:UNUSED_PAD src0_sel:WORD_1 src1_sel:DWORD
	v_cmp_eq_u32_e32 vcc, 1, v12
	v_cndmask_b32_e64 v12, v44, 1, vcc
	v_mul_lo_u16_e32 v46, v45, v6
	v_lshlrev_b32_e32 v44, 16, v12
	v_mul_lo_u16_e32 v6, v45, v6
	v_or_b32_e32 v52, v44, v6
	v_mov_b32_e32 v6, v46
	v_mov_b32_e32 v50, v12
.LBB635_156:
	s_or_b64 exec, exec, s[52:53]
	v_cmp_gt_u32_e32 vcc, 60, v3
	s_waitcnt lgkmcnt(0)
	v_cndmask_b32_e64 v44, 0, 1, vcc
	v_lshlrev_b32_e32 v44, 2, v44
	v_add_lshl_u32 v44, v44, v5, 2
	ds_bpermute_b32 v46, v44, v52
	v_add_u32_e32 v45, 4, v3
	v_cmp_le_u32_e32 vcc, v45, v13
	s_and_saveexec_b64 s[52:53], vcc
	s_cbranch_execz .LBB635_158
; %bb.157:
	v_cmp_eq_u16_e32 vcc, 0, v50
	v_and_b32_e32 v12, 1, v50
	v_mov_b32_e32 v49, 1
	s_waitcnt lgkmcnt(0)
	v_cndmask_b32_e32 v47, 1, v46, vcc
	v_and_b32_sdwa v46, v46, v49 dst_sel:DWORD dst_unused:UNUSED_PAD src0_sel:WORD_1 src1_sel:DWORD
	v_cmp_eq_u32_e32 vcc, 1, v12
	v_cndmask_b32_e64 v12, v46, 1, vcc
	v_mul_lo_u16_e32 v48, v47, v6
	v_lshlrev_b32_e32 v46, 16, v12
	v_mul_lo_u16_e32 v6, v47, v6
	v_or_b32_e32 v52, v46, v6
	v_mov_b32_e32 v6, v48
	v_mov_b32_e32 v50, v12
.LBB635_158:
	;; [unrolled: 27-line block ×4, first 2 shown]
	s_or_b64 exec, exec, s[52:53]
	v_cmp_gt_u32_e32 vcc, 32, v3
	s_waitcnt lgkmcnt(0)
	v_cndmask_b32_e64 v51, 0, 1, vcc
	v_lshlrev_b32_e32 v51, 5, v51
	v_add_lshl_u32 v51, v51, v5, 2
	ds_bpermute_b32 v5, v51, v52
	v_add_u32_e32 v52, 32, v3
	v_cmp_le_u32_e32 vcc, v52, v13
	s_and_saveexec_b64 s[52:53], vcc
	s_cbranch_execz .LBB635_164
; %bb.163:
	v_cmp_eq_u16_e32 vcc, 0, v50
	s_waitcnt lgkmcnt(0)
	v_cndmask_b32_e32 v12, 1, v5, vcc
	v_mul_lo_u16_e32 v6, v12, v6
	v_and_b32_e32 v12, 1, v50
	v_mov_b32_e32 v13, 1
	v_and_b32_sdwa v5, v5, v13 dst_sel:DWORD dst_unused:UNUSED_PAD src0_sel:WORD_1 src1_sel:DWORD
	v_cmp_eq_u32_e32 vcc, 1, v12
	v_cndmask_b32_e64 v12, v5, 1, vcc
.LBB635_164:
	s_or_b64 exec, exec, s[52:53]
	s_waitcnt lgkmcnt(0)
	v_mov_b32_e32 v5, 0
	v_mov_b32_e32 v54, 2
	;; [unrolled: 1-line block ×3, first 2 shown]
	s_branch .LBB635_166
.LBB635_165:                            ;   in Loop: Header=BB635_166 Depth=1
	s_or_b64 exec, exec, s[52:53]
	v_cmp_eq_u16_sdwa vcc, v50, v5 src0_sel:BYTE_0 src1_sel:DWORD
	v_and_b32_e32 v12, 1, v50
	v_cndmask_b32_e32 v6, 1, v6, vcc
	v_and_b32_e32 v13, 1, v13
	v_cmp_eq_u32_e32 vcc, 1, v12
	v_subrev_u32_e32 v4, 64, v4
	v_mul_lo_u16_e32 v6, v6, v53
	v_cndmask_b32_e64 v12, v13, 1, vcc
.LBB635_166:                            ; =>This Loop Header: Depth=1
                                        ;     Child Loop BB635_169 Depth 2
	v_cmp_ne_u16_sdwa s[52:53], v7, v54 src0_sel:BYTE_0 src1_sel:DWORD
	v_cndmask_b32_e64 v7, 0, 1, s[52:53]
	;;#ASMSTART
	;;#ASMEND
	v_cmp_ne_u32_e32 vcc, 0, v7
	v_mov_b32_e32 v50, v12
	s_cmp_lg_u64 vcc, exec
	v_mov_b32_e32 v53, v6
	s_cbranch_scc1 .LBB635_183
; %bb.167:                              ;   in Loop: Header=BB635_166 Depth=1
	v_lshlrev_b64 v[6:7], 3, v[4:5]
	v_mov_b32_e32 v13, s61
	v_add_co_u32_e32 v12, vcc, s60, v6
	v_addc_co_u32_e32 v13, vcc, v13, v7, vcc
	global_load_dwordx2 v[6:7], v[12:13], off glc
	s_waitcnt vmcnt(0)
	v_cmp_eq_u16_sdwa s[56:57], v7, v5 src0_sel:BYTE_0 src1_sel:DWORD
	s_and_saveexec_b64 s[52:53], s[56:57]
	s_cbranch_execz .LBB635_171
; %bb.168:                              ;   in Loop: Header=BB635_166 Depth=1
	s_mov_b64 s[56:57], 0
.LBB635_169:                            ;   Parent Loop BB635_166 Depth=1
                                        ; =>  This Inner Loop Header: Depth=2
	global_load_dwordx2 v[6:7], v[12:13], off glc
	s_waitcnt vmcnt(0)
	v_cmp_ne_u16_sdwa s[64:65], v7, v5 src0_sel:BYTE_0 src1_sel:DWORD
	s_or_b64 s[56:57], s[64:65], s[56:57]
	s_andn2_b64 exec, exec, s[56:57]
	s_cbranch_execnz .LBB635_169
; %bb.170:                              ;   in Loop: Header=BB635_166 Depth=1
	s_or_b64 exec, exec, s[56:57]
.LBB635_171:                            ;   in Loop: Header=BB635_166 Depth=1
	s_or_b64 exec, exec, s[52:53]
	v_cmp_eq_u16_sdwa s[52:53], v7, v54 src0_sel:BYTE_0 src1_sel:DWORD
	v_and_b32_e32 v12, s53, v9
	s_waitcnt lgkmcnt(0)
	v_and_b32_e32 v57, 0xffffff, v6
	v_or_b32_e32 v12, 0x80000000, v12
	ds_bpermute_b32 v58, v23, v57
	v_and_b32_e32 v13, s52, v8
	v_ffbl_b32_e32 v12, v12
	v_add_u32_e32 v12, 32, v12
	v_ffbl_b32_e32 v13, v13
	v_min_u32_e32 v12, v13, v12
	v_lshrrev_b32_e32 v13, 16, v6
	v_cmp_lt_u32_e32 vcc, v3, v12
	v_bfe_u32 v56, v6, 16, 8
	s_and_saveexec_b64 s[52:53], vcc
	s_cbranch_execz .LBB635_173
; %bb.172:                              ;   in Loop: Header=BB635_166 Depth=1
	v_and_b32_e32 v13, 0xff0000, v6
	v_cmp_eq_u32_e32 vcc, 0, v13
	v_and_b32_e32 v13, 0x10000, v13
	s_waitcnt lgkmcnt(0)
	v_cndmask_b32_e32 v56, 1, v58, vcc
	v_and_b32_sdwa v57, v58, v55 dst_sel:DWORD dst_unused:UNUSED_PAD src0_sel:WORD_1 src1_sel:DWORD
	v_cmp_ne_u32_e32 vcc, 0, v13
	v_cndmask_b32_e64 v13, v57, 1, vcc
	v_mul_lo_u16_e32 v59, v56, v6
	v_lshlrev_b32_e32 v57, 16, v13
	v_mul_lo_u16_e32 v6, v56, v6
	v_or_b32_e32 v57, v57, v6
	v_mov_b32_e32 v6, v59
	v_mov_b32_e32 v56, v13
.LBB635_173:                            ;   in Loop: Header=BB635_166 Depth=1
	s_or_b64 exec, exec, s[52:53]
	s_waitcnt lgkmcnt(0)
	ds_bpermute_b32 v58, v38, v57
	v_cmp_le_u32_e32 vcc, v43, v12
	s_and_saveexec_b64 s[52:53], vcc
	s_cbranch_execz .LBB635_175
; %bb.174:                              ;   in Loop: Header=BB635_166 Depth=1
	v_cmp_eq_u16_e32 vcc, 0, v56
	v_and_b32_e32 v13, 1, v56
	s_waitcnt lgkmcnt(0)
	v_cndmask_b32_e32 v57, 1, v58, vcc
	v_and_b32_sdwa v56, v58, v55 dst_sel:DWORD dst_unused:UNUSED_PAD src0_sel:WORD_1 src1_sel:DWORD
	v_cmp_eq_u32_e32 vcc, 1, v13
	v_cndmask_b32_e64 v13, v56, 1, vcc
	v_mul_lo_u16_e32 v59, v57, v6
	v_lshlrev_b32_e32 v56, 16, v13
	v_mul_lo_u16_e32 v6, v57, v6
	v_or_b32_e32 v57, v56, v6
	v_mov_b32_e32 v6, v59
	v_mov_b32_e32 v56, v13
.LBB635_175:                            ;   in Loop: Header=BB635_166 Depth=1
	s_or_b64 exec, exec, s[52:53]
	s_waitcnt lgkmcnt(0)
	ds_bpermute_b32 v58, v44, v57
	v_cmp_le_u32_e32 vcc, v45, v12
	s_and_saveexec_b64 s[52:53], vcc
	s_cbranch_execz .LBB635_177
; %bb.176:                              ;   in Loop: Header=BB635_166 Depth=1
	v_cmp_eq_u16_e32 vcc, 0, v56
	v_and_b32_e32 v13, 1, v56
	s_waitcnt lgkmcnt(0)
	v_cndmask_b32_e32 v57, 1, v58, vcc
	v_and_b32_sdwa v56, v58, v55 dst_sel:DWORD dst_unused:UNUSED_PAD src0_sel:WORD_1 src1_sel:DWORD
	v_cmp_eq_u32_e32 vcc, 1, v13
	v_cndmask_b32_e64 v13, v56, 1, vcc
	v_mul_lo_u16_e32 v59, v57, v6
	v_lshlrev_b32_e32 v56, 16, v13
	v_mul_lo_u16_e32 v6, v57, v6
	v_or_b32_e32 v57, v56, v6
	v_mov_b32_e32 v6, v59
	v_mov_b32_e32 v56, v13
.LBB635_177:                            ;   in Loop: Header=BB635_166 Depth=1
	;; [unrolled: 21-line block ×4, first 2 shown]
	s_or_b64 exec, exec, s[52:53]
	ds_bpermute_b32 v57, v51, v57
	v_cmp_le_u32_e32 vcc, v52, v12
	s_and_saveexec_b64 s[52:53], vcc
	s_cbranch_execz .LBB635_165
; %bb.182:                              ;   in Loop: Header=BB635_166 Depth=1
	v_cmp_eq_u16_e32 vcc, 0, v56
	s_waitcnt lgkmcnt(0)
	v_cndmask_b32_e32 v12, 1, v57, vcc
	v_mul_lo_u16_e32 v6, v12, v6
	v_and_b32_e32 v12, 1, v56
	v_lshrrev_b32_e32 v13, 16, v57
	v_cmp_eq_u32_e32 vcc, 1, v12
	v_cndmask_b32_e64 v13, v13, 1, vcc
	s_branch .LBB635_165
.LBB635_183:                            ;   in Loop: Header=BB635_166 Depth=1
                                        ; implicit-def: $vgpr12
                                        ; implicit-def: $vgpr6
	s_cbranch_execz .LBB635_166
; %bb.184:
	s_and_saveexec_b64 s[52:53], s[48:49]
	s_cbranch_execz .LBB635_186
; %bb.185:
	v_and_b32_e32 v3, 0xff0000, v2
	s_mov_b32 s49, 0
	v_cmp_eq_u32_e32 vcc, 0, v3
	v_and_b32_e32 v4, 0x10000, v2
	v_mov_b32_e32 v5, 1
	s_add_i32 s48, s63, 64
	v_cndmask_b32_e32 v3, 1, v53, vcc
	v_and_b32_sdwa v5, v50, v5 dst_sel:WORD_1 dst_unused:UNUSED_PAD src0_sel:DWORD src1_sel:DWORD
	v_mov_b32_e32 v6, 0x10000
	v_cmp_eq_u32_e32 vcc, 0, v4
	s_lshl_b64 s[48:49], s[48:49], 3
	v_cndmask_b32_e32 v4, v6, v5, vcc
	s_add_u32 s48, s60, s48
	v_mul_lo_u16_e32 v2, v3, v2
	s_addc_u32 s49, s61, s49
	v_mov_b32_e32 v5, 0
	v_or_b32_e32 v2, v4, v2
	v_mov_b32_e32 v3, 2
	global_store_dwordx2 v5, v[2:3], s[48:49]
.LBB635_186:
	s_or_b64 exec, exec, s[52:53]
	s_and_b64 exec, exec, s[0:1]
	s_cbranch_execz .LBB635_188
; %bb.187:
	v_mov_b32_e32 v2, 0
	ds_write_b16 v2, v53
	ds_write_b8 v2, v50 offset:2
.LBB635_188:
	s_or_b64 exec, exec, s[4:5]
	v_mov_b32_e32 v2, 0
	s_waitcnt lgkmcnt(0)
	s_barrier
	ds_read_b32 v3, v2
	v_cmp_eq_u16_sdwa vcc, v19, v2 src0_sel:BYTE_0 src1_sel:DWORD
	s_waitcnt lgkmcnt(0)
	v_cndmask_b32_e32 v2, 1, v3, vcc
	v_mul_lo_u16_e32 v2, v2, v18
	v_cndmask_b32_e64 v4, v2, v3, s[0:1]
	v_and_b32_e32 v2, 0xff0000, v1
	v_cmp_eq_u32_e32 vcc, 0, v2
	v_cndmask_b32_e32 v2, 1, v4, vcc
	v_mul_lo_u16_e32 v5, v2, v1
	v_cndmask_b32_e64 v2, 1, v5, s[6:7]
	v_mul_lo_u16_e32 v6, v2, v20
	v_cndmask_b32_e64 v2, 1, v6, s[8:9]
	v_mul_lo_u16_e32 v7, v2, v24
	v_cndmask_b32_e64 v2, 1, v7, s[10:11]
	v_mul_lo_u16_e32 v8, v2, v21
	v_cndmask_b32_e64 v2, 1, v8, s[12:13]
	v_mul_lo_u16_e32 v9, v2, v25
	v_cndmask_b32_e64 v2, 1, v9, s[14:15]
	v_mul_lo_u16_e32 v12, v2, v26
	v_cndmask_b32_e64 v2, 1, v12, s[16:17]
	v_mul_lo_u16_e32 v13, v2, v27
	v_cndmask_b32_e64 v2, 1, v13, s[18:19]
	v_mul_lo_u16_e32 v18, v2, v28
	v_cndmask_b32_e64 v2, 1, v18, s[20:21]
	v_mul_lo_u16_e32 v19, v2, v29
	v_cndmask_b32_e64 v2, 1, v19, s[22:23]
	v_mul_lo_u16_e32 v23, v2, v30
	v_cndmask_b32_e64 v2, 1, v23, s[24:25]
	v_mul_lo_u16_e32 v38, v2, v31
	v_cndmask_b32_e64 v2, 1, v38, s[26:27]
	v_mul_lo_u16_e32 v43, v2, v32
	v_cndmask_b32_e64 v2, 1, v43, s[28:29]
	v_mul_lo_u16_e32 v44, v2, v33
	v_cndmask_b32_e64 v2, 1, v44, s[30:31]
	v_mul_lo_u16_e32 v45, v2, v34
	v_cndmask_b32_e64 v2, 1, v45, s[34:35]
	v_mul_lo_u16_e32 v46, v2, v35
	v_cndmask_b32_e64 v2, 1, v46, s[36:37]
	v_mul_lo_u16_e32 v47, v2, v36
	v_cndmask_b32_e64 v2, 1, v47, s[38:39]
	v_mul_lo_u16_e32 v48, v2, v37
	v_cndmask_b32_e64 v2, 1, v48, s[40:41]
	v_mul_lo_u16_e32 v49, v2, v22
	v_cndmask_b32_e64 v2, 1, v49, s[42:43]
	v_mul_lo_u16_e32 v50, v2, v39
	v_cndmask_b32_e64 v2, 1, v50, s[44:45]
	v_mul_lo_u16_e32 v51, v2, v40
	v_cndmask_b32_e64 v2, 1, v51, s[46:47]
	v_mul_lo_u16_e32 v52, v2, v41
	s_branch .LBB635_231
.LBB635_189:
	s_or_b64 exec, exec, s[4:5]
                                        ; implicit-def: $vgpr32
	s_and_saveexec_b64 s[4:5], s[6:7]
	s_cbranch_execz .LBB635_53
.LBB635_190:
	v_add_co_u32_e32 v32, vcc, v23, v25
	v_addc_co_u32_e32 v33, vcc, 0, v38, vcc
	flat_load_ushort v32, v[32:33] offset:512
	s_or_b64 exec, exec, s[4:5]
                                        ; implicit-def: $vgpr33
	s_and_saveexec_b64 s[4:5], s[8:9]
	s_cbranch_execnz .LBB635_54
.LBB635_191:
	s_or_b64 exec, exec, s[4:5]
                                        ; implicit-def: $vgpr34
	s_and_saveexec_b64 s[4:5], s[10:11]
	s_cbranch_execz .LBB635_55
.LBB635_192:
	v_add_co_u32_e32 v34, vcc, v23, v25
	v_addc_co_u32_e32 v35, vcc, 0, v38, vcc
	flat_load_ushort v34, v[34:35] offset:1536
	s_or_b64 exec, exec, s[4:5]
                                        ; implicit-def: $vgpr35
	s_and_saveexec_b64 s[4:5], s[12:13]
	s_cbranch_execnz .LBB635_56
.LBB635_193:
	s_or_b64 exec, exec, s[4:5]
                                        ; implicit-def: $vgpr36
	s_and_saveexec_b64 s[4:5], s[14:15]
	s_cbranch_execz .LBB635_57
.LBB635_194:
	v_add_co_u32_e32 v36, vcc, v23, v25
	v_addc_co_u32_e32 v37, vcc, 0, v38, vcc
	flat_load_ushort v36, v[36:37] offset:2560
	s_or_b64 exec, exec, s[4:5]
                                        ; implicit-def: $vgpr37
	s_and_saveexec_b64 s[4:5], s[16:17]
	s_cbranch_execnz .LBB635_58
.LBB635_195:
	s_or_b64 exec, exec, s[4:5]
                                        ; implicit-def: $vgpr39
	s_and_saveexec_b64 s[4:5], s[18:19]
	s_cbranch_execz .LBB635_59
.LBB635_196:
	v_add_co_u32_e32 v40, vcc, v23, v25
	v_addc_co_u32_e32 v41, vcc, 0, v38, vcc
	flat_load_ushort v39, v[40:41] offset:3584
	s_or_b64 exec, exec, s[4:5]
                                        ; implicit-def: $vgpr40
	s_and_saveexec_b64 s[4:5], s[20:21]
	s_cbranch_execnz .LBB635_60
.LBB635_197:
	s_or_b64 exec, exec, s[4:5]
                                        ; implicit-def: $vgpr1
	s_and_saveexec_b64 s[4:5], s[22:23]
	s_cbranch_execz .LBB635_61
.LBB635_198:
	v_add_co_u32_e32 v46, vcc, v23, v2
	v_addc_co_u32_e32 v47, vcc, 0, v38, vcc
	flat_load_ushort v1, v[46:47]
	s_or_b64 exec, exec, s[4:5]
                                        ; implicit-def: $vgpr2
	s_and_saveexec_b64 s[4:5], s[24:25]
	s_cbranch_execnz .LBB635_62
.LBB635_199:
	s_or_b64 exec, exec, s[4:5]
                                        ; implicit-def: $vgpr3
	s_and_saveexec_b64 s[4:5], s[26:27]
	s_cbranch_execz .LBB635_63
.LBB635_200:
	v_add_co_u32_e32 v46, vcc, v23, v4
	v_addc_co_u32_e32 v47, vcc, 0, v38, vcc
	flat_load_ushort v3, v[46:47]
	s_or_b64 exec, exec, s[4:5]
                                        ; implicit-def: $vgpr4
	s_and_saveexec_b64 s[4:5], s[28:29]
	s_cbranch_execnz .LBB635_64
.LBB635_201:
	s_or_b64 exec, exec, s[4:5]
                                        ; implicit-def: $vgpr5
	s_and_saveexec_b64 s[4:5], s[30:31]
	s_cbranch_execz .LBB635_65
.LBB635_202:
	v_add_co_u32_e32 v46, vcc, v23, v20
	v_addc_co_u32_e32 v47, vcc, 0, v38, vcc
	flat_load_ushort v5, v[46:47]
	s_or_b64 exec, exec, s[4:5]
                                        ; implicit-def: $vgpr20
	s_and_saveexec_b64 s[4:5], s[34:35]
	s_cbranch_execnz .LBB635_66
.LBB635_203:
	s_or_b64 exec, exec, s[4:5]
                                        ; implicit-def: $vgpr21
	s_and_saveexec_b64 s[4:5], s[36:37]
	s_cbranch_execz .LBB635_67
.LBB635_204:
	v_add_co_u32_e32 v46, vcc, v23, v22
	v_addc_co_u32_e32 v47, vcc, 0, v38, vcc
	flat_load_ushort v21, v[46:47]
	s_or_b64 exec, exec, s[4:5]
                                        ; implicit-def: $vgpr22
	s_and_saveexec_b64 s[4:5], s[38:39]
	s_cbranch_execnz .LBB635_68
.LBB635_205:
	s_or_b64 exec, exec, s[4:5]
                                        ; implicit-def: $vgpr24
	s_and_saveexec_b64 s[4:5], s[40:41]
	s_cbranch_execz .LBB635_69
.LBB635_206:
	v_add_co_u32_e32 v46, vcc, v23, v26
	v_addc_co_u32_e32 v47, vcc, 0, v38, vcc
	flat_load_ushort v24, v[46:47]
	s_or_b64 exec, exec, s[4:5]
                                        ; implicit-def: $vgpr26
	s_and_saveexec_b64 s[4:5], s[42:43]
	s_cbranch_execnz .LBB635_70
.LBB635_207:
	s_or_b64 exec, exec, s[4:5]
                                        ; implicit-def: $vgpr27
	s_and_saveexec_b64 s[4:5], s[44:45]
	s_cbranch_execz .LBB635_71
.LBB635_208:
	v_add_co_u32_e32 v46, vcc, v23, v28
	v_addc_co_u32_e32 v47, vcc, 0, v38, vcc
	flat_load_ushort v27, v[46:47]
	s_or_b64 exec, exec, s[4:5]
                                        ; implicit-def: $vgpr28
	s_and_saveexec_b64 s[4:5], s[46:47]
	s_cbranch_execz .LBB635_73
	s_branch .LBB635_72
.LBB635_209:
                                        ; implicit-def: $vgpr4
                                        ; implicit-def: $vgpr5
                                        ; implicit-def: $vgpr6
                                        ; implicit-def: $vgpr7
                                        ; implicit-def: $vgpr8
                                        ; implicit-def: $vgpr9
                                        ; implicit-def: $vgpr12
                                        ; implicit-def: $vgpr13
                                        ; implicit-def: $vgpr18
                                        ; implicit-def: $vgpr19
                                        ; implicit-def: $vgpr23
                                        ; implicit-def: $vgpr38
                                        ; implicit-def: $vgpr43
                                        ; implicit-def: $vgpr44
                                        ; implicit-def: $vgpr45
                                        ; implicit-def: $vgpr46
                                        ; implicit-def: $vgpr47
                                        ; implicit-def: $vgpr48
                                        ; implicit-def: $vgpr49
                                        ; implicit-def: $vgpr50
                                        ; implicit-def: $vgpr51
                                        ; implicit-def: $vgpr52
	s_cbranch_execz .LBB635_231
; %bb.210:
	s_cmp_lg_u64 s[68:69], 0
	s_cselect_b32 s5, s67, 0
	s_cselect_b32 s4, s66, 0
	s_cmp_eq_u64 s[4:5], 0
	v_mov_b32_e32 v2, s70
	s_cbranch_scc1 .LBB635_212
; %bb.211:
	v_mov_b32_e32 v2, 0
	global_load_ushort v2, v2, s[4:5]
.LBB635_212:
	s_mov_b32 s4, 0x10000
	v_cmp_gt_u32_e32 vcc, s4, v20
	v_cndmask_b32_e32 v3, 1, v1, vcc
	v_mul_lo_u16_e32 v3, v3, v20
	v_cmp_gt_u32_e64 s[6:7], s4, v24
	v_cndmask_b32_e64 v3, 1, v3, s[6:7]
	v_mul_lo_u16_e32 v3, v3, v24
	v_cmp_gt_u32_e64 s[8:9], s4, v21
	v_cndmask_b32_e64 v3, 1, v3, s[8:9]
	;; [unrolled: 3-line block ×20, first 2 shown]
	v_mul_lo_u16_e32 v4, v3, v14
	v_or3_b32 v3, v17, v37, v36
	v_or3_b32 v3, v3, v35, v34
	;; [unrolled: 1-line block ×8, first 2 shown]
	v_and_b32_e32 v3, 0x10000, v3
	v_cmp_ne_u32_e64 s[4:5], 0, v3
	v_mov_b32_e32 v8, 0x10000
	v_cndmask_b32_e64 v5, v15, 1, s[4:5]
	v_add_lshl_u32 v3, v16, v0, 2
	v_cmp_gt_u32_e64 s[4:5], 64, v0
	ds_write_b16 v3, v4
	ds_write_b8 v3, v5 offset:2
	s_waitcnt lgkmcnt(0)
	s_barrier
	s_and_saveexec_b64 s[46:47], s[4:5]
	s_cbranch_execz .LBB635_226
; %bb.213:
	v_lshlrev_b32_e32 v3, 2, v0
	v_lshrrev_b32_e32 v6, 3, v0
	v_add_lshl_u32 v3, v6, v3, 2
	ds_read_b32 v6, v3
	ds_read_u16 v7, v3 offset:4
	ds_read_u8 v9, v3 offset:6
	ds_read_u16 v12, v3 offset:8
	ds_read_u8 v13, v3 offset:10
	;; [unrolled: 2-line block ×3, first 2 shown]
	v_mov_b32_e32 v16, 0
	s_waitcnt lgkmcnt(4)
	v_cmp_eq_u16_sdwa s[4:5], v9, v16 src0_sel:BYTE_0 src1_sel:DWORD
	v_cndmask_b32_e64 v17, 1, v6, s[4:5]
	v_mul_lo_u16_e32 v17, v17, v7
	s_waitcnt lgkmcnt(2)
	v_cmp_eq_u16_sdwa s[4:5], v13, v16 src0_sel:BYTE_0 src1_sel:DWORD
	s_waitcnt lgkmcnt(0)
	v_or_b32_e32 v13, v15, v13
	v_cndmask_b32_e64 v16, 1, v17, s[4:5]
	v_or_b32_e32 v9, v13, v9
	v_mul_lo_u16_e32 v12, v16, v12
	v_cmp_eq_u16_e64 s[4:5], 0, v15
	v_and_b32_e32 v9, 1, v9
	v_and_b32_e32 v7, 0x10000, v6
	v_cndmask_b32_e64 v16, 1, v12, s[4:5]
	v_cmp_eq_u32_e64 s[4:5], 1, v9
	v_mbcnt_lo_u32_b32 v9, -1, 0
	v_mul_lo_u16_e32 v12, v16, v14
	v_cndmask_b32_e64 v17, v7, v8, s[4:5]
	v_mul_lo_u16_e32 v14, v16, v14
	v_and_b32_e32 v8, 0xff000000, v6
	v_mbcnt_hi_u32_b32 v9, -1, v9
	v_or_b32_e32 v15, v17, v8
	v_and_b32_e32 v16, 15, v9
	v_or3_b32 v14, v8, v14, v17
	s_movk_i32 s52, 0xff
	v_lshrrev_b32_e32 v13, 16, v15
	v_mov_b32_dpp v17, v14 row_shr:1 row_mask:0xf bank_mask:0xf
	v_cmp_ne_u32_e64 s[4:5], 0, v16
	s_and_saveexec_b64 s[48:49], s[4:5]
	s_cbranch_execz .LBB635_215
; %bb.214:
	v_and_b32_sdwa v13, v15, s52 dst_sel:DWORD dst_unused:UNUSED_PAD src0_sel:WORD_1 src1_sel:DWORD
	v_cmp_eq_u16_e64 s[4:5], 0, v13
	v_and_b32_e32 v13, 0x10000, v15
	v_mov_b32_e32 v15, 1
	v_cndmask_b32_e64 v14, 1, v17, s[4:5]
	v_and_b32_sdwa v15, v17, v15 dst_sel:DWORD dst_unused:UNUSED_PAD src0_sel:WORD_1 src1_sel:DWORD
	v_cmp_ne_u32_e64 s[4:5], 0, v13
	v_cndmask_b32_e64 v13, v15, 1, s[4:5]
	v_mul_lo_u16_e32 v18, v14, v12
	v_lshlrev_b32_e32 v15, 16, v13
	v_mul_lo_u16_e32 v12, v14, v12
	v_or3_b32 v14, v15, v12, v8
	v_mov_b32_e32 v12, v18
.LBB635_215:
	s_or_b64 exec, exec, s[48:49]
	v_lshrrev_b32_e32 v15, 16, v14
	v_mov_b32_dpp v17, v14 row_shr:2 row_mask:0xf bank_mask:0xf
	v_cmp_lt_u32_e64 s[4:5], 1, v16
	s_and_saveexec_b64 s[48:49], s[4:5]
	s_cbranch_execz .LBB635_217
; %bb.216:
	v_mov_b32_e32 v13, 0
	v_cmp_eq_u16_sdwa s[4:5], v15, v13 src0_sel:BYTE_0 src1_sel:DWORD
	v_and_b32_e32 v13, 0x10000, v14
	v_mov_b32_e32 v14, 1
	v_cndmask_b32_e64 v15, 1, v17, s[4:5]
	v_and_b32_sdwa v14, v17, v14 dst_sel:DWORD dst_unused:UNUSED_PAD src0_sel:WORD_1 src1_sel:DWORD
	v_cmp_ne_u32_e64 s[4:5], 0, v13
	v_cndmask_b32_e64 v13, v14, 1, s[4:5]
	v_mul_lo_u16_e32 v18, v15, v12
	v_lshlrev_b32_e32 v14, 16, v13
	v_mul_lo_u16_e32 v12, v15, v12
	v_or3_b32 v14, v14, v12, v8
	v_mov_b32_e32 v15, v13
	v_mov_b32_e32 v12, v18
.LBB635_217:
	s_or_b64 exec, exec, s[48:49]
	v_mov_b32_dpp v17, v14 row_shr:4 row_mask:0xf bank_mask:0xf
	v_cmp_lt_u32_e64 s[4:5], 3, v16
	s_and_saveexec_b64 s[48:49], s[4:5]
	s_cbranch_execz .LBB635_219
; %bb.218:
	v_mov_b32_e32 v13, 0
	v_cmp_eq_u16_sdwa s[4:5], v15, v13 src0_sel:BYTE_0 src1_sel:DWORD
	v_and_b32_e32 v13, 1, v15
	v_mov_b32_e32 v15, 1
	v_cndmask_b32_e64 v14, 1, v17, s[4:5]
	v_and_b32_sdwa v15, v17, v15 dst_sel:DWORD dst_unused:UNUSED_PAD src0_sel:WORD_1 src1_sel:DWORD
	v_cmp_eq_u32_e64 s[4:5], 1, v13
	v_cndmask_b32_e64 v13, v15, 1, s[4:5]
	v_mul_lo_u16_e32 v18, v14, v12
	v_lshlrev_b32_e32 v15, 16, v13
	v_mul_lo_u16_e32 v12, v14, v12
	v_or3_b32 v14, v15, v12, v8
	v_mov_b32_e32 v15, v13
	v_mov_b32_e32 v12, v18
.LBB635_219:
	s_or_b64 exec, exec, s[48:49]
	v_mov_b32_dpp v17, v14 row_shr:8 row_mask:0xf bank_mask:0xf
	v_cmp_lt_u32_e64 s[4:5], 7, v16
	s_and_saveexec_b64 s[48:49], s[4:5]
	s_cbranch_execz .LBB635_221
; %bb.220:
	v_mov_b32_e32 v13, 0
	v_cmp_eq_u16_sdwa s[4:5], v15, v13 src0_sel:BYTE_0 src1_sel:DWORD
	v_and_b32_e32 v13, 1, v15
	v_mov_b32_e32 v15, 1
	v_cndmask_b32_e64 v14, 1, v17, s[4:5]
	v_and_b32_sdwa v15, v17, v15 dst_sel:DWORD dst_unused:UNUSED_PAD src0_sel:WORD_1 src1_sel:DWORD
	v_cmp_eq_u32_e64 s[4:5], 1, v13
	v_cndmask_b32_e64 v13, v15, 1, s[4:5]
	v_mul_lo_u16_e32 v16, v14, v12
	v_lshlrev_b32_e32 v15, 16, v13
	v_mul_lo_u16_e32 v12, v14, v12
	v_or3_b32 v14, v15, v12, v8
	v_mov_b32_e32 v15, v13
	v_mov_b32_e32 v12, v16
.LBB635_221:
	s_or_b64 exec, exec, s[48:49]
	v_and_b32_e32 v17, 16, v9
	v_mov_b32_dpp v16, v14 row_bcast:15 row_mask:0xf bank_mask:0xf
	v_cmp_ne_u32_e64 s[4:5], 0, v17
	s_and_saveexec_b64 s[48:49], s[4:5]
	s_cbranch_execz .LBB635_223
; %bb.222:
	v_mov_b32_e32 v13, 0
	v_cmp_eq_u16_sdwa s[4:5], v15, v13 src0_sel:BYTE_0 src1_sel:DWORD
	v_and_b32_e32 v13, 1, v15
	v_mov_b32_e32 v15, 1
	v_cndmask_b32_e64 v14, 1, v16, s[4:5]
	v_and_b32_sdwa v15, v16, v15 dst_sel:DWORD dst_unused:UNUSED_PAD src0_sel:WORD_1 src1_sel:DWORD
	v_cmp_eq_u32_e64 s[4:5], 1, v13
	v_cndmask_b32_e64 v13, v15, 1, s[4:5]
	v_mul_lo_u16_e32 v17, v14, v12
	v_lshlrev_b32_e32 v15, 16, v13
	v_mul_lo_u16_e32 v12, v14, v12
	v_or3_b32 v14, v15, v12, v8
	v_mov_b32_e32 v15, v13
	v_mov_b32_e32 v12, v17
.LBB635_223:
	s_or_b64 exec, exec, s[48:49]
	v_mov_b32_dpp v14, v14 row_bcast:31 row_mask:0xf bank_mask:0xf
	v_cmp_lt_u32_e64 s[4:5], 31, v9
	s_and_saveexec_b64 s[48:49], s[4:5]
; %bb.224:
	v_mov_b32_e32 v13, 0
	v_cmp_eq_u16_sdwa s[4:5], v15, v13 src0_sel:BYTE_0 src1_sel:DWORD
	v_cndmask_b32_e64 v13, 1, v14, s[4:5]
	v_mul_lo_u16_e32 v12, v13, v12
	v_and_b32_e32 v13, 1, v15
	v_mov_b32_e32 v15, 1
	v_and_b32_sdwa v14, v14, v15 dst_sel:DWORD dst_unused:UNUSED_PAD src0_sel:WORD_1 src1_sel:DWORD
	v_cmp_eq_u32_e64 s[4:5], 1, v13
	v_cndmask_b32_e64 v13, v14, 1, s[4:5]
; %bb.225:
	s_or_b64 exec, exec, s[48:49]
	v_and_b32_e32 v13, 0xff, v13
	v_lshlrev_b32_e32 v13, 16, v13
	v_and_b32_e32 v12, 0xffff, v12
	v_or3_b32 v8, v13, v12, v8
	v_add_u32_e32 v12, -1, v9
	v_and_b32_e32 v13, 64, v9
	v_cmp_lt_i32_e64 s[4:5], v12, v13
	v_cndmask_b32_e64 v9, v12, v9, s[4:5]
	v_lshlrev_b32_e32 v9, 2, v9
	ds_bpermute_b32 v8, v9, v8
	v_and_b32_e32 v9, 0xff0000, v6
	v_cmp_eq_u32_e64 s[4:5], 0, v9
	; wave barrier
	s_waitcnt lgkmcnt(0)
	v_cndmask_b32_e64 v9, 1, v8, s[4:5]
	v_mul_lo_u16_e32 v6, v9, v6
	v_mov_b32_e32 v9, 1
	v_and_b32_sdwa v8, v8, v9 dst_sel:DWORD dst_unused:UNUSED_PAD src0_sel:WORD_1 src1_sel:DWORD
	v_cmp_eq_u32_e64 s[4:5], 0, v7
	v_cndmask_b32_e64 v7, 1, v8, s[4:5]
	v_cndmask_b32_e64 v4, v6, v4, s[0:1]
	;; [unrolled: 1-line block ×3, first 2 shown]
	ds_write_b16 v3, v4
	ds_write_b8 v3, v5 offset:2
	; wave barrier
	ds_read_u16 v6, v3 offset:4
	ds_read_u8 v7, v3 offset:6
	ds_read_u16 v8, v3 offset:8
	ds_read_u8 v9, v3 offset:10
	;; [unrolled: 2-line block ×3, first 2 shown]
	s_waitcnt lgkmcnt(4)
	v_cmp_eq_u16_e64 s[4:5], 0, v7
	v_cndmask_b32_e64 v4, 1, v4, s[4:5]
	v_mul_lo_u16_e32 v4, v4, v6
	v_and_b32_e32 v6, 1, v7
	v_cmp_eq_u32_e64 s[4:5], 1, v6
	v_cndmask_b32_e64 v5, v5, 1, s[4:5]
	s_waitcnt lgkmcnt(2)
	v_cmp_eq_u16_e64 s[4:5], 0, v9
	v_and_b32_e32 v6, 1, v9
	ds_write_b16 v3, v4 offset:4
	ds_write_b8 v3, v5 offset:6
	v_cndmask_b32_e64 v4, 1, v4, s[4:5]
	v_cmp_eq_u32_e64 s[4:5], 1, v6
	v_mul_lo_u16_e32 v4, v4, v8
	v_cndmask_b32_e64 v5, v5, 1, s[4:5]
	s_waitcnt lgkmcnt(2)
	v_cmp_eq_u16_e64 s[4:5], 0, v13
	ds_write_b16 v3, v4 offset:8
	ds_write_b8 v3, v5 offset:10
	v_cndmask_b32_e64 v4, 1, v4, s[4:5]
	v_and_b32_e32 v6, 1, v13
	v_mul_lo_u16_e32 v4, v4, v12
	v_cmp_eq_u32_e64 s[4:5], 1, v6
	v_cndmask_b32_e64 v5, v5, 1, s[4:5]
	ds_write_b16 v3, v4 offset:12
	ds_write_b8 v3, v5 offset:14
.LBB635_226:
	s_or_b64 exec, exec, s[46:47]
	s_waitcnt vmcnt(0)
	v_mov_b32_e32 v4, v2
	s_waitcnt lgkmcnt(0)
	s_barrier
	s_and_saveexec_b64 s[46:47], s[50:51]
	s_cbranch_execz .LBB635_228
; %bb.227:
	v_add_u32_e32 v3, -1, v0
	v_lshrrev_b32_e32 v4, 5, v3
	v_add_lshl_u32 v3, v4, v3, 2
	ds_read_u8 v4, v3 offset:2
	ds_read_u16 v3, v3
	s_waitcnt lgkmcnt(1)
	v_cmp_eq_u16_e64 s[4:5], 0, v4
	v_cndmask_b32_e64 v4, 1, v2, s[4:5]
	s_waitcnt lgkmcnt(0)
	v_mul_lo_u16_e32 v4, v4, v3
.LBB635_228:
	s_or_b64 exec, exec, s[46:47]
	v_and_b32_e32 v3, 0xff0000, v1
	v_cmp_eq_u32_e64 s[4:5], 0, v3
	v_cndmask_b32_e64 v3, 1, v4, s[4:5]
	v_mul_lo_u16_e32 v5, v3, v1
	v_cndmask_b32_e32 v1, 1, v5, vcc
	v_mul_lo_u16_e32 v6, v1, v20
	v_cndmask_b32_e64 v1, 1, v6, s[6:7]
	v_mul_lo_u16_e32 v7, v1, v24
	v_cndmask_b32_e64 v1, 1, v7, s[8:9]
	;; [unrolled: 2-line block ×19, first 2 shown]
	s_and_saveexec_b64 s[4:5], s[0:1]
	s_cbranch_execz .LBB635_230
; %bb.229:
	v_mov_b32_e32 v14, 0
	ds_read_u8 v3, v14 offset:1050
	ds_read_u16 v15, v14 offset:1048
	s_waitcnt lgkmcnt(1)
	v_cmp_eq_u32_e32 vcc, 0, v3
	v_cndmask_b32_e32 v2, 1, v2, vcc
	v_lshlrev_b32_e32 v16, 16, v3
	s_waitcnt lgkmcnt(0)
	v_mul_lo_u32 v2, v2, v15
	v_or_b32_sdwa v2, v16, v2 dst_sel:DWORD dst_unused:UNUSED_PAD src0_sel:DWORD src1_sel:WORD_0
	v_mov_b32_e32 v3, 2
	global_store_dwordx2 v14, v[2:3], s[60:61] offset:512
.LBB635_230:
	s_or_b64 exec, exec, s[4:5]
	v_mul_lo_u16_e32 v52, v1, v41
.LBB635_231:
	s_add_u32 s0, s58, s54
	s_addc_u32 s1, s59, s55
	v_mov_b32_e32 v1, s1
	v_add_co_u32_e32 v10, vcc, s0, v10
	v_addc_co_u32_e32 v11, vcc, v1, v11, vcc
	v_mul_u32_u24_e32 v1, 22, v0
	s_and_b64 vcc, exec, s[2:3]
	v_lshlrev_b32_e32 v14, 1, v1
	s_cbranch_vccz .LBB635_275
; %bb.232:
	s_mov_b32 s0, 0x5040100
	v_perm_b32 v1, v7, v6, s0
	v_perm_b32 v2, v5, v4, s0
	s_barrier
	ds_write2_b32 v14, v2, v1 offset1:1
	v_perm_b32 v1, v13, v12, s0
	v_perm_b32 v2, v9, v8, s0
	ds_write2_b32 v14, v2, v1 offset0:2 offset1:3
	v_perm_b32 v1, v38, v23, s0
	v_perm_b32 v2, v19, v18, s0
	ds_write2_b32 v14, v2, v1 offset0:4 offset1:5
	;; [unrolled: 3-line block ×4, first 2 shown]
	v_perm_b32 v1, v52, v51, s0
	s_movk_i32 s0, 0xffd6
	v_mad_i32_i24 v2, v0, s0, v14
	ds_write_b32 v14, v1 offset:40
	s_waitcnt lgkmcnt(0)
	s_barrier
	ds_read_u16 v39, v2 offset:512
	ds_read_u16 v37, v2 offset:1024
	;; [unrolled: 1-line block ×21, first 2 shown]
	v_add_co_u32_e32 v2, vcc, v10, v42
	s_add_i32 s33, s33, s62
	v_addc_co_u32_e32 v3, vcc, 0, v11, vcc
	v_mov_b32_e32 v1, 0
	v_cmp_gt_u32_e32 vcc, s33, v0
	s_and_saveexec_b64 s[0:1], vcc
	s_cbranch_execz .LBB635_234
; %bb.233:
	v_mul_i32_i24_e32 v40, 0xffffffd6, v0
	v_add_u32_e32 v40, v14, v40
	ds_read_u16 v40, v40
	s_waitcnt lgkmcnt(0)
	flat_store_short v[2:3], v40
.LBB635_234:
	s_or_b64 exec, exec, s[0:1]
	v_or_b32_e32 v40, 0x100, v0
	v_cmp_gt_u32_e32 vcc, s33, v40
	s_and_saveexec_b64 s[0:1], vcc
	s_cbranch_execz .LBB635_236
; %bb.235:
	s_waitcnt lgkmcnt(0)
	flat_store_short v[2:3], v39 offset:512
.LBB635_236:
	s_or_b64 exec, exec, s[0:1]
	s_waitcnt lgkmcnt(0)
	v_or_b32_e32 v39, 0x200, v0
	v_cmp_gt_u32_e32 vcc, s33, v39
	s_and_saveexec_b64 s[0:1], vcc
	s_cbranch_execz .LBB635_238
; %bb.237:
	flat_store_short v[2:3], v37 offset:1024
.LBB635_238:
	s_or_b64 exec, exec, s[0:1]
	v_or_b32_e32 v37, 0x300, v0
	v_cmp_gt_u32_e32 vcc, s33, v37
	s_and_saveexec_b64 s[0:1], vcc
	s_cbranch_execz .LBB635_240
; %bb.239:
	flat_store_short v[2:3], v36 offset:1536
.LBB635_240:
	s_or_b64 exec, exec, s[0:1]
	;; [unrolled: 8-line block ×6, first 2 shown]
	v_or_b32_e32 v32, 0x800, v0
	v_cmp_gt_u32_e32 vcc, s33, v32
	s_and_saveexec_b64 s[0:1], vcc
	s_cbranch_execz .LBB635_250
; %bb.249:
	v_add_co_u32_e32 v32, vcc, 0x1000, v2
	v_addc_co_u32_e32 v33, vcc, 0, v3, vcc
	flat_store_short v[32:33], v31
.LBB635_250:
	s_or_b64 exec, exec, s[0:1]
	v_or_b32_e32 v31, 0x900, v0
	v_cmp_gt_u32_e32 vcc, s33, v31
	s_and_saveexec_b64 s[0:1], vcc
	s_cbranch_execz .LBB635_252
; %bb.251:
	v_add_co_u32_e32 v32, vcc, 0x1000, v2
	v_addc_co_u32_e32 v33, vcc, 0, v3, vcc
	flat_store_short v[32:33], v30 offset:512
.LBB635_252:
	s_or_b64 exec, exec, s[0:1]
	v_or_b32_e32 v30, 0xa00, v0
	v_cmp_gt_u32_e32 vcc, s33, v30
	s_and_saveexec_b64 s[0:1], vcc
	s_cbranch_execz .LBB635_254
; %bb.253:
	v_add_co_u32_e32 v30, vcc, 0x1000, v2
	v_addc_co_u32_e32 v31, vcc, 0, v3, vcc
	flat_store_short v[30:31], v29 offset:1024
.LBB635_254:
	;; [unrolled: 10-line block ×7, first 2 shown]
	s_or_b64 exec, exec, s[0:1]
	v_or_b32_e32 v24, 0x1000, v0
	v_cmp_gt_u32_e32 vcc, s33, v24
	s_and_saveexec_b64 s[0:1], vcc
	s_cbranch_execz .LBB635_266
; %bb.265:
	v_add_co_u32_e32 v24, vcc, 0x2000, v2
	v_addc_co_u32_e32 v25, vcc, 0, v3, vcc
	flat_store_short v[24:25], v22
.LBB635_266:
	s_or_b64 exec, exec, s[0:1]
	v_or_b32_e32 v22, 0x1100, v0
	v_cmp_gt_u32_e32 vcc, s33, v22
	s_and_saveexec_b64 s[0:1], vcc
	s_cbranch_execz .LBB635_268
; %bb.267:
	v_add_co_u32_e32 v24, vcc, 0x2000, v2
	v_addc_co_u32_e32 v25, vcc, 0, v3, vcc
	flat_store_short v[24:25], v21 offset:512
.LBB635_268:
	s_or_b64 exec, exec, s[0:1]
	v_or_b32_e32 v21, 0x1200, v0
	v_cmp_gt_u32_e32 vcc, s33, v21
	s_and_saveexec_b64 s[0:1], vcc
	s_cbranch_execz .LBB635_270
; %bb.269:
	v_add_co_u32_e32 v24, vcc, 0x2000, v2
	v_addc_co_u32_e32 v25, vcc, 0, v3, vcc
	flat_store_short v[24:25], v20 offset:1024
.LBB635_270:
	;; [unrolled: 10-line block ×4, first 2 shown]
	s_or_b64 exec, exec, s[0:1]
	v_or_b32_e32 v2, 0x1500, v0
	v_cmp_gt_u32_e64 s[0:1], s33, v2
	s_branch .LBB635_277
.LBB635_275:
	s_mov_b64 s[0:1], 0
                                        ; implicit-def: $vgpr15
	s_cbranch_execz .LBB635_277
; %bb.276:
	s_mov_b32 s2, 0x5040100
	v_perm_b32 v1, v7, v6, s2
	v_perm_b32 v2, v5, v4, s2
	s_waitcnt lgkmcnt(0)
	s_barrier
	ds_write2_b32 v14, v2, v1 offset1:1
	v_perm_b32 v1, v13, v12, s2
	v_perm_b32 v2, v9, v8, s2
	ds_write2_b32 v14, v2, v1 offset0:2 offset1:3
	v_perm_b32 v1, v38, v23, s2
	v_perm_b32 v2, v19, v18, s2
	ds_write2_b32 v14, v2, v1 offset0:4 offset1:5
	;; [unrolled: 3-line block ×4, first 2 shown]
	v_perm_b32 v1, v52, v51, s2
	s_movk_i32 s2, 0xffd6
	v_mad_i32_i24 v2, v0, s2, v14
	ds_write_b32 v14, v1 offset:40
	s_waitcnt lgkmcnt(0)
	s_barrier
	ds_read_u16 v4, v2
	ds_read_u16 v5, v2 offset:512
	ds_read_u16 v6, v2 offset:1024
	;; [unrolled: 1-line block ×21, first 2 shown]
	v_add_co_u32_e32 v2, vcc, v10, v42
	v_addc_co_u32_e32 v3, vcc, 0, v11, vcc
	s_movk_i32 s2, 0x1000
	s_waitcnt lgkmcnt(0)
	flat_store_short v[2:3], v4
	flat_store_short v[2:3], v5 offset:512
	flat_store_short v[2:3], v6 offset:1024
	flat_store_short v[2:3], v7 offset:1536
	flat_store_short v[2:3], v8 offset:2048
	flat_store_short v[2:3], v9 offset:2560
	flat_store_short v[2:3], v12 offset:3072
	flat_store_short v[2:3], v13 offset:3584
	v_add_co_u32_e32 v4, vcc, s2, v2
	v_addc_co_u32_e32 v5, vcc, 0, v3, vcc
	v_add_co_u32_e32 v2, vcc, 0x2000, v2
	v_mov_b32_e32 v1, 0
	v_addc_co_u32_e32 v3, vcc, 0, v3, vcc
	s_or_b64 s[0:1], s[0:1], exec
	flat_store_short v[4:5], v14
	flat_store_short v[4:5], v16 offset:512
	flat_store_short v[4:5], v17 offset:1024
	;; [unrolled: 1-line block ×7, first 2 shown]
	flat_store_short v[2:3], v23
	flat_store_short v[2:3], v24 offset:512
	flat_store_short v[2:3], v25 offset:1024
	flat_store_short v[2:3], v26 offset:1536
	flat_store_short v[2:3], v27 offset:2048
.LBB635_277:
	s_and_saveexec_b64 s[2:3], s[0:1]
	s_cbranch_execz .LBB635_279
; %bb.278:
	v_lshlrev_b64 v[0:1], 1, v[0:1]
	v_add_co_u32_e32 v0, vcc, v10, v0
	v_addc_co_u32_e32 v1, vcc, v11, v1, vcc
	v_add_co_u32_e32 v0, vcc, 0x2000, v0
	v_addc_co_u32_e32 v1, vcc, 0, v1, vcc
	flat_store_short v[0:1], v15 offset:2560
	s_endpgm
.LBB635_279:
	s_endpgm
	.section	.rodata,"a",@progbits
	.p2align	6, 0x0
	.amdhsa_kernel _ZN7rocprim17ROCPRIM_400000_NS6detail17trampoline_kernelINS0_14default_configENS1_27scan_by_key_config_selectorIssEEZZNS1_16scan_by_key_implILNS1_25lookback_scan_determinismE0ELb1ES3_N6thrust23THRUST_200600_302600_NS6detail15normal_iteratorINS9_10device_ptrIsEEEESE_SE_sNS9_10multipliesIsEENS9_8equal_toIsEEsEE10hipError_tPvRmT2_T3_T4_T5_mT6_T7_P12ihipStream_tbENKUlT_T0_E_clISt17integral_constantIbLb0EESY_IbLb1EEEEDaSU_SV_EUlSU_E_NS1_11comp_targetILNS1_3genE4ELNS1_11target_archE910ELNS1_3gpuE8ELNS1_3repE0EEENS1_30default_config_static_selectorELNS0_4arch9wavefront6targetE1EEEvT1_
		.amdhsa_group_segment_fixed_size 12288
		.amdhsa_private_segment_fixed_size 0
		.amdhsa_kernarg_size 112
		.amdhsa_user_sgpr_count 6
		.amdhsa_user_sgpr_private_segment_buffer 1
		.amdhsa_user_sgpr_dispatch_ptr 0
		.amdhsa_user_sgpr_queue_ptr 0
		.amdhsa_user_sgpr_kernarg_segment_ptr 1
		.amdhsa_user_sgpr_dispatch_id 0
		.amdhsa_user_sgpr_flat_scratch_init 0
		.amdhsa_user_sgpr_kernarg_preload_length 0
		.amdhsa_user_sgpr_kernarg_preload_offset 0
		.amdhsa_user_sgpr_private_segment_size 0
		.amdhsa_uses_dynamic_stack 0
		.amdhsa_system_sgpr_private_segment_wavefront_offset 0
		.amdhsa_system_sgpr_workgroup_id_x 1
		.amdhsa_system_sgpr_workgroup_id_y 0
		.amdhsa_system_sgpr_workgroup_id_z 0
		.amdhsa_system_sgpr_workgroup_info 0
		.amdhsa_system_vgpr_workitem_id 0
		.amdhsa_next_free_vgpr 60
		.amdhsa_next_free_sgpr 73
		.amdhsa_accum_offset 60
		.amdhsa_reserve_vcc 1
		.amdhsa_reserve_flat_scratch 0
		.amdhsa_float_round_mode_32 0
		.amdhsa_float_round_mode_16_64 0
		.amdhsa_float_denorm_mode_32 3
		.amdhsa_float_denorm_mode_16_64 3
		.amdhsa_dx10_clamp 1
		.amdhsa_ieee_mode 1
		.amdhsa_fp16_overflow 0
		.amdhsa_tg_split 0
		.amdhsa_exception_fp_ieee_invalid_op 0
		.amdhsa_exception_fp_denorm_src 0
		.amdhsa_exception_fp_ieee_div_zero 0
		.amdhsa_exception_fp_ieee_overflow 0
		.amdhsa_exception_fp_ieee_underflow 0
		.amdhsa_exception_fp_ieee_inexact 0
		.amdhsa_exception_int_div_zero 0
	.end_amdhsa_kernel
	.section	.text._ZN7rocprim17ROCPRIM_400000_NS6detail17trampoline_kernelINS0_14default_configENS1_27scan_by_key_config_selectorIssEEZZNS1_16scan_by_key_implILNS1_25lookback_scan_determinismE0ELb1ES3_N6thrust23THRUST_200600_302600_NS6detail15normal_iteratorINS9_10device_ptrIsEEEESE_SE_sNS9_10multipliesIsEENS9_8equal_toIsEEsEE10hipError_tPvRmT2_T3_T4_T5_mT6_T7_P12ihipStream_tbENKUlT_T0_E_clISt17integral_constantIbLb0EESY_IbLb1EEEEDaSU_SV_EUlSU_E_NS1_11comp_targetILNS1_3genE4ELNS1_11target_archE910ELNS1_3gpuE8ELNS1_3repE0EEENS1_30default_config_static_selectorELNS0_4arch9wavefront6targetE1EEEvT1_,"axG",@progbits,_ZN7rocprim17ROCPRIM_400000_NS6detail17trampoline_kernelINS0_14default_configENS1_27scan_by_key_config_selectorIssEEZZNS1_16scan_by_key_implILNS1_25lookback_scan_determinismE0ELb1ES3_N6thrust23THRUST_200600_302600_NS6detail15normal_iteratorINS9_10device_ptrIsEEEESE_SE_sNS9_10multipliesIsEENS9_8equal_toIsEEsEE10hipError_tPvRmT2_T3_T4_T5_mT6_T7_P12ihipStream_tbENKUlT_T0_E_clISt17integral_constantIbLb0EESY_IbLb1EEEEDaSU_SV_EUlSU_E_NS1_11comp_targetILNS1_3genE4ELNS1_11target_archE910ELNS1_3gpuE8ELNS1_3repE0EEENS1_30default_config_static_selectorELNS0_4arch9wavefront6targetE1EEEvT1_,comdat
.Lfunc_end635:
	.size	_ZN7rocprim17ROCPRIM_400000_NS6detail17trampoline_kernelINS0_14default_configENS1_27scan_by_key_config_selectorIssEEZZNS1_16scan_by_key_implILNS1_25lookback_scan_determinismE0ELb1ES3_N6thrust23THRUST_200600_302600_NS6detail15normal_iteratorINS9_10device_ptrIsEEEESE_SE_sNS9_10multipliesIsEENS9_8equal_toIsEEsEE10hipError_tPvRmT2_T3_T4_T5_mT6_T7_P12ihipStream_tbENKUlT_T0_E_clISt17integral_constantIbLb0EESY_IbLb1EEEEDaSU_SV_EUlSU_E_NS1_11comp_targetILNS1_3genE4ELNS1_11target_archE910ELNS1_3gpuE8ELNS1_3repE0EEENS1_30default_config_static_selectorELNS0_4arch9wavefront6targetE1EEEvT1_, .Lfunc_end635-_ZN7rocprim17ROCPRIM_400000_NS6detail17trampoline_kernelINS0_14default_configENS1_27scan_by_key_config_selectorIssEEZZNS1_16scan_by_key_implILNS1_25lookback_scan_determinismE0ELb1ES3_N6thrust23THRUST_200600_302600_NS6detail15normal_iteratorINS9_10device_ptrIsEEEESE_SE_sNS9_10multipliesIsEENS9_8equal_toIsEEsEE10hipError_tPvRmT2_T3_T4_T5_mT6_T7_P12ihipStream_tbENKUlT_T0_E_clISt17integral_constantIbLb0EESY_IbLb1EEEEDaSU_SV_EUlSU_E_NS1_11comp_targetILNS1_3genE4ELNS1_11target_archE910ELNS1_3gpuE8ELNS1_3repE0EEENS1_30default_config_static_selectorELNS0_4arch9wavefront6targetE1EEEvT1_
                                        ; -- End function
	.section	.AMDGPU.csdata,"",@progbits
; Kernel info:
; codeLenInByte = 16096
; NumSgprs: 77
; NumVgprs: 60
; NumAgprs: 0
; TotalNumVgprs: 60
; ScratchSize: 0
; MemoryBound: 0
; FloatMode: 240
; IeeeMode: 1
; LDSByteSize: 12288 bytes/workgroup (compile time only)
; SGPRBlocks: 9
; VGPRBlocks: 7
; NumSGPRsForWavesPerEU: 77
; NumVGPRsForWavesPerEU: 60
; AccumOffset: 60
; Occupancy: 5
; WaveLimiterHint : 1
; COMPUTE_PGM_RSRC2:SCRATCH_EN: 0
; COMPUTE_PGM_RSRC2:USER_SGPR: 6
; COMPUTE_PGM_RSRC2:TRAP_HANDLER: 0
; COMPUTE_PGM_RSRC2:TGID_X_EN: 1
; COMPUTE_PGM_RSRC2:TGID_Y_EN: 0
; COMPUTE_PGM_RSRC2:TGID_Z_EN: 0
; COMPUTE_PGM_RSRC2:TIDIG_COMP_CNT: 0
; COMPUTE_PGM_RSRC3_GFX90A:ACCUM_OFFSET: 14
; COMPUTE_PGM_RSRC3_GFX90A:TG_SPLIT: 0
	.section	.text._ZN7rocprim17ROCPRIM_400000_NS6detail17trampoline_kernelINS0_14default_configENS1_27scan_by_key_config_selectorIssEEZZNS1_16scan_by_key_implILNS1_25lookback_scan_determinismE0ELb1ES3_N6thrust23THRUST_200600_302600_NS6detail15normal_iteratorINS9_10device_ptrIsEEEESE_SE_sNS9_10multipliesIsEENS9_8equal_toIsEEsEE10hipError_tPvRmT2_T3_T4_T5_mT6_T7_P12ihipStream_tbENKUlT_T0_E_clISt17integral_constantIbLb0EESY_IbLb1EEEEDaSU_SV_EUlSU_E_NS1_11comp_targetILNS1_3genE3ELNS1_11target_archE908ELNS1_3gpuE7ELNS1_3repE0EEENS1_30default_config_static_selectorELNS0_4arch9wavefront6targetE1EEEvT1_,"axG",@progbits,_ZN7rocprim17ROCPRIM_400000_NS6detail17trampoline_kernelINS0_14default_configENS1_27scan_by_key_config_selectorIssEEZZNS1_16scan_by_key_implILNS1_25lookback_scan_determinismE0ELb1ES3_N6thrust23THRUST_200600_302600_NS6detail15normal_iteratorINS9_10device_ptrIsEEEESE_SE_sNS9_10multipliesIsEENS9_8equal_toIsEEsEE10hipError_tPvRmT2_T3_T4_T5_mT6_T7_P12ihipStream_tbENKUlT_T0_E_clISt17integral_constantIbLb0EESY_IbLb1EEEEDaSU_SV_EUlSU_E_NS1_11comp_targetILNS1_3genE3ELNS1_11target_archE908ELNS1_3gpuE7ELNS1_3repE0EEENS1_30default_config_static_selectorELNS0_4arch9wavefront6targetE1EEEvT1_,comdat
	.protected	_ZN7rocprim17ROCPRIM_400000_NS6detail17trampoline_kernelINS0_14default_configENS1_27scan_by_key_config_selectorIssEEZZNS1_16scan_by_key_implILNS1_25lookback_scan_determinismE0ELb1ES3_N6thrust23THRUST_200600_302600_NS6detail15normal_iteratorINS9_10device_ptrIsEEEESE_SE_sNS9_10multipliesIsEENS9_8equal_toIsEEsEE10hipError_tPvRmT2_T3_T4_T5_mT6_T7_P12ihipStream_tbENKUlT_T0_E_clISt17integral_constantIbLb0EESY_IbLb1EEEEDaSU_SV_EUlSU_E_NS1_11comp_targetILNS1_3genE3ELNS1_11target_archE908ELNS1_3gpuE7ELNS1_3repE0EEENS1_30default_config_static_selectorELNS0_4arch9wavefront6targetE1EEEvT1_ ; -- Begin function _ZN7rocprim17ROCPRIM_400000_NS6detail17trampoline_kernelINS0_14default_configENS1_27scan_by_key_config_selectorIssEEZZNS1_16scan_by_key_implILNS1_25lookback_scan_determinismE0ELb1ES3_N6thrust23THRUST_200600_302600_NS6detail15normal_iteratorINS9_10device_ptrIsEEEESE_SE_sNS9_10multipliesIsEENS9_8equal_toIsEEsEE10hipError_tPvRmT2_T3_T4_T5_mT6_T7_P12ihipStream_tbENKUlT_T0_E_clISt17integral_constantIbLb0EESY_IbLb1EEEEDaSU_SV_EUlSU_E_NS1_11comp_targetILNS1_3genE3ELNS1_11target_archE908ELNS1_3gpuE7ELNS1_3repE0EEENS1_30default_config_static_selectorELNS0_4arch9wavefront6targetE1EEEvT1_
	.globl	_ZN7rocprim17ROCPRIM_400000_NS6detail17trampoline_kernelINS0_14default_configENS1_27scan_by_key_config_selectorIssEEZZNS1_16scan_by_key_implILNS1_25lookback_scan_determinismE0ELb1ES3_N6thrust23THRUST_200600_302600_NS6detail15normal_iteratorINS9_10device_ptrIsEEEESE_SE_sNS9_10multipliesIsEENS9_8equal_toIsEEsEE10hipError_tPvRmT2_T3_T4_T5_mT6_T7_P12ihipStream_tbENKUlT_T0_E_clISt17integral_constantIbLb0EESY_IbLb1EEEEDaSU_SV_EUlSU_E_NS1_11comp_targetILNS1_3genE3ELNS1_11target_archE908ELNS1_3gpuE7ELNS1_3repE0EEENS1_30default_config_static_selectorELNS0_4arch9wavefront6targetE1EEEvT1_
	.p2align	8
	.type	_ZN7rocprim17ROCPRIM_400000_NS6detail17trampoline_kernelINS0_14default_configENS1_27scan_by_key_config_selectorIssEEZZNS1_16scan_by_key_implILNS1_25lookback_scan_determinismE0ELb1ES3_N6thrust23THRUST_200600_302600_NS6detail15normal_iteratorINS9_10device_ptrIsEEEESE_SE_sNS9_10multipliesIsEENS9_8equal_toIsEEsEE10hipError_tPvRmT2_T3_T4_T5_mT6_T7_P12ihipStream_tbENKUlT_T0_E_clISt17integral_constantIbLb0EESY_IbLb1EEEEDaSU_SV_EUlSU_E_NS1_11comp_targetILNS1_3genE3ELNS1_11target_archE908ELNS1_3gpuE7ELNS1_3repE0EEENS1_30default_config_static_selectorELNS0_4arch9wavefront6targetE1EEEvT1_,@function
_ZN7rocprim17ROCPRIM_400000_NS6detail17trampoline_kernelINS0_14default_configENS1_27scan_by_key_config_selectorIssEEZZNS1_16scan_by_key_implILNS1_25lookback_scan_determinismE0ELb1ES3_N6thrust23THRUST_200600_302600_NS6detail15normal_iteratorINS9_10device_ptrIsEEEESE_SE_sNS9_10multipliesIsEENS9_8equal_toIsEEsEE10hipError_tPvRmT2_T3_T4_T5_mT6_T7_P12ihipStream_tbENKUlT_T0_E_clISt17integral_constantIbLb0EESY_IbLb1EEEEDaSU_SV_EUlSU_E_NS1_11comp_targetILNS1_3genE3ELNS1_11target_archE908ELNS1_3gpuE7ELNS1_3repE0EEENS1_30default_config_static_selectorELNS0_4arch9wavefront6targetE1EEEvT1_: ; @_ZN7rocprim17ROCPRIM_400000_NS6detail17trampoline_kernelINS0_14default_configENS1_27scan_by_key_config_selectorIssEEZZNS1_16scan_by_key_implILNS1_25lookback_scan_determinismE0ELb1ES3_N6thrust23THRUST_200600_302600_NS6detail15normal_iteratorINS9_10device_ptrIsEEEESE_SE_sNS9_10multipliesIsEENS9_8equal_toIsEEsEE10hipError_tPvRmT2_T3_T4_T5_mT6_T7_P12ihipStream_tbENKUlT_T0_E_clISt17integral_constantIbLb0EESY_IbLb1EEEEDaSU_SV_EUlSU_E_NS1_11comp_targetILNS1_3genE3ELNS1_11target_archE908ELNS1_3gpuE7ELNS1_3repE0EEENS1_30default_config_static_selectorELNS0_4arch9wavefront6targetE1EEEvT1_
; %bb.0:
	.section	.rodata,"a",@progbits
	.p2align	6, 0x0
	.amdhsa_kernel _ZN7rocprim17ROCPRIM_400000_NS6detail17trampoline_kernelINS0_14default_configENS1_27scan_by_key_config_selectorIssEEZZNS1_16scan_by_key_implILNS1_25lookback_scan_determinismE0ELb1ES3_N6thrust23THRUST_200600_302600_NS6detail15normal_iteratorINS9_10device_ptrIsEEEESE_SE_sNS9_10multipliesIsEENS9_8equal_toIsEEsEE10hipError_tPvRmT2_T3_T4_T5_mT6_T7_P12ihipStream_tbENKUlT_T0_E_clISt17integral_constantIbLb0EESY_IbLb1EEEEDaSU_SV_EUlSU_E_NS1_11comp_targetILNS1_3genE3ELNS1_11target_archE908ELNS1_3gpuE7ELNS1_3repE0EEENS1_30default_config_static_selectorELNS0_4arch9wavefront6targetE1EEEvT1_
		.amdhsa_group_segment_fixed_size 0
		.amdhsa_private_segment_fixed_size 0
		.amdhsa_kernarg_size 112
		.amdhsa_user_sgpr_count 6
		.amdhsa_user_sgpr_private_segment_buffer 1
		.amdhsa_user_sgpr_dispatch_ptr 0
		.amdhsa_user_sgpr_queue_ptr 0
		.amdhsa_user_sgpr_kernarg_segment_ptr 1
		.amdhsa_user_sgpr_dispatch_id 0
		.amdhsa_user_sgpr_flat_scratch_init 0
		.amdhsa_user_sgpr_kernarg_preload_length 0
		.amdhsa_user_sgpr_kernarg_preload_offset 0
		.amdhsa_user_sgpr_private_segment_size 0
		.amdhsa_uses_dynamic_stack 0
		.amdhsa_system_sgpr_private_segment_wavefront_offset 0
		.amdhsa_system_sgpr_workgroup_id_x 1
		.amdhsa_system_sgpr_workgroup_id_y 0
		.amdhsa_system_sgpr_workgroup_id_z 0
		.amdhsa_system_sgpr_workgroup_info 0
		.amdhsa_system_vgpr_workitem_id 0
		.amdhsa_next_free_vgpr 1
		.amdhsa_next_free_sgpr 0
		.amdhsa_accum_offset 4
		.amdhsa_reserve_vcc 0
		.amdhsa_reserve_flat_scratch 0
		.amdhsa_float_round_mode_32 0
		.amdhsa_float_round_mode_16_64 0
		.amdhsa_float_denorm_mode_32 3
		.amdhsa_float_denorm_mode_16_64 3
		.amdhsa_dx10_clamp 1
		.amdhsa_ieee_mode 1
		.amdhsa_fp16_overflow 0
		.amdhsa_tg_split 0
		.amdhsa_exception_fp_ieee_invalid_op 0
		.amdhsa_exception_fp_denorm_src 0
		.amdhsa_exception_fp_ieee_div_zero 0
		.amdhsa_exception_fp_ieee_overflow 0
		.amdhsa_exception_fp_ieee_underflow 0
		.amdhsa_exception_fp_ieee_inexact 0
		.amdhsa_exception_int_div_zero 0
	.end_amdhsa_kernel
	.section	.text._ZN7rocprim17ROCPRIM_400000_NS6detail17trampoline_kernelINS0_14default_configENS1_27scan_by_key_config_selectorIssEEZZNS1_16scan_by_key_implILNS1_25lookback_scan_determinismE0ELb1ES3_N6thrust23THRUST_200600_302600_NS6detail15normal_iteratorINS9_10device_ptrIsEEEESE_SE_sNS9_10multipliesIsEENS9_8equal_toIsEEsEE10hipError_tPvRmT2_T3_T4_T5_mT6_T7_P12ihipStream_tbENKUlT_T0_E_clISt17integral_constantIbLb0EESY_IbLb1EEEEDaSU_SV_EUlSU_E_NS1_11comp_targetILNS1_3genE3ELNS1_11target_archE908ELNS1_3gpuE7ELNS1_3repE0EEENS1_30default_config_static_selectorELNS0_4arch9wavefront6targetE1EEEvT1_,"axG",@progbits,_ZN7rocprim17ROCPRIM_400000_NS6detail17trampoline_kernelINS0_14default_configENS1_27scan_by_key_config_selectorIssEEZZNS1_16scan_by_key_implILNS1_25lookback_scan_determinismE0ELb1ES3_N6thrust23THRUST_200600_302600_NS6detail15normal_iteratorINS9_10device_ptrIsEEEESE_SE_sNS9_10multipliesIsEENS9_8equal_toIsEEsEE10hipError_tPvRmT2_T3_T4_T5_mT6_T7_P12ihipStream_tbENKUlT_T0_E_clISt17integral_constantIbLb0EESY_IbLb1EEEEDaSU_SV_EUlSU_E_NS1_11comp_targetILNS1_3genE3ELNS1_11target_archE908ELNS1_3gpuE7ELNS1_3repE0EEENS1_30default_config_static_selectorELNS0_4arch9wavefront6targetE1EEEvT1_,comdat
.Lfunc_end636:
	.size	_ZN7rocprim17ROCPRIM_400000_NS6detail17trampoline_kernelINS0_14default_configENS1_27scan_by_key_config_selectorIssEEZZNS1_16scan_by_key_implILNS1_25lookback_scan_determinismE0ELb1ES3_N6thrust23THRUST_200600_302600_NS6detail15normal_iteratorINS9_10device_ptrIsEEEESE_SE_sNS9_10multipliesIsEENS9_8equal_toIsEEsEE10hipError_tPvRmT2_T3_T4_T5_mT6_T7_P12ihipStream_tbENKUlT_T0_E_clISt17integral_constantIbLb0EESY_IbLb1EEEEDaSU_SV_EUlSU_E_NS1_11comp_targetILNS1_3genE3ELNS1_11target_archE908ELNS1_3gpuE7ELNS1_3repE0EEENS1_30default_config_static_selectorELNS0_4arch9wavefront6targetE1EEEvT1_, .Lfunc_end636-_ZN7rocprim17ROCPRIM_400000_NS6detail17trampoline_kernelINS0_14default_configENS1_27scan_by_key_config_selectorIssEEZZNS1_16scan_by_key_implILNS1_25lookback_scan_determinismE0ELb1ES3_N6thrust23THRUST_200600_302600_NS6detail15normal_iteratorINS9_10device_ptrIsEEEESE_SE_sNS9_10multipliesIsEENS9_8equal_toIsEEsEE10hipError_tPvRmT2_T3_T4_T5_mT6_T7_P12ihipStream_tbENKUlT_T0_E_clISt17integral_constantIbLb0EESY_IbLb1EEEEDaSU_SV_EUlSU_E_NS1_11comp_targetILNS1_3genE3ELNS1_11target_archE908ELNS1_3gpuE7ELNS1_3repE0EEENS1_30default_config_static_selectorELNS0_4arch9wavefront6targetE1EEEvT1_
                                        ; -- End function
	.section	.AMDGPU.csdata,"",@progbits
; Kernel info:
; codeLenInByte = 0
; NumSgprs: 4
; NumVgprs: 0
; NumAgprs: 0
; TotalNumVgprs: 0
; ScratchSize: 0
; MemoryBound: 0
; FloatMode: 240
; IeeeMode: 1
; LDSByteSize: 0 bytes/workgroup (compile time only)
; SGPRBlocks: 0
; VGPRBlocks: 0
; NumSGPRsForWavesPerEU: 4
; NumVGPRsForWavesPerEU: 1
; AccumOffset: 4
; Occupancy: 8
; WaveLimiterHint : 0
; COMPUTE_PGM_RSRC2:SCRATCH_EN: 0
; COMPUTE_PGM_RSRC2:USER_SGPR: 6
; COMPUTE_PGM_RSRC2:TRAP_HANDLER: 0
; COMPUTE_PGM_RSRC2:TGID_X_EN: 1
; COMPUTE_PGM_RSRC2:TGID_Y_EN: 0
; COMPUTE_PGM_RSRC2:TGID_Z_EN: 0
; COMPUTE_PGM_RSRC2:TIDIG_COMP_CNT: 0
; COMPUTE_PGM_RSRC3_GFX90A:ACCUM_OFFSET: 0
; COMPUTE_PGM_RSRC3_GFX90A:TG_SPLIT: 0
	.section	.text._ZN7rocprim17ROCPRIM_400000_NS6detail17trampoline_kernelINS0_14default_configENS1_27scan_by_key_config_selectorIssEEZZNS1_16scan_by_key_implILNS1_25lookback_scan_determinismE0ELb1ES3_N6thrust23THRUST_200600_302600_NS6detail15normal_iteratorINS9_10device_ptrIsEEEESE_SE_sNS9_10multipliesIsEENS9_8equal_toIsEEsEE10hipError_tPvRmT2_T3_T4_T5_mT6_T7_P12ihipStream_tbENKUlT_T0_E_clISt17integral_constantIbLb0EESY_IbLb1EEEEDaSU_SV_EUlSU_E_NS1_11comp_targetILNS1_3genE2ELNS1_11target_archE906ELNS1_3gpuE6ELNS1_3repE0EEENS1_30default_config_static_selectorELNS0_4arch9wavefront6targetE1EEEvT1_,"axG",@progbits,_ZN7rocprim17ROCPRIM_400000_NS6detail17trampoline_kernelINS0_14default_configENS1_27scan_by_key_config_selectorIssEEZZNS1_16scan_by_key_implILNS1_25lookback_scan_determinismE0ELb1ES3_N6thrust23THRUST_200600_302600_NS6detail15normal_iteratorINS9_10device_ptrIsEEEESE_SE_sNS9_10multipliesIsEENS9_8equal_toIsEEsEE10hipError_tPvRmT2_T3_T4_T5_mT6_T7_P12ihipStream_tbENKUlT_T0_E_clISt17integral_constantIbLb0EESY_IbLb1EEEEDaSU_SV_EUlSU_E_NS1_11comp_targetILNS1_3genE2ELNS1_11target_archE906ELNS1_3gpuE6ELNS1_3repE0EEENS1_30default_config_static_selectorELNS0_4arch9wavefront6targetE1EEEvT1_,comdat
	.protected	_ZN7rocprim17ROCPRIM_400000_NS6detail17trampoline_kernelINS0_14default_configENS1_27scan_by_key_config_selectorIssEEZZNS1_16scan_by_key_implILNS1_25lookback_scan_determinismE0ELb1ES3_N6thrust23THRUST_200600_302600_NS6detail15normal_iteratorINS9_10device_ptrIsEEEESE_SE_sNS9_10multipliesIsEENS9_8equal_toIsEEsEE10hipError_tPvRmT2_T3_T4_T5_mT6_T7_P12ihipStream_tbENKUlT_T0_E_clISt17integral_constantIbLb0EESY_IbLb1EEEEDaSU_SV_EUlSU_E_NS1_11comp_targetILNS1_3genE2ELNS1_11target_archE906ELNS1_3gpuE6ELNS1_3repE0EEENS1_30default_config_static_selectorELNS0_4arch9wavefront6targetE1EEEvT1_ ; -- Begin function _ZN7rocprim17ROCPRIM_400000_NS6detail17trampoline_kernelINS0_14default_configENS1_27scan_by_key_config_selectorIssEEZZNS1_16scan_by_key_implILNS1_25lookback_scan_determinismE0ELb1ES3_N6thrust23THRUST_200600_302600_NS6detail15normal_iteratorINS9_10device_ptrIsEEEESE_SE_sNS9_10multipliesIsEENS9_8equal_toIsEEsEE10hipError_tPvRmT2_T3_T4_T5_mT6_T7_P12ihipStream_tbENKUlT_T0_E_clISt17integral_constantIbLb0EESY_IbLb1EEEEDaSU_SV_EUlSU_E_NS1_11comp_targetILNS1_3genE2ELNS1_11target_archE906ELNS1_3gpuE6ELNS1_3repE0EEENS1_30default_config_static_selectorELNS0_4arch9wavefront6targetE1EEEvT1_
	.globl	_ZN7rocprim17ROCPRIM_400000_NS6detail17trampoline_kernelINS0_14default_configENS1_27scan_by_key_config_selectorIssEEZZNS1_16scan_by_key_implILNS1_25lookback_scan_determinismE0ELb1ES3_N6thrust23THRUST_200600_302600_NS6detail15normal_iteratorINS9_10device_ptrIsEEEESE_SE_sNS9_10multipliesIsEENS9_8equal_toIsEEsEE10hipError_tPvRmT2_T3_T4_T5_mT6_T7_P12ihipStream_tbENKUlT_T0_E_clISt17integral_constantIbLb0EESY_IbLb1EEEEDaSU_SV_EUlSU_E_NS1_11comp_targetILNS1_3genE2ELNS1_11target_archE906ELNS1_3gpuE6ELNS1_3repE0EEENS1_30default_config_static_selectorELNS0_4arch9wavefront6targetE1EEEvT1_
	.p2align	8
	.type	_ZN7rocprim17ROCPRIM_400000_NS6detail17trampoline_kernelINS0_14default_configENS1_27scan_by_key_config_selectorIssEEZZNS1_16scan_by_key_implILNS1_25lookback_scan_determinismE0ELb1ES3_N6thrust23THRUST_200600_302600_NS6detail15normal_iteratorINS9_10device_ptrIsEEEESE_SE_sNS9_10multipliesIsEENS9_8equal_toIsEEsEE10hipError_tPvRmT2_T3_T4_T5_mT6_T7_P12ihipStream_tbENKUlT_T0_E_clISt17integral_constantIbLb0EESY_IbLb1EEEEDaSU_SV_EUlSU_E_NS1_11comp_targetILNS1_3genE2ELNS1_11target_archE906ELNS1_3gpuE6ELNS1_3repE0EEENS1_30default_config_static_selectorELNS0_4arch9wavefront6targetE1EEEvT1_,@function
_ZN7rocprim17ROCPRIM_400000_NS6detail17trampoline_kernelINS0_14default_configENS1_27scan_by_key_config_selectorIssEEZZNS1_16scan_by_key_implILNS1_25lookback_scan_determinismE0ELb1ES3_N6thrust23THRUST_200600_302600_NS6detail15normal_iteratorINS9_10device_ptrIsEEEESE_SE_sNS9_10multipliesIsEENS9_8equal_toIsEEsEE10hipError_tPvRmT2_T3_T4_T5_mT6_T7_P12ihipStream_tbENKUlT_T0_E_clISt17integral_constantIbLb0EESY_IbLb1EEEEDaSU_SV_EUlSU_E_NS1_11comp_targetILNS1_3genE2ELNS1_11target_archE906ELNS1_3gpuE6ELNS1_3repE0EEENS1_30default_config_static_selectorELNS0_4arch9wavefront6targetE1EEEvT1_: ; @_ZN7rocprim17ROCPRIM_400000_NS6detail17trampoline_kernelINS0_14default_configENS1_27scan_by_key_config_selectorIssEEZZNS1_16scan_by_key_implILNS1_25lookback_scan_determinismE0ELb1ES3_N6thrust23THRUST_200600_302600_NS6detail15normal_iteratorINS9_10device_ptrIsEEEESE_SE_sNS9_10multipliesIsEENS9_8equal_toIsEEsEE10hipError_tPvRmT2_T3_T4_T5_mT6_T7_P12ihipStream_tbENKUlT_T0_E_clISt17integral_constantIbLb0EESY_IbLb1EEEEDaSU_SV_EUlSU_E_NS1_11comp_targetILNS1_3genE2ELNS1_11target_archE906ELNS1_3gpuE6ELNS1_3repE0EEENS1_30default_config_static_selectorELNS0_4arch9wavefront6targetE1EEEvT1_
; %bb.0:
	.section	.rodata,"a",@progbits
	.p2align	6, 0x0
	.amdhsa_kernel _ZN7rocprim17ROCPRIM_400000_NS6detail17trampoline_kernelINS0_14default_configENS1_27scan_by_key_config_selectorIssEEZZNS1_16scan_by_key_implILNS1_25lookback_scan_determinismE0ELb1ES3_N6thrust23THRUST_200600_302600_NS6detail15normal_iteratorINS9_10device_ptrIsEEEESE_SE_sNS9_10multipliesIsEENS9_8equal_toIsEEsEE10hipError_tPvRmT2_T3_T4_T5_mT6_T7_P12ihipStream_tbENKUlT_T0_E_clISt17integral_constantIbLb0EESY_IbLb1EEEEDaSU_SV_EUlSU_E_NS1_11comp_targetILNS1_3genE2ELNS1_11target_archE906ELNS1_3gpuE6ELNS1_3repE0EEENS1_30default_config_static_selectorELNS0_4arch9wavefront6targetE1EEEvT1_
		.amdhsa_group_segment_fixed_size 0
		.amdhsa_private_segment_fixed_size 0
		.amdhsa_kernarg_size 112
		.amdhsa_user_sgpr_count 6
		.amdhsa_user_sgpr_private_segment_buffer 1
		.amdhsa_user_sgpr_dispatch_ptr 0
		.amdhsa_user_sgpr_queue_ptr 0
		.amdhsa_user_sgpr_kernarg_segment_ptr 1
		.amdhsa_user_sgpr_dispatch_id 0
		.amdhsa_user_sgpr_flat_scratch_init 0
		.amdhsa_user_sgpr_kernarg_preload_length 0
		.amdhsa_user_sgpr_kernarg_preload_offset 0
		.amdhsa_user_sgpr_private_segment_size 0
		.amdhsa_uses_dynamic_stack 0
		.amdhsa_system_sgpr_private_segment_wavefront_offset 0
		.amdhsa_system_sgpr_workgroup_id_x 1
		.amdhsa_system_sgpr_workgroup_id_y 0
		.amdhsa_system_sgpr_workgroup_id_z 0
		.amdhsa_system_sgpr_workgroup_info 0
		.amdhsa_system_vgpr_workitem_id 0
		.amdhsa_next_free_vgpr 1
		.amdhsa_next_free_sgpr 0
		.amdhsa_accum_offset 4
		.amdhsa_reserve_vcc 0
		.amdhsa_reserve_flat_scratch 0
		.amdhsa_float_round_mode_32 0
		.amdhsa_float_round_mode_16_64 0
		.amdhsa_float_denorm_mode_32 3
		.amdhsa_float_denorm_mode_16_64 3
		.amdhsa_dx10_clamp 1
		.amdhsa_ieee_mode 1
		.amdhsa_fp16_overflow 0
		.amdhsa_tg_split 0
		.amdhsa_exception_fp_ieee_invalid_op 0
		.amdhsa_exception_fp_denorm_src 0
		.amdhsa_exception_fp_ieee_div_zero 0
		.amdhsa_exception_fp_ieee_overflow 0
		.amdhsa_exception_fp_ieee_underflow 0
		.amdhsa_exception_fp_ieee_inexact 0
		.amdhsa_exception_int_div_zero 0
	.end_amdhsa_kernel
	.section	.text._ZN7rocprim17ROCPRIM_400000_NS6detail17trampoline_kernelINS0_14default_configENS1_27scan_by_key_config_selectorIssEEZZNS1_16scan_by_key_implILNS1_25lookback_scan_determinismE0ELb1ES3_N6thrust23THRUST_200600_302600_NS6detail15normal_iteratorINS9_10device_ptrIsEEEESE_SE_sNS9_10multipliesIsEENS9_8equal_toIsEEsEE10hipError_tPvRmT2_T3_T4_T5_mT6_T7_P12ihipStream_tbENKUlT_T0_E_clISt17integral_constantIbLb0EESY_IbLb1EEEEDaSU_SV_EUlSU_E_NS1_11comp_targetILNS1_3genE2ELNS1_11target_archE906ELNS1_3gpuE6ELNS1_3repE0EEENS1_30default_config_static_selectorELNS0_4arch9wavefront6targetE1EEEvT1_,"axG",@progbits,_ZN7rocprim17ROCPRIM_400000_NS6detail17trampoline_kernelINS0_14default_configENS1_27scan_by_key_config_selectorIssEEZZNS1_16scan_by_key_implILNS1_25lookback_scan_determinismE0ELb1ES3_N6thrust23THRUST_200600_302600_NS6detail15normal_iteratorINS9_10device_ptrIsEEEESE_SE_sNS9_10multipliesIsEENS9_8equal_toIsEEsEE10hipError_tPvRmT2_T3_T4_T5_mT6_T7_P12ihipStream_tbENKUlT_T0_E_clISt17integral_constantIbLb0EESY_IbLb1EEEEDaSU_SV_EUlSU_E_NS1_11comp_targetILNS1_3genE2ELNS1_11target_archE906ELNS1_3gpuE6ELNS1_3repE0EEENS1_30default_config_static_selectorELNS0_4arch9wavefront6targetE1EEEvT1_,comdat
.Lfunc_end637:
	.size	_ZN7rocprim17ROCPRIM_400000_NS6detail17trampoline_kernelINS0_14default_configENS1_27scan_by_key_config_selectorIssEEZZNS1_16scan_by_key_implILNS1_25lookback_scan_determinismE0ELb1ES3_N6thrust23THRUST_200600_302600_NS6detail15normal_iteratorINS9_10device_ptrIsEEEESE_SE_sNS9_10multipliesIsEENS9_8equal_toIsEEsEE10hipError_tPvRmT2_T3_T4_T5_mT6_T7_P12ihipStream_tbENKUlT_T0_E_clISt17integral_constantIbLb0EESY_IbLb1EEEEDaSU_SV_EUlSU_E_NS1_11comp_targetILNS1_3genE2ELNS1_11target_archE906ELNS1_3gpuE6ELNS1_3repE0EEENS1_30default_config_static_selectorELNS0_4arch9wavefront6targetE1EEEvT1_, .Lfunc_end637-_ZN7rocprim17ROCPRIM_400000_NS6detail17trampoline_kernelINS0_14default_configENS1_27scan_by_key_config_selectorIssEEZZNS1_16scan_by_key_implILNS1_25lookback_scan_determinismE0ELb1ES3_N6thrust23THRUST_200600_302600_NS6detail15normal_iteratorINS9_10device_ptrIsEEEESE_SE_sNS9_10multipliesIsEENS9_8equal_toIsEEsEE10hipError_tPvRmT2_T3_T4_T5_mT6_T7_P12ihipStream_tbENKUlT_T0_E_clISt17integral_constantIbLb0EESY_IbLb1EEEEDaSU_SV_EUlSU_E_NS1_11comp_targetILNS1_3genE2ELNS1_11target_archE906ELNS1_3gpuE6ELNS1_3repE0EEENS1_30default_config_static_selectorELNS0_4arch9wavefront6targetE1EEEvT1_
                                        ; -- End function
	.section	.AMDGPU.csdata,"",@progbits
; Kernel info:
; codeLenInByte = 0
; NumSgprs: 4
; NumVgprs: 0
; NumAgprs: 0
; TotalNumVgprs: 0
; ScratchSize: 0
; MemoryBound: 0
; FloatMode: 240
; IeeeMode: 1
; LDSByteSize: 0 bytes/workgroup (compile time only)
; SGPRBlocks: 0
; VGPRBlocks: 0
; NumSGPRsForWavesPerEU: 4
; NumVGPRsForWavesPerEU: 1
; AccumOffset: 4
; Occupancy: 8
; WaveLimiterHint : 0
; COMPUTE_PGM_RSRC2:SCRATCH_EN: 0
; COMPUTE_PGM_RSRC2:USER_SGPR: 6
; COMPUTE_PGM_RSRC2:TRAP_HANDLER: 0
; COMPUTE_PGM_RSRC2:TGID_X_EN: 1
; COMPUTE_PGM_RSRC2:TGID_Y_EN: 0
; COMPUTE_PGM_RSRC2:TGID_Z_EN: 0
; COMPUTE_PGM_RSRC2:TIDIG_COMP_CNT: 0
; COMPUTE_PGM_RSRC3_GFX90A:ACCUM_OFFSET: 0
; COMPUTE_PGM_RSRC3_GFX90A:TG_SPLIT: 0
	.section	.text._ZN7rocprim17ROCPRIM_400000_NS6detail17trampoline_kernelINS0_14default_configENS1_27scan_by_key_config_selectorIssEEZZNS1_16scan_by_key_implILNS1_25lookback_scan_determinismE0ELb1ES3_N6thrust23THRUST_200600_302600_NS6detail15normal_iteratorINS9_10device_ptrIsEEEESE_SE_sNS9_10multipliesIsEENS9_8equal_toIsEEsEE10hipError_tPvRmT2_T3_T4_T5_mT6_T7_P12ihipStream_tbENKUlT_T0_E_clISt17integral_constantIbLb0EESY_IbLb1EEEEDaSU_SV_EUlSU_E_NS1_11comp_targetILNS1_3genE10ELNS1_11target_archE1200ELNS1_3gpuE4ELNS1_3repE0EEENS1_30default_config_static_selectorELNS0_4arch9wavefront6targetE1EEEvT1_,"axG",@progbits,_ZN7rocprim17ROCPRIM_400000_NS6detail17trampoline_kernelINS0_14default_configENS1_27scan_by_key_config_selectorIssEEZZNS1_16scan_by_key_implILNS1_25lookback_scan_determinismE0ELb1ES3_N6thrust23THRUST_200600_302600_NS6detail15normal_iteratorINS9_10device_ptrIsEEEESE_SE_sNS9_10multipliesIsEENS9_8equal_toIsEEsEE10hipError_tPvRmT2_T3_T4_T5_mT6_T7_P12ihipStream_tbENKUlT_T0_E_clISt17integral_constantIbLb0EESY_IbLb1EEEEDaSU_SV_EUlSU_E_NS1_11comp_targetILNS1_3genE10ELNS1_11target_archE1200ELNS1_3gpuE4ELNS1_3repE0EEENS1_30default_config_static_selectorELNS0_4arch9wavefront6targetE1EEEvT1_,comdat
	.protected	_ZN7rocprim17ROCPRIM_400000_NS6detail17trampoline_kernelINS0_14default_configENS1_27scan_by_key_config_selectorIssEEZZNS1_16scan_by_key_implILNS1_25lookback_scan_determinismE0ELb1ES3_N6thrust23THRUST_200600_302600_NS6detail15normal_iteratorINS9_10device_ptrIsEEEESE_SE_sNS9_10multipliesIsEENS9_8equal_toIsEEsEE10hipError_tPvRmT2_T3_T4_T5_mT6_T7_P12ihipStream_tbENKUlT_T0_E_clISt17integral_constantIbLb0EESY_IbLb1EEEEDaSU_SV_EUlSU_E_NS1_11comp_targetILNS1_3genE10ELNS1_11target_archE1200ELNS1_3gpuE4ELNS1_3repE0EEENS1_30default_config_static_selectorELNS0_4arch9wavefront6targetE1EEEvT1_ ; -- Begin function _ZN7rocprim17ROCPRIM_400000_NS6detail17trampoline_kernelINS0_14default_configENS1_27scan_by_key_config_selectorIssEEZZNS1_16scan_by_key_implILNS1_25lookback_scan_determinismE0ELb1ES3_N6thrust23THRUST_200600_302600_NS6detail15normal_iteratorINS9_10device_ptrIsEEEESE_SE_sNS9_10multipliesIsEENS9_8equal_toIsEEsEE10hipError_tPvRmT2_T3_T4_T5_mT6_T7_P12ihipStream_tbENKUlT_T0_E_clISt17integral_constantIbLb0EESY_IbLb1EEEEDaSU_SV_EUlSU_E_NS1_11comp_targetILNS1_3genE10ELNS1_11target_archE1200ELNS1_3gpuE4ELNS1_3repE0EEENS1_30default_config_static_selectorELNS0_4arch9wavefront6targetE1EEEvT1_
	.globl	_ZN7rocprim17ROCPRIM_400000_NS6detail17trampoline_kernelINS0_14default_configENS1_27scan_by_key_config_selectorIssEEZZNS1_16scan_by_key_implILNS1_25lookback_scan_determinismE0ELb1ES3_N6thrust23THRUST_200600_302600_NS6detail15normal_iteratorINS9_10device_ptrIsEEEESE_SE_sNS9_10multipliesIsEENS9_8equal_toIsEEsEE10hipError_tPvRmT2_T3_T4_T5_mT6_T7_P12ihipStream_tbENKUlT_T0_E_clISt17integral_constantIbLb0EESY_IbLb1EEEEDaSU_SV_EUlSU_E_NS1_11comp_targetILNS1_3genE10ELNS1_11target_archE1200ELNS1_3gpuE4ELNS1_3repE0EEENS1_30default_config_static_selectorELNS0_4arch9wavefront6targetE1EEEvT1_
	.p2align	8
	.type	_ZN7rocprim17ROCPRIM_400000_NS6detail17trampoline_kernelINS0_14default_configENS1_27scan_by_key_config_selectorIssEEZZNS1_16scan_by_key_implILNS1_25lookback_scan_determinismE0ELb1ES3_N6thrust23THRUST_200600_302600_NS6detail15normal_iteratorINS9_10device_ptrIsEEEESE_SE_sNS9_10multipliesIsEENS9_8equal_toIsEEsEE10hipError_tPvRmT2_T3_T4_T5_mT6_T7_P12ihipStream_tbENKUlT_T0_E_clISt17integral_constantIbLb0EESY_IbLb1EEEEDaSU_SV_EUlSU_E_NS1_11comp_targetILNS1_3genE10ELNS1_11target_archE1200ELNS1_3gpuE4ELNS1_3repE0EEENS1_30default_config_static_selectorELNS0_4arch9wavefront6targetE1EEEvT1_,@function
_ZN7rocprim17ROCPRIM_400000_NS6detail17trampoline_kernelINS0_14default_configENS1_27scan_by_key_config_selectorIssEEZZNS1_16scan_by_key_implILNS1_25lookback_scan_determinismE0ELb1ES3_N6thrust23THRUST_200600_302600_NS6detail15normal_iteratorINS9_10device_ptrIsEEEESE_SE_sNS9_10multipliesIsEENS9_8equal_toIsEEsEE10hipError_tPvRmT2_T3_T4_T5_mT6_T7_P12ihipStream_tbENKUlT_T0_E_clISt17integral_constantIbLb0EESY_IbLb1EEEEDaSU_SV_EUlSU_E_NS1_11comp_targetILNS1_3genE10ELNS1_11target_archE1200ELNS1_3gpuE4ELNS1_3repE0EEENS1_30default_config_static_selectorELNS0_4arch9wavefront6targetE1EEEvT1_: ; @_ZN7rocprim17ROCPRIM_400000_NS6detail17trampoline_kernelINS0_14default_configENS1_27scan_by_key_config_selectorIssEEZZNS1_16scan_by_key_implILNS1_25lookback_scan_determinismE0ELb1ES3_N6thrust23THRUST_200600_302600_NS6detail15normal_iteratorINS9_10device_ptrIsEEEESE_SE_sNS9_10multipliesIsEENS9_8equal_toIsEEsEE10hipError_tPvRmT2_T3_T4_T5_mT6_T7_P12ihipStream_tbENKUlT_T0_E_clISt17integral_constantIbLb0EESY_IbLb1EEEEDaSU_SV_EUlSU_E_NS1_11comp_targetILNS1_3genE10ELNS1_11target_archE1200ELNS1_3gpuE4ELNS1_3repE0EEENS1_30default_config_static_selectorELNS0_4arch9wavefront6targetE1EEEvT1_
; %bb.0:
	.section	.rodata,"a",@progbits
	.p2align	6, 0x0
	.amdhsa_kernel _ZN7rocprim17ROCPRIM_400000_NS6detail17trampoline_kernelINS0_14default_configENS1_27scan_by_key_config_selectorIssEEZZNS1_16scan_by_key_implILNS1_25lookback_scan_determinismE0ELb1ES3_N6thrust23THRUST_200600_302600_NS6detail15normal_iteratorINS9_10device_ptrIsEEEESE_SE_sNS9_10multipliesIsEENS9_8equal_toIsEEsEE10hipError_tPvRmT2_T3_T4_T5_mT6_T7_P12ihipStream_tbENKUlT_T0_E_clISt17integral_constantIbLb0EESY_IbLb1EEEEDaSU_SV_EUlSU_E_NS1_11comp_targetILNS1_3genE10ELNS1_11target_archE1200ELNS1_3gpuE4ELNS1_3repE0EEENS1_30default_config_static_selectorELNS0_4arch9wavefront6targetE1EEEvT1_
		.amdhsa_group_segment_fixed_size 0
		.amdhsa_private_segment_fixed_size 0
		.amdhsa_kernarg_size 112
		.amdhsa_user_sgpr_count 6
		.amdhsa_user_sgpr_private_segment_buffer 1
		.amdhsa_user_sgpr_dispatch_ptr 0
		.amdhsa_user_sgpr_queue_ptr 0
		.amdhsa_user_sgpr_kernarg_segment_ptr 1
		.amdhsa_user_sgpr_dispatch_id 0
		.amdhsa_user_sgpr_flat_scratch_init 0
		.amdhsa_user_sgpr_kernarg_preload_length 0
		.amdhsa_user_sgpr_kernarg_preload_offset 0
		.amdhsa_user_sgpr_private_segment_size 0
		.amdhsa_uses_dynamic_stack 0
		.amdhsa_system_sgpr_private_segment_wavefront_offset 0
		.amdhsa_system_sgpr_workgroup_id_x 1
		.amdhsa_system_sgpr_workgroup_id_y 0
		.amdhsa_system_sgpr_workgroup_id_z 0
		.amdhsa_system_sgpr_workgroup_info 0
		.amdhsa_system_vgpr_workitem_id 0
		.amdhsa_next_free_vgpr 1
		.amdhsa_next_free_sgpr 0
		.amdhsa_accum_offset 4
		.amdhsa_reserve_vcc 0
		.amdhsa_reserve_flat_scratch 0
		.amdhsa_float_round_mode_32 0
		.amdhsa_float_round_mode_16_64 0
		.amdhsa_float_denorm_mode_32 3
		.amdhsa_float_denorm_mode_16_64 3
		.amdhsa_dx10_clamp 1
		.amdhsa_ieee_mode 1
		.amdhsa_fp16_overflow 0
		.amdhsa_tg_split 0
		.amdhsa_exception_fp_ieee_invalid_op 0
		.amdhsa_exception_fp_denorm_src 0
		.amdhsa_exception_fp_ieee_div_zero 0
		.amdhsa_exception_fp_ieee_overflow 0
		.amdhsa_exception_fp_ieee_underflow 0
		.amdhsa_exception_fp_ieee_inexact 0
		.amdhsa_exception_int_div_zero 0
	.end_amdhsa_kernel
	.section	.text._ZN7rocprim17ROCPRIM_400000_NS6detail17trampoline_kernelINS0_14default_configENS1_27scan_by_key_config_selectorIssEEZZNS1_16scan_by_key_implILNS1_25lookback_scan_determinismE0ELb1ES3_N6thrust23THRUST_200600_302600_NS6detail15normal_iteratorINS9_10device_ptrIsEEEESE_SE_sNS9_10multipliesIsEENS9_8equal_toIsEEsEE10hipError_tPvRmT2_T3_T4_T5_mT6_T7_P12ihipStream_tbENKUlT_T0_E_clISt17integral_constantIbLb0EESY_IbLb1EEEEDaSU_SV_EUlSU_E_NS1_11comp_targetILNS1_3genE10ELNS1_11target_archE1200ELNS1_3gpuE4ELNS1_3repE0EEENS1_30default_config_static_selectorELNS0_4arch9wavefront6targetE1EEEvT1_,"axG",@progbits,_ZN7rocprim17ROCPRIM_400000_NS6detail17trampoline_kernelINS0_14default_configENS1_27scan_by_key_config_selectorIssEEZZNS1_16scan_by_key_implILNS1_25lookback_scan_determinismE0ELb1ES3_N6thrust23THRUST_200600_302600_NS6detail15normal_iteratorINS9_10device_ptrIsEEEESE_SE_sNS9_10multipliesIsEENS9_8equal_toIsEEsEE10hipError_tPvRmT2_T3_T4_T5_mT6_T7_P12ihipStream_tbENKUlT_T0_E_clISt17integral_constantIbLb0EESY_IbLb1EEEEDaSU_SV_EUlSU_E_NS1_11comp_targetILNS1_3genE10ELNS1_11target_archE1200ELNS1_3gpuE4ELNS1_3repE0EEENS1_30default_config_static_selectorELNS0_4arch9wavefront6targetE1EEEvT1_,comdat
.Lfunc_end638:
	.size	_ZN7rocprim17ROCPRIM_400000_NS6detail17trampoline_kernelINS0_14default_configENS1_27scan_by_key_config_selectorIssEEZZNS1_16scan_by_key_implILNS1_25lookback_scan_determinismE0ELb1ES3_N6thrust23THRUST_200600_302600_NS6detail15normal_iteratorINS9_10device_ptrIsEEEESE_SE_sNS9_10multipliesIsEENS9_8equal_toIsEEsEE10hipError_tPvRmT2_T3_T4_T5_mT6_T7_P12ihipStream_tbENKUlT_T0_E_clISt17integral_constantIbLb0EESY_IbLb1EEEEDaSU_SV_EUlSU_E_NS1_11comp_targetILNS1_3genE10ELNS1_11target_archE1200ELNS1_3gpuE4ELNS1_3repE0EEENS1_30default_config_static_selectorELNS0_4arch9wavefront6targetE1EEEvT1_, .Lfunc_end638-_ZN7rocprim17ROCPRIM_400000_NS6detail17trampoline_kernelINS0_14default_configENS1_27scan_by_key_config_selectorIssEEZZNS1_16scan_by_key_implILNS1_25lookback_scan_determinismE0ELb1ES3_N6thrust23THRUST_200600_302600_NS6detail15normal_iteratorINS9_10device_ptrIsEEEESE_SE_sNS9_10multipliesIsEENS9_8equal_toIsEEsEE10hipError_tPvRmT2_T3_T4_T5_mT6_T7_P12ihipStream_tbENKUlT_T0_E_clISt17integral_constantIbLb0EESY_IbLb1EEEEDaSU_SV_EUlSU_E_NS1_11comp_targetILNS1_3genE10ELNS1_11target_archE1200ELNS1_3gpuE4ELNS1_3repE0EEENS1_30default_config_static_selectorELNS0_4arch9wavefront6targetE1EEEvT1_
                                        ; -- End function
	.section	.AMDGPU.csdata,"",@progbits
; Kernel info:
; codeLenInByte = 0
; NumSgprs: 4
; NumVgprs: 0
; NumAgprs: 0
; TotalNumVgprs: 0
; ScratchSize: 0
; MemoryBound: 0
; FloatMode: 240
; IeeeMode: 1
; LDSByteSize: 0 bytes/workgroup (compile time only)
; SGPRBlocks: 0
; VGPRBlocks: 0
; NumSGPRsForWavesPerEU: 4
; NumVGPRsForWavesPerEU: 1
; AccumOffset: 4
; Occupancy: 8
; WaveLimiterHint : 0
; COMPUTE_PGM_RSRC2:SCRATCH_EN: 0
; COMPUTE_PGM_RSRC2:USER_SGPR: 6
; COMPUTE_PGM_RSRC2:TRAP_HANDLER: 0
; COMPUTE_PGM_RSRC2:TGID_X_EN: 1
; COMPUTE_PGM_RSRC2:TGID_Y_EN: 0
; COMPUTE_PGM_RSRC2:TGID_Z_EN: 0
; COMPUTE_PGM_RSRC2:TIDIG_COMP_CNT: 0
; COMPUTE_PGM_RSRC3_GFX90A:ACCUM_OFFSET: 0
; COMPUTE_PGM_RSRC3_GFX90A:TG_SPLIT: 0
	.section	.text._ZN7rocprim17ROCPRIM_400000_NS6detail17trampoline_kernelINS0_14default_configENS1_27scan_by_key_config_selectorIssEEZZNS1_16scan_by_key_implILNS1_25lookback_scan_determinismE0ELb1ES3_N6thrust23THRUST_200600_302600_NS6detail15normal_iteratorINS9_10device_ptrIsEEEESE_SE_sNS9_10multipliesIsEENS9_8equal_toIsEEsEE10hipError_tPvRmT2_T3_T4_T5_mT6_T7_P12ihipStream_tbENKUlT_T0_E_clISt17integral_constantIbLb0EESY_IbLb1EEEEDaSU_SV_EUlSU_E_NS1_11comp_targetILNS1_3genE9ELNS1_11target_archE1100ELNS1_3gpuE3ELNS1_3repE0EEENS1_30default_config_static_selectorELNS0_4arch9wavefront6targetE1EEEvT1_,"axG",@progbits,_ZN7rocprim17ROCPRIM_400000_NS6detail17trampoline_kernelINS0_14default_configENS1_27scan_by_key_config_selectorIssEEZZNS1_16scan_by_key_implILNS1_25lookback_scan_determinismE0ELb1ES3_N6thrust23THRUST_200600_302600_NS6detail15normal_iteratorINS9_10device_ptrIsEEEESE_SE_sNS9_10multipliesIsEENS9_8equal_toIsEEsEE10hipError_tPvRmT2_T3_T4_T5_mT6_T7_P12ihipStream_tbENKUlT_T0_E_clISt17integral_constantIbLb0EESY_IbLb1EEEEDaSU_SV_EUlSU_E_NS1_11comp_targetILNS1_3genE9ELNS1_11target_archE1100ELNS1_3gpuE3ELNS1_3repE0EEENS1_30default_config_static_selectorELNS0_4arch9wavefront6targetE1EEEvT1_,comdat
	.protected	_ZN7rocprim17ROCPRIM_400000_NS6detail17trampoline_kernelINS0_14default_configENS1_27scan_by_key_config_selectorIssEEZZNS1_16scan_by_key_implILNS1_25lookback_scan_determinismE0ELb1ES3_N6thrust23THRUST_200600_302600_NS6detail15normal_iteratorINS9_10device_ptrIsEEEESE_SE_sNS9_10multipliesIsEENS9_8equal_toIsEEsEE10hipError_tPvRmT2_T3_T4_T5_mT6_T7_P12ihipStream_tbENKUlT_T0_E_clISt17integral_constantIbLb0EESY_IbLb1EEEEDaSU_SV_EUlSU_E_NS1_11comp_targetILNS1_3genE9ELNS1_11target_archE1100ELNS1_3gpuE3ELNS1_3repE0EEENS1_30default_config_static_selectorELNS0_4arch9wavefront6targetE1EEEvT1_ ; -- Begin function _ZN7rocprim17ROCPRIM_400000_NS6detail17trampoline_kernelINS0_14default_configENS1_27scan_by_key_config_selectorIssEEZZNS1_16scan_by_key_implILNS1_25lookback_scan_determinismE0ELb1ES3_N6thrust23THRUST_200600_302600_NS6detail15normal_iteratorINS9_10device_ptrIsEEEESE_SE_sNS9_10multipliesIsEENS9_8equal_toIsEEsEE10hipError_tPvRmT2_T3_T4_T5_mT6_T7_P12ihipStream_tbENKUlT_T0_E_clISt17integral_constantIbLb0EESY_IbLb1EEEEDaSU_SV_EUlSU_E_NS1_11comp_targetILNS1_3genE9ELNS1_11target_archE1100ELNS1_3gpuE3ELNS1_3repE0EEENS1_30default_config_static_selectorELNS0_4arch9wavefront6targetE1EEEvT1_
	.globl	_ZN7rocprim17ROCPRIM_400000_NS6detail17trampoline_kernelINS0_14default_configENS1_27scan_by_key_config_selectorIssEEZZNS1_16scan_by_key_implILNS1_25lookback_scan_determinismE0ELb1ES3_N6thrust23THRUST_200600_302600_NS6detail15normal_iteratorINS9_10device_ptrIsEEEESE_SE_sNS9_10multipliesIsEENS9_8equal_toIsEEsEE10hipError_tPvRmT2_T3_T4_T5_mT6_T7_P12ihipStream_tbENKUlT_T0_E_clISt17integral_constantIbLb0EESY_IbLb1EEEEDaSU_SV_EUlSU_E_NS1_11comp_targetILNS1_3genE9ELNS1_11target_archE1100ELNS1_3gpuE3ELNS1_3repE0EEENS1_30default_config_static_selectorELNS0_4arch9wavefront6targetE1EEEvT1_
	.p2align	8
	.type	_ZN7rocprim17ROCPRIM_400000_NS6detail17trampoline_kernelINS0_14default_configENS1_27scan_by_key_config_selectorIssEEZZNS1_16scan_by_key_implILNS1_25lookback_scan_determinismE0ELb1ES3_N6thrust23THRUST_200600_302600_NS6detail15normal_iteratorINS9_10device_ptrIsEEEESE_SE_sNS9_10multipliesIsEENS9_8equal_toIsEEsEE10hipError_tPvRmT2_T3_T4_T5_mT6_T7_P12ihipStream_tbENKUlT_T0_E_clISt17integral_constantIbLb0EESY_IbLb1EEEEDaSU_SV_EUlSU_E_NS1_11comp_targetILNS1_3genE9ELNS1_11target_archE1100ELNS1_3gpuE3ELNS1_3repE0EEENS1_30default_config_static_selectorELNS0_4arch9wavefront6targetE1EEEvT1_,@function
_ZN7rocprim17ROCPRIM_400000_NS6detail17trampoline_kernelINS0_14default_configENS1_27scan_by_key_config_selectorIssEEZZNS1_16scan_by_key_implILNS1_25lookback_scan_determinismE0ELb1ES3_N6thrust23THRUST_200600_302600_NS6detail15normal_iteratorINS9_10device_ptrIsEEEESE_SE_sNS9_10multipliesIsEENS9_8equal_toIsEEsEE10hipError_tPvRmT2_T3_T4_T5_mT6_T7_P12ihipStream_tbENKUlT_T0_E_clISt17integral_constantIbLb0EESY_IbLb1EEEEDaSU_SV_EUlSU_E_NS1_11comp_targetILNS1_3genE9ELNS1_11target_archE1100ELNS1_3gpuE3ELNS1_3repE0EEENS1_30default_config_static_selectorELNS0_4arch9wavefront6targetE1EEEvT1_: ; @_ZN7rocprim17ROCPRIM_400000_NS6detail17trampoline_kernelINS0_14default_configENS1_27scan_by_key_config_selectorIssEEZZNS1_16scan_by_key_implILNS1_25lookback_scan_determinismE0ELb1ES3_N6thrust23THRUST_200600_302600_NS6detail15normal_iteratorINS9_10device_ptrIsEEEESE_SE_sNS9_10multipliesIsEENS9_8equal_toIsEEsEE10hipError_tPvRmT2_T3_T4_T5_mT6_T7_P12ihipStream_tbENKUlT_T0_E_clISt17integral_constantIbLb0EESY_IbLb1EEEEDaSU_SV_EUlSU_E_NS1_11comp_targetILNS1_3genE9ELNS1_11target_archE1100ELNS1_3gpuE3ELNS1_3repE0EEENS1_30default_config_static_selectorELNS0_4arch9wavefront6targetE1EEEvT1_
; %bb.0:
	.section	.rodata,"a",@progbits
	.p2align	6, 0x0
	.amdhsa_kernel _ZN7rocprim17ROCPRIM_400000_NS6detail17trampoline_kernelINS0_14default_configENS1_27scan_by_key_config_selectorIssEEZZNS1_16scan_by_key_implILNS1_25lookback_scan_determinismE0ELb1ES3_N6thrust23THRUST_200600_302600_NS6detail15normal_iteratorINS9_10device_ptrIsEEEESE_SE_sNS9_10multipliesIsEENS9_8equal_toIsEEsEE10hipError_tPvRmT2_T3_T4_T5_mT6_T7_P12ihipStream_tbENKUlT_T0_E_clISt17integral_constantIbLb0EESY_IbLb1EEEEDaSU_SV_EUlSU_E_NS1_11comp_targetILNS1_3genE9ELNS1_11target_archE1100ELNS1_3gpuE3ELNS1_3repE0EEENS1_30default_config_static_selectorELNS0_4arch9wavefront6targetE1EEEvT1_
		.amdhsa_group_segment_fixed_size 0
		.amdhsa_private_segment_fixed_size 0
		.amdhsa_kernarg_size 112
		.amdhsa_user_sgpr_count 6
		.amdhsa_user_sgpr_private_segment_buffer 1
		.amdhsa_user_sgpr_dispatch_ptr 0
		.amdhsa_user_sgpr_queue_ptr 0
		.amdhsa_user_sgpr_kernarg_segment_ptr 1
		.amdhsa_user_sgpr_dispatch_id 0
		.amdhsa_user_sgpr_flat_scratch_init 0
		.amdhsa_user_sgpr_kernarg_preload_length 0
		.amdhsa_user_sgpr_kernarg_preload_offset 0
		.amdhsa_user_sgpr_private_segment_size 0
		.amdhsa_uses_dynamic_stack 0
		.amdhsa_system_sgpr_private_segment_wavefront_offset 0
		.amdhsa_system_sgpr_workgroup_id_x 1
		.amdhsa_system_sgpr_workgroup_id_y 0
		.amdhsa_system_sgpr_workgroup_id_z 0
		.amdhsa_system_sgpr_workgroup_info 0
		.amdhsa_system_vgpr_workitem_id 0
		.amdhsa_next_free_vgpr 1
		.amdhsa_next_free_sgpr 0
		.amdhsa_accum_offset 4
		.amdhsa_reserve_vcc 0
		.amdhsa_reserve_flat_scratch 0
		.amdhsa_float_round_mode_32 0
		.amdhsa_float_round_mode_16_64 0
		.amdhsa_float_denorm_mode_32 3
		.amdhsa_float_denorm_mode_16_64 3
		.amdhsa_dx10_clamp 1
		.amdhsa_ieee_mode 1
		.amdhsa_fp16_overflow 0
		.amdhsa_tg_split 0
		.amdhsa_exception_fp_ieee_invalid_op 0
		.amdhsa_exception_fp_denorm_src 0
		.amdhsa_exception_fp_ieee_div_zero 0
		.amdhsa_exception_fp_ieee_overflow 0
		.amdhsa_exception_fp_ieee_underflow 0
		.amdhsa_exception_fp_ieee_inexact 0
		.amdhsa_exception_int_div_zero 0
	.end_amdhsa_kernel
	.section	.text._ZN7rocprim17ROCPRIM_400000_NS6detail17trampoline_kernelINS0_14default_configENS1_27scan_by_key_config_selectorIssEEZZNS1_16scan_by_key_implILNS1_25lookback_scan_determinismE0ELb1ES3_N6thrust23THRUST_200600_302600_NS6detail15normal_iteratorINS9_10device_ptrIsEEEESE_SE_sNS9_10multipliesIsEENS9_8equal_toIsEEsEE10hipError_tPvRmT2_T3_T4_T5_mT6_T7_P12ihipStream_tbENKUlT_T0_E_clISt17integral_constantIbLb0EESY_IbLb1EEEEDaSU_SV_EUlSU_E_NS1_11comp_targetILNS1_3genE9ELNS1_11target_archE1100ELNS1_3gpuE3ELNS1_3repE0EEENS1_30default_config_static_selectorELNS0_4arch9wavefront6targetE1EEEvT1_,"axG",@progbits,_ZN7rocprim17ROCPRIM_400000_NS6detail17trampoline_kernelINS0_14default_configENS1_27scan_by_key_config_selectorIssEEZZNS1_16scan_by_key_implILNS1_25lookback_scan_determinismE0ELb1ES3_N6thrust23THRUST_200600_302600_NS6detail15normal_iteratorINS9_10device_ptrIsEEEESE_SE_sNS9_10multipliesIsEENS9_8equal_toIsEEsEE10hipError_tPvRmT2_T3_T4_T5_mT6_T7_P12ihipStream_tbENKUlT_T0_E_clISt17integral_constantIbLb0EESY_IbLb1EEEEDaSU_SV_EUlSU_E_NS1_11comp_targetILNS1_3genE9ELNS1_11target_archE1100ELNS1_3gpuE3ELNS1_3repE0EEENS1_30default_config_static_selectorELNS0_4arch9wavefront6targetE1EEEvT1_,comdat
.Lfunc_end639:
	.size	_ZN7rocprim17ROCPRIM_400000_NS6detail17trampoline_kernelINS0_14default_configENS1_27scan_by_key_config_selectorIssEEZZNS1_16scan_by_key_implILNS1_25lookback_scan_determinismE0ELb1ES3_N6thrust23THRUST_200600_302600_NS6detail15normal_iteratorINS9_10device_ptrIsEEEESE_SE_sNS9_10multipliesIsEENS9_8equal_toIsEEsEE10hipError_tPvRmT2_T3_T4_T5_mT6_T7_P12ihipStream_tbENKUlT_T0_E_clISt17integral_constantIbLb0EESY_IbLb1EEEEDaSU_SV_EUlSU_E_NS1_11comp_targetILNS1_3genE9ELNS1_11target_archE1100ELNS1_3gpuE3ELNS1_3repE0EEENS1_30default_config_static_selectorELNS0_4arch9wavefront6targetE1EEEvT1_, .Lfunc_end639-_ZN7rocprim17ROCPRIM_400000_NS6detail17trampoline_kernelINS0_14default_configENS1_27scan_by_key_config_selectorIssEEZZNS1_16scan_by_key_implILNS1_25lookback_scan_determinismE0ELb1ES3_N6thrust23THRUST_200600_302600_NS6detail15normal_iteratorINS9_10device_ptrIsEEEESE_SE_sNS9_10multipliesIsEENS9_8equal_toIsEEsEE10hipError_tPvRmT2_T3_T4_T5_mT6_T7_P12ihipStream_tbENKUlT_T0_E_clISt17integral_constantIbLb0EESY_IbLb1EEEEDaSU_SV_EUlSU_E_NS1_11comp_targetILNS1_3genE9ELNS1_11target_archE1100ELNS1_3gpuE3ELNS1_3repE0EEENS1_30default_config_static_selectorELNS0_4arch9wavefront6targetE1EEEvT1_
                                        ; -- End function
	.section	.AMDGPU.csdata,"",@progbits
; Kernel info:
; codeLenInByte = 0
; NumSgprs: 4
; NumVgprs: 0
; NumAgprs: 0
; TotalNumVgprs: 0
; ScratchSize: 0
; MemoryBound: 0
; FloatMode: 240
; IeeeMode: 1
; LDSByteSize: 0 bytes/workgroup (compile time only)
; SGPRBlocks: 0
; VGPRBlocks: 0
; NumSGPRsForWavesPerEU: 4
; NumVGPRsForWavesPerEU: 1
; AccumOffset: 4
; Occupancy: 8
; WaveLimiterHint : 0
; COMPUTE_PGM_RSRC2:SCRATCH_EN: 0
; COMPUTE_PGM_RSRC2:USER_SGPR: 6
; COMPUTE_PGM_RSRC2:TRAP_HANDLER: 0
; COMPUTE_PGM_RSRC2:TGID_X_EN: 1
; COMPUTE_PGM_RSRC2:TGID_Y_EN: 0
; COMPUTE_PGM_RSRC2:TGID_Z_EN: 0
; COMPUTE_PGM_RSRC2:TIDIG_COMP_CNT: 0
; COMPUTE_PGM_RSRC3_GFX90A:ACCUM_OFFSET: 0
; COMPUTE_PGM_RSRC3_GFX90A:TG_SPLIT: 0
	.section	.text._ZN7rocprim17ROCPRIM_400000_NS6detail17trampoline_kernelINS0_14default_configENS1_27scan_by_key_config_selectorIssEEZZNS1_16scan_by_key_implILNS1_25lookback_scan_determinismE0ELb1ES3_N6thrust23THRUST_200600_302600_NS6detail15normal_iteratorINS9_10device_ptrIsEEEESE_SE_sNS9_10multipliesIsEENS9_8equal_toIsEEsEE10hipError_tPvRmT2_T3_T4_T5_mT6_T7_P12ihipStream_tbENKUlT_T0_E_clISt17integral_constantIbLb0EESY_IbLb1EEEEDaSU_SV_EUlSU_E_NS1_11comp_targetILNS1_3genE8ELNS1_11target_archE1030ELNS1_3gpuE2ELNS1_3repE0EEENS1_30default_config_static_selectorELNS0_4arch9wavefront6targetE1EEEvT1_,"axG",@progbits,_ZN7rocprim17ROCPRIM_400000_NS6detail17trampoline_kernelINS0_14default_configENS1_27scan_by_key_config_selectorIssEEZZNS1_16scan_by_key_implILNS1_25lookback_scan_determinismE0ELb1ES3_N6thrust23THRUST_200600_302600_NS6detail15normal_iteratorINS9_10device_ptrIsEEEESE_SE_sNS9_10multipliesIsEENS9_8equal_toIsEEsEE10hipError_tPvRmT2_T3_T4_T5_mT6_T7_P12ihipStream_tbENKUlT_T0_E_clISt17integral_constantIbLb0EESY_IbLb1EEEEDaSU_SV_EUlSU_E_NS1_11comp_targetILNS1_3genE8ELNS1_11target_archE1030ELNS1_3gpuE2ELNS1_3repE0EEENS1_30default_config_static_selectorELNS0_4arch9wavefront6targetE1EEEvT1_,comdat
	.protected	_ZN7rocprim17ROCPRIM_400000_NS6detail17trampoline_kernelINS0_14default_configENS1_27scan_by_key_config_selectorIssEEZZNS1_16scan_by_key_implILNS1_25lookback_scan_determinismE0ELb1ES3_N6thrust23THRUST_200600_302600_NS6detail15normal_iteratorINS9_10device_ptrIsEEEESE_SE_sNS9_10multipliesIsEENS9_8equal_toIsEEsEE10hipError_tPvRmT2_T3_T4_T5_mT6_T7_P12ihipStream_tbENKUlT_T0_E_clISt17integral_constantIbLb0EESY_IbLb1EEEEDaSU_SV_EUlSU_E_NS1_11comp_targetILNS1_3genE8ELNS1_11target_archE1030ELNS1_3gpuE2ELNS1_3repE0EEENS1_30default_config_static_selectorELNS0_4arch9wavefront6targetE1EEEvT1_ ; -- Begin function _ZN7rocprim17ROCPRIM_400000_NS6detail17trampoline_kernelINS0_14default_configENS1_27scan_by_key_config_selectorIssEEZZNS1_16scan_by_key_implILNS1_25lookback_scan_determinismE0ELb1ES3_N6thrust23THRUST_200600_302600_NS6detail15normal_iteratorINS9_10device_ptrIsEEEESE_SE_sNS9_10multipliesIsEENS9_8equal_toIsEEsEE10hipError_tPvRmT2_T3_T4_T5_mT6_T7_P12ihipStream_tbENKUlT_T0_E_clISt17integral_constantIbLb0EESY_IbLb1EEEEDaSU_SV_EUlSU_E_NS1_11comp_targetILNS1_3genE8ELNS1_11target_archE1030ELNS1_3gpuE2ELNS1_3repE0EEENS1_30default_config_static_selectorELNS0_4arch9wavefront6targetE1EEEvT1_
	.globl	_ZN7rocprim17ROCPRIM_400000_NS6detail17trampoline_kernelINS0_14default_configENS1_27scan_by_key_config_selectorIssEEZZNS1_16scan_by_key_implILNS1_25lookback_scan_determinismE0ELb1ES3_N6thrust23THRUST_200600_302600_NS6detail15normal_iteratorINS9_10device_ptrIsEEEESE_SE_sNS9_10multipliesIsEENS9_8equal_toIsEEsEE10hipError_tPvRmT2_T3_T4_T5_mT6_T7_P12ihipStream_tbENKUlT_T0_E_clISt17integral_constantIbLb0EESY_IbLb1EEEEDaSU_SV_EUlSU_E_NS1_11comp_targetILNS1_3genE8ELNS1_11target_archE1030ELNS1_3gpuE2ELNS1_3repE0EEENS1_30default_config_static_selectorELNS0_4arch9wavefront6targetE1EEEvT1_
	.p2align	8
	.type	_ZN7rocprim17ROCPRIM_400000_NS6detail17trampoline_kernelINS0_14default_configENS1_27scan_by_key_config_selectorIssEEZZNS1_16scan_by_key_implILNS1_25lookback_scan_determinismE0ELb1ES3_N6thrust23THRUST_200600_302600_NS6detail15normal_iteratorINS9_10device_ptrIsEEEESE_SE_sNS9_10multipliesIsEENS9_8equal_toIsEEsEE10hipError_tPvRmT2_T3_T4_T5_mT6_T7_P12ihipStream_tbENKUlT_T0_E_clISt17integral_constantIbLb0EESY_IbLb1EEEEDaSU_SV_EUlSU_E_NS1_11comp_targetILNS1_3genE8ELNS1_11target_archE1030ELNS1_3gpuE2ELNS1_3repE0EEENS1_30default_config_static_selectorELNS0_4arch9wavefront6targetE1EEEvT1_,@function
_ZN7rocprim17ROCPRIM_400000_NS6detail17trampoline_kernelINS0_14default_configENS1_27scan_by_key_config_selectorIssEEZZNS1_16scan_by_key_implILNS1_25lookback_scan_determinismE0ELb1ES3_N6thrust23THRUST_200600_302600_NS6detail15normal_iteratorINS9_10device_ptrIsEEEESE_SE_sNS9_10multipliesIsEENS9_8equal_toIsEEsEE10hipError_tPvRmT2_T3_T4_T5_mT6_T7_P12ihipStream_tbENKUlT_T0_E_clISt17integral_constantIbLb0EESY_IbLb1EEEEDaSU_SV_EUlSU_E_NS1_11comp_targetILNS1_3genE8ELNS1_11target_archE1030ELNS1_3gpuE2ELNS1_3repE0EEENS1_30default_config_static_selectorELNS0_4arch9wavefront6targetE1EEEvT1_: ; @_ZN7rocprim17ROCPRIM_400000_NS6detail17trampoline_kernelINS0_14default_configENS1_27scan_by_key_config_selectorIssEEZZNS1_16scan_by_key_implILNS1_25lookback_scan_determinismE0ELb1ES3_N6thrust23THRUST_200600_302600_NS6detail15normal_iteratorINS9_10device_ptrIsEEEESE_SE_sNS9_10multipliesIsEENS9_8equal_toIsEEsEE10hipError_tPvRmT2_T3_T4_T5_mT6_T7_P12ihipStream_tbENKUlT_T0_E_clISt17integral_constantIbLb0EESY_IbLb1EEEEDaSU_SV_EUlSU_E_NS1_11comp_targetILNS1_3genE8ELNS1_11target_archE1030ELNS1_3gpuE2ELNS1_3repE0EEENS1_30default_config_static_selectorELNS0_4arch9wavefront6targetE1EEEvT1_
; %bb.0:
	.section	.rodata,"a",@progbits
	.p2align	6, 0x0
	.amdhsa_kernel _ZN7rocprim17ROCPRIM_400000_NS6detail17trampoline_kernelINS0_14default_configENS1_27scan_by_key_config_selectorIssEEZZNS1_16scan_by_key_implILNS1_25lookback_scan_determinismE0ELb1ES3_N6thrust23THRUST_200600_302600_NS6detail15normal_iteratorINS9_10device_ptrIsEEEESE_SE_sNS9_10multipliesIsEENS9_8equal_toIsEEsEE10hipError_tPvRmT2_T3_T4_T5_mT6_T7_P12ihipStream_tbENKUlT_T0_E_clISt17integral_constantIbLb0EESY_IbLb1EEEEDaSU_SV_EUlSU_E_NS1_11comp_targetILNS1_3genE8ELNS1_11target_archE1030ELNS1_3gpuE2ELNS1_3repE0EEENS1_30default_config_static_selectorELNS0_4arch9wavefront6targetE1EEEvT1_
		.amdhsa_group_segment_fixed_size 0
		.amdhsa_private_segment_fixed_size 0
		.amdhsa_kernarg_size 112
		.amdhsa_user_sgpr_count 6
		.amdhsa_user_sgpr_private_segment_buffer 1
		.amdhsa_user_sgpr_dispatch_ptr 0
		.amdhsa_user_sgpr_queue_ptr 0
		.amdhsa_user_sgpr_kernarg_segment_ptr 1
		.amdhsa_user_sgpr_dispatch_id 0
		.amdhsa_user_sgpr_flat_scratch_init 0
		.amdhsa_user_sgpr_kernarg_preload_length 0
		.amdhsa_user_sgpr_kernarg_preload_offset 0
		.amdhsa_user_sgpr_private_segment_size 0
		.amdhsa_uses_dynamic_stack 0
		.amdhsa_system_sgpr_private_segment_wavefront_offset 0
		.amdhsa_system_sgpr_workgroup_id_x 1
		.amdhsa_system_sgpr_workgroup_id_y 0
		.amdhsa_system_sgpr_workgroup_id_z 0
		.amdhsa_system_sgpr_workgroup_info 0
		.amdhsa_system_vgpr_workitem_id 0
		.amdhsa_next_free_vgpr 1
		.amdhsa_next_free_sgpr 0
		.amdhsa_accum_offset 4
		.amdhsa_reserve_vcc 0
		.amdhsa_reserve_flat_scratch 0
		.amdhsa_float_round_mode_32 0
		.amdhsa_float_round_mode_16_64 0
		.amdhsa_float_denorm_mode_32 3
		.amdhsa_float_denorm_mode_16_64 3
		.amdhsa_dx10_clamp 1
		.amdhsa_ieee_mode 1
		.amdhsa_fp16_overflow 0
		.amdhsa_tg_split 0
		.amdhsa_exception_fp_ieee_invalid_op 0
		.amdhsa_exception_fp_denorm_src 0
		.amdhsa_exception_fp_ieee_div_zero 0
		.amdhsa_exception_fp_ieee_overflow 0
		.amdhsa_exception_fp_ieee_underflow 0
		.amdhsa_exception_fp_ieee_inexact 0
		.amdhsa_exception_int_div_zero 0
	.end_amdhsa_kernel
	.section	.text._ZN7rocprim17ROCPRIM_400000_NS6detail17trampoline_kernelINS0_14default_configENS1_27scan_by_key_config_selectorIssEEZZNS1_16scan_by_key_implILNS1_25lookback_scan_determinismE0ELb1ES3_N6thrust23THRUST_200600_302600_NS6detail15normal_iteratorINS9_10device_ptrIsEEEESE_SE_sNS9_10multipliesIsEENS9_8equal_toIsEEsEE10hipError_tPvRmT2_T3_T4_T5_mT6_T7_P12ihipStream_tbENKUlT_T0_E_clISt17integral_constantIbLb0EESY_IbLb1EEEEDaSU_SV_EUlSU_E_NS1_11comp_targetILNS1_3genE8ELNS1_11target_archE1030ELNS1_3gpuE2ELNS1_3repE0EEENS1_30default_config_static_selectorELNS0_4arch9wavefront6targetE1EEEvT1_,"axG",@progbits,_ZN7rocprim17ROCPRIM_400000_NS6detail17trampoline_kernelINS0_14default_configENS1_27scan_by_key_config_selectorIssEEZZNS1_16scan_by_key_implILNS1_25lookback_scan_determinismE0ELb1ES3_N6thrust23THRUST_200600_302600_NS6detail15normal_iteratorINS9_10device_ptrIsEEEESE_SE_sNS9_10multipliesIsEENS9_8equal_toIsEEsEE10hipError_tPvRmT2_T3_T4_T5_mT6_T7_P12ihipStream_tbENKUlT_T0_E_clISt17integral_constantIbLb0EESY_IbLb1EEEEDaSU_SV_EUlSU_E_NS1_11comp_targetILNS1_3genE8ELNS1_11target_archE1030ELNS1_3gpuE2ELNS1_3repE0EEENS1_30default_config_static_selectorELNS0_4arch9wavefront6targetE1EEEvT1_,comdat
.Lfunc_end640:
	.size	_ZN7rocprim17ROCPRIM_400000_NS6detail17trampoline_kernelINS0_14default_configENS1_27scan_by_key_config_selectorIssEEZZNS1_16scan_by_key_implILNS1_25lookback_scan_determinismE0ELb1ES3_N6thrust23THRUST_200600_302600_NS6detail15normal_iteratorINS9_10device_ptrIsEEEESE_SE_sNS9_10multipliesIsEENS9_8equal_toIsEEsEE10hipError_tPvRmT2_T3_T4_T5_mT6_T7_P12ihipStream_tbENKUlT_T0_E_clISt17integral_constantIbLb0EESY_IbLb1EEEEDaSU_SV_EUlSU_E_NS1_11comp_targetILNS1_3genE8ELNS1_11target_archE1030ELNS1_3gpuE2ELNS1_3repE0EEENS1_30default_config_static_selectorELNS0_4arch9wavefront6targetE1EEEvT1_, .Lfunc_end640-_ZN7rocprim17ROCPRIM_400000_NS6detail17trampoline_kernelINS0_14default_configENS1_27scan_by_key_config_selectorIssEEZZNS1_16scan_by_key_implILNS1_25lookback_scan_determinismE0ELb1ES3_N6thrust23THRUST_200600_302600_NS6detail15normal_iteratorINS9_10device_ptrIsEEEESE_SE_sNS9_10multipliesIsEENS9_8equal_toIsEEsEE10hipError_tPvRmT2_T3_T4_T5_mT6_T7_P12ihipStream_tbENKUlT_T0_E_clISt17integral_constantIbLb0EESY_IbLb1EEEEDaSU_SV_EUlSU_E_NS1_11comp_targetILNS1_3genE8ELNS1_11target_archE1030ELNS1_3gpuE2ELNS1_3repE0EEENS1_30default_config_static_selectorELNS0_4arch9wavefront6targetE1EEEvT1_
                                        ; -- End function
	.section	.AMDGPU.csdata,"",@progbits
; Kernel info:
; codeLenInByte = 0
; NumSgprs: 4
; NumVgprs: 0
; NumAgprs: 0
; TotalNumVgprs: 0
; ScratchSize: 0
; MemoryBound: 0
; FloatMode: 240
; IeeeMode: 1
; LDSByteSize: 0 bytes/workgroup (compile time only)
; SGPRBlocks: 0
; VGPRBlocks: 0
; NumSGPRsForWavesPerEU: 4
; NumVGPRsForWavesPerEU: 1
; AccumOffset: 4
; Occupancy: 8
; WaveLimiterHint : 0
; COMPUTE_PGM_RSRC2:SCRATCH_EN: 0
; COMPUTE_PGM_RSRC2:USER_SGPR: 6
; COMPUTE_PGM_RSRC2:TRAP_HANDLER: 0
; COMPUTE_PGM_RSRC2:TGID_X_EN: 1
; COMPUTE_PGM_RSRC2:TGID_Y_EN: 0
; COMPUTE_PGM_RSRC2:TGID_Z_EN: 0
; COMPUTE_PGM_RSRC2:TIDIG_COMP_CNT: 0
; COMPUTE_PGM_RSRC3_GFX90A:ACCUM_OFFSET: 0
; COMPUTE_PGM_RSRC3_GFX90A:TG_SPLIT: 0
	.section	.text._ZN7rocprim17ROCPRIM_400000_NS6detail17trampoline_kernelINS0_14default_configENS1_27scan_by_key_config_selectorIssEEZZNS1_16scan_by_key_implILNS1_25lookback_scan_determinismE0ELb1ES3_N6thrust23THRUST_200600_302600_NS6detail15normal_iteratorINS9_10device_ptrIsEEEESE_SE_sNS9_4plusIvEENS9_8equal_toIsEEsEE10hipError_tPvRmT2_T3_T4_T5_mT6_T7_P12ihipStream_tbENKUlT_T0_E_clISt17integral_constantIbLb0EESZ_EEDaSU_SV_EUlSU_E_NS1_11comp_targetILNS1_3genE0ELNS1_11target_archE4294967295ELNS1_3gpuE0ELNS1_3repE0EEENS1_30default_config_static_selectorELNS0_4arch9wavefront6targetE1EEEvT1_,"axG",@progbits,_ZN7rocprim17ROCPRIM_400000_NS6detail17trampoline_kernelINS0_14default_configENS1_27scan_by_key_config_selectorIssEEZZNS1_16scan_by_key_implILNS1_25lookback_scan_determinismE0ELb1ES3_N6thrust23THRUST_200600_302600_NS6detail15normal_iteratorINS9_10device_ptrIsEEEESE_SE_sNS9_4plusIvEENS9_8equal_toIsEEsEE10hipError_tPvRmT2_T3_T4_T5_mT6_T7_P12ihipStream_tbENKUlT_T0_E_clISt17integral_constantIbLb0EESZ_EEDaSU_SV_EUlSU_E_NS1_11comp_targetILNS1_3genE0ELNS1_11target_archE4294967295ELNS1_3gpuE0ELNS1_3repE0EEENS1_30default_config_static_selectorELNS0_4arch9wavefront6targetE1EEEvT1_,comdat
	.protected	_ZN7rocprim17ROCPRIM_400000_NS6detail17trampoline_kernelINS0_14default_configENS1_27scan_by_key_config_selectorIssEEZZNS1_16scan_by_key_implILNS1_25lookback_scan_determinismE0ELb1ES3_N6thrust23THRUST_200600_302600_NS6detail15normal_iteratorINS9_10device_ptrIsEEEESE_SE_sNS9_4plusIvEENS9_8equal_toIsEEsEE10hipError_tPvRmT2_T3_T4_T5_mT6_T7_P12ihipStream_tbENKUlT_T0_E_clISt17integral_constantIbLb0EESZ_EEDaSU_SV_EUlSU_E_NS1_11comp_targetILNS1_3genE0ELNS1_11target_archE4294967295ELNS1_3gpuE0ELNS1_3repE0EEENS1_30default_config_static_selectorELNS0_4arch9wavefront6targetE1EEEvT1_ ; -- Begin function _ZN7rocprim17ROCPRIM_400000_NS6detail17trampoline_kernelINS0_14default_configENS1_27scan_by_key_config_selectorIssEEZZNS1_16scan_by_key_implILNS1_25lookback_scan_determinismE0ELb1ES3_N6thrust23THRUST_200600_302600_NS6detail15normal_iteratorINS9_10device_ptrIsEEEESE_SE_sNS9_4plusIvEENS9_8equal_toIsEEsEE10hipError_tPvRmT2_T3_T4_T5_mT6_T7_P12ihipStream_tbENKUlT_T0_E_clISt17integral_constantIbLb0EESZ_EEDaSU_SV_EUlSU_E_NS1_11comp_targetILNS1_3genE0ELNS1_11target_archE4294967295ELNS1_3gpuE0ELNS1_3repE0EEENS1_30default_config_static_selectorELNS0_4arch9wavefront6targetE1EEEvT1_
	.globl	_ZN7rocprim17ROCPRIM_400000_NS6detail17trampoline_kernelINS0_14default_configENS1_27scan_by_key_config_selectorIssEEZZNS1_16scan_by_key_implILNS1_25lookback_scan_determinismE0ELb1ES3_N6thrust23THRUST_200600_302600_NS6detail15normal_iteratorINS9_10device_ptrIsEEEESE_SE_sNS9_4plusIvEENS9_8equal_toIsEEsEE10hipError_tPvRmT2_T3_T4_T5_mT6_T7_P12ihipStream_tbENKUlT_T0_E_clISt17integral_constantIbLb0EESZ_EEDaSU_SV_EUlSU_E_NS1_11comp_targetILNS1_3genE0ELNS1_11target_archE4294967295ELNS1_3gpuE0ELNS1_3repE0EEENS1_30default_config_static_selectorELNS0_4arch9wavefront6targetE1EEEvT1_
	.p2align	8
	.type	_ZN7rocprim17ROCPRIM_400000_NS6detail17trampoline_kernelINS0_14default_configENS1_27scan_by_key_config_selectorIssEEZZNS1_16scan_by_key_implILNS1_25lookback_scan_determinismE0ELb1ES3_N6thrust23THRUST_200600_302600_NS6detail15normal_iteratorINS9_10device_ptrIsEEEESE_SE_sNS9_4plusIvEENS9_8equal_toIsEEsEE10hipError_tPvRmT2_T3_T4_T5_mT6_T7_P12ihipStream_tbENKUlT_T0_E_clISt17integral_constantIbLb0EESZ_EEDaSU_SV_EUlSU_E_NS1_11comp_targetILNS1_3genE0ELNS1_11target_archE4294967295ELNS1_3gpuE0ELNS1_3repE0EEENS1_30default_config_static_selectorELNS0_4arch9wavefront6targetE1EEEvT1_,@function
_ZN7rocprim17ROCPRIM_400000_NS6detail17trampoline_kernelINS0_14default_configENS1_27scan_by_key_config_selectorIssEEZZNS1_16scan_by_key_implILNS1_25lookback_scan_determinismE0ELb1ES3_N6thrust23THRUST_200600_302600_NS6detail15normal_iteratorINS9_10device_ptrIsEEEESE_SE_sNS9_4plusIvEENS9_8equal_toIsEEsEE10hipError_tPvRmT2_T3_T4_T5_mT6_T7_P12ihipStream_tbENKUlT_T0_E_clISt17integral_constantIbLb0EESZ_EEDaSU_SV_EUlSU_E_NS1_11comp_targetILNS1_3genE0ELNS1_11target_archE4294967295ELNS1_3gpuE0ELNS1_3repE0EEENS1_30default_config_static_selectorELNS0_4arch9wavefront6targetE1EEEvT1_: ; @_ZN7rocprim17ROCPRIM_400000_NS6detail17trampoline_kernelINS0_14default_configENS1_27scan_by_key_config_selectorIssEEZZNS1_16scan_by_key_implILNS1_25lookback_scan_determinismE0ELb1ES3_N6thrust23THRUST_200600_302600_NS6detail15normal_iteratorINS9_10device_ptrIsEEEESE_SE_sNS9_4plusIvEENS9_8equal_toIsEEsEE10hipError_tPvRmT2_T3_T4_T5_mT6_T7_P12ihipStream_tbENKUlT_T0_E_clISt17integral_constantIbLb0EESZ_EEDaSU_SV_EUlSU_E_NS1_11comp_targetILNS1_3genE0ELNS1_11target_archE4294967295ELNS1_3gpuE0ELNS1_3repE0EEENS1_30default_config_static_selectorELNS0_4arch9wavefront6targetE1EEEvT1_
; %bb.0:
	.section	.rodata,"a",@progbits
	.p2align	6, 0x0
	.amdhsa_kernel _ZN7rocprim17ROCPRIM_400000_NS6detail17trampoline_kernelINS0_14default_configENS1_27scan_by_key_config_selectorIssEEZZNS1_16scan_by_key_implILNS1_25lookback_scan_determinismE0ELb1ES3_N6thrust23THRUST_200600_302600_NS6detail15normal_iteratorINS9_10device_ptrIsEEEESE_SE_sNS9_4plusIvEENS9_8equal_toIsEEsEE10hipError_tPvRmT2_T3_T4_T5_mT6_T7_P12ihipStream_tbENKUlT_T0_E_clISt17integral_constantIbLb0EESZ_EEDaSU_SV_EUlSU_E_NS1_11comp_targetILNS1_3genE0ELNS1_11target_archE4294967295ELNS1_3gpuE0ELNS1_3repE0EEENS1_30default_config_static_selectorELNS0_4arch9wavefront6targetE1EEEvT1_
		.amdhsa_group_segment_fixed_size 0
		.amdhsa_private_segment_fixed_size 0
		.amdhsa_kernarg_size 112
		.amdhsa_user_sgpr_count 6
		.amdhsa_user_sgpr_private_segment_buffer 1
		.amdhsa_user_sgpr_dispatch_ptr 0
		.amdhsa_user_sgpr_queue_ptr 0
		.amdhsa_user_sgpr_kernarg_segment_ptr 1
		.amdhsa_user_sgpr_dispatch_id 0
		.amdhsa_user_sgpr_flat_scratch_init 0
		.amdhsa_user_sgpr_kernarg_preload_length 0
		.amdhsa_user_sgpr_kernarg_preload_offset 0
		.amdhsa_user_sgpr_private_segment_size 0
		.amdhsa_uses_dynamic_stack 0
		.amdhsa_system_sgpr_private_segment_wavefront_offset 0
		.amdhsa_system_sgpr_workgroup_id_x 1
		.amdhsa_system_sgpr_workgroup_id_y 0
		.amdhsa_system_sgpr_workgroup_id_z 0
		.amdhsa_system_sgpr_workgroup_info 0
		.amdhsa_system_vgpr_workitem_id 0
		.amdhsa_next_free_vgpr 1
		.amdhsa_next_free_sgpr 0
		.amdhsa_accum_offset 4
		.amdhsa_reserve_vcc 0
		.amdhsa_reserve_flat_scratch 0
		.amdhsa_float_round_mode_32 0
		.amdhsa_float_round_mode_16_64 0
		.amdhsa_float_denorm_mode_32 3
		.amdhsa_float_denorm_mode_16_64 3
		.amdhsa_dx10_clamp 1
		.amdhsa_ieee_mode 1
		.amdhsa_fp16_overflow 0
		.amdhsa_tg_split 0
		.amdhsa_exception_fp_ieee_invalid_op 0
		.amdhsa_exception_fp_denorm_src 0
		.amdhsa_exception_fp_ieee_div_zero 0
		.amdhsa_exception_fp_ieee_overflow 0
		.amdhsa_exception_fp_ieee_underflow 0
		.amdhsa_exception_fp_ieee_inexact 0
		.amdhsa_exception_int_div_zero 0
	.end_amdhsa_kernel
	.section	.text._ZN7rocprim17ROCPRIM_400000_NS6detail17trampoline_kernelINS0_14default_configENS1_27scan_by_key_config_selectorIssEEZZNS1_16scan_by_key_implILNS1_25lookback_scan_determinismE0ELb1ES3_N6thrust23THRUST_200600_302600_NS6detail15normal_iteratorINS9_10device_ptrIsEEEESE_SE_sNS9_4plusIvEENS9_8equal_toIsEEsEE10hipError_tPvRmT2_T3_T4_T5_mT6_T7_P12ihipStream_tbENKUlT_T0_E_clISt17integral_constantIbLb0EESZ_EEDaSU_SV_EUlSU_E_NS1_11comp_targetILNS1_3genE0ELNS1_11target_archE4294967295ELNS1_3gpuE0ELNS1_3repE0EEENS1_30default_config_static_selectorELNS0_4arch9wavefront6targetE1EEEvT1_,"axG",@progbits,_ZN7rocprim17ROCPRIM_400000_NS6detail17trampoline_kernelINS0_14default_configENS1_27scan_by_key_config_selectorIssEEZZNS1_16scan_by_key_implILNS1_25lookback_scan_determinismE0ELb1ES3_N6thrust23THRUST_200600_302600_NS6detail15normal_iteratorINS9_10device_ptrIsEEEESE_SE_sNS9_4plusIvEENS9_8equal_toIsEEsEE10hipError_tPvRmT2_T3_T4_T5_mT6_T7_P12ihipStream_tbENKUlT_T0_E_clISt17integral_constantIbLb0EESZ_EEDaSU_SV_EUlSU_E_NS1_11comp_targetILNS1_3genE0ELNS1_11target_archE4294967295ELNS1_3gpuE0ELNS1_3repE0EEENS1_30default_config_static_selectorELNS0_4arch9wavefront6targetE1EEEvT1_,comdat
.Lfunc_end641:
	.size	_ZN7rocprim17ROCPRIM_400000_NS6detail17trampoline_kernelINS0_14default_configENS1_27scan_by_key_config_selectorIssEEZZNS1_16scan_by_key_implILNS1_25lookback_scan_determinismE0ELb1ES3_N6thrust23THRUST_200600_302600_NS6detail15normal_iteratorINS9_10device_ptrIsEEEESE_SE_sNS9_4plusIvEENS9_8equal_toIsEEsEE10hipError_tPvRmT2_T3_T4_T5_mT6_T7_P12ihipStream_tbENKUlT_T0_E_clISt17integral_constantIbLb0EESZ_EEDaSU_SV_EUlSU_E_NS1_11comp_targetILNS1_3genE0ELNS1_11target_archE4294967295ELNS1_3gpuE0ELNS1_3repE0EEENS1_30default_config_static_selectorELNS0_4arch9wavefront6targetE1EEEvT1_, .Lfunc_end641-_ZN7rocprim17ROCPRIM_400000_NS6detail17trampoline_kernelINS0_14default_configENS1_27scan_by_key_config_selectorIssEEZZNS1_16scan_by_key_implILNS1_25lookback_scan_determinismE0ELb1ES3_N6thrust23THRUST_200600_302600_NS6detail15normal_iteratorINS9_10device_ptrIsEEEESE_SE_sNS9_4plusIvEENS9_8equal_toIsEEsEE10hipError_tPvRmT2_T3_T4_T5_mT6_T7_P12ihipStream_tbENKUlT_T0_E_clISt17integral_constantIbLb0EESZ_EEDaSU_SV_EUlSU_E_NS1_11comp_targetILNS1_3genE0ELNS1_11target_archE4294967295ELNS1_3gpuE0ELNS1_3repE0EEENS1_30default_config_static_selectorELNS0_4arch9wavefront6targetE1EEEvT1_
                                        ; -- End function
	.section	.AMDGPU.csdata,"",@progbits
; Kernel info:
; codeLenInByte = 0
; NumSgprs: 4
; NumVgprs: 0
; NumAgprs: 0
; TotalNumVgprs: 0
; ScratchSize: 0
; MemoryBound: 0
; FloatMode: 240
; IeeeMode: 1
; LDSByteSize: 0 bytes/workgroup (compile time only)
; SGPRBlocks: 0
; VGPRBlocks: 0
; NumSGPRsForWavesPerEU: 4
; NumVGPRsForWavesPerEU: 1
; AccumOffset: 4
; Occupancy: 8
; WaveLimiterHint : 0
; COMPUTE_PGM_RSRC2:SCRATCH_EN: 0
; COMPUTE_PGM_RSRC2:USER_SGPR: 6
; COMPUTE_PGM_RSRC2:TRAP_HANDLER: 0
; COMPUTE_PGM_RSRC2:TGID_X_EN: 1
; COMPUTE_PGM_RSRC2:TGID_Y_EN: 0
; COMPUTE_PGM_RSRC2:TGID_Z_EN: 0
; COMPUTE_PGM_RSRC2:TIDIG_COMP_CNT: 0
; COMPUTE_PGM_RSRC3_GFX90A:ACCUM_OFFSET: 0
; COMPUTE_PGM_RSRC3_GFX90A:TG_SPLIT: 0
	.section	.text._ZN7rocprim17ROCPRIM_400000_NS6detail17trampoline_kernelINS0_14default_configENS1_27scan_by_key_config_selectorIssEEZZNS1_16scan_by_key_implILNS1_25lookback_scan_determinismE0ELb1ES3_N6thrust23THRUST_200600_302600_NS6detail15normal_iteratorINS9_10device_ptrIsEEEESE_SE_sNS9_4plusIvEENS9_8equal_toIsEEsEE10hipError_tPvRmT2_T3_T4_T5_mT6_T7_P12ihipStream_tbENKUlT_T0_E_clISt17integral_constantIbLb0EESZ_EEDaSU_SV_EUlSU_E_NS1_11comp_targetILNS1_3genE10ELNS1_11target_archE1201ELNS1_3gpuE5ELNS1_3repE0EEENS1_30default_config_static_selectorELNS0_4arch9wavefront6targetE1EEEvT1_,"axG",@progbits,_ZN7rocprim17ROCPRIM_400000_NS6detail17trampoline_kernelINS0_14default_configENS1_27scan_by_key_config_selectorIssEEZZNS1_16scan_by_key_implILNS1_25lookback_scan_determinismE0ELb1ES3_N6thrust23THRUST_200600_302600_NS6detail15normal_iteratorINS9_10device_ptrIsEEEESE_SE_sNS9_4plusIvEENS9_8equal_toIsEEsEE10hipError_tPvRmT2_T3_T4_T5_mT6_T7_P12ihipStream_tbENKUlT_T0_E_clISt17integral_constantIbLb0EESZ_EEDaSU_SV_EUlSU_E_NS1_11comp_targetILNS1_3genE10ELNS1_11target_archE1201ELNS1_3gpuE5ELNS1_3repE0EEENS1_30default_config_static_selectorELNS0_4arch9wavefront6targetE1EEEvT1_,comdat
	.protected	_ZN7rocprim17ROCPRIM_400000_NS6detail17trampoline_kernelINS0_14default_configENS1_27scan_by_key_config_selectorIssEEZZNS1_16scan_by_key_implILNS1_25lookback_scan_determinismE0ELb1ES3_N6thrust23THRUST_200600_302600_NS6detail15normal_iteratorINS9_10device_ptrIsEEEESE_SE_sNS9_4plusIvEENS9_8equal_toIsEEsEE10hipError_tPvRmT2_T3_T4_T5_mT6_T7_P12ihipStream_tbENKUlT_T0_E_clISt17integral_constantIbLb0EESZ_EEDaSU_SV_EUlSU_E_NS1_11comp_targetILNS1_3genE10ELNS1_11target_archE1201ELNS1_3gpuE5ELNS1_3repE0EEENS1_30default_config_static_selectorELNS0_4arch9wavefront6targetE1EEEvT1_ ; -- Begin function _ZN7rocprim17ROCPRIM_400000_NS6detail17trampoline_kernelINS0_14default_configENS1_27scan_by_key_config_selectorIssEEZZNS1_16scan_by_key_implILNS1_25lookback_scan_determinismE0ELb1ES3_N6thrust23THRUST_200600_302600_NS6detail15normal_iteratorINS9_10device_ptrIsEEEESE_SE_sNS9_4plusIvEENS9_8equal_toIsEEsEE10hipError_tPvRmT2_T3_T4_T5_mT6_T7_P12ihipStream_tbENKUlT_T0_E_clISt17integral_constantIbLb0EESZ_EEDaSU_SV_EUlSU_E_NS1_11comp_targetILNS1_3genE10ELNS1_11target_archE1201ELNS1_3gpuE5ELNS1_3repE0EEENS1_30default_config_static_selectorELNS0_4arch9wavefront6targetE1EEEvT1_
	.globl	_ZN7rocprim17ROCPRIM_400000_NS6detail17trampoline_kernelINS0_14default_configENS1_27scan_by_key_config_selectorIssEEZZNS1_16scan_by_key_implILNS1_25lookback_scan_determinismE0ELb1ES3_N6thrust23THRUST_200600_302600_NS6detail15normal_iteratorINS9_10device_ptrIsEEEESE_SE_sNS9_4plusIvEENS9_8equal_toIsEEsEE10hipError_tPvRmT2_T3_T4_T5_mT6_T7_P12ihipStream_tbENKUlT_T0_E_clISt17integral_constantIbLb0EESZ_EEDaSU_SV_EUlSU_E_NS1_11comp_targetILNS1_3genE10ELNS1_11target_archE1201ELNS1_3gpuE5ELNS1_3repE0EEENS1_30default_config_static_selectorELNS0_4arch9wavefront6targetE1EEEvT1_
	.p2align	8
	.type	_ZN7rocprim17ROCPRIM_400000_NS6detail17trampoline_kernelINS0_14default_configENS1_27scan_by_key_config_selectorIssEEZZNS1_16scan_by_key_implILNS1_25lookback_scan_determinismE0ELb1ES3_N6thrust23THRUST_200600_302600_NS6detail15normal_iteratorINS9_10device_ptrIsEEEESE_SE_sNS9_4plusIvEENS9_8equal_toIsEEsEE10hipError_tPvRmT2_T3_T4_T5_mT6_T7_P12ihipStream_tbENKUlT_T0_E_clISt17integral_constantIbLb0EESZ_EEDaSU_SV_EUlSU_E_NS1_11comp_targetILNS1_3genE10ELNS1_11target_archE1201ELNS1_3gpuE5ELNS1_3repE0EEENS1_30default_config_static_selectorELNS0_4arch9wavefront6targetE1EEEvT1_,@function
_ZN7rocprim17ROCPRIM_400000_NS6detail17trampoline_kernelINS0_14default_configENS1_27scan_by_key_config_selectorIssEEZZNS1_16scan_by_key_implILNS1_25lookback_scan_determinismE0ELb1ES3_N6thrust23THRUST_200600_302600_NS6detail15normal_iteratorINS9_10device_ptrIsEEEESE_SE_sNS9_4plusIvEENS9_8equal_toIsEEsEE10hipError_tPvRmT2_T3_T4_T5_mT6_T7_P12ihipStream_tbENKUlT_T0_E_clISt17integral_constantIbLb0EESZ_EEDaSU_SV_EUlSU_E_NS1_11comp_targetILNS1_3genE10ELNS1_11target_archE1201ELNS1_3gpuE5ELNS1_3repE0EEENS1_30default_config_static_selectorELNS0_4arch9wavefront6targetE1EEEvT1_: ; @_ZN7rocprim17ROCPRIM_400000_NS6detail17trampoline_kernelINS0_14default_configENS1_27scan_by_key_config_selectorIssEEZZNS1_16scan_by_key_implILNS1_25lookback_scan_determinismE0ELb1ES3_N6thrust23THRUST_200600_302600_NS6detail15normal_iteratorINS9_10device_ptrIsEEEESE_SE_sNS9_4plusIvEENS9_8equal_toIsEEsEE10hipError_tPvRmT2_T3_T4_T5_mT6_T7_P12ihipStream_tbENKUlT_T0_E_clISt17integral_constantIbLb0EESZ_EEDaSU_SV_EUlSU_E_NS1_11comp_targetILNS1_3genE10ELNS1_11target_archE1201ELNS1_3gpuE5ELNS1_3repE0EEENS1_30default_config_static_selectorELNS0_4arch9wavefront6targetE1EEEvT1_
; %bb.0:
	.section	.rodata,"a",@progbits
	.p2align	6, 0x0
	.amdhsa_kernel _ZN7rocprim17ROCPRIM_400000_NS6detail17trampoline_kernelINS0_14default_configENS1_27scan_by_key_config_selectorIssEEZZNS1_16scan_by_key_implILNS1_25lookback_scan_determinismE0ELb1ES3_N6thrust23THRUST_200600_302600_NS6detail15normal_iteratorINS9_10device_ptrIsEEEESE_SE_sNS9_4plusIvEENS9_8equal_toIsEEsEE10hipError_tPvRmT2_T3_T4_T5_mT6_T7_P12ihipStream_tbENKUlT_T0_E_clISt17integral_constantIbLb0EESZ_EEDaSU_SV_EUlSU_E_NS1_11comp_targetILNS1_3genE10ELNS1_11target_archE1201ELNS1_3gpuE5ELNS1_3repE0EEENS1_30default_config_static_selectorELNS0_4arch9wavefront6targetE1EEEvT1_
		.amdhsa_group_segment_fixed_size 0
		.amdhsa_private_segment_fixed_size 0
		.amdhsa_kernarg_size 112
		.amdhsa_user_sgpr_count 6
		.amdhsa_user_sgpr_private_segment_buffer 1
		.amdhsa_user_sgpr_dispatch_ptr 0
		.amdhsa_user_sgpr_queue_ptr 0
		.amdhsa_user_sgpr_kernarg_segment_ptr 1
		.amdhsa_user_sgpr_dispatch_id 0
		.amdhsa_user_sgpr_flat_scratch_init 0
		.amdhsa_user_sgpr_kernarg_preload_length 0
		.amdhsa_user_sgpr_kernarg_preload_offset 0
		.amdhsa_user_sgpr_private_segment_size 0
		.amdhsa_uses_dynamic_stack 0
		.amdhsa_system_sgpr_private_segment_wavefront_offset 0
		.amdhsa_system_sgpr_workgroup_id_x 1
		.amdhsa_system_sgpr_workgroup_id_y 0
		.amdhsa_system_sgpr_workgroup_id_z 0
		.amdhsa_system_sgpr_workgroup_info 0
		.amdhsa_system_vgpr_workitem_id 0
		.amdhsa_next_free_vgpr 1
		.amdhsa_next_free_sgpr 0
		.amdhsa_accum_offset 4
		.amdhsa_reserve_vcc 0
		.amdhsa_reserve_flat_scratch 0
		.amdhsa_float_round_mode_32 0
		.amdhsa_float_round_mode_16_64 0
		.amdhsa_float_denorm_mode_32 3
		.amdhsa_float_denorm_mode_16_64 3
		.amdhsa_dx10_clamp 1
		.amdhsa_ieee_mode 1
		.amdhsa_fp16_overflow 0
		.amdhsa_tg_split 0
		.amdhsa_exception_fp_ieee_invalid_op 0
		.amdhsa_exception_fp_denorm_src 0
		.amdhsa_exception_fp_ieee_div_zero 0
		.amdhsa_exception_fp_ieee_overflow 0
		.amdhsa_exception_fp_ieee_underflow 0
		.amdhsa_exception_fp_ieee_inexact 0
		.amdhsa_exception_int_div_zero 0
	.end_amdhsa_kernel
	.section	.text._ZN7rocprim17ROCPRIM_400000_NS6detail17trampoline_kernelINS0_14default_configENS1_27scan_by_key_config_selectorIssEEZZNS1_16scan_by_key_implILNS1_25lookback_scan_determinismE0ELb1ES3_N6thrust23THRUST_200600_302600_NS6detail15normal_iteratorINS9_10device_ptrIsEEEESE_SE_sNS9_4plusIvEENS9_8equal_toIsEEsEE10hipError_tPvRmT2_T3_T4_T5_mT6_T7_P12ihipStream_tbENKUlT_T0_E_clISt17integral_constantIbLb0EESZ_EEDaSU_SV_EUlSU_E_NS1_11comp_targetILNS1_3genE10ELNS1_11target_archE1201ELNS1_3gpuE5ELNS1_3repE0EEENS1_30default_config_static_selectorELNS0_4arch9wavefront6targetE1EEEvT1_,"axG",@progbits,_ZN7rocprim17ROCPRIM_400000_NS6detail17trampoline_kernelINS0_14default_configENS1_27scan_by_key_config_selectorIssEEZZNS1_16scan_by_key_implILNS1_25lookback_scan_determinismE0ELb1ES3_N6thrust23THRUST_200600_302600_NS6detail15normal_iteratorINS9_10device_ptrIsEEEESE_SE_sNS9_4plusIvEENS9_8equal_toIsEEsEE10hipError_tPvRmT2_T3_T4_T5_mT6_T7_P12ihipStream_tbENKUlT_T0_E_clISt17integral_constantIbLb0EESZ_EEDaSU_SV_EUlSU_E_NS1_11comp_targetILNS1_3genE10ELNS1_11target_archE1201ELNS1_3gpuE5ELNS1_3repE0EEENS1_30default_config_static_selectorELNS0_4arch9wavefront6targetE1EEEvT1_,comdat
.Lfunc_end642:
	.size	_ZN7rocprim17ROCPRIM_400000_NS6detail17trampoline_kernelINS0_14default_configENS1_27scan_by_key_config_selectorIssEEZZNS1_16scan_by_key_implILNS1_25lookback_scan_determinismE0ELb1ES3_N6thrust23THRUST_200600_302600_NS6detail15normal_iteratorINS9_10device_ptrIsEEEESE_SE_sNS9_4plusIvEENS9_8equal_toIsEEsEE10hipError_tPvRmT2_T3_T4_T5_mT6_T7_P12ihipStream_tbENKUlT_T0_E_clISt17integral_constantIbLb0EESZ_EEDaSU_SV_EUlSU_E_NS1_11comp_targetILNS1_3genE10ELNS1_11target_archE1201ELNS1_3gpuE5ELNS1_3repE0EEENS1_30default_config_static_selectorELNS0_4arch9wavefront6targetE1EEEvT1_, .Lfunc_end642-_ZN7rocprim17ROCPRIM_400000_NS6detail17trampoline_kernelINS0_14default_configENS1_27scan_by_key_config_selectorIssEEZZNS1_16scan_by_key_implILNS1_25lookback_scan_determinismE0ELb1ES3_N6thrust23THRUST_200600_302600_NS6detail15normal_iteratorINS9_10device_ptrIsEEEESE_SE_sNS9_4plusIvEENS9_8equal_toIsEEsEE10hipError_tPvRmT2_T3_T4_T5_mT6_T7_P12ihipStream_tbENKUlT_T0_E_clISt17integral_constantIbLb0EESZ_EEDaSU_SV_EUlSU_E_NS1_11comp_targetILNS1_3genE10ELNS1_11target_archE1201ELNS1_3gpuE5ELNS1_3repE0EEENS1_30default_config_static_selectorELNS0_4arch9wavefront6targetE1EEEvT1_
                                        ; -- End function
	.section	.AMDGPU.csdata,"",@progbits
; Kernel info:
; codeLenInByte = 0
; NumSgprs: 4
; NumVgprs: 0
; NumAgprs: 0
; TotalNumVgprs: 0
; ScratchSize: 0
; MemoryBound: 0
; FloatMode: 240
; IeeeMode: 1
; LDSByteSize: 0 bytes/workgroup (compile time only)
; SGPRBlocks: 0
; VGPRBlocks: 0
; NumSGPRsForWavesPerEU: 4
; NumVGPRsForWavesPerEU: 1
; AccumOffset: 4
; Occupancy: 8
; WaveLimiterHint : 0
; COMPUTE_PGM_RSRC2:SCRATCH_EN: 0
; COMPUTE_PGM_RSRC2:USER_SGPR: 6
; COMPUTE_PGM_RSRC2:TRAP_HANDLER: 0
; COMPUTE_PGM_RSRC2:TGID_X_EN: 1
; COMPUTE_PGM_RSRC2:TGID_Y_EN: 0
; COMPUTE_PGM_RSRC2:TGID_Z_EN: 0
; COMPUTE_PGM_RSRC2:TIDIG_COMP_CNT: 0
; COMPUTE_PGM_RSRC3_GFX90A:ACCUM_OFFSET: 0
; COMPUTE_PGM_RSRC3_GFX90A:TG_SPLIT: 0
	.section	.text._ZN7rocprim17ROCPRIM_400000_NS6detail17trampoline_kernelINS0_14default_configENS1_27scan_by_key_config_selectorIssEEZZNS1_16scan_by_key_implILNS1_25lookback_scan_determinismE0ELb1ES3_N6thrust23THRUST_200600_302600_NS6detail15normal_iteratorINS9_10device_ptrIsEEEESE_SE_sNS9_4plusIvEENS9_8equal_toIsEEsEE10hipError_tPvRmT2_T3_T4_T5_mT6_T7_P12ihipStream_tbENKUlT_T0_E_clISt17integral_constantIbLb0EESZ_EEDaSU_SV_EUlSU_E_NS1_11comp_targetILNS1_3genE5ELNS1_11target_archE942ELNS1_3gpuE9ELNS1_3repE0EEENS1_30default_config_static_selectorELNS0_4arch9wavefront6targetE1EEEvT1_,"axG",@progbits,_ZN7rocprim17ROCPRIM_400000_NS6detail17trampoline_kernelINS0_14default_configENS1_27scan_by_key_config_selectorIssEEZZNS1_16scan_by_key_implILNS1_25lookback_scan_determinismE0ELb1ES3_N6thrust23THRUST_200600_302600_NS6detail15normal_iteratorINS9_10device_ptrIsEEEESE_SE_sNS9_4plusIvEENS9_8equal_toIsEEsEE10hipError_tPvRmT2_T3_T4_T5_mT6_T7_P12ihipStream_tbENKUlT_T0_E_clISt17integral_constantIbLb0EESZ_EEDaSU_SV_EUlSU_E_NS1_11comp_targetILNS1_3genE5ELNS1_11target_archE942ELNS1_3gpuE9ELNS1_3repE0EEENS1_30default_config_static_selectorELNS0_4arch9wavefront6targetE1EEEvT1_,comdat
	.protected	_ZN7rocprim17ROCPRIM_400000_NS6detail17trampoline_kernelINS0_14default_configENS1_27scan_by_key_config_selectorIssEEZZNS1_16scan_by_key_implILNS1_25lookback_scan_determinismE0ELb1ES3_N6thrust23THRUST_200600_302600_NS6detail15normal_iteratorINS9_10device_ptrIsEEEESE_SE_sNS9_4plusIvEENS9_8equal_toIsEEsEE10hipError_tPvRmT2_T3_T4_T5_mT6_T7_P12ihipStream_tbENKUlT_T0_E_clISt17integral_constantIbLb0EESZ_EEDaSU_SV_EUlSU_E_NS1_11comp_targetILNS1_3genE5ELNS1_11target_archE942ELNS1_3gpuE9ELNS1_3repE0EEENS1_30default_config_static_selectorELNS0_4arch9wavefront6targetE1EEEvT1_ ; -- Begin function _ZN7rocprim17ROCPRIM_400000_NS6detail17trampoline_kernelINS0_14default_configENS1_27scan_by_key_config_selectorIssEEZZNS1_16scan_by_key_implILNS1_25lookback_scan_determinismE0ELb1ES3_N6thrust23THRUST_200600_302600_NS6detail15normal_iteratorINS9_10device_ptrIsEEEESE_SE_sNS9_4plusIvEENS9_8equal_toIsEEsEE10hipError_tPvRmT2_T3_T4_T5_mT6_T7_P12ihipStream_tbENKUlT_T0_E_clISt17integral_constantIbLb0EESZ_EEDaSU_SV_EUlSU_E_NS1_11comp_targetILNS1_3genE5ELNS1_11target_archE942ELNS1_3gpuE9ELNS1_3repE0EEENS1_30default_config_static_selectorELNS0_4arch9wavefront6targetE1EEEvT1_
	.globl	_ZN7rocprim17ROCPRIM_400000_NS6detail17trampoline_kernelINS0_14default_configENS1_27scan_by_key_config_selectorIssEEZZNS1_16scan_by_key_implILNS1_25lookback_scan_determinismE0ELb1ES3_N6thrust23THRUST_200600_302600_NS6detail15normal_iteratorINS9_10device_ptrIsEEEESE_SE_sNS9_4plusIvEENS9_8equal_toIsEEsEE10hipError_tPvRmT2_T3_T4_T5_mT6_T7_P12ihipStream_tbENKUlT_T0_E_clISt17integral_constantIbLb0EESZ_EEDaSU_SV_EUlSU_E_NS1_11comp_targetILNS1_3genE5ELNS1_11target_archE942ELNS1_3gpuE9ELNS1_3repE0EEENS1_30default_config_static_selectorELNS0_4arch9wavefront6targetE1EEEvT1_
	.p2align	8
	.type	_ZN7rocprim17ROCPRIM_400000_NS6detail17trampoline_kernelINS0_14default_configENS1_27scan_by_key_config_selectorIssEEZZNS1_16scan_by_key_implILNS1_25lookback_scan_determinismE0ELb1ES3_N6thrust23THRUST_200600_302600_NS6detail15normal_iteratorINS9_10device_ptrIsEEEESE_SE_sNS9_4plusIvEENS9_8equal_toIsEEsEE10hipError_tPvRmT2_T3_T4_T5_mT6_T7_P12ihipStream_tbENKUlT_T0_E_clISt17integral_constantIbLb0EESZ_EEDaSU_SV_EUlSU_E_NS1_11comp_targetILNS1_3genE5ELNS1_11target_archE942ELNS1_3gpuE9ELNS1_3repE0EEENS1_30default_config_static_selectorELNS0_4arch9wavefront6targetE1EEEvT1_,@function
_ZN7rocprim17ROCPRIM_400000_NS6detail17trampoline_kernelINS0_14default_configENS1_27scan_by_key_config_selectorIssEEZZNS1_16scan_by_key_implILNS1_25lookback_scan_determinismE0ELb1ES3_N6thrust23THRUST_200600_302600_NS6detail15normal_iteratorINS9_10device_ptrIsEEEESE_SE_sNS9_4plusIvEENS9_8equal_toIsEEsEE10hipError_tPvRmT2_T3_T4_T5_mT6_T7_P12ihipStream_tbENKUlT_T0_E_clISt17integral_constantIbLb0EESZ_EEDaSU_SV_EUlSU_E_NS1_11comp_targetILNS1_3genE5ELNS1_11target_archE942ELNS1_3gpuE9ELNS1_3repE0EEENS1_30default_config_static_selectorELNS0_4arch9wavefront6targetE1EEEvT1_: ; @_ZN7rocprim17ROCPRIM_400000_NS6detail17trampoline_kernelINS0_14default_configENS1_27scan_by_key_config_selectorIssEEZZNS1_16scan_by_key_implILNS1_25lookback_scan_determinismE0ELb1ES3_N6thrust23THRUST_200600_302600_NS6detail15normal_iteratorINS9_10device_ptrIsEEEESE_SE_sNS9_4plusIvEENS9_8equal_toIsEEsEE10hipError_tPvRmT2_T3_T4_T5_mT6_T7_P12ihipStream_tbENKUlT_T0_E_clISt17integral_constantIbLb0EESZ_EEDaSU_SV_EUlSU_E_NS1_11comp_targetILNS1_3genE5ELNS1_11target_archE942ELNS1_3gpuE9ELNS1_3repE0EEENS1_30default_config_static_selectorELNS0_4arch9wavefront6targetE1EEEvT1_
; %bb.0:
	.section	.rodata,"a",@progbits
	.p2align	6, 0x0
	.amdhsa_kernel _ZN7rocprim17ROCPRIM_400000_NS6detail17trampoline_kernelINS0_14default_configENS1_27scan_by_key_config_selectorIssEEZZNS1_16scan_by_key_implILNS1_25lookback_scan_determinismE0ELb1ES3_N6thrust23THRUST_200600_302600_NS6detail15normal_iteratorINS9_10device_ptrIsEEEESE_SE_sNS9_4plusIvEENS9_8equal_toIsEEsEE10hipError_tPvRmT2_T3_T4_T5_mT6_T7_P12ihipStream_tbENKUlT_T0_E_clISt17integral_constantIbLb0EESZ_EEDaSU_SV_EUlSU_E_NS1_11comp_targetILNS1_3genE5ELNS1_11target_archE942ELNS1_3gpuE9ELNS1_3repE0EEENS1_30default_config_static_selectorELNS0_4arch9wavefront6targetE1EEEvT1_
		.amdhsa_group_segment_fixed_size 0
		.amdhsa_private_segment_fixed_size 0
		.amdhsa_kernarg_size 112
		.amdhsa_user_sgpr_count 6
		.amdhsa_user_sgpr_private_segment_buffer 1
		.amdhsa_user_sgpr_dispatch_ptr 0
		.amdhsa_user_sgpr_queue_ptr 0
		.amdhsa_user_sgpr_kernarg_segment_ptr 1
		.amdhsa_user_sgpr_dispatch_id 0
		.amdhsa_user_sgpr_flat_scratch_init 0
		.amdhsa_user_sgpr_kernarg_preload_length 0
		.amdhsa_user_sgpr_kernarg_preload_offset 0
		.amdhsa_user_sgpr_private_segment_size 0
		.amdhsa_uses_dynamic_stack 0
		.amdhsa_system_sgpr_private_segment_wavefront_offset 0
		.amdhsa_system_sgpr_workgroup_id_x 1
		.amdhsa_system_sgpr_workgroup_id_y 0
		.amdhsa_system_sgpr_workgroup_id_z 0
		.amdhsa_system_sgpr_workgroup_info 0
		.amdhsa_system_vgpr_workitem_id 0
		.amdhsa_next_free_vgpr 1
		.amdhsa_next_free_sgpr 0
		.amdhsa_accum_offset 4
		.amdhsa_reserve_vcc 0
		.amdhsa_reserve_flat_scratch 0
		.amdhsa_float_round_mode_32 0
		.amdhsa_float_round_mode_16_64 0
		.amdhsa_float_denorm_mode_32 3
		.amdhsa_float_denorm_mode_16_64 3
		.amdhsa_dx10_clamp 1
		.amdhsa_ieee_mode 1
		.amdhsa_fp16_overflow 0
		.amdhsa_tg_split 0
		.amdhsa_exception_fp_ieee_invalid_op 0
		.amdhsa_exception_fp_denorm_src 0
		.amdhsa_exception_fp_ieee_div_zero 0
		.amdhsa_exception_fp_ieee_overflow 0
		.amdhsa_exception_fp_ieee_underflow 0
		.amdhsa_exception_fp_ieee_inexact 0
		.amdhsa_exception_int_div_zero 0
	.end_amdhsa_kernel
	.section	.text._ZN7rocprim17ROCPRIM_400000_NS6detail17trampoline_kernelINS0_14default_configENS1_27scan_by_key_config_selectorIssEEZZNS1_16scan_by_key_implILNS1_25lookback_scan_determinismE0ELb1ES3_N6thrust23THRUST_200600_302600_NS6detail15normal_iteratorINS9_10device_ptrIsEEEESE_SE_sNS9_4plusIvEENS9_8equal_toIsEEsEE10hipError_tPvRmT2_T3_T4_T5_mT6_T7_P12ihipStream_tbENKUlT_T0_E_clISt17integral_constantIbLb0EESZ_EEDaSU_SV_EUlSU_E_NS1_11comp_targetILNS1_3genE5ELNS1_11target_archE942ELNS1_3gpuE9ELNS1_3repE0EEENS1_30default_config_static_selectorELNS0_4arch9wavefront6targetE1EEEvT1_,"axG",@progbits,_ZN7rocprim17ROCPRIM_400000_NS6detail17trampoline_kernelINS0_14default_configENS1_27scan_by_key_config_selectorIssEEZZNS1_16scan_by_key_implILNS1_25lookback_scan_determinismE0ELb1ES3_N6thrust23THRUST_200600_302600_NS6detail15normal_iteratorINS9_10device_ptrIsEEEESE_SE_sNS9_4plusIvEENS9_8equal_toIsEEsEE10hipError_tPvRmT2_T3_T4_T5_mT6_T7_P12ihipStream_tbENKUlT_T0_E_clISt17integral_constantIbLb0EESZ_EEDaSU_SV_EUlSU_E_NS1_11comp_targetILNS1_3genE5ELNS1_11target_archE942ELNS1_3gpuE9ELNS1_3repE0EEENS1_30default_config_static_selectorELNS0_4arch9wavefront6targetE1EEEvT1_,comdat
.Lfunc_end643:
	.size	_ZN7rocprim17ROCPRIM_400000_NS6detail17trampoline_kernelINS0_14default_configENS1_27scan_by_key_config_selectorIssEEZZNS1_16scan_by_key_implILNS1_25lookback_scan_determinismE0ELb1ES3_N6thrust23THRUST_200600_302600_NS6detail15normal_iteratorINS9_10device_ptrIsEEEESE_SE_sNS9_4plusIvEENS9_8equal_toIsEEsEE10hipError_tPvRmT2_T3_T4_T5_mT6_T7_P12ihipStream_tbENKUlT_T0_E_clISt17integral_constantIbLb0EESZ_EEDaSU_SV_EUlSU_E_NS1_11comp_targetILNS1_3genE5ELNS1_11target_archE942ELNS1_3gpuE9ELNS1_3repE0EEENS1_30default_config_static_selectorELNS0_4arch9wavefront6targetE1EEEvT1_, .Lfunc_end643-_ZN7rocprim17ROCPRIM_400000_NS6detail17trampoline_kernelINS0_14default_configENS1_27scan_by_key_config_selectorIssEEZZNS1_16scan_by_key_implILNS1_25lookback_scan_determinismE0ELb1ES3_N6thrust23THRUST_200600_302600_NS6detail15normal_iteratorINS9_10device_ptrIsEEEESE_SE_sNS9_4plusIvEENS9_8equal_toIsEEsEE10hipError_tPvRmT2_T3_T4_T5_mT6_T7_P12ihipStream_tbENKUlT_T0_E_clISt17integral_constantIbLb0EESZ_EEDaSU_SV_EUlSU_E_NS1_11comp_targetILNS1_3genE5ELNS1_11target_archE942ELNS1_3gpuE9ELNS1_3repE0EEENS1_30default_config_static_selectorELNS0_4arch9wavefront6targetE1EEEvT1_
                                        ; -- End function
	.section	.AMDGPU.csdata,"",@progbits
; Kernel info:
; codeLenInByte = 0
; NumSgprs: 4
; NumVgprs: 0
; NumAgprs: 0
; TotalNumVgprs: 0
; ScratchSize: 0
; MemoryBound: 0
; FloatMode: 240
; IeeeMode: 1
; LDSByteSize: 0 bytes/workgroup (compile time only)
; SGPRBlocks: 0
; VGPRBlocks: 0
; NumSGPRsForWavesPerEU: 4
; NumVGPRsForWavesPerEU: 1
; AccumOffset: 4
; Occupancy: 8
; WaveLimiterHint : 0
; COMPUTE_PGM_RSRC2:SCRATCH_EN: 0
; COMPUTE_PGM_RSRC2:USER_SGPR: 6
; COMPUTE_PGM_RSRC2:TRAP_HANDLER: 0
; COMPUTE_PGM_RSRC2:TGID_X_EN: 1
; COMPUTE_PGM_RSRC2:TGID_Y_EN: 0
; COMPUTE_PGM_RSRC2:TGID_Z_EN: 0
; COMPUTE_PGM_RSRC2:TIDIG_COMP_CNT: 0
; COMPUTE_PGM_RSRC3_GFX90A:ACCUM_OFFSET: 0
; COMPUTE_PGM_RSRC3_GFX90A:TG_SPLIT: 0
	.section	.text._ZN7rocprim17ROCPRIM_400000_NS6detail17trampoline_kernelINS0_14default_configENS1_27scan_by_key_config_selectorIssEEZZNS1_16scan_by_key_implILNS1_25lookback_scan_determinismE0ELb1ES3_N6thrust23THRUST_200600_302600_NS6detail15normal_iteratorINS9_10device_ptrIsEEEESE_SE_sNS9_4plusIvEENS9_8equal_toIsEEsEE10hipError_tPvRmT2_T3_T4_T5_mT6_T7_P12ihipStream_tbENKUlT_T0_E_clISt17integral_constantIbLb0EESZ_EEDaSU_SV_EUlSU_E_NS1_11comp_targetILNS1_3genE4ELNS1_11target_archE910ELNS1_3gpuE8ELNS1_3repE0EEENS1_30default_config_static_selectorELNS0_4arch9wavefront6targetE1EEEvT1_,"axG",@progbits,_ZN7rocprim17ROCPRIM_400000_NS6detail17trampoline_kernelINS0_14default_configENS1_27scan_by_key_config_selectorIssEEZZNS1_16scan_by_key_implILNS1_25lookback_scan_determinismE0ELb1ES3_N6thrust23THRUST_200600_302600_NS6detail15normal_iteratorINS9_10device_ptrIsEEEESE_SE_sNS9_4plusIvEENS9_8equal_toIsEEsEE10hipError_tPvRmT2_T3_T4_T5_mT6_T7_P12ihipStream_tbENKUlT_T0_E_clISt17integral_constantIbLb0EESZ_EEDaSU_SV_EUlSU_E_NS1_11comp_targetILNS1_3genE4ELNS1_11target_archE910ELNS1_3gpuE8ELNS1_3repE0EEENS1_30default_config_static_selectorELNS0_4arch9wavefront6targetE1EEEvT1_,comdat
	.protected	_ZN7rocprim17ROCPRIM_400000_NS6detail17trampoline_kernelINS0_14default_configENS1_27scan_by_key_config_selectorIssEEZZNS1_16scan_by_key_implILNS1_25lookback_scan_determinismE0ELb1ES3_N6thrust23THRUST_200600_302600_NS6detail15normal_iteratorINS9_10device_ptrIsEEEESE_SE_sNS9_4plusIvEENS9_8equal_toIsEEsEE10hipError_tPvRmT2_T3_T4_T5_mT6_T7_P12ihipStream_tbENKUlT_T0_E_clISt17integral_constantIbLb0EESZ_EEDaSU_SV_EUlSU_E_NS1_11comp_targetILNS1_3genE4ELNS1_11target_archE910ELNS1_3gpuE8ELNS1_3repE0EEENS1_30default_config_static_selectorELNS0_4arch9wavefront6targetE1EEEvT1_ ; -- Begin function _ZN7rocprim17ROCPRIM_400000_NS6detail17trampoline_kernelINS0_14default_configENS1_27scan_by_key_config_selectorIssEEZZNS1_16scan_by_key_implILNS1_25lookback_scan_determinismE0ELb1ES3_N6thrust23THRUST_200600_302600_NS6detail15normal_iteratorINS9_10device_ptrIsEEEESE_SE_sNS9_4plusIvEENS9_8equal_toIsEEsEE10hipError_tPvRmT2_T3_T4_T5_mT6_T7_P12ihipStream_tbENKUlT_T0_E_clISt17integral_constantIbLb0EESZ_EEDaSU_SV_EUlSU_E_NS1_11comp_targetILNS1_3genE4ELNS1_11target_archE910ELNS1_3gpuE8ELNS1_3repE0EEENS1_30default_config_static_selectorELNS0_4arch9wavefront6targetE1EEEvT1_
	.globl	_ZN7rocprim17ROCPRIM_400000_NS6detail17trampoline_kernelINS0_14default_configENS1_27scan_by_key_config_selectorIssEEZZNS1_16scan_by_key_implILNS1_25lookback_scan_determinismE0ELb1ES3_N6thrust23THRUST_200600_302600_NS6detail15normal_iteratorINS9_10device_ptrIsEEEESE_SE_sNS9_4plusIvEENS9_8equal_toIsEEsEE10hipError_tPvRmT2_T3_T4_T5_mT6_T7_P12ihipStream_tbENKUlT_T0_E_clISt17integral_constantIbLb0EESZ_EEDaSU_SV_EUlSU_E_NS1_11comp_targetILNS1_3genE4ELNS1_11target_archE910ELNS1_3gpuE8ELNS1_3repE0EEENS1_30default_config_static_selectorELNS0_4arch9wavefront6targetE1EEEvT1_
	.p2align	8
	.type	_ZN7rocprim17ROCPRIM_400000_NS6detail17trampoline_kernelINS0_14default_configENS1_27scan_by_key_config_selectorIssEEZZNS1_16scan_by_key_implILNS1_25lookback_scan_determinismE0ELb1ES3_N6thrust23THRUST_200600_302600_NS6detail15normal_iteratorINS9_10device_ptrIsEEEESE_SE_sNS9_4plusIvEENS9_8equal_toIsEEsEE10hipError_tPvRmT2_T3_T4_T5_mT6_T7_P12ihipStream_tbENKUlT_T0_E_clISt17integral_constantIbLb0EESZ_EEDaSU_SV_EUlSU_E_NS1_11comp_targetILNS1_3genE4ELNS1_11target_archE910ELNS1_3gpuE8ELNS1_3repE0EEENS1_30default_config_static_selectorELNS0_4arch9wavefront6targetE1EEEvT1_,@function
_ZN7rocprim17ROCPRIM_400000_NS6detail17trampoline_kernelINS0_14default_configENS1_27scan_by_key_config_selectorIssEEZZNS1_16scan_by_key_implILNS1_25lookback_scan_determinismE0ELb1ES3_N6thrust23THRUST_200600_302600_NS6detail15normal_iteratorINS9_10device_ptrIsEEEESE_SE_sNS9_4plusIvEENS9_8equal_toIsEEsEE10hipError_tPvRmT2_T3_T4_T5_mT6_T7_P12ihipStream_tbENKUlT_T0_E_clISt17integral_constantIbLb0EESZ_EEDaSU_SV_EUlSU_E_NS1_11comp_targetILNS1_3genE4ELNS1_11target_archE910ELNS1_3gpuE8ELNS1_3repE0EEENS1_30default_config_static_selectorELNS0_4arch9wavefront6targetE1EEEvT1_: ; @_ZN7rocprim17ROCPRIM_400000_NS6detail17trampoline_kernelINS0_14default_configENS1_27scan_by_key_config_selectorIssEEZZNS1_16scan_by_key_implILNS1_25lookback_scan_determinismE0ELb1ES3_N6thrust23THRUST_200600_302600_NS6detail15normal_iteratorINS9_10device_ptrIsEEEESE_SE_sNS9_4plusIvEENS9_8equal_toIsEEsEE10hipError_tPvRmT2_T3_T4_T5_mT6_T7_P12ihipStream_tbENKUlT_T0_E_clISt17integral_constantIbLb0EESZ_EEDaSU_SV_EUlSU_E_NS1_11comp_targetILNS1_3genE4ELNS1_11target_archE910ELNS1_3gpuE8ELNS1_3repE0EEENS1_30default_config_static_selectorELNS0_4arch9wavefront6targetE1EEEvT1_
; %bb.0:
	s_load_dwordx8 s[44:51], s[4:5], 0x0
	s_load_dword s7, s[4:5], 0x20
	s_load_dwordx4 s[52:55], s[4:5], 0x28
	s_load_dwordx2 s[64:65], s[4:5], 0x38
	s_load_dword s0, s[4:5], 0x40
	s_load_dwordx4 s[56:59], s[4:5], 0x48
	s_waitcnt lgkmcnt(0)
	s_lshl_b64 s[60:61], s[46:47], 1
	s_add_u32 s2, s44, s60
	s_addc_u32 s3, s45, s61
	s_add_u32 s4, s48, s60
	s_mul_i32 s1, s65, s0
	s_mul_hi_u32 s8, s64, s0
	s_addc_u32 s5, s49, s61
	s_add_i32 s8, s8, s1
	s_mul_i32 s9, s64, s0
	s_mul_i32 s0, s6, 0x1600
	s_mov_b32 s1, 0
	s_lshl_b64 s[62:63], s[0:1], 1
	s_add_u32 s66, s2, s62
	s_addc_u32 s67, s3, s63
	s_add_u32 s55, s4, s62
	s_addc_u32 s72, s5, s63
	;; [unrolled: 2-line block ×3, first 2 shown]
	s_add_u32 s4, s56, -1
	s_addc_u32 s5, s57, -1
	v_pk_mov_b32 v[2:3], s[4:5], s[4:5] op_sel:[0,1]
	v_cmp_ge_u64_e64 s[0:1], s[0:1], v[2:3]
	s_mov_b64 s[2:3], -1
	s_and_b64 vcc, exec, s[0:1]
	s_mul_i32 s33, s4, 0xffffea00
	s_barrier
	s_cbranch_vccz .LBB644_116
; %bb.1:
	v_pk_mov_b32 v[2:3], s[66:67], s[66:67] op_sel:[0,1]
	flat_load_ushort v6, v[2:3]
	s_add_i32 s74, s33, s54
	v_cmp_gt_u32_e32 vcc, s74, v0
	s_waitcnt vmcnt(0) lgkmcnt(0)
	v_mov_b32_e32 v7, v6
	s_and_saveexec_b64 s[4:5], vcc
	s_cbranch_execz .LBB644_3
; %bb.2:
	v_lshlrev_b32_e32 v1, 1, v0
	v_mov_b32_e32 v3, s67
	v_add_co_u32_e64 v2, s[2:3], s66, v1
	v_addc_co_u32_e64 v3, s[2:3], 0, v3, s[2:3]
	flat_load_ushort v7, v[2:3]
.LBB644_3:
	s_or_b64 exec, exec, s[4:5]
	v_or_b32_e32 v1, 0x100, v0
	v_cmp_gt_u32_e64 s[2:3], s74, v1
	v_mov_b32_e32 v8, v6
	s_and_saveexec_b64 s[8:9], s[2:3]
	s_cbranch_execz .LBB644_5
; %bb.4:
	v_lshlrev_b32_e32 v1, 1, v0
	v_mov_b32_e32 v3, s67
	v_add_co_u32_e64 v2, s[4:5], s66, v1
	v_addc_co_u32_e64 v3, s[4:5], 0, v3, s[4:5]
	flat_load_ushort v8, v[2:3] offset:512
.LBB644_5:
	s_or_b64 exec, exec, s[8:9]
	v_or_b32_e32 v1, 0x200, v0
	v_cmp_gt_u32_e64 s[4:5], s74, v1
	v_mov_b32_e32 v9, v6
	s_and_saveexec_b64 s[10:11], s[4:5]
	s_cbranch_execz .LBB644_7
; %bb.6:
	v_lshlrev_b32_e32 v1, 1, v0
	v_mov_b32_e32 v3, s67
	v_add_co_u32_e64 v2, s[8:9], s66, v1
	v_addc_co_u32_e64 v3, s[8:9], 0, v3, s[8:9]
	flat_load_ushort v9, v[2:3] offset:1024
.LBB644_7:
	;; [unrolled: 13-line block ×7, first 2 shown]
	s_or_b64 exec, exec, s[18:19]
	v_or_b32_e32 v1, 0x800, v0
	v_cmp_gt_u32_e64 s[16:17], s74, v1
	v_lshlrev_b32_e32 v1, 1, v1
	v_mov_b32_e32 v15, v6
	s_and_saveexec_b64 s[20:21], s[16:17]
	s_cbranch_execz .LBB644_19
; %bb.18:
	v_mov_b32_e32 v3, s67
	v_add_co_u32_e64 v2, s[18:19], s66, v1
	v_addc_co_u32_e64 v3, s[18:19], 0, v3, s[18:19]
	flat_load_ushort v15, v[2:3]
.LBB644_19:
	s_or_b64 exec, exec, s[20:21]
	v_or_b32_e32 v2, 0x900, v0
	v_cmp_gt_u32_e64 s[18:19], s74, v2
	v_lshlrev_b32_e32 v2, 1, v2
	v_mov_b32_e32 v26, v6
	s_and_saveexec_b64 s[22:23], s[18:19]
	s_cbranch_execz .LBB644_21
; %bb.20:
	v_mov_b32_e32 v3, s67
	v_add_co_u32_e64 v4, s[20:21], s66, v2
	v_addc_co_u32_e64 v5, s[20:21], 0, v3, s[20:21]
	flat_load_ushort v26, v[4:5]
.LBB644_21:
	;; [unrolled: 13-line block ×13, first 2 shown]
	s_or_b64 exec, exec, s[48:49]
	v_or_b32_e32 v20, 0x1500, v0
	v_cmp_gt_u32_e64 s[44:45], s74, v20
	v_lshlrev_b32_e32 v25, 1, v20
	s_and_saveexec_b64 s[56:57], s[44:45]
	s_cbranch_execz .LBB644_45
; %bb.44:
	v_mov_b32_e32 v6, s67
	v_add_co_u32_e64 v38, s[48:49], s66, v25
	v_addc_co_u32_e64 v39, s[48:49], 0, v6, s[48:49]
	flat_load_ushort v6, v[38:39]
.LBB644_45:
	s_or_b64 exec, exec, s[56:57]
	v_lshlrev_b32_e32 v20, 1, v0
	s_waitcnt vmcnt(0) lgkmcnt(0)
	ds_write_b16 v20, v7
	ds_write_b16 v20, v8 offset:512
	ds_write_b16 v20, v9 offset:1024
	;; [unrolled: 1-line block ×21, first 2 shown]
	v_pk_mov_b32 v[6:7], s[66:67], s[66:67] op_sel:[0,1]
	s_waitcnt lgkmcnt(0)
	s_barrier
	flat_load_ushort v36, v[6:7]
	v_mad_u32_u24 v38, v0, 42, v20
	s_movk_i32 s48, 0xffd6
	v_mad_i32_i24 v26, v0, s48, v38
	s_movk_i32 s48, 0xff
	v_cmp_ne_u32_e64 s[48:49], s48, v0
	ds_read2_b32 v[14:15], v38 offset1:1
	ds_read2_b32 v[12:13], v38 offset0:2 offset1:3
	ds_read2_b32 v[10:11], v38 offset0:4 offset1:5
	;; [unrolled: 1-line block ×4, first 2 shown]
	ds_read_b32 v39, v38 offset:40
	s_waitcnt lgkmcnt(0)
	ds_write_b16 v26, v14 offset:11776
	s_waitcnt lgkmcnt(0)
	s_barrier
	s_and_saveexec_b64 s[56:57], s[48:49]
	s_cbranch_execz .LBB644_47
; %bb.46:
	s_waitcnt vmcnt(0)
	ds_read_u16 v36, v20 offset:11778
.LBB644_47:
	s_or_b64 exec, exec, s[56:57]
	s_waitcnt lgkmcnt(0)
	s_barrier
	s_waitcnt lgkmcnt(0)
                                        ; implicit-def: $vgpr26
	s_and_saveexec_b64 s[48:49], vcc
	s_cbranch_execz .LBB644_185
; %bb.48:
	v_mov_b32_e32 v27, s72
	v_add_co_u32_e32 v26, vcc, s55, v20
	v_addc_co_u32_e32 v27, vcc, 0, v27, vcc
	flat_load_ushort v26, v[26:27]
	s_or_b64 exec, exec, s[48:49]
                                        ; implicit-def: $vgpr27
	s_and_saveexec_b64 s[48:49], s[2:3]
	s_cbranch_execnz .LBB644_186
.LBB644_49:
	s_or_b64 exec, exec, s[48:49]
                                        ; implicit-def: $vgpr28
	s_and_saveexec_b64 s[2:3], s[4:5]
	s_cbranch_execz .LBB644_187
.LBB644_50:
	v_mov_b32_e32 v29, s72
	v_add_co_u32_e32 v28, vcc, s55, v20
	v_addc_co_u32_e32 v29, vcc, 0, v29, vcc
	flat_load_ushort v28, v[28:29] offset:1024
	s_or_b64 exec, exec, s[2:3]
                                        ; implicit-def: $vgpr29
	s_and_saveexec_b64 s[2:3], s[46:47]
	s_cbranch_execnz .LBB644_188
.LBB644_51:
	s_or_b64 exec, exec, s[2:3]
                                        ; implicit-def: $vgpr30
	s_and_saveexec_b64 s[2:3], s[8:9]
	s_cbranch_execz .LBB644_189
.LBB644_52:
	v_mov_b32_e32 v31, s72
	v_add_co_u32_e32 v30, vcc, s55, v20
	v_addc_co_u32_e32 v31, vcc, 0, v31, vcc
	flat_load_ushort v30, v[30:31] offset:2048
	s_or_b64 exec, exec, s[2:3]
                                        ; implicit-def: $vgpr31
	s_and_saveexec_b64 s[2:3], s[10:11]
	s_cbranch_execnz .LBB644_190
.LBB644_53:
	s_or_b64 exec, exec, s[2:3]
                                        ; implicit-def: $vgpr32
	s_and_saveexec_b64 s[2:3], s[12:13]
	s_cbranch_execz .LBB644_191
.LBB644_54:
	v_mov_b32_e32 v33, s72
	v_add_co_u32_e32 v32, vcc, s55, v20
	v_addc_co_u32_e32 v33, vcc, 0, v33, vcc
	flat_load_ushort v32, v[32:33] offset:3072
	s_or_b64 exec, exec, s[2:3]
                                        ; implicit-def: $vgpr33
	s_and_saveexec_b64 s[2:3], s[14:15]
	s_cbranch_execnz .LBB644_192
.LBB644_55:
	s_or_b64 exec, exec, s[2:3]
                                        ; implicit-def: $vgpr34
	s_and_saveexec_b64 s[2:3], s[16:17]
	s_cbranch_execz .LBB644_193
.LBB644_56:
	v_mov_b32_e32 v35, s72
	v_add_co_u32_e32 v34, vcc, s55, v1
	v_addc_co_u32_e32 v35, vcc, 0, v35, vcc
	flat_load_ushort v34, v[34:35]
	s_or_b64 exec, exec, s[2:3]
                                        ; implicit-def: $vgpr1
	s_and_saveexec_b64 s[2:3], s[18:19]
	s_cbranch_execnz .LBB644_194
.LBB644_57:
	s_or_b64 exec, exec, s[2:3]
                                        ; implicit-def: $vgpr2
	s_and_saveexec_b64 s[2:3], s[20:21]
	s_cbranch_execz .LBB644_195
.LBB644_58:
	v_mov_b32_e32 v35, s72
	v_add_co_u32_e32 v2, vcc, s55, v3
	v_addc_co_u32_e32 v3, vcc, 0, v35, vcc
	flat_load_ushort v2, v[2:3]
	s_or_b64 exec, exec, s[2:3]
                                        ; implicit-def: $vgpr3
	s_and_saveexec_b64 s[2:3], s[22:23]
	s_cbranch_execnz .LBB644_196
.LBB644_59:
	s_or_b64 exec, exec, s[2:3]
                                        ; implicit-def: $vgpr4
	s_and_saveexec_b64 s[2:3], s[24:25]
	s_cbranch_execz .LBB644_197
.LBB644_60:
	v_mov_b32_e32 v35, s72
	v_add_co_u32_e32 v4, vcc, s55, v5
	v_addc_co_u32_e32 v5, vcc, 0, v35, vcc
	flat_load_ushort v4, v[4:5]
	s_or_b64 exec, exec, s[2:3]
                                        ; implicit-def: $vgpr5
	s_and_saveexec_b64 s[2:3], s[26:27]
	s_cbranch_execnz .LBB644_198
.LBB644_61:
	s_or_b64 exec, exec, s[2:3]
                                        ; implicit-def: $vgpr16
	s_and_saveexec_b64 s[2:3], s[28:29]
	s_cbranch_execz .LBB644_199
.LBB644_62:
	v_mov_b32_e32 v35, s72
	v_add_co_u32_e32 v16, vcc, s55, v17
	v_addc_co_u32_e32 v17, vcc, 0, v35, vcc
	flat_load_ushort v16, v[16:17]
	s_or_b64 exec, exec, s[2:3]
                                        ; implicit-def: $vgpr17
	s_and_saveexec_b64 s[2:3], s[30:31]
	s_cbranch_execnz .LBB644_200
.LBB644_63:
	s_or_b64 exec, exec, s[2:3]
                                        ; implicit-def: $vgpr18
	s_and_saveexec_b64 s[2:3], s[34:35]
	s_cbranch_execz .LBB644_201
.LBB644_64:
	v_mov_b32_e32 v35, s72
	v_add_co_u32_e32 v18, vcc, s55, v19
	v_addc_co_u32_e32 v19, vcc, 0, v35, vcc
	flat_load_ushort v18, v[18:19]
	s_or_b64 exec, exec, s[2:3]
                                        ; implicit-def: $vgpr19
	s_and_saveexec_b64 s[2:3], s[36:37]
	s_cbranch_execnz .LBB644_202
.LBB644_65:
	s_or_b64 exec, exec, s[2:3]
                                        ; implicit-def: $vgpr21
	s_and_saveexec_b64 s[2:3], s[38:39]
	s_cbranch_execz .LBB644_203
.LBB644_66:
	v_mov_b32_e32 v21, s72
	v_add_co_u32_e32 v40, vcc, s55, v22
	v_addc_co_u32_e32 v41, vcc, 0, v21, vcc
	flat_load_ushort v21, v[40:41]
	s_or_b64 exec, exec, s[2:3]
                                        ; implicit-def: $vgpr22
	s_and_saveexec_b64 s[2:3], s[40:41]
	s_cbranch_execnz .LBB644_204
.LBB644_67:
	s_or_b64 exec, exec, s[2:3]
                                        ; implicit-def: $vgpr23
	s_and_saveexec_b64 s[2:3], s[42:43]
	s_cbranch_execz .LBB644_69
.LBB644_68:
	v_mov_b32_e32 v23, s72
	v_add_co_u32_e32 v40, vcc, s55, v24
	v_addc_co_u32_e32 v41, vcc, 0, v23, vcc
	flat_load_ushort v23, v[40:41]
.LBB644_69:
	s_or_b64 exec, exec, s[2:3]
	v_mul_u32_u24_e32 v40, 22, v0
                                        ; implicit-def: $vgpr24
	s_and_saveexec_b64 s[2:3], s[44:45]
	s_cbranch_execz .LBB644_71
; %bb.70:
	v_mov_b32_e32 v35, s72
	v_add_co_u32_e32 v24, vcc, s55, v25
	v_addc_co_u32_e32 v25, vcc, 0, v35, vcc
	flat_load_ushort v24, v[24:25]
.LBB644_71:
	s_or_b64 exec, exec, s[2:3]
	s_waitcnt vmcnt(0) lgkmcnt(0)
	ds_write_b16 v20, v26
	ds_write_b16 v20, v27 offset:512
	ds_write_b16 v20, v28 offset:1024
	ds_write_b16 v20, v29 offset:1536
	ds_write_b16 v20, v30 offset:2048
	ds_write_b16 v20, v31 offset:2560
	ds_write_b16 v20, v32 offset:3072
	ds_write_b16 v20, v33 offset:3584
	ds_write_b16 v20, v34 offset:4096
	ds_write_b16 v20, v1 offset:4608
	ds_write_b16 v20, v2 offset:5120
	ds_write_b16 v20, v3 offset:5632
	ds_write_b16 v20, v4 offset:6144
	ds_write_b16 v20, v5 offset:6656
	ds_write_b16 v20, v16 offset:7168
	ds_write_b16 v20, v17 offset:7680
	ds_write_b16 v20, v18 offset:8192
	ds_write_b16 v20, v19 offset:8704
	ds_write_b16 v20, v21 offset:9216
	ds_write_b16 v20, v22 offset:9728
	ds_write_b16 v20, v23 offset:10240
	ds_write_b16 v20, v24 offset:10752
	v_cmp_gt_u32_e32 vcc, s74, v40
	s_mov_b64 s[2:3], 0
	s_mov_b32 s73, 0
	v_mov_b32_e32 v1, 0
	s_mov_b64 s[10:11], 0
	v_mov_b32_e32 v18, 0
	v_mov_b32_e32 v22, 0
	v_mov_b32_e32 v19, 0
	v_mov_b32_e32 v23, 0
	v_mov_b32_e32 v16, 0
	v_mov_b32_e32 v24, 0
	v_mov_b32_e32 v17, 0
	v_mov_b32_e32 v25, 0
	v_mov_b32_e32 v26, 0
	v_mov_b32_e32 v27, 0
	v_mov_b32_e32 v28, 0
	v_mov_b32_e32 v29, 0
	v_mov_b32_e32 v30, 0
	v_mov_b32_e32 v31, 0
	v_mov_b32_e32 v32, 0
	v_mov_b32_e32 v33, 0
	v_mov_b32_e32 v20, 0
	v_mov_b32_e32 v34, 0
	v_mov_b32_e32 v21, 0
	v_mov_b32_e32 v35, 0
	s_waitcnt lgkmcnt(0)
	s_barrier
	s_waitcnt lgkmcnt(0)
                                        ; implicit-def: $sgpr8_sgpr9
                                        ; implicit-def: $vgpr37
	s_and_saveexec_b64 s[4:5], vcc
	s_cbranch_execz .LBB644_115
; %bb.72:
	ds_read_u16 v1, v38
	v_mov_b32_e32 v3, s7
	v_cmp_eq_u16_sdwa vcc, v14, v14 src0_sel:DWORD src1_sel:WORD_1
	v_cmp_ne_u16_sdwa s[8:9], v14, v14 src0_sel:DWORD src1_sel:WORD_1
	v_or_b32_e32 v2, 1, v40
	s_waitcnt lgkmcnt(0)
	v_cndmask_b32_e32 v1, v3, v1, vcc
	v_and_b32_e32 v1, 0xffff, v1
	v_cndmask_b32_e64 v3, 0, 1, s[8:9]
	v_lshl_or_b32 v1, v3, 16, v1
	v_cmp_gt_u32_e32 vcc, s74, v2
	v_mov_b32_e32 v18, 0
	v_mov_b32_e32 v22, 0
	;; [unrolled: 1-line block ×20, first 2 shown]
                                        ; implicit-def: $sgpr12_sgpr13
                                        ; implicit-def: $vgpr37
	s_and_saveexec_b64 s[8:9], vcc
	s_cbranch_execz .LBB644_114
; %bb.73:
	ds_read_b128 v[2:5], v38 offset:2
	v_mov_b32_e32 v17, s7
	v_cmp_eq_u16_sdwa vcc, v14, v15 src0_sel:WORD_1 src1_sel:DWORD
	v_cmp_ne_u16_sdwa s[10:11], v14, v15 src0_sel:WORD_1 src1_sel:DWORD
	v_add_u32_e32 v16, 2, v40
	s_waitcnt lgkmcnt(0)
	v_cndmask_b32_e32 v17, v17, v2, vcc
	v_and_b32_e32 v17, 0xffff, v17
	v_cndmask_b32_e64 v14, 0, 1, s[10:11]
	v_lshl_or_b32 v18, v14, 16, v17
	v_cmp_gt_u32_e32 vcc, s74, v16
	s_mov_b64 s[14:15], 0
	v_mov_b32_e32 v22, 0
	v_mov_b32_e32 v19, 0
	;; [unrolled: 1-line block ×19, first 2 shown]
                                        ; implicit-def: $sgpr12_sgpr13
                                        ; implicit-def: $vgpr37
	s_and_saveexec_b64 s[10:11], vcc
	s_cbranch_execz .LBB644_113
; %bb.74:
	v_lshrrev_b32_e32 v2, 16, v2
	v_mov_b32_e32 v16, s7
	v_cmp_eq_u16_sdwa vcc, v15, v15 src0_sel:DWORD src1_sel:WORD_1
	v_cndmask_b32_e32 v2, v16, v2, vcc
	v_cmp_ne_u16_sdwa s[12:13], v15, v15 src0_sel:DWORD src1_sel:WORD_1
	v_add_u32_e32 v14, 3, v40
	v_and_b32_e32 v2, 0xffff, v2
	v_cndmask_b32_e64 v16, 0, 1, s[12:13]
	v_lshl_or_b32 v22, v16, 16, v2
	v_cmp_gt_u32_e32 vcc, s74, v14
	v_mov_b32_e32 v19, 0
	v_mov_b32_e32 v23, 0
	;; [unrolled: 1-line block ×18, first 2 shown]
                                        ; implicit-def: $sgpr16_sgpr17
                                        ; implicit-def: $vgpr37
	s_and_saveexec_b64 s[12:13], vcc
	s_cbranch_execz .LBB644_112
; %bb.75:
	v_mov_b32_e32 v14, s7
	v_cmp_eq_u16_sdwa vcc, v15, v12 src0_sel:WORD_1 src1_sel:DWORD
	v_cndmask_b32_e32 v14, v14, v3, vcc
	v_cmp_ne_u16_sdwa s[14:15], v15, v12 src0_sel:WORD_1 src1_sel:DWORD
	v_add_u32_e32 v2, 4, v40
	v_and_b32_e32 v14, 0xffff, v14
	v_cndmask_b32_e64 v15, 0, 1, s[14:15]
	v_lshl_or_b32 v19, v15, 16, v14
	v_cmp_gt_u32_e32 vcc, s74, v2
	s_mov_b64 s[18:19], 0
	v_mov_b32_e32 v23, 0
	v_mov_b32_e32 v16, 0
	;; [unrolled: 1-line block ×17, first 2 shown]
                                        ; implicit-def: $sgpr16_sgpr17
                                        ; implicit-def: $vgpr37
	s_and_saveexec_b64 s[14:15], vcc
	s_cbranch_execz .LBB644_111
; %bb.76:
	v_lshrrev_b32_e32 v2, 16, v3
	v_mov_b32_e32 v14, s7
	v_cmp_eq_u16_sdwa vcc, v12, v12 src0_sel:DWORD src1_sel:WORD_1
	v_cndmask_b32_e32 v2, v14, v2, vcc
	v_cmp_ne_u16_sdwa s[16:17], v12, v12 src0_sel:DWORD src1_sel:WORD_1
	v_add_u32_e32 v3, 5, v40
	v_and_b32_e32 v2, 0xffff, v2
	v_cndmask_b32_e64 v14, 0, 1, s[16:17]
	v_lshl_or_b32 v23, v14, 16, v2
	v_cmp_gt_u32_e32 vcc, s74, v3
	v_mov_b32_e32 v16, 0
	v_mov_b32_e32 v24, 0
	;; [unrolled: 1-line block ×16, first 2 shown]
                                        ; implicit-def: $sgpr20_sgpr21
                                        ; implicit-def: $vgpr37
	s_and_saveexec_b64 s[16:17], vcc
	s_cbranch_execz .LBB644_110
; %bb.77:
	v_mov_b32_e32 v3, s7
	v_cmp_eq_u16_sdwa vcc, v12, v13 src0_sel:WORD_1 src1_sel:DWORD
	v_cndmask_b32_e32 v3, v3, v4, vcc
	v_cmp_ne_u16_sdwa s[18:19], v12, v13 src0_sel:WORD_1 src1_sel:DWORD
	v_add_u32_e32 v2, 6, v40
	v_and_b32_e32 v3, 0xffff, v3
	v_cndmask_b32_e64 v12, 0, 1, s[18:19]
	v_lshl_or_b32 v16, v12, 16, v3
	v_cmp_gt_u32_e32 vcc, s74, v2
	s_mov_b64 s[22:23], 0
	v_mov_b32_e32 v24, 0
	v_mov_b32_e32 v17, 0
	;; [unrolled: 1-line block ×15, first 2 shown]
                                        ; implicit-def: $sgpr20_sgpr21
                                        ; implicit-def: $vgpr37
	s_and_saveexec_b64 s[18:19], vcc
	s_cbranch_execz .LBB644_109
; %bb.78:
	v_lshrrev_b32_e32 v2, 16, v4
	v_mov_b32_e32 v4, s7
	v_cmp_eq_u16_sdwa vcc, v13, v13 src0_sel:DWORD src1_sel:WORD_1
	v_cndmask_b32_e32 v2, v4, v2, vcc
	v_cmp_ne_u16_sdwa s[20:21], v13, v13 src0_sel:DWORD src1_sel:WORD_1
	v_add_u32_e32 v3, 7, v40
	v_and_b32_e32 v2, 0xffff, v2
	v_cndmask_b32_e64 v4, 0, 1, s[20:21]
	v_lshl_or_b32 v24, v4, 16, v2
	v_cmp_gt_u32_e32 vcc, s74, v3
	v_mov_b32_e32 v17, 0
	v_mov_b32_e32 v25, 0
	;; [unrolled: 1-line block ×14, first 2 shown]
                                        ; implicit-def: $sgpr24_sgpr25
                                        ; implicit-def: $vgpr37
	s_and_saveexec_b64 s[20:21], vcc
	s_cbranch_execz .LBB644_108
; %bb.79:
	v_mov_b32_e32 v3, s7
	v_cmp_eq_u16_sdwa vcc, v13, v10 src0_sel:WORD_1 src1_sel:DWORD
	v_cndmask_b32_e32 v3, v3, v5, vcc
	v_cmp_ne_u16_sdwa s[22:23], v13, v10 src0_sel:WORD_1 src1_sel:DWORD
	v_add_u32_e32 v2, 8, v40
	v_and_b32_e32 v3, 0xffff, v3
	v_cndmask_b32_e64 v4, 0, 1, s[22:23]
	v_lshl_or_b32 v17, v4, 16, v3
	v_cmp_gt_u32_e32 vcc, s74, v2
	s_mov_b64 s[26:27], 0
	v_mov_b32_e32 v25, 0
	v_mov_b32_e32 v26, 0
	;; [unrolled: 1-line block ×13, first 2 shown]
                                        ; implicit-def: $sgpr24_sgpr25
                                        ; implicit-def: $vgpr37
	s_and_saveexec_b64 s[22:23], vcc
	s_cbranch_execz .LBB644_107
; %bb.80:
	v_lshrrev_b32_e32 v2, 16, v5
	v_mov_b32_e32 v4, s7
	v_cmp_eq_u16_sdwa vcc, v10, v10 src0_sel:DWORD src1_sel:WORD_1
	v_cndmask_b32_e32 v2, v4, v2, vcc
	v_cmp_ne_u16_sdwa s[24:25], v10, v10 src0_sel:DWORD src1_sel:WORD_1
	v_add_u32_e32 v3, 9, v40
	v_and_b32_e32 v2, 0xffff, v2
	v_cndmask_b32_e64 v4, 0, 1, s[24:25]
	v_lshl_or_b32 v25, v4, 16, v2
	v_cmp_gt_u32_e32 vcc, s74, v3
	v_mov_b32_e32 v26, 0
	v_mov_b32_e32 v27, 0
	;; [unrolled: 1-line block ×12, first 2 shown]
                                        ; implicit-def: $sgpr28_sgpr29
                                        ; implicit-def: $vgpr37
	s_and_saveexec_b64 s[24:25], vcc
	s_cbranch_execz .LBB644_106
; %bb.81:
	ds_read_b128 v[2:5], v38 offset:18
	v_mov_b32_e32 v13, s7
	v_cmp_eq_u16_sdwa vcc, v10, v11 src0_sel:WORD_1 src1_sel:DWORD
	v_cmp_ne_u16_sdwa s[26:27], v10, v11 src0_sel:WORD_1 src1_sel:DWORD
	v_add_u32_e32 v12, 10, v40
	s_waitcnt lgkmcnt(0)
	v_cndmask_b32_e32 v13, v13, v2, vcc
	v_and_b32_e32 v13, 0xffff, v13
	v_cndmask_b32_e64 v10, 0, 1, s[26:27]
	v_lshl_or_b32 v26, v10, 16, v13
	v_cmp_gt_u32_e32 vcc, s74, v12
	s_mov_b64 s[30:31], 0
	v_mov_b32_e32 v27, 0
	v_mov_b32_e32 v28, 0
	;; [unrolled: 1-line block ×11, first 2 shown]
                                        ; implicit-def: $sgpr28_sgpr29
                                        ; implicit-def: $vgpr37
	s_and_saveexec_b64 s[26:27], vcc
	s_cbranch_execz .LBB644_105
; %bb.82:
	v_lshrrev_b32_e32 v2, 16, v2
	v_mov_b32_e32 v12, s7
	v_cmp_eq_u16_sdwa vcc, v11, v11 src0_sel:DWORD src1_sel:WORD_1
	v_cndmask_b32_e32 v2, v12, v2, vcc
	v_cmp_ne_u16_sdwa s[28:29], v11, v11 src0_sel:DWORD src1_sel:WORD_1
	v_add_u32_e32 v10, 11, v40
	v_and_b32_e32 v2, 0xffff, v2
	v_cndmask_b32_e64 v12, 0, 1, s[28:29]
	v_lshl_or_b32 v27, v12, 16, v2
	v_cmp_gt_u32_e32 vcc, s74, v10
	v_mov_b32_e32 v28, 0
	v_mov_b32_e32 v29, 0
	v_mov_b32_e32 v30, 0
	v_mov_b32_e32 v31, 0
	v_mov_b32_e32 v32, 0
	v_mov_b32_e32 v33, 0
	v_mov_b32_e32 v20, 0
	v_mov_b32_e32 v34, 0
	v_mov_b32_e32 v21, 0
	v_mov_b32_e32 v35, 0
                                        ; implicit-def: $sgpr34_sgpr35
                                        ; implicit-def: $vgpr37
	s_and_saveexec_b64 s[28:29], vcc
	s_cbranch_execz .LBB644_104
; %bb.83:
	v_mov_b32_e32 v10, s7
	v_cmp_eq_u16_sdwa vcc, v11, v8 src0_sel:WORD_1 src1_sel:DWORD
	v_cndmask_b32_e32 v10, v10, v3, vcc
	v_cmp_ne_u16_sdwa s[30:31], v11, v8 src0_sel:WORD_1 src1_sel:DWORD
	v_add_u32_e32 v2, 12, v40
	v_and_b32_e32 v10, 0xffff, v10
	v_cndmask_b32_e64 v11, 0, 1, s[30:31]
	v_lshl_or_b32 v28, v11, 16, v10
	v_cmp_gt_u32_e32 vcc, s74, v2
	s_mov_b64 s[36:37], 0
	v_mov_b32_e32 v29, 0
	v_mov_b32_e32 v30, 0
	;; [unrolled: 1-line block ×9, first 2 shown]
                                        ; implicit-def: $sgpr34_sgpr35
                                        ; implicit-def: $vgpr37
	s_and_saveexec_b64 s[30:31], vcc
	s_cbranch_execz .LBB644_103
; %bb.84:
	v_lshrrev_b32_e32 v2, 16, v3
	v_mov_b32_e32 v10, s7
	v_cmp_eq_u16_sdwa vcc, v8, v8 src0_sel:DWORD src1_sel:WORD_1
	v_cndmask_b32_e32 v2, v10, v2, vcc
	v_cmp_ne_u16_sdwa s[34:35], v8, v8 src0_sel:DWORD src1_sel:WORD_1
	v_add_u32_e32 v3, 13, v40
	v_and_b32_e32 v2, 0xffff, v2
	v_cndmask_b32_e64 v10, 0, 1, s[34:35]
	v_lshl_or_b32 v29, v10, 16, v2
	v_cmp_gt_u32_e32 vcc, s74, v3
	v_mov_b32_e32 v30, 0
	v_mov_b32_e32 v31, 0
	;; [unrolled: 1-line block ×8, first 2 shown]
                                        ; implicit-def: $sgpr38_sgpr39
                                        ; implicit-def: $vgpr37
	s_and_saveexec_b64 s[34:35], vcc
	s_cbranch_execz .LBB644_102
; %bb.85:
	v_mov_b32_e32 v3, s7
	v_cmp_eq_u16_sdwa vcc, v8, v9 src0_sel:WORD_1 src1_sel:DWORD
	v_cndmask_b32_e32 v3, v3, v4, vcc
	v_cmp_ne_u16_sdwa s[36:37], v8, v9 src0_sel:WORD_1 src1_sel:DWORD
	v_add_u32_e32 v2, 14, v40
	v_and_b32_e32 v3, 0xffff, v3
	v_cndmask_b32_e64 v8, 0, 1, s[36:37]
	v_lshl_or_b32 v30, v8, 16, v3
	v_cmp_gt_u32_e32 vcc, s74, v2
	s_mov_b64 s[40:41], 0
	v_mov_b32_e32 v31, 0
	v_mov_b32_e32 v32, 0
	;; [unrolled: 1-line block ×7, first 2 shown]
                                        ; implicit-def: $sgpr38_sgpr39
                                        ; implicit-def: $vgpr37
	s_and_saveexec_b64 s[36:37], vcc
	s_cbranch_execz .LBB644_101
; %bb.86:
	v_lshrrev_b32_e32 v2, 16, v4
	v_mov_b32_e32 v4, s7
	v_cmp_eq_u16_sdwa vcc, v9, v9 src0_sel:DWORD src1_sel:WORD_1
	v_cndmask_b32_e32 v2, v4, v2, vcc
	v_cmp_ne_u16_sdwa s[38:39], v9, v9 src0_sel:DWORD src1_sel:WORD_1
	v_add_u32_e32 v3, 15, v40
	v_and_b32_e32 v2, 0xffff, v2
	v_cndmask_b32_e64 v4, 0, 1, s[38:39]
	v_lshl_or_b32 v31, v4, 16, v2
	v_cmp_gt_u32_e32 vcc, s74, v3
	v_mov_b32_e32 v32, 0
	v_mov_b32_e32 v33, 0
	;; [unrolled: 1-line block ×6, first 2 shown]
                                        ; implicit-def: $sgpr42_sgpr43
                                        ; implicit-def: $vgpr37
	s_and_saveexec_b64 s[38:39], vcc
	s_cbranch_execz .LBB644_100
; %bb.87:
	v_mov_b32_e32 v3, s7
	v_cmp_eq_u16_sdwa vcc, v9, v6 src0_sel:WORD_1 src1_sel:DWORD
	v_cndmask_b32_e32 v3, v3, v5, vcc
	v_cmp_ne_u16_sdwa s[40:41], v9, v6 src0_sel:WORD_1 src1_sel:DWORD
	v_add_u32_e32 v2, 16, v40
	v_and_b32_e32 v3, 0xffff, v3
	v_cndmask_b32_e64 v4, 0, 1, s[40:41]
	v_lshl_or_b32 v32, v4, 16, v3
	v_cmp_gt_u32_e32 vcc, s74, v2
	s_mov_b64 s[44:45], 0
	v_mov_b32_e32 v33, 0
	v_mov_b32_e32 v20, 0
	;; [unrolled: 1-line block ×5, first 2 shown]
                                        ; implicit-def: $sgpr42_sgpr43
                                        ; implicit-def: $vgpr37
	s_and_saveexec_b64 s[40:41], vcc
	s_cbranch_execz .LBB644_99
; %bb.88:
	v_lshrrev_b32_e32 v2, 16, v5
	v_mov_b32_e32 v4, s7
	v_cmp_eq_u16_sdwa vcc, v6, v6 src0_sel:DWORD src1_sel:WORD_1
	v_cndmask_b32_e32 v2, v4, v2, vcc
	v_cmp_ne_u16_sdwa s[42:43], v6, v6 src0_sel:DWORD src1_sel:WORD_1
	v_add_u32_e32 v3, 17, v40
	v_and_b32_e32 v2, 0xffff, v2
	v_cndmask_b32_e64 v4, 0, 1, s[42:43]
	v_lshl_or_b32 v33, v4, 16, v2
	v_cmp_gt_u32_e32 vcc, s74, v3
	v_mov_b32_e32 v20, 0
	v_mov_b32_e32 v34, 0
	;; [unrolled: 1-line block ×4, first 2 shown]
                                        ; implicit-def: $sgpr46_sgpr47
                                        ; implicit-def: $vgpr37
	s_and_saveexec_b64 s[42:43], vcc
	s_cbranch_execz .LBB644_98
; %bb.89:
	ds_read_b64 v[2:3], v38 offset:34
	v_mov_b32_e32 v5, s7
	v_cmp_eq_u16_sdwa vcc, v6, v7 src0_sel:WORD_1 src1_sel:DWORD
	v_cmp_ne_u16_sdwa s[44:45], v6, v7 src0_sel:WORD_1 src1_sel:DWORD
	v_add_u32_e32 v4, 18, v40
	s_waitcnt lgkmcnt(0)
	v_cndmask_b32_e32 v5, v5, v2, vcc
	v_and_b32_e32 v5, 0xffff, v5
	v_cndmask_b32_e64 v6, 0, 1, s[44:45]
	v_lshl_or_b32 v20, v6, 16, v5
	v_cmp_gt_u32_e32 vcc, s74, v4
	s_mov_b64 s[48:49], 0
	v_mov_b32_e32 v34, 0
	v_mov_b32_e32 v21, 0
	v_mov_b32_e32 v35, 0
                                        ; implicit-def: $sgpr46_sgpr47
                                        ; implicit-def: $vgpr37
	s_and_saveexec_b64 s[44:45], vcc
	s_cbranch_execz .LBB644_97
; %bb.90:
	v_lshrrev_b32_e32 v2, 16, v2
	v_mov_b32_e32 v5, s7
	v_cmp_eq_u16_sdwa vcc, v7, v7 src0_sel:DWORD src1_sel:WORD_1
	v_cndmask_b32_e32 v2, v5, v2, vcc
	v_cmp_ne_u16_sdwa s[46:47], v7, v7 src0_sel:DWORD src1_sel:WORD_1
	v_add_u32_e32 v4, 19, v40
	v_and_b32_e32 v2, 0xffff, v2
	v_cndmask_b32_e64 v5, 0, 1, s[46:47]
	v_lshl_or_b32 v34, v5, 16, v2
	v_cmp_gt_u32_e32 vcc, s74, v4
	v_mov_b32_e32 v21, 0
	v_mov_b32_e32 v35, 0
                                        ; implicit-def: $sgpr56_sgpr57
                                        ; implicit-def: $vgpr37
	s_and_saveexec_b64 s[46:47], vcc
	s_cbranch_execz .LBB644_96
; %bb.91:
	v_mov_b32_e32 v4, s7
	v_cmp_eq_u16_sdwa vcc, v7, v39 src0_sel:WORD_1 src1_sel:DWORD
	v_cndmask_b32_e32 v4, v4, v3, vcc
	v_cmp_ne_u16_sdwa s[48:49], v7, v39 src0_sel:WORD_1 src1_sel:DWORD
	v_add_u32_e32 v2, 20, v40
	v_and_b32_e32 v4, 0xffff, v4
	v_cndmask_b32_e64 v5, 0, 1, s[48:49]
	v_lshl_or_b32 v21, v5, 16, v4
	v_cmp_gt_u32_e32 vcc, s74, v2
	s_mov_b64 s[68:69], 0
	v_mov_b32_e32 v35, 0
                                        ; implicit-def: $sgpr70_sgpr71
                                        ; implicit-def: $vgpr37
	s_and_saveexec_b64 s[48:49], vcc
	s_cbranch_execz .LBB644_95
; %bb.92:
	v_lshrrev_b32_e32 v2, 16, v3
	v_mov_b32_e32 v4, s7
	v_cmp_eq_u16_sdwa vcc, v39, v39 src0_sel:DWORD src1_sel:WORD_1
	v_cndmask_b32_e32 v2, v4, v2, vcc
	v_cmp_ne_u16_sdwa s[56:57], v39, v39 src0_sel:DWORD src1_sel:WORD_1
	v_add_u32_e32 v3, 21, v40
	v_and_b32_e32 v2, 0xffff, v2
	v_cndmask_b32_e64 v4, 0, 1, s[56:57]
	v_lshl_or_b32 v35, v4, 16, v2
	v_cmp_gt_u32_e32 vcc, s74, v3
	s_mov_b64 s[56:57], 0
                                        ; implicit-def: $sgpr68_sgpr69
                                        ; implicit-def: $vgpr37
	s_and_saveexec_b64 s[70:71], vcc
	s_xor_b64 s[70:71], exec, s[70:71]
	s_cbranch_execz .LBB644_94
; %bb.93:
	ds_read_u16 v2, v38 offset:42
	v_mov_b32_e32 v3, s7
	v_cmp_ne_u16_sdwa vcc, v39, v36 src0_sel:WORD_1 src1_sel:DWORD
	s_mov_b64 s[56:57], exec
	s_and_b64 s[68:69], vcc, exec
	s_waitcnt lgkmcnt(0)
	v_cndmask_b32_e32 v37, v2, v3, vcc
.LBB644_94:
	s_or_b64 exec, exec, s[70:71]
	s_and_b64 s[70:71], s[68:69], exec
	s_and_b64 s[68:69], s[56:57], exec
.LBB644_95:
	s_or_b64 exec, exec, s[48:49]
	s_and_b64 s[56:57], s[70:71], exec
	s_and_b64 s[48:49], s[68:69], exec
.LBB644_96:
	s_or_b64 exec, exec, s[46:47]
	s_and_b64 s[46:47], s[56:57], exec
	s_and_b64 s[48:49], s[48:49], exec
.LBB644_97:
	s_or_b64 exec, exec, s[44:45]
	s_and_b64 s[46:47], s[46:47], exec
	s_and_b64 s[44:45], s[48:49], exec
.LBB644_98:
	s_or_b64 exec, exec, s[42:43]
	s_and_b64 s[42:43], s[46:47], exec
	s_and_b64 s[44:45], s[44:45], exec
.LBB644_99:
	s_or_b64 exec, exec, s[40:41]
	s_and_b64 s[42:43], s[42:43], exec
	s_and_b64 s[40:41], s[44:45], exec
.LBB644_100:
	s_or_b64 exec, exec, s[38:39]
	s_and_b64 s[38:39], s[42:43], exec
	s_and_b64 s[40:41], s[40:41], exec
.LBB644_101:
	s_or_b64 exec, exec, s[36:37]
	s_and_b64 s[38:39], s[38:39], exec
	s_and_b64 s[36:37], s[40:41], exec
.LBB644_102:
	s_or_b64 exec, exec, s[34:35]
	s_and_b64 s[34:35], s[38:39], exec
	s_and_b64 s[36:37], s[36:37], exec
.LBB644_103:
	s_or_b64 exec, exec, s[30:31]
	s_and_b64 s[34:35], s[34:35], exec
	s_and_b64 s[30:31], s[36:37], exec
.LBB644_104:
	s_or_b64 exec, exec, s[28:29]
	s_and_b64 s[28:29], s[34:35], exec
	s_and_b64 s[30:31], s[30:31], exec
.LBB644_105:
	s_or_b64 exec, exec, s[26:27]
	s_and_b64 s[28:29], s[28:29], exec
	s_and_b64 s[26:27], s[30:31], exec
.LBB644_106:
	s_or_b64 exec, exec, s[24:25]
	s_and_b64 s[24:25], s[28:29], exec
	s_and_b64 s[26:27], s[26:27], exec
.LBB644_107:
	s_or_b64 exec, exec, s[22:23]
	s_and_b64 s[24:25], s[24:25], exec
	s_and_b64 s[22:23], s[26:27], exec
.LBB644_108:
	s_or_b64 exec, exec, s[20:21]
	s_and_b64 s[20:21], s[24:25], exec
	s_and_b64 s[22:23], s[22:23], exec
.LBB644_109:
	s_or_b64 exec, exec, s[18:19]
	s_and_b64 s[20:21], s[20:21], exec
	s_and_b64 s[18:19], s[22:23], exec
.LBB644_110:
	s_or_b64 exec, exec, s[16:17]
	s_and_b64 s[16:17], s[20:21], exec
	s_and_b64 s[18:19], s[18:19], exec
.LBB644_111:
	s_or_b64 exec, exec, s[14:15]
	s_and_b64 s[16:17], s[16:17], exec
	s_and_b64 s[14:15], s[18:19], exec
.LBB644_112:
	s_or_b64 exec, exec, s[12:13]
	s_and_b64 s[12:13], s[16:17], exec
	s_and_b64 s[14:15], s[14:15], exec
.LBB644_113:
	s_or_b64 exec, exec, s[10:11]
	s_and_b64 s[12:13], s[12:13], exec
	s_and_b64 s[10:11], s[14:15], exec
.LBB644_114:
	s_or_b64 exec, exec, s[8:9]
	s_and_b64 s[8:9], s[12:13], exec
	s_and_b64 s[10:11], s[10:11], exec
.LBB644_115:
	s_or_b64 exec, exec, s[4:5]
	s_and_b64 vcc, exec, s[2:3]
	v_lshlrev_b32_e32 v36, 1, v0
	s_cbranch_vccnz .LBB644_117
	s_branch .LBB644_122
.LBB644_116:
	s_mov_b64 s[10:11], 0
                                        ; implicit-def: $sgpr8_sgpr9
                                        ; implicit-def: $vgpr37
                                        ; implicit-def: $vgpr1
                                        ; implicit-def: $vgpr18
                                        ; implicit-def: $vgpr22
                                        ; implicit-def: $vgpr19
                                        ; implicit-def: $vgpr23
                                        ; implicit-def: $vgpr16
                                        ; implicit-def: $vgpr24
                                        ; implicit-def: $vgpr17
                                        ; implicit-def: $vgpr25
                                        ; implicit-def: $vgpr26
                                        ; implicit-def: $vgpr27
                                        ; implicit-def: $vgpr28
                                        ; implicit-def: $vgpr29
                                        ; implicit-def: $vgpr30
                                        ; implicit-def: $vgpr31
                                        ; implicit-def: $vgpr32
                                        ; implicit-def: $vgpr33
                                        ; implicit-def: $vgpr20
                                        ; implicit-def: $vgpr34
                                        ; implicit-def: $vgpr21
                                        ; implicit-def: $vgpr35
                                        ; implicit-def: $sgpr73
	s_and_b64 vcc, exec, s[2:3]
	v_lshlrev_b32_e32 v36, 1, v0
	s_cbranch_vccz .LBB644_122
.LBB644_117:
	v_mov_b32_e32 v1, s67
	v_add_co_u32_e32 v2, vcc, s66, v36
	v_addc_co_u32_e32 v3, vcc, 0, v1, vcc
	v_add_co_u32_e32 v4, vcc, 0x1000, v2
	v_addc_co_u32_e32 v5, vcc, 0, v3, vcc
	flat_load_ushort v1, v[2:3]
	flat_load_ushort v6, v[2:3] offset:512
	flat_load_ushort v7, v[2:3] offset:1024
	flat_load_ushort v8, v[2:3] offset:1536
	flat_load_ushort v9, v[2:3] offset:2048
	flat_load_ushort v10, v[2:3] offset:2560
	flat_load_ushort v11, v[2:3] offset:3072
	flat_load_ushort v12, v[2:3] offset:3584
	v_add_co_u32_e32 v2, vcc, 0x2000, v2
	v_addc_co_u32_e32 v3, vcc, 0, v3, vcc
	flat_load_ushort v13, v[4:5]
	flat_load_ushort v14, v[4:5] offset:512
	flat_load_ushort v15, v[4:5] offset:1024
	;; [unrolled: 1-line block ×7, first 2 shown]
	s_nop 0
	flat_load_ushort v4, v[2:3]
	flat_load_ushort v5, v[2:3] offset:512
	flat_load_ushort v21, v[2:3] offset:1024
	;; [unrolled: 1-line block ×5, first 2 shown]
	v_mov_b32_e32 v2, s66
	v_mov_b32_e32 v3, s67
	v_add_co_u32_e32 v2, vcc, 0x2000, v2
	v_addc_co_u32_e32 v3, vcc, 0, v3, vcc
	s_movk_i32 s2, 0xffd6
	s_movk_i32 s5, 0x1000
	s_movk_i32 s4, 0x2000
	s_waitcnt vmcnt(0) lgkmcnt(0)
	ds_write_b16 v36, v1
	ds_write_b16 v36, v6 offset:512
	ds_write_b16 v36, v7 offset:1024
	;; [unrolled: 1-line block ×21, first 2 shown]
	s_waitcnt lgkmcnt(0)
	s_barrier
	flat_load_ushort v37, v[2:3] offset:3072
	v_mad_u32_u24 v1, v0, 42, v36
	v_mad_i32_i24 v2, v0, s2, v1
	s_movk_i32 s2, 0xff
	v_cmp_ne_u32_e32 vcc, s2, v0
	ds_read2_b32 v[18:19], v1 offset1:1
	ds_read2_b32 v[16:17], v1 offset0:2 offset1:3
	ds_read2_b32 v[14:15], v1 offset0:4 offset1:5
	;; [unrolled: 1-line block ×4, first 2 shown]
	ds_read_b32 v38, v1 offset:40
	s_waitcnt lgkmcnt(0)
	ds_write_b16 v2, v18 offset:11776
	s_waitcnt lgkmcnt(0)
	s_barrier
	s_and_saveexec_b64 s[2:3], vcc
	s_cbranch_execz .LBB644_119
; %bb.118:
	s_waitcnt vmcnt(0)
	ds_read_u16 v37, v36 offset:11778
.LBB644_119:
	s_or_b64 exec, exec, s[2:3]
	v_mov_b32_e32 v3, s72
	v_add_co_u32_e32 v2, vcc, s55, v36
	v_addc_co_u32_e32 v3, vcc, 0, v3, vcc
	v_add_co_u32_e32 v4, vcc, s5, v2
	v_addc_co_u32_e32 v5, vcc, 0, v3, vcc
	s_waitcnt lgkmcnt(0)
	s_barrier
	flat_load_ushort v6, v[2:3]
	flat_load_ushort v7, v[2:3] offset:512
	flat_load_ushort v8, v[2:3] offset:1024
	;; [unrolled: 1-line block ×7, first 2 shown]
	v_add_co_u32_e32 v2, vcc, s4, v2
	v_addc_co_u32_e32 v3, vcc, 0, v3, vcc
	flat_load_ushort v24, v[4:5]
	flat_load_ushort v25, v[4:5] offset:512
	flat_load_ushort v26, v[4:5] offset:1024
	;; [unrolled: 1-line block ×7, first 2 shown]
	s_nop 0
	flat_load_ushort v4, v[2:3]
	flat_load_ushort v5, v[2:3] offset:512
	flat_load_ushort v32, v[2:3] offset:1024
	;; [unrolled: 1-line block ×5, first 2 shown]
	v_cmp_eq_u16_sdwa s[4:5], v18, v18 src0_sel:DWORD src1_sel:WORD_1
	s_waitcnt vmcnt(0) lgkmcnt(0)
	ds_write_b16 v36, v6
	ds_write_b16 v36, v7 offset:512
	ds_write_b16 v36, v8 offset:1024
	;; [unrolled: 1-line block ×21, first 2 shown]
	s_waitcnt lgkmcnt(0)
	s_barrier
	ds_read_b128 v[6:9], v1 offset:2
	ds_read_b128 v[2:5], v1 offset:18
	ds_read_b64 v[20:21], v1 offset:34
	ds_read_u16 v39, v1 offset:42
	v_mov_b32_e32 v22, 0x10000
	v_mov_b32_e32 v23, s7
	s_and_saveexec_b64 s[2:3], s[4:5]
	s_cbranch_execz .LBB644_121
; %bb.120:
	ds_read_u16 v23, v1
	v_mov_b32_e32 v22, 0
.LBB644_121:
	s_or_b64 exec, exec, s[2:3]
	v_mov_b32_e32 v40, s7
	v_cmp_eq_u16_sdwa vcc, v18, v19 src0_sel:WORD_1 src1_sel:DWORD
	s_waitcnt lgkmcnt(3)
	v_lshrrev_b32_e32 v24, 16, v6
	v_cndmask_b32_e32 v6, v40, v6, vcc
	v_cmp_ne_u16_sdwa s[2:3], v18, v19 src0_sel:WORD_1 src1_sel:DWORD
	v_and_b32_e32 v6, 0xffff, v6
	v_cndmask_b32_e64 v18, 0, 1, s[2:3]
	v_cmp_eq_u16_sdwa vcc, v19, v19 src0_sel:DWORD src1_sel:WORD_1
	v_lshl_or_b32 v18, v18, 16, v6
	v_cndmask_b32_e32 v6, v40, v24, vcc
	v_cmp_ne_u16_sdwa s[2:3], v19, v19 src0_sel:DWORD src1_sel:WORD_1
	s_waitcnt lgkmcnt(0)
	v_or_b32_sdwa v1, v22, v23 dst_sel:DWORD dst_unused:UNUSED_PAD src0_sel:DWORD src1_sel:WORD_0
	v_and_b32_e32 v6, 0xffff, v6
	v_cndmask_b32_e64 v22, 0, 1, s[2:3]
	v_cmp_eq_u16_sdwa vcc, v19, v16 src0_sel:WORD_1 src1_sel:DWORD
	v_lshl_or_b32 v22, v22, 16, v6
	v_cndmask_b32_e32 v6, v40, v7, vcc
	v_cmp_ne_u16_sdwa s[2:3], v19, v16 src0_sel:WORD_1 src1_sel:DWORD
	v_lshrrev_b32_e32 v25, 16, v7
	v_and_b32_e32 v6, 0xffff, v6
	v_cndmask_b32_e64 v7, 0, 1, s[2:3]
	v_cmp_eq_u16_sdwa vcc, v16, v16 src0_sel:DWORD src1_sel:WORD_1
	v_lshl_or_b32 v19, v7, 16, v6
	v_cndmask_b32_e32 v6, v40, v25, vcc
	v_cmp_ne_u16_sdwa s[2:3], v16, v16 src0_sel:DWORD src1_sel:WORD_1
	v_and_b32_e32 v6, 0xffff, v6
	v_cndmask_b32_e64 v7, 0, 1, s[2:3]
	v_cmp_eq_u16_sdwa vcc, v16, v17 src0_sel:WORD_1 src1_sel:DWORD
	v_lshl_or_b32 v23, v7, 16, v6
	v_cndmask_b32_e32 v6, v40, v8, vcc
	v_cmp_ne_u16_sdwa s[2:3], v16, v17 src0_sel:WORD_1 src1_sel:DWORD
	v_lshrrev_b32_e32 v26, 16, v8
	v_and_b32_e32 v6, 0xffff, v6
	v_cndmask_b32_e64 v7, 0, 1, s[2:3]
	v_cmp_eq_u16_sdwa vcc, v17, v17 src0_sel:DWORD src1_sel:WORD_1
	v_lshl_or_b32 v16, v7, 16, v6
	v_cndmask_b32_e32 v6, v40, v26, vcc
	v_cmp_ne_u16_sdwa s[2:3], v17, v17 src0_sel:DWORD src1_sel:WORD_1
	;; [unrolled: 13-line block ×3, first 2 shown]
	v_cmp_eq_u16_sdwa vcc, v14, v15 src0_sel:WORD_1 src1_sel:DWORD
	v_lshrrev_b32_e32 v28, 16, v2
	v_and_b32_e32 v6, 0xffff, v6
	v_cndmask_b32_e64 v7, 0, 1, s[2:3]
	v_cndmask_b32_e32 v2, v40, v2, vcc
	v_cmp_ne_u16_sdwa s[2:3], v14, v15 src0_sel:WORD_1 src1_sel:DWORD
	v_lshl_or_b32 v25, v7, 16, v6
	v_and_b32_e32 v2, 0xffff, v2
	v_cndmask_b32_e64 v6, 0, 1, s[2:3]
	v_cmp_eq_u16_sdwa vcc, v15, v15 src0_sel:DWORD src1_sel:WORD_1
	v_lshl_or_b32 v26, v6, 16, v2
	v_cndmask_b32_e32 v2, v40, v28, vcc
	v_cmp_ne_u16_sdwa s[2:3], v15, v15 src0_sel:DWORD src1_sel:WORD_1
	v_and_b32_e32 v2, 0xffff, v2
	v_cndmask_b32_e64 v6, 0, 1, s[2:3]
	v_cmp_eq_u16_sdwa vcc, v15, v12 src0_sel:WORD_1 src1_sel:DWORD
	v_lshl_or_b32 v27, v6, 16, v2
	v_cndmask_b32_e32 v2, v40, v3, vcc
	v_cmp_ne_u16_sdwa s[2:3], v15, v12 src0_sel:WORD_1 src1_sel:DWORD
	v_lshrrev_b32_e32 v29, 16, v3
	v_and_b32_e32 v2, 0xffff, v2
	v_cndmask_b32_e64 v3, 0, 1, s[2:3]
	v_cmp_eq_u16_sdwa vcc, v12, v12 src0_sel:DWORD src1_sel:WORD_1
	v_lshl_or_b32 v28, v3, 16, v2
	v_cndmask_b32_e32 v2, v40, v29, vcc
	v_cmp_ne_u16_sdwa s[2:3], v12, v12 src0_sel:DWORD src1_sel:WORD_1
	v_and_b32_e32 v2, 0xffff, v2
	v_cndmask_b32_e64 v3, 0, 1, s[2:3]
	v_cmp_eq_u16_sdwa vcc, v12, v13 src0_sel:WORD_1 src1_sel:DWORD
	v_lshl_or_b32 v29, v3, 16, v2
	v_cndmask_b32_e32 v2, v40, v4, vcc
	v_cmp_ne_u16_sdwa s[2:3], v12, v13 src0_sel:WORD_1 src1_sel:DWORD
	v_lshrrev_b32_e32 v31, 16, v4
	;; [unrolled: 13-line block ×5, first 2 shown]
	v_and_b32_e32 v2, 0xffff, v2
	v_cndmask_b32_e64 v3, 0, 1, s[2:3]
	v_cmp_eq_u16_sdwa vcc, v38, v38 src0_sel:DWORD src1_sel:WORD_1
	v_lshl_or_b32 v21, v3, 16, v2
	v_cndmask_b32_e32 v2, v40, v35, vcc
	v_cmp_ne_u16_sdwa s[2:3], v38, v38 src0_sel:DWORD src1_sel:WORD_1
	v_and_b32_e32 v2, 0xffff, v2
	v_cndmask_b32_e64 v3, 0, 1, s[2:3]
	v_cmp_ne_u16_sdwa s[8:9], v38, v37 src0_sel:WORD_1 src1_sel:DWORD
	v_lshl_or_b32 v35, v3, 16, v2
	v_cndmask_b32_e64 v37, v39, v40, s[8:9]
	s_mov_b64 s[10:11], -1
                                        ; implicit-def: $sgpr73
.LBB644_122:
	v_mov_b32_e32 v12, s73
	s_and_saveexec_b64 s[2:3], s[10:11]
; %bb.123:
	v_mov_b32_e32 v2, 0x10000
	v_cndmask_b32_e64 v2, 0, v2, s[8:9]
	v_or_b32_sdwa v12, v2, v37 dst_sel:DWORD dst_unused:UNUSED_PAD src0_sel:DWORD src1_sel:WORD_0
; %bb.124:
	s_or_b64 exec, exec, s[2:3]
	v_or3_b32 v2, v12, v35, v21
	s_cmp_lg_u32 s6, 0
	v_or3_b32 v15, v2, v34, v20
	v_lshrrev_b32_e32 v13, 16, v1
	v_lshrrev_b32_e32 v14, 5, v0
	v_cmp_gt_u32_e32 vcc, 64, v0
	s_barrier
	s_cbranch_scc0 .LBB644_205
; %bb.125:
	s_mov_b32 s44, 0x10000
	v_cmp_gt_u32_e64 s[2:3], s44, v18
	v_cndmask_b32_e64 v2, 0, v1, s[2:3]
	v_add_u16_e32 v2, v2, v18
	v_cmp_gt_u32_e64 s[4:5], s44, v22
	v_cndmask_b32_e64 v2, 0, v2, s[4:5]
	v_add_u16_e32 v2, v2, v22
	;; [unrolled: 3-line block ×21, first 2 shown]
	v_or3_b32 v2, v15, v33, v32
	v_or3_b32 v2, v2, v31, v30
	;; [unrolled: 1-line block ×8, first 2 shown]
	v_and_b32_e32 v2, 0x10000, v2
	v_cmp_ne_u32_e64 s[44:45], 0, v2
	v_mov_b32_e32 v5, 0x10000
	v_cndmask_b32_e64 v38, v13, 1, s[44:45]
	v_add_lshl_u32 v2, v14, v0, 2
	ds_write_b16 v2, v37
	ds_write_b8 v2, v38 offset:2
	s_waitcnt lgkmcnt(0)
	s_barrier
	s_and_saveexec_b64 s[46:47], vcc
	s_cbranch_execz .LBB644_139
; %bb.126:
	v_lshlrev_b32_e32 v2, 2, v0
	v_lshrrev_b32_e32 v3, 3, v0
	v_add_lshl_u32 v2, v3, v2, 2
	ds_read_b32 v3, v2
	ds_read_u16 v4, v2 offset:4
	ds_read_u8 v6, v2 offset:6
	ds_read_u16 v7, v2 offset:8
	ds_read_u8 v8, v2 offset:10
	;; [unrolled: 2-line block ×3, first 2 shown]
	v_mov_b32_e32 v11, 0
	s_waitcnt lgkmcnt(4)
	v_cmp_eq_u16_sdwa s[44:45], v6, v11 src0_sel:BYTE_0 src1_sel:DWORD
	v_cndmask_b32_e64 v39, 0, v3, s[44:45]
	v_add_u16_e32 v39, v39, v4
	s_waitcnt lgkmcnt(2)
	v_cmp_eq_u16_sdwa s[44:45], v8, v11 src0_sel:BYTE_0 src1_sel:DWORD
	s_waitcnt lgkmcnt(0)
	v_or_b32_e32 v8, v10, v8
	v_cndmask_b32_e64 v11, 0, v39, s[44:45]
	v_or_b32_e32 v6, v8, v6
	v_add_u16_e32 v7, v11, v7
	v_cmp_eq_u16_e64 s[44:45], 0, v10
	v_and_b32_e32 v6, 1, v6
	v_and_b32_e32 v4, 0x10000, v3
	v_cndmask_b32_e64 v11, 0, v7, s[44:45]
	v_cmp_eq_u32_e64 s[44:45], 1, v6
	v_mbcnt_lo_u32_b32 v6, -1, 0
	v_add_u16_e32 v7, v11, v9
	v_cndmask_b32_e64 v39, v4, v5, s[44:45]
	v_add_u16_e32 v9, v11, v9
	v_and_b32_e32 v5, 0xff000000, v3
	v_mbcnt_hi_u32_b32 v6, -1, v6
	v_or_b32_e32 v10, v39, v5
	v_and_b32_e32 v11, 15, v6
	v_or3_b32 v9, v5, v9, v39
	s_movk_i32 s55, 0xff
	v_lshrrev_b32_e32 v8, 16, v10
	v_mov_b32_dpp v39, v9 row_shr:1 row_mask:0xf bank_mask:0xf
	v_cmp_ne_u32_e64 s[44:45], 0, v11
	s_and_saveexec_b64 s[56:57], s[44:45]
	s_cbranch_execz .LBB644_128
; %bb.127:
	v_and_b32_sdwa v8, v10, s55 dst_sel:DWORD dst_unused:UNUSED_PAD src0_sel:WORD_1 src1_sel:DWORD
	v_cmp_eq_u16_e64 s[44:45], 0, v8
	v_and_b32_e32 v8, 0x10000, v10
	v_mov_b32_e32 v10, 1
	v_cndmask_b32_e64 v9, 0, v39, s[44:45]
	v_and_b32_sdwa v10, v39, v10 dst_sel:DWORD dst_unused:UNUSED_PAD src0_sel:WORD_1 src1_sel:DWORD
	v_cmp_ne_u32_e64 s[44:45], 0, v8
	v_cndmask_b32_e64 v8, v10, 1, s[44:45]
	v_add_u16_e32 v40, v9, v7
	v_lshlrev_b32_e32 v10, 16, v8
	v_add_u16_e32 v7, v9, v7
	v_or3_b32 v9, v10, v7, v5
	v_mov_b32_e32 v7, v40
.LBB644_128:
	s_or_b64 exec, exec, s[56:57]
	v_lshrrev_b32_e32 v10, 16, v9
	v_mov_b32_dpp v39, v9 row_shr:2 row_mask:0xf bank_mask:0xf
	v_cmp_lt_u32_e64 s[44:45], 1, v11
	s_and_saveexec_b64 s[56:57], s[44:45]
	s_cbranch_execz .LBB644_130
; %bb.129:
	v_mov_b32_e32 v8, 0
	v_cmp_eq_u16_sdwa s[44:45], v10, v8 src0_sel:BYTE_0 src1_sel:DWORD
	v_and_b32_e32 v8, 0x10000, v9
	v_mov_b32_e32 v9, 1
	v_cndmask_b32_e64 v10, 0, v39, s[44:45]
	v_and_b32_sdwa v9, v39, v9 dst_sel:DWORD dst_unused:UNUSED_PAD src0_sel:WORD_1 src1_sel:DWORD
	v_cmp_ne_u32_e64 s[44:45], 0, v8
	v_cndmask_b32_e64 v8, v9, 1, s[44:45]
	v_add_u16_e32 v40, v10, v7
	v_lshlrev_b32_e32 v9, 16, v8
	v_add_u16_e32 v7, v10, v7
	v_or3_b32 v9, v9, v7, v5
	v_mov_b32_e32 v10, v8
	v_mov_b32_e32 v7, v40
.LBB644_130:
	s_or_b64 exec, exec, s[56:57]
	v_mov_b32_dpp v39, v9 row_shr:4 row_mask:0xf bank_mask:0xf
	v_cmp_lt_u32_e64 s[44:45], 3, v11
	s_and_saveexec_b64 s[56:57], s[44:45]
	s_cbranch_execz .LBB644_132
; %bb.131:
	v_mov_b32_e32 v8, 0
	v_cmp_eq_u16_sdwa s[44:45], v10, v8 src0_sel:BYTE_0 src1_sel:DWORD
	v_and_b32_e32 v8, 1, v10
	v_mov_b32_e32 v10, 1
	v_cndmask_b32_e64 v9, 0, v39, s[44:45]
	v_and_b32_sdwa v10, v39, v10 dst_sel:DWORD dst_unused:UNUSED_PAD src0_sel:WORD_1 src1_sel:DWORD
	v_cmp_eq_u32_e64 s[44:45], 1, v8
	v_cndmask_b32_e64 v8, v10, 1, s[44:45]
	v_add_u16_e32 v40, v9, v7
	v_lshlrev_b32_e32 v10, 16, v8
	v_add_u16_e32 v7, v9, v7
	v_or3_b32 v9, v10, v7, v5
	v_mov_b32_e32 v10, v8
	v_mov_b32_e32 v7, v40
.LBB644_132:
	s_or_b64 exec, exec, s[56:57]
	v_mov_b32_dpp v39, v9 row_shr:8 row_mask:0xf bank_mask:0xf
	v_cmp_lt_u32_e64 s[44:45], 7, v11
	s_and_saveexec_b64 s[56:57], s[44:45]
	s_cbranch_execz .LBB644_134
; %bb.133:
	v_mov_b32_e32 v8, 0
	v_cmp_eq_u16_sdwa s[44:45], v10, v8 src0_sel:BYTE_0 src1_sel:DWORD
	v_and_b32_e32 v8, 1, v10
	v_mov_b32_e32 v10, 1
	v_cndmask_b32_e64 v9, 0, v39, s[44:45]
	v_and_b32_sdwa v10, v39, v10 dst_sel:DWORD dst_unused:UNUSED_PAD src0_sel:WORD_1 src1_sel:DWORD
	v_cmp_eq_u32_e64 s[44:45], 1, v8
	v_cndmask_b32_e64 v8, v10, 1, s[44:45]
	v_add_u16_e32 v11, v9, v7
	v_lshlrev_b32_e32 v10, 16, v8
	v_add_u16_e32 v7, v9, v7
	v_or3_b32 v9, v10, v7, v5
	v_mov_b32_e32 v10, v8
	v_mov_b32_e32 v7, v11
.LBB644_134:
	s_or_b64 exec, exec, s[56:57]
	v_and_b32_e32 v39, 16, v6
	v_mov_b32_dpp v11, v9 row_bcast:15 row_mask:0xf bank_mask:0xf
	v_cmp_ne_u32_e64 s[44:45], 0, v39
	s_and_saveexec_b64 s[56:57], s[44:45]
	s_cbranch_execz .LBB644_136
; %bb.135:
	v_mov_b32_e32 v8, 0
	v_cmp_eq_u16_sdwa s[44:45], v10, v8 src0_sel:BYTE_0 src1_sel:DWORD
	v_and_b32_e32 v8, 1, v10
	v_mov_b32_e32 v10, 1
	v_cndmask_b32_e64 v9, 0, v11, s[44:45]
	v_and_b32_sdwa v10, v11, v10 dst_sel:DWORD dst_unused:UNUSED_PAD src0_sel:WORD_1 src1_sel:DWORD
	v_cmp_eq_u32_e64 s[44:45], 1, v8
	v_cndmask_b32_e64 v8, v10, 1, s[44:45]
	v_add_u16_e32 v39, v9, v7
	v_lshlrev_b32_e32 v10, 16, v8
	v_add_u16_e32 v7, v9, v7
	v_or3_b32 v9, v10, v7, v5
	v_mov_b32_e32 v10, v8
	v_mov_b32_e32 v7, v39
.LBB644_136:
	s_or_b64 exec, exec, s[56:57]
	v_mov_b32_dpp v9, v9 row_bcast:31 row_mask:0xf bank_mask:0xf
	v_cmp_lt_u32_e64 s[44:45], 31, v6
	s_and_saveexec_b64 s[56:57], s[44:45]
; %bb.137:
	v_mov_b32_e32 v8, 0
	v_cmp_eq_u16_sdwa s[44:45], v10, v8 src0_sel:BYTE_0 src1_sel:DWORD
	v_cndmask_b32_e64 v8, 0, v9, s[44:45]
	v_add_u16_e32 v7, v8, v7
	v_and_b32_e32 v8, 1, v10
	v_mov_b32_e32 v10, 1
	v_and_b32_sdwa v9, v9, v10 dst_sel:DWORD dst_unused:UNUSED_PAD src0_sel:WORD_1 src1_sel:DWORD
	v_cmp_eq_u32_e64 s[44:45], 1, v8
	v_cndmask_b32_e64 v8, v9, 1, s[44:45]
; %bb.138:
	s_or_b64 exec, exec, s[56:57]
	v_and_b32_e32 v8, 0xff, v8
	v_lshlrev_b32_e32 v8, 16, v8
	v_and_b32_e32 v7, 0xffff, v7
	v_or3_b32 v5, v8, v7, v5
	v_add_u32_e32 v7, -1, v6
	v_and_b32_e32 v8, 64, v6
	v_cmp_lt_i32_e64 s[44:45], v7, v8
	v_cndmask_b32_e64 v6, v7, v6, s[44:45]
	v_lshlrev_b32_e32 v6, 2, v6
	ds_bpermute_b32 v5, v6, v5
	v_and_b32_e32 v6, 0xff0000, v3
	v_cmp_eq_u32_e64 s[44:45], 0, v6
	; wave barrier
	s_waitcnt lgkmcnt(0)
	v_cndmask_b32_e64 v6, 0, v5, s[44:45]
	v_add_u16_e32 v3, v6, v3
	v_mov_b32_e32 v6, 1
	v_and_b32_sdwa v5, v5, v6 dst_sel:DWORD dst_unused:UNUSED_PAD src0_sel:WORD_1 src1_sel:DWORD
	v_cmp_eq_u32_e64 s[44:45], 0, v4
	v_cndmask_b32_e64 v4, 1, v5, s[44:45]
	v_cmp_eq_u32_e64 s[44:45], 0, v0
	v_cndmask_b32_e64 v3, v3, v37, s[44:45]
	v_cndmask_b32_e64 v4, v4, v38, s[44:45]
	ds_write_b16 v2, v3
	ds_write_b8 v2, v4 offset:2
	; wave barrier
	ds_read_u16 v5, v2 offset:4
	ds_read_u8 v6, v2 offset:6
	ds_read_u16 v7, v2 offset:8
	ds_read_u8 v8, v2 offset:10
	;; [unrolled: 2-line block ×3, first 2 shown]
	s_waitcnt lgkmcnt(4)
	v_cmp_eq_u16_e64 s[44:45], 0, v6
	v_cndmask_b32_e64 v3, 0, v3, s[44:45]
	v_add_u16_e32 v3, v3, v5
	v_and_b32_e32 v5, 1, v6
	v_cmp_eq_u32_e64 s[44:45], 1, v5
	v_cndmask_b32_e64 v4, v4, 1, s[44:45]
	s_waitcnt lgkmcnt(2)
	v_cmp_eq_u16_e64 s[44:45], 0, v8
	v_and_b32_e32 v5, 1, v8
	ds_write_b16 v2, v3 offset:4
	ds_write_b8 v2, v4 offset:6
	v_cndmask_b32_e64 v3, 0, v3, s[44:45]
	v_cmp_eq_u32_e64 s[44:45], 1, v5
	v_add_u16_e32 v3, v3, v7
	v_cndmask_b32_e64 v4, v4, 1, s[44:45]
	s_waitcnt lgkmcnt(2)
	v_cmp_eq_u16_e64 s[44:45], 0, v10
	ds_write_b16 v2, v3 offset:8
	ds_write_b8 v2, v4 offset:10
	v_cndmask_b32_e64 v3, 0, v3, s[44:45]
	v_and_b32_e32 v5, 1, v10
	v_add_u16_e32 v3, v3, v9
	v_cmp_eq_u32_e64 s[44:45], 1, v5
	v_cndmask_b32_e64 v4, v4, 1, s[44:45]
	ds_write_b16 v2, v3 offset:12
	ds_write_b8 v2, v4 offset:14
.LBB644_139:
	s_or_b64 exec, exec, s[46:47]
	v_cmp_eq_u32_e64 s[44:45], 0, v0
	v_cmp_ne_u32_e64 s[46:47], 0, v0
	s_waitcnt lgkmcnt(0)
	s_barrier
	s_and_saveexec_b64 s[56:57], s[46:47]
	s_cbranch_execz .LBB644_141
; %bb.140:
	v_add_u32_e32 v2, -1, v0
	v_lshrrev_b32_e32 v3, 5, v2
	v_add_lshl_u32 v2, v3, v2, 2
	ds_read_u16 v37, v2
	ds_read_u8 v38, v2 offset:2
.LBB644_141:
	s_or_b64 exec, exec, s[56:57]
	s_and_saveexec_b64 s[56:57], vcc
	s_cbranch_execz .LBB644_184
; %bb.142:
	v_mov_b32_e32 v9, 0
	ds_read_b32 v2, v9 offset:1048
	v_mbcnt_lo_u32_b32 v3, -1, 0
	v_mbcnt_hi_u32_b32 v5, -1, v3
	s_mov_b32 s69, 0
	v_cmp_eq_u32_e64 s[46:47], 0, v5
	s_and_saveexec_b64 s[66:67], s[46:47]
	s_cbranch_execz .LBB644_144
; %bb.143:
	s_add_i32 s68, s6, 64
	s_lshl_b64 s[68:69], s[68:69], 3
	s_add_u32 s68, s52, s68
	v_mov_b32_e32 v3, 1
	s_addc_u32 s69, s53, s69
	s_waitcnt lgkmcnt(0)
	global_store_dwordx2 v9, v[2:3], s[68:69]
.LBB644_144:
	s_or_b64 exec, exec, s[66:67]
	v_xad_u32 v4, v5, -1, s6
	v_add_u32_e32 v8, 64, v4
	v_lshlrev_b64 v[6:7], 3, v[8:9]
	v_mov_b32_e32 v3, s53
	v_add_co_u32_e32 v10, vcc, s52, v6
	v_addc_co_u32_e32 v11, vcc, v3, v7, vcc
	global_load_dwordx2 v[6:7], v[10:11], off glc
	s_waitcnt vmcnt(0)
	v_cmp_eq_u16_sdwa s[68:69], v7, v9 src0_sel:BYTE_0 src1_sel:DWORD
	s_and_saveexec_b64 s[66:67], s[68:69]
	s_cbranch_execz .LBB644_148
; %bb.145:
	s_mov_b64 s[68:69], 0
	v_mov_b32_e32 v3, 0
.LBB644_146:                            ; =>This Inner Loop Header: Depth=1
	global_load_dwordx2 v[6:7], v[10:11], off glc
	s_waitcnt vmcnt(0)
	v_cmp_ne_u16_sdwa s[70:71], v7, v3 src0_sel:BYTE_0 src1_sel:DWORD
	s_or_b64 s[68:69], s[70:71], s[68:69]
	s_andn2_b64 exec, exec, s[68:69]
	s_cbranch_execnz .LBB644_146
; %bb.147:
	s_or_b64 exec, exec, s[68:69]
.LBB644_148:
	s_or_b64 exec, exec, s[66:67]
	v_mov_b32_e32 v3, 2
	v_cmp_eq_u16_sdwa s[66:67], v7, v3 src0_sel:BYTE_0 src1_sel:DWORD
	v_lshlrev_b64 v[8:9], v5, -1
	v_and_b32_e32 v3, s67, v9
	v_or_b32_e32 v3, 0x80000000, v3
	v_ffbl_b32_e32 v3, v3
	v_add_u32_e32 v11, 32, v3
	v_and_b32_e32 v3, 63, v5
	v_cmp_ne_u32_e32 vcc, 63, v3
	v_addc_co_u32_e32 v39, vcc, 0, v5, vcc
	v_and_b32_e32 v50, 0xffffff, v6
	v_lshlrev_b32_e32 v39, 2, v39
	ds_bpermute_b32 v40, v39, v50
	v_and_b32_e32 v10, s66, v8
	v_ffbl_b32_e32 v10, v10
	v_min_u32_e32 v11, v10, v11
	v_lshrrev_b32_e32 v10, 16, v6
	v_cmp_lt_u32_e32 vcc, v3, v11
	v_bfe_u32 v48, v6, 16, 8
	s_and_saveexec_b64 s[66:67], vcc
	s_cbranch_execz .LBB644_150
; %bb.149:
	v_and_b32_e32 v10, 0xff0000, v6
	v_cmp_eq_u32_e32 vcc, 0, v10
	v_and_b32_e32 v10, 0x10000, v10
	v_mov_b32_e32 v43, 1
	s_waitcnt lgkmcnt(0)
	v_cndmask_b32_e32 v41, 0, v40, vcc
	v_and_b32_sdwa v40, v40, v43 dst_sel:DWORD dst_unused:UNUSED_PAD src0_sel:WORD_1 src1_sel:DWORD
	v_cmp_ne_u32_e32 vcc, 0, v10
	v_cndmask_b32_e64 v10, v40, 1, vcc
	v_add_u16_e32 v42, v41, v6
	v_lshlrev_b32_e32 v40, 16, v10
	v_add_u16_e32 v6, v41, v6
	v_or_b32_e32 v50, v40, v6
	v_mov_b32_e32 v6, v42
	v_mov_b32_e32 v48, v10
.LBB644_150:
	s_or_b64 exec, exec, s[66:67]
	v_cmp_gt_u32_e32 vcc, 62, v3
	s_waitcnt lgkmcnt(0)
	v_cndmask_b32_e64 v40, 0, 1, vcc
	v_lshlrev_b32_e32 v40, 1, v40
	v_add_lshl_u32 v40, v40, v5, 2
	ds_bpermute_b32 v42, v40, v50
	v_add_u32_e32 v41, 2, v3
	v_cmp_le_u32_e32 vcc, v41, v11
	s_and_saveexec_b64 s[66:67], vcc
	s_cbranch_execz .LBB644_152
; %bb.151:
	v_cmp_eq_u16_e32 vcc, 0, v48
	v_and_b32_e32 v10, 1, v48
	v_mov_b32_e32 v45, 1
	s_waitcnt lgkmcnt(0)
	v_cndmask_b32_e32 v43, 0, v42, vcc
	v_and_b32_sdwa v42, v42, v45 dst_sel:DWORD dst_unused:UNUSED_PAD src0_sel:WORD_1 src1_sel:DWORD
	v_cmp_eq_u32_e32 vcc, 1, v10
	v_cndmask_b32_e64 v10, v42, 1, vcc
	v_add_u16_e32 v44, v43, v6
	v_lshlrev_b32_e32 v42, 16, v10
	v_add_u16_e32 v6, v43, v6
	v_or_b32_e32 v50, v42, v6
	v_mov_b32_e32 v6, v44
	v_mov_b32_e32 v48, v10
.LBB644_152:
	s_or_b64 exec, exec, s[66:67]
	v_cmp_gt_u32_e32 vcc, 60, v3
	s_waitcnt lgkmcnt(0)
	v_cndmask_b32_e64 v42, 0, 1, vcc
	v_lshlrev_b32_e32 v42, 2, v42
	v_add_lshl_u32 v42, v42, v5, 2
	ds_bpermute_b32 v44, v42, v50
	v_add_u32_e32 v43, 4, v3
	v_cmp_le_u32_e32 vcc, v43, v11
	s_and_saveexec_b64 s[66:67], vcc
	s_cbranch_execz .LBB644_154
; %bb.153:
	v_cmp_eq_u16_e32 vcc, 0, v48
	v_and_b32_e32 v10, 1, v48
	v_mov_b32_e32 v47, 1
	s_waitcnt lgkmcnt(0)
	v_cndmask_b32_e32 v45, 0, v44, vcc
	v_and_b32_sdwa v44, v44, v47 dst_sel:DWORD dst_unused:UNUSED_PAD src0_sel:WORD_1 src1_sel:DWORD
	v_cmp_eq_u32_e32 vcc, 1, v10
	v_cndmask_b32_e64 v10, v44, 1, vcc
	v_add_u16_e32 v46, v45, v6
	v_lshlrev_b32_e32 v44, 16, v10
	v_add_u16_e32 v6, v45, v6
	v_or_b32_e32 v50, v44, v6
	v_mov_b32_e32 v6, v46
	v_mov_b32_e32 v48, v10
.LBB644_154:
	;; [unrolled: 27-line block ×4, first 2 shown]
	s_or_b64 exec, exec, s[66:67]
	v_cmp_gt_u32_e32 vcc, 32, v3
	s_waitcnt lgkmcnt(0)
	v_cndmask_b32_e64 v49, 0, 1, vcc
	v_lshlrev_b32_e32 v49, 5, v49
	v_add_lshl_u32 v49, v49, v5, 2
	ds_bpermute_b32 v5, v49, v50
	v_add_u32_e32 v50, 32, v3
	v_cmp_le_u32_e32 vcc, v50, v11
	s_and_saveexec_b64 s[66:67], vcc
	s_cbranch_execz .LBB644_160
; %bb.159:
	v_cmp_eq_u16_e32 vcc, 0, v48
	s_waitcnt lgkmcnt(0)
	v_cndmask_b32_e32 v10, 0, v5, vcc
	v_add_u16_e32 v6, v10, v6
	v_and_b32_e32 v10, 1, v48
	v_mov_b32_e32 v11, 1
	v_and_b32_sdwa v5, v5, v11 dst_sel:DWORD dst_unused:UNUSED_PAD src0_sel:WORD_1 src1_sel:DWORD
	v_cmp_eq_u32_e32 vcc, 1, v10
	v_cndmask_b32_e64 v10, v5, 1, vcc
.LBB644_160:
	s_or_b64 exec, exec, s[66:67]
	s_waitcnt lgkmcnt(0)
	v_mov_b32_e32 v5, 0
	v_mov_b32_e32 v52, 2
	;; [unrolled: 1-line block ×3, first 2 shown]
	s_branch .LBB644_162
.LBB644_161:                            ;   in Loop: Header=BB644_162 Depth=1
	s_or_b64 exec, exec, s[66:67]
	v_cmp_eq_u16_sdwa vcc, v48, v5 src0_sel:BYTE_0 src1_sel:DWORD
	v_and_b32_e32 v10, 1, v48
	v_cndmask_b32_e32 v6, 0, v6, vcc
	v_and_b32_e32 v11, 1, v11
	v_cmp_eq_u32_e32 vcc, 1, v10
	v_subrev_u32_e32 v4, 64, v4
	v_add_u16_e32 v6, v6, v51
	v_cndmask_b32_e64 v10, v11, 1, vcc
.LBB644_162:                            ; =>This Loop Header: Depth=1
                                        ;     Child Loop BB644_165 Depth 2
	v_cmp_ne_u16_sdwa s[66:67], v7, v52 src0_sel:BYTE_0 src1_sel:DWORD
	v_cndmask_b32_e64 v7, 0, 1, s[66:67]
	;;#ASMSTART
	;;#ASMEND
	v_cmp_ne_u32_e32 vcc, 0, v7
	v_mov_b32_e32 v48, v10
	s_cmp_lg_u64 vcc, exec
	v_mov_b32_e32 v51, v6
	s_cbranch_scc1 .LBB644_179
; %bb.163:                              ;   in Loop: Header=BB644_162 Depth=1
	v_lshlrev_b64 v[6:7], 3, v[4:5]
	v_mov_b32_e32 v11, s53
	v_add_co_u32_e32 v10, vcc, s52, v6
	v_addc_co_u32_e32 v11, vcc, v11, v7, vcc
	global_load_dwordx2 v[6:7], v[10:11], off glc
	s_waitcnt vmcnt(0)
	v_cmp_eq_u16_sdwa s[68:69], v7, v5 src0_sel:BYTE_0 src1_sel:DWORD
	s_and_saveexec_b64 s[66:67], s[68:69]
	s_cbranch_execz .LBB644_167
; %bb.164:                              ;   in Loop: Header=BB644_162 Depth=1
	s_mov_b64 s[68:69], 0
.LBB644_165:                            ;   Parent Loop BB644_162 Depth=1
                                        ; =>  This Inner Loop Header: Depth=2
	global_load_dwordx2 v[6:7], v[10:11], off glc
	s_waitcnt vmcnt(0)
	v_cmp_ne_u16_sdwa s[70:71], v7, v5 src0_sel:BYTE_0 src1_sel:DWORD
	s_or_b64 s[68:69], s[70:71], s[68:69]
	s_andn2_b64 exec, exec, s[68:69]
	s_cbranch_execnz .LBB644_165
; %bb.166:                              ;   in Loop: Header=BB644_162 Depth=1
	s_or_b64 exec, exec, s[68:69]
.LBB644_167:                            ;   in Loop: Header=BB644_162 Depth=1
	s_or_b64 exec, exec, s[66:67]
	v_cmp_eq_u16_sdwa s[66:67], v7, v52 src0_sel:BYTE_0 src1_sel:DWORD
	v_and_b32_e32 v10, s67, v9
	s_waitcnt lgkmcnt(0)
	v_and_b32_e32 v55, 0xffffff, v6
	v_or_b32_e32 v10, 0x80000000, v10
	ds_bpermute_b32 v56, v39, v55
	v_and_b32_e32 v11, s66, v8
	v_ffbl_b32_e32 v10, v10
	v_add_u32_e32 v10, 32, v10
	v_ffbl_b32_e32 v11, v11
	v_min_u32_e32 v10, v11, v10
	v_lshrrev_b32_e32 v11, 16, v6
	v_cmp_lt_u32_e32 vcc, v3, v10
	v_bfe_u32 v54, v6, 16, 8
	s_and_saveexec_b64 s[66:67], vcc
	s_cbranch_execz .LBB644_169
; %bb.168:                              ;   in Loop: Header=BB644_162 Depth=1
	v_and_b32_e32 v11, 0xff0000, v6
	v_cmp_eq_u32_e32 vcc, 0, v11
	v_and_b32_e32 v11, 0x10000, v11
	s_waitcnt lgkmcnt(0)
	v_cndmask_b32_e32 v54, 0, v56, vcc
	v_and_b32_sdwa v55, v56, v53 dst_sel:DWORD dst_unused:UNUSED_PAD src0_sel:WORD_1 src1_sel:DWORD
	v_cmp_ne_u32_e32 vcc, 0, v11
	v_cndmask_b32_e64 v11, v55, 1, vcc
	v_add_u16_e32 v57, v54, v6
	v_lshlrev_b32_e32 v55, 16, v11
	v_add_u16_e32 v6, v54, v6
	v_or_b32_e32 v55, v55, v6
	v_mov_b32_e32 v6, v57
	v_mov_b32_e32 v54, v11
.LBB644_169:                            ;   in Loop: Header=BB644_162 Depth=1
	s_or_b64 exec, exec, s[66:67]
	s_waitcnt lgkmcnt(0)
	ds_bpermute_b32 v56, v40, v55
	v_cmp_le_u32_e32 vcc, v41, v10
	s_and_saveexec_b64 s[66:67], vcc
	s_cbranch_execz .LBB644_171
; %bb.170:                              ;   in Loop: Header=BB644_162 Depth=1
	v_cmp_eq_u16_e32 vcc, 0, v54
	v_and_b32_e32 v11, 1, v54
	s_waitcnt lgkmcnt(0)
	v_cndmask_b32_e32 v55, 0, v56, vcc
	v_and_b32_sdwa v54, v56, v53 dst_sel:DWORD dst_unused:UNUSED_PAD src0_sel:WORD_1 src1_sel:DWORD
	v_cmp_eq_u32_e32 vcc, 1, v11
	v_cndmask_b32_e64 v11, v54, 1, vcc
	v_add_u16_e32 v57, v55, v6
	v_lshlrev_b32_e32 v54, 16, v11
	v_add_u16_e32 v6, v55, v6
	v_or_b32_e32 v55, v54, v6
	v_mov_b32_e32 v6, v57
	v_mov_b32_e32 v54, v11
.LBB644_171:                            ;   in Loop: Header=BB644_162 Depth=1
	s_or_b64 exec, exec, s[66:67]
	s_waitcnt lgkmcnt(0)
	ds_bpermute_b32 v56, v42, v55
	v_cmp_le_u32_e32 vcc, v43, v10
	s_and_saveexec_b64 s[66:67], vcc
	s_cbranch_execz .LBB644_173
; %bb.172:                              ;   in Loop: Header=BB644_162 Depth=1
	v_cmp_eq_u16_e32 vcc, 0, v54
	v_and_b32_e32 v11, 1, v54
	s_waitcnt lgkmcnt(0)
	v_cndmask_b32_e32 v55, 0, v56, vcc
	v_and_b32_sdwa v54, v56, v53 dst_sel:DWORD dst_unused:UNUSED_PAD src0_sel:WORD_1 src1_sel:DWORD
	v_cmp_eq_u32_e32 vcc, 1, v11
	v_cndmask_b32_e64 v11, v54, 1, vcc
	v_add_u16_e32 v57, v55, v6
	v_lshlrev_b32_e32 v54, 16, v11
	v_add_u16_e32 v6, v55, v6
	v_or_b32_e32 v55, v54, v6
	v_mov_b32_e32 v6, v57
	v_mov_b32_e32 v54, v11
.LBB644_173:                            ;   in Loop: Header=BB644_162 Depth=1
	;; [unrolled: 21-line block ×4, first 2 shown]
	s_or_b64 exec, exec, s[66:67]
	ds_bpermute_b32 v55, v49, v55
	v_cmp_le_u32_e32 vcc, v50, v10
	s_and_saveexec_b64 s[66:67], vcc
	s_cbranch_execz .LBB644_161
; %bb.178:                              ;   in Loop: Header=BB644_162 Depth=1
	v_cmp_eq_u16_e32 vcc, 0, v54
	s_waitcnt lgkmcnt(0)
	v_cndmask_b32_e32 v10, 0, v55, vcc
	v_add_u16_e32 v6, v10, v6
	v_and_b32_e32 v10, 1, v54
	v_lshrrev_b32_e32 v11, 16, v55
	v_cmp_eq_u32_e32 vcc, 1, v10
	v_cndmask_b32_e64 v11, v11, 1, vcc
	s_branch .LBB644_161
.LBB644_179:                            ;   in Loop: Header=BB644_162 Depth=1
                                        ; implicit-def: $vgpr10
                                        ; implicit-def: $vgpr6
	s_cbranch_execz .LBB644_162
; %bb.180:
	s_and_saveexec_b64 s[66:67], s[46:47]
	s_cbranch_execz .LBB644_182
; %bb.181:
	v_and_b32_e32 v3, 0xff0000, v2
	s_mov_b32 s47, 0
	v_cmp_eq_u32_e32 vcc, 0, v3
	v_and_b32_e32 v4, 0x10000, v2
	v_mov_b32_e32 v5, 1
	s_add_i32 s46, s6, 64
	v_cndmask_b32_e32 v3, 0, v51, vcc
	v_and_b32_sdwa v5, v48, v5 dst_sel:WORD_1 dst_unused:UNUSED_PAD src0_sel:DWORD src1_sel:DWORD
	v_mov_b32_e32 v6, 0x10000
	v_cmp_eq_u32_e32 vcc, 0, v4
	s_lshl_b64 s[46:47], s[46:47], 3
	v_cndmask_b32_e32 v4, v6, v5, vcc
	s_add_u32 s46, s52, s46
	v_add_u16_e32 v2, v3, v2
	s_addc_u32 s47, s53, s47
	v_mov_b32_e32 v5, 0
	v_or_b32_e32 v2, v4, v2
	v_mov_b32_e32 v3, 2
	global_store_dwordx2 v5, v[2:3], s[46:47]
.LBB644_182:
	s_or_b64 exec, exec, s[66:67]
	s_and_b64 exec, exec, s[44:45]
	s_cbranch_execz .LBB644_184
; %bb.183:
	v_mov_b32_e32 v2, 0
	ds_write_b16 v2, v51
	ds_write_b8 v2, v48 offset:2
.LBB644_184:
	s_or_b64 exec, exec, s[56:57]
	v_mov_b32_e32 v2, 0
	s_waitcnt lgkmcnt(0)
	s_barrier
	ds_read_b32 v3, v2
	v_cmp_eq_u16_sdwa vcc, v38, v2 src0_sel:BYTE_0 src1_sel:DWORD
	s_waitcnt lgkmcnt(0)
	v_cndmask_b32_e32 v2, 0, v3, vcc
	v_add_u16_e32 v2, v2, v37
	v_cndmask_b32_e64 v4, v2, v3, s[44:45]
	v_and_b32_e32 v2, 0xff0000, v1
	v_cmp_eq_u32_e32 vcc, 0, v2
	v_cndmask_b32_e32 v2, 0, v4, vcc
	v_add_u16_e32 v5, v2, v1
	v_cndmask_b32_e64 v2, 0, v5, s[2:3]
	v_add_u16_e32 v6, v2, v18
	v_cndmask_b32_e64 v2, 0, v6, s[4:5]
	;; [unrolled: 2-line block ×20, first 2 shown]
	v_add_u16_e32 v50, v2, v35
	s_branch .LBB644_227
.LBB644_185:
	s_or_b64 exec, exec, s[48:49]
                                        ; implicit-def: $vgpr27
	s_and_saveexec_b64 s[48:49], s[2:3]
	s_cbranch_execz .LBB644_49
.LBB644_186:
	v_mov_b32_e32 v27, s72
	v_add_co_u32_e32 v28, vcc, s55, v20
	v_addc_co_u32_e32 v29, vcc, 0, v27, vcc
	flat_load_ushort v27, v[28:29] offset:512
	s_or_b64 exec, exec, s[48:49]
                                        ; implicit-def: $vgpr28
	s_and_saveexec_b64 s[2:3], s[4:5]
	s_cbranch_execnz .LBB644_50
.LBB644_187:
	s_or_b64 exec, exec, s[2:3]
                                        ; implicit-def: $vgpr29
	s_and_saveexec_b64 s[2:3], s[46:47]
	s_cbranch_execz .LBB644_51
.LBB644_188:
	v_mov_b32_e32 v29, s72
	v_add_co_u32_e32 v30, vcc, s55, v20
	v_addc_co_u32_e32 v31, vcc, 0, v29, vcc
	flat_load_ushort v29, v[30:31] offset:1536
	s_or_b64 exec, exec, s[2:3]
                                        ; implicit-def: $vgpr30
	s_and_saveexec_b64 s[2:3], s[8:9]
	s_cbranch_execnz .LBB644_52
.LBB644_189:
	s_or_b64 exec, exec, s[2:3]
                                        ; implicit-def: $vgpr31
	s_and_saveexec_b64 s[2:3], s[10:11]
	s_cbranch_execz .LBB644_53
.LBB644_190:
	v_mov_b32_e32 v31, s72
	v_add_co_u32_e32 v32, vcc, s55, v20
	v_addc_co_u32_e32 v33, vcc, 0, v31, vcc
	flat_load_ushort v31, v[32:33] offset:2560
	s_or_b64 exec, exec, s[2:3]
                                        ; implicit-def: $vgpr32
	s_and_saveexec_b64 s[2:3], s[12:13]
	s_cbranch_execnz .LBB644_54
.LBB644_191:
	s_or_b64 exec, exec, s[2:3]
                                        ; implicit-def: $vgpr33
	s_and_saveexec_b64 s[2:3], s[14:15]
	s_cbranch_execz .LBB644_55
.LBB644_192:
	v_mov_b32_e32 v33, s72
	v_add_co_u32_e32 v34, vcc, s55, v20
	v_addc_co_u32_e32 v35, vcc, 0, v33, vcc
	flat_load_ushort v33, v[34:35] offset:3584
	s_or_b64 exec, exec, s[2:3]
                                        ; implicit-def: $vgpr34
	s_and_saveexec_b64 s[2:3], s[16:17]
	s_cbranch_execnz .LBB644_56
.LBB644_193:
	s_or_b64 exec, exec, s[2:3]
                                        ; implicit-def: $vgpr1
	s_and_saveexec_b64 s[2:3], s[18:19]
	s_cbranch_execz .LBB644_57
.LBB644_194:
	v_mov_b32_e32 v1, s72
	v_add_co_u32_e32 v40, vcc, s55, v2
	v_addc_co_u32_e32 v41, vcc, 0, v1, vcc
	flat_load_ushort v1, v[40:41]
	s_or_b64 exec, exec, s[2:3]
                                        ; implicit-def: $vgpr2
	s_and_saveexec_b64 s[2:3], s[20:21]
	s_cbranch_execnz .LBB644_58
.LBB644_195:
	s_or_b64 exec, exec, s[2:3]
                                        ; implicit-def: $vgpr3
	s_and_saveexec_b64 s[2:3], s[22:23]
	s_cbranch_execz .LBB644_59
.LBB644_196:
	v_mov_b32_e32 v3, s72
	v_add_co_u32_e32 v40, vcc, s55, v4
	v_addc_co_u32_e32 v41, vcc, 0, v3, vcc
	flat_load_ushort v3, v[40:41]
	s_or_b64 exec, exec, s[2:3]
                                        ; implicit-def: $vgpr4
	s_and_saveexec_b64 s[2:3], s[24:25]
	s_cbranch_execnz .LBB644_60
.LBB644_197:
	s_or_b64 exec, exec, s[2:3]
                                        ; implicit-def: $vgpr5
	s_and_saveexec_b64 s[2:3], s[26:27]
	s_cbranch_execz .LBB644_61
.LBB644_198:
	v_mov_b32_e32 v5, s72
	v_add_co_u32_e32 v40, vcc, s55, v16
	v_addc_co_u32_e32 v41, vcc, 0, v5, vcc
	flat_load_ushort v5, v[40:41]
	s_or_b64 exec, exec, s[2:3]
                                        ; implicit-def: $vgpr16
	s_and_saveexec_b64 s[2:3], s[28:29]
	s_cbranch_execnz .LBB644_62
.LBB644_199:
	s_or_b64 exec, exec, s[2:3]
                                        ; implicit-def: $vgpr17
	s_and_saveexec_b64 s[2:3], s[30:31]
	s_cbranch_execz .LBB644_63
.LBB644_200:
	v_mov_b32_e32 v17, s72
	v_add_co_u32_e32 v40, vcc, s55, v18
	v_addc_co_u32_e32 v41, vcc, 0, v17, vcc
	flat_load_ushort v17, v[40:41]
	s_or_b64 exec, exec, s[2:3]
                                        ; implicit-def: $vgpr18
	s_and_saveexec_b64 s[2:3], s[34:35]
	s_cbranch_execnz .LBB644_64
.LBB644_201:
	s_or_b64 exec, exec, s[2:3]
                                        ; implicit-def: $vgpr19
	s_and_saveexec_b64 s[2:3], s[36:37]
	s_cbranch_execz .LBB644_65
.LBB644_202:
	v_mov_b32_e32 v19, s72
	v_add_co_u32_e32 v40, vcc, s55, v21
	v_addc_co_u32_e32 v41, vcc, 0, v19, vcc
	flat_load_ushort v19, v[40:41]
	s_or_b64 exec, exec, s[2:3]
                                        ; implicit-def: $vgpr21
	s_and_saveexec_b64 s[2:3], s[38:39]
	s_cbranch_execnz .LBB644_66
.LBB644_203:
	s_or_b64 exec, exec, s[2:3]
                                        ; implicit-def: $vgpr22
	s_and_saveexec_b64 s[2:3], s[40:41]
	s_cbranch_execz .LBB644_67
.LBB644_204:
	v_mov_b32_e32 v35, s72
	v_add_co_u32_e32 v22, vcc, s55, v23
	v_addc_co_u32_e32 v23, vcc, 0, v35, vcc
	flat_load_ushort v22, v[22:23]
	s_or_b64 exec, exec, s[2:3]
                                        ; implicit-def: $vgpr23
	s_and_saveexec_b64 s[2:3], s[42:43]
	s_cbranch_execz .LBB644_69
	s_branch .LBB644_68
.LBB644_205:
                                        ; implicit-def: $vgpr4
                                        ; implicit-def: $vgpr5
                                        ; implicit-def: $vgpr6
                                        ; implicit-def: $vgpr7
                                        ; implicit-def: $vgpr8
                                        ; implicit-def: $vgpr9
                                        ; implicit-def: $vgpr10
                                        ; implicit-def: $vgpr11
                                        ; implicit-def: $vgpr37
                                        ; implicit-def: $vgpr38
                                        ; implicit-def: $vgpr39
                                        ; implicit-def: $vgpr40
                                        ; implicit-def: $vgpr41
                                        ; implicit-def: $vgpr42
                                        ; implicit-def: $vgpr43
                                        ; implicit-def: $vgpr44
                                        ; implicit-def: $vgpr45
                                        ; implicit-def: $vgpr46
                                        ; implicit-def: $vgpr47
                                        ; implicit-def: $vgpr48
                                        ; implicit-def: $vgpr49
                                        ; implicit-def: $vgpr50
	s_cbranch_execz .LBB644_227
; %bb.206:
	s_cmp_lg_u64 s[64:65], 0
	s_cselect_b32 s3, s59, 0
	s_cselect_b32 s2, s58, 0
	s_cmp_eq_u64 s[2:3], 0
	v_mov_b32_e32 v2, s7
	s_cbranch_scc1 .LBB644_208
; %bb.207:
	v_mov_b32_e32 v2, 0
	global_load_ushort v2, v2, s[2:3]
.LBB644_208:
	s_mov_b32 s42, 0x10000
	v_cmp_gt_u32_e32 vcc, s42, v18
	v_cndmask_b32_e32 v3, 0, v1, vcc
	v_add_u16_e32 v3, v3, v18
	v_cmp_gt_u32_e64 s[2:3], s42, v22
	v_cndmask_b32_e64 v3, 0, v3, s[2:3]
	v_add_u16_e32 v3, v3, v22
	v_cmp_gt_u32_e64 s[4:5], s42, v19
	v_cndmask_b32_e64 v3, 0, v3, s[4:5]
	;; [unrolled: 3-line block ×20, first 2 shown]
	v_add_u16_e32 v4, v3, v12
	v_or3_b32 v3, v15, v33, v32
	v_or3_b32 v3, v3, v31, v30
	;; [unrolled: 1-line block ×8, first 2 shown]
	v_and_b32_e32 v3, 0x10000, v3
	v_cmp_ne_u32_e64 s[42:43], 0, v3
	v_mov_b32_e32 v8, 0x10000
	v_cndmask_b32_e64 v5, v13, 1, s[42:43]
	v_add_lshl_u32 v3, v14, v0, 2
	v_cmp_gt_u32_e64 s[42:43], 64, v0
	ds_write_b16 v3, v4
	ds_write_b8 v3, v5 offset:2
	s_waitcnt lgkmcnt(0)
	s_barrier
	s_and_saveexec_b64 s[44:45], s[42:43]
	s_cbranch_execz .LBB644_222
; %bb.209:
	v_lshlrev_b32_e32 v3, 2, v0
	v_lshrrev_b32_e32 v6, 3, v0
	v_add_lshl_u32 v3, v6, v3, 2
	ds_read_b32 v6, v3
	ds_read_u16 v7, v3 offset:4
	ds_read_u8 v9, v3 offset:6
	ds_read_u16 v10, v3 offset:8
	ds_read_u8 v11, v3 offset:10
	;; [unrolled: 2-line block ×3, first 2 shown]
	v_mov_b32_e32 v14, 0
	s_waitcnt lgkmcnt(4)
	v_cmp_eq_u16_sdwa s[42:43], v9, v14 src0_sel:BYTE_0 src1_sel:DWORD
	v_cndmask_b32_e64 v15, 0, v6, s[42:43]
	v_add_u16_e32 v15, v15, v7
	s_waitcnt lgkmcnt(2)
	v_cmp_eq_u16_sdwa s[42:43], v11, v14 src0_sel:BYTE_0 src1_sel:DWORD
	s_waitcnt lgkmcnt(0)
	v_or_b32_e32 v11, v13, v11
	v_cndmask_b32_e64 v14, 0, v15, s[42:43]
	v_or_b32_e32 v9, v11, v9
	v_add_u16_e32 v10, v14, v10
	v_cmp_eq_u16_e64 s[42:43], 0, v13
	v_and_b32_e32 v9, 1, v9
	v_and_b32_e32 v7, 0x10000, v6
	v_cndmask_b32_e64 v14, 0, v10, s[42:43]
	v_cmp_eq_u32_e64 s[42:43], 1, v9
	v_mbcnt_lo_u32_b32 v9, -1, 0
	v_add_u16_e32 v10, v14, v12
	v_cndmask_b32_e64 v15, v7, v8, s[42:43]
	v_add_u16_e32 v12, v14, v12
	v_and_b32_e32 v8, 0xff000000, v6
	v_mbcnt_hi_u32_b32 v9, -1, v9
	v_or_b32_e32 v13, v15, v8
	v_and_b32_e32 v14, 15, v9
	v_or3_b32 v12, v8, v12, v15
	s_movk_i32 s48, 0xff
	v_lshrrev_b32_e32 v11, 16, v13
	v_mov_b32_dpp v15, v12 row_shr:1 row_mask:0xf bank_mask:0xf
	v_cmp_ne_u32_e64 s[42:43], 0, v14
	s_and_saveexec_b64 s[46:47], s[42:43]
	s_cbranch_execz .LBB644_211
; %bb.210:
	v_and_b32_sdwa v11, v13, s48 dst_sel:DWORD dst_unused:UNUSED_PAD src0_sel:WORD_1 src1_sel:DWORD
	v_cmp_eq_u16_e64 s[42:43], 0, v11
	v_and_b32_e32 v11, 0x10000, v13
	v_mov_b32_e32 v13, 1
	v_cndmask_b32_e64 v12, 0, v15, s[42:43]
	v_and_b32_sdwa v13, v15, v13 dst_sel:DWORD dst_unused:UNUSED_PAD src0_sel:WORD_1 src1_sel:DWORD
	v_cmp_ne_u32_e64 s[42:43], 0, v11
	v_cndmask_b32_e64 v11, v13, 1, s[42:43]
	v_add_u16_e32 v37, v12, v10
	v_lshlrev_b32_e32 v13, 16, v11
	v_add_u16_e32 v10, v12, v10
	v_or3_b32 v12, v13, v10, v8
	v_mov_b32_e32 v10, v37
.LBB644_211:
	s_or_b64 exec, exec, s[46:47]
	v_lshrrev_b32_e32 v13, 16, v12
	v_mov_b32_dpp v15, v12 row_shr:2 row_mask:0xf bank_mask:0xf
	v_cmp_lt_u32_e64 s[42:43], 1, v14
	s_and_saveexec_b64 s[46:47], s[42:43]
	s_cbranch_execz .LBB644_213
; %bb.212:
	v_mov_b32_e32 v11, 0
	v_cmp_eq_u16_sdwa s[42:43], v13, v11 src0_sel:BYTE_0 src1_sel:DWORD
	v_and_b32_e32 v11, 0x10000, v12
	v_mov_b32_e32 v12, 1
	v_cndmask_b32_e64 v13, 0, v15, s[42:43]
	v_and_b32_sdwa v12, v15, v12 dst_sel:DWORD dst_unused:UNUSED_PAD src0_sel:WORD_1 src1_sel:DWORD
	v_cmp_ne_u32_e64 s[42:43], 0, v11
	v_cndmask_b32_e64 v11, v12, 1, s[42:43]
	v_add_u16_e32 v37, v13, v10
	v_lshlrev_b32_e32 v12, 16, v11
	v_add_u16_e32 v10, v13, v10
	v_or3_b32 v12, v12, v10, v8
	v_mov_b32_e32 v13, v11
	v_mov_b32_e32 v10, v37
.LBB644_213:
	s_or_b64 exec, exec, s[46:47]
	v_mov_b32_dpp v15, v12 row_shr:4 row_mask:0xf bank_mask:0xf
	v_cmp_lt_u32_e64 s[42:43], 3, v14
	s_and_saveexec_b64 s[46:47], s[42:43]
	s_cbranch_execz .LBB644_215
; %bb.214:
	v_mov_b32_e32 v11, 0
	v_cmp_eq_u16_sdwa s[42:43], v13, v11 src0_sel:BYTE_0 src1_sel:DWORD
	v_and_b32_e32 v11, 1, v13
	v_mov_b32_e32 v13, 1
	v_cndmask_b32_e64 v12, 0, v15, s[42:43]
	v_and_b32_sdwa v13, v15, v13 dst_sel:DWORD dst_unused:UNUSED_PAD src0_sel:WORD_1 src1_sel:DWORD
	v_cmp_eq_u32_e64 s[42:43], 1, v11
	v_cndmask_b32_e64 v11, v13, 1, s[42:43]
	v_add_u16_e32 v37, v12, v10
	v_lshlrev_b32_e32 v13, 16, v11
	v_add_u16_e32 v10, v12, v10
	v_or3_b32 v12, v13, v10, v8
	v_mov_b32_e32 v13, v11
	v_mov_b32_e32 v10, v37
.LBB644_215:
	s_or_b64 exec, exec, s[46:47]
	v_mov_b32_dpp v15, v12 row_shr:8 row_mask:0xf bank_mask:0xf
	v_cmp_lt_u32_e64 s[42:43], 7, v14
	s_and_saveexec_b64 s[46:47], s[42:43]
	s_cbranch_execz .LBB644_217
; %bb.216:
	v_mov_b32_e32 v11, 0
	v_cmp_eq_u16_sdwa s[42:43], v13, v11 src0_sel:BYTE_0 src1_sel:DWORD
	v_and_b32_e32 v11, 1, v13
	v_mov_b32_e32 v13, 1
	v_cndmask_b32_e64 v12, 0, v15, s[42:43]
	v_and_b32_sdwa v13, v15, v13 dst_sel:DWORD dst_unused:UNUSED_PAD src0_sel:WORD_1 src1_sel:DWORD
	v_cmp_eq_u32_e64 s[42:43], 1, v11
	v_cndmask_b32_e64 v11, v13, 1, s[42:43]
	v_add_u16_e32 v14, v12, v10
	v_lshlrev_b32_e32 v13, 16, v11
	v_add_u16_e32 v10, v12, v10
	v_or3_b32 v12, v13, v10, v8
	v_mov_b32_e32 v13, v11
	v_mov_b32_e32 v10, v14
.LBB644_217:
	s_or_b64 exec, exec, s[46:47]
	v_and_b32_e32 v15, 16, v9
	v_mov_b32_dpp v14, v12 row_bcast:15 row_mask:0xf bank_mask:0xf
	v_cmp_ne_u32_e64 s[42:43], 0, v15
	s_and_saveexec_b64 s[46:47], s[42:43]
	s_cbranch_execz .LBB644_219
; %bb.218:
	v_mov_b32_e32 v11, 0
	v_cmp_eq_u16_sdwa s[42:43], v13, v11 src0_sel:BYTE_0 src1_sel:DWORD
	v_and_b32_e32 v11, 1, v13
	v_mov_b32_e32 v13, 1
	v_cndmask_b32_e64 v12, 0, v14, s[42:43]
	v_and_b32_sdwa v13, v14, v13 dst_sel:DWORD dst_unused:UNUSED_PAD src0_sel:WORD_1 src1_sel:DWORD
	v_cmp_eq_u32_e64 s[42:43], 1, v11
	v_cndmask_b32_e64 v11, v13, 1, s[42:43]
	v_add_u16_e32 v15, v12, v10
	v_lshlrev_b32_e32 v13, 16, v11
	v_add_u16_e32 v10, v12, v10
	v_or3_b32 v12, v13, v10, v8
	v_mov_b32_e32 v13, v11
	v_mov_b32_e32 v10, v15
.LBB644_219:
	s_or_b64 exec, exec, s[46:47]
	v_mov_b32_dpp v12, v12 row_bcast:31 row_mask:0xf bank_mask:0xf
	v_cmp_lt_u32_e64 s[42:43], 31, v9
	s_and_saveexec_b64 s[46:47], s[42:43]
; %bb.220:
	v_mov_b32_e32 v11, 0
	v_cmp_eq_u16_sdwa s[42:43], v13, v11 src0_sel:BYTE_0 src1_sel:DWORD
	v_cndmask_b32_e64 v11, 0, v12, s[42:43]
	v_add_u16_e32 v10, v11, v10
	v_and_b32_e32 v11, 1, v13
	v_mov_b32_e32 v13, 1
	v_and_b32_sdwa v12, v12, v13 dst_sel:DWORD dst_unused:UNUSED_PAD src0_sel:WORD_1 src1_sel:DWORD
	v_cmp_eq_u32_e64 s[42:43], 1, v11
	v_cndmask_b32_e64 v11, v12, 1, s[42:43]
; %bb.221:
	s_or_b64 exec, exec, s[46:47]
	v_and_b32_e32 v11, 0xff, v11
	v_lshlrev_b32_e32 v11, 16, v11
	v_and_b32_e32 v10, 0xffff, v10
	v_or3_b32 v8, v11, v10, v8
	v_add_u32_e32 v10, -1, v9
	v_and_b32_e32 v11, 64, v9
	v_cmp_lt_i32_e64 s[42:43], v10, v11
	v_cndmask_b32_e64 v9, v10, v9, s[42:43]
	v_lshlrev_b32_e32 v9, 2, v9
	ds_bpermute_b32 v8, v9, v8
	v_and_b32_e32 v9, 0xff0000, v6
	v_cmp_eq_u32_e64 s[42:43], 0, v9
	; wave barrier
	s_waitcnt lgkmcnt(0)
	v_cndmask_b32_e64 v9, 0, v8, s[42:43]
	v_add_u16_e32 v6, v9, v6
	v_mov_b32_e32 v9, 1
	v_and_b32_sdwa v8, v8, v9 dst_sel:DWORD dst_unused:UNUSED_PAD src0_sel:WORD_1 src1_sel:DWORD
	v_cmp_eq_u32_e64 s[42:43], 0, v7
	v_cndmask_b32_e64 v7, 1, v8, s[42:43]
	v_cmp_eq_u32_e64 s[42:43], 0, v0
	v_cndmask_b32_e64 v4, v6, v4, s[42:43]
	v_cndmask_b32_e64 v5, v7, v5, s[42:43]
	ds_write_b16 v3, v4
	ds_write_b8 v3, v5 offset:2
	; wave barrier
	ds_read_u16 v6, v3 offset:4
	ds_read_u8 v7, v3 offset:6
	ds_read_u16 v8, v3 offset:8
	ds_read_u8 v9, v3 offset:10
	;; [unrolled: 2-line block ×3, first 2 shown]
	s_waitcnt lgkmcnt(4)
	v_cmp_eq_u16_e64 s[42:43], 0, v7
	v_cndmask_b32_e64 v4, 0, v4, s[42:43]
	v_add_u16_e32 v4, v4, v6
	v_and_b32_e32 v6, 1, v7
	v_cmp_eq_u32_e64 s[42:43], 1, v6
	v_cndmask_b32_e64 v5, v5, 1, s[42:43]
	s_waitcnt lgkmcnt(2)
	v_cmp_eq_u16_e64 s[42:43], 0, v9
	v_and_b32_e32 v6, 1, v9
	ds_write_b16 v3, v4 offset:4
	ds_write_b8 v3, v5 offset:6
	v_cndmask_b32_e64 v4, 0, v4, s[42:43]
	v_cmp_eq_u32_e64 s[42:43], 1, v6
	v_add_u16_e32 v4, v4, v8
	v_cndmask_b32_e64 v5, v5, 1, s[42:43]
	s_waitcnt lgkmcnt(2)
	v_cmp_eq_u16_e64 s[42:43], 0, v11
	ds_write_b16 v3, v4 offset:8
	ds_write_b8 v3, v5 offset:10
	v_cndmask_b32_e64 v4, 0, v4, s[42:43]
	v_and_b32_e32 v6, 1, v11
	v_add_u16_e32 v4, v4, v10
	v_cmp_eq_u32_e64 s[42:43], 1, v6
	v_cndmask_b32_e64 v5, v5, 1, s[42:43]
	ds_write_b16 v3, v4 offset:12
	ds_write_b8 v3, v5 offset:14
.LBB644_222:
	s_or_b64 exec, exec, s[44:45]
	v_cmp_eq_u32_e64 s[42:43], 0, v0
	v_cmp_ne_u32_e64 s[44:45], 0, v0
	s_waitcnt vmcnt(0)
	v_mov_b32_e32 v4, v2
	s_waitcnt lgkmcnt(0)
	s_barrier
	s_and_saveexec_b64 s[46:47], s[44:45]
	s_cbranch_execz .LBB644_224
; %bb.223:
	v_add_u32_e32 v3, -1, v0
	v_lshrrev_b32_e32 v4, 5, v3
	v_add_lshl_u32 v3, v4, v3, 2
	ds_read_u8 v4, v3 offset:2
	ds_read_u16 v3, v3
	s_waitcnt lgkmcnt(1)
	v_cmp_eq_u16_e64 s[44:45], 0, v4
	v_cndmask_b32_e64 v4, 0, v2, s[44:45]
	s_waitcnt lgkmcnt(0)
	v_add_u16_e32 v4, v4, v3
.LBB644_224:
	s_or_b64 exec, exec, s[46:47]
	v_and_b32_e32 v3, 0xff0000, v1
	v_cmp_eq_u32_e64 s[44:45], 0, v3
	v_cndmask_b32_e64 v3, 0, v4, s[44:45]
	v_add_u16_e32 v5, v3, v1
	v_cndmask_b32_e32 v1, 0, v5, vcc
	v_add_u16_e32 v6, v1, v18
	v_cndmask_b32_e64 v1, 0, v6, s[2:3]
	v_add_u16_e32 v7, v1, v22
	v_cndmask_b32_e64 v1, 0, v7, s[4:5]
	;; [unrolled: 2-line block ×19, first 2 shown]
	s_and_saveexec_b64 s[2:3], s[42:43]
	s_cbranch_execz .LBB644_226
; %bb.225:
	v_mov_b32_e32 v12, 0
	ds_read_u8 v3, v12 offset:1050
	ds_read_u16 v13, v12 offset:1048
	s_waitcnt lgkmcnt(1)
	v_cmp_eq_u32_e32 vcc, 0, v3
	v_cndmask_b32_e32 v2, 0, v2, vcc
	v_lshlrev_b32_e32 v14, 16, v3
	s_waitcnt lgkmcnt(0)
	v_add_u32_e32 v2, v2, v13
	v_or_b32_sdwa v2, v14, v2 dst_sel:DWORD dst_unused:UNUSED_PAD src0_sel:DWORD src1_sel:WORD_0
	v_mov_b32_e32 v3, 2
	global_store_dwordx2 v12, v[2:3], s[52:53] offset:512
.LBB644_226:
	s_or_b64 exec, exec, s[2:3]
	v_add_u16_e32 v50, v1, v35
.LBB644_227:
	s_add_u32 s2, s50, s60
	s_addc_u32 s3, s51, s61
	s_add_u32 s4, s2, s62
	v_mul_u32_u24_e32 v1, 22, v0
	s_addc_u32 s5, s3, s63
	s_and_b64 vcc, exec, s[0:1]
	v_lshlrev_b32_e32 v12, 1, v1
	s_cbranch_vccz .LBB644_271
; %bb.228:
	s_mov_b32 s0, 0x5040100
	v_perm_b32 v1, v7, v6, s0
	v_perm_b32 v2, v5, v4, s0
	s_barrier
	ds_write2_b32 v12, v2, v1 offset1:1
	v_perm_b32 v1, v11, v10, s0
	v_perm_b32 v2, v9, v8, s0
	ds_write2_b32 v12, v2, v1 offset0:2 offset1:3
	v_perm_b32 v1, v40, v39, s0
	v_perm_b32 v2, v38, v37, s0
	ds_write2_b32 v12, v2, v1 offset0:4 offset1:5
	;; [unrolled: 3-line block ×4, first 2 shown]
	v_perm_b32 v1, v50, v49, s0
	s_movk_i32 s0, 0xffd6
	v_mad_i32_i24 v2, v0, s0, v12
	ds_write_b32 v12, v1 offset:40
	s_waitcnt lgkmcnt(0)
	s_barrier
	ds_read_u16 v33, v2 offset:512
	ds_read_u16 v32, v2 offset:1024
	;; [unrolled: 1-line block ×21, first 2 shown]
	v_mov_b32_e32 v3, s5
	v_add_co_u32_e32 v2, vcc, s4, v36
	s_add_i32 s33, s33, s54
	v_addc_co_u32_e32 v3, vcc, 0, v3, vcc
	v_mov_b32_e32 v1, 0
	v_cmp_gt_u32_e32 vcc, s33, v0
	s_and_saveexec_b64 s[0:1], vcc
	s_cbranch_execz .LBB644_230
; %bb.229:
	v_mul_i32_i24_e32 v34, 0xffffffd6, v0
	v_add_u32_e32 v34, v12, v34
	ds_read_u16 v34, v34
	s_waitcnt lgkmcnt(0)
	flat_store_short v[2:3], v34
.LBB644_230:
	s_or_b64 exec, exec, s[0:1]
	v_or_b32_e32 v34, 0x100, v0
	v_cmp_gt_u32_e32 vcc, s33, v34
	s_and_saveexec_b64 s[0:1], vcc
	s_cbranch_execz .LBB644_232
; %bb.231:
	s_waitcnt lgkmcnt(0)
	flat_store_short v[2:3], v33 offset:512
.LBB644_232:
	s_or_b64 exec, exec, s[0:1]
	s_waitcnt lgkmcnt(0)
	v_or_b32_e32 v33, 0x200, v0
	v_cmp_gt_u32_e32 vcc, s33, v33
	s_and_saveexec_b64 s[0:1], vcc
	s_cbranch_execz .LBB644_234
; %bb.233:
	flat_store_short v[2:3], v32 offset:1024
.LBB644_234:
	s_or_b64 exec, exec, s[0:1]
	v_or_b32_e32 v32, 0x300, v0
	v_cmp_gt_u32_e32 vcc, s33, v32
	s_and_saveexec_b64 s[0:1], vcc
	s_cbranch_execz .LBB644_236
; %bb.235:
	flat_store_short v[2:3], v31 offset:1536
.LBB644_236:
	s_or_b64 exec, exec, s[0:1]
	;; [unrolled: 8-line block ×6, first 2 shown]
	v_or_b32_e32 v27, 0x800, v0
	v_cmp_gt_u32_e32 vcc, s33, v27
	s_and_saveexec_b64 s[0:1], vcc
	s_cbranch_execz .LBB644_246
; %bb.245:
	v_add_co_u32_e32 v28, vcc, 0x1000, v2
	v_addc_co_u32_e32 v29, vcc, 0, v3, vcc
	flat_store_short v[28:29], v26
.LBB644_246:
	s_or_b64 exec, exec, s[0:1]
	v_or_b32_e32 v26, 0x900, v0
	v_cmp_gt_u32_e32 vcc, s33, v26
	s_and_saveexec_b64 s[0:1], vcc
	s_cbranch_execz .LBB644_248
; %bb.247:
	v_add_co_u32_e32 v26, vcc, 0x1000, v2
	v_addc_co_u32_e32 v27, vcc, 0, v3, vcc
	flat_store_short v[26:27], v25 offset:512
.LBB644_248:
	s_or_b64 exec, exec, s[0:1]
	v_or_b32_e32 v25, 0xa00, v0
	v_cmp_gt_u32_e32 vcc, s33, v25
	s_and_saveexec_b64 s[0:1], vcc
	s_cbranch_execz .LBB644_250
; %bb.249:
	v_add_co_u32_e32 v26, vcc, 0x1000, v2
	v_addc_co_u32_e32 v27, vcc, 0, v3, vcc
	flat_store_short v[26:27], v24 offset:1024
.LBB644_250:
	;; [unrolled: 10-line block ×7, first 2 shown]
	s_or_b64 exec, exec, s[0:1]
	v_or_b32_e32 v19, 0x1000, v0
	v_cmp_gt_u32_e32 vcc, s33, v19
	s_and_saveexec_b64 s[0:1], vcc
	s_cbranch_execz .LBB644_262
; %bb.261:
	v_add_co_u32_e32 v20, vcc, 0x2000, v2
	v_addc_co_u32_e32 v21, vcc, 0, v3, vcc
	flat_store_short v[20:21], v18
.LBB644_262:
	s_or_b64 exec, exec, s[0:1]
	v_or_b32_e32 v18, 0x1100, v0
	v_cmp_gt_u32_e32 vcc, s33, v18
	s_and_saveexec_b64 s[0:1], vcc
	s_cbranch_execz .LBB644_264
; %bb.263:
	v_add_co_u32_e32 v18, vcc, 0x2000, v2
	v_addc_co_u32_e32 v19, vcc, 0, v3, vcc
	flat_store_short v[18:19], v17 offset:512
.LBB644_264:
	s_or_b64 exec, exec, s[0:1]
	v_or_b32_e32 v17, 0x1200, v0
	v_cmp_gt_u32_e32 vcc, s33, v17
	s_and_saveexec_b64 s[0:1], vcc
	s_cbranch_execz .LBB644_266
; %bb.265:
	v_add_co_u32_e32 v18, vcc, 0x2000, v2
	v_addc_co_u32_e32 v19, vcc, 0, v3, vcc
	flat_store_short v[18:19], v16 offset:1024
.LBB644_266:
	;; [unrolled: 10-line block ×4, first 2 shown]
	s_or_b64 exec, exec, s[0:1]
	v_or_b32_e32 v2, 0x1500, v0
	v_cmp_gt_u32_e64 s[0:1], s33, v2
	s_branch .LBB644_273
.LBB644_271:
	s_mov_b64 s[0:1], 0
                                        ; implicit-def: $vgpr13
	s_cbranch_execz .LBB644_273
; %bb.272:
	s_mov_b32 s2, 0x5040100
	v_perm_b32 v1, v7, v6, s2
	v_perm_b32 v2, v5, v4, s2
	s_waitcnt lgkmcnt(0)
	s_barrier
	ds_write2_b32 v12, v2, v1 offset1:1
	v_perm_b32 v1, v11, v10, s2
	v_perm_b32 v2, v9, v8, s2
	ds_write2_b32 v12, v2, v1 offset0:2 offset1:3
	v_perm_b32 v1, v40, v39, s2
	v_perm_b32 v2, v38, v37, s2
	ds_write2_b32 v12, v2, v1 offset0:4 offset1:5
	;; [unrolled: 3-line block ×4, first 2 shown]
	v_perm_b32 v1, v50, v49, s2
	s_movk_i32 s2, 0xffd6
	v_mad_i32_i24 v2, v0, s2, v12
	ds_write_b32 v12, v1 offset:40
	s_waitcnt lgkmcnt(0)
	s_barrier
	ds_read_u16 v4, v2
	ds_read_u16 v5, v2 offset:512
	ds_read_u16 v6, v2 offset:1024
	;; [unrolled: 1-line block ×21, first 2 shown]
	v_mov_b32_e32 v3, s5
	v_add_co_u32_e32 v2, vcc, s4, v36
	v_addc_co_u32_e32 v3, vcc, 0, v3, vcc
	s_movk_i32 s2, 0x1000
	s_waitcnt lgkmcnt(0)
	flat_store_short v[2:3], v4
	flat_store_short v[2:3], v5 offset:512
	flat_store_short v[2:3], v6 offset:1024
	;; [unrolled: 1-line block ×7, first 2 shown]
	v_add_co_u32_e32 v4, vcc, s2, v2
	v_addc_co_u32_e32 v5, vcc, 0, v3, vcc
	v_add_co_u32_e32 v2, vcc, 0x2000, v2
	v_mov_b32_e32 v1, 0
	v_addc_co_u32_e32 v3, vcc, 0, v3, vcc
	s_or_b64 s[0:1], s[0:1], exec
	flat_store_short v[4:5], v12
	flat_store_short v[4:5], v14 offset:512
	flat_store_short v[4:5], v15 offset:1024
	;; [unrolled: 1-line block ×7, first 2 shown]
	flat_store_short v[2:3], v21
	flat_store_short v[2:3], v22 offset:512
	flat_store_short v[2:3], v23 offset:1024
	;; [unrolled: 1-line block ×4, first 2 shown]
.LBB644_273:
	s_and_saveexec_b64 s[2:3], s[0:1]
	s_cbranch_execz .LBB644_275
; %bb.274:
	v_lshlrev_b64 v[0:1], 1, v[0:1]
	v_mov_b32_e32 v2, s5
	v_add_co_u32_e32 v0, vcc, s4, v0
	v_addc_co_u32_e32 v1, vcc, v2, v1, vcc
	v_add_co_u32_e32 v0, vcc, 0x2000, v0
	v_addc_co_u32_e32 v1, vcc, 0, v1, vcc
	flat_store_short v[0:1], v13 offset:2560
	s_endpgm
.LBB644_275:
	s_endpgm
	.section	.rodata,"a",@progbits
	.p2align	6, 0x0
	.amdhsa_kernel _ZN7rocprim17ROCPRIM_400000_NS6detail17trampoline_kernelINS0_14default_configENS1_27scan_by_key_config_selectorIssEEZZNS1_16scan_by_key_implILNS1_25lookback_scan_determinismE0ELb1ES3_N6thrust23THRUST_200600_302600_NS6detail15normal_iteratorINS9_10device_ptrIsEEEESE_SE_sNS9_4plusIvEENS9_8equal_toIsEEsEE10hipError_tPvRmT2_T3_T4_T5_mT6_T7_P12ihipStream_tbENKUlT_T0_E_clISt17integral_constantIbLb0EESZ_EEDaSU_SV_EUlSU_E_NS1_11comp_targetILNS1_3genE4ELNS1_11target_archE910ELNS1_3gpuE8ELNS1_3repE0EEENS1_30default_config_static_selectorELNS0_4arch9wavefront6targetE1EEEvT1_
		.amdhsa_group_segment_fixed_size 12288
		.amdhsa_private_segment_fixed_size 0
		.amdhsa_kernarg_size 112
		.amdhsa_user_sgpr_count 6
		.amdhsa_user_sgpr_private_segment_buffer 1
		.amdhsa_user_sgpr_dispatch_ptr 0
		.amdhsa_user_sgpr_queue_ptr 0
		.amdhsa_user_sgpr_kernarg_segment_ptr 1
		.amdhsa_user_sgpr_dispatch_id 0
		.amdhsa_user_sgpr_flat_scratch_init 0
		.amdhsa_user_sgpr_kernarg_preload_length 0
		.amdhsa_user_sgpr_kernarg_preload_offset 0
		.amdhsa_user_sgpr_private_segment_size 0
		.amdhsa_uses_dynamic_stack 0
		.amdhsa_system_sgpr_private_segment_wavefront_offset 0
		.amdhsa_system_sgpr_workgroup_id_x 1
		.amdhsa_system_sgpr_workgroup_id_y 0
		.amdhsa_system_sgpr_workgroup_id_z 0
		.amdhsa_system_sgpr_workgroup_info 0
		.amdhsa_system_vgpr_workitem_id 0
		.amdhsa_next_free_vgpr 58
		.amdhsa_next_free_sgpr 75
		.amdhsa_accum_offset 60
		.amdhsa_reserve_vcc 1
		.amdhsa_reserve_flat_scratch 0
		.amdhsa_float_round_mode_32 0
		.amdhsa_float_round_mode_16_64 0
		.amdhsa_float_denorm_mode_32 3
		.amdhsa_float_denorm_mode_16_64 3
		.amdhsa_dx10_clamp 1
		.amdhsa_ieee_mode 1
		.amdhsa_fp16_overflow 0
		.amdhsa_tg_split 0
		.amdhsa_exception_fp_ieee_invalid_op 0
		.amdhsa_exception_fp_denorm_src 0
		.amdhsa_exception_fp_ieee_div_zero 0
		.amdhsa_exception_fp_ieee_overflow 0
		.amdhsa_exception_fp_ieee_underflow 0
		.amdhsa_exception_fp_ieee_inexact 0
		.amdhsa_exception_int_div_zero 0
	.end_amdhsa_kernel
	.section	.text._ZN7rocprim17ROCPRIM_400000_NS6detail17trampoline_kernelINS0_14default_configENS1_27scan_by_key_config_selectorIssEEZZNS1_16scan_by_key_implILNS1_25lookback_scan_determinismE0ELb1ES3_N6thrust23THRUST_200600_302600_NS6detail15normal_iteratorINS9_10device_ptrIsEEEESE_SE_sNS9_4plusIvEENS9_8equal_toIsEEsEE10hipError_tPvRmT2_T3_T4_T5_mT6_T7_P12ihipStream_tbENKUlT_T0_E_clISt17integral_constantIbLb0EESZ_EEDaSU_SV_EUlSU_E_NS1_11comp_targetILNS1_3genE4ELNS1_11target_archE910ELNS1_3gpuE8ELNS1_3repE0EEENS1_30default_config_static_selectorELNS0_4arch9wavefront6targetE1EEEvT1_,"axG",@progbits,_ZN7rocprim17ROCPRIM_400000_NS6detail17trampoline_kernelINS0_14default_configENS1_27scan_by_key_config_selectorIssEEZZNS1_16scan_by_key_implILNS1_25lookback_scan_determinismE0ELb1ES3_N6thrust23THRUST_200600_302600_NS6detail15normal_iteratorINS9_10device_ptrIsEEEESE_SE_sNS9_4plusIvEENS9_8equal_toIsEEsEE10hipError_tPvRmT2_T3_T4_T5_mT6_T7_P12ihipStream_tbENKUlT_T0_E_clISt17integral_constantIbLb0EESZ_EEDaSU_SV_EUlSU_E_NS1_11comp_targetILNS1_3genE4ELNS1_11target_archE910ELNS1_3gpuE8ELNS1_3repE0EEENS1_30default_config_static_selectorELNS0_4arch9wavefront6targetE1EEEvT1_,comdat
.Lfunc_end644:
	.size	_ZN7rocprim17ROCPRIM_400000_NS6detail17trampoline_kernelINS0_14default_configENS1_27scan_by_key_config_selectorIssEEZZNS1_16scan_by_key_implILNS1_25lookback_scan_determinismE0ELb1ES3_N6thrust23THRUST_200600_302600_NS6detail15normal_iteratorINS9_10device_ptrIsEEEESE_SE_sNS9_4plusIvEENS9_8equal_toIsEEsEE10hipError_tPvRmT2_T3_T4_T5_mT6_T7_P12ihipStream_tbENKUlT_T0_E_clISt17integral_constantIbLb0EESZ_EEDaSU_SV_EUlSU_E_NS1_11comp_targetILNS1_3genE4ELNS1_11target_archE910ELNS1_3gpuE8ELNS1_3repE0EEENS1_30default_config_static_selectorELNS0_4arch9wavefront6targetE1EEEvT1_, .Lfunc_end644-_ZN7rocprim17ROCPRIM_400000_NS6detail17trampoline_kernelINS0_14default_configENS1_27scan_by_key_config_selectorIssEEZZNS1_16scan_by_key_implILNS1_25lookback_scan_determinismE0ELb1ES3_N6thrust23THRUST_200600_302600_NS6detail15normal_iteratorINS9_10device_ptrIsEEEESE_SE_sNS9_4plusIvEENS9_8equal_toIsEEsEE10hipError_tPvRmT2_T3_T4_T5_mT6_T7_P12ihipStream_tbENKUlT_T0_E_clISt17integral_constantIbLb0EESZ_EEDaSU_SV_EUlSU_E_NS1_11comp_targetILNS1_3genE4ELNS1_11target_archE910ELNS1_3gpuE8ELNS1_3repE0EEENS1_30default_config_static_selectorELNS0_4arch9wavefront6targetE1EEEvT1_
                                        ; -- End function
	.section	.AMDGPU.csdata,"",@progbits
; Kernel info:
; codeLenInByte = 16200
; NumSgprs: 79
; NumVgprs: 58
; NumAgprs: 0
; TotalNumVgprs: 58
; ScratchSize: 0
; MemoryBound: 0
; FloatMode: 240
; IeeeMode: 1
; LDSByteSize: 12288 bytes/workgroup (compile time only)
; SGPRBlocks: 9
; VGPRBlocks: 7
; NumSGPRsForWavesPerEU: 79
; NumVGPRsForWavesPerEU: 58
; AccumOffset: 60
; Occupancy: 5
; WaveLimiterHint : 1
; COMPUTE_PGM_RSRC2:SCRATCH_EN: 0
; COMPUTE_PGM_RSRC2:USER_SGPR: 6
; COMPUTE_PGM_RSRC2:TRAP_HANDLER: 0
; COMPUTE_PGM_RSRC2:TGID_X_EN: 1
; COMPUTE_PGM_RSRC2:TGID_Y_EN: 0
; COMPUTE_PGM_RSRC2:TGID_Z_EN: 0
; COMPUTE_PGM_RSRC2:TIDIG_COMP_CNT: 0
; COMPUTE_PGM_RSRC3_GFX90A:ACCUM_OFFSET: 14
; COMPUTE_PGM_RSRC3_GFX90A:TG_SPLIT: 0
	.section	.text._ZN7rocprim17ROCPRIM_400000_NS6detail17trampoline_kernelINS0_14default_configENS1_27scan_by_key_config_selectorIssEEZZNS1_16scan_by_key_implILNS1_25lookback_scan_determinismE0ELb1ES3_N6thrust23THRUST_200600_302600_NS6detail15normal_iteratorINS9_10device_ptrIsEEEESE_SE_sNS9_4plusIvEENS9_8equal_toIsEEsEE10hipError_tPvRmT2_T3_T4_T5_mT6_T7_P12ihipStream_tbENKUlT_T0_E_clISt17integral_constantIbLb0EESZ_EEDaSU_SV_EUlSU_E_NS1_11comp_targetILNS1_3genE3ELNS1_11target_archE908ELNS1_3gpuE7ELNS1_3repE0EEENS1_30default_config_static_selectorELNS0_4arch9wavefront6targetE1EEEvT1_,"axG",@progbits,_ZN7rocprim17ROCPRIM_400000_NS6detail17trampoline_kernelINS0_14default_configENS1_27scan_by_key_config_selectorIssEEZZNS1_16scan_by_key_implILNS1_25lookback_scan_determinismE0ELb1ES3_N6thrust23THRUST_200600_302600_NS6detail15normal_iteratorINS9_10device_ptrIsEEEESE_SE_sNS9_4plusIvEENS9_8equal_toIsEEsEE10hipError_tPvRmT2_T3_T4_T5_mT6_T7_P12ihipStream_tbENKUlT_T0_E_clISt17integral_constantIbLb0EESZ_EEDaSU_SV_EUlSU_E_NS1_11comp_targetILNS1_3genE3ELNS1_11target_archE908ELNS1_3gpuE7ELNS1_3repE0EEENS1_30default_config_static_selectorELNS0_4arch9wavefront6targetE1EEEvT1_,comdat
	.protected	_ZN7rocprim17ROCPRIM_400000_NS6detail17trampoline_kernelINS0_14default_configENS1_27scan_by_key_config_selectorIssEEZZNS1_16scan_by_key_implILNS1_25lookback_scan_determinismE0ELb1ES3_N6thrust23THRUST_200600_302600_NS6detail15normal_iteratorINS9_10device_ptrIsEEEESE_SE_sNS9_4plusIvEENS9_8equal_toIsEEsEE10hipError_tPvRmT2_T3_T4_T5_mT6_T7_P12ihipStream_tbENKUlT_T0_E_clISt17integral_constantIbLb0EESZ_EEDaSU_SV_EUlSU_E_NS1_11comp_targetILNS1_3genE3ELNS1_11target_archE908ELNS1_3gpuE7ELNS1_3repE0EEENS1_30default_config_static_selectorELNS0_4arch9wavefront6targetE1EEEvT1_ ; -- Begin function _ZN7rocprim17ROCPRIM_400000_NS6detail17trampoline_kernelINS0_14default_configENS1_27scan_by_key_config_selectorIssEEZZNS1_16scan_by_key_implILNS1_25lookback_scan_determinismE0ELb1ES3_N6thrust23THRUST_200600_302600_NS6detail15normal_iteratorINS9_10device_ptrIsEEEESE_SE_sNS9_4plusIvEENS9_8equal_toIsEEsEE10hipError_tPvRmT2_T3_T4_T5_mT6_T7_P12ihipStream_tbENKUlT_T0_E_clISt17integral_constantIbLb0EESZ_EEDaSU_SV_EUlSU_E_NS1_11comp_targetILNS1_3genE3ELNS1_11target_archE908ELNS1_3gpuE7ELNS1_3repE0EEENS1_30default_config_static_selectorELNS0_4arch9wavefront6targetE1EEEvT1_
	.globl	_ZN7rocprim17ROCPRIM_400000_NS6detail17trampoline_kernelINS0_14default_configENS1_27scan_by_key_config_selectorIssEEZZNS1_16scan_by_key_implILNS1_25lookback_scan_determinismE0ELb1ES3_N6thrust23THRUST_200600_302600_NS6detail15normal_iteratorINS9_10device_ptrIsEEEESE_SE_sNS9_4plusIvEENS9_8equal_toIsEEsEE10hipError_tPvRmT2_T3_T4_T5_mT6_T7_P12ihipStream_tbENKUlT_T0_E_clISt17integral_constantIbLb0EESZ_EEDaSU_SV_EUlSU_E_NS1_11comp_targetILNS1_3genE3ELNS1_11target_archE908ELNS1_3gpuE7ELNS1_3repE0EEENS1_30default_config_static_selectorELNS0_4arch9wavefront6targetE1EEEvT1_
	.p2align	8
	.type	_ZN7rocprim17ROCPRIM_400000_NS6detail17trampoline_kernelINS0_14default_configENS1_27scan_by_key_config_selectorIssEEZZNS1_16scan_by_key_implILNS1_25lookback_scan_determinismE0ELb1ES3_N6thrust23THRUST_200600_302600_NS6detail15normal_iteratorINS9_10device_ptrIsEEEESE_SE_sNS9_4plusIvEENS9_8equal_toIsEEsEE10hipError_tPvRmT2_T3_T4_T5_mT6_T7_P12ihipStream_tbENKUlT_T0_E_clISt17integral_constantIbLb0EESZ_EEDaSU_SV_EUlSU_E_NS1_11comp_targetILNS1_3genE3ELNS1_11target_archE908ELNS1_3gpuE7ELNS1_3repE0EEENS1_30default_config_static_selectorELNS0_4arch9wavefront6targetE1EEEvT1_,@function
_ZN7rocprim17ROCPRIM_400000_NS6detail17trampoline_kernelINS0_14default_configENS1_27scan_by_key_config_selectorIssEEZZNS1_16scan_by_key_implILNS1_25lookback_scan_determinismE0ELb1ES3_N6thrust23THRUST_200600_302600_NS6detail15normal_iteratorINS9_10device_ptrIsEEEESE_SE_sNS9_4plusIvEENS9_8equal_toIsEEsEE10hipError_tPvRmT2_T3_T4_T5_mT6_T7_P12ihipStream_tbENKUlT_T0_E_clISt17integral_constantIbLb0EESZ_EEDaSU_SV_EUlSU_E_NS1_11comp_targetILNS1_3genE3ELNS1_11target_archE908ELNS1_3gpuE7ELNS1_3repE0EEENS1_30default_config_static_selectorELNS0_4arch9wavefront6targetE1EEEvT1_: ; @_ZN7rocprim17ROCPRIM_400000_NS6detail17trampoline_kernelINS0_14default_configENS1_27scan_by_key_config_selectorIssEEZZNS1_16scan_by_key_implILNS1_25lookback_scan_determinismE0ELb1ES3_N6thrust23THRUST_200600_302600_NS6detail15normal_iteratorINS9_10device_ptrIsEEEESE_SE_sNS9_4plusIvEENS9_8equal_toIsEEsEE10hipError_tPvRmT2_T3_T4_T5_mT6_T7_P12ihipStream_tbENKUlT_T0_E_clISt17integral_constantIbLb0EESZ_EEDaSU_SV_EUlSU_E_NS1_11comp_targetILNS1_3genE3ELNS1_11target_archE908ELNS1_3gpuE7ELNS1_3repE0EEENS1_30default_config_static_selectorELNS0_4arch9wavefront6targetE1EEEvT1_
; %bb.0:
	.section	.rodata,"a",@progbits
	.p2align	6, 0x0
	.amdhsa_kernel _ZN7rocprim17ROCPRIM_400000_NS6detail17trampoline_kernelINS0_14default_configENS1_27scan_by_key_config_selectorIssEEZZNS1_16scan_by_key_implILNS1_25lookback_scan_determinismE0ELb1ES3_N6thrust23THRUST_200600_302600_NS6detail15normal_iteratorINS9_10device_ptrIsEEEESE_SE_sNS9_4plusIvEENS9_8equal_toIsEEsEE10hipError_tPvRmT2_T3_T4_T5_mT6_T7_P12ihipStream_tbENKUlT_T0_E_clISt17integral_constantIbLb0EESZ_EEDaSU_SV_EUlSU_E_NS1_11comp_targetILNS1_3genE3ELNS1_11target_archE908ELNS1_3gpuE7ELNS1_3repE0EEENS1_30default_config_static_selectorELNS0_4arch9wavefront6targetE1EEEvT1_
		.amdhsa_group_segment_fixed_size 0
		.amdhsa_private_segment_fixed_size 0
		.amdhsa_kernarg_size 112
		.amdhsa_user_sgpr_count 6
		.amdhsa_user_sgpr_private_segment_buffer 1
		.amdhsa_user_sgpr_dispatch_ptr 0
		.amdhsa_user_sgpr_queue_ptr 0
		.amdhsa_user_sgpr_kernarg_segment_ptr 1
		.amdhsa_user_sgpr_dispatch_id 0
		.amdhsa_user_sgpr_flat_scratch_init 0
		.amdhsa_user_sgpr_kernarg_preload_length 0
		.amdhsa_user_sgpr_kernarg_preload_offset 0
		.amdhsa_user_sgpr_private_segment_size 0
		.amdhsa_uses_dynamic_stack 0
		.amdhsa_system_sgpr_private_segment_wavefront_offset 0
		.amdhsa_system_sgpr_workgroup_id_x 1
		.amdhsa_system_sgpr_workgroup_id_y 0
		.amdhsa_system_sgpr_workgroup_id_z 0
		.amdhsa_system_sgpr_workgroup_info 0
		.amdhsa_system_vgpr_workitem_id 0
		.amdhsa_next_free_vgpr 1
		.amdhsa_next_free_sgpr 0
		.amdhsa_accum_offset 4
		.amdhsa_reserve_vcc 0
		.amdhsa_reserve_flat_scratch 0
		.amdhsa_float_round_mode_32 0
		.amdhsa_float_round_mode_16_64 0
		.amdhsa_float_denorm_mode_32 3
		.amdhsa_float_denorm_mode_16_64 3
		.amdhsa_dx10_clamp 1
		.amdhsa_ieee_mode 1
		.amdhsa_fp16_overflow 0
		.amdhsa_tg_split 0
		.amdhsa_exception_fp_ieee_invalid_op 0
		.amdhsa_exception_fp_denorm_src 0
		.amdhsa_exception_fp_ieee_div_zero 0
		.amdhsa_exception_fp_ieee_overflow 0
		.amdhsa_exception_fp_ieee_underflow 0
		.amdhsa_exception_fp_ieee_inexact 0
		.amdhsa_exception_int_div_zero 0
	.end_amdhsa_kernel
	.section	.text._ZN7rocprim17ROCPRIM_400000_NS6detail17trampoline_kernelINS0_14default_configENS1_27scan_by_key_config_selectorIssEEZZNS1_16scan_by_key_implILNS1_25lookback_scan_determinismE0ELb1ES3_N6thrust23THRUST_200600_302600_NS6detail15normal_iteratorINS9_10device_ptrIsEEEESE_SE_sNS9_4plusIvEENS9_8equal_toIsEEsEE10hipError_tPvRmT2_T3_T4_T5_mT6_T7_P12ihipStream_tbENKUlT_T0_E_clISt17integral_constantIbLb0EESZ_EEDaSU_SV_EUlSU_E_NS1_11comp_targetILNS1_3genE3ELNS1_11target_archE908ELNS1_3gpuE7ELNS1_3repE0EEENS1_30default_config_static_selectorELNS0_4arch9wavefront6targetE1EEEvT1_,"axG",@progbits,_ZN7rocprim17ROCPRIM_400000_NS6detail17trampoline_kernelINS0_14default_configENS1_27scan_by_key_config_selectorIssEEZZNS1_16scan_by_key_implILNS1_25lookback_scan_determinismE0ELb1ES3_N6thrust23THRUST_200600_302600_NS6detail15normal_iteratorINS9_10device_ptrIsEEEESE_SE_sNS9_4plusIvEENS9_8equal_toIsEEsEE10hipError_tPvRmT2_T3_T4_T5_mT6_T7_P12ihipStream_tbENKUlT_T0_E_clISt17integral_constantIbLb0EESZ_EEDaSU_SV_EUlSU_E_NS1_11comp_targetILNS1_3genE3ELNS1_11target_archE908ELNS1_3gpuE7ELNS1_3repE0EEENS1_30default_config_static_selectorELNS0_4arch9wavefront6targetE1EEEvT1_,comdat
.Lfunc_end645:
	.size	_ZN7rocprim17ROCPRIM_400000_NS6detail17trampoline_kernelINS0_14default_configENS1_27scan_by_key_config_selectorIssEEZZNS1_16scan_by_key_implILNS1_25lookback_scan_determinismE0ELb1ES3_N6thrust23THRUST_200600_302600_NS6detail15normal_iteratorINS9_10device_ptrIsEEEESE_SE_sNS9_4plusIvEENS9_8equal_toIsEEsEE10hipError_tPvRmT2_T3_T4_T5_mT6_T7_P12ihipStream_tbENKUlT_T0_E_clISt17integral_constantIbLb0EESZ_EEDaSU_SV_EUlSU_E_NS1_11comp_targetILNS1_3genE3ELNS1_11target_archE908ELNS1_3gpuE7ELNS1_3repE0EEENS1_30default_config_static_selectorELNS0_4arch9wavefront6targetE1EEEvT1_, .Lfunc_end645-_ZN7rocprim17ROCPRIM_400000_NS6detail17trampoline_kernelINS0_14default_configENS1_27scan_by_key_config_selectorIssEEZZNS1_16scan_by_key_implILNS1_25lookback_scan_determinismE0ELb1ES3_N6thrust23THRUST_200600_302600_NS6detail15normal_iteratorINS9_10device_ptrIsEEEESE_SE_sNS9_4plusIvEENS9_8equal_toIsEEsEE10hipError_tPvRmT2_T3_T4_T5_mT6_T7_P12ihipStream_tbENKUlT_T0_E_clISt17integral_constantIbLb0EESZ_EEDaSU_SV_EUlSU_E_NS1_11comp_targetILNS1_3genE3ELNS1_11target_archE908ELNS1_3gpuE7ELNS1_3repE0EEENS1_30default_config_static_selectorELNS0_4arch9wavefront6targetE1EEEvT1_
                                        ; -- End function
	.section	.AMDGPU.csdata,"",@progbits
; Kernel info:
; codeLenInByte = 0
; NumSgprs: 4
; NumVgprs: 0
; NumAgprs: 0
; TotalNumVgprs: 0
; ScratchSize: 0
; MemoryBound: 0
; FloatMode: 240
; IeeeMode: 1
; LDSByteSize: 0 bytes/workgroup (compile time only)
; SGPRBlocks: 0
; VGPRBlocks: 0
; NumSGPRsForWavesPerEU: 4
; NumVGPRsForWavesPerEU: 1
; AccumOffset: 4
; Occupancy: 8
; WaveLimiterHint : 0
; COMPUTE_PGM_RSRC2:SCRATCH_EN: 0
; COMPUTE_PGM_RSRC2:USER_SGPR: 6
; COMPUTE_PGM_RSRC2:TRAP_HANDLER: 0
; COMPUTE_PGM_RSRC2:TGID_X_EN: 1
; COMPUTE_PGM_RSRC2:TGID_Y_EN: 0
; COMPUTE_PGM_RSRC2:TGID_Z_EN: 0
; COMPUTE_PGM_RSRC2:TIDIG_COMP_CNT: 0
; COMPUTE_PGM_RSRC3_GFX90A:ACCUM_OFFSET: 0
; COMPUTE_PGM_RSRC3_GFX90A:TG_SPLIT: 0
	.section	.text._ZN7rocprim17ROCPRIM_400000_NS6detail17trampoline_kernelINS0_14default_configENS1_27scan_by_key_config_selectorIssEEZZNS1_16scan_by_key_implILNS1_25lookback_scan_determinismE0ELb1ES3_N6thrust23THRUST_200600_302600_NS6detail15normal_iteratorINS9_10device_ptrIsEEEESE_SE_sNS9_4plusIvEENS9_8equal_toIsEEsEE10hipError_tPvRmT2_T3_T4_T5_mT6_T7_P12ihipStream_tbENKUlT_T0_E_clISt17integral_constantIbLb0EESZ_EEDaSU_SV_EUlSU_E_NS1_11comp_targetILNS1_3genE2ELNS1_11target_archE906ELNS1_3gpuE6ELNS1_3repE0EEENS1_30default_config_static_selectorELNS0_4arch9wavefront6targetE1EEEvT1_,"axG",@progbits,_ZN7rocprim17ROCPRIM_400000_NS6detail17trampoline_kernelINS0_14default_configENS1_27scan_by_key_config_selectorIssEEZZNS1_16scan_by_key_implILNS1_25lookback_scan_determinismE0ELb1ES3_N6thrust23THRUST_200600_302600_NS6detail15normal_iteratorINS9_10device_ptrIsEEEESE_SE_sNS9_4plusIvEENS9_8equal_toIsEEsEE10hipError_tPvRmT2_T3_T4_T5_mT6_T7_P12ihipStream_tbENKUlT_T0_E_clISt17integral_constantIbLb0EESZ_EEDaSU_SV_EUlSU_E_NS1_11comp_targetILNS1_3genE2ELNS1_11target_archE906ELNS1_3gpuE6ELNS1_3repE0EEENS1_30default_config_static_selectorELNS0_4arch9wavefront6targetE1EEEvT1_,comdat
	.protected	_ZN7rocprim17ROCPRIM_400000_NS6detail17trampoline_kernelINS0_14default_configENS1_27scan_by_key_config_selectorIssEEZZNS1_16scan_by_key_implILNS1_25lookback_scan_determinismE0ELb1ES3_N6thrust23THRUST_200600_302600_NS6detail15normal_iteratorINS9_10device_ptrIsEEEESE_SE_sNS9_4plusIvEENS9_8equal_toIsEEsEE10hipError_tPvRmT2_T3_T4_T5_mT6_T7_P12ihipStream_tbENKUlT_T0_E_clISt17integral_constantIbLb0EESZ_EEDaSU_SV_EUlSU_E_NS1_11comp_targetILNS1_3genE2ELNS1_11target_archE906ELNS1_3gpuE6ELNS1_3repE0EEENS1_30default_config_static_selectorELNS0_4arch9wavefront6targetE1EEEvT1_ ; -- Begin function _ZN7rocprim17ROCPRIM_400000_NS6detail17trampoline_kernelINS0_14default_configENS1_27scan_by_key_config_selectorIssEEZZNS1_16scan_by_key_implILNS1_25lookback_scan_determinismE0ELb1ES3_N6thrust23THRUST_200600_302600_NS6detail15normal_iteratorINS9_10device_ptrIsEEEESE_SE_sNS9_4plusIvEENS9_8equal_toIsEEsEE10hipError_tPvRmT2_T3_T4_T5_mT6_T7_P12ihipStream_tbENKUlT_T0_E_clISt17integral_constantIbLb0EESZ_EEDaSU_SV_EUlSU_E_NS1_11comp_targetILNS1_3genE2ELNS1_11target_archE906ELNS1_3gpuE6ELNS1_3repE0EEENS1_30default_config_static_selectorELNS0_4arch9wavefront6targetE1EEEvT1_
	.globl	_ZN7rocprim17ROCPRIM_400000_NS6detail17trampoline_kernelINS0_14default_configENS1_27scan_by_key_config_selectorIssEEZZNS1_16scan_by_key_implILNS1_25lookback_scan_determinismE0ELb1ES3_N6thrust23THRUST_200600_302600_NS6detail15normal_iteratorINS9_10device_ptrIsEEEESE_SE_sNS9_4plusIvEENS9_8equal_toIsEEsEE10hipError_tPvRmT2_T3_T4_T5_mT6_T7_P12ihipStream_tbENKUlT_T0_E_clISt17integral_constantIbLb0EESZ_EEDaSU_SV_EUlSU_E_NS1_11comp_targetILNS1_3genE2ELNS1_11target_archE906ELNS1_3gpuE6ELNS1_3repE0EEENS1_30default_config_static_selectorELNS0_4arch9wavefront6targetE1EEEvT1_
	.p2align	8
	.type	_ZN7rocprim17ROCPRIM_400000_NS6detail17trampoline_kernelINS0_14default_configENS1_27scan_by_key_config_selectorIssEEZZNS1_16scan_by_key_implILNS1_25lookback_scan_determinismE0ELb1ES3_N6thrust23THRUST_200600_302600_NS6detail15normal_iteratorINS9_10device_ptrIsEEEESE_SE_sNS9_4plusIvEENS9_8equal_toIsEEsEE10hipError_tPvRmT2_T3_T4_T5_mT6_T7_P12ihipStream_tbENKUlT_T0_E_clISt17integral_constantIbLb0EESZ_EEDaSU_SV_EUlSU_E_NS1_11comp_targetILNS1_3genE2ELNS1_11target_archE906ELNS1_3gpuE6ELNS1_3repE0EEENS1_30default_config_static_selectorELNS0_4arch9wavefront6targetE1EEEvT1_,@function
_ZN7rocprim17ROCPRIM_400000_NS6detail17trampoline_kernelINS0_14default_configENS1_27scan_by_key_config_selectorIssEEZZNS1_16scan_by_key_implILNS1_25lookback_scan_determinismE0ELb1ES3_N6thrust23THRUST_200600_302600_NS6detail15normal_iteratorINS9_10device_ptrIsEEEESE_SE_sNS9_4plusIvEENS9_8equal_toIsEEsEE10hipError_tPvRmT2_T3_T4_T5_mT6_T7_P12ihipStream_tbENKUlT_T0_E_clISt17integral_constantIbLb0EESZ_EEDaSU_SV_EUlSU_E_NS1_11comp_targetILNS1_3genE2ELNS1_11target_archE906ELNS1_3gpuE6ELNS1_3repE0EEENS1_30default_config_static_selectorELNS0_4arch9wavefront6targetE1EEEvT1_: ; @_ZN7rocprim17ROCPRIM_400000_NS6detail17trampoline_kernelINS0_14default_configENS1_27scan_by_key_config_selectorIssEEZZNS1_16scan_by_key_implILNS1_25lookback_scan_determinismE0ELb1ES3_N6thrust23THRUST_200600_302600_NS6detail15normal_iteratorINS9_10device_ptrIsEEEESE_SE_sNS9_4plusIvEENS9_8equal_toIsEEsEE10hipError_tPvRmT2_T3_T4_T5_mT6_T7_P12ihipStream_tbENKUlT_T0_E_clISt17integral_constantIbLb0EESZ_EEDaSU_SV_EUlSU_E_NS1_11comp_targetILNS1_3genE2ELNS1_11target_archE906ELNS1_3gpuE6ELNS1_3repE0EEENS1_30default_config_static_selectorELNS0_4arch9wavefront6targetE1EEEvT1_
; %bb.0:
	.section	.rodata,"a",@progbits
	.p2align	6, 0x0
	.amdhsa_kernel _ZN7rocprim17ROCPRIM_400000_NS6detail17trampoline_kernelINS0_14default_configENS1_27scan_by_key_config_selectorIssEEZZNS1_16scan_by_key_implILNS1_25lookback_scan_determinismE0ELb1ES3_N6thrust23THRUST_200600_302600_NS6detail15normal_iteratorINS9_10device_ptrIsEEEESE_SE_sNS9_4plusIvEENS9_8equal_toIsEEsEE10hipError_tPvRmT2_T3_T4_T5_mT6_T7_P12ihipStream_tbENKUlT_T0_E_clISt17integral_constantIbLb0EESZ_EEDaSU_SV_EUlSU_E_NS1_11comp_targetILNS1_3genE2ELNS1_11target_archE906ELNS1_3gpuE6ELNS1_3repE0EEENS1_30default_config_static_selectorELNS0_4arch9wavefront6targetE1EEEvT1_
		.amdhsa_group_segment_fixed_size 0
		.amdhsa_private_segment_fixed_size 0
		.amdhsa_kernarg_size 112
		.amdhsa_user_sgpr_count 6
		.amdhsa_user_sgpr_private_segment_buffer 1
		.amdhsa_user_sgpr_dispatch_ptr 0
		.amdhsa_user_sgpr_queue_ptr 0
		.amdhsa_user_sgpr_kernarg_segment_ptr 1
		.amdhsa_user_sgpr_dispatch_id 0
		.amdhsa_user_sgpr_flat_scratch_init 0
		.amdhsa_user_sgpr_kernarg_preload_length 0
		.amdhsa_user_sgpr_kernarg_preload_offset 0
		.amdhsa_user_sgpr_private_segment_size 0
		.amdhsa_uses_dynamic_stack 0
		.amdhsa_system_sgpr_private_segment_wavefront_offset 0
		.amdhsa_system_sgpr_workgroup_id_x 1
		.amdhsa_system_sgpr_workgroup_id_y 0
		.amdhsa_system_sgpr_workgroup_id_z 0
		.amdhsa_system_sgpr_workgroup_info 0
		.amdhsa_system_vgpr_workitem_id 0
		.amdhsa_next_free_vgpr 1
		.amdhsa_next_free_sgpr 0
		.amdhsa_accum_offset 4
		.amdhsa_reserve_vcc 0
		.amdhsa_reserve_flat_scratch 0
		.amdhsa_float_round_mode_32 0
		.amdhsa_float_round_mode_16_64 0
		.amdhsa_float_denorm_mode_32 3
		.amdhsa_float_denorm_mode_16_64 3
		.amdhsa_dx10_clamp 1
		.amdhsa_ieee_mode 1
		.amdhsa_fp16_overflow 0
		.amdhsa_tg_split 0
		.amdhsa_exception_fp_ieee_invalid_op 0
		.amdhsa_exception_fp_denorm_src 0
		.amdhsa_exception_fp_ieee_div_zero 0
		.amdhsa_exception_fp_ieee_overflow 0
		.amdhsa_exception_fp_ieee_underflow 0
		.amdhsa_exception_fp_ieee_inexact 0
		.amdhsa_exception_int_div_zero 0
	.end_amdhsa_kernel
	.section	.text._ZN7rocprim17ROCPRIM_400000_NS6detail17trampoline_kernelINS0_14default_configENS1_27scan_by_key_config_selectorIssEEZZNS1_16scan_by_key_implILNS1_25lookback_scan_determinismE0ELb1ES3_N6thrust23THRUST_200600_302600_NS6detail15normal_iteratorINS9_10device_ptrIsEEEESE_SE_sNS9_4plusIvEENS9_8equal_toIsEEsEE10hipError_tPvRmT2_T3_T4_T5_mT6_T7_P12ihipStream_tbENKUlT_T0_E_clISt17integral_constantIbLb0EESZ_EEDaSU_SV_EUlSU_E_NS1_11comp_targetILNS1_3genE2ELNS1_11target_archE906ELNS1_3gpuE6ELNS1_3repE0EEENS1_30default_config_static_selectorELNS0_4arch9wavefront6targetE1EEEvT1_,"axG",@progbits,_ZN7rocprim17ROCPRIM_400000_NS6detail17trampoline_kernelINS0_14default_configENS1_27scan_by_key_config_selectorIssEEZZNS1_16scan_by_key_implILNS1_25lookback_scan_determinismE0ELb1ES3_N6thrust23THRUST_200600_302600_NS6detail15normal_iteratorINS9_10device_ptrIsEEEESE_SE_sNS9_4plusIvEENS9_8equal_toIsEEsEE10hipError_tPvRmT2_T3_T4_T5_mT6_T7_P12ihipStream_tbENKUlT_T0_E_clISt17integral_constantIbLb0EESZ_EEDaSU_SV_EUlSU_E_NS1_11comp_targetILNS1_3genE2ELNS1_11target_archE906ELNS1_3gpuE6ELNS1_3repE0EEENS1_30default_config_static_selectorELNS0_4arch9wavefront6targetE1EEEvT1_,comdat
.Lfunc_end646:
	.size	_ZN7rocprim17ROCPRIM_400000_NS6detail17trampoline_kernelINS0_14default_configENS1_27scan_by_key_config_selectorIssEEZZNS1_16scan_by_key_implILNS1_25lookback_scan_determinismE0ELb1ES3_N6thrust23THRUST_200600_302600_NS6detail15normal_iteratorINS9_10device_ptrIsEEEESE_SE_sNS9_4plusIvEENS9_8equal_toIsEEsEE10hipError_tPvRmT2_T3_T4_T5_mT6_T7_P12ihipStream_tbENKUlT_T0_E_clISt17integral_constantIbLb0EESZ_EEDaSU_SV_EUlSU_E_NS1_11comp_targetILNS1_3genE2ELNS1_11target_archE906ELNS1_3gpuE6ELNS1_3repE0EEENS1_30default_config_static_selectorELNS0_4arch9wavefront6targetE1EEEvT1_, .Lfunc_end646-_ZN7rocprim17ROCPRIM_400000_NS6detail17trampoline_kernelINS0_14default_configENS1_27scan_by_key_config_selectorIssEEZZNS1_16scan_by_key_implILNS1_25lookback_scan_determinismE0ELb1ES3_N6thrust23THRUST_200600_302600_NS6detail15normal_iteratorINS9_10device_ptrIsEEEESE_SE_sNS9_4plusIvEENS9_8equal_toIsEEsEE10hipError_tPvRmT2_T3_T4_T5_mT6_T7_P12ihipStream_tbENKUlT_T0_E_clISt17integral_constantIbLb0EESZ_EEDaSU_SV_EUlSU_E_NS1_11comp_targetILNS1_3genE2ELNS1_11target_archE906ELNS1_3gpuE6ELNS1_3repE0EEENS1_30default_config_static_selectorELNS0_4arch9wavefront6targetE1EEEvT1_
                                        ; -- End function
	.section	.AMDGPU.csdata,"",@progbits
; Kernel info:
; codeLenInByte = 0
; NumSgprs: 4
; NumVgprs: 0
; NumAgprs: 0
; TotalNumVgprs: 0
; ScratchSize: 0
; MemoryBound: 0
; FloatMode: 240
; IeeeMode: 1
; LDSByteSize: 0 bytes/workgroup (compile time only)
; SGPRBlocks: 0
; VGPRBlocks: 0
; NumSGPRsForWavesPerEU: 4
; NumVGPRsForWavesPerEU: 1
; AccumOffset: 4
; Occupancy: 8
; WaveLimiterHint : 0
; COMPUTE_PGM_RSRC2:SCRATCH_EN: 0
; COMPUTE_PGM_RSRC2:USER_SGPR: 6
; COMPUTE_PGM_RSRC2:TRAP_HANDLER: 0
; COMPUTE_PGM_RSRC2:TGID_X_EN: 1
; COMPUTE_PGM_RSRC2:TGID_Y_EN: 0
; COMPUTE_PGM_RSRC2:TGID_Z_EN: 0
; COMPUTE_PGM_RSRC2:TIDIG_COMP_CNT: 0
; COMPUTE_PGM_RSRC3_GFX90A:ACCUM_OFFSET: 0
; COMPUTE_PGM_RSRC3_GFX90A:TG_SPLIT: 0
	.section	.text._ZN7rocprim17ROCPRIM_400000_NS6detail17trampoline_kernelINS0_14default_configENS1_27scan_by_key_config_selectorIssEEZZNS1_16scan_by_key_implILNS1_25lookback_scan_determinismE0ELb1ES3_N6thrust23THRUST_200600_302600_NS6detail15normal_iteratorINS9_10device_ptrIsEEEESE_SE_sNS9_4plusIvEENS9_8equal_toIsEEsEE10hipError_tPvRmT2_T3_T4_T5_mT6_T7_P12ihipStream_tbENKUlT_T0_E_clISt17integral_constantIbLb0EESZ_EEDaSU_SV_EUlSU_E_NS1_11comp_targetILNS1_3genE10ELNS1_11target_archE1200ELNS1_3gpuE4ELNS1_3repE0EEENS1_30default_config_static_selectorELNS0_4arch9wavefront6targetE1EEEvT1_,"axG",@progbits,_ZN7rocprim17ROCPRIM_400000_NS6detail17trampoline_kernelINS0_14default_configENS1_27scan_by_key_config_selectorIssEEZZNS1_16scan_by_key_implILNS1_25lookback_scan_determinismE0ELb1ES3_N6thrust23THRUST_200600_302600_NS6detail15normal_iteratorINS9_10device_ptrIsEEEESE_SE_sNS9_4plusIvEENS9_8equal_toIsEEsEE10hipError_tPvRmT2_T3_T4_T5_mT6_T7_P12ihipStream_tbENKUlT_T0_E_clISt17integral_constantIbLb0EESZ_EEDaSU_SV_EUlSU_E_NS1_11comp_targetILNS1_3genE10ELNS1_11target_archE1200ELNS1_3gpuE4ELNS1_3repE0EEENS1_30default_config_static_selectorELNS0_4arch9wavefront6targetE1EEEvT1_,comdat
	.protected	_ZN7rocprim17ROCPRIM_400000_NS6detail17trampoline_kernelINS0_14default_configENS1_27scan_by_key_config_selectorIssEEZZNS1_16scan_by_key_implILNS1_25lookback_scan_determinismE0ELb1ES3_N6thrust23THRUST_200600_302600_NS6detail15normal_iteratorINS9_10device_ptrIsEEEESE_SE_sNS9_4plusIvEENS9_8equal_toIsEEsEE10hipError_tPvRmT2_T3_T4_T5_mT6_T7_P12ihipStream_tbENKUlT_T0_E_clISt17integral_constantIbLb0EESZ_EEDaSU_SV_EUlSU_E_NS1_11comp_targetILNS1_3genE10ELNS1_11target_archE1200ELNS1_3gpuE4ELNS1_3repE0EEENS1_30default_config_static_selectorELNS0_4arch9wavefront6targetE1EEEvT1_ ; -- Begin function _ZN7rocprim17ROCPRIM_400000_NS6detail17trampoline_kernelINS0_14default_configENS1_27scan_by_key_config_selectorIssEEZZNS1_16scan_by_key_implILNS1_25lookback_scan_determinismE0ELb1ES3_N6thrust23THRUST_200600_302600_NS6detail15normal_iteratorINS9_10device_ptrIsEEEESE_SE_sNS9_4plusIvEENS9_8equal_toIsEEsEE10hipError_tPvRmT2_T3_T4_T5_mT6_T7_P12ihipStream_tbENKUlT_T0_E_clISt17integral_constantIbLb0EESZ_EEDaSU_SV_EUlSU_E_NS1_11comp_targetILNS1_3genE10ELNS1_11target_archE1200ELNS1_3gpuE4ELNS1_3repE0EEENS1_30default_config_static_selectorELNS0_4arch9wavefront6targetE1EEEvT1_
	.globl	_ZN7rocprim17ROCPRIM_400000_NS6detail17trampoline_kernelINS0_14default_configENS1_27scan_by_key_config_selectorIssEEZZNS1_16scan_by_key_implILNS1_25lookback_scan_determinismE0ELb1ES3_N6thrust23THRUST_200600_302600_NS6detail15normal_iteratorINS9_10device_ptrIsEEEESE_SE_sNS9_4plusIvEENS9_8equal_toIsEEsEE10hipError_tPvRmT2_T3_T4_T5_mT6_T7_P12ihipStream_tbENKUlT_T0_E_clISt17integral_constantIbLb0EESZ_EEDaSU_SV_EUlSU_E_NS1_11comp_targetILNS1_3genE10ELNS1_11target_archE1200ELNS1_3gpuE4ELNS1_3repE0EEENS1_30default_config_static_selectorELNS0_4arch9wavefront6targetE1EEEvT1_
	.p2align	8
	.type	_ZN7rocprim17ROCPRIM_400000_NS6detail17trampoline_kernelINS0_14default_configENS1_27scan_by_key_config_selectorIssEEZZNS1_16scan_by_key_implILNS1_25lookback_scan_determinismE0ELb1ES3_N6thrust23THRUST_200600_302600_NS6detail15normal_iteratorINS9_10device_ptrIsEEEESE_SE_sNS9_4plusIvEENS9_8equal_toIsEEsEE10hipError_tPvRmT2_T3_T4_T5_mT6_T7_P12ihipStream_tbENKUlT_T0_E_clISt17integral_constantIbLb0EESZ_EEDaSU_SV_EUlSU_E_NS1_11comp_targetILNS1_3genE10ELNS1_11target_archE1200ELNS1_3gpuE4ELNS1_3repE0EEENS1_30default_config_static_selectorELNS0_4arch9wavefront6targetE1EEEvT1_,@function
_ZN7rocprim17ROCPRIM_400000_NS6detail17trampoline_kernelINS0_14default_configENS1_27scan_by_key_config_selectorIssEEZZNS1_16scan_by_key_implILNS1_25lookback_scan_determinismE0ELb1ES3_N6thrust23THRUST_200600_302600_NS6detail15normal_iteratorINS9_10device_ptrIsEEEESE_SE_sNS9_4plusIvEENS9_8equal_toIsEEsEE10hipError_tPvRmT2_T3_T4_T5_mT6_T7_P12ihipStream_tbENKUlT_T0_E_clISt17integral_constantIbLb0EESZ_EEDaSU_SV_EUlSU_E_NS1_11comp_targetILNS1_3genE10ELNS1_11target_archE1200ELNS1_3gpuE4ELNS1_3repE0EEENS1_30default_config_static_selectorELNS0_4arch9wavefront6targetE1EEEvT1_: ; @_ZN7rocprim17ROCPRIM_400000_NS6detail17trampoline_kernelINS0_14default_configENS1_27scan_by_key_config_selectorIssEEZZNS1_16scan_by_key_implILNS1_25lookback_scan_determinismE0ELb1ES3_N6thrust23THRUST_200600_302600_NS6detail15normal_iteratorINS9_10device_ptrIsEEEESE_SE_sNS9_4plusIvEENS9_8equal_toIsEEsEE10hipError_tPvRmT2_T3_T4_T5_mT6_T7_P12ihipStream_tbENKUlT_T0_E_clISt17integral_constantIbLb0EESZ_EEDaSU_SV_EUlSU_E_NS1_11comp_targetILNS1_3genE10ELNS1_11target_archE1200ELNS1_3gpuE4ELNS1_3repE0EEENS1_30default_config_static_selectorELNS0_4arch9wavefront6targetE1EEEvT1_
; %bb.0:
	.section	.rodata,"a",@progbits
	.p2align	6, 0x0
	.amdhsa_kernel _ZN7rocprim17ROCPRIM_400000_NS6detail17trampoline_kernelINS0_14default_configENS1_27scan_by_key_config_selectorIssEEZZNS1_16scan_by_key_implILNS1_25lookback_scan_determinismE0ELb1ES3_N6thrust23THRUST_200600_302600_NS6detail15normal_iteratorINS9_10device_ptrIsEEEESE_SE_sNS9_4plusIvEENS9_8equal_toIsEEsEE10hipError_tPvRmT2_T3_T4_T5_mT6_T7_P12ihipStream_tbENKUlT_T0_E_clISt17integral_constantIbLb0EESZ_EEDaSU_SV_EUlSU_E_NS1_11comp_targetILNS1_3genE10ELNS1_11target_archE1200ELNS1_3gpuE4ELNS1_3repE0EEENS1_30default_config_static_selectorELNS0_4arch9wavefront6targetE1EEEvT1_
		.amdhsa_group_segment_fixed_size 0
		.amdhsa_private_segment_fixed_size 0
		.amdhsa_kernarg_size 112
		.amdhsa_user_sgpr_count 6
		.amdhsa_user_sgpr_private_segment_buffer 1
		.amdhsa_user_sgpr_dispatch_ptr 0
		.amdhsa_user_sgpr_queue_ptr 0
		.amdhsa_user_sgpr_kernarg_segment_ptr 1
		.amdhsa_user_sgpr_dispatch_id 0
		.amdhsa_user_sgpr_flat_scratch_init 0
		.amdhsa_user_sgpr_kernarg_preload_length 0
		.amdhsa_user_sgpr_kernarg_preload_offset 0
		.amdhsa_user_sgpr_private_segment_size 0
		.amdhsa_uses_dynamic_stack 0
		.amdhsa_system_sgpr_private_segment_wavefront_offset 0
		.amdhsa_system_sgpr_workgroup_id_x 1
		.amdhsa_system_sgpr_workgroup_id_y 0
		.amdhsa_system_sgpr_workgroup_id_z 0
		.amdhsa_system_sgpr_workgroup_info 0
		.amdhsa_system_vgpr_workitem_id 0
		.amdhsa_next_free_vgpr 1
		.amdhsa_next_free_sgpr 0
		.amdhsa_accum_offset 4
		.amdhsa_reserve_vcc 0
		.amdhsa_reserve_flat_scratch 0
		.amdhsa_float_round_mode_32 0
		.amdhsa_float_round_mode_16_64 0
		.amdhsa_float_denorm_mode_32 3
		.amdhsa_float_denorm_mode_16_64 3
		.amdhsa_dx10_clamp 1
		.amdhsa_ieee_mode 1
		.amdhsa_fp16_overflow 0
		.amdhsa_tg_split 0
		.amdhsa_exception_fp_ieee_invalid_op 0
		.amdhsa_exception_fp_denorm_src 0
		.amdhsa_exception_fp_ieee_div_zero 0
		.amdhsa_exception_fp_ieee_overflow 0
		.amdhsa_exception_fp_ieee_underflow 0
		.amdhsa_exception_fp_ieee_inexact 0
		.amdhsa_exception_int_div_zero 0
	.end_amdhsa_kernel
	.section	.text._ZN7rocprim17ROCPRIM_400000_NS6detail17trampoline_kernelINS0_14default_configENS1_27scan_by_key_config_selectorIssEEZZNS1_16scan_by_key_implILNS1_25lookback_scan_determinismE0ELb1ES3_N6thrust23THRUST_200600_302600_NS6detail15normal_iteratorINS9_10device_ptrIsEEEESE_SE_sNS9_4plusIvEENS9_8equal_toIsEEsEE10hipError_tPvRmT2_T3_T4_T5_mT6_T7_P12ihipStream_tbENKUlT_T0_E_clISt17integral_constantIbLb0EESZ_EEDaSU_SV_EUlSU_E_NS1_11comp_targetILNS1_3genE10ELNS1_11target_archE1200ELNS1_3gpuE4ELNS1_3repE0EEENS1_30default_config_static_selectorELNS0_4arch9wavefront6targetE1EEEvT1_,"axG",@progbits,_ZN7rocprim17ROCPRIM_400000_NS6detail17trampoline_kernelINS0_14default_configENS1_27scan_by_key_config_selectorIssEEZZNS1_16scan_by_key_implILNS1_25lookback_scan_determinismE0ELb1ES3_N6thrust23THRUST_200600_302600_NS6detail15normal_iteratorINS9_10device_ptrIsEEEESE_SE_sNS9_4plusIvEENS9_8equal_toIsEEsEE10hipError_tPvRmT2_T3_T4_T5_mT6_T7_P12ihipStream_tbENKUlT_T0_E_clISt17integral_constantIbLb0EESZ_EEDaSU_SV_EUlSU_E_NS1_11comp_targetILNS1_3genE10ELNS1_11target_archE1200ELNS1_3gpuE4ELNS1_3repE0EEENS1_30default_config_static_selectorELNS0_4arch9wavefront6targetE1EEEvT1_,comdat
.Lfunc_end647:
	.size	_ZN7rocprim17ROCPRIM_400000_NS6detail17trampoline_kernelINS0_14default_configENS1_27scan_by_key_config_selectorIssEEZZNS1_16scan_by_key_implILNS1_25lookback_scan_determinismE0ELb1ES3_N6thrust23THRUST_200600_302600_NS6detail15normal_iteratorINS9_10device_ptrIsEEEESE_SE_sNS9_4plusIvEENS9_8equal_toIsEEsEE10hipError_tPvRmT2_T3_T4_T5_mT6_T7_P12ihipStream_tbENKUlT_T0_E_clISt17integral_constantIbLb0EESZ_EEDaSU_SV_EUlSU_E_NS1_11comp_targetILNS1_3genE10ELNS1_11target_archE1200ELNS1_3gpuE4ELNS1_3repE0EEENS1_30default_config_static_selectorELNS0_4arch9wavefront6targetE1EEEvT1_, .Lfunc_end647-_ZN7rocprim17ROCPRIM_400000_NS6detail17trampoline_kernelINS0_14default_configENS1_27scan_by_key_config_selectorIssEEZZNS1_16scan_by_key_implILNS1_25lookback_scan_determinismE0ELb1ES3_N6thrust23THRUST_200600_302600_NS6detail15normal_iteratorINS9_10device_ptrIsEEEESE_SE_sNS9_4plusIvEENS9_8equal_toIsEEsEE10hipError_tPvRmT2_T3_T4_T5_mT6_T7_P12ihipStream_tbENKUlT_T0_E_clISt17integral_constantIbLb0EESZ_EEDaSU_SV_EUlSU_E_NS1_11comp_targetILNS1_3genE10ELNS1_11target_archE1200ELNS1_3gpuE4ELNS1_3repE0EEENS1_30default_config_static_selectorELNS0_4arch9wavefront6targetE1EEEvT1_
                                        ; -- End function
	.section	.AMDGPU.csdata,"",@progbits
; Kernel info:
; codeLenInByte = 0
; NumSgprs: 4
; NumVgprs: 0
; NumAgprs: 0
; TotalNumVgprs: 0
; ScratchSize: 0
; MemoryBound: 0
; FloatMode: 240
; IeeeMode: 1
; LDSByteSize: 0 bytes/workgroup (compile time only)
; SGPRBlocks: 0
; VGPRBlocks: 0
; NumSGPRsForWavesPerEU: 4
; NumVGPRsForWavesPerEU: 1
; AccumOffset: 4
; Occupancy: 8
; WaveLimiterHint : 0
; COMPUTE_PGM_RSRC2:SCRATCH_EN: 0
; COMPUTE_PGM_RSRC2:USER_SGPR: 6
; COMPUTE_PGM_RSRC2:TRAP_HANDLER: 0
; COMPUTE_PGM_RSRC2:TGID_X_EN: 1
; COMPUTE_PGM_RSRC2:TGID_Y_EN: 0
; COMPUTE_PGM_RSRC2:TGID_Z_EN: 0
; COMPUTE_PGM_RSRC2:TIDIG_COMP_CNT: 0
; COMPUTE_PGM_RSRC3_GFX90A:ACCUM_OFFSET: 0
; COMPUTE_PGM_RSRC3_GFX90A:TG_SPLIT: 0
	.section	.text._ZN7rocprim17ROCPRIM_400000_NS6detail17trampoline_kernelINS0_14default_configENS1_27scan_by_key_config_selectorIssEEZZNS1_16scan_by_key_implILNS1_25lookback_scan_determinismE0ELb1ES3_N6thrust23THRUST_200600_302600_NS6detail15normal_iteratorINS9_10device_ptrIsEEEESE_SE_sNS9_4plusIvEENS9_8equal_toIsEEsEE10hipError_tPvRmT2_T3_T4_T5_mT6_T7_P12ihipStream_tbENKUlT_T0_E_clISt17integral_constantIbLb0EESZ_EEDaSU_SV_EUlSU_E_NS1_11comp_targetILNS1_3genE9ELNS1_11target_archE1100ELNS1_3gpuE3ELNS1_3repE0EEENS1_30default_config_static_selectorELNS0_4arch9wavefront6targetE1EEEvT1_,"axG",@progbits,_ZN7rocprim17ROCPRIM_400000_NS6detail17trampoline_kernelINS0_14default_configENS1_27scan_by_key_config_selectorIssEEZZNS1_16scan_by_key_implILNS1_25lookback_scan_determinismE0ELb1ES3_N6thrust23THRUST_200600_302600_NS6detail15normal_iteratorINS9_10device_ptrIsEEEESE_SE_sNS9_4plusIvEENS9_8equal_toIsEEsEE10hipError_tPvRmT2_T3_T4_T5_mT6_T7_P12ihipStream_tbENKUlT_T0_E_clISt17integral_constantIbLb0EESZ_EEDaSU_SV_EUlSU_E_NS1_11comp_targetILNS1_3genE9ELNS1_11target_archE1100ELNS1_3gpuE3ELNS1_3repE0EEENS1_30default_config_static_selectorELNS0_4arch9wavefront6targetE1EEEvT1_,comdat
	.protected	_ZN7rocprim17ROCPRIM_400000_NS6detail17trampoline_kernelINS0_14default_configENS1_27scan_by_key_config_selectorIssEEZZNS1_16scan_by_key_implILNS1_25lookback_scan_determinismE0ELb1ES3_N6thrust23THRUST_200600_302600_NS6detail15normal_iteratorINS9_10device_ptrIsEEEESE_SE_sNS9_4plusIvEENS9_8equal_toIsEEsEE10hipError_tPvRmT2_T3_T4_T5_mT6_T7_P12ihipStream_tbENKUlT_T0_E_clISt17integral_constantIbLb0EESZ_EEDaSU_SV_EUlSU_E_NS1_11comp_targetILNS1_3genE9ELNS1_11target_archE1100ELNS1_3gpuE3ELNS1_3repE0EEENS1_30default_config_static_selectorELNS0_4arch9wavefront6targetE1EEEvT1_ ; -- Begin function _ZN7rocprim17ROCPRIM_400000_NS6detail17trampoline_kernelINS0_14default_configENS1_27scan_by_key_config_selectorIssEEZZNS1_16scan_by_key_implILNS1_25lookback_scan_determinismE0ELb1ES3_N6thrust23THRUST_200600_302600_NS6detail15normal_iteratorINS9_10device_ptrIsEEEESE_SE_sNS9_4plusIvEENS9_8equal_toIsEEsEE10hipError_tPvRmT2_T3_T4_T5_mT6_T7_P12ihipStream_tbENKUlT_T0_E_clISt17integral_constantIbLb0EESZ_EEDaSU_SV_EUlSU_E_NS1_11comp_targetILNS1_3genE9ELNS1_11target_archE1100ELNS1_3gpuE3ELNS1_3repE0EEENS1_30default_config_static_selectorELNS0_4arch9wavefront6targetE1EEEvT1_
	.globl	_ZN7rocprim17ROCPRIM_400000_NS6detail17trampoline_kernelINS0_14default_configENS1_27scan_by_key_config_selectorIssEEZZNS1_16scan_by_key_implILNS1_25lookback_scan_determinismE0ELb1ES3_N6thrust23THRUST_200600_302600_NS6detail15normal_iteratorINS9_10device_ptrIsEEEESE_SE_sNS9_4plusIvEENS9_8equal_toIsEEsEE10hipError_tPvRmT2_T3_T4_T5_mT6_T7_P12ihipStream_tbENKUlT_T0_E_clISt17integral_constantIbLb0EESZ_EEDaSU_SV_EUlSU_E_NS1_11comp_targetILNS1_3genE9ELNS1_11target_archE1100ELNS1_3gpuE3ELNS1_3repE0EEENS1_30default_config_static_selectorELNS0_4arch9wavefront6targetE1EEEvT1_
	.p2align	8
	.type	_ZN7rocprim17ROCPRIM_400000_NS6detail17trampoline_kernelINS0_14default_configENS1_27scan_by_key_config_selectorIssEEZZNS1_16scan_by_key_implILNS1_25lookback_scan_determinismE0ELb1ES3_N6thrust23THRUST_200600_302600_NS6detail15normal_iteratorINS9_10device_ptrIsEEEESE_SE_sNS9_4plusIvEENS9_8equal_toIsEEsEE10hipError_tPvRmT2_T3_T4_T5_mT6_T7_P12ihipStream_tbENKUlT_T0_E_clISt17integral_constantIbLb0EESZ_EEDaSU_SV_EUlSU_E_NS1_11comp_targetILNS1_3genE9ELNS1_11target_archE1100ELNS1_3gpuE3ELNS1_3repE0EEENS1_30default_config_static_selectorELNS0_4arch9wavefront6targetE1EEEvT1_,@function
_ZN7rocprim17ROCPRIM_400000_NS6detail17trampoline_kernelINS0_14default_configENS1_27scan_by_key_config_selectorIssEEZZNS1_16scan_by_key_implILNS1_25lookback_scan_determinismE0ELb1ES3_N6thrust23THRUST_200600_302600_NS6detail15normal_iteratorINS9_10device_ptrIsEEEESE_SE_sNS9_4plusIvEENS9_8equal_toIsEEsEE10hipError_tPvRmT2_T3_T4_T5_mT6_T7_P12ihipStream_tbENKUlT_T0_E_clISt17integral_constantIbLb0EESZ_EEDaSU_SV_EUlSU_E_NS1_11comp_targetILNS1_3genE9ELNS1_11target_archE1100ELNS1_3gpuE3ELNS1_3repE0EEENS1_30default_config_static_selectorELNS0_4arch9wavefront6targetE1EEEvT1_: ; @_ZN7rocprim17ROCPRIM_400000_NS6detail17trampoline_kernelINS0_14default_configENS1_27scan_by_key_config_selectorIssEEZZNS1_16scan_by_key_implILNS1_25lookback_scan_determinismE0ELb1ES3_N6thrust23THRUST_200600_302600_NS6detail15normal_iteratorINS9_10device_ptrIsEEEESE_SE_sNS9_4plusIvEENS9_8equal_toIsEEsEE10hipError_tPvRmT2_T3_T4_T5_mT6_T7_P12ihipStream_tbENKUlT_T0_E_clISt17integral_constantIbLb0EESZ_EEDaSU_SV_EUlSU_E_NS1_11comp_targetILNS1_3genE9ELNS1_11target_archE1100ELNS1_3gpuE3ELNS1_3repE0EEENS1_30default_config_static_selectorELNS0_4arch9wavefront6targetE1EEEvT1_
; %bb.0:
	.section	.rodata,"a",@progbits
	.p2align	6, 0x0
	.amdhsa_kernel _ZN7rocprim17ROCPRIM_400000_NS6detail17trampoline_kernelINS0_14default_configENS1_27scan_by_key_config_selectorIssEEZZNS1_16scan_by_key_implILNS1_25lookback_scan_determinismE0ELb1ES3_N6thrust23THRUST_200600_302600_NS6detail15normal_iteratorINS9_10device_ptrIsEEEESE_SE_sNS9_4plusIvEENS9_8equal_toIsEEsEE10hipError_tPvRmT2_T3_T4_T5_mT6_T7_P12ihipStream_tbENKUlT_T0_E_clISt17integral_constantIbLb0EESZ_EEDaSU_SV_EUlSU_E_NS1_11comp_targetILNS1_3genE9ELNS1_11target_archE1100ELNS1_3gpuE3ELNS1_3repE0EEENS1_30default_config_static_selectorELNS0_4arch9wavefront6targetE1EEEvT1_
		.amdhsa_group_segment_fixed_size 0
		.amdhsa_private_segment_fixed_size 0
		.amdhsa_kernarg_size 112
		.amdhsa_user_sgpr_count 6
		.amdhsa_user_sgpr_private_segment_buffer 1
		.amdhsa_user_sgpr_dispatch_ptr 0
		.amdhsa_user_sgpr_queue_ptr 0
		.amdhsa_user_sgpr_kernarg_segment_ptr 1
		.amdhsa_user_sgpr_dispatch_id 0
		.amdhsa_user_sgpr_flat_scratch_init 0
		.amdhsa_user_sgpr_kernarg_preload_length 0
		.amdhsa_user_sgpr_kernarg_preload_offset 0
		.amdhsa_user_sgpr_private_segment_size 0
		.amdhsa_uses_dynamic_stack 0
		.amdhsa_system_sgpr_private_segment_wavefront_offset 0
		.amdhsa_system_sgpr_workgroup_id_x 1
		.amdhsa_system_sgpr_workgroup_id_y 0
		.amdhsa_system_sgpr_workgroup_id_z 0
		.amdhsa_system_sgpr_workgroup_info 0
		.amdhsa_system_vgpr_workitem_id 0
		.amdhsa_next_free_vgpr 1
		.amdhsa_next_free_sgpr 0
		.amdhsa_accum_offset 4
		.amdhsa_reserve_vcc 0
		.amdhsa_reserve_flat_scratch 0
		.amdhsa_float_round_mode_32 0
		.amdhsa_float_round_mode_16_64 0
		.amdhsa_float_denorm_mode_32 3
		.amdhsa_float_denorm_mode_16_64 3
		.amdhsa_dx10_clamp 1
		.amdhsa_ieee_mode 1
		.amdhsa_fp16_overflow 0
		.amdhsa_tg_split 0
		.amdhsa_exception_fp_ieee_invalid_op 0
		.amdhsa_exception_fp_denorm_src 0
		.amdhsa_exception_fp_ieee_div_zero 0
		.amdhsa_exception_fp_ieee_overflow 0
		.amdhsa_exception_fp_ieee_underflow 0
		.amdhsa_exception_fp_ieee_inexact 0
		.amdhsa_exception_int_div_zero 0
	.end_amdhsa_kernel
	.section	.text._ZN7rocprim17ROCPRIM_400000_NS6detail17trampoline_kernelINS0_14default_configENS1_27scan_by_key_config_selectorIssEEZZNS1_16scan_by_key_implILNS1_25lookback_scan_determinismE0ELb1ES3_N6thrust23THRUST_200600_302600_NS6detail15normal_iteratorINS9_10device_ptrIsEEEESE_SE_sNS9_4plusIvEENS9_8equal_toIsEEsEE10hipError_tPvRmT2_T3_T4_T5_mT6_T7_P12ihipStream_tbENKUlT_T0_E_clISt17integral_constantIbLb0EESZ_EEDaSU_SV_EUlSU_E_NS1_11comp_targetILNS1_3genE9ELNS1_11target_archE1100ELNS1_3gpuE3ELNS1_3repE0EEENS1_30default_config_static_selectorELNS0_4arch9wavefront6targetE1EEEvT1_,"axG",@progbits,_ZN7rocprim17ROCPRIM_400000_NS6detail17trampoline_kernelINS0_14default_configENS1_27scan_by_key_config_selectorIssEEZZNS1_16scan_by_key_implILNS1_25lookback_scan_determinismE0ELb1ES3_N6thrust23THRUST_200600_302600_NS6detail15normal_iteratorINS9_10device_ptrIsEEEESE_SE_sNS9_4plusIvEENS9_8equal_toIsEEsEE10hipError_tPvRmT2_T3_T4_T5_mT6_T7_P12ihipStream_tbENKUlT_T0_E_clISt17integral_constantIbLb0EESZ_EEDaSU_SV_EUlSU_E_NS1_11comp_targetILNS1_3genE9ELNS1_11target_archE1100ELNS1_3gpuE3ELNS1_3repE0EEENS1_30default_config_static_selectorELNS0_4arch9wavefront6targetE1EEEvT1_,comdat
.Lfunc_end648:
	.size	_ZN7rocprim17ROCPRIM_400000_NS6detail17trampoline_kernelINS0_14default_configENS1_27scan_by_key_config_selectorIssEEZZNS1_16scan_by_key_implILNS1_25lookback_scan_determinismE0ELb1ES3_N6thrust23THRUST_200600_302600_NS6detail15normal_iteratorINS9_10device_ptrIsEEEESE_SE_sNS9_4plusIvEENS9_8equal_toIsEEsEE10hipError_tPvRmT2_T3_T4_T5_mT6_T7_P12ihipStream_tbENKUlT_T0_E_clISt17integral_constantIbLb0EESZ_EEDaSU_SV_EUlSU_E_NS1_11comp_targetILNS1_3genE9ELNS1_11target_archE1100ELNS1_3gpuE3ELNS1_3repE0EEENS1_30default_config_static_selectorELNS0_4arch9wavefront6targetE1EEEvT1_, .Lfunc_end648-_ZN7rocprim17ROCPRIM_400000_NS6detail17trampoline_kernelINS0_14default_configENS1_27scan_by_key_config_selectorIssEEZZNS1_16scan_by_key_implILNS1_25lookback_scan_determinismE0ELb1ES3_N6thrust23THRUST_200600_302600_NS6detail15normal_iteratorINS9_10device_ptrIsEEEESE_SE_sNS9_4plusIvEENS9_8equal_toIsEEsEE10hipError_tPvRmT2_T3_T4_T5_mT6_T7_P12ihipStream_tbENKUlT_T0_E_clISt17integral_constantIbLb0EESZ_EEDaSU_SV_EUlSU_E_NS1_11comp_targetILNS1_3genE9ELNS1_11target_archE1100ELNS1_3gpuE3ELNS1_3repE0EEENS1_30default_config_static_selectorELNS0_4arch9wavefront6targetE1EEEvT1_
                                        ; -- End function
	.section	.AMDGPU.csdata,"",@progbits
; Kernel info:
; codeLenInByte = 0
; NumSgprs: 4
; NumVgprs: 0
; NumAgprs: 0
; TotalNumVgprs: 0
; ScratchSize: 0
; MemoryBound: 0
; FloatMode: 240
; IeeeMode: 1
; LDSByteSize: 0 bytes/workgroup (compile time only)
; SGPRBlocks: 0
; VGPRBlocks: 0
; NumSGPRsForWavesPerEU: 4
; NumVGPRsForWavesPerEU: 1
; AccumOffset: 4
; Occupancy: 8
; WaveLimiterHint : 0
; COMPUTE_PGM_RSRC2:SCRATCH_EN: 0
; COMPUTE_PGM_RSRC2:USER_SGPR: 6
; COMPUTE_PGM_RSRC2:TRAP_HANDLER: 0
; COMPUTE_PGM_RSRC2:TGID_X_EN: 1
; COMPUTE_PGM_RSRC2:TGID_Y_EN: 0
; COMPUTE_PGM_RSRC2:TGID_Z_EN: 0
; COMPUTE_PGM_RSRC2:TIDIG_COMP_CNT: 0
; COMPUTE_PGM_RSRC3_GFX90A:ACCUM_OFFSET: 0
; COMPUTE_PGM_RSRC3_GFX90A:TG_SPLIT: 0
	.section	.text._ZN7rocprim17ROCPRIM_400000_NS6detail17trampoline_kernelINS0_14default_configENS1_27scan_by_key_config_selectorIssEEZZNS1_16scan_by_key_implILNS1_25lookback_scan_determinismE0ELb1ES3_N6thrust23THRUST_200600_302600_NS6detail15normal_iteratorINS9_10device_ptrIsEEEESE_SE_sNS9_4plusIvEENS9_8equal_toIsEEsEE10hipError_tPvRmT2_T3_T4_T5_mT6_T7_P12ihipStream_tbENKUlT_T0_E_clISt17integral_constantIbLb0EESZ_EEDaSU_SV_EUlSU_E_NS1_11comp_targetILNS1_3genE8ELNS1_11target_archE1030ELNS1_3gpuE2ELNS1_3repE0EEENS1_30default_config_static_selectorELNS0_4arch9wavefront6targetE1EEEvT1_,"axG",@progbits,_ZN7rocprim17ROCPRIM_400000_NS6detail17trampoline_kernelINS0_14default_configENS1_27scan_by_key_config_selectorIssEEZZNS1_16scan_by_key_implILNS1_25lookback_scan_determinismE0ELb1ES3_N6thrust23THRUST_200600_302600_NS6detail15normal_iteratorINS9_10device_ptrIsEEEESE_SE_sNS9_4plusIvEENS9_8equal_toIsEEsEE10hipError_tPvRmT2_T3_T4_T5_mT6_T7_P12ihipStream_tbENKUlT_T0_E_clISt17integral_constantIbLb0EESZ_EEDaSU_SV_EUlSU_E_NS1_11comp_targetILNS1_3genE8ELNS1_11target_archE1030ELNS1_3gpuE2ELNS1_3repE0EEENS1_30default_config_static_selectorELNS0_4arch9wavefront6targetE1EEEvT1_,comdat
	.protected	_ZN7rocprim17ROCPRIM_400000_NS6detail17trampoline_kernelINS0_14default_configENS1_27scan_by_key_config_selectorIssEEZZNS1_16scan_by_key_implILNS1_25lookback_scan_determinismE0ELb1ES3_N6thrust23THRUST_200600_302600_NS6detail15normal_iteratorINS9_10device_ptrIsEEEESE_SE_sNS9_4plusIvEENS9_8equal_toIsEEsEE10hipError_tPvRmT2_T3_T4_T5_mT6_T7_P12ihipStream_tbENKUlT_T0_E_clISt17integral_constantIbLb0EESZ_EEDaSU_SV_EUlSU_E_NS1_11comp_targetILNS1_3genE8ELNS1_11target_archE1030ELNS1_3gpuE2ELNS1_3repE0EEENS1_30default_config_static_selectorELNS0_4arch9wavefront6targetE1EEEvT1_ ; -- Begin function _ZN7rocprim17ROCPRIM_400000_NS6detail17trampoline_kernelINS0_14default_configENS1_27scan_by_key_config_selectorIssEEZZNS1_16scan_by_key_implILNS1_25lookback_scan_determinismE0ELb1ES3_N6thrust23THRUST_200600_302600_NS6detail15normal_iteratorINS9_10device_ptrIsEEEESE_SE_sNS9_4plusIvEENS9_8equal_toIsEEsEE10hipError_tPvRmT2_T3_T4_T5_mT6_T7_P12ihipStream_tbENKUlT_T0_E_clISt17integral_constantIbLb0EESZ_EEDaSU_SV_EUlSU_E_NS1_11comp_targetILNS1_3genE8ELNS1_11target_archE1030ELNS1_3gpuE2ELNS1_3repE0EEENS1_30default_config_static_selectorELNS0_4arch9wavefront6targetE1EEEvT1_
	.globl	_ZN7rocprim17ROCPRIM_400000_NS6detail17trampoline_kernelINS0_14default_configENS1_27scan_by_key_config_selectorIssEEZZNS1_16scan_by_key_implILNS1_25lookback_scan_determinismE0ELb1ES3_N6thrust23THRUST_200600_302600_NS6detail15normal_iteratorINS9_10device_ptrIsEEEESE_SE_sNS9_4plusIvEENS9_8equal_toIsEEsEE10hipError_tPvRmT2_T3_T4_T5_mT6_T7_P12ihipStream_tbENKUlT_T0_E_clISt17integral_constantIbLb0EESZ_EEDaSU_SV_EUlSU_E_NS1_11comp_targetILNS1_3genE8ELNS1_11target_archE1030ELNS1_3gpuE2ELNS1_3repE0EEENS1_30default_config_static_selectorELNS0_4arch9wavefront6targetE1EEEvT1_
	.p2align	8
	.type	_ZN7rocprim17ROCPRIM_400000_NS6detail17trampoline_kernelINS0_14default_configENS1_27scan_by_key_config_selectorIssEEZZNS1_16scan_by_key_implILNS1_25lookback_scan_determinismE0ELb1ES3_N6thrust23THRUST_200600_302600_NS6detail15normal_iteratorINS9_10device_ptrIsEEEESE_SE_sNS9_4plusIvEENS9_8equal_toIsEEsEE10hipError_tPvRmT2_T3_T4_T5_mT6_T7_P12ihipStream_tbENKUlT_T0_E_clISt17integral_constantIbLb0EESZ_EEDaSU_SV_EUlSU_E_NS1_11comp_targetILNS1_3genE8ELNS1_11target_archE1030ELNS1_3gpuE2ELNS1_3repE0EEENS1_30default_config_static_selectorELNS0_4arch9wavefront6targetE1EEEvT1_,@function
_ZN7rocprim17ROCPRIM_400000_NS6detail17trampoline_kernelINS0_14default_configENS1_27scan_by_key_config_selectorIssEEZZNS1_16scan_by_key_implILNS1_25lookback_scan_determinismE0ELb1ES3_N6thrust23THRUST_200600_302600_NS6detail15normal_iteratorINS9_10device_ptrIsEEEESE_SE_sNS9_4plusIvEENS9_8equal_toIsEEsEE10hipError_tPvRmT2_T3_T4_T5_mT6_T7_P12ihipStream_tbENKUlT_T0_E_clISt17integral_constantIbLb0EESZ_EEDaSU_SV_EUlSU_E_NS1_11comp_targetILNS1_3genE8ELNS1_11target_archE1030ELNS1_3gpuE2ELNS1_3repE0EEENS1_30default_config_static_selectorELNS0_4arch9wavefront6targetE1EEEvT1_: ; @_ZN7rocprim17ROCPRIM_400000_NS6detail17trampoline_kernelINS0_14default_configENS1_27scan_by_key_config_selectorIssEEZZNS1_16scan_by_key_implILNS1_25lookback_scan_determinismE0ELb1ES3_N6thrust23THRUST_200600_302600_NS6detail15normal_iteratorINS9_10device_ptrIsEEEESE_SE_sNS9_4plusIvEENS9_8equal_toIsEEsEE10hipError_tPvRmT2_T3_T4_T5_mT6_T7_P12ihipStream_tbENKUlT_T0_E_clISt17integral_constantIbLb0EESZ_EEDaSU_SV_EUlSU_E_NS1_11comp_targetILNS1_3genE8ELNS1_11target_archE1030ELNS1_3gpuE2ELNS1_3repE0EEENS1_30default_config_static_selectorELNS0_4arch9wavefront6targetE1EEEvT1_
; %bb.0:
	.section	.rodata,"a",@progbits
	.p2align	6, 0x0
	.amdhsa_kernel _ZN7rocprim17ROCPRIM_400000_NS6detail17trampoline_kernelINS0_14default_configENS1_27scan_by_key_config_selectorIssEEZZNS1_16scan_by_key_implILNS1_25lookback_scan_determinismE0ELb1ES3_N6thrust23THRUST_200600_302600_NS6detail15normal_iteratorINS9_10device_ptrIsEEEESE_SE_sNS9_4plusIvEENS9_8equal_toIsEEsEE10hipError_tPvRmT2_T3_T4_T5_mT6_T7_P12ihipStream_tbENKUlT_T0_E_clISt17integral_constantIbLb0EESZ_EEDaSU_SV_EUlSU_E_NS1_11comp_targetILNS1_3genE8ELNS1_11target_archE1030ELNS1_3gpuE2ELNS1_3repE0EEENS1_30default_config_static_selectorELNS0_4arch9wavefront6targetE1EEEvT1_
		.amdhsa_group_segment_fixed_size 0
		.amdhsa_private_segment_fixed_size 0
		.amdhsa_kernarg_size 112
		.amdhsa_user_sgpr_count 6
		.amdhsa_user_sgpr_private_segment_buffer 1
		.amdhsa_user_sgpr_dispatch_ptr 0
		.amdhsa_user_sgpr_queue_ptr 0
		.amdhsa_user_sgpr_kernarg_segment_ptr 1
		.amdhsa_user_sgpr_dispatch_id 0
		.amdhsa_user_sgpr_flat_scratch_init 0
		.amdhsa_user_sgpr_kernarg_preload_length 0
		.amdhsa_user_sgpr_kernarg_preload_offset 0
		.amdhsa_user_sgpr_private_segment_size 0
		.amdhsa_uses_dynamic_stack 0
		.amdhsa_system_sgpr_private_segment_wavefront_offset 0
		.amdhsa_system_sgpr_workgroup_id_x 1
		.amdhsa_system_sgpr_workgroup_id_y 0
		.amdhsa_system_sgpr_workgroup_id_z 0
		.amdhsa_system_sgpr_workgroup_info 0
		.amdhsa_system_vgpr_workitem_id 0
		.amdhsa_next_free_vgpr 1
		.amdhsa_next_free_sgpr 0
		.amdhsa_accum_offset 4
		.amdhsa_reserve_vcc 0
		.amdhsa_reserve_flat_scratch 0
		.amdhsa_float_round_mode_32 0
		.amdhsa_float_round_mode_16_64 0
		.amdhsa_float_denorm_mode_32 3
		.amdhsa_float_denorm_mode_16_64 3
		.amdhsa_dx10_clamp 1
		.amdhsa_ieee_mode 1
		.amdhsa_fp16_overflow 0
		.amdhsa_tg_split 0
		.amdhsa_exception_fp_ieee_invalid_op 0
		.amdhsa_exception_fp_denorm_src 0
		.amdhsa_exception_fp_ieee_div_zero 0
		.amdhsa_exception_fp_ieee_overflow 0
		.amdhsa_exception_fp_ieee_underflow 0
		.amdhsa_exception_fp_ieee_inexact 0
		.amdhsa_exception_int_div_zero 0
	.end_amdhsa_kernel
	.section	.text._ZN7rocprim17ROCPRIM_400000_NS6detail17trampoline_kernelINS0_14default_configENS1_27scan_by_key_config_selectorIssEEZZNS1_16scan_by_key_implILNS1_25lookback_scan_determinismE0ELb1ES3_N6thrust23THRUST_200600_302600_NS6detail15normal_iteratorINS9_10device_ptrIsEEEESE_SE_sNS9_4plusIvEENS9_8equal_toIsEEsEE10hipError_tPvRmT2_T3_T4_T5_mT6_T7_P12ihipStream_tbENKUlT_T0_E_clISt17integral_constantIbLb0EESZ_EEDaSU_SV_EUlSU_E_NS1_11comp_targetILNS1_3genE8ELNS1_11target_archE1030ELNS1_3gpuE2ELNS1_3repE0EEENS1_30default_config_static_selectorELNS0_4arch9wavefront6targetE1EEEvT1_,"axG",@progbits,_ZN7rocprim17ROCPRIM_400000_NS6detail17trampoline_kernelINS0_14default_configENS1_27scan_by_key_config_selectorIssEEZZNS1_16scan_by_key_implILNS1_25lookback_scan_determinismE0ELb1ES3_N6thrust23THRUST_200600_302600_NS6detail15normal_iteratorINS9_10device_ptrIsEEEESE_SE_sNS9_4plusIvEENS9_8equal_toIsEEsEE10hipError_tPvRmT2_T3_T4_T5_mT6_T7_P12ihipStream_tbENKUlT_T0_E_clISt17integral_constantIbLb0EESZ_EEDaSU_SV_EUlSU_E_NS1_11comp_targetILNS1_3genE8ELNS1_11target_archE1030ELNS1_3gpuE2ELNS1_3repE0EEENS1_30default_config_static_selectorELNS0_4arch9wavefront6targetE1EEEvT1_,comdat
.Lfunc_end649:
	.size	_ZN7rocprim17ROCPRIM_400000_NS6detail17trampoline_kernelINS0_14default_configENS1_27scan_by_key_config_selectorIssEEZZNS1_16scan_by_key_implILNS1_25lookback_scan_determinismE0ELb1ES3_N6thrust23THRUST_200600_302600_NS6detail15normal_iteratorINS9_10device_ptrIsEEEESE_SE_sNS9_4plusIvEENS9_8equal_toIsEEsEE10hipError_tPvRmT2_T3_T4_T5_mT6_T7_P12ihipStream_tbENKUlT_T0_E_clISt17integral_constantIbLb0EESZ_EEDaSU_SV_EUlSU_E_NS1_11comp_targetILNS1_3genE8ELNS1_11target_archE1030ELNS1_3gpuE2ELNS1_3repE0EEENS1_30default_config_static_selectorELNS0_4arch9wavefront6targetE1EEEvT1_, .Lfunc_end649-_ZN7rocprim17ROCPRIM_400000_NS6detail17trampoline_kernelINS0_14default_configENS1_27scan_by_key_config_selectorIssEEZZNS1_16scan_by_key_implILNS1_25lookback_scan_determinismE0ELb1ES3_N6thrust23THRUST_200600_302600_NS6detail15normal_iteratorINS9_10device_ptrIsEEEESE_SE_sNS9_4plusIvEENS9_8equal_toIsEEsEE10hipError_tPvRmT2_T3_T4_T5_mT6_T7_P12ihipStream_tbENKUlT_T0_E_clISt17integral_constantIbLb0EESZ_EEDaSU_SV_EUlSU_E_NS1_11comp_targetILNS1_3genE8ELNS1_11target_archE1030ELNS1_3gpuE2ELNS1_3repE0EEENS1_30default_config_static_selectorELNS0_4arch9wavefront6targetE1EEEvT1_
                                        ; -- End function
	.section	.AMDGPU.csdata,"",@progbits
; Kernel info:
; codeLenInByte = 0
; NumSgprs: 4
; NumVgprs: 0
; NumAgprs: 0
; TotalNumVgprs: 0
; ScratchSize: 0
; MemoryBound: 0
; FloatMode: 240
; IeeeMode: 1
; LDSByteSize: 0 bytes/workgroup (compile time only)
; SGPRBlocks: 0
; VGPRBlocks: 0
; NumSGPRsForWavesPerEU: 4
; NumVGPRsForWavesPerEU: 1
; AccumOffset: 4
; Occupancy: 8
; WaveLimiterHint : 0
; COMPUTE_PGM_RSRC2:SCRATCH_EN: 0
; COMPUTE_PGM_RSRC2:USER_SGPR: 6
; COMPUTE_PGM_RSRC2:TRAP_HANDLER: 0
; COMPUTE_PGM_RSRC2:TGID_X_EN: 1
; COMPUTE_PGM_RSRC2:TGID_Y_EN: 0
; COMPUTE_PGM_RSRC2:TGID_Z_EN: 0
; COMPUTE_PGM_RSRC2:TIDIG_COMP_CNT: 0
; COMPUTE_PGM_RSRC3_GFX90A:ACCUM_OFFSET: 0
; COMPUTE_PGM_RSRC3_GFX90A:TG_SPLIT: 0
	.section	.text._ZN7rocprim17ROCPRIM_400000_NS6detail17trampoline_kernelINS0_14default_configENS1_27scan_by_key_config_selectorIssEEZZNS1_16scan_by_key_implILNS1_25lookback_scan_determinismE0ELb1ES3_N6thrust23THRUST_200600_302600_NS6detail15normal_iteratorINS9_10device_ptrIsEEEESE_SE_sNS9_4plusIvEENS9_8equal_toIsEEsEE10hipError_tPvRmT2_T3_T4_T5_mT6_T7_P12ihipStream_tbENKUlT_T0_E_clISt17integral_constantIbLb1EESZ_EEDaSU_SV_EUlSU_E_NS1_11comp_targetILNS1_3genE0ELNS1_11target_archE4294967295ELNS1_3gpuE0ELNS1_3repE0EEENS1_30default_config_static_selectorELNS0_4arch9wavefront6targetE1EEEvT1_,"axG",@progbits,_ZN7rocprim17ROCPRIM_400000_NS6detail17trampoline_kernelINS0_14default_configENS1_27scan_by_key_config_selectorIssEEZZNS1_16scan_by_key_implILNS1_25lookback_scan_determinismE0ELb1ES3_N6thrust23THRUST_200600_302600_NS6detail15normal_iteratorINS9_10device_ptrIsEEEESE_SE_sNS9_4plusIvEENS9_8equal_toIsEEsEE10hipError_tPvRmT2_T3_T4_T5_mT6_T7_P12ihipStream_tbENKUlT_T0_E_clISt17integral_constantIbLb1EESZ_EEDaSU_SV_EUlSU_E_NS1_11comp_targetILNS1_3genE0ELNS1_11target_archE4294967295ELNS1_3gpuE0ELNS1_3repE0EEENS1_30default_config_static_selectorELNS0_4arch9wavefront6targetE1EEEvT1_,comdat
	.protected	_ZN7rocprim17ROCPRIM_400000_NS6detail17trampoline_kernelINS0_14default_configENS1_27scan_by_key_config_selectorIssEEZZNS1_16scan_by_key_implILNS1_25lookback_scan_determinismE0ELb1ES3_N6thrust23THRUST_200600_302600_NS6detail15normal_iteratorINS9_10device_ptrIsEEEESE_SE_sNS9_4plusIvEENS9_8equal_toIsEEsEE10hipError_tPvRmT2_T3_T4_T5_mT6_T7_P12ihipStream_tbENKUlT_T0_E_clISt17integral_constantIbLb1EESZ_EEDaSU_SV_EUlSU_E_NS1_11comp_targetILNS1_3genE0ELNS1_11target_archE4294967295ELNS1_3gpuE0ELNS1_3repE0EEENS1_30default_config_static_selectorELNS0_4arch9wavefront6targetE1EEEvT1_ ; -- Begin function _ZN7rocprim17ROCPRIM_400000_NS6detail17trampoline_kernelINS0_14default_configENS1_27scan_by_key_config_selectorIssEEZZNS1_16scan_by_key_implILNS1_25lookback_scan_determinismE0ELb1ES3_N6thrust23THRUST_200600_302600_NS6detail15normal_iteratorINS9_10device_ptrIsEEEESE_SE_sNS9_4plusIvEENS9_8equal_toIsEEsEE10hipError_tPvRmT2_T3_T4_T5_mT6_T7_P12ihipStream_tbENKUlT_T0_E_clISt17integral_constantIbLb1EESZ_EEDaSU_SV_EUlSU_E_NS1_11comp_targetILNS1_3genE0ELNS1_11target_archE4294967295ELNS1_3gpuE0ELNS1_3repE0EEENS1_30default_config_static_selectorELNS0_4arch9wavefront6targetE1EEEvT1_
	.globl	_ZN7rocprim17ROCPRIM_400000_NS6detail17trampoline_kernelINS0_14default_configENS1_27scan_by_key_config_selectorIssEEZZNS1_16scan_by_key_implILNS1_25lookback_scan_determinismE0ELb1ES3_N6thrust23THRUST_200600_302600_NS6detail15normal_iteratorINS9_10device_ptrIsEEEESE_SE_sNS9_4plusIvEENS9_8equal_toIsEEsEE10hipError_tPvRmT2_T3_T4_T5_mT6_T7_P12ihipStream_tbENKUlT_T0_E_clISt17integral_constantIbLb1EESZ_EEDaSU_SV_EUlSU_E_NS1_11comp_targetILNS1_3genE0ELNS1_11target_archE4294967295ELNS1_3gpuE0ELNS1_3repE0EEENS1_30default_config_static_selectorELNS0_4arch9wavefront6targetE1EEEvT1_
	.p2align	8
	.type	_ZN7rocprim17ROCPRIM_400000_NS6detail17trampoline_kernelINS0_14default_configENS1_27scan_by_key_config_selectorIssEEZZNS1_16scan_by_key_implILNS1_25lookback_scan_determinismE0ELb1ES3_N6thrust23THRUST_200600_302600_NS6detail15normal_iteratorINS9_10device_ptrIsEEEESE_SE_sNS9_4plusIvEENS9_8equal_toIsEEsEE10hipError_tPvRmT2_T3_T4_T5_mT6_T7_P12ihipStream_tbENKUlT_T0_E_clISt17integral_constantIbLb1EESZ_EEDaSU_SV_EUlSU_E_NS1_11comp_targetILNS1_3genE0ELNS1_11target_archE4294967295ELNS1_3gpuE0ELNS1_3repE0EEENS1_30default_config_static_selectorELNS0_4arch9wavefront6targetE1EEEvT1_,@function
_ZN7rocprim17ROCPRIM_400000_NS6detail17trampoline_kernelINS0_14default_configENS1_27scan_by_key_config_selectorIssEEZZNS1_16scan_by_key_implILNS1_25lookback_scan_determinismE0ELb1ES3_N6thrust23THRUST_200600_302600_NS6detail15normal_iteratorINS9_10device_ptrIsEEEESE_SE_sNS9_4plusIvEENS9_8equal_toIsEEsEE10hipError_tPvRmT2_T3_T4_T5_mT6_T7_P12ihipStream_tbENKUlT_T0_E_clISt17integral_constantIbLb1EESZ_EEDaSU_SV_EUlSU_E_NS1_11comp_targetILNS1_3genE0ELNS1_11target_archE4294967295ELNS1_3gpuE0ELNS1_3repE0EEENS1_30default_config_static_selectorELNS0_4arch9wavefront6targetE1EEEvT1_: ; @_ZN7rocprim17ROCPRIM_400000_NS6detail17trampoline_kernelINS0_14default_configENS1_27scan_by_key_config_selectorIssEEZZNS1_16scan_by_key_implILNS1_25lookback_scan_determinismE0ELb1ES3_N6thrust23THRUST_200600_302600_NS6detail15normal_iteratorINS9_10device_ptrIsEEEESE_SE_sNS9_4plusIvEENS9_8equal_toIsEEsEE10hipError_tPvRmT2_T3_T4_T5_mT6_T7_P12ihipStream_tbENKUlT_T0_E_clISt17integral_constantIbLb1EESZ_EEDaSU_SV_EUlSU_E_NS1_11comp_targetILNS1_3genE0ELNS1_11target_archE4294967295ELNS1_3gpuE0ELNS1_3repE0EEENS1_30default_config_static_selectorELNS0_4arch9wavefront6targetE1EEEvT1_
; %bb.0:
	.section	.rodata,"a",@progbits
	.p2align	6, 0x0
	.amdhsa_kernel _ZN7rocprim17ROCPRIM_400000_NS6detail17trampoline_kernelINS0_14default_configENS1_27scan_by_key_config_selectorIssEEZZNS1_16scan_by_key_implILNS1_25lookback_scan_determinismE0ELb1ES3_N6thrust23THRUST_200600_302600_NS6detail15normal_iteratorINS9_10device_ptrIsEEEESE_SE_sNS9_4plusIvEENS9_8equal_toIsEEsEE10hipError_tPvRmT2_T3_T4_T5_mT6_T7_P12ihipStream_tbENKUlT_T0_E_clISt17integral_constantIbLb1EESZ_EEDaSU_SV_EUlSU_E_NS1_11comp_targetILNS1_3genE0ELNS1_11target_archE4294967295ELNS1_3gpuE0ELNS1_3repE0EEENS1_30default_config_static_selectorELNS0_4arch9wavefront6targetE1EEEvT1_
		.amdhsa_group_segment_fixed_size 0
		.amdhsa_private_segment_fixed_size 0
		.amdhsa_kernarg_size 112
		.amdhsa_user_sgpr_count 6
		.amdhsa_user_sgpr_private_segment_buffer 1
		.amdhsa_user_sgpr_dispatch_ptr 0
		.amdhsa_user_sgpr_queue_ptr 0
		.amdhsa_user_sgpr_kernarg_segment_ptr 1
		.amdhsa_user_sgpr_dispatch_id 0
		.amdhsa_user_sgpr_flat_scratch_init 0
		.amdhsa_user_sgpr_kernarg_preload_length 0
		.amdhsa_user_sgpr_kernarg_preload_offset 0
		.amdhsa_user_sgpr_private_segment_size 0
		.amdhsa_uses_dynamic_stack 0
		.amdhsa_system_sgpr_private_segment_wavefront_offset 0
		.amdhsa_system_sgpr_workgroup_id_x 1
		.amdhsa_system_sgpr_workgroup_id_y 0
		.amdhsa_system_sgpr_workgroup_id_z 0
		.amdhsa_system_sgpr_workgroup_info 0
		.amdhsa_system_vgpr_workitem_id 0
		.amdhsa_next_free_vgpr 1
		.amdhsa_next_free_sgpr 0
		.amdhsa_accum_offset 4
		.amdhsa_reserve_vcc 0
		.amdhsa_reserve_flat_scratch 0
		.amdhsa_float_round_mode_32 0
		.amdhsa_float_round_mode_16_64 0
		.amdhsa_float_denorm_mode_32 3
		.amdhsa_float_denorm_mode_16_64 3
		.amdhsa_dx10_clamp 1
		.amdhsa_ieee_mode 1
		.amdhsa_fp16_overflow 0
		.amdhsa_tg_split 0
		.amdhsa_exception_fp_ieee_invalid_op 0
		.amdhsa_exception_fp_denorm_src 0
		.amdhsa_exception_fp_ieee_div_zero 0
		.amdhsa_exception_fp_ieee_overflow 0
		.amdhsa_exception_fp_ieee_underflow 0
		.amdhsa_exception_fp_ieee_inexact 0
		.amdhsa_exception_int_div_zero 0
	.end_amdhsa_kernel
	.section	.text._ZN7rocprim17ROCPRIM_400000_NS6detail17trampoline_kernelINS0_14default_configENS1_27scan_by_key_config_selectorIssEEZZNS1_16scan_by_key_implILNS1_25lookback_scan_determinismE0ELb1ES3_N6thrust23THRUST_200600_302600_NS6detail15normal_iteratorINS9_10device_ptrIsEEEESE_SE_sNS9_4plusIvEENS9_8equal_toIsEEsEE10hipError_tPvRmT2_T3_T4_T5_mT6_T7_P12ihipStream_tbENKUlT_T0_E_clISt17integral_constantIbLb1EESZ_EEDaSU_SV_EUlSU_E_NS1_11comp_targetILNS1_3genE0ELNS1_11target_archE4294967295ELNS1_3gpuE0ELNS1_3repE0EEENS1_30default_config_static_selectorELNS0_4arch9wavefront6targetE1EEEvT1_,"axG",@progbits,_ZN7rocprim17ROCPRIM_400000_NS6detail17trampoline_kernelINS0_14default_configENS1_27scan_by_key_config_selectorIssEEZZNS1_16scan_by_key_implILNS1_25lookback_scan_determinismE0ELb1ES3_N6thrust23THRUST_200600_302600_NS6detail15normal_iteratorINS9_10device_ptrIsEEEESE_SE_sNS9_4plusIvEENS9_8equal_toIsEEsEE10hipError_tPvRmT2_T3_T4_T5_mT6_T7_P12ihipStream_tbENKUlT_T0_E_clISt17integral_constantIbLb1EESZ_EEDaSU_SV_EUlSU_E_NS1_11comp_targetILNS1_3genE0ELNS1_11target_archE4294967295ELNS1_3gpuE0ELNS1_3repE0EEENS1_30default_config_static_selectorELNS0_4arch9wavefront6targetE1EEEvT1_,comdat
.Lfunc_end650:
	.size	_ZN7rocprim17ROCPRIM_400000_NS6detail17trampoline_kernelINS0_14default_configENS1_27scan_by_key_config_selectorIssEEZZNS1_16scan_by_key_implILNS1_25lookback_scan_determinismE0ELb1ES3_N6thrust23THRUST_200600_302600_NS6detail15normal_iteratorINS9_10device_ptrIsEEEESE_SE_sNS9_4plusIvEENS9_8equal_toIsEEsEE10hipError_tPvRmT2_T3_T4_T5_mT6_T7_P12ihipStream_tbENKUlT_T0_E_clISt17integral_constantIbLb1EESZ_EEDaSU_SV_EUlSU_E_NS1_11comp_targetILNS1_3genE0ELNS1_11target_archE4294967295ELNS1_3gpuE0ELNS1_3repE0EEENS1_30default_config_static_selectorELNS0_4arch9wavefront6targetE1EEEvT1_, .Lfunc_end650-_ZN7rocprim17ROCPRIM_400000_NS6detail17trampoline_kernelINS0_14default_configENS1_27scan_by_key_config_selectorIssEEZZNS1_16scan_by_key_implILNS1_25lookback_scan_determinismE0ELb1ES3_N6thrust23THRUST_200600_302600_NS6detail15normal_iteratorINS9_10device_ptrIsEEEESE_SE_sNS9_4plusIvEENS9_8equal_toIsEEsEE10hipError_tPvRmT2_T3_T4_T5_mT6_T7_P12ihipStream_tbENKUlT_T0_E_clISt17integral_constantIbLb1EESZ_EEDaSU_SV_EUlSU_E_NS1_11comp_targetILNS1_3genE0ELNS1_11target_archE4294967295ELNS1_3gpuE0ELNS1_3repE0EEENS1_30default_config_static_selectorELNS0_4arch9wavefront6targetE1EEEvT1_
                                        ; -- End function
	.section	.AMDGPU.csdata,"",@progbits
; Kernel info:
; codeLenInByte = 0
; NumSgprs: 4
; NumVgprs: 0
; NumAgprs: 0
; TotalNumVgprs: 0
; ScratchSize: 0
; MemoryBound: 0
; FloatMode: 240
; IeeeMode: 1
; LDSByteSize: 0 bytes/workgroup (compile time only)
; SGPRBlocks: 0
; VGPRBlocks: 0
; NumSGPRsForWavesPerEU: 4
; NumVGPRsForWavesPerEU: 1
; AccumOffset: 4
; Occupancy: 8
; WaveLimiterHint : 0
; COMPUTE_PGM_RSRC2:SCRATCH_EN: 0
; COMPUTE_PGM_RSRC2:USER_SGPR: 6
; COMPUTE_PGM_RSRC2:TRAP_HANDLER: 0
; COMPUTE_PGM_RSRC2:TGID_X_EN: 1
; COMPUTE_PGM_RSRC2:TGID_Y_EN: 0
; COMPUTE_PGM_RSRC2:TGID_Z_EN: 0
; COMPUTE_PGM_RSRC2:TIDIG_COMP_CNT: 0
; COMPUTE_PGM_RSRC3_GFX90A:ACCUM_OFFSET: 0
; COMPUTE_PGM_RSRC3_GFX90A:TG_SPLIT: 0
	.section	.text._ZN7rocprim17ROCPRIM_400000_NS6detail17trampoline_kernelINS0_14default_configENS1_27scan_by_key_config_selectorIssEEZZNS1_16scan_by_key_implILNS1_25lookback_scan_determinismE0ELb1ES3_N6thrust23THRUST_200600_302600_NS6detail15normal_iteratorINS9_10device_ptrIsEEEESE_SE_sNS9_4plusIvEENS9_8equal_toIsEEsEE10hipError_tPvRmT2_T3_T4_T5_mT6_T7_P12ihipStream_tbENKUlT_T0_E_clISt17integral_constantIbLb1EESZ_EEDaSU_SV_EUlSU_E_NS1_11comp_targetILNS1_3genE10ELNS1_11target_archE1201ELNS1_3gpuE5ELNS1_3repE0EEENS1_30default_config_static_selectorELNS0_4arch9wavefront6targetE1EEEvT1_,"axG",@progbits,_ZN7rocprim17ROCPRIM_400000_NS6detail17trampoline_kernelINS0_14default_configENS1_27scan_by_key_config_selectorIssEEZZNS1_16scan_by_key_implILNS1_25lookback_scan_determinismE0ELb1ES3_N6thrust23THRUST_200600_302600_NS6detail15normal_iteratorINS9_10device_ptrIsEEEESE_SE_sNS9_4plusIvEENS9_8equal_toIsEEsEE10hipError_tPvRmT2_T3_T4_T5_mT6_T7_P12ihipStream_tbENKUlT_T0_E_clISt17integral_constantIbLb1EESZ_EEDaSU_SV_EUlSU_E_NS1_11comp_targetILNS1_3genE10ELNS1_11target_archE1201ELNS1_3gpuE5ELNS1_3repE0EEENS1_30default_config_static_selectorELNS0_4arch9wavefront6targetE1EEEvT1_,comdat
	.protected	_ZN7rocprim17ROCPRIM_400000_NS6detail17trampoline_kernelINS0_14default_configENS1_27scan_by_key_config_selectorIssEEZZNS1_16scan_by_key_implILNS1_25lookback_scan_determinismE0ELb1ES3_N6thrust23THRUST_200600_302600_NS6detail15normal_iteratorINS9_10device_ptrIsEEEESE_SE_sNS9_4plusIvEENS9_8equal_toIsEEsEE10hipError_tPvRmT2_T3_T4_T5_mT6_T7_P12ihipStream_tbENKUlT_T0_E_clISt17integral_constantIbLb1EESZ_EEDaSU_SV_EUlSU_E_NS1_11comp_targetILNS1_3genE10ELNS1_11target_archE1201ELNS1_3gpuE5ELNS1_3repE0EEENS1_30default_config_static_selectorELNS0_4arch9wavefront6targetE1EEEvT1_ ; -- Begin function _ZN7rocprim17ROCPRIM_400000_NS6detail17trampoline_kernelINS0_14default_configENS1_27scan_by_key_config_selectorIssEEZZNS1_16scan_by_key_implILNS1_25lookback_scan_determinismE0ELb1ES3_N6thrust23THRUST_200600_302600_NS6detail15normal_iteratorINS9_10device_ptrIsEEEESE_SE_sNS9_4plusIvEENS9_8equal_toIsEEsEE10hipError_tPvRmT2_T3_T4_T5_mT6_T7_P12ihipStream_tbENKUlT_T0_E_clISt17integral_constantIbLb1EESZ_EEDaSU_SV_EUlSU_E_NS1_11comp_targetILNS1_3genE10ELNS1_11target_archE1201ELNS1_3gpuE5ELNS1_3repE0EEENS1_30default_config_static_selectorELNS0_4arch9wavefront6targetE1EEEvT1_
	.globl	_ZN7rocprim17ROCPRIM_400000_NS6detail17trampoline_kernelINS0_14default_configENS1_27scan_by_key_config_selectorIssEEZZNS1_16scan_by_key_implILNS1_25lookback_scan_determinismE0ELb1ES3_N6thrust23THRUST_200600_302600_NS6detail15normal_iteratorINS9_10device_ptrIsEEEESE_SE_sNS9_4plusIvEENS9_8equal_toIsEEsEE10hipError_tPvRmT2_T3_T4_T5_mT6_T7_P12ihipStream_tbENKUlT_T0_E_clISt17integral_constantIbLb1EESZ_EEDaSU_SV_EUlSU_E_NS1_11comp_targetILNS1_3genE10ELNS1_11target_archE1201ELNS1_3gpuE5ELNS1_3repE0EEENS1_30default_config_static_selectorELNS0_4arch9wavefront6targetE1EEEvT1_
	.p2align	8
	.type	_ZN7rocprim17ROCPRIM_400000_NS6detail17trampoline_kernelINS0_14default_configENS1_27scan_by_key_config_selectorIssEEZZNS1_16scan_by_key_implILNS1_25lookback_scan_determinismE0ELb1ES3_N6thrust23THRUST_200600_302600_NS6detail15normal_iteratorINS9_10device_ptrIsEEEESE_SE_sNS9_4plusIvEENS9_8equal_toIsEEsEE10hipError_tPvRmT2_T3_T4_T5_mT6_T7_P12ihipStream_tbENKUlT_T0_E_clISt17integral_constantIbLb1EESZ_EEDaSU_SV_EUlSU_E_NS1_11comp_targetILNS1_3genE10ELNS1_11target_archE1201ELNS1_3gpuE5ELNS1_3repE0EEENS1_30default_config_static_selectorELNS0_4arch9wavefront6targetE1EEEvT1_,@function
_ZN7rocprim17ROCPRIM_400000_NS6detail17trampoline_kernelINS0_14default_configENS1_27scan_by_key_config_selectorIssEEZZNS1_16scan_by_key_implILNS1_25lookback_scan_determinismE0ELb1ES3_N6thrust23THRUST_200600_302600_NS6detail15normal_iteratorINS9_10device_ptrIsEEEESE_SE_sNS9_4plusIvEENS9_8equal_toIsEEsEE10hipError_tPvRmT2_T3_T4_T5_mT6_T7_P12ihipStream_tbENKUlT_T0_E_clISt17integral_constantIbLb1EESZ_EEDaSU_SV_EUlSU_E_NS1_11comp_targetILNS1_3genE10ELNS1_11target_archE1201ELNS1_3gpuE5ELNS1_3repE0EEENS1_30default_config_static_selectorELNS0_4arch9wavefront6targetE1EEEvT1_: ; @_ZN7rocprim17ROCPRIM_400000_NS6detail17trampoline_kernelINS0_14default_configENS1_27scan_by_key_config_selectorIssEEZZNS1_16scan_by_key_implILNS1_25lookback_scan_determinismE0ELb1ES3_N6thrust23THRUST_200600_302600_NS6detail15normal_iteratorINS9_10device_ptrIsEEEESE_SE_sNS9_4plusIvEENS9_8equal_toIsEEsEE10hipError_tPvRmT2_T3_T4_T5_mT6_T7_P12ihipStream_tbENKUlT_T0_E_clISt17integral_constantIbLb1EESZ_EEDaSU_SV_EUlSU_E_NS1_11comp_targetILNS1_3genE10ELNS1_11target_archE1201ELNS1_3gpuE5ELNS1_3repE0EEENS1_30default_config_static_selectorELNS0_4arch9wavefront6targetE1EEEvT1_
; %bb.0:
	.section	.rodata,"a",@progbits
	.p2align	6, 0x0
	.amdhsa_kernel _ZN7rocprim17ROCPRIM_400000_NS6detail17trampoline_kernelINS0_14default_configENS1_27scan_by_key_config_selectorIssEEZZNS1_16scan_by_key_implILNS1_25lookback_scan_determinismE0ELb1ES3_N6thrust23THRUST_200600_302600_NS6detail15normal_iteratorINS9_10device_ptrIsEEEESE_SE_sNS9_4plusIvEENS9_8equal_toIsEEsEE10hipError_tPvRmT2_T3_T4_T5_mT6_T7_P12ihipStream_tbENKUlT_T0_E_clISt17integral_constantIbLb1EESZ_EEDaSU_SV_EUlSU_E_NS1_11comp_targetILNS1_3genE10ELNS1_11target_archE1201ELNS1_3gpuE5ELNS1_3repE0EEENS1_30default_config_static_selectorELNS0_4arch9wavefront6targetE1EEEvT1_
		.amdhsa_group_segment_fixed_size 0
		.amdhsa_private_segment_fixed_size 0
		.amdhsa_kernarg_size 112
		.amdhsa_user_sgpr_count 6
		.amdhsa_user_sgpr_private_segment_buffer 1
		.amdhsa_user_sgpr_dispatch_ptr 0
		.amdhsa_user_sgpr_queue_ptr 0
		.amdhsa_user_sgpr_kernarg_segment_ptr 1
		.amdhsa_user_sgpr_dispatch_id 0
		.amdhsa_user_sgpr_flat_scratch_init 0
		.amdhsa_user_sgpr_kernarg_preload_length 0
		.amdhsa_user_sgpr_kernarg_preload_offset 0
		.amdhsa_user_sgpr_private_segment_size 0
		.amdhsa_uses_dynamic_stack 0
		.amdhsa_system_sgpr_private_segment_wavefront_offset 0
		.amdhsa_system_sgpr_workgroup_id_x 1
		.amdhsa_system_sgpr_workgroup_id_y 0
		.amdhsa_system_sgpr_workgroup_id_z 0
		.amdhsa_system_sgpr_workgroup_info 0
		.amdhsa_system_vgpr_workitem_id 0
		.amdhsa_next_free_vgpr 1
		.amdhsa_next_free_sgpr 0
		.amdhsa_accum_offset 4
		.amdhsa_reserve_vcc 0
		.amdhsa_reserve_flat_scratch 0
		.amdhsa_float_round_mode_32 0
		.amdhsa_float_round_mode_16_64 0
		.amdhsa_float_denorm_mode_32 3
		.amdhsa_float_denorm_mode_16_64 3
		.amdhsa_dx10_clamp 1
		.amdhsa_ieee_mode 1
		.amdhsa_fp16_overflow 0
		.amdhsa_tg_split 0
		.amdhsa_exception_fp_ieee_invalid_op 0
		.amdhsa_exception_fp_denorm_src 0
		.amdhsa_exception_fp_ieee_div_zero 0
		.amdhsa_exception_fp_ieee_overflow 0
		.amdhsa_exception_fp_ieee_underflow 0
		.amdhsa_exception_fp_ieee_inexact 0
		.amdhsa_exception_int_div_zero 0
	.end_amdhsa_kernel
	.section	.text._ZN7rocprim17ROCPRIM_400000_NS6detail17trampoline_kernelINS0_14default_configENS1_27scan_by_key_config_selectorIssEEZZNS1_16scan_by_key_implILNS1_25lookback_scan_determinismE0ELb1ES3_N6thrust23THRUST_200600_302600_NS6detail15normal_iteratorINS9_10device_ptrIsEEEESE_SE_sNS9_4plusIvEENS9_8equal_toIsEEsEE10hipError_tPvRmT2_T3_T4_T5_mT6_T7_P12ihipStream_tbENKUlT_T0_E_clISt17integral_constantIbLb1EESZ_EEDaSU_SV_EUlSU_E_NS1_11comp_targetILNS1_3genE10ELNS1_11target_archE1201ELNS1_3gpuE5ELNS1_3repE0EEENS1_30default_config_static_selectorELNS0_4arch9wavefront6targetE1EEEvT1_,"axG",@progbits,_ZN7rocprim17ROCPRIM_400000_NS6detail17trampoline_kernelINS0_14default_configENS1_27scan_by_key_config_selectorIssEEZZNS1_16scan_by_key_implILNS1_25lookback_scan_determinismE0ELb1ES3_N6thrust23THRUST_200600_302600_NS6detail15normal_iteratorINS9_10device_ptrIsEEEESE_SE_sNS9_4plusIvEENS9_8equal_toIsEEsEE10hipError_tPvRmT2_T3_T4_T5_mT6_T7_P12ihipStream_tbENKUlT_T0_E_clISt17integral_constantIbLb1EESZ_EEDaSU_SV_EUlSU_E_NS1_11comp_targetILNS1_3genE10ELNS1_11target_archE1201ELNS1_3gpuE5ELNS1_3repE0EEENS1_30default_config_static_selectorELNS0_4arch9wavefront6targetE1EEEvT1_,comdat
.Lfunc_end651:
	.size	_ZN7rocprim17ROCPRIM_400000_NS6detail17trampoline_kernelINS0_14default_configENS1_27scan_by_key_config_selectorIssEEZZNS1_16scan_by_key_implILNS1_25lookback_scan_determinismE0ELb1ES3_N6thrust23THRUST_200600_302600_NS6detail15normal_iteratorINS9_10device_ptrIsEEEESE_SE_sNS9_4plusIvEENS9_8equal_toIsEEsEE10hipError_tPvRmT2_T3_T4_T5_mT6_T7_P12ihipStream_tbENKUlT_T0_E_clISt17integral_constantIbLb1EESZ_EEDaSU_SV_EUlSU_E_NS1_11comp_targetILNS1_3genE10ELNS1_11target_archE1201ELNS1_3gpuE5ELNS1_3repE0EEENS1_30default_config_static_selectorELNS0_4arch9wavefront6targetE1EEEvT1_, .Lfunc_end651-_ZN7rocprim17ROCPRIM_400000_NS6detail17trampoline_kernelINS0_14default_configENS1_27scan_by_key_config_selectorIssEEZZNS1_16scan_by_key_implILNS1_25lookback_scan_determinismE0ELb1ES3_N6thrust23THRUST_200600_302600_NS6detail15normal_iteratorINS9_10device_ptrIsEEEESE_SE_sNS9_4plusIvEENS9_8equal_toIsEEsEE10hipError_tPvRmT2_T3_T4_T5_mT6_T7_P12ihipStream_tbENKUlT_T0_E_clISt17integral_constantIbLb1EESZ_EEDaSU_SV_EUlSU_E_NS1_11comp_targetILNS1_3genE10ELNS1_11target_archE1201ELNS1_3gpuE5ELNS1_3repE0EEENS1_30default_config_static_selectorELNS0_4arch9wavefront6targetE1EEEvT1_
                                        ; -- End function
	.section	.AMDGPU.csdata,"",@progbits
; Kernel info:
; codeLenInByte = 0
; NumSgprs: 4
; NumVgprs: 0
; NumAgprs: 0
; TotalNumVgprs: 0
; ScratchSize: 0
; MemoryBound: 0
; FloatMode: 240
; IeeeMode: 1
; LDSByteSize: 0 bytes/workgroup (compile time only)
; SGPRBlocks: 0
; VGPRBlocks: 0
; NumSGPRsForWavesPerEU: 4
; NumVGPRsForWavesPerEU: 1
; AccumOffset: 4
; Occupancy: 8
; WaveLimiterHint : 0
; COMPUTE_PGM_RSRC2:SCRATCH_EN: 0
; COMPUTE_PGM_RSRC2:USER_SGPR: 6
; COMPUTE_PGM_RSRC2:TRAP_HANDLER: 0
; COMPUTE_PGM_RSRC2:TGID_X_EN: 1
; COMPUTE_PGM_RSRC2:TGID_Y_EN: 0
; COMPUTE_PGM_RSRC2:TGID_Z_EN: 0
; COMPUTE_PGM_RSRC2:TIDIG_COMP_CNT: 0
; COMPUTE_PGM_RSRC3_GFX90A:ACCUM_OFFSET: 0
; COMPUTE_PGM_RSRC3_GFX90A:TG_SPLIT: 0
	.section	.text._ZN7rocprim17ROCPRIM_400000_NS6detail17trampoline_kernelINS0_14default_configENS1_27scan_by_key_config_selectorIssEEZZNS1_16scan_by_key_implILNS1_25lookback_scan_determinismE0ELb1ES3_N6thrust23THRUST_200600_302600_NS6detail15normal_iteratorINS9_10device_ptrIsEEEESE_SE_sNS9_4plusIvEENS9_8equal_toIsEEsEE10hipError_tPvRmT2_T3_T4_T5_mT6_T7_P12ihipStream_tbENKUlT_T0_E_clISt17integral_constantIbLb1EESZ_EEDaSU_SV_EUlSU_E_NS1_11comp_targetILNS1_3genE5ELNS1_11target_archE942ELNS1_3gpuE9ELNS1_3repE0EEENS1_30default_config_static_selectorELNS0_4arch9wavefront6targetE1EEEvT1_,"axG",@progbits,_ZN7rocprim17ROCPRIM_400000_NS6detail17trampoline_kernelINS0_14default_configENS1_27scan_by_key_config_selectorIssEEZZNS1_16scan_by_key_implILNS1_25lookback_scan_determinismE0ELb1ES3_N6thrust23THRUST_200600_302600_NS6detail15normal_iteratorINS9_10device_ptrIsEEEESE_SE_sNS9_4plusIvEENS9_8equal_toIsEEsEE10hipError_tPvRmT2_T3_T4_T5_mT6_T7_P12ihipStream_tbENKUlT_T0_E_clISt17integral_constantIbLb1EESZ_EEDaSU_SV_EUlSU_E_NS1_11comp_targetILNS1_3genE5ELNS1_11target_archE942ELNS1_3gpuE9ELNS1_3repE0EEENS1_30default_config_static_selectorELNS0_4arch9wavefront6targetE1EEEvT1_,comdat
	.protected	_ZN7rocprim17ROCPRIM_400000_NS6detail17trampoline_kernelINS0_14default_configENS1_27scan_by_key_config_selectorIssEEZZNS1_16scan_by_key_implILNS1_25lookback_scan_determinismE0ELb1ES3_N6thrust23THRUST_200600_302600_NS6detail15normal_iteratorINS9_10device_ptrIsEEEESE_SE_sNS9_4plusIvEENS9_8equal_toIsEEsEE10hipError_tPvRmT2_T3_T4_T5_mT6_T7_P12ihipStream_tbENKUlT_T0_E_clISt17integral_constantIbLb1EESZ_EEDaSU_SV_EUlSU_E_NS1_11comp_targetILNS1_3genE5ELNS1_11target_archE942ELNS1_3gpuE9ELNS1_3repE0EEENS1_30default_config_static_selectorELNS0_4arch9wavefront6targetE1EEEvT1_ ; -- Begin function _ZN7rocprim17ROCPRIM_400000_NS6detail17trampoline_kernelINS0_14default_configENS1_27scan_by_key_config_selectorIssEEZZNS1_16scan_by_key_implILNS1_25lookback_scan_determinismE0ELb1ES3_N6thrust23THRUST_200600_302600_NS6detail15normal_iteratorINS9_10device_ptrIsEEEESE_SE_sNS9_4plusIvEENS9_8equal_toIsEEsEE10hipError_tPvRmT2_T3_T4_T5_mT6_T7_P12ihipStream_tbENKUlT_T0_E_clISt17integral_constantIbLb1EESZ_EEDaSU_SV_EUlSU_E_NS1_11comp_targetILNS1_3genE5ELNS1_11target_archE942ELNS1_3gpuE9ELNS1_3repE0EEENS1_30default_config_static_selectorELNS0_4arch9wavefront6targetE1EEEvT1_
	.globl	_ZN7rocprim17ROCPRIM_400000_NS6detail17trampoline_kernelINS0_14default_configENS1_27scan_by_key_config_selectorIssEEZZNS1_16scan_by_key_implILNS1_25lookback_scan_determinismE0ELb1ES3_N6thrust23THRUST_200600_302600_NS6detail15normal_iteratorINS9_10device_ptrIsEEEESE_SE_sNS9_4plusIvEENS9_8equal_toIsEEsEE10hipError_tPvRmT2_T3_T4_T5_mT6_T7_P12ihipStream_tbENKUlT_T0_E_clISt17integral_constantIbLb1EESZ_EEDaSU_SV_EUlSU_E_NS1_11comp_targetILNS1_3genE5ELNS1_11target_archE942ELNS1_3gpuE9ELNS1_3repE0EEENS1_30default_config_static_selectorELNS0_4arch9wavefront6targetE1EEEvT1_
	.p2align	8
	.type	_ZN7rocprim17ROCPRIM_400000_NS6detail17trampoline_kernelINS0_14default_configENS1_27scan_by_key_config_selectorIssEEZZNS1_16scan_by_key_implILNS1_25lookback_scan_determinismE0ELb1ES3_N6thrust23THRUST_200600_302600_NS6detail15normal_iteratorINS9_10device_ptrIsEEEESE_SE_sNS9_4plusIvEENS9_8equal_toIsEEsEE10hipError_tPvRmT2_T3_T4_T5_mT6_T7_P12ihipStream_tbENKUlT_T0_E_clISt17integral_constantIbLb1EESZ_EEDaSU_SV_EUlSU_E_NS1_11comp_targetILNS1_3genE5ELNS1_11target_archE942ELNS1_3gpuE9ELNS1_3repE0EEENS1_30default_config_static_selectorELNS0_4arch9wavefront6targetE1EEEvT1_,@function
_ZN7rocprim17ROCPRIM_400000_NS6detail17trampoline_kernelINS0_14default_configENS1_27scan_by_key_config_selectorIssEEZZNS1_16scan_by_key_implILNS1_25lookback_scan_determinismE0ELb1ES3_N6thrust23THRUST_200600_302600_NS6detail15normal_iteratorINS9_10device_ptrIsEEEESE_SE_sNS9_4plusIvEENS9_8equal_toIsEEsEE10hipError_tPvRmT2_T3_T4_T5_mT6_T7_P12ihipStream_tbENKUlT_T0_E_clISt17integral_constantIbLb1EESZ_EEDaSU_SV_EUlSU_E_NS1_11comp_targetILNS1_3genE5ELNS1_11target_archE942ELNS1_3gpuE9ELNS1_3repE0EEENS1_30default_config_static_selectorELNS0_4arch9wavefront6targetE1EEEvT1_: ; @_ZN7rocprim17ROCPRIM_400000_NS6detail17trampoline_kernelINS0_14default_configENS1_27scan_by_key_config_selectorIssEEZZNS1_16scan_by_key_implILNS1_25lookback_scan_determinismE0ELb1ES3_N6thrust23THRUST_200600_302600_NS6detail15normal_iteratorINS9_10device_ptrIsEEEESE_SE_sNS9_4plusIvEENS9_8equal_toIsEEsEE10hipError_tPvRmT2_T3_T4_T5_mT6_T7_P12ihipStream_tbENKUlT_T0_E_clISt17integral_constantIbLb1EESZ_EEDaSU_SV_EUlSU_E_NS1_11comp_targetILNS1_3genE5ELNS1_11target_archE942ELNS1_3gpuE9ELNS1_3repE0EEENS1_30default_config_static_selectorELNS0_4arch9wavefront6targetE1EEEvT1_
; %bb.0:
	.section	.rodata,"a",@progbits
	.p2align	6, 0x0
	.amdhsa_kernel _ZN7rocprim17ROCPRIM_400000_NS6detail17trampoline_kernelINS0_14default_configENS1_27scan_by_key_config_selectorIssEEZZNS1_16scan_by_key_implILNS1_25lookback_scan_determinismE0ELb1ES3_N6thrust23THRUST_200600_302600_NS6detail15normal_iteratorINS9_10device_ptrIsEEEESE_SE_sNS9_4plusIvEENS9_8equal_toIsEEsEE10hipError_tPvRmT2_T3_T4_T5_mT6_T7_P12ihipStream_tbENKUlT_T0_E_clISt17integral_constantIbLb1EESZ_EEDaSU_SV_EUlSU_E_NS1_11comp_targetILNS1_3genE5ELNS1_11target_archE942ELNS1_3gpuE9ELNS1_3repE0EEENS1_30default_config_static_selectorELNS0_4arch9wavefront6targetE1EEEvT1_
		.amdhsa_group_segment_fixed_size 0
		.amdhsa_private_segment_fixed_size 0
		.amdhsa_kernarg_size 112
		.amdhsa_user_sgpr_count 6
		.amdhsa_user_sgpr_private_segment_buffer 1
		.amdhsa_user_sgpr_dispatch_ptr 0
		.amdhsa_user_sgpr_queue_ptr 0
		.amdhsa_user_sgpr_kernarg_segment_ptr 1
		.amdhsa_user_sgpr_dispatch_id 0
		.amdhsa_user_sgpr_flat_scratch_init 0
		.amdhsa_user_sgpr_kernarg_preload_length 0
		.amdhsa_user_sgpr_kernarg_preload_offset 0
		.amdhsa_user_sgpr_private_segment_size 0
		.amdhsa_uses_dynamic_stack 0
		.amdhsa_system_sgpr_private_segment_wavefront_offset 0
		.amdhsa_system_sgpr_workgroup_id_x 1
		.amdhsa_system_sgpr_workgroup_id_y 0
		.amdhsa_system_sgpr_workgroup_id_z 0
		.amdhsa_system_sgpr_workgroup_info 0
		.amdhsa_system_vgpr_workitem_id 0
		.amdhsa_next_free_vgpr 1
		.amdhsa_next_free_sgpr 0
		.amdhsa_accum_offset 4
		.amdhsa_reserve_vcc 0
		.amdhsa_reserve_flat_scratch 0
		.amdhsa_float_round_mode_32 0
		.amdhsa_float_round_mode_16_64 0
		.amdhsa_float_denorm_mode_32 3
		.amdhsa_float_denorm_mode_16_64 3
		.amdhsa_dx10_clamp 1
		.amdhsa_ieee_mode 1
		.amdhsa_fp16_overflow 0
		.amdhsa_tg_split 0
		.amdhsa_exception_fp_ieee_invalid_op 0
		.amdhsa_exception_fp_denorm_src 0
		.amdhsa_exception_fp_ieee_div_zero 0
		.amdhsa_exception_fp_ieee_overflow 0
		.amdhsa_exception_fp_ieee_underflow 0
		.amdhsa_exception_fp_ieee_inexact 0
		.amdhsa_exception_int_div_zero 0
	.end_amdhsa_kernel
	.section	.text._ZN7rocprim17ROCPRIM_400000_NS6detail17trampoline_kernelINS0_14default_configENS1_27scan_by_key_config_selectorIssEEZZNS1_16scan_by_key_implILNS1_25lookback_scan_determinismE0ELb1ES3_N6thrust23THRUST_200600_302600_NS6detail15normal_iteratorINS9_10device_ptrIsEEEESE_SE_sNS9_4plusIvEENS9_8equal_toIsEEsEE10hipError_tPvRmT2_T3_T4_T5_mT6_T7_P12ihipStream_tbENKUlT_T0_E_clISt17integral_constantIbLb1EESZ_EEDaSU_SV_EUlSU_E_NS1_11comp_targetILNS1_3genE5ELNS1_11target_archE942ELNS1_3gpuE9ELNS1_3repE0EEENS1_30default_config_static_selectorELNS0_4arch9wavefront6targetE1EEEvT1_,"axG",@progbits,_ZN7rocprim17ROCPRIM_400000_NS6detail17trampoline_kernelINS0_14default_configENS1_27scan_by_key_config_selectorIssEEZZNS1_16scan_by_key_implILNS1_25lookback_scan_determinismE0ELb1ES3_N6thrust23THRUST_200600_302600_NS6detail15normal_iteratorINS9_10device_ptrIsEEEESE_SE_sNS9_4plusIvEENS9_8equal_toIsEEsEE10hipError_tPvRmT2_T3_T4_T5_mT6_T7_P12ihipStream_tbENKUlT_T0_E_clISt17integral_constantIbLb1EESZ_EEDaSU_SV_EUlSU_E_NS1_11comp_targetILNS1_3genE5ELNS1_11target_archE942ELNS1_3gpuE9ELNS1_3repE0EEENS1_30default_config_static_selectorELNS0_4arch9wavefront6targetE1EEEvT1_,comdat
.Lfunc_end652:
	.size	_ZN7rocprim17ROCPRIM_400000_NS6detail17trampoline_kernelINS0_14default_configENS1_27scan_by_key_config_selectorIssEEZZNS1_16scan_by_key_implILNS1_25lookback_scan_determinismE0ELb1ES3_N6thrust23THRUST_200600_302600_NS6detail15normal_iteratorINS9_10device_ptrIsEEEESE_SE_sNS9_4plusIvEENS9_8equal_toIsEEsEE10hipError_tPvRmT2_T3_T4_T5_mT6_T7_P12ihipStream_tbENKUlT_T0_E_clISt17integral_constantIbLb1EESZ_EEDaSU_SV_EUlSU_E_NS1_11comp_targetILNS1_3genE5ELNS1_11target_archE942ELNS1_3gpuE9ELNS1_3repE0EEENS1_30default_config_static_selectorELNS0_4arch9wavefront6targetE1EEEvT1_, .Lfunc_end652-_ZN7rocprim17ROCPRIM_400000_NS6detail17trampoline_kernelINS0_14default_configENS1_27scan_by_key_config_selectorIssEEZZNS1_16scan_by_key_implILNS1_25lookback_scan_determinismE0ELb1ES3_N6thrust23THRUST_200600_302600_NS6detail15normal_iteratorINS9_10device_ptrIsEEEESE_SE_sNS9_4plusIvEENS9_8equal_toIsEEsEE10hipError_tPvRmT2_T3_T4_T5_mT6_T7_P12ihipStream_tbENKUlT_T0_E_clISt17integral_constantIbLb1EESZ_EEDaSU_SV_EUlSU_E_NS1_11comp_targetILNS1_3genE5ELNS1_11target_archE942ELNS1_3gpuE9ELNS1_3repE0EEENS1_30default_config_static_selectorELNS0_4arch9wavefront6targetE1EEEvT1_
                                        ; -- End function
	.section	.AMDGPU.csdata,"",@progbits
; Kernel info:
; codeLenInByte = 0
; NumSgprs: 4
; NumVgprs: 0
; NumAgprs: 0
; TotalNumVgprs: 0
; ScratchSize: 0
; MemoryBound: 0
; FloatMode: 240
; IeeeMode: 1
; LDSByteSize: 0 bytes/workgroup (compile time only)
; SGPRBlocks: 0
; VGPRBlocks: 0
; NumSGPRsForWavesPerEU: 4
; NumVGPRsForWavesPerEU: 1
; AccumOffset: 4
; Occupancy: 8
; WaveLimiterHint : 0
; COMPUTE_PGM_RSRC2:SCRATCH_EN: 0
; COMPUTE_PGM_RSRC2:USER_SGPR: 6
; COMPUTE_PGM_RSRC2:TRAP_HANDLER: 0
; COMPUTE_PGM_RSRC2:TGID_X_EN: 1
; COMPUTE_PGM_RSRC2:TGID_Y_EN: 0
; COMPUTE_PGM_RSRC2:TGID_Z_EN: 0
; COMPUTE_PGM_RSRC2:TIDIG_COMP_CNT: 0
; COMPUTE_PGM_RSRC3_GFX90A:ACCUM_OFFSET: 0
; COMPUTE_PGM_RSRC3_GFX90A:TG_SPLIT: 0
	.section	.text._ZN7rocprim17ROCPRIM_400000_NS6detail17trampoline_kernelINS0_14default_configENS1_27scan_by_key_config_selectorIssEEZZNS1_16scan_by_key_implILNS1_25lookback_scan_determinismE0ELb1ES3_N6thrust23THRUST_200600_302600_NS6detail15normal_iteratorINS9_10device_ptrIsEEEESE_SE_sNS9_4plusIvEENS9_8equal_toIsEEsEE10hipError_tPvRmT2_T3_T4_T5_mT6_T7_P12ihipStream_tbENKUlT_T0_E_clISt17integral_constantIbLb1EESZ_EEDaSU_SV_EUlSU_E_NS1_11comp_targetILNS1_3genE4ELNS1_11target_archE910ELNS1_3gpuE8ELNS1_3repE0EEENS1_30default_config_static_selectorELNS0_4arch9wavefront6targetE1EEEvT1_,"axG",@progbits,_ZN7rocprim17ROCPRIM_400000_NS6detail17trampoline_kernelINS0_14default_configENS1_27scan_by_key_config_selectorIssEEZZNS1_16scan_by_key_implILNS1_25lookback_scan_determinismE0ELb1ES3_N6thrust23THRUST_200600_302600_NS6detail15normal_iteratorINS9_10device_ptrIsEEEESE_SE_sNS9_4plusIvEENS9_8equal_toIsEEsEE10hipError_tPvRmT2_T3_T4_T5_mT6_T7_P12ihipStream_tbENKUlT_T0_E_clISt17integral_constantIbLb1EESZ_EEDaSU_SV_EUlSU_E_NS1_11comp_targetILNS1_3genE4ELNS1_11target_archE910ELNS1_3gpuE8ELNS1_3repE0EEENS1_30default_config_static_selectorELNS0_4arch9wavefront6targetE1EEEvT1_,comdat
	.protected	_ZN7rocprim17ROCPRIM_400000_NS6detail17trampoline_kernelINS0_14default_configENS1_27scan_by_key_config_selectorIssEEZZNS1_16scan_by_key_implILNS1_25lookback_scan_determinismE0ELb1ES3_N6thrust23THRUST_200600_302600_NS6detail15normal_iteratorINS9_10device_ptrIsEEEESE_SE_sNS9_4plusIvEENS9_8equal_toIsEEsEE10hipError_tPvRmT2_T3_T4_T5_mT6_T7_P12ihipStream_tbENKUlT_T0_E_clISt17integral_constantIbLb1EESZ_EEDaSU_SV_EUlSU_E_NS1_11comp_targetILNS1_3genE4ELNS1_11target_archE910ELNS1_3gpuE8ELNS1_3repE0EEENS1_30default_config_static_selectorELNS0_4arch9wavefront6targetE1EEEvT1_ ; -- Begin function _ZN7rocprim17ROCPRIM_400000_NS6detail17trampoline_kernelINS0_14default_configENS1_27scan_by_key_config_selectorIssEEZZNS1_16scan_by_key_implILNS1_25lookback_scan_determinismE0ELb1ES3_N6thrust23THRUST_200600_302600_NS6detail15normal_iteratorINS9_10device_ptrIsEEEESE_SE_sNS9_4plusIvEENS9_8equal_toIsEEsEE10hipError_tPvRmT2_T3_T4_T5_mT6_T7_P12ihipStream_tbENKUlT_T0_E_clISt17integral_constantIbLb1EESZ_EEDaSU_SV_EUlSU_E_NS1_11comp_targetILNS1_3genE4ELNS1_11target_archE910ELNS1_3gpuE8ELNS1_3repE0EEENS1_30default_config_static_selectorELNS0_4arch9wavefront6targetE1EEEvT1_
	.globl	_ZN7rocprim17ROCPRIM_400000_NS6detail17trampoline_kernelINS0_14default_configENS1_27scan_by_key_config_selectorIssEEZZNS1_16scan_by_key_implILNS1_25lookback_scan_determinismE0ELb1ES3_N6thrust23THRUST_200600_302600_NS6detail15normal_iteratorINS9_10device_ptrIsEEEESE_SE_sNS9_4plusIvEENS9_8equal_toIsEEsEE10hipError_tPvRmT2_T3_T4_T5_mT6_T7_P12ihipStream_tbENKUlT_T0_E_clISt17integral_constantIbLb1EESZ_EEDaSU_SV_EUlSU_E_NS1_11comp_targetILNS1_3genE4ELNS1_11target_archE910ELNS1_3gpuE8ELNS1_3repE0EEENS1_30default_config_static_selectorELNS0_4arch9wavefront6targetE1EEEvT1_
	.p2align	8
	.type	_ZN7rocprim17ROCPRIM_400000_NS6detail17trampoline_kernelINS0_14default_configENS1_27scan_by_key_config_selectorIssEEZZNS1_16scan_by_key_implILNS1_25lookback_scan_determinismE0ELb1ES3_N6thrust23THRUST_200600_302600_NS6detail15normal_iteratorINS9_10device_ptrIsEEEESE_SE_sNS9_4plusIvEENS9_8equal_toIsEEsEE10hipError_tPvRmT2_T3_T4_T5_mT6_T7_P12ihipStream_tbENKUlT_T0_E_clISt17integral_constantIbLb1EESZ_EEDaSU_SV_EUlSU_E_NS1_11comp_targetILNS1_3genE4ELNS1_11target_archE910ELNS1_3gpuE8ELNS1_3repE0EEENS1_30default_config_static_selectorELNS0_4arch9wavefront6targetE1EEEvT1_,@function
_ZN7rocprim17ROCPRIM_400000_NS6detail17trampoline_kernelINS0_14default_configENS1_27scan_by_key_config_selectorIssEEZZNS1_16scan_by_key_implILNS1_25lookback_scan_determinismE0ELb1ES3_N6thrust23THRUST_200600_302600_NS6detail15normal_iteratorINS9_10device_ptrIsEEEESE_SE_sNS9_4plusIvEENS9_8equal_toIsEEsEE10hipError_tPvRmT2_T3_T4_T5_mT6_T7_P12ihipStream_tbENKUlT_T0_E_clISt17integral_constantIbLb1EESZ_EEDaSU_SV_EUlSU_E_NS1_11comp_targetILNS1_3genE4ELNS1_11target_archE910ELNS1_3gpuE8ELNS1_3repE0EEENS1_30default_config_static_selectorELNS0_4arch9wavefront6targetE1EEEvT1_: ; @_ZN7rocprim17ROCPRIM_400000_NS6detail17trampoline_kernelINS0_14default_configENS1_27scan_by_key_config_selectorIssEEZZNS1_16scan_by_key_implILNS1_25lookback_scan_determinismE0ELb1ES3_N6thrust23THRUST_200600_302600_NS6detail15normal_iteratorINS9_10device_ptrIsEEEESE_SE_sNS9_4plusIvEENS9_8equal_toIsEEsEE10hipError_tPvRmT2_T3_T4_T5_mT6_T7_P12ihipStream_tbENKUlT_T0_E_clISt17integral_constantIbLb1EESZ_EEDaSU_SV_EUlSU_E_NS1_11comp_targetILNS1_3genE4ELNS1_11target_archE910ELNS1_3gpuE8ELNS1_3repE0EEENS1_30default_config_static_selectorELNS0_4arch9wavefront6targetE1EEEvT1_
; %bb.0:
	s_load_dword s70, s[4:5], 0x20
	s_load_dwordx4 s[60:63], s[4:5], 0x28
	s_load_dwordx2 s[68:69], s[4:5], 0x38
	v_cmp_ne_u32_e64 s[50:51], 0, v0
	v_cmp_eq_u32_e64 s[0:1], 0, v0
	s_and_saveexec_b64 s[2:3], s[0:1]
	s_cbranch_execz .LBB653_4
; %bb.1:
	s_mov_b64 s[8:9], exec
	v_mbcnt_lo_u32_b32 v1, s8, 0
	v_mbcnt_hi_u32_b32 v1, s9, v1
	v_cmp_eq_u32_e32 vcc, 0, v1
                                        ; implicit-def: $vgpr2
	s_and_saveexec_b64 s[6:7], vcc
	s_cbranch_execz .LBB653_3
; %bb.2:
	s_load_dwordx2 s[10:11], s[4:5], 0x68
	s_bcnt1_i32_b64 s8, s[8:9]
	v_mov_b32_e32 v2, 0
	v_mov_b32_e32 v3, s8
	s_waitcnt lgkmcnt(0)
	global_atomic_add v2, v2, v3, s[10:11] glc
.LBB653_3:
	s_or_b64 exec, exec, s[6:7]
	s_waitcnt vmcnt(0)
	v_readfirstlane_b32 s6, v2
	v_add_u32_e32 v1, s6, v1
	v_mov_b32_e32 v2, 0
	ds_write_b32 v2, v1
.LBB653_4:
	s_or_b64 exec, exec, s[2:3]
	s_load_dwordx8 s[52:59], s[4:5], 0x0
	s_load_dword s2, s[4:5], 0x40
	s_load_dwordx4 s[64:67], s[4:5], 0x48
	v_mov_b32_e32 v3, 0
	s_waitcnt lgkmcnt(0)
	s_lshl_b64 s[54:55], s[54:55], 1
	s_barrier
	ds_read_b32 v1, v3
	s_add_u32 s3, s52, s54
	s_addc_u32 s4, s53, s55
	s_add_u32 s5, s56, s54
	s_mul_i32 s7, s69, s2
	s_mul_hi_u32 s8, s68, s2
	s_addc_u32 s6, s57, s55
	s_add_i32 s7, s8, s7
	s_movk_i32 s8, 0x1600
	s_waitcnt lgkmcnt(0)
	v_mul_lo_u32 v2, v1, s8
	v_lshlrev_b64 v[10:11], 1, v[2:3]
	v_mov_b32_e32 v2, s4
	v_add_co_u32_e32 v6, vcc, s3, v10
	v_addc_co_u32_e32 v7, vcc, v2, v11, vcc
	v_mov_b32_e32 v2, s6
	v_add_co_u32_e32 v23, vcc, s5, v10
	s_mul_i32 s2, s68, s2
	v_addc_co_u32_e32 v39, vcc, v2, v11, vcc
	v_mov_b32_e32 v3, s7
	v_add_co_u32_e32 v2, vcc, s2, v1
	s_add_u32 s6, s64, -1
	v_addc_co_u32_e32 v3, vcc, 0, v3, vcc
	s_addc_u32 s7, s65, -1
	v_cmp_le_u64_e64 s[2:3], s[6:7], v[2:3]
	v_readfirstlane_b32 s63, v1
	s_mov_b64 s[4:5], -1
	s_and_b64 vcc, exec, s[2:3]
	s_mul_i32 s33, s6, 0xffffea00
	s_barrier
	s_barrier
	s_cbranch_vccz .LBB653_120
; %bb.5:
	flat_load_ushort v8, v[6:7]
	s_add_i32 s72, s33, s62
	v_cmp_gt_u32_e32 vcc, s72, v0
	s_waitcnt vmcnt(0) lgkmcnt(0)
	v_mov_b32_e32 v9, v8
	s_and_saveexec_b64 s[6:7], vcc
	s_cbranch_execz .LBB653_7
; %bb.6:
	v_lshlrev_b32_e32 v1, 1, v0
	v_add_co_u32_e64 v2, s[4:5], v6, v1
	v_addc_co_u32_e64 v3, s[4:5], 0, v7, s[4:5]
	flat_load_ushort v9, v[2:3]
.LBB653_7:
	s_or_b64 exec, exec, s[6:7]
	v_or_b32_e32 v1, 0x100, v0
	v_cmp_gt_u32_e64 s[6:7], s72, v1
	v_mov_b32_e32 v12, v8
	s_and_saveexec_b64 s[8:9], s[6:7]
	s_cbranch_execz .LBB653_9
; %bb.8:
	v_lshlrev_b32_e32 v1, 1, v0
	v_add_co_u32_e64 v2, s[4:5], v6, v1
	v_addc_co_u32_e64 v3, s[4:5], 0, v7, s[4:5]
	flat_load_ushort v12, v[2:3] offset:512
.LBB653_9:
	s_or_b64 exec, exec, s[8:9]
	v_or_b32_e32 v1, 0x200, v0
	v_cmp_gt_u32_e64 s[8:9], s72, v1
	v_mov_b32_e32 v13, v8
	s_and_saveexec_b64 s[10:11], s[8:9]
	s_cbranch_execz .LBB653_11
; %bb.10:
	v_lshlrev_b32_e32 v1, 1, v0
	v_add_co_u32_e64 v2, s[4:5], v6, v1
	v_addc_co_u32_e64 v3, s[4:5], 0, v7, s[4:5]
	flat_load_ushort v13, v[2:3] offset:1024
.LBB653_11:
	;; [unrolled: 12-line block ×7, first 2 shown]
	s_or_b64 exec, exec, s[20:21]
	v_or_b32_e32 v1, 0x800, v0
	v_cmp_gt_u32_e64 s[20:21], s72, v1
	v_mov_b32_e32 v19, v8
	s_and_saveexec_b64 s[22:23], s[20:21]
	s_cbranch_execz .LBB653_23
; %bb.22:
	v_lshlrev_b32_e32 v2, 1, v1
	v_add_co_u32_e64 v2, s[4:5], v6, v2
	v_addc_co_u32_e64 v3, s[4:5], 0, v7, s[4:5]
	flat_load_ushort v19, v[2:3]
.LBB653_23:
	s_or_b64 exec, exec, s[22:23]
	v_or_b32_e32 v2, 0x900, v0
	v_cmp_gt_u32_e64 s[22:23], s72, v2
	v_mov_b32_e32 v31, v8
	s_and_saveexec_b64 s[24:25], s[22:23]
	s_cbranch_execz .LBB653_25
; %bb.24:
	v_lshlrev_b32_e32 v3, 1, v2
	v_add_co_u32_e64 v4, s[4:5], v6, v3
	v_addc_co_u32_e64 v5, s[4:5], 0, v7, s[4:5]
	flat_load_ushort v31, v[4:5]
.LBB653_25:
	;; [unrolled: 12-line block ×13, first 2 shown]
	s_or_b64 exec, exec, s[48:49]
	v_or_b32_e32 v30, 0x1500, v0
	v_cmp_gt_u32_e64 s[48:49], s72, v30
	s_and_saveexec_b64 s[52:53], s[48:49]
	s_cbranch_execz .LBB653_49
; %bb.48:
	v_lshlrev_b32_e32 v8, 1, v30
	v_add_co_u32_e64 v44, s[4:5], v6, v8
	v_addc_co_u32_e64 v45, s[4:5], 0, v7, s[4:5]
	flat_load_ushort v8, v[44:45]
.LBB653_49:
	s_or_b64 exec, exec, s[52:53]
	v_lshlrev_b32_e32 v22, 1, v0
	s_waitcnt vmcnt(0) lgkmcnt(0)
	ds_write_b16 v22, v9
	ds_write_b16 v22, v12 offset:512
	ds_write_b16 v22, v13 offset:1024
	ds_write_b16 v22, v14 offset:1536
	ds_write_b16 v22, v15 offset:2048
	ds_write_b16 v22, v16 offset:2560
	ds_write_b16 v22, v17 offset:3072
	ds_write_b16 v22, v18 offset:3584
	ds_write_b16 v22, v19 offset:4096
	ds_write_b16 v22, v31 offset:4608
	ds_write_b16 v22, v32 offset:5120
	ds_write_b16 v22, v33 offset:5632
	ds_write_b16 v22, v34 offset:6144
	ds_write_b16 v22, v35 offset:6656
	ds_write_b16 v22, v36 offset:7168
	ds_write_b16 v22, v37 offset:7680
	ds_write_b16 v22, v38 offset:8192
	ds_write_b16 v22, v40 offset:8704
	ds_write_b16 v22, v41 offset:9216
	ds_write_b16 v22, v42 offset:9728
	ds_write_b16 v22, v43 offset:10240
	ds_write_b16 v22, v8 offset:10752
	s_waitcnt lgkmcnt(0)
	s_barrier
	flat_load_ushort v42, v[6:7]
	v_mad_u32_u24 v44, v0, 42, v22
	s_movk_i32 s4, 0xffd6
	v_mad_i32_i24 v31, v0, s4, v44
	s_movk_i32 s4, 0xff
	v_cmp_ne_u32_e64 s[4:5], s4, v0
	ds_read2_b32 v[18:19], v44 offset1:1
	ds_read2_b32 v[16:17], v44 offset0:2 offset1:3
	ds_read2_b32 v[14:15], v44 offset0:4 offset1:5
	;; [unrolled: 1-line block ×4, first 2 shown]
	ds_read_b32 v45, v44 offset:40
	s_waitcnt lgkmcnt(0)
	ds_write_b16 v31, v18 offset:11776
	s_waitcnt lgkmcnt(0)
	s_barrier
	s_and_saveexec_b64 s[52:53], s[4:5]
	s_cbranch_execz .LBB653_51
; %bb.50:
	s_waitcnt vmcnt(0)
	ds_read_u16 v42, v22 offset:11778
.LBB653_51:
	s_or_b64 exec, exec, s[52:53]
	s_waitcnt lgkmcnt(0)
	s_barrier
	s_waitcnt lgkmcnt(0)
                                        ; implicit-def: $vgpr31
	s_and_saveexec_b64 s[4:5], vcc
	s_cbranch_execz .LBB653_193
; %bb.52:
	v_add_co_u32_e32 v32, vcc, v23, v22
	v_addc_co_u32_e32 v33, vcc, 0, v39, vcc
	flat_load_ushort v31, v[32:33]
	s_or_b64 exec, exec, s[4:5]
                                        ; implicit-def: $vgpr32
	s_and_saveexec_b64 s[4:5], s[6:7]
	s_cbranch_execnz .LBB653_194
.LBB653_53:
	s_or_b64 exec, exec, s[4:5]
                                        ; implicit-def: $vgpr33
	s_and_saveexec_b64 s[4:5], s[8:9]
	s_cbranch_execz .LBB653_195
.LBB653_54:
	v_add_co_u32_e32 v34, vcc, v23, v22
	v_addc_co_u32_e32 v35, vcc, 0, v39, vcc
	flat_load_ushort v33, v[34:35] offset:1024
	s_or_b64 exec, exec, s[4:5]
                                        ; implicit-def: $vgpr34
	s_and_saveexec_b64 s[4:5], s[10:11]
	s_cbranch_execnz .LBB653_196
.LBB653_55:
	s_or_b64 exec, exec, s[4:5]
                                        ; implicit-def: $vgpr35
	s_and_saveexec_b64 s[4:5], s[12:13]
	s_cbranch_execz .LBB653_197
.LBB653_56:
	v_add_co_u32_e32 v36, vcc, v23, v22
	v_addc_co_u32_e32 v37, vcc, 0, v39, vcc
	flat_load_ushort v35, v[36:37] offset:2048
	s_or_b64 exec, exec, s[4:5]
                                        ; implicit-def: $vgpr36
	s_and_saveexec_b64 s[4:5], s[14:15]
	s_cbranch_execnz .LBB653_198
.LBB653_57:
	s_or_b64 exec, exec, s[4:5]
                                        ; implicit-def: $vgpr37
	s_and_saveexec_b64 s[4:5], s[16:17]
	s_cbranch_execz .LBB653_199
.LBB653_58:
	v_add_co_u32_e32 v40, vcc, v23, v22
	v_addc_co_u32_e32 v41, vcc, 0, v39, vcc
	flat_load_ushort v37, v[40:41] offset:3072
	s_or_b64 exec, exec, s[4:5]
                                        ; implicit-def: $vgpr38
	s_and_saveexec_b64 s[4:5], s[18:19]
	s_cbranch_execnz .LBB653_200
.LBB653_59:
	s_or_b64 exec, exec, s[4:5]
                                        ; implicit-def: $vgpr40
	s_and_saveexec_b64 s[4:5], s[20:21]
	s_cbranch_execz .LBB653_201
.LBB653_60:
	v_lshlrev_b32_e32 v1, 1, v1
	v_add_co_u32_e32 v40, vcc, v23, v1
	v_addc_co_u32_e32 v41, vcc, 0, v39, vcc
	flat_load_ushort v40, v[40:41]
	s_or_b64 exec, exec, s[4:5]
                                        ; implicit-def: $vgpr1
	s_and_saveexec_b64 s[4:5], s[22:23]
	s_cbranch_execnz .LBB653_202
.LBB653_61:
	s_or_b64 exec, exec, s[4:5]
                                        ; implicit-def: $vgpr2
	s_and_saveexec_b64 s[4:5], s[24:25]
	s_cbranch_execz .LBB653_203
.LBB653_62:
	v_lshlrev_b32_e32 v2, 1, v3
	v_add_co_u32_e32 v2, vcc, v23, v2
	v_addc_co_u32_e32 v3, vcc, 0, v39, vcc
	flat_load_ushort v2, v[2:3]
	s_or_b64 exec, exec, s[4:5]
                                        ; implicit-def: $vgpr3
	s_and_saveexec_b64 s[4:5], s[26:27]
	s_cbranch_execnz .LBB653_204
.LBB653_63:
	s_or_b64 exec, exec, s[4:5]
                                        ; implicit-def: $vgpr4
	s_and_saveexec_b64 s[4:5], s[28:29]
	s_cbranch_execz .LBB653_205
.LBB653_64:
	v_lshlrev_b32_e32 v4, 1, v5
	v_add_co_u32_e32 v4, vcc, v23, v4
	v_addc_co_u32_e32 v5, vcc, 0, v39, vcc
	flat_load_ushort v4, v[4:5]
	s_or_b64 exec, exec, s[4:5]
                                        ; implicit-def: $vgpr5
	s_and_saveexec_b64 s[4:5], s[30:31]
	s_cbranch_execnz .LBB653_206
.LBB653_65:
	s_or_b64 exec, exec, s[4:5]
                                        ; implicit-def: $vgpr20
	s_and_saveexec_b64 s[4:5], s[34:35]
	s_cbranch_execz .LBB653_207
.LBB653_66:
	v_lshlrev_b32_e32 v20, 1, v21
	v_add_co_u32_e32 v20, vcc, v23, v20
	v_addc_co_u32_e32 v21, vcc, 0, v39, vcc
	flat_load_ushort v20, v[20:21]
	s_or_b64 exec, exec, s[4:5]
                                        ; implicit-def: $vgpr21
	s_and_saveexec_b64 s[4:5], s[36:37]
	s_cbranch_execnz .LBB653_208
.LBB653_67:
	s_or_b64 exec, exec, s[4:5]
                                        ; implicit-def: $vgpr24
	s_and_saveexec_b64 s[4:5], s[38:39]
	s_cbranch_execz .LBB653_209
.LBB653_68:
	v_lshlrev_b32_e32 v24, 1, v25
	v_add_co_u32_e32 v24, vcc, v23, v24
	v_addc_co_u32_e32 v25, vcc, 0, v39, vcc
	flat_load_ushort v24, v[24:25]
	s_or_b64 exec, exec, s[4:5]
                                        ; implicit-def: $vgpr25
	s_and_saveexec_b64 s[4:5], s[40:41]
	s_cbranch_execnz .LBB653_210
.LBB653_69:
	s_or_b64 exec, exec, s[4:5]
                                        ; implicit-def: $vgpr26
	s_and_saveexec_b64 s[4:5], s[42:43]
	s_cbranch_execz .LBB653_211
.LBB653_70:
	v_lshlrev_b32_e32 v26, 1, v27
	v_add_co_u32_e32 v26, vcc, v23, v26
	v_addc_co_u32_e32 v27, vcc, 0, v39, vcc
	flat_load_ushort v26, v[26:27]
	s_or_b64 exec, exec, s[4:5]
                                        ; implicit-def: $vgpr27
	s_and_saveexec_b64 s[4:5], s[44:45]
	s_cbranch_execnz .LBB653_212
.LBB653_71:
	s_or_b64 exec, exec, s[4:5]
                                        ; implicit-def: $vgpr28
	s_and_saveexec_b64 s[4:5], s[46:47]
	s_cbranch_execz .LBB653_73
.LBB653_72:
	v_lshlrev_b32_e32 v28, 1, v29
	v_add_co_u32_e32 v28, vcc, v23, v28
	v_addc_co_u32_e32 v29, vcc, 0, v39, vcc
	flat_load_ushort v28, v[28:29]
.LBB653_73:
	s_or_b64 exec, exec, s[4:5]
	v_mul_u32_u24_e32 v46, 22, v0
                                        ; implicit-def: $vgpr29
	s_and_saveexec_b64 s[4:5], s[48:49]
	s_cbranch_execz .LBB653_75
; %bb.74:
	v_lshlrev_b32_e32 v29, 1, v30
	v_add_co_u32_e32 v48, vcc, v23, v29
	v_addc_co_u32_e32 v49, vcc, 0, v39, vcc
	flat_load_ushort v29, v[48:49]
.LBB653_75:
	s_or_b64 exec, exec, s[4:5]
	s_waitcnt vmcnt(0) lgkmcnt(0)
	ds_write_b16 v22, v31
	ds_write_b16 v22, v32 offset:512
	ds_write_b16 v22, v33 offset:1024
	;; [unrolled: 1-line block ×21, first 2 shown]
	v_cmp_gt_u32_e32 vcc, s72, v46
	s_mov_b64 s[4:5], 0
	s_mov_b32 s71, 0
	v_mov_b32_e32 v1, 0
	s_mov_b64 s[10:11], 0
	v_mov_b32_e32 v20, 0
	v_mov_b32_e32 v24, 0
	;; [unrolled: 1-line block ×20, first 2 shown]
	s_waitcnt lgkmcnt(0)
	s_barrier
	s_waitcnt lgkmcnt(0)
                                        ; implicit-def: $sgpr8_sgpr9
                                        ; implicit-def: $vgpr43
	s_and_saveexec_b64 s[6:7], vcc
	s_cbranch_execz .LBB653_119
; %bb.76:
	ds_read_u16 v1, v44
	v_mov_b32_e32 v3, s70
	v_cmp_eq_u16_sdwa vcc, v18, v18 src0_sel:DWORD src1_sel:WORD_1
	v_cmp_ne_u16_sdwa s[8:9], v18, v18 src0_sel:DWORD src1_sel:WORD_1
	v_or_b32_e32 v2, 1, v46
	s_waitcnt lgkmcnt(0)
	v_cndmask_b32_e32 v1, v3, v1, vcc
	v_and_b32_e32 v1, 0xffff, v1
	v_cndmask_b32_e64 v3, 0, 1, s[8:9]
	v_lshl_or_b32 v1, v3, 16, v1
	v_cmp_gt_u32_e32 vcc, s72, v2
	v_mov_b32_e32 v20, 0
	v_mov_b32_e32 v24, 0
	;; [unrolled: 1-line block ×20, first 2 shown]
                                        ; implicit-def: $sgpr12_sgpr13
                                        ; implicit-def: $vgpr43
	s_and_saveexec_b64 s[8:9], vcc
	s_cbranch_execz .LBB653_118
; %bb.77:
	ds_read_b128 v[2:5], v44 offset:2
	v_mov_b32_e32 v20, s70
	v_cmp_eq_u16_sdwa vcc, v18, v19 src0_sel:WORD_1 src1_sel:DWORD
	v_cmp_ne_u16_sdwa s[10:11], v18, v19 src0_sel:WORD_1 src1_sel:DWORD
	v_add_u32_e32 v21, 2, v46
	s_waitcnt lgkmcnt(0)
	v_cndmask_b32_e32 v20, v20, v2, vcc
	v_and_b32_e32 v20, 0xffff, v20
	v_cndmask_b32_e64 v18, 0, 1, s[10:11]
	v_lshl_or_b32 v20, v18, 16, v20
	v_cmp_gt_u32_e32 vcc, s72, v21
	s_mov_b64 s[14:15], 0
	v_mov_b32_e32 v24, 0
	v_mov_b32_e32 v21, 0
	;; [unrolled: 1-line block ×19, first 2 shown]
                                        ; implicit-def: $sgpr12_sgpr13
                                        ; implicit-def: $vgpr43
	s_and_saveexec_b64 s[10:11], vcc
	s_cbranch_execz .LBB653_117
; %bb.78:
	v_lshrrev_b32_e32 v2, 16, v2
	v_mov_b32_e32 v21, s70
	v_cmp_eq_u16_sdwa vcc, v19, v19 src0_sel:DWORD src1_sel:WORD_1
	v_cndmask_b32_e32 v2, v21, v2, vcc
	v_cmp_ne_u16_sdwa s[12:13], v19, v19 src0_sel:DWORD src1_sel:WORD_1
	v_add_u32_e32 v18, 3, v46
	v_and_b32_e32 v2, 0xffff, v2
	v_cndmask_b32_e64 v21, 0, 1, s[12:13]
	v_lshl_or_b32 v24, v21, 16, v2
	v_cmp_gt_u32_e32 vcc, s72, v18
	v_mov_b32_e32 v21, 0
	v_mov_b32_e32 v25, 0
	v_mov_b32_e32 v26, 0
	v_mov_b32_e32 v27, 0
	v_mov_b32_e32 v28, 0
	v_mov_b32_e32 v29, 0
	v_mov_b32_e32 v30, 0
	v_mov_b32_e32 v31, 0
	v_mov_b32_e32 v32, 0
	v_mov_b32_e32 v33, 0
	v_mov_b32_e32 v34, 0
	v_mov_b32_e32 v35, 0
	v_mov_b32_e32 v36, 0
	v_mov_b32_e32 v37, 0
	v_mov_b32_e32 v22, 0
	v_mov_b32_e32 v38, 0
	v_mov_b32_e32 v40, 0
	v_mov_b32_e32 v41, 0
                                        ; implicit-def: $sgpr16_sgpr17
                                        ; implicit-def: $vgpr43
	s_and_saveexec_b64 s[12:13], vcc
	s_cbranch_execz .LBB653_116
; %bb.79:
	v_mov_b32_e32 v18, s70
	v_cmp_eq_u16_sdwa vcc, v19, v16 src0_sel:WORD_1 src1_sel:DWORD
	v_cndmask_b32_e32 v18, v18, v3, vcc
	v_cmp_ne_u16_sdwa s[14:15], v19, v16 src0_sel:WORD_1 src1_sel:DWORD
	v_add_u32_e32 v2, 4, v46
	v_and_b32_e32 v18, 0xffff, v18
	v_cndmask_b32_e64 v19, 0, 1, s[14:15]
	v_lshl_or_b32 v21, v19, 16, v18
	v_cmp_gt_u32_e32 vcc, s72, v2
	s_mov_b64 s[18:19], 0
	v_mov_b32_e32 v25, 0
	v_mov_b32_e32 v26, 0
	;; [unrolled: 1-line block ×17, first 2 shown]
                                        ; implicit-def: $sgpr16_sgpr17
                                        ; implicit-def: $vgpr43
	s_and_saveexec_b64 s[14:15], vcc
	s_cbranch_execz .LBB653_115
; %bb.80:
	v_lshrrev_b32_e32 v2, 16, v3
	v_mov_b32_e32 v18, s70
	v_cmp_eq_u16_sdwa vcc, v16, v16 src0_sel:DWORD src1_sel:WORD_1
	v_cndmask_b32_e32 v2, v18, v2, vcc
	v_cmp_ne_u16_sdwa s[16:17], v16, v16 src0_sel:DWORD src1_sel:WORD_1
	v_add_u32_e32 v3, 5, v46
	v_and_b32_e32 v2, 0xffff, v2
	v_cndmask_b32_e64 v18, 0, 1, s[16:17]
	v_lshl_or_b32 v25, v18, 16, v2
	v_cmp_gt_u32_e32 vcc, s72, v3
	v_mov_b32_e32 v26, 0
	v_mov_b32_e32 v27, 0
	;; [unrolled: 1-line block ×16, first 2 shown]
                                        ; implicit-def: $sgpr20_sgpr21
                                        ; implicit-def: $vgpr43
	s_and_saveexec_b64 s[16:17], vcc
	s_cbranch_execz .LBB653_114
; %bb.81:
	v_mov_b32_e32 v3, s70
	v_cmp_eq_u16_sdwa vcc, v16, v17 src0_sel:WORD_1 src1_sel:DWORD
	v_cndmask_b32_e32 v3, v3, v4, vcc
	v_cmp_ne_u16_sdwa s[18:19], v16, v17 src0_sel:WORD_1 src1_sel:DWORD
	v_add_u32_e32 v2, 6, v46
	v_and_b32_e32 v3, 0xffff, v3
	v_cndmask_b32_e64 v16, 0, 1, s[18:19]
	v_lshl_or_b32 v26, v16, 16, v3
	v_cmp_gt_u32_e32 vcc, s72, v2
	s_mov_b64 s[22:23], 0
	v_mov_b32_e32 v27, 0
	v_mov_b32_e32 v28, 0
	;; [unrolled: 1-line block ×15, first 2 shown]
                                        ; implicit-def: $sgpr20_sgpr21
                                        ; implicit-def: $vgpr43
	s_and_saveexec_b64 s[18:19], vcc
	s_cbranch_execz .LBB653_113
; %bb.82:
	v_lshrrev_b32_e32 v2, 16, v4
	v_mov_b32_e32 v4, s70
	v_cmp_eq_u16_sdwa vcc, v17, v17 src0_sel:DWORD src1_sel:WORD_1
	v_cndmask_b32_e32 v2, v4, v2, vcc
	v_cmp_ne_u16_sdwa s[20:21], v17, v17 src0_sel:DWORD src1_sel:WORD_1
	v_add_u32_e32 v3, 7, v46
	v_and_b32_e32 v2, 0xffff, v2
	v_cndmask_b32_e64 v4, 0, 1, s[20:21]
	v_lshl_or_b32 v27, v4, 16, v2
	v_cmp_gt_u32_e32 vcc, s72, v3
	v_mov_b32_e32 v28, 0
	v_mov_b32_e32 v29, 0
	;; [unrolled: 1-line block ×14, first 2 shown]
                                        ; implicit-def: $sgpr24_sgpr25
                                        ; implicit-def: $vgpr43
	s_and_saveexec_b64 s[20:21], vcc
	s_cbranch_execz .LBB653_112
; %bb.83:
	v_mov_b32_e32 v3, s70
	v_cmp_eq_u16_sdwa vcc, v17, v14 src0_sel:WORD_1 src1_sel:DWORD
	v_cndmask_b32_e32 v3, v3, v5, vcc
	v_cmp_ne_u16_sdwa s[22:23], v17, v14 src0_sel:WORD_1 src1_sel:DWORD
	v_add_u32_e32 v2, 8, v46
	v_and_b32_e32 v3, 0xffff, v3
	v_cndmask_b32_e64 v4, 0, 1, s[22:23]
	v_lshl_or_b32 v28, v4, 16, v3
	v_cmp_gt_u32_e32 vcc, s72, v2
	s_mov_b64 s[26:27], 0
	v_mov_b32_e32 v29, 0
	v_mov_b32_e32 v30, 0
	;; [unrolled: 1-line block ×13, first 2 shown]
                                        ; implicit-def: $sgpr24_sgpr25
                                        ; implicit-def: $vgpr43
	s_and_saveexec_b64 s[22:23], vcc
	s_cbranch_execz .LBB653_111
; %bb.84:
	v_lshrrev_b32_e32 v2, 16, v5
	v_mov_b32_e32 v4, s70
	v_cmp_eq_u16_sdwa vcc, v14, v14 src0_sel:DWORD src1_sel:WORD_1
	v_cndmask_b32_e32 v2, v4, v2, vcc
	v_cmp_ne_u16_sdwa s[24:25], v14, v14 src0_sel:DWORD src1_sel:WORD_1
	v_add_u32_e32 v3, 9, v46
	v_and_b32_e32 v2, 0xffff, v2
	v_cndmask_b32_e64 v4, 0, 1, s[24:25]
	v_lshl_or_b32 v29, v4, 16, v2
	v_cmp_gt_u32_e32 vcc, s72, v3
	v_mov_b32_e32 v30, 0
	v_mov_b32_e32 v31, 0
	;; [unrolled: 1-line block ×12, first 2 shown]
                                        ; implicit-def: $sgpr28_sgpr29
                                        ; implicit-def: $vgpr43
	s_and_saveexec_b64 s[24:25], vcc
	s_cbranch_execz .LBB653_110
; %bb.85:
	ds_read_b128 v[2:5], v44 offset:18
	v_mov_b32_e32 v17, s70
	v_cmp_eq_u16_sdwa vcc, v14, v15 src0_sel:WORD_1 src1_sel:DWORD
	v_cmp_ne_u16_sdwa s[26:27], v14, v15 src0_sel:WORD_1 src1_sel:DWORD
	v_add_u32_e32 v16, 10, v46
	s_waitcnt lgkmcnt(0)
	v_cndmask_b32_e32 v17, v17, v2, vcc
	v_and_b32_e32 v17, 0xffff, v17
	v_cndmask_b32_e64 v14, 0, 1, s[26:27]
	v_lshl_or_b32 v30, v14, 16, v17
	v_cmp_gt_u32_e32 vcc, s72, v16
	s_mov_b64 s[30:31], 0
	v_mov_b32_e32 v31, 0
	v_mov_b32_e32 v32, 0
	;; [unrolled: 1-line block ×11, first 2 shown]
                                        ; implicit-def: $sgpr28_sgpr29
                                        ; implicit-def: $vgpr43
	s_and_saveexec_b64 s[26:27], vcc
	s_cbranch_execz .LBB653_109
; %bb.86:
	v_lshrrev_b32_e32 v2, 16, v2
	v_mov_b32_e32 v16, s70
	v_cmp_eq_u16_sdwa vcc, v15, v15 src0_sel:DWORD src1_sel:WORD_1
	v_cndmask_b32_e32 v2, v16, v2, vcc
	v_cmp_ne_u16_sdwa s[28:29], v15, v15 src0_sel:DWORD src1_sel:WORD_1
	v_add_u32_e32 v14, 11, v46
	v_and_b32_e32 v2, 0xffff, v2
	v_cndmask_b32_e64 v16, 0, 1, s[28:29]
	v_lshl_or_b32 v31, v16, 16, v2
	v_cmp_gt_u32_e32 vcc, s72, v14
	v_mov_b32_e32 v32, 0
	v_mov_b32_e32 v33, 0
	;; [unrolled: 1-line block ×10, first 2 shown]
                                        ; implicit-def: $sgpr34_sgpr35
                                        ; implicit-def: $vgpr43
	s_and_saveexec_b64 s[28:29], vcc
	s_cbranch_execz .LBB653_108
; %bb.87:
	v_mov_b32_e32 v14, s70
	v_cmp_eq_u16_sdwa vcc, v15, v12 src0_sel:WORD_1 src1_sel:DWORD
	v_cndmask_b32_e32 v14, v14, v3, vcc
	v_cmp_ne_u16_sdwa s[30:31], v15, v12 src0_sel:WORD_1 src1_sel:DWORD
	v_add_u32_e32 v2, 12, v46
	v_and_b32_e32 v14, 0xffff, v14
	v_cndmask_b32_e64 v15, 0, 1, s[30:31]
	v_lshl_or_b32 v32, v15, 16, v14
	v_cmp_gt_u32_e32 vcc, s72, v2
	s_mov_b64 s[36:37], 0
	v_mov_b32_e32 v33, 0
	v_mov_b32_e32 v34, 0
	v_mov_b32_e32 v35, 0
	v_mov_b32_e32 v36, 0
	v_mov_b32_e32 v37, 0
	v_mov_b32_e32 v22, 0
	v_mov_b32_e32 v38, 0
	v_mov_b32_e32 v40, 0
	v_mov_b32_e32 v41, 0
                                        ; implicit-def: $sgpr34_sgpr35
                                        ; implicit-def: $vgpr43
	s_and_saveexec_b64 s[30:31], vcc
	s_cbranch_execz .LBB653_107
; %bb.88:
	v_lshrrev_b32_e32 v2, 16, v3
	v_mov_b32_e32 v14, s70
	v_cmp_eq_u16_sdwa vcc, v12, v12 src0_sel:DWORD src1_sel:WORD_1
	v_cndmask_b32_e32 v2, v14, v2, vcc
	v_cmp_ne_u16_sdwa s[34:35], v12, v12 src0_sel:DWORD src1_sel:WORD_1
	v_add_u32_e32 v3, 13, v46
	v_and_b32_e32 v2, 0xffff, v2
	v_cndmask_b32_e64 v14, 0, 1, s[34:35]
	v_lshl_or_b32 v33, v14, 16, v2
	v_cmp_gt_u32_e32 vcc, s72, v3
	v_mov_b32_e32 v34, 0
	v_mov_b32_e32 v35, 0
	;; [unrolled: 1-line block ×8, first 2 shown]
                                        ; implicit-def: $sgpr38_sgpr39
                                        ; implicit-def: $vgpr43
	s_and_saveexec_b64 s[34:35], vcc
	s_cbranch_execz .LBB653_106
; %bb.89:
	v_mov_b32_e32 v3, s70
	v_cmp_eq_u16_sdwa vcc, v12, v13 src0_sel:WORD_1 src1_sel:DWORD
	v_cndmask_b32_e32 v3, v3, v4, vcc
	v_cmp_ne_u16_sdwa s[36:37], v12, v13 src0_sel:WORD_1 src1_sel:DWORD
	v_add_u32_e32 v2, 14, v46
	v_and_b32_e32 v3, 0xffff, v3
	v_cndmask_b32_e64 v12, 0, 1, s[36:37]
	v_lshl_or_b32 v34, v12, 16, v3
	v_cmp_gt_u32_e32 vcc, s72, v2
	s_mov_b64 s[40:41], 0
	v_mov_b32_e32 v35, 0
	v_mov_b32_e32 v36, 0
	;; [unrolled: 1-line block ×7, first 2 shown]
                                        ; implicit-def: $sgpr38_sgpr39
                                        ; implicit-def: $vgpr43
	s_and_saveexec_b64 s[36:37], vcc
	s_cbranch_execz .LBB653_105
; %bb.90:
	v_lshrrev_b32_e32 v2, 16, v4
	v_mov_b32_e32 v4, s70
	v_cmp_eq_u16_sdwa vcc, v13, v13 src0_sel:DWORD src1_sel:WORD_1
	v_cndmask_b32_e32 v2, v4, v2, vcc
	v_cmp_ne_u16_sdwa s[38:39], v13, v13 src0_sel:DWORD src1_sel:WORD_1
	v_add_u32_e32 v3, 15, v46
	v_and_b32_e32 v2, 0xffff, v2
	v_cndmask_b32_e64 v4, 0, 1, s[38:39]
	v_lshl_or_b32 v35, v4, 16, v2
	v_cmp_gt_u32_e32 vcc, s72, v3
	v_mov_b32_e32 v36, 0
	v_mov_b32_e32 v37, 0
	;; [unrolled: 1-line block ×6, first 2 shown]
                                        ; implicit-def: $sgpr42_sgpr43
                                        ; implicit-def: $vgpr43
	s_and_saveexec_b64 s[38:39], vcc
	s_cbranch_execz .LBB653_104
; %bb.91:
	v_mov_b32_e32 v3, s70
	v_cmp_eq_u16_sdwa vcc, v13, v8 src0_sel:WORD_1 src1_sel:DWORD
	v_cndmask_b32_e32 v3, v3, v5, vcc
	v_cmp_ne_u16_sdwa s[40:41], v13, v8 src0_sel:WORD_1 src1_sel:DWORD
	v_add_u32_e32 v2, 16, v46
	v_and_b32_e32 v3, 0xffff, v3
	v_cndmask_b32_e64 v4, 0, 1, s[40:41]
	v_lshl_or_b32 v36, v4, 16, v3
	v_cmp_gt_u32_e32 vcc, s72, v2
	s_mov_b64 s[44:45], 0
	v_mov_b32_e32 v37, 0
	v_mov_b32_e32 v22, 0
	;; [unrolled: 1-line block ×5, first 2 shown]
                                        ; implicit-def: $sgpr42_sgpr43
                                        ; implicit-def: $vgpr43
	s_and_saveexec_b64 s[40:41], vcc
	s_cbranch_execz .LBB653_103
; %bb.92:
	v_lshrrev_b32_e32 v2, 16, v5
	v_mov_b32_e32 v4, s70
	v_cmp_eq_u16_sdwa vcc, v8, v8 src0_sel:DWORD src1_sel:WORD_1
	v_cndmask_b32_e32 v2, v4, v2, vcc
	v_cmp_ne_u16_sdwa s[42:43], v8, v8 src0_sel:DWORD src1_sel:WORD_1
	v_add_u32_e32 v3, 17, v46
	v_and_b32_e32 v2, 0xffff, v2
	v_cndmask_b32_e64 v4, 0, 1, s[42:43]
	v_lshl_or_b32 v37, v4, 16, v2
	v_cmp_gt_u32_e32 vcc, s72, v3
	v_mov_b32_e32 v22, 0
	v_mov_b32_e32 v38, 0
	;; [unrolled: 1-line block ×4, first 2 shown]
                                        ; implicit-def: $sgpr46_sgpr47
                                        ; implicit-def: $vgpr43
	s_and_saveexec_b64 s[42:43], vcc
	s_cbranch_execz .LBB653_102
; %bb.93:
	ds_read_b64 v[2:3], v44 offset:34
	v_mov_b32_e32 v5, s70
	v_cmp_eq_u16_sdwa vcc, v8, v9 src0_sel:WORD_1 src1_sel:DWORD
	v_cmp_ne_u16_sdwa s[44:45], v8, v9 src0_sel:WORD_1 src1_sel:DWORD
	v_add_u32_e32 v4, 18, v46
	s_waitcnt lgkmcnt(0)
	v_cndmask_b32_e32 v5, v5, v2, vcc
	v_and_b32_e32 v5, 0xffff, v5
	v_cndmask_b32_e64 v8, 0, 1, s[44:45]
	v_lshl_or_b32 v22, v8, 16, v5
	v_cmp_gt_u32_e32 vcc, s72, v4
	s_mov_b64 s[48:49], 0
	v_mov_b32_e32 v38, 0
	v_mov_b32_e32 v40, 0
	v_mov_b32_e32 v41, 0
                                        ; implicit-def: $sgpr46_sgpr47
                                        ; implicit-def: $vgpr43
	s_and_saveexec_b64 s[44:45], vcc
	s_cbranch_execz .LBB653_101
; %bb.94:
	v_lshrrev_b32_e32 v2, 16, v2
	v_mov_b32_e32 v5, s70
	v_cmp_eq_u16_sdwa vcc, v9, v9 src0_sel:DWORD src1_sel:WORD_1
	v_cndmask_b32_e32 v2, v5, v2, vcc
	v_cmp_ne_u16_sdwa s[46:47], v9, v9 src0_sel:DWORD src1_sel:WORD_1
	v_add_u32_e32 v4, 19, v46
	v_and_b32_e32 v2, 0xffff, v2
	v_cndmask_b32_e64 v5, 0, 1, s[46:47]
	v_lshl_or_b32 v38, v5, 16, v2
	v_cmp_gt_u32_e32 vcc, s72, v4
	v_mov_b32_e32 v40, 0
	v_mov_b32_e32 v41, 0
                                        ; implicit-def: $sgpr52_sgpr53
                                        ; implicit-def: $vgpr43
	s_and_saveexec_b64 s[46:47], vcc
	s_cbranch_execz .LBB653_100
; %bb.95:
	v_mov_b32_e32 v4, s70
	v_cmp_eq_u16_sdwa vcc, v9, v45 src0_sel:WORD_1 src1_sel:DWORD
	v_cndmask_b32_e32 v4, v4, v3, vcc
	v_cmp_ne_u16_sdwa s[48:49], v9, v45 src0_sel:WORD_1 src1_sel:DWORD
	v_add_u32_e32 v2, 20, v46
	v_and_b32_e32 v4, 0xffff, v4
	v_cndmask_b32_e64 v5, 0, 1, s[48:49]
	v_lshl_or_b32 v40, v5, 16, v4
	v_cmp_gt_u32_e32 vcc, s72, v2
	s_mov_b64 s[56:57], 0
	v_mov_b32_e32 v41, 0
                                        ; implicit-def: $sgpr64_sgpr65
                                        ; implicit-def: $vgpr43
	s_and_saveexec_b64 s[48:49], vcc
	s_cbranch_execz .LBB653_99
; %bb.96:
	v_lshrrev_b32_e32 v2, 16, v3
	v_mov_b32_e32 v4, s70
	v_cmp_eq_u16_sdwa vcc, v45, v45 src0_sel:DWORD src1_sel:WORD_1
	v_cndmask_b32_e32 v2, v4, v2, vcc
	v_cmp_ne_u16_sdwa s[52:53], v45, v45 src0_sel:DWORD src1_sel:WORD_1
	v_add_u32_e32 v3, 21, v46
	v_and_b32_e32 v2, 0xffff, v2
	v_cndmask_b32_e64 v4, 0, 1, s[52:53]
	v_lshl_or_b32 v41, v4, 16, v2
	v_cmp_gt_u32_e32 vcc, s72, v3
	s_mov_b64 s[52:53], 0
                                        ; implicit-def: $sgpr56_sgpr57
                                        ; implicit-def: $vgpr43
	s_and_saveexec_b64 s[64:65], vcc
	s_xor_b64 s[64:65], exec, s[64:65]
	s_cbranch_execz .LBB653_98
; %bb.97:
	ds_read_u16 v2, v44 offset:42
	v_mov_b32_e32 v3, s70
	v_cmp_ne_u16_sdwa vcc, v45, v42 src0_sel:WORD_1 src1_sel:DWORD
	s_mov_b64 s[52:53], exec
	s_and_b64 s[56:57], vcc, exec
	s_waitcnt lgkmcnt(0)
	v_cndmask_b32_e32 v43, v2, v3, vcc
.LBB653_98:
	s_or_b64 exec, exec, s[64:65]
	s_and_b64 s[64:65], s[56:57], exec
	s_and_b64 s[56:57], s[52:53], exec
.LBB653_99:
	s_or_b64 exec, exec, s[48:49]
	s_and_b64 s[52:53], s[64:65], exec
	s_and_b64 s[48:49], s[56:57], exec
.LBB653_100:
	s_or_b64 exec, exec, s[46:47]
	s_and_b64 s[46:47], s[52:53], exec
	s_and_b64 s[48:49], s[48:49], exec
.LBB653_101:
	s_or_b64 exec, exec, s[44:45]
	s_and_b64 s[46:47], s[46:47], exec
	s_and_b64 s[44:45], s[48:49], exec
.LBB653_102:
	s_or_b64 exec, exec, s[42:43]
	s_and_b64 s[42:43], s[46:47], exec
	s_and_b64 s[44:45], s[44:45], exec
.LBB653_103:
	s_or_b64 exec, exec, s[40:41]
	s_and_b64 s[42:43], s[42:43], exec
	s_and_b64 s[40:41], s[44:45], exec
.LBB653_104:
	s_or_b64 exec, exec, s[38:39]
	s_and_b64 s[38:39], s[42:43], exec
	s_and_b64 s[40:41], s[40:41], exec
.LBB653_105:
	s_or_b64 exec, exec, s[36:37]
	s_and_b64 s[38:39], s[38:39], exec
	s_and_b64 s[36:37], s[40:41], exec
.LBB653_106:
	s_or_b64 exec, exec, s[34:35]
	s_and_b64 s[34:35], s[38:39], exec
	s_and_b64 s[36:37], s[36:37], exec
.LBB653_107:
	s_or_b64 exec, exec, s[30:31]
	s_and_b64 s[34:35], s[34:35], exec
	s_and_b64 s[30:31], s[36:37], exec
.LBB653_108:
	s_or_b64 exec, exec, s[28:29]
	s_and_b64 s[28:29], s[34:35], exec
	s_and_b64 s[30:31], s[30:31], exec
.LBB653_109:
	s_or_b64 exec, exec, s[26:27]
	s_and_b64 s[28:29], s[28:29], exec
	s_and_b64 s[26:27], s[30:31], exec
.LBB653_110:
	s_or_b64 exec, exec, s[24:25]
	s_and_b64 s[24:25], s[28:29], exec
	s_and_b64 s[26:27], s[26:27], exec
.LBB653_111:
	s_or_b64 exec, exec, s[22:23]
	s_and_b64 s[24:25], s[24:25], exec
	s_and_b64 s[22:23], s[26:27], exec
.LBB653_112:
	s_or_b64 exec, exec, s[20:21]
	s_and_b64 s[20:21], s[24:25], exec
	s_and_b64 s[22:23], s[22:23], exec
.LBB653_113:
	s_or_b64 exec, exec, s[18:19]
	s_and_b64 s[20:21], s[20:21], exec
	s_and_b64 s[18:19], s[22:23], exec
.LBB653_114:
	s_or_b64 exec, exec, s[16:17]
	s_and_b64 s[16:17], s[20:21], exec
	s_and_b64 s[18:19], s[18:19], exec
.LBB653_115:
	s_or_b64 exec, exec, s[14:15]
	s_and_b64 s[16:17], s[16:17], exec
	s_and_b64 s[14:15], s[18:19], exec
.LBB653_116:
	s_or_b64 exec, exec, s[12:13]
	s_and_b64 s[12:13], s[16:17], exec
	s_and_b64 s[14:15], s[14:15], exec
.LBB653_117:
	s_or_b64 exec, exec, s[10:11]
	s_and_b64 s[12:13], s[12:13], exec
	s_and_b64 s[10:11], s[14:15], exec
.LBB653_118:
	s_or_b64 exec, exec, s[8:9]
	s_and_b64 s[8:9], s[12:13], exec
	s_and_b64 s[10:11], s[10:11], exec
.LBB653_119:
	s_or_b64 exec, exec, s[6:7]
	s_and_b64 vcc, exec, s[4:5]
	v_lshlrev_b32_e32 v42, 1, v0
	s_cbranch_vccnz .LBB653_121
	s_branch .LBB653_126
.LBB653_120:
	s_mov_b64 s[10:11], 0
                                        ; implicit-def: $sgpr8_sgpr9
                                        ; implicit-def: $vgpr43
                                        ; implicit-def: $vgpr1
                                        ; implicit-def: $vgpr20
                                        ; implicit-def: $vgpr24
                                        ; implicit-def: $vgpr21
                                        ; implicit-def: $vgpr25
                                        ; implicit-def: $vgpr26
                                        ; implicit-def: $vgpr27
                                        ; implicit-def: $vgpr28
                                        ; implicit-def: $vgpr29
                                        ; implicit-def: $vgpr30
                                        ; implicit-def: $vgpr31
                                        ; implicit-def: $vgpr32
                                        ; implicit-def: $vgpr33
                                        ; implicit-def: $vgpr34
                                        ; implicit-def: $vgpr35
                                        ; implicit-def: $vgpr36
                                        ; implicit-def: $vgpr37
                                        ; implicit-def: $vgpr22
                                        ; implicit-def: $vgpr38
                                        ; implicit-def: $vgpr40
                                        ; implicit-def: $vgpr41
                                        ; implicit-def: $sgpr71
	s_and_b64 vcc, exec, s[4:5]
	v_lshlrev_b32_e32 v42, 1, v0
	s_cbranch_vccz .LBB653_126
.LBB653_121:
	v_add_co_u32_e32 v2, vcc, v6, v42
	v_addc_co_u32_e32 v3, vcc, 0, v7, vcc
	v_add_co_u32_e32 v4, vcc, 0x1000, v2
	v_addc_co_u32_e32 v5, vcc, 0, v3, vcc
	flat_load_ushort v1, v[2:3]
	flat_load_ushort v8, v[2:3] offset:512
	flat_load_ushort v9, v[2:3] offset:1024
	;; [unrolled: 1-line block ×7, first 2 shown]
	v_add_co_u32_e32 v2, vcc, 0x2000, v2
	v_addc_co_u32_e32 v3, vcc, 0, v3, vcc
	flat_load_ushort v17, v[4:5]
	flat_load_ushort v18, v[4:5] offset:512
	flat_load_ushort v19, v[4:5] offset:1024
	;; [unrolled: 1-line block ×7, first 2 shown]
	s_nop 0
	flat_load_ushort v4, v[2:3]
	flat_load_ushort v5, v[2:3] offset:512
	flat_load_ushort v26, v[2:3] offset:1024
	;; [unrolled: 1-line block ×5, first 2 shown]
	v_add_co_u32_e32 v2, vcc, 0x2000, v6
	v_addc_co_u32_e32 v3, vcc, 0, v7, vcc
	s_movk_i32 s4, 0xffd6
	s_movk_i32 s7, 0x1000
	;; [unrolled: 1-line block ×3, first 2 shown]
	s_waitcnt vmcnt(0) lgkmcnt(0)
	ds_write_b16 v42, v1
	ds_write_b16 v42, v8 offset:512
	ds_write_b16 v42, v9 offset:1024
	;; [unrolled: 1-line block ×21, first 2 shown]
	s_waitcnt lgkmcnt(0)
	s_barrier
	flat_load_ushort v43, v[2:3] offset:3072
	v_mad_u32_u24 v1, v0, 42, v42
	v_mad_i32_i24 v2, v0, s4, v1
	s_movk_i32 s4, 0xff
	v_cmp_ne_u32_e32 vcc, s4, v0
	ds_read2_b32 v[20:21], v1 offset1:1
	ds_read2_b32 v[18:19], v1 offset0:2 offset1:3
	ds_read2_b32 v[16:17], v1 offset0:4 offset1:5
	;; [unrolled: 1-line block ×4, first 2 shown]
	ds_read_b32 v44, v1 offset:40
	s_waitcnt lgkmcnt(0)
	ds_write_b16 v2, v20 offset:11776
	s_waitcnt lgkmcnt(0)
	s_barrier
	s_and_saveexec_b64 s[4:5], vcc
	s_cbranch_execz .LBB653_123
; %bb.122:
	s_waitcnt vmcnt(0)
	ds_read_u16 v43, v42 offset:11778
.LBB653_123:
	s_or_b64 exec, exec, s[4:5]
	v_add_co_u32_e32 v2, vcc, v23, v42
	v_addc_co_u32_e32 v3, vcc, 0, v39, vcc
	v_add_co_u32_e32 v4, vcc, s7, v2
	v_addc_co_u32_e32 v5, vcc, 0, v3, vcc
	s_waitcnt lgkmcnt(0)
	s_barrier
	flat_load_ushort v6, v[2:3]
	flat_load_ushort v7, v[2:3] offset:512
	flat_load_ushort v8, v[2:3] offset:1024
	;; [unrolled: 1-line block ×7, first 2 shown]
	v_add_co_u32_e32 v2, vcc, s6, v2
	v_addc_co_u32_e32 v3, vcc, 0, v3, vcc
	flat_load_ushort v26, v[4:5]
	flat_load_ushort v27, v[4:5] offset:512
	flat_load_ushort v28, v[4:5] offset:1024
	;; [unrolled: 1-line block ×7, first 2 shown]
	s_nop 0
	flat_load_ushort v4, v[2:3]
	flat_load_ushort v5, v[2:3] offset:512
	flat_load_ushort v34, v[2:3] offset:1024
	;; [unrolled: 1-line block ×5, first 2 shown]
	v_cmp_eq_u16_sdwa s[6:7], v20, v20 src0_sel:DWORD src1_sel:WORD_1
	s_waitcnt vmcnt(0) lgkmcnt(0)
	ds_write_b16 v42, v6
	ds_write_b16 v42, v7 offset:512
	ds_write_b16 v42, v8 offset:1024
	;; [unrolled: 1-line block ×21, first 2 shown]
	s_waitcnt lgkmcnt(0)
	s_barrier
	ds_read_b128 v[6:9], v1 offset:2
	ds_read_b128 v[2:5], v1 offset:18
	ds_read_b64 v[22:23], v1 offset:34
	ds_read_u16 v39, v1 offset:42
	v_mov_b32_e32 v24, 0x10000
	v_mov_b32_e32 v25, s70
	s_and_saveexec_b64 s[4:5], s[6:7]
	s_cbranch_execz .LBB653_125
; %bb.124:
	ds_read_u16 v25, v1
	v_mov_b32_e32 v24, 0
.LBB653_125:
	s_or_b64 exec, exec, s[4:5]
	v_mov_b32_e32 v45, s70
	v_cmp_eq_u16_sdwa vcc, v20, v21 src0_sel:WORD_1 src1_sel:DWORD
	s_waitcnt lgkmcnt(3)
	v_lshrrev_b32_e32 v26, 16, v6
	v_cndmask_b32_e32 v6, v45, v6, vcc
	v_cmp_ne_u16_sdwa s[4:5], v20, v21 src0_sel:WORD_1 src1_sel:DWORD
	v_and_b32_e32 v6, 0xffff, v6
	v_cndmask_b32_e64 v20, 0, 1, s[4:5]
	v_cmp_eq_u16_sdwa vcc, v21, v21 src0_sel:DWORD src1_sel:WORD_1
	v_lshl_or_b32 v20, v20, 16, v6
	v_cndmask_b32_e32 v6, v45, v26, vcc
	v_cmp_ne_u16_sdwa s[4:5], v21, v21 src0_sel:DWORD src1_sel:WORD_1
	s_waitcnt lgkmcnt(0)
	v_or_b32_sdwa v1, v24, v25 dst_sel:DWORD dst_unused:UNUSED_PAD src0_sel:DWORD src1_sel:WORD_0
	v_and_b32_e32 v6, 0xffff, v6
	v_cndmask_b32_e64 v24, 0, 1, s[4:5]
	v_cmp_eq_u16_sdwa vcc, v21, v18 src0_sel:WORD_1 src1_sel:DWORD
	v_lshl_or_b32 v24, v24, 16, v6
	v_cndmask_b32_e32 v6, v45, v7, vcc
	v_cmp_ne_u16_sdwa s[4:5], v21, v18 src0_sel:WORD_1 src1_sel:DWORD
	v_lshrrev_b32_e32 v27, 16, v7
	v_and_b32_e32 v6, 0xffff, v6
	v_cndmask_b32_e64 v7, 0, 1, s[4:5]
	v_cmp_eq_u16_sdwa vcc, v18, v18 src0_sel:DWORD src1_sel:WORD_1
	v_lshl_or_b32 v21, v7, 16, v6
	v_cndmask_b32_e32 v6, v45, v27, vcc
	v_cmp_ne_u16_sdwa s[4:5], v18, v18 src0_sel:DWORD src1_sel:WORD_1
	v_and_b32_e32 v6, 0xffff, v6
	v_cndmask_b32_e64 v7, 0, 1, s[4:5]
	v_cmp_eq_u16_sdwa vcc, v18, v19 src0_sel:WORD_1 src1_sel:DWORD
	v_lshl_or_b32 v25, v7, 16, v6
	v_cndmask_b32_e32 v6, v45, v8, vcc
	v_cmp_ne_u16_sdwa s[4:5], v18, v19 src0_sel:WORD_1 src1_sel:DWORD
	v_lshrrev_b32_e32 v28, 16, v8
	v_and_b32_e32 v6, 0xffff, v6
	v_cndmask_b32_e64 v7, 0, 1, s[4:5]
	v_cmp_eq_u16_sdwa vcc, v19, v19 src0_sel:DWORD src1_sel:WORD_1
	v_lshl_or_b32 v26, v7, 16, v6
	v_cndmask_b32_e32 v6, v45, v28, vcc
	v_cmp_ne_u16_sdwa s[4:5], v19, v19 src0_sel:DWORD src1_sel:WORD_1
	;; [unrolled: 13-line block ×3, first 2 shown]
	v_cmp_eq_u16_sdwa vcc, v16, v17 src0_sel:WORD_1 src1_sel:DWORD
	v_lshrrev_b32_e32 v31, 16, v2
	v_and_b32_e32 v6, 0xffff, v6
	v_cndmask_b32_e64 v7, 0, 1, s[4:5]
	v_cndmask_b32_e32 v2, v45, v2, vcc
	v_cmp_ne_u16_sdwa s[4:5], v16, v17 src0_sel:WORD_1 src1_sel:DWORD
	v_lshl_or_b32 v29, v7, 16, v6
	v_and_b32_e32 v2, 0xffff, v2
	v_cndmask_b32_e64 v6, 0, 1, s[4:5]
	v_cmp_eq_u16_sdwa vcc, v17, v17 src0_sel:DWORD src1_sel:WORD_1
	v_lshl_or_b32 v30, v6, 16, v2
	v_cndmask_b32_e32 v2, v45, v31, vcc
	v_cmp_ne_u16_sdwa s[4:5], v17, v17 src0_sel:DWORD src1_sel:WORD_1
	v_and_b32_e32 v2, 0xffff, v2
	v_cndmask_b32_e64 v6, 0, 1, s[4:5]
	v_cmp_eq_u16_sdwa vcc, v17, v14 src0_sel:WORD_1 src1_sel:DWORD
	v_lshl_or_b32 v31, v6, 16, v2
	v_cndmask_b32_e32 v2, v45, v3, vcc
	v_cmp_ne_u16_sdwa s[4:5], v17, v14 src0_sel:WORD_1 src1_sel:DWORD
	v_lshrrev_b32_e32 v33, 16, v3
	v_and_b32_e32 v2, 0xffff, v2
	v_cndmask_b32_e64 v3, 0, 1, s[4:5]
	v_cmp_eq_u16_sdwa vcc, v14, v14 src0_sel:DWORD src1_sel:WORD_1
	v_lshl_or_b32 v32, v3, 16, v2
	v_cndmask_b32_e32 v2, v45, v33, vcc
	v_cmp_ne_u16_sdwa s[4:5], v14, v14 src0_sel:DWORD src1_sel:WORD_1
	v_and_b32_e32 v2, 0xffff, v2
	v_cndmask_b32_e64 v3, 0, 1, s[4:5]
	v_cmp_eq_u16_sdwa vcc, v14, v15 src0_sel:WORD_1 src1_sel:DWORD
	v_lshl_or_b32 v33, v3, 16, v2
	v_cndmask_b32_e32 v2, v45, v4, vcc
	v_cmp_ne_u16_sdwa s[4:5], v14, v15 src0_sel:WORD_1 src1_sel:DWORD
	v_lshrrev_b32_e32 v35, 16, v4
	;; [unrolled: 13-line block ×5, first 2 shown]
	v_and_b32_e32 v2, 0xffff, v2
	v_cndmask_b32_e64 v3, 0, 1, s[4:5]
	v_cmp_eq_u16_sdwa vcc, v44, v44 src0_sel:DWORD src1_sel:WORD_1
	v_lshl_or_b32 v40, v3, 16, v2
	v_cndmask_b32_e32 v2, v45, v41, vcc
	v_cmp_ne_u16_sdwa s[4:5], v44, v44 src0_sel:DWORD src1_sel:WORD_1
	v_and_b32_e32 v2, 0xffff, v2
	v_cndmask_b32_e64 v3, 0, 1, s[4:5]
	v_cmp_ne_u16_sdwa s[8:9], v44, v43 src0_sel:WORD_1 src1_sel:DWORD
	v_lshl_or_b32 v41, v3, 16, v2
	v_cndmask_b32_e64 v43, v39, v45, s[8:9]
	s_mov_b64 s[10:11], -1
                                        ; implicit-def: $sgpr71
.LBB653_126:
	v_mov_b32_e32 v14, s71
	s_and_saveexec_b64 s[4:5], s[10:11]
; %bb.127:
	v_mov_b32_e32 v2, 0x10000
	v_cndmask_b32_e64 v2, 0, v2, s[8:9]
	v_or_b32_sdwa v14, v2, v43 dst_sel:DWORD dst_unused:UNUSED_PAD src0_sel:DWORD src1_sel:WORD_0
; %bb.128:
	s_or_b64 exec, exec, s[4:5]
	v_or3_b32 v2, v14, v41, v40
	s_cmp_lg_u32 s63, 0
	v_or3_b32 v17, v2, v38, v22
	v_lshrrev_b32_e32 v15, 16, v1
	v_lshrrev_b32_e32 v16, 5, v0
	v_cmp_gt_u32_e32 vcc, 64, v0
	s_barrier
	s_cbranch_scc0 .LBB653_213
; %bb.129:
	s_mov_b32 s4, 0x10000
	v_cmp_gt_u32_e64 s[6:7], s4, v20
	v_cndmask_b32_e64 v2, 0, v1, s[6:7]
	v_add_u16_e32 v2, v2, v20
	v_cmp_gt_u32_e64 s[8:9], s4, v24
	v_cndmask_b32_e64 v2, 0, v2, s[8:9]
	v_add_u16_e32 v2, v2, v24
	;; [unrolled: 3-line block ×21, first 2 shown]
	v_or3_b32 v2, v17, v37, v36
	v_or3_b32 v2, v2, v35, v34
	;; [unrolled: 1-line block ×8, first 2 shown]
	v_and_b32_e32 v2, 0x10000, v2
	v_cmp_ne_u32_e64 s[4:5], 0, v2
	v_mov_b32_e32 v5, 0x10000
	v_cndmask_b32_e64 v19, v15, 1, s[4:5]
	v_add_lshl_u32 v2, v16, v0, 2
	ds_write_b16 v2, v18
	ds_write_b8 v2, v19 offset:2
	s_waitcnt lgkmcnt(0)
	s_barrier
	s_and_saveexec_b64 s[48:49], vcc
	s_cbranch_execz .LBB653_143
; %bb.130:
	v_lshlrev_b32_e32 v2, 2, v0
	v_lshrrev_b32_e32 v3, 3, v0
	v_add_lshl_u32 v2, v3, v2, 2
	ds_read_b32 v3, v2
	ds_read_u16 v4, v2 offset:4
	ds_read_u8 v6, v2 offset:6
	ds_read_u16 v7, v2 offset:8
	ds_read_u8 v8, v2 offset:10
	;; [unrolled: 2-line block ×3, first 2 shown]
	v_mov_b32_e32 v13, 0
	s_waitcnt lgkmcnt(4)
	v_cmp_eq_u16_sdwa s[4:5], v6, v13 src0_sel:BYTE_0 src1_sel:DWORD
	v_cndmask_b32_e64 v23, 0, v3, s[4:5]
	v_add_u16_e32 v23, v23, v4
	s_waitcnt lgkmcnt(2)
	v_cmp_eq_u16_sdwa s[4:5], v8, v13 src0_sel:BYTE_0 src1_sel:DWORD
	s_waitcnt lgkmcnt(0)
	v_or_b32_e32 v8, v12, v8
	v_cndmask_b32_e64 v13, 0, v23, s[4:5]
	v_or_b32_e32 v6, v8, v6
	v_add_u16_e32 v7, v13, v7
	v_cmp_eq_u16_e64 s[4:5], 0, v12
	v_and_b32_e32 v6, 1, v6
	v_and_b32_e32 v4, 0x10000, v3
	v_cndmask_b32_e64 v13, 0, v7, s[4:5]
	v_cmp_eq_u32_e64 s[4:5], 1, v6
	v_mbcnt_lo_u32_b32 v6, -1, 0
	v_add_u16_e32 v7, v13, v9
	v_cndmask_b32_e64 v23, v4, v5, s[4:5]
	v_add_u16_e32 v9, v13, v9
	v_and_b32_e32 v5, 0xff000000, v3
	v_mbcnt_hi_u32_b32 v6, -1, v6
	v_or_b32_e32 v12, v23, v5
	v_and_b32_e32 v13, 15, v6
	v_or3_b32 v9, v5, v9, v23
	s_movk_i32 s56, 0xff
	v_lshrrev_b32_e32 v8, 16, v12
	v_mov_b32_dpp v23, v9 row_shr:1 row_mask:0xf bank_mask:0xf
	v_cmp_ne_u32_e64 s[4:5], 0, v13
	s_and_saveexec_b64 s[52:53], s[4:5]
	s_cbranch_execz .LBB653_132
; %bb.131:
	v_and_b32_sdwa v8, v12, s56 dst_sel:DWORD dst_unused:UNUSED_PAD src0_sel:WORD_1 src1_sel:DWORD
	v_cmp_eq_u16_e64 s[4:5], 0, v8
	v_and_b32_e32 v8, 0x10000, v12
	v_mov_b32_e32 v12, 1
	v_cndmask_b32_e64 v9, 0, v23, s[4:5]
	v_and_b32_sdwa v12, v23, v12 dst_sel:DWORD dst_unused:UNUSED_PAD src0_sel:WORD_1 src1_sel:DWORD
	v_cmp_ne_u32_e64 s[4:5], 0, v8
	v_cndmask_b32_e64 v8, v12, 1, s[4:5]
	v_add_u16_e32 v39, v9, v7
	v_lshlrev_b32_e32 v12, 16, v8
	v_add_u16_e32 v7, v9, v7
	v_or3_b32 v9, v12, v7, v5
	v_mov_b32_e32 v7, v39
.LBB653_132:
	s_or_b64 exec, exec, s[52:53]
	v_lshrrev_b32_e32 v12, 16, v9
	v_mov_b32_dpp v23, v9 row_shr:2 row_mask:0xf bank_mask:0xf
	v_cmp_lt_u32_e64 s[4:5], 1, v13
	s_and_saveexec_b64 s[52:53], s[4:5]
	s_cbranch_execz .LBB653_134
; %bb.133:
	v_mov_b32_e32 v8, 0
	v_cmp_eq_u16_sdwa s[4:5], v12, v8 src0_sel:BYTE_0 src1_sel:DWORD
	v_and_b32_e32 v8, 0x10000, v9
	v_mov_b32_e32 v9, 1
	v_cndmask_b32_e64 v12, 0, v23, s[4:5]
	v_and_b32_sdwa v9, v23, v9 dst_sel:DWORD dst_unused:UNUSED_PAD src0_sel:WORD_1 src1_sel:DWORD
	v_cmp_ne_u32_e64 s[4:5], 0, v8
	v_cndmask_b32_e64 v8, v9, 1, s[4:5]
	v_add_u16_e32 v39, v12, v7
	v_lshlrev_b32_e32 v9, 16, v8
	v_add_u16_e32 v7, v12, v7
	v_or3_b32 v9, v9, v7, v5
	v_mov_b32_e32 v12, v8
	v_mov_b32_e32 v7, v39
.LBB653_134:
	s_or_b64 exec, exec, s[52:53]
	v_mov_b32_dpp v23, v9 row_shr:4 row_mask:0xf bank_mask:0xf
	v_cmp_lt_u32_e64 s[4:5], 3, v13
	s_and_saveexec_b64 s[52:53], s[4:5]
	s_cbranch_execz .LBB653_136
; %bb.135:
	v_mov_b32_e32 v8, 0
	v_cmp_eq_u16_sdwa s[4:5], v12, v8 src0_sel:BYTE_0 src1_sel:DWORD
	v_and_b32_e32 v8, 1, v12
	v_mov_b32_e32 v12, 1
	v_cndmask_b32_e64 v9, 0, v23, s[4:5]
	v_and_b32_sdwa v12, v23, v12 dst_sel:DWORD dst_unused:UNUSED_PAD src0_sel:WORD_1 src1_sel:DWORD
	v_cmp_eq_u32_e64 s[4:5], 1, v8
	v_cndmask_b32_e64 v8, v12, 1, s[4:5]
	v_add_u16_e32 v39, v9, v7
	v_lshlrev_b32_e32 v12, 16, v8
	v_add_u16_e32 v7, v9, v7
	v_or3_b32 v9, v12, v7, v5
	v_mov_b32_e32 v12, v8
	v_mov_b32_e32 v7, v39
.LBB653_136:
	s_or_b64 exec, exec, s[52:53]
	v_mov_b32_dpp v23, v9 row_shr:8 row_mask:0xf bank_mask:0xf
	v_cmp_lt_u32_e64 s[4:5], 7, v13
	s_and_saveexec_b64 s[52:53], s[4:5]
	s_cbranch_execz .LBB653_138
; %bb.137:
	v_mov_b32_e32 v8, 0
	v_cmp_eq_u16_sdwa s[4:5], v12, v8 src0_sel:BYTE_0 src1_sel:DWORD
	v_and_b32_e32 v8, 1, v12
	v_mov_b32_e32 v12, 1
	v_cndmask_b32_e64 v9, 0, v23, s[4:5]
	v_and_b32_sdwa v12, v23, v12 dst_sel:DWORD dst_unused:UNUSED_PAD src0_sel:WORD_1 src1_sel:DWORD
	v_cmp_eq_u32_e64 s[4:5], 1, v8
	v_cndmask_b32_e64 v8, v12, 1, s[4:5]
	v_add_u16_e32 v13, v9, v7
	v_lshlrev_b32_e32 v12, 16, v8
	v_add_u16_e32 v7, v9, v7
	v_or3_b32 v9, v12, v7, v5
	v_mov_b32_e32 v12, v8
	v_mov_b32_e32 v7, v13
.LBB653_138:
	s_or_b64 exec, exec, s[52:53]
	v_and_b32_e32 v23, 16, v6
	v_mov_b32_dpp v13, v9 row_bcast:15 row_mask:0xf bank_mask:0xf
	v_cmp_ne_u32_e64 s[4:5], 0, v23
	s_and_saveexec_b64 s[52:53], s[4:5]
	s_cbranch_execz .LBB653_140
; %bb.139:
	v_mov_b32_e32 v8, 0
	v_cmp_eq_u16_sdwa s[4:5], v12, v8 src0_sel:BYTE_0 src1_sel:DWORD
	v_and_b32_e32 v8, 1, v12
	v_mov_b32_e32 v12, 1
	v_cndmask_b32_e64 v9, 0, v13, s[4:5]
	v_and_b32_sdwa v12, v13, v12 dst_sel:DWORD dst_unused:UNUSED_PAD src0_sel:WORD_1 src1_sel:DWORD
	v_cmp_eq_u32_e64 s[4:5], 1, v8
	v_cndmask_b32_e64 v8, v12, 1, s[4:5]
	v_add_u16_e32 v23, v9, v7
	v_lshlrev_b32_e32 v12, 16, v8
	v_add_u16_e32 v7, v9, v7
	v_or3_b32 v9, v12, v7, v5
	v_mov_b32_e32 v12, v8
	v_mov_b32_e32 v7, v23
.LBB653_140:
	s_or_b64 exec, exec, s[52:53]
	v_mov_b32_dpp v9, v9 row_bcast:31 row_mask:0xf bank_mask:0xf
	v_cmp_lt_u32_e64 s[4:5], 31, v6
	s_and_saveexec_b64 s[52:53], s[4:5]
; %bb.141:
	v_mov_b32_e32 v8, 0
	v_cmp_eq_u16_sdwa s[4:5], v12, v8 src0_sel:BYTE_0 src1_sel:DWORD
	v_cndmask_b32_e64 v8, 0, v9, s[4:5]
	v_add_u16_e32 v7, v8, v7
	v_and_b32_e32 v8, 1, v12
	v_mov_b32_e32 v12, 1
	v_and_b32_sdwa v9, v9, v12 dst_sel:DWORD dst_unused:UNUSED_PAD src0_sel:WORD_1 src1_sel:DWORD
	v_cmp_eq_u32_e64 s[4:5], 1, v8
	v_cndmask_b32_e64 v8, v9, 1, s[4:5]
; %bb.142:
	s_or_b64 exec, exec, s[52:53]
	v_and_b32_e32 v8, 0xff, v8
	v_lshlrev_b32_e32 v8, 16, v8
	v_and_b32_e32 v7, 0xffff, v7
	v_or3_b32 v5, v8, v7, v5
	v_add_u32_e32 v7, -1, v6
	v_and_b32_e32 v8, 64, v6
	v_cmp_lt_i32_e64 s[4:5], v7, v8
	v_cndmask_b32_e64 v6, v7, v6, s[4:5]
	v_lshlrev_b32_e32 v6, 2, v6
	ds_bpermute_b32 v5, v6, v5
	v_and_b32_e32 v6, 0xff0000, v3
	v_cmp_eq_u32_e64 s[4:5], 0, v6
	; wave barrier
	s_waitcnt lgkmcnt(0)
	v_cndmask_b32_e64 v6, 0, v5, s[4:5]
	v_add_u16_e32 v3, v6, v3
	v_mov_b32_e32 v6, 1
	v_and_b32_sdwa v5, v5, v6 dst_sel:DWORD dst_unused:UNUSED_PAD src0_sel:WORD_1 src1_sel:DWORD
	v_cmp_eq_u32_e64 s[4:5], 0, v4
	v_cndmask_b32_e64 v4, 1, v5, s[4:5]
	v_cndmask_b32_e64 v3, v3, v18, s[0:1]
	;; [unrolled: 1-line block ×3, first 2 shown]
	ds_write_b16 v2, v3
	ds_write_b8 v2, v4 offset:2
	; wave barrier
	ds_read_u16 v5, v2 offset:4
	ds_read_u8 v6, v2 offset:6
	ds_read_u16 v7, v2 offset:8
	ds_read_u8 v8, v2 offset:10
	;; [unrolled: 2-line block ×3, first 2 shown]
	s_waitcnt lgkmcnt(4)
	v_cmp_eq_u16_e64 s[4:5], 0, v6
	v_cndmask_b32_e64 v3, 0, v3, s[4:5]
	v_add_u16_e32 v3, v3, v5
	v_and_b32_e32 v5, 1, v6
	v_cmp_eq_u32_e64 s[4:5], 1, v5
	v_cndmask_b32_e64 v4, v4, 1, s[4:5]
	s_waitcnt lgkmcnt(2)
	v_cmp_eq_u16_e64 s[4:5], 0, v8
	v_and_b32_e32 v5, 1, v8
	ds_write_b16 v2, v3 offset:4
	ds_write_b8 v2, v4 offset:6
	v_cndmask_b32_e64 v3, 0, v3, s[4:5]
	v_cmp_eq_u32_e64 s[4:5], 1, v5
	v_add_u16_e32 v3, v3, v7
	v_cndmask_b32_e64 v4, v4, 1, s[4:5]
	s_waitcnt lgkmcnt(2)
	v_cmp_eq_u16_e64 s[4:5], 0, v12
	ds_write_b16 v2, v3 offset:8
	ds_write_b8 v2, v4 offset:10
	v_cndmask_b32_e64 v3, 0, v3, s[4:5]
	v_and_b32_e32 v5, 1, v12
	v_add_u16_e32 v3, v3, v9
	v_cmp_eq_u32_e64 s[4:5], 1, v5
	v_cndmask_b32_e64 v4, v4, 1, s[4:5]
	ds_write_b16 v2, v3 offset:12
	ds_write_b8 v2, v4 offset:14
.LBB653_143:
	s_or_b64 exec, exec, s[48:49]
	s_waitcnt lgkmcnt(0)
	s_barrier
	s_and_saveexec_b64 s[4:5], s[50:51]
	s_cbranch_execz .LBB653_145
; %bb.144:
	v_add_u32_e32 v2, -1, v0
	v_lshrrev_b32_e32 v3, 5, v2
	v_add_lshl_u32 v2, v3, v2, 2
	ds_read_u16 v18, v2
	ds_read_u8 v19, v2 offset:2
.LBB653_145:
	s_or_b64 exec, exec, s[4:5]
	s_and_saveexec_b64 s[4:5], vcc
	s_cbranch_execz .LBB653_192
; %bb.146:
	v_mov_b32_e32 v13, 0
	ds_read_b32 v2, v13 offset:1048
	v_mbcnt_lo_u32_b32 v3, -1, 0
	v_mbcnt_hi_u32_b32 v5, -1, v3
	s_mov_b32 s57, 0
	v_cmp_eq_u32_e64 s[48:49], 0, v5
	s_and_saveexec_b64 s[52:53], s[48:49]
	s_cbranch_execz .LBB653_148
; %bb.147:
	s_add_i32 s56, s63, 64
	s_lshl_b64 s[56:57], s[56:57], 3
	s_add_u32 s56, s60, s56
	v_mov_b32_e32 v3, 1
	s_addc_u32 s57, s61, s57
	s_waitcnt lgkmcnt(0)
	global_store_dwordx2 v13, v[2:3], s[56:57]
.LBB653_148:
	s_or_b64 exec, exec, s[52:53]
	v_xad_u32 v4, v5, -1, s63
	v_add_u32_e32 v12, 64, v4
	v_lshlrev_b64 v[6:7], 3, v[12:13]
	v_mov_b32_e32 v3, s61
	v_add_co_u32_e32 v6, vcc, s60, v6
	v_addc_co_u32_e32 v7, vcc, v3, v7, vcc
	global_load_dwordx2 v[8:9], v[6:7], off glc
	s_waitcnt vmcnt(0)
	v_cmp_eq_u16_sdwa s[56:57], v9, v13 src0_sel:BYTE_0 src1_sel:DWORD
	s_and_saveexec_b64 s[52:53], s[56:57]
	s_cbranch_execz .LBB653_154
; %bb.149:
	s_mov_b32 s64, 1
	s_mov_b64 s[56:57], 0
	v_mov_b32_e32 v3, 0
.LBB653_150:                            ; =>This Loop Header: Depth=1
                                        ;     Child Loop BB653_151 Depth 2
	s_max_u32 s65, s64, 1
.LBB653_151:                            ;   Parent Loop BB653_150 Depth=1
                                        ; =>  This Inner Loop Header: Depth=2
	s_add_i32 s65, s65, -1
	s_cmp_eq_u32 s65, 0
	s_sleep 1
	s_cbranch_scc0 .LBB653_151
; %bb.152:                              ;   in Loop: Header=BB653_150 Depth=1
	global_load_dwordx2 v[8:9], v[6:7], off glc
	s_cmp_lt_u32 s64, 32
	s_cselect_b64 s[72:73], -1, 0
	s_cmp_lg_u64 s[72:73], 0
	s_addc_u32 s64, s64, 0
	s_waitcnt vmcnt(0)
	v_cmp_ne_u16_sdwa s[72:73], v9, v3 src0_sel:BYTE_0 src1_sel:DWORD
	s_or_b64 s[56:57], s[72:73], s[56:57]
	s_andn2_b64 exec, exec, s[56:57]
	s_cbranch_execnz .LBB653_150
; %bb.153:
	s_or_b64 exec, exec, s[56:57]
.LBB653_154:
	s_or_b64 exec, exec, s[52:53]
	v_mov_b32_e32 v3, 2
	v_cmp_eq_u16_sdwa s[52:53], v9, v3 src0_sel:BYTE_0 src1_sel:DWORD
	v_lshlrev_b64 v[6:7], v5, -1
	v_and_b32_e32 v3, s53, v7
	v_or_b32_e32 v3, 0x80000000, v3
	v_ffbl_b32_e32 v3, v3
	v_add_u32_e32 v13, 32, v3
	v_and_b32_e32 v3, 63, v5
	v_cmp_ne_u32_e32 vcc, 63, v3
	v_addc_co_u32_e32 v23, vcc, 0, v5, vcc
	v_and_b32_e32 v52, 0xffffff, v8
	v_lshlrev_b32_e32 v23, 2, v23
	ds_bpermute_b32 v39, v23, v52
	v_and_b32_e32 v12, s52, v6
	v_ffbl_b32_e32 v12, v12
	v_min_u32_e32 v13, v12, v13
	v_lshrrev_b32_e32 v12, 16, v8
	v_cmp_lt_u32_e32 vcc, v3, v13
	v_bfe_u32 v50, v8, 16, 8
	s_and_saveexec_b64 s[52:53], vcc
	s_cbranch_execz .LBB653_156
; %bb.155:
	v_and_b32_e32 v12, 0xff0000, v8
	v_cmp_eq_u32_e32 vcc, 0, v12
	v_and_b32_e32 v12, 0x10000, v12
	v_mov_b32_e32 v45, 1
	s_waitcnt lgkmcnt(0)
	v_cndmask_b32_e32 v43, 0, v39, vcc
	v_and_b32_sdwa v39, v39, v45 dst_sel:DWORD dst_unused:UNUSED_PAD src0_sel:WORD_1 src1_sel:DWORD
	v_cmp_ne_u32_e32 vcc, 0, v12
	v_cndmask_b32_e64 v12, v39, 1, vcc
	v_add_u16_e32 v44, v43, v8
	v_lshlrev_b32_e32 v39, 16, v12
	v_add_u16_e32 v8, v43, v8
	v_or_b32_e32 v52, v39, v8
	v_mov_b32_e32 v8, v44
	v_mov_b32_e32 v50, v12
.LBB653_156:
	s_or_b64 exec, exec, s[52:53]
	v_cmp_gt_u32_e32 vcc, 62, v3
	s_waitcnt lgkmcnt(0)
	v_cndmask_b32_e64 v39, 0, 1, vcc
	v_lshlrev_b32_e32 v39, 1, v39
	v_add_lshl_u32 v39, v39, v5, 2
	ds_bpermute_b32 v44, v39, v52
	v_add_u32_e32 v43, 2, v3
	v_cmp_le_u32_e32 vcc, v43, v13
	s_and_saveexec_b64 s[52:53], vcc
	s_cbranch_execz .LBB653_158
; %bb.157:
	v_cmp_eq_u16_e32 vcc, 0, v50
	v_and_b32_e32 v12, 1, v50
	v_mov_b32_e32 v47, 1
	s_waitcnt lgkmcnt(0)
	v_cndmask_b32_e32 v45, 0, v44, vcc
	v_and_b32_sdwa v44, v44, v47 dst_sel:DWORD dst_unused:UNUSED_PAD src0_sel:WORD_1 src1_sel:DWORD
	v_cmp_eq_u32_e32 vcc, 1, v12
	v_cndmask_b32_e64 v12, v44, 1, vcc
	v_add_u16_e32 v46, v45, v8
	v_lshlrev_b32_e32 v44, 16, v12
	v_add_u16_e32 v8, v45, v8
	v_or_b32_e32 v52, v44, v8
	v_mov_b32_e32 v8, v46
	v_mov_b32_e32 v50, v12
.LBB653_158:
	s_or_b64 exec, exec, s[52:53]
	v_cmp_gt_u32_e32 vcc, 60, v3
	s_waitcnt lgkmcnt(0)
	v_cndmask_b32_e64 v44, 0, 1, vcc
	v_lshlrev_b32_e32 v44, 2, v44
	v_add_lshl_u32 v44, v44, v5, 2
	ds_bpermute_b32 v46, v44, v52
	v_add_u32_e32 v45, 4, v3
	v_cmp_le_u32_e32 vcc, v45, v13
	s_and_saveexec_b64 s[52:53], vcc
	s_cbranch_execz .LBB653_160
; %bb.159:
	v_cmp_eq_u16_e32 vcc, 0, v50
	v_and_b32_e32 v12, 1, v50
	v_mov_b32_e32 v49, 1
	s_waitcnt lgkmcnt(0)
	v_cndmask_b32_e32 v47, 0, v46, vcc
	v_and_b32_sdwa v46, v46, v49 dst_sel:DWORD dst_unused:UNUSED_PAD src0_sel:WORD_1 src1_sel:DWORD
	v_cmp_eq_u32_e32 vcc, 1, v12
	v_cndmask_b32_e64 v12, v46, 1, vcc
	v_add_u16_e32 v48, v47, v8
	v_lshlrev_b32_e32 v46, 16, v12
	v_add_u16_e32 v8, v47, v8
	v_or_b32_e32 v52, v46, v8
	v_mov_b32_e32 v8, v48
	v_mov_b32_e32 v50, v12
.LBB653_160:
	;; [unrolled: 27-line block ×4, first 2 shown]
	s_or_b64 exec, exec, s[52:53]
	v_cmp_gt_u32_e32 vcc, 32, v3
	s_waitcnt lgkmcnt(0)
	v_cndmask_b32_e64 v51, 0, 1, vcc
	v_lshlrev_b32_e32 v51, 5, v51
	v_add_lshl_u32 v51, v51, v5, 2
	ds_bpermute_b32 v5, v51, v52
	v_add_u32_e32 v52, 32, v3
	v_cmp_le_u32_e32 vcc, v52, v13
	s_and_saveexec_b64 s[52:53], vcc
	s_cbranch_execz .LBB653_166
; %bb.165:
	v_cmp_eq_u16_e32 vcc, 0, v50
	s_waitcnt lgkmcnt(0)
	v_cndmask_b32_e32 v12, 0, v5, vcc
	v_add_u16_e32 v8, v12, v8
	v_and_b32_e32 v12, 1, v50
	v_mov_b32_e32 v13, 1
	v_and_b32_sdwa v5, v5, v13 dst_sel:DWORD dst_unused:UNUSED_PAD src0_sel:WORD_1 src1_sel:DWORD
	v_cmp_eq_u32_e32 vcc, 1, v12
	v_cndmask_b32_e64 v12, v5, 1, vcc
.LBB653_166:
	s_or_b64 exec, exec, s[52:53]
	s_waitcnt lgkmcnt(0)
	v_mov_b32_e32 v5, 0
	v_mov_b32_e32 v54, 2
	;; [unrolled: 1-line block ×3, first 2 shown]
	s_branch .LBB653_168
.LBB653_167:                            ;   in Loop: Header=BB653_168 Depth=1
	s_or_b64 exec, exec, s[52:53]
	v_cmp_eq_u16_sdwa vcc, v50, v5 src0_sel:BYTE_0 src1_sel:DWORD
	v_and_b32_e32 v12, 1, v50
	v_cndmask_b32_e32 v8, 0, v8, vcc
	v_and_b32_e32 v13, 1, v13
	v_cmp_eq_u32_e32 vcc, 1, v12
	v_subrev_u32_e32 v4, 64, v4
	v_add_u16_e32 v8, v8, v53
	v_cndmask_b32_e64 v12, v13, 1, vcc
.LBB653_168:                            ; =>This Loop Header: Depth=1
                                        ;     Child Loop BB653_171 Depth 2
                                        ;       Child Loop BB653_172 Depth 3
	v_cmp_ne_u16_sdwa s[52:53], v9, v54 src0_sel:BYTE_0 src1_sel:DWORD
	v_cndmask_b32_e64 v9, 0, 1, s[52:53]
	;;#ASMSTART
	;;#ASMEND
	v_cmp_ne_u32_e32 vcc, 0, v9
	v_mov_b32_e32 v50, v12
	s_cmp_lg_u64 vcc, exec
	v_mov_b32_e32 v53, v8
	s_cbranch_scc1 .LBB653_187
; %bb.169:                              ;   in Loop: Header=BB653_168 Depth=1
	v_lshlrev_b64 v[8:9], 3, v[4:5]
	v_mov_b32_e32 v13, s61
	v_add_co_u32_e32 v12, vcc, s60, v8
	v_addc_co_u32_e32 v13, vcc, v13, v9, vcc
	global_load_dwordx2 v[8:9], v[12:13], off glc
	s_waitcnt vmcnt(0)
	v_cmp_eq_u16_sdwa s[56:57], v9, v5 src0_sel:BYTE_0 src1_sel:DWORD
	s_and_saveexec_b64 s[52:53], s[56:57]
	s_cbranch_execz .LBB653_175
; %bb.170:                              ;   in Loop: Header=BB653_168 Depth=1
	s_mov_b32 s64, 1
	s_mov_b64 s[56:57], 0
.LBB653_171:                            ;   Parent Loop BB653_168 Depth=1
                                        ; =>  This Loop Header: Depth=2
                                        ;       Child Loop BB653_172 Depth 3
	s_max_u32 s65, s64, 1
.LBB653_172:                            ;   Parent Loop BB653_168 Depth=1
                                        ;     Parent Loop BB653_171 Depth=2
                                        ; =>    This Inner Loop Header: Depth=3
	s_add_i32 s65, s65, -1
	s_cmp_eq_u32 s65, 0
	s_sleep 1
	s_cbranch_scc0 .LBB653_172
; %bb.173:                              ;   in Loop: Header=BB653_171 Depth=2
	global_load_dwordx2 v[8:9], v[12:13], off glc
	s_cmp_lt_u32 s64, 32
	s_cselect_b64 s[72:73], -1, 0
	s_cmp_lg_u64 s[72:73], 0
	s_addc_u32 s64, s64, 0
	s_waitcnt vmcnt(0)
	v_cmp_ne_u16_sdwa s[72:73], v9, v5 src0_sel:BYTE_0 src1_sel:DWORD
	s_or_b64 s[56:57], s[72:73], s[56:57]
	s_andn2_b64 exec, exec, s[56:57]
	s_cbranch_execnz .LBB653_171
; %bb.174:                              ;   in Loop: Header=BB653_168 Depth=1
	s_or_b64 exec, exec, s[56:57]
.LBB653_175:                            ;   in Loop: Header=BB653_168 Depth=1
	s_or_b64 exec, exec, s[52:53]
	v_cmp_eq_u16_sdwa s[52:53], v9, v54 src0_sel:BYTE_0 src1_sel:DWORD
	v_and_b32_e32 v12, s53, v7
	s_waitcnt lgkmcnt(0)
	v_and_b32_e32 v57, 0xffffff, v8
	v_or_b32_e32 v12, 0x80000000, v12
	ds_bpermute_b32 v58, v23, v57
	v_and_b32_e32 v13, s52, v6
	v_ffbl_b32_e32 v12, v12
	v_add_u32_e32 v12, 32, v12
	v_ffbl_b32_e32 v13, v13
	v_min_u32_e32 v12, v13, v12
	v_lshrrev_b32_e32 v13, 16, v8
	v_cmp_lt_u32_e32 vcc, v3, v12
	v_bfe_u32 v56, v8, 16, 8
	s_and_saveexec_b64 s[52:53], vcc
	s_cbranch_execz .LBB653_177
; %bb.176:                              ;   in Loop: Header=BB653_168 Depth=1
	v_and_b32_e32 v13, 0xff0000, v8
	v_cmp_eq_u32_e32 vcc, 0, v13
	v_and_b32_e32 v13, 0x10000, v13
	s_waitcnt lgkmcnt(0)
	v_cndmask_b32_e32 v56, 0, v58, vcc
	v_and_b32_sdwa v57, v58, v55 dst_sel:DWORD dst_unused:UNUSED_PAD src0_sel:WORD_1 src1_sel:DWORD
	v_cmp_ne_u32_e32 vcc, 0, v13
	v_cndmask_b32_e64 v13, v57, 1, vcc
	v_add_u16_e32 v59, v56, v8
	v_lshlrev_b32_e32 v57, 16, v13
	v_add_u16_e32 v8, v56, v8
	v_or_b32_e32 v57, v57, v8
	v_mov_b32_e32 v8, v59
	v_mov_b32_e32 v56, v13
.LBB653_177:                            ;   in Loop: Header=BB653_168 Depth=1
	s_or_b64 exec, exec, s[52:53]
	s_waitcnt lgkmcnt(0)
	ds_bpermute_b32 v58, v39, v57
	v_cmp_le_u32_e32 vcc, v43, v12
	s_and_saveexec_b64 s[52:53], vcc
	s_cbranch_execz .LBB653_179
; %bb.178:                              ;   in Loop: Header=BB653_168 Depth=1
	v_cmp_eq_u16_e32 vcc, 0, v56
	v_and_b32_e32 v13, 1, v56
	s_waitcnt lgkmcnt(0)
	v_cndmask_b32_e32 v57, 0, v58, vcc
	v_and_b32_sdwa v56, v58, v55 dst_sel:DWORD dst_unused:UNUSED_PAD src0_sel:WORD_1 src1_sel:DWORD
	v_cmp_eq_u32_e32 vcc, 1, v13
	v_cndmask_b32_e64 v13, v56, 1, vcc
	v_add_u16_e32 v59, v57, v8
	v_lshlrev_b32_e32 v56, 16, v13
	v_add_u16_e32 v8, v57, v8
	v_or_b32_e32 v57, v56, v8
	v_mov_b32_e32 v8, v59
	v_mov_b32_e32 v56, v13
.LBB653_179:                            ;   in Loop: Header=BB653_168 Depth=1
	s_or_b64 exec, exec, s[52:53]
	s_waitcnt lgkmcnt(0)
	ds_bpermute_b32 v58, v44, v57
	v_cmp_le_u32_e32 vcc, v45, v12
	s_and_saveexec_b64 s[52:53], vcc
	s_cbranch_execz .LBB653_181
; %bb.180:                              ;   in Loop: Header=BB653_168 Depth=1
	v_cmp_eq_u16_e32 vcc, 0, v56
	v_and_b32_e32 v13, 1, v56
	s_waitcnt lgkmcnt(0)
	v_cndmask_b32_e32 v57, 0, v58, vcc
	v_and_b32_sdwa v56, v58, v55 dst_sel:DWORD dst_unused:UNUSED_PAD src0_sel:WORD_1 src1_sel:DWORD
	v_cmp_eq_u32_e32 vcc, 1, v13
	v_cndmask_b32_e64 v13, v56, 1, vcc
	v_add_u16_e32 v59, v57, v8
	v_lshlrev_b32_e32 v56, 16, v13
	v_add_u16_e32 v8, v57, v8
	v_or_b32_e32 v57, v56, v8
	v_mov_b32_e32 v8, v59
	v_mov_b32_e32 v56, v13
.LBB653_181:                            ;   in Loop: Header=BB653_168 Depth=1
	;; [unrolled: 21-line block ×4, first 2 shown]
	s_or_b64 exec, exec, s[52:53]
	ds_bpermute_b32 v57, v51, v57
	v_cmp_le_u32_e32 vcc, v52, v12
	s_and_saveexec_b64 s[52:53], vcc
	s_cbranch_execz .LBB653_167
; %bb.186:                              ;   in Loop: Header=BB653_168 Depth=1
	v_cmp_eq_u16_e32 vcc, 0, v56
	s_waitcnt lgkmcnt(0)
	v_cndmask_b32_e32 v12, 0, v57, vcc
	v_add_u16_e32 v8, v12, v8
	v_and_b32_e32 v12, 1, v56
	v_lshrrev_b32_e32 v13, 16, v57
	v_cmp_eq_u32_e32 vcc, 1, v12
	v_cndmask_b32_e64 v13, v13, 1, vcc
	s_branch .LBB653_167
.LBB653_187:                            ;   in Loop: Header=BB653_168 Depth=1
                                        ; implicit-def: $vgpr12
                                        ; implicit-def: $vgpr8
	s_cbranch_execz .LBB653_168
; %bb.188:
	s_and_saveexec_b64 s[52:53], s[48:49]
	s_cbranch_execz .LBB653_190
; %bb.189:
	v_and_b32_e32 v3, 0xff0000, v2
	s_mov_b32 s49, 0
	v_cmp_eq_u32_e32 vcc, 0, v3
	v_and_b32_e32 v4, 0x10000, v2
	v_mov_b32_e32 v5, 1
	s_add_i32 s48, s63, 64
	v_cndmask_b32_e32 v3, 0, v53, vcc
	v_and_b32_sdwa v5, v50, v5 dst_sel:WORD_1 dst_unused:UNUSED_PAD src0_sel:DWORD src1_sel:DWORD
	v_mov_b32_e32 v6, 0x10000
	v_cmp_eq_u32_e32 vcc, 0, v4
	s_lshl_b64 s[48:49], s[48:49], 3
	v_cndmask_b32_e32 v4, v6, v5, vcc
	s_add_u32 s48, s60, s48
	v_add_u16_e32 v2, v3, v2
	s_addc_u32 s49, s61, s49
	v_mov_b32_e32 v5, 0
	v_or_b32_e32 v2, v4, v2
	v_mov_b32_e32 v3, 2
	global_store_dwordx2 v5, v[2:3], s[48:49]
.LBB653_190:
	s_or_b64 exec, exec, s[52:53]
	s_and_b64 exec, exec, s[0:1]
	s_cbranch_execz .LBB653_192
; %bb.191:
	v_mov_b32_e32 v2, 0
	ds_write_b16 v2, v53
	ds_write_b8 v2, v50 offset:2
.LBB653_192:
	s_or_b64 exec, exec, s[4:5]
	v_mov_b32_e32 v2, 0
	s_waitcnt lgkmcnt(0)
	s_barrier
	ds_read_b32 v3, v2
	v_cmp_eq_u16_sdwa vcc, v19, v2 src0_sel:BYTE_0 src1_sel:DWORD
	s_waitcnt lgkmcnt(0)
	v_cndmask_b32_e32 v2, 0, v3, vcc
	v_add_u16_e32 v2, v2, v18
	v_cndmask_b32_e64 v4, v2, v3, s[0:1]
	v_and_b32_e32 v2, 0xff0000, v1
	v_cmp_eq_u32_e32 vcc, 0, v2
	v_cndmask_b32_e32 v2, 0, v4, vcc
	v_add_u16_e32 v5, v2, v1
	v_cndmask_b32_e64 v2, 0, v5, s[6:7]
	v_add_u16_e32 v6, v2, v20
	v_cndmask_b32_e64 v2, 0, v6, s[8:9]
	;; [unrolled: 2-line block ×20, first 2 shown]
	v_add_u16_e32 v52, v2, v41
	s_branch .LBB653_235
.LBB653_193:
	s_or_b64 exec, exec, s[4:5]
                                        ; implicit-def: $vgpr32
	s_and_saveexec_b64 s[4:5], s[6:7]
	s_cbranch_execz .LBB653_53
.LBB653_194:
	v_add_co_u32_e32 v32, vcc, v23, v22
	v_addc_co_u32_e32 v33, vcc, 0, v39, vcc
	flat_load_ushort v32, v[32:33] offset:512
	s_or_b64 exec, exec, s[4:5]
                                        ; implicit-def: $vgpr33
	s_and_saveexec_b64 s[4:5], s[8:9]
	s_cbranch_execnz .LBB653_54
.LBB653_195:
	s_or_b64 exec, exec, s[4:5]
                                        ; implicit-def: $vgpr34
	s_and_saveexec_b64 s[4:5], s[10:11]
	s_cbranch_execz .LBB653_55
.LBB653_196:
	v_add_co_u32_e32 v34, vcc, v23, v22
	v_addc_co_u32_e32 v35, vcc, 0, v39, vcc
	flat_load_ushort v34, v[34:35] offset:1536
	s_or_b64 exec, exec, s[4:5]
                                        ; implicit-def: $vgpr35
	s_and_saveexec_b64 s[4:5], s[12:13]
	s_cbranch_execnz .LBB653_56
.LBB653_197:
	s_or_b64 exec, exec, s[4:5]
                                        ; implicit-def: $vgpr36
	s_and_saveexec_b64 s[4:5], s[14:15]
	s_cbranch_execz .LBB653_57
.LBB653_198:
	v_add_co_u32_e32 v36, vcc, v23, v22
	v_addc_co_u32_e32 v37, vcc, 0, v39, vcc
	flat_load_ushort v36, v[36:37] offset:2560
	s_or_b64 exec, exec, s[4:5]
                                        ; implicit-def: $vgpr37
	s_and_saveexec_b64 s[4:5], s[16:17]
	s_cbranch_execnz .LBB653_58
.LBB653_199:
	s_or_b64 exec, exec, s[4:5]
                                        ; implicit-def: $vgpr38
	s_and_saveexec_b64 s[4:5], s[18:19]
	s_cbranch_execz .LBB653_59
.LBB653_200:
	v_add_co_u32_e32 v40, vcc, v23, v22
	v_addc_co_u32_e32 v41, vcc, 0, v39, vcc
	flat_load_ushort v38, v[40:41] offset:3584
	s_or_b64 exec, exec, s[4:5]
                                        ; implicit-def: $vgpr40
	s_and_saveexec_b64 s[4:5], s[20:21]
	s_cbranch_execnz .LBB653_60
.LBB653_201:
	s_or_b64 exec, exec, s[4:5]
                                        ; implicit-def: $vgpr1
	s_and_saveexec_b64 s[4:5], s[22:23]
	s_cbranch_execz .LBB653_61
.LBB653_202:
	v_lshlrev_b32_e32 v1, 1, v2
	v_add_co_u32_e32 v46, vcc, v23, v1
	v_addc_co_u32_e32 v47, vcc, 0, v39, vcc
	flat_load_ushort v1, v[46:47]
	s_or_b64 exec, exec, s[4:5]
                                        ; implicit-def: $vgpr2
	s_and_saveexec_b64 s[4:5], s[24:25]
	s_cbranch_execnz .LBB653_62
.LBB653_203:
	s_or_b64 exec, exec, s[4:5]
                                        ; implicit-def: $vgpr3
	s_and_saveexec_b64 s[4:5], s[26:27]
	s_cbranch_execz .LBB653_63
.LBB653_204:
	v_lshlrev_b32_e32 v3, 1, v4
	v_add_co_u32_e32 v46, vcc, v23, v3
	v_addc_co_u32_e32 v47, vcc, 0, v39, vcc
	flat_load_ushort v3, v[46:47]
	s_or_b64 exec, exec, s[4:5]
                                        ; implicit-def: $vgpr4
	s_and_saveexec_b64 s[4:5], s[28:29]
	s_cbranch_execnz .LBB653_64
.LBB653_205:
	s_or_b64 exec, exec, s[4:5]
                                        ; implicit-def: $vgpr5
	s_and_saveexec_b64 s[4:5], s[30:31]
	s_cbranch_execz .LBB653_65
.LBB653_206:
	v_lshlrev_b32_e32 v5, 1, v20
	v_add_co_u32_e32 v46, vcc, v23, v5
	v_addc_co_u32_e32 v47, vcc, 0, v39, vcc
	flat_load_ushort v5, v[46:47]
	s_or_b64 exec, exec, s[4:5]
                                        ; implicit-def: $vgpr20
	s_and_saveexec_b64 s[4:5], s[34:35]
	s_cbranch_execnz .LBB653_66
.LBB653_207:
	s_or_b64 exec, exec, s[4:5]
                                        ; implicit-def: $vgpr21
	s_and_saveexec_b64 s[4:5], s[36:37]
	s_cbranch_execz .LBB653_67
.LBB653_208:
	v_lshlrev_b32_e32 v21, 1, v24
	v_add_co_u32_e32 v46, vcc, v23, v21
	v_addc_co_u32_e32 v47, vcc, 0, v39, vcc
	flat_load_ushort v21, v[46:47]
	s_or_b64 exec, exec, s[4:5]
                                        ; implicit-def: $vgpr24
	s_and_saveexec_b64 s[4:5], s[38:39]
	s_cbranch_execnz .LBB653_68
.LBB653_209:
	s_or_b64 exec, exec, s[4:5]
                                        ; implicit-def: $vgpr25
	s_and_saveexec_b64 s[4:5], s[40:41]
	s_cbranch_execz .LBB653_69
.LBB653_210:
	v_lshlrev_b32_e32 v25, 1, v26
	v_add_co_u32_e32 v46, vcc, v23, v25
	v_addc_co_u32_e32 v47, vcc, 0, v39, vcc
	flat_load_ushort v25, v[46:47]
	s_or_b64 exec, exec, s[4:5]
                                        ; implicit-def: $vgpr26
	s_and_saveexec_b64 s[4:5], s[42:43]
	s_cbranch_execnz .LBB653_70
.LBB653_211:
	s_or_b64 exec, exec, s[4:5]
                                        ; implicit-def: $vgpr27
	s_and_saveexec_b64 s[4:5], s[44:45]
	s_cbranch_execz .LBB653_71
.LBB653_212:
	v_lshlrev_b32_e32 v27, 1, v28
	v_add_co_u32_e32 v46, vcc, v23, v27
	v_addc_co_u32_e32 v47, vcc, 0, v39, vcc
	flat_load_ushort v27, v[46:47]
	s_or_b64 exec, exec, s[4:5]
                                        ; implicit-def: $vgpr28
	s_and_saveexec_b64 s[4:5], s[46:47]
	s_cbranch_execz .LBB653_73
	s_branch .LBB653_72
.LBB653_213:
                                        ; implicit-def: $vgpr4
                                        ; implicit-def: $vgpr5
                                        ; implicit-def: $vgpr6
                                        ; implicit-def: $vgpr7
                                        ; implicit-def: $vgpr8
                                        ; implicit-def: $vgpr9
                                        ; implicit-def: $vgpr12
                                        ; implicit-def: $vgpr13
                                        ; implicit-def: $vgpr18
                                        ; implicit-def: $vgpr19
                                        ; implicit-def: $vgpr23
                                        ; implicit-def: $vgpr39
                                        ; implicit-def: $vgpr43
                                        ; implicit-def: $vgpr44
                                        ; implicit-def: $vgpr45
                                        ; implicit-def: $vgpr46
                                        ; implicit-def: $vgpr47
                                        ; implicit-def: $vgpr48
                                        ; implicit-def: $vgpr49
                                        ; implicit-def: $vgpr50
                                        ; implicit-def: $vgpr51
                                        ; implicit-def: $vgpr52
	s_cbranch_execz .LBB653_235
; %bb.214:
	s_cmp_lg_u64 s[68:69], 0
	s_cselect_b32 s5, s67, 0
	s_cselect_b32 s4, s66, 0
	s_cmp_eq_u64 s[4:5], 0
	v_mov_b32_e32 v2, s70
	s_cbranch_scc1 .LBB653_216
; %bb.215:
	v_mov_b32_e32 v2, 0
	global_load_ushort v2, v2, s[4:5]
.LBB653_216:
	s_mov_b32 s4, 0x10000
	v_cmp_gt_u32_e32 vcc, s4, v20
	v_cndmask_b32_e32 v3, 0, v1, vcc
	v_add_u16_e32 v3, v3, v20
	v_cmp_gt_u32_e64 s[6:7], s4, v24
	v_cndmask_b32_e64 v3, 0, v3, s[6:7]
	v_add_u16_e32 v3, v3, v24
	v_cmp_gt_u32_e64 s[8:9], s4, v21
	v_cndmask_b32_e64 v3, 0, v3, s[8:9]
	;; [unrolled: 3-line block ×20, first 2 shown]
	v_add_u16_e32 v4, v3, v14
	v_or3_b32 v3, v17, v37, v36
	v_or3_b32 v3, v3, v35, v34
	;; [unrolled: 1-line block ×8, first 2 shown]
	v_and_b32_e32 v3, 0x10000, v3
	v_cmp_ne_u32_e64 s[4:5], 0, v3
	v_mov_b32_e32 v8, 0x10000
	v_cndmask_b32_e64 v5, v15, 1, s[4:5]
	v_add_lshl_u32 v3, v16, v0, 2
	v_cmp_gt_u32_e64 s[4:5], 64, v0
	ds_write_b16 v3, v4
	ds_write_b8 v3, v5 offset:2
	s_waitcnt lgkmcnt(0)
	s_barrier
	s_and_saveexec_b64 s[46:47], s[4:5]
	s_cbranch_execz .LBB653_230
; %bb.217:
	v_lshlrev_b32_e32 v3, 2, v0
	v_lshrrev_b32_e32 v6, 3, v0
	v_add_lshl_u32 v3, v6, v3, 2
	ds_read_b32 v6, v3
	ds_read_u16 v7, v3 offset:4
	ds_read_u8 v9, v3 offset:6
	ds_read_u16 v12, v3 offset:8
	ds_read_u8 v13, v3 offset:10
	;; [unrolled: 2-line block ×3, first 2 shown]
	v_mov_b32_e32 v16, 0
	s_waitcnt lgkmcnt(4)
	v_cmp_eq_u16_sdwa s[4:5], v9, v16 src0_sel:BYTE_0 src1_sel:DWORD
	v_cndmask_b32_e64 v17, 0, v6, s[4:5]
	v_add_u16_e32 v17, v17, v7
	s_waitcnt lgkmcnt(2)
	v_cmp_eq_u16_sdwa s[4:5], v13, v16 src0_sel:BYTE_0 src1_sel:DWORD
	s_waitcnt lgkmcnt(0)
	v_or_b32_e32 v13, v15, v13
	v_cndmask_b32_e64 v16, 0, v17, s[4:5]
	v_or_b32_e32 v9, v13, v9
	v_add_u16_e32 v12, v16, v12
	v_cmp_eq_u16_e64 s[4:5], 0, v15
	v_and_b32_e32 v9, 1, v9
	v_and_b32_e32 v7, 0x10000, v6
	v_cndmask_b32_e64 v16, 0, v12, s[4:5]
	v_cmp_eq_u32_e64 s[4:5], 1, v9
	v_mbcnt_lo_u32_b32 v9, -1, 0
	v_add_u16_e32 v12, v16, v14
	v_cndmask_b32_e64 v17, v7, v8, s[4:5]
	v_add_u16_e32 v14, v16, v14
	v_and_b32_e32 v8, 0xff000000, v6
	v_mbcnt_hi_u32_b32 v9, -1, v9
	v_or_b32_e32 v15, v17, v8
	v_and_b32_e32 v16, 15, v9
	v_or3_b32 v14, v8, v14, v17
	s_movk_i32 s52, 0xff
	v_lshrrev_b32_e32 v13, 16, v15
	v_mov_b32_dpp v17, v14 row_shr:1 row_mask:0xf bank_mask:0xf
	v_cmp_ne_u32_e64 s[4:5], 0, v16
	s_and_saveexec_b64 s[48:49], s[4:5]
	s_cbranch_execz .LBB653_219
; %bb.218:
	v_and_b32_sdwa v13, v15, s52 dst_sel:DWORD dst_unused:UNUSED_PAD src0_sel:WORD_1 src1_sel:DWORD
	v_cmp_eq_u16_e64 s[4:5], 0, v13
	v_and_b32_e32 v13, 0x10000, v15
	v_mov_b32_e32 v15, 1
	v_cndmask_b32_e64 v14, 0, v17, s[4:5]
	v_and_b32_sdwa v15, v17, v15 dst_sel:DWORD dst_unused:UNUSED_PAD src0_sel:WORD_1 src1_sel:DWORD
	v_cmp_ne_u32_e64 s[4:5], 0, v13
	v_cndmask_b32_e64 v13, v15, 1, s[4:5]
	v_add_u16_e32 v18, v14, v12
	v_lshlrev_b32_e32 v15, 16, v13
	v_add_u16_e32 v12, v14, v12
	v_or3_b32 v14, v15, v12, v8
	v_mov_b32_e32 v12, v18
.LBB653_219:
	s_or_b64 exec, exec, s[48:49]
	v_lshrrev_b32_e32 v15, 16, v14
	v_mov_b32_dpp v17, v14 row_shr:2 row_mask:0xf bank_mask:0xf
	v_cmp_lt_u32_e64 s[4:5], 1, v16
	s_and_saveexec_b64 s[48:49], s[4:5]
	s_cbranch_execz .LBB653_221
; %bb.220:
	v_mov_b32_e32 v13, 0
	v_cmp_eq_u16_sdwa s[4:5], v15, v13 src0_sel:BYTE_0 src1_sel:DWORD
	v_and_b32_e32 v13, 0x10000, v14
	v_mov_b32_e32 v14, 1
	v_cndmask_b32_e64 v15, 0, v17, s[4:5]
	v_and_b32_sdwa v14, v17, v14 dst_sel:DWORD dst_unused:UNUSED_PAD src0_sel:WORD_1 src1_sel:DWORD
	v_cmp_ne_u32_e64 s[4:5], 0, v13
	v_cndmask_b32_e64 v13, v14, 1, s[4:5]
	v_add_u16_e32 v18, v15, v12
	v_lshlrev_b32_e32 v14, 16, v13
	v_add_u16_e32 v12, v15, v12
	v_or3_b32 v14, v14, v12, v8
	v_mov_b32_e32 v15, v13
	v_mov_b32_e32 v12, v18
.LBB653_221:
	s_or_b64 exec, exec, s[48:49]
	v_mov_b32_dpp v17, v14 row_shr:4 row_mask:0xf bank_mask:0xf
	v_cmp_lt_u32_e64 s[4:5], 3, v16
	s_and_saveexec_b64 s[48:49], s[4:5]
	s_cbranch_execz .LBB653_223
; %bb.222:
	v_mov_b32_e32 v13, 0
	v_cmp_eq_u16_sdwa s[4:5], v15, v13 src0_sel:BYTE_0 src1_sel:DWORD
	v_and_b32_e32 v13, 1, v15
	v_mov_b32_e32 v15, 1
	v_cndmask_b32_e64 v14, 0, v17, s[4:5]
	v_and_b32_sdwa v15, v17, v15 dst_sel:DWORD dst_unused:UNUSED_PAD src0_sel:WORD_1 src1_sel:DWORD
	v_cmp_eq_u32_e64 s[4:5], 1, v13
	v_cndmask_b32_e64 v13, v15, 1, s[4:5]
	v_add_u16_e32 v18, v14, v12
	v_lshlrev_b32_e32 v15, 16, v13
	v_add_u16_e32 v12, v14, v12
	v_or3_b32 v14, v15, v12, v8
	v_mov_b32_e32 v15, v13
	v_mov_b32_e32 v12, v18
.LBB653_223:
	s_or_b64 exec, exec, s[48:49]
	v_mov_b32_dpp v17, v14 row_shr:8 row_mask:0xf bank_mask:0xf
	v_cmp_lt_u32_e64 s[4:5], 7, v16
	s_and_saveexec_b64 s[48:49], s[4:5]
	s_cbranch_execz .LBB653_225
; %bb.224:
	v_mov_b32_e32 v13, 0
	v_cmp_eq_u16_sdwa s[4:5], v15, v13 src0_sel:BYTE_0 src1_sel:DWORD
	v_and_b32_e32 v13, 1, v15
	v_mov_b32_e32 v15, 1
	v_cndmask_b32_e64 v14, 0, v17, s[4:5]
	v_and_b32_sdwa v15, v17, v15 dst_sel:DWORD dst_unused:UNUSED_PAD src0_sel:WORD_1 src1_sel:DWORD
	v_cmp_eq_u32_e64 s[4:5], 1, v13
	v_cndmask_b32_e64 v13, v15, 1, s[4:5]
	v_add_u16_e32 v16, v14, v12
	v_lshlrev_b32_e32 v15, 16, v13
	v_add_u16_e32 v12, v14, v12
	v_or3_b32 v14, v15, v12, v8
	v_mov_b32_e32 v15, v13
	v_mov_b32_e32 v12, v16
.LBB653_225:
	s_or_b64 exec, exec, s[48:49]
	v_and_b32_e32 v17, 16, v9
	v_mov_b32_dpp v16, v14 row_bcast:15 row_mask:0xf bank_mask:0xf
	v_cmp_ne_u32_e64 s[4:5], 0, v17
	s_and_saveexec_b64 s[48:49], s[4:5]
	s_cbranch_execz .LBB653_227
; %bb.226:
	v_mov_b32_e32 v13, 0
	v_cmp_eq_u16_sdwa s[4:5], v15, v13 src0_sel:BYTE_0 src1_sel:DWORD
	v_and_b32_e32 v13, 1, v15
	v_mov_b32_e32 v15, 1
	v_cndmask_b32_e64 v14, 0, v16, s[4:5]
	v_and_b32_sdwa v15, v16, v15 dst_sel:DWORD dst_unused:UNUSED_PAD src0_sel:WORD_1 src1_sel:DWORD
	v_cmp_eq_u32_e64 s[4:5], 1, v13
	v_cndmask_b32_e64 v13, v15, 1, s[4:5]
	v_add_u16_e32 v17, v14, v12
	v_lshlrev_b32_e32 v15, 16, v13
	v_add_u16_e32 v12, v14, v12
	v_or3_b32 v14, v15, v12, v8
	v_mov_b32_e32 v15, v13
	v_mov_b32_e32 v12, v17
.LBB653_227:
	s_or_b64 exec, exec, s[48:49]
	v_mov_b32_dpp v14, v14 row_bcast:31 row_mask:0xf bank_mask:0xf
	v_cmp_lt_u32_e64 s[4:5], 31, v9
	s_and_saveexec_b64 s[48:49], s[4:5]
; %bb.228:
	v_mov_b32_e32 v13, 0
	v_cmp_eq_u16_sdwa s[4:5], v15, v13 src0_sel:BYTE_0 src1_sel:DWORD
	v_cndmask_b32_e64 v13, 0, v14, s[4:5]
	v_add_u16_e32 v12, v13, v12
	v_and_b32_e32 v13, 1, v15
	v_mov_b32_e32 v15, 1
	v_and_b32_sdwa v14, v14, v15 dst_sel:DWORD dst_unused:UNUSED_PAD src0_sel:WORD_1 src1_sel:DWORD
	v_cmp_eq_u32_e64 s[4:5], 1, v13
	v_cndmask_b32_e64 v13, v14, 1, s[4:5]
; %bb.229:
	s_or_b64 exec, exec, s[48:49]
	v_and_b32_e32 v13, 0xff, v13
	v_lshlrev_b32_e32 v13, 16, v13
	v_and_b32_e32 v12, 0xffff, v12
	v_or3_b32 v8, v13, v12, v8
	v_add_u32_e32 v12, -1, v9
	v_and_b32_e32 v13, 64, v9
	v_cmp_lt_i32_e64 s[4:5], v12, v13
	v_cndmask_b32_e64 v9, v12, v9, s[4:5]
	v_lshlrev_b32_e32 v9, 2, v9
	ds_bpermute_b32 v8, v9, v8
	v_and_b32_e32 v9, 0xff0000, v6
	v_cmp_eq_u32_e64 s[4:5], 0, v9
	; wave barrier
	s_waitcnt lgkmcnt(0)
	v_cndmask_b32_e64 v9, 0, v8, s[4:5]
	v_add_u16_e32 v6, v9, v6
	v_mov_b32_e32 v9, 1
	v_and_b32_sdwa v8, v8, v9 dst_sel:DWORD dst_unused:UNUSED_PAD src0_sel:WORD_1 src1_sel:DWORD
	v_cmp_eq_u32_e64 s[4:5], 0, v7
	v_cndmask_b32_e64 v7, 1, v8, s[4:5]
	v_cndmask_b32_e64 v4, v6, v4, s[0:1]
	v_cndmask_b32_e64 v5, v7, v5, s[0:1]
	ds_write_b16 v3, v4
	ds_write_b8 v3, v5 offset:2
	; wave barrier
	ds_read_u16 v6, v3 offset:4
	ds_read_u8 v7, v3 offset:6
	ds_read_u16 v8, v3 offset:8
	ds_read_u8 v9, v3 offset:10
	;; [unrolled: 2-line block ×3, first 2 shown]
	s_waitcnt lgkmcnt(4)
	v_cmp_eq_u16_e64 s[4:5], 0, v7
	v_cndmask_b32_e64 v4, 0, v4, s[4:5]
	v_add_u16_e32 v4, v4, v6
	v_and_b32_e32 v6, 1, v7
	v_cmp_eq_u32_e64 s[4:5], 1, v6
	v_cndmask_b32_e64 v5, v5, 1, s[4:5]
	s_waitcnt lgkmcnt(2)
	v_cmp_eq_u16_e64 s[4:5], 0, v9
	v_and_b32_e32 v6, 1, v9
	ds_write_b16 v3, v4 offset:4
	ds_write_b8 v3, v5 offset:6
	v_cndmask_b32_e64 v4, 0, v4, s[4:5]
	v_cmp_eq_u32_e64 s[4:5], 1, v6
	v_add_u16_e32 v4, v4, v8
	v_cndmask_b32_e64 v5, v5, 1, s[4:5]
	s_waitcnt lgkmcnt(2)
	v_cmp_eq_u16_e64 s[4:5], 0, v13
	ds_write_b16 v3, v4 offset:8
	ds_write_b8 v3, v5 offset:10
	v_cndmask_b32_e64 v4, 0, v4, s[4:5]
	v_and_b32_e32 v6, 1, v13
	v_add_u16_e32 v4, v4, v12
	v_cmp_eq_u32_e64 s[4:5], 1, v6
	v_cndmask_b32_e64 v5, v5, 1, s[4:5]
	ds_write_b16 v3, v4 offset:12
	ds_write_b8 v3, v5 offset:14
.LBB653_230:
	s_or_b64 exec, exec, s[46:47]
	s_waitcnt vmcnt(0)
	v_mov_b32_e32 v4, v2
	s_waitcnt lgkmcnt(0)
	s_barrier
	s_and_saveexec_b64 s[46:47], s[50:51]
	s_cbranch_execz .LBB653_232
; %bb.231:
	v_add_u32_e32 v3, -1, v0
	v_lshrrev_b32_e32 v4, 5, v3
	v_add_lshl_u32 v3, v4, v3, 2
	ds_read_u8 v4, v3 offset:2
	ds_read_u16 v3, v3
	s_waitcnt lgkmcnt(1)
	v_cmp_eq_u16_e64 s[4:5], 0, v4
	v_cndmask_b32_e64 v4, 0, v2, s[4:5]
	s_waitcnt lgkmcnt(0)
	v_add_u16_e32 v4, v4, v3
.LBB653_232:
	s_or_b64 exec, exec, s[46:47]
	v_and_b32_e32 v3, 0xff0000, v1
	v_cmp_eq_u32_e64 s[4:5], 0, v3
	v_cndmask_b32_e64 v3, 0, v4, s[4:5]
	v_add_u16_e32 v5, v3, v1
	v_cndmask_b32_e32 v1, 0, v5, vcc
	v_add_u16_e32 v6, v1, v20
	v_cndmask_b32_e64 v1, 0, v6, s[6:7]
	v_add_u16_e32 v7, v1, v24
	v_cndmask_b32_e64 v1, 0, v7, s[8:9]
	;; [unrolled: 2-line block ×19, first 2 shown]
	s_and_saveexec_b64 s[4:5], s[0:1]
	s_cbranch_execz .LBB653_234
; %bb.233:
	v_mov_b32_e32 v14, 0
	ds_read_u8 v3, v14 offset:1050
	ds_read_u16 v15, v14 offset:1048
	s_waitcnt lgkmcnt(1)
	v_cmp_eq_u32_e32 vcc, 0, v3
	v_cndmask_b32_e32 v2, 0, v2, vcc
	v_lshlrev_b32_e32 v16, 16, v3
	s_waitcnt lgkmcnt(0)
	v_add_u32_e32 v2, v2, v15
	v_or_b32_sdwa v2, v16, v2 dst_sel:DWORD dst_unused:UNUSED_PAD src0_sel:DWORD src1_sel:WORD_0
	v_mov_b32_e32 v3, 2
	global_store_dwordx2 v14, v[2:3], s[60:61] offset:512
.LBB653_234:
	s_or_b64 exec, exec, s[4:5]
	v_add_u16_e32 v52, v1, v41
.LBB653_235:
	s_add_u32 s0, s58, s54
	s_addc_u32 s1, s59, s55
	v_mov_b32_e32 v1, s1
	v_add_co_u32_e32 v10, vcc, s0, v10
	v_addc_co_u32_e32 v11, vcc, v1, v11, vcc
	v_mul_u32_u24_e32 v1, 22, v0
	s_and_b64 vcc, exec, s[2:3]
	v_lshlrev_b32_e32 v14, 1, v1
	s_cbranch_vccz .LBB653_279
; %bb.236:
	s_mov_b32 s0, 0x5040100
	v_perm_b32 v1, v7, v6, s0
	v_perm_b32 v2, v5, v4, s0
	s_barrier
	ds_write2_b32 v14, v2, v1 offset1:1
	v_perm_b32 v1, v13, v12, s0
	v_perm_b32 v2, v9, v8, s0
	ds_write2_b32 v14, v2, v1 offset0:2 offset1:3
	v_perm_b32 v1, v39, v23, s0
	v_perm_b32 v2, v19, v18, s0
	ds_write2_b32 v14, v2, v1 offset0:4 offset1:5
	;; [unrolled: 3-line block ×4, first 2 shown]
	v_perm_b32 v1, v52, v51, s0
	s_movk_i32 s0, 0xffd6
	v_mad_i32_i24 v2, v0, s0, v14
	ds_write_b32 v14, v1 offset:40
	s_waitcnt lgkmcnt(0)
	s_barrier
	ds_read_u16 v38, v2 offset:512
	ds_read_u16 v37, v2 offset:1024
	;; [unrolled: 1-line block ×21, first 2 shown]
	v_add_co_u32_e32 v2, vcc, v10, v42
	s_add_i32 s33, s33, s62
	v_addc_co_u32_e32 v3, vcc, 0, v11, vcc
	v_mov_b32_e32 v1, 0
	v_cmp_gt_u32_e32 vcc, s33, v0
	s_and_saveexec_b64 s[0:1], vcc
	s_cbranch_execz .LBB653_238
; %bb.237:
	v_mul_i32_i24_e32 v40, 0xffffffd6, v0
	v_add_u32_e32 v40, v14, v40
	ds_read_u16 v40, v40
	s_waitcnt lgkmcnt(0)
	flat_store_short v[2:3], v40
.LBB653_238:
	s_or_b64 exec, exec, s[0:1]
	v_or_b32_e32 v40, 0x100, v0
	v_cmp_gt_u32_e32 vcc, s33, v40
	s_and_saveexec_b64 s[0:1], vcc
	s_cbranch_execz .LBB653_240
; %bb.239:
	s_waitcnt lgkmcnt(0)
	flat_store_short v[2:3], v38 offset:512
.LBB653_240:
	s_or_b64 exec, exec, s[0:1]
	s_waitcnt lgkmcnt(0)
	v_or_b32_e32 v38, 0x200, v0
	v_cmp_gt_u32_e32 vcc, s33, v38
	s_and_saveexec_b64 s[0:1], vcc
	s_cbranch_execz .LBB653_242
; %bb.241:
	flat_store_short v[2:3], v37 offset:1024
.LBB653_242:
	s_or_b64 exec, exec, s[0:1]
	v_or_b32_e32 v37, 0x300, v0
	v_cmp_gt_u32_e32 vcc, s33, v37
	s_and_saveexec_b64 s[0:1], vcc
	s_cbranch_execz .LBB653_244
; %bb.243:
	flat_store_short v[2:3], v36 offset:1536
.LBB653_244:
	s_or_b64 exec, exec, s[0:1]
	;; [unrolled: 8-line block ×6, first 2 shown]
	v_or_b32_e32 v32, 0x800, v0
	v_cmp_gt_u32_e32 vcc, s33, v32
	s_and_saveexec_b64 s[0:1], vcc
	s_cbranch_execz .LBB653_254
; %bb.253:
	v_add_co_u32_e32 v32, vcc, 0x1000, v2
	v_addc_co_u32_e32 v33, vcc, 0, v3, vcc
	flat_store_short v[32:33], v31
.LBB653_254:
	s_or_b64 exec, exec, s[0:1]
	v_or_b32_e32 v31, 0x900, v0
	v_cmp_gt_u32_e32 vcc, s33, v31
	s_and_saveexec_b64 s[0:1], vcc
	s_cbranch_execz .LBB653_256
; %bb.255:
	v_add_co_u32_e32 v32, vcc, 0x1000, v2
	v_addc_co_u32_e32 v33, vcc, 0, v3, vcc
	flat_store_short v[32:33], v30 offset:512
.LBB653_256:
	s_or_b64 exec, exec, s[0:1]
	v_or_b32_e32 v30, 0xa00, v0
	v_cmp_gt_u32_e32 vcc, s33, v30
	s_and_saveexec_b64 s[0:1], vcc
	s_cbranch_execz .LBB653_258
; %bb.257:
	v_add_co_u32_e32 v30, vcc, 0x1000, v2
	v_addc_co_u32_e32 v31, vcc, 0, v3, vcc
	flat_store_short v[30:31], v29 offset:1024
.LBB653_258:
	;; [unrolled: 10-line block ×7, first 2 shown]
	s_or_b64 exec, exec, s[0:1]
	v_or_b32_e32 v24, 0x1000, v0
	v_cmp_gt_u32_e32 vcc, s33, v24
	s_and_saveexec_b64 s[0:1], vcc
	s_cbranch_execz .LBB653_270
; %bb.269:
	v_add_co_u32_e32 v24, vcc, 0x2000, v2
	v_addc_co_u32_e32 v25, vcc, 0, v3, vcc
	flat_store_short v[24:25], v22
.LBB653_270:
	s_or_b64 exec, exec, s[0:1]
	v_or_b32_e32 v22, 0x1100, v0
	v_cmp_gt_u32_e32 vcc, s33, v22
	s_and_saveexec_b64 s[0:1], vcc
	s_cbranch_execz .LBB653_272
; %bb.271:
	v_add_co_u32_e32 v24, vcc, 0x2000, v2
	v_addc_co_u32_e32 v25, vcc, 0, v3, vcc
	flat_store_short v[24:25], v21 offset:512
.LBB653_272:
	s_or_b64 exec, exec, s[0:1]
	v_or_b32_e32 v21, 0x1200, v0
	v_cmp_gt_u32_e32 vcc, s33, v21
	s_and_saveexec_b64 s[0:1], vcc
	s_cbranch_execz .LBB653_274
; %bb.273:
	v_add_co_u32_e32 v24, vcc, 0x2000, v2
	v_addc_co_u32_e32 v25, vcc, 0, v3, vcc
	flat_store_short v[24:25], v20 offset:1024
.LBB653_274:
	;; [unrolled: 10-line block ×4, first 2 shown]
	s_or_b64 exec, exec, s[0:1]
	v_or_b32_e32 v2, 0x1500, v0
	v_cmp_gt_u32_e64 s[0:1], s33, v2
	s_branch .LBB653_281
.LBB653_279:
	s_mov_b64 s[0:1], 0
                                        ; implicit-def: $vgpr15
	s_cbranch_execz .LBB653_281
; %bb.280:
	s_mov_b32 s2, 0x5040100
	v_perm_b32 v1, v7, v6, s2
	v_perm_b32 v2, v5, v4, s2
	s_waitcnt lgkmcnt(0)
	s_barrier
	ds_write2_b32 v14, v2, v1 offset1:1
	v_perm_b32 v1, v13, v12, s2
	v_perm_b32 v2, v9, v8, s2
	ds_write2_b32 v14, v2, v1 offset0:2 offset1:3
	v_perm_b32 v1, v39, v23, s2
	v_perm_b32 v2, v19, v18, s2
	ds_write2_b32 v14, v2, v1 offset0:4 offset1:5
	;; [unrolled: 3-line block ×4, first 2 shown]
	v_perm_b32 v1, v52, v51, s2
	s_movk_i32 s2, 0xffd6
	v_mad_i32_i24 v2, v0, s2, v14
	ds_write_b32 v14, v1 offset:40
	s_waitcnt lgkmcnt(0)
	s_barrier
	ds_read_u16 v4, v2
	ds_read_u16 v5, v2 offset:512
	ds_read_u16 v6, v2 offset:1024
	;; [unrolled: 1-line block ×21, first 2 shown]
	v_add_co_u32_e32 v2, vcc, v10, v42
	v_addc_co_u32_e32 v3, vcc, 0, v11, vcc
	s_movk_i32 s2, 0x1000
	s_waitcnt lgkmcnt(0)
	flat_store_short v[2:3], v4
	flat_store_short v[2:3], v5 offset:512
	flat_store_short v[2:3], v6 offset:1024
	;; [unrolled: 1-line block ×7, first 2 shown]
	v_add_co_u32_e32 v4, vcc, s2, v2
	v_addc_co_u32_e32 v5, vcc, 0, v3, vcc
	v_add_co_u32_e32 v2, vcc, 0x2000, v2
	v_mov_b32_e32 v1, 0
	v_addc_co_u32_e32 v3, vcc, 0, v3, vcc
	s_or_b64 s[0:1], s[0:1], exec
	flat_store_short v[4:5], v14
	flat_store_short v[4:5], v16 offset:512
	flat_store_short v[4:5], v17 offset:1024
	flat_store_short v[4:5], v18 offset:1536
	flat_store_short v[4:5], v19 offset:2048
	flat_store_short v[4:5], v20 offset:2560
	flat_store_short v[4:5], v21 offset:3072
	flat_store_short v[4:5], v22 offset:3584
	flat_store_short v[2:3], v23
	flat_store_short v[2:3], v24 offset:512
	flat_store_short v[2:3], v25 offset:1024
	flat_store_short v[2:3], v26 offset:1536
	flat_store_short v[2:3], v27 offset:2048
.LBB653_281:
	s_and_saveexec_b64 s[2:3], s[0:1]
	s_cbranch_execz .LBB653_283
; %bb.282:
	v_lshlrev_b64 v[0:1], 1, v[0:1]
	v_add_co_u32_e32 v0, vcc, v10, v0
	v_addc_co_u32_e32 v1, vcc, v11, v1, vcc
	v_add_co_u32_e32 v0, vcc, 0x2000, v0
	v_addc_co_u32_e32 v1, vcc, 0, v1, vcc
	flat_store_short v[0:1], v15 offset:2560
	s_endpgm
.LBB653_283:
	s_endpgm
	.section	.rodata,"a",@progbits
	.p2align	6, 0x0
	.amdhsa_kernel _ZN7rocprim17ROCPRIM_400000_NS6detail17trampoline_kernelINS0_14default_configENS1_27scan_by_key_config_selectorIssEEZZNS1_16scan_by_key_implILNS1_25lookback_scan_determinismE0ELb1ES3_N6thrust23THRUST_200600_302600_NS6detail15normal_iteratorINS9_10device_ptrIsEEEESE_SE_sNS9_4plusIvEENS9_8equal_toIsEEsEE10hipError_tPvRmT2_T3_T4_T5_mT6_T7_P12ihipStream_tbENKUlT_T0_E_clISt17integral_constantIbLb1EESZ_EEDaSU_SV_EUlSU_E_NS1_11comp_targetILNS1_3genE4ELNS1_11target_archE910ELNS1_3gpuE8ELNS1_3repE0EEENS1_30default_config_static_selectorELNS0_4arch9wavefront6targetE1EEEvT1_
		.amdhsa_group_segment_fixed_size 12288
		.amdhsa_private_segment_fixed_size 0
		.amdhsa_kernarg_size 112
		.amdhsa_user_sgpr_count 6
		.amdhsa_user_sgpr_private_segment_buffer 1
		.amdhsa_user_sgpr_dispatch_ptr 0
		.amdhsa_user_sgpr_queue_ptr 0
		.amdhsa_user_sgpr_kernarg_segment_ptr 1
		.amdhsa_user_sgpr_dispatch_id 0
		.amdhsa_user_sgpr_flat_scratch_init 0
		.amdhsa_user_sgpr_kernarg_preload_length 0
		.amdhsa_user_sgpr_kernarg_preload_offset 0
		.amdhsa_user_sgpr_private_segment_size 0
		.amdhsa_uses_dynamic_stack 0
		.amdhsa_system_sgpr_private_segment_wavefront_offset 0
		.amdhsa_system_sgpr_workgroup_id_x 1
		.amdhsa_system_sgpr_workgroup_id_y 0
		.amdhsa_system_sgpr_workgroup_id_z 0
		.amdhsa_system_sgpr_workgroup_info 0
		.amdhsa_system_vgpr_workitem_id 0
		.amdhsa_next_free_vgpr 60
		.amdhsa_next_free_sgpr 74
		.amdhsa_accum_offset 60
		.amdhsa_reserve_vcc 1
		.amdhsa_reserve_flat_scratch 0
		.amdhsa_float_round_mode_32 0
		.amdhsa_float_round_mode_16_64 0
		.amdhsa_float_denorm_mode_32 3
		.amdhsa_float_denorm_mode_16_64 3
		.amdhsa_dx10_clamp 1
		.amdhsa_ieee_mode 1
		.amdhsa_fp16_overflow 0
		.amdhsa_tg_split 0
		.amdhsa_exception_fp_ieee_invalid_op 0
		.amdhsa_exception_fp_denorm_src 0
		.amdhsa_exception_fp_ieee_div_zero 0
		.amdhsa_exception_fp_ieee_overflow 0
		.amdhsa_exception_fp_ieee_underflow 0
		.amdhsa_exception_fp_ieee_inexact 0
		.amdhsa_exception_int_div_zero 0
	.end_amdhsa_kernel
	.section	.text._ZN7rocprim17ROCPRIM_400000_NS6detail17trampoline_kernelINS0_14default_configENS1_27scan_by_key_config_selectorIssEEZZNS1_16scan_by_key_implILNS1_25lookback_scan_determinismE0ELb1ES3_N6thrust23THRUST_200600_302600_NS6detail15normal_iteratorINS9_10device_ptrIsEEEESE_SE_sNS9_4plusIvEENS9_8equal_toIsEEsEE10hipError_tPvRmT2_T3_T4_T5_mT6_T7_P12ihipStream_tbENKUlT_T0_E_clISt17integral_constantIbLb1EESZ_EEDaSU_SV_EUlSU_E_NS1_11comp_targetILNS1_3genE4ELNS1_11target_archE910ELNS1_3gpuE8ELNS1_3repE0EEENS1_30default_config_static_selectorELNS0_4arch9wavefront6targetE1EEEvT1_,"axG",@progbits,_ZN7rocprim17ROCPRIM_400000_NS6detail17trampoline_kernelINS0_14default_configENS1_27scan_by_key_config_selectorIssEEZZNS1_16scan_by_key_implILNS1_25lookback_scan_determinismE0ELb1ES3_N6thrust23THRUST_200600_302600_NS6detail15normal_iteratorINS9_10device_ptrIsEEEESE_SE_sNS9_4plusIvEENS9_8equal_toIsEEsEE10hipError_tPvRmT2_T3_T4_T5_mT6_T7_P12ihipStream_tbENKUlT_T0_E_clISt17integral_constantIbLb1EESZ_EEDaSU_SV_EUlSU_E_NS1_11comp_targetILNS1_3genE4ELNS1_11target_archE910ELNS1_3gpuE8ELNS1_3repE0EEENS1_30default_config_static_selectorELNS0_4arch9wavefront6targetE1EEEvT1_,comdat
.Lfunc_end653:
	.size	_ZN7rocprim17ROCPRIM_400000_NS6detail17trampoline_kernelINS0_14default_configENS1_27scan_by_key_config_selectorIssEEZZNS1_16scan_by_key_implILNS1_25lookback_scan_determinismE0ELb1ES3_N6thrust23THRUST_200600_302600_NS6detail15normal_iteratorINS9_10device_ptrIsEEEESE_SE_sNS9_4plusIvEENS9_8equal_toIsEEsEE10hipError_tPvRmT2_T3_T4_T5_mT6_T7_P12ihipStream_tbENKUlT_T0_E_clISt17integral_constantIbLb1EESZ_EEDaSU_SV_EUlSU_E_NS1_11comp_targetILNS1_3genE4ELNS1_11target_archE910ELNS1_3gpuE8ELNS1_3repE0EEENS1_30default_config_static_selectorELNS0_4arch9wavefront6targetE1EEEvT1_, .Lfunc_end653-_ZN7rocprim17ROCPRIM_400000_NS6detail17trampoline_kernelINS0_14default_configENS1_27scan_by_key_config_selectorIssEEZZNS1_16scan_by_key_implILNS1_25lookback_scan_determinismE0ELb1ES3_N6thrust23THRUST_200600_302600_NS6detail15normal_iteratorINS9_10device_ptrIsEEEESE_SE_sNS9_4plusIvEENS9_8equal_toIsEEsEE10hipError_tPvRmT2_T3_T4_T5_mT6_T7_P12ihipStream_tbENKUlT_T0_E_clISt17integral_constantIbLb1EESZ_EEDaSU_SV_EUlSU_E_NS1_11comp_targetILNS1_3genE4ELNS1_11target_archE910ELNS1_3gpuE8ELNS1_3repE0EEENS1_30default_config_static_selectorELNS0_4arch9wavefront6targetE1EEEvT1_
                                        ; -- End function
	.section	.AMDGPU.csdata,"",@progbits
; Kernel info:
; codeLenInByte = 16228
; NumSgprs: 78
; NumVgprs: 60
; NumAgprs: 0
; TotalNumVgprs: 60
; ScratchSize: 0
; MemoryBound: 0
; FloatMode: 240
; IeeeMode: 1
; LDSByteSize: 12288 bytes/workgroup (compile time only)
; SGPRBlocks: 9
; VGPRBlocks: 7
; NumSGPRsForWavesPerEU: 78
; NumVGPRsForWavesPerEU: 60
; AccumOffset: 60
; Occupancy: 5
; WaveLimiterHint : 1
; COMPUTE_PGM_RSRC2:SCRATCH_EN: 0
; COMPUTE_PGM_RSRC2:USER_SGPR: 6
; COMPUTE_PGM_RSRC2:TRAP_HANDLER: 0
; COMPUTE_PGM_RSRC2:TGID_X_EN: 1
; COMPUTE_PGM_RSRC2:TGID_Y_EN: 0
; COMPUTE_PGM_RSRC2:TGID_Z_EN: 0
; COMPUTE_PGM_RSRC2:TIDIG_COMP_CNT: 0
; COMPUTE_PGM_RSRC3_GFX90A:ACCUM_OFFSET: 14
; COMPUTE_PGM_RSRC3_GFX90A:TG_SPLIT: 0
	.section	.text._ZN7rocprim17ROCPRIM_400000_NS6detail17trampoline_kernelINS0_14default_configENS1_27scan_by_key_config_selectorIssEEZZNS1_16scan_by_key_implILNS1_25lookback_scan_determinismE0ELb1ES3_N6thrust23THRUST_200600_302600_NS6detail15normal_iteratorINS9_10device_ptrIsEEEESE_SE_sNS9_4plusIvEENS9_8equal_toIsEEsEE10hipError_tPvRmT2_T3_T4_T5_mT6_T7_P12ihipStream_tbENKUlT_T0_E_clISt17integral_constantIbLb1EESZ_EEDaSU_SV_EUlSU_E_NS1_11comp_targetILNS1_3genE3ELNS1_11target_archE908ELNS1_3gpuE7ELNS1_3repE0EEENS1_30default_config_static_selectorELNS0_4arch9wavefront6targetE1EEEvT1_,"axG",@progbits,_ZN7rocprim17ROCPRIM_400000_NS6detail17trampoline_kernelINS0_14default_configENS1_27scan_by_key_config_selectorIssEEZZNS1_16scan_by_key_implILNS1_25lookback_scan_determinismE0ELb1ES3_N6thrust23THRUST_200600_302600_NS6detail15normal_iteratorINS9_10device_ptrIsEEEESE_SE_sNS9_4plusIvEENS9_8equal_toIsEEsEE10hipError_tPvRmT2_T3_T4_T5_mT6_T7_P12ihipStream_tbENKUlT_T0_E_clISt17integral_constantIbLb1EESZ_EEDaSU_SV_EUlSU_E_NS1_11comp_targetILNS1_3genE3ELNS1_11target_archE908ELNS1_3gpuE7ELNS1_3repE0EEENS1_30default_config_static_selectorELNS0_4arch9wavefront6targetE1EEEvT1_,comdat
	.protected	_ZN7rocprim17ROCPRIM_400000_NS6detail17trampoline_kernelINS0_14default_configENS1_27scan_by_key_config_selectorIssEEZZNS1_16scan_by_key_implILNS1_25lookback_scan_determinismE0ELb1ES3_N6thrust23THRUST_200600_302600_NS6detail15normal_iteratorINS9_10device_ptrIsEEEESE_SE_sNS9_4plusIvEENS9_8equal_toIsEEsEE10hipError_tPvRmT2_T3_T4_T5_mT6_T7_P12ihipStream_tbENKUlT_T0_E_clISt17integral_constantIbLb1EESZ_EEDaSU_SV_EUlSU_E_NS1_11comp_targetILNS1_3genE3ELNS1_11target_archE908ELNS1_3gpuE7ELNS1_3repE0EEENS1_30default_config_static_selectorELNS0_4arch9wavefront6targetE1EEEvT1_ ; -- Begin function _ZN7rocprim17ROCPRIM_400000_NS6detail17trampoline_kernelINS0_14default_configENS1_27scan_by_key_config_selectorIssEEZZNS1_16scan_by_key_implILNS1_25lookback_scan_determinismE0ELb1ES3_N6thrust23THRUST_200600_302600_NS6detail15normal_iteratorINS9_10device_ptrIsEEEESE_SE_sNS9_4plusIvEENS9_8equal_toIsEEsEE10hipError_tPvRmT2_T3_T4_T5_mT6_T7_P12ihipStream_tbENKUlT_T0_E_clISt17integral_constantIbLb1EESZ_EEDaSU_SV_EUlSU_E_NS1_11comp_targetILNS1_3genE3ELNS1_11target_archE908ELNS1_3gpuE7ELNS1_3repE0EEENS1_30default_config_static_selectorELNS0_4arch9wavefront6targetE1EEEvT1_
	.globl	_ZN7rocprim17ROCPRIM_400000_NS6detail17trampoline_kernelINS0_14default_configENS1_27scan_by_key_config_selectorIssEEZZNS1_16scan_by_key_implILNS1_25lookback_scan_determinismE0ELb1ES3_N6thrust23THRUST_200600_302600_NS6detail15normal_iteratorINS9_10device_ptrIsEEEESE_SE_sNS9_4plusIvEENS9_8equal_toIsEEsEE10hipError_tPvRmT2_T3_T4_T5_mT6_T7_P12ihipStream_tbENKUlT_T0_E_clISt17integral_constantIbLb1EESZ_EEDaSU_SV_EUlSU_E_NS1_11comp_targetILNS1_3genE3ELNS1_11target_archE908ELNS1_3gpuE7ELNS1_3repE0EEENS1_30default_config_static_selectorELNS0_4arch9wavefront6targetE1EEEvT1_
	.p2align	8
	.type	_ZN7rocprim17ROCPRIM_400000_NS6detail17trampoline_kernelINS0_14default_configENS1_27scan_by_key_config_selectorIssEEZZNS1_16scan_by_key_implILNS1_25lookback_scan_determinismE0ELb1ES3_N6thrust23THRUST_200600_302600_NS6detail15normal_iteratorINS9_10device_ptrIsEEEESE_SE_sNS9_4plusIvEENS9_8equal_toIsEEsEE10hipError_tPvRmT2_T3_T4_T5_mT6_T7_P12ihipStream_tbENKUlT_T0_E_clISt17integral_constantIbLb1EESZ_EEDaSU_SV_EUlSU_E_NS1_11comp_targetILNS1_3genE3ELNS1_11target_archE908ELNS1_3gpuE7ELNS1_3repE0EEENS1_30default_config_static_selectorELNS0_4arch9wavefront6targetE1EEEvT1_,@function
_ZN7rocprim17ROCPRIM_400000_NS6detail17trampoline_kernelINS0_14default_configENS1_27scan_by_key_config_selectorIssEEZZNS1_16scan_by_key_implILNS1_25lookback_scan_determinismE0ELb1ES3_N6thrust23THRUST_200600_302600_NS6detail15normal_iteratorINS9_10device_ptrIsEEEESE_SE_sNS9_4plusIvEENS9_8equal_toIsEEsEE10hipError_tPvRmT2_T3_T4_T5_mT6_T7_P12ihipStream_tbENKUlT_T0_E_clISt17integral_constantIbLb1EESZ_EEDaSU_SV_EUlSU_E_NS1_11comp_targetILNS1_3genE3ELNS1_11target_archE908ELNS1_3gpuE7ELNS1_3repE0EEENS1_30default_config_static_selectorELNS0_4arch9wavefront6targetE1EEEvT1_: ; @_ZN7rocprim17ROCPRIM_400000_NS6detail17trampoline_kernelINS0_14default_configENS1_27scan_by_key_config_selectorIssEEZZNS1_16scan_by_key_implILNS1_25lookback_scan_determinismE0ELb1ES3_N6thrust23THRUST_200600_302600_NS6detail15normal_iteratorINS9_10device_ptrIsEEEESE_SE_sNS9_4plusIvEENS9_8equal_toIsEEsEE10hipError_tPvRmT2_T3_T4_T5_mT6_T7_P12ihipStream_tbENKUlT_T0_E_clISt17integral_constantIbLb1EESZ_EEDaSU_SV_EUlSU_E_NS1_11comp_targetILNS1_3genE3ELNS1_11target_archE908ELNS1_3gpuE7ELNS1_3repE0EEENS1_30default_config_static_selectorELNS0_4arch9wavefront6targetE1EEEvT1_
; %bb.0:
	.section	.rodata,"a",@progbits
	.p2align	6, 0x0
	.amdhsa_kernel _ZN7rocprim17ROCPRIM_400000_NS6detail17trampoline_kernelINS0_14default_configENS1_27scan_by_key_config_selectorIssEEZZNS1_16scan_by_key_implILNS1_25lookback_scan_determinismE0ELb1ES3_N6thrust23THRUST_200600_302600_NS6detail15normal_iteratorINS9_10device_ptrIsEEEESE_SE_sNS9_4plusIvEENS9_8equal_toIsEEsEE10hipError_tPvRmT2_T3_T4_T5_mT6_T7_P12ihipStream_tbENKUlT_T0_E_clISt17integral_constantIbLb1EESZ_EEDaSU_SV_EUlSU_E_NS1_11comp_targetILNS1_3genE3ELNS1_11target_archE908ELNS1_3gpuE7ELNS1_3repE0EEENS1_30default_config_static_selectorELNS0_4arch9wavefront6targetE1EEEvT1_
		.amdhsa_group_segment_fixed_size 0
		.amdhsa_private_segment_fixed_size 0
		.amdhsa_kernarg_size 112
		.amdhsa_user_sgpr_count 6
		.amdhsa_user_sgpr_private_segment_buffer 1
		.amdhsa_user_sgpr_dispatch_ptr 0
		.amdhsa_user_sgpr_queue_ptr 0
		.amdhsa_user_sgpr_kernarg_segment_ptr 1
		.amdhsa_user_sgpr_dispatch_id 0
		.amdhsa_user_sgpr_flat_scratch_init 0
		.amdhsa_user_sgpr_kernarg_preload_length 0
		.amdhsa_user_sgpr_kernarg_preload_offset 0
		.amdhsa_user_sgpr_private_segment_size 0
		.amdhsa_uses_dynamic_stack 0
		.amdhsa_system_sgpr_private_segment_wavefront_offset 0
		.amdhsa_system_sgpr_workgroup_id_x 1
		.amdhsa_system_sgpr_workgroup_id_y 0
		.amdhsa_system_sgpr_workgroup_id_z 0
		.amdhsa_system_sgpr_workgroup_info 0
		.amdhsa_system_vgpr_workitem_id 0
		.amdhsa_next_free_vgpr 1
		.amdhsa_next_free_sgpr 0
		.amdhsa_accum_offset 4
		.amdhsa_reserve_vcc 0
		.amdhsa_reserve_flat_scratch 0
		.amdhsa_float_round_mode_32 0
		.amdhsa_float_round_mode_16_64 0
		.amdhsa_float_denorm_mode_32 3
		.amdhsa_float_denorm_mode_16_64 3
		.amdhsa_dx10_clamp 1
		.amdhsa_ieee_mode 1
		.amdhsa_fp16_overflow 0
		.amdhsa_tg_split 0
		.amdhsa_exception_fp_ieee_invalid_op 0
		.amdhsa_exception_fp_denorm_src 0
		.amdhsa_exception_fp_ieee_div_zero 0
		.amdhsa_exception_fp_ieee_overflow 0
		.amdhsa_exception_fp_ieee_underflow 0
		.amdhsa_exception_fp_ieee_inexact 0
		.amdhsa_exception_int_div_zero 0
	.end_amdhsa_kernel
	.section	.text._ZN7rocprim17ROCPRIM_400000_NS6detail17trampoline_kernelINS0_14default_configENS1_27scan_by_key_config_selectorIssEEZZNS1_16scan_by_key_implILNS1_25lookback_scan_determinismE0ELb1ES3_N6thrust23THRUST_200600_302600_NS6detail15normal_iteratorINS9_10device_ptrIsEEEESE_SE_sNS9_4plusIvEENS9_8equal_toIsEEsEE10hipError_tPvRmT2_T3_T4_T5_mT6_T7_P12ihipStream_tbENKUlT_T0_E_clISt17integral_constantIbLb1EESZ_EEDaSU_SV_EUlSU_E_NS1_11comp_targetILNS1_3genE3ELNS1_11target_archE908ELNS1_3gpuE7ELNS1_3repE0EEENS1_30default_config_static_selectorELNS0_4arch9wavefront6targetE1EEEvT1_,"axG",@progbits,_ZN7rocprim17ROCPRIM_400000_NS6detail17trampoline_kernelINS0_14default_configENS1_27scan_by_key_config_selectorIssEEZZNS1_16scan_by_key_implILNS1_25lookback_scan_determinismE0ELb1ES3_N6thrust23THRUST_200600_302600_NS6detail15normal_iteratorINS9_10device_ptrIsEEEESE_SE_sNS9_4plusIvEENS9_8equal_toIsEEsEE10hipError_tPvRmT2_T3_T4_T5_mT6_T7_P12ihipStream_tbENKUlT_T0_E_clISt17integral_constantIbLb1EESZ_EEDaSU_SV_EUlSU_E_NS1_11comp_targetILNS1_3genE3ELNS1_11target_archE908ELNS1_3gpuE7ELNS1_3repE0EEENS1_30default_config_static_selectorELNS0_4arch9wavefront6targetE1EEEvT1_,comdat
.Lfunc_end654:
	.size	_ZN7rocprim17ROCPRIM_400000_NS6detail17trampoline_kernelINS0_14default_configENS1_27scan_by_key_config_selectorIssEEZZNS1_16scan_by_key_implILNS1_25lookback_scan_determinismE0ELb1ES3_N6thrust23THRUST_200600_302600_NS6detail15normal_iteratorINS9_10device_ptrIsEEEESE_SE_sNS9_4plusIvEENS9_8equal_toIsEEsEE10hipError_tPvRmT2_T3_T4_T5_mT6_T7_P12ihipStream_tbENKUlT_T0_E_clISt17integral_constantIbLb1EESZ_EEDaSU_SV_EUlSU_E_NS1_11comp_targetILNS1_3genE3ELNS1_11target_archE908ELNS1_3gpuE7ELNS1_3repE0EEENS1_30default_config_static_selectorELNS0_4arch9wavefront6targetE1EEEvT1_, .Lfunc_end654-_ZN7rocprim17ROCPRIM_400000_NS6detail17trampoline_kernelINS0_14default_configENS1_27scan_by_key_config_selectorIssEEZZNS1_16scan_by_key_implILNS1_25lookback_scan_determinismE0ELb1ES3_N6thrust23THRUST_200600_302600_NS6detail15normal_iteratorINS9_10device_ptrIsEEEESE_SE_sNS9_4plusIvEENS9_8equal_toIsEEsEE10hipError_tPvRmT2_T3_T4_T5_mT6_T7_P12ihipStream_tbENKUlT_T0_E_clISt17integral_constantIbLb1EESZ_EEDaSU_SV_EUlSU_E_NS1_11comp_targetILNS1_3genE3ELNS1_11target_archE908ELNS1_3gpuE7ELNS1_3repE0EEENS1_30default_config_static_selectorELNS0_4arch9wavefront6targetE1EEEvT1_
                                        ; -- End function
	.section	.AMDGPU.csdata,"",@progbits
; Kernel info:
; codeLenInByte = 0
; NumSgprs: 4
; NumVgprs: 0
; NumAgprs: 0
; TotalNumVgprs: 0
; ScratchSize: 0
; MemoryBound: 0
; FloatMode: 240
; IeeeMode: 1
; LDSByteSize: 0 bytes/workgroup (compile time only)
; SGPRBlocks: 0
; VGPRBlocks: 0
; NumSGPRsForWavesPerEU: 4
; NumVGPRsForWavesPerEU: 1
; AccumOffset: 4
; Occupancy: 8
; WaveLimiterHint : 0
; COMPUTE_PGM_RSRC2:SCRATCH_EN: 0
; COMPUTE_PGM_RSRC2:USER_SGPR: 6
; COMPUTE_PGM_RSRC2:TRAP_HANDLER: 0
; COMPUTE_PGM_RSRC2:TGID_X_EN: 1
; COMPUTE_PGM_RSRC2:TGID_Y_EN: 0
; COMPUTE_PGM_RSRC2:TGID_Z_EN: 0
; COMPUTE_PGM_RSRC2:TIDIG_COMP_CNT: 0
; COMPUTE_PGM_RSRC3_GFX90A:ACCUM_OFFSET: 0
; COMPUTE_PGM_RSRC3_GFX90A:TG_SPLIT: 0
	.section	.text._ZN7rocprim17ROCPRIM_400000_NS6detail17trampoline_kernelINS0_14default_configENS1_27scan_by_key_config_selectorIssEEZZNS1_16scan_by_key_implILNS1_25lookback_scan_determinismE0ELb1ES3_N6thrust23THRUST_200600_302600_NS6detail15normal_iteratorINS9_10device_ptrIsEEEESE_SE_sNS9_4plusIvEENS9_8equal_toIsEEsEE10hipError_tPvRmT2_T3_T4_T5_mT6_T7_P12ihipStream_tbENKUlT_T0_E_clISt17integral_constantIbLb1EESZ_EEDaSU_SV_EUlSU_E_NS1_11comp_targetILNS1_3genE2ELNS1_11target_archE906ELNS1_3gpuE6ELNS1_3repE0EEENS1_30default_config_static_selectorELNS0_4arch9wavefront6targetE1EEEvT1_,"axG",@progbits,_ZN7rocprim17ROCPRIM_400000_NS6detail17trampoline_kernelINS0_14default_configENS1_27scan_by_key_config_selectorIssEEZZNS1_16scan_by_key_implILNS1_25lookback_scan_determinismE0ELb1ES3_N6thrust23THRUST_200600_302600_NS6detail15normal_iteratorINS9_10device_ptrIsEEEESE_SE_sNS9_4plusIvEENS9_8equal_toIsEEsEE10hipError_tPvRmT2_T3_T4_T5_mT6_T7_P12ihipStream_tbENKUlT_T0_E_clISt17integral_constantIbLb1EESZ_EEDaSU_SV_EUlSU_E_NS1_11comp_targetILNS1_3genE2ELNS1_11target_archE906ELNS1_3gpuE6ELNS1_3repE0EEENS1_30default_config_static_selectorELNS0_4arch9wavefront6targetE1EEEvT1_,comdat
	.protected	_ZN7rocprim17ROCPRIM_400000_NS6detail17trampoline_kernelINS0_14default_configENS1_27scan_by_key_config_selectorIssEEZZNS1_16scan_by_key_implILNS1_25lookback_scan_determinismE0ELb1ES3_N6thrust23THRUST_200600_302600_NS6detail15normal_iteratorINS9_10device_ptrIsEEEESE_SE_sNS9_4plusIvEENS9_8equal_toIsEEsEE10hipError_tPvRmT2_T3_T4_T5_mT6_T7_P12ihipStream_tbENKUlT_T0_E_clISt17integral_constantIbLb1EESZ_EEDaSU_SV_EUlSU_E_NS1_11comp_targetILNS1_3genE2ELNS1_11target_archE906ELNS1_3gpuE6ELNS1_3repE0EEENS1_30default_config_static_selectorELNS0_4arch9wavefront6targetE1EEEvT1_ ; -- Begin function _ZN7rocprim17ROCPRIM_400000_NS6detail17trampoline_kernelINS0_14default_configENS1_27scan_by_key_config_selectorIssEEZZNS1_16scan_by_key_implILNS1_25lookback_scan_determinismE0ELb1ES3_N6thrust23THRUST_200600_302600_NS6detail15normal_iteratorINS9_10device_ptrIsEEEESE_SE_sNS9_4plusIvEENS9_8equal_toIsEEsEE10hipError_tPvRmT2_T3_T4_T5_mT6_T7_P12ihipStream_tbENKUlT_T0_E_clISt17integral_constantIbLb1EESZ_EEDaSU_SV_EUlSU_E_NS1_11comp_targetILNS1_3genE2ELNS1_11target_archE906ELNS1_3gpuE6ELNS1_3repE0EEENS1_30default_config_static_selectorELNS0_4arch9wavefront6targetE1EEEvT1_
	.globl	_ZN7rocprim17ROCPRIM_400000_NS6detail17trampoline_kernelINS0_14default_configENS1_27scan_by_key_config_selectorIssEEZZNS1_16scan_by_key_implILNS1_25lookback_scan_determinismE0ELb1ES3_N6thrust23THRUST_200600_302600_NS6detail15normal_iteratorINS9_10device_ptrIsEEEESE_SE_sNS9_4plusIvEENS9_8equal_toIsEEsEE10hipError_tPvRmT2_T3_T4_T5_mT6_T7_P12ihipStream_tbENKUlT_T0_E_clISt17integral_constantIbLb1EESZ_EEDaSU_SV_EUlSU_E_NS1_11comp_targetILNS1_3genE2ELNS1_11target_archE906ELNS1_3gpuE6ELNS1_3repE0EEENS1_30default_config_static_selectorELNS0_4arch9wavefront6targetE1EEEvT1_
	.p2align	8
	.type	_ZN7rocprim17ROCPRIM_400000_NS6detail17trampoline_kernelINS0_14default_configENS1_27scan_by_key_config_selectorIssEEZZNS1_16scan_by_key_implILNS1_25lookback_scan_determinismE0ELb1ES3_N6thrust23THRUST_200600_302600_NS6detail15normal_iteratorINS9_10device_ptrIsEEEESE_SE_sNS9_4plusIvEENS9_8equal_toIsEEsEE10hipError_tPvRmT2_T3_T4_T5_mT6_T7_P12ihipStream_tbENKUlT_T0_E_clISt17integral_constantIbLb1EESZ_EEDaSU_SV_EUlSU_E_NS1_11comp_targetILNS1_3genE2ELNS1_11target_archE906ELNS1_3gpuE6ELNS1_3repE0EEENS1_30default_config_static_selectorELNS0_4arch9wavefront6targetE1EEEvT1_,@function
_ZN7rocprim17ROCPRIM_400000_NS6detail17trampoline_kernelINS0_14default_configENS1_27scan_by_key_config_selectorIssEEZZNS1_16scan_by_key_implILNS1_25lookback_scan_determinismE0ELb1ES3_N6thrust23THRUST_200600_302600_NS6detail15normal_iteratorINS9_10device_ptrIsEEEESE_SE_sNS9_4plusIvEENS9_8equal_toIsEEsEE10hipError_tPvRmT2_T3_T4_T5_mT6_T7_P12ihipStream_tbENKUlT_T0_E_clISt17integral_constantIbLb1EESZ_EEDaSU_SV_EUlSU_E_NS1_11comp_targetILNS1_3genE2ELNS1_11target_archE906ELNS1_3gpuE6ELNS1_3repE0EEENS1_30default_config_static_selectorELNS0_4arch9wavefront6targetE1EEEvT1_: ; @_ZN7rocprim17ROCPRIM_400000_NS6detail17trampoline_kernelINS0_14default_configENS1_27scan_by_key_config_selectorIssEEZZNS1_16scan_by_key_implILNS1_25lookback_scan_determinismE0ELb1ES3_N6thrust23THRUST_200600_302600_NS6detail15normal_iteratorINS9_10device_ptrIsEEEESE_SE_sNS9_4plusIvEENS9_8equal_toIsEEsEE10hipError_tPvRmT2_T3_T4_T5_mT6_T7_P12ihipStream_tbENKUlT_T0_E_clISt17integral_constantIbLb1EESZ_EEDaSU_SV_EUlSU_E_NS1_11comp_targetILNS1_3genE2ELNS1_11target_archE906ELNS1_3gpuE6ELNS1_3repE0EEENS1_30default_config_static_selectorELNS0_4arch9wavefront6targetE1EEEvT1_
; %bb.0:
	.section	.rodata,"a",@progbits
	.p2align	6, 0x0
	.amdhsa_kernel _ZN7rocprim17ROCPRIM_400000_NS6detail17trampoline_kernelINS0_14default_configENS1_27scan_by_key_config_selectorIssEEZZNS1_16scan_by_key_implILNS1_25lookback_scan_determinismE0ELb1ES3_N6thrust23THRUST_200600_302600_NS6detail15normal_iteratorINS9_10device_ptrIsEEEESE_SE_sNS9_4plusIvEENS9_8equal_toIsEEsEE10hipError_tPvRmT2_T3_T4_T5_mT6_T7_P12ihipStream_tbENKUlT_T0_E_clISt17integral_constantIbLb1EESZ_EEDaSU_SV_EUlSU_E_NS1_11comp_targetILNS1_3genE2ELNS1_11target_archE906ELNS1_3gpuE6ELNS1_3repE0EEENS1_30default_config_static_selectorELNS0_4arch9wavefront6targetE1EEEvT1_
		.amdhsa_group_segment_fixed_size 0
		.amdhsa_private_segment_fixed_size 0
		.amdhsa_kernarg_size 112
		.amdhsa_user_sgpr_count 6
		.amdhsa_user_sgpr_private_segment_buffer 1
		.amdhsa_user_sgpr_dispatch_ptr 0
		.amdhsa_user_sgpr_queue_ptr 0
		.amdhsa_user_sgpr_kernarg_segment_ptr 1
		.amdhsa_user_sgpr_dispatch_id 0
		.amdhsa_user_sgpr_flat_scratch_init 0
		.amdhsa_user_sgpr_kernarg_preload_length 0
		.amdhsa_user_sgpr_kernarg_preload_offset 0
		.amdhsa_user_sgpr_private_segment_size 0
		.amdhsa_uses_dynamic_stack 0
		.amdhsa_system_sgpr_private_segment_wavefront_offset 0
		.amdhsa_system_sgpr_workgroup_id_x 1
		.amdhsa_system_sgpr_workgroup_id_y 0
		.amdhsa_system_sgpr_workgroup_id_z 0
		.amdhsa_system_sgpr_workgroup_info 0
		.amdhsa_system_vgpr_workitem_id 0
		.amdhsa_next_free_vgpr 1
		.amdhsa_next_free_sgpr 0
		.amdhsa_accum_offset 4
		.amdhsa_reserve_vcc 0
		.amdhsa_reserve_flat_scratch 0
		.amdhsa_float_round_mode_32 0
		.amdhsa_float_round_mode_16_64 0
		.amdhsa_float_denorm_mode_32 3
		.amdhsa_float_denorm_mode_16_64 3
		.amdhsa_dx10_clamp 1
		.amdhsa_ieee_mode 1
		.amdhsa_fp16_overflow 0
		.amdhsa_tg_split 0
		.amdhsa_exception_fp_ieee_invalid_op 0
		.amdhsa_exception_fp_denorm_src 0
		.amdhsa_exception_fp_ieee_div_zero 0
		.amdhsa_exception_fp_ieee_overflow 0
		.amdhsa_exception_fp_ieee_underflow 0
		.amdhsa_exception_fp_ieee_inexact 0
		.amdhsa_exception_int_div_zero 0
	.end_amdhsa_kernel
	.section	.text._ZN7rocprim17ROCPRIM_400000_NS6detail17trampoline_kernelINS0_14default_configENS1_27scan_by_key_config_selectorIssEEZZNS1_16scan_by_key_implILNS1_25lookback_scan_determinismE0ELb1ES3_N6thrust23THRUST_200600_302600_NS6detail15normal_iteratorINS9_10device_ptrIsEEEESE_SE_sNS9_4plusIvEENS9_8equal_toIsEEsEE10hipError_tPvRmT2_T3_T4_T5_mT6_T7_P12ihipStream_tbENKUlT_T0_E_clISt17integral_constantIbLb1EESZ_EEDaSU_SV_EUlSU_E_NS1_11comp_targetILNS1_3genE2ELNS1_11target_archE906ELNS1_3gpuE6ELNS1_3repE0EEENS1_30default_config_static_selectorELNS0_4arch9wavefront6targetE1EEEvT1_,"axG",@progbits,_ZN7rocprim17ROCPRIM_400000_NS6detail17trampoline_kernelINS0_14default_configENS1_27scan_by_key_config_selectorIssEEZZNS1_16scan_by_key_implILNS1_25lookback_scan_determinismE0ELb1ES3_N6thrust23THRUST_200600_302600_NS6detail15normal_iteratorINS9_10device_ptrIsEEEESE_SE_sNS9_4plusIvEENS9_8equal_toIsEEsEE10hipError_tPvRmT2_T3_T4_T5_mT6_T7_P12ihipStream_tbENKUlT_T0_E_clISt17integral_constantIbLb1EESZ_EEDaSU_SV_EUlSU_E_NS1_11comp_targetILNS1_3genE2ELNS1_11target_archE906ELNS1_3gpuE6ELNS1_3repE0EEENS1_30default_config_static_selectorELNS0_4arch9wavefront6targetE1EEEvT1_,comdat
.Lfunc_end655:
	.size	_ZN7rocprim17ROCPRIM_400000_NS6detail17trampoline_kernelINS0_14default_configENS1_27scan_by_key_config_selectorIssEEZZNS1_16scan_by_key_implILNS1_25lookback_scan_determinismE0ELb1ES3_N6thrust23THRUST_200600_302600_NS6detail15normal_iteratorINS9_10device_ptrIsEEEESE_SE_sNS9_4plusIvEENS9_8equal_toIsEEsEE10hipError_tPvRmT2_T3_T4_T5_mT6_T7_P12ihipStream_tbENKUlT_T0_E_clISt17integral_constantIbLb1EESZ_EEDaSU_SV_EUlSU_E_NS1_11comp_targetILNS1_3genE2ELNS1_11target_archE906ELNS1_3gpuE6ELNS1_3repE0EEENS1_30default_config_static_selectorELNS0_4arch9wavefront6targetE1EEEvT1_, .Lfunc_end655-_ZN7rocprim17ROCPRIM_400000_NS6detail17trampoline_kernelINS0_14default_configENS1_27scan_by_key_config_selectorIssEEZZNS1_16scan_by_key_implILNS1_25lookback_scan_determinismE0ELb1ES3_N6thrust23THRUST_200600_302600_NS6detail15normal_iteratorINS9_10device_ptrIsEEEESE_SE_sNS9_4plusIvEENS9_8equal_toIsEEsEE10hipError_tPvRmT2_T3_T4_T5_mT6_T7_P12ihipStream_tbENKUlT_T0_E_clISt17integral_constantIbLb1EESZ_EEDaSU_SV_EUlSU_E_NS1_11comp_targetILNS1_3genE2ELNS1_11target_archE906ELNS1_3gpuE6ELNS1_3repE0EEENS1_30default_config_static_selectorELNS0_4arch9wavefront6targetE1EEEvT1_
                                        ; -- End function
	.section	.AMDGPU.csdata,"",@progbits
; Kernel info:
; codeLenInByte = 0
; NumSgprs: 4
; NumVgprs: 0
; NumAgprs: 0
; TotalNumVgprs: 0
; ScratchSize: 0
; MemoryBound: 0
; FloatMode: 240
; IeeeMode: 1
; LDSByteSize: 0 bytes/workgroup (compile time only)
; SGPRBlocks: 0
; VGPRBlocks: 0
; NumSGPRsForWavesPerEU: 4
; NumVGPRsForWavesPerEU: 1
; AccumOffset: 4
; Occupancy: 8
; WaveLimiterHint : 0
; COMPUTE_PGM_RSRC2:SCRATCH_EN: 0
; COMPUTE_PGM_RSRC2:USER_SGPR: 6
; COMPUTE_PGM_RSRC2:TRAP_HANDLER: 0
; COMPUTE_PGM_RSRC2:TGID_X_EN: 1
; COMPUTE_PGM_RSRC2:TGID_Y_EN: 0
; COMPUTE_PGM_RSRC2:TGID_Z_EN: 0
; COMPUTE_PGM_RSRC2:TIDIG_COMP_CNT: 0
; COMPUTE_PGM_RSRC3_GFX90A:ACCUM_OFFSET: 0
; COMPUTE_PGM_RSRC3_GFX90A:TG_SPLIT: 0
	.section	.text._ZN7rocprim17ROCPRIM_400000_NS6detail17trampoline_kernelINS0_14default_configENS1_27scan_by_key_config_selectorIssEEZZNS1_16scan_by_key_implILNS1_25lookback_scan_determinismE0ELb1ES3_N6thrust23THRUST_200600_302600_NS6detail15normal_iteratorINS9_10device_ptrIsEEEESE_SE_sNS9_4plusIvEENS9_8equal_toIsEEsEE10hipError_tPvRmT2_T3_T4_T5_mT6_T7_P12ihipStream_tbENKUlT_T0_E_clISt17integral_constantIbLb1EESZ_EEDaSU_SV_EUlSU_E_NS1_11comp_targetILNS1_3genE10ELNS1_11target_archE1200ELNS1_3gpuE4ELNS1_3repE0EEENS1_30default_config_static_selectorELNS0_4arch9wavefront6targetE1EEEvT1_,"axG",@progbits,_ZN7rocprim17ROCPRIM_400000_NS6detail17trampoline_kernelINS0_14default_configENS1_27scan_by_key_config_selectorIssEEZZNS1_16scan_by_key_implILNS1_25lookback_scan_determinismE0ELb1ES3_N6thrust23THRUST_200600_302600_NS6detail15normal_iteratorINS9_10device_ptrIsEEEESE_SE_sNS9_4plusIvEENS9_8equal_toIsEEsEE10hipError_tPvRmT2_T3_T4_T5_mT6_T7_P12ihipStream_tbENKUlT_T0_E_clISt17integral_constantIbLb1EESZ_EEDaSU_SV_EUlSU_E_NS1_11comp_targetILNS1_3genE10ELNS1_11target_archE1200ELNS1_3gpuE4ELNS1_3repE0EEENS1_30default_config_static_selectorELNS0_4arch9wavefront6targetE1EEEvT1_,comdat
	.protected	_ZN7rocprim17ROCPRIM_400000_NS6detail17trampoline_kernelINS0_14default_configENS1_27scan_by_key_config_selectorIssEEZZNS1_16scan_by_key_implILNS1_25lookback_scan_determinismE0ELb1ES3_N6thrust23THRUST_200600_302600_NS6detail15normal_iteratorINS9_10device_ptrIsEEEESE_SE_sNS9_4plusIvEENS9_8equal_toIsEEsEE10hipError_tPvRmT2_T3_T4_T5_mT6_T7_P12ihipStream_tbENKUlT_T0_E_clISt17integral_constantIbLb1EESZ_EEDaSU_SV_EUlSU_E_NS1_11comp_targetILNS1_3genE10ELNS1_11target_archE1200ELNS1_3gpuE4ELNS1_3repE0EEENS1_30default_config_static_selectorELNS0_4arch9wavefront6targetE1EEEvT1_ ; -- Begin function _ZN7rocprim17ROCPRIM_400000_NS6detail17trampoline_kernelINS0_14default_configENS1_27scan_by_key_config_selectorIssEEZZNS1_16scan_by_key_implILNS1_25lookback_scan_determinismE0ELb1ES3_N6thrust23THRUST_200600_302600_NS6detail15normal_iteratorINS9_10device_ptrIsEEEESE_SE_sNS9_4plusIvEENS9_8equal_toIsEEsEE10hipError_tPvRmT2_T3_T4_T5_mT6_T7_P12ihipStream_tbENKUlT_T0_E_clISt17integral_constantIbLb1EESZ_EEDaSU_SV_EUlSU_E_NS1_11comp_targetILNS1_3genE10ELNS1_11target_archE1200ELNS1_3gpuE4ELNS1_3repE0EEENS1_30default_config_static_selectorELNS0_4arch9wavefront6targetE1EEEvT1_
	.globl	_ZN7rocprim17ROCPRIM_400000_NS6detail17trampoline_kernelINS0_14default_configENS1_27scan_by_key_config_selectorIssEEZZNS1_16scan_by_key_implILNS1_25lookback_scan_determinismE0ELb1ES3_N6thrust23THRUST_200600_302600_NS6detail15normal_iteratorINS9_10device_ptrIsEEEESE_SE_sNS9_4plusIvEENS9_8equal_toIsEEsEE10hipError_tPvRmT2_T3_T4_T5_mT6_T7_P12ihipStream_tbENKUlT_T0_E_clISt17integral_constantIbLb1EESZ_EEDaSU_SV_EUlSU_E_NS1_11comp_targetILNS1_3genE10ELNS1_11target_archE1200ELNS1_3gpuE4ELNS1_3repE0EEENS1_30default_config_static_selectorELNS0_4arch9wavefront6targetE1EEEvT1_
	.p2align	8
	.type	_ZN7rocprim17ROCPRIM_400000_NS6detail17trampoline_kernelINS0_14default_configENS1_27scan_by_key_config_selectorIssEEZZNS1_16scan_by_key_implILNS1_25lookback_scan_determinismE0ELb1ES3_N6thrust23THRUST_200600_302600_NS6detail15normal_iteratorINS9_10device_ptrIsEEEESE_SE_sNS9_4plusIvEENS9_8equal_toIsEEsEE10hipError_tPvRmT2_T3_T4_T5_mT6_T7_P12ihipStream_tbENKUlT_T0_E_clISt17integral_constantIbLb1EESZ_EEDaSU_SV_EUlSU_E_NS1_11comp_targetILNS1_3genE10ELNS1_11target_archE1200ELNS1_3gpuE4ELNS1_3repE0EEENS1_30default_config_static_selectorELNS0_4arch9wavefront6targetE1EEEvT1_,@function
_ZN7rocprim17ROCPRIM_400000_NS6detail17trampoline_kernelINS0_14default_configENS1_27scan_by_key_config_selectorIssEEZZNS1_16scan_by_key_implILNS1_25lookback_scan_determinismE0ELb1ES3_N6thrust23THRUST_200600_302600_NS6detail15normal_iteratorINS9_10device_ptrIsEEEESE_SE_sNS9_4plusIvEENS9_8equal_toIsEEsEE10hipError_tPvRmT2_T3_T4_T5_mT6_T7_P12ihipStream_tbENKUlT_T0_E_clISt17integral_constantIbLb1EESZ_EEDaSU_SV_EUlSU_E_NS1_11comp_targetILNS1_3genE10ELNS1_11target_archE1200ELNS1_3gpuE4ELNS1_3repE0EEENS1_30default_config_static_selectorELNS0_4arch9wavefront6targetE1EEEvT1_: ; @_ZN7rocprim17ROCPRIM_400000_NS6detail17trampoline_kernelINS0_14default_configENS1_27scan_by_key_config_selectorIssEEZZNS1_16scan_by_key_implILNS1_25lookback_scan_determinismE0ELb1ES3_N6thrust23THRUST_200600_302600_NS6detail15normal_iteratorINS9_10device_ptrIsEEEESE_SE_sNS9_4plusIvEENS9_8equal_toIsEEsEE10hipError_tPvRmT2_T3_T4_T5_mT6_T7_P12ihipStream_tbENKUlT_T0_E_clISt17integral_constantIbLb1EESZ_EEDaSU_SV_EUlSU_E_NS1_11comp_targetILNS1_3genE10ELNS1_11target_archE1200ELNS1_3gpuE4ELNS1_3repE0EEENS1_30default_config_static_selectorELNS0_4arch9wavefront6targetE1EEEvT1_
; %bb.0:
	.section	.rodata,"a",@progbits
	.p2align	6, 0x0
	.amdhsa_kernel _ZN7rocprim17ROCPRIM_400000_NS6detail17trampoline_kernelINS0_14default_configENS1_27scan_by_key_config_selectorIssEEZZNS1_16scan_by_key_implILNS1_25lookback_scan_determinismE0ELb1ES3_N6thrust23THRUST_200600_302600_NS6detail15normal_iteratorINS9_10device_ptrIsEEEESE_SE_sNS9_4plusIvEENS9_8equal_toIsEEsEE10hipError_tPvRmT2_T3_T4_T5_mT6_T7_P12ihipStream_tbENKUlT_T0_E_clISt17integral_constantIbLb1EESZ_EEDaSU_SV_EUlSU_E_NS1_11comp_targetILNS1_3genE10ELNS1_11target_archE1200ELNS1_3gpuE4ELNS1_3repE0EEENS1_30default_config_static_selectorELNS0_4arch9wavefront6targetE1EEEvT1_
		.amdhsa_group_segment_fixed_size 0
		.amdhsa_private_segment_fixed_size 0
		.amdhsa_kernarg_size 112
		.amdhsa_user_sgpr_count 6
		.amdhsa_user_sgpr_private_segment_buffer 1
		.amdhsa_user_sgpr_dispatch_ptr 0
		.amdhsa_user_sgpr_queue_ptr 0
		.amdhsa_user_sgpr_kernarg_segment_ptr 1
		.amdhsa_user_sgpr_dispatch_id 0
		.amdhsa_user_sgpr_flat_scratch_init 0
		.amdhsa_user_sgpr_kernarg_preload_length 0
		.amdhsa_user_sgpr_kernarg_preload_offset 0
		.amdhsa_user_sgpr_private_segment_size 0
		.amdhsa_uses_dynamic_stack 0
		.amdhsa_system_sgpr_private_segment_wavefront_offset 0
		.amdhsa_system_sgpr_workgroup_id_x 1
		.amdhsa_system_sgpr_workgroup_id_y 0
		.amdhsa_system_sgpr_workgroup_id_z 0
		.amdhsa_system_sgpr_workgroup_info 0
		.amdhsa_system_vgpr_workitem_id 0
		.amdhsa_next_free_vgpr 1
		.amdhsa_next_free_sgpr 0
		.amdhsa_accum_offset 4
		.amdhsa_reserve_vcc 0
		.amdhsa_reserve_flat_scratch 0
		.amdhsa_float_round_mode_32 0
		.amdhsa_float_round_mode_16_64 0
		.amdhsa_float_denorm_mode_32 3
		.amdhsa_float_denorm_mode_16_64 3
		.amdhsa_dx10_clamp 1
		.amdhsa_ieee_mode 1
		.amdhsa_fp16_overflow 0
		.amdhsa_tg_split 0
		.amdhsa_exception_fp_ieee_invalid_op 0
		.amdhsa_exception_fp_denorm_src 0
		.amdhsa_exception_fp_ieee_div_zero 0
		.amdhsa_exception_fp_ieee_overflow 0
		.amdhsa_exception_fp_ieee_underflow 0
		.amdhsa_exception_fp_ieee_inexact 0
		.amdhsa_exception_int_div_zero 0
	.end_amdhsa_kernel
	.section	.text._ZN7rocprim17ROCPRIM_400000_NS6detail17trampoline_kernelINS0_14default_configENS1_27scan_by_key_config_selectorIssEEZZNS1_16scan_by_key_implILNS1_25lookback_scan_determinismE0ELb1ES3_N6thrust23THRUST_200600_302600_NS6detail15normal_iteratorINS9_10device_ptrIsEEEESE_SE_sNS9_4plusIvEENS9_8equal_toIsEEsEE10hipError_tPvRmT2_T3_T4_T5_mT6_T7_P12ihipStream_tbENKUlT_T0_E_clISt17integral_constantIbLb1EESZ_EEDaSU_SV_EUlSU_E_NS1_11comp_targetILNS1_3genE10ELNS1_11target_archE1200ELNS1_3gpuE4ELNS1_3repE0EEENS1_30default_config_static_selectorELNS0_4arch9wavefront6targetE1EEEvT1_,"axG",@progbits,_ZN7rocprim17ROCPRIM_400000_NS6detail17trampoline_kernelINS0_14default_configENS1_27scan_by_key_config_selectorIssEEZZNS1_16scan_by_key_implILNS1_25lookback_scan_determinismE0ELb1ES3_N6thrust23THRUST_200600_302600_NS6detail15normal_iteratorINS9_10device_ptrIsEEEESE_SE_sNS9_4plusIvEENS9_8equal_toIsEEsEE10hipError_tPvRmT2_T3_T4_T5_mT6_T7_P12ihipStream_tbENKUlT_T0_E_clISt17integral_constantIbLb1EESZ_EEDaSU_SV_EUlSU_E_NS1_11comp_targetILNS1_3genE10ELNS1_11target_archE1200ELNS1_3gpuE4ELNS1_3repE0EEENS1_30default_config_static_selectorELNS0_4arch9wavefront6targetE1EEEvT1_,comdat
.Lfunc_end656:
	.size	_ZN7rocprim17ROCPRIM_400000_NS6detail17trampoline_kernelINS0_14default_configENS1_27scan_by_key_config_selectorIssEEZZNS1_16scan_by_key_implILNS1_25lookback_scan_determinismE0ELb1ES3_N6thrust23THRUST_200600_302600_NS6detail15normal_iteratorINS9_10device_ptrIsEEEESE_SE_sNS9_4plusIvEENS9_8equal_toIsEEsEE10hipError_tPvRmT2_T3_T4_T5_mT6_T7_P12ihipStream_tbENKUlT_T0_E_clISt17integral_constantIbLb1EESZ_EEDaSU_SV_EUlSU_E_NS1_11comp_targetILNS1_3genE10ELNS1_11target_archE1200ELNS1_3gpuE4ELNS1_3repE0EEENS1_30default_config_static_selectorELNS0_4arch9wavefront6targetE1EEEvT1_, .Lfunc_end656-_ZN7rocprim17ROCPRIM_400000_NS6detail17trampoline_kernelINS0_14default_configENS1_27scan_by_key_config_selectorIssEEZZNS1_16scan_by_key_implILNS1_25lookback_scan_determinismE0ELb1ES3_N6thrust23THRUST_200600_302600_NS6detail15normal_iteratorINS9_10device_ptrIsEEEESE_SE_sNS9_4plusIvEENS9_8equal_toIsEEsEE10hipError_tPvRmT2_T3_T4_T5_mT6_T7_P12ihipStream_tbENKUlT_T0_E_clISt17integral_constantIbLb1EESZ_EEDaSU_SV_EUlSU_E_NS1_11comp_targetILNS1_3genE10ELNS1_11target_archE1200ELNS1_3gpuE4ELNS1_3repE0EEENS1_30default_config_static_selectorELNS0_4arch9wavefront6targetE1EEEvT1_
                                        ; -- End function
	.section	.AMDGPU.csdata,"",@progbits
; Kernel info:
; codeLenInByte = 0
; NumSgprs: 4
; NumVgprs: 0
; NumAgprs: 0
; TotalNumVgprs: 0
; ScratchSize: 0
; MemoryBound: 0
; FloatMode: 240
; IeeeMode: 1
; LDSByteSize: 0 bytes/workgroup (compile time only)
; SGPRBlocks: 0
; VGPRBlocks: 0
; NumSGPRsForWavesPerEU: 4
; NumVGPRsForWavesPerEU: 1
; AccumOffset: 4
; Occupancy: 8
; WaveLimiterHint : 0
; COMPUTE_PGM_RSRC2:SCRATCH_EN: 0
; COMPUTE_PGM_RSRC2:USER_SGPR: 6
; COMPUTE_PGM_RSRC2:TRAP_HANDLER: 0
; COMPUTE_PGM_RSRC2:TGID_X_EN: 1
; COMPUTE_PGM_RSRC2:TGID_Y_EN: 0
; COMPUTE_PGM_RSRC2:TGID_Z_EN: 0
; COMPUTE_PGM_RSRC2:TIDIG_COMP_CNT: 0
; COMPUTE_PGM_RSRC3_GFX90A:ACCUM_OFFSET: 0
; COMPUTE_PGM_RSRC3_GFX90A:TG_SPLIT: 0
	.section	.text._ZN7rocprim17ROCPRIM_400000_NS6detail17trampoline_kernelINS0_14default_configENS1_27scan_by_key_config_selectorIssEEZZNS1_16scan_by_key_implILNS1_25lookback_scan_determinismE0ELb1ES3_N6thrust23THRUST_200600_302600_NS6detail15normal_iteratorINS9_10device_ptrIsEEEESE_SE_sNS9_4plusIvEENS9_8equal_toIsEEsEE10hipError_tPvRmT2_T3_T4_T5_mT6_T7_P12ihipStream_tbENKUlT_T0_E_clISt17integral_constantIbLb1EESZ_EEDaSU_SV_EUlSU_E_NS1_11comp_targetILNS1_3genE9ELNS1_11target_archE1100ELNS1_3gpuE3ELNS1_3repE0EEENS1_30default_config_static_selectorELNS0_4arch9wavefront6targetE1EEEvT1_,"axG",@progbits,_ZN7rocprim17ROCPRIM_400000_NS6detail17trampoline_kernelINS0_14default_configENS1_27scan_by_key_config_selectorIssEEZZNS1_16scan_by_key_implILNS1_25lookback_scan_determinismE0ELb1ES3_N6thrust23THRUST_200600_302600_NS6detail15normal_iteratorINS9_10device_ptrIsEEEESE_SE_sNS9_4plusIvEENS9_8equal_toIsEEsEE10hipError_tPvRmT2_T3_T4_T5_mT6_T7_P12ihipStream_tbENKUlT_T0_E_clISt17integral_constantIbLb1EESZ_EEDaSU_SV_EUlSU_E_NS1_11comp_targetILNS1_3genE9ELNS1_11target_archE1100ELNS1_3gpuE3ELNS1_3repE0EEENS1_30default_config_static_selectorELNS0_4arch9wavefront6targetE1EEEvT1_,comdat
	.protected	_ZN7rocprim17ROCPRIM_400000_NS6detail17trampoline_kernelINS0_14default_configENS1_27scan_by_key_config_selectorIssEEZZNS1_16scan_by_key_implILNS1_25lookback_scan_determinismE0ELb1ES3_N6thrust23THRUST_200600_302600_NS6detail15normal_iteratorINS9_10device_ptrIsEEEESE_SE_sNS9_4plusIvEENS9_8equal_toIsEEsEE10hipError_tPvRmT2_T3_T4_T5_mT6_T7_P12ihipStream_tbENKUlT_T0_E_clISt17integral_constantIbLb1EESZ_EEDaSU_SV_EUlSU_E_NS1_11comp_targetILNS1_3genE9ELNS1_11target_archE1100ELNS1_3gpuE3ELNS1_3repE0EEENS1_30default_config_static_selectorELNS0_4arch9wavefront6targetE1EEEvT1_ ; -- Begin function _ZN7rocprim17ROCPRIM_400000_NS6detail17trampoline_kernelINS0_14default_configENS1_27scan_by_key_config_selectorIssEEZZNS1_16scan_by_key_implILNS1_25lookback_scan_determinismE0ELb1ES3_N6thrust23THRUST_200600_302600_NS6detail15normal_iteratorINS9_10device_ptrIsEEEESE_SE_sNS9_4plusIvEENS9_8equal_toIsEEsEE10hipError_tPvRmT2_T3_T4_T5_mT6_T7_P12ihipStream_tbENKUlT_T0_E_clISt17integral_constantIbLb1EESZ_EEDaSU_SV_EUlSU_E_NS1_11comp_targetILNS1_3genE9ELNS1_11target_archE1100ELNS1_3gpuE3ELNS1_3repE0EEENS1_30default_config_static_selectorELNS0_4arch9wavefront6targetE1EEEvT1_
	.globl	_ZN7rocprim17ROCPRIM_400000_NS6detail17trampoline_kernelINS0_14default_configENS1_27scan_by_key_config_selectorIssEEZZNS1_16scan_by_key_implILNS1_25lookback_scan_determinismE0ELb1ES3_N6thrust23THRUST_200600_302600_NS6detail15normal_iteratorINS9_10device_ptrIsEEEESE_SE_sNS9_4plusIvEENS9_8equal_toIsEEsEE10hipError_tPvRmT2_T3_T4_T5_mT6_T7_P12ihipStream_tbENKUlT_T0_E_clISt17integral_constantIbLb1EESZ_EEDaSU_SV_EUlSU_E_NS1_11comp_targetILNS1_3genE9ELNS1_11target_archE1100ELNS1_3gpuE3ELNS1_3repE0EEENS1_30default_config_static_selectorELNS0_4arch9wavefront6targetE1EEEvT1_
	.p2align	8
	.type	_ZN7rocprim17ROCPRIM_400000_NS6detail17trampoline_kernelINS0_14default_configENS1_27scan_by_key_config_selectorIssEEZZNS1_16scan_by_key_implILNS1_25lookback_scan_determinismE0ELb1ES3_N6thrust23THRUST_200600_302600_NS6detail15normal_iteratorINS9_10device_ptrIsEEEESE_SE_sNS9_4plusIvEENS9_8equal_toIsEEsEE10hipError_tPvRmT2_T3_T4_T5_mT6_T7_P12ihipStream_tbENKUlT_T0_E_clISt17integral_constantIbLb1EESZ_EEDaSU_SV_EUlSU_E_NS1_11comp_targetILNS1_3genE9ELNS1_11target_archE1100ELNS1_3gpuE3ELNS1_3repE0EEENS1_30default_config_static_selectorELNS0_4arch9wavefront6targetE1EEEvT1_,@function
_ZN7rocprim17ROCPRIM_400000_NS6detail17trampoline_kernelINS0_14default_configENS1_27scan_by_key_config_selectorIssEEZZNS1_16scan_by_key_implILNS1_25lookback_scan_determinismE0ELb1ES3_N6thrust23THRUST_200600_302600_NS6detail15normal_iteratorINS9_10device_ptrIsEEEESE_SE_sNS9_4plusIvEENS9_8equal_toIsEEsEE10hipError_tPvRmT2_T3_T4_T5_mT6_T7_P12ihipStream_tbENKUlT_T0_E_clISt17integral_constantIbLb1EESZ_EEDaSU_SV_EUlSU_E_NS1_11comp_targetILNS1_3genE9ELNS1_11target_archE1100ELNS1_3gpuE3ELNS1_3repE0EEENS1_30default_config_static_selectorELNS0_4arch9wavefront6targetE1EEEvT1_: ; @_ZN7rocprim17ROCPRIM_400000_NS6detail17trampoline_kernelINS0_14default_configENS1_27scan_by_key_config_selectorIssEEZZNS1_16scan_by_key_implILNS1_25lookback_scan_determinismE0ELb1ES3_N6thrust23THRUST_200600_302600_NS6detail15normal_iteratorINS9_10device_ptrIsEEEESE_SE_sNS9_4plusIvEENS9_8equal_toIsEEsEE10hipError_tPvRmT2_T3_T4_T5_mT6_T7_P12ihipStream_tbENKUlT_T0_E_clISt17integral_constantIbLb1EESZ_EEDaSU_SV_EUlSU_E_NS1_11comp_targetILNS1_3genE9ELNS1_11target_archE1100ELNS1_3gpuE3ELNS1_3repE0EEENS1_30default_config_static_selectorELNS0_4arch9wavefront6targetE1EEEvT1_
; %bb.0:
	.section	.rodata,"a",@progbits
	.p2align	6, 0x0
	.amdhsa_kernel _ZN7rocprim17ROCPRIM_400000_NS6detail17trampoline_kernelINS0_14default_configENS1_27scan_by_key_config_selectorIssEEZZNS1_16scan_by_key_implILNS1_25lookback_scan_determinismE0ELb1ES3_N6thrust23THRUST_200600_302600_NS6detail15normal_iteratorINS9_10device_ptrIsEEEESE_SE_sNS9_4plusIvEENS9_8equal_toIsEEsEE10hipError_tPvRmT2_T3_T4_T5_mT6_T7_P12ihipStream_tbENKUlT_T0_E_clISt17integral_constantIbLb1EESZ_EEDaSU_SV_EUlSU_E_NS1_11comp_targetILNS1_3genE9ELNS1_11target_archE1100ELNS1_3gpuE3ELNS1_3repE0EEENS1_30default_config_static_selectorELNS0_4arch9wavefront6targetE1EEEvT1_
		.amdhsa_group_segment_fixed_size 0
		.amdhsa_private_segment_fixed_size 0
		.amdhsa_kernarg_size 112
		.amdhsa_user_sgpr_count 6
		.amdhsa_user_sgpr_private_segment_buffer 1
		.amdhsa_user_sgpr_dispatch_ptr 0
		.amdhsa_user_sgpr_queue_ptr 0
		.amdhsa_user_sgpr_kernarg_segment_ptr 1
		.amdhsa_user_sgpr_dispatch_id 0
		.amdhsa_user_sgpr_flat_scratch_init 0
		.amdhsa_user_sgpr_kernarg_preload_length 0
		.amdhsa_user_sgpr_kernarg_preload_offset 0
		.amdhsa_user_sgpr_private_segment_size 0
		.amdhsa_uses_dynamic_stack 0
		.amdhsa_system_sgpr_private_segment_wavefront_offset 0
		.amdhsa_system_sgpr_workgroup_id_x 1
		.amdhsa_system_sgpr_workgroup_id_y 0
		.amdhsa_system_sgpr_workgroup_id_z 0
		.amdhsa_system_sgpr_workgroup_info 0
		.amdhsa_system_vgpr_workitem_id 0
		.amdhsa_next_free_vgpr 1
		.amdhsa_next_free_sgpr 0
		.amdhsa_accum_offset 4
		.amdhsa_reserve_vcc 0
		.amdhsa_reserve_flat_scratch 0
		.amdhsa_float_round_mode_32 0
		.amdhsa_float_round_mode_16_64 0
		.amdhsa_float_denorm_mode_32 3
		.amdhsa_float_denorm_mode_16_64 3
		.amdhsa_dx10_clamp 1
		.amdhsa_ieee_mode 1
		.amdhsa_fp16_overflow 0
		.amdhsa_tg_split 0
		.amdhsa_exception_fp_ieee_invalid_op 0
		.amdhsa_exception_fp_denorm_src 0
		.amdhsa_exception_fp_ieee_div_zero 0
		.amdhsa_exception_fp_ieee_overflow 0
		.amdhsa_exception_fp_ieee_underflow 0
		.amdhsa_exception_fp_ieee_inexact 0
		.amdhsa_exception_int_div_zero 0
	.end_amdhsa_kernel
	.section	.text._ZN7rocprim17ROCPRIM_400000_NS6detail17trampoline_kernelINS0_14default_configENS1_27scan_by_key_config_selectorIssEEZZNS1_16scan_by_key_implILNS1_25lookback_scan_determinismE0ELb1ES3_N6thrust23THRUST_200600_302600_NS6detail15normal_iteratorINS9_10device_ptrIsEEEESE_SE_sNS9_4plusIvEENS9_8equal_toIsEEsEE10hipError_tPvRmT2_T3_T4_T5_mT6_T7_P12ihipStream_tbENKUlT_T0_E_clISt17integral_constantIbLb1EESZ_EEDaSU_SV_EUlSU_E_NS1_11comp_targetILNS1_3genE9ELNS1_11target_archE1100ELNS1_3gpuE3ELNS1_3repE0EEENS1_30default_config_static_selectorELNS0_4arch9wavefront6targetE1EEEvT1_,"axG",@progbits,_ZN7rocprim17ROCPRIM_400000_NS6detail17trampoline_kernelINS0_14default_configENS1_27scan_by_key_config_selectorIssEEZZNS1_16scan_by_key_implILNS1_25lookback_scan_determinismE0ELb1ES3_N6thrust23THRUST_200600_302600_NS6detail15normal_iteratorINS9_10device_ptrIsEEEESE_SE_sNS9_4plusIvEENS9_8equal_toIsEEsEE10hipError_tPvRmT2_T3_T4_T5_mT6_T7_P12ihipStream_tbENKUlT_T0_E_clISt17integral_constantIbLb1EESZ_EEDaSU_SV_EUlSU_E_NS1_11comp_targetILNS1_3genE9ELNS1_11target_archE1100ELNS1_3gpuE3ELNS1_3repE0EEENS1_30default_config_static_selectorELNS0_4arch9wavefront6targetE1EEEvT1_,comdat
.Lfunc_end657:
	.size	_ZN7rocprim17ROCPRIM_400000_NS6detail17trampoline_kernelINS0_14default_configENS1_27scan_by_key_config_selectorIssEEZZNS1_16scan_by_key_implILNS1_25lookback_scan_determinismE0ELb1ES3_N6thrust23THRUST_200600_302600_NS6detail15normal_iteratorINS9_10device_ptrIsEEEESE_SE_sNS9_4plusIvEENS9_8equal_toIsEEsEE10hipError_tPvRmT2_T3_T4_T5_mT6_T7_P12ihipStream_tbENKUlT_T0_E_clISt17integral_constantIbLb1EESZ_EEDaSU_SV_EUlSU_E_NS1_11comp_targetILNS1_3genE9ELNS1_11target_archE1100ELNS1_3gpuE3ELNS1_3repE0EEENS1_30default_config_static_selectorELNS0_4arch9wavefront6targetE1EEEvT1_, .Lfunc_end657-_ZN7rocprim17ROCPRIM_400000_NS6detail17trampoline_kernelINS0_14default_configENS1_27scan_by_key_config_selectorIssEEZZNS1_16scan_by_key_implILNS1_25lookback_scan_determinismE0ELb1ES3_N6thrust23THRUST_200600_302600_NS6detail15normal_iteratorINS9_10device_ptrIsEEEESE_SE_sNS9_4plusIvEENS9_8equal_toIsEEsEE10hipError_tPvRmT2_T3_T4_T5_mT6_T7_P12ihipStream_tbENKUlT_T0_E_clISt17integral_constantIbLb1EESZ_EEDaSU_SV_EUlSU_E_NS1_11comp_targetILNS1_3genE9ELNS1_11target_archE1100ELNS1_3gpuE3ELNS1_3repE0EEENS1_30default_config_static_selectorELNS0_4arch9wavefront6targetE1EEEvT1_
                                        ; -- End function
	.section	.AMDGPU.csdata,"",@progbits
; Kernel info:
; codeLenInByte = 0
; NumSgprs: 4
; NumVgprs: 0
; NumAgprs: 0
; TotalNumVgprs: 0
; ScratchSize: 0
; MemoryBound: 0
; FloatMode: 240
; IeeeMode: 1
; LDSByteSize: 0 bytes/workgroup (compile time only)
; SGPRBlocks: 0
; VGPRBlocks: 0
; NumSGPRsForWavesPerEU: 4
; NumVGPRsForWavesPerEU: 1
; AccumOffset: 4
; Occupancy: 8
; WaveLimiterHint : 0
; COMPUTE_PGM_RSRC2:SCRATCH_EN: 0
; COMPUTE_PGM_RSRC2:USER_SGPR: 6
; COMPUTE_PGM_RSRC2:TRAP_HANDLER: 0
; COMPUTE_PGM_RSRC2:TGID_X_EN: 1
; COMPUTE_PGM_RSRC2:TGID_Y_EN: 0
; COMPUTE_PGM_RSRC2:TGID_Z_EN: 0
; COMPUTE_PGM_RSRC2:TIDIG_COMP_CNT: 0
; COMPUTE_PGM_RSRC3_GFX90A:ACCUM_OFFSET: 0
; COMPUTE_PGM_RSRC3_GFX90A:TG_SPLIT: 0
	.section	.text._ZN7rocprim17ROCPRIM_400000_NS6detail17trampoline_kernelINS0_14default_configENS1_27scan_by_key_config_selectorIssEEZZNS1_16scan_by_key_implILNS1_25lookback_scan_determinismE0ELb1ES3_N6thrust23THRUST_200600_302600_NS6detail15normal_iteratorINS9_10device_ptrIsEEEESE_SE_sNS9_4plusIvEENS9_8equal_toIsEEsEE10hipError_tPvRmT2_T3_T4_T5_mT6_T7_P12ihipStream_tbENKUlT_T0_E_clISt17integral_constantIbLb1EESZ_EEDaSU_SV_EUlSU_E_NS1_11comp_targetILNS1_3genE8ELNS1_11target_archE1030ELNS1_3gpuE2ELNS1_3repE0EEENS1_30default_config_static_selectorELNS0_4arch9wavefront6targetE1EEEvT1_,"axG",@progbits,_ZN7rocprim17ROCPRIM_400000_NS6detail17trampoline_kernelINS0_14default_configENS1_27scan_by_key_config_selectorIssEEZZNS1_16scan_by_key_implILNS1_25lookback_scan_determinismE0ELb1ES3_N6thrust23THRUST_200600_302600_NS6detail15normal_iteratorINS9_10device_ptrIsEEEESE_SE_sNS9_4plusIvEENS9_8equal_toIsEEsEE10hipError_tPvRmT2_T3_T4_T5_mT6_T7_P12ihipStream_tbENKUlT_T0_E_clISt17integral_constantIbLb1EESZ_EEDaSU_SV_EUlSU_E_NS1_11comp_targetILNS1_3genE8ELNS1_11target_archE1030ELNS1_3gpuE2ELNS1_3repE0EEENS1_30default_config_static_selectorELNS0_4arch9wavefront6targetE1EEEvT1_,comdat
	.protected	_ZN7rocprim17ROCPRIM_400000_NS6detail17trampoline_kernelINS0_14default_configENS1_27scan_by_key_config_selectorIssEEZZNS1_16scan_by_key_implILNS1_25lookback_scan_determinismE0ELb1ES3_N6thrust23THRUST_200600_302600_NS6detail15normal_iteratorINS9_10device_ptrIsEEEESE_SE_sNS9_4plusIvEENS9_8equal_toIsEEsEE10hipError_tPvRmT2_T3_T4_T5_mT6_T7_P12ihipStream_tbENKUlT_T0_E_clISt17integral_constantIbLb1EESZ_EEDaSU_SV_EUlSU_E_NS1_11comp_targetILNS1_3genE8ELNS1_11target_archE1030ELNS1_3gpuE2ELNS1_3repE0EEENS1_30default_config_static_selectorELNS0_4arch9wavefront6targetE1EEEvT1_ ; -- Begin function _ZN7rocprim17ROCPRIM_400000_NS6detail17trampoline_kernelINS0_14default_configENS1_27scan_by_key_config_selectorIssEEZZNS1_16scan_by_key_implILNS1_25lookback_scan_determinismE0ELb1ES3_N6thrust23THRUST_200600_302600_NS6detail15normal_iteratorINS9_10device_ptrIsEEEESE_SE_sNS9_4plusIvEENS9_8equal_toIsEEsEE10hipError_tPvRmT2_T3_T4_T5_mT6_T7_P12ihipStream_tbENKUlT_T0_E_clISt17integral_constantIbLb1EESZ_EEDaSU_SV_EUlSU_E_NS1_11comp_targetILNS1_3genE8ELNS1_11target_archE1030ELNS1_3gpuE2ELNS1_3repE0EEENS1_30default_config_static_selectorELNS0_4arch9wavefront6targetE1EEEvT1_
	.globl	_ZN7rocprim17ROCPRIM_400000_NS6detail17trampoline_kernelINS0_14default_configENS1_27scan_by_key_config_selectorIssEEZZNS1_16scan_by_key_implILNS1_25lookback_scan_determinismE0ELb1ES3_N6thrust23THRUST_200600_302600_NS6detail15normal_iteratorINS9_10device_ptrIsEEEESE_SE_sNS9_4plusIvEENS9_8equal_toIsEEsEE10hipError_tPvRmT2_T3_T4_T5_mT6_T7_P12ihipStream_tbENKUlT_T0_E_clISt17integral_constantIbLb1EESZ_EEDaSU_SV_EUlSU_E_NS1_11comp_targetILNS1_3genE8ELNS1_11target_archE1030ELNS1_3gpuE2ELNS1_3repE0EEENS1_30default_config_static_selectorELNS0_4arch9wavefront6targetE1EEEvT1_
	.p2align	8
	.type	_ZN7rocprim17ROCPRIM_400000_NS6detail17trampoline_kernelINS0_14default_configENS1_27scan_by_key_config_selectorIssEEZZNS1_16scan_by_key_implILNS1_25lookback_scan_determinismE0ELb1ES3_N6thrust23THRUST_200600_302600_NS6detail15normal_iteratorINS9_10device_ptrIsEEEESE_SE_sNS9_4plusIvEENS9_8equal_toIsEEsEE10hipError_tPvRmT2_T3_T4_T5_mT6_T7_P12ihipStream_tbENKUlT_T0_E_clISt17integral_constantIbLb1EESZ_EEDaSU_SV_EUlSU_E_NS1_11comp_targetILNS1_3genE8ELNS1_11target_archE1030ELNS1_3gpuE2ELNS1_3repE0EEENS1_30default_config_static_selectorELNS0_4arch9wavefront6targetE1EEEvT1_,@function
_ZN7rocprim17ROCPRIM_400000_NS6detail17trampoline_kernelINS0_14default_configENS1_27scan_by_key_config_selectorIssEEZZNS1_16scan_by_key_implILNS1_25lookback_scan_determinismE0ELb1ES3_N6thrust23THRUST_200600_302600_NS6detail15normal_iteratorINS9_10device_ptrIsEEEESE_SE_sNS9_4plusIvEENS9_8equal_toIsEEsEE10hipError_tPvRmT2_T3_T4_T5_mT6_T7_P12ihipStream_tbENKUlT_T0_E_clISt17integral_constantIbLb1EESZ_EEDaSU_SV_EUlSU_E_NS1_11comp_targetILNS1_3genE8ELNS1_11target_archE1030ELNS1_3gpuE2ELNS1_3repE0EEENS1_30default_config_static_selectorELNS0_4arch9wavefront6targetE1EEEvT1_: ; @_ZN7rocprim17ROCPRIM_400000_NS6detail17trampoline_kernelINS0_14default_configENS1_27scan_by_key_config_selectorIssEEZZNS1_16scan_by_key_implILNS1_25lookback_scan_determinismE0ELb1ES3_N6thrust23THRUST_200600_302600_NS6detail15normal_iteratorINS9_10device_ptrIsEEEESE_SE_sNS9_4plusIvEENS9_8equal_toIsEEsEE10hipError_tPvRmT2_T3_T4_T5_mT6_T7_P12ihipStream_tbENKUlT_T0_E_clISt17integral_constantIbLb1EESZ_EEDaSU_SV_EUlSU_E_NS1_11comp_targetILNS1_3genE8ELNS1_11target_archE1030ELNS1_3gpuE2ELNS1_3repE0EEENS1_30default_config_static_selectorELNS0_4arch9wavefront6targetE1EEEvT1_
; %bb.0:
	.section	.rodata,"a",@progbits
	.p2align	6, 0x0
	.amdhsa_kernel _ZN7rocprim17ROCPRIM_400000_NS6detail17trampoline_kernelINS0_14default_configENS1_27scan_by_key_config_selectorIssEEZZNS1_16scan_by_key_implILNS1_25lookback_scan_determinismE0ELb1ES3_N6thrust23THRUST_200600_302600_NS6detail15normal_iteratorINS9_10device_ptrIsEEEESE_SE_sNS9_4plusIvEENS9_8equal_toIsEEsEE10hipError_tPvRmT2_T3_T4_T5_mT6_T7_P12ihipStream_tbENKUlT_T0_E_clISt17integral_constantIbLb1EESZ_EEDaSU_SV_EUlSU_E_NS1_11comp_targetILNS1_3genE8ELNS1_11target_archE1030ELNS1_3gpuE2ELNS1_3repE0EEENS1_30default_config_static_selectorELNS0_4arch9wavefront6targetE1EEEvT1_
		.amdhsa_group_segment_fixed_size 0
		.amdhsa_private_segment_fixed_size 0
		.amdhsa_kernarg_size 112
		.amdhsa_user_sgpr_count 6
		.amdhsa_user_sgpr_private_segment_buffer 1
		.amdhsa_user_sgpr_dispatch_ptr 0
		.amdhsa_user_sgpr_queue_ptr 0
		.amdhsa_user_sgpr_kernarg_segment_ptr 1
		.amdhsa_user_sgpr_dispatch_id 0
		.amdhsa_user_sgpr_flat_scratch_init 0
		.amdhsa_user_sgpr_kernarg_preload_length 0
		.amdhsa_user_sgpr_kernarg_preload_offset 0
		.amdhsa_user_sgpr_private_segment_size 0
		.amdhsa_uses_dynamic_stack 0
		.amdhsa_system_sgpr_private_segment_wavefront_offset 0
		.amdhsa_system_sgpr_workgroup_id_x 1
		.amdhsa_system_sgpr_workgroup_id_y 0
		.amdhsa_system_sgpr_workgroup_id_z 0
		.amdhsa_system_sgpr_workgroup_info 0
		.amdhsa_system_vgpr_workitem_id 0
		.amdhsa_next_free_vgpr 1
		.amdhsa_next_free_sgpr 0
		.amdhsa_accum_offset 4
		.amdhsa_reserve_vcc 0
		.amdhsa_reserve_flat_scratch 0
		.amdhsa_float_round_mode_32 0
		.amdhsa_float_round_mode_16_64 0
		.amdhsa_float_denorm_mode_32 3
		.amdhsa_float_denorm_mode_16_64 3
		.amdhsa_dx10_clamp 1
		.amdhsa_ieee_mode 1
		.amdhsa_fp16_overflow 0
		.amdhsa_tg_split 0
		.amdhsa_exception_fp_ieee_invalid_op 0
		.amdhsa_exception_fp_denorm_src 0
		.amdhsa_exception_fp_ieee_div_zero 0
		.amdhsa_exception_fp_ieee_overflow 0
		.amdhsa_exception_fp_ieee_underflow 0
		.amdhsa_exception_fp_ieee_inexact 0
		.amdhsa_exception_int_div_zero 0
	.end_amdhsa_kernel
	.section	.text._ZN7rocprim17ROCPRIM_400000_NS6detail17trampoline_kernelINS0_14default_configENS1_27scan_by_key_config_selectorIssEEZZNS1_16scan_by_key_implILNS1_25lookback_scan_determinismE0ELb1ES3_N6thrust23THRUST_200600_302600_NS6detail15normal_iteratorINS9_10device_ptrIsEEEESE_SE_sNS9_4plusIvEENS9_8equal_toIsEEsEE10hipError_tPvRmT2_T3_T4_T5_mT6_T7_P12ihipStream_tbENKUlT_T0_E_clISt17integral_constantIbLb1EESZ_EEDaSU_SV_EUlSU_E_NS1_11comp_targetILNS1_3genE8ELNS1_11target_archE1030ELNS1_3gpuE2ELNS1_3repE0EEENS1_30default_config_static_selectorELNS0_4arch9wavefront6targetE1EEEvT1_,"axG",@progbits,_ZN7rocprim17ROCPRIM_400000_NS6detail17trampoline_kernelINS0_14default_configENS1_27scan_by_key_config_selectorIssEEZZNS1_16scan_by_key_implILNS1_25lookback_scan_determinismE0ELb1ES3_N6thrust23THRUST_200600_302600_NS6detail15normal_iteratorINS9_10device_ptrIsEEEESE_SE_sNS9_4plusIvEENS9_8equal_toIsEEsEE10hipError_tPvRmT2_T3_T4_T5_mT6_T7_P12ihipStream_tbENKUlT_T0_E_clISt17integral_constantIbLb1EESZ_EEDaSU_SV_EUlSU_E_NS1_11comp_targetILNS1_3genE8ELNS1_11target_archE1030ELNS1_3gpuE2ELNS1_3repE0EEENS1_30default_config_static_selectorELNS0_4arch9wavefront6targetE1EEEvT1_,comdat
.Lfunc_end658:
	.size	_ZN7rocprim17ROCPRIM_400000_NS6detail17trampoline_kernelINS0_14default_configENS1_27scan_by_key_config_selectorIssEEZZNS1_16scan_by_key_implILNS1_25lookback_scan_determinismE0ELb1ES3_N6thrust23THRUST_200600_302600_NS6detail15normal_iteratorINS9_10device_ptrIsEEEESE_SE_sNS9_4plusIvEENS9_8equal_toIsEEsEE10hipError_tPvRmT2_T3_T4_T5_mT6_T7_P12ihipStream_tbENKUlT_T0_E_clISt17integral_constantIbLb1EESZ_EEDaSU_SV_EUlSU_E_NS1_11comp_targetILNS1_3genE8ELNS1_11target_archE1030ELNS1_3gpuE2ELNS1_3repE0EEENS1_30default_config_static_selectorELNS0_4arch9wavefront6targetE1EEEvT1_, .Lfunc_end658-_ZN7rocprim17ROCPRIM_400000_NS6detail17trampoline_kernelINS0_14default_configENS1_27scan_by_key_config_selectorIssEEZZNS1_16scan_by_key_implILNS1_25lookback_scan_determinismE0ELb1ES3_N6thrust23THRUST_200600_302600_NS6detail15normal_iteratorINS9_10device_ptrIsEEEESE_SE_sNS9_4plusIvEENS9_8equal_toIsEEsEE10hipError_tPvRmT2_T3_T4_T5_mT6_T7_P12ihipStream_tbENKUlT_T0_E_clISt17integral_constantIbLb1EESZ_EEDaSU_SV_EUlSU_E_NS1_11comp_targetILNS1_3genE8ELNS1_11target_archE1030ELNS1_3gpuE2ELNS1_3repE0EEENS1_30default_config_static_selectorELNS0_4arch9wavefront6targetE1EEEvT1_
                                        ; -- End function
	.section	.AMDGPU.csdata,"",@progbits
; Kernel info:
; codeLenInByte = 0
; NumSgprs: 4
; NumVgprs: 0
; NumAgprs: 0
; TotalNumVgprs: 0
; ScratchSize: 0
; MemoryBound: 0
; FloatMode: 240
; IeeeMode: 1
; LDSByteSize: 0 bytes/workgroup (compile time only)
; SGPRBlocks: 0
; VGPRBlocks: 0
; NumSGPRsForWavesPerEU: 4
; NumVGPRsForWavesPerEU: 1
; AccumOffset: 4
; Occupancy: 8
; WaveLimiterHint : 0
; COMPUTE_PGM_RSRC2:SCRATCH_EN: 0
; COMPUTE_PGM_RSRC2:USER_SGPR: 6
; COMPUTE_PGM_RSRC2:TRAP_HANDLER: 0
; COMPUTE_PGM_RSRC2:TGID_X_EN: 1
; COMPUTE_PGM_RSRC2:TGID_Y_EN: 0
; COMPUTE_PGM_RSRC2:TGID_Z_EN: 0
; COMPUTE_PGM_RSRC2:TIDIG_COMP_CNT: 0
; COMPUTE_PGM_RSRC3_GFX90A:ACCUM_OFFSET: 0
; COMPUTE_PGM_RSRC3_GFX90A:TG_SPLIT: 0
	.section	.text._ZN7rocprim17ROCPRIM_400000_NS6detail17trampoline_kernelINS0_14default_configENS1_27scan_by_key_config_selectorIssEEZZNS1_16scan_by_key_implILNS1_25lookback_scan_determinismE0ELb1ES3_N6thrust23THRUST_200600_302600_NS6detail15normal_iteratorINS9_10device_ptrIsEEEESE_SE_sNS9_4plusIvEENS9_8equal_toIsEEsEE10hipError_tPvRmT2_T3_T4_T5_mT6_T7_P12ihipStream_tbENKUlT_T0_E_clISt17integral_constantIbLb1EESY_IbLb0EEEEDaSU_SV_EUlSU_E_NS1_11comp_targetILNS1_3genE0ELNS1_11target_archE4294967295ELNS1_3gpuE0ELNS1_3repE0EEENS1_30default_config_static_selectorELNS0_4arch9wavefront6targetE1EEEvT1_,"axG",@progbits,_ZN7rocprim17ROCPRIM_400000_NS6detail17trampoline_kernelINS0_14default_configENS1_27scan_by_key_config_selectorIssEEZZNS1_16scan_by_key_implILNS1_25lookback_scan_determinismE0ELb1ES3_N6thrust23THRUST_200600_302600_NS6detail15normal_iteratorINS9_10device_ptrIsEEEESE_SE_sNS9_4plusIvEENS9_8equal_toIsEEsEE10hipError_tPvRmT2_T3_T4_T5_mT6_T7_P12ihipStream_tbENKUlT_T0_E_clISt17integral_constantIbLb1EESY_IbLb0EEEEDaSU_SV_EUlSU_E_NS1_11comp_targetILNS1_3genE0ELNS1_11target_archE4294967295ELNS1_3gpuE0ELNS1_3repE0EEENS1_30default_config_static_selectorELNS0_4arch9wavefront6targetE1EEEvT1_,comdat
	.protected	_ZN7rocprim17ROCPRIM_400000_NS6detail17trampoline_kernelINS0_14default_configENS1_27scan_by_key_config_selectorIssEEZZNS1_16scan_by_key_implILNS1_25lookback_scan_determinismE0ELb1ES3_N6thrust23THRUST_200600_302600_NS6detail15normal_iteratorINS9_10device_ptrIsEEEESE_SE_sNS9_4plusIvEENS9_8equal_toIsEEsEE10hipError_tPvRmT2_T3_T4_T5_mT6_T7_P12ihipStream_tbENKUlT_T0_E_clISt17integral_constantIbLb1EESY_IbLb0EEEEDaSU_SV_EUlSU_E_NS1_11comp_targetILNS1_3genE0ELNS1_11target_archE4294967295ELNS1_3gpuE0ELNS1_3repE0EEENS1_30default_config_static_selectorELNS0_4arch9wavefront6targetE1EEEvT1_ ; -- Begin function _ZN7rocprim17ROCPRIM_400000_NS6detail17trampoline_kernelINS0_14default_configENS1_27scan_by_key_config_selectorIssEEZZNS1_16scan_by_key_implILNS1_25lookback_scan_determinismE0ELb1ES3_N6thrust23THRUST_200600_302600_NS6detail15normal_iteratorINS9_10device_ptrIsEEEESE_SE_sNS9_4plusIvEENS9_8equal_toIsEEsEE10hipError_tPvRmT2_T3_T4_T5_mT6_T7_P12ihipStream_tbENKUlT_T0_E_clISt17integral_constantIbLb1EESY_IbLb0EEEEDaSU_SV_EUlSU_E_NS1_11comp_targetILNS1_3genE0ELNS1_11target_archE4294967295ELNS1_3gpuE0ELNS1_3repE0EEENS1_30default_config_static_selectorELNS0_4arch9wavefront6targetE1EEEvT1_
	.globl	_ZN7rocprim17ROCPRIM_400000_NS6detail17trampoline_kernelINS0_14default_configENS1_27scan_by_key_config_selectorIssEEZZNS1_16scan_by_key_implILNS1_25lookback_scan_determinismE0ELb1ES3_N6thrust23THRUST_200600_302600_NS6detail15normal_iteratorINS9_10device_ptrIsEEEESE_SE_sNS9_4plusIvEENS9_8equal_toIsEEsEE10hipError_tPvRmT2_T3_T4_T5_mT6_T7_P12ihipStream_tbENKUlT_T0_E_clISt17integral_constantIbLb1EESY_IbLb0EEEEDaSU_SV_EUlSU_E_NS1_11comp_targetILNS1_3genE0ELNS1_11target_archE4294967295ELNS1_3gpuE0ELNS1_3repE0EEENS1_30default_config_static_selectorELNS0_4arch9wavefront6targetE1EEEvT1_
	.p2align	8
	.type	_ZN7rocprim17ROCPRIM_400000_NS6detail17trampoline_kernelINS0_14default_configENS1_27scan_by_key_config_selectorIssEEZZNS1_16scan_by_key_implILNS1_25lookback_scan_determinismE0ELb1ES3_N6thrust23THRUST_200600_302600_NS6detail15normal_iteratorINS9_10device_ptrIsEEEESE_SE_sNS9_4plusIvEENS9_8equal_toIsEEsEE10hipError_tPvRmT2_T3_T4_T5_mT6_T7_P12ihipStream_tbENKUlT_T0_E_clISt17integral_constantIbLb1EESY_IbLb0EEEEDaSU_SV_EUlSU_E_NS1_11comp_targetILNS1_3genE0ELNS1_11target_archE4294967295ELNS1_3gpuE0ELNS1_3repE0EEENS1_30default_config_static_selectorELNS0_4arch9wavefront6targetE1EEEvT1_,@function
_ZN7rocprim17ROCPRIM_400000_NS6detail17trampoline_kernelINS0_14default_configENS1_27scan_by_key_config_selectorIssEEZZNS1_16scan_by_key_implILNS1_25lookback_scan_determinismE0ELb1ES3_N6thrust23THRUST_200600_302600_NS6detail15normal_iteratorINS9_10device_ptrIsEEEESE_SE_sNS9_4plusIvEENS9_8equal_toIsEEsEE10hipError_tPvRmT2_T3_T4_T5_mT6_T7_P12ihipStream_tbENKUlT_T0_E_clISt17integral_constantIbLb1EESY_IbLb0EEEEDaSU_SV_EUlSU_E_NS1_11comp_targetILNS1_3genE0ELNS1_11target_archE4294967295ELNS1_3gpuE0ELNS1_3repE0EEENS1_30default_config_static_selectorELNS0_4arch9wavefront6targetE1EEEvT1_: ; @_ZN7rocprim17ROCPRIM_400000_NS6detail17trampoline_kernelINS0_14default_configENS1_27scan_by_key_config_selectorIssEEZZNS1_16scan_by_key_implILNS1_25lookback_scan_determinismE0ELb1ES3_N6thrust23THRUST_200600_302600_NS6detail15normal_iteratorINS9_10device_ptrIsEEEESE_SE_sNS9_4plusIvEENS9_8equal_toIsEEsEE10hipError_tPvRmT2_T3_T4_T5_mT6_T7_P12ihipStream_tbENKUlT_T0_E_clISt17integral_constantIbLb1EESY_IbLb0EEEEDaSU_SV_EUlSU_E_NS1_11comp_targetILNS1_3genE0ELNS1_11target_archE4294967295ELNS1_3gpuE0ELNS1_3repE0EEENS1_30default_config_static_selectorELNS0_4arch9wavefront6targetE1EEEvT1_
; %bb.0:
	.section	.rodata,"a",@progbits
	.p2align	6, 0x0
	.amdhsa_kernel _ZN7rocprim17ROCPRIM_400000_NS6detail17trampoline_kernelINS0_14default_configENS1_27scan_by_key_config_selectorIssEEZZNS1_16scan_by_key_implILNS1_25lookback_scan_determinismE0ELb1ES3_N6thrust23THRUST_200600_302600_NS6detail15normal_iteratorINS9_10device_ptrIsEEEESE_SE_sNS9_4plusIvEENS9_8equal_toIsEEsEE10hipError_tPvRmT2_T3_T4_T5_mT6_T7_P12ihipStream_tbENKUlT_T0_E_clISt17integral_constantIbLb1EESY_IbLb0EEEEDaSU_SV_EUlSU_E_NS1_11comp_targetILNS1_3genE0ELNS1_11target_archE4294967295ELNS1_3gpuE0ELNS1_3repE0EEENS1_30default_config_static_selectorELNS0_4arch9wavefront6targetE1EEEvT1_
		.amdhsa_group_segment_fixed_size 0
		.amdhsa_private_segment_fixed_size 0
		.amdhsa_kernarg_size 112
		.amdhsa_user_sgpr_count 6
		.amdhsa_user_sgpr_private_segment_buffer 1
		.amdhsa_user_sgpr_dispatch_ptr 0
		.amdhsa_user_sgpr_queue_ptr 0
		.amdhsa_user_sgpr_kernarg_segment_ptr 1
		.amdhsa_user_sgpr_dispatch_id 0
		.amdhsa_user_sgpr_flat_scratch_init 0
		.amdhsa_user_sgpr_kernarg_preload_length 0
		.amdhsa_user_sgpr_kernarg_preload_offset 0
		.amdhsa_user_sgpr_private_segment_size 0
		.amdhsa_uses_dynamic_stack 0
		.amdhsa_system_sgpr_private_segment_wavefront_offset 0
		.amdhsa_system_sgpr_workgroup_id_x 1
		.amdhsa_system_sgpr_workgroup_id_y 0
		.amdhsa_system_sgpr_workgroup_id_z 0
		.amdhsa_system_sgpr_workgroup_info 0
		.amdhsa_system_vgpr_workitem_id 0
		.amdhsa_next_free_vgpr 1
		.amdhsa_next_free_sgpr 0
		.amdhsa_accum_offset 4
		.amdhsa_reserve_vcc 0
		.amdhsa_reserve_flat_scratch 0
		.amdhsa_float_round_mode_32 0
		.amdhsa_float_round_mode_16_64 0
		.amdhsa_float_denorm_mode_32 3
		.amdhsa_float_denorm_mode_16_64 3
		.amdhsa_dx10_clamp 1
		.amdhsa_ieee_mode 1
		.amdhsa_fp16_overflow 0
		.amdhsa_tg_split 0
		.amdhsa_exception_fp_ieee_invalid_op 0
		.amdhsa_exception_fp_denorm_src 0
		.amdhsa_exception_fp_ieee_div_zero 0
		.amdhsa_exception_fp_ieee_overflow 0
		.amdhsa_exception_fp_ieee_underflow 0
		.amdhsa_exception_fp_ieee_inexact 0
		.amdhsa_exception_int_div_zero 0
	.end_amdhsa_kernel
	.section	.text._ZN7rocprim17ROCPRIM_400000_NS6detail17trampoline_kernelINS0_14default_configENS1_27scan_by_key_config_selectorIssEEZZNS1_16scan_by_key_implILNS1_25lookback_scan_determinismE0ELb1ES3_N6thrust23THRUST_200600_302600_NS6detail15normal_iteratorINS9_10device_ptrIsEEEESE_SE_sNS9_4plusIvEENS9_8equal_toIsEEsEE10hipError_tPvRmT2_T3_T4_T5_mT6_T7_P12ihipStream_tbENKUlT_T0_E_clISt17integral_constantIbLb1EESY_IbLb0EEEEDaSU_SV_EUlSU_E_NS1_11comp_targetILNS1_3genE0ELNS1_11target_archE4294967295ELNS1_3gpuE0ELNS1_3repE0EEENS1_30default_config_static_selectorELNS0_4arch9wavefront6targetE1EEEvT1_,"axG",@progbits,_ZN7rocprim17ROCPRIM_400000_NS6detail17trampoline_kernelINS0_14default_configENS1_27scan_by_key_config_selectorIssEEZZNS1_16scan_by_key_implILNS1_25lookback_scan_determinismE0ELb1ES3_N6thrust23THRUST_200600_302600_NS6detail15normal_iteratorINS9_10device_ptrIsEEEESE_SE_sNS9_4plusIvEENS9_8equal_toIsEEsEE10hipError_tPvRmT2_T3_T4_T5_mT6_T7_P12ihipStream_tbENKUlT_T0_E_clISt17integral_constantIbLb1EESY_IbLb0EEEEDaSU_SV_EUlSU_E_NS1_11comp_targetILNS1_3genE0ELNS1_11target_archE4294967295ELNS1_3gpuE0ELNS1_3repE0EEENS1_30default_config_static_selectorELNS0_4arch9wavefront6targetE1EEEvT1_,comdat
.Lfunc_end659:
	.size	_ZN7rocprim17ROCPRIM_400000_NS6detail17trampoline_kernelINS0_14default_configENS1_27scan_by_key_config_selectorIssEEZZNS1_16scan_by_key_implILNS1_25lookback_scan_determinismE0ELb1ES3_N6thrust23THRUST_200600_302600_NS6detail15normal_iteratorINS9_10device_ptrIsEEEESE_SE_sNS9_4plusIvEENS9_8equal_toIsEEsEE10hipError_tPvRmT2_T3_T4_T5_mT6_T7_P12ihipStream_tbENKUlT_T0_E_clISt17integral_constantIbLb1EESY_IbLb0EEEEDaSU_SV_EUlSU_E_NS1_11comp_targetILNS1_3genE0ELNS1_11target_archE4294967295ELNS1_3gpuE0ELNS1_3repE0EEENS1_30default_config_static_selectorELNS0_4arch9wavefront6targetE1EEEvT1_, .Lfunc_end659-_ZN7rocprim17ROCPRIM_400000_NS6detail17trampoline_kernelINS0_14default_configENS1_27scan_by_key_config_selectorIssEEZZNS1_16scan_by_key_implILNS1_25lookback_scan_determinismE0ELb1ES3_N6thrust23THRUST_200600_302600_NS6detail15normal_iteratorINS9_10device_ptrIsEEEESE_SE_sNS9_4plusIvEENS9_8equal_toIsEEsEE10hipError_tPvRmT2_T3_T4_T5_mT6_T7_P12ihipStream_tbENKUlT_T0_E_clISt17integral_constantIbLb1EESY_IbLb0EEEEDaSU_SV_EUlSU_E_NS1_11comp_targetILNS1_3genE0ELNS1_11target_archE4294967295ELNS1_3gpuE0ELNS1_3repE0EEENS1_30default_config_static_selectorELNS0_4arch9wavefront6targetE1EEEvT1_
                                        ; -- End function
	.section	.AMDGPU.csdata,"",@progbits
; Kernel info:
; codeLenInByte = 0
; NumSgprs: 4
; NumVgprs: 0
; NumAgprs: 0
; TotalNumVgprs: 0
; ScratchSize: 0
; MemoryBound: 0
; FloatMode: 240
; IeeeMode: 1
; LDSByteSize: 0 bytes/workgroup (compile time only)
; SGPRBlocks: 0
; VGPRBlocks: 0
; NumSGPRsForWavesPerEU: 4
; NumVGPRsForWavesPerEU: 1
; AccumOffset: 4
; Occupancy: 8
; WaveLimiterHint : 0
; COMPUTE_PGM_RSRC2:SCRATCH_EN: 0
; COMPUTE_PGM_RSRC2:USER_SGPR: 6
; COMPUTE_PGM_RSRC2:TRAP_HANDLER: 0
; COMPUTE_PGM_RSRC2:TGID_X_EN: 1
; COMPUTE_PGM_RSRC2:TGID_Y_EN: 0
; COMPUTE_PGM_RSRC2:TGID_Z_EN: 0
; COMPUTE_PGM_RSRC2:TIDIG_COMP_CNT: 0
; COMPUTE_PGM_RSRC3_GFX90A:ACCUM_OFFSET: 0
; COMPUTE_PGM_RSRC3_GFX90A:TG_SPLIT: 0
	.section	.text._ZN7rocprim17ROCPRIM_400000_NS6detail17trampoline_kernelINS0_14default_configENS1_27scan_by_key_config_selectorIssEEZZNS1_16scan_by_key_implILNS1_25lookback_scan_determinismE0ELb1ES3_N6thrust23THRUST_200600_302600_NS6detail15normal_iteratorINS9_10device_ptrIsEEEESE_SE_sNS9_4plusIvEENS9_8equal_toIsEEsEE10hipError_tPvRmT2_T3_T4_T5_mT6_T7_P12ihipStream_tbENKUlT_T0_E_clISt17integral_constantIbLb1EESY_IbLb0EEEEDaSU_SV_EUlSU_E_NS1_11comp_targetILNS1_3genE10ELNS1_11target_archE1201ELNS1_3gpuE5ELNS1_3repE0EEENS1_30default_config_static_selectorELNS0_4arch9wavefront6targetE1EEEvT1_,"axG",@progbits,_ZN7rocprim17ROCPRIM_400000_NS6detail17trampoline_kernelINS0_14default_configENS1_27scan_by_key_config_selectorIssEEZZNS1_16scan_by_key_implILNS1_25lookback_scan_determinismE0ELb1ES3_N6thrust23THRUST_200600_302600_NS6detail15normal_iteratorINS9_10device_ptrIsEEEESE_SE_sNS9_4plusIvEENS9_8equal_toIsEEsEE10hipError_tPvRmT2_T3_T4_T5_mT6_T7_P12ihipStream_tbENKUlT_T0_E_clISt17integral_constantIbLb1EESY_IbLb0EEEEDaSU_SV_EUlSU_E_NS1_11comp_targetILNS1_3genE10ELNS1_11target_archE1201ELNS1_3gpuE5ELNS1_3repE0EEENS1_30default_config_static_selectorELNS0_4arch9wavefront6targetE1EEEvT1_,comdat
	.protected	_ZN7rocprim17ROCPRIM_400000_NS6detail17trampoline_kernelINS0_14default_configENS1_27scan_by_key_config_selectorIssEEZZNS1_16scan_by_key_implILNS1_25lookback_scan_determinismE0ELb1ES3_N6thrust23THRUST_200600_302600_NS6detail15normal_iteratorINS9_10device_ptrIsEEEESE_SE_sNS9_4plusIvEENS9_8equal_toIsEEsEE10hipError_tPvRmT2_T3_T4_T5_mT6_T7_P12ihipStream_tbENKUlT_T0_E_clISt17integral_constantIbLb1EESY_IbLb0EEEEDaSU_SV_EUlSU_E_NS1_11comp_targetILNS1_3genE10ELNS1_11target_archE1201ELNS1_3gpuE5ELNS1_3repE0EEENS1_30default_config_static_selectorELNS0_4arch9wavefront6targetE1EEEvT1_ ; -- Begin function _ZN7rocprim17ROCPRIM_400000_NS6detail17trampoline_kernelINS0_14default_configENS1_27scan_by_key_config_selectorIssEEZZNS1_16scan_by_key_implILNS1_25lookback_scan_determinismE0ELb1ES3_N6thrust23THRUST_200600_302600_NS6detail15normal_iteratorINS9_10device_ptrIsEEEESE_SE_sNS9_4plusIvEENS9_8equal_toIsEEsEE10hipError_tPvRmT2_T3_T4_T5_mT6_T7_P12ihipStream_tbENKUlT_T0_E_clISt17integral_constantIbLb1EESY_IbLb0EEEEDaSU_SV_EUlSU_E_NS1_11comp_targetILNS1_3genE10ELNS1_11target_archE1201ELNS1_3gpuE5ELNS1_3repE0EEENS1_30default_config_static_selectorELNS0_4arch9wavefront6targetE1EEEvT1_
	.globl	_ZN7rocprim17ROCPRIM_400000_NS6detail17trampoline_kernelINS0_14default_configENS1_27scan_by_key_config_selectorIssEEZZNS1_16scan_by_key_implILNS1_25lookback_scan_determinismE0ELb1ES3_N6thrust23THRUST_200600_302600_NS6detail15normal_iteratorINS9_10device_ptrIsEEEESE_SE_sNS9_4plusIvEENS9_8equal_toIsEEsEE10hipError_tPvRmT2_T3_T4_T5_mT6_T7_P12ihipStream_tbENKUlT_T0_E_clISt17integral_constantIbLb1EESY_IbLb0EEEEDaSU_SV_EUlSU_E_NS1_11comp_targetILNS1_3genE10ELNS1_11target_archE1201ELNS1_3gpuE5ELNS1_3repE0EEENS1_30default_config_static_selectorELNS0_4arch9wavefront6targetE1EEEvT1_
	.p2align	8
	.type	_ZN7rocprim17ROCPRIM_400000_NS6detail17trampoline_kernelINS0_14default_configENS1_27scan_by_key_config_selectorIssEEZZNS1_16scan_by_key_implILNS1_25lookback_scan_determinismE0ELb1ES3_N6thrust23THRUST_200600_302600_NS6detail15normal_iteratorINS9_10device_ptrIsEEEESE_SE_sNS9_4plusIvEENS9_8equal_toIsEEsEE10hipError_tPvRmT2_T3_T4_T5_mT6_T7_P12ihipStream_tbENKUlT_T0_E_clISt17integral_constantIbLb1EESY_IbLb0EEEEDaSU_SV_EUlSU_E_NS1_11comp_targetILNS1_3genE10ELNS1_11target_archE1201ELNS1_3gpuE5ELNS1_3repE0EEENS1_30default_config_static_selectorELNS0_4arch9wavefront6targetE1EEEvT1_,@function
_ZN7rocprim17ROCPRIM_400000_NS6detail17trampoline_kernelINS0_14default_configENS1_27scan_by_key_config_selectorIssEEZZNS1_16scan_by_key_implILNS1_25lookback_scan_determinismE0ELb1ES3_N6thrust23THRUST_200600_302600_NS6detail15normal_iteratorINS9_10device_ptrIsEEEESE_SE_sNS9_4plusIvEENS9_8equal_toIsEEsEE10hipError_tPvRmT2_T3_T4_T5_mT6_T7_P12ihipStream_tbENKUlT_T0_E_clISt17integral_constantIbLb1EESY_IbLb0EEEEDaSU_SV_EUlSU_E_NS1_11comp_targetILNS1_3genE10ELNS1_11target_archE1201ELNS1_3gpuE5ELNS1_3repE0EEENS1_30default_config_static_selectorELNS0_4arch9wavefront6targetE1EEEvT1_: ; @_ZN7rocprim17ROCPRIM_400000_NS6detail17trampoline_kernelINS0_14default_configENS1_27scan_by_key_config_selectorIssEEZZNS1_16scan_by_key_implILNS1_25lookback_scan_determinismE0ELb1ES3_N6thrust23THRUST_200600_302600_NS6detail15normal_iteratorINS9_10device_ptrIsEEEESE_SE_sNS9_4plusIvEENS9_8equal_toIsEEsEE10hipError_tPvRmT2_T3_T4_T5_mT6_T7_P12ihipStream_tbENKUlT_T0_E_clISt17integral_constantIbLb1EESY_IbLb0EEEEDaSU_SV_EUlSU_E_NS1_11comp_targetILNS1_3genE10ELNS1_11target_archE1201ELNS1_3gpuE5ELNS1_3repE0EEENS1_30default_config_static_selectorELNS0_4arch9wavefront6targetE1EEEvT1_
; %bb.0:
	.section	.rodata,"a",@progbits
	.p2align	6, 0x0
	.amdhsa_kernel _ZN7rocprim17ROCPRIM_400000_NS6detail17trampoline_kernelINS0_14default_configENS1_27scan_by_key_config_selectorIssEEZZNS1_16scan_by_key_implILNS1_25lookback_scan_determinismE0ELb1ES3_N6thrust23THRUST_200600_302600_NS6detail15normal_iteratorINS9_10device_ptrIsEEEESE_SE_sNS9_4plusIvEENS9_8equal_toIsEEsEE10hipError_tPvRmT2_T3_T4_T5_mT6_T7_P12ihipStream_tbENKUlT_T0_E_clISt17integral_constantIbLb1EESY_IbLb0EEEEDaSU_SV_EUlSU_E_NS1_11comp_targetILNS1_3genE10ELNS1_11target_archE1201ELNS1_3gpuE5ELNS1_3repE0EEENS1_30default_config_static_selectorELNS0_4arch9wavefront6targetE1EEEvT1_
		.amdhsa_group_segment_fixed_size 0
		.amdhsa_private_segment_fixed_size 0
		.amdhsa_kernarg_size 112
		.amdhsa_user_sgpr_count 6
		.amdhsa_user_sgpr_private_segment_buffer 1
		.amdhsa_user_sgpr_dispatch_ptr 0
		.amdhsa_user_sgpr_queue_ptr 0
		.amdhsa_user_sgpr_kernarg_segment_ptr 1
		.amdhsa_user_sgpr_dispatch_id 0
		.amdhsa_user_sgpr_flat_scratch_init 0
		.amdhsa_user_sgpr_kernarg_preload_length 0
		.amdhsa_user_sgpr_kernarg_preload_offset 0
		.amdhsa_user_sgpr_private_segment_size 0
		.amdhsa_uses_dynamic_stack 0
		.amdhsa_system_sgpr_private_segment_wavefront_offset 0
		.amdhsa_system_sgpr_workgroup_id_x 1
		.amdhsa_system_sgpr_workgroup_id_y 0
		.amdhsa_system_sgpr_workgroup_id_z 0
		.amdhsa_system_sgpr_workgroup_info 0
		.amdhsa_system_vgpr_workitem_id 0
		.amdhsa_next_free_vgpr 1
		.amdhsa_next_free_sgpr 0
		.amdhsa_accum_offset 4
		.amdhsa_reserve_vcc 0
		.amdhsa_reserve_flat_scratch 0
		.amdhsa_float_round_mode_32 0
		.amdhsa_float_round_mode_16_64 0
		.amdhsa_float_denorm_mode_32 3
		.amdhsa_float_denorm_mode_16_64 3
		.amdhsa_dx10_clamp 1
		.amdhsa_ieee_mode 1
		.amdhsa_fp16_overflow 0
		.amdhsa_tg_split 0
		.amdhsa_exception_fp_ieee_invalid_op 0
		.amdhsa_exception_fp_denorm_src 0
		.amdhsa_exception_fp_ieee_div_zero 0
		.amdhsa_exception_fp_ieee_overflow 0
		.amdhsa_exception_fp_ieee_underflow 0
		.amdhsa_exception_fp_ieee_inexact 0
		.amdhsa_exception_int_div_zero 0
	.end_amdhsa_kernel
	.section	.text._ZN7rocprim17ROCPRIM_400000_NS6detail17trampoline_kernelINS0_14default_configENS1_27scan_by_key_config_selectorIssEEZZNS1_16scan_by_key_implILNS1_25lookback_scan_determinismE0ELb1ES3_N6thrust23THRUST_200600_302600_NS6detail15normal_iteratorINS9_10device_ptrIsEEEESE_SE_sNS9_4plusIvEENS9_8equal_toIsEEsEE10hipError_tPvRmT2_T3_T4_T5_mT6_T7_P12ihipStream_tbENKUlT_T0_E_clISt17integral_constantIbLb1EESY_IbLb0EEEEDaSU_SV_EUlSU_E_NS1_11comp_targetILNS1_3genE10ELNS1_11target_archE1201ELNS1_3gpuE5ELNS1_3repE0EEENS1_30default_config_static_selectorELNS0_4arch9wavefront6targetE1EEEvT1_,"axG",@progbits,_ZN7rocprim17ROCPRIM_400000_NS6detail17trampoline_kernelINS0_14default_configENS1_27scan_by_key_config_selectorIssEEZZNS1_16scan_by_key_implILNS1_25lookback_scan_determinismE0ELb1ES3_N6thrust23THRUST_200600_302600_NS6detail15normal_iteratorINS9_10device_ptrIsEEEESE_SE_sNS9_4plusIvEENS9_8equal_toIsEEsEE10hipError_tPvRmT2_T3_T4_T5_mT6_T7_P12ihipStream_tbENKUlT_T0_E_clISt17integral_constantIbLb1EESY_IbLb0EEEEDaSU_SV_EUlSU_E_NS1_11comp_targetILNS1_3genE10ELNS1_11target_archE1201ELNS1_3gpuE5ELNS1_3repE0EEENS1_30default_config_static_selectorELNS0_4arch9wavefront6targetE1EEEvT1_,comdat
.Lfunc_end660:
	.size	_ZN7rocprim17ROCPRIM_400000_NS6detail17trampoline_kernelINS0_14default_configENS1_27scan_by_key_config_selectorIssEEZZNS1_16scan_by_key_implILNS1_25lookback_scan_determinismE0ELb1ES3_N6thrust23THRUST_200600_302600_NS6detail15normal_iteratorINS9_10device_ptrIsEEEESE_SE_sNS9_4plusIvEENS9_8equal_toIsEEsEE10hipError_tPvRmT2_T3_T4_T5_mT6_T7_P12ihipStream_tbENKUlT_T0_E_clISt17integral_constantIbLb1EESY_IbLb0EEEEDaSU_SV_EUlSU_E_NS1_11comp_targetILNS1_3genE10ELNS1_11target_archE1201ELNS1_3gpuE5ELNS1_3repE0EEENS1_30default_config_static_selectorELNS0_4arch9wavefront6targetE1EEEvT1_, .Lfunc_end660-_ZN7rocprim17ROCPRIM_400000_NS6detail17trampoline_kernelINS0_14default_configENS1_27scan_by_key_config_selectorIssEEZZNS1_16scan_by_key_implILNS1_25lookback_scan_determinismE0ELb1ES3_N6thrust23THRUST_200600_302600_NS6detail15normal_iteratorINS9_10device_ptrIsEEEESE_SE_sNS9_4plusIvEENS9_8equal_toIsEEsEE10hipError_tPvRmT2_T3_T4_T5_mT6_T7_P12ihipStream_tbENKUlT_T0_E_clISt17integral_constantIbLb1EESY_IbLb0EEEEDaSU_SV_EUlSU_E_NS1_11comp_targetILNS1_3genE10ELNS1_11target_archE1201ELNS1_3gpuE5ELNS1_3repE0EEENS1_30default_config_static_selectorELNS0_4arch9wavefront6targetE1EEEvT1_
                                        ; -- End function
	.section	.AMDGPU.csdata,"",@progbits
; Kernel info:
; codeLenInByte = 0
; NumSgprs: 4
; NumVgprs: 0
; NumAgprs: 0
; TotalNumVgprs: 0
; ScratchSize: 0
; MemoryBound: 0
; FloatMode: 240
; IeeeMode: 1
; LDSByteSize: 0 bytes/workgroup (compile time only)
; SGPRBlocks: 0
; VGPRBlocks: 0
; NumSGPRsForWavesPerEU: 4
; NumVGPRsForWavesPerEU: 1
; AccumOffset: 4
; Occupancy: 8
; WaveLimiterHint : 0
; COMPUTE_PGM_RSRC2:SCRATCH_EN: 0
; COMPUTE_PGM_RSRC2:USER_SGPR: 6
; COMPUTE_PGM_RSRC2:TRAP_HANDLER: 0
; COMPUTE_PGM_RSRC2:TGID_X_EN: 1
; COMPUTE_PGM_RSRC2:TGID_Y_EN: 0
; COMPUTE_PGM_RSRC2:TGID_Z_EN: 0
; COMPUTE_PGM_RSRC2:TIDIG_COMP_CNT: 0
; COMPUTE_PGM_RSRC3_GFX90A:ACCUM_OFFSET: 0
; COMPUTE_PGM_RSRC3_GFX90A:TG_SPLIT: 0
	.section	.text._ZN7rocprim17ROCPRIM_400000_NS6detail17trampoline_kernelINS0_14default_configENS1_27scan_by_key_config_selectorIssEEZZNS1_16scan_by_key_implILNS1_25lookback_scan_determinismE0ELb1ES3_N6thrust23THRUST_200600_302600_NS6detail15normal_iteratorINS9_10device_ptrIsEEEESE_SE_sNS9_4plusIvEENS9_8equal_toIsEEsEE10hipError_tPvRmT2_T3_T4_T5_mT6_T7_P12ihipStream_tbENKUlT_T0_E_clISt17integral_constantIbLb1EESY_IbLb0EEEEDaSU_SV_EUlSU_E_NS1_11comp_targetILNS1_3genE5ELNS1_11target_archE942ELNS1_3gpuE9ELNS1_3repE0EEENS1_30default_config_static_selectorELNS0_4arch9wavefront6targetE1EEEvT1_,"axG",@progbits,_ZN7rocprim17ROCPRIM_400000_NS6detail17trampoline_kernelINS0_14default_configENS1_27scan_by_key_config_selectorIssEEZZNS1_16scan_by_key_implILNS1_25lookback_scan_determinismE0ELb1ES3_N6thrust23THRUST_200600_302600_NS6detail15normal_iteratorINS9_10device_ptrIsEEEESE_SE_sNS9_4plusIvEENS9_8equal_toIsEEsEE10hipError_tPvRmT2_T3_T4_T5_mT6_T7_P12ihipStream_tbENKUlT_T0_E_clISt17integral_constantIbLb1EESY_IbLb0EEEEDaSU_SV_EUlSU_E_NS1_11comp_targetILNS1_3genE5ELNS1_11target_archE942ELNS1_3gpuE9ELNS1_3repE0EEENS1_30default_config_static_selectorELNS0_4arch9wavefront6targetE1EEEvT1_,comdat
	.protected	_ZN7rocprim17ROCPRIM_400000_NS6detail17trampoline_kernelINS0_14default_configENS1_27scan_by_key_config_selectorIssEEZZNS1_16scan_by_key_implILNS1_25lookback_scan_determinismE0ELb1ES3_N6thrust23THRUST_200600_302600_NS6detail15normal_iteratorINS9_10device_ptrIsEEEESE_SE_sNS9_4plusIvEENS9_8equal_toIsEEsEE10hipError_tPvRmT2_T3_T4_T5_mT6_T7_P12ihipStream_tbENKUlT_T0_E_clISt17integral_constantIbLb1EESY_IbLb0EEEEDaSU_SV_EUlSU_E_NS1_11comp_targetILNS1_3genE5ELNS1_11target_archE942ELNS1_3gpuE9ELNS1_3repE0EEENS1_30default_config_static_selectorELNS0_4arch9wavefront6targetE1EEEvT1_ ; -- Begin function _ZN7rocprim17ROCPRIM_400000_NS6detail17trampoline_kernelINS0_14default_configENS1_27scan_by_key_config_selectorIssEEZZNS1_16scan_by_key_implILNS1_25lookback_scan_determinismE0ELb1ES3_N6thrust23THRUST_200600_302600_NS6detail15normal_iteratorINS9_10device_ptrIsEEEESE_SE_sNS9_4plusIvEENS9_8equal_toIsEEsEE10hipError_tPvRmT2_T3_T4_T5_mT6_T7_P12ihipStream_tbENKUlT_T0_E_clISt17integral_constantIbLb1EESY_IbLb0EEEEDaSU_SV_EUlSU_E_NS1_11comp_targetILNS1_3genE5ELNS1_11target_archE942ELNS1_3gpuE9ELNS1_3repE0EEENS1_30default_config_static_selectorELNS0_4arch9wavefront6targetE1EEEvT1_
	.globl	_ZN7rocprim17ROCPRIM_400000_NS6detail17trampoline_kernelINS0_14default_configENS1_27scan_by_key_config_selectorIssEEZZNS1_16scan_by_key_implILNS1_25lookback_scan_determinismE0ELb1ES3_N6thrust23THRUST_200600_302600_NS6detail15normal_iteratorINS9_10device_ptrIsEEEESE_SE_sNS9_4plusIvEENS9_8equal_toIsEEsEE10hipError_tPvRmT2_T3_T4_T5_mT6_T7_P12ihipStream_tbENKUlT_T0_E_clISt17integral_constantIbLb1EESY_IbLb0EEEEDaSU_SV_EUlSU_E_NS1_11comp_targetILNS1_3genE5ELNS1_11target_archE942ELNS1_3gpuE9ELNS1_3repE0EEENS1_30default_config_static_selectorELNS0_4arch9wavefront6targetE1EEEvT1_
	.p2align	8
	.type	_ZN7rocprim17ROCPRIM_400000_NS6detail17trampoline_kernelINS0_14default_configENS1_27scan_by_key_config_selectorIssEEZZNS1_16scan_by_key_implILNS1_25lookback_scan_determinismE0ELb1ES3_N6thrust23THRUST_200600_302600_NS6detail15normal_iteratorINS9_10device_ptrIsEEEESE_SE_sNS9_4plusIvEENS9_8equal_toIsEEsEE10hipError_tPvRmT2_T3_T4_T5_mT6_T7_P12ihipStream_tbENKUlT_T0_E_clISt17integral_constantIbLb1EESY_IbLb0EEEEDaSU_SV_EUlSU_E_NS1_11comp_targetILNS1_3genE5ELNS1_11target_archE942ELNS1_3gpuE9ELNS1_3repE0EEENS1_30default_config_static_selectorELNS0_4arch9wavefront6targetE1EEEvT1_,@function
_ZN7rocprim17ROCPRIM_400000_NS6detail17trampoline_kernelINS0_14default_configENS1_27scan_by_key_config_selectorIssEEZZNS1_16scan_by_key_implILNS1_25lookback_scan_determinismE0ELb1ES3_N6thrust23THRUST_200600_302600_NS6detail15normal_iteratorINS9_10device_ptrIsEEEESE_SE_sNS9_4plusIvEENS9_8equal_toIsEEsEE10hipError_tPvRmT2_T3_T4_T5_mT6_T7_P12ihipStream_tbENKUlT_T0_E_clISt17integral_constantIbLb1EESY_IbLb0EEEEDaSU_SV_EUlSU_E_NS1_11comp_targetILNS1_3genE5ELNS1_11target_archE942ELNS1_3gpuE9ELNS1_3repE0EEENS1_30default_config_static_selectorELNS0_4arch9wavefront6targetE1EEEvT1_: ; @_ZN7rocprim17ROCPRIM_400000_NS6detail17trampoline_kernelINS0_14default_configENS1_27scan_by_key_config_selectorIssEEZZNS1_16scan_by_key_implILNS1_25lookback_scan_determinismE0ELb1ES3_N6thrust23THRUST_200600_302600_NS6detail15normal_iteratorINS9_10device_ptrIsEEEESE_SE_sNS9_4plusIvEENS9_8equal_toIsEEsEE10hipError_tPvRmT2_T3_T4_T5_mT6_T7_P12ihipStream_tbENKUlT_T0_E_clISt17integral_constantIbLb1EESY_IbLb0EEEEDaSU_SV_EUlSU_E_NS1_11comp_targetILNS1_3genE5ELNS1_11target_archE942ELNS1_3gpuE9ELNS1_3repE0EEENS1_30default_config_static_selectorELNS0_4arch9wavefront6targetE1EEEvT1_
; %bb.0:
	.section	.rodata,"a",@progbits
	.p2align	6, 0x0
	.amdhsa_kernel _ZN7rocprim17ROCPRIM_400000_NS6detail17trampoline_kernelINS0_14default_configENS1_27scan_by_key_config_selectorIssEEZZNS1_16scan_by_key_implILNS1_25lookback_scan_determinismE0ELb1ES3_N6thrust23THRUST_200600_302600_NS6detail15normal_iteratorINS9_10device_ptrIsEEEESE_SE_sNS9_4plusIvEENS9_8equal_toIsEEsEE10hipError_tPvRmT2_T3_T4_T5_mT6_T7_P12ihipStream_tbENKUlT_T0_E_clISt17integral_constantIbLb1EESY_IbLb0EEEEDaSU_SV_EUlSU_E_NS1_11comp_targetILNS1_3genE5ELNS1_11target_archE942ELNS1_3gpuE9ELNS1_3repE0EEENS1_30default_config_static_selectorELNS0_4arch9wavefront6targetE1EEEvT1_
		.amdhsa_group_segment_fixed_size 0
		.amdhsa_private_segment_fixed_size 0
		.amdhsa_kernarg_size 112
		.amdhsa_user_sgpr_count 6
		.amdhsa_user_sgpr_private_segment_buffer 1
		.amdhsa_user_sgpr_dispatch_ptr 0
		.amdhsa_user_sgpr_queue_ptr 0
		.amdhsa_user_sgpr_kernarg_segment_ptr 1
		.amdhsa_user_sgpr_dispatch_id 0
		.amdhsa_user_sgpr_flat_scratch_init 0
		.amdhsa_user_sgpr_kernarg_preload_length 0
		.amdhsa_user_sgpr_kernarg_preload_offset 0
		.amdhsa_user_sgpr_private_segment_size 0
		.amdhsa_uses_dynamic_stack 0
		.amdhsa_system_sgpr_private_segment_wavefront_offset 0
		.amdhsa_system_sgpr_workgroup_id_x 1
		.amdhsa_system_sgpr_workgroup_id_y 0
		.amdhsa_system_sgpr_workgroup_id_z 0
		.amdhsa_system_sgpr_workgroup_info 0
		.amdhsa_system_vgpr_workitem_id 0
		.amdhsa_next_free_vgpr 1
		.amdhsa_next_free_sgpr 0
		.amdhsa_accum_offset 4
		.amdhsa_reserve_vcc 0
		.amdhsa_reserve_flat_scratch 0
		.amdhsa_float_round_mode_32 0
		.amdhsa_float_round_mode_16_64 0
		.amdhsa_float_denorm_mode_32 3
		.amdhsa_float_denorm_mode_16_64 3
		.amdhsa_dx10_clamp 1
		.amdhsa_ieee_mode 1
		.amdhsa_fp16_overflow 0
		.amdhsa_tg_split 0
		.amdhsa_exception_fp_ieee_invalid_op 0
		.amdhsa_exception_fp_denorm_src 0
		.amdhsa_exception_fp_ieee_div_zero 0
		.amdhsa_exception_fp_ieee_overflow 0
		.amdhsa_exception_fp_ieee_underflow 0
		.amdhsa_exception_fp_ieee_inexact 0
		.amdhsa_exception_int_div_zero 0
	.end_amdhsa_kernel
	.section	.text._ZN7rocprim17ROCPRIM_400000_NS6detail17trampoline_kernelINS0_14default_configENS1_27scan_by_key_config_selectorIssEEZZNS1_16scan_by_key_implILNS1_25lookback_scan_determinismE0ELb1ES3_N6thrust23THRUST_200600_302600_NS6detail15normal_iteratorINS9_10device_ptrIsEEEESE_SE_sNS9_4plusIvEENS9_8equal_toIsEEsEE10hipError_tPvRmT2_T3_T4_T5_mT6_T7_P12ihipStream_tbENKUlT_T0_E_clISt17integral_constantIbLb1EESY_IbLb0EEEEDaSU_SV_EUlSU_E_NS1_11comp_targetILNS1_3genE5ELNS1_11target_archE942ELNS1_3gpuE9ELNS1_3repE0EEENS1_30default_config_static_selectorELNS0_4arch9wavefront6targetE1EEEvT1_,"axG",@progbits,_ZN7rocprim17ROCPRIM_400000_NS6detail17trampoline_kernelINS0_14default_configENS1_27scan_by_key_config_selectorIssEEZZNS1_16scan_by_key_implILNS1_25lookback_scan_determinismE0ELb1ES3_N6thrust23THRUST_200600_302600_NS6detail15normal_iteratorINS9_10device_ptrIsEEEESE_SE_sNS9_4plusIvEENS9_8equal_toIsEEsEE10hipError_tPvRmT2_T3_T4_T5_mT6_T7_P12ihipStream_tbENKUlT_T0_E_clISt17integral_constantIbLb1EESY_IbLb0EEEEDaSU_SV_EUlSU_E_NS1_11comp_targetILNS1_3genE5ELNS1_11target_archE942ELNS1_3gpuE9ELNS1_3repE0EEENS1_30default_config_static_selectorELNS0_4arch9wavefront6targetE1EEEvT1_,comdat
.Lfunc_end661:
	.size	_ZN7rocprim17ROCPRIM_400000_NS6detail17trampoline_kernelINS0_14default_configENS1_27scan_by_key_config_selectorIssEEZZNS1_16scan_by_key_implILNS1_25lookback_scan_determinismE0ELb1ES3_N6thrust23THRUST_200600_302600_NS6detail15normal_iteratorINS9_10device_ptrIsEEEESE_SE_sNS9_4plusIvEENS9_8equal_toIsEEsEE10hipError_tPvRmT2_T3_T4_T5_mT6_T7_P12ihipStream_tbENKUlT_T0_E_clISt17integral_constantIbLb1EESY_IbLb0EEEEDaSU_SV_EUlSU_E_NS1_11comp_targetILNS1_3genE5ELNS1_11target_archE942ELNS1_3gpuE9ELNS1_3repE0EEENS1_30default_config_static_selectorELNS0_4arch9wavefront6targetE1EEEvT1_, .Lfunc_end661-_ZN7rocprim17ROCPRIM_400000_NS6detail17trampoline_kernelINS0_14default_configENS1_27scan_by_key_config_selectorIssEEZZNS1_16scan_by_key_implILNS1_25lookback_scan_determinismE0ELb1ES3_N6thrust23THRUST_200600_302600_NS6detail15normal_iteratorINS9_10device_ptrIsEEEESE_SE_sNS9_4plusIvEENS9_8equal_toIsEEsEE10hipError_tPvRmT2_T3_T4_T5_mT6_T7_P12ihipStream_tbENKUlT_T0_E_clISt17integral_constantIbLb1EESY_IbLb0EEEEDaSU_SV_EUlSU_E_NS1_11comp_targetILNS1_3genE5ELNS1_11target_archE942ELNS1_3gpuE9ELNS1_3repE0EEENS1_30default_config_static_selectorELNS0_4arch9wavefront6targetE1EEEvT1_
                                        ; -- End function
	.section	.AMDGPU.csdata,"",@progbits
; Kernel info:
; codeLenInByte = 0
; NumSgprs: 4
; NumVgprs: 0
; NumAgprs: 0
; TotalNumVgprs: 0
; ScratchSize: 0
; MemoryBound: 0
; FloatMode: 240
; IeeeMode: 1
; LDSByteSize: 0 bytes/workgroup (compile time only)
; SGPRBlocks: 0
; VGPRBlocks: 0
; NumSGPRsForWavesPerEU: 4
; NumVGPRsForWavesPerEU: 1
; AccumOffset: 4
; Occupancy: 8
; WaveLimiterHint : 0
; COMPUTE_PGM_RSRC2:SCRATCH_EN: 0
; COMPUTE_PGM_RSRC2:USER_SGPR: 6
; COMPUTE_PGM_RSRC2:TRAP_HANDLER: 0
; COMPUTE_PGM_RSRC2:TGID_X_EN: 1
; COMPUTE_PGM_RSRC2:TGID_Y_EN: 0
; COMPUTE_PGM_RSRC2:TGID_Z_EN: 0
; COMPUTE_PGM_RSRC2:TIDIG_COMP_CNT: 0
; COMPUTE_PGM_RSRC3_GFX90A:ACCUM_OFFSET: 0
; COMPUTE_PGM_RSRC3_GFX90A:TG_SPLIT: 0
	.section	.text._ZN7rocprim17ROCPRIM_400000_NS6detail17trampoline_kernelINS0_14default_configENS1_27scan_by_key_config_selectorIssEEZZNS1_16scan_by_key_implILNS1_25lookback_scan_determinismE0ELb1ES3_N6thrust23THRUST_200600_302600_NS6detail15normal_iteratorINS9_10device_ptrIsEEEESE_SE_sNS9_4plusIvEENS9_8equal_toIsEEsEE10hipError_tPvRmT2_T3_T4_T5_mT6_T7_P12ihipStream_tbENKUlT_T0_E_clISt17integral_constantIbLb1EESY_IbLb0EEEEDaSU_SV_EUlSU_E_NS1_11comp_targetILNS1_3genE4ELNS1_11target_archE910ELNS1_3gpuE8ELNS1_3repE0EEENS1_30default_config_static_selectorELNS0_4arch9wavefront6targetE1EEEvT1_,"axG",@progbits,_ZN7rocprim17ROCPRIM_400000_NS6detail17trampoline_kernelINS0_14default_configENS1_27scan_by_key_config_selectorIssEEZZNS1_16scan_by_key_implILNS1_25lookback_scan_determinismE0ELb1ES3_N6thrust23THRUST_200600_302600_NS6detail15normal_iteratorINS9_10device_ptrIsEEEESE_SE_sNS9_4plusIvEENS9_8equal_toIsEEsEE10hipError_tPvRmT2_T3_T4_T5_mT6_T7_P12ihipStream_tbENKUlT_T0_E_clISt17integral_constantIbLb1EESY_IbLb0EEEEDaSU_SV_EUlSU_E_NS1_11comp_targetILNS1_3genE4ELNS1_11target_archE910ELNS1_3gpuE8ELNS1_3repE0EEENS1_30default_config_static_selectorELNS0_4arch9wavefront6targetE1EEEvT1_,comdat
	.protected	_ZN7rocprim17ROCPRIM_400000_NS6detail17trampoline_kernelINS0_14default_configENS1_27scan_by_key_config_selectorIssEEZZNS1_16scan_by_key_implILNS1_25lookback_scan_determinismE0ELb1ES3_N6thrust23THRUST_200600_302600_NS6detail15normal_iteratorINS9_10device_ptrIsEEEESE_SE_sNS9_4plusIvEENS9_8equal_toIsEEsEE10hipError_tPvRmT2_T3_T4_T5_mT6_T7_P12ihipStream_tbENKUlT_T0_E_clISt17integral_constantIbLb1EESY_IbLb0EEEEDaSU_SV_EUlSU_E_NS1_11comp_targetILNS1_3genE4ELNS1_11target_archE910ELNS1_3gpuE8ELNS1_3repE0EEENS1_30default_config_static_selectorELNS0_4arch9wavefront6targetE1EEEvT1_ ; -- Begin function _ZN7rocprim17ROCPRIM_400000_NS6detail17trampoline_kernelINS0_14default_configENS1_27scan_by_key_config_selectorIssEEZZNS1_16scan_by_key_implILNS1_25lookback_scan_determinismE0ELb1ES3_N6thrust23THRUST_200600_302600_NS6detail15normal_iteratorINS9_10device_ptrIsEEEESE_SE_sNS9_4plusIvEENS9_8equal_toIsEEsEE10hipError_tPvRmT2_T3_T4_T5_mT6_T7_P12ihipStream_tbENKUlT_T0_E_clISt17integral_constantIbLb1EESY_IbLb0EEEEDaSU_SV_EUlSU_E_NS1_11comp_targetILNS1_3genE4ELNS1_11target_archE910ELNS1_3gpuE8ELNS1_3repE0EEENS1_30default_config_static_selectorELNS0_4arch9wavefront6targetE1EEEvT1_
	.globl	_ZN7rocprim17ROCPRIM_400000_NS6detail17trampoline_kernelINS0_14default_configENS1_27scan_by_key_config_selectorIssEEZZNS1_16scan_by_key_implILNS1_25lookback_scan_determinismE0ELb1ES3_N6thrust23THRUST_200600_302600_NS6detail15normal_iteratorINS9_10device_ptrIsEEEESE_SE_sNS9_4plusIvEENS9_8equal_toIsEEsEE10hipError_tPvRmT2_T3_T4_T5_mT6_T7_P12ihipStream_tbENKUlT_T0_E_clISt17integral_constantIbLb1EESY_IbLb0EEEEDaSU_SV_EUlSU_E_NS1_11comp_targetILNS1_3genE4ELNS1_11target_archE910ELNS1_3gpuE8ELNS1_3repE0EEENS1_30default_config_static_selectorELNS0_4arch9wavefront6targetE1EEEvT1_
	.p2align	8
	.type	_ZN7rocprim17ROCPRIM_400000_NS6detail17trampoline_kernelINS0_14default_configENS1_27scan_by_key_config_selectorIssEEZZNS1_16scan_by_key_implILNS1_25lookback_scan_determinismE0ELb1ES3_N6thrust23THRUST_200600_302600_NS6detail15normal_iteratorINS9_10device_ptrIsEEEESE_SE_sNS9_4plusIvEENS9_8equal_toIsEEsEE10hipError_tPvRmT2_T3_T4_T5_mT6_T7_P12ihipStream_tbENKUlT_T0_E_clISt17integral_constantIbLb1EESY_IbLb0EEEEDaSU_SV_EUlSU_E_NS1_11comp_targetILNS1_3genE4ELNS1_11target_archE910ELNS1_3gpuE8ELNS1_3repE0EEENS1_30default_config_static_selectorELNS0_4arch9wavefront6targetE1EEEvT1_,@function
_ZN7rocprim17ROCPRIM_400000_NS6detail17trampoline_kernelINS0_14default_configENS1_27scan_by_key_config_selectorIssEEZZNS1_16scan_by_key_implILNS1_25lookback_scan_determinismE0ELb1ES3_N6thrust23THRUST_200600_302600_NS6detail15normal_iteratorINS9_10device_ptrIsEEEESE_SE_sNS9_4plusIvEENS9_8equal_toIsEEsEE10hipError_tPvRmT2_T3_T4_T5_mT6_T7_P12ihipStream_tbENKUlT_T0_E_clISt17integral_constantIbLb1EESY_IbLb0EEEEDaSU_SV_EUlSU_E_NS1_11comp_targetILNS1_3genE4ELNS1_11target_archE910ELNS1_3gpuE8ELNS1_3repE0EEENS1_30default_config_static_selectorELNS0_4arch9wavefront6targetE1EEEvT1_: ; @_ZN7rocprim17ROCPRIM_400000_NS6detail17trampoline_kernelINS0_14default_configENS1_27scan_by_key_config_selectorIssEEZZNS1_16scan_by_key_implILNS1_25lookback_scan_determinismE0ELb1ES3_N6thrust23THRUST_200600_302600_NS6detail15normal_iteratorINS9_10device_ptrIsEEEESE_SE_sNS9_4plusIvEENS9_8equal_toIsEEsEE10hipError_tPvRmT2_T3_T4_T5_mT6_T7_P12ihipStream_tbENKUlT_T0_E_clISt17integral_constantIbLb1EESY_IbLb0EEEEDaSU_SV_EUlSU_E_NS1_11comp_targetILNS1_3genE4ELNS1_11target_archE910ELNS1_3gpuE8ELNS1_3repE0EEENS1_30default_config_static_selectorELNS0_4arch9wavefront6targetE1EEEvT1_
; %bb.0:
	s_load_dwordx8 s[44:51], s[4:5], 0x0
	s_load_dword s7, s[4:5], 0x20
	s_load_dwordx4 s[52:55], s[4:5], 0x28
	s_load_dwordx2 s[64:65], s[4:5], 0x38
	s_load_dword s0, s[4:5], 0x40
	s_load_dwordx4 s[56:59], s[4:5], 0x48
	s_waitcnt lgkmcnt(0)
	s_lshl_b64 s[60:61], s[46:47], 1
	s_add_u32 s2, s44, s60
	s_addc_u32 s3, s45, s61
	s_add_u32 s4, s48, s60
	s_mul_i32 s1, s65, s0
	s_mul_hi_u32 s8, s64, s0
	s_addc_u32 s5, s49, s61
	s_add_i32 s8, s8, s1
	s_mul_i32 s9, s64, s0
	s_mul_i32 s0, s6, 0x1600
	s_mov_b32 s1, 0
	s_lshl_b64 s[62:63], s[0:1], 1
	s_add_u32 s66, s2, s62
	s_addc_u32 s67, s3, s63
	s_add_u32 s55, s4, s62
	s_addc_u32 s72, s5, s63
	;; [unrolled: 2-line block ×3, first 2 shown]
	s_add_u32 s4, s56, -1
	s_addc_u32 s5, s57, -1
	v_pk_mov_b32 v[2:3], s[4:5], s[4:5] op_sel:[0,1]
	v_cmp_ge_u64_e64 s[0:1], s[0:1], v[2:3]
	s_mov_b64 s[2:3], -1
	s_and_b64 vcc, exec, s[0:1]
	s_mul_i32 s33, s4, 0xffffea00
	s_barrier
	s_cbranch_vccz .LBB662_116
; %bb.1:
	v_pk_mov_b32 v[2:3], s[66:67], s[66:67] op_sel:[0,1]
	flat_load_ushort v6, v[2:3]
	s_add_i32 s74, s33, s54
	v_cmp_gt_u32_e32 vcc, s74, v0
	s_waitcnt vmcnt(0) lgkmcnt(0)
	v_mov_b32_e32 v7, v6
	s_and_saveexec_b64 s[4:5], vcc
	s_cbranch_execz .LBB662_3
; %bb.2:
	v_lshlrev_b32_e32 v1, 1, v0
	v_mov_b32_e32 v3, s67
	v_add_co_u32_e64 v2, s[2:3], s66, v1
	v_addc_co_u32_e64 v3, s[2:3], 0, v3, s[2:3]
	flat_load_ushort v7, v[2:3]
.LBB662_3:
	s_or_b64 exec, exec, s[4:5]
	v_or_b32_e32 v1, 0x100, v0
	v_cmp_gt_u32_e64 s[2:3], s74, v1
	v_mov_b32_e32 v8, v6
	s_and_saveexec_b64 s[8:9], s[2:3]
	s_cbranch_execz .LBB662_5
; %bb.4:
	v_lshlrev_b32_e32 v1, 1, v0
	v_mov_b32_e32 v3, s67
	v_add_co_u32_e64 v2, s[4:5], s66, v1
	v_addc_co_u32_e64 v3, s[4:5], 0, v3, s[4:5]
	flat_load_ushort v8, v[2:3] offset:512
.LBB662_5:
	s_or_b64 exec, exec, s[8:9]
	v_or_b32_e32 v1, 0x200, v0
	v_cmp_gt_u32_e64 s[4:5], s74, v1
	v_mov_b32_e32 v9, v6
	s_and_saveexec_b64 s[10:11], s[4:5]
	s_cbranch_execz .LBB662_7
; %bb.6:
	v_lshlrev_b32_e32 v1, 1, v0
	v_mov_b32_e32 v3, s67
	v_add_co_u32_e64 v2, s[8:9], s66, v1
	v_addc_co_u32_e64 v3, s[8:9], 0, v3, s[8:9]
	flat_load_ushort v9, v[2:3] offset:1024
.LBB662_7:
	s_or_b64 exec, exec, s[10:11]
	v_or_b32_e32 v1, 0x300, v0
	v_cmp_gt_u32_e64 s[46:47], s74, v1
	v_mov_b32_e32 v10, v6
	s_and_saveexec_b64 s[10:11], s[46:47]
	s_cbranch_execz .LBB662_9
; %bb.8:
	v_lshlrev_b32_e32 v1, 1, v0
	v_mov_b32_e32 v3, s67
	v_add_co_u32_e64 v2, s[8:9], s66, v1
	v_addc_co_u32_e64 v3, s[8:9], 0, v3, s[8:9]
	flat_load_ushort v10, v[2:3] offset:1536
.LBB662_9:
	s_or_b64 exec, exec, s[10:11]
	v_or_b32_e32 v1, 0x400, v0
	v_cmp_gt_u32_e64 s[8:9], s74, v1
	v_mov_b32_e32 v11, v6
	s_and_saveexec_b64 s[12:13], s[8:9]
	s_cbranch_execz .LBB662_11
; %bb.10:
	v_lshlrev_b32_e32 v1, 1, v0
	v_mov_b32_e32 v3, s67
	v_add_co_u32_e64 v2, s[10:11], s66, v1
	v_addc_co_u32_e64 v3, s[10:11], 0, v3, s[10:11]
	flat_load_ushort v11, v[2:3] offset:2048
.LBB662_11:
	s_or_b64 exec, exec, s[12:13]
	v_or_b32_e32 v1, 0x500, v0
	v_cmp_gt_u32_e64 s[10:11], s74, v1
	v_mov_b32_e32 v12, v6
	s_and_saveexec_b64 s[14:15], s[10:11]
	s_cbranch_execz .LBB662_13
; %bb.12:
	v_lshlrev_b32_e32 v1, 1, v0
	v_mov_b32_e32 v3, s67
	v_add_co_u32_e64 v2, s[12:13], s66, v1
	v_addc_co_u32_e64 v3, s[12:13], 0, v3, s[12:13]
	flat_load_ushort v12, v[2:3] offset:2560
.LBB662_13:
	s_or_b64 exec, exec, s[14:15]
	v_or_b32_e32 v1, 0x600, v0
	v_cmp_gt_u32_e64 s[12:13], s74, v1
	v_mov_b32_e32 v13, v6
	s_and_saveexec_b64 s[16:17], s[12:13]
	s_cbranch_execz .LBB662_15
; %bb.14:
	v_lshlrev_b32_e32 v1, 1, v0
	v_mov_b32_e32 v3, s67
	v_add_co_u32_e64 v2, s[14:15], s66, v1
	v_addc_co_u32_e64 v3, s[14:15], 0, v3, s[14:15]
	flat_load_ushort v13, v[2:3] offset:3072
.LBB662_15:
	s_or_b64 exec, exec, s[16:17]
	v_or_b32_e32 v1, 0x700, v0
	v_cmp_gt_u32_e64 s[14:15], s74, v1
	v_mov_b32_e32 v14, v6
	s_and_saveexec_b64 s[18:19], s[14:15]
	s_cbranch_execz .LBB662_17
; %bb.16:
	v_lshlrev_b32_e32 v1, 1, v0
	v_mov_b32_e32 v3, s67
	v_add_co_u32_e64 v2, s[16:17], s66, v1
	v_addc_co_u32_e64 v3, s[16:17], 0, v3, s[16:17]
	flat_load_ushort v14, v[2:3] offset:3584
.LBB662_17:
	s_or_b64 exec, exec, s[18:19]
	v_or_b32_e32 v1, 0x800, v0
	v_cmp_gt_u32_e64 s[16:17], s74, v1
	v_mov_b32_e32 v15, v6
	s_and_saveexec_b64 s[20:21], s[16:17]
	s_cbranch_execz .LBB662_19
; %bb.18:
	v_lshlrev_b32_e32 v2, 1, v1
	v_mov_b32_e32 v3, s67
	v_add_co_u32_e64 v2, s[18:19], s66, v2
	v_addc_co_u32_e64 v3, s[18:19], 0, v3, s[18:19]
	flat_load_ushort v15, v[2:3]
.LBB662_19:
	s_or_b64 exec, exec, s[20:21]
	v_or_b32_e32 v2, 0x900, v0
	v_cmp_gt_u32_e64 s[18:19], s74, v2
	v_mov_b32_e32 v26, v6
	s_and_saveexec_b64 s[22:23], s[18:19]
	s_cbranch_execz .LBB662_21
; %bb.20:
	v_lshlrev_b32_e32 v3, 1, v2
	v_mov_b32_e32 v5, s67
	v_add_co_u32_e64 v4, s[20:21], s66, v3
	v_addc_co_u32_e64 v5, s[20:21], 0, v5, s[20:21]
	flat_load_ushort v26, v[4:5]
.LBB662_21:
	;; [unrolled: 13-line block ×13, first 2 shown]
	s_or_b64 exec, exec, s[48:49]
	v_or_b32_e32 v25, 0x1500, v0
	v_cmp_gt_u32_e64 s[44:45], s74, v25
	s_and_saveexec_b64 s[56:57], s[44:45]
	s_cbranch_execz .LBB662_45
; %bb.44:
	v_lshlrev_b32_e32 v6, 1, v25
	v_mov_b32_e32 v18, s67
	v_add_co_u32_e64 v38, s[48:49], s66, v6
	v_addc_co_u32_e64 v39, s[48:49], 0, v18, s[48:49]
	flat_load_ushort v6, v[38:39]
.LBB662_45:
	s_or_b64 exec, exec, s[56:57]
	v_lshlrev_b32_e32 v18, 1, v0
	s_waitcnt vmcnt(0) lgkmcnt(0)
	ds_write_b16 v18, v7
	ds_write_b16 v18, v8 offset:512
	ds_write_b16 v18, v9 offset:1024
	;; [unrolled: 1-line block ×21, first 2 shown]
	v_pk_mov_b32 v[6:7], s[66:67], s[66:67] op_sel:[0,1]
	s_waitcnt lgkmcnt(0)
	s_barrier
	flat_load_ushort v36, v[6:7]
	v_mad_u32_u24 v38, v0, 42, v18
	s_movk_i32 s48, 0xffd6
	v_mad_i32_i24 v26, v0, s48, v38
	s_movk_i32 s48, 0xff
	v_cmp_ne_u32_e64 s[48:49], s48, v0
	ds_read2_b32 v[14:15], v38 offset1:1
	ds_read2_b32 v[12:13], v38 offset0:2 offset1:3
	ds_read2_b32 v[10:11], v38 offset0:4 offset1:5
	;; [unrolled: 1-line block ×4, first 2 shown]
	ds_read_b32 v39, v38 offset:40
	s_waitcnt lgkmcnt(0)
	ds_write_b16 v26, v14 offset:11776
	s_waitcnt lgkmcnt(0)
	s_barrier
	s_and_saveexec_b64 s[56:57], s[48:49]
	s_cbranch_execz .LBB662_47
; %bb.46:
	s_waitcnt vmcnt(0)
	ds_read_u16 v36, v18 offset:11778
.LBB662_47:
	s_or_b64 exec, exec, s[56:57]
	s_waitcnt lgkmcnt(0)
	s_barrier
	s_waitcnt lgkmcnt(0)
                                        ; implicit-def: $vgpr26
	s_and_saveexec_b64 s[48:49], vcc
	s_cbranch_execz .LBB662_189
; %bb.48:
	v_mov_b32_e32 v27, s72
	v_add_co_u32_e32 v26, vcc, s55, v18
	v_addc_co_u32_e32 v27, vcc, 0, v27, vcc
	flat_load_ushort v26, v[26:27]
	s_or_b64 exec, exec, s[48:49]
                                        ; implicit-def: $vgpr27
	s_and_saveexec_b64 s[48:49], s[2:3]
	s_cbranch_execnz .LBB662_190
.LBB662_49:
	s_or_b64 exec, exec, s[48:49]
                                        ; implicit-def: $vgpr28
	s_and_saveexec_b64 s[2:3], s[4:5]
	s_cbranch_execz .LBB662_191
.LBB662_50:
	v_mov_b32_e32 v29, s72
	v_add_co_u32_e32 v28, vcc, s55, v18
	v_addc_co_u32_e32 v29, vcc, 0, v29, vcc
	flat_load_ushort v28, v[28:29] offset:1024
	s_or_b64 exec, exec, s[2:3]
                                        ; implicit-def: $vgpr29
	s_and_saveexec_b64 s[2:3], s[46:47]
	s_cbranch_execnz .LBB662_192
.LBB662_51:
	s_or_b64 exec, exec, s[2:3]
                                        ; implicit-def: $vgpr30
	s_and_saveexec_b64 s[2:3], s[8:9]
	s_cbranch_execz .LBB662_193
.LBB662_52:
	v_mov_b32_e32 v31, s72
	v_add_co_u32_e32 v30, vcc, s55, v18
	v_addc_co_u32_e32 v31, vcc, 0, v31, vcc
	flat_load_ushort v30, v[30:31] offset:2048
	s_or_b64 exec, exec, s[2:3]
                                        ; implicit-def: $vgpr31
	s_and_saveexec_b64 s[2:3], s[10:11]
	s_cbranch_execnz .LBB662_194
.LBB662_53:
	s_or_b64 exec, exec, s[2:3]
                                        ; implicit-def: $vgpr32
	s_and_saveexec_b64 s[2:3], s[12:13]
	s_cbranch_execz .LBB662_195
.LBB662_54:
	v_mov_b32_e32 v33, s72
	v_add_co_u32_e32 v32, vcc, s55, v18
	v_addc_co_u32_e32 v33, vcc, 0, v33, vcc
	flat_load_ushort v32, v[32:33] offset:3072
	s_or_b64 exec, exec, s[2:3]
                                        ; implicit-def: $vgpr33
	s_and_saveexec_b64 s[2:3], s[14:15]
	s_cbranch_execnz .LBB662_196
.LBB662_55:
	s_or_b64 exec, exec, s[2:3]
                                        ; implicit-def: $vgpr34
	s_and_saveexec_b64 s[2:3], s[16:17]
	s_cbranch_execz .LBB662_197
.LBB662_56:
	v_lshlrev_b32_e32 v1, 1, v1
	v_mov_b32_e32 v35, s72
	v_add_co_u32_e32 v34, vcc, s55, v1
	v_addc_co_u32_e32 v35, vcc, 0, v35, vcc
	flat_load_ushort v34, v[34:35]
	s_or_b64 exec, exec, s[2:3]
                                        ; implicit-def: $vgpr1
	s_and_saveexec_b64 s[2:3], s[18:19]
	s_cbranch_execnz .LBB662_198
.LBB662_57:
	s_or_b64 exec, exec, s[2:3]
                                        ; implicit-def: $vgpr2
	s_and_saveexec_b64 s[2:3], s[20:21]
	s_cbranch_execz .LBB662_199
.LBB662_58:
	v_lshlrev_b32_e32 v2, 1, v3
	v_mov_b32_e32 v3, s72
	v_add_co_u32_e32 v2, vcc, s55, v2
	v_addc_co_u32_e32 v3, vcc, 0, v3, vcc
	flat_load_ushort v2, v[2:3]
	s_or_b64 exec, exec, s[2:3]
                                        ; implicit-def: $vgpr3
	s_and_saveexec_b64 s[2:3], s[22:23]
	s_cbranch_execnz .LBB662_200
.LBB662_59:
	s_or_b64 exec, exec, s[2:3]
                                        ; implicit-def: $vgpr4
	s_and_saveexec_b64 s[2:3], s[24:25]
	s_cbranch_execz .LBB662_201
.LBB662_60:
	v_lshlrev_b32_e32 v4, 1, v5
	v_mov_b32_e32 v5, s72
	v_add_co_u32_e32 v4, vcc, s55, v4
	v_addc_co_u32_e32 v5, vcc, 0, v5, vcc
	flat_load_ushort v4, v[4:5]
	s_or_b64 exec, exec, s[2:3]
                                        ; implicit-def: $vgpr5
	s_and_saveexec_b64 s[2:3], s[26:27]
	s_cbranch_execnz .LBB662_202
.LBB662_61:
	s_or_b64 exec, exec, s[2:3]
                                        ; implicit-def: $vgpr16
	s_and_saveexec_b64 s[2:3], s[28:29]
	s_cbranch_execz .LBB662_203
.LBB662_62:
	v_lshlrev_b32_e32 v16, 1, v17
	v_mov_b32_e32 v17, s72
	v_add_co_u32_e32 v16, vcc, s55, v16
	v_addc_co_u32_e32 v17, vcc, 0, v17, vcc
	flat_load_ushort v16, v[16:17]
	s_or_b64 exec, exec, s[2:3]
                                        ; implicit-def: $vgpr17
	s_and_saveexec_b64 s[2:3], s[30:31]
	s_cbranch_execnz .LBB662_204
.LBB662_63:
	s_or_b64 exec, exec, s[2:3]
                                        ; implicit-def: $vgpr19
	s_and_saveexec_b64 s[2:3], s[34:35]
	s_cbranch_execz .LBB662_205
.LBB662_64:
	v_lshlrev_b32_e32 v19, 1, v20
	v_mov_b32_e32 v20, s72
	v_add_co_u32_e32 v40, vcc, s55, v19
	v_addc_co_u32_e32 v41, vcc, 0, v20, vcc
	flat_load_ushort v19, v[40:41]
	s_or_b64 exec, exec, s[2:3]
                                        ; implicit-def: $vgpr20
	s_and_saveexec_b64 s[2:3], s[36:37]
	s_cbranch_execnz .LBB662_206
.LBB662_65:
	s_or_b64 exec, exec, s[2:3]
                                        ; implicit-def: $vgpr21
	s_and_saveexec_b64 s[2:3], s[38:39]
	s_cbranch_execz .LBB662_207
.LBB662_66:
	v_lshlrev_b32_e32 v21, 1, v22
	v_mov_b32_e32 v22, s72
	v_add_co_u32_e32 v40, vcc, s55, v21
	v_addc_co_u32_e32 v41, vcc, 0, v22, vcc
	flat_load_ushort v21, v[40:41]
	s_or_b64 exec, exec, s[2:3]
                                        ; implicit-def: $vgpr22
	s_and_saveexec_b64 s[2:3], s[40:41]
	s_cbranch_execnz .LBB662_208
.LBB662_67:
	s_or_b64 exec, exec, s[2:3]
                                        ; implicit-def: $vgpr23
	s_and_saveexec_b64 s[2:3], s[42:43]
	s_cbranch_execz .LBB662_69
.LBB662_68:
	v_lshlrev_b32_e32 v23, 1, v24
	v_mov_b32_e32 v24, s72
	v_add_co_u32_e32 v40, vcc, s55, v23
	v_addc_co_u32_e32 v41, vcc, 0, v24, vcc
	flat_load_ushort v23, v[40:41]
.LBB662_69:
	s_or_b64 exec, exec, s[2:3]
	v_mul_u32_u24_e32 v40, 22, v0
                                        ; implicit-def: $vgpr24
	s_and_saveexec_b64 s[2:3], s[44:45]
	s_cbranch_execz .LBB662_71
; %bb.70:
	v_lshlrev_b32_e32 v24, 1, v25
	v_mov_b32_e32 v25, s72
	v_add_co_u32_e32 v24, vcc, s55, v24
	v_addc_co_u32_e32 v25, vcc, 0, v25, vcc
	flat_load_ushort v24, v[24:25]
.LBB662_71:
	s_or_b64 exec, exec, s[2:3]
	s_waitcnt vmcnt(0) lgkmcnt(0)
	ds_write_b16 v18, v26
	ds_write_b16 v18, v27 offset:512
	ds_write_b16 v18, v28 offset:1024
	;; [unrolled: 1-line block ×21, first 2 shown]
	v_cmp_gt_u32_e32 vcc, s74, v40
	s_mov_b64 s[2:3], 0
	s_mov_b32 s73, 0
	v_mov_b32_e32 v1, 0
	s_mov_b64 s[10:11], 0
	v_mov_b32_e32 v18, 0
	v_mov_b32_e32 v22, 0
	;; [unrolled: 1-line block ×20, first 2 shown]
	s_waitcnt lgkmcnt(0)
	s_barrier
	s_waitcnt lgkmcnt(0)
                                        ; implicit-def: $sgpr8_sgpr9
                                        ; implicit-def: $vgpr37
	s_and_saveexec_b64 s[4:5], vcc
	s_cbranch_execz .LBB662_115
; %bb.72:
	ds_read_u16 v1, v38
	v_mov_b32_e32 v3, s7
	v_cmp_eq_u16_sdwa vcc, v14, v14 src0_sel:DWORD src1_sel:WORD_1
	v_cmp_ne_u16_sdwa s[8:9], v14, v14 src0_sel:DWORD src1_sel:WORD_1
	v_or_b32_e32 v2, 1, v40
	s_waitcnt lgkmcnt(0)
	v_cndmask_b32_e32 v1, v3, v1, vcc
	v_and_b32_e32 v1, 0xffff, v1
	v_cndmask_b32_e64 v3, 0, 1, s[8:9]
	v_lshl_or_b32 v1, v3, 16, v1
	v_cmp_gt_u32_e32 vcc, s74, v2
	v_mov_b32_e32 v18, 0
	v_mov_b32_e32 v22, 0
	;; [unrolled: 1-line block ×20, first 2 shown]
                                        ; implicit-def: $sgpr12_sgpr13
                                        ; implicit-def: $vgpr37
	s_and_saveexec_b64 s[8:9], vcc
	s_cbranch_execz .LBB662_114
; %bb.73:
	ds_read_b128 v[2:5], v38 offset:2
	v_mov_b32_e32 v17, s7
	v_cmp_eq_u16_sdwa vcc, v14, v15 src0_sel:WORD_1 src1_sel:DWORD
	v_cmp_ne_u16_sdwa s[10:11], v14, v15 src0_sel:WORD_1 src1_sel:DWORD
	v_add_u32_e32 v16, 2, v40
	s_waitcnt lgkmcnt(0)
	v_cndmask_b32_e32 v17, v17, v2, vcc
	v_and_b32_e32 v17, 0xffff, v17
	v_cndmask_b32_e64 v14, 0, 1, s[10:11]
	v_lshl_or_b32 v18, v14, 16, v17
	v_cmp_gt_u32_e32 vcc, s74, v16
	s_mov_b64 s[14:15], 0
	v_mov_b32_e32 v22, 0
	v_mov_b32_e32 v19, 0
	;; [unrolled: 1-line block ×19, first 2 shown]
                                        ; implicit-def: $sgpr12_sgpr13
                                        ; implicit-def: $vgpr37
	s_and_saveexec_b64 s[10:11], vcc
	s_cbranch_execz .LBB662_113
; %bb.74:
	v_lshrrev_b32_e32 v2, 16, v2
	v_mov_b32_e32 v16, s7
	v_cmp_eq_u16_sdwa vcc, v15, v15 src0_sel:DWORD src1_sel:WORD_1
	v_cndmask_b32_e32 v2, v16, v2, vcc
	v_cmp_ne_u16_sdwa s[12:13], v15, v15 src0_sel:DWORD src1_sel:WORD_1
	v_add_u32_e32 v14, 3, v40
	v_and_b32_e32 v2, 0xffff, v2
	v_cndmask_b32_e64 v16, 0, 1, s[12:13]
	v_lshl_or_b32 v22, v16, 16, v2
	v_cmp_gt_u32_e32 vcc, s74, v14
	v_mov_b32_e32 v19, 0
	v_mov_b32_e32 v23, 0
	v_mov_b32_e32 v16, 0
	v_mov_b32_e32 v24, 0
	v_mov_b32_e32 v17, 0
	v_mov_b32_e32 v25, 0
	v_mov_b32_e32 v26, 0
	v_mov_b32_e32 v27, 0
	v_mov_b32_e32 v28, 0
	v_mov_b32_e32 v29, 0
	v_mov_b32_e32 v30, 0
	v_mov_b32_e32 v31, 0
	v_mov_b32_e32 v32, 0
	v_mov_b32_e32 v33, 0
	v_mov_b32_e32 v20, 0
	v_mov_b32_e32 v34, 0
	v_mov_b32_e32 v21, 0
	v_mov_b32_e32 v35, 0
                                        ; implicit-def: $sgpr16_sgpr17
                                        ; implicit-def: $vgpr37
	s_and_saveexec_b64 s[12:13], vcc
	s_cbranch_execz .LBB662_112
; %bb.75:
	v_mov_b32_e32 v14, s7
	v_cmp_eq_u16_sdwa vcc, v15, v12 src0_sel:WORD_1 src1_sel:DWORD
	v_cndmask_b32_e32 v14, v14, v3, vcc
	v_cmp_ne_u16_sdwa s[14:15], v15, v12 src0_sel:WORD_1 src1_sel:DWORD
	v_add_u32_e32 v2, 4, v40
	v_and_b32_e32 v14, 0xffff, v14
	v_cndmask_b32_e64 v15, 0, 1, s[14:15]
	v_lshl_or_b32 v19, v15, 16, v14
	v_cmp_gt_u32_e32 vcc, s74, v2
	s_mov_b64 s[18:19], 0
	v_mov_b32_e32 v23, 0
	v_mov_b32_e32 v16, 0
	;; [unrolled: 1-line block ×17, first 2 shown]
                                        ; implicit-def: $sgpr16_sgpr17
                                        ; implicit-def: $vgpr37
	s_and_saveexec_b64 s[14:15], vcc
	s_cbranch_execz .LBB662_111
; %bb.76:
	v_lshrrev_b32_e32 v2, 16, v3
	v_mov_b32_e32 v14, s7
	v_cmp_eq_u16_sdwa vcc, v12, v12 src0_sel:DWORD src1_sel:WORD_1
	v_cndmask_b32_e32 v2, v14, v2, vcc
	v_cmp_ne_u16_sdwa s[16:17], v12, v12 src0_sel:DWORD src1_sel:WORD_1
	v_add_u32_e32 v3, 5, v40
	v_and_b32_e32 v2, 0xffff, v2
	v_cndmask_b32_e64 v14, 0, 1, s[16:17]
	v_lshl_or_b32 v23, v14, 16, v2
	v_cmp_gt_u32_e32 vcc, s74, v3
	v_mov_b32_e32 v16, 0
	v_mov_b32_e32 v24, 0
	;; [unrolled: 1-line block ×16, first 2 shown]
                                        ; implicit-def: $sgpr20_sgpr21
                                        ; implicit-def: $vgpr37
	s_and_saveexec_b64 s[16:17], vcc
	s_cbranch_execz .LBB662_110
; %bb.77:
	v_mov_b32_e32 v3, s7
	v_cmp_eq_u16_sdwa vcc, v12, v13 src0_sel:WORD_1 src1_sel:DWORD
	v_cndmask_b32_e32 v3, v3, v4, vcc
	v_cmp_ne_u16_sdwa s[18:19], v12, v13 src0_sel:WORD_1 src1_sel:DWORD
	v_add_u32_e32 v2, 6, v40
	v_and_b32_e32 v3, 0xffff, v3
	v_cndmask_b32_e64 v12, 0, 1, s[18:19]
	v_lshl_or_b32 v16, v12, 16, v3
	v_cmp_gt_u32_e32 vcc, s74, v2
	s_mov_b64 s[22:23], 0
	v_mov_b32_e32 v24, 0
	v_mov_b32_e32 v17, 0
	;; [unrolled: 1-line block ×15, first 2 shown]
                                        ; implicit-def: $sgpr20_sgpr21
                                        ; implicit-def: $vgpr37
	s_and_saveexec_b64 s[18:19], vcc
	s_cbranch_execz .LBB662_109
; %bb.78:
	v_lshrrev_b32_e32 v2, 16, v4
	v_mov_b32_e32 v4, s7
	v_cmp_eq_u16_sdwa vcc, v13, v13 src0_sel:DWORD src1_sel:WORD_1
	v_cndmask_b32_e32 v2, v4, v2, vcc
	v_cmp_ne_u16_sdwa s[20:21], v13, v13 src0_sel:DWORD src1_sel:WORD_1
	v_add_u32_e32 v3, 7, v40
	v_and_b32_e32 v2, 0xffff, v2
	v_cndmask_b32_e64 v4, 0, 1, s[20:21]
	v_lshl_or_b32 v24, v4, 16, v2
	v_cmp_gt_u32_e32 vcc, s74, v3
	v_mov_b32_e32 v17, 0
	v_mov_b32_e32 v25, 0
	v_mov_b32_e32 v26, 0
	v_mov_b32_e32 v27, 0
	v_mov_b32_e32 v28, 0
	v_mov_b32_e32 v29, 0
	v_mov_b32_e32 v30, 0
	v_mov_b32_e32 v31, 0
	v_mov_b32_e32 v32, 0
	v_mov_b32_e32 v33, 0
	v_mov_b32_e32 v20, 0
	v_mov_b32_e32 v34, 0
	v_mov_b32_e32 v21, 0
	v_mov_b32_e32 v35, 0
                                        ; implicit-def: $sgpr24_sgpr25
                                        ; implicit-def: $vgpr37
	s_and_saveexec_b64 s[20:21], vcc
	s_cbranch_execz .LBB662_108
; %bb.79:
	v_mov_b32_e32 v3, s7
	v_cmp_eq_u16_sdwa vcc, v13, v10 src0_sel:WORD_1 src1_sel:DWORD
	v_cndmask_b32_e32 v3, v3, v5, vcc
	v_cmp_ne_u16_sdwa s[22:23], v13, v10 src0_sel:WORD_1 src1_sel:DWORD
	v_add_u32_e32 v2, 8, v40
	v_and_b32_e32 v3, 0xffff, v3
	v_cndmask_b32_e64 v4, 0, 1, s[22:23]
	v_lshl_or_b32 v17, v4, 16, v3
	v_cmp_gt_u32_e32 vcc, s74, v2
	s_mov_b64 s[26:27], 0
	v_mov_b32_e32 v25, 0
	v_mov_b32_e32 v26, 0
	;; [unrolled: 1-line block ×13, first 2 shown]
                                        ; implicit-def: $sgpr24_sgpr25
                                        ; implicit-def: $vgpr37
	s_and_saveexec_b64 s[22:23], vcc
	s_cbranch_execz .LBB662_107
; %bb.80:
	v_lshrrev_b32_e32 v2, 16, v5
	v_mov_b32_e32 v4, s7
	v_cmp_eq_u16_sdwa vcc, v10, v10 src0_sel:DWORD src1_sel:WORD_1
	v_cndmask_b32_e32 v2, v4, v2, vcc
	v_cmp_ne_u16_sdwa s[24:25], v10, v10 src0_sel:DWORD src1_sel:WORD_1
	v_add_u32_e32 v3, 9, v40
	v_and_b32_e32 v2, 0xffff, v2
	v_cndmask_b32_e64 v4, 0, 1, s[24:25]
	v_lshl_or_b32 v25, v4, 16, v2
	v_cmp_gt_u32_e32 vcc, s74, v3
	v_mov_b32_e32 v26, 0
	v_mov_b32_e32 v27, 0
	;; [unrolled: 1-line block ×12, first 2 shown]
                                        ; implicit-def: $sgpr28_sgpr29
                                        ; implicit-def: $vgpr37
	s_and_saveexec_b64 s[24:25], vcc
	s_cbranch_execz .LBB662_106
; %bb.81:
	ds_read_b128 v[2:5], v38 offset:18
	v_mov_b32_e32 v13, s7
	v_cmp_eq_u16_sdwa vcc, v10, v11 src0_sel:WORD_1 src1_sel:DWORD
	v_cmp_ne_u16_sdwa s[26:27], v10, v11 src0_sel:WORD_1 src1_sel:DWORD
	v_add_u32_e32 v12, 10, v40
	s_waitcnt lgkmcnt(0)
	v_cndmask_b32_e32 v13, v13, v2, vcc
	v_and_b32_e32 v13, 0xffff, v13
	v_cndmask_b32_e64 v10, 0, 1, s[26:27]
	v_lshl_or_b32 v26, v10, 16, v13
	v_cmp_gt_u32_e32 vcc, s74, v12
	s_mov_b64 s[30:31], 0
	v_mov_b32_e32 v27, 0
	v_mov_b32_e32 v28, 0
	;; [unrolled: 1-line block ×11, first 2 shown]
                                        ; implicit-def: $sgpr28_sgpr29
                                        ; implicit-def: $vgpr37
	s_and_saveexec_b64 s[26:27], vcc
	s_cbranch_execz .LBB662_105
; %bb.82:
	v_lshrrev_b32_e32 v2, 16, v2
	v_mov_b32_e32 v12, s7
	v_cmp_eq_u16_sdwa vcc, v11, v11 src0_sel:DWORD src1_sel:WORD_1
	v_cndmask_b32_e32 v2, v12, v2, vcc
	v_cmp_ne_u16_sdwa s[28:29], v11, v11 src0_sel:DWORD src1_sel:WORD_1
	v_add_u32_e32 v10, 11, v40
	v_and_b32_e32 v2, 0xffff, v2
	v_cndmask_b32_e64 v12, 0, 1, s[28:29]
	v_lshl_or_b32 v27, v12, 16, v2
	v_cmp_gt_u32_e32 vcc, s74, v10
	v_mov_b32_e32 v28, 0
	v_mov_b32_e32 v29, 0
	;; [unrolled: 1-line block ×10, first 2 shown]
                                        ; implicit-def: $sgpr34_sgpr35
                                        ; implicit-def: $vgpr37
	s_and_saveexec_b64 s[28:29], vcc
	s_cbranch_execz .LBB662_104
; %bb.83:
	v_mov_b32_e32 v10, s7
	v_cmp_eq_u16_sdwa vcc, v11, v8 src0_sel:WORD_1 src1_sel:DWORD
	v_cndmask_b32_e32 v10, v10, v3, vcc
	v_cmp_ne_u16_sdwa s[30:31], v11, v8 src0_sel:WORD_1 src1_sel:DWORD
	v_add_u32_e32 v2, 12, v40
	v_and_b32_e32 v10, 0xffff, v10
	v_cndmask_b32_e64 v11, 0, 1, s[30:31]
	v_lshl_or_b32 v28, v11, 16, v10
	v_cmp_gt_u32_e32 vcc, s74, v2
	s_mov_b64 s[36:37], 0
	v_mov_b32_e32 v29, 0
	v_mov_b32_e32 v30, 0
	;; [unrolled: 1-line block ×9, first 2 shown]
                                        ; implicit-def: $sgpr34_sgpr35
                                        ; implicit-def: $vgpr37
	s_and_saveexec_b64 s[30:31], vcc
	s_cbranch_execz .LBB662_103
; %bb.84:
	v_lshrrev_b32_e32 v2, 16, v3
	v_mov_b32_e32 v10, s7
	v_cmp_eq_u16_sdwa vcc, v8, v8 src0_sel:DWORD src1_sel:WORD_1
	v_cndmask_b32_e32 v2, v10, v2, vcc
	v_cmp_ne_u16_sdwa s[34:35], v8, v8 src0_sel:DWORD src1_sel:WORD_1
	v_add_u32_e32 v3, 13, v40
	v_and_b32_e32 v2, 0xffff, v2
	v_cndmask_b32_e64 v10, 0, 1, s[34:35]
	v_lshl_or_b32 v29, v10, 16, v2
	v_cmp_gt_u32_e32 vcc, s74, v3
	v_mov_b32_e32 v30, 0
	v_mov_b32_e32 v31, 0
	;; [unrolled: 1-line block ×8, first 2 shown]
                                        ; implicit-def: $sgpr38_sgpr39
                                        ; implicit-def: $vgpr37
	s_and_saveexec_b64 s[34:35], vcc
	s_cbranch_execz .LBB662_102
; %bb.85:
	v_mov_b32_e32 v3, s7
	v_cmp_eq_u16_sdwa vcc, v8, v9 src0_sel:WORD_1 src1_sel:DWORD
	v_cndmask_b32_e32 v3, v3, v4, vcc
	v_cmp_ne_u16_sdwa s[36:37], v8, v9 src0_sel:WORD_1 src1_sel:DWORD
	v_add_u32_e32 v2, 14, v40
	v_and_b32_e32 v3, 0xffff, v3
	v_cndmask_b32_e64 v8, 0, 1, s[36:37]
	v_lshl_or_b32 v30, v8, 16, v3
	v_cmp_gt_u32_e32 vcc, s74, v2
	s_mov_b64 s[40:41], 0
	v_mov_b32_e32 v31, 0
	v_mov_b32_e32 v32, 0
	;; [unrolled: 1-line block ×7, first 2 shown]
                                        ; implicit-def: $sgpr38_sgpr39
                                        ; implicit-def: $vgpr37
	s_and_saveexec_b64 s[36:37], vcc
	s_cbranch_execz .LBB662_101
; %bb.86:
	v_lshrrev_b32_e32 v2, 16, v4
	v_mov_b32_e32 v4, s7
	v_cmp_eq_u16_sdwa vcc, v9, v9 src0_sel:DWORD src1_sel:WORD_1
	v_cndmask_b32_e32 v2, v4, v2, vcc
	v_cmp_ne_u16_sdwa s[38:39], v9, v9 src0_sel:DWORD src1_sel:WORD_1
	v_add_u32_e32 v3, 15, v40
	v_and_b32_e32 v2, 0xffff, v2
	v_cndmask_b32_e64 v4, 0, 1, s[38:39]
	v_lshl_or_b32 v31, v4, 16, v2
	v_cmp_gt_u32_e32 vcc, s74, v3
	v_mov_b32_e32 v32, 0
	v_mov_b32_e32 v33, 0
	;; [unrolled: 1-line block ×6, first 2 shown]
                                        ; implicit-def: $sgpr42_sgpr43
                                        ; implicit-def: $vgpr37
	s_and_saveexec_b64 s[38:39], vcc
	s_cbranch_execz .LBB662_100
; %bb.87:
	v_mov_b32_e32 v3, s7
	v_cmp_eq_u16_sdwa vcc, v9, v6 src0_sel:WORD_1 src1_sel:DWORD
	v_cndmask_b32_e32 v3, v3, v5, vcc
	v_cmp_ne_u16_sdwa s[40:41], v9, v6 src0_sel:WORD_1 src1_sel:DWORD
	v_add_u32_e32 v2, 16, v40
	v_and_b32_e32 v3, 0xffff, v3
	v_cndmask_b32_e64 v4, 0, 1, s[40:41]
	v_lshl_or_b32 v32, v4, 16, v3
	v_cmp_gt_u32_e32 vcc, s74, v2
	s_mov_b64 s[44:45], 0
	v_mov_b32_e32 v33, 0
	v_mov_b32_e32 v20, 0
	;; [unrolled: 1-line block ×5, first 2 shown]
                                        ; implicit-def: $sgpr42_sgpr43
                                        ; implicit-def: $vgpr37
	s_and_saveexec_b64 s[40:41], vcc
	s_cbranch_execz .LBB662_99
; %bb.88:
	v_lshrrev_b32_e32 v2, 16, v5
	v_mov_b32_e32 v4, s7
	v_cmp_eq_u16_sdwa vcc, v6, v6 src0_sel:DWORD src1_sel:WORD_1
	v_cndmask_b32_e32 v2, v4, v2, vcc
	v_cmp_ne_u16_sdwa s[42:43], v6, v6 src0_sel:DWORD src1_sel:WORD_1
	v_add_u32_e32 v3, 17, v40
	v_and_b32_e32 v2, 0xffff, v2
	v_cndmask_b32_e64 v4, 0, 1, s[42:43]
	v_lshl_or_b32 v33, v4, 16, v2
	v_cmp_gt_u32_e32 vcc, s74, v3
	v_mov_b32_e32 v20, 0
	v_mov_b32_e32 v34, 0
	;; [unrolled: 1-line block ×4, first 2 shown]
                                        ; implicit-def: $sgpr46_sgpr47
                                        ; implicit-def: $vgpr37
	s_and_saveexec_b64 s[42:43], vcc
	s_cbranch_execz .LBB662_98
; %bb.89:
	ds_read_b64 v[2:3], v38 offset:34
	v_mov_b32_e32 v5, s7
	v_cmp_eq_u16_sdwa vcc, v6, v7 src0_sel:WORD_1 src1_sel:DWORD
	v_cmp_ne_u16_sdwa s[44:45], v6, v7 src0_sel:WORD_1 src1_sel:DWORD
	v_add_u32_e32 v4, 18, v40
	s_waitcnt lgkmcnt(0)
	v_cndmask_b32_e32 v5, v5, v2, vcc
	v_and_b32_e32 v5, 0xffff, v5
	v_cndmask_b32_e64 v6, 0, 1, s[44:45]
	v_lshl_or_b32 v20, v6, 16, v5
	v_cmp_gt_u32_e32 vcc, s74, v4
	s_mov_b64 s[48:49], 0
	v_mov_b32_e32 v34, 0
	v_mov_b32_e32 v21, 0
	;; [unrolled: 1-line block ×3, first 2 shown]
                                        ; implicit-def: $sgpr46_sgpr47
                                        ; implicit-def: $vgpr37
	s_and_saveexec_b64 s[44:45], vcc
	s_cbranch_execz .LBB662_97
; %bb.90:
	v_lshrrev_b32_e32 v2, 16, v2
	v_mov_b32_e32 v5, s7
	v_cmp_eq_u16_sdwa vcc, v7, v7 src0_sel:DWORD src1_sel:WORD_1
	v_cndmask_b32_e32 v2, v5, v2, vcc
	v_cmp_ne_u16_sdwa s[46:47], v7, v7 src0_sel:DWORD src1_sel:WORD_1
	v_add_u32_e32 v4, 19, v40
	v_and_b32_e32 v2, 0xffff, v2
	v_cndmask_b32_e64 v5, 0, 1, s[46:47]
	v_lshl_or_b32 v34, v5, 16, v2
	v_cmp_gt_u32_e32 vcc, s74, v4
	v_mov_b32_e32 v21, 0
	v_mov_b32_e32 v35, 0
                                        ; implicit-def: $sgpr56_sgpr57
                                        ; implicit-def: $vgpr37
	s_and_saveexec_b64 s[46:47], vcc
	s_cbranch_execz .LBB662_96
; %bb.91:
	v_mov_b32_e32 v4, s7
	v_cmp_eq_u16_sdwa vcc, v7, v39 src0_sel:WORD_1 src1_sel:DWORD
	v_cndmask_b32_e32 v4, v4, v3, vcc
	v_cmp_ne_u16_sdwa s[48:49], v7, v39 src0_sel:WORD_1 src1_sel:DWORD
	v_add_u32_e32 v2, 20, v40
	v_and_b32_e32 v4, 0xffff, v4
	v_cndmask_b32_e64 v5, 0, 1, s[48:49]
	v_lshl_or_b32 v21, v5, 16, v4
	v_cmp_gt_u32_e32 vcc, s74, v2
	s_mov_b64 s[68:69], 0
	v_mov_b32_e32 v35, 0
                                        ; implicit-def: $sgpr70_sgpr71
                                        ; implicit-def: $vgpr37
	s_and_saveexec_b64 s[48:49], vcc
	s_cbranch_execz .LBB662_95
; %bb.92:
	v_lshrrev_b32_e32 v2, 16, v3
	v_mov_b32_e32 v4, s7
	v_cmp_eq_u16_sdwa vcc, v39, v39 src0_sel:DWORD src1_sel:WORD_1
	v_cndmask_b32_e32 v2, v4, v2, vcc
	v_cmp_ne_u16_sdwa s[56:57], v39, v39 src0_sel:DWORD src1_sel:WORD_1
	v_add_u32_e32 v3, 21, v40
	v_and_b32_e32 v2, 0xffff, v2
	v_cndmask_b32_e64 v4, 0, 1, s[56:57]
	v_lshl_or_b32 v35, v4, 16, v2
	v_cmp_gt_u32_e32 vcc, s74, v3
	s_mov_b64 s[56:57], 0
                                        ; implicit-def: $sgpr68_sgpr69
                                        ; implicit-def: $vgpr37
	s_and_saveexec_b64 s[70:71], vcc
	s_xor_b64 s[70:71], exec, s[70:71]
	s_cbranch_execz .LBB662_94
; %bb.93:
	ds_read_u16 v2, v38 offset:42
	v_mov_b32_e32 v3, s7
	v_cmp_ne_u16_sdwa vcc, v39, v36 src0_sel:WORD_1 src1_sel:DWORD
	s_mov_b64 s[56:57], exec
	s_and_b64 s[68:69], vcc, exec
	s_waitcnt lgkmcnt(0)
	v_cndmask_b32_e32 v37, v2, v3, vcc
.LBB662_94:
	s_or_b64 exec, exec, s[70:71]
	s_and_b64 s[70:71], s[68:69], exec
	s_and_b64 s[68:69], s[56:57], exec
.LBB662_95:
	s_or_b64 exec, exec, s[48:49]
	s_and_b64 s[56:57], s[70:71], exec
	s_and_b64 s[48:49], s[68:69], exec
.LBB662_96:
	s_or_b64 exec, exec, s[46:47]
	s_and_b64 s[46:47], s[56:57], exec
	s_and_b64 s[48:49], s[48:49], exec
.LBB662_97:
	s_or_b64 exec, exec, s[44:45]
	s_and_b64 s[46:47], s[46:47], exec
	s_and_b64 s[44:45], s[48:49], exec
.LBB662_98:
	s_or_b64 exec, exec, s[42:43]
	s_and_b64 s[42:43], s[46:47], exec
	s_and_b64 s[44:45], s[44:45], exec
.LBB662_99:
	s_or_b64 exec, exec, s[40:41]
	s_and_b64 s[42:43], s[42:43], exec
	s_and_b64 s[40:41], s[44:45], exec
.LBB662_100:
	s_or_b64 exec, exec, s[38:39]
	s_and_b64 s[38:39], s[42:43], exec
	s_and_b64 s[40:41], s[40:41], exec
.LBB662_101:
	s_or_b64 exec, exec, s[36:37]
	s_and_b64 s[38:39], s[38:39], exec
	s_and_b64 s[36:37], s[40:41], exec
.LBB662_102:
	s_or_b64 exec, exec, s[34:35]
	s_and_b64 s[34:35], s[38:39], exec
	s_and_b64 s[36:37], s[36:37], exec
.LBB662_103:
	s_or_b64 exec, exec, s[30:31]
	s_and_b64 s[34:35], s[34:35], exec
	s_and_b64 s[30:31], s[36:37], exec
.LBB662_104:
	s_or_b64 exec, exec, s[28:29]
	s_and_b64 s[28:29], s[34:35], exec
	s_and_b64 s[30:31], s[30:31], exec
.LBB662_105:
	s_or_b64 exec, exec, s[26:27]
	s_and_b64 s[28:29], s[28:29], exec
	s_and_b64 s[26:27], s[30:31], exec
.LBB662_106:
	s_or_b64 exec, exec, s[24:25]
	s_and_b64 s[24:25], s[28:29], exec
	s_and_b64 s[26:27], s[26:27], exec
.LBB662_107:
	s_or_b64 exec, exec, s[22:23]
	s_and_b64 s[24:25], s[24:25], exec
	s_and_b64 s[22:23], s[26:27], exec
.LBB662_108:
	s_or_b64 exec, exec, s[20:21]
	s_and_b64 s[20:21], s[24:25], exec
	s_and_b64 s[22:23], s[22:23], exec
.LBB662_109:
	s_or_b64 exec, exec, s[18:19]
	s_and_b64 s[20:21], s[20:21], exec
	s_and_b64 s[18:19], s[22:23], exec
.LBB662_110:
	s_or_b64 exec, exec, s[16:17]
	s_and_b64 s[16:17], s[20:21], exec
	s_and_b64 s[18:19], s[18:19], exec
.LBB662_111:
	s_or_b64 exec, exec, s[14:15]
	s_and_b64 s[16:17], s[16:17], exec
	s_and_b64 s[14:15], s[18:19], exec
.LBB662_112:
	s_or_b64 exec, exec, s[12:13]
	s_and_b64 s[12:13], s[16:17], exec
	s_and_b64 s[14:15], s[14:15], exec
.LBB662_113:
	s_or_b64 exec, exec, s[10:11]
	s_and_b64 s[12:13], s[12:13], exec
	s_and_b64 s[10:11], s[14:15], exec
.LBB662_114:
	s_or_b64 exec, exec, s[8:9]
	s_and_b64 s[8:9], s[12:13], exec
	s_and_b64 s[10:11], s[10:11], exec
.LBB662_115:
	s_or_b64 exec, exec, s[4:5]
	s_and_b64 vcc, exec, s[2:3]
	v_lshlrev_b32_e32 v36, 1, v0
	s_cbranch_vccnz .LBB662_117
	s_branch .LBB662_122
.LBB662_116:
	s_mov_b64 s[10:11], 0
                                        ; implicit-def: $sgpr8_sgpr9
                                        ; implicit-def: $vgpr37
                                        ; implicit-def: $vgpr1
                                        ; implicit-def: $vgpr18
                                        ; implicit-def: $vgpr22
                                        ; implicit-def: $vgpr19
                                        ; implicit-def: $vgpr23
                                        ; implicit-def: $vgpr16
                                        ; implicit-def: $vgpr24
                                        ; implicit-def: $vgpr17
                                        ; implicit-def: $vgpr25
                                        ; implicit-def: $vgpr26
                                        ; implicit-def: $vgpr27
                                        ; implicit-def: $vgpr28
                                        ; implicit-def: $vgpr29
                                        ; implicit-def: $vgpr30
                                        ; implicit-def: $vgpr31
                                        ; implicit-def: $vgpr32
                                        ; implicit-def: $vgpr33
                                        ; implicit-def: $vgpr20
                                        ; implicit-def: $vgpr34
                                        ; implicit-def: $vgpr21
                                        ; implicit-def: $vgpr35
                                        ; implicit-def: $sgpr73
	s_and_b64 vcc, exec, s[2:3]
	v_lshlrev_b32_e32 v36, 1, v0
	s_cbranch_vccz .LBB662_122
.LBB662_117:
	v_mov_b32_e32 v1, s67
	v_add_co_u32_e32 v2, vcc, s66, v36
	v_addc_co_u32_e32 v3, vcc, 0, v1, vcc
	v_add_co_u32_e32 v4, vcc, 0x1000, v2
	v_addc_co_u32_e32 v5, vcc, 0, v3, vcc
	flat_load_ushort v1, v[2:3]
	flat_load_ushort v6, v[2:3] offset:512
	flat_load_ushort v7, v[2:3] offset:1024
	flat_load_ushort v8, v[2:3] offset:1536
	flat_load_ushort v9, v[2:3] offset:2048
	flat_load_ushort v10, v[2:3] offset:2560
	flat_load_ushort v11, v[2:3] offset:3072
	flat_load_ushort v12, v[2:3] offset:3584
	v_add_co_u32_e32 v2, vcc, 0x2000, v2
	v_addc_co_u32_e32 v3, vcc, 0, v3, vcc
	flat_load_ushort v13, v[4:5]
	flat_load_ushort v14, v[4:5] offset:512
	flat_load_ushort v15, v[4:5] offset:1024
	;; [unrolled: 1-line block ×7, first 2 shown]
	s_nop 0
	flat_load_ushort v4, v[2:3]
	flat_load_ushort v5, v[2:3] offset:512
	flat_load_ushort v21, v[2:3] offset:1024
	;; [unrolled: 1-line block ×5, first 2 shown]
	v_mov_b32_e32 v2, s66
	v_mov_b32_e32 v3, s67
	v_add_co_u32_e32 v2, vcc, 0x2000, v2
	v_addc_co_u32_e32 v3, vcc, 0, v3, vcc
	s_movk_i32 s2, 0xffd6
	s_movk_i32 s5, 0x1000
	;; [unrolled: 1-line block ×3, first 2 shown]
	s_waitcnt vmcnt(0) lgkmcnt(0)
	ds_write_b16 v36, v1
	ds_write_b16 v36, v6 offset:512
	ds_write_b16 v36, v7 offset:1024
	;; [unrolled: 1-line block ×21, first 2 shown]
	s_waitcnt lgkmcnt(0)
	s_barrier
	flat_load_ushort v37, v[2:3] offset:3072
	v_mad_u32_u24 v1, v0, 42, v36
	v_mad_i32_i24 v2, v0, s2, v1
	s_movk_i32 s2, 0xff
	v_cmp_ne_u32_e32 vcc, s2, v0
	ds_read2_b32 v[18:19], v1 offset1:1
	ds_read2_b32 v[16:17], v1 offset0:2 offset1:3
	ds_read2_b32 v[14:15], v1 offset0:4 offset1:5
	;; [unrolled: 1-line block ×4, first 2 shown]
	ds_read_b32 v38, v1 offset:40
	s_waitcnt lgkmcnt(0)
	ds_write_b16 v2, v18 offset:11776
	s_waitcnt lgkmcnt(0)
	s_barrier
	s_and_saveexec_b64 s[2:3], vcc
	s_cbranch_execz .LBB662_119
; %bb.118:
	s_waitcnt vmcnt(0)
	ds_read_u16 v37, v36 offset:11778
.LBB662_119:
	s_or_b64 exec, exec, s[2:3]
	v_mov_b32_e32 v3, s72
	v_add_co_u32_e32 v2, vcc, s55, v36
	v_addc_co_u32_e32 v3, vcc, 0, v3, vcc
	v_add_co_u32_e32 v4, vcc, s5, v2
	v_addc_co_u32_e32 v5, vcc, 0, v3, vcc
	s_waitcnt lgkmcnt(0)
	s_barrier
	flat_load_ushort v6, v[2:3]
	flat_load_ushort v7, v[2:3] offset:512
	flat_load_ushort v8, v[2:3] offset:1024
	;; [unrolled: 1-line block ×7, first 2 shown]
	v_add_co_u32_e32 v2, vcc, s4, v2
	v_addc_co_u32_e32 v3, vcc, 0, v3, vcc
	flat_load_ushort v24, v[4:5]
	flat_load_ushort v25, v[4:5] offset:512
	flat_load_ushort v26, v[4:5] offset:1024
	;; [unrolled: 1-line block ×7, first 2 shown]
	s_nop 0
	flat_load_ushort v4, v[2:3]
	flat_load_ushort v5, v[2:3] offset:512
	flat_load_ushort v32, v[2:3] offset:1024
	;; [unrolled: 1-line block ×5, first 2 shown]
	v_cmp_eq_u16_sdwa s[4:5], v18, v18 src0_sel:DWORD src1_sel:WORD_1
	s_waitcnt vmcnt(0) lgkmcnt(0)
	ds_write_b16 v36, v6
	ds_write_b16 v36, v7 offset:512
	ds_write_b16 v36, v8 offset:1024
	;; [unrolled: 1-line block ×21, first 2 shown]
	s_waitcnt lgkmcnt(0)
	s_barrier
	ds_read_b128 v[6:9], v1 offset:2
	ds_read_b128 v[2:5], v1 offset:18
	ds_read_b64 v[20:21], v1 offset:34
	ds_read_u16 v39, v1 offset:42
	v_mov_b32_e32 v22, 0x10000
	v_mov_b32_e32 v23, s7
	s_and_saveexec_b64 s[2:3], s[4:5]
	s_cbranch_execz .LBB662_121
; %bb.120:
	ds_read_u16 v23, v1
	v_mov_b32_e32 v22, 0
.LBB662_121:
	s_or_b64 exec, exec, s[2:3]
	v_mov_b32_e32 v40, s7
	v_cmp_eq_u16_sdwa vcc, v18, v19 src0_sel:WORD_1 src1_sel:DWORD
	s_waitcnt lgkmcnt(3)
	v_lshrrev_b32_e32 v24, 16, v6
	v_cndmask_b32_e32 v6, v40, v6, vcc
	v_cmp_ne_u16_sdwa s[2:3], v18, v19 src0_sel:WORD_1 src1_sel:DWORD
	v_and_b32_e32 v6, 0xffff, v6
	v_cndmask_b32_e64 v18, 0, 1, s[2:3]
	v_cmp_eq_u16_sdwa vcc, v19, v19 src0_sel:DWORD src1_sel:WORD_1
	v_lshl_or_b32 v18, v18, 16, v6
	v_cndmask_b32_e32 v6, v40, v24, vcc
	v_cmp_ne_u16_sdwa s[2:3], v19, v19 src0_sel:DWORD src1_sel:WORD_1
	s_waitcnt lgkmcnt(0)
	v_or_b32_sdwa v1, v22, v23 dst_sel:DWORD dst_unused:UNUSED_PAD src0_sel:DWORD src1_sel:WORD_0
	v_and_b32_e32 v6, 0xffff, v6
	v_cndmask_b32_e64 v22, 0, 1, s[2:3]
	v_cmp_eq_u16_sdwa vcc, v19, v16 src0_sel:WORD_1 src1_sel:DWORD
	v_lshl_or_b32 v22, v22, 16, v6
	v_cndmask_b32_e32 v6, v40, v7, vcc
	v_cmp_ne_u16_sdwa s[2:3], v19, v16 src0_sel:WORD_1 src1_sel:DWORD
	v_lshrrev_b32_e32 v25, 16, v7
	v_and_b32_e32 v6, 0xffff, v6
	v_cndmask_b32_e64 v7, 0, 1, s[2:3]
	v_cmp_eq_u16_sdwa vcc, v16, v16 src0_sel:DWORD src1_sel:WORD_1
	v_lshl_or_b32 v19, v7, 16, v6
	v_cndmask_b32_e32 v6, v40, v25, vcc
	v_cmp_ne_u16_sdwa s[2:3], v16, v16 src0_sel:DWORD src1_sel:WORD_1
	v_and_b32_e32 v6, 0xffff, v6
	v_cndmask_b32_e64 v7, 0, 1, s[2:3]
	v_cmp_eq_u16_sdwa vcc, v16, v17 src0_sel:WORD_1 src1_sel:DWORD
	v_lshl_or_b32 v23, v7, 16, v6
	v_cndmask_b32_e32 v6, v40, v8, vcc
	v_cmp_ne_u16_sdwa s[2:3], v16, v17 src0_sel:WORD_1 src1_sel:DWORD
	v_lshrrev_b32_e32 v26, 16, v8
	v_and_b32_e32 v6, 0xffff, v6
	v_cndmask_b32_e64 v7, 0, 1, s[2:3]
	v_cmp_eq_u16_sdwa vcc, v17, v17 src0_sel:DWORD src1_sel:WORD_1
	v_lshl_or_b32 v16, v7, 16, v6
	v_cndmask_b32_e32 v6, v40, v26, vcc
	v_cmp_ne_u16_sdwa s[2:3], v17, v17 src0_sel:DWORD src1_sel:WORD_1
	;; [unrolled: 13-line block ×3, first 2 shown]
	v_cmp_eq_u16_sdwa vcc, v14, v15 src0_sel:WORD_1 src1_sel:DWORD
	v_lshrrev_b32_e32 v28, 16, v2
	v_and_b32_e32 v6, 0xffff, v6
	v_cndmask_b32_e64 v7, 0, 1, s[2:3]
	v_cndmask_b32_e32 v2, v40, v2, vcc
	v_cmp_ne_u16_sdwa s[2:3], v14, v15 src0_sel:WORD_1 src1_sel:DWORD
	v_lshl_or_b32 v25, v7, 16, v6
	v_and_b32_e32 v2, 0xffff, v2
	v_cndmask_b32_e64 v6, 0, 1, s[2:3]
	v_cmp_eq_u16_sdwa vcc, v15, v15 src0_sel:DWORD src1_sel:WORD_1
	v_lshl_or_b32 v26, v6, 16, v2
	v_cndmask_b32_e32 v2, v40, v28, vcc
	v_cmp_ne_u16_sdwa s[2:3], v15, v15 src0_sel:DWORD src1_sel:WORD_1
	v_and_b32_e32 v2, 0xffff, v2
	v_cndmask_b32_e64 v6, 0, 1, s[2:3]
	v_cmp_eq_u16_sdwa vcc, v15, v12 src0_sel:WORD_1 src1_sel:DWORD
	v_lshl_or_b32 v27, v6, 16, v2
	v_cndmask_b32_e32 v2, v40, v3, vcc
	v_cmp_ne_u16_sdwa s[2:3], v15, v12 src0_sel:WORD_1 src1_sel:DWORD
	v_lshrrev_b32_e32 v29, 16, v3
	v_and_b32_e32 v2, 0xffff, v2
	v_cndmask_b32_e64 v3, 0, 1, s[2:3]
	v_cmp_eq_u16_sdwa vcc, v12, v12 src0_sel:DWORD src1_sel:WORD_1
	v_lshl_or_b32 v28, v3, 16, v2
	v_cndmask_b32_e32 v2, v40, v29, vcc
	v_cmp_ne_u16_sdwa s[2:3], v12, v12 src0_sel:DWORD src1_sel:WORD_1
	v_and_b32_e32 v2, 0xffff, v2
	v_cndmask_b32_e64 v3, 0, 1, s[2:3]
	v_cmp_eq_u16_sdwa vcc, v12, v13 src0_sel:WORD_1 src1_sel:DWORD
	v_lshl_or_b32 v29, v3, 16, v2
	v_cndmask_b32_e32 v2, v40, v4, vcc
	v_cmp_ne_u16_sdwa s[2:3], v12, v13 src0_sel:WORD_1 src1_sel:DWORD
	v_lshrrev_b32_e32 v31, 16, v4
	;; [unrolled: 13-line block ×5, first 2 shown]
	v_and_b32_e32 v2, 0xffff, v2
	v_cndmask_b32_e64 v3, 0, 1, s[2:3]
	v_cmp_eq_u16_sdwa vcc, v38, v38 src0_sel:DWORD src1_sel:WORD_1
	v_lshl_or_b32 v21, v3, 16, v2
	v_cndmask_b32_e32 v2, v40, v35, vcc
	v_cmp_ne_u16_sdwa s[2:3], v38, v38 src0_sel:DWORD src1_sel:WORD_1
	v_and_b32_e32 v2, 0xffff, v2
	v_cndmask_b32_e64 v3, 0, 1, s[2:3]
	v_cmp_ne_u16_sdwa s[8:9], v38, v37 src0_sel:WORD_1 src1_sel:DWORD
	v_lshl_or_b32 v35, v3, 16, v2
	v_cndmask_b32_e64 v37, v39, v40, s[8:9]
	s_mov_b64 s[10:11], -1
                                        ; implicit-def: $sgpr73
.LBB662_122:
	v_mov_b32_e32 v12, s73
	s_and_saveexec_b64 s[2:3], s[10:11]
; %bb.123:
	v_mov_b32_e32 v2, 0x10000
	v_cndmask_b32_e64 v2, 0, v2, s[8:9]
	v_or_b32_sdwa v12, v2, v37 dst_sel:DWORD dst_unused:UNUSED_PAD src0_sel:DWORD src1_sel:WORD_0
; %bb.124:
	s_or_b64 exec, exec, s[2:3]
	v_or3_b32 v2, v12, v35, v21
	s_cmp_lg_u32 s6, 0
	v_or3_b32 v15, v2, v34, v20
	v_lshrrev_b32_e32 v13, 16, v1
	v_lshrrev_b32_e32 v14, 5, v0
	v_cmp_gt_u32_e32 vcc, 64, v0
	s_barrier
	s_cbranch_scc0 .LBB662_209
; %bb.125:
	s_mov_b32 s44, 0x10000
	v_cmp_gt_u32_e64 s[2:3], s44, v18
	v_cndmask_b32_e64 v2, 0, v1, s[2:3]
	v_add_u16_e32 v2, v2, v18
	v_cmp_gt_u32_e64 s[4:5], s44, v22
	v_cndmask_b32_e64 v2, 0, v2, s[4:5]
	v_add_u16_e32 v2, v2, v22
	;; [unrolled: 3-line block ×21, first 2 shown]
	v_or3_b32 v2, v15, v33, v32
	v_or3_b32 v2, v2, v31, v30
	;; [unrolled: 1-line block ×8, first 2 shown]
	v_and_b32_e32 v2, 0x10000, v2
	v_cmp_ne_u32_e64 s[44:45], 0, v2
	v_mov_b32_e32 v5, 0x10000
	v_cndmask_b32_e64 v38, v13, 1, s[44:45]
	v_add_lshl_u32 v2, v14, v0, 2
	ds_write_b16 v2, v37
	ds_write_b8 v2, v38 offset:2
	s_waitcnt lgkmcnt(0)
	s_barrier
	s_and_saveexec_b64 s[46:47], vcc
	s_cbranch_execz .LBB662_139
; %bb.126:
	v_lshlrev_b32_e32 v2, 2, v0
	v_lshrrev_b32_e32 v3, 3, v0
	v_add_lshl_u32 v2, v3, v2, 2
	ds_read_b32 v3, v2
	ds_read_u16 v4, v2 offset:4
	ds_read_u8 v6, v2 offset:6
	ds_read_u16 v7, v2 offset:8
	ds_read_u8 v8, v2 offset:10
	;; [unrolled: 2-line block ×3, first 2 shown]
	v_mov_b32_e32 v11, 0
	s_waitcnt lgkmcnt(4)
	v_cmp_eq_u16_sdwa s[44:45], v6, v11 src0_sel:BYTE_0 src1_sel:DWORD
	v_cndmask_b32_e64 v39, 0, v3, s[44:45]
	v_add_u16_e32 v39, v39, v4
	s_waitcnt lgkmcnt(2)
	v_cmp_eq_u16_sdwa s[44:45], v8, v11 src0_sel:BYTE_0 src1_sel:DWORD
	s_waitcnt lgkmcnt(0)
	v_or_b32_e32 v8, v10, v8
	v_cndmask_b32_e64 v11, 0, v39, s[44:45]
	v_or_b32_e32 v6, v8, v6
	v_add_u16_e32 v7, v11, v7
	v_cmp_eq_u16_e64 s[44:45], 0, v10
	v_and_b32_e32 v6, 1, v6
	v_and_b32_e32 v4, 0x10000, v3
	v_cndmask_b32_e64 v11, 0, v7, s[44:45]
	v_cmp_eq_u32_e64 s[44:45], 1, v6
	v_mbcnt_lo_u32_b32 v6, -1, 0
	v_add_u16_e32 v7, v11, v9
	v_cndmask_b32_e64 v39, v4, v5, s[44:45]
	v_add_u16_e32 v9, v11, v9
	v_and_b32_e32 v5, 0xff000000, v3
	v_mbcnt_hi_u32_b32 v6, -1, v6
	v_or_b32_e32 v10, v39, v5
	v_and_b32_e32 v11, 15, v6
	v_or3_b32 v9, v5, v9, v39
	s_movk_i32 s55, 0xff
	v_lshrrev_b32_e32 v8, 16, v10
	v_mov_b32_dpp v39, v9 row_shr:1 row_mask:0xf bank_mask:0xf
	v_cmp_ne_u32_e64 s[44:45], 0, v11
	s_and_saveexec_b64 s[56:57], s[44:45]
	s_cbranch_execz .LBB662_128
; %bb.127:
	v_and_b32_sdwa v8, v10, s55 dst_sel:DWORD dst_unused:UNUSED_PAD src0_sel:WORD_1 src1_sel:DWORD
	v_cmp_eq_u16_e64 s[44:45], 0, v8
	v_and_b32_e32 v8, 0x10000, v10
	v_mov_b32_e32 v10, 1
	v_cndmask_b32_e64 v9, 0, v39, s[44:45]
	v_and_b32_sdwa v10, v39, v10 dst_sel:DWORD dst_unused:UNUSED_PAD src0_sel:WORD_1 src1_sel:DWORD
	v_cmp_ne_u32_e64 s[44:45], 0, v8
	v_cndmask_b32_e64 v8, v10, 1, s[44:45]
	v_add_u16_e32 v40, v9, v7
	v_lshlrev_b32_e32 v10, 16, v8
	v_add_u16_e32 v7, v9, v7
	v_or3_b32 v9, v10, v7, v5
	v_mov_b32_e32 v7, v40
.LBB662_128:
	s_or_b64 exec, exec, s[56:57]
	v_lshrrev_b32_e32 v10, 16, v9
	v_mov_b32_dpp v39, v9 row_shr:2 row_mask:0xf bank_mask:0xf
	v_cmp_lt_u32_e64 s[44:45], 1, v11
	s_and_saveexec_b64 s[56:57], s[44:45]
	s_cbranch_execz .LBB662_130
; %bb.129:
	v_mov_b32_e32 v8, 0
	v_cmp_eq_u16_sdwa s[44:45], v10, v8 src0_sel:BYTE_0 src1_sel:DWORD
	v_and_b32_e32 v8, 0x10000, v9
	v_mov_b32_e32 v9, 1
	v_cndmask_b32_e64 v10, 0, v39, s[44:45]
	v_and_b32_sdwa v9, v39, v9 dst_sel:DWORD dst_unused:UNUSED_PAD src0_sel:WORD_1 src1_sel:DWORD
	v_cmp_ne_u32_e64 s[44:45], 0, v8
	v_cndmask_b32_e64 v8, v9, 1, s[44:45]
	v_add_u16_e32 v40, v10, v7
	v_lshlrev_b32_e32 v9, 16, v8
	v_add_u16_e32 v7, v10, v7
	v_or3_b32 v9, v9, v7, v5
	v_mov_b32_e32 v10, v8
	v_mov_b32_e32 v7, v40
.LBB662_130:
	s_or_b64 exec, exec, s[56:57]
	v_mov_b32_dpp v39, v9 row_shr:4 row_mask:0xf bank_mask:0xf
	v_cmp_lt_u32_e64 s[44:45], 3, v11
	s_and_saveexec_b64 s[56:57], s[44:45]
	s_cbranch_execz .LBB662_132
; %bb.131:
	v_mov_b32_e32 v8, 0
	v_cmp_eq_u16_sdwa s[44:45], v10, v8 src0_sel:BYTE_0 src1_sel:DWORD
	v_and_b32_e32 v8, 1, v10
	v_mov_b32_e32 v10, 1
	v_cndmask_b32_e64 v9, 0, v39, s[44:45]
	v_and_b32_sdwa v10, v39, v10 dst_sel:DWORD dst_unused:UNUSED_PAD src0_sel:WORD_1 src1_sel:DWORD
	v_cmp_eq_u32_e64 s[44:45], 1, v8
	v_cndmask_b32_e64 v8, v10, 1, s[44:45]
	v_add_u16_e32 v40, v9, v7
	v_lshlrev_b32_e32 v10, 16, v8
	v_add_u16_e32 v7, v9, v7
	v_or3_b32 v9, v10, v7, v5
	v_mov_b32_e32 v10, v8
	v_mov_b32_e32 v7, v40
.LBB662_132:
	s_or_b64 exec, exec, s[56:57]
	v_mov_b32_dpp v39, v9 row_shr:8 row_mask:0xf bank_mask:0xf
	v_cmp_lt_u32_e64 s[44:45], 7, v11
	s_and_saveexec_b64 s[56:57], s[44:45]
	s_cbranch_execz .LBB662_134
; %bb.133:
	v_mov_b32_e32 v8, 0
	v_cmp_eq_u16_sdwa s[44:45], v10, v8 src0_sel:BYTE_0 src1_sel:DWORD
	v_and_b32_e32 v8, 1, v10
	v_mov_b32_e32 v10, 1
	v_cndmask_b32_e64 v9, 0, v39, s[44:45]
	v_and_b32_sdwa v10, v39, v10 dst_sel:DWORD dst_unused:UNUSED_PAD src0_sel:WORD_1 src1_sel:DWORD
	v_cmp_eq_u32_e64 s[44:45], 1, v8
	v_cndmask_b32_e64 v8, v10, 1, s[44:45]
	v_add_u16_e32 v11, v9, v7
	v_lshlrev_b32_e32 v10, 16, v8
	v_add_u16_e32 v7, v9, v7
	v_or3_b32 v9, v10, v7, v5
	v_mov_b32_e32 v10, v8
	v_mov_b32_e32 v7, v11
.LBB662_134:
	s_or_b64 exec, exec, s[56:57]
	v_and_b32_e32 v39, 16, v6
	v_mov_b32_dpp v11, v9 row_bcast:15 row_mask:0xf bank_mask:0xf
	v_cmp_ne_u32_e64 s[44:45], 0, v39
	s_and_saveexec_b64 s[56:57], s[44:45]
	s_cbranch_execz .LBB662_136
; %bb.135:
	v_mov_b32_e32 v8, 0
	v_cmp_eq_u16_sdwa s[44:45], v10, v8 src0_sel:BYTE_0 src1_sel:DWORD
	v_and_b32_e32 v8, 1, v10
	v_mov_b32_e32 v10, 1
	v_cndmask_b32_e64 v9, 0, v11, s[44:45]
	v_and_b32_sdwa v10, v11, v10 dst_sel:DWORD dst_unused:UNUSED_PAD src0_sel:WORD_1 src1_sel:DWORD
	v_cmp_eq_u32_e64 s[44:45], 1, v8
	v_cndmask_b32_e64 v8, v10, 1, s[44:45]
	v_add_u16_e32 v39, v9, v7
	v_lshlrev_b32_e32 v10, 16, v8
	v_add_u16_e32 v7, v9, v7
	v_or3_b32 v9, v10, v7, v5
	v_mov_b32_e32 v10, v8
	v_mov_b32_e32 v7, v39
.LBB662_136:
	s_or_b64 exec, exec, s[56:57]
	v_mov_b32_dpp v9, v9 row_bcast:31 row_mask:0xf bank_mask:0xf
	v_cmp_lt_u32_e64 s[44:45], 31, v6
	s_and_saveexec_b64 s[56:57], s[44:45]
; %bb.137:
	v_mov_b32_e32 v8, 0
	v_cmp_eq_u16_sdwa s[44:45], v10, v8 src0_sel:BYTE_0 src1_sel:DWORD
	v_cndmask_b32_e64 v8, 0, v9, s[44:45]
	v_add_u16_e32 v7, v8, v7
	v_and_b32_e32 v8, 1, v10
	v_mov_b32_e32 v10, 1
	v_and_b32_sdwa v9, v9, v10 dst_sel:DWORD dst_unused:UNUSED_PAD src0_sel:WORD_1 src1_sel:DWORD
	v_cmp_eq_u32_e64 s[44:45], 1, v8
	v_cndmask_b32_e64 v8, v9, 1, s[44:45]
; %bb.138:
	s_or_b64 exec, exec, s[56:57]
	v_and_b32_e32 v8, 0xff, v8
	v_lshlrev_b32_e32 v8, 16, v8
	v_and_b32_e32 v7, 0xffff, v7
	v_or3_b32 v5, v8, v7, v5
	v_add_u32_e32 v7, -1, v6
	v_and_b32_e32 v8, 64, v6
	v_cmp_lt_i32_e64 s[44:45], v7, v8
	v_cndmask_b32_e64 v6, v7, v6, s[44:45]
	v_lshlrev_b32_e32 v6, 2, v6
	ds_bpermute_b32 v5, v6, v5
	v_and_b32_e32 v6, 0xff0000, v3
	v_cmp_eq_u32_e64 s[44:45], 0, v6
	; wave barrier
	s_waitcnt lgkmcnt(0)
	v_cndmask_b32_e64 v6, 0, v5, s[44:45]
	v_add_u16_e32 v3, v6, v3
	v_mov_b32_e32 v6, 1
	v_and_b32_sdwa v5, v5, v6 dst_sel:DWORD dst_unused:UNUSED_PAD src0_sel:WORD_1 src1_sel:DWORD
	v_cmp_eq_u32_e64 s[44:45], 0, v4
	v_cndmask_b32_e64 v4, 1, v5, s[44:45]
	v_cmp_eq_u32_e64 s[44:45], 0, v0
	v_cndmask_b32_e64 v3, v3, v37, s[44:45]
	v_cndmask_b32_e64 v4, v4, v38, s[44:45]
	ds_write_b16 v2, v3
	ds_write_b8 v2, v4 offset:2
	; wave barrier
	ds_read_u16 v5, v2 offset:4
	ds_read_u8 v6, v2 offset:6
	ds_read_u16 v7, v2 offset:8
	ds_read_u8 v8, v2 offset:10
	ds_read_u16 v9, v2 offset:12
	ds_read_u8 v10, v2 offset:14
	s_waitcnt lgkmcnt(4)
	v_cmp_eq_u16_e64 s[44:45], 0, v6
	v_cndmask_b32_e64 v3, 0, v3, s[44:45]
	v_add_u16_e32 v3, v3, v5
	v_and_b32_e32 v5, 1, v6
	v_cmp_eq_u32_e64 s[44:45], 1, v5
	v_cndmask_b32_e64 v4, v4, 1, s[44:45]
	s_waitcnt lgkmcnt(2)
	v_cmp_eq_u16_e64 s[44:45], 0, v8
	v_and_b32_e32 v5, 1, v8
	ds_write_b16 v2, v3 offset:4
	ds_write_b8 v2, v4 offset:6
	v_cndmask_b32_e64 v3, 0, v3, s[44:45]
	v_cmp_eq_u32_e64 s[44:45], 1, v5
	v_add_u16_e32 v3, v3, v7
	v_cndmask_b32_e64 v4, v4, 1, s[44:45]
	s_waitcnt lgkmcnt(2)
	v_cmp_eq_u16_e64 s[44:45], 0, v10
	ds_write_b16 v2, v3 offset:8
	ds_write_b8 v2, v4 offset:10
	v_cndmask_b32_e64 v3, 0, v3, s[44:45]
	v_and_b32_e32 v5, 1, v10
	v_add_u16_e32 v3, v3, v9
	v_cmp_eq_u32_e64 s[44:45], 1, v5
	v_cndmask_b32_e64 v4, v4, 1, s[44:45]
	ds_write_b16 v2, v3 offset:12
	ds_write_b8 v2, v4 offset:14
.LBB662_139:
	s_or_b64 exec, exec, s[46:47]
	v_cmp_eq_u32_e64 s[44:45], 0, v0
	v_cmp_ne_u32_e64 s[46:47], 0, v0
	s_waitcnt lgkmcnt(0)
	s_barrier
	s_and_saveexec_b64 s[56:57], s[46:47]
	s_cbranch_execz .LBB662_141
; %bb.140:
	v_add_u32_e32 v2, -1, v0
	v_lshrrev_b32_e32 v3, 5, v2
	v_add_lshl_u32 v2, v3, v2, 2
	ds_read_u16 v37, v2
	ds_read_u8 v38, v2 offset:2
.LBB662_141:
	s_or_b64 exec, exec, s[56:57]
	s_and_saveexec_b64 s[56:57], vcc
	s_cbranch_execz .LBB662_188
; %bb.142:
	v_mov_b32_e32 v11, 0
	ds_read_b32 v2, v11 offset:1048
	v_mbcnt_lo_u32_b32 v3, -1, 0
	v_mbcnt_hi_u32_b32 v5, -1, v3
	s_mov_b32 s69, 0
	v_cmp_eq_u32_e64 s[46:47], 0, v5
	s_and_saveexec_b64 s[66:67], s[46:47]
	s_cbranch_execz .LBB662_144
; %bb.143:
	s_add_i32 s68, s6, 64
	s_lshl_b64 s[68:69], s[68:69], 3
	s_add_u32 s68, s52, s68
	v_mov_b32_e32 v3, 1
	s_addc_u32 s69, s53, s69
	s_waitcnt lgkmcnt(0)
	global_store_dwordx2 v11, v[2:3], s[68:69]
.LBB662_144:
	s_or_b64 exec, exec, s[66:67]
	v_xad_u32 v4, v5, -1, s6
	v_add_u32_e32 v10, 64, v4
	v_lshlrev_b64 v[6:7], 3, v[10:11]
	v_mov_b32_e32 v3, s53
	v_add_co_u32_e32 v6, vcc, s52, v6
	v_addc_co_u32_e32 v7, vcc, v3, v7, vcc
	global_load_dwordx2 v[8:9], v[6:7], off glc
	s_waitcnt vmcnt(0)
	v_cmp_eq_u16_sdwa s[68:69], v9, v11 src0_sel:BYTE_0 src1_sel:DWORD
	s_and_saveexec_b64 s[66:67], s[68:69]
	s_cbranch_execz .LBB662_150
; %bb.145:
	s_mov_b32 s55, 1
	s_mov_b64 s[68:69], 0
	v_mov_b32_e32 v3, 0
.LBB662_146:                            ; =>This Loop Header: Depth=1
                                        ;     Child Loop BB662_147 Depth 2
	s_max_u32 s70, s55, 1
.LBB662_147:                            ;   Parent Loop BB662_146 Depth=1
                                        ; =>  This Inner Loop Header: Depth=2
	s_add_i32 s70, s70, -1
	s_cmp_eq_u32 s70, 0
	s_sleep 1
	s_cbranch_scc0 .LBB662_147
; %bb.148:                              ;   in Loop: Header=BB662_146 Depth=1
	global_load_dwordx2 v[8:9], v[6:7], off glc
	s_cmp_lt_u32 s55, 32
	s_cselect_b64 s[70:71], -1, 0
	s_cmp_lg_u64 s[70:71], 0
	s_addc_u32 s55, s55, 0
	s_waitcnt vmcnt(0)
	v_cmp_ne_u16_sdwa s[70:71], v9, v3 src0_sel:BYTE_0 src1_sel:DWORD
	s_or_b64 s[68:69], s[70:71], s[68:69]
	s_andn2_b64 exec, exec, s[68:69]
	s_cbranch_execnz .LBB662_146
; %bb.149:
	s_or_b64 exec, exec, s[68:69]
.LBB662_150:
	s_or_b64 exec, exec, s[66:67]
	v_mov_b32_e32 v3, 2
	v_cmp_eq_u16_sdwa s[66:67], v9, v3 src0_sel:BYTE_0 src1_sel:DWORD
	v_lshlrev_b64 v[6:7], v5, -1
	v_and_b32_e32 v3, s67, v7
	v_or_b32_e32 v3, 0x80000000, v3
	v_ffbl_b32_e32 v3, v3
	v_add_u32_e32 v11, 32, v3
	v_and_b32_e32 v3, 63, v5
	v_cmp_ne_u32_e32 vcc, 63, v3
	v_addc_co_u32_e32 v39, vcc, 0, v5, vcc
	v_and_b32_e32 v50, 0xffffff, v8
	v_lshlrev_b32_e32 v39, 2, v39
	ds_bpermute_b32 v40, v39, v50
	v_and_b32_e32 v10, s66, v6
	v_ffbl_b32_e32 v10, v10
	v_min_u32_e32 v11, v10, v11
	v_lshrrev_b32_e32 v10, 16, v8
	v_cmp_lt_u32_e32 vcc, v3, v11
	v_bfe_u32 v48, v8, 16, 8
	s_and_saveexec_b64 s[66:67], vcc
	s_cbranch_execz .LBB662_152
; %bb.151:
	v_and_b32_e32 v10, 0xff0000, v8
	v_cmp_eq_u32_e32 vcc, 0, v10
	v_and_b32_e32 v10, 0x10000, v10
	v_mov_b32_e32 v43, 1
	s_waitcnt lgkmcnt(0)
	v_cndmask_b32_e32 v41, 0, v40, vcc
	v_and_b32_sdwa v40, v40, v43 dst_sel:DWORD dst_unused:UNUSED_PAD src0_sel:WORD_1 src1_sel:DWORD
	v_cmp_ne_u32_e32 vcc, 0, v10
	v_cndmask_b32_e64 v10, v40, 1, vcc
	v_add_u16_e32 v42, v41, v8
	v_lshlrev_b32_e32 v40, 16, v10
	v_add_u16_e32 v8, v41, v8
	v_or_b32_e32 v50, v40, v8
	v_mov_b32_e32 v8, v42
	v_mov_b32_e32 v48, v10
.LBB662_152:
	s_or_b64 exec, exec, s[66:67]
	v_cmp_gt_u32_e32 vcc, 62, v3
	s_waitcnt lgkmcnt(0)
	v_cndmask_b32_e64 v40, 0, 1, vcc
	v_lshlrev_b32_e32 v40, 1, v40
	v_add_lshl_u32 v40, v40, v5, 2
	ds_bpermute_b32 v42, v40, v50
	v_add_u32_e32 v41, 2, v3
	v_cmp_le_u32_e32 vcc, v41, v11
	s_and_saveexec_b64 s[66:67], vcc
	s_cbranch_execz .LBB662_154
; %bb.153:
	v_cmp_eq_u16_e32 vcc, 0, v48
	v_and_b32_e32 v10, 1, v48
	v_mov_b32_e32 v45, 1
	s_waitcnt lgkmcnt(0)
	v_cndmask_b32_e32 v43, 0, v42, vcc
	v_and_b32_sdwa v42, v42, v45 dst_sel:DWORD dst_unused:UNUSED_PAD src0_sel:WORD_1 src1_sel:DWORD
	v_cmp_eq_u32_e32 vcc, 1, v10
	v_cndmask_b32_e64 v10, v42, 1, vcc
	v_add_u16_e32 v44, v43, v8
	v_lshlrev_b32_e32 v42, 16, v10
	v_add_u16_e32 v8, v43, v8
	v_or_b32_e32 v50, v42, v8
	v_mov_b32_e32 v8, v44
	v_mov_b32_e32 v48, v10
.LBB662_154:
	s_or_b64 exec, exec, s[66:67]
	v_cmp_gt_u32_e32 vcc, 60, v3
	s_waitcnt lgkmcnt(0)
	v_cndmask_b32_e64 v42, 0, 1, vcc
	v_lshlrev_b32_e32 v42, 2, v42
	v_add_lshl_u32 v42, v42, v5, 2
	ds_bpermute_b32 v44, v42, v50
	v_add_u32_e32 v43, 4, v3
	v_cmp_le_u32_e32 vcc, v43, v11
	s_and_saveexec_b64 s[66:67], vcc
	s_cbranch_execz .LBB662_156
; %bb.155:
	v_cmp_eq_u16_e32 vcc, 0, v48
	v_and_b32_e32 v10, 1, v48
	v_mov_b32_e32 v47, 1
	s_waitcnt lgkmcnt(0)
	v_cndmask_b32_e32 v45, 0, v44, vcc
	v_and_b32_sdwa v44, v44, v47 dst_sel:DWORD dst_unused:UNUSED_PAD src0_sel:WORD_1 src1_sel:DWORD
	v_cmp_eq_u32_e32 vcc, 1, v10
	v_cndmask_b32_e64 v10, v44, 1, vcc
	v_add_u16_e32 v46, v45, v8
	v_lshlrev_b32_e32 v44, 16, v10
	v_add_u16_e32 v8, v45, v8
	v_or_b32_e32 v50, v44, v8
	v_mov_b32_e32 v8, v46
	v_mov_b32_e32 v48, v10
.LBB662_156:
	;; [unrolled: 27-line block ×4, first 2 shown]
	s_or_b64 exec, exec, s[66:67]
	v_cmp_gt_u32_e32 vcc, 32, v3
	s_waitcnt lgkmcnt(0)
	v_cndmask_b32_e64 v49, 0, 1, vcc
	v_lshlrev_b32_e32 v49, 5, v49
	v_add_lshl_u32 v49, v49, v5, 2
	ds_bpermute_b32 v5, v49, v50
	v_add_u32_e32 v50, 32, v3
	v_cmp_le_u32_e32 vcc, v50, v11
	s_and_saveexec_b64 s[66:67], vcc
	s_cbranch_execz .LBB662_162
; %bb.161:
	v_cmp_eq_u16_e32 vcc, 0, v48
	s_waitcnt lgkmcnt(0)
	v_cndmask_b32_e32 v10, 0, v5, vcc
	v_add_u16_e32 v8, v10, v8
	v_and_b32_e32 v10, 1, v48
	v_mov_b32_e32 v11, 1
	v_and_b32_sdwa v5, v5, v11 dst_sel:DWORD dst_unused:UNUSED_PAD src0_sel:WORD_1 src1_sel:DWORD
	v_cmp_eq_u32_e32 vcc, 1, v10
	v_cndmask_b32_e64 v10, v5, 1, vcc
.LBB662_162:
	s_or_b64 exec, exec, s[66:67]
	s_waitcnt lgkmcnt(0)
	v_mov_b32_e32 v5, 0
	v_mov_b32_e32 v52, 2
	;; [unrolled: 1-line block ×3, first 2 shown]
	s_branch .LBB662_164
.LBB662_163:                            ;   in Loop: Header=BB662_164 Depth=1
	s_or_b64 exec, exec, s[66:67]
	v_cmp_eq_u16_sdwa vcc, v48, v5 src0_sel:BYTE_0 src1_sel:DWORD
	v_and_b32_e32 v10, 1, v48
	v_cndmask_b32_e32 v8, 0, v8, vcc
	v_and_b32_e32 v11, 1, v11
	v_cmp_eq_u32_e32 vcc, 1, v10
	v_subrev_u32_e32 v4, 64, v4
	v_add_u16_e32 v8, v8, v51
	v_cndmask_b32_e64 v10, v11, 1, vcc
.LBB662_164:                            ; =>This Loop Header: Depth=1
                                        ;     Child Loop BB662_167 Depth 2
                                        ;       Child Loop BB662_168 Depth 3
	v_cmp_ne_u16_sdwa s[66:67], v9, v52 src0_sel:BYTE_0 src1_sel:DWORD
	v_cndmask_b32_e64 v9, 0, 1, s[66:67]
	;;#ASMSTART
	;;#ASMEND
	v_cmp_ne_u32_e32 vcc, 0, v9
	v_mov_b32_e32 v48, v10
	s_cmp_lg_u64 vcc, exec
	v_mov_b32_e32 v51, v8
	s_cbranch_scc1 .LBB662_183
; %bb.165:                              ;   in Loop: Header=BB662_164 Depth=1
	v_lshlrev_b64 v[8:9], 3, v[4:5]
	v_mov_b32_e32 v11, s53
	v_add_co_u32_e32 v10, vcc, s52, v8
	v_addc_co_u32_e32 v11, vcc, v11, v9, vcc
	global_load_dwordx2 v[8:9], v[10:11], off glc
	s_waitcnt vmcnt(0)
	v_cmp_eq_u16_sdwa s[68:69], v9, v5 src0_sel:BYTE_0 src1_sel:DWORD
	s_and_saveexec_b64 s[66:67], s[68:69]
	s_cbranch_execz .LBB662_171
; %bb.166:                              ;   in Loop: Header=BB662_164 Depth=1
	s_mov_b32 s55, 1
	s_mov_b64 s[68:69], 0
.LBB662_167:                            ;   Parent Loop BB662_164 Depth=1
                                        ; =>  This Loop Header: Depth=2
                                        ;       Child Loop BB662_168 Depth 3
	s_max_u32 s70, s55, 1
.LBB662_168:                            ;   Parent Loop BB662_164 Depth=1
                                        ;     Parent Loop BB662_167 Depth=2
                                        ; =>    This Inner Loop Header: Depth=3
	s_add_i32 s70, s70, -1
	s_cmp_eq_u32 s70, 0
	s_sleep 1
	s_cbranch_scc0 .LBB662_168
; %bb.169:                              ;   in Loop: Header=BB662_167 Depth=2
	global_load_dwordx2 v[8:9], v[10:11], off glc
	s_cmp_lt_u32 s55, 32
	s_cselect_b64 s[70:71], -1, 0
	s_cmp_lg_u64 s[70:71], 0
	s_addc_u32 s55, s55, 0
	s_waitcnt vmcnt(0)
	v_cmp_ne_u16_sdwa s[70:71], v9, v5 src0_sel:BYTE_0 src1_sel:DWORD
	s_or_b64 s[68:69], s[70:71], s[68:69]
	s_andn2_b64 exec, exec, s[68:69]
	s_cbranch_execnz .LBB662_167
; %bb.170:                              ;   in Loop: Header=BB662_164 Depth=1
	s_or_b64 exec, exec, s[68:69]
.LBB662_171:                            ;   in Loop: Header=BB662_164 Depth=1
	s_or_b64 exec, exec, s[66:67]
	v_cmp_eq_u16_sdwa s[66:67], v9, v52 src0_sel:BYTE_0 src1_sel:DWORD
	v_and_b32_e32 v10, s67, v7
	s_waitcnt lgkmcnt(0)
	v_and_b32_e32 v55, 0xffffff, v8
	v_or_b32_e32 v10, 0x80000000, v10
	ds_bpermute_b32 v56, v39, v55
	v_and_b32_e32 v11, s66, v6
	v_ffbl_b32_e32 v10, v10
	v_add_u32_e32 v10, 32, v10
	v_ffbl_b32_e32 v11, v11
	v_min_u32_e32 v10, v11, v10
	v_lshrrev_b32_e32 v11, 16, v8
	v_cmp_lt_u32_e32 vcc, v3, v10
	v_bfe_u32 v54, v8, 16, 8
	s_and_saveexec_b64 s[66:67], vcc
	s_cbranch_execz .LBB662_173
; %bb.172:                              ;   in Loop: Header=BB662_164 Depth=1
	v_and_b32_e32 v11, 0xff0000, v8
	v_cmp_eq_u32_e32 vcc, 0, v11
	v_and_b32_e32 v11, 0x10000, v11
	s_waitcnt lgkmcnt(0)
	v_cndmask_b32_e32 v54, 0, v56, vcc
	v_and_b32_sdwa v55, v56, v53 dst_sel:DWORD dst_unused:UNUSED_PAD src0_sel:WORD_1 src1_sel:DWORD
	v_cmp_ne_u32_e32 vcc, 0, v11
	v_cndmask_b32_e64 v11, v55, 1, vcc
	v_add_u16_e32 v57, v54, v8
	v_lshlrev_b32_e32 v55, 16, v11
	v_add_u16_e32 v8, v54, v8
	v_or_b32_e32 v55, v55, v8
	v_mov_b32_e32 v8, v57
	v_mov_b32_e32 v54, v11
.LBB662_173:                            ;   in Loop: Header=BB662_164 Depth=1
	s_or_b64 exec, exec, s[66:67]
	s_waitcnt lgkmcnt(0)
	ds_bpermute_b32 v56, v40, v55
	v_cmp_le_u32_e32 vcc, v41, v10
	s_and_saveexec_b64 s[66:67], vcc
	s_cbranch_execz .LBB662_175
; %bb.174:                              ;   in Loop: Header=BB662_164 Depth=1
	v_cmp_eq_u16_e32 vcc, 0, v54
	v_and_b32_e32 v11, 1, v54
	s_waitcnt lgkmcnt(0)
	v_cndmask_b32_e32 v55, 0, v56, vcc
	v_and_b32_sdwa v54, v56, v53 dst_sel:DWORD dst_unused:UNUSED_PAD src0_sel:WORD_1 src1_sel:DWORD
	v_cmp_eq_u32_e32 vcc, 1, v11
	v_cndmask_b32_e64 v11, v54, 1, vcc
	v_add_u16_e32 v57, v55, v8
	v_lshlrev_b32_e32 v54, 16, v11
	v_add_u16_e32 v8, v55, v8
	v_or_b32_e32 v55, v54, v8
	v_mov_b32_e32 v8, v57
	v_mov_b32_e32 v54, v11
.LBB662_175:                            ;   in Loop: Header=BB662_164 Depth=1
	s_or_b64 exec, exec, s[66:67]
	s_waitcnt lgkmcnt(0)
	ds_bpermute_b32 v56, v42, v55
	v_cmp_le_u32_e32 vcc, v43, v10
	s_and_saveexec_b64 s[66:67], vcc
	s_cbranch_execz .LBB662_177
; %bb.176:                              ;   in Loop: Header=BB662_164 Depth=1
	v_cmp_eq_u16_e32 vcc, 0, v54
	v_and_b32_e32 v11, 1, v54
	s_waitcnt lgkmcnt(0)
	v_cndmask_b32_e32 v55, 0, v56, vcc
	v_and_b32_sdwa v54, v56, v53 dst_sel:DWORD dst_unused:UNUSED_PAD src0_sel:WORD_1 src1_sel:DWORD
	v_cmp_eq_u32_e32 vcc, 1, v11
	v_cndmask_b32_e64 v11, v54, 1, vcc
	v_add_u16_e32 v57, v55, v8
	v_lshlrev_b32_e32 v54, 16, v11
	v_add_u16_e32 v8, v55, v8
	v_or_b32_e32 v55, v54, v8
	v_mov_b32_e32 v8, v57
	v_mov_b32_e32 v54, v11
.LBB662_177:                            ;   in Loop: Header=BB662_164 Depth=1
	s_or_b64 exec, exec, s[66:67]
	s_waitcnt lgkmcnt(0)
	ds_bpermute_b32 v56, v44, v55
	v_cmp_le_u32_e32 vcc, v45, v10
	s_and_saveexec_b64 s[66:67], vcc
	s_cbranch_execz .LBB662_179
; %bb.178:                              ;   in Loop: Header=BB662_164 Depth=1
	v_cmp_eq_u16_e32 vcc, 0, v54
	v_and_b32_e32 v11, 1, v54
	s_waitcnt lgkmcnt(0)
	v_cndmask_b32_e32 v55, 0, v56, vcc
	v_and_b32_sdwa v54, v56, v53 dst_sel:DWORD dst_unused:UNUSED_PAD src0_sel:WORD_1 src1_sel:DWORD
	v_cmp_eq_u32_e32 vcc, 1, v11
	v_cndmask_b32_e64 v11, v54, 1, vcc
	v_add_u16_e32 v57, v55, v8
	v_lshlrev_b32_e32 v54, 16, v11
	v_add_u16_e32 v8, v55, v8
	v_or_b32_e32 v55, v54, v8
	v_mov_b32_e32 v8, v57
	v_mov_b32_e32 v54, v11
.LBB662_179:                            ;   in Loop: Header=BB662_164 Depth=1
	s_or_b64 exec, exec, s[66:67]
	s_waitcnt lgkmcnt(0)
	ds_bpermute_b32 v56, v46, v55
	v_cmp_le_u32_e32 vcc, v47, v10
	s_and_saveexec_b64 s[66:67], vcc
	s_cbranch_execz .LBB662_181
; %bb.180:                              ;   in Loop: Header=BB662_164 Depth=1
	v_cmp_eq_u16_e32 vcc, 0, v54
	v_and_b32_e32 v11, 1, v54
	s_waitcnt lgkmcnt(0)
	v_cndmask_b32_e32 v55, 0, v56, vcc
	v_and_b32_sdwa v54, v56, v53 dst_sel:DWORD dst_unused:UNUSED_PAD src0_sel:WORD_1 src1_sel:DWORD
	v_cmp_eq_u32_e32 vcc, 1, v11
	v_cndmask_b32_e64 v11, v54, 1, vcc
	v_add_u16_e32 v57, v55, v8
	v_lshlrev_b32_e32 v54, 16, v11
	v_add_u16_e32 v8, v55, v8
	v_or_b32_e32 v55, v54, v8
	v_mov_b32_e32 v8, v57
	v_mov_b32_e32 v54, v11
.LBB662_181:                            ;   in Loop: Header=BB662_164 Depth=1
	s_or_b64 exec, exec, s[66:67]
	ds_bpermute_b32 v55, v49, v55
	v_cmp_le_u32_e32 vcc, v50, v10
	s_and_saveexec_b64 s[66:67], vcc
	s_cbranch_execz .LBB662_163
; %bb.182:                              ;   in Loop: Header=BB662_164 Depth=1
	v_cmp_eq_u16_e32 vcc, 0, v54
	s_waitcnt lgkmcnt(0)
	v_cndmask_b32_e32 v10, 0, v55, vcc
	v_add_u16_e32 v8, v10, v8
	v_and_b32_e32 v10, 1, v54
	v_lshrrev_b32_e32 v11, 16, v55
	v_cmp_eq_u32_e32 vcc, 1, v10
	v_cndmask_b32_e64 v11, v11, 1, vcc
	s_branch .LBB662_163
.LBB662_183:                            ;   in Loop: Header=BB662_164 Depth=1
                                        ; implicit-def: $vgpr10
                                        ; implicit-def: $vgpr8
	s_cbranch_execz .LBB662_164
; %bb.184:
	s_and_saveexec_b64 s[66:67], s[46:47]
	s_cbranch_execz .LBB662_186
; %bb.185:
	v_and_b32_e32 v3, 0xff0000, v2
	s_mov_b32 s47, 0
	v_cmp_eq_u32_e32 vcc, 0, v3
	v_and_b32_e32 v4, 0x10000, v2
	v_mov_b32_e32 v5, 1
	s_add_i32 s46, s6, 64
	v_cndmask_b32_e32 v3, 0, v51, vcc
	v_and_b32_sdwa v5, v48, v5 dst_sel:WORD_1 dst_unused:UNUSED_PAD src0_sel:DWORD src1_sel:DWORD
	v_mov_b32_e32 v6, 0x10000
	v_cmp_eq_u32_e32 vcc, 0, v4
	s_lshl_b64 s[46:47], s[46:47], 3
	v_cndmask_b32_e32 v4, v6, v5, vcc
	s_add_u32 s46, s52, s46
	v_add_u16_e32 v2, v3, v2
	s_addc_u32 s47, s53, s47
	v_mov_b32_e32 v5, 0
	v_or_b32_e32 v2, v4, v2
	v_mov_b32_e32 v3, 2
	global_store_dwordx2 v5, v[2:3], s[46:47]
.LBB662_186:
	s_or_b64 exec, exec, s[66:67]
	s_and_b64 exec, exec, s[44:45]
	s_cbranch_execz .LBB662_188
; %bb.187:
	v_mov_b32_e32 v2, 0
	ds_write_b16 v2, v51
	ds_write_b8 v2, v48 offset:2
.LBB662_188:
	s_or_b64 exec, exec, s[56:57]
	v_mov_b32_e32 v2, 0
	s_waitcnt lgkmcnt(0)
	s_barrier
	ds_read_b32 v3, v2
	v_cmp_eq_u16_sdwa vcc, v38, v2 src0_sel:BYTE_0 src1_sel:DWORD
	s_waitcnt lgkmcnt(0)
	v_cndmask_b32_e32 v2, 0, v3, vcc
	v_add_u16_e32 v2, v2, v37
	v_cndmask_b32_e64 v4, v2, v3, s[44:45]
	v_and_b32_e32 v2, 0xff0000, v1
	v_cmp_eq_u32_e32 vcc, 0, v2
	v_cndmask_b32_e32 v2, 0, v4, vcc
	v_add_u16_e32 v5, v2, v1
	v_cndmask_b32_e64 v2, 0, v5, s[2:3]
	v_add_u16_e32 v6, v2, v18
	v_cndmask_b32_e64 v2, 0, v6, s[4:5]
	;; [unrolled: 2-line block ×20, first 2 shown]
	v_add_u16_e32 v50, v2, v35
	s_branch .LBB662_231
.LBB662_189:
	s_or_b64 exec, exec, s[48:49]
                                        ; implicit-def: $vgpr27
	s_and_saveexec_b64 s[48:49], s[2:3]
	s_cbranch_execz .LBB662_49
.LBB662_190:
	v_mov_b32_e32 v27, s72
	v_add_co_u32_e32 v28, vcc, s55, v18
	v_addc_co_u32_e32 v29, vcc, 0, v27, vcc
	flat_load_ushort v27, v[28:29] offset:512
	s_or_b64 exec, exec, s[48:49]
                                        ; implicit-def: $vgpr28
	s_and_saveexec_b64 s[2:3], s[4:5]
	s_cbranch_execnz .LBB662_50
.LBB662_191:
	s_or_b64 exec, exec, s[2:3]
                                        ; implicit-def: $vgpr29
	s_and_saveexec_b64 s[2:3], s[46:47]
	s_cbranch_execz .LBB662_51
.LBB662_192:
	v_mov_b32_e32 v29, s72
	v_add_co_u32_e32 v30, vcc, s55, v18
	v_addc_co_u32_e32 v31, vcc, 0, v29, vcc
	flat_load_ushort v29, v[30:31] offset:1536
	s_or_b64 exec, exec, s[2:3]
                                        ; implicit-def: $vgpr30
	s_and_saveexec_b64 s[2:3], s[8:9]
	s_cbranch_execnz .LBB662_52
.LBB662_193:
	s_or_b64 exec, exec, s[2:3]
                                        ; implicit-def: $vgpr31
	s_and_saveexec_b64 s[2:3], s[10:11]
	s_cbranch_execz .LBB662_53
.LBB662_194:
	v_mov_b32_e32 v31, s72
	v_add_co_u32_e32 v32, vcc, s55, v18
	v_addc_co_u32_e32 v33, vcc, 0, v31, vcc
	flat_load_ushort v31, v[32:33] offset:2560
	s_or_b64 exec, exec, s[2:3]
                                        ; implicit-def: $vgpr32
	s_and_saveexec_b64 s[2:3], s[12:13]
	s_cbranch_execnz .LBB662_54
.LBB662_195:
	s_or_b64 exec, exec, s[2:3]
                                        ; implicit-def: $vgpr33
	s_and_saveexec_b64 s[2:3], s[14:15]
	s_cbranch_execz .LBB662_55
.LBB662_196:
	v_mov_b32_e32 v33, s72
	v_add_co_u32_e32 v34, vcc, s55, v18
	v_addc_co_u32_e32 v35, vcc, 0, v33, vcc
	flat_load_ushort v33, v[34:35] offset:3584
	s_or_b64 exec, exec, s[2:3]
                                        ; implicit-def: $vgpr34
	s_and_saveexec_b64 s[2:3], s[16:17]
	s_cbranch_execnz .LBB662_56
.LBB662_197:
	s_or_b64 exec, exec, s[2:3]
                                        ; implicit-def: $vgpr1
	s_and_saveexec_b64 s[2:3], s[18:19]
	s_cbranch_execz .LBB662_57
.LBB662_198:
	v_lshlrev_b32_e32 v1, 1, v2
	v_mov_b32_e32 v2, s72
	v_add_co_u32_e32 v40, vcc, s55, v1
	v_addc_co_u32_e32 v41, vcc, 0, v2, vcc
	flat_load_ushort v1, v[40:41]
	s_or_b64 exec, exec, s[2:3]
                                        ; implicit-def: $vgpr2
	s_and_saveexec_b64 s[2:3], s[20:21]
	s_cbranch_execnz .LBB662_58
.LBB662_199:
	s_or_b64 exec, exec, s[2:3]
                                        ; implicit-def: $vgpr3
	s_and_saveexec_b64 s[2:3], s[22:23]
	s_cbranch_execz .LBB662_59
.LBB662_200:
	v_lshlrev_b32_e32 v3, 1, v4
	v_mov_b32_e32 v4, s72
	v_add_co_u32_e32 v40, vcc, s55, v3
	v_addc_co_u32_e32 v41, vcc, 0, v4, vcc
	flat_load_ushort v3, v[40:41]
	s_or_b64 exec, exec, s[2:3]
                                        ; implicit-def: $vgpr4
	s_and_saveexec_b64 s[2:3], s[24:25]
	s_cbranch_execnz .LBB662_60
.LBB662_201:
	s_or_b64 exec, exec, s[2:3]
                                        ; implicit-def: $vgpr5
	s_and_saveexec_b64 s[2:3], s[26:27]
	s_cbranch_execz .LBB662_61
.LBB662_202:
	v_lshlrev_b32_e32 v5, 1, v16
	v_mov_b32_e32 v16, s72
	v_add_co_u32_e32 v40, vcc, s55, v5
	v_addc_co_u32_e32 v41, vcc, 0, v16, vcc
	flat_load_ushort v5, v[40:41]
	s_or_b64 exec, exec, s[2:3]
                                        ; implicit-def: $vgpr16
	s_and_saveexec_b64 s[2:3], s[28:29]
	s_cbranch_execnz .LBB662_62
.LBB662_203:
	s_or_b64 exec, exec, s[2:3]
                                        ; implicit-def: $vgpr17
	s_and_saveexec_b64 s[2:3], s[30:31]
	s_cbranch_execz .LBB662_63
.LBB662_204:
	v_lshlrev_b32_e32 v17, 1, v19
	v_mov_b32_e32 v19, s72
	v_add_co_u32_e32 v40, vcc, s55, v17
	v_addc_co_u32_e32 v41, vcc, 0, v19, vcc
	flat_load_ushort v17, v[40:41]
	s_or_b64 exec, exec, s[2:3]
                                        ; implicit-def: $vgpr19
	s_and_saveexec_b64 s[2:3], s[34:35]
	s_cbranch_execnz .LBB662_64
.LBB662_205:
	s_or_b64 exec, exec, s[2:3]
                                        ; implicit-def: $vgpr20
	s_and_saveexec_b64 s[2:3], s[36:37]
	s_cbranch_execz .LBB662_65
.LBB662_206:
	v_lshlrev_b32_e32 v20, 1, v21
	v_mov_b32_e32 v21, s72
	v_add_co_u32_e32 v20, vcc, s55, v20
	v_addc_co_u32_e32 v21, vcc, 0, v21, vcc
	flat_load_ushort v20, v[20:21]
	s_or_b64 exec, exec, s[2:3]
                                        ; implicit-def: $vgpr21
	s_and_saveexec_b64 s[2:3], s[38:39]
	s_cbranch_execnz .LBB662_66
.LBB662_207:
	s_or_b64 exec, exec, s[2:3]
                                        ; implicit-def: $vgpr22
	s_and_saveexec_b64 s[2:3], s[40:41]
	s_cbranch_execz .LBB662_67
.LBB662_208:
	v_lshlrev_b32_e32 v22, 1, v23
	v_mov_b32_e32 v23, s72
	v_add_co_u32_e32 v22, vcc, s55, v22
	v_addc_co_u32_e32 v23, vcc, 0, v23, vcc
	flat_load_ushort v22, v[22:23]
	s_or_b64 exec, exec, s[2:3]
                                        ; implicit-def: $vgpr23
	s_and_saveexec_b64 s[2:3], s[42:43]
	s_cbranch_execz .LBB662_69
	s_branch .LBB662_68
.LBB662_209:
                                        ; implicit-def: $vgpr4
                                        ; implicit-def: $vgpr5
                                        ; implicit-def: $vgpr6
                                        ; implicit-def: $vgpr7
                                        ; implicit-def: $vgpr8
                                        ; implicit-def: $vgpr9
                                        ; implicit-def: $vgpr10
                                        ; implicit-def: $vgpr11
                                        ; implicit-def: $vgpr37
                                        ; implicit-def: $vgpr38
                                        ; implicit-def: $vgpr39
                                        ; implicit-def: $vgpr40
                                        ; implicit-def: $vgpr41
                                        ; implicit-def: $vgpr42
                                        ; implicit-def: $vgpr43
                                        ; implicit-def: $vgpr44
                                        ; implicit-def: $vgpr45
                                        ; implicit-def: $vgpr46
                                        ; implicit-def: $vgpr47
                                        ; implicit-def: $vgpr48
                                        ; implicit-def: $vgpr49
                                        ; implicit-def: $vgpr50
	s_cbranch_execz .LBB662_231
; %bb.210:
	s_cmp_lg_u64 s[64:65], 0
	s_cselect_b32 s3, s59, 0
	s_cselect_b32 s2, s58, 0
	s_cmp_eq_u64 s[2:3], 0
	v_mov_b32_e32 v2, s7
	s_cbranch_scc1 .LBB662_212
; %bb.211:
	v_mov_b32_e32 v2, 0
	global_load_ushort v2, v2, s[2:3]
.LBB662_212:
	s_mov_b32 s42, 0x10000
	v_cmp_gt_u32_e32 vcc, s42, v18
	v_cndmask_b32_e32 v3, 0, v1, vcc
	v_add_u16_e32 v3, v3, v18
	v_cmp_gt_u32_e64 s[2:3], s42, v22
	v_cndmask_b32_e64 v3, 0, v3, s[2:3]
	v_add_u16_e32 v3, v3, v22
	v_cmp_gt_u32_e64 s[4:5], s42, v19
	v_cndmask_b32_e64 v3, 0, v3, s[4:5]
	;; [unrolled: 3-line block ×20, first 2 shown]
	v_add_u16_e32 v4, v3, v12
	v_or3_b32 v3, v15, v33, v32
	v_or3_b32 v3, v3, v31, v30
	;; [unrolled: 1-line block ×8, first 2 shown]
	v_and_b32_e32 v3, 0x10000, v3
	v_cmp_ne_u32_e64 s[42:43], 0, v3
	v_mov_b32_e32 v8, 0x10000
	v_cndmask_b32_e64 v5, v13, 1, s[42:43]
	v_add_lshl_u32 v3, v14, v0, 2
	v_cmp_gt_u32_e64 s[42:43], 64, v0
	ds_write_b16 v3, v4
	ds_write_b8 v3, v5 offset:2
	s_waitcnt lgkmcnt(0)
	s_barrier
	s_and_saveexec_b64 s[44:45], s[42:43]
	s_cbranch_execz .LBB662_226
; %bb.213:
	v_lshlrev_b32_e32 v3, 2, v0
	v_lshrrev_b32_e32 v6, 3, v0
	v_add_lshl_u32 v3, v6, v3, 2
	ds_read_b32 v6, v3
	ds_read_u16 v7, v3 offset:4
	ds_read_u8 v9, v3 offset:6
	ds_read_u16 v10, v3 offset:8
	ds_read_u8 v11, v3 offset:10
	;; [unrolled: 2-line block ×3, first 2 shown]
	v_mov_b32_e32 v14, 0
	s_waitcnt lgkmcnt(4)
	v_cmp_eq_u16_sdwa s[42:43], v9, v14 src0_sel:BYTE_0 src1_sel:DWORD
	v_cndmask_b32_e64 v15, 0, v6, s[42:43]
	v_add_u16_e32 v15, v15, v7
	s_waitcnt lgkmcnt(2)
	v_cmp_eq_u16_sdwa s[42:43], v11, v14 src0_sel:BYTE_0 src1_sel:DWORD
	s_waitcnt lgkmcnt(0)
	v_or_b32_e32 v11, v13, v11
	v_cndmask_b32_e64 v14, 0, v15, s[42:43]
	v_or_b32_e32 v9, v11, v9
	v_add_u16_e32 v10, v14, v10
	v_cmp_eq_u16_e64 s[42:43], 0, v13
	v_and_b32_e32 v9, 1, v9
	v_and_b32_e32 v7, 0x10000, v6
	v_cndmask_b32_e64 v14, 0, v10, s[42:43]
	v_cmp_eq_u32_e64 s[42:43], 1, v9
	v_mbcnt_lo_u32_b32 v9, -1, 0
	v_add_u16_e32 v10, v14, v12
	v_cndmask_b32_e64 v15, v7, v8, s[42:43]
	v_add_u16_e32 v12, v14, v12
	v_and_b32_e32 v8, 0xff000000, v6
	v_mbcnt_hi_u32_b32 v9, -1, v9
	v_or_b32_e32 v13, v15, v8
	v_and_b32_e32 v14, 15, v9
	v_or3_b32 v12, v8, v12, v15
	s_movk_i32 s48, 0xff
	v_lshrrev_b32_e32 v11, 16, v13
	v_mov_b32_dpp v15, v12 row_shr:1 row_mask:0xf bank_mask:0xf
	v_cmp_ne_u32_e64 s[42:43], 0, v14
	s_and_saveexec_b64 s[46:47], s[42:43]
	s_cbranch_execz .LBB662_215
; %bb.214:
	v_and_b32_sdwa v11, v13, s48 dst_sel:DWORD dst_unused:UNUSED_PAD src0_sel:WORD_1 src1_sel:DWORD
	v_cmp_eq_u16_e64 s[42:43], 0, v11
	v_and_b32_e32 v11, 0x10000, v13
	v_mov_b32_e32 v13, 1
	v_cndmask_b32_e64 v12, 0, v15, s[42:43]
	v_and_b32_sdwa v13, v15, v13 dst_sel:DWORD dst_unused:UNUSED_PAD src0_sel:WORD_1 src1_sel:DWORD
	v_cmp_ne_u32_e64 s[42:43], 0, v11
	v_cndmask_b32_e64 v11, v13, 1, s[42:43]
	v_add_u16_e32 v37, v12, v10
	v_lshlrev_b32_e32 v13, 16, v11
	v_add_u16_e32 v10, v12, v10
	v_or3_b32 v12, v13, v10, v8
	v_mov_b32_e32 v10, v37
.LBB662_215:
	s_or_b64 exec, exec, s[46:47]
	v_lshrrev_b32_e32 v13, 16, v12
	v_mov_b32_dpp v15, v12 row_shr:2 row_mask:0xf bank_mask:0xf
	v_cmp_lt_u32_e64 s[42:43], 1, v14
	s_and_saveexec_b64 s[46:47], s[42:43]
	s_cbranch_execz .LBB662_217
; %bb.216:
	v_mov_b32_e32 v11, 0
	v_cmp_eq_u16_sdwa s[42:43], v13, v11 src0_sel:BYTE_0 src1_sel:DWORD
	v_and_b32_e32 v11, 0x10000, v12
	v_mov_b32_e32 v12, 1
	v_cndmask_b32_e64 v13, 0, v15, s[42:43]
	v_and_b32_sdwa v12, v15, v12 dst_sel:DWORD dst_unused:UNUSED_PAD src0_sel:WORD_1 src1_sel:DWORD
	v_cmp_ne_u32_e64 s[42:43], 0, v11
	v_cndmask_b32_e64 v11, v12, 1, s[42:43]
	v_add_u16_e32 v37, v13, v10
	v_lshlrev_b32_e32 v12, 16, v11
	v_add_u16_e32 v10, v13, v10
	v_or3_b32 v12, v12, v10, v8
	v_mov_b32_e32 v13, v11
	v_mov_b32_e32 v10, v37
.LBB662_217:
	s_or_b64 exec, exec, s[46:47]
	v_mov_b32_dpp v15, v12 row_shr:4 row_mask:0xf bank_mask:0xf
	v_cmp_lt_u32_e64 s[42:43], 3, v14
	s_and_saveexec_b64 s[46:47], s[42:43]
	s_cbranch_execz .LBB662_219
; %bb.218:
	v_mov_b32_e32 v11, 0
	v_cmp_eq_u16_sdwa s[42:43], v13, v11 src0_sel:BYTE_0 src1_sel:DWORD
	v_and_b32_e32 v11, 1, v13
	v_mov_b32_e32 v13, 1
	v_cndmask_b32_e64 v12, 0, v15, s[42:43]
	v_and_b32_sdwa v13, v15, v13 dst_sel:DWORD dst_unused:UNUSED_PAD src0_sel:WORD_1 src1_sel:DWORD
	v_cmp_eq_u32_e64 s[42:43], 1, v11
	v_cndmask_b32_e64 v11, v13, 1, s[42:43]
	v_add_u16_e32 v37, v12, v10
	v_lshlrev_b32_e32 v13, 16, v11
	v_add_u16_e32 v10, v12, v10
	v_or3_b32 v12, v13, v10, v8
	v_mov_b32_e32 v13, v11
	v_mov_b32_e32 v10, v37
.LBB662_219:
	s_or_b64 exec, exec, s[46:47]
	v_mov_b32_dpp v15, v12 row_shr:8 row_mask:0xf bank_mask:0xf
	v_cmp_lt_u32_e64 s[42:43], 7, v14
	s_and_saveexec_b64 s[46:47], s[42:43]
	s_cbranch_execz .LBB662_221
; %bb.220:
	v_mov_b32_e32 v11, 0
	v_cmp_eq_u16_sdwa s[42:43], v13, v11 src0_sel:BYTE_0 src1_sel:DWORD
	v_and_b32_e32 v11, 1, v13
	v_mov_b32_e32 v13, 1
	v_cndmask_b32_e64 v12, 0, v15, s[42:43]
	v_and_b32_sdwa v13, v15, v13 dst_sel:DWORD dst_unused:UNUSED_PAD src0_sel:WORD_1 src1_sel:DWORD
	v_cmp_eq_u32_e64 s[42:43], 1, v11
	v_cndmask_b32_e64 v11, v13, 1, s[42:43]
	v_add_u16_e32 v14, v12, v10
	v_lshlrev_b32_e32 v13, 16, v11
	v_add_u16_e32 v10, v12, v10
	v_or3_b32 v12, v13, v10, v8
	v_mov_b32_e32 v13, v11
	v_mov_b32_e32 v10, v14
.LBB662_221:
	s_or_b64 exec, exec, s[46:47]
	v_and_b32_e32 v15, 16, v9
	v_mov_b32_dpp v14, v12 row_bcast:15 row_mask:0xf bank_mask:0xf
	v_cmp_ne_u32_e64 s[42:43], 0, v15
	s_and_saveexec_b64 s[46:47], s[42:43]
	s_cbranch_execz .LBB662_223
; %bb.222:
	v_mov_b32_e32 v11, 0
	v_cmp_eq_u16_sdwa s[42:43], v13, v11 src0_sel:BYTE_0 src1_sel:DWORD
	v_and_b32_e32 v11, 1, v13
	v_mov_b32_e32 v13, 1
	v_cndmask_b32_e64 v12, 0, v14, s[42:43]
	v_and_b32_sdwa v13, v14, v13 dst_sel:DWORD dst_unused:UNUSED_PAD src0_sel:WORD_1 src1_sel:DWORD
	v_cmp_eq_u32_e64 s[42:43], 1, v11
	v_cndmask_b32_e64 v11, v13, 1, s[42:43]
	v_add_u16_e32 v15, v12, v10
	v_lshlrev_b32_e32 v13, 16, v11
	v_add_u16_e32 v10, v12, v10
	v_or3_b32 v12, v13, v10, v8
	v_mov_b32_e32 v13, v11
	v_mov_b32_e32 v10, v15
.LBB662_223:
	s_or_b64 exec, exec, s[46:47]
	v_mov_b32_dpp v12, v12 row_bcast:31 row_mask:0xf bank_mask:0xf
	v_cmp_lt_u32_e64 s[42:43], 31, v9
	s_and_saveexec_b64 s[46:47], s[42:43]
; %bb.224:
	v_mov_b32_e32 v11, 0
	v_cmp_eq_u16_sdwa s[42:43], v13, v11 src0_sel:BYTE_0 src1_sel:DWORD
	v_cndmask_b32_e64 v11, 0, v12, s[42:43]
	v_add_u16_e32 v10, v11, v10
	v_and_b32_e32 v11, 1, v13
	v_mov_b32_e32 v13, 1
	v_and_b32_sdwa v12, v12, v13 dst_sel:DWORD dst_unused:UNUSED_PAD src0_sel:WORD_1 src1_sel:DWORD
	v_cmp_eq_u32_e64 s[42:43], 1, v11
	v_cndmask_b32_e64 v11, v12, 1, s[42:43]
; %bb.225:
	s_or_b64 exec, exec, s[46:47]
	v_and_b32_e32 v11, 0xff, v11
	v_lshlrev_b32_e32 v11, 16, v11
	v_and_b32_e32 v10, 0xffff, v10
	v_or3_b32 v8, v11, v10, v8
	v_add_u32_e32 v10, -1, v9
	v_and_b32_e32 v11, 64, v9
	v_cmp_lt_i32_e64 s[42:43], v10, v11
	v_cndmask_b32_e64 v9, v10, v9, s[42:43]
	v_lshlrev_b32_e32 v9, 2, v9
	ds_bpermute_b32 v8, v9, v8
	v_and_b32_e32 v9, 0xff0000, v6
	v_cmp_eq_u32_e64 s[42:43], 0, v9
	; wave barrier
	s_waitcnt lgkmcnt(0)
	v_cndmask_b32_e64 v9, 0, v8, s[42:43]
	v_add_u16_e32 v6, v9, v6
	v_mov_b32_e32 v9, 1
	v_and_b32_sdwa v8, v8, v9 dst_sel:DWORD dst_unused:UNUSED_PAD src0_sel:WORD_1 src1_sel:DWORD
	v_cmp_eq_u32_e64 s[42:43], 0, v7
	v_cndmask_b32_e64 v7, 1, v8, s[42:43]
	v_cmp_eq_u32_e64 s[42:43], 0, v0
	v_cndmask_b32_e64 v4, v6, v4, s[42:43]
	v_cndmask_b32_e64 v5, v7, v5, s[42:43]
	ds_write_b16 v3, v4
	ds_write_b8 v3, v5 offset:2
	; wave barrier
	ds_read_u16 v6, v3 offset:4
	ds_read_u8 v7, v3 offset:6
	ds_read_u16 v8, v3 offset:8
	ds_read_u8 v9, v3 offset:10
	ds_read_u16 v10, v3 offset:12
	ds_read_u8 v11, v3 offset:14
	s_waitcnt lgkmcnt(4)
	v_cmp_eq_u16_e64 s[42:43], 0, v7
	v_cndmask_b32_e64 v4, 0, v4, s[42:43]
	v_add_u16_e32 v4, v4, v6
	v_and_b32_e32 v6, 1, v7
	v_cmp_eq_u32_e64 s[42:43], 1, v6
	v_cndmask_b32_e64 v5, v5, 1, s[42:43]
	s_waitcnt lgkmcnt(2)
	v_cmp_eq_u16_e64 s[42:43], 0, v9
	v_and_b32_e32 v6, 1, v9
	ds_write_b16 v3, v4 offset:4
	ds_write_b8 v3, v5 offset:6
	v_cndmask_b32_e64 v4, 0, v4, s[42:43]
	v_cmp_eq_u32_e64 s[42:43], 1, v6
	v_add_u16_e32 v4, v4, v8
	v_cndmask_b32_e64 v5, v5, 1, s[42:43]
	s_waitcnt lgkmcnt(2)
	v_cmp_eq_u16_e64 s[42:43], 0, v11
	ds_write_b16 v3, v4 offset:8
	ds_write_b8 v3, v5 offset:10
	v_cndmask_b32_e64 v4, 0, v4, s[42:43]
	v_and_b32_e32 v6, 1, v11
	v_add_u16_e32 v4, v4, v10
	v_cmp_eq_u32_e64 s[42:43], 1, v6
	v_cndmask_b32_e64 v5, v5, 1, s[42:43]
	ds_write_b16 v3, v4 offset:12
	ds_write_b8 v3, v5 offset:14
.LBB662_226:
	s_or_b64 exec, exec, s[44:45]
	v_cmp_eq_u32_e64 s[42:43], 0, v0
	v_cmp_ne_u32_e64 s[44:45], 0, v0
	s_waitcnt vmcnt(0)
	v_mov_b32_e32 v4, v2
	s_waitcnt lgkmcnt(0)
	s_barrier
	s_and_saveexec_b64 s[46:47], s[44:45]
	s_cbranch_execz .LBB662_228
; %bb.227:
	v_add_u32_e32 v3, -1, v0
	v_lshrrev_b32_e32 v4, 5, v3
	v_add_lshl_u32 v3, v4, v3, 2
	ds_read_u8 v4, v3 offset:2
	ds_read_u16 v3, v3
	s_waitcnt lgkmcnt(1)
	v_cmp_eq_u16_e64 s[44:45], 0, v4
	v_cndmask_b32_e64 v4, 0, v2, s[44:45]
	s_waitcnt lgkmcnt(0)
	v_add_u16_e32 v4, v4, v3
.LBB662_228:
	s_or_b64 exec, exec, s[46:47]
	v_and_b32_e32 v3, 0xff0000, v1
	v_cmp_eq_u32_e64 s[44:45], 0, v3
	v_cndmask_b32_e64 v3, 0, v4, s[44:45]
	v_add_u16_e32 v5, v3, v1
	v_cndmask_b32_e32 v1, 0, v5, vcc
	v_add_u16_e32 v6, v1, v18
	v_cndmask_b32_e64 v1, 0, v6, s[2:3]
	v_add_u16_e32 v7, v1, v22
	v_cndmask_b32_e64 v1, 0, v7, s[4:5]
	;; [unrolled: 2-line block ×19, first 2 shown]
	s_and_saveexec_b64 s[2:3], s[42:43]
	s_cbranch_execz .LBB662_230
; %bb.229:
	v_mov_b32_e32 v12, 0
	ds_read_u8 v3, v12 offset:1050
	ds_read_u16 v13, v12 offset:1048
	s_waitcnt lgkmcnt(1)
	v_cmp_eq_u32_e32 vcc, 0, v3
	v_cndmask_b32_e32 v2, 0, v2, vcc
	v_lshlrev_b32_e32 v14, 16, v3
	s_waitcnt lgkmcnt(0)
	v_add_u32_e32 v2, v2, v13
	v_or_b32_sdwa v2, v14, v2 dst_sel:DWORD dst_unused:UNUSED_PAD src0_sel:DWORD src1_sel:WORD_0
	v_mov_b32_e32 v3, 2
	global_store_dwordx2 v12, v[2:3], s[52:53] offset:512
.LBB662_230:
	s_or_b64 exec, exec, s[2:3]
	v_add_u16_e32 v50, v1, v35
.LBB662_231:
	s_add_u32 s2, s50, s60
	s_addc_u32 s3, s51, s61
	s_add_u32 s4, s2, s62
	v_mul_u32_u24_e32 v1, 22, v0
	s_addc_u32 s5, s3, s63
	s_and_b64 vcc, exec, s[0:1]
	v_lshlrev_b32_e32 v12, 1, v1
	s_cbranch_vccz .LBB662_275
; %bb.232:
	s_mov_b32 s0, 0x5040100
	v_perm_b32 v1, v7, v6, s0
	v_perm_b32 v2, v5, v4, s0
	s_barrier
	ds_write2_b32 v12, v2, v1 offset1:1
	v_perm_b32 v1, v11, v10, s0
	v_perm_b32 v2, v9, v8, s0
	ds_write2_b32 v12, v2, v1 offset0:2 offset1:3
	v_perm_b32 v1, v40, v39, s0
	v_perm_b32 v2, v38, v37, s0
	ds_write2_b32 v12, v2, v1 offset0:4 offset1:5
	;; [unrolled: 3-line block ×4, first 2 shown]
	v_perm_b32 v1, v50, v49, s0
	s_movk_i32 s0, 0xffd6
	v_mad_i32_i24 v2, v0, s0, v12
	ds_write_b32 v12, v1 offset:40
	s_waitcnt lgkmcnt(0)
	s_barrier
	ds_read_u16 v33, v2 offset:512
	ds_read_u16 v32, v2 offset:1024
	;; [unrolled: 1-line block ×21, first 2 shown]
	v_mov_b32_e32 v3, s5
	v_add_co_u32_e32 v2, vcc, s4, v36
	s_add_i32 s33, s33, s54
	v_addc_co_u32_e32 v3, vcc, 0, v3, vcc
	v_mov_b32_e32 v1, 0
	v_cmp_gt_u32_e32 vcc, s33, v0
	s_and_saveexec_b64 s[0:1], vcc
	s_cbranch_execz .LBB662_234
; %bb.233:
	v_mul_i32_i24_e32 v34, 0xffffffd6, v0
	v_add_u32_e32 v34, v12, v34
	ds_read_u16 v34, v34
	s_waitcnt lgkmcnt(0)
	flat_store_short v[2:3], v34
.LBB662_234:
	s_or_b64 exec, exec, s[0:1]
	v_or_b32_e32 v34, 0x100, v0
	v_cmp_gt_u32_e32 vcc, s33, v34
	s_and_saveexec_b64 s[0:1], vcc
	s_cbranch_execz .LBB662_236
; %bb.235:
	s_waitcnt lgkmcnt(0)
	flat_store_short v[2:3], v33 offset:512
.LBB662_236:
	s_or_b64 exec, exec, s[0:1]
	s_waitcnt lgkmcnt(0)
	v_or_b32_e32 v33, 0x200, v0
	v_cmp_gt_u32_e32 vcc, s33, v33
	s_and_saveexec_b64 s[0:1], vcc
	s_cbranch_execz .LBB662_238
; %bb.237:
	flat_store_short v[2:3], v32 offset:1024
.LBB662_238:
	s_or_b64 exec, exec, s[0:1]
	v_or_b32_e32 v32, 0x300, v0
	v_cmp_gt_u32_e32 vcc, s33, v32
	s_and_saveexec_b64 s[0:1], vcc
	s_cbranch_execz .LBB662_240
; %bb.239:
	flat_store_short v[2:3], v31 offset:1536
.LBB662_240:
	s_or_b64 exec, exec, s[0:1]
	v_or_b32_e32 v31, 0x400, v0
	v_cmp_gt_u32_e32 vcc, s33, v31
	s_and_saveexec_b64 s[0:1], vcc
	s_cbranch_execz .LBB662_242
; %bb.241:
	flat_store_short v[2:3], v30 offset:2048
.LBB662_242:
	s_or_b64 exec, exec, s[0:1]
	v_or_b32_e32 v30, 0x500, v0
	v_cmp_gt_u32_e32 vcc, s33, v30
	s_and_saveexec_b64 s[0:1], vcc
	s_cbranch_execz .LBB662_244
; %bb.243:
	flat_store_short v[2:3], v29 offset:2560
.LBB662_244:
	s_or_b64 exec, exec, s[0:1]
	v_or_b32_e32 v29, 0x600, v0
	v_cmp_gt_u32_e32 vcc, s33, v29
	s_and_saveexec_b64 s[0:1], vcc
	s_cbranch_execz .LBB662_246
; %bb.245:
	flat_store_short v[2:3], v28 offset:3072
.LBB662_246:
	s_or_b64 exec, exec, s[0:1]
	v_or_b32_e32 v28, 0x700, v0
	v_cmp_gt_u32_e32 vcc, s33, v28
	s_and_saveexec_b64 s[0:1], vcc
	s_cbranch_execz .LBB662_248
; %bb.247:
	flat_store_short v[2:3], v27 offset:3584
.LBB662_248:
	s_or_b64 exec, exec, s[0:1]
	v_or_b32_e32 v27, 0x800, v0
	v_cmp_gt_u32_e32 vcc, s33, v27
	s_and_saveexec_b64 s[0:1], vcc
	s_cbranch_execz .LBB662_250
; %bb.249:
	v_add_co_u32_e32 v28, vcc, 0x1000, v2
	v_addc_co_u32_e32 v29, vcc, 0, v3, vcc
	flat_store_short v[28:29], v26
.LBB662_250:
	s_or_b64 exec, exec, s[0:1]
	v_or_b32_e32 v26, 0x900, v0
	v_cmp_gt_u32_e32 vcc, s33, v26
	s_and_saveexec_b64 s[0:1], vcc
	s_cbranch_execz .LBB662_252
; %bb.251:
	v_add_co_u32_e32 v26, vcc, 0x1000, v2
	v_addc_co_u32_e32 v27, vcc, 0, v3, vcc
	flat_store_short v[26:27], v25 offset:512
.LBB662_252:
	s_or_b64 exec, exec, s[0:1]
	v_or_b32_e32 v25, 0xa00, v0
	v_cmp_gt_u32_e32 vcc, s33, v25
	s_and_saveexec_b64 s[0:1], vcc
	s_cbranch_execz .LBB662_254
; %bb.253:
	v_add_co_u32_e32 v26, vcc, 0x1000, v2
	v_addc_co_u32_e32 v27, vcc, 0, v3, vcc
	flat_store_short v[26:27], v24 offset:1024
.LBB662_254:
	;; [unrolled: 10-line block ×7, first 2 shown]
	s_or_b64 exec, exec, s[0:1]
	v_or_b32_e32 v19, 0x1000, v0
	v_cmp_gt_u32_e32 vcc, s33, v19
	s_and_saveexec_b64 s[0:1], vcc
	s_cbranch_execz .LBB662_266
; %bb.265:
	v_add_co_u32_e32 v20, vcc, 0x2000, v2
	v_addc_co_u32_e32 v21, vcc, 0, v3, vcc
	flat_store_short v[20:21], v18
.LBB662_266:
	s_or_b64 exec, exec, s[0:1]
	v_or_b32_e32 v18, 0x1100, v0
	v_cmp_gt_u32_e32 vcc, s33, v18
	s_and_saveexec_b64 s[0:1], vcc
	s_cbranch_execz .LBB662_268
; %bb.267:
	v_add_co_u32_e32 v18, vcc, 0x2000, v2
	v_addc_co_u32_e32 v19, vcc, 0, v3, vcc
	flat_store_short v[18:19], v17 offset:512
.LBB662_268:
	s_or_b64 exec, exec, s[0:1]
	v_or_b32_e32 v17, 0x1200, v0
	v_cmp_gt_u32_e32 vcc, s33, v17
	s_and_saveexec_b64 s[0:1], vcc
	s_cbranch_execz .LBB662_270
; %bb.269:
	v_add_co_u32_e32 v18, vcc, 0x2000, v2
	v_addc_co_u32_e32 v19, vcc, 0, v3, vcc
	flat_store_short v[18:19], v16 offset:1024
.LBB662_270:
	;; [unrolled: 10-line block ×4, first 2 shown]
	s_or_b64 exec, exec, s[0:1]
	v_or_b32_e32 v2, 0x1500, v0
	v_cmp_gt_u32_e64 s[0:1], s33, v2
	s_branch .LBB662_277
.LBB662_275:
	s_mov_b64 s[0:1], 0
                                        ; implicit-def: $vgpr13
	s_cbranch_execz .LBB662_277
; %bb.276:
	s_mov_b32 s2, 0x5040100
	v_perm_b32 v1, v7, v6, s2
	v_perm_b32 v2, v5, v4, s2
	s_waitcnt lgkmcnt(0)
	s_barrier
	ds_write2_b32 v12, v2, v1 offset1:1
	v_perm_b32 v1, v11, v10, s2
	v_perm_b32 v2, v9, v8, s2
	ds_write2_b32 v12, v2, v1 offset0:2 offset1:3
	v_perm_b32 v1, v40, v39, s2
	v_perm_b32 v2, v38, v37, s2
	ds_write2_b32 v12, v2, v1 offset0:4 offset1:5
	v_perm_b32 v1, v44, v43, s2
	v_perm_b32 v2, v42, v41, s2
	ds_write2_b32 v12, v2, v1 offset0:6 offset1:7
	v_perm_b32 v1, v48, v47, s2
	v_perm_b32 v2, v46, v45, s2
	ds_write2_b32 v12, v2, v1 offset0:8 offset1:9
	v_perm_b32 v1, v50, v49, s2
	s_movk_i32 s2, 0xffd6
	v_mad_i32_i24 v2, v0, s2, v12
	ds_write_b32 v12, v1 offset:40
	s_waitcnt lgkmcnt(0)
	s_barrier
	ds_read_u16 v4, v2
	ds_read_u16 v5, v2 offset:512
	ds_read_u16 v6, v2 offset:1024
	;; [unrolled: 1-line block ×21, first 2 shown]
	v_mov_b32_e32 v3, s5
	v_add_co_u32_e32 v2, vcc, s4, v36
	v_addc_co_u32_e32 v3, vcc, 0, v3, vcc
	s_movk_i32 s2, 0x1000
	s_waitcnt lgkmcnt(0)
	flat_store_short v[2:3], v4
	flat_store_short v[2:3], v5 offset:512
	flat_store_short v[2:3], v6 offset:1024
	;; [unrolled: 1-line block ×7, first 2 shown]
	v_add_co_u32_e32 v4, vcc, s2, v2
	v_addc_co_u32_e32 v5, vcc, 0, v3, vcc
	v_add_co_u32_e32 v2, vcc, 0x2000, v2
	v_mov_b32_e32 v1, 0
	v_addc_co_u32_e32 v3, vcc, 0, v3, vcc
	s_or_b64 s[0:1], s[0:1], exec
	flat_store_short v[4:5], v12
	flat_store_short v[4:5], v14 offset:512
	flat_store_short v[4:5], v15 offset:1024
	;; [unrolled: 1-line block ×7, first 2 shown]
	flat_store_short v[2:3], v21
	flat_store_short v[2:3], v22 offset:512
	flat_store_short v[2:3], v23 offset:1024
	;; [unrolled: 1-line block ×4, first 2 shown]
.LBB662_277:
	s_and_saveexec_b64 s[2:3], s[0:1]
	s_cbranch_execz .LBB662_279
; %bb.278:
	v_lshlrev_b64 v[0:1], 1, v[0:1]
	v_mov_b32_e32 v2, s5
	v_add_co_u32_e32 v0, vcc, s4, v0
	v_addc_co_u32_e32 v1, vcc, v2, v1, vcc
	v_add_co_u32_e32 v0, vcc, 0x2000, v0
	v_addc_co_u32_e32 v1, vcc, 0, v1, vcc
	flat_store_short v[0:1], v13 offset:2560
	s_endpgm
.LBB662_279:
	s_endpgm
	.section	.rodata,"a",@progbits
	.p2align	6, 0x0
	.amdhsa_kernel _ZN7rocprim17ROCPRIM_400000_NS6detail17trampoline_kernelINS0_14default_configENS1_27scan_by_key_config_selectorIssEEZZNS1_16scan_by_key_implILNS1_25lookback_scan_determinismE0ELb1ES3_N6thrust23THRUST_200600_302600_NS6detail15normal_iteratorINS9_10device_ptrIsEEEESE_SE_sNS9_4plusIvEENS9_8equal_toIsEEsEE10hipError_tPvRmT2_T3_T4_T5_mT6_T7_P12ihipStream_tbENKUlT_T0_E_clISt17integral_constantIbLb1EESY_IbLb0EEEEDaSU_SV_EUlSU_E_NS1_11comp_targetILNS1_3genE4ELNS1_11target_archE910ELNS1_3gpuE8ELNS1_3repE0EEENS1_30default_config_static_selectorELNS0_4arch9wavefront6targetE1EEEvT1_
		.amdhsa_group_segment_fixed_size 12288
		.amdhsa_private_segment_fixed_size 0
		.amdhsa_kernarg_size 112
		.amdhsa_user_sgpr_count 6
		.amdhsa_user_sgpr_private_segment_buffer 1
		.amdhsa_user_sgpr_dispatch_ptr 0
		.amdhsa_user_sgpr_queue_ptr 0
		.amdhsa_user_sgpr_kernarg_segment_ptr 1
		.amdhsa_user_sgpr_dispatch_id 0
		.amdhsa_user_sgpr_flat_scratch_init 0
		.amdhsa_user_sgpr_kernarg_preload_length 0
		.amdhsa_user_sgpr_kernarg_preload_offset 0
		.amdhsa_user_sgpr_private_segment_size 0
		.amdhsa_uses_dynamic_stack 0
		.amdhsa_system_sgpr_private_segment_wavefront_offset 0
		.amdhsa_system_sgpr_workgroup_id_x 1
		.amdhsa_system_sgpr_workgroup_id_y 0
		.amdhsa_system_sgpr_workgroup_id_z 0
		.amdhsa_system_sgpr_workgroup_info 0
		.amdhsa_system_vgpr_workitem_id 0
		.amdhsa_next_free_vgpr 58
		.amdhsa_next_free_sgpr 75
		.amdhsa_accum_offset 60
		.amdhsa_reserve_vcc 1
		.amdhsa_reserve_flat_scratch 0
		.amdhsa_float_round_mode_32 0
		.amdhsa_float_round_mode_16_64 0
		.amdhsa_float_denorm_mode_32 3
		.amdhsa_float_denorm_mode_16_64 3
		.amdhsa_dx10_clamp 1
		.amdhsa_ieee_mode 1
		.amdhsa_fp16_overflow 0
		.amdhsa_tg_split 0
		.amdhsa_exception_fp_ieee_invalid_op 0
		.amdhsa_exception_fp_denorm_src 0
		.amdhsa_exception_fp_ieee_div_zero 0
		.amdhsa_exception_fp_ieee_overflow 0
		.amdhsa_exception_fp_ieee_underflow 0
		.amdhsa_exception_fp_ieee_inexact 0
		.amdhsa_exception_int_div_zero 0
	.end_amdhsa_kernel
	.section	.text._ZN7rocprim17ROCPRIM_400000_NS6detail17trampoline_kernelINS0_14default_configENS1_27scan_by_key_config_selectorIssEEZZNS1_16scan_by_key_implILNS1_25lookback_scan_determinismE0ELb1ES3_N6thrust23THRUST_200600_302600_NS6detail15normal_iteratorINS9_10device_ptrIsEEEESE_SE_sNS9_4plusIvEENS9_8equal_toIsEEsEE10hipError_tPvRmT2_T3_T4_T5_mT6_T7_P12ihipStream_tbENKUlT_T0_E_clISt17integral_constantIbLb1EESY_IbLb0EEEEDaSU_SV_EUlSU_E_NS1_11comp_targetILNS1_3genE4ELNS1_11target_archE910ELNS1_3gpuE8ELNS1_3repE0EEENS1_30default_config_static_selectorELNS0_4arch9wavefront6targetE1EEEvT1_,"axG",@progbits,_ZN7rocprim17ROCPRIM_400000_NS6detail17trampoline_kernelINS0_14default_configENS1_27scan_by_key_config_selectorIssEEZZNS1_16scan_by_key_implILNS1_25lookback_scan_determinismE0ELb1ES3_N6thrust23THRUST_200600_302600_NS6detail15normal_iteratorINS9_10device_ptrIsEEEESE_SE_sNS9_4plusIvEENS9_8equal_toIsEEsEE10hipError_tPvRmT2_T3_T4_T5_mT6_T7_P12ihipStream_tbENKUlT_T0_E_clISt17integral_constantIbLb1EESY_IbLb0EEEEDaSU_SV_EUlSU_E_NS1_11comp_targetILNS1_3genE4ELNS1_11target_archE910ELNS1_3gpuE8ELNS1_3repE0EEENS1_30default_config_static_selectorELNS0_4arch9wavefront6targetE1EEEvT1_,comdat
.Lfunc_end662:
	.size	_ZN7rocprim17ROCPRIM_400000_NS6detail17trampoline_kernelINS0_14default_configENS1_27scan_by_key_config_selectorIssEEZZNS1_16scan_by_key_implILNS1_25lookback_scan_determinismE0ELb1ES3_N6thrust23THRUST_200600_302600_NS6detail15normal_iteratorINS9_10device_ptrIsEEEESE_SE_sNS9_4plusIvEENS9_8equal_toIsEEsEE10hipError_tPvRmT2_T3_T4_T5_mT6_T7_P12ihipStream_tbENKUlT_T0_E_clISt17integral_constantIbLb1EESY_IbLb0EEEEDaSU_SV_EUlSU_E_NS1_11comp_targetILNS1_3genE4ELNS1_11target_archE910ELNS1_3gpuE8ELNS1_3repE0EEENS1_30default_config_static_selectorELNS0_4arch9wavefront6targetE1EEEvT1_, .Lfunc_end662-_ZN7rocprim17ROCPRIM_400000_NS6detail17trampoline_kernelINS0_14default_configENS1_27scan_by_key_config_selectorIssEEZZNS1_16scan_by_key_implILNS1_25lookback_scan_determinismE0ELb1ES3_N6thrust23THRUST_200600_302600_NS6detail15normal_iteratorINS9_10device_ptrIsEEEESE_SE_sNS9_4plusIvEENS9_8equal_toIsEEsEE10hipError_tPvRmT2_T3_T4_T5_mT6_T7_P12ihipStream_tbENKUlT_T0_E_clISt17integral_constantIbLb1EESY_IbLb0EEEEDaSU_SV_EUlSU_E_NS1_11comp_targetILNS1_3genE4ELNS1_11target_archE910ELNS1_3gpuE8ELNS1_3repE0EEENS1_30default_config_static_selectorELNS0_4arch9wavefront6targetE1EEEvT1_
                                        ; -- End function
	.section	.AMDGPU.csdata,"",@progbits
; Kernel info:
; codeLenInByte = 16336
; NumSgprs: 79
; NumVgprs: 58
; NumAgprs: 0
; TotalNumVgprs: 58
; ScratchSize: 0
; MemoryBound: 0
; FloatMode: 240
; IeeeMode: 1
; LDSByteSize: 12288 bytes/workgroup (compile time only)
; SGPRBlocks: 9
; VGPRBlocks: 7
; NumSGPRsForWavesPerEU: 79
; NumVGPRsForWavesPerEU: 58
; AccumOffset: 60
; Occupancy: 5
; WaveLimiterHint : 1
; COMPUTE_PGM_RSRC2:SCRATCH_EN: 0
; COMPUTE_PGM_RSRC2:USER_SGPR: 6
; COMPUTE_PGM_RSRC2:TRAP_HANDLER: 0
; COMPUTE_PGM_RSRC2:TGID_X_EN: 1
; COMPUTE_PGM_RSRC2:TGID_Y_EN: 0
; COMPUTE_PGM_RSRC2:TGID_Z_EN: 0
; COMPUTE_PGM_RSRC2:TIDIG_COMP_CNT: 0
; COMPUTE_PGM_RSRC3_GFX90A:ACCUM_OFFSET: 14
; COMPUTE_PGM_RSRC3_GFX90A:TG_SPLIT: 0
	.section	.text._ZN7rocprim17ROCPRIM_400000_NS6detail17trampoline_kernelINS0_14default_configENS1_27scan_by_key_config_selectorIssEEZZNS1_16scan_by_key_implILNS1_25lookback_scan_determinismE0ELb1ES3_N6thrust23THRUST_200600_302600_NS6detail15normal_iteratorINS9_10device_ptrIsEEEESE_SE_sNS9_4plusIvEENS9_8equal_toIsEEsEE10hipError_tPvRmT2_T3_T4_T5_mT6_T7_P12ihipStream_tbENKUlT_T0_E_clISt17integral_constantIbLb1EESY_IbLb0EEEEDaSU_SV_EUlSU_E_NS1_11comp_targetILNS1_3genE3ELNS1_11target_archE908ELNS1_3gpuE7ELNS1_3repE0EEENS1_30default_config_static_selectorELNS0_4arch9wavefront6targetE1EEEvT1_,"axG",@progbits,_ZN7rocprim17ROCPRIM_400000_NS6detail17trampoline_kernelINS0_14default_configENS1_27scan_by_key_config_selectorIssEEZZNS1_16scan_by_key_implILNS1_25lookback_scan_determinismE0ELb1ES3_N6thrust23THRUST_200600_302600_NS6detail15normal_iteratorINS9_10device_ptrIsEEEESE_SE_sNS9_4plusIvEENS9_8equal_toIsEEsEE10hipError_tPvRmT2_T3_T4_T5_mT6_T7_P12ihipStream_tbENKUlT_T0_E_clISt17integral_constantIbLb1EESY_IbLb0EEEEDaSU_SV_EUlSU_E_NS1_11comp_targetILNS1_3genE3ELNS1_11target_archE908ELNS1_3gpuE7ELNS1_3repE0EEENS1_30default_config_static_selectorELNS0_4arch9wavefront6targetE1EEEvT1_,comdat
	.protected	_ZN7rocprim17ROCPRIM_400000_NS6detail17trampoline_kernelINS0_14default_configENS1_27scan_by_key_config_selectorIssEEZZNS1_16scan_by_key_implILNS1_25lookback_scan_determinismE0ELb1ES3_N6thrust23THRUST_200600_302600_NS6detail15normal_iteratorINS9_10device_ptrIsEEEESE_SE_sNS9_4plusIvEENS9_8equal_toIsEEsEE10hipError_tPvRmT2_T3_T4_T5_mT6_T7_P12ihipStream_tbENKUlT_T0_E_clISt17integral_constantIbLb1EESY_IbLb0EEEEDaSU_SV_EUlSU_E_NS1_11comp_targetILNS1_3genE3ELNS1_11target_archE908ELNS1_3gpuE7ELNS1_3repE0EEENS1_30default_config_static_selectorELNS0_4arch9wavefront6targetE1EEEvT1_ ; -- Begin function _ZN7rocprim17ROCPRIM_400000_NS6detail17trampoline_kernelINS0_14default_configENS1_27scan_by_key_config_selectorIssEEZZNS1_16scan_by_key_implILNS1_25lookback_scan_determinismE0ELb1ES3_N6thrust23THRUST_200600_302600_NS6detail15normal_iteratorINS9_10device_ptrIsEEEESE_SE_sNS9_4plusIvEENS9_8equal_toIsEEsEE10hipError_tPvRmT2_T3_T4_T5_mT6_T7_P12ihipStream_tbENKUlT_T0_E_clISt17integral_constantIbLb1EESY_IbLb0EEEEDaSU_SV_EUlSU_E_NS1_11comp_targetILNS1_3genE3ELNS1_11target_archE908ELNS1_3gpuE7ELNS1_3repE0EEENS1_30default_config_static_selectorELNS0_4arch9wavefront6targetE1EEEvT1_
	.globl	_ZN7rocprim17ROCPRIM_400000_NS6detail17trampoline_kernelINS0_14default_configENS1_27scan_by_key_config_selectorIssEEZZNS1_16scan_by_key_implILNS1_25lookback_scan_determinismE0ELb1ES3_N6thrust23THRUST_200600_302600_NS6detail15normal_iteratorINS9_10device_ptrIsEEEESE_SE_sNS9_4plusIvEENS9_8equal_toIsEEsEE10hipError_tPvRmT2_T3_T4_T5_mT6_T7_P12ihipStream_tbENKUlT_T0_E_clISt17integral_constantIbLb1EESY_IbLb0EEEEDaSU_SV_EUlSU_E_NS1_11comp_targetILNS1_3genE3ELNS1_11target_archE908ELNS1_3gpuE7ELNS1_3repE0EEENS1_30default_config_static_selectorELNS0_4arch9wavefront6targetE1EEEvT1_
	.p2align	8
	.type	_ZN7rocprim17ROCPRIM_400000_NS6detail17trampoline_kernelINS0_14default_configENS1_27scan_by_key_config_selectorIssEEZZNS1_16scan_by_key_implILNS1_25lookback_scan_determinismE0ELb1ES3_N6thrust23THRUST_200600_302600_NS6detail15normal_iteratorINS9_10device_ptrIsEEEESE_SE_sNS9_4plusIvEENS9_8equal_toIsEEsEE10hipError_tPvRmT2_T3_T4_T5_mT6_T7_P12ihipStream_tbENKUlT_T0_E_clISt17integral_constantIbLb1EESY_IbLb0EEEEDaSU_SV_EUlSU_E_NS1_11comp_targetILNS1_3genE3ELNS1_11target_archE908ELNS1_3gpuE7ELNS1_3repE0EEENS1_30default_config_static_selectorELNS0_4arch9wavefront6targetE1EEEvT1_,@function
_ZN7rocprim17ROCPRIM_400000_NS6detail17trampoline_kernelINS0_14default_configENS1_27scan_by_key_config_selectorIssEEZZNS1_16scan_by_key_implILNS1_25lookback_scan_determinismE0ELb1ES3_N6thrust23THRUST_200600_302600_NS6detail15normal_iteratorINS9_10device_ptrIsEEEESE_SE_sNS9_4plusIvEENS9_8equal_toIsEEsEE10hipError_tPvRmT2_T3_T4_T5_mT6_T7_P12ihipStream_tbENKUlT_T0_E_clISt17integral_constantIbLb1EESY_IbLb0EEEEDaSU_SV_EUlSU_E_NS1_11comp_targetILNS1_3genE3ELNS1_11target_archE908ELNS1_3gpuE7ELNS1_3repE0EEENS1_30default_config_static_selectorELNS0_4arch9wavefront6targetE1EEEvT1_: ; @_ZN7rocprim17ROCPRIM_400000_NS6detail17trampoline_kernelINS0_14default_configENS1_27scan_by_key_config_selectorIssEEZZNS1_16scan_by_key_implILNS1_25lookback_scan_determinismE0ELb1ES3_N6thrust23THRUST_200600_302600_NS6detail15normal_iteratorINS9_10device_ptrIsEEEESE_SE_sNS9_4plusIvEENS9_8equal_toIsEEsEE10hipError_tPvRmT2_T3_T4_T5_mT6_T7_P12ihipStream_tbENKUlT_T0_E_clISt17integral_constantIbLb1EESY_IbLb0EEEEDaSU_SV_EUlSU_E_NS1_11comp_targetILNS1_3genE3ELNS1_11target_archE908ELNS1_3gpuE7ELNS1_3repE0EEENS1_30default_config_static_selectorELNS0_4arch9wavefront6targetE1EEEvT1_
; %bb.0:
	.section	.rodata,"a",@progbits
	.p2align	6, 0x0
	.amdhsa_kernel _ZN7rocprim17ROCPRIM_400000_NS6detail17trampoline_kernelINS0_14default_configENS1_27scan_by_key_config_selectorIssEEZZNS1_16scan_by_key_implILNS1_25lookback_scan_determinismE0ELb1ES3_N6thrust23THRUST_200600_302600_NS6detail15normal_iteratorINS9_10device_ptrIsEEEESE_SE_sNS9_4plusIvEENS9_8equal_toIsEEsEE10hipError_tPvRmT2_T3_T4_T5_mT6_T7_P12ihipStream_tbENKUlT_T0_E_clISt17integral_constantIbLb1EESY_IbLb0EEEEDaSU_SV_EUlSU_E_NS1_11comp_targetILNS1_3genE3ELNS1_11target_archE908ELNS1_3gpuE7ELNS1_3repE0EEENS1_30default_config_static_selectorELNS0_4arch9wavefront6targetE1EEEvT1_
		.amdhsa_group_segment_fixed_size 0
		.amdhsa_private_segment_fixed_size 0
		.amdhsa_kernarg_size 112
		.amdhsa_user_sgpr_count 6
		.amdhsa_user_sgpr_private_segment_buffer 1
		.amdhsa_user_sgpr_dispatch_ptr 0
		.amdhsa_user_sgpr_queue_ptr 0
		.amdhsa_user_sgpr_kernarg_segment_ptr 1
		.amdhsa_user_sgpr_dispatch_id 0
		.amdhsa_user_sgpr_flat_scratch_init 0
		.amdhsa_user_sgpr_kernarg_preload_length 0
		.amdhsa_user_sgpr_kernarg_preload_offset 0
		.amdhsa_user_sgpr_private_segment_size 0
		.amdhsa_uses_dynamic_stack 0
		.amdhsa_system_sgpr_private_segment_wavefront_offset 0
		.amdhsa_system_sgpr_workgroup_id_x 1
		.amdhsa_system_sgpr_workgroup_id_y 0
		.amdhsa_system_sgpr_workgroup_id_z 0
		.amdhsa_system_sgpr_workgroup_info 0
		.amdhsa_system_vgpr_workitem_id 0
		.amdhsa_next_free_vgpr 1
		.amdhsa_next_free_sgpr 0
		.amdhsa_accum_offset 4
		.amdhsa_reserve_vcc 0
		.amdhsa_reserve_flat_scratch 0
		.amdhsa_float_round_mode_32 0
		.amdhsa_float_round_mode_16_64 0
		.amdhsa_float_denorm_mode_32 3
		.amdhsa_float_denorm_mode_16_64 3
		.amdhsa_dx10_clamp 1
		.amdhsa_ieee_mode 1
		.amdhsa_fp16_overflow 0
		.amdhsa_tg_split 0
		.amdhsa_exception_fp_ieee_invalid_op 0
		.amdhsa_exception_fp_denorm_src 0
		.amdhsa_exception_fp_ieee_div_zero 0
		.amdhsa_exception_fp_ieee_overflow 0
		.amdhsa_exception_fp_ieee_underflow 0
		.amdhsa_exception_fp_ieee_inexact 0
		.amdhsa_exception_int_div_zero 0
	.end_amdhsa_kernel
	.section	.text._ZN7rocprim17ROCPRIM_400000_NS6detail17trampoline_kernelINS0_14default_configENS1_27scan_by_key_config_selectorIssEEZZNS1_16scan_by_key_implILNS1_25lookback_scan_determinismE0ELb1ES3_N6thrust23THRUST_200600_302600_NS6detail15normal_iteratorINS9_10device_ptrIsEEEESE_SE_sNS9_4plusIvEENS9_8equal_toIsEEsEE10hipError_tPvRmT2_T3_T4_T5_mT6_T7_P12ihipStream_tbENKUlT_T0_E_clISt17integral_constantIbLb1EESY_IbLb0EEEEDaSU_SV_EUlSU_E_NS1_11comp_targetILNS1_3genE3ELNS1_11target_archE908ELNS1_3gpuE7ELNS1_3repE0EEENS1_30default_config_static_selectorELNS0_4arch9wavefront6targetE1EEEvT1_,"axG",@progbits,_ZN7rocprim17ROCPRIM_400000_NS6detail17trampoline_kernelINS0_14default_configENS1_27scan_by_key_config_selectorIssEEZZNS1_16scan_by_key_implILNS1_25lookback_scan_determinismE0ELb1ES3_N6thrust23THRUST_200600_302600_NS6detail15normal_iteratorINS9_10device_ptrIsEEEESE_SE_sNS9_4plusIvEENS9_8equal_toIsEEsEE10hipError_tPvRmT2_T3_T4_T5_mT6_T7_P12ihipStream_tbENKUlT_T0_E_clISt17integral_constantIbLb1EESY_IbLb0EEEEDaSU_SV_EUlSU_E_NS1_11comp_targetILNS1_3genE3ELNS1_11target_archE908ELNS1_3gpuE7ELNS1_3repE0EEENS1_30default_config_static_selectorELNS0_4arch9wavefront6targetE1EEEvT1_,comdat
.Lfunc_end663:
	.size	_ZN7rocprim17ROCPRIM_400000_NS6detail17trampoline_kernelINS0_14default_configENS1_27scan_by_key_config_selectorIssEEZZNS1_16scan_by_key_implILNS1_25lookback_scan_determinismE0ELb1ES3_N6thrust23THRUST_200600_302600_NS6detail15normal_iteratorINS9_10device_ptrIsEEEESE_SE_sNS9_4plusIvEENS9_8equal_toIsEEsEE10hipError_tPvRmT2_T3_T4_T5_mT6_T7_P12ihipStream_tbENKUlT_T0_E_clISt17integral_constantIbLb1EESY_IbLb0EEEEDaSU_SV_EUlSU_E_NS1_11comp_targetILNS1_3genE3ELNS1_11target_archE908ELNS1_3gpuE7ELNS1_3repE0EEENS1_30default_config_static_selectorELNS0_4arch9wavefront6targetE1EEEvT1_, .Lfunc_end663-_ZN7rocprim17ROCPRIM_400000_NS6detail17trampoline_kernelINS0_14default_configENS1_27scan_by_key_config_selectorIssEEZZNS1_16scan_by_key_implILNS1_25lookback_scan_determinismE0ELb1ES3_N6thrust23THRUST_200600_302600_NS6detail15normal_iteratorINS9_10device_ptrIsEEEESE_SE_sNS9_4plusIvEENS9_8equal_toIsEEsEE10hipError_tPvRmT2_T3_T4_T5_mT6_T7_P12ihipStream_tbENKUlT_T0_E_clISt17integral_constantIbLb1EESY_IbLb0EEEEDaSU_SV_EUlSU_E_NS1_11comp_targetILNS1_3genE3ELNS1_11target_archE908ELNS1_3gpuE7ELNS1_3repE0EEENS1_30default_config_static_selectorELNS0_4arch9wavefront6targetE1EEEvT1_
                                        ; -- End function
	.section	.AMDGPU.csdata,"",@progbits
; Kernel info:
; codeLenInByte = 0
; NumSgprs: 4
; NumVgprs: 0
; NumAgprs: 0
; TotalNumVgprs: 0
; ScratchSize: 0
; MemoryBound: 0
; FloatMode: 240
; IeeeMode: 1
; LDSByteSize: 0 bytes/workgroup (compile time only)
; SGPRBlocks: 0
; VGPRBlocks: 0
; NumSGPRsForWavesPerEU: 4
; NumVGPRsForWavesPerEU: 1
; AccumOffset: 4
; Occupancy: 8
; WaveLimiterHint : 0
; COMPUTE_PGM_RSRC2:SCRATCH_EN: 0
; COMPUTE_PGM_RSRC2:USER_SGPR: 6
; COMPUTE_PGM_RSRC2:TRAP_HANDLER: 0
; COMPUTE_PGM_RSRC2:TGID_X_EN: 1
; COMPUTE_PGM_RSRC2:TGID_Y_EN: 0
; COMPUTE_PGM_RSRC2:TGID_Z_EN: 0
; COMPUTE_PGM_RSRC2:TIDIG_COMP_CNT: 0
; COMPUTE_PGM_RSRC3_GFX90A:ACCUM_OFFSET: 0
; COMPUTE_PGM_RSRC3_GFX90A:TG_SPLIT: 0
	.section	.text._ZN7rocprim17ROCPRIM_400000_NS6detail17trampoline_kernelINS0_14default_configENS1_27scan_by_key_config_selectorIssEEZZNS1_16scan_by_key_implILNS1_25lookback_scan_determinismE0ELb1ES3_N6thrust23THRUST_200600_302600_NS6detail15normal_iteratorINS9_10device_ptrIsEEEESE_SE_sNS9_4plusIvEENS9_8equal_toIsEEsEE10hipError_tPvRmT2_T3_T4_T5_mT6_T7_P12ihipStream_tbENKUlT_T0_E_clISt17integral_constantIbLb1EESY_IbLb0EEEEDaSU_SV_EUlSU_E_NS1_11comp_targetILNS1_3genE2ELNS1_11target_archE906ELNS1_3gpuE6ELNS1_3repE0EEENS1_30default_config_static_selectorELNS0_4arch9wavefront6targetE1EEEvT1_,"axG",@progbits,_ZN7rocprim17ROCPRIM_400000_NS6detail17trampoline_kernelINS0_14default_configENS1_27scan_by_key_config_selectorIssEEZZNS1_16scan_by_key_implILNS1_25lookback_scan_determinismE0ELb1ES3_N6thrust23THRUST_200600_302600_NS6detail15normal_iteratorINS9_10device_ptrIsEEEESE_SE_sNS9_4plusIvEENS9_8equal_toIsEEsEE10hipError_tPvRmT2_T3_T4_T5_mT6_T7_P12ihipStream_tbENKUlT_T0_E_clISt17integral_constantIbLb1EESY_IbLb0EEEEDaSU_SV_EUlSU_E_NS1_11comp_targetILNS1_3genE2ELNS1_11target_archE906ELNS1_3gpuE6ELNS1_3repE0EEENS1_30default_config_static_selectorELNS0_4arch9wavefront6targetE1EEEvT1_,comdat
	.protected	_ZN7rocprim17ROCPRIM_400000_NS6detail17trampoline_kernelINS0_14default_configENS1_27scan_by_key_config_selectorIssEEZZNS1_16scan_by_key_implILNS1_25lookback_scan_determinismE0ELb1ES3_N6thrust23THRUST_200600_302600_NS6detail15normal_iteratorINS9_10device_ptrIsEEEESE_SE_sNS9_4plusIvEENS9_8equal_toIsEEsEE10hipError_tPvRmT2_T3_T4_T5_mT6_T7_P12ihipStream_tbENKUlT_T0_E_clISt17integral_constantIbLb1EESY_IbLb0EEEEDaSU_SV_EUlSU_E_NS1_11comp_targetILNS1_3genE2ELNS1_11target_archE906ELNS1_3gpuE6ELNS1_3repE0EEENS1_30default_config_static_selectorELNS0_4arch9wavefront6targetE1EEEvT1_ ; -- Begin function _ZN7rocprim17ROCPRIM_400000_NS6detail17trampoline_kernelINS0_14default_configENS1_27scan_by_key_config_selectorIssEEZZNS1_16scan_by_key_implILNS1_25lookback_scan_determinismE0ELb1ES3_N6thrust23THRUST_200600_302600_NS6detail15normal_iteratorINS9_10device_ptrIsEEEESE_SE_sNS9_4plusIvEENS9_8equal_toIsEEsEE10hipError_tPvRmT2_T3_T4_T5_mT6_T7_P12ihipStream_tbENKUlT_T0_E_clISt17integral_constantIbLb1EESY_IbLb0EEEEDaSU_SV_EUlSU_E_NS1_11comp_targetILNS1_3genE2ELNS1_11target_archE906ELNS1_3gpuE6ELNS1_3repE0EEENS1_30default_config_static_selectorELNS0_4arch9wavefront6targetE1EEEvT1_
	.globl	_ZN7rocprim17ROCPRIM_400000_NS6detail17trampoline_kernelINS0_14default_configENS1_27scan_by_key_config_selectorIssEEZZNS1_16scan_by_key_implILNS1_25lookback_scan_determinismE0ELb1ES3_N6thrust23THRUST_200600_302600_NS6detail15normal_iteratorINS9_10device_ptrIsEEEESE_SE_sNS9_4plusIvEENS9_8equal_toIsEEsEE10hipError_tPvRmT2_T3_T4_T5_mT6_T7_P12ihipStream_tbENKUlT_T0_E_clISt17integral_constantIbLb1EESY_IbLb0EEEEDaSU_SV_EUlSU_E_NS1_11comp_targetILNS1_3genE2ELNS1_11target_archE906ELNS1_3gpuE6ELNS1_3repE0EEENS1_30default_config_static_selectorELNS0_4arch9wavefront6targetE1EEEvT1_
	.p2align	8
	.type	_ZN7rocprim17ROCPRIM_400000_NS6detail17trampoline_kernelINS0_14default_configENS1_27scan_by_key_config_selectorIssEEZZNS1_16scan_by_key_implILNS1_25lookback_scan_determinismE0ELb1ES3_N6thrust23THRUST_200600_302600_NS6detail15normal_iteratorINS9_10device_ptrIsEEEESE_SE_sNS9_4plusIvEENS9_8equal_toIsEEsEE10hipError_tPvRmT2_T3_T4_T5_mT6_T7_P12ihipStream_tbENKUlT_T0_E_clISt17integral_constantIbLb1EESY_IbLb0EEEEDaSU_SV_EUlSU_E_NS1_11comp_targetILNS1_3genE2ELNS1_11target_archE906ELNS1_3gpuE6ELNS1_3repE0EEENS1_30default_config_static_selectorELNS0_4arch9wavefront6targetE1EEEvT1_,@function
_ZN7rocprim17ROCPRIM_400000_NS6detail17trampoline_kernelINS0_14default_configENS1_27scan_by_key_config_selectorIssEEZZNS1_16scan_by_key_implILNS1_25lookback_scan_determinismE0ELb1ES3_N6thrust23THRUST_200600_302600_NS6detail15normal_iteratorINS9_10device_ptrIsEEEESE_SE_sNS9_4plusIvEENS9_8equal_toIsEEsEE10hipError_tPvRmT2_T3_T4_T5_mT6_T7_P12ihipStream_tbENKUlT_T0_E_clISt17integral_constantIbLb1EESY_IbLb0EEEEDaSU_SV_EUlSU_E_NS1_11comp_targetILNS1_3genE2ELNS1_11target_archE906ELNS1_3gpuE6ELNS1_3repE0EEENS1_30default_config_static_selectorELNS0_4arch9wavefront6targetE1EEEvT1_: ; @_ZN7rocprim17ROCPRIM_400000_NS6detail17trampoline_kernelINS0_14default_configENS1_27scan_by_key_config_selectorIssEEZZNS1_16scan_by_key_implILNS1_25lookback_scan_determinismE0ELb1ES3_N6thrust23THRUST_200600_302600_NS6detail15normal_iteratorINS9_10device_ptrIsEEEESE_SE_sNS9_4plusIvEENS9_8equal_toIsEEsEE10hipError_tPvRmT2_T3_T4_T5_mT6_T7_P12ihipStream_tbENKUlT_T0_E_clISt17integral_constantIbLb1EESY_IbLb0EEEEDaSU_SV_EUlSU_E_NS1_11comp_targetILNS1_3genE2ELNS1_11target_archE906ELNS1_3gpuE6ELNS1_3repE0EEENS1_30default_config_static_selectorELNS0_4arch9wavefront6targetE1EEEvT1_
; %bb.0:
	.section	.rodata,"a",@progbits
	.p2align	6, 0x0
	.amdhsa_kernel _ZN7rocprim17ROCPRIM_400000_NS6detail17trampoline_kernelINS0_14default_configENS1_27scan_by_key_config_selectorIssEEZZNS1_16scan_by_key_implILNS1_25lookback_scan_determinismE0ELb1ES3_N6thrust23THRUST_200600_302600_NS6detail15normal_iteratorINS9_10device_ptrIsEEEESE_SE_sNS9_4plusIvEENS9_8equal_toIsEEsEE10hipError_tPvRmT2_T3_T4_T5_mT6_T7_P12ihipStream_tbENKUlT_T0_E_clISt17integral_constantIbLb1EESY_IbLb0EEEEDaSU_SV_EUlSU_E_NS1_11comp_targetILNS1_3genE2ELNS1_11target_archE906ELNS1_3gpuE6ELNS1_3repE0EEENS1_30default_config_static_selectorELNS0_4arch9wavefront6targetE1EEEvT1_
		.amdhsa_group_segment_fixed_size 0
		.amdhsa_private_segment_fixed_size 0
		.amdhsa_kernarg_size 112
		.amdhsa_user_sgpr_count 6
		.amdhsa_user_sgpr_private_segment_buffer 1
		.amdhsa_user_sgpr_dispatch_ptr 0
		.amdhsa_user_sgpr_queue_ptr 0
		.amdhsa_user_sgpr_kernarg_segment_ptr 1
		.amdhsa_user_sgpr_dispatch_id 0
		.amdhsa_user_sgpr_flat_scratch_init 0
		.amdhsa_user_sgpr_kernarg_preload_length 0
		.amdhsa_user_sgpr_kernarg_preload_offset 0
		.amdhsa_user_sgpr_private_segment_size 0
		.amdhsa_uses_dynamic_stack 0
		.amdhsa_system_sgpr_private_segment_wavefront_offset 0
		.amdhsa_system_sgpr_workgroup_id_x 1
		.amdhsa_system_sgpr_workgroup_id_y 0
		.amdhsa_system_sgpr_workgroup_id_z 0
		.amdhsa_system_sgpr_workgroup_info 0
		.amdhsa_system_vgpr_workitem_id 0
		.amdhsa_next_free_vgpr 1
		.amdhsa_next_free_sgpr 0
		.amdhsa_accum_offset 4
		.amdhsa_reserve_vcc 0
		.amdhsa_reserve_flat_scratch 0
		.amdhsa_float_round_mode_32 0
		.amdhsa_float_round_mode_16_64 0
		.amdhsa_float_denorm_mode_32 3
		.amdhsa_float_denorm_mode_16_64 3
		.amdhsa_dx10_clamp 1
		.amdhsa_ieee_mode 1
		.amdhsa_fp16_overflow 0
		.amdhsa_tg_split 0
		.amdhsa_exception_fp_ieee_invalid_op 0
		.amdhsa_exception_fp_denorm_src 0
		.amdhsa_exception_fp_ieee_div_zero 0
		.amdhsa_exception_fp_ieee_overflow 0
		.amdhsa_exception_fp_ieee_underflow 0
		.amdhsa_exception_fp_ieee_inexact 0
		.amdhsa_exception_int_div_zero 0
	.end_amdhsa_kernel
	.section	.text._ZN7rocprim17ROCPRIM_400000_NS6detail17trampoline_kernelINS0_14default_configENS1_27scan_by_key_config_selectorIssEEZZNS1_16scan_by_key_implILNS1_25lookback_scan_determinismE0ELb1ES3_N6thrust23THRUST_200600_302600_NS6detail15normal_iteratorINS9_10device_ptrIsEEEESE_SE_sNS9_4plusIvEENS9_8equal_toIsEEsEE10hipError_tPvRmT2_T3_T4_T5_mT6_T7_P12ihipStream_tbENKUlT_T0_E_clISt17integral_constantIbLb1EESY_IbLb0EEEEDaSU_SV_EUlSU_E_NS1_11comp_targetILNS1_3genE2ELNS1_11target_archE906ELNS1_3gpuE6ELNS1_3repE0EEENS1_30default_config_static_selectorELNS0_4arch9wavefront6targetE1EEEvT1_,"axG",@progbits,_ZN7rocprim17ROCPRIM_400000_NS6detail17trampoline_kernelINS0_14default_configENS1_27scan_by_key_config_selectorIssEEZZNS1_16scan_by_key_implILNS1_25lookback_scan_determinismE0ELb1ES3_N6thrust23THRUST_200600_302600_NS6detail15normal_iteratorINS9_10device_ptrIsEEEESE_SE_sNS9_4plusIvEENS9_8equal_toIsEEsEE10hipError_tPvRmT2_T3_T4_T5_mT6_T7_P12ihipStream_tbENKUlT_T0_E_clISt17integral_constantIbLb1EESY_IbLb0EEEEDaSU_SV_EUlSU_E_NS1_11comp_targetILNS1_3genE2ELNS1_11target_archE906ELNS1_3gpuE6ELNS1_3repE0EEENS1_30default_config_static_selectorELNS0_4arch9wavefront6targetE1EEEvT1_,comdat
.Lfunc_end664:
	.size	_ZN7rocprim17ROCPRIM_400000_NS6detail17trampoline_kernelINS0_14default_configENS1_27scan_by_key_config_selectorIssEEZZNS1_16scan_by_key_implILNS1_25lookback_scan_determinismE0ELb1ES3_N6thrust23THRUST_200600_302600_NS6detail15normal_iteratorINS9_10device_ptrIsEEEESE_SE_sNS9_4plusIvEENS9_8equal_toIsEEsEE10hipError_tPvRmT2_T3_T4_T5_mT6_T7_P12ihipStream_tbENKUlT_T0_E_clISt17integral_constantIbLb1EESY_IbLb0EEEEDaSU_SV_EUlSU_E_NS1_11comp_targetILNS1_3genE2ELNS1_11target_archE906ELNS1_3gpuE6ELNS1_3repE0EEENS1_30default_config_static_selectorELNS0_4arch9wavefront6targetE1EEEvT1_, .Lfunc_end664-_ZN7rocprim17ROCPRIM_400000_NS6detail17trampoline_kernelINS0_14default_configENS1_27scan_by_key_config_selectorIssEEZZNS1_16scan_by_key_implILNS1_25lookback_scan_determinismE0ELb1ES3_N6thrust23THRUST_200600_302600_NS6detail15normal_iteratorINS9_10device_ptrIsEEEESE_SE_sNS9_4plusIvEENS9_8equal_toIsEEsEE10hipError_tPvRmT2_T3_T4_T5_mT6_T7_P12ihipStream_tbENKUlT_T0_E_clISt17integral_constantIbLb1EESY_IbLb0EEEEDaSU_SV_EUlSU_E_NS1_11comp_targetILNS1_3genE2ELNS1_11target_archE906ELNS1_3gpuE6ELNS1_3repE0EEENS1_30default_config_static_selectorELNS0_4arch9wavefront6targetE1EEEvT1_
                                        ; -- End function
	.section	.AMDGPU.csdata,"",@progbits
; Kernel info:
; codeLenInByte = 0
; NumSgprs: 4
; NumVgprs: 0
; NumAgprs: 0
; TotalNumVgprs: 0
; ScratchSize: 0
; MemoryBound: 0
; FloatMode: 240
; IeeeMode: 1
; LDSByteSize: 0 bytes/workgroup (compile time only)
; SGPRBlocks: 0
; VGPRBlocks: 0
; NumSGPRsForWavesPerEU: 4
; NumVGPRsForWavesPerEU: 1
; AccumOffset: 4
; Occupancy: 8
; WaveLimiterHint : 0
; COMPUTE_PGM_RSRC2:SCRATCH_EN: 0
; COMPUTE_PGM_RSRC2:USER_SGPR: 6
; COMPUTE_PGM_RSRC2:TRAP_HANDLER: 0
; COMPUTE_PGM_RSRC2:TGID_X_EN: 1
; COMPUTE_PGM_RSRC2:TGID_Y_EN: 0
; COMPUTE_PGM_RSRC2:TGID_Z_EN: 0
; COMPUTE_PGM_RSRC2:TIDIG_COMP_CNT: 0
; COMPUTE_PGM_RSRC3_GFX90A:ACCUM_OFFSET: 0
; COMPUTE_PGM_RSRC3_GFX90A:TG_SPLIT: 0
	.section	.text._ZN7rocprim17ROCPRIM_400000_NS6detail17trampoline_kernelINS0_14default_configENS1_27scan_by_key_config_selectorIssEEZZNS1_16scan_by_key_implILNS1_25lookback_scan_determinismE0ELb1ES3_N6thrust23THRUST_200600_302600_NS6detail15normal_iteratorINS9_10device_ptrIsEEEESE_SE_sNS9_4plusIvEENS9_8equal_toIsEEsEE10hipError_tPvRmT2_T3_T4_T5_mT6_T7_P12ihipStream_tbENKUlT_T0_E_clISt17integral_constantIbLb1EESY_IbLb0EEEEDaSU_SV_EUlSU_E_NS1_11comp_targetILNS1_3genE10ELNS1_11target_archE1200ELNS1_3gpuE4ELNS1_3repE0EEENS1_30default_config_static_selectorELNS0_4arch9wavefront6targetE1EEEvT1_,"axG",@progbits,_ZN7rocprim17ROCPRIM_400000_NS6detail17trampoline_kernelINS0_14default_configENS1_27scan_by_key_config_selectorIssEEZZNS1_16scan_by_key_implILNS1_25lookback_scan_determinismE0ELb1ES3_N6thrust23THRUST_200600_302600_NS6detail15normal_iteratorINS9_10device_ptrIsEEEESE_SE_sNS9_4plusIvEENS9_8equal_toIsEEsEE10hipError_tPvRmT2_T3_T4_T5_mT6_T7_P12ihipStream_tbENKUlT_T0_E_clISt17integral_constantIbLb1EESY_IbLb0EEEEDaSU_SV_EUlSU_E_NS1_11comp_targetILNS1_3genE10ELNS1_11target_archE1200ELNS1_3gpuE4ELNS1_3repE0EEENS1_30default_config_static_selectorELNS0_4arch9wavefront6targetE1EEEvT1_,comdat
	.protected	_ZN7rocprim17ROCPRIM_400000_NS6detail17trampoline_kernelINS0_14default_configENS1_27scan_by_key_config_selectorIssEEZZNS1_16scan_by_key_implILNS1_25lookback_scan_determinismE0ELb1ES3_N6thrust23THRUST_200600_302600_NS6detail15normal_iteratorINS9_10device_ptrIsEEEESE_SE_sNS9_4plusIvEENS9_8equal_toIsEEsEE10hipError_tPvRmT2_T3_T4_T5_mT6_T7_P12ihipStream_tbENKUlT_T0_E_clISt17integral_constantIbLb1EESY_IbLb0EEEEDaSU_SV_EUlSU_E_NS1_11comp_targetILNS1_3genE10ELNS1_11target_archE1200ELNS1_3gpuE4ELNS1_3repE0EEENS1_30default_config_static_selectorELNS0_4arch9wavefront6targetE1EEEvT1_ ; -- Begin function _ZN7rocprim17ROCPRIM_400000_NS6detail17trampoline_kernelINS0_14default_configENS1_27scan_by_key_config_selectorIssEEZZNS1_16scan_by_key_implILNS1_25lookback_scan_determinismE0ELb1ES3_N6thrust23THRUST_200600_302600_NS6detail15normal_iteratorINS9_10device_ptrIsEEEESE_SE_sNS9_4plusIvEENS9_8equal_toIsEEsEE10hipError_tPvRmT2_T3_T4_T5_mT6_T7_P12ihipStream_tbENKUlT_T0_E_clISt17integral_constantIbLb1EESY_IbLb0EEEEDaSU_SV_EUlSU_E_NS1_11comp_targetILNS1_3genE10ELNS1_11target_archE1200ELNS1_3gpuE4ELNS1_3repE0EEENS1_30default_config_static_selectorELNS0_4arch9wavefront6targetE1EEEvT1_
	.globl	_ZN7rocprim17ROCPRIM_400000_NS6detail17trampoline_kernelINS0_14default_configENS1_27scan_by_key_config_selectorIssEEZZNS1_16scan_by_key_implILNS1_25lookback_scan_determinismE0ELb1ES3_N6thrust23THRUST_200600_302600_NS6detail15normal_iteratorINS9_10device_ptrIsEEEESE_SE_sNS9_4plusIvEENS9_8equal_toIsEEsEE10hipError_tPvRmT2_T3_T4_T5_mT6_T7_P12ihipStream_tbENKUlT_T0_E_clISt17integral_constantIbLb1EESY_IbLb0EEEEDaSU_SV_EUlSU_E_NS1_11comp_targetILNS1_3genE10ELNS1_11target_archE1200ELNS1_3gpuE4ELNS1_3repE0EEENS1_30default_config_static_selectorELNS0_4arch9wavefront6targetE1EEEvT1_
	.p2align	8
	.type	_ZN7rocprim17ROCPRIM_400000_NS6detail17trampoline_kernelINS0_14default_configENS1_27scan_by_key_config_selectorIssEEZZNS1_16scan_by_key_implILNS1_25lookback_scan_determinismE0ELb1ES3_N6thrust23THRUST_200600_302600_NS6detail15normal_iteratorINS9_10device_ptrIsEEEESE_SE_sNS9_4plusIvEENS9_8equal_toIsEEsEE10hipError_tPvRmT2_T3_T4_T5_mT6_T7_P12ihipStream_tbENKUlT_T0_E_clISt17integral_constantIbLb1EESY_IbLb0EEEEDaSU_SV_EUlSU_E_NS1_11comp_targetILNS1_3genE10ELNS1_11target_archE1200ELNS1_3gpuE4ELNS1_3repE0EEENS1_30default_config_static_selectorELNS0_4arch9wavefront6targetE1EEEvT1_,@function
_ZN7rocprim17ROCPRIM_400000_NS6detail17trampoline_kernelINS0_14default_configENS1_27scan_by_key_config_selectorIssEEZZNS1_16scan_by_key_implILNS1_25lookback_scan_determinismE0ELb1ES3_N6thrust23THRUST_200600_302600_NS6detail15normal_iteratorINS9_10device_ptrIsEEEESE_SE_sNS9_4plusIvEENS9_8equal_toIsEEsEE10hipError_tPvRmT2_T3_T4_T5_mT6_T7_P12ihipStream_tbENKUlT_T0_E_clISt17integral_constantIbLb1EESY_IbLb0EEEEDaSU_SV_EUlSU_E_NS1_11comp_targetILNS1_3genE10ELNS1_11target_archE1200ELNS1_3gpuE4ELNS1_3repE0EEENS1_30default_config_static_selectorELNS0_4arch9wavefront6targetE1EEEvT1_: ; @_ZN7rocprim17ROCPRIM_400000_NS6detail17trampoline_kernelINS0_14default_configENS1_27scan_by_key_config_selectorIssEEZZNS1_16scan_by_key_implILNS1_25lookback_scan_determinismE0ELb1ES3_N6thrust23THRUST_200600_302600_NS6detail15normal_iteratorINS9_10device_ptrIsEEEESE_SE_sNS9_4plusIvEENS9_8equal_toIsEEsEE10hipError_tPvRmT2_T3_T4_T5_mT6_T7_P12ihipStream_tbENKUlT_T0_E_clISt17integral_constantIbLb1EESY_IbLb0EEEEDaSU_SV_EUlSU_E_NS1_11comp_targetILNS1_3genE10ELNS1_11target_archE1200ELNS1_3gpuE4ELNS1_3repE0EEENS1_30default_config_static_selectorELNS0_4arch9wavefront6targetE1EEEvT1_
; %bb.0:
	.section	.rodata,"a",@progbits
	.p2align	6, 0x0
	.amdhsa_kernel _ZN7rocprim17ROCPRIM_400000_NS6detail17trampoline_kernelINS0_14default_configENS1_27scan_by_key_config_selectorIssEEZZNS1_16scan_by_key_implILNS1_25lookback_scan_determinismE0ELb1ES3_N6thrust23THRUST_200600_302600_NS6detail15normal_iteratorINS9_10device_ptrIsEEEESE_SE_sNS9_4plusIvEENS9_8equal_toIsEEsEE10hipError_tPvRmT2_T3_T4_T5_mT6_T7_P12ihipStream_tbENKUlT_T0_E_clISt17integral_constantIbLb1EESY_IbLb0EEEEDaSU_SV_EUlSU_E_NS1_11comp_targetILNS1_3genE10ELNS1_11target_archE1200ELNS1_3gpuE4ELNS1_3repE0EEENS1_30default_config_static_selectorELNS0_4arch9wavefront6targetE1EEEvT1_
		.amdhsa_group_segment_fixed_size 0
		.amdhsa_private_segment_fixed_size 0
		.amdhsa_kernarg_size 112
		.amdhsa_user_sgpr_count 6
		.amdhsa_user_sgpr_private_segment_buffer 1
		.amdhsa_user_sgpr_dispatch_ptr 0
		.amdhsa_user_sgpr_queue_ptr 0
		.amdhsa_user_sgpr_kernarg_segment_ptr 1
		.amdhsa_user_sgpr_dispatch_id 0
		.amdhsa_user_sgpr_flat_scratch_init 0
		.amdhsa_user_sgpr_kernarg_preload_length 0
		.amdhsa_user_sgpr_kernarg_preload_offset 0
		.amdhsa_user_sgpr_private_segment_size 0
		.amdhsa_uses_dynamic_stack 0
		.amdhsa_system_sgpr_private_segment_wavefront_offset 0
		.amdhsa_system_sgpr_workgroup_id_x 1
		.amdhsa_system_sgpr_workgroup_id_y 0
		.amdhsa_system_sgpr_workgroup_id_z 0
		.amdhsa_system_sgpr_workgroup_info 0
		.amdhsa_system_vgpr_workitem_id 0
		.amdhsa_next_free_vgpr 1
		.amdhsa_next_free_sgpr 0
		.amdhsa_accum_offset 4
		.amdhsa_reserve_vcc 0
		.amdhsa_reserve_flat_scratch 0
		.amdhsa_float_round_mode_32 0
		.amdhsa_float_round_mode_16_64 0
		.amdhsa_float_denorm_mode_32 3
		.amdhsa_float_denorm_mode_16_64 3
		.amdhsa_dx10_clamp 1
		.amdhsa_ieee_mode 1
		.amdhsa_fp16_overflow 0
		.amdhsa_tg_split 0
		.amdhsa_exception_fp_ieee_invalid_op 0
		.amdhsa_exception_fp_denorm_src 0
		.amdhsa_exception_fp_ieee_div_zero 0
		.amdhsa_exception_fp_ieee_overflow 0
		.amdhsa_exception_fp_ieee_underflow 0
		.amdhsa_exception_fp_ieee_inexact 0
		.amdhsa_exception_int_div_zero 0
	.end_amdhsa_kernel
	.section	.text._ZN7rocprim17ROCPRIM_400000_NS6detail17trampoline_kernelINS0_14default_configENS1_27scan_by_key_config_selectorIssEEZZNS1_16scan_by_key_implILNS1_25lookback_scan_determinismE0ELb1ES3_N6thrust23THRUST_200600_302600_NS6detail15normal_iteratorINS9_10device_ptrIsEEEESE_SE_sNS9_4plusIvEENS9_8equal_toIsEEsEE10hipError_tPvRmT2_T3_T4_T5_mT6_T7_P12ihipStream_tbENKUlT_T0_E_clISt17integral_constantIbLb1EESY_IbLb0EEEEDaSU_SV_EUlSU_E_NS1_11comp_targetILNS1_3genE10ELNS1_11target_archE1200ELNS1_3gpuE4ELNS1_3repE0EEENS1_30default_config_static_selectorELNS0_4arch9wavefront6targetE1EEEvT1_,"axG",@progbits,_ZN7rocprim17ROCPRIM_400000_NS6detail17trampoline_kernelINS0_14default_configENS1_27scan_by_key_config_selectorIssEEZZNS1_16scan_by_key_implILNS1_25lookback_scan_determinismE0ELb1ES3_N6thrust23THRUST_200600_302600_NS6detail15normal_iteratorINS9_10device_ptrIsEEEESE_SE_sNS9_4plusIvEENS9_8equal_toIsEEsEE10hipError_tPvRmT2_T3_T4_T5_mT6_T7_P12ihipStream_tbENKUlT_T0_E_clISt17integral_constantIbLb1EESY_IbLb0EEEEDaSU_SV_EUlSU_E_NS1_11comp_targetILNS1_3genE10ELNS1_11target_archE1200ELNS1_3gpuE4ELNS1_3repE0EEENS1_30default_config_static_selectorELNS0_4arch9wavefront6targetE1EEEvT1_,comdat
.Lfunc_end665:
	.size	_ZN7rocprim17ROCPRIM_400000_NS6detail17trampoline_kernelINS0_14default_configENS1_27scan_by_key_config_selectorIssEEZZNS1_16scan_by_key_implILNS1_25lookback_scan_determinismE0ELb1ES3_N6thrust23THRUST_200600_302600_NS6detail15normal_iteratorINS9_10device_ptrIsEEEESE_SE_sNS9_4plusIvEENS9_8equal_toIsEEsEE10hipError_tPvRmT2_T3_T4_T5_mT6_T7_P12ihipStream_tbENKUlT_T0_E_clISt17integral_constantIbLb1EESY_IbLb0EEEEDaSU_SV_EUlSU_E_NS1_11comp_targetILNS1_3genE10ELNS1_11target_archE1200ELNS1_3gpuE4ELNS1_3repE0EEENS1_30default_config_static_selectorELNS0_4arch9wavefront6targetE1EEEvT1_, .Lfunc_end665-_ZN7rocprim17ROCPRIM_400000_NS6detail17trampoline_kernelINS0_14default_configENS1_27scan_by_key_config_selectorIssEEZZNS1_16scan_by_key_implILNS1_25lookback_scan_determinismE0ELb1ES3_N6thrust23THRUST_200600_302600_NS6detail15normal_iteratorINS9_10device_ptrIsEEEESE_SE_sNS9_4plusIvEENS9_8equal_toIsEEsEE10hipError_tPvRmT2_T3_T4_T5_mT6_T7_P12ihipStream_tbENKUlT_T0_E_clISt17integral_constantIbLb1EESY_IbLb0EEEEDaSU_SV_EUlSU_E_NS1_11comp_targetILNS1_3genE10ELNS1_11target_archE1200ELNS1_3gpuE4ELNS1_3repE0EEENS1_30default_config_static_selectorELNS0_4arch9wavefront6targetE1EEEvT1_
                                        ; -- End function
	.section	.AMDGPU.csdata,"",@progbits
; Kernel info:
; codeLenInByte = 0
; NumSgprs: 4
; NumVgprs: 0
; NumAgprs: 0
; TotalNumVgprs: 0
; ScratchSize: 0
; MemoryBound: 0
; FloatMode: 240
; IeeeMode: 1
; LDSByteSize: 0 bytes/workgroup (compile time only)
; SGPRBlocks: 0
; VGPRBlocks: 0
; NumSGPRsForWavesPerEU: 4
; NumVGPRsForWavesPerEU: 1
; AccumOffset: 4
; Occupancy: 8
; WaveLimiterHint : 0
; COMPUTE_PGM_RSRC2:SCRATCH_EN: 0
; COMPUTE_PGM_RSRC2:USER_SGPR: 6
; COMPUTE_PGM_RSRC2:TRAP_HANDLER: 0
; COMPUTE_PGM_RSRC2:TGID_X_EN: 1
; COMPUTE_PGM_RSRC2:TGID_Y_EN: 0
; COMPUTE_PGM_RSRC2:TGID_Z_EN: 0
; COMPUTE_PGM_RSRC2:TIDIG_COMP_CNT: 0
; COMPUTE_PGM_RSRC3_GFX90A:ACCUM_OFFSET: 0
; COMPUTE_PGM_RSRC3_GFX90A:TG_SPLIT: 0
	.section	.text._ZN7rocprim17ROCPRIM_400000_NS6detail17trampoline_kernelINS0_14default_configENS1_27scan_by_key_config_selectorIssEEZZNS1_16scan_by_key_implILNS1_25lookback_scan_determinismE0ELb1ES3_N6thrust23THRUST_200600_302600_NS6detail15normal_iteratorINS9_10device_ptrIsEEEESE_SE_sNS9_4plusIvEENS9_8equal_toIsEEsEE10hipError_tPvRmT2_T3_T4_T5_mT6_T7_P12ihipStream_tbENKUlT_T0_E_clISt17integral_constantIbLb1EESY_IbLb0EEEEDaSU_SV_EUlSU_E_NS1_11comp_targetILNS1_3genE9ELNS1_11target_archE1100ELNS1_3gpuE3ELNS1_3repE0EEENS1_30default_config_static_selectorELNS0_4arch9wavefront6targetE1EEEvT1_,"axG",@progbits,_ZN7rocprim17ROCPRIM_400000_NS6detail17trampoline_kernelINS0_14default_configENS1_27scan_by_key_config_selectorIssEEZZNS1_16scan_by_key_implILNS1_25lookback_scan_determinismE0ELb1ES3_N6thrust23THRUST_200600_302600_NS6detail15normal_iteratorINS9_10device_ptrIsEEEESE_SE_sNS9_4plusIvEENS9_8equal_toIsEEsEE10hipError_tPvRmT2_T3_T4_T5_mT6_T7_P12ihipStream_tbENKUlT_T0_E_clISt17integral_constantIbLb1EESY_IbLb0EEEEDaSU_SV_EUlSU_E_NS1_11comp_targetILNS1_3genE9ELNS1_11target_archE1100ELNS1_3gpuE3ELNS1_3repE0EEENS1_30default_config_static_selectorELNS0_4arch9wavefront6targetE1EEEvT1_,comdat
	.protected	_ZN7rocprim17ROCPRIM_400000_NS6detail17trampoline_kernelINS0_14default_configENS1_27scan_by_key_config_selectorIssEEZZNS1_16scan_by_key_implILNS1_25lookback_scan_determinismE0ELb1ES3_N6thrust23THRUST_200600_302600_NS6detail15normal_iteratorINS9_10device_ptrIsEEEESE_SE_sNS9_4plusIvEENS9_8equal_toIsEEsEE10hipError_tPvRmT2_T3_T4_T5_mT6_T7_P12ihipStream_tbENKUlT_T0_E_clISt17integral_constantIbLb1EESY_IbLb0EEEEDaSU_SV_EUlSU_E_NS1_11comp_targetILNS1_3genE9ELNS1_11target_archE1100ELNS1_3gpuE3ELNS1_3repE0EEENS1_30default_config_static_selectorELNS0_4arch9wavefront6targetE1EEEvT1_ ; -- Begin function _ZN7rocprim17ROCPRIM_400000_NS6detail17trampoline_kernelINS0_14default_configENS1_27scan_by_key_config_selectorIssEEZZNS1_16scan_by_key_implILNS1_25lookback_scan_determinismE0ELb1ES3_N6thrust23THRUST_200600_302600_NS6detail15normal_iteratorINS9_10device_ptrIsEEEESE_SE_sNS9_4plusIvEENS9_8equal_toIsEEsEE10hipError_tPvRmT2_T3_T4_T5_mT6_T7_P12ihipStream_tbENKUlT_T0_E_clISt17integral_constantIbLb1EESY_IbLb0EEEEDaSU_SV_EUlSU_E_NS1_11comp_targetILNS1_3genE9ELNS1_11target_archE1100ELNS1_3gpuE3ELNS1_3repE0EEENS1_30default_config_static_selectorELNS0_4arch9wavefront6targetE1EEEvT1_
	.globl	_ZN7rocprim17ROCPRIM_400000_NS6detail17trampoline_kernelINS0_14default_configENS1_27scan_by_key_config_selectorIssEEZZNS1_16scan_by_key_implILNS1_25lookback_scan_determinismE0ELb1ES3_N6thrust23THRUST_200600_302600_NS6detail15normal_iteratorINS9_10device_ptrIsEEEESE_SE_sNS9_4plusIvEENS9_8equal_toIsEEsEE10hipError_tPvRmT2_T3_T4_T5_mT6_T7_P12ihipStream_tbENKUlT_T0_E_clISt17integral_constantIbLb1EESY_IbLb0EEEEDaSU_SV_EUlSU_E_NS1_11comp_targetILNS1_3genE9ELNS1_11target_archE1100ELNS1_3gpuE3ELNS1_3repE0EEENS1_30default_config_static_selectorELNS0_4arch9wavefront6targetE1EEEvT1_
	.p2align	8
	.type	_ZN7rocprim17ROCPRIM_400000_NS6detail17trampoline_kernelINS0_14default_configENS1_27scan_by_key_config_selectorIssEEZZNS1_16scan_by_key_implILNS1_25lookback_scan_determinismE0ELb1ES3_N6thrust23THRUST_200600_302600_NS6detail15normal_iteratorINS9_10device_ptrIsEEEESE_SE_sNS9_4plusIvEENS9_8equal_toIsEEsEE10hipError_tPvRmT2_T3_T4_T5_mT6_T7_P12ihipStream_tbENKUlT_T0_E_clISt17integral_constantIbLb1EESY_IbLb0EEEEDaSU_SV_EUlSU_E_NS1_11comp_targetILNS1_3genE9ELNS1_11target_archE1100ELNS1_3gpuE3ELNS1_3repE0EEENS1_30default_config_static_selectorELNS0_4arch9wavefront6targetE1EEEvT1_,@function
_ZN7rocprim17ROCPRIM_400000_NS6detail17trampoline_kernelINS0_14default_configENS1_27scan_by_key_config_selectorIssEEZZNS1_16scan_by_key_implILNS1_25lookback_scan_determinismE0ELb1ES3_N6thrust23THRUST_200600_302600_NS6detail15normal_iteratorINS9_10device_ptrIsEEEESE_SE_sNS9_4plusIvEENS9_8equal_toIsEEsEE10hipError_tPvRmT2_T3_T4_T5_mT6_T7_P12ihipStream_tbENKUlT_T0_E_clISt17integral_constantIbLb1EESY_IbLb0EEEEDaSU_SV_EUlSU_E_NS1_11comp_targetILNS1_3genE9ELNS1_11target_archE1100ELNS1_3gpuE3ELNS1_3repE0EEENS1_30default_config_static_selectorELNS0_4arch9wavefront6targetE1EEEvT1_: ; @_ZN7rocprim17ROCPRIM_400000_NS6detail17trampoline_kernelINS0_14default_configENS1_27scan_by_key_config_selectorIssEEZZNS1_16scan_by_key_implILNS1_25lookback_scan_determinismE0ELb1ES3_N6thrust23THRUST_200600_302600_NS6detail15normal_iteratorINS9_10device_ptrIsEEEESE_SE_sNS9_4plusIvEENS9_8equal_toIsEEsEE10hipError_tPvRmT2_T3_T4_T5_mT6_T7_P12ihipStream_tbENKUlT_T0_E_clISt17integral_constantIbLb1EESY_IbLb0EEEEDaSU_SV_EUlSU_E_NS1_11comp_targetILNS1_3genE9ELNS1_11target_archE1100ELNS1_3gpuE3ELNS1_3repE0EEENS1_30default_config_static_selectorELNS0_4arch9wavefront6targetE1EEEvT1_
; %bb.0:
	.section	.rodata,"a",@progbits
	.p2align	6, 0x0
	.amdhsa_kernel _ZN7rocprim17ROCPRIM_400000_NS6detail17trampoline_kernelINS0_14default_configENS1_27scan_by_key_config_selectorIssEEZZNS1_16scan_by_key_implILNS1_25lookback_scan_determinismE0ELb1ES3_N6thrust23THRUST_200600_302600_NS6detail15normal_iteratorINS9_10device_ptrIsEEEESE_SE_sNS9_4plusIvEENS9_8equal_toIsEEsEE10hipError_tPvRmT2_T3_T4_T5_mT6_T7_P12ihipStream_tbENKUlT_T0_E_clISt17integral_constantIbLb1EESY_IbLb0EEEEDaSU_SV_EUlSU_E_NS1_11comp_targetILNS1_3genE9ELNS1_11target_archE1100ELNS1_3gpuE3ELNS1_3repE0EEENS1_30default_config_static_selectorELNS0_4arch9wavefront6targetE1EEEvT1_
		.amdhsa_group_segment_fixed_size 0
		.amdhsa_private_segment_fixed_size 0
		.amdhsa_kernarg_size 112
		.amdhsa_user_sgpr_count 6
		.amdhsa_user_sgpr_private_segment_buffer 1
		.amdhsa_user_sgpr_dispatch_ptr 0
		.amdhsa_user_sgpr_queue_ptr 0
		.amdhsa_user_sgpr_kernarg_segment_ptr 1
		.amdhsa_user_sgpr_dispatch_id 0
		.amdhsa_user_sgpr_flat_scratch_init 0
		.amdhsa_user_sgpr_kernarg_preload_length 0
		.amdhsa_user_sgpr_kernarg_preload_offset 0
		.amdhsa_user_sgpr_private_segment_size 0
		.amdhsa_uses_dynamic_stack 0
		.amdhsa_system_sgpr_private_segment_wavefront_offset 0
		.amdhsa_system_sgpr_workgroup_id_x 1
		.amdhsa_system_sgpr_workgroup_id_y 0
		.amdhsa_system_sgpr_workgroup_id_z 0
		.amdhsa_system_sgpr_workgroup_info 0
		.amdhsa_system_vgpr_workitem_id 0
		.amdhsa_next_free_vgpr 1
		.amdhsa_next_free_sgpr 0
		.amdhsa_accum_offset 4
		.amdhsa_reserve_vcc 0
		.amdhsa_reserve_flat_scratch 0
		.amdhsa_float_round_mode_32 0
		.amdhsa_float_round_mode_16_64 0
		.amdhsa_float_denorm_mode_32 3
		.amdhsa_float_denorm_mode_16_64 3
		.amdhsa_dx10_clamp 1
		.amdhsa_ieee_mode 1
		.amdhsa_fp16_overflow 0
		.amdhsa_tg_split 0
		.amdhsa_exception_fp_ieee_invalid_op 0
		.amdhsa_exception_fp_denorm_src 0
		.amdhsa_exception_fp_ieee_div_zero 0
		.amdhsa_exception_fp_ieee_overflow 0
		.amdhsa_exception_fp_ieee_underflow 0
		.amdhsa_exception_fp_ieee_inexact 0
		.amdhsa_exception_int_div_zero 0
	.end_amdhsa_kernel
	.section	.text._ZN7rocprim17ROCPRIM_400000_NS6detail17trampoline_kernelINS0_14default_configENS1_27scan_by_key_config_selectorIssEEZZNS1_16scan_by_key_implILNS1_25lookback_scan_determinismE0ELb1ES3_N6thrust23THRUST_200600_302600_NS6detail15normal_iteratorINS9_10device_ptrIsEEEESE_SE_sNS9_4plusIvEENS9_8equal_toIsEEsEE10hipError_tPvRmT2_T3_T4_T5_mT6_T7_P12ihipStream_tbENKUlT_T0_E_clISt17integral_constantIbLb1EESY_IbLb0EEEEDaSU_SV_EUlSU_E_NS1_11comp_targetILNS1_3genE9ELNS1_11target_archE1100ELNS1_3gpuE3ELNS1_3repE0EEENS1_30default_config_static_selectorELNS0_4arch9wavefront6targetE1EEEvT1_,"axG",@progbits,_ZN7rocprim17ROCPRIM_400000_NS6detail17trampoline_kernelINS0_14default_configENS1_27scan_by_key_config_selectorIssEEZZNS1_16scan_by_key_implILNS1_25lookback_scan_determinismE0ELb1ES3_N6thrust23THRUST_200600_302600_NS6detail15normal_iteratorINS9_10device_ptrIsEEEESE_SE_sNS9_4plusIvEENS9_8equal_toIsEEsEE10hipError_tPvRmT2_T3_T4_T5_mT6_T7_P12ihipStream_tbENKUlT_T0_E_clISt17integral_constantIbLb1EESY_IbLb0EEEEDaSU_SV_EUlSU_E_NS1_11comp_targetILNS1_3genE9ELNS1_11target_archE1100ELNS1_3gpuE3ELNS1_3repE0EEENS1_30default_config_static_selectorELNS0_4arch9wavefront6targetE1EEEvT1_,comdat
.Lfunc_end666:
	.size	_ZN7rocprim17ROCPRIM_400000_NS6detail17trampoline_kernelINS0_14default_configENS1_27scan_by_key_config_selectorIssEEZZNS1_16scan_by_key_implILNS1_25lookback_scan_determinismE0ELb1ES3_N6thrust23THRUST_200600_302600_NS6detail15normal_iteratorINS9_10device_ptrIsEEEESE_SE_sNS9_4plusIvEENS9_8equal_toIsEEsEE10hipError_tPvRmT2_T3_T4_T5_mT6_T7_P12ihipStream_tbENKUlT_T0_E_clISt17integral_constantIbLb1EESY_IbLb0EEEEDaSU_SV_EUlSU_E_NS1_11comp_targetILNS1_3genE9ELNS1_11target_archE1100ELNS1_3gpuE3ELNS1_3repE0EEENS1_30default_config_static_selectorELNS0_4arch9wavefront6targetE1EEEvT1_, .Lfunc_end666-_ZN7rocprim17ROCPRIM_400000_NS6detail17trampoline_kernelINS0_14default_configENS1_27scan_by_key_config_selectorIssEEZZNS1_16scan_by_key_implILNS1_25lookback_scan_determinismE0ELb1ES3_N6thrust23THRUST_200600_302600_NS6detail15normal_iteratorINS9_10device_ptrIsEEEESE_SE_sNS9_4plusIvEENS9_8equal_toIsEEsEE10hipError_tPvRmT2_T3_T4_T5_mT6_T7_P12ihipStream_tbENKUlT_T0_E_clISt17integral_constantIbLb1EESY_IbLb0EEEEDaSU_SV_EUlSU_E_NS1_11comp_targetILNS1_3genE9ELNS1_11target_archE1100ELNS1_3gpuE3ELNS1_3repE0EEENS1_30default_config_static_selectorELNS0_4arch9wavefront6targetE1EEEvT1_
                                        ; -- End function
	.section	.AMDGPU.csdata,"",@progbits
; Kernel info:
; codeLenInByte = 0
; NumSgprs: 4
; NumVgprs: 0
; NumAgprs: 0
; TotalNumVgprs: 0
; ScratchSize: 0
; MemoryBound: 0
; FloatMode: 240
; IeeeMode: 1
; LDSByteSize: 0 bytes/workgroup (compile time only)
; SGPRBlocks: 0
; VGPRBlocks: 0
; NumSGPRsForWavesPerEU: 4
; NumVGPRsForWavesPerEU: 1
; AccumOffset: 4
; Occupancy: 8
; WaveLimiterHint : 0
; COMPUTE_PGM_RSRC2:SCRATCH_EN: 0
; COMPUTE_PGM_RSRC2:USER_SGPR: 6
; COMPUTE_PGM_RSRC2:TRAP_HANDLER: 0
; COMPUTE_PGM_RSRC2:TGID_X_EN: 1
; COMPUTE_PGM_RSRC2:TGID_Y_EN: 0
; COMPUTE_PGM_RSRC2:TGID_Z_EN: 0
; COMPUTE_PGM_RSRC2:TIDIG_COMP_CNT: 0
; COMPUTE_PGM_RSRC3_GFX90A:ACCUM_OFFSET: 0
; COMPUTE_PGM_RSRC3_GFX90A:TG_SPLIT: 0
	.section	.text._ZN7rocprim17ROCPRIM_400000_NS6detail17trampoline_kernelINS0_14default_configENS1_27scan_by_key_config_selectorIssEEZZNS1_16scan_by_key_implILNS1_25lookback_scan_determinismE0ELb1ES3_N6thrust23THRUST_200600_302600_NS6detail15normal_iteratorINS9_10device_ptrIsEEEESE_SE_sNS9_4plusIvEENS9_8equal_toIsEEsEE10hipError_tPvRmT2_T3_T4_T5_mT6_T7_P12ihipStream_tbENKUlT_T0_E_clISt17integral_constantIbLb1EESY_IbLb0EEEEDaSU_SV_EUlSU_E_NS1_11comp_targetILNS1_3genE8ELNS1_11target_archE1030ELNS1_3gpuE2ELNS1_3repE0EEENS1_30default_config_static_selectorELNS0_4arch9wavefront6targetE1EEEvT1_,"axG",@progbits,_ZN7rocprim17ROCPRIM_400000_NS6detail17trampoline_kernelINS0_14default_configENS1_27scan_by_key_config_selectorIssEEZZNS1_16scan_by_key_implILNS1_25lookback_scan_determinismE0ELb1ES3_N6thrust23THRUST_200600_302600_NS6detail15normal_iteratorINS9_10device_ptrIsEEEESE_SE_sNS9_4plusIvEENS9_8equal_toIsEEsEE10hipError_tPvRmT2_T3_T4_T5_mT6_T7_P12ihipStream_tbENKUlT_T0_E_clISt17integral_constantIbLb1EESY_IbLb0EEEEDaSU_SV_EUlSU_E_NS1_11comp_targetILNS1_3genE8ELNS1_11target_archE1030ELNS1_3gpuE2ELNS1_3repE0EEENS1_30default_config_static_selectorELNS0_4arch9wavefront6targetE1EEEvT1_,comdat
	.protected	_ZN7rocprim17ROCPRIM_400000_NS6detail17trampoline_kernelINS0_14default_configENS1_27scan_by_key_config_selectorIssEEZZNS1_16scan_by_key_implILNS1_25lookback_scan_determinismE0ELb1ES3_N6thrust23THRUST_200600_302600_NS6detail15normal_iteratorINS9_10device_ptrIsEEEESE_SE_sNS9_4plusIvEENS9_8equal_toIsEEsEE10hipError_tPvRmT2_T3_T4_T5_mT6_T7_P12ihipStream_tbENKUlT_T0_E_clISt17integral_constantIbLb1EESY_IbLb0EEEEDaSU_SV_EUlSU_E_NS1_11comp_targetILNS1_3genE8ELNS1_11target_archE1030ELNS1_3gpuE2ELNS1_3repE0EEENS1_30default_config_static_selectorELNS0_4arch9wavefront6targetE1EEEvT1_ ; -- Begin function _ZN7rocprim17ROCPRIM_400000_NS6detail17trampoline_kernelINS0_14default_configENS1_27scan_by_key_config_selectorIssEEZZNS1_16scan_by_key_implILNS1_25lookback_scan_determinismE0ELb1ES3_N6thrust23THRUST_200600_302600_NS6detail15normal_iteratorINS9_10device_ptrIsEEEESE_SE_sNS9_4plusIvEENS9_8equal_toIsEEsEE10hipError_tPvRmT2_T3_T4_T5_mT6_T7_P12ihipStream_tbENKUlT_T0_E_clISt17integral_constantIbLb1EESY_IbLb0EEEEDaSU_SV_EUlSU_E_NS1_11comp_targetILNS1_3genE8ELNS1_11target_archE1030ELNS1_3gpuE2ELNS1_3repE0EEENS1_30default_config_static_selectorELNS0_4arch9wavefront6targetE1EEEvT1_
	.globl	_ZN7rocprim17ROCPRIM_400000_NS6detail17trampoline_kernelINS0_14default_configENS1_27scan_by_key_config_selectorIssEEZZNS1_16scan_by_key_implILNS1_25lookback_scan_determinismE0ELb1ES3_N6thrust23THRUST_200600_302600_NS6detail15normal_iteratorINS9_10device_ptrIsEEEESE_SE_sNS9_4plusIvEENS9_8equal_toIsEEsEE10hipError_tPvRmT2_T3_T4_T5_mT6_T7_P12ihipStream_tbENKUlT_T0_E_clISt17integral_constantIbLb1EESY_IbLb0EEEEDaSU_SV_EUlSU_E_NS1_11comp_targetILNS1_3genE8ELNS1_11target_archE1030ELNS1_3gpuE2ELNS1_3repE0EEENS1_30default_config_static_selectorELNS0_4arch9wavefront6targetE1EEEvT1_
	.p2align	8
	.type	_ZN7rocprim17ROCPRIM_400000_NS6detail17trampoline_kernelINS0_14default_configENS1_27scan_by_key_config_selectorIssEEZZNS1_16scan_by_key_implILNS1_25lookback_scan_determinismE0ELb1ES3_N6thrust23THRUST_200600_302600_NS6detail15normal_iteratorINS9_10device_ptrIsEEEESE_SE_sNS9_4plusIvEENS9_8equal_toIsEEsEE10hipError_tPvRmT2_T3_T4_T5_mT6_T7_P12ihipStream_tbENKUlT_T0_E_clISt17integral_constantIbLb1EESY_IbLb0EEEEDaSU_SV_EUlSU_E_NS1_11comp_targetILNS1_3genE8ELNS1_11target_archE1030ELNS1_3gpuE2ELNS1_3repE0EEENS1_30default_config_static_selectorELNS0_4arch9wavefront6targetE1EEEvT1_,@function
_ZN7rocprim17ROCPRIM_400000_NS6detail17trampoline_kernelINS0_14default_configENS1_27scan_by_key_config_selectorIssEEZZNS1_16scan_by_key_implILNS1_25lookback_scan_determinismE0ELb1ES3_N6thrust23THRUST_200600_302600_NS6detail15normal_iteratorINS9_10device_ptrIsEEEESE_SE_sNS9_4plusIvEENS9_8equal_toIsEEsEE10hipError_tPvRmT2_T3_T4_T5_mT6_T7_P12ihipStream_tbENKUlT_T0_E_clISt17integral_constantIbLb1EESY_IbLb0EEEEDaSU_SV_EUlSU_E_NS1_11comp_targetILNS1_3genE8ELNS1_11target_archE1030ELNS1_3gpuE2ELNS1_3repE0EEENS1_30default_config_static_selectorELNS0_4arch9wavefront6targetE1EEEvT1_: ; @_ZN7rocprim17ROCPRIM_400000_NS6detail17trampoline_kernelINS0_14default_configENS1_27scan_by_key_config_selectorIssEEZZNS1_16scan_by_key_implILNS1_25lookback_scan_determinismE0ELb1ES3_N6thrust23THRUST_200600_302600_NS6detail15normal_iteratorINS9_10device_ptrIsEEEESE_SE_sNS9_4plusIvEENS9_8equal_toIsEEsEE10hipError_tPvRmT2_T3_T4_T5_mT6_T7_P12ihipStream_tbENKUlT_T0_E_clISt17integral_constantIbLb1EESY_IbLb0EEEEDaSU_SV_EUlSU_E_NS1_11comp_targetILNS1_3genE8ELNS1_11target_archE1030ELNS1_3gpuE2ELNS1_3repE0EEENS1_30default_config_static_selectorELNS0_4arch9wavefront6targetE1EEEvT1_
; %bb.0:
	.section	.rodata,"a",@progbits
	.p2align	6, 0x0
	.amdhsa_kernel _ZN7rocprim17ROCPRIM_400000_NS6detail17trampoline_kernelINS0_14default_configENS1_27scan_by_key_config_selectorIssEEZZNS1_16scan_by_key_implILNS1_25lookback_scan_determinismE0ELb1ES3_N6thrust23THRUST_200600_302600_NS6detail15normal_iteratorINS9_10device_ptrIsEEEESE_SE_sNS9_4plusIvEENS9_8equal_toIsEEsEE10hipError_tPvRmT2_T3_T4_T5_mT6_T7_P12ihipStream_tbENKUlT_T0_E_clISt17integral_constantIbLb1EESY_IbLb0EEEEDaSU_SV_EUlSU_E_NS1_11comp_targetILNS1_3genE8ELNS1_11target_archE1030ELNS1_3gpuE2ELNS1_3repE0EEENS1_30default_config_static_selectorELNS0_4arch9wavefront6targetE1EEEvT1_
		.amdhsa_group_segment_fixed_size 0
		.amdhsa_private_segment_fixed_size 0
		.amdhsa_kernarg_size 112
		.amdhsa_user_sgpr_count 6
		.amdhsa_user_sgpr_private_segment_buffer 1
		.amdhsa_user_sgpr_dispatch_ptr 0
		.amdhsa_user_sgpr_queue_ptr 0
		.amdhsa_user_sgpr_kernarg_segment_ptr 1
		.amdhsa_user_sgpr_dispatch_id 0
		.amdhsa_user_sgpr_flat_scratch_init 0
		.amdhsa_user_sgpr_kernarg_preload_length 0
		.amdhsa_user_sgpr_kernarg_preload_offset 0
		.amdhsa_user_sgpr_private_segment_size 0
		.amdhsa_uses_dynamic_stack 0
		.amdhsa_system_sgpr_private_segment_wavefront_offset 0
		.amdhsa_system_sgpr_workgroup_id_x 1
		.amdhsa_system_sgpr_workgroup_id_y 0
		.amdhsa_system_sgpr_workgroup_id_z 0
		.amdhsa_system_sgpr_workgroup_info 0
		.amdhsa_system_vgpr_workitem_id 0
		.amdhsa_next_free_vgpr 1
		.amdhsa_next_free_sgpr 0
		.amdhsa_accum_offset 4
		.amdhsa_reserve_vcc 0
		.amdhsa_reserve_flat_scratch 0
		.amdhsa_float_round_mode_32 0
		.amdhsa_float_round_mode_16_64 0
		.amdhsa_float_denorm_mode_32 3
		.amdhsa_float_denorm_mode_16_64 3
		.amdhsa_dx10_clamp 1
		.amdhsa_ieee_mode 1
		.amdhsa_fp16_overflow 0
		.amdhsa_tg_split 0
		.amdhsa_exception_fp_ieee_invalid_op 0
		.amdhsa_exception_fp_denorm_src 0
		.amdhsa_exception_fp_ieee_div_zero 0
		.amdhsa_exception_fp_ieee_overflow 0
		.amdhsa_exception_fp_ieee_underflow 0
		.amdhsa_exception_fp_ieee_inexact 0
		.amdhsa_exception_int_div_zero 0
	.end_amdhsa_kernel
	.section	.text._ZN7rocprim17ROCPRIM_400000_NS6detail17trampoline_kernelINS0_14default_configENS1_27scan_by_key_config_selectorIssEEZZNS1_16scan_by_key_implILNS1_25lookback_scan_determinismE0ELb1ES3_N6thrust23THRUST_200600_302600_NS6detail15normal_iteratorINS9_10device_ptrIsEEEESE_SE_sNS9_4plusIvEENS9_8equal_toIsEEsEE10hipError_tPvRmT2_T3_T4_T5_mT6_T7_P12ihipStream_tbENKUlT_T0_E_clISt17integral_constantIbLb1EESY_IbLb0EEEEDaSU_SV_EUlSU_E_NS1_11comp_targetILNS1_3genE8ELNS1_11target_archE1030ELNS1_3gpuE2ELNS1_3repE0EEENS1_30default_config_static_selectorELNS0_4arch9wavefront6targetE1EEEvT1_,"axG",@progbits,_ZN7rocprim17ROCPRIM_400000_NS6detail17trampoline_kernelINS0_14default_configENS1_27scan_by_key_config_selectorIssEEZZNS1_16scan_by_key_implILNS1_25lookback_scan_determinismE0ELb1ES3_N6thrust23THRUST_200600_302600_NS6detail15normal_iteratorINS9_10device_ptrIsEEEESE_SE_sNS9_4plusIvEENS9_8equal_toIsEEsEE10hipError_tPvRmT2_T3_T4_T5_mT6_T7_P12ihipStream_tbENKUlT_T0_E_clISt17integral_constantIbLb1EESY_IbLb0EEEEDaSU_SV_EUlSU_E_NS1_11comp_targetILNS1_3genE8ELNS1_11target_archE1030ELNS1_3gpuE2ELNS1_3repE0EEENS1_30default_config_static_selectorELNS0_4arch9wavefront6targetE1EEEvT1_,comdat
.Lfunc_end667:
	.size	_ZN7rocprim17ROCPRIM_400000_NS6detail17trampoline_kernelINS0_14default_configENS1_27scan_by_key_config_selectorIssEEZZNS1_16scan_by_key_implILNS1_25lookback_scan_determinismE0ELb1ES3_N6thrust23THRUST_200600_302600_NS6detail15normal_iteratorINS9_10device_ptrIsEEEESE_SE_sNS9_4plusIvEENS9_8equal_toIsEEsEE10hipError_tPvRmT2_T3_T4_T5_mT6_T7_P12ihipStream_tbENKUlT_T0_E_clISt17integral_constantIbLb1EESY_IbLb0EEEEDaSU_SV_EUlSU_E_NS1_11comp_targetILNS1_3genE8ELNS1_11target_archE1030ELNS1_3gpuE2ELNS1_3repE0EEENS1_30default_config_static_selectorELNS0_4arch9wavefront6targetE1EEEvT1_, .Lfunc_end667-_ZN7rocprim17ROCPRIM_400000_NS6detail17trampoline_kernelINS0_14default_configENS1_27scan_by_key_config_selectorIssEEZZNS1_16scan_by_key_implILNS1_25lookback_scan_determinismE0ELb1ES3_N6thrust23THRUST_200600_302600_NS6detail15normal_iteratorINS9_10device_ptrIsEEEESE_SE_sNS9_4plusIvEENS9_8equal_toIsEEsEE10hipError_tPvRmT2_T3_T4_T5_mT6_T7_P12ihipStream_tbENKUlT_T0_E_clISt17integral_constantIbLb1EESY_IbLb0EEEEDaSU_SV_EUlSU_E_NS1_11comp_targetILNS1_3genE8ELNS1_11target_archE1030ELNS1_3gpuE2ELNS1_3repE0EEENS1_30default_config_static_selectorELNS0_4arch9wavefront6targetE1EEEvT1_
                                        ; -- End function
	.section	.AMDGPU.csdata,"",@progbits
; Kernel info:
; codeLenInByte = 0
; NumSgprs: 4
; NumVgprs: 0
; NumAgprs: 0
; TotalNumVgprs: 0
; ScratchSize: 0
; MemoryBound: 0
; FloatMode: 240
; IeeeMode: 1
; LDSByteSize: 0 bytes/workgroup (compile time only)
; SGPRBlocks: 0
; VGPRBlocks: 0
; NumSGPRsForWavesPerEU: 4
; NumVGPRsForWavesPerEU: 1
; AccumOffset: 4
; Occupancy: 8
; WaveLimiterHint : 0
; COMPUTE_PGM_RSRC2:SCRATCH_EN: 0
; COMPUTE_PGM_RSRC2:USER_SGPR: 6
; COMPUTE_PGM_RSRC2:TRAP_HANDLER: 0
; COMPUTE_PGM_RSRC2:TGID_X_EN: 1
; COMPUTE_PGM_RSRC2:TGID_Y_EN: 0
; COMPUTE_PGM_RSRC2:TGID_Z_EN: 0
; COMPUTE_PGM_RSRC2:TIDIG_COMP_CNT: 0
; COMPUTE_PGM_RSRC3_GFX90A:ACCUM_OFFSET: 0
; COMPUTE_PGM_RSRC3_GFX90A:TG_SPLIT: 0
	.section	.text._ZN7rocprim17ROCPRIM_400000_NS6detail17trampoline_kernelINS0_14default_configENS1_27scan_by_key_config_selectorIssEEZZNS1_16scan_by_key_implILNS1_25lookback_scan_determinismE0ELb1ES3_N6thrust23THRUST_200600_302600_NS6detail15normal_iteratorINS9_10device_ptrIsEEEESE_SE_sNS9_4plusIvEENS9_8equal_toIsEEsEE10hipError_tPvRmT2_T3_T4_T5_mT6_T7_P12ihipStream_tbENKUlT_T0_E_clISt17integral_constantIbLb0EESY_IbLb1EEEEDaSU_SV_EUlSU_E_NS1_11comp_targetILNS1_3genE0ELNS1_11target_archE4294967295ELNS1_3gpuE0ELNS1_3repE0EEENS1_30default_config_static_selectorELNS0_4arch9wavefront6targetE1EEEvT1_,"axG",@progbits,_ZN7rocprim17ROCPRIM_400000_NS6detail17trampoline_kernelINS0_14default_configENS1_27scan_by_key_config_selectorIssEEZZNS1_16scan_by_key_implILNS1_25lookback_scan_determinismE0ELb1ES3_N6thrust23THRUST_200600_302600_NS6detail15normal_iteratorINS9_10device_ptrIsEEEESE_SE_sNS9_4plusIvEENS9_8equal_toIsEEsEE10hipError_tPvRmT2_T3_T4_T5_mT6_T7_P12ihipStream_tbENKUlT_T0_E_clISt17integral_constantIbLb0EESY_IbLb1EEEEDaSU_SV_EUlSU_E_NS1_11comp_targetILNS1_3genE0ELNS1_11target_archE4294967295ELNS1_3gpuE0ELNS1_3repE0EEENS1_30default_config_static_selectorELNS0_4arch9wavefront6targetE1EEEvT1_,comdat
	.protected	_ZN7rocprim17ROCPRIM_400000_NS6detail17trampoline_kernelINS0_14default_configENS1_27scan_by_key_config_selectorIssEEZZNS1_16scan_by_key_implILNS1_25lookback_scan_determinismE0ELb1ES3_N6thrust23THRUST_200600_302600_NS6detail15normal_iteratorINS9_10device_ptrIsEEEESE_SE_sNS9_4plusIvEENS9_8equal_toIsEEsEE10hipError_tPvRmT2_T3_T4_T5_mT6_T7_P12ihipStream_tbENKUlT_T0_E_clISt17integral_constantIbLb0EESY_IbLb1EEEEDaSU_SV_EUlSU_E_NS1_11comp_targetILNS1_3genE0ELNS1_11target_archE4294967295ELNS1_3gpuE0ELNS1_3repE0EEENS1_30default_config_static_selectorELNS0_4arch9wavefront6targetE1EEEvT1_ ; -- Begin function _ZN7rocprim17ROCPRIM_400000_NS6detail17trampoline_kernelINS0_14default_configENS1_27scan_by_key_config_selectorIssEEZZNS1_16scan_by_key_implILNS1_25lookback_scan_determinismE0ELb1ES3_N6thrust23THRUST_200600_302600_NS6detail15normal_iteratorINS9_10device_ptrIsEEEESE_SE_sNS9_4plusIvEENS9_8equal_toIsEEsEE10hipError_tPvRmT2_T3_T4_T5_mT6_T7_P12ihipStream_tbENKUlT_T0_E_clISt17integral_constantIbLb0EESY_IbLb1EEEEDaSU_SV_EUlSU_E_NS1_11comp_targetILNS1_3genE0ELNS1_11target_archE4294967295ELNS1_3gpuE0ELNS1_3repE0EEENS1_30default_config_static_selectorELNS0_4arch9wavefront6targetE1EEEvT1_
	.globl	_ZN7rocprim17ROCPRIM_400000_NS6detail17trampoline_kernelINS0_14default_configENS1_27scan_by_key_config_selectorIssEEZZNS1_16scan_by_key_implILNS1_25lookback_scan_determinismE0ELb1ES3_N6thrust23THRUST_200600_302600_NS6detail15normal_iteratorINS9_10device_ptrIsEEEESE_SE_sNS9_4plusIvEENS9_8equal_toIsEEsEE10hipError_tPvRmT2_T3_T4_T5_mT6_T7_P12ihipStream_tbENKUlT_T0_E_clISt17integral_constantIbLb0EESY_IbLb1EEEEDaSU_SV_EUlSU_E_NS1_11comp_targetILNS1_3genE0ELNS1_11target_archE4294967295ELNS1_3gpuE0ELNS1_3repE0EEENS1_30default_config_static_selectorELNS0_4arch9wavefront6targetE1EEEvT1_
	.p2align	8
	.type	_ZN7rocprim17ROCPRIM_400000_NS6detail17trampoline_kernelINS0_14default_configENS1_27scan_by_key_config_selectorIssEEZZNS1_16scan_by_key_implILNS1_25lookback_scan_determinismE0ELb1ES3_N6thrust23THRUST_200600_302600_NS6detail15normal_iteratorINS9_10device_ptrIsEEEESE_SE_sNS9_4plusIvEENS9_8equal_toIsEEsEE10hipError_tPvRmT2_T3_T4_T5_mT6_T7_P12ihipStream_tbENKUlT_T0_E_clISt17integral_constantIbLb0EESY_IbLb1EEEEDaSU_SV_EUlSU_E_NS1_11comp_targetILNS1_3genE0ELNS1_11target_archE4294967295ELNS1_3gpuE0ELNS1_3repE0EEENS1_30default_config_static_selectorELNS0_4arch9wavefront6targetE1EEEvT1_,@function
_ZN7rocprim17ROCPRIM_400000_NS6detail17trampoline_kernelINS0_14default_configENS1_27scan_by_key_config_selectorIssEEZZNS1_16scan_by_key_implILNS1_25lookback_scan_determinismE0ELb1ES3_N6thrust23THRUST_200600_302600_NS6detail15normal_iteratorINS9_10device_ptrIsEEEESE_SE_sNS9_4plusIvEENS9_8equal_toIsEEsEE10hipError_tPvRmT2_T3_T4_T5_mT6_T7_P12ihipStream_tbENKUlT_T0_E_clISt17integral_constantIbLb0EESY_IbLb1EEEEDaSU_SV_EUlSU_E_NS1_11comp_targetILNS1_3genE0ELNS1_11target_archE4294967295ELNS1_3gpuE0ELNS1_3repE0EEENS1_30default_config_static_selectorELNS0_4arch9wavefront6targetE1EEEvT1_: ; @_ZN7rocprim17ROCPRIM_400000_NS6detail17trampoline_kernelINS0_14default_configENS1_27scan_by_key_config_selectorIssEEZZNS1_16scan_by_key_implILNS1_25lookback_scan_determinismE0ELb1ES3_N6thrust23THRUST_200600_302600_NS6detail15normal_iteratorINS9_10device_ptrIsEEEESE_SE_sNS9_4plusIvEENS9_8equal_toIsEEsEE10hipError_tPvRmT2_T3_T4_T5_mT6_T7_P12ihipStream_tbENKUlT_T0_E_clISt17integral_constantIbLb0EESY_IbLb1EEEEDaSU_SV_EUlSU_E_NS1_11comp_targetILNS1_3genE0ELNS1_11target_archE4294967295ELNS1_3gpuE0ELNS1_3repE0EEENS1_30default_config_static_selectorELNS0_4arch9wavefront6targetE1EEEvT1_
; %bb.0:
	.section	.rodata,"a",@progbits
	.p2align	6, 0x0
	.amdhsa_kernel _ZN7rocprim17ROCPRIM_400000_NS6detail17trampoline_kernelINS0_14default_configENS1_27scan_by_key_config_selectorIssEEZZNS1_16scan_by_key_implILNS1_25lookback_scan_determinismE0ELb1ES3_N6thrust23THRUST_200600_302600_NS6detail15normal_iteratorINS9_10device_ptrIsEEEESE_SE_sNS9_4plusIvEENS9_8equal_toIsEEsEE10hipError_tPvRmT2_T3_T4_T5_mT6_T7_P12ihipStream_tbENKUlT_T0_E_clISt17integral_constantIbLb0EESY_IbLb1EEEEDaSU_SV_EUlSU_E_NS1_11comp_targetILNS1_3genE0ELNS1_11target_archE4294967295ELNS1_3gpuE0ELNS1_3repE0EEENS1_30default_config_static_selectorELNS0_4arch9wavefront6targetE1EEEvT1_
		.amdhsa_group_segment_fixed_size 0
		.amdhsa_private_segment_fixed_size 0
		.amdhsa_kernarg_size 112
		.amdhsa_user_sgpr_count 6
		.amdhsa_user_sgpr_private_segment_buffer 1
		.amdhsa_user_sgpr_dispatch_ptr 0
		.amdhsa_user_sgpr_queue_ptr 0
		.amdhsa_user_sgpr_kernarg_segment_ptr 1
		.amdhsa_user_sgpr_dispatch_id 0
		.amdhsa_user_sgpr_flat_scratch_init 0
		.amdhsa_user_sgpr_kernarg_preload_length 0
		.amdhsa_user_sgpr_kernarg_preload_offset 0
		.amdhsa_user_sgpr_private_segment_size 0
		.amdhsa_uses_dynamic_stack 0
		.amdhsa_system_sgpr_private_segment_wavefront_offset 0
		.amdhsa_system_sgpr_workgroup_id_x 1
		.amdhsa_system_sgpr_workgroup_id_y 0
		.amdhsa_system_sgpr_workgroup_id_z 0
		.amdhsa_system_sgpr_workgroup_info 0
		.amdhsa_system_vgpr_workitem_id 0
		.amdhsa_next_free_vgpr 1
		.amdhsa_next_free_sgpr 0
		.amdhsa_accum_offset 4
		.amdhsa_reserve_vcc 0
		.amdhsa_reserve_flat_scratch 0
		.amdhsa_float_round_mode_32 0
		.amdhsa_float_round_mode_16_64 0
		.amdhsa_float_denorm_mode_32 3
		.amdhsa_float_denorm_mode_16_64 3
		.amdhsa_dx10_clamp 1
		.amdhsa_ieee_mode 1
		.amdhsa_fp16_overflow 0
		.amdhsa_tg_split 0
		.amdhsa_exception_fp_ieee_invalid_op 0
		.amdhsa_exception_fp_denorm_src 0
		.amdhsa_exception_fp_ieee_div_zero 0
		.amdhsa_exception_fp_ieee_overflow 0
		.amdhsa_exception_fp_ieee_underflow 0
		.amdhsa_exception_fp_ieee_inexact 0
		.amdhsa_exception_int_div_zero 0
	.end_amdhsa_kernel
	.section	.text._ZN7rocprim17ROCPRIM_400000_NS6detail17trampoline_kernelINS0_14default_configENS1_27scan_by_key_config_selectorIssEEZZNS1_16scan_by_key_implILNS1_25lookback_scan_determinismE0ELb1ES3_N6thrust23THRUST_200600_302600_NS6detail15normal_iteratorINS9_10device_ptrIsEEEESE_SE_sNS9_4plusIvEENS9_8equal_toIsEEsEE10hipError_tPvRmT2_T3_T4_T5_mT6_T7_P12ihipStream_tbENKUlT_T0_E_clISt17integral_constantIbLb0EESY_IbLb1EEEEDaSU_SV_EUlSU_E_NS1_11comp_targetILNS1_3genE0ELNS1_11target_archE4294967295ELNS1_3gpuE0ELNS1_3repE0EEENS1_30default_config_static_selectorELNS0_4arch9wavefront6targetE1EEEvT1_,"axG",@progbits,_ZN7rocprim17ROCPRIM_400000_NS6detail17trampoline_kernelINS0_14default_configENS1_27scan_by_key_config_selectorIssEEZZNS1_16scan_by_key_implILNS1_25lookback_scan_determinismE0ELb1ES3_N6thrust23THRUST_200600_302600_NS6detail15normal_iteratorINS9_10device_ptrIsEEEESE_SE_sNS9_4plusIvEENS9_8equal_toIsEEsEE10hipError_tPvRmT2_T3_T4_T5_mT6_T7_P12ihipStream_tbENKUlT_T0_E_clISt17integral_constantIbLb0EESY_IbLb1EEEEDaSU_SV_EUlSU_E_NS1_11comp_targetILNS1_3genE0ELNS1_11target_archE4294967295ELNS1_3gpuE0ELNS1_3repE0EEENS1_30default_config_static_selectorELNS0_4arch9wavefront6targetE1EEEvT1_,comdat
.Lfunc_end668:
	.size	_ZN7rocprim17ROCPRIM_400000_NS6detail17trampoline_kernelINS0_14default_configENS1_27scan_by_key_config_selectorIssEEZZNS1_16scan_by_key_implILNS1_25lookback_scan_determinismE0ELb1ES3_N6thrust23THRUST_200600_302600_NS6detail15normal_iteratorINS9_10device_ptrIsEEEESE_SE_sNS9_4plusIvEENS9_8equal_toIsEEsEE10hipError_tPvRmT2_T3_T4_T5_mT6_T7_P12ihipStream_tbENKUlT_T0_E_clISt17integral_constantIbLb0EESY_IbLb1EEEEDaSU_SV_EUlSU_E_NS1_11comp_targetILNS1_3genE0ELNS1_11target_archE4294967295ELNS1_3gpuE0ELNS1_3repE0EEENS1_30default_config_static_selectorELNS0_4arch9wavefront6targetE1EEEvT1_, .Lfunc_end668-_ZN7rocprim17ROCPRIM_400000_NS6detail17trampoline_kernelINS0_14default_configENS1_27scan_by_key_config_selectorIssEEZZNS1_16scan_by_key_implILNS1_25lookback_scan_determinismE0ELb1ES3_N6thrust23THRUST_200600_302600_NS6detail15normal_iteratorINS9_10device_ptrIsEEEESE_SE_sNS9_4plusIvEENS9_8equal_toIsEEsEE10hipError_tPvRmT2_T3_T4_T5_mT6_T7_P12ihipStream_tbENKUlT_T0_E_clISt17integral_constantIbLb0EESY_IbLb1EEEEDaSU_SV_EUlSU_E_NS1_11comp_targetILNS1_3genE0ELNS1_11target_archE4294967295ELNS1_3gpuE0ELNS1_3repE0EEENS1_30default_config_static_selectorELNS0_4arch9wavefront6targetE1EEEvT1_
                                        ; -- End function
	.section	.AMDGPU.csdata,"",@progbits
; Kernel info:
; codeLenInByte = 0
; NumSgprs: 4
; NumVgprs: 0
; NumAgprs: 0
; TotalNumVgprs: 0
; ScratchSize: 0
; MemoryBound: 0
; FloatMode: 240
; IeeeMode: 1
; LDSByteSize: 0 bytes/workgroup (compile time only)
; SGPRBlocks: 0
; VGPRBlocks: 0
; NumSGPRsForWavesPerEU: 4
; NumVGPRsForWavesPerEU: 1
; AccumOffset: 4
; Occupancy: 8
; WaveLimiterHint : 0
; COMPUTE_PGM_RSRC2:SCRATCH_EN: 0
; COMPUTE_PGM_RSRC2:USER_SGPR: 6
; COMPUTE_PGM_RSRC2:TRAP_HANDLER: 0
; COMPUTE_PGM_RSRC2:TGID_X_EN: 1
; COMPUTE_PGM_RSRC2:TGID_Y_EN: 0
; COMPUTE_PGM_RSRC2:TGID_Z_EN: 0
; COMPUTE_PGM_RSRC2:TIDIG_COMP_CNT: 0
; COMPUTE_PGM_RSRC3_GFX90A:ACCUM_OFFSET: 0
; COMPUTE_PGM_RSRC3_GFX90A:TG_SPLIT: 0
	.section	.text._ZN7rocprim17ROCPRIM_400000_NS6detail17trampoline_kernelINS0_14default_configENS1_27scan_by_key_config_selectorIssEEZZNS1_16scan_by_key_implILNS1_25lookback_scan_determinismE0ELb1ES3_N6thrust23THRUST_200600_302600_NS6detail15normal_iteratorINS9_10device_ptrIsEEEESE_SE_sNS9_4plusIvEENS9_8equal_toIsEEsEE10hipError_tPvRmT2_T3_T4_T5_mT6_T7_P12ihipStream_tbENKUlT_T0_E_clISt17integral_constantIbLb0EESY_IbLb1EEEEDaSU_SV_EUlSU_E_NS1_11comp_targetILNS1_3genE10ELNS1_11target_archE1201ELNS1_3gpuE5ELNS1_3repE0EEENS1_30default_config_static_selectorELNS0_4arch9wavefront6targetE1EEEvT1_,"axG",@progbits,_ZN7rocprim17ROCPRIM_400000_NS6detail17trampoline_kernelINS0_14default_configENS1_27scan_by_key_config_selectorIssEEZZNS1_16scan_by_key_implILNS1_25lookback_scan_determinismE0ELb1ES3_N6thrust23THRUST_200600_302600_NS6detail15normal_iteratorINS9_10device_ptrIsEEEESE_SE_sNS9_4plusIvEENS9_8equal_toIsEEsEE10hipError_tPvRmT2_T3_T4_T5_mT6_T7_P12ihipStream_tbENKUlT_T0_E_clISt17integral_constantIbLb0EESY_IbLb1EEEEDaSU_SV_EUlSU_E_NS1_11comp_targetILNS1_3genE10ELNS1_11target_archE1201ELNS1_3gpuE5ELNS1_3repE0EEENS1_30default_config_static_selectorELNS0_4arch9wavefront6targetE1EEEvT1_,comdat
	.protected	_ZN7rocprim17ROCPRIM_400000_NS6detail17trampoline_kernelINS0_14default_configENS1_27scan_by_key_config_selectorIssEEZZNS1_16scan_by_key_implILNS1_25lookback_scan_determinismE0ELb1ES3_N6thrust23THRUST_200600_302600_NS6detail15normal_iteratorINS9_10device_ptrIsEEEESE_SE_sNS9_4plusIvEENS9_8equal_toIsEEsEE10hipError_tPvRmT2_T3_T4_T5_mT6_T7_P12ihipStream_tbENKUlT_T0_E_clISt17integral_constantIbLb0EESY_IbLb1EEEEDaSU_SV_EUlSU_E_NS1_11comp_targetILNS1_3genE10ELNS1_11target_archE1201ELNS1_3gpuE5ELNS1_3repE0EEENS1_30default_config_static_selectorELNS0_4arch9wavefront6targetE1EEEvT1_ ; -- Begin function _ZN7rocprim17ROCPRIM_400000_NS6detail17trampoline_kernelINS0_14default_configENS1_27scan_by_key_config_selectorIssEEZZNS1_16scan_by_key_implILNS1_25lookback_scan_determinismE0ELb1ES3_N6thrust23THRUST_200600_302600_NS6detail15normal_iteratorINS9_10device_ptrIsEEEESE_SE_sNS9_4plusIvEENS9_8equal_toIsEEsEE10hipError_tPvRmT2_T3_T4_T5_mT6_T7_P12ihipStream_tbENKUlT_T0_E_clISt17integral_constantIbLb0EESY_IbLb1EEEEDaSU_SV_EUlSU_E_NS1_11comp_targetILNS1_3genE10ELNS1_11target_archE1201ELNS1_3gpuE5ELNS1_3repE0EEENS1_30default_config_static_selectorELNS0_4arch9wavefront6targetE1EEEvT1_
	.globl	_ZN7rocprim17ROCPRIM_400000_NS6detail17trampoline_kernelINS0_14default_configENS1_27scan_by_key_config_selectorIssEEZZNS1_16scan_by_key_implILNS1_25lookback_scan_determinismE0ELb1ES3_N6thrust23THRUST_200600_302600_NS6detail15normal_iteratorINS9_10device_ptrIsEEEESE_SE_sNS9_4plusIvEENS9_8equal_toIsEEsEE10hipError_tPvRmT2_T3_T4_T5_mT6_T7_P12ihipStream_tbENKUlT_T0_E_clISt17integral_constantIbLb0EESY_IbLb1EEEEDaSU_SV_EUlSU_E_NS1_11comp_targetILNS1_3genE10ELNS1_11target_archE1201ELNS1_3gpuE5ELNS1_3repE0EEENS1_30default_config_static_selectorELNS0_4arch9wavefront6targetE1EEEvT1_
	.p2align	8
	.type	_ZN7rocprim17ROCPRIM_400000_NS6detail17trampoline_kernelINS0_14default_configENS1_27scan_by_key_config_selectorIssEEZZNS1_16scan_by_key_implILNS1_25lookback_scan_determinismE0ELb1ES3_N6thrust23THRUST_200600_302600_NS6detail15normal_iteratorINS9_10device_ptrIsEEEESE_SE_sNS9_4plusIvEENS9_8equal_toIsEEsEE10hipError_tPvRmT2_T3_T4_T5_mT6_T7_P12ihipStream_tbENKUlT_T0_E_clISt17integral_constantIbLb0EESY_IbLb1EEEEDaSU_SV_EUlSU_E_NS1_11comp_targetILNS1_3genE10ELNS1_11target_archE1201ELNS1_3gpuE5ELNS1_3repE0EEENS1_30default_config_static_selectorELNS0_4arch9wavefront6targetE1EEEvT1_,@function
_ZN7rocprim17ROCPRIM_400000_NS6detail17trampoline_kernelINS0_14default_configENS1_27scan_by_key_config_selectorIssEEZZNS1_16scan_by_key_implILNS1_25lookback_scan_determinismE0ELb1ES3_N6thrust23THRUST_200600_302600_NS6detail15normal_iteratorINS9_10device_ptrIsEEEESE_SE_sNS9_4plusIvEENS9_8equal_toIsEEsEE10hipError_tPvRmT2_T3_T4_T5_mT6_T7_P12ihipStream_tbENKUlT_T0_E_clISt17integral_constantIbLb0EESY_IbLb1EEEEDaSU_SV_EUlSU_E_NS1_11comp_targetILNS1_3genE10ELNS1_11target_archE1201ELNS1_3gpuE5ELNS1_3repE0EEENS1_30default_config_static_selectorELNS0_4arch9wavefront6targetE1EEEvT1_: ; @_ZN7rocprim17ROCPRIM_400000_NS6detail17trampoline_kernelINS0_14default_configENS1_27scan_by_key_config_selectorIssEEZZNS1_16scan_by_key_implILNS1_25lookback_scan_determinismE0ELb1ES3_N6thrust23THRUST_200600_302600_NS6detail15normal_iteratorINS9_10device_ptrIsEEEESE_SE_sNS9_4plusIvEENS9_8equal_toIsEEsEE10hipError_tPvRmT2_T3_T4_T5_mT6_T7_P12ihipStream_tbENKUlT_T0_E_clISt17integral_constantIbLb0EESY_IbLb1EEEEDaSU_SV_EUlSU_E_NS1_11comp_targetILNS1_3genE10ELNS1_11target_archE1201ELNS1_3gpuE5ELNS1_3repE0EEENS1_30default_config_static_selectorELNS0_4arch9wavefront6targetE1EEEvT1_
; %bb.0:
	.section	.rodata,"a",@progbits
	.p2align	6, 0x0
	.amdhsa_kernel _ZN7rocprim17ROCPRIM_400000_NS6detail17trampoline_kernelINS0_14default_configENS1_27scan_by_key_config_selectorIssEEZZNS1_16scan_by_key_implILNS1_25lookback_scan_determinismE0ELb1ES3_N6thrust23THRUST_200600_302600_NS6detail15normal_iteratorINS9_10device_ptrIsEEEESE_SE_sNS9_4plusIvEENS9_8equal_toIsEEsEE10hipError_tPvRmT2_T3_T4_T5_mT6_T7_P12ihipStream_tbENKUlT_T0_E_clISt17integral_constantIbLb0EESY_IbLb1EEEEDaSU_SV_EUlSU_E_NS1_11comp_targetILNS1_3genE10ELNS1_11target_archE1201ELNS1_3gpuE5ELNS1_3repE0EEENS1_30default_config_static_selectorELNS0_4arch9wavefront6targetE1EEEvT1_
		.amdhsa_group_segment_fixed_size 0
		.amdhsa_private_segment_fixed_size 0
		.amdhsa_kernarg_size 112
		.amdhsa_user_sgpr_count 6
		.amdhsa_user_sgpr_private_segment_buffer 1
		.amdhsa_user_sgpr_dispatch_ptr 0
		.amdhsa_user_sgpr_queue_ptr 0
		.amdhsa_user_sgpr_kernarg_segment_ptr 1
		.amdhsa_user_sgpr_dispatch_id 0
		.amdhsa_user_sgpr_flat_scratch_init 0
		.amdhsa_user_sgpr_kernarg_preload_length 0
		.amdhsa_user_sgpr_kernarg_preload_offset 0
		.amdhsa_user_sgpr_private_segment_size 0
		.amdhsa_uses_dynamic_stack 0
		.amdhsa_system_sgpr_private_segment_wavefront_offset 0
		.amdhsa_system_sgpr_workgroup_id_x 1
		.amdhsa_system_sgpr_workgroup_id_y 0
		.amdhsa_system_sgpr_workgroup_id_z 0
		.amdhsa_system_sgpr_workgroup_info 0
		.amdhsa_system_vgpr_workitem_id 0
		.amdhsa_next_free_vgpr 1
		.amdhsa_next_free_sgpr 0
		.amdhsa_accum_offset 4
		.amdhsa_reserve_vcc 0
		.amdhsa_reserve_flat_scratch 0
		.amdhsa_float_round_mode_32 0
		.amdhsa_float_round_mode_16_64 0
		.amdhsa_float_denorm_mode_32 3
		.amdhsa_float_denorm_mode_16_64 3
		.amdhsa_dx10_clamp 1
		.amdhsa_ieee_mode 1
		.amdhsa_fp16_overflow 0
		.amdhsa_tg_split 0
		.amdhsa_exception_fp_ieee_invalid_op 0
		.amdhsa_exception_fp_denorm_src 0
		.amdhsa_exception_fp_ieee_div_zero 0
		.amdhsa_exception_fp_ieee_overflow 0
		.amdhsa_exception_fp_ieee_underflow 0
		.amdhsa_exception_fp_ieee_inexact 0
		.amdhsa_exception_int_div_zero 0
	.end_amdhsa_kernel
	.section	.text._ZN7rocprim17ROCPRIM_400000_NS6detail17trampoline_kernelINS0_14default_configENS1_27scan_by_key_config_selectorIssEEZZNS1_16scan_by_key_implILNS1_25lookback_scan_determinismE0ELb1ES3_N6thrust23THRUST_200600_302600_NS6detail15normal_iteratorINS9_10device_ptrIsEEEESE_SE_sNS9_4plusIvEENS9_8equal_toIsEEsEE10hipError_tPvRmT2_T3_T4_T5_mT6_T7_P12ihipStream_tbENKUlT_T0_E_clISt17integral_constantIbLb0EESY_IbLb1EEEEDaSU_SV_EUlSU_E_NS1_11comp_targetILNS1_3genE10ELNS1_11target_archE1201ELNS1_3gpuE5ELNS1_3repE0EEENS1_30default_config_static_selectorELNS0_4arch9wavefront6targetE1EEEvT1_,"axG",@progbits,_ZN7rocprim17ROCPRIM_400000_NS6detail17trampoline_kernelINS0_14default_configENS1_27scan_by_key_config_selectorIssEEZZNS1_16scan_by_key_implILNS1_25lookback_scan_determinismE0ELb1ES3_N6thrust23THRUST_200600_302600_NS6detail15normal_iteratorINS9_10device_ptrIsEEEESE_SE_sNS9_4plusIvEENS9_8equal_toIsEEsEE10hipError_tPvRmT2_T3_T4_T5_mT6_T7_P12ihipStream_tbENKUlT_T0_E_clISt17integral_constantIbLb0EESY_IbLb1EEEEDaSU_SV_EUlSU_E_NS1_11comp_targetILNS1_3genE10ELNS1_11target_archE1201ELNS1_3gpuE5ELNS1_3repE0EEENS1_30default_config_static_selectorELNS0_4arch9wavefront6targetE1EEEvT1_,comdat
.Lfunc_end669:
	.size	_ZN7rocprim17ROCPRIM_400000_NS6detail17trampoline_kernelINS0_14default_configENS1_27scan_by_key_config_selectorIssEEZZNS1_16scan_by_key_implILNS1_25lookback_scan_determinismE0ELb1ES3_N6thrust23THRUST_200600_302600_NS6detail15normal_iteratorINS9_10device_ptrIsEEEESE_SE_sNS9_4plusIvEENS9_8equal_toIsEEsEE10hipError_tPvRmT2_T3_T4_T5_mT6_T7_P12ihipStream_tbENKUlT_T0_E_clISt17integral_constantIbLb0EESY_IbLb1EEEEDaSU_SV_EUlSU_E_NS1_11comp_targetILNS1_3genE10ELNS1_11target_archE1201ELNS1_3gpuE5ELNS1_3repE0EEENS1_30default_config_static_selectorELNS0_4arch9wavefront6targetE1EEEvT1_, .Lfunc_end669-_ZN7rocprim17ROCPRIM_400000_NS6detail17trampoline_kernelINS0_14default_configENS1_27scan_by_key_config_selectorIssEEZZNS1_16scan_by_key_implILNS1_25lookback_scan_determinismE0ELb1ES3_N6thrust23THRUST_200600_302600_NS6detail15normal_iteratorINS9_10device_ptrIsEEEESE_SE_sNS9_4plusIvEENS9_8equal_toIsEEsEE10hipError_tPvRmT2_T3_T4_T5_mT6_T7_P12ihipStream_tbENKUlT_T0_E_clISt17integral_constantIbLb0EESY_IbLb1EEEEDaSU_SV_EUlSU_E_NS1_11comp_targetILNS1_3genE10ELNS1_11target_archE1201ELNS1_3gpuE5ELNS1_3repE0EEENS1_30default_config_static_selectorELNS0_4arch9wavefront6targetE1EEEvT1_
                                        ; -- End function
	.section	.AMDGPU.csdata,"",@progbits
; Kernel info:
; codeLenInByte = 0
; NumSgprs: 4
; NumVgprs: 0
; NumAgprs: 0
; TotalNumVgprs: 0
; ScratchSize: 0
; MemoryBound: 0
; FloatMode: 240
; IeeeMode: 1
; LDSByteSize: 0 bytes/workgroup (compile time only)
; SGPRBlocks: 0
; VGPRBlocks: 0
; NumSGPRsForWavesPerEU: 4
; NumVGPRsForWavesPerEU: 1
; AccumOffset: 4
; Occupancy: 8
; WaveLimiterHint : 0
; COMPUTE_PGM_RSRC2:SCRATCH_EN: 0
; COMPUTE_PGM_RSRC2:USER_SGPR: 6
; COMPUTE_PGM_RSRC2:TRAP_HANDLER: 0
; COMPUTE_PGM_RSRC2:TGID_X_EN: 1
; COMPUTE_PGM_RSRC2:TGID_Y_EN: 0
; COMPUTE_PGM_RSRC2:TGID_Z_EN: 0
; COMPUTE_PGM_RSRC2:TIDIG_COMP_CNT: 0
; COMPUTE_PGM_RSRC3_GFX90A:ACCUM_OFFSET: 0
; COMPUTE_PGM_RSRC3_GFX90A:TG_SPLIT: 0
	.section	.text._ZN7rocprim17ROCPRIM_400000_NS6detail17trampoline_kernelINS0_14default_configENS1_27scan_by_key_config_selectorIssEEZZNS1_16scan_by_key_implILNS1_25lookback_scan_determinismE0ELb1ES3_N6thrust23THRUST_200600_302600_NS6detail15normal_iteratorINS9_10device_ptrIsEEEESE_SE_sNS9_4plusIvEENS9_8equal_toIsEEsEE10hipError_tPvRmT2_T3_T4_T5_mT6_T7_P12ihipStream_tbENKUlT_T0_E_clISt17integral_constantIbLb0EESY_IbLb1EEEEDaSU_SV_EUlSU_E_NS1_11comp_targetILNS1_3genE5ELNS1_11target_archE942ELNS1_3gpuE9ELNS1_3repE0EEENS1_30default_config_static_selectorELNS0_4arch9wavefront6targetE1EEEvT1_,"axG",@progbits,_ZN7rocprim17ROCPRIM_400000_NS6detail17trampoline_kernelINS0_14default_configENS1_27scan_by_key_config_selectorIssEEZZNS1_16scan_by_key_implILNS1_25lookback_scan_determinismE0ELb1ES3_N6thrust23THRUST_200600_302600_NS6detail15normal_iteratorINS9_10device_ptrIsEEEESE_SE_sNS9_4plusIvEENS9_8equal_toIsEEsEE10hipError_tPvRmT2_T3_T4_T5_mT6_T7_P12ihipStream_tbENKUlT_T0_E_clISt17integral_constantIbLb0EESY_IbLb1EEEEDaSU_SV_EUlSU_E_NS1_11comp_targetILNS1_3genE5ELNS1_11target_archE942ELNS1_3gpuE9ELNS1_3repE0EEENS1_30default_config_static_selectorELNS0_4arch9wavefront6targetE1EEEvT1_,comdat
	.protected	_ZN7rocprim17ROCPRIM_400000_NS6detail17trampoline_kernelINS0_14default_configENS1_27scan_by_key_config_selectorIssEEZZNS1_16scan_by_key_implILNS1_25lookback_scan_determinismE0ELb1ES3_N6thrust23THRUST_200600_302600_NS6detail15normal_iteratorINS9_10device_ptrIsEEEESE_SE_sNS9_4plusIvEENS9_8equal_toIsEEsEE10hipError_tPvRmT2_T3_T4_T5_mT6_T7_P12ihipStream_tbENKUlT_T0_E_clISt17integral_constantIbLb0EESY_IbLb1EEEEDaSU_SV_EUlSU_E_NS1_11comp_targetILNS1_3genE5ELNS1_11target_archE942ELNS1_3gpuE9ELNS1_3repE0EEENS1_30default_config_static_selectorELNS0_4arch9wavefront6targetE1EEEvT1_ ; -- Begin function _ZN7rocprim17ROCPRIM_400000_NS6detail17trampoline_kernelINS0_14default_configENS1_27scan_by_key_config_selectorIssEEZZNS1_16scan_by_key_implILNS1_25lookback_scan_determinismE0ELb1ES3_N6thrust23THRUST_200600_302600_NS6detail15normal_iteratorINS9_10device_ptrIsEEEESE_SE_sNS9_4plusIvEENS9_8equal_toIsEEsEE10hipError_tPvRmT2_T3_T4_T5_mT6_T7_P12ihipStream_tbENKUlT_T0_E_clISt17integral_constantIbLb0EESY_IbLb1EEEEDaSU_SV_EUlSU_E_NS1_11comp_targetILNS1_3genE5ELNS1_11target_archE942ELNS1_3gpuE9ELNS1_3repE0EEENS1_30default_config_static_selectorELNS0_4arch9wavefront6targetE1EEEvT1_
	.globl	_ZN7rocprim17ROCPRIM_400000_NS6detail17trampoline_kernelINS0_14default_configENS1_27scan_by_key_config_selectorIssEEZZNS1_16scan_by_key_implILNS1_25lookback_scan_determinismE0ELb1ES3_N6thrust23THRUST_200600_302600_NS6detail15normal_iteratorINS9_10device_ptrIsEEEESE_SE_sNS9_4plusIvEENS9_8equal_toIsEEsEE10hipError_tPvRmT2_T3_T4_T5_mT6_T7_P12ihipStream_tbENKUlT_T0_E_clISt17integral_constantIbLb0EESY_IbLb1EEEEDaSU_SV_EUlSU_E_NS1_11comp_targetILNS1_3genE5ELNS1_11target_archE942ELNS1_3gpuE9ELNS1_3repE0EEENS1_30default_config_static_selectorELNS0_4arch9wavefront6targetE1EEEvT1_
	.p2align	8
	.type	_ZN7rocprim17ROCPRIM_400000_NS6detail17trampoline_kernelINS0_14default_configENS1_27scan_by_key_config_selectorIssEEZZNS1_16scan_by_key_implILNS1_25lookback_scan_determinismE0ELb1ES3_N6thrust23THRUST_200600_302600_NS6detail15normal_iteratorINS9_10device_ptrIsEEEESE_SE_sNS9_4plusIvEENS9_8equal_toIsEEsEE10hipError_tPvRmT2_T3_T4_T5_mT6_T7_P12ihipStream_tbENKUlT_T0_E_clISt17integral_constantIbLb0EESY_IbLb1EEEEDaSU_SV_EUlSU_E_NS1_11comp_targetILNS1_3genE5ELNS1_11target_archE942ELNS1_3gpuE9ELNS1_3repE0EEENS1_30default_config_static_selectorELNS0_4arch9wavefront6targetE1EEEvT1_,@function
_ZN7rocprim17ROCPRIM_400000_NS6detail17trampoline_kernelINS0_14default_configENS1_27scan_by_key_config_selectorIssEEZZNS1_16scan_by_key_implILNS1_25lookback_scan_determinismE0ELb1ES3_N6thrust23THRUST_200600_302600_NS6detail15normal_iteratorINS9_10device_ptrIsEEEESE_SE_sNS9_4plusIvEENS9_8equal_toIsEEsEE10hipError_tPvRmT2_T3_T4_T5_mT6_T7_P12ihipStream_tbENKUlT_T0_E_clISt17integral_constantIbLb0EESY_IbLb1EEEEDaSU_SV_EUlSU_E_NS1_11comp_targetILNS1_3genE5ELNS1_11target_archE942ELNS1_3gpuE9ELNS1_3repE0EEENS1_30default_config_static_selectorELNS0_4arch9wavefront6targetE1EEEvT1_: ; @_ZN7rocprim17ROCPRIM_400000_NS6detail17trampoline_kernelINS0_14default_configENS1_27scan_by_key_config_selectorIssEEZZNS1_16scan_by_key_implILNS1_25lookback_scan_determinismE0ELb1ES3_N6thrust23THRUST_200600_302600_NS6detail15normal_iteratorINS9_10device_ptrIsEEEESE_SE_sNS9_4plusIvEENS9_8equal_toIsEEsEE10hipError_tPvRmT2_T3_T4_T5_mT6_T7_P12ihipStream_tbENKUlT_T0_E_clISt17integral_constantIbLb0EESY_IbLb1EEEEDaSU_SV_EUlSU_E_NS1_11comp_targetILNS1_3genE5ELNS1_11target_archE942ELNS1_3gpuE9ELNS1_3repE0EEENS1_30default_config_static_selectorELNS0_4arch9wavefront6targetE1EEEvT1_
; %bb.0:
	.section	.rodata,"a",@progbits
	.p2align	6, 0x0
	.amdhsa_kernel _ZN7rocprim17ROCPRIM_400000_NS6detail17trampoline_kernelINS0_14default_configENS1_27scan_by_key_config_selectorIssEEZZNS1_16scan_by_key_implILNS1_25lookback_scan_determinismE0ELb1ES3_N6thrust23THRUST_200600_302600_NS6detail15normal_iteratorINS9_10device_ptrIsEEEESE_SE_sNS9_4plusIvEENS9_8equal_toIsEEsEE10hipError_tPvRmT2_T3_T4_T5_mT6_T7_P12ihipStream_tbENKUlT_T0_E_clISt17integral_constantIbLb0EESY_IbLb1EEEEDaSU_SV_EUlSU_E_NS1_11comp_targetILNS1_3genE5ELNS1_11target_archE942ELNS1_3gpuE9ELNS1_3repE0EEENS1_30default_config_static_selectorELNS0_4arch9wavefront6targetE1EEEvT1_
		.amdhsa_group_segment_fixed_size 0
		.amdhsa_private_segment_fixed_size 0
		.amdhsa_kernarg_size 112
		.amdhsa_user_sgpr_count 6
		.amdhsa_user_sgpr_private_segment_buffer 1
		.amdhsa_user_sgpr_dispatch_ptr 0
		.amdhsa_user_sgpr_queue_ptr 0
		.amdhsa_user_sgpr_kernarg_segment_ptr 1
		.amdhsa_user_sgpr_dispatch_id 0
		.amdhsa_user_sgpr_flat_scratch_init 0
		.amdhsa_user_sgpr_kernarg_preload_length 0
		.amdhsa_user_sgpr_kernarg_preload_offset 0
		.amdhsa_user_sgpr_private_segment_size 0
		.amdhsa_uses_dynamic_stack 0
		.amdhsa_system_sgpr_private_segment_wavefront_offset 0
		.amdhsa_system_sgpr_workgroup_id_x 1
		.amdhsa_system_sgpr_workgroup_id_y 0
		.amdhsa_system_sgpr_workgroup_id_z 0
		.amdhsa_system_sgpr_workgroup_info 0
		.amdhsa_system_vgpr_workitem_id 0
		.amdhsa_next_free_vgpr 1
		.amdhsa_next_free_sgpr 0
		.amdhsa_accum_offset 4
		.amdhsa_reserve_vcc 0
		.amdhsa_reserve_flat_scratch 0
		.amdhsa_float_round_mode_32 0
		.amdhsa_float_round_mode_16_64 0
		.amdhsa_float_denorm_mode_32 3
		.amdhsa_float_denorm_mode_16_64 3
		.amdhsa_dx10_clamp 1
		.amdhsa_ieee_mode 1
		.amdhsa_fp16_overflow 0
		.amdhsa_tg_split 0
		.amdhsa_exception_fp_ieee_invalid_op 0
		.amdhsa_exception_fp_denorm_src 0
		.amdhsa_exception_fp_ieee_div_zero 0
		.amdhsa_exception_fp_ieee_overflow 0
		.amdhsa_exception_fp_ieee_underflow 0
		.amdhsa_exception_fp_ieee_inexact 0
		.amdhsa_exception_int_div_zero 0
	.end_amdhsa_kernel
	.section	.text._ZN7rocprim17ROCPRIM_400000_NS6detail17trampoline_kernelINS0_14default_configENS1_27scan_by_key_config_selectorIssEEZZNS1_16scan_by_key_implILNS1_25lookback_scan_determinismE0ELb1ES3_N6thrust23THRUST_200600_302600_NS6detail15normal_iteratorINS9_10device_ptrIsEEEESE_SE_sNS9_4plusIvEENS9_8equal_toIsEEsEE10hipError_tPvRmT2_T3_T4_T5_mT6_T7_P12ihipStream_tbENKUlT_T0_E_clISt17integral_constantIbLb0EESY_IbLb1EEEEDaSU_SV_EUlSU_E_NS1_11comp_targetILNS1_3genE5ELNS1_11target_archE942ELNS1_3gpuE9ELNS1_3repE0EEENS1_30default_config_static_selectorELNS0_4arch9wavefront6targetE1EEEvT1_,"axG",@progbits,_ZN7rocprim17ROCPRIM_400000_NS6detail17trampoline_kernelINS0_14default_configENS1_27scan_by_key_config_selectorIssEEZZNS1_16scan_by_key_implILNS1_25lookback_scan_determinismE0ELb1ES3_N6thrust23THRUST_200600_302600_NS6detail15normal_iteratorINS9_10device_ptrIsEEEESE_SE_sNS9_4plusIvEENS9_8equal_toIsEEsEE10hipError_tPvRmT2_T3_T4_T5_mT6_T7_P12ihipStream_tbENKUlT_T0_E_clISt17integral_constantIbLb0EESY_IbLb1EEEEDaSU_SV_EUlSU_E_NS1_11comp_targetILNS1_3genE5ELNS1_11target_archE942ELNS1_3gpuE9ELNS1_3repE0EEENS1_30default_config_static_selectorELNS0_4arch9wavefront6targetE1EEEvT1_,comdat
.Lfunc_end670:
	.size	_ZN7rocprim17ROCPRIM_400000_NS6detail17trampoline_kernelINS0_14default_configENS1_27scan_by_key_config_selectorIssEEZZNS1_16scan_by_key_implILNS1_25lookback_scan_determinismE0ELb1ES3_N6thrust23THRUST_200600_302600_NS6detail15normal_iteratorINS9_10device_ptrIsEEEESE_SE_sNS9_4plusIvEENS9_8equal_toIsEEsEE10hipError_tPvRmT2_T3_T4_T5_mT6_T7_P12ihipStream_tbENKUlT_T0_E_clISt17integral_constantIbLb0EESY_IbLb1EEEEDaSU_SV_EUlSU_E_NS1_11comp_targetILNS1_3genE5ELNS1_11target_archE942ELNS1_3gpuE9ELNS1_3repE0EEENS1_30default_config_static_selectorELNS0_4arch9wavefront6targetE1EEEvT1_, .Lfunc_end670-_ZN7rocprim17ROCPRIM_400000_NS6detail17trampoline_kernelINS0_14default_configENS1_27scan_by_key_config_selectorIssEEZZNS1_16scan_by_key_implILNS1_25lookback_scan_determinismE0ELb1ES3_N6thrust23THRUST_200600_302600_NS6detail15normal_iteratorINS9_10device_ptrIsEEEESE_SE_sNS9_4plusIvEENS9_8equal_toIsEEsEE10hipError_tPvRmT2_T3_T4_T5_mT6_T7_P12ihipStream_tbENKUlT_T0_E_clISt17integral_constantIbLb0EESY_IbLb1EEEEDaSU_SV_EUlSU_E_NS1_11comp_targetILNS1_3genE5ELNS1_11target_archE942ELNS1_3gpuE9ELNS1_3repE0EEENS1_30default_config_static_selectorELNS0_4arch9wavefront6targetE1EEEvT1_
                                        ; -- End function
	.section	.AMDGPU.csdata,"",@progbits
; Kernel info:
; codeLenInByte = 0
; NumSgprs: 4
; NumVgprs: 0
; NumAgprs: 0
; TotalNumVgprs: 0
; ScratchSize: 0
; MemoryBound: 0
; FloatMode: 240
; IeeeMode: 1
; LDSByteSize: 0 bytes/workgroup (compile time only)
; SGPRBlocks: 0
; VGPRBlocks: 0
; NumSGPRsForWavesPerEU: 4
; NumVGPRsForWavesPerEU: 1
; AccumOffset: 4
; Occupancy: 8
; WaveLimiterHint : 0
; COMPUTE_PGM_RSRC2:SCRATCH_EN: 0
; COMPUTE_PGM_RSRC2:USER_SGPR: 6
; COMPUTE_PGM_RSRC2:TRAP_HANDLER: 0
; COMPUTE_PGM_RSRC2:TGID_X_EN: 1
; COMPUTE_PGM_RSRC2:TGID_Y_EN: 0
; COMPUTE_PGM_RSRC2:TGID_Z_EN: 0
; COMPUTE_PGM_RSRC2:TIDIG_COMP_CNT: 0
; COMPUTE_PGM_RSRC3_GFX90A:ACCUM_OFFSET: 0
; COMPUTE_PGM_RSRC3_GFX90A:TG_SPLIT: 0
	.section	.text._ZN7rocprim17ROCPRIM_400000_NS6detail17trampoline_kernelINS0_14default_configENS1_27scan_by_key_config_selectorIssEEZZNS1_16scan_by_key_implILNS1_25lookback_scan_determinismE0ELb1ES3_N6thrust23THRUST_200600_302600_NS6detail15normal_iteratorINS9_10device_ptrIsEEEESE_SE_sNS9_4plusIvEENS9_8equal_toIsEEsEE10hipError_tPvRmT2_T3_T4_T5_mT6_T7_P12ihipStream_tbENKUlT_T0_E_clISt17integral_constantIbLb0EESY_IbLb1EEEEDaSU_SV_EUlSU_E_NS1_11comp_targetILNS1_3genE4ELNS1_11target_archE910ELNS1_3gpuE8ELNS1_3repE0EEENS1_30default_config_static_selectorELNS0_4arch9wavefront6targetE1EEEvT1_,"axG",@progbits,_ZN7rocprim17ROCPRIM_400000_NS6detail17trampoline_kernelINS0_14default_configENS1_27scan_by_key_config_selectorIssEEZZNS1_16scan_by_key_implILNS1_25lookback_scan_determinismE0ELb1ES3_N6thrust23THRUST_200600_302600_NS6detail15normal_iteratorINS9_10device_ptrIsEEEESE_SE_sNS9_4plusIvEENS9_8equal_toIsEEsEE10hipError_tPvRmT2_T3_T4_T5_mT6_T7_P12ihipStream_tbENKUlT_T0_E_clISt17integral_constantIbLb0EESY_IbLb1EEEEDaSU_SV_EUlSU_E_NS1_11comp_targetILNS1_3genE4ELNS1_11target_archE910ELNS1_3gpuE8ELNS1_3repE0EEENS1_30default_config_static_selectorELNS0_4arch9wavefront6targetE1EEEvT1_,comdat
	.protected	_ZN7rocprim17ROCPRIM_400000_NS6detail17trampoline_kernelINS0_14default_configENS1_27scan_by_key_config_selectorIssEEZZNS1_16scan_by_key_implILNS1_25lookback_scan_determinismE0ELb1ES3_N6thrust23THRUST_200600_302600_NS6detail15normal_iteratorINS9_10device_ptrIsEEEESE_SE_sNS9_4plusIvEENS9_8equal_toIsEEsEE10hipError_tPvRmT2_T3_T4_T5_mT6_T7_P12ihipStream_tbENKUlT_T0_E_clISt17integral_constantIbLb0EESY_IbLb1EEEEDaSU_SV_EUlSU_E_NS1_11comp_targetILNS1_3genE4ELNS1_11target_archE910ELNS1_3gpuE8ELNS1_3repE0EEENS1_30default_config_static_selectorELNS0_4arch9wavefront6targetE1EEEvT1_ ; -- Begin function _ZN7rocprim17ROCPRIM_400000_NS6detail17trampoline_kernelINS0_14default_configENS1_27scan_by_key_config_selectorIssEEZZNS1_16scan_by_key_implILNS1_25lookback_scan_determinismE0ELb1ES3_N6thrust23THRUST_200600_302600_NS6detail15normal_iteratorINS9_10device_ptrIsEEEESE_SE_sNS9_4plusIvEENS9_8equal_toIsEEsEE10hipError_tPvRmT2_T3_T4_T5_mT6_T7_P12ihipStream_tbENKUlT_T0_E_clISt17integral_constantIbLb0EESY_IbLb1EEEEDaSU_SV_EUlSU_E_NS1_11comp_targetILNS1_3genE4ELNS1_11target_archE910ELNS1_3gpuE8ELNS1_3repE0EEENS1_30default_config_static_selectorELNS0_4arch9wavefront6targetE1EEEvT1_
	.globl	_ZN7rocprim17ROCPRIM_400000_NS6detail17trampoline_kernelINS0_14default_configENS1_27scan_by_key_config_selectorIssEEZZNS1_16scan_by_key_implILNS1_25lookback_scan_determinismE0ELb1ES3_N6thrust23THRUST_200600_302600_NS6detail15normal_iteratorINS9_10device_ptrIsEEEESE_SE_sNS9_4plusIvEENS9_8equal_toIsEEsEE10hipError_tPvRmT2_T3_T4_T5_mT6_T7_P12ihipStream_tbENKUlT_T0_E_clISt17integral_constantIbLb0EESY_IbLb1EEEEDaSU_SV_EUlSU_E_NS1_11comp_targetILNS1_3genE4ELNS1_11target_archE910ELNS1_3gpuE8ELNS1_3repE0EEENS1_30default_config_static_selectorELNS0_4arch9wavefront6targetE1EEEvT1_
	.p2align	8
	.type	_ZN7rocprim17ROCPRIM_400000_NS6detail17trampoline_kernelINS0_14default_configENS1_27scan_by_key_config_selectorIssEEZZNS1_16scan_by_key_implILNS1_25lookback_scan_determinismE0ELb1ES3_N6thrust23THRUST_200600_302600_NS6detail15normal_iteratorINS9_10device_ptrIsEEEESE_SE_sNS9_4plusIvEENS9_8equal_toIsEEsEE10hipError_tPvRmT2_T3_T4_T5_mT6_T7_P12ihipStream_tbENKUlT_T0_E_clISt17integral_constantIbLb0EESY_IbLb1EEEEDaSU_SV_EUlSU_E_NS1_11comp_targetILNS1_3genE4ELNS1_11target_archE910ELNS1_3gpuE8ELNS1_3repE0EEENS1_30default_config_static_selectorELNS0_4arch9wavefront6targetE1EEEvT1_,@function
_ZN7rocprim17ROCPRIM_400000_NS6detail17trampoline_kernelINS0_14default_configENS1_27scan_by_key_config_selectorIssEEZZNS1_16scan_by_key_implILNS1_25lookback_scan_determinismE0ELb1ES3_N6thrust23THRUST_200600_302600_NS6detail15normal_iteratorINS9_10device_ptrIsEEEESE_SE_sNS9_4plusIvEENS9_8equal_toIsEEsEE10hipError_tPvRmT2_T3_T4_T5_mT6_T7_P12ihipStream_tbENKUlT_T0_E_clISt17integral_constantIbLb0EESY_IbLb1EEEEDaSU_SV_EUlSU_E_NS1_11comp_targetILNS1_3genE4ELNS1_11target_archE910ELNS1_3gpuE8ELNS1_3repE0EEENS1_30default_config_static_selectorELNS0_4arch9wavefront6targetE1EEEvT1_: ; @_ZN7rocprim17ROCPRIM_400000_NS6detail17trampoline_kernelINS0_14default_configENS1_27scan_by_key_config_selectorIssEEZZNS1_16scan_by_key_implILNS1_25lookback_scan_determinismE0ELb1ES3_N6thrust23THRUST_200600_302600_NS6detail15normal_iteratorINS9_10device_ptrIsEEEESE_SE_sNS9_4plusIvEENS9_8equal_toIsEEsEE10hipError_tPvRmT2_T3_T4_T5_mT6_T7_P12ihipStream_tbENKUlT_T0_E_clISt17integral_constantIbLb0EESY_IbLb1EEEEDaSU_SV_EUlSU_E_NS1_11comp_targetILNS1_3genE4ELNS1_11target_archE910ELNS1_3gpuE8ELNS1_3repE0EEENS1_30default_config_static_selectorELNS0_4arch9wavefront6targetE1EEEvT1_
; %bb.0:
	s_load_dword s70, s[4:5], 0x20
	s_load_dwordx4 s[60:63], s[4:5], 0x28
	s_load_dwordx2 s[68:69], s[4:5], 0x38
	v_cmp_ne_u32_e64 s[50:51], 0, v0
	v_cmp_eq_u32_e64 s[0:1], 0, v0
	s_and_saveexec_b64 s[2:3], s[0:1]
	s_cbranch_execz .LBB671_4
; %bb.1:
	s_mov_b64 s[8:9], exec
	v_mbcnt_lo_u32_b32 v1, s8, 0
	v_mbcnt_hi_u32_b32 v1, s9, v1
	v_cmp_eq_u32_e32 vcc, 0, v1
                                        ; implicit-def: $vgpr2
	s_and_saveexec_b64 s[6:7], vcc
	s_cbranch_execz .LBB671_3
; %bb.2:
	s_load_dwordx2 s[10:11], s[4:5], 0x68
	s_bcnt1_i32_b64 s8, s[8:9]
	v_mov_b32_e32 v2, 0
	v_mov_b32_e32 v3, s8
	s_waitcnt lgkmcnt(0)
	global_atomic_add v2, v2, v3, s[10:11] glc
.LBB671_3:
	s_or_b64 exec, exec, s[6:7]
	s_waitcnt vmcnt(0)
	v_readfirstlane_b32 s6, v2
	v_add_u32_e32 v1, s6, v1
	v_mov_b32_e32 v2, 0
	ds_write_b32 v2, v1
.LBB671_4:
	s_or_b64 exec, exec, s[2:3]
	s_load_dwordx8 s[52:59], s[4:5], 0x0
	s_load_dword s2, s[4:5], 0x40
	s_load_dwordx4 s[64:67], s[4:5], 0x48
	v_mov_b32_e32 v3, 0
	s_waitcnt lgkmcnt(0)
	s_lshl_b64 s[54:55], s[54:55], 1
	s_barrier
	ds_read_b32 v1, v3
	s_add_u32 s3, s52, s54
	s_addc_u32 s4, s53, s55
	s_add_u32 s5, s56, s54
	s_mul_i32 s7, s69, s2
	s_mul_hi_u32 s8, s68, s2
	s_addc_u32 s6, s57, s55
	s_add_i32 s7, s8, s7
	s_movk_i32 s8, 0x1600
	s_waitcnt lgkmcnt(0)
	v_mul_lo_u32 v2, v1, s8
	v_lshlrev_b64 v[10:11], 1, v[2:3]
	v_mov_b32_e32 v2, s4
	v_add_co_u32_e32 v6, vcc, s3, v10
	v_addc_co_u32_e32 v7, vcc, v2, v11, vcc
	v_mov_b32_e32 v2, s6
	v_add_co_u32_e32 v23, vcc, s5, v10
	s_mul_i32 s2, s68, s2
	v_addc_co_u32_e32 v38, vcc, v2, v11, vcc
	v_mov_b32_e32 v3, s7
	v_add_co_u32_e32 v2, vcc, s2, v1
	s_add_u32 s6, s64, -1
	v_addc_co_u32_e32 v3, vcc, 0, v3, vcc
	s_addc_u32 s7, s65, -1
	v_cmp_le_u64_e64 s[2:3], s[6:7], v[2:3]
	v_readfirstlane_b32 s63, v1
	s_mov_b64 s[4:5], -1
	s_and_b64 vcc, exec, s[2:3]
	s_mul_i32 s33, s6, 0xffffea00
	s_barrier
	s_barrier
	s_cbranch_vccz .LBB671_120
; %bb.5:
	flat_load_ushort v8, v[6:7]
	s_add_i32 s72, s33, s62
	v_cmp_gt_u32_e32 vcc, s72, v0
	s_waitcnt vmcnt(0) lgkmcnt(0)
	v_mov_b32_e32 v9, v8
	s_and_saveexec_b64 s[6:7], vcc
	s_cbranch_execz .LBB671_7
; %bb.6:
	v_lshlrev_b32_e32 v1, 1, v0
	v_add_co_u32_e64 v2, s[4:5], v6, v1
	v_addc_co_u32_e64 v3, s[4:5], 0, v7, s[4:5]
	flat_load_ushort v9, v[2:3]
.LBB671_7:
	s_or_b64 exec, exec, s[6:7]
	v_or_b32_e32 v1, 0x100, v0
	v_cmp_gt_u32_e64 s[6:7], s72, v1
	v_mov_b32_e32 v12, v8
	s_and_saveexec_b64 s[8:9], s[6:7]
	s_cbranch_execz .LBB671_9
; %bb.8:
	v_lshlrev_b32_e32 v1, 1, v0
	v_add_co_u32_e64 v2, s[4:5], v6, v1
	v_addc_co_u32_e64 v3, s[4:5], 0, v7, s[4:5]
	flat_load_ushort v12, v[2:3] offset:512
.LBB671_9:
	s_or_b64 exec, exec, s[8:9]
	v_or_b32_e32 v1, 0x200, v0
	v_cmp_gt_u32_e64 s[8:9], s72, v1
	v_mov_b32_e32 v13, v8
	s_and_saveexec_b64 s[10:11], s[8:9]
	s_cbranch_execz .LBB671_11
; %bb.10:
	v_lshlrev_b32_e32 v1, 1, v0
	v_add_co_u32_e64 v2, s[4:5], v6, v1
	v_addc_co_u32_e64 v3, s[4:5], 0, v7, s[4:5]
	flat_load_ushort v13, v[2:3] offset:1024
.LBB671_11:
	;; [unrolled: 12-line block ×7, first 2 shown]
	s_or_b64 exec, exec, s[20:21]
	v_or_b32_e32 v1, 0x800, v0
	v_cmp_gt_u32_e64 s[20:21], s72, v1
	v_lshlrev_b32_e32 v1, 1, v1
	v_mov_b32_e32 v19, v8
	s_and_saveexec_b64 s[22:23], s[20:21]
	s_cbranch_execz .LBB671_23
; %bb.22:
	v_add_co_u32_e64 v2, s[4:5], v6, v1
	v_addc_co_u32_e64 v3, s[4:5], 0, v7, s[4:5]
	flat_load_ushort v19, v[2:3]
.LBB671_23:
	s_or_b64 exec, exec, s[22:23]
	v_or_b32_e32 v2, 0x900, v0
	v_cmp_gt_u32_e64 s[22:23], s72, v2
	v_lshlrev_b32_e32 v2, 1, v2
	v_mov_b32_e32 v31, v8
	s_and_saveexec_b64 s[24:25], s[22:23]
	s_cbranch_execz .LBB671_25
; %bb.24:
	v_add_co_u32_e64 v4, s[4:5], v6, v2
	v_addc_co_u32_e64 v5, s[4:5], 0, v7, s[4:5]
	flat_load_ushort v31, v[4:5]
.LBB671_25:
	;; [unrolled: 12-line block ×13, first 2 shown]
	s_or_b64 exec, exec, s[48:49]
	v_or_b32_e32 v25, 0x1500, v0
	v_cmp_gt_u32_e64 s[48:49], s72, v25
	v_lshlrev_b32_e32 v30, 1, v25
	s_and_saveexec_b64 s[52:53], s[48:49]
	s_cbranch_execz .LBB671_49
; %bb.48:
	v_add_co_u32_e64 v44, s[4:5], v6, v30
	v_addc_co_u32_e64 v45, s[4:5], 0, v7, s[4:5]
	flat_load_ushort v8, v[44:45]
.LBB671_49:
	s_or_b64 exec, exec, s[52:53]
	v_lshlrev_b32_e32 v25, 1, v0
	s_waitcnt vmcnt(0) lgkmcnt(0)
	ds_write_b16 v25, v9
	ds_write_b16 v25, v12 offset:512
	ds_write_b16 v25, v13 offset:1024
	;; [unrolled: 1-line block ×21, first 2 shown]
	s_waitcnt lgkmcnt(0)
	s_barrier
	flat_load_ushort v42, v[6:7]
	v_mad_u32_u24 v44, v0, 42, v25
	s_movk_i32 s4, 0xffd6
	v_mad_i32_i24 v31, v0, s4, v44
	s_movk_i32 s4, 0xff
	v_cmp_ne_u32_e64 s[4:5], s4, v0
	ds_read2_b32 v[18:19], v44 offset1:1
	ds_read2_b32 v[16:17], v44 offset0:2 offset1:3
	ds_read2_b32 v[14:15], v44 offset0:4 offset1:5
	;; [unrolled: 1-line block ×4, first 2 shown]
	ds_read_b32 v45, v44 offset:40
	s_waitcnt lgkmcnt(0)
	ds_write_b16 v31, v18 offset:11776
	s_waitcnt lgkmcnt(0)
	s_barrier
	s_and_saveexec_b64 s[52:53], s[4:5]
	s_cbranch_execz .LBB671_51
; %bb.50:
	s_waitcnt vmcnt(0)
	ds_read_u16 v42, v25 offset:11778
.LBB671_51:
	s_or_b64 exec, exec, s[52:53]
	s_waitcnt lgkmcnt(0)
	s_barrier
	s_waitcnt lgkmcnt(0)
                                        ; implicit-def: $vgpr31
	s_and_saveexec_b64 s[4:5], vcc
	s_cbranch_execz .LBB671_189
; %bb.52:
	v_add_co_u32_e32 v32, vcc, v23, v25
	v_addc_co_u32_e32 v33, vcc, 0, v38, vcc
	flat_load_ushort v31, v[32:33]
	s_or_b64 exec, exec, s[4:5]
                                        ; implicit-def: $vgpr32
	s_and_saveexec_b64 s[4:5], s[6:7]
	s_cbranch_execnz .LBB671_190
.LBB671_53:
	s_or_b64 exec, exec, s[4:5]
                                        ; implicit-def: $vgpr33
	s_and_saveexec_b64 s[4:5], s[8:9]
	s_cbranch_execz .LBB671_191
.LBB671_54:
	v_add_co_u32_e32 v34, vcc, v23, v25
	v_addc_co_u32_e32 v35, vcc, 0, v38, vcc
	flat_load_ushort v33, v[34:35] offset:1024
	s_or_b64 exec, exec, s[4:5]
                                        ; implicit-def: $vgpr34
	s_and_saveexec_b64 s[4:5], s[10:11]
	s_cbranch_execnz .LBB671_192
.LBB671_55:
	s_or_b64 exec, exec, s[4:5]
                                        ; implicit-def: $vgpr35
	s_and_saveexec_b64 s[4:5], s[12:13]
	s_cbranch_execz .LBB671_193
.LBB671_56:
	v_add_co_u32_e32 v36, vcc, v23, v25
	v_addc_co_u32_e32 v37, vcc, 0, v38, vcc
	flat_load_ushort v35, v[36:37] offset:2048
	s_or_b64 exec, exec, s[4:5]
                                        ; implicit-def: $vgpr36
	s_and_saveexec_b64 s[4:5], s[14:15]
	s_cbranch_execnz .LBB671_194
.LBB671_57:
	s_or_b64 exec, exec, s[4:5]
                                        ; implicit-def: $vgpr37
	s_and_saveexec_b64 s[4:5], s[16:17]
	s_cbranch_execz .LBB671_195
.LBB671_58:
	v_add_co_u32_e32 v40, vcc, v23, v25
	v_addc_co_u32_e32 v41, vcc, 0, v38, vcc
	flat_load_ushort v37, v[40:41] offset:3072
	s_or_b64 exec, exec, s[4:5]
                                        ; implicit-def: $vgpr39
	s_and_saveexec_b64 s[4:5], s[18:19]
	s_cbranch_execnz .LBB671_196
.LBB671_59:
	s_or_b64 exec, exec, s[4:5]
                                        ; implicit-def: $vgpr40
	s_and_saveexec_b64 s[4:5], s[20:21]
	s_cbranch_execz .LBB671_197
.LBB671_60:
	v_add_co_u32_e32 v40, vcc, v23, v1
	v_addc_co_u32_e32 v41, vcc, 0, v38, vcc
	flat_load_ushort v40, v[40:41]
	s_or_b64 exec, exec, s[4:5]
                                        ; implicit-def: $vgpr1
	s_and_saveexec_b64 s[4:5], s[22:23]
	s_cbranch_execnz .LBB671_198
.LBB671_61:
	s_or_b64 exec, exec, s[4:5]
                                        ; implicit-def: $vgpr2
	s_and_saveexec_b64 s[4:5], s[24:25]
	s_cbranch_execz .LBB671_199
.LBB671_62:
	v_add_co_u32_e32 v2, vcc, v23, v3
	v_addc_co_u32_e32 v3, vcc, 0, v38, vcc
	flat_load_ushort v2, v[2:3]
	s_or_b64 exec, exec, s[4:5]
                                        ; implicit-def: $vgpr3
	s_and_saveexec_b64 s[4:5], s[26:27]
	s_cbranch_execnz .LBB671_200
.LBB671_63:
	s_or_b64 exec, exec, s[4:5]
                                        ; implicit-def: $vgpr4
	s_and_saveexec_b64 s[4:5], s[28:29]
	s_cbranch_execz .LBB671_201
.LBB671_64:
	v_add_co_u32_e32 v4, vcc, v23, v5
	v_addc_co_u32_e32 v5, vcc, 0, v38, vcc
	flat_load_ushort v4, v[4:5]
	s_or_b64 exec, exec, s[4:5]
                                        ; implicit-def: $vgpr5
	s_and_saveexec_b64 s[4:5], s[30:31]
	s_cbranch_execnz .LBB671_202
.LBB671_65:
	s_or_b64 exec, exec, s[4:5]
                                        ; implicit-def: $vgpr20
	s_and_saveexec_b64 s[4:5], s[34:35]
	s_cbranch_execz .LBB671_203
.LBB671_66:
	v_add_co_u32_e32 v20, vcc, v23, v21
	v_addc_co_u32_e32 v21, vcc, 0, v38, vcc
	flat_load_ushort v20, v[20:21]
	s_or_b64 exec, exec, s[4:5]
                                        ; implicit-def: $vgpr21
	s_and_saveexec_b64 s[4:5], s[36:37]
	s_cbranch_execnz .LBB671_204
.LBB671_67:
	s_or_b64 exec, exec, s[4:5]
                                        ; implicit-def: $vgpr22
	s_and_saveexec_b64 s[4:5], s[38:39]
	s_cbranch_execz .LBB671_205
.LBB671_68:
	v_add_co_u32_e32 v46, vcc, v23, v24
	v_addc_co_u32_e32 v47, vcc, 0, v38, vcc
	flat_load_ushort v22, v[46:47]
	s_or_b64 exec, exec, s[4:5]
                                        ; implicit-def: $vgpr24
	s_and_saveexec_b64 s[4:5], s[40:41]
	s_cbranch_execnz .LBB671_206
.LBB671_69:
	s_or_b64 exec, exec, s[4:5]
                                        ; implicit-def: $vgpr26
	s_and_saveexec_b64 s[4:5], s[42:43]
	s_cbranch_execz .LBB671_207
.LBB671_70:
	v_add_co_u32_e32 v26, vcc, v23, v27
	v_addc_co_u32_e32 v27, vcc, 0, v38, vcc
	flat_load_ushort v26, v[26:27]
	s_or_b64 exec, exec, s[4:5]
                                        ; implicit-def: $vgpr27
	s_and_saveexec_b64 s[4:5], s[44:45]
	s_cbranch_execnz .LBB671_208
.LBB671_71:
	s_or_b64 exec, exec, s[4:5]
                                        ; implicit-def: $vgpr28
	s_and_saveexec_b64 s[4:5], s[46:47]
	s_cbranch_execz .LBB671_73
.LBB671_72:
	v_add_co_u32_e32 v28, vcc, v23, v29
	v_addc_co_u32_e32 v29, vcc, 0, v38, vcc
	flat_load_ushort v28, v[28:29]
.LBB671_73:
	s_or_b64 exec, exec, s[4:5]
	v_mul_u32_u24_e32 v46, 22, v0
                                        ; implicit-def: $vgpr29
	s_and_saveexec_b64 s[4:5], s[48:49]
	s_cbranch_execz .LBB671_75
; %bb.74:
	v_add_co_u32_e32 v48, vcc, v23, v30
	v_addc_co_u32_e32 v49, vcc, 0, v38, vcc
	flat_load_ushort v29, v[48:49]
.LBB671_75:
	s_or_b64 exec, exec, s[4:5]
	s_waitcnt vmcnt(0) lgkmcnt(0)
	ds_write_b16 v25, v31
	ds_write_b16 v25, v32 offset:512
	ds_write_b16 v25, v33 offset:1024
	;; [unrolled: 1-line block ×21, first 2 shown]
	v_cmp_gt_u32_e32 vcc, s72, v46
	s_mov_b64 s[4:5], 0
	s_mov_b32 s71, 0
	v_mov_b32_e32 v1, 0
	s_mov_b64 s[10:11], 0
	v_mov_b32_e32 v20, 0
	v_mov_b32_e32 v24, 0
	;; [unrolled: 1-line block ×20, first 2 shown]
	s_waitcnt lgkmcnt(0)
	s_barrier
	s_waitcnt lgkmcnt(0)
                                        ; implicit-def: $sgpr8_sgpr9
                                        ; implicit-def: $vgpr43
	s_and_saveexec_b64 s[6:7], vcc
	s_cbranch_execz .LBB671_119
; %bb.76:
	ds_read_u16 v1, v44
	v_mov_b32_e32 v3, s70
	v_cmp_eq_u16_sdwa vcc, v18, v18 src0_sel:DWORD src1_sel:WORD_1
	v_cmp_ne_u16_sdwa s[8:9], v18, v18 src0_sel:DWORD src1_sel:WORD_1
	v_or_b32_e32 v2, 1, v46
	s_waitcnt lgkmcnt(0)
	v_cndmask_b32_e32 v1, v3, v1, vcc
	v_and_b32_e32 v1, 0xffff, v1
	v_cndmask_b32_e64 v3, 0, 1, s[8:9]
	v_lshl_or_b32 v1, v3, 16, v1
	v_cmp_gt_u32_e32 vcc, s72, v2
	v_mov_b32_e32 v20, 0
	v_mov_b32_e32 v24, 0
	;; [unrolled: 1-line block ×20, first 2 shown]
                                        ; implicit-def: $sgpr12_sgpr13
                                        ; implicit-def: $vgpr43
	s_and_saveexec_b64 s[8:9], vcc
	s_cbranch_execz .LBB671_118
; %bb.77:
	ds_read_b128 v[2:5], v44 offset:2
	v_mov_b32_e32 v20, s70
	v_cmp_eq_u16_sdwa vcc, v18, v19 src0_sel:WORD_1 src1_sel:DWORD
	v_cmp_ne_u16_sdwa s[10:11], v18, v19 src0_sel:WORD_1 src1_sel:DWORD
	v_add_u32_e32 v21, 2, v46
	s_waitcnt lgkmcnt(0)
	v_cndmask_b32_e32 v20, v20, v2, vcc
	v_and_b32_e32 v20, 0xffff, v20
	v_cndmask_b32_e64 v18, 0, 1, s[10:11]
	v_lshl_or_b32 v20, v18, 16, v20
	v_cmp_gt_u32_e32 vcc, s72, v21
	s_mov_b64 s[14:15], 0
	v_mov_b32_e32 v24, 0
	v_mov_b32_e32 v21, 0
	;; [unrolled: 1-line block ×19, first 2 shown]
                                        ; implicit-def: $sgpr12_sgpr13
                                        ; implicit-def: $vgpr43
	s_and_saveexec_b64 s[10:11], vcc
	s_cbranch_execz .LBB671_117
; %bb.78:
	v_lshrrev_b32_e32 v2, 16, v2
	v_mov_b32_e32 v21, s70
	v_cmp_eq_u16_sdwa vcc, v19, v19 src0_sel:DWORD src1_sel:WORD_1
	v_cndmask_b32_e32 v2, v21, v2, vcc
	v_cmp_ne_u16_sdwa s[12:13], v19, v19 src0_sel:DWORD src1_sel:WORD_1
	v_add_u32_e32 v18, 3, v46
	v_and_b32_e32 v2, 0xffff, v2
	v_cndmask_b32_e64 v21, 0, 1, s[12:13]
	v_lshl_or_b32 v24, v21, 16, v2
	v_cmp_gt_u32_e32 vcc, s72, v18
	v_mov_b32_e32 v21, 0
	v_mov_b32_e32 v25, 0
	;; [unrolled: 1-line block ×18, first 2 shown]
                                        ; implicit-def: $sgpr16_sgpr17
                                        ; implicit-def: $vgpr43
	s_and_saveexec_b64 s[12:13], vcc
	s_cbranch_execz .LBB671_116
; %bb.79:
	v_mov_b32_e32 v18, s70
	v_cmp_eq_u16_sdwa vcc, v19, v16 src0_sel:WORD_1 src1_sel:DWORD
	v_cndmask_b32_e32 v18, v18, v3, vcc
	v_cmp_ne_u16_sdwa s[14:15], v19, v16 src0_sel:WORD_1 src1_sel:DWORD
	v_add_u32_e32 v2, 4, v46
	v_and_b32_e32 v18, 0xffff, v18
	v_cndmask_b32_e64 v19, 0, 1, s[14:15]
	v_lshl_or_b32 v21, v19, 16, v18
	v_cmp_gt_u32_e32 vcc, s72, v2
	s_mov_b64 s[18:19], 0
	v_mov_b32_e32 v25, 0
	v_mov_b32_e32 v26, 0
	;; [unrolled: 1-line block ×17, first 2 shown]
                                        ; implicit-def: $sgpr16_sgpr17
                                        ; implicit-def: $vgpr43
	s_and_saveexec_b64 s[14:15], vcc
	s_cbranch_execz .LBB671_115
; %bb.80:
	v_lshrrev_b32_e32 v2, 16, v3
	v_mov_b32_e32 v18, s70
	v_cmp_eq_u16_sdwa vcc, v16, v16 src0_sel:DWORD src1_sel:WORD_1
	v_cndmask_b32_e32 v2, v18, v2, vcc
	v_cmp_ne_u16_sdwa s[16:17], v16, v16 src0_sel:DWORD src1_sel:WORD_1
	v_add_u32_e32 v3, 5, v46
	v_and_b32_e32 v2, 0xffff, v2
	v_cndmask_b32_e64 v18, 0, 1, s[16:17]
	v_lshl_or_b32 v25, v18, 16, v2
	v_cmp_gt_u32_e32 vcc, s72, v3
	v_mov_b32_e32 v26, 0
	v_mov_b32_e32 v27, 0
	;; [unrolled: 1-line block ×16, first 2 shown]
                                        ; implicit-def: $sgpr20_sgpr21
                                        ; implicit-def: $vgpr43
	s_and_saveexec_b64 s[16:17], vcc
	s_cbranch_execz .LBB671_114
; %bb.81:
	v_mov_b32_e32 v3, s70
	v_cmp_eq_u16_sdwa vcc, v16, v17 src0_sel:WORD_1 src1_sel:DWORD
	v_cndmask_b32_e32 v3, v3, v4, vcc
	v_cmp_ne_u16_sdwa s[18:19], v16, v17 src0_sel:WORD_1 src1_sel:DWORD
	v_add_u32_e32 v2, 6, v46
	v_and_b32_e32 v3, 0xffff, v3
	v_cndmask_b32_e64 v16, 0, 1, s[18:19]
	v_lshl_or_b32 v26, v16, 16, v3
	v_cmp_gt_u32_e32 vcc, s72, v2
	s_mov_b64 s[22:23], 0
	v_mov_b32_e32 v27, 0
	v_mov_b32_e32 v28, 0
	;; [unrolled: 1-line block ×15, first 2 shown]
                                        ; implicit-def: $sgpr20_sgpr21
                                        ; implicit-def: $vgpr43
	s_and_saveexec_b64 s[18:19], vcc
	s_cbranch_execz .LBB671_113
; %bb.82:
	v_lshrrev_b32_e32 v2, 16, v4
	v_mov_b32_e32 v4, s70
	v_cmp_eq_u16_sdwa vcc, v17, v17 src0_sel:DWORD src1_sel:WORD_1
	v_cndmask_b32_e32 v2, v4, v2, vcc
	v_cmp_ne_u16_sdwa s[20:21], v17, v17 src0_sel:DWORD src1_sel:WORD_1
	v_add_u32_e32 v3, 7, v46
	v_and_b32_e32 v2, 0xffff, v2
	v_cndmask_b32_e64 v4, 0, 1, s[20:21]
	v_lshl_or_b32 v27, v4, 16, v2
	v_cmp_gt_u32_e32 vcc, s72, v3
	v_mov_b32_e32 v28, 0
	v_mov_b32_e32 v29, 0
	;; [unrolled: 1-line block ×14, first 2 shown]
                                        ; implicit-def: $sgpr24_sgpr25
                                        ; implicit-def: $vgpr43
	s_and_saveexec_b64 s[20:21], vcc
	s_cbranch_execz .LBB671_112
; %bb.83:
	v_mov_b32_e32 v3, s70
	v_cmp_eq_u16_sdwa vcc, v17, v14 src0_sel:WORD_1 src1_sel:DWORD
	v_cndmask_b32_e32 v3, v3, v5, vcc
	v_cmp_ne_u16_sdwa s[22:23], v17, v14 src0_sel:WORD_1 src1_sel:DWORD
	v_add_u32_e32 v2, 8, v46
	v_and_b32_e32 v3, 0xffff, v3
	v_cndmask_b32_e64 v4, 0, 1, s[22:23]
	v_lshl_or_b32 v28, v4, 16, v3
	v_cmp_gt_u32_e32 vcc, s72, v2
	s_mov_b64 s[26:27], 0
	v_mov_b32_e32 v29, 0
	v_mov_b32_e32 v30, 0
	;; [unrolled: 1-line block ×13, first 2 shown]
                                        ; implicit-def: $sgpr24_sgpr25
                                        ; implicit-def: $vgpr43
	s_and_saveexec_b64 s[22:23], vcc
	s_cbranch_execz .LBB671_111
; %bb.84:
	v_lshrrev_b32_e32 v2, 16, v5
	v_mov_b32_e32 v4, s70
	v_cmp_eq_u16_sdwa vcc, v14, v14 src0_sel:DWORD src1_sel:WORD_1
	v_cndmask_b32_e32 v2, v4, v2, vcc
	v_cmp_ne_u16_sdwa s[24:25], v14, v14 src0_sel:DWORD src1_sel:WORD_1
	v_add_u32_e32 v3, 9, v46
	v_and_b32_e32 v2, 0xffff, v2
	v_cndmask_b32_e64 v4, 0, 1, s[24:25]
	v_lshl_or_b32 v29, v4, 16, v2
	v_cmp_gt_u32_e32 vcc, s72, v3
	v_mov_b32_e32 v30, 0
	v_mov_b32_e32 v31, 0
	;; [unrolled: 1-line block ×12, first 2 shown]
                                        ; implicit-def: $sgpr28_sgpr29
                                        ; implicit-def: $vgpr43
	s_and_saveexec_b64 s[24:25], vcc
	s_cbranch_execz .LBB671_110
; %bb.85:
	ds_read_b128 v[2:5], v44 offset:18
	v_mov_b32_e32 v17, s70
	v_cmp_eq_u16_sdwa vcc, v14, v15 src0_sel:WORD_1 src1_sel:DWORD
	v_cmp_ne_u16_sdwa s[26:27], v14, v15 src0_sel:WORD_1 src1_sel:DWORD
	v_add_u32_e32 v16, 10, v46
	s_waitcnt lgkmcnt(0)
	v_cndmask_b32_e32 v17, v17, v2, vcc
	v_and_b32_e32 v17, 0xffff, v17
	v_cndmask_b32_e64 v14, 0, 1, s[26:27]
	v_lshl_or_b32 v30, v14, 16, v17
	v_cmp_gt_u32_e32 vcc, s72, v16
	s_mov_b64 s[30:31], 0
	v_mov_b32_e32 v31, 0
	v_mov_b32_e32 v32, 0
	;; [unrolled: 1-line block ×11, first 2 shown]
                                        ; implicit-def: $sgpr28_sgpr29
                                        ; implicit-def: $vgpr43
	s_and_saveexec_b64 s[26:27], vcc
	s_cbranch_execz .LBB671_109
; %bb.86:
	v_lshrrev_b32_e32 v2, 16, v2
	v_mov_b32_e32 v16, s70
	v_cmp_eq_u16_sdwa vcc, v15, v15 src0_sel:DWORD src1_sel:WORD_1
	v_cndmask_b32_e32 v2, v16, v2, vcc
	v_cmp_ne_u16_sdwa s[28:29], v15, v15 src0_sel:DWORD src1_sel:WORD_1
	v_add_u32_e32 v14, 11, v46
	v_and_b32_e32 v2, 0xffff, v2
	v_cndmask_b32_e64 v16, 0, 1, s[28:29]
	v_lshl_or_b32 v31, v16, 16, v2
	v_cmp_gt_u32_e32 vcc, s72, v14
	v_mov_b32_e32 v32, 0
	v_mov_b32_e32 v33, 0
	;; [unrolled: 1-line block ×10, first 2 shown]
                                        ; implicit-def: $sgpr34_sgpr35
                                        ; implicit-def: $vgpr43
	s_and_saveexec_b64 s[28:29], vcc
	s_cbranch_execz .LBB671_108
; %bb.87:
	v_mov_b32_e32 v14, s70
	v_cmp_eq_u16_sdwa vcc, v15, v12 src0_sel:WORD_1 src1_sel:DWORD
	v_cndmask_b32_e32 v14, v14, v3, vcc
	v_cmp_ne_u16_sdwa s[30:31], v15, v12 src0_sel:WORD_1 src1_sel:DWORD
	v_add_u32_e32 v2, 12, v46
	v_and_b32_e32 v14, 0xffff, v14
	v_cndmask_b32_e64 v15, 0, 1, s[30:31]
	v_lshl_or_b32 v32, v15, 16, v14
	v_cmp_gt_u32_e32 vcc, s72, v2
	s_mov_b64 s[36:37], 0
	v_mov_b32_e32 v33, 0
	v_mov_b32_e32 v34, 0
	;; [unrolled: 1-line block ×9, first 2 shown]
                                        ; implicit-def: $sgpr34_sgpr35
                                        ; implicit-def: $vgpr43
	s_and_saveexec_b64 s[30:31], vcc
	s_cbranch_execz .LBB671_107
; %bb.88:
	v_lshrrev_b32_e32 v2, 16, v3
	v_mov_b32_e32 v14, s70
	v_cmp_eq_u16_sdwa vcc, v12, v12 src0_sel:DWORD src1_sel:WORD_1
	v_cndmask_b32_e32 v2, v14, v2, vcc
	v_cmp_ne_u16_sdwa s[34:35], v12, v12 src0_sel:DWORD src1_sel:WORD_1
	v_add_u32_e32 v3, 13, v46
	v_and_b32_e32 v2, 0xffff, v2
	v_cndmask_b32_e64 v14, 0, 1, s[34:35]
	v_lshl_or_b32 v33, v14, 16, v2
	v_cmp_gt_u32_e32 vcc, s72, v3
	v_mov_b32_e32 v34, 0
	v_mov_b32_e32 v35, 0
	;; [unrolled: 1-line block ×8, first 2 shown]
                                        ; implicit-def: $sgpr38_sgpr39
                                        ; implicit-def: $vgpr43
	s_and_saveexec_b64 s[34:35], vcc
	s_cbranch_execz .LBB671_106
; %bb.89:
	v_mov_b32_e32 v3, s70
	v_cmp_eq_u16_sdwa vcc, v12, v13 src0_sel:WORD_1 src1_sel:DWORD
	v_cndmask_b32_e32 v3, v3, v4, vcc
	v_cmp_ne_u16_sdwa s[36:37], v12, v13 src0_sel:WORD_1 src1_sel:DWORD
	v_add_u32_e32 v2, 14, v46
	v_and_b32_e32 v3, 0xffff, v3
	v_cndmask_b32_e64 v12, 0, 1, s[36:37]
	v_lshl_or_b32 v34, v12, 16, v3
	v_cmp_gt_u32_e32 vcc, s72, v2
	s_mov_b64 s[40:41], 0
	v_mov_b32_e32 v35, 0
	v_mov_b32_e32 v36, 0
	;; [unrolled: 1-line block ×7, first 2 shown]
                                        ; implicit-def: $sgpr38_sgpr39
                                        ; implicit-def: $vgpr43
	s_and_saveexec_b64 s[36:37], vcc
	s_cbranch_execz .LBB671_105
; %bb.90:
	v_lshrrev_b32_e32 v2, 16, v4
	v_mov_b32_e32 v4, s70
	v_cmp_eq_u16_sdwa vcc, v13, v13 src0_sel:DWORD src1_sel:WORD_1
	v_cndmask_b32_e32 v2, v4, v2, vcc
	v_cmp_ne_u16_sdwa s[38:39], v13, v13 src0_sel:DWORD src1_sel:WORD_1
	v_add_u32_e32 v3, 15, v46
	v_and_b32_e32 v2, 0xffff, v2
	v_cndmask_b32_e64 v4, 0, 1, s[38:39]
	v_lshl_or_b32 v35, v4, 16, v2
	v_cmp_gt_u32_e32 vcc, s72, v3
	v_mov_b32_e32 v36, 0
	v_mov_b32_e32 v37, 0
	;; [unrolled: 1-line block ×6, first 2 shown]
                                        ; implicit-def: $sgpr42_sgpr43
                                        ; implicit-def: $vgpr43
	s_and_saveexec_b64 s[38:39], vcc
	s_cbranch_execz .LBB671_104
; %bb.91:
	v_mov_b32_e32 v3, s70
	v_cmp_eq_u16_sdwa vcc, v13, v8 src0_sel:WORD_1 src1_sel:DWORD
	v_cndmask_b32_e32 v3, v3, v5, vcc
	v_cmp_ne_u16_sdwa s[40:41], v13, v8 src0_sel:WORD_1 src1_sel:DWORD
	v_add_u32_e32 v2, 16, v46
	v_and_b32_e32 v3, 0xffff, v3
	v_cndmask_b32_e64 v4, 0, 1, s[40:41]
	v_lshl_or_b32 v36, v4, 16, v3
	v_cmp_gt_u32_e32 vcc, s72, v2
	s_mov_b64 s[44:45], 0
	v_mov_b32_e32 v37, 0
	v_mov_b32_e32 v22, 0
	;; [unrolled: 1-line block ×5, first 2 shown]
                                        ; implicit-def: $sgpr42_sgpr43
                                        ; implicit-def: $vgpr43
	s_and_saveexec_b64 s[40:41], vcc
	s_cbranch_execz .LBB671_103
; %bb.92:
	v_lshrrev_b32_e32 v2, 16, v5
	v_mov_b32_e32 v4, s70
	v_cmp_eq_u16_sdwa vcc, v8, v8 src0_sel:DWORD src1_sel:WORD_1
	v_cndmask_b32_e32 v2, v4, v2, vcc
	v_cmp_ne_u16_sdwa s[42:43], v8, v8 src0_sel:DWORD src1_sel:WORD_1
	v_add_u32_e32 v3, 17, v46
	v_and_b32_e32 v2, 0xffff, v2
	v_cndmask_b32_e64 v4, 0, 1, s[42:43]
	v_lshl_or_b32 v37, v4, 16, v2
	v_cmp_gt_u32_e32 vcc, s72, v3
	v_mov_b32_e32 v22, 0
	v_mov_b32_e32 v39, 0
	;; [unrolled: 1-line block ×4, first 2 shown]
                                        ; implicit-def: $sgpr46_sgpr47
                                        ; implicit-def: $vgpr43
	s_and_saveexec_b64 s[42:43], vcc
	s_cbranch_execz .LBB671_102
; %bb.93:
	ds_read_b64 v[2:3], v44 offset:34
	v_mov_b32_e32 v5, s70
	v_cmp_eq_u16_sdwa vcc, v8, v9 src0_sel:WORD_1 src1_sel:DWORD
	v_cmp_ne_u16_sdwa s[44:45], v8, v9 src0_sel:WORD_1 src1_sel:DWORD
	v_add_u32_e32 v4, 18, v46
	s_waitcnt lgkmcnt(0)
	v_cndmask_b32_e32 v5, v5, v2, vcc
	v_and_b32_e32 v5, 0xffff, v5
	v_cndmask_b32_e64 v8, 0, 1, s[44:45]
	v_lshl_or_b32 v22, v8, 16, v5
	v_cmp_gt_u32_e32 vcc, s72, v4
	s_mov_b64 s[48:49], 0
	v_mov_b32_e32 v39, 0
	v_mov_b32_e32 v40, 0
	;; [unrolled: 1-line block ×3, first 2 shown]
                                        ; implicit-def: $sgpr46_sgpr47
                                        ; implicit-def: $vgpr43
	s_and_saveexec_b64 s[44:45], vcc
	s_cbranch_execz .LBB671_101
; %bb.94:
	v_lshrrev_b32_e32 v2, 16, v2
	v_mov_b32_e32 v5, s70
	v_cmp_eq_u16_sdwa vcc, v9, v9 src0_sel:DWORD src1_sel:WORD_1
	v_cndmask_b32_e32 v2, v5, v2, vcc
	v_cmp_ne_u16_sdwa s[46:47], v9, v9 src0_sel:DWORD src1_sel:WORD_1
	v_add_u32_e32 v4, 19, v46
	v_and_b32_e32 v2, 0xffff, v2
	v_cndmask_b32_e64 v5, 0, 1, s[46:47]
	v_lshl_or_b32 v39, v5, 16, v2
	v_cmp_gt_u32_e32 vcc, s72, v4
	v_mov_b32_e32 v40, 0
	v_mov_b32_e32 v41, 0
                                        ; implicit-def: $sgpr52_sgpr53
                                        ; implicit-def: $vgpr43
	s_and_saveexec_b64 s[46:47], vcc
	s_cbranch_execz .LBB671_100
; %bb.95:
	v_mov_b32_e32 v4, s70
	v_cmp_eq_u16_sdwa vcc, v9, v45 src0_sel:WORD_1 src1_sel:DWORD
	v_cndmask_b32_e32 v4, v4, v3, vcc
	v_cmp_ne_u16_sdwa s[48:49], v9, v45 src0_sel:WORD_1 src1_sel:DWORD
	v_add_u32_e32 v2, 20, v46
	v_and_b32_e32 v4, 0xffff, v4
	v_cndmask_b32_e64 v5, 0, 1, s[48:49]
	v_lshl_or_b32 v40, v5, 16, v4
	v_cmp_gt_u32_e32 vcc, s72, v2
	s_mov_b64 s[56:57], 0
	v_mov_b32_e32 v41, 0
                                        ; implicit-def: $sgpr64_sgpr65
                                        ; implicit-def: $vgpr43
	s_and_saveexec_b64 s[48:49], vcc
	s_cbranch_execz .LBB671_99
; %bb.96:
	v_lshrrev_b32_e32 v2, 16, v3
	v_mov_b32_e32 v4, s70
	v_cmp_eq_u16_sdwa vcc, v45, v45 src0_sel:DWORD src1_sel:WORD_1
	v_cndmask_b32_e32 v2, v4, v2, vcc
	v_cmp_ne_u16_sdwa s[52:53], v45, v45 src0_sel:DWORD src1_sel:WORD_1
	v_add_u32_e32 v3, 21, v46
	v_and_b32_e32 v2, 0xffff, v2
	v_cndmask_b32_e64 v4, 0, 1, s[52:53]
	v_lshl_or_b32 v41, v4, 16, v2
	v_cmp_gt_u32_e32 vcc, s72, v3
	s_mov_b64 s[52:53], 0
                                        ; implicit-def: $sgpr56_sgpr57
                                        ; implicit-def: $vgpr43
	s_and_saveexec_b64 s[64:65], vcc
	s_xor_b64 s[64:65], exec, s[64:65]
	s_cbranch_execz .LBB671_98
; %bb.97:
	ds_read_u16 v2, v44 offset:42
	v_mov_b32_e32 v3, s70
	v_cmp_ne_u16_sdwa vcc, v45, v42 src0_sel:WORD_1 src1_sel:DWORD
	s_mov_b64 s[52:53], exec
	s_and_b64 s[56:57], vcc, exec
	s_waitcnt lgkmcnt(0)
	v_cndmask_b32_e32 v43, v2, v3, vcc
.LBB671_98:
	s_or_b64 exec, exec, s[64:65]
	s_and_b64 s[64:65], s[56:57], exec
	s_and_b64 s[56:57], s[52:53], exec
.LBB671_99:
	s_or_b64 exec, exec, s[48:49]
	s_and_b64 s[52:53], s[64:65], exec
	s_and_b64 s[48:49], s[56:57], exec
.LBB671_100:
	s_or_b64 exec, exec, s[46:47]
	s_and_b64 s[46:47], s[52:53], exec
	s_and_b64 s[48:49], s[48:49], exec
.LBB671_101:
	s_or_b64 exec, exec, s[44:45]
	s_and_b64 s[46:47], s[46:47], exec
	s_and_b64 s[44:45], s[48:49], exec
.LBB671_102:
	s_or_b64 exec, exec, s[42:43]
	s_and_b64 s[42:43], s[46:47], exec
	s_and_b64 s[44:45], s[44:45], exec
.LBB671_103:
	s_or_b64 exec, exec, s[40:41]
	s_and_b64 s[42:43], s[42:43], exec
	s_and_b64 s[40:41], s[44:45], exec
.LBB671_104:
	s_or_b64 exec, exec, s[38:39]
	s_and_b64 s[38:39], s[42:43], exec
	s_and_b64 s[40:41], s[40:41], exec
.LBB671_105:
	s_or_b64 exec, exec, s[36:37]
	s_and_b64 s[38:39], s[38:39], exec
	s_and_b64 s[36:37], s[40:41], exec
.LBB671_106:
	s_or_b64 exec, exec, s[34:35]
	s_and_b64 s[34:35], s[38:39], exec
	s_and_b64 s[36:37], s[36:37], exec
.LBB671_107:
	s_or_b64 exec, exec, s[30:31]
	s_and_b64 s[34:35], s[34:35], exec
	s_and_b64 s[30:31], s[36:37], exec
.LBB671_108:
	s_or_b64 exec, exec, s[28:29]
	s_and_b64 s[28:29], s[34:35], exec
	s_and_b64 s[30:31], s[30:31], exec
.LBB671_109:
	s_or_b64 exec, exec, s[26:27]
	s_and_b64 s[28:29], s[28:29], exec
	s_and_b64 s[26:27], s[30:31], exec
.LBB671_110:
	s_or_b64 exec, exec, s[24:25]
	s_and_b64 s[24:25], s[28:29], exec
	s_and_b64 s[26:27], s[26:27], exec
.LBB671_111:
	s_or_b64 exec, exec, s[22:23]
	s_and_b64 s[24:25], s[24:25], exec
	s_and_b64 s[22:23], s[26:27], exec
.LBB671_112:
	s_or_b64 exec, exec, s[20:21]
	s_and_b64 s[20:21], s[24:25], exec
	s_and_b64 s[22:23], s[22:23], exec
.LBB671_113:
	s_or_b64 exec, exec, s[18:19]
	s_and_b64 s[20:21], s[20:21], exec
	s_and_b64 s[18:19], s[22:23], exec
.LBB671_114:
	s_or_b64 exec, exec, s[16:17]
	s_and_b64 s[16:17], s[20:21], exec
	s_and_b64 s[18:19], s[18:19], exec
.LBB671_115:
	s_or_b64 exec, exec, s[14:15]
	s_and_b64 s[16:17], s[16:17], exec
	s_and_b64 s[14:15], s[18:19], exec
.LBB671_116:
	s_or_b64 exec, exec, s[12:13]
	s_and_b64 s[12:13], s[16:17], exec
	s_and_b64 s[14:15], s[14:15], exec
.LBB671_117:
	s_or_b64 exec, exec, s[10:11]
	s_and_b64 s[12:13], s[12:13], exec
	s_and_b64 s[10:11], s[14:15], exec
.LBB671_118:
	s_or_b64 exec, exec, s[8:9]
	s_and_b64 s[8:9], s[12:13], exec
	s_and_b64 s[10:11], s[10:11], exec
.LBB671_119:
	s_or_b64 exec, exec, s[6:7]
	s_and_b64 vcc, exec, s[4:5]
	v_lshlrev_b32_e32 v42, 1, v0
	s_cbranch_vccnz .LBB671_121
	s_branch .LBB671_126
.LBB671_120:
	s_mov_b64 s[10:11], 0
                                        ; implicit-def: $sgpr8_sgpr9
                                        ; implicit-def: $vgpr43
                                        ; implicit-def: $vgpr1
                                        ; implicit-def: $vgpr20
                                        ; implicit-def: $vgpr24
                                        ; implicit-def: $vgpr21
                                        ; implicit-def: $vgpr25
                                        ; implicit-def: $vgpr26
                                        ; implicit-def: $vgpr27
                                        ; implicit-def: $vgpr28
                                        ; implicit-def: $vgpr29
                                        ; implicit-def: $vgpr30
                                        ; implicit-def: $vgpr31
                                        ; implicit-def: $vgpr32
                                        ; implicit-def: $vgpr33
                                        ; implicit-def: $vgpr34
                                        ; implicit-def: $vgpr35
                                        ; implicit-def: $vgpr36
                                        ; implicit-def: $vgpr37
                                        ; implicit-def: $vgpr22
                                        ; implicit-def: $vgpr39
                                        ; implicit-def: $vgpr40
                                        ; implicit-def: $vgpr41
                                        ; implicit-def: $sgpr71
	s_and_b64 vcc, exec, s[4:5]
	v_lshlrev_b32_e32 v42, 1, v0
	s_cbranch_vccz .LBB671_126
.LBB671_121:
	v_add_co_u32_e32 v2, vcc, v6, v42
	v_addc_co_u32_e32 v3, vcc, 0, v7, vcc
	v_add_co_u32_e32 v4, vcc, 0x1000, v2
	v_addc_co_u32_e32 v5, vcc, 0, v3, vcc
	flat_load_ushort v1, v[2:3]
	flat_load_ushort v8, v[2:3] offset:512
	flat_load_ushort v9, v[2:3] offset:1024
	;; [unrolled: 1-line block ×7, first 2 shown]
	v_add_co_u32_e32 v2, vcc, 0x2000, v2
	v_addc_co_u32_e32 v3, vcc, 0, v3, vcc
	flat_load_ushort v17, v[4:5]
	flat_load_ushort v18, v[4:5] offset:512
	flat_load_ushort v19, v[4:5] offset:1024
	flat_load_ushort v20, v[4:5] offset:1536
	flat_load_ushort v21, v[4:5] offset:2048
	flat_load_ushort v22, v[4:5] offset:2560
	flat_load_ushort v24, v[4:5] offset:3072
	flat_load_ushort v25, v[4:5] offset:3584
	s_nop 0
	flat_load_ushort v4, v[2:3]
	flat_load_ushort v5, v[2:3] offset:512
	flat_load_ushort v26, v[2:3] offset:1024
	;; [unrolled: 1-line block ×5, first 2 shown]
	v_add_co_u32_e32 v2, vcc, 0x2000, v6
	v_addc_co_u32_e32 v3, vcc, 0, v7, vcc
	s_movk_i32 s4, 0xffd6
	s_movk_i32 s7, 0x1000
	;; [unrolled: 1-line block ×3, first 2 shown]
	s_waitcnt vmcnt(0) lgkmcnt(0)
	ds_write_b16 v42, v1
	ds_write_b16 v42, v8 offset:512
	ds_write_b16 v42, v9 offset:1024
	;; [unrolled: 1-line block ×21, first 2 shown]
	s_waitcnt lgkmcnt(0)
	s_barrier
	flat_load_ushort v43, v[2:3] offset:3072
	v_mad_u32_u24 v1, v0, 42, v42
	v_mad_i32_i24 v2, v0, s4, v1
	s_movk_i32 s4, 0xff
	v_cmp_ne_u32_e32 vcc, s4, v0
	ds_read2_b32 v[20:21], v1 offset1:1
	ds_read2_b32 v[18:19], v1 offset0:2 offset1:3
	ds_read2_b32 v[16:17], v1 offset0:4 offset1:5
	;; [unrolled: 1-line block ×4, first 2 shown]
	ds_read_b32 v44, v1 offset:40
	s_waitcnt lgkmcnt(0)
	ds_write_b16 v2, v20 offset:11776
	s_waitcnt lgkmcnt(0)
	s_barrier
	s_and_saveexec_b64 s[4:5], vcc
	s_cbranch_execz .LBB671_123
; %bb.122:
	s_waitcnt vmcnt(0)
	ds_read_u16 v43, v42 offset:11778
.LBB671_123:
	s_or_b64 exec, exec, s[4:5]
	v_add_co_u32_e32 v2, vcc, v23, v42
	v_addc_co_u32_e32 v3, vcc, 0, v38, vcc
	v_add_co_u32_e32 v4, vcc, s7, v2
	v_addc_co_u32_e32 v5, vcc, 0, v3, vcc
	s_waitcnt lgkmcnt(0)
	s_barrier
	flat_load_ushort v6, v[2:3]
	flat_load_ushort v7, v[2:3] offset:512
	flat_load_ushort v8, v[2:3] offset:1024
	;; [unrolled: 1-line block ×7, first 2 shown]
	v_add_co_u32_e32 v2, vcc, s6, v2
	v_addc_co_u32_e32 v3, vcc, 0, v3, vcc
	flat_load_ushort v26, v[4:5]
	flat_load_ushort v27, v[4:5] offset:512
	flat_load_ushort v28, v[4:5] offset:1024
	;; [unrolled: 1-line block ×7, first 2 shown]
	s_nop 0
	flat_load_ushort v4, v[2:3]
	flat_load_ushort v5, v[2:3] offset:512
	flat_load_ushort v34, v[2:3] offset:1024
	;; [unrolled: 1-line block ×5, first 2 shown]
	v_cmp_eq_u16_sdwa s[6:7], v20, v20 src0_sel:DWORD src1_sel:WORD_1
	s_waitcnt vmcnt(0) lgkmcnt(0)
	ds_write_b16 v42, v6
	ds_write_b16 v42, v7 offset:512
	ds_write_b16 v42, v8 offset:1024
	;; [unrolled: 1-line block ×21, first 2 shown]
	s_waitcnt lgkmcnt(0)
	s_barrier
	ds_read_b128 v[6:9], v1 offset:2
	ds_read_b128 v[2:5], v1 offset:18
	ds_read_b64 v[22:23], v1 offset:34
	ds_read_u16 v38, v1 offset:42
	v_mov_b32_e32 v24, 0x10000
	v_mov_b32_e32 v25, s70
	s_and_saveexec_b64 s[4:5], s[6:7]
	s_cbranch_execz .LBB671_125
; %bb.124:
	ds_read_u16 v25, v1
	v_mov_b32_e32 v24, 0
.LBB671_125:
	s_or_b64 exec, exec, s[4:5]
	v_mov_b32_e32 v45, s70
	v_cmp_eq_u16_sdwa vcc, v20, v21 src0_sel:WORD_1 src1_sel:DWORD
	s_waitcnt lgkmcnt(3)
	v_lshrrev_b32_e32 v26, 16, v6
	v_cndmask_b32_e32 v6, v45, v6, vcc
	v_cmp_ne_u16_sdwa s[4:5], v20, v21 src0_sel:WORD_1 src1_sel:DWORD
	v_and_b32_e32 v6, 0xffff, v6
	v_cndmask_b32_e64 v20, 0, 1, s[4:5]
	v_cmp_eq_u16_sdwa vcc, v21, v21 src0_sel:DWORD src1_sel:WORD_1
	v_lshl_or_b32 v20, v20, 16, v6
	v_cndmask_b32_e32 v6, v45, v26, vcc
	v_cmp_ne_u16_sdwa s[4:5], v21, v21 src0_sel:DWORD src1_sel:WORD_1
	s_waitcnt lgkmcnt(0)
	v_or_b32_sdwa v1, v24, v25 dst_sel:DWORD dst_unused:UNUSED_PAD src0_sel:DWORD src1_sel:WORD_0
	v_and_b32_e32 v6, 0xffff, v6
	v_cndmask_b32_e64 v24, 0, 1, s[4:5]
	v_cmp_eq_u16_sdwa vcc, v21, v18 src0_sel:WORD_1 src1_sel:DWORD
	v_lshl_or_b32 v24, v24, 16, v6
	v_cndmask_b32_e32 v6, v45, v7, vcc
	v_cmp_ne_u16_sdwa s[4:5], v21, v18 src0_sel:WORD_1 src1_sel:DWORD
	v_lshrrev_b32_e32 v27, 16, v7
	v_and_b32_e32 v6, 0xffff, v6
	v_cndmask_b32_e64 v7, 0, 1, s[4:5]
	v_cmp_eq_u16_sdwa vcc, v18, v18 src0_sel:DWORD src1_sel:WORD_1
	v_lshl_or_b32 v21, v7, 16, v6
	v_cndmask_b32_e32 v6, v45, v27, vcc
	v_cmp_ne_u16_sdwa s[4:5], v18, v18 src0_sel:DWORD src1_sel:WORD_1
	v_and_b32_e32 v6, 0xffff, v6
	v_cndmask_b32_e64 v7, 0, 1, s[4:5]
	v_cmp_eq_u16_sdwa vcc, v18, v19 src0_sel:WORD_1 src1_sel:DWORD
	v_lshl_or_b32 v25, v7, 16, v6
	v_cndmask_b32_e32 v6, v45, v8, vcc
	v_cmp_ne_u16_sdwa s[4:5], v18, v19 src0_sel:WORD_1 src1_sel:DWORD
	v_lshrrev_b32_e32 v28, 16, v8
	v_and_b32_e32 v6, 0xffff, v6
	v_cndmask_b32_e64 v7, 0, 1, s[4:5]
	v_cmp_eq_u16_sdwa vcc, v19, v19 src0_sel:DWORD src1_sel:WORD_1
	v_lshl_or_b32 v26, v7, 16, v6
	v_cndmask_b32_e32 v6, v45, v28, vcc
	v_cmp_ne_u16_sdwa s[4:5], v19, v19 src0_sel:DWORD src1_sel:WORD_1
	;; [unrolled: 13-line block ×3, first 2 shown]
	v_cmp_eq_u16_sdwa vcc, v16, v17 src0_sel:WORD_1 src1_sel:DWORD
	v_lshrrev_b32_e32 v31, 16, v2
	v_and_b32_e32 v6, 0xffff, v6
	v_cndmask_b32_e64 v7, 0, 1, s[4:5]
	v_cndmask_b32_e32 v2, v45, v2, vcc
	v_cmp_ne_u16_sdwa s[4:5], v16, v17 src0_sel:WORD_1 src1_sel:DWORD
	v_lshl_or_b32 v29, v7, 16, v6
	v_and_b32_e32 v2, 0xffff, v2
	v_cndmask_b32_e64 v6, 0, 1, s[4:5]
	v_cmp_eq_u16_sdwa vcc, v17, v17 src0_sel:DWORD src1_sel:WORD_1
	v_lshl_or_b32 v30, v6, 16, v2
	v_cndmask_b32_e32 v2, v45, v31, vcc
	v_cmp_ne_u16_sdwa s[4:5], v17, v17 src0_sel:DWORD src1_sel:WORD_1
	v_and_b32_e32 v2, 0xffff, v2
	v_cndmask_b32_e64 v6, 0, 1, s[4:5]
	v_cmp_eq_u16_sdwa vcc, v17, v14 src0_sel:WORD_1 src1_sel:DWORD
	v_lshl_or_b32 v31, v6, 16, v2
	v_cndmask_b32_e32 v2, v45, v3, vcc
	v_cmp_ne_u16_sdwa s[4:5], v17, v14 src0_sel:WORD_1 src1_sel:DWORD
	v_lshrrev_b32_e32 v33, 16, v3
	v_and_b32_e32 v2, 0xffff, v2
	v_cndmask_b32_e64 v3, 0, 1, s[4:5]
	v_cmp_eq_u16_sdwa vcc, v14, v14 src0_sel:DWORD src1_sel:WORD_1
	v_lshl_or_b32 v32, v3, 16, v2
	v_cndmask_b32_e32 v2, v45, v33, vcc
	v_cmp_ne_u16_sdwa s[4:5], v14, v14 src0_sel:DWORD src1_sel:WORD_1
	v_and_b32_e32 v2, 0xffff, v2
	v_cndmask_b32_e64 v3, 0, 1, s[4:5]
	v_cmp_eq_u16_sdwa vcc, v14, v15 src0_sel:WORD_1 src1_sel:DWORD
	v_lshl_or_b32 v33, v3, 16, v2
	v_cndmask_b32_e32 v2, v45, v4, vcc
	v_cmp_ne_u16_sdwa s[4:5], v14, v15 src0_sel:WORD_1 src1_sel:DWORD
	v_lshrrev_b32_e32 v35, 16, v4
	;; [unrolled: 13-line block ×5, first 2 shown]
	v_and_b32_e32 v2, 0xffff, v2
	v_cndmask_b32_e64 v3, 0, 1, s[4:5]
	v_cmp_eq_u16_sdwa vcc, v44, v44 src0_sel:DWORD src1_sel:WORD_1
	v_lshl_or_b32 v40, v3, 16, v2
	v_cndmask_b32_e32 v2, v45, v41, vcc
	v_cmp_ne_u16_sdwa s[4:5], v44, v44 src0_sel:DWORD src1_sel:WORD_1
	v_and_b32_e32 v2, 0xffff, v2
	v_cndmask_b32_e64 v3, 0, 1, s[4:5]
	v_cmp_ne_u16_sdwa s[8:9], v44, v43 src0_sel:WORD_1 src1_sel:DWORD
	v_lshl_or_b32 v41, v3, 16, v2
	v_cndmask_b32_e64 v43, v38, v45, s[8:9]
	s_mov_b64 s[10:11], -1
                                        ; implicit-def: $sgpr71
.LBB671_126:
	v_mov_b32_e32 v14, s71
	s_and_saveexec_b64 s[4:5], s[10:11]
; %bb.127:
	v_mov_b32_e32 v2, 0x10000
	v_cndmask_b32_e64 v2, 0, v2, s[8:9]
	v_or_b32_sdwa v14, v2, v43 dst_sel:DWORD dst_unused:UNUSED_PAD src0_sel:DWORD src1_sel:WORD_0
; %bb.128:
	s_or_b64 exec, exec, s[4:5]
	v_or3_b32 v2, v14, v41, v40
	s_cmp_lg_u32 s63, 0
	v_or3_b32 v17, v2, v39, v22
	v_lshrrev_b32_e32 v15, 16, v1
	v_lshrrev_b32_e32 v16, 5, v0
	v_cmp_gt_u32_e32 vcc, 64, v0
	s_barrier
	s_cbranch_scc0 .LBB671_209
; %bb.129:
	s_mov_b32 s4, 0x10000
	v_cmp_gt_u32_e64 s[6:7], s4, v20
	v_cndmask_b32_e64 v2, 0, v1, s[6:7]
	v_add_u16_e32 v2, v2, v20
	v_cmp_gt_u32_e64 s[8:9], s4, v24
	v_cndmask_b32_e64 v2, 0, v2, s[8:9]
	v_add_u16_e32 v2, v2, v24
	;; [unrolled: 3-line block ×21, first 2 shown]
	v_or3_b32 v2, v17, v37, v36
	v_or3_b32 v2, v2, v35, v34
	;; [unrolled: 1-line block ×8, first 2 shown]
	v_and_b32_e32 v2, 0x10000, v2
	v_cmp_ne_u32_e64 s[4:5], 0, v2
	v_mov_b32_e32 v5, 0x10000
	v_cndmask_b32_e64 v19, v15, 1, s[4:5]
	v_add_lshl_u32 v2, v16, v0, 2
	ds_write_b16 v2, v18
	ds_write_b8 v2, v19 offset:2
	s_waitcnt lgkmcnt(0)
	s_barrier
	s_and_saveexec_b64 s[48:49], vcc
	s_cbranch_execz .LBB671_143
; %bb.130:
	v_lshlrev_b32_e32 v2, 2, v0
	v_lshrrev_b32_e32 v3, 3, v0
	v_add_lshl_u32 v2, v3, v2, 2
	ds_read_b32 v3, v2
	ds_read_u16 v4, v2 offset:4
	ds_read_u8 v6, v2 offset:6
	ds_read_u16 v7, v2 offset:8
	ds_read_u8 v8, v2 offset:10
	;; [unrolled: 2-line block ×3, first 2 shown]
	v_mov_b32_e32 v13, 0
	s_waitcnt lgkmcnt(4)
	v_cmp_eq_u16_sdwa s[4:5], v6, v13 src0_sel:BYTE_0 src1_sel:DWORD
	v_cndmask_b32_e64 v23, 0, v3, s[4:5]
	v_add_u16_e32 v23, v23, v4
	s_waitcnt lgkmcnt(2)
	v_cmp_eq_u16_sdwa s[4:5], v8, v13 src0_sel:BYTE_0 src1_sel:DWORD
	s_waitcnt lgkmcnt(0)
	v_or_b32_e32 v8, v12, v8
	v_cndmask_b32_e64 v13, 0, v23, s[4:5]
	v_or_b32_e32 v6, v8, v6
	v_add_u16_e32 v7, v13, v7
	v_cmp_eq_u16_e64 s[4:5], 0, v12
	v_and_b32_e32 v6, 1, v6
	v_and_b32_e32 v4, 0x10000, v3
	v_cndmask_b32_e64 v13, 0, v7, s[4:5]
	v_cmp_eq_u32_e64 s[4:5], 1, v6
	v_mbcnt_lo_u32_b32 v6, -1, 0
	v_add_u16_e32 v7, v13, v9
	v_cndmask_b32_e64 v23, v4, v5, s[4:5]
	v_add_u16_e32 v9, v13, v9
	v_and_b32_e32 v5, 0xff000000, v3
	v_mbcnt_hi_u32_b32 v6, -1, v6
	v_or_b32_e32 v12, v23, v5
	v_and_b32_e32 v13, 15, v6
	v_or3_b32 v9, v5, v9, v23
	s_movk_i32 s56, 0xff
	v_lshrrev_b32_e32 v8, 16, v12
	v_mov_b32_dpp v23, v9 row_shr:1 row_mask:0xf bank_mask:0xf
	v_cmp_ne_u32_e64 s[4:5], 0, v13
	s_and_saveexec_b64 s[52:53], s[4:5]
	s_cbranch_execz .LBB671_132
; %bb.131:
	v_and_b32_sdwa v8, v12, s56 dst_sel:DWORD dst_unused:UNUSED_PAD src0_sel:WORD_1 src1_sel:DWORD
	v_cmp_eq_u16_e64 s[4:5], 0, v8
	v_and_b32_e32 v8, 0x10000, v12
	v_mov_b32_e32 v12, 1
	v_cndmask_b32_e64 v9, 0, v23, s[4:5]
	v_and_b32_sdwa v12, v23, v12 dst_sel:DWORD dst_unused:UNUSED_PAD src0_sel:WORD_1 src1_sel:DWORD
	v_cmp_ne_u32_e64 s[4:5], 0, v8
	v_cndmask_b32_e64 v8, v12, 1, s[4:5]
	v_add_u16_e32 v38, v9, v7
	v_lshlrev_b32_e32 v12, 16, v8
	v_add_u16_e32 v7, v9, v7
	v_or3_b32 v9, v12, v7, v5
	v_mov_b32_e32 v7, v38
.LBB671_132:
	s_or_b64 exec, exec, s[52:53]
	v_lshrrev_b32_e32 v12, 16, v9
	v_mov_b32_dpp v23, v9 row_shr:2 row_mask:0xf bank_mask:0xf
	v_cmp_lt_u32_e64 s[4:5], 1, v13
	s_and_saveexec_b64 s[52:53], s[4:5]
	s_cbranch_execz .LBB671_134
; %bb.133:
	v_mov_b32_e32 v8, 0
	v_cmp_eq_u16_sdwa s[4:5], v12, v8 src0_sel:BYTE_0 src1_sel:DWORD
	v_and_b32_e32 v8, 0x10000, v9
	v_mov_b32_e32 v9, 1
	v_cndmask_b32_e64 v12, 0, v23, s[4:5]
	v_and_b32_sdwa v9, v23, v9 dst_sel:DWORD dst_unused:UNUSED_PAD src0_sel:WORD_1 src1_sel:DWORD
	v_cmp_ne_u32_e64 s[4:5], 0, v8
	v_cndmask_b32_e64 v8, v9, 1, s[4:5]
	v_add_u16_e32 v38, v12, v7
	v_lshlrev_b32_e32 v9, 16, v8
	v_add_u16_e32 v7, v12, v7
	v_or3_b32 v9, v9, v7, v5
	v_mov_b32_e32 v12, v8
	v_mov_b32_e32 v7, v38
.LBB671_134:
	s_or_b64 exec, exec, s[52:53]
	v_mov_b32_dpp v23, v9 row_shr:4 row_mask:0xf bank_mask:0xf
	v_cmp_lt_u32_e64 s[4:5], 3, v13
	s_and_saveexec_b64 s[52:53], s[4:5]
	s_cbranch_execz .LBB671_136
; %bb.135:
	v_mov_b32_e32 v8, 0
	v_cmp_eq_u16_sdwa s[4:5], v12, v8 src0_sel:BYTE_0 src1_sel:DWORD
	v_and_b32_e32 v8, 1, v12
	v_mov_b32_e32 v12, 1
	v_cndmask_b32_e64 v9, 0, v23, s[4:5]
	v_and_b32_sdwa v12, v23, v12 dst_sel:DWORD dst_unused:UNUSED_PAD src0_sel:WORD_1 src1_sel:DWORD
	v_cmp_eq_u32_e64 s[4:5], 1, v8
	v_cndmask_b32_e64 v8, v12, 1, s[4:5]
	v_add_u16_e32 v38, v9, v7
	v_lshlrev_b32_e32 v12, 16, v8
	v_add_u16_e32 v7, v9, v7
	v_or3_b32 v9, v12, v7, v5
	v_mov_b32_e32 v12, v8
	v_mov_b32_e32 v7, v38
.LBB671_136:
	s_or_b64 exec, exec, s[52:53]
	v_mov_b32_dpp v23, v9 row_shr:8 row_mask:0xf bank_mask:0xf
	v_cmp_lt_u32_e64 s[4:5], 7, v13
	s_and_saveexec_b64 s[52:53], s[4:5]
	s_cbranch_execz .LBB671_138
; %bb.137:
	v_mov_b32_e32 v8, 0
	v_cmp_eq_u16_sdwa s[4:5], v12, v8 src0_sel:BYTE_0 src1_sel:DWORD
	v_and_b32_e32 v8, 1, v12
	v_mov_b32_e32 v12, 1
	v_cndmask_b32_e64 v9, 0, v23, s[4:5]
	v_and_b32_sdwa v12, v23, v12 dst_sel:DWORD dst_unused:UNUSED_PAD src0_sel:WORD_1 src1_sel:DWORD
	v_cmp_eq_u32_e64 s[4:5], 1, v8
	v_cndmask_b32_e64 v8, v12, 1, s[4:5]
	v_add_u16_e32 v13, v9, v7
	v_lshlrev_b32_e32 v12, 16, v8
	v_add_u16_e32 v7, v9, v7
	v_or3_b32 v9, v12, v7, v5
	v_mov_b32_e32 v12, v8
	v_mov_b32_e32 v7, v13
.LBB671_138:
	s_or_b64 exec, exec, s[52:53]
	v_and_b32_e32 v23, 16, v6
	v_mov_b32_dpp v13, v9 row_bcast:15 row_mask:0xf bank_mask:0xf
	v_cmp_ne_u32_e64 s[4:5], 0, v23
	s_and_saveexec_b64 s[52:53], s[4:5]
	s_cbranch_execz .LBB671_140
; %bb.139:
	v_mov_b32_e32 v8, 0
	v_cmp_eq_u16_sdwa s[4:5], v12, v8 src0_sel:BYTE_0 src1_sel:DWORD
	v_and_b32_e32 v8, 1, v12
	v_mov_b32_e32 v12, 1
	v_cndmask_b32_e64 v9, 0, v13, s[4:5]
	v_and_b32_sdwa v12, v13, v12 dst_sel:DWORD dst_unused:UNUSED_PAD src0_sel:WORD_1 src1_sel:DWORD
	v_cmp_eq_u32_e64 s[4:5], 1, v8
	v_cndmask_b32_e64 v8, v12, 1, s[4:5]
	v_add_u16_e32 v23, v9, v7
	v_lshlrev_b32_e32 v12, 16, v8
	v_add_u16_e32 v7, v9, v7
	v_or3_b32 v9, v12, v7, v5
	v_mov_b32_e32 v12, v8
	v_mov_b32_e32 v7, v23
.LBB671_140:
	s_or_b64 exec, exec, s[52:53]
	v_mov_b32_dpp v9, v9 row_bcast:31 row_mask:0xf bank_mask:0xf
	v_cmp_lt_u32_e64 s[4:5], 31, v6
	s_and_saveexec_b64 s[52:53], s[4:5]
; %bb.141:
	v_mov_b32_e32 v8, 0
	v_cmp_eq_u16_sdwa s[4:5], v12, v8 src0_sel:BYTE_0 src1_sel:DWORD
	v_cndmask_b32_e64 v8, 0, v9, s[4:5]
	v_add_u16_e32 v7, v8, v7
	v_and_b32_e32 v8, 1, v12
	v_mov_b32_e32 v12, 1
	v_and_b32_sdwa v9, v9, v12 dst_sel:DWORD dst_unused:UNUSED_PAD src0_sel:WORD_1 src1_sel:DWORD
	v_cmp_eq_u32_e64 s[4:5], 1, v8
	v_cndmask_b32_e64 v8, v9, 1, s[4:5]
; %bb.142:
	s_or_b64 exec, exec, s[52:53]
	v_and_b32_e32 v8, 0xff, v8
	v_lshlrev_b32_e32 v8, 16, v8
	v_and_b32_e32 v7, 0xffff, v7
	v_or3_b32 v5, v8, v7, v5
	v_add_u32_e32 v7, -1, v6
	v_and_b32_e32 v8, 64, v6
	v_cmp_lt_i32_e64 s[4:5], v7, v8
	v_cndmask_b32_e64 v6, v7, v6, s[4:5]
	v_lshlrev_b32_e32 v6, 2, v6
	ds_bpermute_b32 v5, v6, v5
	v_and_b32_e32 v6, 0xff0000, v3
	v_cmp_eq_u32_e64 s[4:5], 0, v6
	; wave barrier
	s_waitcnt lgkmcnt(0)
	v_cndmask_b32_e64 v6, 0, v5, s[4:5]
	v_add_u16_e32 v3, v6, v3
	v_mov_b32_e32 v6, 1
	v_and_b32_sdwa v5, v5, v6 dst_sel:DWORD dst_unused:UNUSED_PAD src0_sel:WORD_1 src1_sel:DWORD
	v_cmp_eq_u32_e64 s[4:5], 0, v4
	v_cndmask_b32_e64 v4, 1, v5, s[4:5]
	v_cndmask_b32_e64 v3, v3, v18, s[0:1]
	;; [unrolled: 1-line block ×3, first 2 shown]
	ds_write_b16 v2, v3
	ds_write_b8 v2, v4 offset:2
	; wave barrier
	ds_read_u16 v5, v2 offset:4
	ds_read_u8 v6, v2 offset:6
	ds_read_u16 v7, v2 offset:8
	ds_read_u8 v8, v2 offset:10
	;; [unrolled: 2-line block ×3, first 2 shown]
	s_waitcnt lgkmcnt(4)
	v_cmp_eq_u16_e64 s[4:5], 0, v6
	v_cndmask_b32_e64 v3, 0, v3, s[4:5]
	v_add_u16_e32 v3, v3, v5
	v_and_b32_e32 v5, 1, v6
	v_cmp_eq_u32_e64 s[4:5], 1, v5
	v_cndmask_b32_e64 v4, v4, 1, s[4:5]
	s_waitcnt lgkmcnt(2)
	v_cmp_eq_u16_e64 s[4:5], 0, v8
	v_and_b32_e32 v5, 1, v8
	ds_write_b16 v2, v3 offset:4
	ds_write_b8 v2, v4 offset:6
	v_cndmask_b32_e64 v3, 0, v3, s[4:5]
	v_cmp_eq_u32_e64 s[4:5], 1, v5
	v_add_u16_e32 v3, v3, v7
	v_cndmask_b32_e64 v4, v4, 1, s[4:5]
	s_waitcnt lgkmcnt(2)
	v_cmp_eq_u16_e64 s[4:5], 0, v12
	ds_write_b16 v2, v3 offset:8
	ds_write_b8 v2, v4 offset:10
	v_cndmask_b32_e64 v3, 0, v3, s[4:5]
	v_and_b32_e32 v5, 1, v12
	v_add_u16_e32 v3, v3, v9
	v_cmp_eq_u32_e64 s[4:5], 1, v5
	v_cndmask_b32_e64 v4, v4, 1, s[4:5]
	ds_write_b16 v2, v3 offset:12
	ds_write_b8 v2, v4 offset:14
.LBB671_143:
	s_or_b64 exec, exec, s[48:49]
	s_waitcnt lgkmcnt(0)
	s_barrier
	s_and_saveexec_b64 s[4:5], s[50:51]
	s_cbranch_execz .LBB671_145
; %bb.144:
	v_add_u32_e32 v2, -1, v0
	v_lshrrev_b32_e32 v3, 5, v2
	v_add_lshl_u32 v2, v3, v2, 2
	ds_read_u16 v18, v2
	ds_read_u8 v19, v2 offset:2
.LBB671_145:
	s_or_b64 exec, exec, s[4:5]
	s_and_saveexec_b64 s[4:5], vcc
	s_cbranch_execz .LBB671_188
; %bb.146:
	v_mov_b32_e32 v9, 0
	ds_read_b32 v2, v9 offset:1048
	v_mbcnt_lo_u32_b32 v3, -1, 0
	v_mbcnt_hi_u32_b32 v5, -1, v3
	s_mov_b32 s57, 0
	v_cmp_eq_u32_e64 s[48:49], 0, v5
	s_and_saveexec_b64 s[52:53], s[48:49]
	s_cbranch_execz .LBB671_148
; %bb.147:
	s_add_i32 s56, s63, 64
	s_lshl_b64 s[56:57], s[56:57], 3
	s_add_u32 s56, s60, s56
	v_mov_b32_e32 v3, 1
	s_addc_u32 s57, s61, s57
	s_waitcnt lgkmcnt(0)
	global_store_dwordx2 v9, v[2:3], s[56:57]
.LBB671_148:
	s_or_b64 exec, exec, s[52:53]
	v_xad_u32 v4, v5, -1, s63
	v_add_u32_e32 v8, 64, v4
	v_lshlrev_b64 v[6:7], 3, v[8:9]
	v_mov_b32_e32 v3, s61
	v_add_co_u32_e32 v12, vcc, s60, v6
	v_addc_co_u32_e32 v13, vcc, v3, v7, vcc
	global_load_dwordx2 v[6:7], v[12:13], off glc
	s_waitcnt vmcnt(0)
	v_cmp_eq_u16_sdwa s[56:57], v7, v9 src0_sel:BYTE_0 src1_sel:DWORD
	s_and_saveexec_b64 s[52:53], s[56:57]
	s_cbranch_execz .LBB671_152
; %bb.149:
	s_mov_b64 s[56:57], 0
	v_mov_b32_e32 v3, 0
.LBB671_150:                            ; =>This Inner Loop Header: Depth=1
	global_load_dwordx2 v[6:7], v[12:13], off glc
	s_waitcnt vmcnt(0)
	v_cmp_ne_u16_sdwa s[64:65], v7, v3 src0_sel:BYTE_0 src1_sel:DWORD
	s_or_b64 s[56:57], s[64:65], s[56:57]
	s_andn2_b64 exec, exec, s[56:57]
	s_cbranch_execnz .LBB671_150
; %bb.151:
	s_or_b64 exec, exec, s[56:57]
.LBB671_152:
	s_or_b64 exec, exec, s[52:53]
	v_mov_b32_e32 v3, 2
	v_cmp_eq_u16_sdwa s[52:53], v7, v3 src0_sel:BYTE_0 src1_sel:DWORD
	v_lshlrev_b64 v[8:9], v5, -1
	v_and_b32_e32 v3, s53, v9
	v_or_b32_e32 v3, 0x80000000, v3
	v_ffbl_b32_e32 v3, v3
	v_add_u32_e32 v13, 32, v3
	v_and_b32_e32 v3, 63, v5
	v_cmp_ne_u32_e32 vcc, 63, v3
	v_addc_co_u32_e32 v23, vcc, 0, v5, vcc
	v_and_b32_e32 v52, 0xffffff, v6
	v_lshlrev_b32_e32 v23, 2, v23
	ds_bpermute_b32 v38, v23, v52
	v_and_b32_e32 v12, s52, v8
	v_ffbl_b32_e32 v12, v12
	v_min_u32_e32 v13, v12, v13
	v_lshrrev_b32_e32 v12, 16, v6
	v_cmp_lt_u32_e32 vcc, v3, v13
	v_bfe_u32 v50, v6, 16, 8
	s_and_saveexec_b64 s[52:53], vcc
	s_cbranch_execz .LBB671_154
; %bb.153:
	v_and_b32_e32 v12, 0xff0000, v6
	v_cmp_eq_u32_e32 vcc, 0, v12
	v_and_b32_e32 v12, 0x10000, v12
	v_mov_b32_e32 v45, 1
	s_waitcnt lgkmcnt(0)
	v_cndmask_b32_e32 v43, 0, v38, vcc
	v_and_b32_sdwa v38, v38, v45 dst_sel:DWORD dst_unused:UNUSED_PAD src0_sel:WORD_1 src1_sel:DWORD
	v_cmp_ne_u32_e32 vcc, 0, v12
	v_cndmask_b32_e64 v12, v38, 1, vcc
	v_add_u16_e32 v44, v43, v6
	v_lshlrev_b32_e32 v38, 16, v12
	v_add_u16_e32 v6, v43, v6
	v_or_b32_e32 v52, v38, v6
	v_mov_b32_e32 v6, v44
	v_mov_b32_e32 v50, v12
.LBB671_154:
	s_or_b64 exec, exec, s[52:53]
	v_cmp_gt_u32_e32 vcc, 62, v3
	s_waitcnt lgkmcnt(0)
	v_cndmask_b32_e64 v38, 0, 1, vcc
	v_lshlrev_b32_e32 v38, 1, v38
	v_add_lshl_u32 v38, v38, v5, 2
	ds_bpermute_b32 v44, v38, v52
	v_add_u32_e32 v43, 2, v3
	v_cmp_le_u32_e32 vcc, v43, v13
	s_and_saveexec_b64 s[52:53], vcc
	s_cbranch_execz .LBB671_156
; %bb.155:
	v_cmp_eq_u16_e32 vcc, 0, v50
	v_and_b32_e32 v12, 1, v50
	v_mov_b32_e32 v47, 1
	s_waitcnt lgkmcnt(0)
	v_cndmask_b32_e32 v45, 0, v44, vcc
	v_and_b32_sdwa v44, v44, v47 dst_sel:DWORD dst_unused:UNUSED_PAD src0_sel:WORD_1 src1_sel:DWORD
	v_cmp_eq_u32_e32 vcc, 1, v12
	v_cndmask_b32_e64 v12, v44, 1, vcc
	v_add_u16_e32 v46, v45, v6
	v_lshlrev_b32_e32 v44, 16, v12
	v_add_u16_e32 v6, v45, v6
	v_or_b32_e32 v52, v44, v6
	v_mov_b32_e32 v6, v46
	v_mov_b32_e32 v50, v12
.LBB671_156:
	s_or_b64 exec, exec, s[52:53]
	v_cmp_gt_u32_e32 vcc, 60, v3
	s_waitcnt lgkmcnt(0)
	v_cndmask_b32_e64 v44, 0, 1, vcc
	v_lshlrev_b32_e32 v44, 2, v44
	v_add_lshl_u32 v44, v44, v5, 2
	ds_bpermute_b32 v46, v44, v52
	v_add_u32_e32 v45, 4, v3
	v_cmp_le_u32_e32 vcc, v45, v13
	s_and_saveexec_b64 s[52:53], vcc
	s_cbranch_execz .LBB671_158
; %bb.157:
	v_cmp_eq_u16_e32 vcc, 0, v50
	v_and_b32_e32 v12, 1, v50
	v_mov_b32_e32 v49, 1
	s_waitcnt lgkmcnt(0)
	v_cndmask_b32_e32 v47, 0, v46, vcc
	v_and_b32_sdwa v46, v46, v49 dst_sel:DWORD dst_unused:UNUSED_PAD src0_sel:WORD_1 src1_sel:DWORD
	v_cmp_eq_u32_e32 vcc, 1, v12
	v_cndmask_b32_e64 v12, v46, 1, vcc
	v_add_u16_e32 v48, v47, v6
	v_lshlrev_b32_e32 v46, 16, v12
	v_add_u16_e32 v6, v47, v6
	v_or_b32_e32 v52, v46, v6
	v_mov_b32_e32 v6, v48
	v_mov_b32_e32 v50, v12
.LBB671_158:
	;; [unrolled: 27-line block ×4, first 2 shown]
	s_or_b64 exec, exec, s[52:53]
	v_cmp_gt_u32_e32 vcc, 32, v3
	s_waitcnt lgkmcnt(0)
	v_cndmask_b32_e64 v51, 0, 1, vcc
	v_lshlrev_b32_e32 v51, 5, v51
	v_add_lshl_u32 v51, v51, v5, 2
	ds_bpermute_b32 v5, v51, v52
	v_add_u32_e32 v52, 32, v3
	v_cmp_le_u32_e32 vcc, v52, v13
	s_and_saveexec_b64 s[52:53], vcc
	s_cbranch_execz .LBB671_164
; %bb.163:
	v_cmp_eq_u16_e32 vcc, 0, v50
	s_waitcnt lgkmcnt(0)
	v_cndmask_b32_e32 v12, 0, v5, vcc
	v_add_u16_e32 v6, v12, v6
	v_and_b32_e32 v12, 1, v50
	v_mov_b32_e32 v13, 1
	v_and_b32_sdwa v5, v5, v13 dst_sel:DWORD dst_unused:UNUSED_PAD src0_sel:WORD_1 src1_sel:DWORD
	v_cmp_eq_u32_e32 vcc, 1, v12
	v_cndmask_b32_e64 v12, v5, 1, vcc
.LBB671_164:
	s_or_b64 exec, exec, s[52:53]
	s_waitcnt lgkmcnt(0)
	v_mov_b32_e32 v5, 0
	v_mov_b32_e32 v54, 2
	;; [unrolled: 1-line block ×3, first 2 shown]
	s_branch .LBB671_166
.LBB671_165:                            ;   in Loop: Header=BB671_166 Depth=1
	s_or_b64 exec, exec, s[52:53]
	v_cmp_eq_u16_sdwa vcc, v50, v5 src0_sel:BYTE_0 src1_sel:DWORD
	v_and_b32_e32 v12, 1, v50
	v_cndmask_b32_e32 v6, 0, v6, vcc
	v_and_b32_e32 v13, 1, v13
	v_cmp_eq_u32_e32 vcc, 1, v12
	v_subrev_u32_e32 v4, 64, v4
	v_add_u16_e32 v6, v6, v53
	v_cndmask_b32_e64 v12, v13, 1, vcc
.LBB671_166:                            ; =>This Loop Header: Depth=1
                                        ;     Child Loop BB671_169 Depth 2
	v_cmp_ne_u16_sdwa s[52:53], v7, v54 src0_sel:BYTE_0 src1_sel:DWORD
	v_cndmask_b32_e64 v7, 0, 1, s[52:53]
	;;#ASMSTART
	;;#ASMEND
	v_cmp_ne_u32_e32 vcc, 0, v7
	v_mov_b32_e32 v50, v12
	s_cmp_lg_u64 vcc, exec
	v_mov_b32_e32 v53, v6
	s_cbranch_scc1 .LBB671_183
; %bb.167:                              ;   in Loop: Header=BB671_166 Depth=1
	v_lshlrev_b64 v[6:7], 3, v[4:5]
	v_mov_b32_e32 v13, s61
	v_add_co_u32_e32 v12, vcc, s60, v6
	v_addc_co_u32_e32 v13, vcc, v13, v7, vcc
	global_load_dwordx2 v[6:7], v[12:13], off glc
	s_waitcnt vmcnt(0)
	v_cmp_eq_u16_sdwa s[56:57], v7, v5 src0_sel:BYTE_0 src1_sel:DWORD
	s_and_saveexec_b64 s[52:53], s[56:57]
	s_cbranch_execz .LBB671_171
; %bb.168:                              ;   in Loop: Header=BB671_166 Depth=1
	s_mov_b64 s[56:57], 0
.LBB671_169:                            ;   Parent Loop BB671_166 Depth=1
                                        ; =>  This Inner Loop Header: Depth=2
	global_load_dwordx2 v[6:7], v[12:13], off glc
	s_waitcnt vmcnt(0)
	v_cmp_ne_u16_sdwa s[64:65], v7, v5 src0_sel:BYTE_0 src1_sel:DWORD
	s_or_b64 s[56:57], s[64:65], s[56:57]
	s_andn2_b64 exec, exec, s[56:57]
	s_cbranch_execnz .LBB671_169
; %bb.170:                              ;   in Loop: Header=BB671_166 Depth=1
	s_or_b64 exec, exec, s[56:57]
.LBB671_171:                            ;   in Loop: Header=BB671_166 Depth=1
	s_or_b64 exec, exec, s[52:53]
	v_cmp_eq_u16_sdwa s[52:53], v7, v54 src0_sel:BYTE_0 src1_sel:DWORD
	v_and_b32_e32 v12, s53, v9
	s_waitcnt lgkmcnt(0)
	v_and_b32_e32 v57, 0xffffff, v6
	v_or_b32_e32 v12, 0x80000000, v12
	ds_bpermute_b32 v58, v23, v57
	v_and_b32_e32 v13, s52, v8
	v_ffbl_b32_e32 v12, v12
	v_add_u32_e32 v12, 32, v12
	v_ffbl_b32_e32 v13, v13
	v_min_u32_e32 v12, v13, v12
	v_lshrrev_b32_e32 v13, 16, v6
	v_cmp_lt_u32_e32 vcc, v3, v12
	v_bfe_u32 v56, v6, 16, 8
	s_and_saveexec_b64 s[52:53], vcc
	s_cbranch_execz .LBB671_173
; %bb.172:                              ;   in Loop: Header=BB671_166 Depth=1
	v_and_b32_e32 v13, 0xff0000, v6
	v_cmp_eq_u32_e32 vcc, 0, v13
	v_and_b32_e32 v13, 0x10000, v13
	s_waitcnt lgkmcnt(0)
	v_cndmask_b32_e32 v56, 0, v58, vcc
	v_and_b32_sdwa v57, v58, v55 dst_sel:DWORD dst_unused:UNUSED_PAD src0_sel:WORD_1 src1_sel:DWORD
	v_cmp_ne_u32_e32 vcc, 0, v13
	v_cndmask_b32_e64 v13, v57, 1, vcc
	v_add_u16_e32 v59, v56, v6
	v_lshlrev_b32_e32 v57, 16, v13
	v_add_u16_e32 v6, v56, v6
	v_or_b32_e32 v57, v57, v6
	v_mov_b32_e32 v6, v59
	v_mov_b32_e32 v56, v13
.LBB671_173:                            ;   in Loop: Header=BB671_166 Depth=1
	s_or_b64 exec, exec, s[52:53]
	s_waitcnt lgkmcnt(0)
	ds_bpermute_b32 v58, v38, v57
	v_cmp_le_u32_e32 vcc, v43, v12
	s_and_saveexec_b64 s[52:53], vcc
	s_cbranch_execz .LBB671_175
; %bb.174:                              ;   in Loop: Header=BB671_166 Depth=1
	v_cmp_eq_u16_e32 vcc, 0, v56
	v_and_b32_e32 v13, 1, v56
	s_waitcnt lgkmcnt(0)
	v_cndmask_b32_e32 v57, 0, v58, vcc
	v_and_b32_sdwa v56, v58, v55 dst_sel:DWORD dst_unused:UNUSED_PAD src0_sel:WORD_1 src1_sel:DWORD
	v_cmp_eq_u32_e32 vcc, 1, v13
	v_cndmask_b32_e64 v13, v56, 1, vcc
	v_add_u16_e32 v59, v57, v6
	v_lshlrev_b32_e32 v56, 16, v13
	v_add_u16_e32 v6, v57, v6
	v_or_b32_e32 v57, v56, v6
	v_mov_b32_e32 v6, v59
	v_mov_b32_e32 v56, v13
.LBB671_175:                            ;   in Loop: Header=BB671_166 Depth=1
	s_or_b64 exec, exec, s[52:53]
	s_waitcnt lgkmcnt(0)
	ds_bpermute_b32 v58, v44, v57
	v_cmp_le_u32_e32 vcc, v45, v12
	s_and_saveexec_b64 s[52:53], vcc
	s_cbranch_execz .LBB671_177
; %bb.176:                              ;   in Loop: Header=BB671_166 Depth=1
	v_cmp_eq_u16_e32 vcc, 0, v56
	v_and_b32_e32 v13, 1, v56
	s_waitcnt lgkmcnt(0)
	v_cndmask_b32_e32 v57, 0, v58, vcc
	v_and_b32_sdwa v56, v58, v55 dst_sel:DWORD dst_unused:UNUSED_PAD src0_sel:WORD_1 src1_sel:DWORD
	v_cmp_eq_u32_e32 vcc, 1, v13
	v_cndmask_b32_e64 v13, v56, 1, vcc
	v_add_u16_e32 v59, v57, v6
	v_lshlrev_b32_e32 v56, 16, v13
	v_add_u16_e32 v6, v57, v6
	v_or_b32_e32 v57, v56, v6
	v_mov_b32_e32 v6, v59
	v_mov_b32_e32 v56, v13
.LBB671_177:                            ;   in Loop: Header=BB671_166 Depth=1
	;; [unrolled: 21-line block ×4, first 2 shown]
	s_or_b64 exec, exec, s[52:53]
	ds_bpermute_b32 v57, v51, v57
	v_cmp_le_u32_e32 vcc, v52, v12
	s_and_saveexec_b64 s[52:53], vcc
	s_cbranch_execz .LBB671_165
; %bb.182:                              ;   in Loop: Header=BB671_166 Depth=1
	v_cmp_eq_u16_e32 vcc, 0, v56
	s_waitcnt lgkmcnt(0)
	v_cndmask_b32_e32 v12, 0, v57, vcc
	v_add_u16_e32 v6, v12, v6
	v_and_b32_e32 v12, 1, v56
	v_lshrrev_b32_e32 v13, 16, v57
	v_cmp_eq_u32_e32 vcc, 1, v12
	v_cndmask_b32_e64 v13, v13, 1, vcc
	s_branch .LBB671_165
.LBB671_183:                            ;   in Loop: Header=BB671_166 Depth=1
                                        ; implicit-def: $vgpr12
                                        ; implicit-def: $vgpr6
	s_cbranch_execz .LBB671_166
; %bb.184:
	s_and_saveexec_b64 s[52:53], s[48:49]
	s_cbranch_execz .LBB671_186
; %bb.185:
	v_and_b32_e32 v3, 0xff0000, v2
	s_mov_b32 s49, 0
	v_cmp_eq_u32_e32 vcc, 0, v3
	v_and_b32_e32 v4, 0x10000, v2
	v_mov_b32_e32 v5, 1
	s_add_i32 s48, s63, 64
	v_cndmask_b32_e32 v3, 0, v53, vcc
	v_and_b32_sdwa v5, v50, v5 dst_sel:WORD_1 dst_unused:UNUSED_PAD src0_sel:DWORD src1_sel:DWORD
	v_mov_b32_e32 v6, 0x10000
	v_cmp_eq_u32_e32 vcc, 0, v4
	s_lshl_b64 s[48:49], s[48:49], 3
	v_cndmask_b32_e32 v4, v6, v5, vcc
	s_add_u32 s48, s60, s48
	v_add_u16_e32 v2, v3, v2
	s_addc_u32 s49, s61, s49
	v_mov_b32_e32 v5, 0
	v_or_b32_e32 v2, v4, v2
	v_mov_b32_e32 v3, 2
	global_store_dwordx2 v5, v[2:3], s[48:49]
.LBB671_186:
	s_or_b64 exec, exec, s[52:53]
	s_and_b64 exec, exec, s[0:1]
	s_cbranch_execz .LBB671_188
; %bb.187:
	v_mov_b32_e32 v2, 0
	ds_write_b16 v2, v53
	ds_write_b8 v2, v50 offset:2
.LBB671_188:
	s_or_b64 exec, exec, s[4:5]
	v_mov_b32_e32 v2, 0
	s_waitcnt lgkmcnt(0)
	s_barrier
	ds_read_b32 v3, v2
	v_cmp_eq_u16_sdwa vcc, v19, v2 src0_sel:BYTE_0 src1_sel:DWORD
	s_waitcnt lgkmcnt(0)
	v_cndmask_b32_e32 v2, 0, v3, vcc
	v_add_u16_e32 v2, v2, v18
	v_cndmask_b32_e64 v4, v2, v3, s[0:1]
	v_and_b32_e32 v2, 0xff0000, v1
	v_cmp_eq_u32_e32 vcc, 0, v2
	v_cndmask_b32_e32 v2, 0, v4, vcc
	v_add_u16_e32 v5, v2, v1
	v_cndmask_b32_e64 v2, 0, v5, s[6:7]
	v_add_u16_e32 v6, v2, v20
	v_cndmask_b32_e64 v2, 0, v6, s[8:9]
	;; [unrolled: 2-line block ×20, first 2 shown]
	v_add_u16_e32 v52, v2, v41
	s_branch .LBB671_231
.LBB671_189:
	s_or_b64 exec, exec, s[4:5]
                                        ; implicit-def: $vgpr32
	s_and_saveexec_b64 s[4:5], s[6:7]
	s_cbranch_execz .LBB671_53
.LBB671_190:
	v_add_co_u32_e32 v32, vcc, v23, v25
	v_addc_co_u32_e32 v33, vcc, 0, v38, vcc
	flat_load_ushort v32, v[32:33] offset:512
	s_or_b64 exec, exec, s[4:5]
                                        ; implicit-def: $vgpr33
	s_and_saveexec_b64 s[4:5], s[8:9]
	s_cbranch_execnz .LBB671_54
.LBB671_191:
	s_or_b64 exec, exec, s[4:5]
                                        ; implicit-def: $vgpr34
	s_and_saveexec_b64 s[4:5], s[10:11]
	s_cbranch_execz .LBB671_55
.LBB671_192:
	v_add_co_u32_e32 v34, vcc, v23, v25
	v_addc_co_u32_e32 v35, vcc, 0, v38, vcc
	flat_load_ushort v34, v[34:35] offset:1536
	s_or_b64 exec, exec, s[4:5]
                                        ; implicit-def: $vgpr35
	s_and_saveexec_b64 s[4:5], s[12:13]
	s_cbranch_execnz .LBB671_56
.LBB671_193:
	s_or_b64 exec, exec, s[4:5]
                                        ; implicit-def: $vgpr36
	s_and_saveexec_b64 s[4:5], s[14:15]
	s_cbranch_execz .LBB671_57
.LBB671_194:
	v_add_co_u32_e32 v36, vcc, v23, v25
	v_addc_co_u32_e32 v37, vcc, 0, v38, vcc
	flat_load_ushort v36, v[36:37] offset:2560
	s_or_b64 exec, exec, s[4:5]
                                        ; implicit-def: $vgpr37
	s_and_saveexec_b64 s[4:5], s[16:17]
	s_cbranch_execnz .LBB671_58
.LBB671_195:
	s_or_b64 exec, exec, s[4:5]
                                        ; implicit-def: $vgpr39
	s_and_saveexec_b64 s[4:5], s[18:19]
	s_cbranch_execz .LBB671_59
.LBB671_196:
	v_add_co_u32_e32 v40, vcc, v23, v25
	v_addc_co_u32_e32 v41, vcc, 0, v38, vcc
	flat_load_ushort v39, v[40:41] offset:3584
	s_or_b64 exec, exec, s[4:5]
                                        ; implicit-def: $vgpr40
	s_and_saveexec_b64 s[4:5], s[20:21]
	s_cbranch_execnz .LBB671_60
.LBB671_197:
	s_or_b64 exec, exec, s[4:5]
                                        ; implicit-def: $vgpr1
	s_and_saveexec_b64 s[4:5], s[22:23]
	s_cbranch_execz .LBB671_61
.LBB671_198:
	v_add_co_u32_e32 v46, vcc, v23, v2
	v_addc_co_u32_e32 v47, vcc, 0, v38, vcc
	flat_load_ushort v1, v[46:47]
	s_or_b64 exec, exec, s[4:5]
                                        ; implicit-def: $vgpr2
	s_and_saveexec_b64 s[4:5], s[24:25]
	s_cbranch_execnz .LBB671_62
.LBB671_199:
	s_or_b64 exec, exec, s[4:5]
                                        ; implicit-def: $vgpr3
	s_and_saveexec_b64 s[4:5], s[26:27]
	s_cbranch_execz .LBB671_63
.LBB671_200:
	v_add_co_u32_e32 v46, vcc, v23, v4
	v_addc_co_u32_e32 v47, vcc, 0, v38, vcc
	flat_load_ushort v3, v[46:47]
	s_or_b64 exec, exec, s[4:5]
                                        ; implicit-def: $vgpr4
	s_and_saveexec_b64 s[4:5], s[28:29]
	s_cbranch_execnz .LBB671_64
.LBB671_201:
	s_or_b64 exec, exec, s[4:5]
                                        ; implicit-def: $vgpr5
	s_and_saveexec_b64 s[4:5], s[30:31]
	s_cbranch_execz .LBB671_65
.LBB671_202:
	v_add_co_u32_e32 v46, vcc, v23, v20
	v_addc_co_u32_e32 v47, vcc, 0, v38, vcc
	flat_load_ushort v5, v[46:47]
	s_or_b64 exec, exec, s[4:5]
                                        ; implicit-def: $vgpr20
	s_and_saveexec_b64 s[4:5], s[34:35]
	s_cbranch_execnz .LBB671_66
.LBB671_203:
	s_or_b64 exec, exec, s[4:5]
                                        ; implicit-def: $vgpr21
	s_and_saveexec_b64 s[4:5], s[36:37]
	s_cbranch_execz .LBB671_67
.LBB671_204:
	v_add_co_u32_e32 v46, vcc, v23, v22
	v_addc_co_u32_e32 v47, vcc, 0, v38, vcc
	flat_load_ushort v21, v[46:47]
	s_or_b64 exec, exec, s[4:5]
                                        ; implicit-def: $vgpr22
	s_and_saveexec_b64 s[4:5], s[38:39]
	s_cbranch_execnz .LBB671_68
.LBB671_205:
	s_or_b64 exec, exec, s[4:5]
                                        ; implicit-def: $vgpr24
	s_and_saveexec_b64 s[4:5], s[40:41]
	s_cbranch_execz .LBB671_69
.LBB671_206:
	v_add_co_u32_e32 v46, vcc, v23, v26
	v_addc_co_u32_e32 v47, vcc, 0, v38, vcc
	flat_load_ushort v24, v[46:47]
	s_or_b64 exec, exec, s[4:5]
                                        ; implicit-def: $vgpr26
	s_and_saveexec_b64 s[4:5], s[42:43]
	s_cbranch_execnz .LBB671_70
.LBB671_207:
	s_or_b64 exec, exec, s[4:5]
                                        ; implicit-def: $vgpr27
	s_and_saveexec_b64 s[4:5], s[44:45]
	s_cbranch_execz .LBB671_71
.LBB671_208:
	v_add_co_u32_e32 v46, vcc, v23, v28
	v_addc_co_u32_e32 v47, vcc, 0, v38, vcc
	flat_load_ushort v27, v[46:47]
	s_or_b64 exec, exec, s[4:5]
                                        ; implicit-def: $vgpr28
	s_and_saveexec_b64 s[4:5], s[46:47]
	s_cbranch_execz .LBB671_73
	s_branch .LBB671_72
.LBB671_209:
                                        ; implicit-def: $vgpr4
                                        ; implicit-def: $vgpr5
                                        ; implicit-def: $vgpr6
                                        ; implicit-def: $vgpr7
                                        ; implicit-def: $vgpr8
                                        ; implicit-def: $vgpr9
                                        ; implicit-def: $vgpr12
                                        ; implicit-def: $vgpr13
                                        ; implicit-def: $vgpr18
                                        ; implicit-def: $vgpr19
                                        ; implicit-def: $vgpr23
                                        ; implicit-def: $vgpr38
                                        ; implicit-def: $vgpr43
                                        ; implicit-def: $vgpr44
                                        ; implicit-def: $vgpr45
                                        ; implicit-def: $vgpr46
                                        ; implicit-def: $vgpr47
                                        ; implicit-def: $vgpr48
                                        ; implicit-def: $vgpr49
                                        ; implicit-def: $vgpr50
                                        ; implicit-def: $vgpr51
                                        ; implicit-def: $vgpr52
	s_cbranch_execz .LBB671_231
; %bb.210:
	s_cmp_lg_u64 s[68:69], 0
	s_cselect_b32 s5, s67, 0
	s_cselect_b32 s4, s66, 0
	s_cmp_eq_u64 s[4:5], 0
	v_mov_b32_e32 v2, s70
	s_cbranch_scc1 .LBB671_212
; %bb.211:
	v_mov_b32_e32 v2, 0
	global_load_ushort v2, v2, s[4:5]
.LBB671_212:
	s_mov_b32 s4, 0x10000
	v_cmp_gt_u32_e32 vcc, s4, v20
	v_cndmask_b32_e32 v3, 0, v1, vcc
	v_add_u16_e32 v3, v3, v20
	v_cmp_gt_u32_e64 s[6:7], s4, v24
	v_cndmask_b32_e64 v3, 0, v3, s[6:7]
	v_add_u16_e32 v3, v3, v24
	v_cmp_gt_u32_e64 s[8:9], s4, v21
	v_cndmask_b32_e64 v3, 0, v3, s[8:9]
	;; [unrolled: 3-line block ×20, first 2 shown]
	v_add_u16_e32 v4, v3, v14
	v_or3_b32 v3, v17, v37, v36
	v_or3_b32 v3, v3, v35, v34
	;; [unrolled: 1-line block ×8, first 2 shown]
	v_and_b32_e32 v3, 0x10000, v3
	v_cmp_ne_u32_e64 s[4:5], 0, v3
	v_mov_b32_e32 v8, 0x10000
	v_cndmask_b32_e64 v5, v15, 1, s[4:5]
	v_add_lshl_u32 v3, v16, v0, 2
	v_cmp_gt_u32_e64 s[4:5], 64, v0
	ds_write_b16 v3, v4
	ds_write_b8 v3, v5 offset:2
	s_waitcnt lgkmcnt(0)
	s_barrier
	s_and_saveexec_b64 s[46:47], s[4:5]
	s_cbranch_execz .LBB671_226
; %bb.213:
	v_lshlrev_b32_e32 v3, 2, v0
	v_lshrrev_b32_e32 v6, 3, v0
	v_add_lshl_u32 v3, v6, v3, 2
	ds_read_b32 v6, v3
	ds_read_u16 v7, v3 offset:4
	ds_read_u8 v9, v3 offset:6
	ds_read_u16 v12, v3 offset:8
	ds_read_u8 v13, v3 offset:10
	;; [unrolled: 2-line block ×3, first 2 shown]
	v_mov_b32_e32 v16, 0
	s_waitcnt lgkmcnt(4)
	v_cmp_eq_u16_sdwa s[4:5], v9, v16 src0_sel:BYTE_0 src1_sel:DWORD
	v_cndmask_b32_e64 v17, 0, v6, s[4:5]
	v_add_u16_e32 v17, v17, v7
	s_waitcnt lgkmcnt(2)
	v_cmp_eq_u16_sdwa s[4:5], v13, v16 src0_sel:BYTE_0 src1_sel:DWORD
	s_waitcnt lgkmcnt(0)
	v_or_b32_e32 v13, v15, v13
	v_cndmask_b32_e64 v16, 0, v17, s[4:5]
	v_or_b32_e32 v9, v13, v9
	v_add_u16_e32 v12, v16, v12
	v_cmp_eq_u16_e64 s[4:5], 0, v15
	v_and_b32_e32 v9, 1, v9
	v_and_b32_e32 v7, 0x10000, v6
	v_cndmask_b32_e64 v16, 0, v12, s[4:5]
	v_cmp_eq_u32_e64 s[4:5], 1, v9
	v_mbcnt_lo_u32_b32 v9, -1, 0
	v_add_u16_e32 v12, v16, v14
	v_cndmask_b32_e64 v17, v7, v8, s[4:5]
	v_add_u16_e32 v14, v16, v14
	v_and_b32_e32 v8, 0xff000000, v6
	v_mbcnt_hi_u32_b32 v9, -1, v9
	v_or_b32_e32 v15, v17, v8
	v_and_b32_e32 v16, 15, v9
	v_or3_b32 v14, v8, v14, v17
	s_movk_i32 s52, 0xff
	v_lshrrev_b32_e32 v13, 16, v15
	v_mov_b32_dpp v17, v14 row_shr:1 row_mask:0xf bank_mask:0xf
	v_cmp_ne_u32_e64 s[4:5], 0, v16
	s_and_saveexec_b64 s[48:49], s[4:5]
	s_cbranch_execz .LBB671_215
; %bb.214:
	v_and_b32_sdwa v13, v15, s52 dst_sel:DWORD dst_unused:UNUSED_PAD src0_sel:WORD_1 src1_sel:DWORD
	v_cmp_eq_u16_e64 s[4:5], 0, v13
	v_and_b32_e32 v13, 0x10000, v15
	v_mov_b32_e32 v15, 1
	v_cndmask_b32_e64 v14, 0, v17, s[4:5]
	v_and_b32_sdwa v15, v17, v15 dst_sel:DWORD dst_unused:UNUSED_PAD src0_sel:WORD_1 src1_sel:DWORD
	v_cmp_ne_u32_e64 s[4:5], 0, v13
	v_cndmask_b32_e64 v13, v15, 1, s[4:5]
	v_add_u16_e32 v18, v14, v12
	v_lshlrev_b32_e32 v15, 16, v13
	v_add_u16_e32 v12, v14, v12
	v_or3_b32 v14, v15, v12, v8
	v_mov_b32_e32 v12, v18
.LBB671_215:
	s_or_b64 exec, exec, s[48:49]
	v_lshrrev_b32_e32 v15, 16, v14
	v_mov_b32_dpp v17, v14 row_shr:2 row_mask:0xf bank_mask:0xf
	v_cmp_lt_u32_e64 s[4:5], 1, v16
	s_and_saveexec_b64 s[48:49], s[4:5]
	s_cbranch_execz .LBB671_217
; %bb.216:
	v_mov_b32_e32 v13, 0
	v_cmp_eq_u16_sdwa s[4:5], v15, v13 src0_sel:BYTE_0 src1_sel:DWORD
	v_and_b32_e32 v13, 0x10000, v14
	v_mov_b32_e32 v14, 1
	v_cndmask_b32_e64 v15, 0, v17, s[4:5]
	v_and_b32_sdwa v14, v17, v14 dst_sel:DWORD dst_unused:UNUSED_PAD src0_sel:WORD_1 src1_sel:DWORD
	v_cmp_ne_u32_e64 s[4:5], 0, v13
	v_cndmask_b32_e64 v13, v14, 1, s[4:5]
	v_add_u16_e32 v18, v15, v12
	v_lshlrev_b32_e32 v14, 16, v13
	v_add_u16_e32 v12, v15, v12
	v_or3_b32 v14, v14, v12, v8
	v_mov_b32_e32 v15, v13
	v_mov_b32_e32 v12, v18
.LBB671_217:
	s_or_b64 exec, exec, s[48:49]
	v_mov_b32_dpp v17, v14 row_shr:4 row_mask:0xf bank_mask:0xf
	v_cmp_lt_u32_e64 s[4:5], 3, v16
	s_and_saveexec_b64 s[48:49], s[4:5]
	s_cbranch_execz .LBB671_219
; %bb.218:
	v_mov_b32_e32 v13, 0
	v_cmp_eq_u16_sdwa s[4:5], v15, v13 src0_sel:BYTE_0 src1_sel:DWORD
	v_and_b32_e32 v13, 1, v15
	v_mov_b32_e32 v15, 1
	v_cndmask_b32_e64 v14, 0, v17, s[4:5]
	v_and_b32_sdwa v15, v17, v15 dst_sel:DWORD dst_unused:UNUSED_PAD src0_sel:WORD_1 src1_sel:DWORD
	v_cmp_eq_u32_e64 s[4:5], 1, v13
	v_cndmask_b32_e64 v13, v15, 1, s[4:5]
	v_add_u16_e32 v18, v14, v12
	v_lshlrev_b32_e32 v15, 16, v13
	v_add_u16_e32 v12, v14, v12
	v_or3_b32 v14, v15, v12, v8
	v_mov_b32_e32 v15, v13
	v_mov_b32_e32 v12, v18
.LBB671_219:
	s_or_b64 exec, exec, s[48:49]
	v_mov_b32_dpp v17, v14 row_shr:8 row_mask:0xf bank_mask:0xf
	v_cmp_lt_u32_e64 s[4:5], 7, v16
	s_and_saveexec_b64 s[48:49], s[4:5]
	s_cbranch_execz .LBB671_221
; %bb.220:
	v_mov_b32_e32 v13, 0
	v_cmp_eq_u16_sdwa s[4:5], v15, v13 src0_sel:BYTE_0 src1_sel:DWORD
	v_and_b32_e32 v13, 1, v15
	v_mov_b32_e32 v15, 1
	v_cndmask_b32_e64 v14, 0, v17, s[4:5]
	v_and_b32_sdwa v15, v17, v15 dst_sel:DWORD dst_unused:UNUSED_PAD src0_sel:WORD_1 src1_sel:DWORD
	v_cmp_eq_u32_e64 s[4:5], 1, v13
	v_cndmask_b32_e64 v13, v15, 1, s[4:5]
	v_add_u16_e32 v16, v14, v12
	v_lshlrev_b32_e32 v15, 16, v13
	v_add_u16_e32 v12, v14, v12
	v_or3_b32 v14, v15, v12, v8
	v_mov_b32_e32 v15, v13
	v_mov_b32_e32 v12, v16
.LBB671_221:
	s_or_b64 exec, exec, s[48:49]
	v_and_b32_e32 v17, 16, v9
	v_mov_b32_dpp v16, v14 row_bcast:15 row_mask:0xf bank_mask:0xf
	v_cmp_ne_u32_e64 s[4:5], 0, v17
	s_and_saveexec_b64 s[48:49], s[4:5]
	s_cbranch_execz .LBB671_223
; %bb.222:
	v_mov_b32_e32 v13, 0
	v_cmp_eq_u16_sdwa s[4:5], v15, v13 src0_sel:BYTE_0 src1_sel:DWORD
	v_and_b32_e32 v13, 1, v15
	v_mov_b32_e32 v15, 1
	v_cndmask_b32_e64 v14, 0, v16, s[4:5]
	v_and_b32_sdwa v15, v16, v15 dst_sel:DWORD dst_unused:UNUSED_PAD src0_sel:WORD_1 src1_sel:DWORD
	v_cmp_eq_u32_e64 s[4:5], 1, v13
	v_cndmask_b32_e64 v13, v15, 1, s[4:5]
	v_add_u16_e32 v17, v14, v12
	v_lshlrev_b32_e32 v15, 16, v13
	v_add_u16_e32 v12, v14, v12
	v_or3_b32 v14, v15, v12, v8
	v_mov_b32_e32 v15, v13
	v_mov_b32_e32 v12, v17
.LBB671_223:
	s_or_b64 exec, exec, s[48:49]
	v_mov_b32_dpp v14, v14 row_bcast:31 row_mask:0xf bank_mask:0xf
	v_cmp_lt_u32_e64 s[4:5], 31, v9
	s_and_saveexec_b64 s[48:49], s[4:5]
; %bb.224:
	v_mov_b32_e32 v13, 0
	v_cmp_eq_u16_sdwa s[4:5], v15, v13 src0_sel:BYTE_0 src1_sel:DWORD
	v_cndmask_b32_e64 v13, 0, v14, s[4:5]
	v_add_u16_e32 v12, v13, v12
	v_and_b32_e32 v13, 1, v15
	v_mov_b32_e32 v15, 1
	v_and_b32_sdwa v14, v14, v15 dst_sel:DWORD dst_unused:UNUSED_PAD src0_sel:WORD_1 src1_sel:DWORD
	v_cmp_eq_u32_e64 s[4:5], 1, v13
	v_cndmask_b32_e64 v13, v14, 1, s[4:5]
; %bb.225:
	s_or_b64 exec, exec, s[48:49]
	v_and_b32_e32 v13, 0xff, v13
	v_lshlrev_b32_e32 v13, 16, v13
	v_and_b32_e32 v12, 0xffff, v12
	v_or3_b32 v8, v13, v12, v8
	v_add_u32_e32 v12, -1, v9
	v_and_b32_e32 v13, 64, v9
	v_cmp_lt_i32_e64 s[4:5], v12, v13
	v_cndmask_b32_e64 v9, v12, v9, s[4:5]
	v_lshlrev_b32_e32 v9, 2, v9
	ds_bpermute_b32 v8, v9, v8
	v_and_b32_e32 v9, 0xff0000, v6
	v_cmp_eq_u32_e64 s[4:5], 0, v9
	; wave barrier
	s_waitcnt lgkmcnt(0)
	v_cndmask_b32_e64 v9, 0, v8, s[4:5]
	v_add_u16_e32 v6, v9, v6
	v_mov_b32_e32 v9, 1
	v_and_b32_sdwa v8, v8, v9 dst_sel:DWORD dst_unused:UNUSED_PAD src0_sel:WORD_1 src1_sel:DWORD
	v_cmp_eq_u32_e64 s[4:5], 0, v7
	v_cndmask_b32_e64 v7, 1, v8, s[4:5]
	v_cndmask_b32_e64 v4, v6, v4, s[0:1]
	;; [unrolled: 1-line block ×3, first 2 shown]
	ds_write_b16 v3, v4
	ds_write_b8 v3, v5 offset:2
	; wave barrier
	ds_read_u16 v6, v3 offset:4
	ds_read_u8 v7, v3 offset:6
	ds_read_u16 v8, v3 offset:8
	ds_read_u8 v9, v3 offset:10
	;; [unrolled: 2-line block ×3, first 2 shown]
	s_waitcnt lgkmcnt(4)
	v_cmp_eq_u16_e64 s[4:5], 0, v7
	v_cndmask_b32_e64 v4, 0, v4, s[4:5]
	v_add_u16_e32 v4, v4, v6
	v_and_b32_e32 v6, 1, v7
	v_cmp_eq_u32_e64 s[4:5], 1, v6
	v_cndmask_b32_e64 v5, v5, 1, s[4:5]
	s_waitcnt lgkmcnt(2)
	v_cmp_eq_u16_e64 s[4:5], 0, v9
	v_and_b32_e32 v6, 1, v9
	ds_write_b16 v3, v4 offset:4
	ds_write_b8 v3, v5 offset:6
	v_cndmask_b32_e64 v4, 0, v4, s[4:5]
	v_cmp_eq_u32_e64 s[4:5], 1, v6
	v_add_u16_e32 v4, v4, v8
	v_cndmask_b32_e64 v5, v5, 1, s[4:5]
	s_waitcnt lgkmcnt(2)
	v_cmp_eq_u16_e64 s[4:5], 0, v13
	ds_write_b16 v3, v4 offset:8
	ds_write_b8 v3, v5 offset:10
	v_cndmask_b32_e64 v4, 0, v4, s[4:5]
	v_and_b32_e32 v6, 1, v13
	v_add_u16_e32 v4, v4, v12
	v_cmp_eq_u32_e64 s[4:5], 1, v6
	v_cndmask_b32_e64 v5, v5, 1, s[4:5]
	ds_write_b16 v3, v4 offset:12
	ds_write_b8 v3, v5 offset:14
.LBB671_226:
	s_or_b64 exec, exec, s[46:47]
	s_waitcnt vmcnt(0)
	v_mov_b32_e32 v4, v2
	s_waitcnt lgkmcnt(0)
	s_barrier
	s_and_saveexec_b64 s[46:47], s[50:51]
	s_cbranch_execz .LBB671_228
; %bb.227:
	v_add_u32_e32 v3, -1, v0
	v_lshrrev_b32_e32 v4, 5, v3
	v_add_lshl_u32 v3, v4, v3, 2
	ds_read_u8 v4, v3 offset:2
	ds_read_u16 v3, v3
	s_waitcnt lgkmcnt(1)
	v_cmp_eq_u16_e64 s[4:5], 0, v4
	v_cndmask_b32_e64 v4, 0, v2, s[4:5]
	s_waitcnt lgkmcnt(0)
	v_add_u16_e32 v4, v4, v3
.LBB671_228:
	s_or_b64 exec, exec, s[46:47]
	v_and_b32_e32 v3, 0xff0000, v1
	v_cmp_eq_u32_e64 s[4:5], 0, v3
	v_cndmask_b32_e64 v3, 0, v4, s[4:5]
	v_add_u16_e32 v5, v3, v1
	v_cndmask_b32_e32 v1, 0, v5, vcc
	v_add_u16_e32 v6, v1, v20
	v_cndmask_b32_e64 v1, 0, v6, s[6:7]
	v_add_u16_e32 v7, v1, v24
	v_cndmask_b32_e64 v1, 0, v7, s[8:9]
	;; [unrolled: 2-line block ×19, first 2 shown]
	s_and_saveexec_b64 s[4:5], s[0:1]
	s_cbranch_execz .LBB671_230
; %bb.229:
	v_mov_b32_e32 v14, 0
	ds_read_u8 v3, v14 offset:1050
	ds_read_u16 v15, v14 offset:1048
	s_waitcnt lgkmcnt(1)
	v_cmp_eq_u32_e32 vcc, 0, v3
	v_cndmask_b32_e32 v2, 0, v2, vcc
	v_lshlrev_b32_e32 v16, 16, v3
	s_waitcnt lgkmcnt(0)
	v_add_u32_e32 v2, v2, v15
	v_or_b32_sdwa v2, v16, v2 dst_sel:DWORD dst_unused:UNUSED_PAD src0_sel:DWORD src1_sel:WORD_0
	v_mov_b32_e32 v3, 2
	global_store_dwordx2 v14, v[2:3], s[60:61] offset:512
.LBB671_230:
	s_or_b64 exec, exec, s[4:5]
	v_add_u16_e32 v52, v1, v41
.LBB671_231:
	s_add_u32 s0, s58, s54
	s_addc_u32 s1, s59, s55
	v_mov_b32_e32 v1, s1
	v_add_co_u32_e32 v10, vcc, s0, v10
	v_addc_co_u32_e32 v11, vcc, v1, v11, vcc
	v_mul_u32_u24_e32 v1, 22, v0
	s_and_b64 vcc, exec, s[2:3]
	v_lshlrev_b32_e32 v14, 1, v1
	s_cbranch_vccz .LBB671_275
; %bb.232:
	s_mov_b32 s0, 0x5040100
	v_perm_b32 v1, v7, v6, s0
	v_perm_b32 v2, v5, v4, s0
	s_barrier
	ds_write2_b32 v14, v2, v1 offset1:1
	v_perm_b32 v1, v13, v12, s0
	v_perm_b32 v2, v9, v8, s0
	ds_write2_b32 v14, v2, v1 offset0:2 offset1:3
	v_perm_b32 v1, v38, v23, s0
	v_perm_b32 v2, v19, v18, s0
	ds_write2_b32 v14, v2, v1 offset0:4 offset1:5
	;; [unrolled: 3-line block ×4, first 2 shown]
	v_perm_b32 v1, v52, v51, s0
	s_movk_i32 s0, 0xffd6
	v_mad_i32_i24 v2, v0, s0, v14
	ds_write_b32 v14, v1 offset:40
	s_waitcnt lgkmcnt(0)
	s_barrier
	ds_read_u16 v39, v2 offset:512
	ds_read_u16 v37, v2 offset:1024
	;; [unrolled: 1-line block ×21, first 2 shown]
	v_add_co_u32_e32 v2, vcc, v10, v42
	s_add_i32 s33, s33, s62
	v_addc_co_u32_e32 v3, vcc, 0, v11, vcc
	v_mov_b32_e32 v1, 0
	v_cmp_gt_u32_e32 vcc, s33, v0
	s_and_saveexec_b64 s[0:1], vcc
	s_cbranch_execz .LBB671_234
; %bb.233:
	v_mul_i32_i24_e32 v40, 0xffffffd6, v0
	v_add_u32_e32 v40, v14, v40
	ds_read_u16 v40, v40
	s_waitcnt lgkmcnt(0)
	flat_store_short v[2:3], v40
.LBB671_234:
	s_or_b64 exec, exec, s[0:1]
	v_or_b32_e32 v40, 0x100, v0
	v_cmp_gt_u32_e32 vcc, s33, v40
	s_and_saveexec_b64 s[0:1], vcc
	s_cbranch_execz .LBB671_236
; %bb.235:
	s_waitcnt lgkmcnt(0)
	flat_store_short v[2:3], v39 offset:512
.LBB671_236:
	s_or_b64 exec, exec, s[0:1]
	s_waitcnt lgkmcnt(0)
	v_or_b32_e32 v39, 0x200, v0
	v_cmp_gt_u32_e32 vcc, s33, v39
	s_and_saveexec_b64 s[0:1], vcc
	s_cbranch_execz .LBB671_238
; %bb.237:
	flat_store_short v[2:3], v37 offset:1024
.LBB671_238:
	s_or_b64 exec, exec, s[0:1]
	v_or_b32_e32 v37, 0x300, v0
	v_cmp_gt_u32_e32 vcc, s33, v37
	s_and_saveexec_b64 s[0:1], vcc
	s_cbranch_execz .LBB671_240
; %bb.239:
	flat_store_short v[2:3], v36 offset:1536
.LBB671_240:
	s_or_b64 exec, exec, s[0:1]
	v_or_b32_e32 v36, 0x400, v0
	v_cmp_gt_u32_e32 vcc, s33, v36
	s_and_saveexec_b64 s[0:1], vcc
	s_cbranch_execz .LBB671_242
; %bb.241:
	flat_store_short v[2:3], v35 offset:2048
.LBB671_242:
	s_or_b64 exec, exec, s[0:1]
	v_or_b32_e32 v35, 0x500, v0
	v_cmp_gt_u32_e32 vcc, s33, v35
	s_and_saveexec_b64 s[0:1], vcc
	s_cbranch_execz .LBB671_244
; %bb.243:
	flat_store_short v[2:3], v34 offset:2560
.LBB671_244:
	s_or_b64 exec, exec, s[0:1]
	v_or_b32_e32 v34, 0x600, v0
	v_cmp_gt_u32_e32 vcc, s33, v34
	s_and_saveexec_b64 s[0:1], vcc
	s_cbranch_execz .LBB671_246
; %bb.245:
	flat_store_short v[2:3], v33 offset:3072
.LBB671_246:
	s_or_b64 exec, exec, s[0:1]
	v_or_b32_e32 v33, 0x700, v0
	v_cmp_gt_u32_e32 vcc, s33, v33
	s_and_saveexec_b64 s[0:1], vcc
	s_cbranch_execz .LBB671_248
; %bb.247:
	flat_store_short v[2:3], v32 offset:3584
.LBB671_248:
	s_or_b64 exec, exec, s[0:1]
	v_or_b32_e32 v32, 0x800, v0
	v_cmp_gt_u32_e32 vcc, s33, v32
	s_and_saveexec_b64 s[0:1], vcc
	s_cbranch_execz .LBB671_250
; %bb.249:
	v_add_co_u32_e32 v32, vcc, 0x1000, v2
	v_addc_co_u32_e32 v33, vcc, 0, v3, vcc
	flat_store_short v[32:33], v31
.LBB671_250:
	s_or_b64 exec, exec, s[0:1]
	v_or_b32_e32 v31, 0x900, v0
	v_cmp_gt_u32_e32 vcc, s33, v31
	s_and_saveexec_b64 s[0:1], vcc
	s_cbranch_execz .LBB671_252
; %bb.251:
	v_add_co_u32_e32 v32, vcc, 0x1000, v2
	v_addc_co_u32_e32 v33, vcc, 0, v3, vcc
	flat_store_short v[32:33], v30 offset:512
.LBB671_252:
	s_or_b64 exec, exec, s[0:1]
	v_or_b32_e32 v30, 0xa00, v0
	v_cmp_gt_u32_e32 vcc, s33, v30
	s_and_saveexec_b64 s[0:1], vcc
	s_cbranch_execz .LBB671_254
; %bb.253:
	v_add_co_u32_e32 v30, vcc, 0x1000, v2
	v_addc_co_u32_e32 v31, vcc, 0, v3, vcc
	flat_store_short v[30:31], v29 offset:1024
.LBB671_254:
	;; [unrolled: 10-line block ×7, first 2 shown]
	s_or_b64 exec, exec, s[0:1]
	v_or_b32_e32 v24, 0x1000, v0
	v_cmp_gt_u32_e32 vcc, s33, v24
	s_and_saveexec_b64 s[0:1], vcc
	s_cbranch_execz .LBB671_266
; %bb.265:
	v_add_co_u32_e32 v24, vcc, 0x2000, v2
	v_addc_co_u32_e32 v25, vcc, 0, v3, vcc
	flat_store_short v[24:25], v22
.LBB671_266:
	s_or_b64 exec, exec, s[0:1]
	v_or_b32_e32 v22, 0x1100, v0
	v_cmp_gt_u32_e32 vcc, s33, v22
	s_and_saveexec_b64 s[0:1], vcc
	s_cbranch_execz .LBB671_268
; %bb.267:
	v_add_co_u32_e32 v24, vcc, 0x2000, v2
	v_addc_co_u32_e32 v25, vcc, 0, v3, vcc
	flat_store_short v[24:25], v21 offset:512
.LBB671_268:
	s_or_b64 exec, exec, s[0:1]
	v_or_b32_e32 v21, 0x1200, v0
	v_cmp_gt_u32_e32 vcc, s33, v21
	s_and_saveexec_b64 s[0:1], vcc
	s_cbranch_execz .LBB671_270
; %bb.269:
	v_add_co_u32_e32 v24, vcc, 0x2000, v2
	v_addc_co_u32_e32 v25, vcc, 0, v3, vcc
	flat_store_short v[24:25], v20 offset:1024
.LBB671_270:
	;; [unrolled: 10-line block ×4, first 2 shown]
	s_or_b64 exec, exec, s[0:1]
	v_or_b32_e32 v2, 0x1500, v0
	v_cmp_gt_u32_e64 s[0:1], s33, v2
	s_branch .LBB671_277
.LBB671_275:
	s_mov_b64 s[0:1], 0
                                        ; implicit-def: $vgpr15
	s_cbranch_execz .LBB671_277
; %bb.276:
	s_mov_b32 s2, 0x5040100
	v_perm_b32 v1, v7, v6, s2
	v_perm_b32 v2, v5, v4, s2
	s_waitcnt lgkmcnt(0)
	s_barrier
	ds_write2_b32 v14, v2, v1 offset1:1
	v_perm_b32 v1, v13, v12, s2
	v_perm_b32 v2, v9, v8, s2
	ds_write2_b32 v14, v2, v1 offset0:2 offset1:3
	v_perm_b32 v1, v38, v23, s2
	v_perm_b32 v2, v19, v18, s2
	ds_write2_b32 v14, v2, v1 offset0:4 offset1:5
	;; [unrolled: 3-line block ×4, first 2 shown]
	v_perm_b32 v1, v52, v51, s2
	s_movk_i32 s2, 0xffd6
	v_mad_i32_i24 v2, v0, s2, v14
	ds_write_b32 v14, v1 offset:40
	s_waitcnt lgkmcnt(0)
	s_barrier
	ds_read_u16 v4, v2
	ds_read_u16 v5, v2 offset:512
	ds_read_u16 v6, v2 offset:1024
	;; [unrolled: 1-line block ×21, first 2 shown]
	v_add_co_u32_e32 v2, vcc, v10, v42
	v_addc_co_u32_e32 v3, vcc, 0, v11, vcc
	s_movk_i32 s2, 0x1000
	s_waitcnt lgkmcnt(0)
	flat_store_short v[2:3], v4
	flat_store_short v[2:3], v5 offset:512
	flat_store_short v[2:3], v6 offset:1024
	;; [unrolled: 1-line block ×7, first 2 shown]
	v_add_co_u32_e32 v4, vcc, s2, v2
	v_addc_co_u32_e32 v5, vcc, 0, v3, vcc
	v_add_co_u32_e32 v2, vcc, 0x2000, v2
	v_mov_b32_e32 v1, 0
	v_addc_co_u32_e32 v3, vcc, 0, v3, vcc
	s_or_b64 s[0:1], s[0:1], exec
	flat_store_short v[4:5], v14
	flat_store_short v[4:5], v16 offset:512
	flat_store_short v[4:5], v17 offset:1024
	flat_store_short v[4:5], v18 offset:1536
	flat_store_short v[4:5], v19 offset:2048
	flat_store_short v[4:5], v20 offset:2560
	flat_store_short v[4:5], v21 offset:3072
	flat_store_short v[4:5], v22 offset:3584
	flat_store_short v[2:3], v23
	flat_store_short v[2:3], v24 offset:512
	flat_store_short v[2:3], v25 offset:1024
	;; [unrolled: 1-line block ×4, first 2 shown]
.LBB671_277:
	s_and_saveexec_b64 s[2:3], s[0:1]
	s_cbranch_execz .LBB671_279
; %bb.278:
	v_lshlrev_b64 v[0:1], 1, v[0:1]
	v_add_co_u32_e32 v0, vcc, v10, v0
	v_addc_co_u32_e32 v1, vcc, v11, v1, vcc
	v_add_co_u32_e32 v0, vcc, 0x2000, v0
	v_addc_co_u32_e32 v1, vcc, 0, v1, vcc
	flat_store_short v[0:1], v15 offset:2560
	s_endpgm
.LBB671_279:
	s_endpgm
	.section	.rodata,"a",@progbits
	.p2align	6, 0x0
	.amdhsa_kernel _ZN7rocprim17ROCPRIM_400000_NS6detail17trampoline_kernelINS0_14default_configENS1_27scan_by_key_config_selectorIssEEZZNS1_16scan_by_key_implILNS1_25lookback_scan_determinismE0ELb1ES3_N6thrust23THRUST_200600_302600_NS6detail15normal_iteratorINS9_10device_ptrIsEEEESE_SE_sNS9_4plusIvEENS9_8equal_toIsEEsEE10hipError_tPvRmT2_T3_T4_T5_mT6_T7_P12ihipStream_tbENKUlT_T0_E_clISt17integral_constantIbLb0EESY_IbLb1EEEEDaSU_SV_EUlSU_E_NS1_11comp_targetILNS1_3genE4ELNS1_11target_archE910ELNS1_3gpuE8ELNS1_3repE0EEENS1_30default_config_static_selectorELNS0_4arch9wavefront6targetE1EEEvT1_
		.amdhsa_group_segment_fixed_size 12288
		.amdhsa_private_segment_fixed_size 0
		.amdhsa_kernarg_size 112
		.amdhsa_user_sgpr_count 6
		.amdhsa_user_sgpr_private_segment_buffer 1
		.amdhsa_user_sgpr_dispatch_ptr 0
		.amdhsa_user_sgpr_queue_ptr 0
		.amdhsa_user_sgpr_kernarg_segment_ptr 1
		.amdhsa_user_sgpr_dispatch_id 0
		.amdhsa_user_sgpr_flat_scratch_init 0
		.amdhsa_user_sgpr_kernarg_preload_length 0
		.amdhsa_user_sgpr_kernarg_preload_offset 0
		.amdhsa_user_sgpr_private_segment_size 0
		.amdhsa_uses_dynamic_stack 0
		.amdhsa_system_sgpr_private_segment_wavefront_offset 0
		.amdhsa_system_sgpr_workgroup_id_x 1
		.amdhsa_system_sgpr_workgroup_id_y 0
		.amdhsa_system_sgpr_workgroup_id_z 0
		.amdhsa_system_sgpr_workgroup_info 0
		.amdhsa_system_vgpr_workitem_id 0
		.amdhsa_next_free_vgpr 60
		.amdhsa_next_free_sgpr 73
		.amdhsa_accum_offset 60
		.amdhsa_reserve_vcc 1
		.amdhsa_reserve_flat_scratch 0
		.amdhsa_float_round_mode_32 0
		.amdhsa_float_round_mode_16_64 0
		.amdhsa_float_denorm_mode_32 3
		.amdhsa_float_denorm_mode_16_64 3
		.amdhsa_dx10_clamp 1
		.amdhsa_ieee_mode 1
		.amdhsa_fp16_overflow 0
		.amdhsa_tg_split 0
		.amdhsa_exception_fp_ieee_invalid_op 0
		.amdhsa_exception_fp_denorm_src 0
		.amdhsa_exception_fp_ieee_div_zero 0
		.amdhsa_exception_fp_ieee_overflow 0
		.amdhsa_exception_fp_ieee_underflow 0
		.amdhsa_exception_fp_ieee_inexact 0
		.amdhsa_exception_int_div_zero 0
	.end_amdhsa_kernel
	.section	.text._ZN7rocprim17ROCPRIM_400000_NS6detail17trampoline_kernelINS0_14default_configENS1_27scan_by_key_config_selectorIssEEZZNS1_16scan_by_key_implILNS1_25lookback_scan_determinismE0ELb1ES3_N6thrust23THRUST_200600_302600_NS6detail15normal_iteratorINS9_10device_ptrIsEEEESE_SE_sNS9_4plusIvEENS9_8equal_toIsEEsEE10hipError_tPvRmT2_T3_T4_T5_mT6_T7_P12ihipStream_tbENKUlT_T0_E_clISt17integral_constantIbLb0EESY_IbLb1EEEEDaSU_SV_EUlSU_E_NS1_11comp_targetILNS1_3genE4ELNS1_11target_archE910ELNS1_3gpuE8ELNS1_3repE0EEENS1_30default_config_static_selectorELNS0_4arch9wavefront6targetE1EEEvT1_,"axG",@progbits,_ZN7rocprim17ROCPRIM_400000_NS6detail17trampoline_kernelINS0_14default_configENS1_27scan_by_key_config_selectorIssEEZZNS1_16scan_by_key_implILNS1_25lookback_scan_determinismE0ELb1ES3_N6thrust23THRUST_200600_302600_NS6detail15normal_iteratorINS9_10device_ptrIsEEEESE_SE_sNS9_4plusIvEENS9_8equal_toIsEEsEE10hipError_tPvRmT2_T3_T4_T5_mT6_T7_P12ihipStream_tbENKUlT_T0_E_clISt17integral_constantIbLb0EESY_IbLb1EEEEDaSU_SV_EUlSU_E_NS1_11comp_targetILNS1_3genE4ELNS1_11target_archE910ELNS1_3gpuE8ELNS1_3repE0EEENS1_30default_config_static_selectorELNS0_4arch9wavefront6targetE1EEEvT1_,comdat
.Lfunc_end671:
	.size	_ZN7rocprim17ROCPRIM_400000_NS6detail17trampoline_kernelINS0_14default_configENS1_27scan_by_key_config_selectorIssEEZZNS1_16scan_by_key_implILNS1_25lookback_scan_determinismE0ELb1ES3_N6thrust23THRUST_200600_302600_NS6detail15normal_iteratorINS9_10device_ptrIsEEEESE_SE_sNS9_4plusIvEENS9_8equal_toIsEEsEE10hipError_tPvRmT2_T3_T4_T5_mT6_T7_P12ihipStream_tbENKUlT_T0_E_clISt17integral_constantIbLb0EESY_IbLb1EEEEDaSU_SV_EUlSU_E_NS1_11comp_targetILNS1_3genE4ELNS1_11target_archE910ELNS1_3gpuE8ELNS1_3repE0EEENS1_30default_config_static_selectorELNS0_4arch9wavefront6targetE1EEEvT1_, .Lfunc_end671-_ZN7rocprim17ROCPRIM_400000_NS6detail17trampoline_kernelINS0_14default_configENS1_27scan_by_key_config_selectorIssEEZZNS1_16scan_by_key_implILNS1_25lookback_scan_determinismE0ELb1ES3_N6thrust23THRUST_200600_302600_NS6detail15normal_iteratorINS9_10device_ptrIsEEEESE_SE_sNS9_4plusIvEENS9_8equal_toIsEEsEE10hipError_tPvRmT2_T3_T4_T5_mT6_T7_P12ihipStream_tbENKUlT_T0_E_clISt17integral_constantIbLb0EESY_IbLb1EEEEDaSU_SV_EUlSU_E_NS1_11comp_targetILNS1_3genE4ELNS1_11target_archE910ELNS1_3gpuE8ELNS1_3repE0EEENS1_30default_config_static_selectorELNS0_4arch9wavefront6targetE1EEEvT1_
                                        ; -- End function
	.section	.AMDGPU.csdata,"",@progbits
; Kernel info:
; codeLenInByte = 16092
; NumSgprs: 77
; NumVgprs: 60
; NumAgprs: 0
; TotalNumVgprs: 60
; ScratchSize: 0
; MemoryBound: 0
; FloatMode: 240
; IeeeMode: 1
; LDSByteSize: 12288 bytes/workgroup (compile time only)
; SGPRBlocks: 9
; VGPRBlocks: 7
; NumSGPRsForWavesPerEU: 77
; NumVGPRsForWavesPerEU: 60
; AccumOffset: 60
; Occupancy: 5
; WaveLimiterHint : 1
; COMPUTE_PGM_RSRC2:SCRATCH_EN: 0
; COMPUTE_PGM_RSRC2:USER_SGPR: 6
; COMPUTE_PGM_RSRC2:TRAP_HANDLER: 0
; COMPUTE_PGM_RSRC2:TGID_X_EN: 1
; COMPUTE_PGM_RSRC2:TGID_Y_EN: 0
; COMPUTE_PGM_RSRC2:TGID_Z_EN: 0
; COMPUTE_PGM_RSRC2:TIDIG_COMP_CNT: 0
; COMPUTE_PGM_RSRC3_GFX90A:ACCUM_OFFSET: 14
; COMPUTE_PGM_RSRC3_GFX90A:TG_SPLIT: 0
	.section	.text._ZN7rocprim17ROCPRIM_400000_NS6detail17trampoline_kernelINS0_14default_configENS1_27scan_by_key_config_selectorIssEEZZNS1_16scan_by_key_implILNS1_25lookback_scan_determinismE0ELb1ES3_N6thrust23THRUST_200600_302600_NS6detail15normal_iteratorINS9_10device_ptrIsEEEESE_SE_sNS9_4plusIvEENS9_8equal_toIsEEsEE10hipError_tPvRmT2_T3_T4_T5_mT6_T7_P12ihipStream_tbENKUlT_T0_E_clISt17integral_constantIbLb0EESY_IbLb1EEEEDaSU_SV_EUlSU_E_NS1_11comp_targetILNS1_3genE3ELNS1_11target_archE908ELNS1_3gpuE7ELNS1_3repE0EEENS1_30default_config_static_selectorELNS0_4arch9wavefront6targetE1EEEvT1_,"axG",@progbits,_ZN7rocprim17ROCPRIM_400000_NS6detail17trampoline_kernelINS0_14default_configENS1_27scan_by_key_config_selectorIssEEZZNS1_16scan_by_key_implILNS1_25lookback_scan_determinismE0ELb1ES3_N6thrust23THRUST_200600_302600_NS6detail15normal_iteratorINS9_10device_ptrIsEEEESE_SE_sNS9_4plusIvEENS9_8equal_toIsEEsEE10hipError_tPvRmT2_T3_T4_T5_mT6_T7_P12ihipStream_tbENKUlT_T0_E_clISt17integral_constantIbLb0EESY_IbLb1EEEEDaSU_SV_EUlSU_E_NS1_11comp_targetILNS1_3genE3ELNS1_11target_archE908ELNS1_3gpuE7ELNS1_3repE0EEENS1_30default_config_static_selectorELNS0_4arch9wavefront6targetE1EEEvT1_,comdat
	.protected	_ZN7rocprim17ROCPRIM_400000_NS6detail17trampoline_kernelINS0_14default_configENS1_27scan_by_key_config_selectorIssEEZZNS1_16scan_by_key_implILNS1_25lookback_scan_determinismE0ELb1ES3_N6thrust23THRUST_200600_302600_NS6detail15normal_iteratorINS9_10device_ptrIsEEEESE_SE_sNS9_4plusIvEENS9_8equal_toIsEEsEE10hipError_tPvRmT2_T3_T4_T5_mT6_T7_P12ihipStream_tbENKUlT_T0_E_clISt17integral_constantIbLb0EESY_IbLb1EEEEDaSU_SV_EUlSU_E_NS1_11comp_targetILNS1_3genE3ELNS1_11target_archE908ELNS1_3gpuE7ELNS1_3repE0EEENS1_30default_config_static_selectorELNS0_4arch9wavefront6targetE1EEEvT1_ ; -- Begin function _ZN7rocprim17ROCPRIM_400000_NS6detail17trampoline_kernelINS0_14default_configENS1_27scan_by_key_config_selectorIssEEZZNS1_16scan_by_key_implILNS1_25lookback_scan_determinismE0ELb1ES3_N6thrust23THRUST_200600_302600_NS6detail15normal_iteratorINS9_10device_ptrIsEEEESE_SE_sNS9_4plusIvEENS9_8equal_toIsEEsEE10hipError_tPvRmT2_T3_T4_T5_mT6_T7_P12ihipStream_tbENKUlT_T0_E_clISt17integral_constantIbLb0EESY_IbLb1EEEEDaSU_SV_EUlSU_E_NS1_11comp_targetILNS1_3genE3ELNS1_11target_archE908ELNS1_3gpuE7ELNS1_3repE0EEENS1_30default_config_static_selectorELNS0_4arch9wavefront6targetE1EEEvT1_
	.globl	_ZN7rocprim17ROCPRIM_400000_NS6detail17trampoline_kernelINS0_14default_configENS1_27scan_by_key_config_selectorIssEEZZNS1_16scan_by_key_implILNS1_25lookback_scan_determinismE0ELb1ES3_N6thrust23THRUST_200600_302600_NS6detail15normal_iteratorINS9_10device_ptrIsEEEESE_SE_sNS9_4plusIvEENS9_8equal_toIsEEsEE10hipError_tPvRmT2_T3_T4_T5_mT6_T7_P12ihipStream_tbENKUlT_T0_E_clISt17integral_constantIbLb0EESY_IbLb1EEEEDaSU_SV_EUlSU_E_NS1_11comp_targetILNS1_3genE3ELNS1_11target_archE908ELNS1_3gpuE7ELNS1_3repE0EEENS1_30default_config_static_selectorELNS0_4arch9wavefront6targetE1EEEvT1_
	.p2align	8
	.type	_ZN7rocprim17ROCPRIM_400000_NS6detail17trampoline_kernelINS0_14default_configENS1_27scan_by_key_config_selectorIssEEZZNS1_16scan_by_key_implILNS1_25lookback_scan_determinismE0ELb1ES3_N6thrust23THRUST_200600_302600_NS6detail15normal_iteratorINS9_10device_ptrIsEEEESE_SE_sNS9_4plusIvEENS9_8equal_toIsEEsEE10hipError_tPvRmT2_T3_T4_T5_mT6_T7_P12ihipStream_tbENKUlT_T0_E_clISt17integral_constantIbLb0EESY_IbLb1EEEEDaSU_SV_EUlSU_E_NS1_11comp_targetILNS1_3genE3ELNS1_11target_archE908ELNS1_3gpuE7ELNS1_3repE0EEENS1_30default_config_static_selectorELNS0_4arch9wavefront6targetE1EEEvT1_,@function
_ZN7rocprim17ROCPRIM_400000_NS6detail17trampoline_kernelINS0_14default_configENS1_27scan_by_key_config_selectorIssEEZZNS1_16scan_by_key_implILNS1_25lookback_scan_determinismE0ELb1ES3_N6thrust23THRUST_200600_302600_NS6detail15normal_iteratorINS9_10device_ptrIsEEEESE_SE_sNS9_4plusIvEENS9_8equal_toIsEEsEE10hipError_tPvRmT2_T3_T4_T5_mT6_T7_P12ihipStream_tbENKUlT_T0_E_clISt17integral_constantIbLb0EESY_IbLb1EEEEDaSU_SV_EUlSU_E_NS1_11comp_targetILNS1_3genE3ELNS1_11target_archE908ELNS1_3gpuE7ELNS1_3repE0EEENS1_30default_config_static_selectorELNS0_4arch9wavefront6targetE1EEEvT1_: ; @_ZN7rocprim17ROCPRIM_400000_NS6detail17trampoline_kernelINS0_14default_configENS1_27scan_by_key_config_selectorIssEEZZNS1_16scan_by_key_implILNS1_25lookback_scan_determinismE0ELb1ES3_N6thrust23THRUST_200600_302600_NS6detail15normal_iteratorINS9_10device_ptrIsEEEESE_SE_sNS9_4plusIvEENS9_8equal_toIsEEsEE10hipError_tPvRmT2_T3_T4_T5_mT6_T7_P12ihipStream_tbENKUlT_T0_E_clISt17integral_constantIbLb0EESY_IbLb1EEEEDaSU_SV_EUlSU_E_NS1_11comp_targetILNS1_3genE3ELNS1_11target_archE908ELNS1_3gpuE7ELNS1_3repE0EEENS1_30default_config_static_selectorELNS0_4arch9wavefront6targetE1EEEvT1_
; %bb.0:
	.section	.rodata,"a",@progbits
	.p2align	6, 0x0
	.amdhsa_kernel _ZN7rocprim17ROCPRIM_400000_NS6detail17trampoline_kernelINS0_14default_configENS1_27scan_by_key_config_selectorIssEEZZNS1_16scan_by_key_implILNS1_25lookback_scan_determinismE0ELb1ES3_N6thrust23THRUST_200600_302600_NS6detail15normal_iteratorINS9_10device_ptrIsEEEESE_SE_sNS9_4plusIvEENS9_8equal_toIsEEsEE10hipError_tPvRmT2_T3_T4_T5_mT6_T7_P12ihipStream_tbENKUlT_T0_E_clISt17integral_constantIbLb0EESY_IbLb1EEEEDaSU_SV_EUlSU_E_NS1_11comp_targetILNS1_3genE3ELNS1_11target_archE908ELNS1_3gpuE7ELNS1_3repE0EEENS1_30default_config_static_selectorELNS0_4arch9wavefront6targetE1EEEvT1_
		.amdhsa_group_segment_fixed_size 0
		.amdhsa_private_segment_fixed_size 0
		.amdhsa_kernarg_size 112
		.amdhsa_user_sgpr_count 6
		.amdhsa_user_sgpr_private_segment_buffer 1
		.amdhsa_user_sgpr_dispatch_ptr 0
		.amdhsa_user_sgpr_queue_ptr 0
		.amdhsa_user_sgpr_kernarg_segment_ptr 1
		.amdhsa_user_sgpr_dispatch_id 0
		.amdhsa_user_sgpr_flat_scratch_init 0
		.amdhsa_user_sgpr_kernarg_preload_length 0
		.amdhsa_user_sgpr_kernarg_preload_offset 0
		.amdhsa_user_sgpr_private_segment_size 0
		.amdhsa_uses_dynamic_stack 0
		.amdhsa_system_sgpr_private_segment_wavefront_offset 0
		.amdhsa_system_sgpr_workgroup_id_x 1
		.amdhsa_system_sgpr_workgroup_id_y 0
		.amdhsa_system_sgpr_workgroup_id_z 0
		.amdhsa_system_sgpr_workgroup_info 0
		.amdhsa_system_vgpr_workitem_id 0
		.amdhsa_next_free_vgpr 1
		.amdhsa_next_free_sgpr 0
		.amdhsa_accum_offset 4
		.amdhsa_reserve_vcc 0
		.amdhsa_reserve_flat_scratch 0
		.amdhsa_float_round_mode_32 0
		.amdhsa_float_round_mode_16_64 0
		.amdhsa_float_denorm_mode_32 3
		.amdhsa_float_denorm_mode_16_64 3
		.amdhsa_dx10_clamp 1
		.amdhsa_ieee_mode 1
		.amdhsa_fp16_overflow 0
		.amdhsa_tg_split 0
		.amdhsa_exception_fp_ieee_invalid_op 0
		.amdhsa_exception_fp_denorm_src 0
		.amdhsa_exception_fp_ieee_div_zero 0
		.amdhsa_exception_fp_ieee_overflow 0
		.amdhsa_exception_fp_ieee_underflow 0
		.amdhsa_exception_fp_ieee_inexact 0
		.amdhsa_exception_int_div_zero 0
	.end_amdhsa_kernel
	.section	.text._ZN7rocprim17ROCPRIM_400000_NS6detail17trampoline_kernelINS0_14default_configENS1_27scan_by_key_config_selectorIssEEZZNS1_16scan_by_key_implILNS1_25lookback_scan_determinismE0ELb1ES3_N6thrust23THRUST_200600_302600_NS6detail15normal_iteratorINS9_10device_ptrIsEEEESE_SE_sNS9_4plusIvEENS9_8equal_toIsEEsEE10hipError_tPvRmT2_T3_T4_T5_mT6_T7_P12ihipStream_tbENKUlT_T0_E_clISt17integral_constantIbLb0EESY_IbLb1EEEEDaSU_SV_EUlSU_E_NS1_11comp_targetILNS1_3genE3ELNS1_11target_archE908ELNS1_3gpuE7ELNS1_3repE0EEENS1_30default_config_static_selectorELNS0_4arch9wavefront6targetE1EEEvT1_,"axG",@progbits,_ZN7rocprim17ROCPRIM_400000_NS6detail17trampoline_kernelINS0_14default_configENS1_27scan_by_key_config_selectorIssEEZZNS1_16scan_by_key_implILNS1_25lookback_scan_determinismE0ELb1ES3_N6thrust23THRUST_200600_302600_NS6detail15normal_iteratorINS9_10device_ptrIsEEEESE_SE_sNS9_4plusIvEENS9_8equal_toIsEEsEE10hipError_tPvRmT2_T3_T4_T5_mT6_T7_P12ihipStream_tbENKUlT_T0_E_clISt17integral_constantIbLb0EESY_IbLb1EEEEDaSU_SV_EUlSU_E_NS1_11comp_targetILNS1_3genE3ELNS1_11target_archE908ELNS1_3gpuE7ELNS1_3repE0EEENS1_30default_config_static_selectorELNS0_4arch9wavefront6targetE1EEEvT1_,comdat
.Lfunc_end672:
	.size	_ZN7rocprim17ROCPRIM_400000_NS6detail17trampoline_kernelINS0_14default_configENS1_27scan_by_key_config_selectorIssEEZZNS1_16scan_by_key_implILNS1_25lookback_scan_determinismE0ELb1ES3_N6thrust23THRUST_200600_302600_NS6detail15normal_iteratorINS9_10device_ptrIsEEEESE_SE_sNS9_4plusIvEENS9_8equal_toIsEEsEE10hipError_tPvRmT2_T3_T4_T5_mT6_T7_P12ihipStream_tbENKUlT_T0_E_clISt17integral_constantIbLb0EESY_IbLb1EEEEDaSU_SV_EUlSU_E_NS1_11comp_targetILNS1_3genE3ELNS1_11target_archE908ELNS1_3gpuE7ELNS1_3repE0EEENS1_30default_config_static_selectorELNS0_4arch9wavefront6targetE1EEEvT1_, .Lfunc_end672-_ZN7rocprim17ROCPRIM_400000_NS6detail17trampoline_kernelINS0_14default_configENS1_27scan_by_key_config_selectorIssEEZZNS1_16scan_by_key_implILNS1_25lookback_scan_determinismE0ELb1ES3_N6thrust23THRUST_200600_302600_NS6detail15normal_iteratorINS9_10device_ptrIsEEEESE_SE_sNS9_4plusIvEENS9_8equal_toIsEEsEE10hipError_tPvRmT2_T3_T4_T5_mT6_T7_P12ihipStream_tbENKUlT_T0_E_clISt17integral_constantIbLb0EESY_IbLb1EEEEDaSU_SV_EUlSU_E_NS1_11comp_targetILNS1_3genE3ELNS1_11target_archE908ELNS1_3gpuE7ELNS1_3repE0EEENS1_30default_config_static_selectorELNS0_4arch9wavefront6targetE1EEEvT1_
                                        ; -- End function
	.section	.AMDGPU.csdata,"",@progbits
; Kernel info:
; codeLenInByte = 0
; NumSgprs: 4
; NumVgprs: 0
; NumAgprs: 0
; TotalNumVgprs: 0
; ScratchSize: 0
; MemoryBound: 0
; FloatMode: 240
; IeeeMode: 1
; LDSByteSize: 0 bytes/workgroup (compile time only)
; SGPRBlocks: 0
; VGPRBlocks: 0
; NumSGPRsForWavesPerEU: 4
; NumVGPRsForWavesPerEU: 1
; AccumOffset: 4
; Occupancy: 8
; WaveLimiterHint : 0
; COMPUTE_PGM_RSRC2:SCRATCH_EN: 0
; COMPUTE_PGM_RSRC2:USER_SGPR: 6
; COMPUTE_PGM_RSRC2:TRAP_HANDLER: 0
; COMPUTE_PGM_RSRC2:TGID_X_EN: 1
; COMPUTE_PGM_RSRC2:TGID_Y_EN: 0
; COMPUTE_PGM_RSRC2:TGID_Z_EN: 0
; COMPUTE_PGM_RSRC2:TIDIG_COMP_CNT: 0
; COMPUTE_PGM_RSRC3_GFX90A:ACCUM_OFFSET: 0
; COMPUTE_PGM_RSRC3_GFX90A:TG_SPLIT: 0
	.section	.text._ZN7rocprim17ROCPRIM_400000_NS6detail17trampoline_kernelINS0_14default_configENS1_27scan_by_key_config_selectorIssEEZZNS1_16scan_by_key_implILNS1_25lookback_scan_determinismE0ELb1ES3_N6thrust23THRUST_200600_302600_NS6detail15normal_iteratorINS9_10device_ptrIsEEEESE_SE_sNS9_4plusIvEENS9_8equal_toIsEEsEE10hipError_tPvRmT2_T3_T4_T5_mT6_T7_P12ihipStream_tbENKUlT_T0_E_clISt17integral_constantIbLb0EESY_IbLb1EEEEDaSU_SV_EUlSU_E_NS1_11comp_targetILNS1_3genE2ELNS1_11target_archE906ELNS1_3gpuE6ELNS1_3repE0EEENS1_30default_config_static_selectorELNS0_4arch9wavefront6targetE1EEEvT1_,"axG",@progbits,_ZN7rocprim17ROCPRIM_400000_NS6detail17trampoline_kernelINS0_14default_configENS1_27scan_by_key_config_selectorIssEEZZNS1_16scan_by_key_implILNS1_25lookback_scan_determinismE0ELb1ES3_N6thrust23THRUST_200600_302600_NS6detail15normal_iteratorINS9_10device_ptrIsEEEESE_SE_sNS9_4plusIvEENS9_8equal_toIsEEsEE10hipError_tPvRmT2_T3_T4_T5_mT6_T7_P12ihipStream_tbENKUlT_T0_E_clISt17integral_constantIbLb0EESY_IbLb1EEEEDaSU_SV_EUlSU_E_NS1_11comp_targetILNS1_3genE2ELNS1_11target_archE906ELNS1_3gpuE6ELNS1_3repE0EEENS1_30default_config_static_selectorELNS0_4arch9wavefront6targetE1EEEvT1_,comdat
	.protected	_ZN7rocprim17ROCPRIM_400000_NS6detail17trampoline_kernelINS0_14default_configENS1_27scan_by_key_config_selectorIssEEZZNS1_16scan_by_key_implILNS1_25lookback_scan_determinismE0ELb1ES3_N6thrust23THRUST_200600_302600_NS6detail15normal_iteratorINS9_10device_ptrIsEEEESE_SE_sNS9_4plusIvEENS9_8equal_toIsEEsEE10hipError_tPvRmT2_T3_T4_T5_mT6_T7_P12ihipStream_tbENKUlT_T0_E_clISt17integral_constantIbLb0EESY_IbLb1EEEEDaSU_SV_EUlSU_E_NS1_11comp_targetILNS1_3genE2ELNS1_11target_archE906ELNS1_3gpuE6ELNS1_3repE0EEENS1_30default_config_static_selectorELNS0_4arch9wavefront6targetE1EEEvT1_ ; -- Begin function _ZN7rocprim17ROCPRIM_400000_NS6detail17trampoline_kernelINS0_14default_configENS1_27scan_by_key_config_selectorIssEEZZNS1_16scan_by_key_implILNS1_25lookback_scan_determinismE0ELb1ES3_N6thrust23THRUST_200600_302600_NS6detail15normal_iteratorINS9_10device_ptrIsEEEESE_SE_sNS9_4plusIvEENS9_8equal_toIsEEsEE10hipError_tPvRmT2_T3_T4_T5_mT6_T7_P12ihipStream_tbENKUlT_T0_E_clISt17integral_constantIbLb0EESY_IbLb1EEEEDaSU_SV_EUlSU_E_NS1_11comp_targetILNS1_3genE2ELNS1_11target_archE906ELNS1_3gpuE6ELNS1_3repE0EEENS1_30default_config_static_selectorELNS0_4arch9wavefront6targetE1EEEvT1_
	.globl	_ZN7rocprim17ROCPRIM_400000_NS6detail17trampoline_kernelINS0_14default_configENS1_27scan_by_key_config_selectorIssEEZZNS1_16scan_by_key_implILNS1_25lookback_scan_determinismE0ELb1ES3_N6thrust23THRUST_200600_302600_NS6detail15normal_iteratorINS9_10device_ptrIsEEEESE_SE_sNS9_4plusIvEENS9_8equal_toIsEEsEE10hipError_tPvRmT2_T3_T4_T5_mT6_T7_P12ihipStream_tbENKUlT_T0_E_clISt17integral_constantIbLb0EESY_IbLb1EEEEDaSU_SV_EUlSU_E_NS1_11comp_targetILNS1_3genE2ELNS1_11target_archE906ELNS1_3gpuE6ELNS1_3repE0EEENS1_30default_config_static_selectorELNS0_4arch9wavefront6targetE1EEEvT1_
	.p2align	8
	.type	_ZN7rocprim17ROCPRIM_400000_NS6detail17trampoline_kernelINS0_14default_configENS1_27scan_by_key_config_selectorIssEEZZNS1_16scan_by_key_implILNS1_25lookback_scan_determinismE0ELb1ES3_N6thrust23THRUST_200600_302600_NS6detail15normal_iteratorINS9_10device_ptrIsEEEESE_SE_sNS9_4plusIvEENS9_8equal_toIsEEsEE10hipError_tPvRmT2_T3_T4_T5_mT6_T7_P12ihipStream_tbENKUlT_T0_E_clISt17integral_constantIbLb0EESY_IbLb1EEEEDaSU_SV_EUlSU_E_NS1_11comp_targetILNS1_3genE2ELNS1_11target_archE906ELNS1_3gpuE6ELNS1_3repE0EEENS1_30default_config_static_selectorELNS0_4arch9wavefront6targetE1EEEvT1_,@function
_ZN7rocprim17ROCPRIM_400000_NS6detail17trampoline_kernelINS0_14default_configENS1_27scan_by_key_config_selectorIssEEZZNS1_16scan_by_key_implILNS1_25lookback_scan_determinismE0ELb1ES3_N6thrust23THRUST_200600_302600_NS6detail15normal_iteratorINS9_10device_ptrIsEEEESE_SE_sNS9_4plusIvEENS9_8equal_toIsEEsEE10hipError_tPvRmT2_T3_T4_T5_mT6_T7_P12ihipStream_tbENKUlT_T0_E_clISt17integral_constantIbLb0EESY_IbLb1EEEEDaSU_SV_EUlSU_E_NS1_11comp_targetILNS1_3genE2ELNS1_11target_archE906ELNS1_3gpuE6ELNS1_3repE0EEENS1_30default_config_static_selectorELNS0_4arch9wavefront6targetE1EEEvT1_: ; @_ZN7rocprim17ROCPRIM_400000_NS6detail17trampoline_kernelINS0_14default_configENS1_27scan_by_key_config_selectorIssEEZZNS1_16scan_by_key_implILNS1_25lookback_scan_determinismE0ELb1ES3_N6thrust23THRUST_200600_302600_NS6detail15normal_iteratorINS9_10device_ptrIsEEEESE_SE_sNS9_4plusIvEENS9_8equal_toIsEEsEE10hipError_tPvRmT2_T3_T4_T5_mT6_T7_P12ihipStream_tbENKUlT_T0_E_clISt17integral_constantIbLb0EESY_IbLb1EEEEDaSU_SV_EUlSU_E_NS1_11comp_targetILNS1_3genE2ELNS1_11target_archE906ELNS1_3gpuE6ELNS1_3repE0EEENS1_30default_config_static_selectorELNS0_4arch9wavefront6targetE1EEEvT1_
; %bb.0:
	.section	.rodata,"a",@progbits
	.p2align	6, 0x0
	.amdhsa_kernel _ZN7rocprim17ROCPRIM_400000_NS6detail17trampoline_kernelINS0_14default_configENS1_27scan_by_key_config_selectorIssEEZZNS1_16scan_by_key_implILNS1_25lookback_scan_determinismE0ELb1ES3_N6thrust23THRUST_200600_302600_NS6detail15normal_iteratorINS9_10device_ptrIsEEEESE_SE_sNS9_4plusIvEENS9_8equal_toIsEEsEE10hipError_tPvRmT2_T3_T4_T5_mT6_T7_P12ihipStream_tbENKUlT_T0_E_clISt17integral_constantIbLb0EESY_IbLb1EEEEDaSU_SV_EUlSU_E_NS1_11comp_targetILNS1_3genE2ELNS1_11target_archE906ELNS1_3gpuE6ELNS1_3repE0EEENS1_30default_config_static_selectorELNS0_4arch9wavefront6targetE1EEEvT1_
		.amdhsa_group_segment_fixed_size 0
		.amdhsa_private_segment_fixed_size 0
		.amdhsa_kernarg_size 112
		.amdhsa_user_sgpr_count 6
		.amdhsa_user_sgpr_private_segment_buffer 1
		.amdhsa_user_sgpr_dispatch_ptr 0
		.amdhsa_user_sgpr_queue_ptr 0
		.amdhsa_user_sgpr_kernarg_segment_ptr 1
		.amdhsa_user_sgpr_dispatch_id 0
		.amdhsa_user_sgpr_flat_scratch_init 0
		.amdhsa_user_sgpr_kernarg_preload_length 0
		.amdhsa_user_sgpr_kernarg_preload_offset 0
		.amdhsa_user_sgpr_private_segment_size 0
		.amdhsa_uses_dynamic_stack 0
		.amdhsa_system_sgpr_private_segment_wavefront_offset 0
		.amdhsa_system_sgpr_workgroup_id_x 1
		.amdhsa_system_sgpr_workgroup_id_y 0
		.amdhsa_system_sgpr_workgroup_id_z 0
		.amdhsa_system_sgpr_workgroup_info 0
		.amdhsa_system_vgpr_workitem_id 0
		.amdhsa_next_free_vgpr 1
		.amdhsa_next_free_sgpr 0
		.amdhsa_accum_offset 4
		.amdhsa_reserve_vcc 0
		.amdhsa_reserve_flat_scratch 0
		.amdhsa_float_round_mode_32 0
		.amdhsa_float_round_mode_16_64 0
		.amdhsa_float_denorm_mode_32 3
		.amdhsa_float_denorm_mode_16_64 3
		.amdhsa_dx10_clamp 1
		.amdhsa_ieee_mode 1
		.amdhsa_fp16_overflow 0
		.amdhsa_tg_split 0
		.amdhsa_exception_fp_ieee_invalid_op 0
		.amdhsa_exception_fp_denorm_src 0
		.amdhsa_exception_fp_ieee_div_zero 0
		.amdhsa_exception_fp_ieee_overflow 0
		.amdhsa_exception_fp_ieee_underflow 0
		.amdhsa_exception_fp_ieee_inexact 0
		.amdhsa_exception_int_div_zero 0
	.end_amdhsa_kernel
	.section	.text._ZN7rocprim17ROCPRIM_400000_NS6detail17trampoline_kernelINS0_14default_configENS1_27scan_by_key_config_selectorIssEEZZNS1_16scan_by_key_implILNS1_25lookback_scan_determinismE0ELb1ES3_N6thrust23THRUST_200600_302600_NS6detail15normal_iteratorINS9_10device_ptrIsEEEESE_SE_sNS9_4plusIvEENS9_8equal_toIsEEsEE10hipError_tPvRmT2_T3_T4_T5_mT6_T7_P12ihipStream_tbENKUlT_T0_E_clISt17integral_constantIbLb0EESY_IbLb1EEEEDaSU_SV_EUlSU_E_NS1_11comp_targetILNS1_3genE2ELNS1_11target_archE906ELNS1_3gpuE6ELNS1_3repE0EEENS1_30default_config_static_selectorELNS0_4arch9wavefront6targetE1EEEvT1_,"axG",@progbits,_ZN7rocprim17ROCPRIM_400000_NS6detail17trampoline_kernelINS0_14default_configENS1_27scan_by_key_config_selectorIssEEZZNS1_16scan_by_key_implILNS1_25lookback_scan_determinismE0ELb1ES3_N6thrust23THRUST_200600_302600_NS6detail15normal_iteratorINS9_10device_ptrIsEEEESE_SE_sNS9_4plusIvEENS9_8equal_toIsEEsEE10hipError_tPvRmT2_T3_T4_T5_mT6_T7_P12ihipStream_tbENKUlT_T0_E_clISt17integral_constantIbLb0EESY_IbLb1EEEEDaSU_SV_EUlSU_E_NS1_11comp_targetILNS1_3genE2ELNS1_11target_archE906ELNS1_3gpuE6ELNS1_3repE0EEENS1_30default_config_static_selectorELNS0_4arch9wavefront6targetE1EEEvT1_,comdat
.Lfunc_end673:
	.size	_ZN7rocprim17ROCPRIM_400000_NS6detail17trampoline_kernelINS0_14default_configENS1_27scan_by_key_config_selectorIssEEZZNS1_16scan_by_key_implILNS1_25lookback_scan_determinismE0ELb1ES3_N6thrust23THRUST_200600_302600_NS6detail15normal_iteratorINS9_10device_ptrIsEEEESE_SE_sNS9_4plusIvEENS9_8equal_toIsEEsEE10hipError_tPvRmT2_T3_T4_T5_mT6_T7_P12ihipStream_tbENKUlT_T0_E_clISt17integral_constantIbLb0EESY_IbLb1EEEEDaSU_SV_EUlSU_E_NS1_11comp_targetILNS1_3genE2ELNS1_11target_archE906ELNS1_3gpuE6ELNS1_3repE0EEENS1_30default_config_static_selectorELNS0_4arch9wavefront6targetE1EEEvT1_, .Lfunc_end673-_ZN7rocprim17ROCPRIM_400000_NS6detail17trampoline_kernelINS0_14default_configENS1_27scan_by_key_config_selectorIssEEZZNS1_16scan_by_key_implILNS1_25lookback_scan_determinismE0ELb1ES3_N6thrust23THRUST_200600_302600_NS6detail15normal_iteratorINS9_10device_ptrIsEEEESE_SE_sNS9_4plusIvEENS9_8equal_toIsEEsEE10hipError_tPvRmT2_T3_T4_T5_mT6_T7_P12ihipStream_tbENKUlT_T0_E_clISt17integral_constantIbLb0EESY_IbLb1EEEEDaSU_SV_EUlSU_E_NS1_11comp_targetILNS1_3genE2ELNS1_11target_archE906ELNS1_3gpuE6ELNS1_3repE0EEENS1_30default_config_static_selectorELNS0_4arch9wavefront6targetE1EEEvT1_
                                        ; -- End function
	.section	.AMDGPU.csdata,"",@progbits
; Kernel info:
; codeLenInByte = 0
; NumSgprs: 4
; NumVgprs: 0
; NumAgprs: 0
; TotalNumVgprs: 0
; ScratchSize: 0
; MemoryBound: 0
; FloatMode: 240
; IeeeMode: 1
; LDSByteSize: 0 bytes/workgroup (compile time only)
; SGPRBlocks: 0
; VGPRBlocks: 0
; NumSGPRsForWavesPerEU: 4
; NumVGPRsForWavesPerEU: 1
; AccumOffset: 4
; Occupancy: 8
; WaveLimiterHint : 0
; COMPUTE_PGM_RSRC2:SCRATCH_EN: 0
; COMPUTE_PGM_RSRC2:USER_SGPR: 6
; COMPUTE_PGM_RSRC2:TRAP_HANDLER: 0
; COMPUTE_PGM_RSRC2:TGID_X_EN: 1
; COMPUTE_PGM_RSRC2:TGID_Y_EN: 0
; COMPUTE_PGM_RSRC2:TGID_Z_EN: 0
; COMPUTE_PGM_RSRC2:TIDIG_COMP_CNT: 0
; COMPUTE_PGM_RSRC3_GFX90A:ACCUM_OFFSET: 0
; COMPUTE_PGM_RSRC3_GFX90A:TG_SPLIT: 0
	.section	.text._ZN7rocprim17ROCPRIM_400000_NS6detail17trampoline_kernelINS0_14default_configENS1_27scan_by_key_config_selectorIssEEZZNS1_16scan_by_key_implILNS1_25lookback_scan_determinismE0ELb1ES3_N6thrust23THRUST_200600_302600_NS6detail15normal_iteratorINS9_10device_ptrIsEEEESE_SE_sNS9_4plusIvEENS9_8equal_toIsEEsEE10hipError_tPvRmT2_T3_T4_T5_mT6_T7_P12ihipStream_tbENKUlT_T0_E_clISt17integral_constantIbLb0EESY_IbLb1EEEEDaSU_SV_EUlSU_E_NS1_11comp_targetILNS1_3genE10ELNS1_11target_archE1200ELNS1_3gpuE4ELNS1_3repE0EEENS1_30default_config_static_selectorELNS0_4arch9wavefront6targetE1EEEvT1_,"axG",@progbits,_ZN7rocprim17ROCPRIM_400000_NS6detail17trampoline_kernelINS0_14default_configENS1_27scan_by_key_config_selectorIssEEZZNS1_16scan_by_key_implILNS1_25lookback_scan_determinismE0ELb1ES3_N6thrust23THRUST_200600_302600_NS6detail15normal_iteratorINS9_10device_ptrIsEEEESE_SE_sNS9_4plusIvEENS9_8equal_toIsEEsEE10hipError_tPvRmT2_T3_T4_T5_mT6_T7_P12ihipStream_tbENKUlT_T0_E_clISt17integral_constantIbLb0EESY_IbLb1EEEEDaSU_SV_EUlSU_E_NS1_11comp_targetILNS1_3genE10ELNS1_11target_archE1200ELNS1_3gpuE4ELNS1_3repE0EEENS1_30default_config_static_selectorELNS0_4arch9wavefront6targetE1EEEvT1_,comdat
	.protected	_ZN7rocprim17ROCPRIM_400000_NS6detail17trampoline_kernelINS0_14default_configENS1_27scan_by_key_config_selectorIssEEZZNS1_16scan_by_key_implILNS1_25lookback_scan_determinismE0ELb1ES3_N6thrust23THRUST_200600_302600_NS6detail15normal_iteratorINS9_10device_ptrIsEEEESE_SE_sNS9_4plusIvEENS9_8equal_toIsEEsEE10hipError_tPvRmT2_T3_T4_T5_mT6_T7_P12ihipStream_tbENKUlT_T0_E_clISt17integral_constantIbLb0EESY_IbLb1EEEEDaSU_SV_EUlSU_E_NS1_11comp_targetILNS1_3genE10ELNS1_11target_archE1200ELNS1_3gpuE4ELNS1_3repE0EEENS1_30default_config_static_selectorELNS0_4arch9wavefront6targetE1EEEvT1_ ; -- Begin function _ZN7rocprim17ROCPRIM_400000_NS6detail17trampoline_kernelINS0_14default_configENS1_27scan_by_key_config_selectorIssEEZZNS1_16scan_by_key_implILNS1_25lookback_scan_determinismE0ELb1ES3_N6thrust23THRUST_200600_302600_NS6detail15normal_iteratorINS9_10device_ptrIsEEEESE_SE_sNS9_4plusIvEENS9_8equal_toIsEEsEE10hipError_tPvRmT2_T3_T4_T5_mT6_T7_P12ihipStream_tbENKUlT_T0_E_clISt17integral_constantIbLb0EESY_IbLb1EEEEDaSU_SV_EUlSU_E_NS1_11comp_targetILNS1_3genE10ELNS1_11target_archE1200ELNS1_3gpuE4ELNS1_3repE0EEENS1_30default_config_static_selectorELNS0_4arch9wavefront6targetE1EEEvT1_
	.globl	_ZN7rocprim17ROCPRIM_400000_NS6detail17trampoline_kernelINS0_14default_configENS1_27scan_by_key_config_selectorIssEEZZNS1_16scan_by_key_implILNS1_25lookback_scan_determinismE0ELb1ES3_N6thrust23THRUST_200600_302600_NS6detail15normal_iteratorINS9_10device_ptrIsEEEESE_SE_sNS9_4plusIvEENS9_8equal_toIsEEsEE10hipError_tPvRmT2_T3_T4_T5_mT6_T7_P12ihipStream_tbENKUlT_T0_E_clISt17integral_constantIbLb0EESY_IbLb1EEEEDaSU_SV_EUlSU_E_NS1_11comp_targetILNS1_3genE10ELNS1_11target_archE1200ELNS1_3gpuE4ELNS1_3repE0EEENS1_30default_config_static_selectorELNS0_4arch9wavefront6targetE1EEEvT1_
	.p2align	8
	.type	_ZN7rocprim17ROCPRIM_400000_NS6detail17trampoline_kernelINS0_14default_configENS1_27scan_by_key_config_selectorIssEEZZNS1_16scan_by_key_implILNS1_25lookback_scan_determinismE0ELb1ES3_N6thrust23THRUST_200600_302600_NS6detail15normal_iteratorINS9_10device_ptrIsEEEESE_SE_sNS9_4plusIvEENS9_8equal_toIsEEsEE10hipError_tPvRmT2_T3_T4_T5_mT6_T7_P12ihipStream_tbENKUlT_T0_E_clISt17integral_constantIbLb0EESY_IbLb1EEEEDaSU_SV_EUlSU_E_NS1_11comp_targetILNS1_3genE10ELNS1_11target_archE1200ELNS1_3gpuE4ELNS1_3repE0EEENS1_30default_config_static_selectorELNS0_4arch9wavefront6targetE1EEEvT1_,@function
_ZN7rocprim17ROCPRIM_400000_NS6detail17trampoline_kernelINS0_14default_configENS1_27scan_by_key_config_selectorIssEEZZNS1_16scan_by_key_implILNS1_25lookback_scan_determinismE0ELb1ES3_N6thrust23THRUST_200600_302600_NS6detail15normal_iteratorINS9_10device_ptrIsEEEESE_SE_sNS9_4plusIvEENS9_8equal_toIsEEsEE10hipError_tPvRmT2_T3_T4_T5_mT6_T7_P12ihipStream_tbENKUlT_T0_E_clISt17integral_constantIbLb0EESY_IbLb1EEEEDaSU_SV_EUlSU_E_NS1_11comp_targetILNS1_3genE10ELNS1_11target_archE1200ELNS1_3gpuE4ELNS1_3repE0EEENS1_30default_config_static_selectorELNS0_4arch9wavefront6targetE1EEEvT1_: ; @_ZN7rocprim17ROCPRIM_400000_NS6detail17trampoline_kernelINS0_14default_configENS1_27scan_by_key_config_selectorIssEEZZNS1_16scan_by_key_implILNS1_25lookback_scan_determinismE0ELb1ES3_N6thrust23THRUST_200600_302600_NS6detail15normal_iteratorINS9_10device_ptrIsEEEESE_SE_sNS9_4plusIvEENS9_8equal_toIsEEsEE10hipError_tPvRmT2_T3_T4_T5_mT6_T7_P12ihipStream_tbENKUlT_T0_E_clISt17integral_constantIbLb0EESY_IbLb1EEEEDaSU_SV_EUlSU_E_NS1_11comp_targetILNS1_3genE10ELNS1_11target_archE1200ELNS1_3gpuE4ELNS1_3repE0EEENS1_30default_config_static_selectorELNS0_4arch9wavefront6targetE1EEEvT1_
; %bb.0:
	.section	.rodata,"a",@progbits
	.p2align	6, 0x0
	.amdhsa_kernel _ZN7rocprim17ROCPRIM_400000_NS6detail17trampoline_kernelINS0_14default_configENS1_27scan_by_key_config_selectorIssEEZZNS1_16scan_by_key_implILNS1_25lookback_scan_determinismE0ELb1ES3_N6thrust23THRUST_200600_302600_NS6detail15normal_iteratorINS9_10device_ptrIsEEEESE_SE_sNS9_4plusIvEENS9_8equal_toIsEEsEE10hipError_tPvRmT2_T3_T4_T5_mT6_T7_P12ihipStream_tbENKUlT_T0_E_clISt17integral_constantIbLb0EESY_IbLb1EEEEDaSU_SV_EUlSU_E_NS1_11comp_targetILNS1_3genE10ELNS1_11target_archE1200ELNS1_3gpuE4ELNS1_3repE0EEENS1_30default_config_static_selectorELNS0_4arch9wavefront6targetE1EEEvT1_
		.amdhsa_group_segment_fixed_size 0
		.amdhsa_private_segment_fixed_size 0
		.amdhsa_kernarg_size 112
		.amdhsa_user_sgpr_count 6
		.amdhsa_user_sgpr_private_segment_buffer 1
		.amdhsa_user_sgpr_dispatch_ptr 0
		.amdhsa_user_sgpr_queue_ptr 0
		.amdhsa_user_sgpr_kernarg_segment_ptr 1
		.amdhsa_user_sgpr_dispatch_id 0
		.amdhsa_user_sgpr_flat_scratch_init 0
		.amdhsa_user_sgpr_kernarg_preload_length 0
		.amdhsa_user_sgpr_kernarg_preload_offset 0
		.amdhsa_user_sgpr_private_segment_size 0
		.amdhsa_uses_dynamic_stack 0
		.amdhsa_system_sgpr_private_segment_wavefront_offset 0
		.amdhsa_system_sgpr_workgroup_id_x 1
		.amdhsa_system_sgpr_workgroup_id_y 0
		.amdhsa_system_sgpr_workgroup_id_z 0
		.amdhsa_system_sgpr_workgroup_info 0
		.amdhsa_system_vgpr_workitem_id 0
		.amdhsa_next_free_vgpr 1
		.amdhsa_next_free_sgpr 0
		.amdhsa_accum_offset 4
		.amdhsa_reserve_vcc 0
		.amdhsa_reserve_flat_scratch 0
		.amdhsa_float_round_mode_32 0
		.amdhsa_float_round_mode_16_64 0
		.amdhsa_float_denorm_mode_32 3
		.amdhsa_float_denorm_mode_16_64 3
		.amdhsa_dx10_clamp 1
		.amdhsa_ieee_mode 1
		.amdhsa_fp16_overflow 0
		.amdhsa_tg_split 0
		.amdhsa_exception_fp_ieee_invalid_op 0
		.amdhsa_exception_fp_denorm_src 0
		.amdhsa_exception_fp_ieee_div_zero 0
		.amdhsa_exception_fp_ieee_overflow 0
		.amdhsa_exception_fp_ieee_underflow 0
		.amdhsa_exception_fp_ieee_inexact 0
		.amdhsa_exception_int_div_zero 0
	.end_amdhsa_kernel
	.section	.text._ZN7rocprim17ROCPRIM_400000_NS6detail17trampoline_kernelINS0_14default_configENS1_27scan_by_key_config_selectorIssEEZZNS1_16scan_by_key_implILNS1_25lookback_scan_determinismE0ELb1ES3_N6thrust23THRUST_200600_302600_NS6detail15normal_iteratorINS9_10device_ptrIsEEEESE_SE_sNS9_4plusIvEENS9_8equal_toIsEEsEE10hipError_tPvRmT2_T3_T4_T5_mT6_T7_P12ihipStream_tbENKUlT_T0_E_clISt17integral_constantIbLb0EESY_IbLb1EEEEDaSU_SV_EUlSU_E_NS1_11comp_targetILNS1_3genE10ELNS1_11target_archE1200ELNS1_3gpuE4ELNS1_3repE0EEENS1_30default_config_static_selectorELNS0_4arch9wavefront6targetE1EEEvT1_,"axG",@progbits,_ZN7rocprim17ROCPRIM_400000_NS6detail17trampoline_kernelINS0_14default_configENS1_27scan_by_key_config_selectorIssEEZZNS1_16scan_by_key_implILNS1_25lookback_scan_determinismE0ELb1ES3_N6thrust23THRUST_200600_302600_NS6detail15normal_iteratorINS9_10device_ptrIsEEEESE_SE_sNS9_4plusIvEENS9_8equal_toIsEEsEE10hipError_tPvRmT2_T3_T4_T5_mT6_T7_P12ihipStream_tbENKUlT_T0_E_clISt17integral_constantIbLb0EESY_IbLb1EEEEDaSU_SV_EUlSU_E_NS1_11comp_targetILNS1_3genE10ELNS1_11target_archE1200ELNS1_3gpuE4ELNS1_3repE0EEENS1_30default_config_static_selectorELNS0_4arch9wavefront6targetE1EEEvT1_,comdat
.Lfunc_end674:
	.size	_ZN7rocprim17ROCPRIM_400000_NS6detail17trampoline_kernelINS0_14default_configENS1_27scan_by_key_config_selectorIssEEZZNS1_16scan_by_key_implILNS1_25lookback_scan_determinismE0ELb1ES3_N6thrust23THRUST_200600_302600_NS6detail15normal_iteratorINS9_10device_ptrIsEEEESE_SE_sNS9_4plusIvEENS9_8equal_toIsEEsEE10hipError_tPvRmT2_T3_T4_T5_mT6_T7_P12ihipStream_tbENKUlT_T0_E_clISt17integral_constantIbLb0EESY_IbLb1EEEEDaSU_SV_EUlSU_E_NS1_11comp_targetILNS1_3genE10ELNS1_11target_archE1200ELNS1_3gpuE4ELNS1_3repE0EEENS1_30default_config_static_selectorELNS0_4arch9wavefront6targetE1EEEvT1_, .Lfunc_end674-_ZN7rocprim17ROCPRIM_400000_NS6detail17trampoline_kernelINS0_14default_configENS1_27scan_by_key_config_selectorIssEEZZNS1_16scan_by_key_implILNS1_25lookback_scan_determinismE0ELb1ES3_N6thrust23THRUST_200600_302600_NS6detail15normal_iteratorINS9_10device_ptrIsEEEESE_SE_sNS9_4plusIvEENS9_8equal_toIsEEsEE10hipError_tPvRmT2_T3_T4_T5_mT6_T7_P12ihipStream_tbENKUlT_T0_E_clISt17integral_constantIbLb0EESY_IbLb1EEEEDaSU_SV_EUlSU_E_NS1_11comp_targetILNS1_3genE10ELNS1_11target_archE1200ELNS1_3gpuE4ELNS1_3repE0EEENS1_30default_config_static_selectorELNS0_4arch9wavefront6targetE1EEEvT1_
                                        ; -- End function
	.section	.AMDGPU.csdata,"",@progbits
; Kernel info:
; codeLenInByte = 0
; NumSgprs: 4
; NumVgprs: 0
; NumAgprs: 0
; TotalNumVgprs: 0
; ScratchSize: 0
; MemoryBound: 0
; FloatMode: 240
; IeeeMode: 1
; LDSByteSize: 0 bytes/workgroup (compile time only)
; SGPRBlocks: 0
; VGPRBlocks: 0
; NumSGPRsForWavesPerEU: 4
; NumVGPRsForWavesPerEU: 1
; AccumOffset: 4
; Occupancy: 8
; WaveLimiterHint : 0
; COMPUTE_PGM_RSRC2:SCRATCH_EN: 0
; COMPUTE_PGM_RSRC2:USER_SGPR: 6
; COMPUTE_PGM_RSRC2:TRAP_HANDLER: 0
; COMPUTE_PGM_RSRC2:TGID_X_EN: 1
; COMPUTE_PGM_RSRC2:TGID_Y_EN: 0
; COMPUTE_PGM_RSRC2:TGID_Z_EN: 0
; COMPUTE_PGM_RSRC2:TIDIG_COMP_CNT: 0
; COMPUTE_PGM_RSRC3_GFX90A:ACCUM_OFFSET: 0
; COMPUTE_PGM_RSRC3_GFX90A:TG_SPLIT: 0
	.section	.text._ZN7rocprim17ROCPRIM_400000_NS6detail17trampoline_kernelINS0_14default_configENS1_27scan_by_key_config_selectorIssEEZZNS1_16scan_by_key_implILNS1_25lookback_scan_determinismE0ELb1ES3_N6thrust23THRUST_200600_302600_NS6detail15normal_iteratorINS9_10device_ptrIsEEEESE_SE_sNS9_4plusIvEENS9_8equal_toIsEEsEE10hipError_tPvRmT2_T3_T4_T5_mT6_T7_P12ihipStream_tbENKUlT_T0_E_clISt17integral_constantIbLb0EESY_IbLb1EEEEDaSU_SV_EUlSU_E_NS1_11comp_targetILNS1_3genE9ELNS1_11target_archE1100ELNS1_3gpuE3ELNS1_3repE0EEENS1_30default_config_static_selectorELNS0_4arch9wavefront6targetE1EEEvT1_,"axG",@progbits,_ZN7rocprim17ROCPRIM_400000_NS6detail17trampoline_kernelINS0_14default_configENS1_27scan_by_key_config_selectorIssEEZZNS1_16scan_by_key_implILNS1_25lookback_scan_determinismE0ELb1ES3_N6thrust23THRUST_200600_302600_NS6detail15normal_iteratorINS9_10device_ptrIsEEEESE_SE_sNS9_4plusIvEENS9_8equal_toIsEEsEE10hipError_tPvRmT2_T3_T4_T5_mT6_T7_P12ihipStream_tbENKUlT_T0_E_clISt17integral_constantIbLb0EESY_IbLb1EEEEDaSU_SV_EUlSU_E_NS1_11comp_targetILNS1_3genE9ELNS1_11target_archE1100ELNS1_3gpuE3ELNS1_3repE0EEENS1_30default_config_static_selectorELNS0_4arch9wavefront6targetE1EEEvT1_,comdat
	.protected	_ZN7rocprim17ROCPRIM_400000_NS6detail17trampoline_kernelINS0_14default_configENS1_27scan_by_key_config_selectorIssEEZZNS1_16scan_by_key_implILNS1_25lookback_scan_determinismE0ELb1ES3_N6thrust23THRUST_200600_302600_NS6detail15normal_iteratorINS9_10device_ptrIsEEEESE_SE_sNS9_4plusIvEENS9_8equal_toIsEEsEE10hipError_tPvRmT2_T3_T4_T5_mT6_T7_P12ihipStream_tbENKUlT_T0_E_clISt17integral_constantIbLb0EESY_IbLb1EEEEDaSU_SV_EUlSU_E_NS1_11comp_targetILNS1_3genE9ELNS1_11target_archE1100ELNS1_3gpuE3ELNS1_3repE0EEENS1_30default_config_static_selectorELNS0_4arch9wavefront6targetE1EEEvT1_ ; -- Begin function _ZN7rocprim17ROCPRIM_400000_NS6detail17trampoline_kernelINS0_14default_configENS1_27scan_by_key_config_selectorIssEEZZNS1_16scan_by_key_implILNS1_25lookback_scan_determinismE0ELb1ES3_N6thrust23THRUST_200600_302600_NS6detail15normal_iteratorINS9_10device_ptrIsEEEESE_SE_sNS9_4plusIvEENS9_8equal_toIsEEsEE10hipError_tPvRmT2_T3_T4_T5_mT6_T7_P12ihipStream_tbENKUlT_T0_E_clISt17integral_constantIbLb0EESY_IbLb1EEEEDaSU_SV_EUlSU_E_NS1_11comp_targetILNS1_3genE9ELNS1_11target_archE1100ELNS1_3gpuE3ELNS1_3repE0EEENS1_30default_config_static_selectorELNS0_4arch9wavefront6targetE1EEEvT1_
	.globl	_ZN7rocprim17ROCPRIM_400000_NS6detail17trampoline_kernelINS0_14default_configENS1_27scan_by_key_config_selectorIssEEZZNS1_16scan_by_key_implILNS1_25lookback_scan_determinismE0ELb1ES3_N6thrust23THRUST_200600_302600_NS6detail15normal_iteratorINS9_10device_ptrIsEEEESE_SE_sNS9_4plusIvEENS9_8equal_toIsEEsEE10hipError_tPvRmT2_T3_T4_T5_mT6_T7_P12ihipStream_tbENKUlT_T0_E_clISt17integral_constantIbLb0EESY_IbLb1EEEEDaSU_SV_EUlSU_E_NS1_11comp_targetILNS1_3genE9ELNS1_11target_archE1100ELNS1_3gpuE3ELNS1_3repE0EEENS1_30default_config_static_selectorELNS0_4arch9wavefront6targetE1EEEvT1_
	.p2align	8
	.type	_ZN7rocprim17ROCPRIM_400000_NS6detail17trampoline_kernelINS0_14default_configENS1_27scan_by_key_config_selectorIssEEZZNS1_16scan_by_key_implILNS1_25lookback_scan_determinismE0ELb1ES3_N6thrust23THRUST_200600_302600_NS6detail15normal_iteratorINS9_10device_ptrIsEEEESE_SE_sNS9_4plusIvEENS9_8equal_toIsEEsEE10hipError_tPvRmT2_T3_T4_T5_mT6_T7_P12ihipStream_tbENKUlT_T0_E_clISt17integral_constantIbLb0EESY_IbLb1EEEEDaSU_SV_EUlSU_E_NS1_11comp_targetILNS1_3genE9ELNS1_11target_archE1100ELNS1_3gpuE3ELNS1_3repE0EEENS1_30default_config_static_selectorELNS0_4arch9wavefront6targetE1EEEvT1_,@function
_ZN7rocprim17ROCPRIM_400000_NS6detail17trampoline_kernelINS0_14default_configENS1_27scan_by_key_config_selectorIssEEZZNS1_16scan_by_key_implILNS1_25lookback_scan_determinismE0ELb1ES3_N6thrust23THRUST_200600_302600_NS6detail15normal_iteratorINS9_10device_ptrIsEEEESE_SE_sNS9_4plusIvEENS9_8equal_toIsEEsEE10hipError_tPvRmT2_T3_T4_T5_mT6_T7_P12ihipStream_tbENKUlT_T0_E_clISt17integral_constantIbLb0EESY_IbLb1EEEEDaSU_SV_EUlSU_E_NS1_11comp_targetILNS1_3genE9ELNS1_11target_archE1100ELNS1_3gpuE3ELNS1_3repE0EEENS1_30default_config_static_selectorELNS0_4arch9wavefront6targetE1EEEvT1_: ; @_ZN7rocprim17ROCPRIM_400000_NS6detail17trampoline_kernelINS0_14default_configENS1_27scan_by_key_config_selectorIssEEZZNS1_16scan_by_key_implILNS1_25lookback_scan_determinismE0ELb1ES3_N6thrust23THRUST_200600_302600_NS6detail15normal_iteratorINS9_10device_ptrIsEEEESE_SE_sNS9_4plusIvEENS9_8equal_toIsEEsEE10hipError_tPvRmT2_T3_T4_T5_mT6_T7_P12ihipStream_tbENKUlT_T0_E_clISt17integral_constantIbLb0EESY_IbLb1EEEEDaSU_SV_EUlSU_E_NS1_11comp_targetILNS1_3genE9ELNS1_11target_archE1100ELNS1_3gpuE3ELNS1_3repE0EEENS1_30default_config_static_selectorELNS0_4arch9wavefront6targetE1EEEvT1_
; %bb.0:
	.section	.rodata,"a",@progbits
	.p2align	6, 0x0
	.amdhsa_kernel _ZN7rocprim17ROCPRIM_400000_NS6detail17trampoline_kernelINS0_14default_configENS1_27scan_by_key_config_selectorIssEEZZNS1_16scan_by_key_implILNS1_25lookback_scan_determinismE0ELb1ES3_N6thrust23THRUST_200600_302600_NS6detail15normal_iteratorINS9_10device_ptrIsEEEESE_SE_sNS9_4plusIvEENS9_8equal_toIsEEsEE10hipError_tPvRmT2_T3_T4_T5_mT6_T7_P12ihipStream_tbENKUlT_T0_E_clISt17integral_constantIbLb0EESY_IbLb1EEEEDaSU_SV_EUlSU_E_NS1_11comp_targetILNS1_3genE9ELNS1_11target_archE1100ELNS1_3gpuE3ELNS1_3repE0EEENS1_30default_config_static_selectorELNS0_4arch9wavefront6targetE1EEEvT1_
		.amdhsa_group_segment_fixed_size 0
		.amdhsa_private_segment_fixed_size 0
		.amdhsa_kernarg_size 112
		.amdhsa_user_sgpr_count 6
		.amdhsa_user_sgpr_private_segment_buffer 1
		.amdhsa_user_sgpr_dispatch_ptr 0
		.amdhsa_user_sgpr_queue_ptr 0
		.amdhsa_user_sgpr_kernarg_segment_ptr 1
		.amdhsa_user_sgpr_dispatch_id 0
		.amdhsa_user_sgpr_flat_scratch_init 0
		.amdhsa_user_sgpr_kernarg_preload_length 0
		.amdhsa_user_sgpr_kernarg_preload_offset 0
		.amdhsa_user_sgpr_private_segment_size 0
		.amdhsa_uses_dynamic_stack 0
		.amdhsa_system_sgpr_private_segment_wavefront_offset 0
		.amdhsa_system_sgpr_workgroup_id_x 1
		.amdhsa_system_sgpr_workgroup_id_y 0
		.amdhsa_system_sgpr_workgroup_id_z 0
		.amdhsa_system_sgpr_workgroup_info 0
		.amdhsa_system_vgpr_workitem_id 0
		.amdhsa_next_free_vgpr 1
		.amdhsa_next_free_sgpr 0
		.amdhsa_accum_offset 4
		.amdhsa_reserve_vcc 0
		.amdhsa_reserve_flat_scratch 0
		.amdhsa_float_round_mode_32 0
		.amdhsa_float_round_mode_16_64 0
		.amdhsa_float_denorm_mode_32 3
		.amdhsa_float_denorm_mode_16_64 3
		.amdhsa_dx10_clamp 1
		.amdhsa_ieee_mode 1
		.amdhsa_fp16_overflow 0
		.amdhsa_tg_split 0
		.amdhsa_exception_fp_ieee_invalid_op 0
		.amdhsa_exception_fp_denorm_src 0
		.amdhsa_exception_fp_ieee_div_zero 0
		.amdhsa_exception_fp_ieee_overflow 0
		.amdhsa_exception_fp_ieee_underflow 0
		.amdhsa_exception_fp_ieee_inexact 0
		.amdhsa_exception_int_div_zero 0
	.end_amdhsa_kernel
	.section	.text._ZN7rocprim17ROCPRIM_400000_NS6detail17trampoline_kernelINS0_14default_configENS1_27scan_by_key_config_selectorIssEEZZNS1_16scan_by_key_implILNS1_25lookback_scan_determinismE0ELb1ES3_N6thrust23THRUST_200600_302600_NS6detail15normal_iteratorINS9_10device_ptrIsEEEESE_SE_sNS9_4plusIvEENS9_8equal_toIsEEsEE10hipError_tPvRmT2_T3_T4_T5_mT6_T7_P12ihipStream_tbENKUlT_T0_E_clISt17integral_constantIbLb0EESY_IbLb1EEEEDaSU_SV_EUlSU_E_NS1_11comp_targetILNS1_3genE9ELNS1_11target_archE1100ELNS1_3gpuE3ELNS1_3repE0EEENS1_30default_config_static_selectorELNS0_4arch9wavefront6targetE1EEEvT1_,"axG",@progbits,_ZN7rocprim17ROCPRIM_400000_NS6detail17trampoline_kernelINS0_14default_configENS1_27scan_by_key_config_selectorIssEEZZNS1_16scan_by_key_implILNS1_25lookback_scan_determinismE0ELb1ES3_N6thrust23THRUST_200600_302600_NS6detail15normal_iteratorINS9_10device_ptrIsEEEESE_SE_sNS9_4plusIvEENS9_8equal_toIsEEsEE10hipError_tPvRmT2_T3_T4_T5_mT6_T7_P12ihipStream_tbENKUlT_T0_E_clISt17integral_constantIbLb0EESY_IbLb1EEEEDaSU_SV_EUlSU_E_NS1_11comp_targetILNS1_3genE9ELNS1_11target_archE1100ELNS1_3gpuE3ELNS1_3repE0EEENS1_30default_config_static_selectorELNS0_4arch9wavefront6targetE1EEEvT1_,comdat
.Lfunc_end675:
	.size	_ZN7rocprim17ROCPRIM_400000_NS6detail17trampoline_kernelINS0_14default_configENS1_27scan_by_key_config_selectorIssEEZZNS1_16scan_by_key_implILNS1_25lookback_scan_determinismE0ELb1ES3_N6thrust23THRUST_200600_302600_NS6detail15normal_iteratorINS9_10device_ptrIsEEEESE_SE_sNS9_4plusIvEENS9_8equal_toIsEEsEE10hipError_tPvRmT2_T3_T4_T5_mT6_T7_P12ihipStream_tbENKUlT_T0_E_clISt17integral_constantIbLb0EESY_IbLb1EEEEDaSU_SV_EUlSU_E_NS1_11comp_targetILNS1_3genE9ELNS1_11target_archE1100ELNS1_3gpuE3ELNS1_3repE0EEENS1_30default_config_static_selectorELNS0_4arch9wavefront6targetE1EEEvT1_, .Lfunc_end675-_ZN7rocprim17ROCPRIM_400000_NS6detail17trampoline_kernelINS0_14default_configENS1_27scan_by_key_config_selectorIssEEZZNS1_16scan_by_key_implILNS1_25lookback_scan_determinismE0ELb1ES3_N6thrust23THRUST_200600_302600_NS6detail15normal_iteratorINS9_10device_ptrIsEEEESE_SE_sNS9_4plusIvEENS9_8equal_toIsEEsEE10hipError_tPvRmT2_T3_T4_T5_mT6_T7_P12ihipStream_tbENKUlT_T0_E_clISt17integral_constantIbLb0EESY_IbLb1EEEEDaSU_SV_EUlSU_E_NS1_11comp_targetILNS1_3genE9ELNS1_11target_archE1100ELNS1_3gpuE3ELNS1_3repE0EEENS1_30default_config_static_selectorELNS0_4arch9wavefront6targetE1EEEvT1_
                                        ; -- End function
	.section	.AMDGPU.csdata,"",@progbits
; Kernel info:
; codeLenInByte = 0
; NumSgprs: 4
; NumVgprs: 0
; NumAgprs: 0
; TotalNumVgprs: 0
; ScratchSize: 0
; MemoryBound: 0
; FloatMode: 240
; IeeeMode: 1
; LDSByteSize: 0 bytes/workgroup (compile time only)
; SGPRBlocks: 0
; VGPRBlocks: 0
; NumSGPRsForWavesPerEU: 4
; NumVGPRsForWavesPerEU: 1
; AccumOffset: 4
; Occupancy: 8
; WaveLimiterHint : 0
; COMPUTE_PGM_RSRC2:SCRATCH_EN: 0
; COMPUTE_PGM_RSRC2:USER_SGPR: 6
; COMPUTE_PGM_RSRC2:TRAP_HANDLER: 0
; COMPUTE_PGM_RSRC2:TGID_X_EN: 1
; COMPUTE_PGM_RSRC2:TGID_Y_EN: 0
; COMPUTE_PGM_RSRC2:TGID_Z_EN: 0
; COMPUTE_PGM_RSRC2:TIDIG_COMP_CNT: 0
; COMPUTE_PGM_RSRC3_GFX90A:ACCUM_OFFSET: 0
; COMPUTE_PGM_RSRC3_GFX90A:TG_SPLIT: 0
	.section	.text._ZN7rocprim17ROCPRIM_400000_NS6detail17trampoline_kernelINS0_14default_configENS1_27scan_by_key_config_selectorIssEEZZNS1_16scan_by_key_implILNS1_25lookback_scan_determinismE0ELb1ES3_N6thrust23THRUST_200600_302600_NS6detail15normal_iteratorINS9_10device_ptrIsEEEESE_SE_sNS9_4plusIvEENS9_8equal_toIsEEsEE10hipError_tPvRmT2_T3_T4_T5_mT6_T7_P12ihipStream_tbENKUlT_T0_E_clISt17integral_constantIbLb0EESY_IbLb1EEEEDaSU_SV_EUlSU_E_NS1_11comp_targetILNS1_3genE8ELNS1_11target_archE1030ELNS1_3gpuE2ELNS1_3repE0EEENS1_30default_config_static_selectorELNS0_4arch9wavefront6targetE1EEEvT1_,"axG",@progbits,_ZN7rocprim17ROCPRIM_400000_NS6detail17trampoline_kernelINS0_14default_configENS1_27scan_by_key_config_selectorIssEEZZNS1_16scan_by_key_implILNS1_25lookback_scan_determinismE0ELb1ES3_N6thrust23THRUST_200600_302600_NS6detail15normal_iteratorINS9_10device_ptrIsEEEESE_SE_sNS9_4plusIvEENS9_8equal_toIsEEsEE10hipError_tPvRmT2_T3_T4_T5_mT6_T7_P12ihipStream_tbENKUlT_T0_E_clISt17integral_constantIbLb0EESY_IbLb1EEEEDaSU_SV_EUlSU_E_NS1_11comp_targetILNS1_3genE8ELNS1_11target_archE1030ELNS1_3gpuE2ELNS1_3repE0EEENS1_30default_config_static_selectorELNS0_4arch9wavefront6targetE1EEEvT1_,comdat
	.protected	_ZN7rocprim17ROCPRIM_400000_NS6detail17trampoline_kernelINS0_14default_configENS1_27scan_by_key_config_selectorIssEEZZNS1_16scan_by_key_implILNS1_25lookback_scan_determinismE0ELb1ES3_N6thrust23THRUST_200600_302600_NS6detail15normal_iteratorINS9_10device_ptrIsEEEESE_SE_sNS9_4plusIvEENS9_8equal_toIsEEsEE10hipError_tPvRmT2_T3_T4_T5_mT6_T7_P12ihipStream_tbENKUlT_T0_E_clISt17integral_constantIbLb0EESY_IbLb1EEEEDaSU_SV_EUlSU_E_NS1_11comp_targetILNS1_3genE8ELNS1_11target_archE1030ELNS1_3gpuE2ELNS1_3repE0EEENS1_30default_config_static_selectorELNS0_4arch9wavefront6targetE1EEEvT1_ ; -- Begin function _ZN7rocprim17ROCPRIM_400000_NS6detail17trampoline_kernelINS0_14default_configENS1_27scan_by_key_config_selectorIssEEZZNS1_16scan_by_key_implILNS1_25lookback_scan_determinismE0ELb1ES3_N6thrust23THRUST_200600_302600_NS6detail15normal_iteratorINS9_10device_ptrIsEEEESE_SE_sNS9_4plusIvEENS9_8equal_toIsEEsEE10hipError_tPvRmT2_T3_T4_T5_mT6_T7_P12ihipStream_tbENKUlT_T0_E_clISt17integral_constantIbLb0EESY_IbLb1EEEEDaSU_SV_EUlSU_E_NS1_11comp_targetILNS1_3genE8ELNS1_11target_archE1030ELNS1_3gpuE2ELNS1_3repE0EEENS1_30default_config_static_selectorELNS0_4arch9wavefront6targetE1EEEvT1_
	.globl	_ZN7rocprim17ROCPRIM_400000_NS6detail17trampoline_kernelINS0_14default_configENS1_27scan_by_key_config_selectorIssEEZZNS1_16scan_by_key_implILNS1_25lookback_scan_determinismE0ELb1ES3_N6thrust23THRUST_200600_302600_NS6detail15normal_iteratorINS9_10device_ptrIsEEEESE_SE_sNS9_4plusIvEENS9_8equal_toIsEEsEE10hipError_tPvRmT2_T3_T4_T5_mT6_T7_P12ihipStream_tbENKUlT_T0_E_clISt17integral_constantIbLb0EESY_IbLb1EEEEDaSU_SV_EUlSU_E_NS1_11comp_targetILNS1_3genE8ELNS1_11target_archE1030ELNS1_3gpuE2ELNS1_3repE0EEENS1_30default_config_static_selectorELNS0_4arch9wavefront6targetE1EEEvT1_
	.p2align	8
	.type	_ZN7rocprim17ROCPRIM_400000_NS6detail17trampoline_kernelINS0_14default_configENS1_27scan_by_key_config_selectorIssEEZZNS1_16scan_by_key_implILNS1_25lookback_scan_determinismE0ELb1ES3_N6thrust23THRUST_200600_302600_NS6detail15normal_iteratorINS9_10device_ptrIsEEEESE_SE_sNS9_4plusIvEENS9_8equal_toIsEEsEE10hipError_tPvRmT2_T3_T4_T5_mT6_T7_P12ihipStream_tbENKUlT_T0_E_clISt17integral_constantIbLb0EESY_IbLb1EEEEDaSU_SV_EUlSU_E_NS1_11comp_targetILNS1_3genE8ELNS1_11target_archE1030ELNS1_3gpuE2ELNS1_3repE0EEENS1_30default_config_static_selectorELNS0_4arch9wavefront6targetE1EEEvT1_,@function
_ZN7rocprim17ROCPRIM_400000_NS6detail17trampoline_kernelINS0_14default_configENS1_27scan_by_key_config_selectorIssEEZZNS1_16scan_by_key_implILNS1_25lookback_scan_determinismE0ELb1ES3_N6thrust23THRUST_200600_302600_NS6detail15normal_iteratorINS9_10device_ptrIsEEEESE_SE_sNS9_4plusIvEENS9_8equal_toIsEEsEE10hipError_tPvRmT2_T3_T4_T5_mT6_T7_P12ihipStream_tbENKUlT_T0_E_clISt17integral_constantIbLb0EESY_IbLb1EEEEDaSU_SV_EUlSU_E_NS1_11comp_targetILNS1_3genE8ELNS1_11target_archE1030ELNS1_3gpuE2ELNS1_3repE0EEENS1_30default_config_static_selectorELNS0_4arch9wavefront6targetE1EEEvT1_: ; @_ZN7rocprim17ROCPRIM_400000_NS6detail17trampoline_kernelINS0_14default_configENS1_27scan_by_key_config_selectorIssEEZZNS1_16scan_by_key_implILNS1_25lookback_scan_determinismE0ELb1ES3_N6thrust23THRUST_200600_302600_NS6detail15normal_iteratorINS9_10device_ptrIsEEEESE_SE_sNS9_4plusIvEENS9_8equal_toIsEEsEE10hipError_tPvRmT2_T3_T4_T5_mT6_T7_P12ihipStream_tbENKUlT_T0_E_clISt17integral_constantIbLb0EESY_IbLb1EEEEDaSU_SV_EUlSU_E_NS1_11comp_targetILNS1_3genE8ELNS1_11target_archE1030ELNS1_3gpuE2ELNS1_3repE0EEENS1_30default_config_static_selectorELNS0_4arch9wavefront6targetE1EEEvT1_
; %bb.0:
	.section	.rodata,"a",@progbits
	.p2align	6, 0x0
	.amdhsa_kernel _ZN7rocprim17ROCPRIM_400000_NS6detail17trampoline_kernelINS0_14default_configENS1_27scan_by_key_config_selectorIssEEZZNS1_16scan_by_key_implILNS1_25lookback_scan_determinismE0ELb1ES3_N6thrust23THRUST_200600_302600_NS6detail15normal_iteratorINS9_10device_ptrIsEEEESE_SE_sNS9_4plusIvEENS9_8equal_toIsEEsEE10hipError_tPvRmT2_T3_T4_T5_mT6_T7_P12ihipStream_tbENKUlT_T0_E_clISt17integral_constantIbLb0EESY_IbLb1EEEEDaSU_SV_EUlSU_E_NS1_11comp_targetILNS1_3genE8ELNS1_11target_archE1030ELNS1_3gpuE2ELNS1_3repE0EEENS1_30default_config_static_selectorELNS0_4arch9wavefront6targetE1EEEvT1_
		.amdhsa_group_segment_fixed_size 0
		.amdhsa_private_segment_fixed_size 0
		.amdhsa_kernarg_size 112
		.amdhsa_user_sgpr_count 6
		.amdhsa_user_sgpr_private_segment_buffer 1
		.amdhsa_user_sgpr_dispatch_ptr 0
		.amdhsa_user_sgpr_queue_ptr 0
		.amdhsa_user_sgpr_kernarg_segment_ptr 1
		.amdhsa_user_sgpr_dispatch_id 0
		.amdhsa_user_sgpr_flat_scratch_init 0
		.amdhsa_user_sgpr_kernarg_preload_length 0
		.amdhsa_user_sgpr_kernarg_preload_offset 0
		.amdhsa_user_sgpr_private_segment_size 0
		.amdhsa_uses_dynamic_stack 0
		.amdhsa_system_sgpr_private_segment_wavefront_offset 0
		.amdhsa_system_sgpr_workgroup_id_x 1
		.amdhsa_system_sgpr_workgroup_id_y 0
		.amdhsa_system_sgpr_workgroup_id_z 0
		.amdhsa_system_sgpr_workgroup_info 0
		.amdhsa_system_vgpr_workitem_id 0
		.amdhsa_next_free_vgpr 1
		.amdhsa_next_free_sgpr 0
		.amdhsa_accum_offset 4
		.amdhsa_reserve_vcc 0
		.amdhsa_reserve_flat_scratch 0
		.amdhsa_float_round_mode_32 0
		.amdhsa_float_round_mode_16_64 0
		.amdhsa_float_denorm_mode_32 3
		.amdhsa_float_denorm_mode_16_64 3
		.amdhsa_dx10_clamp 1
		.amdhsa_ieee_mode 1
		.amdhsa_fp16_overflow 0
		.amdhsa_tg_split 0
		.amdhsa_exception_fp_ieee_invalid_op 0
		.amdhsa_exception_fp_denorm_src 0
		.amdhsa_exception_fp_ieee_div_zero 0
		.amdhsa_exception_fp_ieee_overflow 0
		.amdhsa_exception_fp_ieee_underflow 0
		.amdhsa_exception_fp_ieee_inexact 0
		.amdhsa_exception_int_div_zero 0
	.end_amdhsa_kernel
	.section	.text._ZN7rocprim17ROCPRIM_400000_NS6detail17trampoline_kernelINS0_14default_configENS1_27scan_by_key_config_selectorIssEEZZNS1_16scan_by_key_implILNS1_25lookback_scan_determinismE0ELb1ES3_N6thrust23THRUST_200600_302600_NS6detail15normal_iteratorINS9_10device_ptrIsEEEESE_SE_sNS9_4plusIvEENS9_8equal_toIsEEsEE10hipError_tPvRmT2_T3_T4_T5_mT6_T7_P12ihipStream_tbENKUlT_T0_E_clISt17integral_constantIbLb0EESY_IbLb1EEEEDaSU_SV_EUlSU_E_NS1_11comp_targetILNS1_3genE8ELNS1_11target_archE1030ELNS1_3gpuE2ELNS1_3repE0EEENS1_30default_config_static_selectorELNS0_4arch9wavefront6targetE1EEEvT1_,"axG",@progbits,_ZN7rocprim17ROCPRIM_400000_NS6detail17trampoline_kernelINS0_14default_configENS1_27scan_by_key_config_selectorIssEEZZNS1_16scan_by_key_implILNS1_25lookback_scan_determinismE0ELb1ES3_N6thrust23THRUST_200600_302600_NS6detail15normal_iteratorINS9_10device_ptrIsEEEESE_SE_sNS9_4plusIvEENS9_8equal_toIsEEsEE10hipError_tPvRmT2_T3_T4_T5_mT6_T7_P12ihipStream_tbENKUlT_T0_E_clISt17integral_constantIbLb0EESY_IbLb1EEEEDaSU_SV_EUlSU_E_NS1_11comp_targetILNS1_3genE8ELNS1_11target_archE1030ELNS1_3gpuE2ELNS1_3repE0EEENS1_30default_config_static_selectorELNS0_4arch9wavefront6targetE1EEEvT1_,comdat
.Lfunc_end676:
	.size	_ZN7rocprim17ROCPRIM_400000_NS6detail17trampoline_kernelINS0_14default_configENS1_27scan_by_key_config_selectorIssEEZZNS1_16scan_by_key_implILNS1_25lookback_scan_determinismE0ELb1ES3_N6thrust23THRUST_200600_302600_NS6detail15normal_iteratorINS9_10device_ptrIsEEEESE_SE_sNS9_4plusIvEENS9_8equal_toIsEEsEE10hipError_tPvRmT2_T3_T4_T5_mT6_T7_P12ihipStream_tbENKUlT_T0_E_clISt17integral_constantIbLb0EESY_IbLb1EEEEDaSU_SV_EUlSU_E_NS1_11comp_targetILNS1_3genE8ELNS1_11target_archE1030ELNS1_3gpuE2ELNS1_3repE0EEENS1_30default_config_static_selectorELNS0_4arch9wavefront6targetE1EEEvT1_, .Lfunc_end676-_ZN7rocprim17ROCPRIM_400000_NS6detail17trampoline_kernelINS0_14default_configENS1_27scan_by_key_config_selectorIssEEZZNS1_16scan_by_key_implILNS1_25lookback_scan_determinismE0ELb1ES3_N6thrust23THRUST_200600_302600_NS6detail15normal_iteratorINS9_10device_ptrIsEEEESE_SE_sNS9_4plusIvEENS9_8equal_toIsEEsEE10hipError_tPvRmT2_T3_T4_T5_mT6_T7_P12ihipStream_tbENKUlT_T0_E_clISt17integral_constantIbLb0EESY_IbLb1EEEEDaSU_SV_EUlSU_E_NS1_11comp_targetILNS1_3genE8ELNS1_11target_archE1030ELNS1_3gpuE2ELNS1_3repE0EEENS1_30default_config_static_selectorELNS0_4arch9wavefront6targetE1EEEvT1_
                                        ; -- End function
	.section	.AMDGPU.csdata,"",@progbits
; Kernel info:
; codeLenInByte = 0
; NumSgprs: 4
; NumVgprs: 0
; NumAgprs: 0
; TotalNumVgprs: 0
; ScratchSize: 0
; MemoryBound: 0
; FloatMode: 240
; IeeeMode: 1
; LDSByteSize: 0 bytes/workgroup (compile time only)
; SGPRBlocks: 0
; VGPRBlocks: 0
; NumSGPRsForWavesPerEU: 4
; NumVGPRsForWavesPerEU: 1
; AccumOffset: 4
; Occupancy: 8
; WaveLimiterHint : 0
; COMPUTE_PGM_RSRC2:SCRATCH_EN: 0
; COMPUTE_PGM_RSRC2:USER_SGPR: 6
; COMPUTE_PGM_RSRC2:TRAP_HANDLER: 0
; COMPUTE_PGM_RSRC2:TGID_X_EN: 1
; COMPUTE_PGM_RSRC2:TGID_Y_EN: 0
; COMPUTE_PGM_RSRC2:TGID_Z_EN: 0
; COMPUTE_PGM_RSRC2:TIDIG_COMP_CNT: 0
; COMPUTE_PGM_RSRC3_GFX90A:ACCUM_OFFSET: 0
; COMPUTE_PGM_RSRC3_GFX90A:TG_SPLIT: 0
	.section	.text._ZN7rocprim17ROCPRIM_400000_NS6detail17trampoline_kernelINS0_14default_configENS1_27scan_by_key_config_selectorIxxEEZZNS1_16scan_by_key_implILNS1_25lookback_scan_determinismE0ELb0ES3_N6thrust23THRUST_200600_302600_NS6detail15normal_iteratorINS9_10device_ptrIxEEEESE_SE_xNS9_4plusIxEE19head_flag_predicatexEE10hipError_tPvRmT2_T3_T4_T5_mT6_T7_P12ihipStream_tbENKUlT_T0_E_clISt17integral_constantIbLb0EESY_EEDaST_SU_EUlST_E_NS1_11comp_targetILNS1_3genE0ELNS1_11target_archE4294967295ELNS1_3gpuE0ELNS1_3repE0EEENS1_30default_config_static_selectorELNS0_4arch9wavefront6targetE1EEEvT1_,"axG",@progbits,_ZN7rocprim17ROCPRIM_400000_NS6detail17trampoline_kernelINS0_14default_configENS1_27scan_by_key_config_selectorIxxEEZZNS1_16scan_by_key_implILNS1_25lookback_scan_determinismE0ELb0ES3_N6thrust23THRUST_200600_302600_NS6detail15normal_iteratorINS9_10device_ptrIxEEEESE_SE_xNS9_4plusIxEE19head_flag_predicatexEE10hipError_tPvRmT2_T3_T4_T5_mT6_T7_P12ihipStream_tbENKUlT_T0_E_clISt17integral_constantIbLb0EESY_EEDaST_SU_EUlST_E_NS1_11comp_targetILNS1_3genE0ELNS1_11target_archE4294967295ELNS1_3gpuE0ELNS1_3repE0EEENS1_30default_config_static_selectorELNS0_4arch9wavefront6targetE1EEEvT1_,comdat
	.protected	_ZN7rocprim17ROCPRIM_400000_NS6detail17trampoline_kernelINS0_14default_configENS1_27scan_by_key_config_selectorIxxEEZZNS1_16scan_by_key_implILNS1_25lookback_scan_determinismE0ELb0ES3_N6thrust23THRUST_200600_302600_NS6detail15normal_iteratorINS9_10device_ptrIxEEEESE_SE_xNS9_4plusIxEE19head_flag_predicatexEE10hipError_tPvRmT2_T3_T4_T5_mT6_T7_P12ihipStream_tbENKUlT_T0_E_clISt17integral_constantIbLb0EESY_EEDaST_SU_EUlST_E_NS1_11comp_targetILNS1_3genE0ELNS1_11target_archE4294967295ELNS1_3gpuE0ELNS1_3repE0EEENS1_30default_config_static_selectorELNS0_4arch9wavefront6targetE1EEEvT1_ ; -- Begin function _ZN7rocprim17ROCPRIM_400000_NS6detail17trampoline_kernelINS0_14default_configENS1_27scan_by_key_config_selectorIxxEEZZNS1_16scan_by_key_implILNS1_25lookback_scan_determinismE0ELb0ES3_N6thrust23THRUST_200600_302600_NS6detail15normal_iteratorINS9_10device_ptrIxEEEESE_SE_xNS9_4plusIxEE19head_flag_predicatexEE10hipError_tPvRmT2_T3_T4_T5_mT6_T7_P12ihipStream_tbENKUlT_T0_E_clISt17integral_constantIbLb0EESY_EEDaST_SU_EUlST_E_NS1_11comp_targetILNS1_3genE0ELNS1_11target_archE4294967295ELNS1_3gpuE0ELNS1_3repE0EEENS1_30default_config_static_selectorELNS0_4arch9wavefront6targetE1EEEvT1_
	.globl	_ZN7rocprim17ROCPRIM_400000_NS6detail17trampoline_kernelINS0_14default_configENS1_27scan_by_key_config_selectorIxxEEZZNS1_16scan_by_key_implILNS1_25lookback_scan_determinismE0ELb0ES3_N6thrust23THRUST_200600_302600_NS6detail15normal_iteratorINS9_10device_ptrIxEEEESE_SE_xNS9_4plusIxEE19head_flag_predicatexEE10hipError_tPvRmT2_T3_T4_T5_mT6_T7_P12ihipStream_tbENKUlT_T0_E_clISt17integral_constantIbLb0EESY_EEDaST_SU_EUlST_E_NS1_11comp_targetILNS1_3genE0ELNS1_11target_archE4294967295ELNS1_3gpuE0ELNS1_3repE0EEENS1_30default_config_static_selectorELNS0_4arch9wavefront6targetE1EEEvT1_
	.p2align	8
	.type	_ZN7rocprim17ROCPRIM_400000_NS6detail17trampoline_kernelINS0_14default_configENS1_27scan_by_key_config_selectorIxxEEZZNS1_16scan_by_key_implILNS1_25lookback_scan_determinismE0ELb0ES3_N6thrust23THRUST_200600_302600_NS6detail15normal_iteratorINS9_10device_ptrIxEEEESE_SE_xNS9_4plusIxEE19head_flag_predicatexEE10hipError_tPvRmT2_T3_T4_T5_mT6_T7_P12ihipStream_tbENKUlT_T0_E_clISt17integral_constantIbLb0EESY_EEDaST_SU_EUlST_E_NS1_11comp_targetILNS1_3genE0ELNS1_11target_archE4294967295ELNS1_3gpuE0ELNS1_3repE0EEENS1_30default_config_static_selectorELNS0_4arch9wavefront6targetE1EEEvT1_,@function
_ZN7rocprim17ROCPRIM_400000_NS6detail17trampoline_kernelINS0_14default_configENS1_27scan_by_key_config_selectorIxxEEZZNS1_16scan_by_key_implILNS1_25lookback_scan_determinismE0ELb0ES3_N6thrust23THRUST_200600_302600_NS6detail15normal_iteratorINS9_10device_ptrIxEEEESE_SE_xNS9_4plusIxEE19head_flag_predicatexEE10hipError_tPvRmT2_T3_T4_T5_mT6_T7_P12ihipStream_tbENKUlT_T0_E_clISt17integral_constantIbLb0EESY_EEDaST_SU_EUlST_E_NS1_11comp_targetILNS1_3genE0ELNS1_11target_archE4294967295ELNS1_3gpuE0ELNS1_3repE0EEENS1_30default_config_static_selectorELNS0_4arch9wavefront6targetE1EEEvT1_: ; @_ZN7rocprim17ROCPRIM_400000_NS6detail17trampoline_kernelINS0_14default_configENS1_27scan_by_key_config_selectorIxxEEZZNS1_16scan_by_key_implILNS1_25lookback_scan_determinismE0ELb0ES3_N6thrust23THRUST_200600_302600_NS6detail15normal_iteratorINS9_10device_ptrIxEEEESE_SE_xNS9_4plusIxEE19head_flag_predicatexEE10hipError_tPvRmT2_T3_T4_T5_mT6_T7_P12ihipStream_tbENKUlT_T0_E_clISt17integral_constantIbLb0EESY_EEDaST_SU_EUlST_E_NS1_11comp_targetILNS1_3genE0ELNS1_11target_archE4294967295ELNS1_3gpuE0ELNS1_3repE0EEENS1_30default_config_static_selectorELNS0_4arch9wavefront6targetE1EEEvT1_
; %bb.0:
	.section	.rodata,"a",@progbits
	.p2align	6, 0x0
	.amdhsa_kernel _ZN7rocprim17ROCPRIM_400000_NS6detail17trampoline_kernelINS0_14default_configENS1_27scan_by_key_config_selectorIxxEEZZNS1_16scan_by_key_implILNS1_25lookback_scan_determinismE0ELb0ES3_N6thrust23THRUST_200600_302600_NS6detail15normal_iteratorINS9_10device_ptrIxEEEESE_SE_xNS9_4plusIxEE19head_flag_predicatexEE10hipError_tPvRmT2_T3_T4_T5_mT6_T7_P12ihipStream_tbENKUlT_T0_E_clISt17integral_constantIbLb0EESY_EEDaST_SU_EUlST_E_NS1_11comp_targetILNS1_3genE0ELNS1_11target_archE4294967295ELNS1_3gpuE0ELNS1_3repE0EEENS1_30default_config_static_selectorELNS0_4arch9wavefront6targetE1EEEvT1_
		.amdhsa_group_segment_fixed_size 0
		.amdhsa_private_segment_fixed_size 0
		.amdhsa_kernarg_size 136
		.amdhsa_user_sgpr_count 6
		.amdhsa_user_sgpr_private_segment_buffer 1
		.amdhsa_user_sgpr_dispatch_ptr 0
		.amdhsa_user_sgpr_queue_ptr 0
		.amdhsa_user_sgpr_kernarg_segment_ptr 1
		.amdhsa_user_sgpr_dispatch_id 0
		.amdhsa_user_sgpr_flat_scratch_init 0
		.amdhsa_user_sgpr_kernarg_preload_length 0
		.amdhsa_user_sgpr_kernarg_preload_offset 0
		.amdhsa_user_sgpr_private_segment_size 0
		.amdhsa_uses_dynamic_stack 0
		.amdhsa_system_sgpr_private_segment_wavefront_offset 0
		.amdhsa_system_sgpr_workgroup_id_x 1
		.amdhsa_system_sgpr_workgroup_id_y 0
		.amdhsa_system_sgpr_workgroup_id_z 0
		.amdhsa_system_sgpr_workgroup_info 0
		.amdhsa_system_vgpr_workitem_id 0
		.amdhsa_next_free_vgpr 1
		.amdhsa_next_free_sgpr 0
		.amdhsa_accum_offset 4
		.amdhsa_reserve_vcc 0
		.amdhsa_reserve_flat_scratch 0
		.amdhsa_float_round_mode_32 0
		.amdhsa_float_round_mode_16_64 0
		.amdhsa_float_denorm_mode_32 3
		.amdhsa_float_denorm_mode_16_64 3
		.amdhsa_dx10_clamp 1
		.amdhsa_ieee_mode 1
		.amdhsa_fp16_overflow 0
		.amdhsa_tg_split 0
		.amdhsa_exception_fp_ieee_invalid_op 0
		.amdhsa_exception_fp_denorm_src 0
		.amdhsa_exception_fp_ieee_div_zero 0
		.amdhsa_exception_fp_ieee_overflow 0
		.amdhsa_exception_fp_ieee_underflow 0
		.amdhsa_exception_fp_ieee_inexact 0
		.amdhsa_exception_int_div_zero 0
	.end_amdhsa_kernel
	.section	.text._ZN7rocprim17ROCPRIM_400000_NS6detail17trampoline_kernelINS0_14default_configENS1_27scan_by_key_config_selectorIxxEEZZNS1_16scan_by_key_implILNS1_25lookback_scan_determinismE0ELb0ES3_N6thrust23THRUST_200600_302600_NS6detail15normal_iteratorINS9_10device_ptrIxEEEESE_SE_xNS9_4plusIxEE19head_flag_predicatexEE10hipError_tPvRmT2_T3_T4_T5_mT6_T7_P12ihipStream_tbENKUlT_T0_E_clISt17integral_constantIbLb0EESY_EEDaST_SU_EUlST_E_NS1_11comp_targetILNS1_3genE0ELNS1_11target_archE4294967295ELNS1_3gpuE0ELNS1_3repE0EEENS1_30default_config_static_selectorELNS0_4arch9wavefront6targetE1EEEvT1_,"axG",@progbits,_ZN7rocprim17ROCPRIM_400000_NS6detail17trampoline_kernelINS0_14default_configENS1_27scan_by_key_config_selectorIxxEEZZNS1_16scan_by_key_implILNS1_25lookback_scan_determinismE0ELb0ES3_N6thrust23THRUST_200600_302600_NS6detail15normal_iteratorINS9_10device_ptrIxEEEESE_SE_xNS9_4plusIxEE19head_flag_predicatexEE10hipError_tPvRmT2_T3_T4_T5_mT6_T7_P12ihipStream_tbENKUlT_T0_E_clISt17integral_constantIbLb0EESY_EEDaST_SU_EUlST_E_NS1_11comp_targetILNS1_3genE0ELNS1_11target_archE4294967295ELNS1_3gpuE0ELNS1_3repE0EEENS1_30default_config_static_selectorELNS0_4arch9wavefront6targetE1EEEvT1_,comdat
.Lfunc_end677:
	.size	_ZN7rocprim17ROCPRIM_400000_NS6detail17trampoline_kernelINS0_14default_configENS1_27scan_by_key_config_selectorIxxEEZZNS1_16scan_by_key_implILNS1_25lookback_scan_determinismE0ELb0ES3_N6thrust23THRUST_200600_302600_NS6detail15normal_iteratorINS9_10device_ptrIxEEEESE_SE_xNS9_4plusIxEE19head_flag_predicatexEE10hipError_tPvRmT2_T3_T4_T5_mT6_T7_P12ihipStream_tbENKUlT_T0_E_clISt17integral_constantIbLb0EESY_EEDaST_SU_EUlST_E_NS1_11comp_targetILNS1_3genE0ELNS1_11target_archE4294967295ELNS1_3gpuE0ELNS1_3repE0EEENS1_30default_config_static_selectorELNS0_4arch9wavefront6targetE1EEEvT1_, .Lfunc_end677-_ZN7rocprim17ROCPRIM_400000_NS6detail17trampoline_kernelINS0_14default_configENS1_27scan_by_key_config_selectorIxxEEZZNS1_16scan_by_key_implILNS1_25lookback_scan_determinismE0ELb0ES3_N6thrust23THRUST_200600_302600_NS6detail15normal_iteratorINS9_10device_ptrIxEEEESE_SE_xNS9_4plusIxEE19head_flag_predicatexEE10hipError_tPvRmT2_T3_T4_T5_mT6_T7_P12ihipStream_tbENKUlT_T0_E_clISt17integral_constantIbLb0EESY_EEDaST_SU_EUlST_E_NS1_11comp_targetILNS1_3genE0ELNS1_11target_archE4294967295ELNS1_3gpuE0ELNS1_3repE0EEENS1_30default_config_static_selectorELNS0_4arch9wavefront6targetE1EEEvT1_
                                        ; -- End function
	.section	.AMDGPU.csdata,"",@progbits
; Kernel info:
; codeLenInByte = 0
; NumSgprs: 4
; NumVgprs: 0
; NumAgprs: 0
; TotalNumVgprs: 0
; ScratchSize: 0
; MemoryBound: 0
; FloatMode: 240
; IeeeMode: 1
; LDSByteSize: 0 bytes/workgroup (compile time only)
; SGPRBlocks: 0
; VGPRBlocks: 0
; NumSGPRsForWavesPerEU: 4
; NumVGPRsForWavesPerEU: 1
; AccumOffset: 4
; Occupancy: 8
; WaveLimiterHint : 0
; COMPUTE_PGM_RSRC2:SCRATCH_EN: 0
; COMPUTE_PGM_RSRC2:USER_SGPR: 6
; COMPUTE_PGM_RSRC2:TRAP_HANDLER: 0
; COMPUTE_PGM_RSRC2:TGID_X_EN: 1
; COMPUTE_PGM_RSRC2:TGID_Y_EN: 0
; COMPUTE_PGM_RSRC2:TGID_Z_EN: 0
; COMPUTE_PGM_RSRC2:TIDIG_COMP_CNT: 0
; COMPUTE_PGM_RSRC3_GFX90A:ACCUM_OFFSET: 0
; COMPUTE_PGM_RSRC3_GFX90A:TG_SPLIT: 0
	.section	.text._ZN7rocprim17ROCPRIM_400000_NS6detail17trampoline_kernelINS0_14default_configENS1_27scan_by_key_config_selectorIxxEEZZNS1_16scan_by_key_implILNS1_25lookback_scan_determinismE0ELb0ES3_N6thrust23THRUST_200600_302600_NS6detail15normal_iteratorINS9_10device_ptrIxEEEESE_SE_xNS9_4plusIxEE19head_flag_predicatexEE10hipError_tPvRmT2_T3_T4_T5_mT6_T7_P12ihipStream_tbENKUlT_T0_E_clISt17integral_constantIbLb0EESY_EEDaST_SU_EUlST_E_NS1_11comp_targetILNS1_3genE10ELNS1_11target_archE1201ELNS1_3gpuE5ELNS1_3repE0EEENS1_30default_config_static_selectorELNS0_4arch9wavefront6targetE1EEEvT1_,"axG",@progbits,_ZN7rocprim17ROCPRIM_400000_NS6detail17trampoline_kernelINS0_14default_configENS1_27scan_by_key_config_selectorIxxEEZZNS1_16scan_by_key_implILNS1_25lookback_scan_determinismE0ELb0ES3_N6thrust23THRUST_200600_302600_NS6detail15normal_iteratorINS9_10device_ptrIxEEEESE_SE_xNS9_4plusIxEE19head_flag_predicatexEE10hipError_tPvRmT2_T3_T4_T5_mT6_T7_P12ihipStream_tbENKUlT_T0_E_clISt17integral_constantIbLb0EESY_EEDaST_SU_EUlST_E_NS1_11comp_targetILNS1_3genE10ELNS1_11target_archE1201ELNS1_3gpuE5ELNS1_3repE0EEENS1_30default_config_static_selectorELNS0_4arch9wavefront6targetE1EEEvT1_,comdat
	.protected	_ZN7rocprim17ROCPRIM_400000_NS6detail17trampoline_kernelINS0_14default_configENS1_27scan_by_key_config_selectorIxxEEZZNS1_16scan_by_key_implILNS1_25lookback_scan_determinismE0ELb0ES3_N6thrust23THRUST_200600_302600_NS6detail15normal_iteratorINS9_10device_ptrIxEEEESE_SE_xNS9_4plusIxEE19head_flag_predicatexEE10hipError_tPvRmT2_T3_T4_T5_mT6_T7_P12ihipStream_tbENKUlT_T0_E_clISt17integral_constantIbLb0EESY_EEDaST_SU_EUlST_E_NS1_11comp_targetILNS1_3genE10ELNS1_11target_archE1201ELNS1_3gpuE5ELNS1_3repE0EEENS1_30default_config_static_selectorELNS0_4arch9wavefront6targetE1EEEvT1_ ; -- Begin function _ZN7rocprim17ROCPRIM_400000_NS6detail17trampoline_kernelINS0_14default_configENS1_27scan_by_key_config_selectorIxxEEZZNS1_16scan_by_key_implILNS1_25lookback_scan_determinismE0ELb0ES3_N6thrust23THRUST_200600_302600_NS6detail15normal_iteratorINS9_10device_ptrIxEEEESE_SE_xNS9_4plusIxEE19head_flag_predicatexEE10hipError_tPvRmT2_T3_T4_T5_mT6_T7_P12ihipStream_tbENKUlT_T0_E_clISt17integral_constantIbLb0EESY_EEDaST_SU_EUlST_E_NS1_11comp_targetILNS1_3genE10ELNS1_11target_archE1201ELNS1_3gpuE5ELNS1_3repE0EEENS1_30default_config_static_selectorELNS0_4arch9wavefront6targetE1EEEvT1_
	.globl	_ZN7rocprim17ROCPRIM_400000_NS6detail17trampoline_kernelINS0_14default_configENS1_27scan_by_key_config_selectorIxxEEZZNS1_16scan_by_key_implILNS1_25lookback_scan_determinismE0ELb0ES3_N6thrust23THRUST_200600_302600_NS6detail15normal_iteratorINS9_10device_ptrIxEEEESE_SE_xNS9_4plusIxEE19head_flag_predicatexEE10hipError_tPvRmT2_T3_T4_T5_mT6_T7_P12ihipStream_tbENKUlT_T0_E_clISt17integral_constantIbLb0EESY_EEDaST_SU_EUlST_E_NS1_11comp_targetILNS1_3genE10ELNS1_11target_archE1201ELNS1_3gpuE5ELNS1_3repE0EEENS1_30default_config_static_selectorELNS0_4arch9wavefront6targetE1EEEvT1_
	.p2align	8
	.type	_ZN7rocprim17ROCPRIM_400000_NS6detail17trampoline_kernelINS0_14default_configENS1_27scan_by_key_config_selectorIxxEEZZNS1_16scan_by_key_implILNS1_25lookback_scan_determinismE0ELb0ES3_N6thrust23THRUST_200600_302600_NS6detail15normal_iteratorINS9_10device_ptrIxEEEESE_SE_xNS9_4plusIxEE19head_flag_predicatexEE10hipError_tPvRmT2_T3_T4_T5_mT6_T7_P12ihipStream_tbENKUlT_T0_E_clISt17integral_constantIbLb0EESY_EEDaST_SU_EUlST_E_NS1_11comp_targetILNS1_3genE10ELNS1_11target_archE1201ELNS1_3gpuE5ELNS1_3repE0EEENS1_30default_config_static_selectorELNS0_4arch9wavefront6targetE1EEEvT1_,@function
_ZN7rocprim17ROCPRIM_400000_NS6detail17trampoline_kernelINS0_14default_configENS1_27scan_by_key_config_selectorIxxEEZZNS1_16scan_by_key_implILNS1_25lookback_scan_determinismE0ELb0ES3_N6thrust23THRUST_200600_302600_NS6detail15normal_iteratorINS9_10device_ptrIxEEEESE_SE_xNS9_4plusIxEE19head_flag_predicatexEE10hipError_tPvRmT2_T3_T4_T5_mT6_T7_P12ihipStream_tbENKUlT_T0_E_clISt17integral_constantIbLb0EESY_EEDaST_SU_EUlST_E_NS1_11comp_targetILNS1_3genE10ELNS1_11target_archE1201ELNS1_3gpuE5ELNS1_3repE0EEENS1_30default_config_static_selectorELNS0_4arch9wavefront6targetE1EEEvT1_: ; @_ZN7rocprim17ROCPRIM_400000_NS6detail17trampoline_kernelINS0_14default_configENS1_27scan_by_key_config_selectorIxxEEZZNS1_16scan_by_key_implILNS1_25lookback_scan_determinismE0ELb0ES3_N6thrust23THRUST_200600_302600_NS6detail15normal_iteratorINS9_10device_ptrIxEEEESE_SE_xNS9_4plusIxEE19head_flag_predicatexEE10hipError_tPvRmT2_T3_T4_T5_mT6_T7_P12ihipStream_tbENKUlT_T0_E_clISt17integral_constantIbLb0EESY_EEDaST_SU_EUlST_E_NS1_11comp_targetILNS1_3genE10ELNS1_11target_archE1201ELNS1_3gpuE5ELNS1_3repE0EEENS1_30default_config_static_selectorELNS0_4arch9wavefront6targetE1EEEvT1_
; %bb.0:
	.section	.rodata,"a",@progbits
	.p2align	6, 0x0
	.amdhsa_kernel _ZN7rocprim17ROCPRIM_400000_NS6detail17trampoline_kernelINS0_14default_configENS1_27scan_by_key_config_selectorIxxEEZZNS1_16scan_by_key_implILNS1_25lookback_scan_determinismE0ELb0ES3_N6thrust23THRUST_200600_302600_NS6detail15normal_iteratorINS9_10device_ptrIxEEEESE_SE_xNS9_4plusIxEE19head_flag_predicatexEE10hipError_tPvRmT2_T3_T4_T5_mT6_T7_P12ihipStream_tbENKUlT_T0_E_clISt17integral_constantIbLb0EESY_EEDaST_SU_EUlST_E_NS1_11comp_targetILNS1_3genE10ELNS1_11target_archE1201ELNS1_3gpuE5ELNS1_3repE0EEENS1_30default_config_static_selectorELNS0_4arch9wavefront6targetE1EEEvT1_
		.amdhsa_group_segment_fixed_size 0
		.amdhsa_private_segment_fixed_size 0
		.amdhsa_kernarg_size 136
		.amdhsa_user_sgpr_count 6
		.amdhsa_user_sgpr_private_segment_buffer 1
		.amdhsa_user_sgpr_dispatch_ptr 0
		.amdhsa_user_sgpr_queue_ptr 0
		.amdhsa_user_sgpr_kernarg_segment_ptr 1
		.amdhsa_user_sgpr_dispatch_id 0
		.amdhsa_user_sgpr_flat_scratch_init 0
		.amdhsa_user_sgpr_kernarg_preload_length 0
		.amdhsa_user_sgpr_kernarg_preload_offset 0
		.amdhsa_user_sgpr_private_segment_size 0
		.amdhsa_uses_dynamic_stack 0
		.amdhsa_system_sgpr_private_segment_wavefront_offset 0
		.amdhsa_system_sgpr_workgroup_id_x 1
		.amdhsa_system_sgpr_workgroup_id_y 0
		.amdhsa_system_sgpr_workgroup_id_z 0
		.amdhsa_system_sgpr_workgroup_info 0
		.amdhsa_system_vgpr_workitem_id 0
		.amdhsa_next_free_vgpr 1
		.amdhsa_next_free_sgpr 0
		.amdhsa_accum_offset 4
		.amdhsa_reserve_vcc 0
		.amdhsa_reserve_flat_scratch 0
		.amdhsa_float_round_mode_32 0
		.amdhsa_float_round_mode_16_64 0
		.amdhsa_float_denorm_mode_32 3
		.amdhsa_float_denorm_mode_16_64 3
		.amdhsa_dx10_clamp 1
		.amdhsa_ieee_mode 1
		.amdhsa_fp16_overflow 0
		.amdhsa_tg_split 0
		.amdhsa_exception_fp_ieee_invalid_op 0
		.amdhsa_exception_fp_denorm_src 0
		.amdhsa_exception_fp_ieee_div_zero 0
		.amdhsa_exception_fp_ieee_overflow 0
		.amdhsa_exception_fp_ieee_underflow 0
		.amdhsa_exception_fp_ieee_inexact 0
		.amdhsa_exception_int_div_zero 0
	.end_amdhsa_kernel
	.section	.text._ZN7rocprim17ROCPRIM_400000_NS6detail17trampoline_kernelINS0_14default_configENS1_27scan_by_key_config_selectorIxxEEZZNS1_16scan_by_key_implILNS1_25lookback_scan_determinismE0ELb0ES3_N6thrust23THRUST_200600_302600_NS6detail15normal_iteratorINS9_10device_ptrIxEEEESE_SE_xNS9_4plusIxEE19head_flag_predicatexEE10hipError_tPvRmT2_T3_T4_T5_mT6_T7_P12ihipStream_tbENKUlT_T0_E_clISt17integral_constantIbLb0EESY_EEDaST_SU_EUlST_E_NS1_11comp_targetILNS1_3genE10ELNS1_11target_archE1201ELNS1_3gpuE5ELNS1_3repE0EEENS1_30default_config_static_selectorELNS0_4arch9wavefront6targetE1EEEvT1_,"axG",@progbits,_ZN7rocprim17ROCPRIM_400000_NS6detail17trampoline_kernelINS0_14default_configENS1_27scan_by_key_config_selectorIxxEEZZNS1_16scan_by_key_implILNS1_25lookback_scan_determinismE0ELb0ES3_N6thrust23THRUST_200600_302600_NS6detail15normal_iteratorINS9_10device_ptrIxEEEESE_SE_xNS9_4plusIxEE19head_flag_predicatexEE10hipError_tPvRmT2_T3_T4_T5_mT6_T7_P12ihipStream_tbENKUlT_T0_E_clISt17integral_constantIbLb0EESY_EEDaST_SU_EUlST_E_NS1_11comp_targetILNS1_3genE10ELNS1_11target_archE1201ELNS1_3gpuE5ELNS1_3repE0EEENS1_30default_config_static_selectorELNS0_4arch9wavefront6targetE1EEEvT1_,comdat
.Lfunc_end678:
	.size	_ZN7rocprim17ROCPRIM_400000_NS6detail17trampoline_kernelINS0_14default_configENS1_27scan_by_key_config_selectorIxxEEZZNS1_16scan_by_key_implILNS1_25lookback_scan_determinismE0ELb0ES3_N6thrust23THRUST_200600_302600_NS6detail15normal_iteratorINS9_10device_ptrIxEEEESE_SE_xNS9_4plusIxEE19head_flag_predicatexEE10hipError_tPvRmT2_T3_T4_T5_mT6_T7_P12ihipStream_tbENKUlT_T0_E_clISt17integral_constantIbLb0EESY_EEDaST_SU_EUlST_E_NS1_11comp_targetILNS1_3genE10ELNS1_11target_archE1201ELNS1_3gpuE5ELNS1_3repE0EEENS1_30default_config_static_selectorELNS0_4arch9wavefront6targetE1EEEvT1_, .Lfunc_end678-_ZN7rocprim17ROCPRIM_400000_NS6detail17trampoline_kernelINS0_14default_configENS1_27scan_by_key_config_selectorIxxEEZZNS1_16scan_by_key_implILNS1_25lookback_scan_determinismE0ELb0ES3_N6thrust23THRUST_200600_302600_NS6detail15normal_iteratorINS9_10device_ptrIxEEEESE_SE_xNS9_4plusIxEE19head_flag_predicatexEE10hipError_tPvRmT2_T3_T4_T5_mT6_T7_P12ihipStream_tbENKUlT_T0_E_clISt17integral_constantIbLb0EESY_EEDaST_SU_EUlST_E_NS1_11comp_targetILNS1_3genE10ELNS1_11target_archE1201ELNS1_3gpuE5ELNS1_3repE0EEENS1_30default_config_static_selectorELNS0_4arch9wavefront6targetE1EEEvT1_
                                        ; -- End function
	.section	.AMDGPU.csdata,"",@progbits
; Kernel info:
; codeLenInByte = 0
; NumSgprs: 4
; NumVgprs: 0
; NumAgprs: 0
; TotalNumVgprs: 0
; ScratchSize: 0
; MemoryBound: 0
; FloatMode: 240
; IeeeMode: 1
; LDSByteSize: 0 bytes/workgroup (compile time only)
; SGPRBlocks: 0
; VGPRBlocks: 0
; NumSGPRsForWavesPerEU: 4
; NumVGPRsForWavesPerEU: 1
; AccumOffset: 4
; Occupancy: 8
; WaveLimiterHint : 0
; COMPUTE_PGM_RSRC2:SCRATCH_EN: 0
; COMPUTE_PGM_RSRC2:USER_SGPR: 6
; COMPUTE_PGM_RSRC2:TRAP_HANDLER: 0
; COMPUTE_PGM_RSRC2:TGID_X_EN: 1
; COMPUTE_PGM_RSRC2:TGID_Y_EN: 0
; COMPUTE_PGM_RSRC2:TGID_Z_EN: 0
; COMPUTE_PGM_RSRC2:TIDIG_COMP_CNT: 0
; COMPUTE_PGM_RSRC3_GFX90A:ACCUM_OFFSET: 0
; COMPUTE_PGM_RSRC3_GFX90A:TG_SPLIT: 0
	.section	.text._ZN7rocprim17ROCPRIM_400000_NS6detail17trampoline_kernelINS0_14default_configENS1_27scan_by_key_config_selectorIxxEEZZNS1_16scan_by_key_implILNS1_25lookback_scan_determinismE0ELb0ES3_N6thrust23THRUST_200600_302600_NS6detail15normal_iteratorINS9_10device_ptrIxEEEESE_SE_xNS9_4plusIxEE19head_flag_predicatexEE10hipError_tPvRmT2_T3_T4_T5_mT6_T7_P12ihipStream_tbENKUlT_T0_E_clISt17integral_constantIbLb0EESY_EEDaST_SU_EUlST_E_NS1_11comp_targetILNS1_3genE5ELNS1_11target_archE942ELNS1_3gpuE9ELNS1_3repE0EEENS1_30default_config_static_selectorELNS0_4arch9wavefront6targetE1EEEvT1_,"axG",@progbits,_ZN7rocprim17ROCPRIM_400000_NS6detail17trampoline_kernelINS0_14default_configENS1_27scan_by_key_config_selectorIxxEEZZNS1_16scan_by_key_implILNS1_25lookback_scan_determinismE0ELb0ES3_N6thrust23THRUST_200600_302600_NS6detail15normal_iteratorINS9_10device_ptrIxEEEESE_SE_xNS9_4plusIxEE19head_flag_predicatexEE10hipError_tPvRmT2_T3_T4_T5_mT6_T7_P12ihipStream_tbENKUlT_T0_E_clISt17integral_constantIbLb0EESY_EEDaST_SU_EUlST_E_NS1_11comp_targetILNS1_3genE5ELNS1_11target_archE942ELNS1_3gpuE9ELNS1_3repE0EEENS1_30default_config_static_selectorELNS0_4arch9wavefront6targetE1EEEvT1_,comdat
	.protected	_ZN7rocprim17ROCPRIM_400000_NS6detail17trampoline_kernelINS0_14default_configENS1_27scan_by_key_config_selectorIxxEEZZNS1_16scan_by_key_implILNS1_25lookback_scan_determinismE0ELb0ES3_N6thrust23THRUST_200600_302600_NS6detail15normal_iteratorINS9_10device_ptrIxEEEESE_SE_xNS9_4plusIxEE19head_flag_predicatexEE10hipError_tPvRmT2_T3_T4_T5_mT6_T7_P12ihipStream_tbENKUlT_T0_E_clISt17integral_constantIbLb0EESY_EEDaST_SU_EUlST_E_NS1_11comp_targetILNS1_3genE5ELNS1_11target_archE942ELNS1_3gpuE9ELNS1_3repE0EEENS1_30default_config_static_selectorELNS0_4arch9wavefront6targetE1EEEvT1_ ; -- Begin function _ZN7rocprim17ROCPRIM_400000_NS6detail17trampoline_kernelINS0_14default_configENS1_27scan_by_key_config_selectorIxxEEZZNS1_16scan_by_key_implILNS1_25lookback_scan_determinismE0ELb0ES3_N6thrust23THRUST_200600_302600_NS6detail15normal_iteratorINS9_10device_ptrIxEEEESE_SE_xNS9_4plusIxEE19head_flag_predicatexEE10hipError_tPvRmT2_T3_T4_T5_mT6_T7_P12ihipStream_tbENKUlT_T0_E_clISt17integral_constantIbLb0EESY_EEDaST_SU_EUlST_E_NS1_11comp_targetILNS1_3genE5ELNS1_11target_archE942ELNS1_3gpuE9ELNS1_3repE0EEENS1_30default_config_static_selectorELNS0_4arch9wavefront6targetE1EEEvT1_
	.globl	_ZN7rocprim17ROCPRIM_400000_NS6detail17trampoline_kernelINS0_14default_configENS1_27scan_by_key_config_selectorIxxEEZZNS1_16scan_by_key_implILNS1_25lookback_scan_determinismE0ELb0ES3_N6thrust23THRUST_200600_302600_NS6detail15normal_iteratorINS9_10device_ptrIxEEEESE_SE_xNS9_4plusIxEE19head_flag_predicatexEE10hipError_tPvRmT2_T3_T4_T5_mT6_T7_P12ihipStream_tbENKUlT_T0_E_clISt17integral_constantIbLb0EESY_EEDaST_SU_EUlST_E_NS1_11comp_targetILNS1_3genE5ELNS1_11target_archE942ELNS1_3gpuE9ELNS1_3repE0EEENS1_30default_config_static_selectorELNS0_4arch9wavefront6targetE1EEEvT1_
	.p2align	8
	.type	_ZN7rocprim17ROCPRIM_400000_NS6detail17trampoline_kernelINS0_14default_configENS1_27scan_by_key_config_selectorIxxEEZZNS1_16scan_by_key_implILNS1_25lookback_scan_determinismE0ELb0ES3_N6thrust23THRUST_200600_302600_NS6detail15normal_iteratorINS9_10device_ptrIxEEEESE_SE_xNS9_4plusIxEE19head_flag_predicatexEE10hipError_tPvRmT2_T3_T4_T5_mT6_T7_P12ihipStream_tbENKUlT_T0_E_clISt17integral_constantIbLb0EESY_EEDaST_SU_EUlST_E_NS1_11comp_targetILNS1_3genE5ELNS1_11target_archE942ELNS1_3gpuE9ELNS1_3repE0EEENS1_30default_config_static_selectorELNS0_4arch9wavefront6targetE1EEEvT1_,@function
_ZN7rocprim17ROCPRIM_400000_NS6detail17trampoline_kernelINS0_14default_configENS1_27scan_by_key_config_selectorIxxEEZZNS1_16scan_by_key_implILNS1_25lookback_scan_determinismE0ELb0ES3_N6thrust23THRUST_200600_302600_NS6detail15normal_iteratorINS9_10device_ptrIxEEEESE_SE_xNS9_4plusIxEE19head_flag_predicatexEE10hipError_tPvRmT2_T3_T4_T5_mT6_T7_P12ihipStream_tbENKUlT_T0_E_clISt17integral_constantIbLb0EESY_EEDaST_SU_EUlST_E_NS1_11comp_targetILNS1_3genE5ELNS1_11target_archE942ELNS1_3gpuE9ELNS1_3repE0EEENS1_30default_config_static_selectorELNS0_4arch9wavefront6targetE1EEEvT1_: ; @_ZN7rocprim17ROCPRIM_400000_NS6detail17trampoline_kernelINS0_14default_configENS1_27scan_by_key_config_selectorIxxEEZZNS1_16scan_by_key_implILNS1_25lookback_scan_determinismE0ELb0ES3_N6thrust23THRUST_200600_302600_NS6detail15normal_iteratorINS9_10device_ptrIxEEEESE_SE_xNS9_4plusIxEE19head_flag_predicatexEE10hipError_tPvRmT2_T3_T4_T5_mT6_T7_P12ihipStream_tbENKUlT_T0_E_clISt17integral_constantIbLb0EESY_EEDaST_SU_EUlST_E_NS1_11comp_targetILNS1_3genE5ELNS1_11target_archE942ELNS1_3gpuE9ELNS1_3repE0EEENS1_30default_config_static_selectorELNS0_4arch9wavefront6targetE1EEEvT1_
; %bb.0:
	.section	.rodata,"a",@progbits
	.p2align	6, 0x0
	.amdhsa_kernel _ZN7rocprim17ROCPRIM_400000_NS6detail17trampoline_kernelINS0_14default_configENS1_27scan_by_key_config_selectorIxxEEZZNS1_16scan_by_key_implILNS1_25lookback_scan_determinismE0ELb0ES3_N6thrust23THRUST_200600_302600_NS6detail15normal_iteratorINS9_10device_ptrIxEEEESE_SE_xNS9_4plusIxEE19head_flag_predicatexEE10hipError_tPvRmT2_T3_T4_T5_mT6_T7_P12ihipStream_tbENKUlT_T0_E_clISt17integral_constantIbLb0EESY_EEDaST_SU_EUlST_E_NS1_11comp_targetILNS1_3genE5ELNS1_11target_archE942ELNS1_3gpuE9ELNS1_3repE0EEENS1_30default_config_static_selectorELNS0_4arch9wavefront6targetE1EEEvT1_
		.amdhsa_group_segment_fixed_size 0
		.amdhsa_private_segment_fixed_size 0
		.amdhsa_kernarg_size 136
		.amdhsa_user_sgpr_count 6
		.amdhsa_user_sgpr_private_segment_buffer 1
		.amdhsa_user_sgpr_dispatch_ptr 0
		.amdhsa_user_sgpr_queue_ptr 0
		.amdhsa_user_sgpr_kernarg_segment_ptr 1
		.amdhsa_user_sgpr_dispatch_id 0
		.amdhsa_user_sgpr_flat_scratch_init 0
		.amdhsa_user_sgpr_kernarg_preload_length 0
		.amdhsa_user_sgpr_kernarg_preload_offset 0
		.amdhsa_user_sgpr_private_segment_size 0
		.amdhsa_uses_dynamic_stack 0
		.amdhsa_system_sgpr_private_segment_wavefront_offset 0
		.amdhsa_system_sgpr_workgroup_id_x 1
		.amdhsa_system_sgpr_workgroup_id_y 0
		.amdhsa_system_sgpr_workgroup_id_z 0
		.amdhsa_system_sgpr_workgroup_info 0
		.amdhsa_system_vgpr_workitem_id 0
		.amdhsa_next_free_vgpr 1
		.amdhsa_next_free_sgpr 0
		.amdhsa_accum_offset 4
		.amdhsa_reserve_vcc 0
		.amdhsa_reserve_flat_scratch 0
		.amdhsa_float_round_mode_32 0
		.amdhsa_float_round_mode_16_64 0
		.amdhsa_float_denorm_mode_32 3
		.amdhsa_float_denorm_mode_16_64 3
		.amdhsa_dx10_clamp 1
		.amdhsa_ieee_mode 1
		.amdhsa_fp16_overflow 0
		.amdhsa_tg_split 0
		.amdhsa_exception_fp_ieee_invalid_op 0
		.amdhsa_exception_fp_denorm_src 0
		.amdhsa_exception_fp_ieee_div_zero 0
		.amdhsa_exception_fp_ieee_overflow 0
		.amdhsa_exception_fp_ieee_underflow 0
		.amdhsa_exception_fp_ieee_inexact 0
		.amdhsa_exception_int_div_zero 0
	.end_amdhsa_kernel
	.section	.text._ZN7rocprim17ROCPRIM_400000_NS6detail17trampoline_kernelINS0_14default_configENS1_27scan_by_key_config_selectorIxxEEZZNS1_16scan_by_key_implILNS1_25lookback_scan_determinismE0ELb0ES3_N6thrust23THRUST_200600_302600_NS6detail15normal_iteratorINS9_10device_ptrIxEEEESE_SE_xNS9_4plusIxEE19head_flag_predicatexEE10hipError_tPvRmT2_T3_T4_T5_mT6_T7_P12ihipStream_tbENKUlT_T0_E_clISt17integral_constantIbLb0EESY_EEDaST_SU_EUlST_E_NS1_11comp_targetILNS1_3genE5ELNS1_11target_archE942ELNS1_3gpuE9ELNS1_3repE0EEENS1_30default_config_static_selectorELNS0_4arch9wavefront6targetE1EEEvT1_,"axG",@progbits,_ZN7rocprim17ROCPRIM_400000_NS6detail17trampoline_kernelINS0_14default_configENS1_27scan_by_key_config_selectorIxxEEZZNS1_16scan_by_key_implILNS1_25lookback_scan_determinismE0ELb0ES3_N6thrust23THRUST_200600_302600_NS6detail15normal_iteratorINS9_10device_ptrIxEEEESE_SE_xNS9_4plusIxEE19head_flag_predicatexEE10hipError_tPvRmT2_T3_T4_T5_mT6_T7_P12ihipStream_tbENKUlT_T0_E_clISt17integral_constantIbLb0EESY_EEDaST_SU_EUlST_E_NS1_11comp_targetILNS1_3genE5ELNS1_11target_archE942ELNS1_3gpuE9ELNS1_3repE0EEENS1_30default_config_static_selectorELNS0_4arch9wavefront6targetE1EEEvT1_,comdat
.Lfunc_end679:
	.size	_ZN7rocprim17ROCPRIM_400000_NS6detail17trampoline_kernelINS0_14default_configENS1_27scan_by_key_config_selectorIxxEEZZNS1_16scan_by_key_implILNS1_25lookback_scan_determinismE0ELb0ES3_N6thrust23THRUST_200600_302600_NS6detail15normal_iteratorINS9_10device_ptrIxEEEESE_SE_xNS9_4plusIxEE19head_flag_predicatexEE10hipError_tPvRmT2_T3_T4_T5_mT6_T7_P12ihipStream_tbENKUlT_T0_E_clISt17integral_constantIbLb0EESY_EEDaST_SU_EUlST_E_NS1_11comp_targetILNS1_3genE5ELNS1_11target_archE942ELNS1_3gpuE9ELNS1_3repE0EEENS1_30default_config_static_selectorELNS0_4arch9wavefront6targetE1EEEvT1_, .Lfunc_end679-_ZN7rocprim17ROCPRIM_400000_NS6detail17trampoline_kernelINS0_14default_configENS1_27scan_by_key_config_selectorIxxEEZZNS1_16scan_by_key_implILNS1_25lookback_scan_determinismE0ELb0ES3_N6thrust23THRUST_200600_302600_NS6detail15normal_iteratorINS9_10device_ptrIxEEEESE_SE_xNS9_4plusIxEE19head_flag_predicatexEE10hipError_tPvRmT2_T3_T4_T5_mT6_T7_P12ihipStream_tbENKUlT_T0_E_clISt17integral_constantIbLb0EESY_EEDaST_SU_EUlST_E_NS1_11comp_targetILNS1_3genE5ELNS1_11target_archE942ELNS1_3gpuE9ELNS1_3repE0EEENS1_30default_config_static_selectorELNS0_4arch9wavefront6targetE1EEEvT1_
                                        ; -- End function
	.section	.AMDGPU.csdata,"",@progbits
; Kernel info:
; codeLenInByte = 0
; NumSgprs: 4
; NumVgprs: 0
; NumAgprs: 0
; TotalNumVgprs: 0
; ScratchSize: 0
; MemoryBound: 0
; FloatMode: 240
; IeeeMode: 1
; LDSByteSize: 0 bytes/workgroup (compile time only)
; SGPRBlocks: 0
; VGPRBlocks: 0
; NumSGPRsForWavesPerEU: 4
; NumVGPRsForWavesPerEU: 1
; AccumOffset: 4
; Occupancy: 8
; WaveLimiterHint : 0
; COMPUTE_PGM_RSRC2:SCRATCH_EN: 0
; COMPUTE_PGM_RSRC2:USER_SGPR: 6
; COMPUTE_PGM_RSRC2:TRAP_HANDLER: 0
; COMPUTE_PGM_RSRC2:TGID_X_EN: 1
; COMPUTE_PGM_RSRC2:TGID_Y_EN: 0
; COMPUTE_PGM_RSRC2:TGID_Z_EN: 0
; COMPUTE_PGM_RSRC2:TIDIG_COMP_CNT: 0
; COMPUTE_PGM_RSRC3_GFX90A:ACCUM_OFFSET: 0
; COMPUTE_PGM_RSRC3_GFX90A:TG_SPLIT: 0
	.section	.text._ZN7rocprim17ROCPRIM_400000_NS6detail17trampoline_kernelINS0_14default_configENS1_27scan_by_key_config_selectorIxxEEZZNS1_16scan_by_key_implILNS1_25lookback_scan_determinismE0ELb0ES3_N6thrust23THRUST_200600_302600_NS6detail15normal_iteratorINS9_10device_ptrIxEEEESE_SE_xNS9_4plusIxEE19head_flag_predicatexEE10hipError_tPvRmT2_T3_T4_T5_mT6_T7_P12ihipStream_tbENKUlT_T0_E_clISt17integral_constantIbLb0EESY_EEDaST_SU_EUlST_E_NS1_11comp_targetILNS1_3genE4ELNS1_11target_archE910ELNS1_3gpuE8ELNS1_3repE0EEENS1_30default_config_static_selectorELNS0_4arch9wavefront6targetE1EEEvT1_,"axG",@progbits,_ZN7rocprim17ROCPRIM_400000_NS6detail17trampoline_kernelINS0_14default_configENS1_27scan_by_key_config_selectorIxxEEZZNS1_16scan_by_key_implILNS1_25lookback_scan_determinismE0ELb0ES3_N6thrust23THRUST_200600_302600_NS6detail15normal_iteratorINS9_10device_ptrIxEEEESE_SE_xNS9_4plusIxEE19head_flag_predicatexEE10hipError_tPvRmT2_T3_T4_T5_mT6_T7_P12ihipStream_tbENKUlT_T0_E_clISt17integral_constantIbLb0EESY_EEDaST_SU_EUlST_E_NS1_11comp_targetILNS1_3genE4ELNS1_11target_archE910ELNS1_3gpuE8ELNS1_3repE0EEENS1_30default_config_static_selectorELNS0_4arch9wavefront6targetE1EEEvT1_,comdat
	.protected	_ZN7rocprim17ROCPRIM_400000_NS6detail17trampoline_kernelINS0_14default_configENS1_27scan_by_key_config_selectorIxxEEZZNS1_16scan_by_key_implILNS1_25lookback_scan_determinismE0ELb0ES3_N6thrust23THRUST_200600_302600_NS6detail15normal_iteratorINS9_10device_ptrIxEEEESE_SE_xNS9_4plusIxEE19head_flag_predicatexEE10hipError_tPvRmT2_T3_T4_T5_mT6_T7_P12ihipStream_tbENKUlT_T0_E_clISt17integral_constantIbLb0EESY_EEDaST_SU_EUlST_E_NS1_11comp_targetILNS1_3genE4ELNS1_11target_archE910ELNS1_3gpuE8ELNS1_3repE0EEENS1_30default_config_static_selectorELNS0_4arch9wavefront6targetE1EEEvT1_ ; -- Begin function _ZN7rocprim17ROCPRIM_400000_NS6detail17trampoline_kernelINS0_14default_configENS1_27scan_by_key_config_selectorIxxEEZZNS1_16scan_by_key_implILNS1_25lookback_scan_determinismE0ELb0ES3_N6thrust23THRUST_200600_302600_NS6detail15normal_iteratorINS9_10device_ptrIxEEEESE_SE_xNS9_4plusIxEE19head_flag_predicatexEE10hipError_tPvRmT2_T3_T4_T5_mT6_T7_P12ihipStream_tbENKUlT_T0_E_clISt17integral_constantIbLb0EESY_EEDaST_SU_EUlST_E_NS1_11comp_targetILNS1_3genE4ELNS1_11target_archE910ELNS1_3gpuE8ELNS1_3repE0EEENS1_30default_config_static_selectorELNS0_4arch9wavefront6targetE1EEEvT1_
	.globl	_ZN7rocprim17ROCPRIM_400000_NS6detail17trampoline_kernelINS0_14default_configENS1_27scan_by_key_config_selectorIxxEEZZNS1_16scan_by_key_implILNS1_25lookback_scan_determinismE0ELb0ES3_N6thrust23THRUST_200600_302600_NS6detail15normal_iteratorINS9_10device_ptrIxEEEESE_SE_xNS9_4plusIxEE19head_flag_predicatexEE10hipError_tPvRmT2_T3_T4_T5_mT6_T7_P12ihipStream_tbENKUlT_T0_E_clISt17integral_constantIbLb0EESY_EEDaST_SU_EUlST_E_NS1_11comp_targetILNS1_3genE4ELNS1_11target_archE910ELNS1_3gpuE8ELNS1_3repE0EEENS1_30default_config_static_selectorELNS0_4arch9wavefront6targetE1EEEvT1_
	.p2align	8
	.type	_ZN7rocprim17ROCPRIM_400000_NS6detail17trampoline_kernelINS0_14default_configENS1_27scan_by_key_config_selectorIxxEEZZNS1_16scan_by_key_implILNS1_25lookback_scan_determinismE0ELb0ES3_N6thrust23THRUST_200600_302600_NS6detail15normal_iteratorINS9_10device_ptrIxEEEESE_SE_xNS9_4plusIxEE19head_flag_predicatexEE10hipError_tPvRmT2_T3_T4_T5_mT6_T7_P12ihipStream_tbENKUlT_T0_E_clISt17integral_constantIbLb0EESY_EEDaST_SU_EUlST_E_NS1_11comp_targetILNS1_3genE4ELNS1_11target_archE910ELNS1_3gpuE8ELNS1_3repE0EEENS1_30default_config_static_selectorELNS0_4arch9wavefront6targetE1EEEvT1_,@function
_ZN7rocprim17ROCPRIM_400000_NS6detail17trampoline_kernelINS0_14default_configENS1_27scan_by_key_config_selectorIxxEEZZNS1_16scan_by_key_implILNS1_25lookback_scan_determinismE0ELb0ES3_N6thrust23THRUST_200600_302600_NS6detail15normal_iteratorINS9_10device_ptrIxEEEESE_SE_xNS9_4plusIxEE19head_flag_predicatexEE10hipError_tPvRmT2_T3_T4_T5_mT6_T7_P12ihipStream_tbENKUlT_T0_E_clISt17integral_constantIbLb0EESY_EEDaST_SU_EUlST_E_NS1_11comp_targetILNS1_3genE4ELNS1_11target_archE910ELNS1_3gpuE8ELNS1_3repE0EEENS1_30default_config_static_selectorELNS0_4arch9wavefront6targetE1EEEvT1_: ; @_ZN7rocprim17ROCPRIM_400000_NS6detail17trampoline_kernelINS0_14default_configENS1_27scan_by_key_config_selectorIxxEEZZNS1_16scan_by_key_implILNS1_25lookback_scan_determinismE0ELb0ES3_N6thrust23THRUST_200600_302600_NS6detail15normal_iteratorINS9_10device_ptrIxEEEESE_SE_xNS9_4plusIxEE19head_flag_predicatexEE10hipError_tPvRmT2_T3_T4_T5_mT6_T7_P12ihipStream_tbENKUlT_T0_E_clISt17integral_constantIbLb0EESY_EEDaST_SU_EUlST_E_NS1_11comp_targetILNS1_3genE4ELNS1_11target_archE910ELNS1_3gpuE8ELNS1_3repE0EEENS1_30default_config_static_selectorELNS0_4arch9wavefront6targetE1EEEvT1_
; %bb.0:
	s_load_dwordx8 s[40:47], s[4:5], 0x0
	s_load_dwordx8 s[48:55], s[4:5], 0x30
	s_load_dwordx2 s[64:65], s[4:5], 0x50
	s_load_dword s0, s[4:5], 0x58
	s_load_dwordx4 s[56:59], s[4:5], 0x60
	s_waitcnt lgkmcnt(0)
	s_lshl_b64 s[60:61], s[42:43], 3
	s_add_u32 s2, s40, s60
	s_addc_u32 s3, s41, s61
	s_add_u32 s4, s44, s60
	s_mul_i32 s1, s65, s0
	s_mul_hi_u32 s7, s64, s0
	s_addc_u32 s5, s45, s61
	s_add_i32 s8, s7, s1
	s_mul_i32 s9, s64, s0
	s_mul_i32 s0, s6, 0x4c0
	s_mov_b32 s1, 0
	s_lshl_b64 s[62:63], s[0:1], 3
	s_add_u32 s44, s2, s62
	s_addc_u32 s45, s3, s63
	s_add_u32 s7, s4, s62
	s_addc_u32 s55, s5, s63
	;; [unrolled: 2-line block ×3, first 2 shown]
	s_add_u32 s4, s56, -1
	s_addc_u32 s5, s57, -1
	v_pk_mov_b32 v[2:3], s[4:5], s[4:5] op_sel:[0,1]
	v_cmp_ge_u64_e64 s[0:1], s[0:1], v[2:3]
	s_mov_b64 s[2:3], -1
	s_and_b64 vcc, exec, s[0:1]
	s_mul_i32 s33, s4, 0xfffffb40
	s_waitcnt lgkmcnt(0)
	; wave barrier
	s_cbranch_vccz .LBB680_57
; %bb.1:
	v_pk_mov_b32 v[2:3], s[44:45], s[44:45] op_sel:[0,1]
	flat_load_dwordx2 v[2:3], v[2:3]
	s_add_i32 s67, s33, s54
	v_cmp_gt_u32_e32 vcc, s67, v0
	s_waitcnt vmcnt(0) lgkmcnt(0)
	v_pk_mov_b32 v[4:5], v[2:3], v[2:3] op_sel:[0,1]
	s_and_saveexec_b64 s[4:5], vcc
	s_cbranch_execz .LBB680_3
; %bb.2:
	v_lshlrev_b32_e32 v1, 3, v0
	v_mov_b32_e32 v5, s45
	v_add_co_u32_e64 v4, s[2:3], s44, v1
	v_addc_co_u32_e64 v5, s[2:3], 0, v5, s[2:3]
	flat_load_dwordx2 v[4:5], v[4:5]
.LBB680_3:
	s_or_b64 exec, exec, s[4:5]
	v_or_b32_e32 v1, 64, v0
	v_cmp_gt_u32_e64 s[2:3], s67, v1
	v_pk_mov_b32 v[6:7], v[2:3], v[2:3] op_sel:[0,1]
	s_and_saveexec_b64 s[8:9], s[2:3]
	s_cbranch_execz .LBB680_5
; %bb.4:
	v_lshlrev_b32_e32 v1, 3, v0
	v_mov_b32_e32 v7, s45
	v_add_co_u32_e64 v6, s[4:5], s44, v1
	v_addc_co_u32_e64 v7, s[4:5], 0, v7, s[4:5]
	flat_load_dwordx2 v[6:7], v[6:7] offset:512
.LBB680_5:
	s_or_b64 exec, exec, s[8:9]
	v_or_b32_e32 v1, 0x80, v0
	v_cmp_gt_u32_e64 s[4:5], s67, v1
	v_pk_mov_b32 v[8:9], v[2:3], v[2:3] op_sel:[0,1]
	s_and_saveexec_b64 s[10:11], s[4:5]
	s_cbranch_execz .LBB680_7
; %bb.6:
	v_lshlrev_b32_e32 v1, 3, v0
	v_mov_b32_e32 v9, s45
	v_add_co_u32_e64 v8, s[8:9], s44, v1
	v_addc_co_u32_e64 v9, s[8:9], 0, v9, s[8:9]
	flat_load_dwordx2 v[8:9], v[8:9] offset:1024
.LBB680_7:
	;; [unrolled: 13-line block ×7, first 2 shown]
	s_or_b64 exec, exec, s[18:19]
	v_or_b32_e32 v1, 0x200, v0
	v_cmp_gt_u32_e64 s[16:17], s67, v1
	v_lshlrev_b32_e32 v1, 3, v1
	v_pk_mov_b32 v[20:21], v[2:3], v[2:3] op_sel:[0,1]
	s_and_saveexec_b64 s[20:21], s[16:17]
	s_cbranch_execz .LBB680_19
; %bb.18:
	v_mov_b32_e32 v21, s45
	v_add_co_u32_e64 v20, s[18:19], s44, v1
	v_addc_co_u32_e64 v21, s[18:19], 0, v21, s[18:19]
	flat_load_dwordx2 v[20:21], v[20:21]
.LBB680_19:
	s_or_b64 exec, exec, s[20:21]
	v_or_b32_e32 v22, 0x240, v0
	v_cmp_gt_u32_e64 s[18:19], s67, v22
	v_lshlrev_b32_e32 v40, 3, v22
	v_pk_mov_b32 v[22:23], v[2:3], v[2:3] op_sel:[0,1]
	s_and_saveexec_b64 s[22:23], s[18:19]
	s_cbranch_execz .LBB680_21
; %bb.20:
	v_mov_b32_e32 v23, s45
	v_add_co_u32_e64 v22, s[20:21], s44, v40
	v_addc_co_u32_e64 v23, s[20:21], 0, v23, s[20:21]
	flat_load_dwordx2 v[22:23], v[22:23]
.LBB680_21:
	;; [unrolled: 13-line block ×10, first 2 shown]
	s_or_b64 exec, exec, s[42:43]
	v_or_b32_e32 v49, 0x480, v0
	v_cmp_gt_u32_e64 s[38:39], s67, v49
	v_lshlrev_b32_e32 v49, 3, v49
	s_and_saveexec_b64 s[56:57], s[38:39]
	s_cbranch_execz .LBB680_39
; %bb.38:
	v_mov_b32_e32 v3, s45
	v_add_co_u32_e64 v2, s[42:43], s44, v49
	v_addc_co_u32_e64 v3, s[42:43], 0, v3, s[42:43]
	flat_load_dwordx2 v[2:3], v[2:3]
.LBB680_39:
	s_or_b64 exec, exec, s[56:57]
	v_lshlrev_b32_e32 v50, 3, v0
	s_movk_i32 s42, 0x90
	v_mad_u32_u24 v94, v0, s42, v50
	s_waitcnt vmcnt(0) lgkmcnt(0)
	ds_write2st64_b64 v50, v[4:5], v[6:7] offset1:1
	ds_write2st64_b64 v50, v[8:9], v[10:11] offset0:2 offset1:3
	ds_write2st64_b64 v50, v[12:13], v[14:15] offset0:4 offset1:5
	;; [unrolled: 1-line block ×8, first 2 shown]
	ds_write_b64 v50, v[2:3] offset:9216
	s_waitcnt lgkmcnt(0)
	; wave barrier
	s_waitcnt lgkmcnt(0)
	ds_read2_b64 v[88:91], v94 offset1:1
	ds_read2_b64 v[84:87], v94 offset0:2 offset1:3
	ds_read2_b64 v[80:83], v94 offset0:4 offset1:5
	;; [unrolled: 1-line block ×6, first 2 shown]
	ds_read_b64 v[92:93], v94 offset:144
	ds_read2_b64 v[64:67], v94 offset0:12 offset1:13
	ds_read2_b64 v[60:63], v94 offset0:14 offset1:15
	s_movk_i32 s42, 0xff70
	v_mad_i32_i24 v2, v0, s42, v94
	s_waitcnt lgkmcnt(2)
	ds_write_b64 v2, v[92:93] offset:9728
	s_waitcnt lgkmcnt(0)
	; wave barrier
	s_waitcnt lgkmcnt(0)
	s_waitcnt lgkmcnt(0)
	; wave barrier
	s_waitcnt lgkmcnt(0)
                                        ; implicit-def: $vgpr2_vgpr3
	s_and_saveexec_b64 s[42:43], vcc
	s_cbranch_execz .LBB680_120
; %bb.40:
	v_mov_b32_e32 v3, s55
	v_add_co_u32_e32 v2, vcc, s7, v50
	v_addc_co_u32_e32 v3, vcc, 0, v3, vcc
	flat_load_dwordx2 v[2:3], v[2:3]
	s_or_b64 exec, exec, s[42:43]
                                        ; implicit-def: $vgpr4_vgpr5
	s_and_saveexec_b64 s[42:43], s[2:3]
	s_cbranch_execnz .LBB680_121
.LBB680_41:
	s_or_b64 exec, exec, s[42:43]
                                        ; implicit-def: $vgpr6_vgpr7
	s_and_saveexec_b64 s[2:3], s[4:5]
	s_cbranch_execz .LBB680_122
.LBB680_42:
	v_mov_b32_e32 v7, s55
	v_add_co_u32_e32 v6, vcc, s7, v50
	v_addc_co_u32_e32 v7, vcc, 0, v7, vcc
	flat_load_dwordx2 v[6:7], v[6:7] offset:1024
	s_or_b64 exec, exec, s[2:3]
                                        ; implicit-def: $vgpr8_vgpr9
	s_and_saveexec_b64 s[2:3], s[40:41]
	s_cbranch_execnz .LBB680_123
.LBB680_43:
	s_or_b64 exec, exec, s[2:3]
                                        ; implicit-def: $vgpr10_vgpr11
	s_and_saveexec_b64 s[2:3], s[8:9]
	s_cbranch_execz .LBB680_124
.LBB680_44:
	v_mov_b32_e32 v11, s55
	v_add_co_u32_e32 v10, vcc, s7, v50
	v_addc_co_u32_e32 v11, vcc, 0, v11, vcc
	flat_load_dwordx2 v[10:11], v[10:11] offset:2048
	s_or_b64 exec, exec, s[2:3]
                                        ; implicit-def: $vgpr12_vgpr13
	s_and_saveexec_b64 s[2:3], s[10:11]
	s_cbranch_execnz .LBB680_125
.LBB680_45:
	s_or_b64 exec, exec, s[2:3]
                                        ; implicit-def: $vgpr14_vgpr15
	s_and_saveexec_b64 s[2:3], s[12:13]
	s_cbranch_execz .LBB680_126
.LBB680_46:
	v_mov_b32_e32 v15, s55
	v_add_co_u32_e32 v14, vcc, s7, v50
	v_addc_co_u32_e32 v15, vcc, 0, v15, vcc
	flat_load_dwordx2 v[14:15], v[14:15] offset:3072
	s_or_b64 exec, exec, s[2:3]
                                        ; implicit-def: $vgpr16_vgpr17
	s_and_saveexec_b64 s[2:3], s[14:15]
	s_cbranch_execnz .LBB680_127
.LBB680_47:
	s_or_b64 exec, exec, s[2:3]
                                        ; implicit-def: $vgpr18_vgpr19
	s_and_saveexec_b64 s[2:3], s[16:17]
	s_cbranch_execz .LBB680_128
.LBB680_48:
	v_mov_b32_e32 v19, s55
	v_add_co_u32_e32 v18, vcc, s7, v1
	v_addc_co_u32_e32 v19, vcc, 0, v19, vcc
	flat_load_dwordx2 v[18:19], v[18:19]
	s_or_b64 exec, exec, s[2:3]
                                        ; implicit-def: $vgpr20_vgpr21
	s_and_saveexec_b64 s[2:3], s[18:19]
	s_cbranch_execnz .LBB680_129
.LBB680_49:
	s_or_b64 exec, exec, s[2:3]
                                        ; implicit-def: $vgpr22_vgpr23
	s_and_saveexec_b64 s[2:3], s[20:21]
	s_cbranch_execz .LBB680_130
.LBB680_50:
	v_mov_b32_e32 v1, s55
	v_add_co_u32_e32 v22, vcc, s7, v41
	v_addc_co_u32_e32 v23, vcc, 0, v1, vcc
	flat_load_dwordx2 v[22:23], v[22:23]
	s_or_b64 exec, exec, s[2:3]
                                        ; implicit-def: $vgpr24_vgpr25
	s_and_saveexec_b64 s[2:3], s[22:23]
	s_cbranch_execnz .LBB680_131
.LBB680_51:
	s_or_b64 exec, exec, s[2:3]
                                        ; implicit-def: $vgpr26_vgpr27
	s_and_saveexec_b64 s[2:3], s[24:25]
	s_cbranch_execz .LBB680_132
.LBB680_52:
	v_mov_b32_e32 v1, s55
	v_add_co_u32_e32 v26, vcc, s7, v43
	v_addc_co_u32_e32 v27, vcc, 0, v1, vcc
	flat_load_dwordx2 v[26:27], v[26:27]
	s_or_b64 exec, exec, s[2:3]
                                        ; implicit-def: $vgpr28_vgpr29
	s_and_saveexec_b64 s[2:3], s[26:27]
	s_cbranch_execnz .LBB680_133
.LBB680_53:
	s_or_b64 exec, exec, s[2:3]
                                        ; implicit-def: $vgpr30_vgpr31
	s_and_saveexec_b64 s[2:3], s[28:29]
	s_cbranch_execz .LBB680_134
.LBB680_54:
	v_mov_b32_e32 v1, s55
	v_add_co_u32_e32 v30, vcc, s7, v45
	v_addc_co_u32_e32 v31, vcc, 0, v1, vcc
	flat_load_dwordx2 v[30:31], v[30:31]
	s_or_b64 exec, exec, s[2:3]
                                        ; implicit-def: $vgpr32_vgpr33
	s_and_saveexec_b64 s[2:3], s[30:31]
	s_cbranch_execnz .LBB680_135
.LBB680_55:
	s_or_b64 exec, exec, s[2:3]
                                        ; implicit-def: $vgpr34_vgpr35
	s_and_saveexec_b64 s[2:3], s[34:35]
	s_cbranch_execz .LBB680_136
.LBB680_56:
	v_mov_b32_e32 v1, s55
	v_add_co_u32_e32 v34, vcc, s7, v47
	v_addc_co_u32_e32 v35, vcc, 0, v1, vcc
	flat_load_dwordx2 v[34:35], v[34:35]
	s_or_b64 exec, exec, s[2:3]
                                        ; implicit-def: $vgpr36_vgpr37
	s_and_saveexec_b64 s[2:3], s[36:37]
	s_cbranch_execz .LBB680_138
	s_branch .LBB680_137
.LBB680_57:
	s_mov_b64 s[8:9], 0
                                        ; implicit-def: $vgpr92_vgpr93
                                        ; implicit-def: $vgpr6_vgpr7
                                        ; implicit-def: $vgpr105
                                        ; implicit-def: $vgpr56_vgpr57
                                        ; implicit-def: $vgpr120
                                        ; implicit-def: $vgpr119
                                        ; implicit-def: $vgpr50_vgpr51
                                        ; implicit-def: $vgpr118
                                        ; implicit-def: $vgpr48_vgpr49
                                        ; implicit-def: $vgpr117
                                        ; implicit-def: $vgpr44_vgpr45
                                        ; implicit-def: $vgpr116
                                        ; implicit-def: $vgpr42_vgpr43
                                        ; implicit-def: $vgpr115
                                        ; implicit-def: $vgpr38_vgpr39
                                        ; implicit-def: $vgpr114
                                        ; implicit-def: $vgpr36_vgpr37
                                        ; implicit-def: $vgpr113
                                        ; implicit-def: $vgpr32_vgpr33
                                        ; implicit-def: $vgpr112
                                        ; implicit-def: $vgpr30_vgpr31
                                        ; implicit-def: $vgpr111
                                        ; implicit-def: $vgpr26_vgpr27
                                        ; implicit-def: $vgpr110
                                        ; implicit-def: $vgpr24_vgpr25
                                        ; implicit-def: $vgpr109
                                        ; implicit-def: $vgpr20_vgpr21
                                        ; implicit-def: $vgpr108
                                        ; implicit-def: $vgpr18_vgpr19
                                        ; implicit-def: $vgpr107
                                        ; implicit-def: $vgpr14_vgpr15
                                        ; implicit-def: $vgpr106
                                        ; implicit-def: $vgpr12_vgpr13
                                        ; implicit-def: $vgpr104
                                        ; implicit-def: $vgpr8_vgpr9
                                        ; implicit-def: $vgpr1
                                        ; implicit-def: $vgpr2_vgpr3
                                        ; implicit-def: $sgpr66
                                        ; implicit-def: $sgpr4_sgpr5
	s_and_b64 vcc, exec, s[2:3]
	v_lshlrev_b32_e32 v121, 3, v0
	s_cbranch_vccz .LBB680_59
.LBB680_58:
	v_mov_b32_e32 v1, s45
	s_waitcnt lgkmcnt(0)
	v_add_co_u32_e32 v2, vcc, s44, v121
	v_addc_co_u32_e32 v3, vcc, 0, v1, vcc
	v_add_co_u32_e32 v20, vcc, 0x1000, v2
	v_addc_co_u32_e32 v21, vcc, 0, v3, vcc
	flat_load_dwordx2 v[4:5], v[2:3]
	flat_load_dwordx2 v[6:7], v[2:3] offset:512
	flat_load_dwordx2 v[8:9], v[2:3] offset:1024
	;; [unrolled: 1-line block ×7, first 2 shown]
	v_add_co_u32_e32 v2, vcc, 0x2000, v2
	v_addc_co_u32_e32 v3, vcc, 0, v3, vcc
	flat_load_dwordx2 v[22:23], v[20:21]
	flat_load_dwordx2 v[24:25], v[20:21] offset:512
	flat_load_dwordx2 v[26:27], v[20:21] offset:1024
	;; [unrolled: 1-line block ×7, first 2 shown]
	s_nop 0
	flat_load_dwordx2 v[20:21], v[2:3]
	flat_load_dwordx2 v[38:39], v[2:3] offset:512
	flat_load_dwordx2 v[40:41], v[2:3] offset:1024
	v_mov_b32_e32 v1, s55
	v_add_co_u32_e32 v42, vcc, s7, v121
	s_movk_i32 s2, 0x1000
	v_addc_co_u32_e32 v43, vcc, 0, v1, vcc
	s_movk_i32 s4, 0x90
	v_add_co_u32_e32 v44, vcc, s2, v42
	s_movk_i32 s3, 0x2000
	s_movk_i32 s5, 0xff70
	v_mad_u32_u24 v80, v0, s4, v121
	v_addc_co_u32_e32 v45, vcc, 0, v43, vcc
	v_mad_i32_i24 v1, v0, s5, v80
	v_add_co_u32_e32 v46, vcc, s3, v42
	v_addc_co_u32_e32 v47, vcc, 0, v43, vcc
	s_or_b64 s[8:9], s[8:9], exec
                                        ; implicit-def: $sgpr66
                                        ; implicit-def: $sgpr4_sgpr5
	s_waitcnt vmcnt(0) lgkmcnt(0)
	ds_write2st64_b64 v121, v[4:5], v[6:7] offset1:1
	ds_write2st64_b64 v121, v[8:9], v[10:11] offset0:2 offset1:3
	ds_write2st64_b64 v121, v[12:13], v[14:15] offset0:4 offset1:5
	;; [unrolled: 1-line block ×8, first 2 shown]
	ds_write_b64 v121, v[40:41] offset:9216
	s_waitcnt lgkmcnt(0)
	; wave barrier
	s_waitcnt lgkmcnt(0)
	ds_read2_b64 v[2:5], v80 offset1:1
	ds_read2_b64 v[6:9], v80 offset0:2 offset1:3
	ds_read2_b64 v[10:13], v80 offset0:4 offset1:5
	ds_read2_b64 v[14:17], v80 offset0:6 offset1:7
	ds_read2_b64 v[18:21], v80 offset0:16 offset1:17
	ds_read_b64 v[92:93], v80 offset:144
	ds_read2_b64 v[22:25], v80 offset0:8 offset1:9
	ds_read2_b64 v[26:29], v80 offset0:10 offset1:11
	;; [unrolled: 1-line block ×4, first 2 shown]
	s_waitcnt lgkmcnt(4)
	ds_write_b64 v1, v[92:93] offset:9728
	s_waitcnt lgkmcnt(0)
	; wave barrier
	s_waitcnt lgkmcnt(0)
	s_waitcnt lgkmcnt(0)
	; wave barrier
	s_waitcnt lgkmcnt(0)
	flat_load_dwordx2 v[38:39], v[42:43]
	flat_load_dwordx2 v[40:41], v[42:43] offset:512
	flat_load_dwordx2 v[48:49], v[42:43] offset:1024
	;; [unrolled: 1-line block ×7, first 2 shown]
	flat_load_dwordx2 v[60:61], v[44:45]
	flat_load_dwordx2 v[62:63], v[44:45] offset:512
	flat_load_dwordx2 v[64:65], v[44:45] offset:1024
	;; [unrolled: 1-line block ×6, first 2 shown]
                                        ; kill: killed $vgpr42 killed $vgpr43
	flat_load_dwordx2 v[42:43], v[44:45] offset:3584
	flat_load_dwordx2 v[74:75], v[46:47]
	flat_load_dwordx2 v[76:77], v[46:47] offset:512
	flat_load_dwordx2 v[78:79], v[46:47] offset:1024
	v_cmp_ne_u64_e32 vcc, 0, v[20:21]
	v_cndmask_b32_e64 v105, 0, 1, vcc
	v_cmp_ne_u64_e32 vcc, 0, v[18:19]
	v_cndmask_b32_e64 v120, 0, 1, vcc
	;; [unrolled: 2-line block ×18, first 2 shown]
	s_waitcnt vmcnt(0) lgkmcnt(0)
	ds_write2st64_b64 v121, v[38:39], v[40:41] offset1:1
	ds_write2st64_b64 v121, v[48:49], v[50:51] offset0:2 offset1:3
	ds_write2st64_b64 v121, v[52:53], v[54:55] offset0:4 offset1:5
	;; [unrolled: 1-line block ×8, first 2 shown]
	ds_write_b64 v121, v[78:79] offset:9216
	s_waitcnt lgkmcnt(0)
	; wave barrier
	s_waitcnt lgkmcnt(0)
	ds_read2_b64 v[2:5], v80 offset1:1
	ds_read2_b64 v[12:15], v80 offset0:2 offset1:3
	ds_read2_b64 v[18:21], v80 offset0:4 offset1:5
	;; [unrolled: 1-line block ×8, first 2 shown]
	ds_read_b64 v[6:7], v80 offset:144
	s_waitcnt lgkmcnt(9)
	v_pk_mov_b32 v[8:9], v[4:5], v[4:5] op_sel:[0,1]
.LBB680_59:
	s_waitcnt lgkmcnt(0)
	v_pk_mov_b32 v[10:11], s[4:5], s[4:5] op_sel:[0,1]
	v_mov_b32_e32 v122, s66
	s_and_saveexec_b64 s[2:3], s[8:9]
; %bb.60:
	v_cmp_ne_u64_e32 vcc, 0, v[92:93]
	v_cndmask_b32_e64 v122, 0, 1, vcc
	v_pk_mov_b32 v[4:5], v[56:57], v[56:57] op_sel:[0,1]
	v_pk_mov_b32 v[10:11], v[6:7], v[6:7] op_sel:[0,1]
; %bb.61:
	s_or_b64 exec, exec, s[2:3]
	v_or_b32_e32 v6, v122, v105
	s_cmp_lg_u32 s6, 0
	v_or_b32_e32 v124, v6, v120
	v_mbcnt_lo_u32_b32 v123, -1, 0
	s_waitcnt lgkmcnt(0)
	; wave barrier
	s_cbranch_scc0 .LBB680_177
; %bb.62:
	v_mov_b32_e32 v6, 0
	v_cmp_eq_u16_sdwa s[38:39], v104, v6 src0_sel:BYTE_0 src1_sel:DWORD
	v_cndmask_b32_e64 v17, 0, v2, s[38:39]
	v_cndmask_b32_e64 v7, 0, v3, s[38:39]
	v_add_co_u32_e32 v17, vcc, v17, v8
	v_cmp_eq_u16_sdwa s[36:37], v106, v6 src0_sel:BYTE_0 src1_sel:DWORD
	v_addc_co_u32_e32 v7, vcc, v7, v9, vcc
	v_cndmask_b32_e64 v17, 0, v17, s[36:37]
	v_cndmask_b32_e64 v7, 0, v7, s[36:37]
	v_add_co_u32_e32 v17, vcc, v17, v12
	v_cmp_eq_u16_sdwa s[34:35], v107, v6 src0_sel:BYTE_0 src1_sel:DWORD
	v_addc_co_u32_e32 v7, vcc, v7, v13, vcc
	;; [unrolled: 5-line block ×16, first 2 shown]
	v_cndmask_b32_e64 v17, 0, v17, s[4:5]
	v_add_co_u32_e32 v17, vcc, v17, v4
	v_cmp_eq_u16_sdwa s[2:3], v122, v6 src0_sel:BYTE_0 src1_sel:DWORD
	v_cndmask_b32_e64 v6, 0, v17, s[2:3]
	v_or_b32_e32 v17, v124, v119
	v_or_b32_e32 v17, v17, v118
	;; [unrolled: 1-line block ×12, first 2 shown]
	v_cndmask_b32_e64 v7, 0, v7, s[4:5]
	v_or_b32_e32 v17, v17, v107
	v_addc_co_u32_e32 v7, vcc, v7, v5, vcc
	v_or_b32_e32 v17, v17, v106
	v_cndmask_b32_e64 v7, 0, v7, s[2:3]
	v_add_co_u32_e32 v6, vcc, v6, v10
	v_or_b32_e32 v17, v17, v104
	v_addc_co_u32_e32 v7, vcc, v7, v11, vcc
	v_and_b32_e32 v17, 1, v17
	v_and_b32_e32 v16, 0xff, v1
	v_cmp_eq_u32_e32 vcc, 1, v17
	v_mbcnt_hi_u32_b32 v17, -1, v123
	v_cndmask_b32_e64 v16, v16, 1, vcc
	v_and_b32_e32 v22, 15, v17
	v_mov_b32_dpp v28, v6 row_shr:1 row_mask:0xf bank_mask:0xf
	v_mov_b32_dpp v29, v7 row_shr:1 row_mask:0xf bank_mask:0xf
	;; [unrolled: 1-line block ×3, first 2 shown]
	v_cmp_ne_u32_e32 vcc, 0, v22
	s_and_saveexec_b64 s[40:41], vcc
; %bb.63:
	v_cmp_eq_u32_e32 vcc, 0, v16
	v_cndmask_b32_e32 v28, 0, v28, vcc
	v_cndmask_b32_e32 v29, 0, v29, vcc
	v_add_co_u32_e32 v6, vcc, v28, v6
	v_addc_co_u32_e32 v7, vcc, v29, v7, vcc
	v_and_or_b32 v16, v23, 1, v16
; %bb.64:
	s_or_b64 exec, exec, s[40:41]
	v_mov_b32_dpp v28, v6 row_shr:2 row_mask:0xf bank_mask:0xf
	v_mov_b32_dpp v29, v7 row_shr:2 row_mask:0xf bank_mask:0xf
	v_mov_b32_dpp v23, v16 row_shr:2 row_mask:0xf bank_mask:0xf
	v_cmp_lt_u32_e32 vcc, 1, v22
	s_and_saveexec_b64 s[40:41], vcc
; %bb.65:
	v_cmp_eq_u32_e32 vcc, 0, v16
	v_cndmask_b32_e32 v28, 0, v28, vcc
	v_cndmask_b32_e32 v29, 0, v29, vcc
	v_add_co_u32_e32 v6, vcc, v28, v6
	v_or_b32_e32 v16, v23, v16
	v_addc_co_u32_e32 v7, vcc, v29, v7, vcc
	v_and_b32_e32 v16, 1, v16
; %bb.66:
	s_or_b64 exec, exec, s[40:41]
	v_mov_b32_dpp v28, v6 row_shr:4 row_mask:0xf bank_mask:0xf
	v_mov_b32_dpp v29, v7 row_shr:4 row_mask:0xf bank_mask:0xf
	v_mov_b32_dpp v23, v16 row_shr:4 row_mask:0xf bank_mask:0xf
	v_cmp_lt_u32_e32 vcc, 3, v22
	s_and_saveexec_b64 s[40:41], vcc
; %bb.67:
	v_cmp_eq_u32_e32 vcc, 0, v16
	v_cndmask_b32_e32 v28, 0, v28, vcc
	v_cndmask_b32_e32 v29, 0, v29, vcc
	v_add_co_u32_e32 v6, vcc, v28, v6
	v_or_b32_e32 v16, v23, v16
	v_addc_co_u32_e32 v7, vcc, v29, v7, vcc
	v_and_b32_e32 v16, 1, v16
	;; [unrolled: 15-line block ×3, first 2 shown]
; %bb.70:
	s_or_b64 exec, exec, s[40:41]
	v_and_b32_e32 v29, 16, v17
	v_mov_b32_dpp v23, v6 row_bcast:15 row_mask:0xf bank_mask:0xf
	v_mov_b32_dpp v28, v7 row_bcast:15 row_mask:0xf bank_mask:0xf
	;; [unrolled: 1-line block ×3, first 2 shown]
	v_cmp_ne_u32_e32 vcc, 0, v29
	s_and_saveexec_b64 s[40:41], vcc
; %bb.71:
	v_cmp_eq_u32_e32 vcc, 0, v16
	v_cndmask_b32_e32 v23, 0, v23, vcc
	v_cndmask_b32_e32 v28, 0, v28, vcc
	v_add_co_u32_e32 v6, vcc, v23, v6
	v_or_b32_e32 v16, v22, v16
	v_addc_co_u32_e32 v7, vcc, v28, v7, vcc
	v_and_b32_e32 v16, 1, v16
; %bb.72:
	s_or_b64 exec, exec, s[40:41]
	v_mov_b32_dpp v28, v6 row_bcast:31 row_mask:0xf bank_mask:0xf
	v_mov_b32_dpp v29, v7 row_bcast:31 row_mask:0xf bank_mask:0xf
	;; [unrolled: 1-line block ×3, first 2 shown]
	v_cmp_lt_u32_e32 vcc, 31, v17
	v_mov_b32_e32 v22, v16
	s_and_saveexec_b64 s[40:41], vcc
; %bb.73:
	v_cmp_eq_u32_e32 vcc, 0, v16
	v_cndmask_b32_e32 v28, 0, v28, vcc
	v_cndmask_b32_e32 v22, 0, v29, vcc
	v_add_co_u32_e32 v6, vcc, v28, v6
	v_or_b32_e32 v16, v23, v16
	v_addc_co_u32_e32 v7, vcc, v22, v7, vcc
	v_and_b32_e32 v22, 1, v16
	v_and_b32_e32 v16, 1, v16
; %bb.74:
	s_or_b64 exec, exec, s[40:41]
	v_cmp_eq_u32_e32 vcc, 63, v0
	s_and_saveexec_b64 s[40:41], vcc
	s_cbranch_execz .LBB680_76
; %bb.75:
	v_mov_b32_e32 v23, 0
	ds_write_b64 v23, v[6:7]
	ds_write_b8 v23, v22 offset:8
.LBB680_76:
	s_or_b64 exec, exec, s[40:41]
	v_add_u32_e32 v22, -1, v17
	v_and_b32_e32 v23, 64, v17
	v_cmp_lt_i32_e32 vcc, v22, v23
	v_cndmask_b32_e32 v22, v22, v17, vcc
	v_lshlrev_b32_e32 v22, 2, v22
	ds_bpermute_b32 v41, v22, v6
	ds_bpermute_b32 v46, v22, v7
	;; [unrolled: 1-line block ×3, first 2 shown]
	v_cmp_gt_u32_e32 vcc, 64, v0
	s_waitcnt lgkmcnt(0)
	; wave barrier
	s_waitcnt lgkmcnt(0)
	s_and_saveexec_b64 s[56:57], vcc
	s_cbranch_execz .LBB680_119
; %bb.77:
	v_mov_b32_e32 v23, 0
	ds_read_b64 v[6:7], v23
	ds_read_u8 v47, v23 offset:8
	s_mov_b32 s67, 0
	v_cmp_eq_u32_e64 s[40:41], 0, v17
	s_and_saveexec_b64 s[44:45], s[40:41]
	s_cbranch_execz .LBB680_79
; %bb.78:
	s_add_i32 s66, s6, 64
	s_lshl_b64 s[68:69], s[66:67], 4
	s_add_u32 s68, s48, s68
	s_addc_u32 s69, s49, s69
	v_mov_b32_e32 v16, s66
	v_mov_b32_e32 v22, 1
	s_waitcnt lgkmcnt(1)
	global_store_dwordx2 v23, v[6:7], s[68:69]
	s_waitcnt lgkmcnt(0)
	global_store_byte v23, v47, s[68:69] offset:8
	s_waitcnt vmcnt(0)
	buffer_wbinvl1_vol
	global_store_byte v16, v22, s[52:53]
.LBB680_79:
	s_or_b64 exec, exec, s[44:45]
	v_xad_u32 v16, v17, -1, s6
	v_add_u32_e32 v22, 64, v16
	global_load_ubyte v52, v22, s[52:53] glc
	s_waitcnt vmcnt(0)
	v_cmp_eq_u16_e32 vcc, 0, v52
	s_and_saveexec_b64 s[44:45], vcc
	s_cbranch_execz .LBB680_83
; %bb.80:
	v_mov_b32_e32 v29, s53
	v_add_co_u32_e32 v28, vcc, s52, v22
	v_addc_co_u32_e32 v29, vcc, 0, v29, vcc
	s_mov_b64 s[66:67], 0
.LBB680_81:                             ; =>This Inner Loop Header: Depth=1
	global_load_ubyte v52, v[28:29], off glc
	s_waitcnt vmcnt(0)
	v_cmp_ne_u16_e32 vcc, 0, v52
	s_or_b64 s[66:67], vcc, s[66:67]
	s_andn2_b64 exec, exec, s[66:67]
	s_cbranch_execnz .LBB680_81
; %bb.82:
	s_or_b64 exec, exec, s[66:67]
.LBB680_83:
	s_or_b64 exec, exec, s[44:45]
	v_mov_b32_e32 v28, s51
	v_mov_b32_e32 v29, s49
	v_cmp_eq_u16_e32 vcc, 1, v52
	v_cndmask_b32_e32 v28, v28, v29, vcc
	v_mov_b32_e32 v29, s50
	v_mov_b32_e32 v34, s48
	v_cndmask_b32_e32 v29, v29, v34, vcc
	v_lshlrev_b64 v[22:23], 4, v[22:23]
	v_add_co_u32_e32 v22, vcc, v29, v22
	v_addc_co_u32_e32 v23, vcc, v28, v23, vcc
	s_waitcnt lgkmcnt(0)
	buffer_wbinvl1_vol
	global_load_dwordx2 v[34:35], v[22:23], off
	global_load_ubyte v69, v[22:23], off offset:8
	v_cmp_eq_u16_e32 vcc, 2, v52
	v_lshlrev_b64 v[22:23], v17, -1
	v_and_b32_e32 v53, 63, v17
	v_and_b32_e32 v28, vcc_hi, v23
	v_and_b32_e32 v60, vcc_lo, v22
	v_cmp_ne_u32_e32 vcc, 63, v53
	v_addc_co_u32_e32 v29, vcc, 0, v17, vcc
	v_lshlrev_b32_e32 v56, 2, v29
	v_or_b32_e32 v28, 0x80000000, v28
	v_ffbl_b32_e32 v28, v28
	v_add_u32_e32 v28, 32, v28
	v_ffbl_b32_e32 v60, v60
	v_min_u32_e32 v28, v60, v28
	v_cmp_lt_u32_e32 vcc, v53, v28
	s_waitcnt vmcnt(1)
	ds_bpermute_b32 v58, v56, v34
	s_waitcnt vmcnt(0)
	v_and_b32_e32 v29, 1, v69
	ds_bpermute_b32 v59, v56, v35
	ds_bpermute_b32 v57, v56, v29
	s_and_saveexec_b64 s[44:45], vcc
	s_cbranch_execz .LBB680_85
; %bb.84:
	v_mov_b32_e32 v29, 0
	v_cmp_eq_u16_sdwa vcc, v69, v29 src0_sel:BYTE_0 src1_sel:DWORD
	s_waitcnt lgkmcnt(2)
	v_cndmask_b32_e32 v58, 0, v58, vcc
	s_waitcnt lgkmcnt(1)
	v_cndmask_b32_e32 v29, 0, v59, vcc
	v_add_co_u32_e32 v34, vcc, v58, v34
	v_addc_co_u32_e32 v35, vcc, v29, v35, vcc
	s_waitcnt lgkmcnt(0)
	v_and_b32_e32 v29, 1, v57
	v_or_b32_e32 v69, v29, v69
	v_and_b32_e32 v29, 0xff, v69
.LBB680_85:
	s_or_b64 exec, exec, s[44:45]
	v_cmp_gt_u32_e32 vcc, 62, v53
	s_waitcnt lgkmcnt(0)
	v_cndmask_b32_e64 v57, 0, 1, vcc
	v_lshlrev_b32_e32 v57, 1, v57
	v_add_lshl_u32 v57, v57, v17, 2
	ds_bpermute_b32 v60, v57, v34
	ds_bpermute_b32 v61, v57, v35
	ds_bpermute_b32 v59, v57, v29
	v_add_u32_e32 v58, 2, v53
	v_cmp_le_u32_e32 vcc, v58, v28
	s_and_saveexec_b64 s[66:67], vcc
	s_cbranch_execz .LBB680_87
; %bb.86:
	v_mov_b32_e32 v29, 0
	v_cmp_eq_u16_sdwa vcc, v69, v29 src0_sel:BYTE_0 src1_sel:DWORD
	s_waitcnt lgkmcnt(2)
	v_cndmask_b32_e32 v60, 0, v60, vcc
	s_waitcnt lgkmcnt(1)
	v_cndmask_b32_e32 v29, 0, v61, vcc
	v_add_co_u32_e32 v34, vcc, v60, v34
	v_addc_co_u32_e32 v35, vcc, v29, v35, vcc
	v_and_b32_e32 v29, 1, v69
	v_cmp_eq_u32_e32 vcc, 1, v29
	s_waitcnt lgkmcnt(0)
	v_and_b32_e32 v29, 1, v59
	v_cmp_eq_u32_e64 s[44:45], 1, v29
	s_or_b64 s[44:45], vcc, s[44:45]
	v_cndmask_b32_e64 v69, 0, 1, s[44:45]
	v_cndmask_b32_e64 v29, 0, 1, s[44:45]
.LBB680_87:
	s_or_b64 exec, exec, s[66:67]
	v_cmp_gt_u32_e32 vcc, 60, v53
	s_waitcnt lgkmcnt(0)
	v_cndmask_b32_e64 v59, 0, 1, vcc
	v_lshlrev_b32_e32 v59, 2, v59
	v_add_lshl_u32 v59, v59, v17, 2
	ds_bpermute_b32 v62, v59, v34
	ds_bpermute_b32 v63, v59, v35
	ds_bpermute_b32 v61, v59, v29
	v_add_u32_e32 v60, 4, v53
	v_cmp_le_u32_e32 vcc, v60, v28
	s_and_saveexec_b64 s[66:67], vcc
	s_cbranch_execz .LBB680_89
; %bb.88:
	v_mov_b32_e32 v29, 0
	v_cmp_eq_u16_sdwa vcc, v69, v29 src0_sel:BYTE_0 src1_sel:DWORD
	s_waitcnt lgkmcnt(2)
	v_cndmask_b32_e32 v62, 0, v62, vcc
	s_waitcnt lgkmcnt(1)
	v_cndmask_b32_e32 v29, 0, v63, vcc
	v_add_co_u32_e32 v34, vcc, v62, v34
	v_addc_co_u32_e32 v35, vcc, v29, v35, vcc
	v_and_b32_e32 v29, 1, v69
	v_cmp_eq_u32_e32 vcc, 1, v29
	s_waitcnt lgkmcnt(0)
	v_and_b32_e32 v29, 1, v61
	v_cmp_eq_u32_e64 s[44:45], 1, v29
	s_or_b64 s[44:45], vcc, s[44:45]
	v_cndmask_b32_e64 v69, 0, 1, s[44:45]
	v_cndmask_b32_e64 v29, 0, 1, s[44:45]
.LBB680_89:
	;; [unrolled: 31-line block ×4, first 2 shown]
	s_or_b64 exec, exec, s[66:67]
	v_cmp_gt_u32_e32 vcc, 32, v53
	s_waitcnt lgkmcnt(0)
	v_cndmask_b32_e64 v65, 0, 1, vcc
	v_lshlrev_b32_e32 v65, 5, v65
	v_add_lshl_u32 v66, v65, v17, 2
	ds_bpermute_b32 v65, v66, v34
	ds_bpermute_b32 v68, v66, v35
	;; [unrolled: 1-line block ×3, first 2 shown]
	v_add_u32_e32 v67, 32, v53
	v_cmp_le_u32_e32 vcc, v67, v28
	s_and_saveexec_b64 s[66:67], vcc
	s_cbranch_execz .LBB680_95
; %bb.94:
	v_mov_b32_e32 v28, 0
	v_cmp_eq_u16_sdwa vcc, v69, v28 src0_sel:BYTE_0 src1_sel:DWORD
	s_waitcnt lgkmcnt(2)
	v_cndmask_b32_e32 v29, 0, v65, vcc
	s_waitcnt lgkmcnt(1)
	v_cndmask_b32_e32 v28, 0, v68, vcc
	v_add_co_u32_e32 v34, vcc, v29, v34
	v_addc_co_u32_e32 v35, vcc, v28, v35, vcc
	v_and_b32_e32 v28, 1, v69
	s_waitcnt lgkmcnt(0)
	v_and_b32_e32 v17, 1, v17
	v_cmp_eq_u32_e32 vcc, 1, v28
	v_cmp_eq_u32_e64 s[44:45], 1, v17
	s_or_b64 s[44:45], vcc, s[44:45]
	v_cndmask_b32_e64 v69, 0, 1, s[44:45]
.LBB680_95:
	s_or_b64 exec, exec, s[66:67]
	s_waitcnt lgkmcnt(0)
	v_mov_b32_e32 v17, 0
	v_mov_b32_e32 v68, 2
	s_branch .LBB680_97
.LBB680_96:                             ;   in Loop: Header=BB680_97 Depth=1
	s_or_b64 exec, exec, s[68:69]
	v_cmp_eq_u16_sdwa vcc, v65, v17 src0_sel:BYTE_0 src1_sel:DWORD
	v_cndmask_b32_e32 v34, 0, v34, vcc
	v_cndmask_b32_e32 v35, 0, v35, vcc
	v_add_co_u32_e32 v34, vcc, v34, v28
	v_addc_co_u32_e32 v35, vcc, v35, v29, vcc
	v_and_b32_e32 v69, 1, v65
	v_cmp_eq_u32_e32 vcc, 1, v69
	s_or_b64 s[44:45], vcc, s[66:67]
	v_subrev_u32_e32 v16, 64, v16
	v_cndmask_b32_e64 v69, 0, 1, s[44:45]
.LBB680_97:                             ; =>This Loop Header: Depth=1
                                        ;     Child Loop BB680_100 Depth 2
	v_cmp_ne_u16_sdwa s[44:45], v52, v68 src0_sel:BYTE_0 src1_sel:DWORD
	v_cndmask_b32_e64 v28, 0, 1, s[44:45]
	;;#ASMSTART
	;;#ASMEND
	v_cmp_ne_u32_e32 vcc, 0, v28
	v_mov_b32_e32 v65, v69
	s_cmp_lg_u64 vcc, exec
	v_pk_mov_b32 v[28:29], v[34:35], v[34:35] op_sel:[0,1]
	s_cbranch_scc1 .LBB680_114
; %bb.98:                               ;   in Loop: Header=BB680_97 Depth=1
	global_load_ubyte v52, v16, s[52:53] glc
	s_waitcnt vmcnt(0)
	v_cmp_eq_u16_e32 vcc, 0, v52
	s_and_saveexec_b64 s[44:45], vcc
	s_cbranch_execz .LBB680_102
; %bb.99:                               ;   in Loop: Header=BB680_97 Depth=1
	v_mov_b32_e32 v35, s53
	v_add_co_u32_e32 v34, vcc, s52, v16
	v_addc_co_u32_e32 v35, vcc, 0, v35, vcc
	s_mov_b64 s[66:67], 0
.LBB680_100:                            ;   Parent Loop BB680_97 Depth=1
                                        ; =>  This Inner Loop Header: Depth=2
	global_load_ubyte v52, v[34:35], off glc
	s_waitcnt vmcnt(0)
	v_cmp_ne_u16_e32 vcc, 0, v52
	s_or_b64 s[66:67], vcc, s[66:67]
	s_andn2_b64 exec, exec, s[66:67]
	s_cbranch_execnz .LBB680_100
; %bb.101:                              ;   in Loop: Header=BB680_97 Depth=1
	s_or_b64 exec, exec, s[66:67]
.LBB680_102:                            ;   in Loop: Header=BB680_97 Depth=1
	s_or_b64 exec, exec, s[44:45]
	v_mov_b32_e32 v34, s51
	v_mov_b32_e32 v35, s49
	v_cmp_eq_u16_e32 vcc, 1, v52
	v_cndmask_b32_e32 v69, v34, v35, vcc
	v_mov_b32_e32 v34, s50
	v_mov_b32_e32 v35, s48
	v_cndmask_b32_e32 v70, v34, v35, vcc
	v_lshlrev_b64 v[34:35], 4, v[16:17]
	v_add_co_u32_e32 v70, vcc, v70, v34
	s_waitcnt lgkmcnt(0)
	v_addc_co_u32_e32 v71, vcc, v69, v35, vcc
	buffer_wbinvl1_vol
	global_load_dwordx2 v[34:35], v[70:71], off
	global_load_ubyte v69, v[70:71], off offset:8
	v_cmp_eq_u16_e32 vcc, 2, v52
	v_and_b32_e32 v70, vcc_hi, v23
	v_or_b32_e32 v70, 0x80000000, v70
	v_and_b32_e32 v75, vcc_lo, v22
	v_ffbl_b32_e32 v70, v70
	v_add_u32_e32 v70, 32, v70
	v_ffbl_b32_e32 v75, v75
	v_min_u32_e32 v70, v75, v70
	v_cmp_lt_u32_e32 vcc, v53, v70
	s_waitcnt vmcnt(1)
	ds_bpermute_b32 v73, v56, v34
	s_waitcnt vmcnt(0)
	v_and_b32_e32 v71, 1, v69
	ds_bpermute_b32 v74, v56, v35
	ds_bpermute_b32 v72, v56, v71
	s_and_saveexec_b64 s[44:45], vcc
	s_cbranch_execz .LBB680_104
; %bb.103:                              ;   in Loop: Header=BB680_97 Depth=1
	v_cmp_eq_u16_sdwa vcc, v69, v17 src0_sel:BYTE_0 src1_sel:DWORD
	s_waitcnt lgkmcnt(2)
	v_cndmask_b32_e32 v73, 0, v73, vcc
	s_waitcnt lgkmcnt(1)
	v_cndmask_b32_e32 v71, 0, v74, vcc
	v_add_co_u32_e32 v34, vcc, v73, v34
	v_addc_co_u32_e32 v35, vcc, v71, v35, vcc
	s_waitcnt lgkmcnt(0)
	v_and_b32_e32 v71, 1, v72
	v_or_b32_e32 v69, v71, v69
	v_and_b32_e32 v71, 0xff, v69
.LBB680_104:                            ;   in Loop: Header=BB680_97 Depth=1
	s_or_b64 exec, exec, s[44:45]
	s_waitcnt lgkmcnt(2)
	ds_bpermute_b32 v73, v57, v34
	s_waitcnt lgkmcnt(2)
	ds_bpermute_b32 v74, v57, v35
	;; [unrolled: 2-line block ×3, first 2 shown]
	v_and_b32_e32 v75, 1, v69
	v_cmp_le_u32_e32 vcc, v58, v70
	v_cmp_eq_u32_e64 s[66:67], 1, v75
	s_and_saveexec_b64 s[44:45], vcc
	s_cbranch_execz .LBB680_106
; %bb.105:                              ;   in Loop: Header=BB680_97 Depth=1
	v_cmp_eq_u16_sdwa vcc, v69, v17 src0_sel:BYTE_0 src1_sel:DWORD
	s_waitcnt lgkmcnt(2)
	v_cndmask_b32_e32 v71, 0, v73, vcc
	s_waitcnt lgkmcnt(1)
	v_cndmask_b32_e32 v69, 0, v74, vcc
	v_add_co_u32_e32 v34, vcc, v71, v34
	v_addc_co_u32_e32 v35, vcc, v69, v35, vcc
	s_waitcnt lgkmcnt(0)
	v_and_b32_e32 v69, 1, v72
	v_cmp_eq_u32_e32 vcc, 1, v69
	s_or_b64 s[68:69], s[66:67], vcc
	v_cndmask_b32_e64 v69, 0, 1, s[68:69]
	v_cndmask_b32_e64 v71, 0, 1, s[68:69]
	s_andn2_b64 s[66:67], s[66:67], exec
	s_and_b64 s[68:69], s[68:69], exec
	s_or_b64 s[66:67], s[66:67], s[68:69]
.LBB680_106:                            ;   in Loop: Header=BB680_97 Depth=1
	s_or_b64 exec, exec, s[44:45]
	s_waitcnt lgkmcnt(2)
	ds_bpermute_b32 v73, v59, v34
	s_waitcnt lgkmcnt(2)
	ds_bpermute_b32 v74, v59, v35
	s_waitcnt lgkmcnt(2)
	ds_bpermute_b32 v72, v59, v71
	v_cmp_le_u32_e32 vcc, v60, v70
	s_and_saveexec_b64 s[68:69], vcc
	s_cbranch_execz .LBB680_108
; %bb.107:                              ;   in Loop: Header=BB680_97 Depth=1
	v_cmp_eq_u16_sdwa vcc, v69, v17 src0_sel:BYTE_0 src1_sel:DWORD
	s_waitcnt lgkmcnt(2)
	v_cndmask_b32_e32 v73, 0, v73, vcc
	s_waitcnt lgkmcnt(1)
	v_cndmask_b32_e32 v71, 0, v74, vcc
	v_add_co_u32_e32 v34, vcc, v73, v34
	v_addc_co_u32_e32 v35, vcc, v71, v35, vcc
	v_and_b32_e32 v69, 1, v69
	v_cmp_eq_u32_e32 vcc, 1, v69
	s_waitcnt lgkmcnt(0)
	v_and_b32_e32 v69, 1, v72
	v_cmp_eq_u32_e64 s[44:45], 1, v69
	s_or_b64 s[44:45], vcc, s[44:45]
	v_cndmask_b32_e64 v69, 0, 1, s[44:45]
	v_cndmask_b32_e64 v71, 0, 1, s[44:45]
	s_andn2_b64 s[66:67], s[66:67], exec
	s_and_b64 s[44:45], s[44:45], exec
	s_or_b64 s[66:67], s[66:67], s[44:45]
.LBB680_108:                            ;   in Loop: Header=BB680_97 Depth=1
	s_or_b64 exec, exec, s[68:69]
	s_waitcnt lgkmcnt(2)
	ds_bpermute_b32 v73, v61, v34
	s_waitcnt lgkmcnt(2)
	ds_bpermute_b32 v74, v61, v35
	s_waitcnt lgkmcnt(2)
	ds_bpermute_b32 v72, v61, v71
	v_cmp_le_u32_e32 vcc, v62, v70
	s_and_saveexec_b64 s[68:69], vcc
	s_cbranch_execz .LBB680_110
; %bb.109:                              ;   in Loop: Header=BB680_97 Depth=1
	v_cmp_eq_u16_sdwa vcc, v69, v17 src0_sel:BYTE_0 src1_sel:DWORD
	s_waitcnt lgkmcnt(2)
	v_cndmask_b32_e32 v73, 0, v73, vcc
	s_waitcnt lgkmcnt(1)
	v_cndmask_b32_e32 v71, 0, v74, vcc
	v_add_co_u32_e32 v34, vcc, v73, v34
	v_addc_co_u32_e32 v35, vcc, v71, v35, vcc
	v_and_b32_e32 v69, 1, v69
	v_cmp_eq_u32_e32 vcc, 1, v69
	s_waitcnt lgkmcnt(0)
	v_and_b32_e32 v69, 1, v72
	v_cmp_eq_u32_e64 s[44:45], 1, v69
	s_or_b64 s[44:45], vcc, s[44:45]
	v_cndmask_b32_e64 v69, 0, 1, s[44:45]
	v_cndmask_b32_e64 v71, 0, 1, s[44:45]
	s_andn2_b64 s[66:67], s[66:67], exec
	s_and_b64 s[44:45], s[44:45], exec
	s_or_b64 s[66:67], s[66:67], s[44:45]
.LBB680_110:                            ;   in Loop: Header=BB680_97 Depth=1
	;; [unrolled: 30-line block ×3, first 2 shown]
	s_or_b64 exec, exec, s[68:69]
	s_waitcnt lgkmcnt(0)
	ds_bpermute_b32 v72, v66, v34
	ds_bpermute_b32 v73, v66, v35
	;; [unrolled: 1-line block ×3, first 2 shown]
	v_cmp_le_u32_e32 vcc, v67, v70
	s_and_saveexec_b64 s[68:69], vcc
	s_cbranch_execz .LBB680_96
; %bb.113:                              ;   in Loop: Header=BB680_97 Depth=1
	v_cmp_eq_u16_sdwa vcc, v69, v17 src0_sel:BYTE_0 src1_sel:DWORD
	s_waitcnt lgkmcnt(2)
	v_cndmask_b32_e32 v72, 0, v72, vcc
	s_waitcnt lgkmcnt(1)
	v_cndmask_b32_e32 v70, 0, v73, vcc
	v_add_co_u32_e32 v34, vcc, v72, v34
	v_addc_co_u32_e32 v35, vcc, v70, v35, vcc
	v_and_b32_e32 v69, 1, v69
	v_cmp_eq_u32_e32 vcc, 1, v69
	s_waitcnt lgkmcnt(0)
	v_and_b32_e32 v69, 1, v71
	v_cmp_eq_u32_e64 s[44:45], 1, v69
	s_or_b64 s[44:45], vcc, s[44:45]
	s_andn2_b64 s[66:67], s[66:67], exec
	s_and_b64 s[44:45], s[44:45], exec
	s_or_b64 s[66:67], s[66:67], s[44:45]
	s_branch .LBB680_96
.LBB680_114:                            ;   in Loop: Header=BB680_97 Depth=1
                                        ; implicit-def: $vgpr69
                                        ; implicit-def: $vgpr34_vgpr35
                                        ; implicit-def: $vgpr52
	s_cbranch_execz .LBB680_97
; %bb.115:
	s_and_saveexec_b64 s[44:45], s[40:41]
	s_cbranch_execz .LBB680_117
; %bb.116:
	v_mov_b32_e32 v16, 0
	s_mov_b32 s7, 0
	v_cmp_eq_u16_sdwa vcc, v47, v16 src0_sel:BYTE_0 src1_sel:DWORD
	s_add_i32 s6, s6, 64
	v_cndmask_b32_e32 v22, 0, v28, vcc
	s_lshl_b64 s[40:41], s[6:7], 4
	v_cndmask_b32_e32 v17, 0, v29, vcc
	v_add_co_u32_e32 v6, vcc, v22, v6
	s_add_u32 s40, s50, s40
	v_addc_co_u32_e32 v7, vcc, v17, v7, vcc
	v_or_b32_e32 v17, v47, v65
	s_addc_u32 s41, s51, s41
	v_and_b32_e32 v17, 1, v17
	global_store_dwordx2 v16, v[6:7], s[40:41]
	global_store_byte v16, v17, s[40:41] offset:8
	v_mov_b32_e32 v6, s6
	v_mov_b32_e32 v7, 2
	s_waitcnt vmcnt(0) lgkmcnt(0)
	buffer_wbinvl1_vol
	global_store_byte v6, v7, s[52:53]
.LBB680_117:
	s_or_b64 exec, exec, s[44:45]
	v_cmp_eq_u32_e32 vcc, 0, v0
	s_and_b64 exec, exec, vcc
	s_cbranch_execz .LBB680_119
; %bb.118:
	v_mov_b32_e32 v6, 0
	ds_write_b64 v6, v[28:29]
	ds_write_b8 v6, v65 offset:8
.LBB680_119:
	s_or_b64 exec, exec, s[56:57]
	v_mov_b32_e32 v16, 0
	v_cmp_eq_u16_sdwa vcc, v1, v16 src0_sel:BYTE_0 src1_sel:DWORD
	v_and_b32_e32 v23, 1, v1
	v_cndmask_b32_e32 v17, 0, v41, vcc
	v_cndmask_b32_e32 v22, 0, v46, vcc
	v_cmp_eq_u32_e32 vcc, 1, v23
	v_and_b32_e32 v23, 1, v40
	v_cmp_eq_u32_e64 s[6:7], 1, v23
	s_waitcnt lgkmcnt(0)
	; wave barrier
	s_waitcnt lgkmcnt(0)
	ds_read_b64 v[6:7], v16
	s_or_b64 s[6:7], vcc, s[6:7]
	v_cmp_eq_u32_e32 vcc, 0, v0
	v_cndmask_b32_e64 v23, 0, 1, s[6:7]
	v_cndmask_b32_e64 v17, v17, 0, vcc
	v_cndmask_b32_e32 v23, v23, v1, vcc
	v_cndmask_b32_e64 v22, v22, 0, vcc
	v_add_co_u32_e32 v17, vcc, v17, v2
	v_addc_co_u32_e32 v22, vcc, v22, v3, vcc
	v_cmp_eq_u16_sdwa vcc, v23, v16 src0_sel:BYTE_0 src1_sel:DWORD
	s_waitcnt lgkmcnt(0)
	v_cndmask_b32_e32 v6, 0, v6, vcc
	v_cndmask_b32_e32 v7, 0, v7, vcc
	v_add_co_u32_e32 v86, vcc, v17, v6
	v_addc_co_u32_e32 v87, vcc, v22, v7, vcc
	v_cndmask_b32_e64 v7, 0, v86, s[38:39]
	v_cndmask_b32_e64 v6, 0, v87, s[38:39]
	v_add_co_u32_e32 v40, vcc, v7, v8
	v_addc_co_u32_e32 v41, vcc, v6, v9, vcc
	v_cndmask_b32_e64 v7, 0, v40, s[36:37]
	v_cndmask_b32_e64 v6, 0, v41, s[36:37]
	;; [unrolled: 4-line block ×18, first 2 shown]
	v_add_co_u32_e32 v102, vcc, v7, v10
	v_addc_co_u32_e32 v103, vcc, v6, v11, vcc
	s_branch .LBB680_199
.LBB680_120:
	s_or_b64 exec, exec, s[42:43]
                                        ; implicit-def: $vgpr4_vgpr5
	s_and_saveexec_b64 s[42:43], s[2:3]
	s_cbranch_execz .LBB680_41
.LBB680_121:
	v_mov_b32_e32 v5, s55
	v_add_co_u32_e32 v4, vcc, s7, v50
	v_addc_co_u32_e32 v5, vcc, 0, v5, vcc
	flat_load_dwordx2 v[4:5], v[4:5] offset:512
	s_or_b64 exec, exec, s[42:43]
                                        ; implicit-def: $vgpr6_vgpr7
	s_and_saveexec_b64 s[2:3], s[4:5]
	s_cbranch_execnz .LBB680_42
.LBB680_122:
	s_or_b64 exec, exec, s[2:3]
                                        ; implicit-def: $vgpr8_vgpr9
	s_and_saveexec_b64 s[2:3], s[40:41]
	s_cbranch_execz .LBB680_43
.LBB680_123:
	v_mov_b32_e32 v9, s55
	v_add_co_u32_e32 v8, vcc, s7, v50
	v_addc_co_u32_e32 v9, vcc, 0, v9, vcc
	flat_load_dwordx2 v[8:9], v[8:9] offset:1536
	s_or_b64 exec, exec, s[2:3]
                                        ; implicit-def: $vgpr10_vgpr11
	s_and_saveexec_b64 s[2:3], s[8:9]
	s_cbranch_execnz .LBB680_44
.LBB680_124:
	s_or_b64 exec, exec, s[2:3]
                                        ; implicit-def: $vgpr12_vgpr13
	s_and_saveexec_b64 s[2:3], s[10:11]
	s_cbranch_execz .LBB680_45
.LBB680_125:
	v_mov_b32_e32 v13, s55
	v_add_co_u32_e32 v12, vcc, s7, v50
	v_addc_co_u32_e32 v13, vcc, 0, v13, vcc
	flat_load_dwordx2 v[12:13], v[12:13] offset:2560
	s_or_b64 exec, exec, s[2:3]
                                        ; implicit-def: $vgpr14_vgpr15
	s_and_saveexec_b64 s[2:3], s[12:13]
	s_cbranch_execnz .LBB680_46
.LBB680_126:
	s_or_b64 exec, exec, s[2:3]
                                        ; implicit-def: $vgpr16_vgpr17
	s_and_saveexec_b64 s[2:3], s[14:15]
	s_cbranch_execz .LBB680_47
.LBB680_127:
	v_mov_b32_e32 v17, s55
	v_add_co_u32_e32 v16, vcc, s7, v50
	v_addc_co_u32_e32 v17, vcc, 0, v17, vcc
	flat_load_dwordx2 v[16:17], v[16:17] offset:3584
	s_or_b64 exec, exec, s[2:3]
                                        ; implicit-def: $vgpr18_vgpr19
	s_and_saveexec_b64 s[2:3], s[16:17]
	s_cbranch_execnz .LBB680_48
.LBB680_128:
	s_or_b64 exec, exec, s[2:3]
                                        ; implicit-def: $vgpr20_vgpr21
	s_and_saveexec_b64 s[2:3], s[18:19]
	s_cbranch_execz .LBB680_49
.LBB680_129:
	v_mov_b32_e32 v1, s55
	v_add_co_u32_e32 v20, vcc, s7, v40
	v_addc_co_u32_e32 v21, vcc, 0, v1, vcc
	flat_load_dwordx2 v[20:21], v[20:21]
	s_or_b64 exec, exec, s[2:3]
                                        ; implicit-def: $vgpr22_vgpr23
	s_and_saveexec_b64 s[2:3], s[20:21]
	s_cbranch_execnz .LBB680_50
.LBB680_130:
	s_or_b64 exec, exec, s[2:3]
                                        ; implicit-def: $vgpr24_vgpr25
	s_and_saveexec_b64 s[2:3], s[22:23]
	s_cbranch_execz .LBB680_51
.LBB680_131:
	v_mov_b32_e32 v1, s55
	v_add_co_u32_e32 v24, vcc, s7, v42
	v_addc_co_u32_e32 v25, vcc, 0, v1, vcc
	flat_load_dwordx2 v[24:25], v[24:25]
	s_or_b64 exec, exec, s[2:3]
                                        ; implicit-def: $vgpr26_vgpr27
	s_and_saveexec_b64 s[2:3], s[24:25]
	s_cbranch_execnz .LBB680_52
.LBB680_132:
	s_or_b64 exec, exec, s[2:3]
                                        ; implicit-def: $vgpr28_vgpr29
	s_and_saveexec_b64 s[2:3], s[26:27]
	s_cbranch_execz .LBB680_53
.LBB680_133:
	v_mov_b32_e32 v1, s55
	v_add_co_u32_e32 v28, vcc, s7, v44
	v_addc_co_u32_e32 v29, vcc, 0, v1, vcc
	flat_load_dwordx2 v[28:29], v[28:29]
	s_or_b64 exec, exec, s[2:3]
                                        ; implicit-def: $vgpr30_vgpr31
	s_and_saveexec_b64 s[2:3], s[28:29]
	s_cbranch_execnz .LBB680_54
.LBB680_134:
	s_or_b64 exec, exec, s[2:3]
                                        ; implicit-def: $vgpr32_vgpr33
	s_and_saveexec_b64 s[2:3], s[30:31]
	s_cbranch_execz .LBB680_55
.LBB680_135:
	v_mov_b32_e32 v1, s55
	v_add_co_u32_e32 v32, vcc, s7, v46
	v_addc_co_u32_e32 v33, vcc, 0, v1, vcc
	flat_load_dwordx2 v[32:33], v[32:33]
	s_or_b64 exec, exec, s[2:3]
                                        ; implicit-def: $vgpr34_vgpr35
	s_and_saveexec_b64 s[2:3], s[34:35]
	s_cbranch_execnz .LBB680_56
.LBB680_136:
	s_or_b64 exec, exec, s[2:3]
                                        ; implicit-def: $vgpr36_vgpr37
	s_and_saveexec_b64 s[2:3], s[36:37]
	s_cbranch_execz .LBB680_138
.LBB680_137:
	v_mov_b32_e32 v1, s55
	v_add_co_u32_e32 v36, vcc, s7, v48
	v_addc_co_u32_e32 v37, vcc, 0, v1, vcc
	flat_load_dwordx2 v[36:37], v[36:37]
.LBB680_138:
	s_or_b64 exec, exec, s[2:3]
	v_mul_u32_u24_e32 v95, 19, v0
                                        ; implicit-def: $vgpr38_vgpr39
	s_and_saveexec_b64 s[2:3], s[38:39]
	s_cbranch_execz .LBB680_140
; %bb.139:
	v_mov_b32_e32 v1, s55
	v_add_co_u32_e32 v38, vcc, s7, v49
	v_addc_co_u32_e32 v39, vcc, 0, v1, vcc
	flat_load_dwordx2 v[38:39], v[38:39]
.LBB680_140:
	s_or_b64 exec, exec, s[2:3]
	s_waitcnt vmcnt(0) lgkmcnt(0)
	ds_write2st64_b64 v50, v[2:3], v[4:5] offset1:1
	ds_write2st64_b64 v50, v[6:7], v[8:9] offset0:2 offset1:3
	ds_write2st64_b64 v50, v[10:11], v[12:13] offset0:4 offset1:5
	ds_write2st64_b64 v50, v[14:15], v[16:17] offset0:6 offset1:7
	ds_write2st64_b64 v50, v[18:19], v[20:21] offset0:8 offset1:9
	ds_write2st64_b64 v50, v[22:23], v[24:25] offset0:10 offset1:11
	ds_write2st64_b64 v50, v[26:27], v[28:29] offset0:12 offset1:13
	ds_write2st64_b64 v50, v[30:31], v[32:33] offset0:14 offset1:15
	ds_write2st64_b64 v50, v[34:35], v[36:37] offset0:16 offset1:17
	ds_write_b64 v50, v[38:39] offset:9216
	v_pk_mov_b32 v[4:5], 0, 0
	v_cmp_gt_u32_e32 vcc, s67, v95
	s_mov_b64 s[8:9], 0
	s_mov_b64 s[2:3], 0
	s_mov_b32 s66, 0
	v_mov_b32_e32 v105, 0
	v_mov_b32_e32 v120, 0
	v_pk_mov_b32 v[54:55], v[4:5], v[4:5] op_sel:[0,1]
	v_mov_b32_e32 v119, 0
	v_pk_mov_b32 v[50:51], v[4:5], v[4:5] op_sel:[0,1]
	;; [unrolled: 2-line block ×17, first 2 shown]
	s_waitcnt lgkmcnt(0)
	; wave barrier
	s_waitcnt lgkmcnt(0)
	s_and_saveexec_b64 s[4:5], vcc
	s_cbranch_execz .LBB680_176
; %bb.141:
	ds_read_b64 v[2:3], v94
	v_add_u32_e32 v4, 1, v95
	v_cmp_ne_u64_e32 vcc, 0, v[88:89]
	v_cndmask_b32_e64 v1, 0, 1, vcc
	v_cmp_gt_u32_e32 vcc, s67, v4
	v_pk_mov_b32 v[4:5], 0, 0
	s_mov_b64 s[10:11], 0
	v_mov_b32_e32 v105, 0
	v_mov_b32_e32 v120, 0
	v_pk_mov_b32 v[54:55], v[4:5], v[4:5] op_sel:[0,1]
	v_mov_b32_e32 v119, 0
	v_pk_mov_b32 v[50:51], v[4:5], v[4:5] op_sel:[0,1]
	;; [unrolled: 2-line block ×16, first 2 shown]
	s_and_saveexec_b64 s[8:9], vcc
	s_cbranch_execz .LBB680_175
; %bb.142:
	ds_read2_b64 v[8:11], v94 offset0:1 offset1:2
	v_add_u32_e32 v4, 2, v95
	v_cmp_ne_u64_e32 vcc, 0, v[90:91]
	v_cndmask_b32_e64 v104, 0, 1, vcc
	v_cmp_gt_u32_e32 vcc, s67, v4
	v_pk_mov_b32 v[4:5], 0, 0
	s_mov_b64 s[12:13], 0
	v_mov_b32_e32 v105, 0
	v_mov_b32_e32 v120, 0
	v_pk_mov_b32 v[54:55], v[4:5], v[4:5] op_sel:[0,1]
	v_mov_b32_e32 v119, 0
	v_pk_mov_b32 v[50:51], v[4:5], v[4:5] op_sel:[0,1]
	;; [unrolled: 2-line block ×15, first 2 shown]
	s_and_saveexec_b64 s[10:11], vcc
	s_cbranch_execz .LBB680_174
; %bb.143:
	v_add_u32_e32 v4, 3, v95
	v_cmp_ne_u64_e32 vcc, 0, v[84:85]
	v_cndmask_b32_e64 v106, 0, 1, vcc
	v_cmp_gt_u32_e32 vcc, s67, v4
	v_pk_mov_b32 v[4:5], 0, 0
	s_waitcnt lgkmcnt(0)
	v_mov_b32_e32 v12, v10
	v_mov_b32_e32 v13, v11
	s_mov_b64 s[14:15], 0
	v_mov_b32_e32 v105, 0
	v_mov_b32_e32 v120, 0
	v_pk_mov_b32 v[54:55], v[4:5], v[4:5] op_sel:[0,1]
	v_mov_b32_e32 v119, 0
	v_pk_mov_b32 v[50:51], v[4:5], v[4:5] op_sel:[0,1]
	;; [unrolled: 2-line block ×14, first 2 shown]
	s_and_saveexec_b64 s[12:13], vcc
	s_cbranch_execz .LBB680_173
; %bb.144:
	ds_read2_b64 v[14:17], v94 offset0:3 offset1:4
	v_add_u32_e32 v4, 4, v95
	v_cmp_ne_u64_e32 vcc, 0, v[86:87]
	v_cndmask_b32_e64 v107, 0, 1, vcc
	v_cmp_gt_u32_e32 vcc, s67, v4
	v_pk_mov_b32 v[4:5], 0, 0
	s_mov_b64 s[16:17], 0
	v_mov_b32_e32 v105, 0
	v_mov_b32_e32 v120, 0
	v_pk_mov_b32 v[54:55], v[4:5], v[4:5] op_sel:[0,1]
	v_mov_b32_e32 v119, 0
	v_pk_mov_b32 v[50:51], v[4:5], v[4:5] op_sel:[0,1]
	;; [unrolled: 2-line block ×13, first 2 shown]
	s_and_saveexec_b64 s[14:15], vcc
	s_cbranch_execz .LBB680_172
; %bb.145:
	v_add_u32_e32 v4, 5, v95
	v_cmp_ne_u64_e32 vcc, 0, v[80:81]
	v_cndmask_b32_e64 v108, 0, 1, vcc
	v_cmp_gt_u32_e32 vcc, s67, v4
	v_pk_mov_b32 v[4:5], 0, 0
	s_waitcnt lgkmcnt(0)
	v_mov_b32_e32 v18, v16
	v_mov_b32_e32 v19, v17
	s_mov_b64 s[18:19], 0
	v_mov_b32_e32 v105, 0
	v_mov_b32_e32 v120, 0
	v_pk_mov_b32 v[54:55], v[4:5], v[4:5] op_sel:[0,1]
	v_mov_b32_e32 v119, 0
	v_pk_mov_b32 v[50:51], v[4:5], v[4:5] op_sel:[0,1]
	;; [unrolled: 2-line block ×12, first 2 shown]
	s_and_saveexec_b64 s[16:17], vcc
	s_cbranch_execz .LBB680_171
; %bb.146:
	ds_read2_b64 v[20:23], v94 offset0:5 offset1:6
	v_add_u32_e32 v4, 6, v95
	v_cmp_ne_u64_e32 vcc, 0, v[82:83]
	v_cndmask_b32_e64 v109, 0, 1, vcc
	v_cmp_gt_u32_e32 vcc, s67, v4
	v_pk_mov_b32 v[4:5], 0, 0
	s_mov_b64 s[20:21], 0
	v_mov_b32_e32 v105, 0
	v_mov_b32_e32 v120, 0
	v_pk_mov_b32 v[54:55], v[4:5], v[4:5] op_sel:[0,1]
	v_mov_b32_e32 v119, 0
	v_pk_mov_b32 v[50:51], v[4:5], v[4:5] op_sel:[0,1]
	;; [unrolled: 2-line block ×11, first 2 shown]
	s_and_saveexec_b64 s[18:19], vcc
	s_cbranch_execz .LBB680_170
; %bb.147:
	v_add_u32_e32 v4, 7, v95
	v_cmp_ne_u64_e32 vcc, 0, v[76:77]
	v_cndmask_b32_e64 v110, 0, 1, vcc
	v_cmp_gt_u32_e32 vcc, s67, v4
	v_pk_mov_b32 v[4:5], 0, 0
	s_waitcnt lgkmcnt(0)
	v_mov_b32_e32 v24, v22
	v_mov_b32_e32 v25, v23
	s_mov_b64 s[22:23], 0
	v_mov_b32_e32 v105, 0
	v_mov_b32_e32 v120, 0
	v_pk_mov_b32 v[54:55], v[4:5], v[4:5] op_sel:[0,1]
	v_mov_b32_e32 v119, 0
	v_pk_mov_b32 v[50:51], v[4:5], v[4:5] op_sel:[0,1]
	v_mov_b32_e32 v118, 0
	v_pk_mov_b32 v[48:49], v[4:5], v[4:5] op_sel:[0,1]
	v_mov_b32_e32 v117, 0
	v_pk_mov_b32 v[44:45], v[4:5], v[4:5] op_sel:[0,1]
	v_mov_b32_e32 v116, 0
	v_pk_mov_b32 v[42:43], v[4:5], v[4:5] op_sel:[0,1]
	v_mov_b32_e32 v115, 0
	v_pk_mov_b32 v[38:39], v[4:5], v[4:5] op_sel:[0,1]
	v_mov_b32_e32 v114, 0
	v_pk_mov_b32 v[36:37], v[4:5], v[4:5] op_sel:[0,1]
	v_mov_b32_e32 v113, 0
	v_pk_mov_b32 v[32:33], v[4:5], v[4:5] op_sel:[0,1]
	v_mov_b32_e32 v112, 0
	v_pk_mov_b32 v[30:31], v[4:5], v[4:5] op_sel:[0,1]
	v_mov_b32_e32 v111, 0
	v_pk_mov_b32 v[26:27], v[4:5], v[4:5] op_sel:[0,1]
	s_and_saveexec_b64 s[20:21], vcc
	s_cbranch_execz .LBB680_169
; %bb.148:
	ds_read2_b64 v[26:29], v94 offset0:7 offset1:8
	v_add_u32_e32 v4, 8, v95
	v_cmp_ne_u64_e32 vcc, 0, v[78:79]
	v_cndmask_b32_e64 v111, 0, 1, vcc
	v_cmp_gt_u32_e32 vcc, s67, v4
	v_pk_mov_b32 v[4:5], 0, 0
	s_mov_b64 s[24:25], 0
	v_mov_b32_e32 v105, 0
	v_mov_b32_e32 v120, 0
	v_pk_mov_b32 v[54:55], v[4:5], v[4:5] op_sel:[0,1]
	v_mov_b32_e32 v119, 0
	v_pk_mov_b32 v[50:51], v[4:5], v[4:5] op_sel:[0,1]
	;; [unrolled: 2-line block ×9, first 2 shown]
	s_and_saveexec_b64 s[22:23], vcc
	s_cbranch_execz .LBB680_168
; %bb.149:
	v_add_u32_e32 v4, 9, v95
	v_cmp_ne_u64_e32 vcc, 0, v[72:73]
	v_cndmask_b32_e64 v112, 0, 1, vcc
	v_cmp_gt_u32_e32 vcc, s67, v4
	v_pk_mov_b32 v[4:5], 0, 0
	s_waitcnt lgkmcnt(0)
	v_mov_b32_e32 v30, v28
	v_mov_b32_e32 v31, v29
	s_mov_b64 s[26:27], 0
	v_mov_b32_e32 v105, 0
	v_mov_b32_e32 v120, 0
	v_pk_mov_b32 v[54:55], v[4:5], v[4:5] op_sel:[0,1]
	v_mov_b32_e32 v119, 0
	v_pk_mov_b32 v[50:51], v[4:5], v[4:5] op_sel:[0,1]
	;; [unrolled: 2-line block ×8, first 2 shown]
	s_and_saveexec_b64 s[24:25], vcc
	s_cbranch_execz .LBB680_167
; %bb.150:
	ds_read2_b64 v[32:35], v94 offset0:9 offset1:10
	v_add_u32_e32 v4, 10, v95
	v_cmp_ne_u64_e32 vcc, 0, v[74:75]
	v_cndmask_b32_e64 v113, 0, 1, vcc
	v_cmp_gt_u32_e32 vcc, s67, v4
	v_pk_mov_b32 v[4:5], 0, 0
	s_mov_b64 s[28:29], 0
	v_mov_b32_e32 v105, 0
	v_mov_b32_e32 v120, 0
	v_pk_mov_b32 v[54:55], v[4:5], v[4:5] op_sel:[0,1]
	v_mov_b32_e32 v119, 0
	v_pk_mov_b32 v[50:51], v[4:5], v[4:5] op_sel:[0,1]
	;; [unrolled: 2-line block ×7, first 2 shown]
	s_and_saveexec_b64 s[26:27], vcc
	s_cbranch_execz .LBB680_166
; %bb.151:
	v_add_u32_e32 v4, 11, v95
	v_cmp_ne_u64_e32 vcc, 0, v[68:69]
	v_cndmask_b32_e64 v114, 0, 1, vcc
	v_cmp_gt_u32_e32 vcc, s67, v4
	v_pk_mov_b32 v[4:5], 0, 0
	s_waitcnt lgkmcnt(0)
	v_mov_b32_e32 v36, v34
	v_mov_b32_e32 v37, v35
	s_mov_b64 s[30:31], 0
	v_mov_b32_e32 v105, 0
	v_mov_b32_e32 v120, 0
	v_pk_mov_b32 v[54:55], v[4:5], v[4:5] op_sel:[0,1]
	v_mov_b32_e32 v119, 0
	v_pk_mov_b32 v[50:51], v[4:5], v[4:5] op_sel:[0,1]
	;; [unrolled: 2-line block ×6, first 2 shown]
	s_and_saveexec_b64 s[28:29], vcc
	s_cbranch_execz .LBB680_165
; %bb.152:
	ds_read2_b64 v[38:41], v94 offset0:11 offset1:12
	v_add_u32_e32 v4, 12, v95
	v_cmp_ne_u64_e32 vcc, 0, v[70:71]
	v_cndmask_b32_e64 v115, 0, 1, vcc
	v_cmp_gt_u32_e32 vcc, s67, v4
	v_pk_mov_b32 v[4:5], 0, 0
	s_mov_b64 s[34:35], 0
	v_mov_b32_e32 v105, 0
	v_mov_b32_e32 v120, 0
	v_pk_mov_b32 v[54:55], v[4:5], v[4:5] op_sel:[0,1]
	v_mov_b32_e32 v119, 0
	v_pk_mov_b32 v[50:51], v[4:5], v[4:5] op_sel:[0,1]
	;; [unrolled: 2-line block ×5, first 2 shown]
	s_and_saveexec_b64 s[30:31], vcc
	s_cbranch_execz .LBB680_164
; %bb.153:
	v_add_u32_e32 v4, 13, v95
	v_cmp_ne_u64_e32 vcc, 0, v[64:65]
	v_cndmask_b32_e64 v116, 0, 1, vcc
	v_cmp_gt_u32_e32 vcc, s67, v4
	v_pk_mov_b32 v[4:5], 0, 0
	s_waitcnt lgkmcnt(0)
	v_mov_b32_e32 v42, v40
	v_mov_b32_e32 v43, v41
	s_mov_b64 s[36:37], 0
	v_mov_b32_e32 v105, 0
	v_mov_b32_e32 v120, 0
	v_pk_mov_b32 v[54:55], v[4:5], v[4:5] op_sel:[0,1]
	v_mov_b32_e32 v119, 0
	v_pk_mov_b32 v[50:51], v[4:5], v[4:5] op_sel:[0,1]
	;; [unrolled: 2-line block ×4, first 2 shown]
	s_and_saveexec_b64 s[34:35], vcc
	s_cbranch_execz .LBB680_163
; %bb.154:
	ds_read2_b64 v[44:47], v94 offset0:13 offset1:14
	v_add_u32_e32 v4, 14, v95
	v_cmp_ne_u64_e32 vcc, 0, v[66:67]
	v_cndmask_b32_e64 v117, 0, 1, vcc
	v_cmp_gt_u32_e32 vcc, s67, v4
	v_pk_mov_b32 v[4:5], 0, 0
	s_mov_b64 s[38:39], 0
	v_mov_b32_e32 v105, 0
	v_mov_b32_e32 v120, 0
	v_pk_mov_b32 v[54:55], v[4:5], v[4:5] op_sel:[0,1]
	v_mov_b32_e32 v119, 0
	v_pk_mov_b32 v[50:51], v[4:5], v[4:5] op_sel:[0,1]
	;; [unrolled: 2-line block ×3, first 2 shown]
	s_and_saveexec_b64 s[36:37], vcc
	s_cbranch_execz .LBB680_162
; %bb.155:
	v_add_u32_e32 v4, 15, v95
	v_cmp_ne_u64_e32 vcc, 0, v[60:61]
	v_cndmask_b32_e64 v118, 0, 1, vcc
	v_cmp_gt_u32_e32 vcc, s67, v4
	v_pk_mov_b32 v[4:5], 0, 0
	s_waitcnt lgkmcnt(0)
	v_mov_b32_e32 v48, v46
	v_mov_b32_e32 v49, v47
	s_mov_b64 s[40:41], 0
	v_mov_b32_e32 v105, 0
	v_mov_b32_e32 v120, 0
	v_pk_mov_b32 v[54:55], v[4:5], v[4:5] op_sel:[0,1]
	v_mov_b32_e32 v119, 0
	v_pk_mov_b32 v[50:51], v[4:5], v[4:5] op_sel:[0,1]
	s_and_saveexec_b64 s[38:39], vcc
	s_cbranch_execz .LBB680_161
; %bb.156:
	ds_read2_b64 v[50:53], v94 offset0:15 offset1:16
	v_add_u32_e32 v4, 16, v95
	v_cmp_ne_u64_e32 vcc, 0, v[62:63]
	v_cndmask_b32_e64 v119, 0, 1, vcc
	v_cmp_gt_u32_e32 vcc, s67, v4
	v_pk_mov_b32 v[4:5], 0, 0
	s_mov_b64 s[42:43], 0
	v_mov_b32_e32 v105, 0
	v_mov_b32_e32 v120, 0
	v_pk_mov_b32 v[54:55], v[4:5], v[4:5] op_sel:[0,1]
	s_and_saveexec_b64 s[40:41], vcc
	s_cbranch_execz .LBB680_160
; %bb.157:
	v_add_u32_e32 v4, 17, v95
	v_cmp_ne_u64_e32 vcc, 0, v[56:57]
	s_waitcnt lgkmcnt(0)
	v_mov_b32_e32 v54, v52
	v_mov_b32_e32 v55, v53
	v_cndmask_b32_e64 v120, 0, 1, vcc
	v_cmp_gt_u32_e32 vcc, s67, v4
	v_mov_b32_e32 v105, 0
	v_pk_mov_b32 v[4:5], 0, 0
	s_and_saveexec_b64 s[56:57], vcc
	s_xor_b64 s[56:57], exec, s[56:57]
	s_cbranch_execz .LBB680_159
; %bb.158:
	ds_read2_b64 v[4:7], v94 offset0:17 offset1:18
	v_add_u32_e32 v10, 18, v95
	v_cmp_ne_u64_e32 vcc, 0, v[58:59]
	v_cndmask_b32_e64 v105, 0, 1, vcc
	v_cmp_gt_u32_e32 vcc, s67, v10
	s_and_b64 s[42:43], vcc, exec
	s_waitcnt lgkmcnt(0)
	v_pk_mov_b32 v[56:57], v[4:5], v[4:5] op_sel:[0,1]
.LBB680_159:
	s_or_b64 exec, exec, s[56:57]
	s_and_b64 s[42:43], s[42:43], exec
.LBB680_160:
	s_or_b64 exec, exec, s[40:41]
	s_and_b64 s[40:41], s[42:43], exec
.LBB680_161:
	s_or_b64 exec, exec, s[38:39]
	s_and_b64 s[38:39], s[40:41], exec
.LBB680_162:
	s_or_b64 exec, exec, s[36:37]
	s_and_b64 s[36:37], s[38:39], exec
.LBB680_163:
	s_or_b64 exec, exec, s[34:35]
	s_and_b64 s[34:35], s[36:37], exec
.LBB680_164:
	s_or_b64 exec, exec, s[30:31]
	s_and_b64 s[30:31], s[34:35], exec
.LBB680_165:
	s_or_b64 exec, exec, s[28:29]
	s_and_b64 s[28:29], s[30:31], exec
.LBB680_166:
	s_or_b64 exec, exec, s[26:27]
	s_and_b64 s[26:27], s[28:29], exec
.LBB680_167:
	s_or_b64 exec, exec, s[24:25]
	s_and_b64 s[24:25], s[26:27], exec
.LBB680_168:
	s_or_b64 exec, exec, s[22:23]
	s_and_b64 s[22:23], s[24:25], exec
.LBB680_169:
	s_or_b64 exec, exec, s[20:21]
	s_and_b64 s[20:21], s[22:23], exec
.LBB680_170:
	s_or_b64 exec, exec, s[18:19]
	s_and_b64 s[18:19], s[20:21], exec
.LBB680_171:
	s_or_b64 exec, exec, s[16:17]
	s_and_b64 s[16:17], s[18:19], exec
.LBB680_172:
	s_or_b64 exec, exec, s[14:15]
	s_and_b64 s[14:15], s[16:17], exec
.LBB680_173:
	s_or_b64 exec, exec, s[12:13]
	s_and_b64 s[12:13], s[14:15], exec
.LBB680_174:
	s_or_b64 exec, exec, s[10:11]
	s_and_b64 s[10:11], s[12:13], exec
.LBB680_175:
	s_or_b64 exec, exec, s[8:9]
	s_and_b64 s[8:9], s[10:11], exec
.LBB680_176:
	s_or_b64 exec, exec, s[4:5]
	s_mov_b64 s[4:5], 0
	s_and_b64 vcc, exec, s[2:3]
	v_lshlrev_b32_e32 v121, 3, v0
	s_cbranch_vccnz .LBB680_58
	s_branch .LBB680_59
.LBB680_177:
                                        ; implicit-def: $vgpr84_vgpr85_vgpr86_vgpr87
                                        ; implicit-def: $vgpr102_vgpr103
                                        ; implicit-def: $vgpr100_vgpr101
                                        ; implicit-def: $vgpr98_vgpr99
                                        ; implicit-def: $vgpr96_vgpr97
                                        ; implicit-def: $vgpr94_vgpr95
                                        ; implicit-def: $vgpr92_vgpr93
                                        ; implicit-def: $vgpr90_vgpr91
                                        ; implicit-def: $vgpr52_vgpr53
                                        ; implicit-def: $vgpr46_vgpr47
                                        ; implicit-def: $vgpr40_vgpr41
                                        ; implicit-def: $vgpr80_vgpr81_vgpr82_vgpr83
                                        ; implicit-def: $vgpr76_vgpr77_vgpr78_vgpr79
                                        ; implicit-def: $vgpr72_vgpr73_vgpr74_vgpr75
                                        ; implicit-def: $vgpr68_vgpr69_vgpr70_vgpr71
                                        ; implicit-def: $vgpr64_vgpr65_vgpr66_vgpr67
                                        ; implicit-def: $vgpr60_vgpr61_vgpr62_vgpr63
                                        ; implicit-def: $vgpr56_vgpr57_vgpr58_vgpr59
                                        ; implicit-def: $vgpr86_vgpr87_vgpr88_vgpr89
	s_cbranch_execz .LBB680_199
; %bb.178:
	s_cmp_lg_u64 s[64:65], 0
	s_cselect_b32 s5, s59, 0
	s_cselect_b32 s4, s58, 0
	s_cmp_lg_u64 s[4:5], 0
	s_cselect_b64 s[6:7], -1, 0
	v_cmp_eq_u32_e32 vcc, 0, v0
	v_cmp_ne_u32_e64 s[2:3], 0, v0
	s_and_b64 s[8:9], vcc, s[6:7]
	s_and_saveexec_b64 s[6:7], s[8:9]
	s_cbranch_execz .LBB680_180
; %bb.179:
	v_mov_b32_e32 v16, 0
	global_load_dwordx2 v[6:7], v16, s[4:5]
	global_load_ubyte v17, v16, s[4:5] offset:8
	v_cmp_eq_u16_sdwa s[4:5], v1, v16 src0_sel:BYTE_0 src1_sel:DWORD
	s_waitcnt vmcnt(1)
	v_cndmask_b32_e64 v6, 0, v6, s[4:5]
	v_cndmask_b32_e64 v7, 0, v7, s[4:5]
	s_waitcnt vmcnt(0)
	v_or_b32_e32 v1, v1, v17
	v_add_co_u32_e64 v2, s[4:5], v6, v2
	v_addc_co_u32_e64 v3, s[4:5], v7, v3, s[4:5]
	v_and_b32_e32 v1, 1, v1
.LBB680_180:
	s_or_b64 exec, exec, s[6:7]
	v_mov_b32_e32 v7, 0
	v_cmp_eq_u16_sdwa s[4:5], v104, v7 src0_sel:BYTE_0 src1_sel:DWORD
	v_cndmask_b32_e64 v17, 0, v2, s[4:5]
	v_cndmask_b32_e64 v16, 0, v3, s[4:5]
	v_add_co_u32_e64 v40, s[6:7], v17, v8
	v_addc_co_u32_e64 v41, s[6:7], v16, v9, s[6:7]
	v_cmp_eq_u16_sdwa s[6:7], v106, v7 src0_sel:BYTE_0 src1_sel:DWORD
	v_cndmask_b32_e64 v17, 0, v40, s[6:7]
	v_cndmask_b32_e64 v16, 0, v41, s[6:7]
	v_add_co_u32_e64 v56, s[8:9], v17, v12
	v_addc_co_u32_e64 v57, s[8:9], v16, v13, s[8:9]
	v_cmp_eq_u16_sdwa s[8:9], v107, v7 src0_sel:BYTE_0 src1_sel:DWORD
	v_cndmask_b32_e64 v17, 0, v56, s[8:9]
	v_cndmask_b32_e64 v16, 0, v57, s[8:9]
	v_add_co_u32_e64 v46, s[10:11], v17, v14
	v_addc_co_u32_e64 v47, s[10:11], v16, v15, s[10:11]
	v_cmp_eq_u16_sdwa s[10:11], v108, v7 src0_sel:BYTE_0 src1_sel:DWORD
	v_cndmask_b32_e64 v17, 0, v46, s[10:11]
	v_cndmask_b32_e64 v16, 0, v47, s[10:11]
	v_add_co_u32_e64 v60, s[12:13], v17, v18
	v_addc_co_u32_e64 v61, s[12:13], v16, v19, s[12:13]
	v_cmp_eq_u16_sdwa s[12:13], v109, v7 src0_sel:BYTE_0 src1_sel:DWORD
	v_cndmask_b32_e64 v17, 0, v60, s[12:13]
	v_cndmask_b32_e64 v16, 0, v61, s[12:13]
	v_add_co_u32_e64 v52, s[14:15], v17, v20
	v_addc_co_u32_e64 v53, s[14:15], v16, v21, s[14:15]
	v_cmp_eq_u16_sdwa s[14:15], v110, v7 src0_sel:BYTE_0 src1_sel:DWORD
	v_cndmask_b32_e64 v17, 0, v52, s[14:15]
	v_cndmask_b32_e64 v16, 0, v53, s[14:15]
	v_add_co_u32_e64 v64, s[16:17], v17, v24
	v_addc_co_u32_e64 v65, s[16:17], v16, v25, s[16:17]
	v_cmp_eq_u16_sdwa s[16:17], v111, v7 src0_sel:BYTE_0 src1_sel:DWORD
	v_cndmask_b32_e64 v17, 0, v64, s[16:17]
	v_cndmask_b32_e64 v16, 0, v65, s[16:17]
	v_add_co_u32_e64 v90, s[18:19], v17, v26
	v_addc_co_u32_e64 v91, s[18:19], v16, v27, s[18:19]
	v_cmp_eq_u16_sdwa s[18:19], v112, v7 src0_sel:BYTE_0 src1_sel:DWORD
	v_cndmask_b32_e64 v17, 0, v90, s[18:19]
	v_cndmask_b32_e64 v16, 0, v91, s[18:19]
	v_add_co_u32_e64 v68, s[20:21], v17, v30
	v_addc_co_u32_e64 v69, s[20:21], v16, v31, s[20:21]
	v_cmp_eq_u16_sdwa s[20:21], v113, v7 src0_sel:BYTE_0 src1_sel:DWORD
	v_cndmask_b32_e64 v17, 0, v68, s[20:21]
	v_cndmask_b32_e64 v16, 0, v69, s[20:21]
	v_add_co_u32_e64 v92, s[22:23], v17, v32
	v_addc_co_u32_e64 v93, s[22:23], v16, v33, s[22:23]
	v_cmp_eq_u16_sdwa s[22:23], v114, v7 src0_sel:BYTE_0 src1_sel:DWORD
	v_cndmask_b32_e64 v17, 0, v92, s[22:23]
	v_cndmask_b32_e64 v16, 0, v93, s[22:23]
	v_add_co_u32_e64 v72, s[24:25], v17, v36
	v_addc_co_u32_e64 v73, s[24:25], v16, v37, s[24:25]
	v_cmp_eq_u16_sdwa s[24:25], v115, v7 src0_sel:BYTE_0 src1_sel:DWORD
	v_cndmask_b32_e64 v17, 0, v72, s[24:25]
	v_cndmask_b32_e64 v16, 0, v73, s[24:25]
	v_add_co_u32_e64 v94, s[26:27], v17, v38
	v_addc_co_u32_e64 v95, s[26:27], v16, v39, s[26:27]
	v_cmp_eq_u16_sdwa s[26:27], v116, v7 src0_sel:BYTE_0 src1_sel:DWORD
	v_cndmask_b32_e64 v17, 0, v94, s[26:27]
	v_cndmask_b32_e64 v16, 0, v95, s[26:27]
	v_add_co_u32_e64 v76, s[28:29], v17, v42
	v_addc_co_u32_e64 v77, s[28:29], v16, v43, s[28:29]
	v_cmp_eq_u16_sdwa s[28:29], v117, v7 src0_sel:BYTE_0 src1_sel:DWORD
	v_cndmask_b32_e64 v17, 0, v76, s[28:29]
	v_cndmask_b32_e64 v16, 0, v77, s[28:29]
	v_add_co_u32_e64 v96, s[30:31], v17, v44
	v_addc_co_u32_e64 v97, s[30:31], v16, v45, s[30:31]
	v_cmp_eq_u16_sdwa s[30:31], v118, v7 src0_sel:BYTE_0 src1_sel:DWORD
	v_cndmask_b32_e64 v17, 0, v96, s[30:31]
	v_cndmask_b32_e64 v16, 0, v97, s[30:31]
	v_add_co_u32_e64 v80, s[34:35], v17, v48
	v_addc_co_u32_e64 v81, s[34:35], v16, v49, s[34:35]
	v_cmp_eq_u16_sdwa s[34:35], v119, v7 src0_sel:BYTE_0 src1_sel:DWORD
	v_cndmask_b32_e64 v17, 0, v80, s[34:35]
	v_cndmask_b32_e64 v16, 0, v81, s[34:35]
	v_add_co_u32_e64 v98, s[36:37], v17, v50
	v_addc_co_u32_e64 v99, s[36:37], v16, v51, s[36:37]
	v_cmp_eq_u16_sdwa s[36:37], v120, v7 src0_sel:BYTE_0 src1_sel:DWORD
	v_cndmask_b32_e64 v17, 0, v98, s[36:37]
	v_cndmask_b32_e64 v16, 0, v99, s[36:37]
	v_add_co_u32_e64 v84, s[38:39], v17, v54
	v_addc_co_u32_e64 v85, s[38:39], v16, v55, s[38:39]
	v_cmp_eq_u16_sdwa s[38:39], v105, v7 src0_sel:BYTE_0 src1_sel:DWORD
	v_cndmask_b32_e64 v17, 0, v84, s[38:39]
	v_cndmask_b32_e64 v16, 0, v85, s[38:39]
	v_add_co_u32_e64 v100, s[40:41], v17, v4
	v_addc_co_u32_e64 v101, s[40:41], v16, v5, s[40:41]
	v_cmp_eq_u16_sdwa s[40:41], v122, v7 src0_sel:BYTE_0 src1_sel:DWORD
	v_cndmask_b32_e64 v16, 0, v100, s[40:41]
	v_cndmask_b32_e64 v7, 0, v101, s[40:41]
	v_add_co_u32_e64 v102, s[42:43], v16, v10
	v_addc_co_u32_e64 v103, s[42:43], v7, v11, s[42:43]
	v_or_b32_e32 v7, v124, v119
	v_or_b32_e32 v7, v7, v118
	v_or_b32_e32 v7, v7, v117
	v_or_b32_e32 v7, v7, v116
	v_or_b32_e32 v7, v7, v115
	v_or_b32_e32 v7, v7, v114
	v_or_b32_e32 v7, v7, v113
	v_or_b32_e32 v7, v7, v112
	v_or_b32_e32 v7, v7, v111
	v_or_b32_e32 v7, v7, v110
	v_or_b32_e32 v7, v7, v109
	v_or_b32_e32 v7, v7, v108
	v_or_b32_e32 v7, v7, v107
	v_or_b32_e32 v7, v7, v106
	v_or_b32_e32 v7, v7, v104
	v_and_b32_e32 v7, 1, v7
	v_and_b32_e32 v6, 0xff, v1
	v_cmp_eq_u32_e64 s[42:43], 1, v7
	v_mbcnt_hi_u32_b32 v22, -1, v123
	v_cndmask_b32_e64 v23, v6, 1, s[42:43]
	v_and_b32_e32 v28, 15, v22
	v_mov_b32_dpp v34, v102 row_shr:1 row_mask:0xf bank_mask:0xf
	v_mov_b32_dpp v35, v103 row_shr:1 row_mask:0xf bank_mask:0xf
	v_mov_b32_dpp v29, v23 row_shr:1 row_mask:0xf bank_mask:0xf
	v_cmp_ne_u32_e64 s[42:43], 0, v28
	v_pk_mov_b32 v[6:7], v[102:103], v[102:103] op_sel:[0,1]
	v_mov_b32_e32 v17, v103
	v_mov_b32_e32 v16, v102
	s_and_saveexec_b64 s[44:45], s[42:43]
; %bb.181:
	v_cmp_eq_u32_e64 s[42:43], 0, v23
	v_cndmask_b32_e64 v6, 0, v34, s[42:43]
	v_cndmask_b32_e64 v7, 0, v35, s[42:43]
	v_add_co_u32_e64 v6, s[42:43], v102, v6
	v_addc_co_u32_e64 v7, s[42:43], v103, v7, s[42:43]
	v_and_or_b32 v23, v29, 1, v23
	v_mov_b32_e32 v17, v7
	v_mov_b32_e32 v16, v6
; %bb.182:
	s_or_b64 exec, exec, s[44:45]
	s_nop 0
	v_mov_b32_dpp v34, v16 row_shr:2 row_mask:0xf bank_mask:0xf
	v_mov_b32_dpp v35, v17 row_shr:2 row_mask:0xf bank_mask:0xf
	v_mov_b32_dpp v29, v23 row_shr:2 row_mask:0xf bank_mask:0xf
	v_cmp_lt_u32_e64 s[42:43], 1, v28
	s_and_saveexec_b64 s[44:45], s[42:43]
; %bb.183:
	v_cmp_eq_u32_e64 s[42:43], 0, v23
	v_cndmask_b32_e64 v16, 0, v34, s[42:43]
	v_cndmask_b32_e64 v17, 0, v35, s[42:43]
	v_add_co_u32_e64 v16, s[42:43], v16, v6
	v_addc_co_u32_e64 v17, s[42:43], v17, v7, s[42:43]
	v_or_b32_e32 v6, v29, v23
	v_and_b32_e32 v23, 1, v6
	v_pk_mov_b32 v[6:7], v[16:17], v[16:17] op_sel:[0,1]
; %bb.184:
	s_or_b64 exec, exec, s[44:45]
	v_mov_b32_dpp v34, v16 row_shr:4 row_mask:0xf bank_mask:0xf
	v_mov_b32_dpp v35, v17 row_shr:4 row_mask:0xf bank_mask:0xf
	v_mov_b32_dpp v29, v23 row_shr:4 row_mask:0xf bank_mask:0xf
	v_cmp_lt_u32_e64 s[42:43], 3, v28
	s_and_saveexec_b64 s[44:45], s[42:43]
; %bb.185:
	v_cmp_eq_u32_e64 s[42:43], 0, v23
	v_cndmask_b32_e64 v16, 0, v34, s[42:43]
	v_cndmask_b32_e64 v17, 0, v35, s[42:43]
	v_add_co_u32_e64 v16, s[42:43], v16, v6
	v_addc_co_u32_e64 v17, s[42:43], v17, v7, s[42:43]
	v_or_b32_e32 v6, v29, v23
	v_and_b32_e32 v23, 1, v6
	v_pk_mov_b32 v[6:7], v[16:17], v[16:17] op_sel:[0,1]
; %bb.186:
	s_or_b64 exec, exec, s[44:45]
	;; [unrolled: 16-line block ×3, first 2 shown]
	v_and_b32_e32 v35, 16, v22
	v_mov_b32_dpp v29, v16 row_bcast:15 row_mask:0xf bank_mask:0xf
	v_mov_b32_dpp v34, v17 row_bcast:15 row_mask:0xf bank_mask:0xf
	;; [unrolled: 1-line block ×3, first 2 shown]
	v_cmp_ne_u32_e64 s[42:43], 0, v35
	s_and_saveexec_b64 s[44:45], s[42:43]
; %bb.189:
	v_cmp_eq_u32_e64 s[42:43], 0, v23
	v_cndmask_b32_e64 v17, 0, v29, s[42:43]
	v_cndmask_b32_e64 v16, 0, v34, s[42:43]
	v_add_co_u32_e64 v6, s[42:43], v17, v6
	v_addc_co_u32_e64 v7, s[42:43], v16, v7, s[42:43]
	v_or_b32_e32 v16, v28, v23
	v_and_b32_e32 v23, 1, v16
	v_mov_b32_e32 v17, v7
	v_mov_b32_e32 v16, v6
; %bb.190:
	s_or_b64 exec, exec, s[44:45]
	s_nop 0
	v_mov_b32_dpp v28, v16 row_bcast:31 row_mask:0xf bank_mask:0xf
	v_mov_b32_dpp v17, v17 row_bcast:31 row_mask:0xf bank_mask:0xf
	;; [unrolled: 1-line block ×3, first 2 shown]
	v_cmp_lt_u32_e64 s[42:43], 31, v22
	s_and_saveexec_b64 s[44:45], s[42:43]
; %bb.191:
	v_cmp_eq_u32_e64 s[42:43], 0, v23
	v_cndmask_b32_e64 v28, 0, v28, s[42:43]
	v_cndmask_b32_e64 v17, 0, v17, s[42:43]
	v_add_co_u32_e64 v6, s[42:43], v28, v6
	v_or_b32_e32 v16, v16, v23
	v_addc_co_u32_e64 v7, s[42:43], v17, v7, s[42:43]
	v_and_b32_e32 v23, 1, v16
; %bb.192:
	s_or_b64 exec, exec, s[44:45]
	v_cmp_eq_u32_e64 s[42:43], 63, v0
	s_and_saveexec_b64 s[44:45], s[42:43]
	s_cbranch_execz .LBB680_194
; %bb.193:
	v_mov_b32_e32 v16, 0
	ds_write_b64 v16, v[6:7]
	ds_write_b8 v16, v23 offset:8
.LBB680_194:
	s_or_b64 exec, exec, s[44:45]
	v_add_u32_e32 v16, -1, v22
	v_and_b32_e32 v17, 64, v22
	v_cmp_lt_i32_e64 s[42:43], v16, v17
	v_cndmask_b32_e64 v16, v16, v22, s[42:43]
	v_lshlrev_b32_e32 v16, 2, v16
	ds_bpermute_b32 v6, v16, v6
	ds_bpermute_b32 v7, v16, v7
	s_waitcnt lgkmcnt(0)
	; wave barrier
	s_waitcnt lgkmcnt(0)
	s_and_saveexec_b64 s[42:43], s[2:3]
	s_cbranch_execz .LBB680_196
; %bb.195:
	v_mov_b32_e32 v16, 0
	v_cmp_eq_u16_sdwa s[2:3], v1, v16 src0_sel:BYTE_0 src1_sel:DWORD
	v_cndmask_b32_e64 v6, 0, v6, s[2:3]
	v_cndmask_b32_e64 v1, 0, v7, s[2:3]
	v_add_co_u32_e64 v2, s[2:3], v6, v2
	v_addc_co_u32_e64 v3, s[2:3], v1, v3, s[2:3]
	v_cndmask_b32_e64 v6, 0, v2, s[4:5]
	v_cndmask_b32_e64 v1, 0, v3, s[4:5]
	v_add_co_u32_e64 v40, s[2:3], v6, v8
	v_addc_co_u32_e64 v41, s[2:3], v1, v9, s[2:3]
	;; [unrolled: 4-line block ×19, first 2 shown]
	;;#ASMSTART
	;;#ASMEND
.LBB680_196:
	s_or_b64 exec, exec, s[42:43]
	s_and_saveexec_b64 s[2:3], vcc
	s_cbranch_execz .LBB680_198
; %bb.197:
	v_mov_b32_e32 v1, 0
	ds_read_b64 v[4:5], v1
	ds_read_u8 v6, v1 offset:8
	v_mov_b32_e32 v7, 2
	s_waitcnt lgkmcnt(1)
	global_store_dwordx2 v1, v[4:5], s[50:51] offset:1024
	s_waitcnt lgkmcnt(0)
	global_store_byte v1, v6, s[50:51] offset:1032
	s_waitcnt vmcnt(0)
	buffer_wbinvl1_vol
	global_store_byte v1, v7, s[52:53] offset:64
.LBB680_198:
	s_or_b64 exec, exec, s[2:3]
	v_pk_mov_b32 v[86:87], v[2:3], v[2:3] op_sel:[0,1]
.LBB680_199:
	s_add_u32 s2, s46, s60
	s_addc_u32 s3, s47, s61
	s_add_u32 s4, s2, s62
	s_addc_u32 s5, s3, s63
	s_and_b64 vcc, exec, s[0:1]
	s_cbranch_vccz .LBB680_237
; %bb.200:
	s_movk_i32 s0, 0x98
	v_mul_i32_i24_e32 v43, 0xffffff70, v0
	v_mul_u32_u24_e32 v42, 0x98, v0
	v_mad_u32_u24 v2, v0, s0, v43
	s_waitcnt lgkmcnt(0)
	; wave barrier
	ds_write2_b64 v42, v[86:87], v[40:41] offset1:1
	ds_write2_b64 v42, v[56:57], v[46:47] offset0:2 offset1:3
	ds_write2_b64 v42, v[60:61], v[52:53] offset0:4 offset1:5
	;; [unrolled: 1-line block ×8, first 2 shown]
	ds_write_b64 v42, v[102:103] offset:144
	s_waitcnt lgkmcnt(0)
	; wave barrier
	s_waitcnt lgkmcnt(0)
	ds_read2st64_b64 v[34:37], v2 offset0:1 offset1:2
	ds_read2st64_b64 v[30:33], v2 offset0:3 offset1:4
	;; [unrolled: 1-line block ×9, first 2 shown]
	v_mov_b32_e32 v39, s5
	v_add_co_u32_e32 v38, vcc, s4, v121
	s_add_i32 s33, s33, s54
	v_addc_co_u32_e32 v39, vcc, 0, v39, vcc
	v_mov_b32_e32 v1, 0
	v_cmp_gt_u32_e32 vcc, s33, v0
	s_and_saveexec_b64 s[0:1], vcc
	s_cbranch_execz .LBB680_202
; %bb.201:
	v_add_u32_e32 v42, v42, v43
	ds_read_b64 v[42:43], v42
	s_waitcnt lgkmcnt(0)
	flat_store_dwordx2 v[38:39], v[42:43]
.LBB680_202:
	s_or_b64 exec, exec, s[0:1]
	v_or_b32_e32 v42, 64, v0
	v_cmp_gt_u32_e32 vcc, s33, v42
	s_and_saveexec_b64 s[0:1], vcc
	s_cbranch_execz .LBB680_204
; %bb.203:
	s_waitcnt lgkmcnt(0)
	flat_store_dwordx2 v[38:39], v[34:35] offset:512
.LBB680_204:
	s_or_b64 exec, exec, s[0:1]
	s_waitcnt lgkmcnt(0)
	v_or_b32_e32 v34, 0x80, v0
	v_cmp_gt_u32_e32 vcc, s33, v34
	s_and_saveexec_b64 s[0:1], vcc
	s_cbranch_execz .LBB680_206
; %bb.205:
	flat_store_dwordx2 v[38:39], v[36:37] offset:1024
.LBB680_206:
	s_or_b64 exec, exec, s[0:1]
	v_or_b32_e32 v34, 0xc0, v0
	v_cmp_gt_u32_e32 vcc, s33, v34
	s_and_saveexec_b64 s[0:1], vcc
	s_cbranch_execz .LBB680_208
; %bb.207:
	flat_store_dwordx2 v[38:39], v[30:31] offset:1536
.LBB680_208:
	s_or_b64 exec, exec, s[0:1]
	;; [unrolled: 8-line block ×6, first 2 shown]
	v_or_b32_e32 v22, 0x200, v0
	v_cmp_gt_u32_e32 vcc, s33, v22
	s_and_saveexec_b64 s[0:1], vcc
	s_cbranch_execz .LBB680_218
; %bb.217:
	v_add_co_u32_e32 v22, vcc, 0x1000, v38
	v_addc_co_u32_e32 v23, vcc, 0, v39, vcc
	flat_store_dwordx2 v[22:23], v[24:25]
.LBB680_218:
	s_or_b64 exec, exec, s[0:1]
	v_or_b32_e32 v22, 0x240, v0
	v_cmp_gt_u32_e32 vcc, s33, v22
	s_and_saveexec_b64 s[0:1], vcc
	s_cbranch_execz .LBB680_220
; %bb.219:
	v_add_co_u32_e32 v22, vcc, 0x1000, v38
	v_addc_co_u32_e32 v23, vcc, 0, v39, vcc
	flat_store_dwordx2 v[22:23], v[18:19] offset:512
.LBB680_220:
	s_or_b64 exec, exec, s[0:1]
	v_or_b32_e32 v18, 0x280, v0
	v_cmp_gt_u32_e32 vcc, s33, v18
	s_and_saveexec_b64 s[0:1], vcc
	s_cbranch_execz .LBB680_222
; %bb.221:
	v_add_co_u32_e32 v18, vcc, 0x1000, v38
	v_addc_co_u32_e32 v19, vcc, 0, v39, vcc
	flat_store_dwordx2 v[18:19], v[20:21] offset:1024
.LBB680_222:
	;; [unrolled: 10-line block ×7, first 2 shown]
	s_or_b64 exec, exec, s[0:1]
	v_or_b32_e32 v6, 0x400, v0
	v_cmp_gt_u32_e32 vcc, s33, v6
	s_and_saveexec_b64 s[0:1], vcc
	s_cbranch_execz .LBB680_234
; %bb.233:
	v_add_co_u32_e32 v6, vcc, 0x2000, v38
	v_addc_co_u32_e32 v7, vcc, 0, v39, vcc
	flat_store_dwordx2 v[6:7], v[8:9]
.LBB680_234:
	s_or_b64 exec, exec, s[0:1]
	v_or_b32_e32 v6, 0x440, v0
	v_cmp_gt_u32_e32 vcc, s33, v6
	s_and_saveexec_b64 s[0:1], vcc
	s_cbranch_execz .LBB680_236
; %bb.235:
	v_add_co_u32_e32 v6, vcc, 0x2000, v38
	v_addc_co_u32_e32 v7, vcc, 0, v39, vcc
	flat_store_dwordx2 v[6:7], v[2:3] offset:512
.LBB680_236:
	s_or_b64 exec, exec, s[0:1]
	v_or_b32_e32 v2, 0x480, v0
	v_cmp_gt_u32_e64 s[0:1], s33, v2
	s_branch .LBB680_239
.LBB680_237:
	s_mov_b64 s[0:1], 0
                                        ; implicit-def: $vgpr4_vgpr5
	s_cbranch_execz .LBB680_239
; %bb.238:
	s_movk_i32 s2, 0x98
	v_mul_i32_i24_e32 v2, 0xffffff70, v0
	v_mul_u32_u24_e32 v1, 0x98, v0
	v_mad_u32_u24 v2, v0, s2, v2
	s_waitcnt lgkmcnt(0)
	; wave barrier
	s_waitcnt lgkmcnt(0)
	ds_write2_b64 v1, v[86:87], v[40:41] offset1:1
	ds_write2_b64 v1, v[56:57], v[46:47] offset0:2 offset1:3
	ds_write2_b64 v1, v[60:61], v[52:53] offset0:4 offset1:5
	;; [unrolled: 1-line block ×8, first 2 shown]
	ds_write_b64 v1, v[102:103] offset:144
	s_waitcnt lgkmcnt(0)
	; wave barrier
	s_waitcnt lgkmcnt(0)
	ds_read2st64_b64 v[6:9], v2 offset1:1
	ds_read2st64_b64 v[10:13], v2 offset0:2 offset1:3
	ds_read2st64_b64 v[14:17], v2 offset0:4 offset1:5
	;; [unrolled: 1-line block ×8, first 2 shown]
	ds_read_b64 v[4:5], v2 offset:9216
	v_mov_b32_e32 v3, s5
	v_add_co_u32_e32 v2, vcc, s4, v121
	v_addc_co_u32_e32 v3, vcc, 0, v3, vcc
	s_movk_i32 s2, 0x1000
	s_waitcnt lgkmcnt(0)
	flat_store_dwordx2 v[2:3], v[6:7]
	flat_store_dwordx2 v[2:3], v[8:9] offset:512
	flat_store_dwordx2 v[2:3], v[10:11] offset:1024
	;; [unrolled: 1-line block ×7, first 2 shown]
	v_add_co_u32_e32 v6, vcc, s2, v2
	v_addc_co_u32_e32 v7, vcc, 0, v3, vcc
	v_add_co_u32_e32 v2, vcc, 0x2000, v2
	v_mov_b32_e32 v1, 0
	v_addc_co_u32_e32 v3, vcc, 0, v3, vcc
	s_or_b64 s[0:1], s[0:1], exec
	flat_store_dwordx2 v[6:7], v[22:23]
	flat_store_dwordx2 v[6:7], v[24:25] offset:512
	flat_store_dwordx2 v[6:7], v[26:27] offset:1024
	;; [unrolled: 1-line block ×7, first 2 shown]
	flat_store_dwordx2 v[2:3], v[38:39]
	flat_store_dwordx2 v[2:3], v[40:41] offset:512
.LBB680_239:
	s_and_saveexec_b64 s[2:3], s[0:1]
	s_cbranch_execz .LBB680_241
; %bb.240:
	v_lshlrev_b64 v[0:1], 3, v[0:1]
	v_mov_b32_e32 v2, s5
	v_add_co_u32_e32 v0, vcc, s4, v0
	v_addc_co_u32_e32 v1, vcc, v2, v1, vcc
	v_add_co_u32_e32 v0, vcc, 0x2000, v0
	v_addc_co_u32_e32 v1, vcc, 0, v1, vcc
	flat_store_dwordx2 v[0:1], v[4:5] offset:1024
	s_endpgm
.LBB680_241:
	s_endpgm
	.section	.rodata,"a",@progbits
	.p2align	6, 0x0
	.amdhsa_kernel _ZN7rocprim17ROCPRIM_400000_NS6detail17trampoline_kernelINS0_14default_configENS1_27scan_by_key_config_selectorIxxEEZZNS1_16scan_by_key_implILNS1_25lookback_scan_determinismE0ELb0ES3_N6thrust23THRUST_200600_302600_NS6detail15normal_iteratorINS9_10device_ptrIxEEEESE_SE_xNS9_4plusIxEE19head_flag_predicatexEE10hipError_tPvRmT2_T3_T4_T5_mT6_T7_P12ihipStream_tbENKUlT_T0_E_clISt17integral_constantIbLb0EESY_EEDaST_SU_EUlST_E_NS1_11comp_targetILNS1_3genE4ELNS1_11target_archE910ELNS1_3gpuE8ELNS1_3repE0EEENS1_30default_config_static_selectorELNS0_4arch9wavefront6targetE1EEEvT1_
		.amdhsa_group_segment_fixed_size 10752
		.amdhsa_private_segment_fixed_size 0
		.amdhsa_kernarg_size 136
		.amdhsa_user_sgpr_count 6
		.amdhsa_user_sgpr_private_segment_buffer 1
		.amdhsa_user_sgpr_dispatch_ptr 0
		.amdhsa_user_sgpr_queue_ptr 0
		.amdhsa_user_sgpr_kernarg_segment_ptr 1
		.amdhsa_user_sgpr_dispatch_id 0
		.amdhsa_user_sgpr_flat_scratch_init 0
		.amdhsa_user_sgpr_kernarg_preload_length 0
		.amdhsa_user_sgpr_kernarg_preload_offset 0
		.amdhsa_user_sgpr_private_segment_size 0
		.amdhsa_uses_dynamic_stack 0
		.amdhsa_system_sgpr_private_segment_wavefront_offset 0
		.amdhsa_system_sgpr_workgroup_id_x 1
		.amdhsa_system_sgpr_workgroup_id_y 0
		.amdhsa_system_sgpr_workgroup_id_z 0
		.amdhsa_system_sgpr_workgroup_info 0
		.amdhsa_system_vgpr_workitem_id 0
		.amdhsa_next_free_vgpr 125
		.amdhsa_next_free_sgpr 70
		.amdhsa_accum_offset 128
		.amdhsa_reserve_vcc 1
		.amdhsa_reserve_flat_scratch 0
		.amdhsa_float_round_mode_32 0
		.amdhsa_float_round_mode_16_64 0
		.amdhsa_float_denorm_mode_32 3
		.amdhsa_float_denorm_mode_16_64 3
		.amdhsa_dx10_clamp 1
		.amdhsa_ieee_mode 1
		.amdhsa_fp16_overflow 0
		.amdhsa_tg_split 0
		.amdhsa_exception_fp_ieee_invalid_op 0
		.amdhsa_exception_fp_denorm_src 0
		.amdhsa_exception_fp_ieee_div_zero 0
		.amdhsa_exception_fp_ieee_overflow 0
		.amdhsa_exception_fp_ieee_underflow 0
		.amdhsa_exception_fp_ieee_inexact 0
		.amdhsa_exception_int_div_zero 0
	.end_amdhsa_kernel
	.section	.text._ZN7rocprim17ROCPRIM_400000_NS6detail17trampoline_kernelINS0_14default_configENS1_27scan_by_key_config_selectorIxxEEZZNS1_16scan_by_key_implILNS1_25lookback_scan_determinismE0ELb0ES3_N6thrust23THRUST_200600_302600_NS6detail15normal_iteratorINS9_10device_ptrIxEEEESE_SE_xNS9_4plusIxEE19head_flag_predicatexEE10hipError_tPvRmT2_T3_T4_T5_mT6_T7_P12ihipStream_tbENKUlT_T0_E_clISt17integral_constantIbLb0EESY_EEDaST_SU_EUlST_E_NS1_11comp_targetILNS1_3genE4ELNS1_11target_archE910ELNS1_3gpuE8ELNS1_3repE0EEENS1_30default_config_static_selectorELNS0_4arch9wavefront6targetE1EEEvT1_,"axG",@progbits,_ZN7rocprim17ROCPRIM_400000_NS6detail17trampoline_kernelINS0_14default_configENS1_27scan_by_key_config_selectorIxxEEZZNS1_16scan_by_key_implILNS1_25lookback_scan_determinismE0ELb0ES3_N6thrust23THRUST_200600_302600_NS6detail15normal_iteratorINS9_10device_ptrIxEEEESE_SE_xNS9_4plusIxEE19head_flag_predicatexEE10hipError_tPvRmT2_T3_T4_T5_mT6_T7_P12ihipStream_tbENKUlT_T0_E_clISt17integral_constantIbLb0EESY_EEDaST_SU_EUlST_E_NS1_11comp_targetILNS1_3genE4ELNS1_11target_archE910ELNS1_3gpuE8ELNS1_3repE0EEENS1_30default_config_static_selectorELNS0_4arch9wavefront6targetE1EEEvT1_,comdat
.Lfunc_end680:
	.size	_ZN7rocprim17ROCPRIM_400000_NS6detail17trampoline_kernelINS0_14default_configENS1_27scan_by_key_config_selectorIxxEEZZNS1_16scan_by_key_implILNS1_25lookback_scan_determinismE0ELb0ES3_N6thrust23THRUST_200600_302600_NS6detail15normal_iteratorINS9_10device_ptrIxEEEESE_SE_xNS9_4plusIxEE19head_flag_predicatexEE10hipError_tPvRmT2_T3_T4_T5_mT6_T7_P12ihipStream_tbENKUlT_T0_E_clISt17integral_constantIbLb0EESY_EEDaST_SU_EUlST_E_NS1_11comp_targetILNS1_3genE4ELNS1_11target_archE910ELNS1_3gpuE8ELNS1_3repE0EEENS1_30default_config_static_selectorELNS0_4arch9wavefront6targetE1EEEvT1_, .Lfunc_end680-_ZN7rocprim17ROCPRIM_400000_NS6detail17trampoline_kernelINS0_14default_configENS1_27scan_by_key_config_selectorIxxEEZZNS1_16scan_by_key_implILNS1_25lookback_scan_determinismE0ELb0ES3_N6thrust23THRUST_200600_302600_NS6detail15normal_iteratorINS9_10device_ptrIxEEEESE_SE_xNS9_4plusIxEE19head_flag_predicatexEE10hipError_tPvRmT2_T3_T4_T5_mT6_T7_P12ihipStream_tbENKUlT_T0_E_clISt17integral_constantIbLb0EESY_EEDaST_SU_EUlST_E_NS1_11comp_targetILNS1_3genE4ELNS1_11target_archE910ELNS1_3gpuE8ELNS1_3repE0EEENS1_30default_config_static_selectorELNS0_4arch9wavefront6targetE1EEEvT1_
                                        ; -- End function
	.section	.AMDGPU.csdata,"",@progbits
; Kernel info:
; codeLenInByte = 14636
; NumSgprs: 74
; NumVgprs: 125
; NumAgprs: 0
; TotalNumVgprs: 125
; ScratchSize: 0
; MemoryBound: 0
; FloatMode: 240
; IeeeMode: 1
; LDSByteSize: 10752 bytes/workgroup (compile time only)
; SGPRBlocks: 9
; VGPRBlocks: 15
; NumSGPRsForWavesPerEU: 74
; NumVGPRsForWavesPerEU: 125
; AccumOffset: 128
; Occupancy: 2
; WaveLimiterHint : 1
; COMPUTE_PGM_RSRC2:SCRATCH_EN: 0
; COMPUTE_PGM_RSRC2:USER_SGPR: 6
; COMPUTE_PGM_RSRC2:TRAP_HANDLER: 0
; COMPUTE_PGM_RSRC2:TGID_X_EN: 1
; COMPUTE_PGM_RSRC2:TGID_Y_EN: 0
; COMPUTE_PGM_RSRC2:TGID_Z_EN: 0
; COMPUTE_PGM_RSRC2:TIDIG_COMP_CNT: 0
; COMPUTE_PGM_RSRC3_GFX90A:ACCUM_OFFSET: 31
; COMPUTE_PGM_RSRC3_GFX90A:TG_SPLIT: 0
	.section	.text._ZN7rocprim17ROCPRIM_400000_NS6detail17trampoline_kernelINS0_14default_configENS1_27scan_by_key_config_selectorIxxEEZZNS1_16scan_by_key_implILNS1_25lookback_scan_determinismE0ELb0ES3_N6thrust23THRUST_200600_302600_NS6detail15normal_iteratorINS9_10device_ptrIxEEEESE_SE_xNS9_4plusIxEE19head_flag_predicatexEE10hipError_tPvRmT2_T3_T4_T5_mT6_T7_P12ihipStream_tbENKUlT_T0_E_clISt17integral_constantIbLb0EESY_EEDaST_SU_EUlST_E_NS1_11comp_targetILNS1_3genE3ELNS1_11target_archE908ELNS1_3gpuE7ELNS1_3repE0EEENS1_30default_config_static_selectorELNS0_4arch9wavefront6targetE1EEEvT1_,"axG",@progbits,_ZN7rocprim17ROCPRIM_400000_NS6detail17trampoline_kernelINS0_14default_configENS1_27scan_by_key_config_selectorIxxEEZZNS1_16scan_by_key_implILNS1_25lookback_scan_determinismE0ELb0ES3_N6thrust23THRUST_200600_302600_NS6detail15normal_iteratorINS9_10device_ptrIxEEEESE_SE_xNS9_4plusIxEE19head_flag_predicatexEE10hipError_tPvRmT2_T3_T4_T5_mT6_T7_P12ihipStream_tbENKUlT_T0_E_clISt17integral_constantIbLb0EESY_EEDaST_SU_EUlST_E_NS1_11comp_targetILNS1_3genE3ELNS1_11target_archE908ELNS1_3gpuE7ELNS1_3repE0EEENS1_30default_config_static_selectorELNS0_4arch9wavefront6targetE1EEEvT1_,comdat
	.protected	_ZN7rocprim17ROCPRIM_400000_NS6detail17trampoline_kernelINS0_14default_configENS1_27scan_by_key_config_selectorIxxEEZZNS1_16scan_by_key_implILNS1_25lookback_scan_determinismE0ELb0ES3_N6thrust23THRUST_200600_302600_NS6detail15normal_iteratorINS9_10device_ptrIxEEEESE_SE_xNS9_4plusIxEE19head_flag_predicatexEE10hipError_tPvRmT2_T3_T4_T5_mT6_T7_P12ihipStream_tbENKUlT_T0_E_clISt17integral_constantIbLb0EESY_EEDaST_SU_EUlST_E_NS1_11comp_targetILNS1_3genE3ELNS1_11target_archE908ELNS1_3gpuE7ELNS1_3repE0EEENS1_30default_config_static_selectorELNS0_4arch9wavefront6targetE1EEEvT1_ ; -- Begin function _ZN7rocprim17ROCPRIM_400000_NS6detail17trampoline_kernelINS0_14default_configENS1_27scan_by_key_config_selectorIxxEEZZNS1_16scan_by_key_implILNS1_25lookback_scan_determinismE0ELb0ES3_N6thrust23THRUST_200600_302600_NS6detail15normal_iteratorINS9_10device_ptrIxEEEESE_SE_xNS9_4plusIxEE19head_flag_predicatexEE10hipError_tPvRmT2_T3_T4_T5_mT6_T7_P12ihipStream_tbENKUlT_T0_E_clISt17integral_constantIbLb0EESY_EEDaST_SU_EUlST_E_NS1_11comp_targetILNS1_3genE3ELNS1_11target_archE908ELNS1_3gpuE7ELNS1_3repE0EEENS1_30default_config_static_selectorELNS0_4arch9wavefront6targetE1EEEvT1_
	.globl	_ZN7rocprim17ROCPRIM_400000_NS6detail17trampoline_kernelINS0_14default_configENS1_27scan_by_key_config_selectorIxxEEZZNS1_16scan_by_key_implILNS1_25lookback_scan_determinismE0ELb0ES3_N6thrust23THRUST_200600_302600_NS6detail15normal_iteratorINS9_10device_ptrIxEEEESE_SE_xNS9_4plusIxEE19head_flag_predicatexEE10hipError_tPvRmT2_T3_T4_T5_mT6_T7_P12ihipStream_tbENKUlT_T0_E_clISt17integral_constantIbLb0EESY_EEDaST_SU_EUlST_E_NS1_11comp_targetILNS1_3genE3ELNS1_11target_archE908ELNS1_3gpuE7ELNS1_3repE0EEENS1_30default_config_static_selectorELNS0_4arch9wavefront6targetE1EEEvT1_
	.p2align	8
	.type	_ZN7rocprim17ROCPRIM_400000_NS6detail17trampoline_kernelINS0_14default_configENS1_27scan_by_key_config_selectorIxxEEZZNS1_16scan_by_key_implILNS1_25lookback_scan_determinismE0ELb0ES3_N6thrust23THRUST_200600_302600_NS6detail15normal_iteratorINS9_10device_ptrIxEEEESE_SE_xNS9_4plusIxEE19head_flag_predicatexEE10hipError_tPvRmT2_T3_T4_T5_mT6_T7_P12ihipStream_tbENKUlT_T0_E_clISt17integral_constantIbLb0EESY_EEDaST_SU_EUlST_E_NS1_11comp_targetILNS1_3genE3ELNS1_11target_archE908ELNS1_3gpuE7ELNS1_3repE0EEENS1_30default_config_static_selectorELNS0_4arch9wavefront6targetE1EEEvT1_,@function
_ZN7rocprim17ROCPRIM_400000_NS6detail17trampoline_kernelINS0_14default_configENS1_27scan_by_key_config_selectorIxxEEZZNS1_16scan_by_key_implILNS1_25lookback_scan_determinismE0ELb0ES3_N6thrust23THRUST_200600_302600_NS6detail15normal_iteratorINS9_10device_ptrIxEEEESE_SE_xNS9_4plusIxEE19head_flag_predicatexEE10hipError_tPvRmT2_T3_T4_T5_mT6_T7_P12ihipStream_tbENKUlT_T0_E_clISt17integral_constantIbLb0EESY_EEDaST_SU_EUlST_E_NS1_11comp_targetILNS1_3genE3ELNS1_11target_archE908ELNS1_3gpuE7ELNS1_3repE0EEENS1_30default_config_static_selectorELNS0_4arch9wavefront6targetE1EEEvT1_: ; @_ZN7rocprim17ROCPRIM_400000_NS6detail17trampoline_kernelINS0_14default_configENS1_27scan_by_key_config_selectorIxxEEZZNS1_16scan_by_key_implILNS1_25lookback_scan_determinismE0ELb0ES3_N6thrust23THRUST_200600_302600_NS6detail15normal_iteratorINS9_10device_ptrIxEEEESE_SE_xNS9_4plusIxEE19head_flag_predicatexEE10hipError_tPvRmT2_T3_T4_T5_mT6_T7_P12ihipStream_tbENKUlT_T0_E_clISt17integral_constantIbLb0EESY_EEDaST_SU_EUlST_E_NS1_11comp_targetILNS1_3genE3ELNS1_11target_archE908ELNS1_3gpuE7ELNS1_3repE0EEENS1_30default_config_static_selectorELNS0_4arch9wavefront6targetE1EEEvT1_
; %bb.0:
	.section	.rodata,"a",@progbits
	.p2align	6, 0x0
	.amdhsa_kernel _ZN7rocprim17ROCPRIM_400000_NS6detail17trampoline_kernelINS0_14default_configENS1_27scan_by_key_config_selectorIxxEEZZNS1_16scan_by_key_implILNS1_25lookback_scan_determinismE0ELb0ES3_N6thrust23THRUST_200600_302600_NS6detail15normal_iteratorINS9_10device_ptrIxEEEESE_SE_xNS9_4plusIxEE19head_flag_predicatexEE10hipError_tPvRmT2_T3_T4_T5_mT6_T7_P12ihipStream_tbENKUlT_T0_E_clISt17integral_constantIbLb0EESY_EEDaST_SU_EUlST_E_NS1_11comp_targetILNS1_3genE3ELNS1_11target_archE908ELNS1_3gpuE7ELNS1_3repE0EEENS1_30default_config_static_selectorELNS0_4arch9wavefront6targetE1EEEvT1_
		.amdhsa_group_segment_fixed_size 0
		.amdhsa_private_segment_fixed_size 0
		.amdhsa_kernarg_size 136
		.amdhsa_user_sgpr_count 6
		.amdhsa_user_sgpr_private_segment_buffer 1
		.amdhsa_user_sgpr_dispatch_ptr 0
		.amdhsa_user_sgpr_queue_ptr 0
		.amdhsa_user_sgpr_kernarg_segment_ptr 1
		.amdhsa_user_sgpr_dispatch_id 0
		.amdhsa_user_sgpr_flat_scratch_init 0
		.amdhsa_user_sgpr_kernarg_preload_length 0
		.amdhsa_user_sgpr_kernarg_preload_offset 0
		.amdhsa_user_sgpr_private_segment_size 0
		.amdhsa_uses_dynamic_stack 0
		.amdhsa_system_sgpr_private_segment_wavefront_offset 0
		.amdhsa_system_sgpr_workgroup_id_x 1
		.amdhsa_system_sgpr_workgroup_id_y 0
		.amdhsa_system_sgpr_workgroup_id_z 0
		.amdhsa_system_sgpr_workgroup_info 0
		.amdhsa_system_vgpr_workitem_id 0
		.amdhsa_next_free_vgpr 1
		.amdhsa_next_free_sgpr 0
		.amdhsa_accum_offset 4
		.amdhsa_reserve_vcc 0
		.amdhsa_reserve_flat_scratch 0
		.amdhsa_float_round_mode_32 0
		.amdhsa_float_round_mode_16_64 0
		.amdhsa_float_denorm_mode_32 3
		.amdhsa_float_denorm_mode_16_64 3
		.amdhsa_dx10_clamp 1
		.amdhsa_ieee_mode 1
		.amdhsa_fp16_overflow 0
		.amdhsa_tg_split 0
		.amdhsa_exception_fp_ieee_invalid_op 0
		.amdhsa_exception_fp_denorm_src 0
		.amdhsa_exception_fp_ieee_div_zero 0
		.amdhsa_exception_fp_ieee_overflow 0
		.amdhsa_exception_fp_ieee_underflow 0
		.amdhsa_exception_fp_ieee_inexact 0
		.amdhsa_exception_int_div_zero 0
	.end_amdhsa_kernel
	.section	.text._ZN7rocprim17ROCPRIM_400000_NS6detail17trampoline_kernelINS0_14default_configENS1_27scan_by_key_config_selectorIxxEEZZNS1_16scan_by_key_implILNS1_25lookback_scan_determinismE0ELb0ES3_N6thrust23THRUST_200600_302600_NS6detail15normal_iteratorINS9_10device_ptrIxEEEESE_SE_xNS9_4plusIxEE19head_flag_predicatexEE10hipError_tPvRmT2_T3_T4_T5_mT6_T7_P12ihipStream_tbENKUlT_T0_E_clISt17integral_constantIbLb0EESY_EEDaST_SU_EUlST_E_NS1_11comp_targetILNS1_3genE3ELNS1_11target_archE908ELNS1_3gpuE7ELNS1_3repE0EEENS1_30default_config_static_selectorELNS0_4arch9wavefront6targetE1EEEvT1_,"axG",@progbits,_ZN7rocprim17ROCPRIM_400000_NS6detail17trampoline_kernelINS0_14default_configENS1_27scan_by_key_config_selectorIxxEEZZNS1_16scan_by_key_implILNS1_25lookback_scan_determinismE0ELb0ES3_N6thrust23THRUST_200600_302600_NS6detail15normal_iteratorINS9_10device_ptrIxEEEESE_SE_xNS9_4plusIxEE19head_flag_predicatexEE10hipError_tPvRmT2_T3_T4_T5_mT6_T7_P12ihipStream_tbENKUlT_T0_E_clISt17integral_constantIbLb0EESY_EEDaST_SU_EUlST_E_NS1_11comp_targetILNS1_3genE3ELNS1_11target_archE908ELNS1_3gpuE7ELNS1_3repE0EEENS1_30default_config_static_selectorELNS0_4arch9wavefront6targetE1EEEvT1_,comdat
.Lfunc_end681:
	.size	_ZN7rocprim17ROCPRIM_400000_NS6detail17trampoline_kernelINS0_14default_configENS1_27scan_by_key_config_selectorIxxEEZZNS1_16scan_by_key_implILNS1_25lookback_scan_determinismE0ELb0ES3_N6thrust23THRUST_200600_302600_NS6detail15normal_iteratorINS9_10device_ptrIxEEEESE_SE_xNS9_4plusIxEE19head_flag_predicatexEE10hipError_tPvRmT2_T3_T4_T5_mT6_T7_P12ihipStream_tbENKUlT_T0_E_clISt17integral_constantIbLb0EESY_EEDaST_SU_EUlST_E_NS1_11comp_targetILNS1_3genE3ELNS1_11target_archE908ELNS1_3gpuE7ELNS1_3repE0EEENS1_30default_config_static_selectorELNS0_4arch9wavefront6targetE1EEEvT1_, .Lfunc_end681-_ZN7rocprim17ROCPRIM_400000_NS6detail17trampoline_kernelINS0_14default_configENS1_27scan_by_key_config_selectorIxxEEZZNS1_16scan_by_key_implILNS1_25lookback_scan_determinismE0ELb0ES3_N6thrust23THRUST_200600_302600_NS6detail15normal_iteratorINS9_10device_ptrIxEEEESE_SE_xNS9_4plusIxEE19head_flag_predicatexEE10hipError_tPvRmT2_T3_T4_T5_mT6_T7_P12ihipStream_tbENKUlT_T0_E_clISt17integral_constantIbLb0EESY_EEDaST_SU_EUlST_E_NS1_11comp_targetILNS1_3genE3ELNS1_11target_archE908ELNS1_3gpuE7ELNS1_3repE0EEENS1_30default_config_static_selectorELNS0_4arch9wavefront6targetE1EEEvT1_
                                        ; -- End function
	.section	.AMDGPU.csdata,"",@progbits
; Kernel info:
; codeLenInByte = 0
; NumSgprs: 4
; NumVgprs: 0
; NumAgprs: 0
; TotalNumVgprs: 0
; ScratchSize: 0
; MemoryBound: 0
; FloatMode: 240
; IeeeMode: 1
; LDSByteSize: 0 bytes/workgroup (compile time only)
; SGPRBlocks: 0
; VGPRBlocks: 0
; NumSGPRsForWavesPerEU: 4
; NumVGPRsForWavesPerEU: 1
; AccumOffset: 4
; Occupancy: 8
; WaveLimiterHint : 0
; COMPUTE_PGM_RSRC2:SCRATCH_EN: 0
; COMPUTE_PGM_RSRC2:USER_SGPR: 6
; COMPUTE_PGM_RSRC2:TRAP_HANDLER: 0
; COMPUTE_PGM_RSRC2:TGID_X_EN: 1
; COMPUTE_PGM_RSRC2:TGID_Y_EN: 0
; COMPUTE_PGM_RSRC2:TGID_Z_EN: 0
; COMPUTE_PGM_RSRC2:TIDIG_COMP_CNT: 0
; COMPUTE_PGM_RSRC3_GFX90A:ACCUM_OFFSET: 0
; COMPUTE_PGM_RSRC3_GFX90A:TG_SPLIT: 0
	.section	.text._ZN7rocprim17ROCPRIM_400000_NS6detail17trampoline_kernelINS0_14default_configENS1_27scan_by_key_config_selectorIxxEEZZNS1_16scan_by_key_implILNS1_25lookback_scan_determinismE0ELb0ES3_N6thrust23THRUST_200600_302600_NS6detail15normal_iteratorINS9_10device_ptrIxEEEESE_SE_xNS9_4plusIxEE19head_flag_predicatexEE10hipError_tPvRmT2_T3_T4_T5_mT6_T7_P12ihipStream_tbENKUlT_T0_E_clISt17integral_constantIbLb0EESY_EEDaST_SU_EUlST_E_NS1_11comp_targetILNS1_3genE2ELNS1_11target_archE906ELNS1_3gpuE6ELNS1_3repE0EEENS1_30default_config_static_selectorELNS0_4arch9wavefront6targetE1EEEvT1_,"axG",@progbits,_ZN7rocprim17ROCPRIM_400000_NS6detail17trampoline_kernelINS0_14default_configENS1_27scan_by_key_config_selectorIxxEEZZNS1_16scan_by_key_implILNS1_25lookback_scan_determinismE0ELb0ES3_N6thrust23THRUST_200600_302600_NS6detail15normal_iteratorINS9_10device_ptrIxEEEESE_SE_xNS9_4plusIxEE19head_flag_predicatexEE10hipError_tPvRmT2_T3_T4_T5_mT6_T7_P12ihipStream_tbENKUlT_T0_E_clISt17integral_constantIbLb0EESY_EEDaST_SU_EUlST_E_NS1_11comp_targetILNS1_3genE2ELNS1_11target_archE906ELNS1_3gpuE6ELNS1_3repE0EEENS1_30default_config_static_selectorELNS0_4arch9wavefront6targetE1EEEvT1_,comdat
	.protected	_ZN7rocprim17ROCPRIM_400000_NS6detail17trampoline_kernelINS0_14default_configENS1_27scan_by_key_config_selectorIxxEEZZNS1_16scan_by_key_implILNS1_25lookback_scan_determinismE0ELb0ES3_N6thrust23THRUST_200600_302600_NS6detail15normal_iteratorINS9_10device_ptrIxEEEESE_SE_xNS9_4plusIxEE19head_flag_predicatexEE10hipError_tPvRmT2_T3_T4_T5_mT6_T7_P12ihipStream_tbENKUlT_T0_E_clISt17integral_constantIbLb0EESY_EEDaST_SU_EUlST_E_NS1_11comp_targetILNS1_3genE2ELNS1_11target_archE906ELNS1_3gpuE6ELNS1_3repE0EEENS1_30default_config_static_selectorELNS0_4arch9wavefront6targetE1EEEvT1_ ; -- Begin function _ZN7rocprim17ROCPRIM_400000_NS6detail17trampoline_kernelINS0_14default_configENS1_27scan_by_key_config_selectorIxxEEZZNS1_16scan_by_key_implILNS1_25lookback_scan_determinismE0ELb0ES3_N6thrust23THRUST_200600_302600_NS6detail15normal_iteratorINS9_10device_ptrIxEEEESE_SE_xNS9_4plusIxEE19head_flag_predicatexEE10hipError_tPvRmT2_T3_T4_T5_mT6_T7_P12ihipStream_tbENKUlT_T0_E_clISt17integral_constantIbLb0EESY_EEDaST_SU_EUlST_E_NS1_11comp_targetILNS1_3genE2ELNS1_11target_archE906ELNS1_3gpuE6ELNS1_3repE0EEENS1_30default_config_static_selectorELNS0_4arch9wavefront6targetE1EEEvT1_
	.globl	_ZN7rocprim17ROCPRIM_400000_NS6detail17trampoline_kernelINS0_14default_configENS1_27scan_by_key_config_selectorIxxEEZZNS1_16scan_by_key_implILNS1_25lookback_scan_determinismE0ELb0ES3_N6thrust23THRUST_200600_302600_NS6detail15normal_iteratorINS9_10device_ptrIxEEEESE_SE_xNS9_4plusIxEE19head_flag_predicatexEE10hipError_tPvRmT2_T3_T4_T5_mT6_T7_P12ihipStream_tbENKUlT_T0_E_clISt17integral_constantIbLb0EESY_EEDaST_SU_EUlST_E_NS1_11comp_targetILNS1_3genE2ELNS1_11target_archE906ELNS1_3gpuE6ELNS1_3repE0EEENS1_30default_config_static_selectorELNS0_4arch9wavefront6targetE1EEEvT1_
	.p2align	8
	.type	_ZN7rocprim17ROCPRIM_400000_NS6detail17trampoline_kernelINS0_14default_configENS1_27scan_by_key_config_selectorIxxEEZZNS1_16scan_by_key_implILNS1_25lookback_scan_determinismE0ELb0ES3_N6thrust23THRUST_200600_302600_NS6detail15normal_iteratorINS9_10device_ptrIxEEEESE_SE_xNS9_4plusIxEE19head_flag_predicatexEE10hipError_tPvRmT2_T3_T4_T5_mT6_T7_P12ihipStream_tbENKUlT_T0_E_clISt17integral_constantIbLb0EESY_EEDaST_SU_EUlST_E_NS1_11comp_targetILNS1_3genE2ELNS1_11target_archE906ELNS1_3gpuE6ELNS1_3repE0EEENS1_30default_config_static_selectorELNS0_4arch9wavefront6targetE1EEEvT1_,@function
_ZN7rocprim17ROCPRIM_400000_NS6detail17trampoline_kernelINS0_14default_configENS1_27scan_by_key_config_selectorIxxEEZZNS1_16scan_by_key_implILNS1_25lookback_scan_determinismE0ELb0ES3_N6thrust23THRUST_200600_302600_NS6detail15normal_iteratorINS9_10device_ptrIxEEEESE_SE_xNS9_4plusIxEE19head_flag_predicatexEE10hipError_tPvRmT2_T3_T4_T5_mT6_T7_P12ihipStream_tbENKUlT_T0_E_clISt17integral_constantIbLb0EESY_EEDaST_SU_EUlST_E_NS1_11comp_targetILNS1_3genE2ELNS1_11target_archE906ELNS1_3gpuE6ELNS1_3repE0EEENS1_30default_config_static_selectorELNS0_4arch9wavefront6targetE1EEEvT1_: ; @_ZN7rocprim17ROCPRIM_400000_NS6detail17trampoline_kernelINS0_14default_configENS1_27scan_by_key_config_selectorIxxEEZZNS1_16scan_by_key_implILNS1_25lookback_scan_determinismE0ELb0ES3_N6thrust23THRUST_200600_302600_NS6detail15normal_iteratorINS9_10device_ptrIxEEEESE_SE_xNS9_4plusIxEE19head_flag_predicatexEE10hipError_tPvRmT2_T3_T4_T5_mT6_T7_P12ihipStream_tbENKUlT_T0_E_clISt17integral_constantIbLb0EESY_EEDaST_SU_EUlST_E_NS1_11comp_targetILNS1_3genE2ELNS1_11target_archE906ELNS1_3gpuE6ELNS1_3repE0EEENS1_30default_config_static_selectorELNS0_4arch9wavefront6targetE1EEEvT1_
; %bb.0:
	.section	.rodata,"a",@progbits
	.p2align	6, 0x0
	.amdhsa_kernel _ZN7rocprim17ROCPRIM_400000_NS6detail17trampoline_kernelINS0_14default_configENS1_27scan_by_key_config_selectorIxxEEZZNS1_16scan_by_key_implILNS1_25lookback_scan_determinismE0ELb0ES3_N6thrust23THRUST_200600_302600_NS6detail15normal_iteratorINS9_10device_ptrIxEEEESE_SE_xNS9_4plusIxEE19head_flag_predicatexEE10hipError_tPvRmT2_T3_T4_T5_mT6_T7_P12ihipStream_tbENKUlT_T0_E_clISt17integral_constantIbLb0EESY_EEDaST_SU_EUlST_E_NS1_11comp_targetILNS1_3genE2ELNS1_11target_archE906ELNS1_3gpuE6ELNS1_3repE0EEENS1_30default_config_static_selectorELNS0_4arch9wavefront6targetE1EEEvT1_
		.amdhsa_group_segment_fixed_size 0
		.amdhsa_private_segment_fixed_size 0
		.amdhsa_kernarg_size 136
		.amdhsa_user_sgpr_count 6
		.amdhsa_user_sgpr_private_segment_buffer 1
		.amdhsa_user_sgpr_dispatch_ptr 0
		.amdhsa_user_sgpr_queue_ptr 0
		.amdhsa_user_sgpr_kernarg_segment_ptr 1
		.amdhsa_user_sgpr_dispatch_id 0
		.amdhsa_user_sgpr_flat_scratch_init 0
		.amdhsa_user_sgpr_kernarg_preload_length 0
		.amdhsa_user_sgpr_kernarg_preload_offset 0
		.amdhsa_user_sgpr_private_segment_size 0
		.amdhsa_uses_dynamic_stack 0
		.amdhsa_system_sgpr_private_segment_wavefront_offset 0
		.amdhsa_system_sgpr_workgroup_id_x 1
		.amdhsa_system_sgpr_workgroup_id_y 0
		.amdhsa_system_sgpr_workgroup_id_z 0
		.amdhsa_system_sgpr_workgroup_info 0
		.amdhsa_system_vgpr_workitem_id 0
		.amdhsa_next_free_vgpr 1
		.amdhsa_next_free_sgpr 0
		.amdhsa_accum_offset 4
		.amdhsa_reserve_vcc 0
		.amdhsa_reserve_flat_scratch 0
		.amdhsa_float_round_mode_32 0
		.amdhsa_float_round_mode_16_64 0
		.amdhsa_float_denorm_mode_32 3
		.amdhsa_float_denorm_mode_16_64 3
		.amdhsa_dx10_clamp 1
		.amdhsa_ieee_mode 1
		.amdhsa_fp16_overflow 0
		.amdhsa_tg_split 0
		.amdhsa_exception_fp_ieee_invalid_op 0
		.amdhsa_exception_fp_denorm_src 0
		.amdhsa_exception_fp_ieee_div_zero 0
		.amdhsa_exception_fp_ieee_overflow 0
		.amdhsa_exception_fp_ieee_underflow 0
		.amdhsa_exception_fp_ieee_inexact 0
		.amdhsa_exception_int_div_zero 0
	.end_amdhsa_kernel
	.section	.text._ZN7rocprim17ROCPRIM_400000_NS6detail17trampoline_kernelINS0_14default_configENS1_27scan_by_key_config_selectorIxxEEZZNS1_16scan_by_key_implILNS1_25lookback_scan_determinismE0ELb0ES3_N6thrust23THRUST_200600_302600_NS6detail15normal_iteratorINS9_10device_ptrIxEEEESE_SE_xNS9_4plusIxEE19head_flag_predicatexEE10hipError_tPvRmT2_T3_T4_T5_mT6_T7_P12ihipStream_tbENKUlT_T0_E_clISt17integral_constantIbLb0EESY_EEDaST_SU_EUlST_E_NS1_11comp_targetILNS1_3genE2ELNS1_11target_archE906ELNS1_3gpuE6ELNS1_3repE0EEENS1_30default_config_static_selectorELNS0_4arch9wavefront6targetE1EEEvT1_,"axG",@progbits,_ZN7rocprim17ROCPRIM_400000_NS6detail17trampoline_kernelINS0_14default_configENS1_27scan_by_key_config_selectorIxxEEZZNS1_16scan_by_key_implILNS1_25lookback_scan_determinismE0ELb0ES3_N6thrust23THRUST_200600_302600_NS6detail15normal_iteratorINS9_10device_ptrIxEEEESE_SE_xNS9_4plusIxEE19head_flag_predicatexEE10hipError_tPvRmT2_T3_T4_T5_mT6_T7_P12ihipStream_tbENKUlT_T0_E_clISt17integral_constantIbLb0EESY_EEDaST_SU_EUlST_E_NS1_11comp_targetILNS1_3genE2ELNS1_11target_archE906ELNS1_3gpuE6ELNS1_3repE0EEENS1_30default_config_static_selectorELNS0_4arch9wavefront6targetE1EEEvT1_,comdat
.Lfunc_end682:
	.size	_ZN7rocprim17ROCPRIM_400000_NS6detail17trampoline_kernelINS0_14default_configENS1_27scan_by_key_config_selectorIxxEEZZNS1_16scan_by_key_implILNS1_25lookback_scan_determinismE0ELb0ES3_N6thrust23THRUST_200600_302600_NS6detail15normal_iteratorINS9_10device_ptrIxEEEESE_SE_xNS9_4plusIxEE19head_flag_predicatexEE10hipError_tPvRmT2_T3_T4_T5_mT6_T7_P12ihipStream_tbENKUlT_T0_E_clISt17integral_constantIbLb0EESY_EEDaST_SU_EUlST_E_NS1_11comp_targetILNS1_3genE2ELNS1_11target_archE906ELNS1_3gpuE6ELNS1_3repE0EEENS1_30default_config_static_selectorELNS0_4arch9wavefront6targetE1EEEvT1_, .Lfunc_end682-_ZN7rocprim17ROCPRIM_400000_NS6detail17trampoline_kernelINS0_14default_configENS1_27scan_by_key_config_selectorIxxEEZZNS1_16scan_by_key_implILNS1_25lookback_scan_determinismE0ELb0ES3_N6thrust23THRUST_200600_302600_NS6detail15normal_iteratorINS9_10device_ptrIxEEEESE_SE_xNS9_4plusIxEE19head_flag_predicatexEE10hipError_tPvRmT2_T3_T4_T5_mT6_T7_P12ihipStream_tbENKUlT_T0_E_clISt17integral_constantIbLb0EESY_EEDaST_SU_EUlST_E_NS1_11comp_targetILNS1_3genE2ELNS1_11target_archE906ELNS1_3gpuE6ELNS1_3repE0EEENS1_30default_config_static_selectorELNS0_4arch9wavefront6targetE1EEEvT1_
                                        ; -- End function
	.section	.AMDGPU.csdata,"",@progbits
; Kernel info:
; codeLenInByte = 0
; NumSgprs: 4
; NumVgprs: 0
; NumAgprs: 0
; TotalNumVgprs: 0
; ScratchSize: 0
; MemoryBound: 0
; FloatMode: 240
; IeeeMode: 1
; LDSByteSize: 0 bytes/workgroup (compile time only)
; SGPRBlocks: 0
; VGPRBlocks: 0
; NumSGPRsForWavesPerEU: 4
; NumVGPRsForWavesPerEU: 1
; AccumOffset: 4
; Occupancy: 8
; WaveLimiterHint : 0
; COMPUTE_PGM_RSRC2:SCRATCH_EN: 0
; COMPUTE_PGM_RSRC2:USER_SGPR: 6
; COMPUTE_PGM_RSRC2:TRAP_HANDLER: 0
; COMPUTE_PGM_RSRC2:TGID_X_EN: 1
; COMPUTE_PGM_RSRC2:TGID_Y_EN: 0
; COMPUTE_PGM_RSRC2:TGID_Z_EN: 0
; COMPUTE_PGM_RSRC2:TIDIG_COMP_CNT: 0
; COMPUTE_PGM_RSRC3_GFX90A:ACCUM_OFFSET: 0
; COMPUTE_PGM_RSRC3_GFX90A:TG_SPLIT: 0
	.section	.text._ZN7rocprim17ROCPRIM_400000_NS6detail17trampoline_kernelINS0_14default_configENS1_27scan_by_key_config_selectorIxxEEZZNS1_16scan_by_key_implILNS1_25lookback_scan_determinismE0ELb0ES3_N6thrust23THRUST_200600_302600_NS6detail15normal_iteratorINS9_10device_ptrIxEEEESE_SE_xNS9_4plusIxEE19head_flag_predicatexEE10hipError_tPvRmT2_T3_T4_T5_mT6_T7_P12ihipStream_tbENKUlT_T0_E_clISt17integral_constantIbLb0EESY_EEDaST_SU_EUlST_E_NS1_11comp_targetILNS1_3genE10ELNS1_11target_archE1200ELNS1_3gpuE4ELNS1_3repE0EEENS1_30default_config_static_selectorELNS0_4arch9wavefront6targetE1EEEvT1_,"axG",@progbits,_ZN7rocprim17ROCPRIM_400000_NS6detail17trampoline_kernelINS0_14default_configENS1_27scan_by_key_config_selectorIxxEEZZNS1_16scan_by_key_implILNS1_25lookback_scan_determinismE0ELb0ES3_N6thrust23THRUST_200600_302600_NS6detail15normal_iteratorINS9_10device_ptrIxEEEESE_SE_xNS9_4plusIxEE19head_flag_predicatexEE10hipError_tPvRmT2_T3_T4_T5_mT6_T7_P12ihipStream_tbENKUlT_T0_E_clISt17integral_constantIbLb0EESY_EEDaST_SU_EUlST_E_NS1_11comp_targetILNS1_3genE10ELNS1_11target_archE1200ELNS1_3gpuE4ELNS1_3repE0EEENS1_30default_config_static_selectorELNS0_4arch9wavefront6targetE1EEEvT1_,comdat
	.protected	_ZN7rocprim17ROCPRIM_400000_NS6detail17trampoline_kernelINS0_14default_configENS1_27scan_by_key_config_selectorIxxEEZZNS1_16scan_by_key_implILNS1_25lookback_scan_determinismE0ELb0ES3_N6thrust23THRUST_200600_302600_NS6detail15normal_iteratorINS9_10device_ptrIxEEEESE_SE_xNS9_4plusIxEE19head_flag_predicatexEE10hipError_tPvRmT2_T3_T4_T5_mT6_T7_P12ihipStream_tbENKUlT_T0_E_clISt17integral_constantIbLb0EESY_EEDaST_SU_EUlST_E_NS1_11comp_targetILNS1_3genE10ELNS1_11target_archE1200ELNS1_3gpuE4ELNS1_3repE0EEENS1_30default_config_static_selectorELNS0_4arch9wavefront6targetE1EEEvT1_ ; -- Begin function _ZN7rocprim17ROCPRIM_400000_NS6detail17trampoline_kernelINS0_14default_configENS1_27scan_by_key_config_selectorIxxEEZZNS1_16scan_by_key_implILNS1_25lookback_scan_determinismE0ELb0ES3_N6thrust23THRUST_200600_302600_NS6detail15normal_iteratorINS9_10device_ptrIxEEEESE_SE_xNS9_4plusIxEE19head_flag_predicatexEE10hipError_tPvRmT2_T3_T4_T5_mT6_T7_P12ihipStream_tbENKUlT_T0_E_clISt17integral_constantIbLb0EESY_EEDaST_SU_EUlST_E_NS1_11comp_targetILNS1_3genE10ELNS1_11target_archE1200ELNS1_3gpuE4ELNS1_3repE0EEENS1_30default_config_static_selectorELNS0_4arch9wavefront6targetE1EEEvT1_
	.globl	_ZN7rocprim17ROCPRIM_400000_NS6detail17trampoline_kernelINS0_14default_configENS1_27scan_by_key_config_selectorIxxEEZZNS1_16scan_by_key_implILNS1_25lookback_scan_determinismE0ELb0ES3_N6thrust23THRUST_200600_302600_NS6detail15normal_iteratorINS9_10device_ptrIxEEEESE_SE_xNS9_4plusIxEE19head_flag_predicatexEE10hipError_tPvRmT2_T3_T4_T5_mT6_T7_P12ihipStream_tbENKUlT_T0_E_clISt17integral_constantIbLb0EESY_EEDaST_SU_EUlST_E_NS1_11comp_targetILNS1_3genE10ELNS1_11target_archE1200ELNS1_3gpuE4ELNS1_3repE0EEENS1_30default_config_static_selectorELNS0_4arch9wavefront6targetE1EEEvT1_
	.p2align	8
	.type	_ZN7rocprim17ROCPRIM_400000_NS6detail17trampoline_kernelINS0_14default_configENS1_27scan_by_key_config_selectorIxxEEZZNS1_16scan_by_key_implILNS1_25lookback_scan_determinismE0ELb0ES3_N6thrust23THRUST_200600_302600_NS6detail15normal_iteratorINS9_10device_ptrIxEEEESE_SE_xNS9_4plusIxEE19head_flag_predicatexEE10hipError_tPvRmT2_T3_T4_T5_mT6_T7_P12ihipStream_tbENKUlT_T0_E_clISt17integral_constantIbLb0EESY_EEDaST_SU_EUlST_E_NS1_11comp_targetILNS1_3genE10ELNS1_11target_archE1200ELNS1_3gpuE4ELNS1_3repE0EEENS1_30default_config_static_selectorELNS0_4arch9wavefront6targetE1EEEvT1_,@function
_ZN7rocprim17ROCPRIM_400000_NS6detail17trampoline_kernelINS0_14default_configENS1_27scan_by_key_config_selectorIxxEEZZNS1_16scan_by_key_implILNS1_25lookback_scan_determinismE0ELb0ES3_N6thrust23THRUST_200600_302600_NS6detail15normal_iteratorINS9_10device_ptrIxEEEESE_SE_xNS9_4plusIxEE19head_flag_predicatexEE10hipError_tPvRmT2_T3_T4_T5_mT6_T7_P12ihipStream_tbENKUlT_T0_E_clISt17integral_constantIbLb0EESY_EEDaST_SU_EUlST_E_NS1_11comp_targetILNS1_3genE10ELNS1_11target_archE1200ELNS1_3gpuE4ELNS1_3repE0EEENS1_30default_config_static_selectorELNS0_4arch9wavefront6targetE1EEEvT1_: ; @_ZN7rocprim17ROCPRIM_400000_NS6detail17trampoline_kernelINS0_14default_configENS1_27scan_by_key_config_selectorIxxEEZZNS1_16scan_by_key_implILNS1_25lookback_scan_determinismE0ELb0ES3_N6thrust23THRUST_200600_302600_NS6detail15normal_iteratorINS9_10device_ptrIxEEEESE_SE_xNS9_4plusIxEE19head_flag_predicatexEE10hipError_tPvRmT2_T3_T4_T5_mT6_T7_P12ihipStream_tbENKUlT_T0_E_clISt17integral_constantIbLb0EESY_EEDaST_SU_EUlST_E_NS1_11comp_targetILNS1_3genE10ELNS1_11target_archE1200ELNS1_3gpuE4ELNS1_3repE0EEENS1_30default_config_static_selectorELNS0_4arch9wavefront6targetE1EEEvT1_
; %bb.0:
	.section	.rodata,"a",@progbits
	.p2align	6, 0x0
	.amdhsa_kernel _ZN7rocprim17ROCPRIM_400000_NS6detail17trampoline_kernelINS0_14default_configENS1_27scan_by_key_config_selectorIxxEEZZNS1_16scan_by_key_implILNS1_25lookback_scan_determinismE0ELb0ES3_N6thrust23THRUST_200600_302600_NS6detail15normal_iteratorINS9_10device_ptrIxEEEESE_SE_xNS9_4plusIxEE19head_flag_predicatexEE10hipError_tPvRmT2_T3_T4_T5_mT6_T7_P12ihipStream_tbENKUlT_T0_E_clISt17integral_constantIbLb0EESY_EEDaST_SU_EUlST_E_NS1_11comp_targetILNS1_3genE10ELNS1_11target_archE1200ELNS1_3gpuE4ELNS1_3repE0EEENS1_30default_config_static_selectorELNS0_4arch9wavefront6targetE1EEEvT1_
		.amdhsa_group_segment_fixed_size 0
		.amdhsa_private_segment_fixed_size 0
		.amdhsa_kernarg_size 136
		.amdhsa_user_sgpr_count 6
		.amdhsa_user_sgpr_private_segment_buffer 1
		.amdhsa_user_sgpr_dispatch_ptr 0
		.amdhsa_user_sgpr_queue_ptr 0
		.amdhsa_user_sgpr_kernarg_segment_ptr 1
		.amdhsa_user_sgpr_dispatch_id 0
		.amdhsa_user_sgpr_flat_scratch_init 0
		.amdhsa_user_sgpr_kernarg_preload_length 0
		.amdhsa_user_sgpr_kernarg_preload_offset 0
		.amdhsa_user_sgpr_private_segment_size 0
		.amdhsa_uses_dynamic_stack 0
		.amdhsa_system_sgpr_private_segment_wavefront_offset 0
		.amdhsa_system_sgpr_workgroup_id_x 1
		.amdhsa_system_sgpr_workgroup_id_y 0
		.amdhsa_system_sgpr_workgroup_id_z 0
		.amdhsa_system_sgpr_workgroup_info 0
		.amdhsa_system_vgpr_workitem_id 0
		.amdhsa_next_free_vgpr 1
		.amdhsa_next_free_sgpr 0
		.amdhsa_accum_offset 4
		.amdhsa_reserve_vcc 0
		.amdhsa_reserve_flat_scratch 0
		.amdhsa_float_round_mode_32 0
		.amdhsa_float_round_mode_16_64 0
		.amdhsa_float_denorm_mode_32 3
		.amdhsa_float_denorm_mode_16_64 3
		.amdhsa_dx10_clamp 1
		.amdhsa_ieee_mode 1
		.amdhsa_fp16_overflow 0
		.amdhsa_tg_split 0
		.amdhsa_exception_fp_ieee_invalid_op 0
		.amdhsa_exception_fp_denorm_src 0
		.amdhsa_exception_fp_ieee_div_zero 0
		.amdhsa_exception_fp_ieee_overflow 0
		.amdhsa_exception_fp_ieee_underflow 0
		.amdhsa_exception_fp_ieee_inexact 0
		.amdhsa_exception_int_div_zero 0
	.end_amdhsa_kernel
	.section	.text._ZN7rocprim17ROCPRIM_400000_NS6detail17trampoline_kernelINS0_14default_configENS1_27scan_by_key_config_selectorIxxEEZZNS1_16scan_by_key_implILNS1_25lookback_scan_determinismE0ELb0ES3_N6thrust23THRUST_200600_302600_NS6detail15normal_iteratorINS9_10device_ptrIxEEEESE_SE_xNS9_4plusIxEE19head_flag_predicatexEE10hipError_tPvRmT2_T3_T4_T5_mT6_T7_P12ihipStream_tbENKUlT_T0_E_clISt17integral_constantIbLb0EESY_EEDaST_SU_EUlST_E_NS1_11comp_targetILNS1_3genE10ELNS1_11target_archE1200ELNS1_3gpuE4ELNS1_3repE0EEENS1_30default_config_static_selectorELNS0_4arch9wavefront6targetE1EEEvT1_,"axG",@progbits,_ZN7rocprim17ROCPRIM_400000_NS6detail17trampoline_kernelINS0_14default_configENS1_27scan_by_key_config_selectorIxxEEZZNS1_16scan_by_key_implILNS1_25lookback_scan_determinismE0ELb0ES3_N6thrust23THRUST_200600_302600_NS6detail15normal_iteratorINS9_10device_ptrIxEEEESE_SE_xNS9_4plusIxEE19head_flag_predicatexEE10hipError_tPvRmT2_T3_T4_T5_mT6_T7_P12ihipStream_tbENKUlT_T0_E_clISt17integral_constantIbLb0EESY_EEDaST_SU_EUlST_E_NS1_11comp_targetILNS1_3genE10ELNS1_11target_archE1200ELNS1_3gpuE4ELNS1_3repE0EEENS1_30default_config_static_selectorELNS0_4arch9wavefront6targetE1EEEvT1_,comdat
.Lfunc_end683:
	.size	_ZN7rocprim17ROCPRIM_400000_NS6detail17trampoline_kernelINS0_14default_configENS1_27scan_by_key_config_selectorIxxEEZZNS1_16scan_by_key_implILNS1_25lookback_scan_determinismE0ELb0ES3_N6thrust23THRUST_200600_302600_NS6detail15normal_iteratorINS9_10device_ptrIxEEEESE_SE_xNS9_4plusIxEE19head_flag_predicatexEE10hipError_tPvRmT2_T3_T4_T5_mT6_T7_P12ihipStream_tbENKUlT_T0_E_clISt17integral_constantIbLb0EESY_EEDaST_SU_EUlST_E_NS1_11comp_targetILNS1_3genE10ELNS1_11target_archE1200ELNS1_3gpuE4ELNS1_3repE0EEENS1_30default_config_static_selectorELNS0_4arch9wavefront6targetE1EEEvT1_, .Lfunc_end683-_ZN7rocprim17ROCPRIM_400000_NS6detail17trampoline_kernelINS0_14default_configENS1_27scan_by_key_config_selectorIxxEEZZNS1_16scan_by_key_implILNS1_25lookback_scan_determinismE0ELb0ES3_N6thrust23THRUST_200600_302600_NS6detail15normal_iteratorINS9_10device_ptrIxEEEESE_SE_xNS9_4plusIxEE19head_flag_predicatexEE10hipError_tPvRmT2_T3_T4_T5_mT6_T7_P12ihipStream_tbENKUlT_T0_E_clISt17integral_constantIbLb0EESY_EEDaST_SU_EUlST_E_NS1_11comp_targetILNS1_3genE10ELNS1_11target_archE1200ELNS1_3gpuE4ELNS1_3repE0EEENS1_30default_config_static_selectorELNS0_4arch9wavefront6targetE1EEEvT1_
                                        ; -- End function
	.section	.AMDGPU.csdata,"",@progbits
; Kernel info:
; codeLenInByte = 0
; NumSgprs: 4
; NumVgprs: 0
; NumAgprs: 0
; TotalNumVgprs: 0
; ScratchSize: 0
; MemoryBound: 0
; FloatMode: 240
; IeeeMode: 1
; LDSByteSize: 0 bytes/workgroup (compile time only)
; SGPRBlocks: 0
; VGPRBlocks: 0
; NumSGPRsForWavesPerEU: 4
; NumVGPRsForWavesPerEU: 1
; AccumOffset: 4
; Occupancy: 8
; WaveLimiterHint : 0
; COMPUTE_PGM_RSRC2:SCRATCH_EN: 0
; COMPUTE_PGM_RSRC2:USER_SGPR: 6
; COMPUTE_PGM_RSRC2:TRAP_HANDLER: 0
; COMPUTE_PGM_RSRC2:TGID_X_EN: 1
; COMPUTE_PGM_RSRC2:TGID_Y_EN: 0
; COMPUTE_PGM_RSRC2:TGID_Z_EN: 0
; COMPUTE_PGM_RSRC2:TIDIG_COMP_CNT: 0
; COMPUTE_PGM_RSRC3_GFX90A:ACCUM_OFFSET: 0
; COMPUTE_PGM_RSRC3_GFX90A:TG_SPLIT: 0
	.section	.text._ZN7rocprim17ROCPRIM_400000_NS6detail17trampoline_kernelINS0_14default_configENS1_27scan_by_key_config_selectorIxxEEZZNS1_16scan_by_key_implILNS1_25lookback_scan_determinismE0ELb0ES3_N6thrust23THRUST_200600_302600_NS6detail15normal_iteratorINS9_10device_ptrIxEEEESE_SE_xNS9_4plusIxEE19head_flag_predicatexEE10hipError_tPvRmT2_T3_T4_T5_mT6_T7_P12ihipStream_tbENKUlT_T0_E_clISt17integral_constantIbLb0EESY_EEDaST_SU_EUlST_E_NS1_11comp_targetILNS1_3genE9ELNS1_11target_archE1100ELNS1_3gpuE3ELNS1_3repE0EEENS1_30default_config_static_selectorELNS0_4arch9wavefront6targetE1EEEvT1_,"axG",@progbits,_ZN7rocprim17ROCPRIM_400000_NS6detail17trampoline_kernelINS0_14default_configENS1_27scan_by_key_config_selectorIxxEEZZNS1_16scan_by_key_implILNS1_25lookback_scan_determinismE0ELb0ES3_N6thrust23THRUST_200600_302600_NS6detail15normal_iteratorINS9_10device_ptrIxEEEESE_SE_xNS9_4plusIxEE19head_flag_predicatexEE10hipError_tPvRmT2_T3_T4_T5_mT6_T7_P12ihipStream_tbENKUlT_T0_E_clISt17integral_constantIbLb0EESY_EEDaST_SU_EUlST_E_NS1_11comp_targetILNS1_3genE9ELNS1_11target_archE1100ELNS1_3gpuE3ELNS1_3repE0EEENS1_30default_config_static_selectorELNS0_4arch9wavefront6targetE1EEEvT1_,comdat
	.protected	_ZN7rocprim17ROCPRIM_400000_NS6detail17trampoline_kernelINS0_14default_configENS1_27scan_by_key_config_selectorIxxEEZZNS1_16scan_by_key_implILNS1_25lookback_scan_determinismE0ELb0ES3_N6thrust23THRUST_200600_302600_NS6detail15normal_iteratorINS9_10device_ptrIxEEEESE_SE_xNS9_4plusIxEE19head_flag_predicatexEE10hipError_tPvRmT2_T3_T4_T5_mT6_T7_P12ihipStream_tbENKUlT_T0_E_clISt17integral_constantIbLb0EESY_EEDaST_SU_EUlST_E_NS1_11comp_targetILNS1_3genE9ELNS1_11target_archE1100ELNS1_3gpuE3ELNS1_3repE0EEENS1_30default_config_static_selectorELNS0_4arch9wavefront6targetE1EEEvT1_ ; -- Begin function _ZN7rocprim17ROCPRIM_400000_NS6detail17trampoline_kernelINS0_14default_configENS1_27scan_by_key_config_selectorIxxEEZZNS1_16scan_by_key_implILNS1_25lookback_scan_determinismE0ELb0ES3_N6thrust23THRUST_200600_302600_NS6detail15normal_iteratorINS9_10device_ptrIxEEEESE_SE_xNS9_4plusIxEE19head_flag_predicatexEE10hipError_tPvRmT2_T3_T4_T5_mT6_T7_P12ihipStream_tbENKUlT_T0_E_clISt17integral_constantIbLb0EESY_EEDaST_SU_EUlST_E_NS1_11comp_targetILNS1_3genE9ELNS1_11target_archE1100ELNS1_3gpuE3ELNS1_3repE0EEENS1_30default_config_static_selectorELNS0_4arch9wavefront6targetE1EEEvT1_
	.globl	_ZN7rocprim17ROCPRIM_400000_NS6detail17trampoline_kernelINS0_14default_configENS1_27scan_by_key_config_selectorIxxEEZZNS1_16scan_by_key_implILNS1_25lookback_scan_determinismE0ELb0ES3_N6thrust23THRUST_200600_302600_NS6detail15normal_iteratorINS9_10device_ptrIxEEEESE_SE_xNS9_4plusIxEE19head_flag_predicatexEE10hipError_tPvRmT2_T3_T4_T5_mT6_T7_P12ihipStream_tbENKUlT_T0_E_clISt17integral_constantIbLb0EESY_EEDaST_SU_EUlST_E_NS1_11comp_targetILNS1_3genE9ELNS1_11target_archE1100ELNS1_3gpuE3ELNS1_3repE0EEENS1_30default_config_static_selectorELNS0_4arch9wavefront6targetE1EEEvT1_
	.p2align	8
	.type	_ZN7rocprim17ROCPRIM_400000_NS6detail17trampoline_kernelINS0_14default_configENS1_27scan_by_key_config_selectorIxxEEZZNS1_16scan_by_key_implILNS1_25lookback_scan_determinismE0ELb0ES3_N6thrust23THRUST_200600_302600_NS6detail15normal_iteratorINS9_10device_ptrIxEEEESE_SE_xNS9_4plusIxEE19head_flag_predicatexEE10hipError_tPvRmT2_T3_T4_T5_mT6_T7_P12ihipStream_tbENKUlT_T0_E_clISt17integral_constantIbLb0EESY_EEDaST_SU_EUlST_E_NS1_11comp_targetILNS1_3genE9ELNS1_11target_archE1100ELNS1_3gpuE3ELNS1_3repE0EEENS1_30default_config_static_selectorELNS0_4arch9wavefront6targetE1EEEvT1_,@function
_ZN7rocprim17ROCPRIM_400000_NS6detail17trampoline_kernelINS0_14default_configENS1_27scan_by_key_config_selectorIxxEEZZNS1_16scan_by_key_implILNS1_25lookback_scan_determinismE0ELb0ES3_N6thrust23THRUST_200600_302600_NS6detail15normal_iteratorINS9_10device_ptrIxEEEESE_SE_xNS9_4plusIxEE19head_flag_predicatexEE10hipError_tPvRmT2_T3_T4_T5_mT6_T7_P12ihipStream_tbENKUlT_T0_E_clISt17integral_constantIbLb0EESY_EEDaST_SU_EUlST_E_NS1_11comp_targetILNS1_3genE9ELNS1_11target_archE1100ELNS1_3gpuE3ELNS1_3repE0EEENS1_30default_config_static_selectorELNS0_4arch9wavefront6targetE1EEEvT1_: ; @_ZN7rocprim17ROCPRIM_400000_NS6detail17trampoline_kernelINS0_14default_configENS1_27scan_by_key_config_selectorIxxEEZZNS1_16scan_by_key_implILNS1_25lookback_scan_determinismE0ELb0ES3_N6thrust23THRUST_200600_302600_NS6detail15normal_iteratorINS9_10device_ptrIxEEEESE_SE_xNS9_4plusIxEE19head_flag_predicatexEE10hipError_tPvRmT2_T3_T4_T5_mT6_T7_P12ihipStream_tbENKUlT_T0_E_clISt17integral_constantIbLb0EESY_EEDaST_SU_EUlST_E_NS1_11comp_targetILNS1_3genE9ELNS1_11target_archE1100ELNS1_3gpuE3ELNS1_3repE0EEENS1_30default_config_static_selectorELNS0_4arch9wavefront6targetE1EEEvT1_
; %bb.0:
	.section	.rodata,"a",@progbits
	.p2align	6, 0x0
	.amdhsa_kernel _ZN7rocprim17ROCPRIM_400000_NS6detail17trampoline_kernelINS0_14default_configENS1_27scan_by_key_config_selectorIxxEEZZNS1_16scan_by_key_implILNS1_25lookback_scan_determinismE0ELb0ES3_N6thrust23THRUST_200600_302600_NS6detail15normal_iteratorINS9_10device_ptrIxEEEESE_SE_xNS9_4plusIxEE19head_flag_predicatexEE10hipError_tPvRmT2_T3_T4_T5_mT6_T7_P12ihipStream_tbENKUlT_T0_E_clISt17integral_constantIbLb0EESY_EEDaST_SU_EUlST_E_NS1_11comp_targetILNS1_3genE9ELNS1_11target_archE1100ELNS1_3gpuE3ELNS1_3repE0EEENS1_30default_config_static_selectorELNS0_4arch9wavefront6targetE1EEEvT1_
		.amdhsa_group_segment_fixed_size 0
		.amdhsa_private_segment_fixed_size 0
		.amdhsa_kernarg_size 136
		.amdhsa_user_sgpr_count 6
		.amdhsa_user_sgpr_private_segment_buffer 1
		.amdhsa_user_sgpr_dispatch_ptr 0
		.amdhsa_user_sgpr_queue_ptr 0
		.amdhsa_user_sgpr_kernarg_segment_ptr 1
		.amdhsa_user_sgpr_dispatch_id 0
		.amdhsa_user_sgpr_flat_scratch_init 0
		.amdhsa_user_sgpr_kernarg_preload_length 0
		.amdhsa_user_sgpr_kernarg_preload_offset 0
		.amdhsa_user_sgpr_private_segment_size 0
		.amdhsa_uses_dynamic_stack 0
		.amdhsa_system_sgpr_private_segment_wavefront_offset 0
		.amdhsa_system_sgpr_workgroup_id_x 1
		.amdhsa_system_sgpr_workgroup_id_y 0
		.amdhsa_system_sgpr_workgroup_id_z 0
		.amdhsa_system_sgpr_workgroup_info 0
		.amdhsa_system_vgpr_workitem_id 0
		.amdhsa_next_free_vgpr 1
		.amdhsa_next_free_sgpr 0
		.amdhsa_accum_offset 4
		.amdhsa_reserve_vcc 0
		.amdhsa_reserve_flat_scratch 0
		.amdhsa_float_round_mode_32 0
		.amdhsa_float_round_mode_16_64 0
		.amdhsa_float_denorm_mode_32 3
		.amdhsa_float_denorm_mode_16_64 3
		.amdhsa_dx10_clamp 1
		.amdhsa_ieee_mode 1
		.amdhsa_fp16_overflow 0
		.amdhsa_tg_split 0
		.amdhsa_exception_fp_ieee_invalid_op 0
		.amdhsa_exception_fp_denorm_src 0
		.amdhsa_exception_fp_ieee_div_zero 0
		.amdhsa_exception_fp_ieee_overflow 0
		.amdhsa_exception_fp_ieee_underflow 0
		.amdhsa_exception_fp_ieee_inexact 0
		.amdhsa_exception_int_div_zero 0
	.end_amdhsa_kernel
	.section	.text._ZN7rocprim17ROCPRIM_400000_NS6detail17trampoline_kernelINS0_14default_configENS1_27scan_by_key_config_selectorIxxEEZZNS1_16scan_by_key_implILNS1_25lookback_scan_determinismE0ELb0ES3_N6thrust23THRUST_200600_302600_NS6detail15normal_iteratorINS9_10device_ptrIxEEEESE_SE_xNS9_4plusIxEE19head_flag_predicatexEE10hipError_tPvRmT2_T3_T4_T5_mT6_T7_P12ihipStream_tbENKUlT_T0_E_clISt17integral_constantIbLb0EESY_EEDaST_SU_EUlST_E_NS1_11comp_targetILNS1_3genE9ELNS1_11target_archE1100ELNS1_3gpuE3ELNS1_3repE0EEENS1_30default_config_static_selectorELNS0_4arch9wavefront6targetE1EEEvT1_,"axG",@progbits,_ZN7rocprim17ROCPRIM_400000_NS6detail17trampoline_kernelINS0_14default_configENS1_27scan_by_key_config_selectorIxxEEZZNS1_16scan_by_key_implILNS1_25lookback_scan_determinismE0ELb0ES3_N6thrust23THRUST_200600_302600_NS6detail15normal_iteratorINS9_10device_ptrIxEEEESE_SE_xNS9_4plusIxEE19head_flag_predicatexEE10hipError_tPvRmT2_T3_T4_T5_mT6_T7_P12ihipStream_tbENKUlT_T0_E_clISt17integral_constantIbLb0EESY_EEDaST_SU_EUlST_E_NS1_11comp_targetILNS1_3genE9ELNS1_11target_archE1100ELNS1_3gpuE3ELNS1_3repE0EEENS1_30default_config_static_selectorELNS0_4arch9wavefront6targetE1EEEvT1_,comdat
.Lfunc_end684:
	.size	_ZN7rocprim17ROCPRIM_400000_NS6detail17trampoline_kernelINS0_14default_configENS1_27scan_by_key_config_selectorIxxEEZZNS1_16scan_by_key_implILNS1_25lookback_scan_determinismE0ELb0ES3_N6thrust23THRUST_200600_302600_NS6detail15normal_iteratorINS9_10device_ptrIxEEEESE_SE_xNS9_4plusIxEE19head_flag_predicatexEE10hipError_tPvRmT2_T3_T4_T5_mT6_T7_P12ihipStream_tbENKUlT_T0_E_clISt17integral_constantIbLb0EESY_EEDaST_SU_EUlST_E_NS1_11comp_targetILNS1_3genE9ELNS1_11target_archE1100ELNS1_3gpuE3ELNS1_3repE0EEENS1_30default_config_static_selectorELNS0_4arch9wavefront6targetE1EEEvT1_, .Lfunc_end684-_ZN7rocprim17ROCPRIM_400000_NS6detail17trampoline_kernelINS0_14default_configENS1_27scan_by_key_config_selectorIxxEEZZNS1_16scan_by_key_implILNS1_25lookback_scan_determinismE0ELb0ES3_N6thrust23THRUST_200600_302600_NS6detail15normal_iteratorINS9_10device_ptrIxEEEESE_SE_xNS9_4plusIxEE19head_flag_predicatexEE10hipError_tPvRmT2_T3_T4_T5_mT6_T7_P12ihipStream_tbENKUlT_T0_E_clISt17integral_constantIbLb0EESY_EEDaST_SU_EUlST_E_NS1_11comp_targetILNS1_3genE9ELNS1_11target_archE1100ELNS1_3gpuE3ELNS1_3repE0EEENS1_30default_config_static_selectorELNS0_4arch9wavefront6targetE1EEEvT1_
                                        ; -- End function
	.section	.AMDGPU.csdata,"",@progbits
; Kernel info:
; codeLenInByte = 0
; NumSgprs: 4
; NumVgprs: 0
; NumAgprs: 0
; TotalNumVgprs: 0
; ScratchSize: 0
; MemoryBound: 0
; FloatMode: 240
; IeeeMode: 1
; LDSByteSize: 0 bytes/workgroup (compile time only)
; SGPRBlocks: 0
; VGPRBlocks: 0
; NumSGPRsForWavesPerEU: 4
; NumVGPRsForWavesPerEU: 1
; AccumOffset: 4
; Occupancy: 8
; WaveLimiterHint : 0
; COMPUTE_PGM_RSRC2:SCRATCH_EN: 0
; COMPUTE_PGM_RSRC2:USER_SGPR: 6
; COMPUTE_PGM_RSRC2:TRAP_HANDLER: 0
; COMPUTE_PGM_RSRC2:TGID_X_EN: 1
; COMPUTE_PGM_RSRC2:TGID_Y_EN: 0
; COMPUTE_PGM_RSRC2:TGID_Z_EN: 0
; COMPUTE_PGM_RSRC2:TIDIG_COMP_CNT: 0
; COMPUTE_PGM_RSRC3_GFX90A:ACCUM_OFFSET: 0
; COMPUTE_PGM_RSRC3_GFX90A:TG_SPLIT: 0
	.section	.text._ZN7rocprim17ROCPRIM_400000_NS6detail17trampoline_kernelINS0_14default_configENS1_27scan_by_key_config_selectorIxxEEZZNS1_16scan_by_key_implILNS1_25lookback_scan_determinismE0ELb0ES3_N6thrust23THRUST_200600_302600_NS6detail15normal_iteratorINS9_10device_ptrIxEEEESE_SE_xNS9_4plusIxEE19head_flag_predicatexEE10hipError_tPvRmT2_T3_T4_T5_mT6_T7_P12ihipStream_tbENKUlT_T0_E_clISt17integral_constantIbLb0EESY_EEDaST_SU_EUlST_E_NS1_11comp_targetILNS1_3genE8ELNS1_11target_archE1030ELNS1_3gpuE2ELNS1_3repE0EEENS1_30default_config_static_selectorELNS0_4arch9wavefront6targetE1EEEvT1_,"axG",@progbits,_ZN7rocprim17ROCPRIM_400000_NS6detail17trampoline_kernelINS0_14default_configENS1_27scan_by_key_config_selectorIxxEEZZNS1_16scan_by_key_implILNS1_25lookback_scan_determinismE0ELb0ES3_N6thrust23THRUST_200600_302600_NS6detail15normal_iteratorINS9_10device_ptrIxEEEESE_SE_xNS9_4plusIxEE19head_flag_predicatexEE10hipError_tPvRmT2_T3_T4_T5_mT6_T7_P12ihipStream_tbENKUlT_T0_E_clISt17integral_constantIbLb0EESY_EEDaST_SU_EUlST_E_NS1_11comp_targetILNS1_3genE8ELNS1_11target_archE1030ELNS1_3gpuE2ELNS1_3repE0EEENS1_30default_config_static_selectorELNS0_4arch9wavefront6targetE1EEEvT1_,comdat
	.protected	_ZN7rocprim17ROCPRIM_400000_NS6detail17trampoline_kernelINS0_14default_configENS1_27scan_by_key_config_selectorIxxEEZZNS1_16scan_by_key_implILNS1_25lookback_scan_determinismE0ELb0ES3_N6thrust23THRUST_200600_302600_NS6detail15normal_iteratorINS9_10device_ptrIxEEEESE_SE_xNS9_4plusIxEE19head_flag_predicatexEE10hipError_tPvRmT2_T3_T4_T5_mT6_T7_P12ihipStream_tbENKUlT_T0_E_clISt17integral_constantIbLb0EESY_EEDaST_SU_EUlST_E_NS1_11comp_targetILNS1_3genE8ELNS1_11target_archE1030ELNS1_3gpuE2ELNS1_3repE0EEENS1_30default_config_static_selectorELNS0_4arch9wavefront6targetE1EEEvT1_ ; -- Begin function _ZN7rocprim17ROCPRIM_400000_NS6detail17trampoline_kernelINS0_14default_configENS1_27scan_by_key_config_selectorIxxEEZZNS1_16scan_by_key_implILNS1_25lookback_scan_determinismE0ELb0ES3_N6thrust23THRUST_200600_302600_NS6detail15normal_iteratorINS9_10device_ptrIxEEEESE_SE_xNS9_4plusIxEE19head_flag_predicatexEE10hipError_tPvRmT2_T3_T4_T5_mT6_T7_P12ihipStream_tbENKUlT_T0_E_clISt17integral_constantIbLb0EESY_EEDaST_SU_EUlST_E_NS1_11comp_targetILNS1_3genE8ELNS1_11target_archE1030ELNS1_3gpuE2ELNS1_3repE0EEENS1_30default_config_static_selectorELNS0_4arch9wavefront6targetE1EEEvT1_
	.globl	_ZN7rocprim17ROCPRIM_400000_NS6detail17trampoline_kernelINS0_14default_configENS1_27scan_by_key_config_selectorIxxEEZZNS1_16scan_by_key_implILNS1_25lookback_scan_determinismE0ELb0ES3_N6thrust23THRUST_200600_302600_NS6detail15normal_iteratorINS9_10device_ptrIxEEEESE_SE_xNS9_4plusIxEE19head_flag_predicatexEE10hipError_tPvRmT2_T3_T4_T5_mT6_T7_P12ihipStream_tbENKUlT_T0_E_clISt17integral_constantIbLb0EESY_EEDaST_SU_EUlST_E_NS1_11comp_targetILNS1_3genE8ELNS1_11target_archE1030ELNS1_3gpuE2ELNS1_3repE0EEENS1_30default_config_static_selectorELNS0_4arch9wavefront6targetE1EEEvT1_
	.p2align	8
	.type	_ZN7rocprim17ROCPRIM_400000_NS6detail17trampoline_kernelINS0_14default_configENS1_27scan_by_key_config_selectorIxxEEZZNS1_16scan_by_key_implILNS1_25lookback_scan_determinismE0ELb0ES3_N6thrust23THRUST_200600_302600_NS6detail15normal_iteratorINS9_10device_ptrIxEEEESE_SE_xNS9_4plusIxEE19head_flag_predicatexEE10hipError_tPvRmT2_T3_T4_T5_mT6_T7_P12ihipStream_tbENKUlT_T0_E_clISt17integral_constantIbLb0EESY_EEDaST_SU_EUlST_E_NS1_11comp_targetILNS1_3genE8ELNS1_11target_archE1030ELNS1_3gpuE2ELNS1_3repE0EEENS1_30default_config_static_selectorELNS0_4arch9wavefront6targetE1EEEvT1_,@function
_ZN7rocprim17ROCPRIM_400000_NS6detail17trampoline_kernelINS0_14default_configENS1_27scan_by_key_config_selectorIxxEEZZNS1_16scan_by_key_implILNS1_25lookback_scan_determinismE0ELb0ES3_N6thrust23THRUST_200600_302600_NS6detail15normal_iteratorINS9_10device_ptrIxEEEESE_SE_xNS9_4plusIxEE19head_flag_predicatexEE10hipError_tPvRmT2_T3_T4_T5_mT6_T7_P12ihipStream_tbENKUlT_T0_E_clISt17integral_constantIbLb0EESY_EEDaST_SU_EUlST_E_NS1_11comp_targetILNS1_3genE8ELNS1_11target_archE1030ELNS1_3gpuE2ELNS1_3repE0EEENS1_30default_config_static_selectorELNS0_4arch9wavefront6targetE1EEEvT1_: ; @_ZN7rocprim17ROCPRIM_400000_NS6detail17trampoline_kernelINS0_14default_configENS1_27scan_by_key_config_selectorIxxEEZZNS1_16scan_by_key_implILNS1_25lookback_scan_determinismE0ELb0ES3_N6thrust23THRUST_200600_302600_NS6detail15normal_iteratorINS9_10device_ptrIxEEEESE_SE_xNS9_4plusIxEE19head_flag_predicatexEE10hipError_tPvRmT2_T3_T4_T5_mT6_T7_P12ihipStream_tbENKUlT_T0_E_clISt17integral_constantIbLb0EESY_EEDaST_SU_EUlST_E_NS1_11comp_targetILNS1_3genE8ELNS1_11target_archE1030ELNS1_3gpuE2ELNS1_3repE0EEENS1_30default_config_static_selectorELNS0_4arch9wavefront6targetE1EEEvT1_
; %bb.0:
	.section	.rodata,"a",@progbits
	.p2align	6, 0x0
	.amdhsa_kernel _ZN7rocprim17ROCPRIM_400000_NS6detail17trampoline_kernelINS0_14default_configENS1_27scan_by_key_config_selectorIxxEEZZNS1_16scan_by_key_implILNS1_25lookback_scan_determinismE0ELb0ES3_N6thrust23THRUST_200600_302600_NS6detail15normal_iteratorINS9_10device_ptrIxEEEESE_SE_xNS9_4plusIxEE19head_flag_predicatexEE10hipError_tPvRmT2_T3_T4_T5_mT6_T7_P12ihipStream_tbENKUlT_T0_E_clISt17integral_constantIbLb0EESY_EEDaST_SU_EUlST_E_NS1_11comp_targetILNS1_3genE8ELNS1_11target_archE1030ELNS1_3gpuE2ELNS1_3repE0EEENS1_30default_config_static_selectorELNS0_4arch9wavefront6targetE1EEEvT1_
		.amdhsa_group_segment_fixed_size 0
		.amdhsa_private_segment_fixed_size 0
		.amdhsa_kernarg_size 136
		.amdhsa_user_sgpr_count 6
		.amdhsa_user_sgpr_private_segment_buffer 1
		.amdhsa_user_sgpr_dispatch_ptr 0
		.amdhsa_user_sgpr_queue_ptr 0
		.amdhsa_user_sgpr_kernarg_segment_ptr 1
		.amdhsa_user_sgpr_dispatch_id 0
		.amdhsa_user_sgpr_flat_scratch_init 0
		.amdhsa_user_sgpr_kernarg_preload_length 0
		.amdhsa_user_sgpr_kernarg_preload_offset 0
		.amdhsa_user_sgpr_private_segment_size 0
		.amdhsa_uses_dynamic_stack 0
		.amdhsa_system_sgpr_private_segment_wavefront_offset 0
		.amdhsa_system_sgpr_workgroup_id_x 1
		.amdhsa_system_sgpr_workgroup_id_y 0
		.amdhsa_system_sgpr_workgroup_id_z 0
		.amdhsa_system_sgpr_workgroup_info 0
		.amdhsa_system_vgpr_workitem_id 0
		.amdhsa_next_free_vgpr 1
		.amdhsa_next_free_sgpr 0
		.amdhsa_accum_offset 4
		.amdhsa_reserve_vcc 0
		.amdhsa_reserve_flat_scratch 0
		.amdhsa_float_round_mode_32 0
		.amdhsa_float_round_mode_16_64 0
		.amdhsa_float_denorm_mode_32 3
		.amdhsa_float_denorm_mode_16_64 3
		.amdhsa_dx10_clamp 1
		.amdhsa_ieee_mode 1
		.amdhsa_fp16_overflow 0
		.amdhsa_tg_split 0
		.amdhsa_exception_fp_ieee_invalid_op 0
		.amdhsa_exception_fp_denorm_src 0
		.amdhsa_exception_fp_ieee_div_zero 0
		.amdhsa_exception_fp_ieee_overflow 0
		.amdhsa_exception_fp_ieee_underflow 0
		.amdhsa_exception_fp_ieee_inexact 0
		.amdhsa_exception_int_div_zero 0
	.end_amdhsa_kernel
	.section	.text._ZN7rocprim17ROCPRIM_400000_NS6detail17trampoline_kernelINS0_14default_configENS1_27scan_by_key_config_selectorIxxEEZZNS1_16scan_by_key_implILNS1_25lookback_scan_determinismE0ELb0ES3_N6thrust23THRUST_200600_302600_NS6detail15normal_iteratorINS9_10device_ptrIxEEEESE_SE_xNS9_4plusIxEE19head_flag_predicatexEE10hipError_tPvRmT2_T3_T4_T5_mT6_T7_P12ihipStream_tbENKUlT_T0_E_clISt17integral_constantIbLb0EESY_EEDaST_SU_EUlST_E_NS1_11comp_targetILNS1_3genE8ELNS1_11target_archE1030ELNS1_3gpuE2ELNS1_3repE0EEENS1_30default_config_static_selectorELNS0_4arch9wavefront6targetE1EEEvT1_,"axG",@progbits,_ZN7rocprim17ROCPRIM_400000_NS6detail17trampoline_kernelINS0_14default_configENS1_27scan_by_key_config_selectorIxxEEZZNS1_16scan_by_key_implILNS1_25lookback_scan_determinismE0ELb0ES3_N6thrust23THRUST_200600_302600_NS6detail15normal_iteratorINS9_10device_ptrIxEEEESE_SE_xNS9_4plusIxEE19head_flag_predicatexEE10hipError_tPvRmT2_T3_T4_T5_mT6_T7_P12ihipStream_tbENKUlT_T0_E_clISt17integral_constantIbLb0EESY_EEDaST_SU_EUlST_E_NS1_11comp_targetILNS1_3genE8ELNS1_11target_archE1030ELNS1_3gpuE2ELNS1_3repE0EEENS1_30default_config_static_selectorELNS0_4arch9wavefront6targetE1EEEvT1_,comdat
.Lfunc_end685:
	.size	_ZN7rocprim17ROCPRIM_400000_NS6detail17trampoline_kernelINS0_14default_configENS1_27scan_by_key_config_selectorIxxEEZZNS1_16scan_by_key_implILNS1_25lookback_scan_determinismE0ELb0ES3_N6thrust23THRUST_200600_302600_NS6detail15normal_iteratorINS9_10device_ptrIxEEEESE_SE_xNS9_4plusIxEE19head_flag_predicatexEE10hipError_tPvRmT2_T3_T4_T5_mT6_T7_P12ihipStream_tbENKUlT_T0_E_clISt17integral_constantIbLb0EESY_EEDaST_SU_EUlST_E_NS1_11comp_targetILNS1_3genE8ELNS1_11target_archE1030ELNS1_3gpuE2ELNS1_3repE0EEENS1_30default_config_static_selectorELNS0_4arch9wavefront6targetE1EEEvT1_, .Lfunc_end685-_ZN7rocprim17ROCPRIM_400000_NS6detail17trampoline_kernelINS0_14default_configENS1_27scan_by_key_config_selectorIxxEEZZNS1_16scan_by_key_implILNS1_25lookback_scan_determinismE0ELb0ES3_N6thrust23THRUST_200600_302600_NS6detail15normal_iteratorINS9_10device_ptrIxEEEESE_SE_xNS9_4plusIxEE19head_flag_predicatexEE10hipError_tPvRmT2_T3_T4_T5_mT6_T7_P12ihipStream_tbENKUlT_T0_E_clISt17integral_constantIbLb0EESY_EEDaST_SU_EUlST_E_NS1_11comp_targetILNS1_3genE8ELNS1_11target_archE1030ELNS1_3gpuE2ELNS1_3repE0EEENS1_30default_config_static_selectorELNS0_4arch9wavefront6targetE1EEEvT1_
                                        ; -- End function
	.section	.AMDGPU.csdata,"",@progbits
; Kernel info:
; codeLenInByte = 0
; NumSgprs: 4
; NumVgprs: 0
; NumAgprs: 0
; TotalNumVgprs: 0
; ScratchSize: 0
; MemoryBound: 0
; FloatMode: 240
; IeeeMode: 1
; LDSByteSize: 0 bytes/workgroup (compile time only)
; SGPRBlocks: 0
; VGPRBlocks: 0
; NumSGPRsForWavesPerEU: 4
; NumVGPRsForWavesPerEU: 1
; AccumOffset: 4
; Occupancy: 8
; WaveLimiterHint : 0
; COMPUTE_PGM_RSRC2:SCRATCH_EN: 0
; COMPUTE_PGM_RSRC2:USER_SGPR: 6
; COMPUTE_PGM_RSRC2:TRAP_HANDLER: 0
; COMPUTE_PGM_RSRC2:TGID_X_EN: 1
; COMPUTE_PGM_RSRC2:TGID_Y_EN: 0
; COMPUTE_PGM_RSRC2:TGID_Z_EN: 0
; COMPUTE_PGM_RSRC2:TIDIG_COMP_CNT: 0
; COMPUTE_PGM_RSRC3_GFX90A:ACCUM_OFFSET: 0
; COMPUTE_PGM_RSRC3_GFX90A:TG_SPLIT: 0
	.section	.text._ZN7rocprim17ROCPRIM_400000_NS6detail17trampoline_kernelINS0_14default_configENS1_27scan_by_key_config_selectorIxxEEZZNS1_16scan_by_key_implILNS1_25lookback_scan_determinismE0ELb0ES3_N6thrust23THRUST_200600_302600_NS6detail15normal_iteratorINS9_10device_ptrIxEEEESE_SE_xNS9_4plusIxEE19head_flag_predicatexEE10hipError_tPvRmT2_T3_T4_T5_mT6_T7_P12ihipStream_tbENKUlT_T0_E_clISt17integral_constantIbLb1EESY_EEDaST_SU_EUlST_E_NS1_11comp_targetILNS1_3genE0ELNS1_11target_archE4294967295ELNS1_3gpuE0ELNS1_3repE0EEENS1_30default_config_static_selectorELNS0_4arch9wavefront6targetE1EEEvT1_,"axG",@progbits,_ZN7rocprim17ROCPRIM_400000_NS6detail17trampoline_kernelINS0_14default_configENS1_27scan_by_key_config_selectorIxxEEZZNS1_16scan_by_key_implILNS1_25lookback_scan_determinismE0ELb0ES3_N6thrust23THRUST_200600_302600_NS6detail15normal_iteratorINS9_10device_ptrIxEEEESE_SE_xNS9_4plusIxEE19head_flag_predicatexEE10hipError_tPvRmT2_T3_T4_T5_mT6_T7_P12ihipStream_tbENKUlT_T0_E_clISt17integral_constantIbLb1EESY_EEDaST_SU_EUlST_E_NS1_11comp_targetILNS1_3genE0ELNS1_11target_archE4294967295ELNS1_3gpuE0ELNS1_3repE0EEENS1_30default_config_static_selectorELNS0_4arch9wavefront6targetE1EEEvT1_,comdat
	.protected	_ZN7rocprim17ROCPRIM_400000_NS6detail17trampoline_kernelINS0_14default_configENS1_27scan_by_key_config_selectorIxxEEZZNS1_16scan_by_key_implILNS1_25lookback_scan_determinismE0ELb0ES3_N6thrust23THRUST_200600_302600_NS6detail15normal_iteratorINS9_10device_ptrIxEEEESE_SE_xNS9_4plusIxEE19head_flag_predicatexEE10hipError_tPvRmT2_T3_T4_T5_mT6_T7_P12ihipStream_tbENKUlT_T0_E_clISt17integral_constantIbLb1EESY_EEDaST_SU_EUlST_E_NS1_11comp_targetILNS1_3genE0ELNS1_11target_archE4294967295ELNS1_3gpuE0ELNS1_3repE0EEENS1_30default_config_static_selectorELNS0_4arch9wavefront6targetE1EEEvT1_ ; -- Begin function _ZN7rocprim17ROCPRIM_400000_NS6detail17trampoline_kernelINS0_14default_configENS1_27scan_by_key_config_selectorIxxEEZZNS1_16scan_by_key_implILNS1_25lookback_scan_determinismE0ELb0ES3_N6thrust23THRUST_200600_302600_NS6detail15normal_iteratorINS9_10device_ptrIxEEEESE_SE_xNS9_4plusIxEE19head_flag_predicatexEE10hipError_tPvRmT2_T3_T4_T5_mT6_T7_P12ihipStream_tbENKUlT_T0_E_clISt17integral_constantIbLb1EESY_EEDaST_SU_EUlST_E_NS1_11comp_targetILNS1_3genE0ELNS1_11target_archE4294967295ELNS1_3gpuE0ELNS1_3repE0EEENS1_30default_config_static_selectorELNS0_4arch9wavefront6targetE1EEEvT1_
	.globl	_ZN7rocprim17ROCPRIM_400000_NS6detail17trampoline_kernelINS0_14default_configENS1_27scan_by_key_config_selectorIxxEEZZNS1_16scan_by_key_implILNS1_25lookback_scan_determinismE0ELb0ES3_N6thrust23THRUST_200600_302600_NS6detail15normal_iteratorINS9_10device_ptrIxEEEESE_SE_xNS9_4plusIxEE19head_flag_predicatexEE10hipError_tPvRmT2_T3_T4_T5_mT6_T7_P12ihipStream_tbENKUlT_T0_E_clISt17integral_constantIbLb1EESY_EEDaST_SU_EUlST_E_NS1_11comp_targetILNS1_3genE0ELNS1_11target_archE4294967295ELNS1_3gpuE0ELNS1_3repE0EEENS1_30default_config_static_selectorELNS0_4arch9wavefront6targetE1EEEvT1_
	.p2align	8
	.type	_ZN7rocprim17ROCPRIM_400000_NS6detail17trampoline_kernelINS0_14default_configENS1_27scan_by_key_config_selectorIxxEEZZNS1_16scan_by_key_implILNS1_25lookback_scan_determinismE0ELb0ES3_N6thrust23THRUST_200600_302600_NS6detail15normal_iteratorINS9_10device_ptrIxEEEESE_SE_xNS9_4plusIxEE19head_flag_predicatexEE10hipError_tPvRmT2_T3_T4_T5_mT6_T7_P12ihipStream_tbENKUlT_T0_E_clISt17integral_constantIbLb1EESY_EEDaST_SU_EUlST_E_NS1_11comp_targetILNS1_3genE0ELNS1_11target_archE4294967295ELNS1_3gpuE0ELNS1_3repE0EEENS1_30default_config_static_selectorELNS0_4arch9wavefront6targetE1EEEvT1_,@function
_ZN7rocprim17ROCPRIM_400000_NS6detail17trampoline_kernelINS0_14default_configENS1_27scan_by_key_config_selectorIxxEEZZNS1_16scan_by_key_implILNS1_25lookback_scan_determinismE0ELb0ES3_N6thrust23THRUST_200600_302600_NS6detail15normal_iteratorINS9_10device_ptrIxEEEESE_SE_xNS9_4plusIxEE19head_flag_predicatexEE10hipError_tPvRmT2_T3_T4_T5_mT6_T7_P12ihipStream_tbENKUlT_T0_E_clISt17integral_constantIbLb1EESY_EEDaST_SU_EUlST_E_NS1_11comp_targetILNS1_3genE0ELNS1_11target_archE4294967295ELNS1_3gpuE0ELNS1_3repE0EEENS1_30default_config_static_selectorELNS0_4arch9wavefront6targetE1EEEvT1_: ; @_ZN7rocprim17ROCPRIM_400000_NS6detail17trampoline_kernelINS0_14default_configENS1_27scan_by_key_config_selectorIxxEEZZNS1_16scan_by_key_implILNS1_25lookback_scan_determinismE0ELb0ES3_N6thrust23THRUST_200600_302600_NS6detail15normal_iteratorINS9_10device_ptrIxEEEESE_SE_xNS9_4plusIxEE19head_flag_predicatexEE10hipError_tPvRmT2_T3_T4_T5_mT6_T7_P12ihipStream_tbENKUlT_T0_E_clISt17integral_constantIbLb1EESY_EEDaST_SU_EUlST_E_NS1_11comp_targetILNS1_3genE0ELNS1_11target_archE4294967295ELNS1_3gpuE0ELNS1_3repE0EEENS1_30default_config_static_selectorELNS0_4arch9wavefront6targetE1EEEvT1_
; %bb.0:
	.section	.rodata,"a",@progbits
	.p2align	6, 0x0
	.amdhsa_kernel _ZN7rocprim17ROCPRIM_400000_NS6detail17trampoline_kernelINS0_14default_configENS1_27scan_by_key_config_selectorIxxEEZZNS1_16scan_by_key_implILNS1_25lookback_scan_determinismE0ELb0ES3_N6thrust23THRUST_200600_302600_NS6detail15normal_iteratorINS9_10device_ptrIxEEEESE_SE_xNS9_4plusIxEE19head_flag_predicatexEE10hipError_tPvRmT2_T3_T4_T5_mT6_T7_P12ihipStream_tbENKUlT_T0_E_clISt17integral_constantIbLb1EESY_EEDaST_SU_EUlST_E_NS1_11comp_targetILNS1_3genE0ELNS1_11target_archE4294967295ELNS1_3gpuE0ELNS1_3repE0EEENS1_30default_config_static_selectorELNS0_4arch9wavefront6targetE1EEEvT1_
		.amdhsa_group_segment_fixed_size 0
		.amdhsa_private_segment_fixed_size 0
		.amdhsa_kernarg_size 136
		.amdhsa_user_sgpr_count 6
		.amdhsa_user_sgpr_private_segment_buffer 1
		.amdhsa_user_sgpr_dispatch_ptr 0
		.amdhsa_user_sgpr_queue_ptr 0
		.amdhsa_user_sgpr_kernarg_segment_ptr 1
		.amdhsa_user_sgpr_dispatch_id 0
		.amdhsa_user_sgpr_flat_scratch_init 0
		.amdhsa_user_sgpr_kernarg_preload_length 0
		.amdhsa_user_sgpr_kernarg_preload_offset 0
		.amdhsa_user_sgpr_private_segment_size 0
		.amdhsa_uses_dynamic_stack 0
		.amdhsa_system_sgpr_private_segment_wavefront_offset 0
		.amdhsa_system_sgpr_workgroup_id_x 1
		.amdhsa_system_sgpr_workgroup_id_y 0
		.amdhsa_system_sgpr_workgroup_id_z 0
		.amdhsa_system_sgpr_workgroup_info 0
		.amdhsa_system_vgpr_workitem_id 0
		.amdhsa_next_free_vgpr 1
		.amdhsa_next_free_sgpr 0
		.amdhsa_accum_offset 4
		.amdhsa_reserve_vcc 0
		.amdhsa_reserve_flat_scratch 0
		.amdhsa_float_round_mode_32 0
		.amdhsa_float_round_mode_16_64 0
		.amdhsa_float_denorm_mode_32 3
		.amdhsa_float_denorm_mode_16_64 3
		.amdhsa_dx10_clamp 1
		.amdhsa_ieee_mode 1
		.amdhsa_fp16_overflow 0
		.amdhsa_tg_split 0
		.amdhsa_exception_fp_ieee_invalid_op 0
		.amdhsa_exception_fp_denorm_src 0
		.amdhsa_exception_fp_ieee_div_zero 0
		.amdhsa_exception_fp_ieee_overflow 0
		.amdhsa_exception_fp_ieee_underflow 0
		.amdhsa_exception_fp_ieee_inexact 0
		.amdhsa_exception_int_div_zero 0
	.end_amdhsa_kernel
	.section	.text._ZN7rocprim17ROCPRIM_400000_NS6detail17trampoline_kernelINS0_14default_configENS1_27scan_by_key_config_selectorIxxEEZZNS1_16scan_by_key_implILNS1_25lookback_scan_determinismE0ELb0ES3_N6thrust23THRUST_200600_302600_NS6detail15normal_iteratorINS9_10device_ptrIxEEEESE_SE_xNS9_4plusIxEE19head_flag_predicatexEE10hipError_tPvRmT2_T3_T4_T5_mT6_T7_P12ihipStream_tbENKUlT_T0_E_clISt17integral_constantIbLb1EESY_EEDaST_SU_EUlST_E_NS1_11comp_targetILNS1_3genE0ELNS1_11target_archE4294967295ELNS1_3gpuE0ELNS1_3repE0EEENS1_30default_config_static_selectorELNS0_4arch9wavefront6targetE1EEEvT1_,"axG",@progbits,_ZN7rocprim17ROCPRIM_400000_NS6detail17trampoline_kernelINS0_14default_configENS1_27scan_by_key_config_selectorIxxEEZZNS1_16scan_by_key_implILNS1_25lookback_scan_determinismE0ELb0ES3_N6thrust23THRUST_200600_302600_NS6detail15normal_iteratorINS9_10device_ptrIxEEEESE_SE_xNS9_4plusIxEE19head_flag_predicatexEE10hipError_tPvRmT2_T3_T4_T5_mT6_T7_P12ihipStream_tbENKUlT_T0_E_clISt17integral_constantIbLb1EESY_EEDaST_SU_EUlST_E_NS1_11comp_targetILNS1_3genE0ELNS1_11target_archE4294967295ELNS1_3gpuE0ELNS1_3repE0EEENS1_30default_config_static_selectorELNS0_4arch9wavefront6targetE1EEEvT1_,comdat
.Lfunc_end686:
	.size	_ZN7rocprim17ROCPRIM_400000_NS6detail17trampoline_kernelINS0_14default_configENS1_27scan_by_key_config_selectorIxxEEZZNS1_16scan_by_key_implILNS1_25lookback_scan_determinismE0ELb0ES3_N6thrust23THRUST_200600_302600_NS6detail15normal_iteratorINS9_10device_ptrIxEEEESE_SE_xNS9_4plusIxEE19head_flag_predicatexEE10hipError_tPvRmT2_T3_T4_T5_mT6_T7_P12ihipStream_tbENKUlT_T0_E_clISt17integral_constantIbLb1EESY_EEDaST_SU_EUlST_E_NS1_11comp_targetILNS1_3genE0ELNS1_11target_archE4294967295ELNS1_3gpuE0ELNS1_3repE0EEENS1_30default_config_static_selectorELNS0_4arch9wavefront6targetE1EEEvT1_, .Lfunc_end686-_ZN7rocprim17ROCPRIM_400000_NS6detail17trampoline_kernelINS0_14default_configENS1_27scan_by_key_config_selectorIxxEEZZNS1_16scan_by_key_implILNS1_25lookback_scan_determinismE0ELb0ES3_N6thrust23THRUST_200600_302600_NS6detail15normal_iteratorINS9_10device_ptrIxEEEESE_SE_xNS9_4plusIxEE19head_flag_predicatexEE10hipError_tPvRmT2_T3_T4_T5_mT6_T7_P12ihipStream_tbENKUlT_T0_E_clISt17integral_constantIbLb1EESY_EEDaST_SU_EUlST_E_NS1_11comp_targetILNS1_3genE0ELNS1_11target_archE4294967295ELNS1_3gpuE0ELNS1_3repE0EEENS1_30default_config_static_selectorELNS0_4arch9wavefront6targetE1EEEvT1_
                                        ; -- End function
	.section	.AMDGPU.csdata,"",@progbits
; Kernel info:
; codeLenInByte = 0
; NumSgprs: 4
; NumVgprs: 0
; NumAgprs: 0
; TotalNumVgprs: 0
; ScratchSize: 0
; MemoryBound: 0
; FloatMode: 240
; IeeeMode: 1
; LDSByteSize: 0 bytes/workgroup (compile time only)
; SGPRBlocks: 0
; VGPRBlocks: 0
; NumSGPRsForWavesPerEU: 4
; NumVGPRsForWavesPerEU: 1
; AccumOffset: 4
; Occupancy: 8
; WaveLimiterHint : 0
; COMPUTE_PGM_RSRC2:SCRATCH_EN: 0
; COMPUTE_PGM_RSRC2:USER_SGPR: 6
; COMPUTE_PGM_RSRC2:TRAP_HANDLER: 0
; COMPUTE_PGM_RSRC2:TGID_X_EN: 1
; COMPUTE_PGM_RSRC2:TGID_Y_EN: 0
; COMPUTE_PGM_RSRC2:TGID_Z_EN: 0
; COMPUTE_PGM_RSRC2:TIDIG_COMP_CNT: 0
; COMPUTE_PGM_RSRC3_GFX90A:ACCUM_OFFSET: 0
; COMPUTE_PGM_RSRC3_GFX90A:TG_SPLIT: 0
	.section	.text._ZN7rocprim17ROCPRIM_400000_NS6detail17trampoline_kernelINS0_14default_configENS1_27scan_by_key_config_selectorIxxEEZZNS1_16scan_by_key_implILNS1_25lookback_scan_determinismE0ELb0ES3_N6thrust23THRUST_200600_302600_NS6detail15normal_iteratorINS9_10device_ptrIxEEEESE_SE_xNS9_4plusIxEE19head_flag_predicatexEE10hipError_tPvRmT2_T3_T4_T5_mT6_T7_P12ihipStream_tbENKUlT_T0_E_clISt17integral_constantIbLb1EESY_EEDaST_SU_EUlST_E_NS1_11comp_targetILNS1_3genE10ELNS1_11target_archE1201ELNS1_3gpuE5ELNS1_3repE0EEENS1_30default_config_static_selectorELNS0_4arch9wavefront6targetE1EEEvT1_,"axG",@progbits,_ZN7rocprim17ROCPRIM_400000_NS6detail17trampoline_kernelINS0_14default_configENS1_27scan_by_key_config_selectorIxxEEZZNS1_16scan_by_key_implILNS1_25lookback_scan_determinismE0ELb0ES3_N6thrust23THRUST_200600_302600_NS6detail15normal_iteratorINS9_10device_ptrIxEEEESE_SE_xNS9_4plusIxEE19head_flag_predicatexEE10hipError_tPvRmT2_T3_T4_T5_mT6_T7_P12ihipStream_tbENKUlT_T0_E_clISt17integral_constantIbLb1EESY_EEDaST_SU_EUlST_E_NS1_11comp_targetILNS1_3genE10ELNS1_11target_archE1201ELNS1_3gpuE5ELNS1_3repE0EEENS1_30default_config_static_selectorELNS0_4arch9wavefront6targetE1EEEvT1_,comdat
	.protected	_ZN7rocprim17ROCPRIM_400000_NS6detail17trampoline_kernelINS0_14default_configENS1_27scan_by_key_config_selectorIxxEEZZNS1_16scan_by_key_implILNS1_25lookback_scan_determinismE0ELb0ES3_N6thrust23THRUST_200600_302600_NS6detail15normal_iteratorINS9_10device_ptrIxEEEESE_SE_xNS9_4plusIxEE19head_flag_predicatexEE10hipError_tPvRmT2_T3_T4_T5_mT6_T7_P12ihipStream_tbENKUlT_T0_E_clISt17integral_constantIbLb1EESY_EEDaST_SU_EUlST_E_NS1_11comp_targetILNS1_3genE10ELNS1_11target_archE1201ELNS1_3gpuE5ELNS1_3repE0EEENS1_30default_config_static_selectorELNS0_4arch9wavefront6targetE1EEEvT1_ ; -- Begin function _ZN7rocprim17ROCPRIM_400000_NS6detail17trampoline_kernelINS0_14default_configENS1_27scan_by_key_config_selectorIxxEEZZNS1_16scan_by_key_implILNS1_25lookback_scan_determinismE0ELb0ES3_N6thrust23THRUST_200600_302600_NS6detail15normal_iteratorINS9_10device_ptrIxEEEESE_SE_xNS9_4plusIxEE19head_flag_predicatexEE10hipError_tPvRmT2_T3_T4_T5_mT6_T7_P12ihipStream_tbENKUlT_T0_E_clISt17integral_constantIbLb1EESY_EEDaST_SU_EUlST_E_NS1_11comp_targetILNS1_3genE10ELNS1_11target_archE1201ELNS1_3gpuE5ELNS1_3repE0EEENS1_30default_config_static_selectorELNS0_4arch9wavefront6targetE1EEEvT1_
	.globl	_ZN7rocprim17ROCPRIM_400000_NS6detail17trampoline_kernelINS0_14default_configENS1_27scan_by_key_config_selectorIxxEEZZNS1_16scan_by_key_implILNS1_25lookback_scan_determinismE0ELb0ES3_N6thrust23THRUST_200600_302600_NS6detail15normal_iteratorINS9_10device_ptrIxEEEESE_SE_xNS9_4plusIxEE19head_flag_predicatexEE10hipError_tPvRmT2_T3_T4_T5_mT6_T7_P12ihipStream_tbENKUlT_T0_E_clISt17integral_constantIbLb1EESY_EEDaST_SU_EUlST_E_NS1_11comp_targetILNS1_3genE10ELNS1_11target_archE1201ELNS1_3gpuE5ELNS1_3repE0EEENS1_30default_config_static_selectorELNS0_4arch9wavefront6targetE1EEEvT1_
	.p2align	8
	.type	_ZN7rocprim17ROCPRIM_400000_NS6detail17trampoline_kernelINS0_14default_configENS1_27scan_by_key_config_selectorIxxEEZZNS1_16scan_by_key_implILNS1_25lookback_scan_determinismE0ELb0ES3_N6thrust23THRUST_200600_302600_NS6detail15normal_iteratorINS9_10device_ptrIxEEEESE_SE_xNS9_4plusIxEE19head_flag_predicatexEE10hipError_tPvRmT2_T3_T4_T5_mT6_T7_P12ihipStream_tbENKUlT_T0_E_clISt17integral_constantIbLb1EESY_EEDaST_SU_EUlST_E_NS1_11comp_targetILNS1_3genE10ELNS1_11target_archE1201ELNS1_3gpuE5ELNS1_3repE0EEENS1_30default_config_static_selectorELNS0_4arch9wavefront6targetE1EEEvT1_,@function
_ZN7rocprim17ROCPRIM_400000_NS6detail17trampoline_kernelINS0_14default_configENS1_27scan_by_key_config_selectorIxxEEZZNS1_16scan_by_key_implILNS1_25lookback_scan_determinismE0ELb0ES3_N6thrust23THRUST_200600_302600_NS6detail15normal_iteratorINS9_10device_ptrIxEEEESE_SE_xNS9_4plusIxEE19head_flag_predicatexEE10hipError_tPvRmT2_T3_T4_T5_mT6_T7_P12ihipStream_tbENKUlT_T0_E_clISt17integral_constantIbLb1EESY_EEDaST_SU_EUlST_E_NS1_11comp_targetILNS1_3genE10ELNS1_11target_archE1201ELNS1_3gpuE5ELNS1_3repE0EEENS1_30default_config_static_selectorELNS0_4arch9wavefront6targetE1EEEvT1_: ; @_ZN7rocprim17ROCPRIM_400000_NS6detail17trampoline_kernelINS0_14default_configENS1_27scan_by_key_config_selectorIxxEEZZNS1_16scan_by_key_implILNS1_25lookback_scan_determinismE0ELb0ES3_N6thrust23THRUST_200600_302600_NS6detail15normal_iteratorINS9_10device_ptrIxEEEESE_SE_xNS9_4plusIxEE19head_flag_predicatexEE10hipError_tPvRmT2_T3_T4_T5_mT6_T7_P12ihipStream_tbENKUlT_T0_E_clISt17integral_constantIbLb1EESY_EEDaST_SU_EUlST_E_NS1_11comp_targetILNS1_3genE10ELNS1_11target_archE1201ELNS1_3gpuE5ELNS1_3repE0EEENS1_30default_config_static_selectorELNS0_4arch9wavefront6targetE1EEEvT1_
; %bb.0:
	.section	.rodata,"a",@progbits
	.p2align	6, 0x0
	.amdhsa_kernel _ZN7rocprim17ROCPRIM_400000_NS6detail17trampoline_kernelINS0_14default_configENS1_27scan_by_key_config_selectorIxxEEZZNS1_16scan_by_key_implILNS1_25lookback_scan_determinismE0ELb0ES3_N6thrust23THRUST_200600_302600_NS6detail15normal_iteratorINS9_10device_ptrIxEEEESE_SE_xNS9_4plusIxEE19head_flag_predicatexEE10hipError_tPvRmT2_T3_T4_T5_mT6_T7_P12ihipStream_tbENKUlT_T0_E_clISt17integral_constantIbLb1EESY_EEDaST_SU_EUlST_E_NS1_11comp_targetILNS1_3genE10ELNS1_11target_archE1201ELNS1_3gpuE5ELNS1_3repE0EEENS1_30default_config_static_selectorELNS0_4arch9wavefront6targetE1EEEvT1_
		.amdhsa_group_segment_fixed_size 0
		.amdhsa_private_segment_fixed_size 0
		.amdhsa_kernarg_size 136
		.amdhsa_user_sgpr_count 6
		.amdhsa_user_sgpr_private_segment_buffer 1
		.amdhsa_user_sgpr_dispatch_ptr 0
		.amdhsa_user_sgpr_queue_ptr 0
		.amdhsa_user_sgpr_kernarg_segment_ptr 1
		.amdhsa_user_sgpr_dispatch_id 0
		.amdhsa_user_sgpr_flat_scratch_init 0
		.amdhsa_user_sgpr_kernarg_preload_length 0
		.amdhsa_user_sgpr_kernarg_preload_offset 0
		.amdhsa_user_sgpr_private_segment_size 0
		.amdhsa_uses_dynamic_stack 0
		.amdhsa_system_sgpr_private_segment_wavefront_offset 0
		.amdhsa_system_sgpr_workgroup_id_x 1
		.amdhsa_system_sgpr_workgroup_id_y 0
		.amdhsa_system_sgpr_workgroup_id_z 0
		.amdhsa_system_sgpr_workgroup_info 0
		.amdhsa_system_vgpr_workitem_id 0
		.amdhsa_next_free_vgpr 1
		.amdhsa_next_free_sgpr 0
		.amdhsa_accum_offset 4
		.amdhsa_reserve_vcc 0
		.amdhsa_reserve_flat_scratch 0
		.amdhsa_float_round_mode_32 0
		.amdhsa_float_round_mode_16_64 0
		.amdhsa_float_denorm_mode_32 3
		.amdhsa_float_denorm_mode_16_64 3
		.amdhsa_dx10_clamp 1
		.amdhsa_ieee_mode 1
		.amdhsa_fp16_overflow 0
		.amdhsa_tg_split 0
		.amdhsa_exception_fp_ieee_invalid_op 0
		.amdhsa_exception_fp_denorm_src 0
		.amdhsa_exception_fp_ieee_div_zero 0
		.amdhsa_exception_fp_ieee_overflow 0
		.amdhsa_exception_fp_ieee_underflow 0
		.amdhsa_exception_fp_ieee_inexact 0
		.amdhsa_exception_int_div_zero 0
	.end_amdhsa_kernel
	.section	.text._ZN7rocprim17ROCPRIM_400000_NS6detail17trampoline_kernelINS0_14default_configENS1_27scan_by_key_config_selectorIxxEEZZNS1_16scan_by_key_implILNS1_25lookback_scan_determinismE0ELb0ES3_N6thrust23THRUST_200600_302600_NS6detail15normal_iteratorINS9_10device_ptrIxEEEESE_SE_xNS9_4plusIxEE19head_flag_predicatexEE10hipError_tPvRmT2_T3_T4_T5_mT6_T7_P12ihipStream_tbENKUlT_T0_E_clISt17integral_constantIbLb1EESY_EEDaST_SU_EUlST_E_NS1_11comp_targetILNS1_3genE10ELNS1_11target_archE1201ELNS1_3gpuE5ELNS1_3repE0EEENS1_30default_config_static_selectorELNS0_4arch9wavefront6targetE1EEEvT1_,"axG",@progbits,_ZN7rocprim17ROCPRIM_400000_NS6detail17trampoline_kernelINS0_14default_configENS1_27scan_by_key_config_selectorIxxEEZZNS1_16scan_by_key_implILNS1_25lookback_scan_determinismE0ELb0ES3_N6thrust23THRUST_200600_302600_NS6detail15normal_iteratorINS9_10device_ptrIxEEEESE_SE_xNS9_4plusIxEE19head_flag_predicatexEE10hipError_tPvRmT2_T3_T4_T5_mT6_T7_P12ihipStream_tbENKUlT_T0_E_clISt17integral_constantIbLb1EESY_EEDaST_SU_EUlST_E_NS1_11comp_targetILNS1_3genE10ELNS1_11target_archE1201ELNS1_3gpuE5ELNS1_3repE0EEENS1_30default_config_static_selectorELNS0_4arch9wavefront6targetE1EEEvT1_,comdat
.Lfunc_end687:
	.size	_ZN7rocprim17ROCPRIM_400000_NS6detail17trampoline_kernelINS0_14default_configENS1_27scan_by_key_config_selectorIxxEEZZNS1_16scan_by_key_implILNS1_25lookback_scan_determinismE0ELb0ES3_N6thrust23THRUST_200600_302600_NS6detail15normal_iteratorINS9_10device_ptrIxEEEESE_SE_xNS9_4plusIxEE19head_flag_predicatexEE10hipError_tPvRmT2_T3_T4_T5_mT6_T7_P12ihipStream_tbENKUlT_T0_E_clISt17integral_constantIbLb1EESY_EEDaST_SU_EUlST_E_NS1_11comp_targetILNS1_3genE10ELNS1_11target_archE1201ELNS1_3gpuE5ELNS1_3repE0EEENS1_30default_config_static_selectorELNS0_4arch9wavefront6targetE1EEEvT1_, .Lfunc_end687-_ZN7rocprim17ROCPRIM_400000_NS6detail17trampoline_kernelINS0_14default_configENS1_27scan_by_key_config_selectorIxxEEZZNS1_16scan_by_key_implILNS1_25lookback_scan_determinismE0ELb0ES3_N6thrust23THRUST_200600_302600_NS6detail15normal_iteratorINS9_10device_ptrIxEEEESE_SE_xNS9_4plusIxEE19head_flag_predicatexEE10hipError_tPvRmT2_T3_T4_T5_mT6_T7_P12ihipStream_tbENKUlT_T0_E_clISt17integral_constantIbLb1EESY_EEDaST_SU_EUlST_E_NS1_11comp_targetILNS1_3genE10ELNS1_11target_archE1201ELNS1_3gpuE5ELNS1_3repE0EEENS1_30default_config_static_selectorELNS0_4arch9wavefront6targetE1EEEvT1_
                                        ; -- End function
	.section	.AMDGPU.csdata,"",@progbits
; Kernel info:
; codeLenInByte = 0
; NumSgprs: 4
; NumVgprs: 0
; NumAgprs: 0
; TotalNumVgprs: 0
; ScratchSize: 0
; MemoryBound: 0
; FloatMode: 240
; IeeeMode: 1
; LDSByteSize: 0 bytes/workgroup (compile time only)
; SGPRBlocks: 0
; VGPRBlocks: 0
; NumSGPRsForWavesPerEU: 4
; NumVGPRsForWavesPerEU: 1
; AccumOffset: 4
; Occupancy: 8
; WaveLimiterHint : 0
; COMPUTE_PGM_RSRC2:SCRATCH_EN: 0
; COMPUTE_PGM_RSRC2:USER_SGPR: 6
; COMPUTE_PGM_RSRC2:TRAP_HANDLER: 0
; COMPUTE_PGM_RSRC2:TGID_X_EN: 1
; COMPUTE_PGM_RSRC2:TGID_Y_EN: 0
; COMPUTE_PGM_RSRC2:TGID_Z_EN: 0
; COMPUTE_PGM_RSRC2:TIDIG_COMP_CNT: 0
; COMPUTE_PGM_RSRC3_GFX90A:ACCUM_OFFSET: 0
; COMPUTE_PGM_RSRC3_GFX90A:TG_SPLIT: 0
	.section	.text._ZN7rocprim17ROCPRIM_400000_NS6detail17trampoline_kernelINS0_14default_configENS1_27scan_by_key_config_selectorIxxEEZZNS1_16scan_by_key_implILNS1_25lookback_scan_determinismE0ELb0ES3_N6thrust23THRUST_200600_302600_NS6detail15normal_iteratorINS9_10device_ptrIxEEEESE_SE_xNS9_4plusIxEE19head_flag_predicatexEE10hipError_tPvRmT2_T3_T4_T5_mT6_T7_P12ihipStream_tbENKUlT_T0_E_clISt17integral_constantIbLb1EESY_EEDaST_SU_EUlST_E_NS1_11comp_targetILNS1_3genE5ELNS1_11target_archE942ELNS1_3gpuE9ELNS1_3repE0EEENS1_30default_config_static_selectorELNS0_4arch9wavefront6targetE1EEEvT1_,"axG",@progbits,_ZN7rocprim17ROCPRIM_400000_NS6detail17trampoline_kernelINS0_14default_configENS1_27scan_by_key_config_selectorIxxEEZZNS1_16scan_by_key_implILNS1_25lookback_scan_determinismE0ELb0ES3_N6thrust23THRUST_200600_302600_NS6detail15normal_iteratorINS9_10device_ptrIxEEEESE_SE_xNS9_4plusIxEE19head_flag_predicatexEE10hipError_tPvRmT2_T3_T4_T5_mT6_T7_P12ihipStream_tbENKUlT_T0_E_clISt17integral_constantIbLb1EESY_EEDaST_SU_EUlST_E_NS1_11comp_targetILNS1_3genE5ELNS1_11target_archE942ELNS1_3gpuE9ELNS1_3repE0EEENS1_30default_config_static_selectorELNS0_4arch9wavefront6targetE1EEEvT1_,comdat
	.protected	_ZN7rocprim17ROCPRIM_400000_NS6detail17trampoline_kernelINS0_14default_configENS1_27scan_by_key_config_selectorIxxEEZZNS1_16scan_by_key_implILNS1_25lookback_scan_determinismE0ELb0ES3_N6thrust23THRUST_200600_302600_NS6detail15normal_iteratorINS9_10device_ptrIxEEEESE_SE_xNS9_4plusIxEE19head_flag_predicatexEE10hipError_tPvRmT2_T3_T4_T5_mT6_T7_P12ihipStream_tbENKUlT_T0_E_clISt17integral_constantIbLb1EESY_EEDaST_SU_EUlST_E_NS1_11comp_targetILNS1_3genE5ELNS1_11target_archE942ELNS1_3gpuE9ELNS1_3repE0EEENS1_30default_config_static_selectorELNS0_4arch9wavefront6targetE1EEEvT1_ ; -- Begin function _ZN7rocprim17ROCPRIM_400000_NS6detail17trampoline_kernelINS0_14default_configENS1_27scan_by_key_config_selectorIxxEEZZNS1_16scan_by_key_implILNS1_25lookback_scan_determinismE0ELb0ES3_N6thrust23THRUST_200600_302600_NS6detail15normal_iteratorINS9_10device_ptrIxEEEESE_SE_xNS9_4plusIxEE19head_flag_predicatexEE10hipError_tPvRmT2_T3_T4_T5_mT6_T7_P12ihipStream_tbENKUlT_T0_E_clISt17integral_constantIbLb1EESY_EEDaST_SU_EUlST_E_NS1_11comp_targetILNS1_3genE5ELNS1_11target_archE942ELNS1_3gpuE9ELNS1_3repE0EEENS1_30default_config_static_selectorELNS0_4arch9wavefront6targetE1EEEvT1_
	.globl	_ZN7rocprim17ROCPRIM_400000_NS6detail17trampoline_kernelINS0_14default_configENS1_27scan_by_key_config_selectorIxxEEZZNS1_16scan_by_key_implILNS1_25lookback_scan_determinismE0ELb0ES3_N6thrust23THRUST_200600_302600_NS6detail15normal_iteratorINS9_10device_ptrIxEEEESE_SE_xNS9_4plusIxEE19head_flag_predicatexEE10hipError_tPvRmT2_T3_T4_T5_mT6_T7_P12ihipStream_tbENKUlT_T0_E_clISt17integral_constantIbLb1EESY_EEDaST_SU_EUlST_E_NS1_11comp_targetILNS1_3genE5ELNS1_11target_archE942ELNS1_3gpuE9ELNS1_3repE0EEENS1_30default_config_static_selectorELNS0_4arch9wavefront6targetE1EEEvT1_
	.p2align	8
	.type	_ZN7rocprim17ROCPRIM_400000_NS6detail17trampoline_kernelINS0_14default_configENS1_27scan_by_key_config_selectorIxxEEZZNS1_16scan_by_key_implILNS1_25lookback_scan_determinismE0ELb0ES3_N6thrust23THRUST_200600_302600_NS6detail15normal_iteratorINS9_10device_ptrIxEEEESE_SE_xNS9_4plusIxEE19head_flag_predicatexEE10hipError_tPvRmT2_T3_T4_T5_mT6_T7_P12ihipStream_tbENKUlT_T0_E_clISt17integral_constantIbLb1EESY_EEDaST_SU_EUlST_E_NS1_11comp_targetILNS1_3genE5ELNS1_11target_archE942ELNS1_3gpuE9ELNS1_3repE0EEENS1_30default_config_static_selectorELNS0_4arch9wavefront6targetE1EEEvT1_,@function
_ZN7rocprim17ROCPRIM_400000_NS6detail17trampoline_kernelINS0_14default_configENS1_27scan_by_key_config_selectorIxxEEZZNS1_16scan_by_key_implILNS1_25lookback_scan_determinismE0ELb0ES3_N6thrust23THRUST_200600_302600_NS6detail15normal_iteratorINS9_10device_ptrIxEEEESE_SE_xNS9_4plusIxEE19head_flag_predicatexEE10hipError_tPvRmT2_T3_T4_T5_mT6_T7_P12ihipStream_tbENKUlT_T0_E_clISt17integral_constantIbLb1EESY_EEDaST_SU_EUlST_E_NS1_11comp_targetILNS1_3genE5ELNS1_11target_archE942ELNS1_3gpuE9ELNS1_3repE0EEENS1_30default_config_static_selectorELNS0_4arch9wavefront6targetE1EEEvT1_: ; @_ZN7rocprim17ROCPRIM_400000_NS6detail17trampoline_kernelINS0_14default_configENS1_27scan_by_key_config_selectorIxxEEZZNS1_16scan_by_key_implILNS1_25lookback_scan_determinismE0ELb0ES3_N6thrust23THRUST_200600_302600_NS6detail15normal_iteratorINS9_10device_ptrIxEEEESE_SE_xNS9_4plusIxEE19head_flag_predicatexEE10hipError_tPvRmT2_T3_T4_T5_mT6_T7_P12ihipStream_tbENKUlT_T0_E_clISt17integral_constantIbLb1EESY_EEDaST_SU_EUlST_E_NS1_11comp_targetILNS1_3genE5ELNS1_11target_archE942ELNS1_3gpuE9ELNS1_3repE0EEENS1_30default_config_static_selectorELNS0_4arch9wavefront6targetE1EEEvT1_
; %bb.0:
	.section	.rodata,"a",@progbits
	.p2align	6, 0x0
	.amdhsa_kernel _ZN7rocprim17ROCPRIM_400000_NS6detail17trampoline_kernelINS0_14default_configENS1_27scan_by_key_config_selectorIxxEEZZNS1_16scan_by_key_implILNS1_25lookback_scan_determinismE0ELb0ES3_N6thrust23THRUST_200600_302600_NS6detail15normal_iteratorINS9_10device_ptrIxEEEESE_SE_xNS9_4plusIxEE19head_flag_predicatexEE10hipError_tPvRmT2_T3_T4_T5_mT6_T7_P12ihipStream_tbENKUlT_T0_E_clISt17integral_constantIbLb1EESY_EEDaST_SU_EUlST_E_NS1_11comp_targetILNS1_3genE5ELNS1_11target_archE942ELNS1_3gpuE9ELNS1_3repE0EEENS1_30default_config_static_selectorELNS0_4arch9wavefront6targetE1EEEvT1_
		.amdhsa_group_segment_fixed_size 0
		.amdhsa_private_segment_fixed_size 0
		.amdhsa_kernarg_size 136
		.amdhsa_user_sgpr_count 6
		.amdhsa_user_sgpr_private_segment_buffer 1
		.amdhsa_user_sgpr_dispatch_ptr 0
		.amdhsa_user_sgpr_queue_ptr 0
		.amdhsa_user_sgpr_kernarg_segment_ptr 1
		.amdhsa_user_sgpr_dispatch_id 0
		.amdhsa_user_sgpr_flat_scratch_init 0
		.amdhsa_user_sgpr_kernarg_preload_length 0
		.amdhsa_user_sgpr_kernarg_preload_offset 0
		.amdhsa_user_sgpr_private_segment_size 0
		.amdhsa_uses_dynamic_stack 0
		.amdhsa_system_sgpr_private_segment_wavefront_offset 0
		.amdhsa_system_sgpr_workgroup_id_x 1
		.amdhsa_system_sgpr_workgroup_id_y 0
		.amdhsa_system_sgpr_workgroup_id_z 0
		.amdhsa_system_sgpr_workgroup_info 0
		.amdhsa_system_vgpr_workitem_id 0
		.amdhsa_next_free_vgpr 1
		.amdhsa_next_free_sgpr 0
		.amdhsa_accum_offset 4
		.amdhsa_reserve_vcc 0
		.amdhsa_reserve_flat_scratch 0
		.amdhsa_float_round_mode_32 0
		.amdhsa_float_round_mode_16_64 0
		.amdhsa_float_denorm_mode_32 3
		.amdhsa_float_denorm_mode_16_64 3
		.amdhsa_dx10_clamp 1
		.amdhsa_ieee_mode 1
		.amdhsa_fp16_overflow 0
		.amdhsa_tg_split 0
		.amdhsa_exception_fp_ieee_invalid_op 0
		.amdhsa_exception_fp_denorm_src 0
		.amdhsa_exception_fp_ieee_div_zero 0
		.amdhsa_exception_fp_ieee_overflow 0
		.amdhsa_exception_fp_ieee_underflow 0
		.amdhsa_exception_fp_ieee_inexact 0
		.amdhsa_exception_int_div_zero 0
	.end_amdhsa_kernel
	.section	.text._ZN7rocprim17ROCPRIM_400000_NS6detail17trampoline_kernelINS0_14default_configENS1_27scan_by_key_config_selectorIxxEEZZNS1_16scan_by_key_implILNS1_25lookback_scan_determinismE0ELb0ES3_N6thrust23THRUST_200600_302600_NS6detail15normal_iteratorINS9_10device_ptrIxEEEESE_SE_xNS9_4plusIxEE19head_flag_predicatexEE10hipError_tPvRmT2_T3_T4_T5_mT6_T7_P12ihipStream_tbENKUlT_T0_E_clISt17integral_constantIbLb1EESY_EEDaST_SU_EUlST_E_NS1_11comp_targetILNS1_3genE5ELNS1_11target_archE942ELNS1_3gpuE9ELNS1_3repE0EEENS1_30default_config_static_selectorELNS0_4arch9wavefront6targetE1EEEvT1_,"axG",@progbits,_ZN7rocprim17ROCPRIM_400000_NS6detail17trampoline_kernelINS0_14default_configENS1_27scan_by_key_config_selectorIxxEEZZNS1_16scan_by_key_implILNS1_25lookback_scan_determinismE0ELb0ES3_N6thrust23THRUST_200600_302600_NS6detail15normal_iteratorINS9_10device_ptrIxEEEESE_SE_xNS9_4plusIxEE19head_flag_predicatexEE10hipError_tPvRmT2_T3_T4_T5_mT6_T7_P12ihipStream_tbENKUlT_T0_E_clISt17integral_constantIbLb1EESY_EEDaST_SU_EUlST_E_NS1_11comp_targetILNS1_3genE5ELNS1_11target_archE942ELNS1_3gpuE9ELNS1_3repE0EEENS1_30default_config_static_selectorELNS0_4arch9wavefront6targetE1EEEvT1_,comdat
.Lfunc_end688:
	.size	_ZN7rocprim17ROCPRIM_400000_NS6detail17trampoline_kernelINS0_14default_configENS1_27scan_by_key_config_selectorIxxEEZZNS1_16scan_by_key_implILNS1_25lookback_scan_determinismE0ELb0ES3_N6thrust23THRUST_200600_302600_NS6detail15normal_iteratorINS9_10device_ptrIxEEEESE_SE_xNS9_4plusIxEE19head_flag_predicatexEE10hipError_tPvRmT2_T3_T4_T5_mT6_T7_P12ihipStream_tbENKUlT_T0_E_clISt17integral_constantIbLb1EESY_EEDaST_SU_EUlST_E_NS1_11comp_targetILNS1_3genE5ELNS1_11target_archE942ELNS1_3gpuE9ELNS1_3repE0EEENS1_30default_config_static_selectorELNS0_4arch9wavefront6targetE1EEEvT1_, .Lfunc_end688-_ZN7rocprim17ROCPRIM_400000_NS6detail17trampoline_kernelINS0_14default_configENS1_27scan_by_key_config_selectorIxxEEZZNS1_16scan_by_key_implILNS1_25lookback_scan_determinismE0ELb0ES3_N6thrust23THRUST_200600_302600_NS6detail15normal_iteratorINS9_10device_ptrIxEEEESE_SE_xNS9_4plusIxEE19head_flag_predicatexEE10hipError_tPvRmT2_T3_T4_T5_mT6_T7_P12ihipStream_tbENKUlT_T0_E_clISt17integral_constantIbLb1EESY_EEDaST_SU_EUlST_E_NS1_11comp_targetILNS1_3genE5ELNS1_11target_archE942ELNS1_3gpuE9ELNS1_3repE0EEENS1_30default_config_static_selectorELNS0_4arch9wavefront6targetE1EEEvT1_
                                        ; -- End function
	.section	.AMDGPU.csdata,"",@progbits
; Kernel info:
; codeLenInByte = 0
; NumSgprs: 4
; NumVgprs: 0
; NumAgprs: 0
; TotalNumVgprs: 0
; ScratchSize: 0
; MemoryBound: 0
; FloatMode: 240
; IeeeMode: 1
; LDSByteSize: 0 bytes/workgroup (compile time only)
; SGPRBlocks: 0
; VGPRBlocks: 0
; NumSGPRsForWavesPerEU: 4
; NumVGPRsForWavesPerEU: 1
; AccumOffset: 4
; Occupancy: 8
; WaveLimiterHint : 0
; COMPUTE_PGM_RSRC2:SCRATCH_EN: 0
; COMPUTE_PGM_RSRC2:USER_SGPR: 6
; COMPUTE_PGM_RSRC2:TRAP_HANDLER: 0
; COMPUTE_PGM_RSRC2:TGID_X_EN: 1
; COMPUTE_PGM_RSRC2:TGID_Y_EN: 0
; COMPUTE_PGM_RSRC2:TGID_Z_EN: 0
; COMPUTE_PGM_RSRC2:TIDIG_COMP_CNT: 0
; COMPUTE_PGM_RSRC3_GFX90A:ACCUM_OFFSET: 0
; COMPUTE_PGM_RSRC3_GFX90A:TG_SPLIT: 0
	.section	.text._ZN7rocprim17ROCPRIM_400000_NS6detail17trampoline_kernelINS0_14default_configENS1_27scan_by_key_config_selectorIxxEEZZNS1_16scan_by_key_implILNS1_25lookback_scan_determinismE0ELb0ES3_N6thrust23THRUST_200600_302600_NS6detail15normal_iteratorINS9_10device_ptrIxEEEESE_SE_xNS9_4plusIxEE19head_flag_predicatexEE10hipError_tPvRmT2_T3_T4_T5_mT6_T7_P12ihipStream_tbENKUlT_T0_E_clISt17integral_constantIbLb1EESY_EEDaST_SU_EUlST_E_NS1_11comp_targetILNS1_3genE4ELNS1_11target_archE910ELNS1_3gpuE8ELNS1_3repE0EEENS1_30default_config_static_selectorELNS0_4arch9wavefront6targetE1EEEvT1_,"axG",@progbits,_ZN7rocprim17ROCPRIM_400000_NS6detail17trampoline_kernelINS0_14default_configENS1_27scan_by_key_config_selectorIxxEEZZNS1_16scan_by_key_implILNS1_25lookback_scan_determinismE0ELb0ES3_N6thrust23THRUST_200600_302600_NS6detail15normal_iteratorINS9_10device_ptrIxEEEESE_SE_xNS9_4plusIxEE19head_flag_predicatexEE10hipError_tPvRmT2_T3_T4_T5_mT6_T7_P12ihipStream_tbENKUlT_T0_E_clISt17integral_constantIbLb1EESY_EEDaST_SU_EUlST_E_NS1_11comp_targetILNS1_3genE4ELNS1_11target_archE910ELNS1_3gpuE8ELNS1_3repE0EEENS1_30default_config_static_selectorELNS0_4arch9wavefront6targetE1EEEvT1_,comdat
	.protected	_ZN7rocprim17ROCPRIM_400000_NS6detail17trampoline_kernelINS0_14default_configENS1_27scan_by_key_config_selectorIxxEEZZNS1_16scan_by_key_implILNS1_25lookback_scan_determinismE0ELb0ES3_N6thrust23THRUST_200600_302600_NS6detail15normal_iteratorINS9_10device_ptrIxEEEESE_SE_xNS9_4plusIxEE19head_flag_predicatexEE10hipError_tPvRmT2_T3_T4_T5_mT6_T7_P12ihipStream_tbENKUlT_T0_E_clISt17integral_constantIbLb1EESY_EEDaST_SU_EUlST_E_NS1_11comp_targetILNS1_3genE4ELNS1_11target_archE910ELNS1_3gpuE8ELNS1_3repE0EEENS1_30default_config_static_selectorELNS0_4arch9wavefront6targetE1EEEvT1_ ; -- Begin function _ZN7rocprim17ROCPRIM_400000_NS6detail17trampoline_kernelINS0_14default_configENS1_27scan_by_key_config_selectorIxxEEZZNS1_16scan_by_key_implILNS1_25lookback_scan_determinismE0ELb0ES3_N6thrust23THRUST_200600_302600_NS6detail15normal_iteratorINS9_10device_ptrIxEEEESE_SE_xNS9_4plusIxEE19head_flag_predicatexEE10hipError_tPvRmT2_T3_T4_T5_mT6_T7_P12ihipStream_tbENKUlT_T0_E_clISt17integral_constantIbLb1EESY_EEDaST_SU_EUlST_E_NS1_11comp_targetILNS1_3genE4ELNS1_11target_archE910ELNS1_3gpuE8ELNS1_3repE0EEENS1_30default_config_static_selectorELNS0_4arch9wavefront6targetE1EEEvT1_
	.globl	_ZN7rocprim17ROCPRIM_400000_NS6detail17trampoline_kernelINS0_14default_configENS1_27scan_by_key_config_selectorIxxEEZZNS1_16scan_by_key_implILNS1_25lookback_scan_determinismE0ELb0ES3_N6thrust23THRUST_200600_302600_NS6detail15normal_iteratorINS9_10device_ptrIxEEEESE_SE_xNS9_4plusIxEE19head_flag_predicatexEE10hipError_tPvRmT2_T3_T4_T5_mT6_T7_P12ihipStream_tbENKUlT_T0_E_clISt17integral_constantIbLb1EESY_EEDaST_SU_EUlST_E_NS1_11comp_targetILNS1_3genE4ELNS1_11target_archE910ELNS1_3gpuE8ELNS1_3repE0EEENS1_30default_config_static_selectorELNS0_4arch9wavefront6targetE1EEEvT1_
	.p2align	8
	.type	_ZN7rocprim17ROCPRIM_400000_NS6detail17trampoline_kernelINS0_14default_configENS1_27scan_by_key_config_selectorIxxEEZZNS1_16scan_by_key_implILNS1_25lookback_scan_determinismE0ELb0ES3_N6thrust23THRUST_200600_302600_NS6detail15normal_iteratorINS9_10device_ptrIxEEEESE_SE_xNS9_4plusIxEE19head_flag_predicatexEE10hipError_tPvRmT2_T3_T4_T5_mT6_T7_P12ihipStream_tbENKUlT_T0_E_clISt17integral_constantIbLb1EESY_EEDaST_SU_EUlST_E_NS1_11comp_targetILNS1_3genE4ELNS1_11target_archE910ELNS1_3gpuE8ELNS1_3repE0EEENS1_30default_config_static_selectorELNS0_4arch9wavefront6targetE1EEEvT1_,@function
_ZN7rocprim17ROCPRIM_400000_NS6detail17trampoline_kernelINS0_14default_configENS1_27scan_by_key_config_selectorIxxEEZZNS1_16scan_by_key_implILNS1_25lookback_scan_determinismE0ELb0ES3_N6thrust23THRUST_200600_302600_NS6detail15normal_iteratorINS9_10device_ptrIxEEEESE_SE_xNS9_4plusIxEE19head_flag_predicatexEE10hipError_tPvRmT2_T3_T4_T5_mT6_T7_P12ihipStream_tbENKUlT_T0_E_clISt17integral_constantIbLb1EESY_EEDaST_SU_EUlST_E_NS1_11comp_targetILNS1_3genE4ELNS1_11target_archE910ELNS1_3gpuE8ELNS1_3repE0EEENS1_30default_config_static_selectorELNS0_4arch9wavefront6targetE1EEEvT1_: ; @_ZN7rocprim17ROCPRIM_400000_NS6detail17trampoline_kernelINS0_14default_configENS1_27scan_by_key_config_selectorIxxEEZZNS1_16scan_by_key_implILNS1_25lookback_scan_determinismE0ELb0ES3_N6thrust23THRUST_200600_302600_NS6detail15normal_iteratorINS9_10device_ptrIxEEEESE_SE_xNS9_4plusIxEE19head_flag_predicatexEE10hipError_tPvRmT2_T3_T4_T5_mT6_T7_P12ihipStream_tbENKUlT_T0_E_clISt17integral_constantIbLb1EESY_EEDaST_SU_EUlST_E_NS1_11comp_targetILNS1_3genE4ELNS1_11target_archE910ELNS1_3gpuE8ELNS1_3repE0EEENS1_30default_config_static_selectorELNS0_4arch9wavefront6targetE1EEEvT1_
; %bb.0:
	s_load_dwordx8 s[48:55], s[4:5], 0x30
	s_load_dwordx2 s[68:69], s[4:5], 0x50
	v_cmp_ne_u32_e64 s[46:47], 0, v0
	v_cmp_eq_u32_e64 s[0:1], 0, v0
	s_and_saveexec_b64 s[2:3], s[0:1]
	s_cbranch_execz .LBB689_4
; %bb.1:
	s_mov_b64 s[8:9], exec
	v_mbcnt_lo_u32_b32 v1, s8, 0
	v_mbcnt_hi_u32_b32 v1, s9, v1
	v_cmp_eq_u32_e32 vcc, 0, v1
                                        ; implicit-def: $vgpr2
	s_and_saveexec_b64 s[6:7], vcc
	s_cbranch_execz .LBB689_3
; %bb.2:
	s_load_dwordx2 s[10:11], s[4:5], 0x80
	s_bcnt1_i32_b64 s8, s[8:9]
	v_mov_b32_e32 v2, 0
	v_mov_b32_e32 v3, s8
	s_waitcnt lgkmcnt(0)
	global_atomic_add v2, v2, v3, s[10:11] glc
.LBB689_3:
	s_or_b64 exec, exec, s[6:7]
	s_waitcnt vmcnt(0)
	v_readfirstlane_b32 s6, v2
	v_add_u32_e32 v1, s6, v1
	v_mov_b32_e32 v2, 0
	ds_write_b32 v2, v1
.LBB689_4:
	s_or_b64 exec, exec, s[2:3]
	s_load_dwordx8 s[56:63], s[4:5], 0x0
	s_load_dword s2, s[4:5], 0x58
	s_load_dwordx4 s[64:67], s[4:5], 0x60
	v_mov_b32_e32 v1, 0
	s_waitcnt lgkmcnt(0)
	; wave barrier
	s_waitcnt lgkmcnt(0)
	ds_read_b32 v1, v1
	s_lshl_b64 s[58:59], s[58:59], 3
	s_add_u32 s4, s56, s58
	s_addc_u32 s5, s57, s59
	s_add_u32 s6, s60, s58
	s_mul_i32 s3, s69, s2
	s_mul_hi_u32 s8, s68, s2
	s_waitcnt lgkmcnt(0)
	v_readfirstlane_b32 s55, v1
	s_addc_u32 s7, s61, s59
	s_add_i32 s8, s8, s3
	s_mul_i32 s9, s68, s2
	s_mov_b32 s3, 0
	s_mul_i32 s2, s55, 0x4c0
	s_lshl_b64 s[56:57], s[2:3], 3
	s_add_u32 s44, s4, s56
	s_addc_u32 s45, s5, s57
	s_add_u32 s70, s6, s56
	s_addc_u32 s71, s7, s57
	v_mov_b32_e32 v3, s8
	v_add_co_u32_e32 v2, vcc, s9, v1
	s_add_u32 s6, s64, -1
	v_addc_co_u32_e32 v3, vcc, 0, v3, vcc
	s_addc_u32 s7, s65, -1
	v_cmp_le_u64_e64 s[2:3], s[6:7], v[2:3]
	s_mov_b64 s[4:5], -1
	s_and_b64 vcc, exec, s[2:3]
	s_mul_i32 s33, s6, 0xfffffb40
	s_waitcnt lgkmcnt(0)
	; wave barrier
	s_waitcnt lgkmcnt(0)
	s_waitcnt lgkmcnt(0)
	; wave barrier
	s_cbranch_vccz .LBB689_61
; %bb.5:
	v_pk_mov_b32 v[2:3], s[44:45], s[44:45] op_sel:[0,1]
	flat_load_dwordx2 v[2:3], v[2:3]
	s_add_i32 s65, s33, s54
	v_cmp_gt_u32_e32 vcc, s65, v0
	s_waitcnt vmcnt(0) lgkmcnt(0)
	v_pk_mov_b32 v[4:5], v[2:3], v[2:3] op_sel:[0,1]
	s_and_saveexec_b64 s[6:7], vcc
	s_cbranch_execz .LBB689_7
; %bb.6:
	v_lshlrev_b32_e32 v1, 3, v0
	v_mov_b32_e32 v5, s45
	v_add_co_u32_e64 v4, s[4:5], s44, v1
	v_addc_co_u32_e64 v5, s[4:5], 0, v5, s[4:5]
	flat_load_dwordx2 v[4:5], v[4:5]
.LBB689_7:
	s_or_b64 exec, exec, s[6:7]
	v_or_b32_e32 v1, 64, v0
	v_cmp_gt_u32_e64 s[6:7], s65, v1
	v_pk_mov_b32 v[6:7], v[2:3], v[2:3] op_sel:[0,1]
	s_and_saveexec_b64 s[8:9], s[6:7]
	s_cbranch_execz .LBB689_9
; %bb.8:
	v_lshlrev_b32_e32 v1, 3, v0
	v_mov_b32_e32 v7, s45
	v_add_co_u32_e64 v6, s[4:5], s44, v1
	v_addc_co_u32_e64 v7, s[4:5], 0, v7, s[4:5]
	flat_load_dwordx2 v[6:7], v[6:7] offset:512
.LBB689_9:
	s_or_b64 exec, exec, s[8:9]
	v_or_b32_e32 v1, 0x80, v0
	v_cmp_gt_u32_e64 s[8:9], s65, v1
	v_pk_mov_b32 v[8:9], v[2:3], v[2:3] op_sel:[0,1]
	s_and_saveexec_b64 s[10:11], s[8:9]
	s_cbranch_execz .LBB689_11
; %bb.10:
	v_lshlrev_b32_e32 v1, 3, v0
	v_mov_b32_e32 v9, s45
	v_add_co_u32_e64 v8, s[4:5], s44, v1
	v_addc_co_u32_e64 v9, s[4:5], 0, v9, s[4:5]
	flat_load_dwordx2 v[8:9], v[8:9] offset:1024
.LBB689_11:
	;; [unrolled: 13-line block ×7, first 2 shown]
	s_or_b64 exec, exec, s[20:21]
	v_or_b32_e32 v1, 0x200, v0
	v_cmp_gt_u32_e64 s[20:21], s65, v1
	v_pk_mov_b32 v[20:21], v[2:3], v[2:3] op_sel:[0,1]
	s_and_saveexec_b64 s[22:23], s[20:21]
	s_cbranch_execz .LBB689_23
; %bb.22:
	v_lshlrev_b32_e32 v20, 3, v1
	v_mov_b32_e32 v21, s45
	v_add_co_u32_e64 v20, s[4:5], s44, v20
	v_addc_co_u32_e64 v21, s[4:5], 0, v21, s[4:5]
	flat_load_dwordx2 v[20:21], v[20:21]
.LBB689_23:
	s_or_b64 exec, exec, s[22:23]
	v_or_b32_e32 v40, 0x240, v0
	v_cmp_gt_u32_e64 s[22:23], s65, v40
	v_pk_mov_b32 v[22:23], v[2:3], v[2:3] op_sel:[0,1]
	s_and_saveexec_b64 s[24:25], s[22:23]
	s_cbranch_execz .LBB689_25
; %bb.24:
	v_lshlrev_b32_e32 v22, 3, v40
	v_mov_b32_e32 v23, s45
	v_add_co_u32_e64 v22, s[4:5], s44, v22
	v_addc_co_u32_e64 v23, s[4:5], 0, v23, s[4:5]
	flat_load_dwordx2 v[22:23], v[22:23]
.LBB689_25:
	;; [unrolled: 13-line block ×10, first 2 shown]
	s_or_b64 exec, exec, s[42:43]
	v_or_b32_e32 v49, 0x480, v0
	v_cmp_gt_u32_e64 s[42:43], s65, v49
	s_and_saveexec_b64 s[60:61], s[42:43]
	s_cbranch_execz .LBB689_43
; %bb.42:
	v_lshlrev_b32_e32 v2, 3, v49
	v_mov_b32_e32 v3, s45
	v_add_co_u32_e64 v2, s[4:5], s44, v2
	v_addc_co_u32_e64 v3, s[4:5], 0, v3, s[4:5]
	flat_load_dwordx2 v[2:3], v[2:3]
.LBB689_43:
	s_or_b64 exec, exec, s[60:61]
	v_lshlrev_b32_e32 v50, 3, v0
	s_movk_i32 s4, 0x90
	v_mad_u32_u24 v94, v0, s4, v50
	s_waitcnt vmcnt(0) lgkmcnt(0)
	ds_write2st64_b64 v50, v[4:5], v[6:7] offset1:1
	ds_write2st64_b64 v50, v[8:9], v[10:11] offset0:2 offset1:3
	ds_write2st64_b64 v50, v[12:13], v[14:15] offset0:4 offset1:5
	;; [unrolled: 1-line block ×8, first 2 shown]
	ds_write_b64 v50, v[2:3] offset:9216
	s_waitcnt lgkmcnt(0)
	; wave barrier
	s_waitcnt lgkmcnt(0)
	ds_read2_b64 v[88:91], v94 offset1:1
	ds_read2_b64 v[84:87], v94 offset0:2 offset1:3
	ds_read2_b64 v[80:83], v94 offset0:4 offset1:5
	;; [unrolled: 1-line block ×6, first 2 shown]
	ds_read_b64 v[92:93], v94 offset:144
	ds_read2_b64 v[64:67], v94 offset0:12 offset1:13
	ds_read2_b64 v[60:63], v94 offset0:14 offset1:15
	s_movk_i32 s4, 0xff70
	v_mad_i32_i24 v2, v0, s4, v94
	s_waitcnt lgkmcnt(2)
	ds_write_b64 v2, v[92:93] offset:9728
	s_waitcnt lgkmcnt(0)
	; wave barrier
	s_waitcnt lgkmcnt(0)
	s_waitcnt lgkmcnt(0)
	; wave barrier
	s_waitcnt lgkmcnt(0)
                                        ; implicit-def: $vgpr2_vgpr3
	s_and_saveexec_b64 s[4:5], vcc
	s_cbranch_execz .LBB689_128
; %bb.44:
	v_mov_b32_e32 v3, s71
	v_add_co_u32_e32 v2, vcc, s70, v50
	v_addc_co_u32_e32 v3, vcc, 0, v3, vcc
	flat_load_dwordx2 v[2:3], v[2:3]
	s_or_b64 exec, exec, s[4:5]
                                        ; implicit-def: $vgpr4_vgpr5
	s_and_saveexec_b64 s[4:5], s[6:7]
	s_cbranch_execnz .LBB689_129
.LBB689_45:
	s_or_b64 exec, exec, s[4:5]
                                        ; implicit-def: $vgpr6_vgpr7
	s_and_saveexec_b64 s[4:5], s[8:9]
	s_cbranch_execz .LBB689_130
.LBB689_46:
	v_mov_b32_e32 v7, s71
	v_add_co_u32_e32 v6, vcc, s70, v50
	v_addc_co_u32_e32 v7, vcc, 0, v7, vcc
	flat_load_dwordx2 v[6:7], v[6:7] offset:1024
	s_or_b64 exec, exec, s[4:5]
                                        ; implicit-def: $vgpr8_vgpr9
	s_and_saveexec_b64 s[4:5], s[10:11]
	s_cbranch_execnz .LBB689_131
.LBB689_47:
	s_or_b64 exec, exec, s[4:5]
                                        ; implicit-def: $vgpr10_vgpr11
	s_and_saveexec_b64 s[4:5], s[12:13]
	s_cbranch_execz .LBB689_132
.LBB689_48:
	v_mov_b32_e32 v11, s71
	v_add_co_u32_e32 v10, vcc, s70, v50
	v_addc_co_u32_e32 v11, vcc, 0, v11, vcc
	flat_load_dwordx2 v[10:11], v[10:11] offset:2048
	s_or_b64 exec, exec, s[4:5]
                                        ; implicit-def: $vgpr12_vgpr13
	s_and_saveexec_b64 s[4:5], s[14:15]
	s_cbranch_execnz .LBB689_133
.LBB689_49:
	s_or_b64 exec, exec, s[4:5]
                                        ; implicit-def: $vgpr14_vgpr15
	s_and_saveexec_b64 s[4:5], s[16:17]
	s_cbranch_execz .LBB689_134
.LBB689_50:
	v_mov_b32_e32 v15, s71
	v_add_co_u32_e32 v14, vcc, s70, v50
	v_addc_co_u32_e32 v15, vcc, 0, v15, vcc
	flat_load_dwordx2 v[14:15], v[14:15] offset:3072
	s_or_b64 exec, exec, s[4:5]
                                        ; implicit-def: $vgpr16_vgpr17
	s_and_saveexec_b64 s[4:5], s[18:19]
	s_cbranch_execnz .LBB689_135
.LBB689_51:
	s_or_b64 exec, exec, s[4:5]
                                        ; implicit-def: $vgpr18_vgpr19
	s_and_saveexec_b64 s[4:5], s[20:21]
	s_cbranch_execz .LBB689_136
.LBB689_52:
	v_lshlrev_b32_e32 v1, 3, v1
	v_mov_b32_e32 v19, s71
	v_add_co_u32_e32 v18, vcc, s70, v1
	v_addc_co_u32_e32 v19, vcc, 0, v19, vcc
	flat_load_dwordx2 v[18:19], v[18:19]
	s_or_b64 exec, exec, s[4:5]
                                        ; implicit-def: $vgpr20_vgpr21
	s_and_saveexec_b64 s[4:5], s[22:23]
	s_cbranch_execnz .LBB689_137
.LBB689_53:
	s_or_b64 exec, exec, s[4:5]
                                        ; implicit-def: $vgpr22_vgpr23
	s_and_saveexec_b64 s[4:5], s[24:25]
	s_cbranch_execz .LBB689_138
.LBB689_54:
	v_lshlrev_b32_e32 v1, 3, v41
	v_mov_b32_e32 v23, s71
	v_add_co_u32_e32 v22, vcc, s70, v1
	v_addc_co_u32_e32 v23, vcc, 0, v23, vcc
	flat_load_dwordx2 v[22:23], v[22:23]
	s_or_b64 exec, exec, s[4:5]
                                        ; implicit-def: $vgpr24_vgpr25
	s_and_saveexec_b64 s[4:5], s[26:27]
	s_cbranch_execnz .LBB689_139
.LBB689_55:
	s_or_b64 exec, exec, s[4:5]
                                        ; implicit-def: $vgpr26_vgpr27
	s_and_saveexec_b64 s[4:5], s[28:29]
	s_cbranch_execz .LBB689_140
.LBB689_56:
	v_lshlrev_b32_e32 v1, 3, v43
	v_mov_b32_e32 v27, s71
	v_add_co_u32_e32 v26, vcc, s70, v1
	v_addc_co_u32_e32 v27, vcc, 0, v27, vcc
	flat_load_dwordx2 v[26:27], v[26:27]
	s_or_b64 exec, exec, s[4:5]
                                        ; implicit-def: $vgpr28_vgpr29
	s_and_saveexec_b64 s[4:5], s[30:31]
	s_cbranch_execnz .LBB689_141
.LBB689_57:
	s_or_b64 exec, exec, s[4:5]
                                        ; implicit-def: $vgpr30_vgpr31
	s_and_saveexec_b64 s[4:5], s[34:35]
	s_cbranch_execz .LBB689_142
.LBB689_58:
	v_lshlrev_b32_e32 v1, 3, v45
	v_mov_b32_e32 v31, s71
	v_add_co_u32_e32 v30, vcc, s70, v1
	v_addc_co_u32_e32 v31, vcc, 0, v31, vcc
	flat_load_dwordx2 v[30:31], v[30:31]
	s_or_b64 exec, exec, s[4:5]
                                        ; implicit-def: $vgpr32_vgpr33
	s_and_saveexec_b64 s[4:5], s[36:37]
	s_cbranch_execnz .LBB689_143
.LBB689_59:
	s_or_b64 exec, exec, s[4:5]
                                        ; implicit-def: $vgpr34_vgpr35
	s_and_saveexec_b64 s[4:5], s[38:39]
	s_cbranch_execz .LBB689_144
.LBB689_60:
	v_lshlrev_b32_e32 v1, 3, v47
	v_mov_b32_e32 v35, s71
	v_add_co_u32_e32 v34, vcc, s70, v1
	v_addc_co_u32_e32 v35, vcc, 0, v35, vcc
	flat_load_dwordx2 v[34:35], v[34:35]
	s_or_b64 exec, exec, s[4:5]
                                        ; implicit-def: $vgpr36_vgpr37
	s_and_saveexec_b64 s[4:5], s[40:41]
	s_cbranch_execz .LBB689_146
	s_branch .LBB689_145
.LBB689_61:
	s_mov_b64 s[8:9], 0
                                        ; implicit-def: $vgpr92_vgpr93
                                        ; implicit-def: $vgpr6_vgpr7
                                        ; implicit-def: $vgpr105
                                        ; implicit-def: $vgpr56_vgpr57
                                        ; implicit-def: $vgpr120
                                        ; implicit-def: $vgpr119
                                        ; implicit-def: $vgpr50_vgpr51
                                        ; implicit-def: $vgpr118
                                        ; implicit-def: $vgpr48_vgpr49
                                        ; implicit-def: $vgpr117
                                        ; implicit-def: $vgpr44_vgpr45
                                        ; implicit-def: $vgpr116
                                        ; implicit-def: $vgpr42_vgpr43
                                        ; implicit-def: $vgpr115
                                        ; implicit-def: $vgpr38_vgpr39
                                        ; implicit-def: $vgpr114
                                        ; implicit-def: $vgpr36_vgpr37
                                        ; implicit-def: $vgpr113
                                        ; implicit-def: $vgpr32_vgpr33
                                        ; implicit-def: $vgpr112
                                        ; implicit-def: $vgpr30_vgpr31
                                        ; implicit-def: $vgpr111
                                        ; implicit-def: $vgpr26_vgpr27
                                        ; implicit-def: $vgpr110
                                        ; implicit-def: $vgpr24_vgpr25
                                        ; implicit-def: $vgpr109
                                        ; implicit-def: $vgpr20_vgpr21
                                        ; implicit-def: $vgpr108
                                        ; implicit-def: $vgpr18_vgpr19
                                        ; implicit-def: $vgpr107
                                        ; implicit-def: $vgpr14_vgpr15
                                        ; implicit-def: $vgpr106
                                        ; implicit-def: $vgpr12_vgpr13
                                        ; implicit-def: $vgpr104
                                        ; implicit-def: $vgpr8_vgpr9
                                        ; implicit-def: $vgpr1
                                        ; implicit-def: $vgpr2_vgpr3
                                        ; implicit-def: $sgpr64
                                        ; implicit-def: $sgpr6_sgpr7
	s_and_b64 vcc, exec, s[4:5]
	v_lshlrev_b32_e32 v121, 3, v0
	s_cbranch_vccz .LBB689_63
.LBB689_62:
	v_mov_b32_e32 v1, s45
	s_waitcnt lgkmcnt(0)
	v_add_co_u32_e32 v2, vcc, s44, v121
	v_addc_co_u32_e32 v3, vcc, 0, v1, vcc
	v_add_co_u32_e32 v20, vcc, 0x1000, v2
	v_addc_co_u32_e32 v21, vcc, 0, v3, vcc
	flat_load_dwordx2 v[4:5], v[2:3]
	flat_load_dwordx2 v[6:7], v[2:3] offset:512
	flat_load_dwordx2 v[8:9], v[2:3] offset:1024
	;; [unrolled: 1-line block ×7, first 2 shown]
	v_add_co_u32_e32 v2, vcc, 0x2000, v2
	v_addc_co_u32_e32 v3, vcc, 0, v3, vcc
	flat_load_dwordx2 v[22:23], v[20:21]
	flat_load_dwordx2 v[24:25], v[20:21] offset:512
	flat_load_dwordx2 v[26:27], v[20:21] offset:1024
	flat_load_dwordx2 v[28:29], v[20:21] offset:1536
	flat_load_dwordx2 v[30:31], v[20:21] offset:2048
	flat_load_dwordx2 v[32:33], v[20:21] offset:2560
	flat_load_dwordx2 v[34:35], v[20:21] offset:3072
	flat_load_dwordx2 v[36:37], v[20:21] offset:3584
	s_nop 0
	flat_load_dwordx2 v[20:21], v[2:3]
	flat_load_dwordx2 v[38:39], v[2:3] offset:512
	flat_load_dwordx2 v[40:41], v[2:3] offset:1024
	v_mov_b32_e32 v1, s71
	v_add_co_u32_e32 v42, vcc, s70, v121
	s_movk_i32 s4, 0x1000
	v_addc_co_u32_e32 v43, vcc, 0, v1, vcc
	s_movk_i32 s6, 0x90
	v_add_co_u32_e32 v44, vcc, s4, v42
	s_movk_i32 s5, 0x2000
	s_movk_i32 s7, 0xff70
	v_mad_u32_u24 v80, v0, s6, v121
	v_addc_co_u32_e32 v45, vcc, 0, v43, vcc
	v_mad_i32_i24 v1, v0, s7, v80
	v_add_co_u32_e32 v46, vcc, s5, v42
	v_addc_co_u32_e32 v47, vcc, 0, v43, vcc
	s_or_b64 s[8:9], s[8:9], exec
                                        ; implicit-def: $sgpr64
                                        ; implicit-def: $sgpr6_sgpr7
	s_waitcnt vmcnt(0) lgkmcnt(0)
	ds_write2st64_b64 v121, v[4:5], v[6:7] offset1:1
	ds_write2st64_b64 v121, v[8:9], v[10:11] offset0:2 offset1:3
	ds_write2st64_b64 v121, v[12:13], v[14:15] offset0:4 offset1:5
	;; [unrolled: 1-line block ×8, first 2 shown]
	ds_write_b64 v121, v[40:41] offset:9216
	s_waitcnt lgkmcnt(0)
	; wave barrier
	s_waitcnt lgkmcnt(0)
	ds_read2_b64 v[2:5], v80 offset1:1
	ds_read2_b64 v[6:9], v80 offset0:2 offset1:3
	ds_read2_b64 v[10:13], v80 offset0:4 offset1:5
	;; [unrolled: 1-line block ×4, first 2 shown]
	ds_read_b64 v[92:93], v80 offset:144
	ds_read2_b64 v[22:25], v80 offset0:8 offset1:9
	ds_read2_b64 v[26:29], v80 offset0:10 offset1:11
	;; [unrolled: 1-line block ×4, first 2 shown]
	s_waitcnt lgkmcnt(4)
	ds_write_b64 v1, v[92:93] offset:9728
	s_waitcnt lgkmcnt(0)
	; wave barrier
	s_waitcnt lgkmcnt(0)
	s_waitcnt lgkmcnt(0)
	; wave barrier
	s_waitcnt lgkmcnt(0)
	flat_load_dwordx2 v[38:39], v[42:43]
	flat_load_dwordx2 v[40:41], v[42:43] offset:512
	flat_load_dwordx2 v[48:49], v[42:43] offset:1024
	;; [unrolled: 1-line block ×7, first 2 shown]
	flat_load_dwordx2 v[60:61], v[44:45]
	flat_load_dwordx2 v[62:63], v[44:45] offset:512
	flat_load_dwordx2 v[64:65], v[44:45] offset:1024
	;; [unrolled: 1-line block ×6, first 2 shown]
                                        ; kill: killed $vgpr42 killed $vgpr43
	flat_load_dwordx2 v[42:43], v[44:45] offset:3584
	flat_load_dwordx2 v[74:75], v[46:47]
	flat_load_dwordx2 v[76:77], v[46:47] offset:512
	flat_load_dwordx2 v[78:79], v[46:47] offset:1024
	v_cmp_ne_u64_e32 vcc, 0, v[20:21]
	v_cndmask_b32_e64 v105, 0, 1, vcc
	v_cmp_ne_u64_e32 vcc, 0, v[18:19]
	v_cndmask_b32_e64 v120, 0, 1, vcc
	v_cmp_ne_u64_e32 vcc, 0, v[36:37]
	v_cndmask_b32_e64 v119, 0, 1, vcc
	v_cmp_ne_u64_e32 vcc, 0, v[34:35]
	v_cndmask_b32_e64 v118, 0, 1, vcc
	v_cmp_ne_u64_e32 vcc, 0, v[32:33]
	v_cndmask_b32_e64 v117, 0, 1, vcc
	v_cmp_ne_u64_e32 vcc, 0, v[30:31]
	v_cndmask_b32_e64 v116, 0, 1, vcc
	v_cmp_ne_u64_e32 vcc, 0, v[28:29]
	v_cndmask_b32_e64 v115, 0, 1, vcc
	v_cmp_ne_u64_e32 vcc, 0, v[26:27]
	v_cndmask_b32_e64 v114, 0, 1, vcc
	v_cmp_ne_u64_e32 vcc, 0, v[24:25]
	v_cndmask_b32_e64 v113, 0, 1, vcc
	v_cmp_ne_u64_e32 vcc, 0, v[22:23]
	v_cndmask_b32_e64 v112, 0, 1, vcc
	v_cmp_ne_u64_e32 vcc, 0, v[16:17]
	v_cndmask_b32_e64 v111, 0, 1, vcc
	v_cmp_ne_u64_e32 vcc, 0, v[14:15]
	v_cndmask_b32_e64 v110, 0, 1, vcc
	v_cmp_ne_u64_e32 vcc, 0, v[12:13]
	v_cndmask_b32_e64 v109, 0, 1, vcc
	v_cmp_ne_u64_e32 vcc, 0, v[10:11]
	v_cndmask_b32_e64 v108, 0, 1, vcc
	v_cmp_ne_u64_e32 vcc, 0, v[8:9]
	v_cndmask_b32_e64 v107, 0, 1, vcc
	v_cmp_ne_u64_e32 vcc, 0, v[6:7]
	v_cndmask_b32_e64 v106, 0, 1, vcc
	v_cmp_ne_u64_e32 vcc, 0, v[4:5]
	v_cndmask_b32_e64 v104, 0, 1, vcc
	v_cmp_ne_u64_e32 vcc, 0, v[2:3]
	v_cndmask_b32_e64 v1, 0, 1, vcc
	s_waitcnt vmcnt(0) lgkmcnt(0)
	ds_write2st64_b64 v121, v[38:39], v[40:41] offset1:1
	ds_write2st64_b64 v121, v[48:49], v[50:51] offset0:2 offset1:3
	ds_write2st64_b64 v121, v[52:53], v[54:55] offset0:4 offset1:5
	ds_write2st64_b64 v121, v[56:57], v[58:59] offset0:6 offset1:7
	ds_write2st64_b64 v121, v[60:61], v[62:63] offset0:8 offset1:9
	ds_write2st64_b64 v121, v[64:65], v[66:67] offset0:10 offset1:11
	ds_write2st64_b64 v121, v[68:69], v[70:71] offset0:12 offset1:13
	ds_write2st64_b64 v121, v[72:73], v[42:43] offset0:14 offset1:15
	ds_write2st64_b64 v121, v[74:75], v[76:77] offset0:16 offset1:17
	ds_write_b64 v121, v[78:79] offset:9216
	s_waitcnt lgkmcnt(0)
	; wave barrier
	s_waitcnt lgkmcnt(0)
	ds_read2_b64 v[2:5], v80 offset1:1
	ds_read2_b64 v[12:15], v80 offset0:2 offset1:3
	ds_read2_b64 v[18:21], v80 offset0:4 offset1:5
	;; [unrolled: 1-line block ×8, first 2 shown]
	ds_read_b64 v[6:7], v80 offset:144
	s_waitcnt lgkmcnt(9)
	v_pk_mov_b32 v[8:9], v[4:5], v[4:5] op_sel:[0,1]
.LBB689_63:
	s_waitcnt lgkmcnt(0)
	v_pk_mov_b32 v[10:11], s[6:7], s[6:7] op_sel:[0,1]
	v_mov_b32_e32 v122, s64
	s_and_saveexec_b64 s[4:5], s[8:9]
; %bb.64:
	v_cmp_ne_u64_e32 vcc, 0, v[92:93]
	v_cndmask_b32_e64 v122, 0, 1, vcc
	v_pk_mov_b32 v[4:5], v[56:57], v[56:57] op_sel:[0,1]
	v_pk_mov_b32 v[10:11], v[6:7], v[6:7] op_sel:[0,1]
; %bb.65:
	s_or_b64 exec, exec, s[4:5]
	v_or_b32_e32 v6, v122, v105
	s_cmp_lg_u32 s55, 0
	v_or_b32_e32 v124, v6, v120
	v_mbcnt_lo_u32_b32 v123, -1, 0
	s_waitcnt lgkmcnt(0)
	; wave barrier
	s_cbranch_scc0 .LBB689_185
; %bb.66:
	v_mov_b32_e32 v6, 0
	v_cmp_eq_u16_sdwa s[42:43], v104, v6 src0_sel:BYTE_0 src1_sel:DWORD
	v_cndmask_b32_e64 v17, 0, v2, s[42:43]
	v_cndmask_b32_e64 v7, 0, v3, s[42:43]
	v_add_co_u32_e32 v17, vcc, v17, v8
	v_cmp_eq_u16_sdwa s[40:41], v106, v6 src0_sel:BYTE_0 src1_sel:DWORD
	v_addc_co_u32_e32 v7, vcc, v7, v9, vcc
	v_cndmask_b32_e64 v17, 0, v17, s[40:41]
	v_cndmask_b32_e64 v7, 0, v7, s[40:41]
	v_add_co_u32_e32 v17, vcc, v17, v12
	v_cmp_eq_u16_sdwa s[38:39], v107, v6 src0_sel:BYTE_0 src1_sel:DWORD
	v_addc_co_u32_e32 v7, vcc, v7, v13, vcc
	;; [unrolled: 5-line block ×16, first 2 shown]
	v_cndmask_b32_e64 v17, 0, v17, s[8:9]
	v_add_co_u32_e32 v17, vcc, v17, v4
	v_cmp_eq_u16_sdwa s[6:7], v122, v6 src0_sel:BYTE_0 src1_sel:DWORD
	v_cndmask_b32_e64 v6, 0, v17, s[6:7]
	v_or_b32_e32 v17, v124, v119
	v_or_b32_e32 v17, v17, v118
	;; [unrolled: 1-line block ×12, first 2 shown]
	v_cndmask_b32_e64 v7, 0, v7, s[8:9]
	v_or_b32_e32 v17, v17, v107
	v_addc_co_u32_e32 v7, vcc, v7, v5, vcc
	v_or_b32_e32 v17, v17, v106
	v_cndmask_b32_e64 v7, 0, v7, s[6:7]
	v_add_co_u32_e32 v6, vcc, v6, v10
	v_or_b32_e32 v17, v17, v104
	v_addc_co_u32_e32 v7, vcc, v7, v11, vcc
	v_and_b32_e32 v17, 1, v17
	v_and_b32_e32 v16, 0xff, v1
	v_cmp_eq_u32_e32 vcc, 1, v17
	v_mbcnt_hi_u32_b32 v17, -1, v123
	v_cndmask_b32_e64 v16, v16, 1, vcc
	v_and_b32_e32 v22, 15, v17
	v_mov_b32_dpp v28, v6 row_shr:1 row_mask:0xf bank_mask:0xf
	v_mov_b32_dpp v29, v7 row_shr:1 row_mask:0xf bank_mask:0xf
	;; [unrolled: 1-line block ×3, first 2 shown]
	v_cmp_ne_u32_e32 vcc, 0, v22
	s_and_saveexec_b64 s[4:5], vcc
; %bb.67:
	v_cmp_eq_u32_e32 vcc, 0, v16
	v_cndmask_b32_e32 v28, 0, v28, vcc
	v_cndmask_b32_e32 v29, 0, v29, vcc
	v_add_co_u32_e32 v6, vcc, v28, v6
	v_addc_co_u32_e32 v7, vcc, v29, v7, vcc
	v_and_or_b32 v16, v23, 1, v16
; %bb.68:
	s_or_b64 exec, exec, s[4:5]
	v_mov_b32_dpp v28, v6 row_shr:2 row_mask:0xf bank_mask:0xf
	v_mov_b32_dpp v29, v7 row_shr:2 row_mask:0xf bank_mask:0xf
	v_mov_b32_dpp v23, v16 row_shr:2 row_mask:0xf bank_mask:0xf
	v_cmp_lt_u32_e32 vcc, 1, v22
	s_and_saveexec_b64 s[4:5], vcc
; %bb.69:
	v_cmp_eq_u32_e32 vcc, 0, v16
	v_cndmask_b32_e32 v28, 0, v28, vcc
	v_cndmask_b32_e32 v29, 0, v29, vcc
	v_add_co_u32_e32 v6, vcc, v28, v6
	v_or_b32_e32 v16, v23, v16
	v_addc_co_u32_e32 v7, vcc, v29, v7, vcc
	v_and_b32_e32 v16, 1, v16
; %bb.70:
	s_or_b64 exec, exec, s[4:5]
	v_mov_b32_dpp v28, v6 row_shr:4 row_mask:0xf bank_mask:0xf
	v_mov_b32_dpp v29, v7 row_shr:4 row_mask:0xf bank_mask:0xf
	v_mov_b32_dpp v23, v16 row_shr:4 row_mask:0xf bank_mask:0xf
	v_cmp_lt_u32_e32 vcc, 3, v22
	s_and_saveexec_b64 s[4:5], vcc
; %bb.71:
	v_cmp_eq_u32_e32 vcc, 0, v16
	v_cndmask_b32_e32 v28, 0, v28, vcc
	v_cndmask_b32_e32 v29, 0, v29, vcc
	v_add_co_u32_e32 v6, vcc, v28, v6
	v_or_b32_e32 v16, v23, v16
	v_addc_co_u32_e32 v7, vcc, v29, v7, vcc
	v_and_b32_e32 v16, 1, v16
	;; [unrolled: 15-line block ×3, first 2 shown]
; %bb.74:
	s_or_b64 exec, exec, s[4:5]
	v_and_b32_e32 v29, 16, v17
	v_mov_b32_dpp v23, v6 row_bcast:15 row_mask:0xf bank_mask:0xf
	v_mov_b32_dpp v28, v7 row_bcast:15 row_mask:0xf bank_mask:0xf
	;; [unrolled: 1-line block ×3, first 2 shown]
	v_cmp_ne_u32_e32 vcc, 0, v29
	s_and_saveexec_b64 s[4:5], vcc
; %bb.75:
	v_cmp_eq_u32_e32 vcc, 0, v16
	v_cndmask_b32_e32 v23, 0, v23, vcc
	v_cndmask_b32_e32 v28, 0, v28, vcc
	v_add_co_u32_e32 v6, vcc, v23, v6
	v_or_b32_e32 v16, v22, v16
	v_addc_co_u32_e32 v7, vcc, v28, v7, vcc
	v_and_b32_e32 v16, 1, v16
; %bb.76:
	s_or_b64 exec, exec, s[4:5]
	v_mov_b32_dpp v28, v6 row_bcast:31 row_mask:0xf bank_mask:0xf
	v_mov_b32_dpp v29, v7 row_bcast:31 row_mask:0xf bank_mask:0xf
	;; [unrolled: 1-line block ×3, first 2 shown]
	v_cmp_lt_u32_e32 vcc, 31, v17
	v_mov_b32_e32 v22, v16
	s_and_saveexec_b64 s[4:5], vcc
; %bb.77:
	v_cmp_eq_u32_e32 vcc, 0, v16
	v_cndmask_b32_e32 v28, 0, v28, vcc
	v_cndmask_b32_e32 v22, 0, v29, vcc
	v_add_co_u32_e32 v6, vcc, v28, v6
	v_or_b32_e32 v16, v23, v16
	v_addc_co_u32_e32 v7, vcc, v22, v7, vcc
	v_and_b32_e32 v22, 1, v16
	v_and_b32_e32 v16, 1, v16
; %bb.78:
	s_or_b64 exec, exec, s[4:5]
	v_cmp_eq_u32_e32 vcc, 63, v0
	s_and_saveexec_b64 s[4:5], vcc
	s_cbranch_execz .LBB689_80
; %bb.79:
	v_mov_b32_e32 v23, 0
	ds_write_b64 v23, v[6:7]
	ds_write_b8 v23, v22 offset:8
.LBB689_80:
	s_or_b64 exec, exec, s[4:5]
	v_add_u32_e32 v22, -1, v17
	v_and_b32_e32 v23, 64, v17
	v_cmp_lt_i32_e32 vcc, v22, v23
	v_cndmask_b32_e32 v22, v22, v17, vcc
	v_lshlrev_b32_e32 v22, 2, v22
	ds_bpermute_b32 v41, v22, v6
	ds_bpermute_b32 v46, v22, v7
	;; [unrolled: 1-line block ×3, first 2 shown]
	v_cmp_gt_u32_e32 vcc, 64, v0
	s_waitcnt lgkmcnt(0)
	; wave barrier
	s_waitcnt lgkmcnt(0)
	s_and_saveexec_b64 s[60:61], vcc
	s_cbranch_execz .LBB689_127
; %bb.81:
	v_mov_b32_e32 v23, 0
	ds_read_b64 v[6:7], v23
	ds_read_u8 v47, v23 offset:8
	s_mov_b32 s65, 0
	v_cmp_eq_u32_e64 s[44:45], 0, v17
	s_and_saveexec_b64 s[4:5], s[44:45]
	s_cbranch_execz .LBB689_83
; %bb.82:
	s_add_i32 s64, s55, 64
	s_lshl_b64 s[70:71], s[64:65], 4
	s_add_u32 s70, s48, s70
	s_addc_u32 s71, s49, s71
	v_mov_b32_e32 v16, s64
	v_mov_b32_e32 v22, 1
	s_waitcnt lgkmcnt(1)
	global_store_dwordx2 v23, v[6:7], s[70:71]
	s_waitcnt lgkmcnt(0)
	global_store_byte v23, v47, s[70:71] offset:8
	s_waitcnt vmcnt(0)
	buffer_wbinvl1_vol
	global_store_byte v16, v22, s[52:53]
.LBB689_83:
	s_or_b64 exec, exec, s[4:5]
	v_xad_u32 v16, v17, -1, s55
	v_add_u32_e32 v22, 64, v16
	global_load_ubyte v52, v22, s[52:53] glc
	s_waitcnt vmcnt(0)
	v_cmp_eq_u16_e32 vcc, 0, v52
	s_and_saveexec_b64 s[4:5], vcc
	s_cbranch_execz .LBB689_89
; %bb.84:
	v_mov_b32_e32 v29, s53
	v_add_co_u32_e32 v28, vcc, s52, v22
	v_addc_co_u32_e32 v29, vcc, 0, v29, vcc
	s_mov_b32 s70, 1
	s_mov_b64 s[64:65], 0
.LBB689_85:                             ; =>This Loop Header: Depth=1
                                        ;     Child Loop BB689_86 Depth 2
	s_max_u32 s71, s70, 1
.LBB689_86:                             ;   Parent Loop BB689_85 Depth=1
                                        ; =>  This Inner Loop Header: Depth=2
	s_add_i32 s71, s71, -1
	s_cmp_eq_u32 s71, 0
	s_sleep 1
	s_cbranch_scc0 .LBB689_86
; %bb.87:                               ;   in Loop: Header=BB689_85 Depth=1
	global_load_ubyte v52, v[28:29], off glc
	s_cmp_lt_u32 s70, 32
	s_cselect_b64 s[72:73], -1, 0
	s_cmp_lg_u64 s[72:73], 0
	s_addc_u32 s70, s70, 0
	s_waitcnt vmcnt(0)
	v_cmp_ne_u16_e32 vcc, 0, v52
	s_or_b64 s[64:65], vcc, s[64:65]
	s_andn2_b64 exec, exec, s[64:65]
	s_cbranch_execnz .LBB689_85
; %bb.88:
	s_or_b64 exec, exec, s[64:65]
.LBB689_89:
	s_or_b64 exec, exec, s[4:5]
	v_mov_b32_e32 v28, s51
	v_mov_b32_e32 v29, s49
	v_cmp_eq_u16_e32 vcc, 1, v52
	v_cndmask_b32_e32 v28, v28, v29, vcc
	v_mov_b32_e32 v29, s50
	v_mov_b32_e32 v34, s48
	v_cndmask_b32_e32 v29, v29, v34, vcc
	v_lshlrev_b64 v[22:23], 4, v[22:23]
	v_add_co_u32_e32 v22, vcc, v29, v22
	v_addc_co_u32_e32 v23, vcc, v28, v23, vcc
	s_waitcnt lgkmcnt(0)
	buffer_wbinvl1_vol
	global_load_dwordx2 v[34:35], v[22:23], off
	global_load_ubyte v69, v[22:23], off offset:8
	v_cmp_eq_u16_e32 vcc, 2, v52
	v_lshlrev_b64 v[22:23], v17, -1
	v_and_b32_e32 v53, 63, v17
	v_and_b32_e32 v28, vcc_hi, v23
	v_and_b32_e32 v60, vcc_lo, v22
	v_cmp_ne_u32_e32 vcc, 63, v53
	v_addc_co_u32_e32 v29, vcc, 0, v17, vcc
	v_lshlrev_b32_e32 v56, 2, v29
	v_or_b32_e32 v28, 0x80000000, v28
	v_ffbl_b32_e32 v28, v28
	v_add_u32_e32 v28, 32, v28
	v_ffbl_b32_e32 v60, v60
	v_min_u32_e32 v28, v60, v28
	v_cmp_lt_u32_e32 vcc, v53, v28
	s_waitcnt vmcnt(1)
	ds_bpermute_b32 v58, v56, v34
	s_waitcnt vmcnt(0)
	v_and_b32_e32 v29, 1, v69
	ds_bpermute_b32 v59, v56, v35
	ds_bpermute_b32 v57, v56, v29
	s_and_saveexec_b64 s[4:5], vcc
	s_cbranch_execz .LBB689_91
; %bb.90:
	v_mov_b32_e32 v29, 0
	v_cmp_eq_u16_sdwa vcc, v69, v29 src0_sel:BYTE_0 src1_sel:DWORD
	s_waitcnt lgkmcnt(2)
	v_cndmask_b32_e32 v58, 0, v58, vcc
	s_waitcnt lgkmcnt(1)
	v_cndmask_b32_e32 v29, 0, v59, vcc
	v_add_co_u32_e32 v34, vcc, v58, v34
	v_addc_co_u32_e32 v35, vcc, v29, v35, vcc
	s_waitcnt lgkmcnt(0)
	v_and_b32_e32 v29, 1, v57
	v_or_b32_e32 v69, v29, v69
	v_and_b32_e32 v29, 0xff, v69
.LBB689_91:
	s_or_b64 exec, exec, s[4:5]
	v_cmp_gt_u32_e32 vcc, 62, v53
	s_waitcnt lgkmcnt(0)
	v_cndmask_b32_e64 v57, 0, 1, vcc
	v_lshlrev_b32_e32 v57, 1, v57
	v_add_lshl_u32 v57, v57, v17, 2
	ds_bpermute_b32 v60, v57, v34
	ds_bpermute_b32 v61, v57, v35
	ds_bpermute_b32 v59, v57, v29
	v_add_u32_e32 v58, 2, v53
	v_cmp_le_u32_e32 vcc, v58, v28
	s_and_saveexec_b64 s[64:65], vcc
	s_cbranch_execz .LBB689_93
; %bb.92:
	v_mov_b32_e32 v29, 0
	v_cmp_eq_u16_sdwa vcc, v69, v29 src0_sel:BYTE_0 src1_sel:DWORD
	s_waitcnt lgkmcnt(2)
	v_cndmask_b32_e32 v60, 0, v60, vcc
	s_waitcnt lgkmcnt(1)
	v_cndmask_b32_e32 v29, 0, v61, vcc
	v_add_co_u32_e32 v34, vcc, v60, v34
	v_addc_co_u32_e32 v35, vcc, v29, v35, vcc
	v_and_b32_e32 v29, 1, v69
	v_cmp_eq_u32_e32 vcc, 1, v29
	s_waitcnt lgkmcnt(0)
	v_and_b32_e32 v29, 1, v59
	v_cmp_eq_u32_e64 s[4:5], 1, v29
	s_or_b64 s[4:5], vcc, s[4:5]
	v_cndmask_b32_e64 v69, 0, 1, s[4:5]
	v_cndmask_b32_e64 v29, 0, 1, s[4:5]
.LBB689_93:
	s_or_b64 exec, exec, s[64:65]
	v_cmp_gt_u32_e32 vcc, 60, v53
	s_waitcnt lgkmcnt(0)
	v_cndmask_b32_e64 v59, 0, 1, vcc
	v_lshlrev_b32_e32 v59, 2, v59
	v_add_lshl_u32 v59, v59, v17, 2
	ds_bpermute_b32 v62, v59, v34
	ds_bpermute_b32 v63, v59, v35
	ds_bpermute_b32 v61, v59, v29
	v_add_u32_e32 v60, 4, v53
	v_cmp_le_u32_e32 vcc, v60, v28
	s_and_saveexec_b64 s[64:65], vcc
	s_cbranch_execz .LBB689_95
; %bb.94:
	v_mov_b32_e32 v29, 0
	v_cmp_eq_u16_sdwa vcc, v69, v29 src0_sel:BYTE_0 src1_sel:DWORD
	s_waitcnt lgkmcnt(2)
	v_cndmask_b32_e32 v62, 0, v62, vcc
	s_waitcnt lgkmcnt(1)
	v_cndmask_b32_e32 v29, 0, v63, vcc
	v_add_co_u32_e32 v34, vcc, v62, v34
	v_addc_co_u32_e32 v35, vcc, v29, v35, vcc
	v_and_b32_e32 v29, 1, v69
	v_cmp_eq_u32_e32 vcc, 1, v29
	s_waitcnt lgkmcnt(0)
	v_and_b32_e32 v29, 1, v61
	v_cmp_eq_u32_e64 s[4:5], 1, v29
	s_or_b64 s[4:5], vcc, s[4:5]
	v_cndmask_b32_e64 v69, 0, 1, s[4:5]
	v_cndmask_b32_e64 v29, 0, 1, s[4:5]
.LBB689_95:
	;; [unrolled: 31-line block ×4, first 2 shown]
	s_or_b64 exec, exec, s[64:65]
	v_cmp_gt_u32_e32 vcc, 32, v53
	s_waitcnt lgkmcnt(0)
	v_cndmask_b32_e64 v65, 0, 1, vcc
	v_lshlrev_b32_e32 v65, 5, v65
	v_add_lshl_u32 v66, v65, v17, 2
	ds_bpermute_b32 v65, v66, v34
	ds_bpermute_b32 v68, v66, v35
	;; [unrolled: 1-line block ×3, first 2 shown]
	v_add_u32_e32 v67, 32, v53
	v_cmp_le_u32_e32 vcc, v67, v28
	s_and_saveexec_b64 s[64:65], vcc
	s_cbranch_execz .LBB689_101
; %bb.100:
	v_mov_b32_e32 v28, 0
	v_cmp_eq_u16_sdwa vcc, v69, v28 src0_sel:BYTE_0 src1_sel:DWORD
	s_waitcnt lgkmcnt(2)
	v_cndmask_b32_e32 v29, 0, v65, vcc
	s_waitcnt lgkmcnt(1)
	v_cndmask_b32_e32 v28, 0, v68, vcc
	v_add_co_u32_e32 v34, vcc, v29, v34
	v_addc_co_u32_e32 v35, vcc, v28, v35, vcc
	v_and_b32_e32 v28, 1, v69
	s_waitcnt lgkmcnt(0)
	v_and_b32_e32 v17, 1, v17
	v_cmp_eq_u32_e32 vcc, 1, v28
	v_cmp_eq_u32_e64 s[4:5], 1, v17
	s_or_b64 s[4:5], vcc, s[4:5]
	v_cndmask_b32_e64 v69, 0, 1, s[4:5]
.LBB689_101:
	s_or_b64 exec, exec, s[64:65]
	s_waitcnt lgkmcnt(0)
	v_mov_b32_e32 v17, 0
	v_mov_b32_e32 v68, 2
	s_branch .LBB689_103
.LBB689_102:                            ;   in Loop: Header=BB689_103 Depth=1
	s_or_b64 exec, exec, s[70:71]
	v_cmp_eq_u16_sdwa vcc, v65, v17 src0_sel:BYTE_0 src1_sel:DWORD
	v_cndmask_b32_e32 v34, 0, v34, vcc
	v_cndmask_b32_e32 v35, 0, v35, vcc
	v_add_co_u32_e32 v34, vcc, v34, v28
	v_addc_co_u32_e32 v35, vcc, v35, v29, vcc
	v_and_b32_e32 v69, 1, v65
	v_cmp_eq_u32_e32 vcc, 1, v69
	s_or_b64 s[4:5], vcc, s[64:65]
	v_subrev_u32_e32 v16, 64, v16
	v_cndmask_b32_e64 v69, 0, 1, s[4:5]
.LBB689_103:                            ; =>This Loop Header: Depth=1
                                        ;     Child Loop BB689_106 Depth 2
                                        ;       Child Loop BB689_107 Depth 3
	v_cmp_ne_u16_sdwa s[4:5], v52, v68 src0_sel:BYTE_0 src1_sel:DWORD
	v_cndmask_b32_e64 v28, 0, 1, s[4:5]
	;;#ASMSTART
	;;#ASMEND
	v_cmp_ne_u32_e32 vcc, 0, v28
	v_mov_b32_e32 v65, v69
	s_cmp_lg_u64 vcc, exec
	v_pk_mov_b32 v[28:29], v[34:35], v[34:35] op_sel:[0,1]
	s_cbranch_scc1 .LBB689_122
; %bb.104:                              ;   in Loop: Header=BB689_103 Depth=1
	global_load_ubyte v52, v16, s[52:53] glc
	s_waitcnt vmcnt(0)
	v_cmp_eq_u16_e32 vcc, 0, v52
	s_and_saveexec_b64 s[4:5], vcc
	s_cbranch_execz .LBB689_110
; %bb.105:                              ;   in Loop: Header=BB689_103 Depth=1
	v_mov_b32_e32 v35, s53
	v_add_co_u32_e32 v34, vcc, s52, v16
	v_addc_co_u32_e32 v35, vcc, 0, v35, vcc
	s_mov_b32 s70, 1
	s_mov_b64 s[64:65], 0
.LBB689_106:                            ;   Parent Loop BB689_103 Depth=1
                                        ; =>  This Loop Header: Depth=2
                                        ;       Child Loop BB689_107 Depth 3
	s_max_u32 s71, s70, 1
.LBB689_107:                            ;   Parent Loop BB689_103 Depth=1
                                        ;     Parent Loop BB689_106 Depth=2
                                        ; =>    This Inner Loop Header: Depth=3
	s_add_i32 s71, s71, -1
	s_cmp_eq_u32 s71, 0
	s_sleep 1
	s_cbranch_scc0 .LBB689_107
; %bb.108:                              ;   in Loop: Header=BB689_106 Depth=2
	global_load_ubyte v52, v[34:35], off glc
	s_cmp_lt_u32 s70, 32
	s_cselect_b64 s[72:73], -1, 0
	s_cmp_lg_u64 s[72:73], 0
	s_addc_u32 s70, s70, 0
	s_waitcnt vmcnt(0)
	v_cmp_ne_u16_e32 vcc, 0, v52
	s_or_b64 s[64:65], vcc, s[64:65]
	s_andn2_b64 exec, exec, s[64:65]
	s_cbranch_execnz .LBB689_106
; %bb.109:                              ;   in Loop: Header=BB689_103 Depth=1
	s_or_b64 exec, exec, s[64:65]
.LBB689_110:                            ;   in Loop: Header=BB689_103 Depth=1
	s_or_b64 exec, exec, s[4:5]
	v_mov_b32_e32 v34, s51
	v_mov_b32_e32 v35, s49
	v_cmp_eq_u16_e32 vcc, 1, v52
	v_cndmask_b32_e32 v69, v34, v35, vcc
	v_mov_b32_e32 v34, s50
	v_mov_b32_e32 v35, s48
	v_cndmask_b32_e32 v70, v34, v35, vcc
	v_lshlrev_b64 v[34:35], 4, v[16:17]
	v_add_co_u32_e32 v70, vcc, v70, v34
	s_waitcnt lgkmcnt(0)
	v_addc_co_u32_e32 v71, vcc, v69, v35, vcc
	buffer_wbinvl1_vol
	global_load_dwordx2 v[34:35], v[70:71], off
	global_load_ubyte v69, v[70:71], off offset:8
	v_cmp_eq_u16_e32 vcc, 2, v52
	v_and_b32_e32 v70, vcc_hi, v23
	v_or_b32_e32 v70, 0x80000000, v70
	v_and_b32_e32 v75, vcc_lo, v22
	v_ffbl_b32_e32 v70, v70
	v_add_u32_e32 v70, 32, v70
	v_ffbl_b32_e32 v75, v75
	v_min_u32_e32 v70, v75, v70
	v_cmp_lt_u32_e32 vcc, v53, v70
	s_waitcnt vmcnt(1)
	ds_bpermute_b32 v73, v56, v34
	s_waitcnt vmcnt(0)
	v_and_b32_e32 v71, 1, v69
	ds_bpermute_b32 v74, v56, v35
	ds_bpermute_b32 v72, v56, v71
	s_and_saveexec_b64 s[4:5], vcc
	s_cbranch_execz .LBB689_112
; %bb.111:                              ;   in Loop: Header=BB689_103 Depth=1
	v_cmp_eq_u16_sdwa vcc, v69, v17 src0_sel:BYTE_0 src1_sel:DWORD
	s_waitcnt lgkmcnt(2)
	v_cndmask_b32_e32 v73, 0, v73, vcc
	s_waitcnt lgkmcnt(1)
	v_cndmask_b32_e32 v71, 0, v74, vcc
	v_add_co_u32_e32 v34, vcc, v73, v34
	v_addc_co_u32_e32 v35, vcc, v71, v35, vcc
	s_waitcnt lgkmcnt(0)
	v_and_b32_e32 v71, 1, v72
	v_or_b32_e32 v69, v71, v69
	v_and_b32_e32 v71, 0xff, v69
.LBB689_112:                            ;   in Loop: Header=BB689_103 Depth=1
	s_or_b64 exec, exec, s[4:5]
	s_waitcnt lgkmcnt(2)
	ds_bpermute_b32 v73, v57, v34
	s_waitcnt lgkmcnt(2)
	ds_bpermute_b32 v74, v57, v35
	;; [unrolled: 2-line block ×3, first 2 shown]
	v_and_b32_e32 v75, 1, v69
	v_cmp_le_u32_e32 vcc, v58, v70
	v_cmp_eq_u32_e64 s[64:65], 1, v75
	s_and_saveexec_b64 s[4:5], vcc
	s_cbranch_execz .LBB689_114
; %bb.113:                              ;   in Loop: Header=BB689_103 Depth=1
	v_cmp_eq_u16_sdwa vcc, v69, v17 src0_sel:BYTE_0 src1_sel:DWORD
	s_waitcnt lgkmcnt(2)
	v_cndmask_b32_e32 v71, 0, v73, vcc
	s_waitcnt lgkmcnt(1)
	v_cndmask_b32_e32 v69, 0, v74, vcc
	v_add_co_u32_e32 v34, vcc, v71, v34
	v_addc_co_u32_e32 v35, vcc, v69, v35, vcc
	s_waitcnt lgkmcnt(0)
	v_and_b32_e32 v69, 1, v72
	v_cmp_eq_u32_e32 vcc, 1, v69
	s_or_b64 s[70:71], s[64:65], vcc
	v_cndmask_b32_e64 v69, 0, 1, s[70:71]
	v_cndmask_b32_e64 v71, 0, 1, s[70:71]
	s_andn2_b64 s[64:65], s[64:65], exec
	s_and_b64 s[70:71], s[70:71], exec
	s_or_b64 s[64:65], s[64:65], s[70:71]
.LBB689_114:                            ;   in Loop: Header=BB689_103 Depth=1
	s_or_b64 exec, exec, s[4:5]
	s_waitcnt lgkmcnt(2)
	ds_bpermute_b32 v73, v59, v34
	s_waitcnt lgkmcnt(2)
	ds_bpermute_b32 v74, v59, v35
	s_waitcnt lgkmcnt(2)
	ds_bpermute_b32 v72, v59, v71
	v_cmp_le_u32_e32 vcc, v60, v70
	s_and_saveexec_b64 s[70:71], vcc
	s_cbranch_execz .LBB689_116
; %bb.115:                              ;   in Loop: Header=BB689_103 Depth=1
	v_cmp_eq_u16_sdwa vcc, v69, v17 src0_sel:BYTE_0 src1_sel:DWORD
	s_waitcnt lgkmcnt(2)
	v_cndmask_b32_e32 v73, 0, v73, vcc
	s_waitcnt lgkmcnt(1)
	v_cndmask_b32_e32 v71, 0, v74, vcc
	v_add_co_u32_e32 v34, vcc, v73, v34
	v_addc_co_u32_e32 v35, vcc, v71, v35, vcc
	v_and_b32_e32 v69, 1, v69
	v_cmp_eq_u32_e32 vcc, 1, v69
	s_waitcnt lgkmcnt(0)
	v_and_b32_e32 v69, 1, v72
	v_cmp_eq_u32_e64 s[4:5], 1, v69
	s_or_b64 s[4:5], vcc, s[4:5]
	v_cndmask_b32_e64 v69, 0, 1, s[4:5]
	v_cndmask_b32_e64 v71, 0, 1, s[4:5]
	s_andn2_b64 s[64:65], s[64:65], exec
	s_and_b64 s[4:5], s[4:5], exec
	s_or_b64 s[64:65], s[64:65], s[4:5]
.LBB689_116:                            ;   in Loop: Header=BB689_103 Depth=1
	s_or_b64 exec, exec, s[70:71]
	s_waitcnt lgkmcnt(2)
	ds_bpermute_b32 v73, v61, v34
	s_waitcnt lgkmcnt(2)
	ds_bpermute_b32 v74, v61, v35
	s_waitcnt lgkmcnt(2)
	ds_bpermute_b32 v72, v61, v71
	v_cmp_le_u32_e32 vcc, v62, v70
	s_and_saveexec_b64 s[70:71], vcc
	s_cbranch_execz .LBB689_118
; %bb.117:                              ;   in Loop: Header=BB689_103 Depth=1
	v_cmp_eq_u16_sdwa vcc, v69, v17 src0_sel:BYTE_0 src1_sel:DWORD
	s_waitcnt lgkmcnt(2)
	v_cndmask_b32_e32 v73, 0, v73, vcc
	s_waitcnt lgkmcnt(1)
	v_cndmask_b32_e32 v71, 0, v74, vcc
	v_add_co_u32_e32 v34, vcc, v73, v34
	v_addc_co_u32_e32 v35, vcc, v71, v35, vcc
	v_and_b32_e32 v69, 1, v69
	v_cmp_eq_u32_e32 vcc, 1, v69
	s_waitcnt lgkmcnt(0)
	v_and_b32_e32 v69, 1, v72
	v_cmp_eq_u32_e64 s[4:5], 1, v69
	s_or_b64 s[4:5], vcc, s[4:5]
	v_cndmask_b32_e64 v69, 0, 1, s[4:5]
	v_cndmask_b32_e64 v71, 0, 1, s[4:5]
	s_andn2_b64 s[64:65], s[64:65], exec
	s_and_b64 s[4:5], s[4:5], exec
	s_or_b64 s[64:65], s[64:65], s[4:5]
.LBB689_118:                            ;   in Loop: Header=BB689_103 Depth=1
	s_or_b64 exec, exec, s[70:71]
	s_waitcnt lgkmcnt(2)
	ds_bpermute_b32 v73, v63, v34
	s_waitcnt lgkmcnt(2)
	ds_bpermute_b32 v74, v63, v35
	s_waitcnt lgkmcnt(2)
	ds_bpermute_b32 v72, v63, v71
	v_cmp_le_u32_e32 vcc, v64, v70
	s_and_saveexec_b64 s[70:71], vcc
	s_cbranch_execz .LBB689_120
; %bb.119:                              ;   in Loop: Header=BB689_103 Depth=1
	v_cmp_eq_u16_sdwa vcc, v69, v17 src0_sel:BYTE_0 src1_sel:DWORD
	s_waitcnt lgkmcnt(2)
	v_cndmask_b32_e32 v73, 0, v73, vcc
	s_waitcnt lgkmcnt(1)
	v_cndmask_b32_e32 v71, 0, v74, vcc
	v_add_co_u32_e32 v34, vcc, v73, v34
	v_addc_co_u32_e32 v35, vcc, v71, v35, vcc
	v_and_b32_e32 v69, 1, v69
	v_cmp_eq_u32_e32 vcc, 1, v69
	s_waitcnt lgkmcnt(0)
	v_and_b32_e32 v69, 1, v72
	v_cmp_eq_u32_e64 s[4:5], 1, v69
	s_or_b64 s[4:5], vcc, s[4:5]
	v_cndmask_b32_e64 v69, 0, 1, s[4:5]
	v_cndmask_b32_e64 v71, 0, 1, s[4:5]
	s_andn2_b64 s[64:65], s[64:65], exec
	s_and_b64 s[4:5], s[4:5], exec
	s_or_b64 s[64:65], s[64:65], s[4:5]
.LBB689_120:                            ;   in Loop: Header=BB689_103 Depth=1
	s_or_b64 exec, exec, s[70:71]
	s_waitcnt lgkmcnt(0)
	ds_bpermute_b32 v72, v66, v34
	ds_bpermute_b32 v73, v66, v35
	;; [unrolled: 1-line block ×3, first 2 shown]
	v_cmp_le_u32_e32 vcc, v67, v70
	s_and_saveexec_b64 s[70:71], vcc
	s_cbranch_execz .LBB689_102
; %bb.121:                              ;   in Loop: Header=BB689_103 Depth=1
	v_cmp_eq_u16_sdwa vcc, v69, v17 src0_sel:BYTE_0 src1_sel:DWORD
	s_waitcnt lgkmcnt(2)
	v_cndmask_b32_e32 v72, 0, v72, vcc
	s_waitcnt lgkmcnt(1)
	v_cndmask_b32_e32 v70, 0, v73, vcc
	v_add_co_u32_e32 v34, vcc, v72, v34
	v_addc_co_u32_e32 v35, vcc, v70, v35, vcc
	v_and_b32_e32 v69, 1, v69
	v_cmp_eq_u32_e32 vcc, 1, v69
	s_waitcnt lgkmcnt(0)
	v_and_b32_e32 v69, 1, v71
	v_cmp_eq_u32_e64 s[4:5], 1, v69
	s_or_b64 s[4:5], vcc, s[4:5]
	s_andn2_b64 s[64:65], s[64:65], exec
	s_and_b64 s[4:5], s[4:5], exec
	s_or_b64 s[64:65], s[64:65], s[4:5]
	s_branch .LBB689_102
.LBB689_122:                            ;   in Loop: Header=BB689_103 Depth=1
                                        ; implicit-def: $vgpr69
                                        ; implicit-def: $vgpr34_vgpr35
                                        ; implicit-def: $vgpr52
	s_cbranch_execz .LBB689_103
; %bb.123:
	s_and_saveexec_b64 s[4:5], s[44:45]
	s_cbranch_execz .LBB689_125
; %bb.124:
	v_mov_b32_e32 v16, 0
	s_mov_b32 s45, 0
	v_cmp_eq_u16_sdwa vcc, v47, v16 src0_sel:BYTE_0 src1_sel:DWORD
	s_add_i32 s44, s55, 64
	v_cndmask_b32_e32 v22, 0, v28, vcc
	s_lshl_b64 s[48:49], s[44:45], 4
	v_cndmask_b32_e32 v17, 0, v29, vcc
	v_add_co_u32_e32 v6, vcc, v22, v6
	s_add_u32 s48, s50, s48
	v_addc_co_u32_e32 v7, vcc, v17, v7, vcc
	v_or_b32_e32 v17, v47, v65
	s_addc_u32 s49, s51, s49
	v_and_b32_e32 v17, 1, v17
	global_store_dwordx2 v16, v[6:7], s[48:49]
	global_store_byte v16, v17, s[48:49] offset:8
	v_mov_b32_e32 v6, s44
	v_mov_b32_e32 v7, 2
	s_waitcnt vmcnt(0) lgkmcnt(0)
	buffer_wbinvl1_vol
	global_store_byte v6, v7, s[52:53]
.LBB689_125:
	s_or_b64 exec, exec, s[4:5]
	s_and_b64 exec, exec, s[0:1]
	s_cbranch_execz .LBB689_127
; %bb.126:
	v_mov_b32_e32 v6, 0
	ds_write_b64 v6, v[28:29]
	ds_write_b8 v6, v65 offset:8
.LBB689_127:
	s_or_b64 exec, exec, s[60:61]
	v_mov_b32_e32 v16, 0
	v_cmp_eq_u16_sdwa vcc, v1, v16 src0_sel:BYTE_0 src1_sel:DWORD
	v_and_b32_e32 v23, 1, v1
	v_cndmask_b32_e32 v17, 0, v41, vcc
	v_cndmask_b32_e32 v22, 0, v46, vcc
	v_cmp_eq_u32_e32 vcc, 1, v23
	v_and_b32_e32 v23, 1, v40
	s_waitcnt lgkmcnt(0)
	; wave barrier
	s_waitcnt lgkmcnt(0)
	ds_read_b64 v[6:7], v16
	v_cmp_eq_u32_e64 s[4:5], 1, v23
	s_or_b64 s[4:5], vcc, s[4:5]
	v_cndmask_b32_e64 v17, v17, 0, s[0:1]
	v_cndmask_b32_e64 v23, 0, 1, s[4:5]
	v_cndmask_b32_e64 v22, v22, 0, s[0:1]
	v_add_co_u32_e32 v17, vcc, v17, v2
	v_cndmask_b32_e64 v23, v23, v1, s[0:1]
	v_addc_co_u32_e32 v22, vcc, v22, v3, vcc
	v_cmp_eq_u16_sdwa vcc, v23, v16 src0_sel:BYTE_0 src1_sel:DWORD
	s_waitcnt lgkmcnt(0)
	v_cndmask_b32_e32 v6, 0, v6, vcc
	v_cndmask_b32_e32 v7, 0, v7, vcc
	v_add_co_u32_e32 v86, vcc, v17, v6
	v_addc_co_u32_e32 v87, vcc, v22, v7, vcc
	v_cndmask_b32_e64 v7, 0, v86, s[42:43]
	v_cndmask_b32_e64 v6, 0, v87, s[42:43]
	v_add_co_u32_e32 v40, vcc, v7, v8
	v_addc_co_u32_e32 v41, vcc, v6, v9, vcc
	v_cndmask_b32_e64 v7, 0, v40, s[40:41]
	v_cndmask_b32_e64 v6, 0, v41, s[40:41]
	;; [unrolled: 4-line block ×18, first 2 shown]
	v_add_co_u32_e32 v102, vcc, v7, v10
	v_addc_co_u32_e32 v103, vcc, v6, v11, vcc
	s_branch .LBB689_207
.LBB689_128:
	s_or_b64 exec, exec, s[4:5]
                                        ; implicit-def: $vgpr4_vgpr5
	s_and_saveexec_b64 s[4:5], s[6:7]
	s_cbranch_execz .LBB689_45
.LBB689_129:
	v_mov_b32_e32 v5, s71
	v_add_co_u32_e32 v4, vcc, s70, v50
	v_addc_co_u32_e32 v5, vcc, 0, v5, vcc
	flat_load_dwordx2 v[4:5], v[4:5] offset:512
	s_or_b64 exec, exec, s[4:5]
                                        ; implicit-def: $vgpr6_vgpr7
	s_and_saveexec_b64 s[4:5], s[8:9]
	s_cbranch_execnz .LBB689_46
.LBB689_130:
	s_or_b64 exec, exec, s[4:5]
                                        ; implicit-def: $vgpr8_vgpr9
	s_and_saveexec_b64 s[4:5], s[10:11]
	s_cbranch_execz .LBB689_47
.LBB689_131:
	v_mov_b32_e32 v9, s71
	v_add_co_u32_e32 v8, vcc, s70, v50
	v_addc_co_u32_e32 v9, vcc, 0, v9, vcc
	flat_load_dwordx2 v[8:9], v[8:9] offset:1536
	s_or_b64 exec, exec, s[4:5]
                                        ; implicit-def: $vgpr10_vgpr11
	s_and_saveexec_b64 s[4:5], s[12:13]
	s_cbranch_execnz .LBB689_48
.LBB689_132:
	s_or_b64 exec, exec, s[4:5]
                                        ; implicit-def: $vgpr12_vgpr13
	s_and_saveexec_b64 s[4:5], s[14:15]
	s_cbranch_execz .LBB689_49
.LBB689_133:
	v_mov_b32_e32 v13, s71
	v_add_co_u32_e32 v12, vcc, s70, v50
	v_addc_co_u32_e32 v13, vcc, 0, v13, vcc
	flat_load_dwordx2 v[12:13], v[12:13] offset:2560
	s_or_b64 exec, exec, s[4:5]
                                        ; implicit-def: $vgpr14_vgpr15
	s_and_saveexec_b64 s[4:5], s[16:17]
	s_cbranch_execnz .LBB689_50
.LBB689_134:
	s_or_b64 exec, exec, s[4:5]
                                        ; implicit-def: $vgpr16_vgpr17
	s_and_saveexec_b64 s[4:5], s[18:19]
	s_cbranch_execz .LBB689_51
.LBB689_135:
	v_mov_b32_e32 v17, s71
	v_add_co_u32_e32 v16, vcc, s70, v50
	v_addc_co_u32_e32 v17, vcc, 0, v17, vcc
	flat_load_dwordx2 v[16:17], v[16:17] offset:3584
	s_or_b64 exec, exec, s[4:5]
                                        ; implicit-def: $vgpr18_vgpr19
	s_and_saveexec_b64 s[4:5], s[20:21]
	s_cbranch_execnz .LBB689_52
.LBB689_136:
	s_or_b64 exec, exec, s[4:5]
                                        ; implicit-def: $vgpr20_vgpr21
	s_and_saveexec_b64 s[4:5], s[22:23]
	s_cbranch_execz .LBB689_53
.LBB689_137:
	v_lshlrev_b32_e32 v1, 3, v40
	v_mov_b32_e32 v21, s71
	v_add_co_u32_e32 v20, vcc, s70, v1
	v_addc_co_u32_e32 v21, vcc, 0, v21, vcc
	flat_load_dwordx2 v[20:21], v[20:21]
	s_or_b64 exec, exec, s[4:5]
                                        ; implicit-def: $vgpr22_vgpr23
	s_and_saveexec_b64 s[4:5], s[24:25]
	s_cbranch_execnz .LBB689_54
.LBB689_138:
	s_or_b64 exec, exec, s[4:5]
                                        ; implicit-def: $vgpr24_vgpr25
	s_and_saveexec_b64 s[4:5], s[26:27]
	s_cbranch_execz .LBB689_55
.LBB689_139:
	v_lshlrev_b32_e32 v1, 3, v42
	v_mov_b32_e32 v25, s71
	v_add_co_u32_e32 v24, vcc, s70, v1
	v_addc_co_u32_e32 v25, vcc, 0, v25, vcc
	flat_load_dwordx2 v[24:25], v[24:25]
	s_or_b64 exec, exec, s[4:5]
                                        ; implicit-def: $vgpr26_vgpr27
	s_and_saveexec_b64 s[4:5], s[28:29]
	s_cbranch_execnz .LBB689_56
.LBB689_140:
	s_or_b64 exec, exec, s[4:5]
                                        ; implicit-def: $vgpr28_vgpr29
	s_and_saveexec_b64 s[4:5], s[30:31]
	s_cbranch_execz .LBB689_57
.LBB689_141:
	v_lshlrev_b32_e32 v1, 3, v44
	v_mov_b32_e32 v29, s71
	v_add_co_u32_e32 v28, vcc, s70, v1
	v_addc_co_u32_e32 v29, vcc, 0, v29, vcc
	flat_load_dwordx2 v[28:29], v[28:29]
	s_or_b64 exec, exec, s[4:5]
                                        ; implicit-def: $vgpr30_vgpr31
	s_and_saveexec_b64 s[4:5], s[34:35]
	s_cbranch_execnz .LBB689_58
.LBB689_142:
	s_or_b64 exec, exec, s[4:5]
                                        ; implicit-def: $vgpr32_vgpr33
	s_and_saveexec_b64 s[4:5], s[36:37]
	s_cbranch_execz .LBB689_59
.LBB689_143:
	v_lshlrev_b32_e32 v1, 3, v46
	v_mov_b32_e32 v33, s71
	v_add_co_u32_e32 v32, vcc, s70, v1
	v_addc_co_u32_e32 v33, vcc, 0, v33, vcc
	flat_load_dwordx2 v[32:33], v[32:33]
	s_or_b64 exec, exec, s[4:5]
                                        ; implicit-def: $vgpr34_vgpr35
	s_and_saveexec_b64 s[4:5], s[38:39]
	s_cbranch_execnz .LBB689_60
.LBB689_144:
	s_or_b64 exec, exec, s[4:5]
                                        ; implicit-def: $vgpr36_vgpr37
	s_and_saveexec_b64 s[4:5], s[40:41]
	s_cbranch_execz .LBB689_146
.LBB689_145:
	v_lshlrev_b32_e32 v1, 3, v48
	v_mov_b32_e32 v37, s71
	v_add_co_u32_e32 v36, vcc, s70, v1
	v_addc_co_u32_e32 v37, vcc, 0, v37, vcc
	flat_load_dwordx2 v[36:37], v[36:37]
.LBB689_146:
	s_or_b64 exec, exec, s[4:5]
	v_mul_u32_u24_e32 v95, 19, v0
                                        ; implicit-def: $vgpr38_vgpr39
	s_and_saveexec_b64 s[4:5], s[42:43]
	s_cbranch_execz .LBB689_148
; %bb.147:
	v_lshlrev_b32_e32 v1, 3, v49
	v_mov_b32_e32 v39, s71
	v_add_co_u32_e32 v38, vcc, s70, v1
	v_addc_co_u32_e32 v39, vcc, 0, v39, vcc
	flat_load_dwordx2 v[38:39], v[38:39]
.LBB689_148:
	s_or_b64 exec, exec, s[4:5]
	s_waitcnt vmcnt(0) lgkmcnt(0)
	ds_write2st64_b64 v50, v[2:3], v[4:5] offset1:1
	ds_write2st64_b64 v50, v[6:7], v[8:9] offset0:2 offset1:3
	ds_write2st64_b64 v50, v[10:11], v[12:13] offset0:4 offset1:5
	;; [unrolled: 1-line block ×8, first 2 shown]
	ds_write_b64 v50, v[38:39] offset:9216
	v_pk_mov_b32 v[4:5], 0, 0
	v_cmp_gt_u32_e32 vcc, s65, v95
	s_mov_b64 s[8:9], 0
	s_mov_b64 s[4:5], 0
	s_mov_b32 s64, 0
	v_mov_b32_e32 v105, 0
	v_mov_b32_e32 v120, 0
	v_pk_mov_b32 v[54:55], v[4:5], v[4:5] op_sel:[0,1]
	v_mov_b32_e32 v119, 0
	v_pk_mov_b32 v[50:51], v[4:5], v[4:5] op_sel:[0,1]
	;; [unrolled: 2-line block ×17, first 2 shown]
	s_waitcnt lgkmcnt(0)
	; wave barrier
	s_waitcnt lgkmcnt(0)
	s_and_saveexec_b64 s[6:7], vcc
	s_cbranch_execz .LBB689_184
; %bb.149:
	ds_read_b64 v[2:3], v94
	v_add_u32_e32 v4, 1, v95
	v_cmp_ne_u64_e32 vcc, 0, v[88:89]
	v_cndmask_b32_e64 v1, 0, 1, vcc
	v_cmp_gt_u32_e32 vcc, s65, v4
	v_pk_mov_b32 v[4:5], 0, 0
	s_mov_b64 s[10:11], 0
	v_mov_b32_e32 v105, 0
	v_mov_b32_e32 v120, 0
	v_pk_mov_b32 v[54:55], v[4:5], v[4:5] op_sel:[0,1]
	v_mov_b32_e32 v119, 0
	v_pk_mov_b32 v[50:51], v[4:5], v[4:5] op_sel:[0,1]
	;; [unrolled: 2-line block ×16, first 2 shown]
	s_and_saveexec_b64 s[8:9], vcc
	s_cbranch_execz .LBB689_183
; %bb.150:
	ds_read2_b64 v[8:11], v94 offset0:1 offset1:2
	v_add_u32_e32 v4, 2, v95
	v_cmp_ne_u64_e32 vcc, 0, v[90:91]
	v_cndmask_b32_e64 v104, 0, 1, vcc
	v_cmp_gt_u32_e32 vcc, s65, v4
	v_pk_mov_b32 v[4:5], 0, 0
	s_mov_b64 s[12:13], 0
	v_mov_b32_e32 v105, 0
	v_mov_b32_e32 v120, 0
	v_pk_mov_b32 v[54:55], v[4:5], v[4:5] op_sel:[0,1]
	v_mov_b32_e32 v119, 0
	v_pk_mov_b32 v[50:51], v[4:5], v[4:5] op_sel:[0,1]
	;; [unrolled: 2-line block ×15, first 2 shown]
	s_and_saveexec_b64 s[10:11], vcc
	s_cbranch_execz .LBB689_182
; %bb.151:
	v_add_u32_e32 v4, 3, v95
	v_cmp_ne_u64_e32 vcc, 0, v[84:85]
	v_cndmask_b32_e64 v106, 0, 1, vcc
	v_cmp_gt_u32_e32 vcc, s65, v4
	v_pk_mov_b32 v[4:5], 0, 0
	s_waitcnt lgkmcnt(0)
	v_mov_b32_e32 v12, v10
	v_mov_b32_e32 v13, v11
	s_mov_b64 s[14:15], 0
	v_mov_b32_e32 v105, 0
	v_mov_b32_e32 v120, 0
	v_pk_mov_b32 v[54:55], v[4:5], v[4:5] op_sel:[0,1]
	v_mov_b32_e32 v119, 0
	v_pk_mov_b32 v[50:51], v[4:5], v[4:5] op_sel:[0,1]
	;; [unrolled: 2-line block ×14, first 2 shown]
	s_and_saveexec_b64 s[12:13], vcc
	s_cbranch_execz .LBB689_181
; %bb.152:
	ds_read2_b64 v[14:17], v94 offset0:3 offset1:4
	v_add_u32_e32 v4, 4, v95
	v_cmp_ne_u64_e32 vcc, 0, v[86:87]
	v_cndmask_b32_e64 v107, 0, 1, vcc
	v_cmp_gt_u32_e32 vcc, s65, v4
	v_pk_mov_b32 v[4:5], 0, 0
	s_mov_b64 s[16:17], 0
	v_mov_b32_e32 v105, 0
	v_mov_b32_e32 v120, 0
	v_pk_mov_b32 v[54:55], v[4:5], v[4:5] op_sel:[0,1]
	v_mov_b32_e32 v119, 0
	v_pk_mov_b32 v[50:51], v[4:5], v[4:5] op_sel:[0,1]
	;; [unrolled: 2-line block ×13, first 2 shown]
	s_and_saveexec_b64 s[14:15], vcc
	s_cbranch_execz .LBB689_180
; %bb.153:
	v_add_u32_e32 v4, 5, v95
	v_cmp_ne_u64_e32 vcc, 0, v[80:81]
	v_cndmask_b32_e64 v108, 0, 1, vcc
	v_cmp_gt_u32_e32 vcc, s65, v4
	v_pk_mov_b32 v[4:5], 0, 0
	s_waitcnt lgkmcnt(0)
	v_mov_b32_e32 v18, v16
	v_mov_b32_e32 v19, v17
	s_mov_b64 s[18:19], 0
	v_mov_b32_e32 v105, 0
	v_mov_b32_e32 v120, 0
	v_pk_mov_b32 v[54:55], v[4:5], v[4:5] op_sel:[0,1]
	v_mov_b32_e32 v119, 0
	v_pk_mov_b32 v[50:51], v[4:5], v[4:5] op_sel:[0,1]
	;; [unrolled: 2-line block ×12, first 2 shown]
	s_and_saveexec_b64 s[16:17], vcc
	s_cbranch_execz .LBB689_179
; %bb.154:
	ds_read2_b64 v[20:23], v94 offset0:5 offset1:6
	v_add_u32_e32 v4, 6, v95
	v_cmp_ne_u64_e32 vcc, 0, v[82:83]
	v_cndmask_b32_e64 v109, 0, 1, vcc
	v_cmp_gt_u32_e32 vcc, s65, v4
	v_pk_mov_b32 v[4:5], 0, 0
	s_mov_b64 s[20:21], 0
	v_mov_b32_e32 v105, 0
	v_mov_b32_e32 v120, 0
	v_pk_mov_b32 v[54:55], v[4:5], v[4:5] op_sel:[0,1]
	v_mov_b32_e32 v119, 0
	v_pk_mov_b32 v[50:51], v[4:5], v[4:5] op_sel:[0,1]
	v_mov_b32_e32 v118, 0
	v_pk_mov_b32 v[48:49], v[4:5], v[4:5] op_sel:[0,1]
	v_mov_b32_e32 v117, 0
	v_pk_mov_b32 v[44:45], v[4:5], v[4:5] op_sel:[0,1]
	v_mov_b32_e32 v116, 0
	v_pk_mov_b32 v[42:43], v[4:5], v[4:5] op_sel:[0,1]
	v_mov_b32_e32 v115, 0
	v_pk_mov_b32 v[38:39], v[4:5], v[4:5] op_sel:[0,1]
	v_mov_b32_e32 v114, 0
	v_pk_mov_b32 v[36:37], v[4:5], v[4:5] op_sel:[0,1]
	v_mov_b32_e32 v113, 0
	v_pk_mov_b32 v[32:33], v[4:5], v[4:5] op_sel:[0,1]
	v_mov_b32_e32 v112, 0
	v_pk_mov_b32 v[30:31], v[4:5], v[4:5] op_sel:[0,1]
	v_mov_b32_e32 v111, 0
	v_pk_mov_b32 v[26:27], v[4:5], v[4:5] op_sel:[0,1]
	v_mov_b32_e32 v110, 0
	v_pk_mov_b32 v[24:25], v[4:5], v[4:5] op_sel:[0,1]
	s_and_saveexec_b64 s[18:19], vcc
	s_cbranch_execz .LBB689_178
; %bb.155:
	v_add_u32_e32 v4, 7, v95
	v_cmp_ne_u64_e32 vcc, 0, v[76:77]
	v_cndmask_b32_e64 v110, 0, 1, vcc
	v_cmp_gt_u32_e32 vcc, s65, v4
	v_pk_mov_b32 v[4:5], 0, 0
	s_waitcnt lgkmcnt(0)
	v_mov_b32_e32 v24, v22
	v_mov_b32_e32 v25, v23
	s_mov_b64 s[22:23], 0
	v_mov_b32_e32 v105, 0
	v_mov_b32_e32 v120, 0
	v_pk_mov_b32 v[54:55], v[4:5], v[4:5] op_sel:[0,1]
	v_mov_b32_e32 v119, 0
	v_pk_mov_b32 v[50:51], v[4:5], v[4:5] op_sel:[0,1]
	;; [unrolled: 2-line block ×10, first 2 shown]
	s_and_saveexec_b64 s[20:21], vcc
	s_cbranch_execz .LBB689_177
; %bb.156:
	ds_read2_b64 v[26:29], v94 offset0:7 offset1:8
	v_add_u32_e32 v4, 8, v95
	v_cmp_ne_u64_e32 vcc, 0, v[78:79]
	v_cndmask_b32_e64 v111, 0, 1, vcc
	v_cmp_gt_u32_e32 vcc, s65, v4
	v_pk_mov_b32 v[4:5], 0, 0
	s_mov_b64 s[24:25], 0
	v_mov_b32_e32 v105, 0
	v_mov_b32_e32 v120, 0
	v_pk_mov_b32 v[54:55], v[4:5], v[4:5] op_sel:[0,1]
	v_mov_b32_e32 v119, 0
	v_pk_mov_b32 v[50:51], v[4:5], v[4:5] op_sel:[0,1]
	;; [unrolled: 2-line block ×9, first 2 shown]
	s_and_saveexec_b64 s[22:23], vcc
	s_cbranch_execz .LBB689_176
; %bb.157:
	v_add_u32_e32 v4, 9, v95
	v_cmp_ne_u64_e32 vcc, 0, v[72:73]
	v_cndmask_b32_e64 v112, 0, 1, vcc
	v_cmp_gt_u32_e32 vcc, s65, v4
	v_pk_mov_b32 v[4:5], 0, 0
	s_waitcnt lgkmcnt(0)
	v_mov_b32_e32 v30, v28
	v_mov_b32_e32 v31, v29
	s_mov_b64 s[26:27], 0
	v_mov_b32_e32 v105, 0
	v_mov_b32_e32 v120, 0
	v_pk_mov_b32 v[54:55], v[4:5], v[4:5] op_sel:[0,1]
	v_mov_b32_e32 v119, 0
	v_pk_mov_b32 v[50:51], v[4:5], v[4:5] op_sel:[0,1]
	;; [unrolled: 2-line block ×8, first 2 shown]
	s_and_saveexec_b64 s[24:25], vcc
	s_cbranch_execz .LBB689_175
; %bb.158:
	ds_read2_b64 v[32:35], v94 offset0:9 offset1:10
	v_add_u32_e32 v4, 10, v95
	v_cmp_ne_u64_e32 vcc, 0, v[74:75]
	v_cndmask_b32_e64 v113, 0, 1, vcc
	v_cmp_gt_u32_e32 vcc, s65, v4
	v_pk_mov_b32 v[4:5], 0, 0
	s_mov_b64 s[28:29], 0
	v_mov_b32_e32 v105, 0
	v_mov_b32_e32 v120, 0
	v_pk_mov_b32 v[54:55], v[4:5], v[4:5] op_sel:[0,1]
	v_mov_b32_e32 v119, 0
	v_pk_mov_b32 v[50:51], v[4:5], v[4:5] op_sel:[0,1]
	;; [unrolled: 2-line block ×7, first 2 shown]
	s_and_saveexec_b64 s[26:27], vcc
	s_cbranch_execz .LBB689_174
; %bb.159:
	v_add_u32_e32 v4, 11, v95
	v_cmp_ne_u64_e32 vcc, 0, v[68:69]
	v_cndmask_b32_e64 v114, 0, 1, vcc
	v_cmp_gt_u32_e32 vcc, s65, v4
	v_pk_mov_b32 v[4:5], 0, 0
	s_waitcnt lgkmcnt(0)
	v_mov_b32_e32 v36, v34
	v_mov_b32_e32 v37, v35
	s_mov_b64 s[30:31], 0
	v_mov_b32_e32 v105, 0
	v_mov_b32_e32 v120, 0
	v_pk_mov_b32 v[54:55], v[4:5], v[4:5] op_sel:[0,1]
	v_mov_b32_e32 v119, 0
	v_pk_mov_b32 v[50:51], v[4:5], v[4:5] op_sel:[0,1]
	;; [unrolled: 2-line block ×6, first 2 shown]
	s_and_saveexec_b64 s[28:29], vcc
	s_cbranch_execz .LBB689_173
; %bb.160:
	ds_read2_b64 v[38:41], v94 offset0:11 offset1:12
	v_add_u32_e32 v4, 12, v95
	v_cmp_ne_u64_e32 vcc, 0, v[70:71]
	v_cndmask_b32_e64 v115, 0, 1, vcc
	v_cmp_gt_u32_e32 vcc, s65, v4
	v_pk_mov_b32 v[4:5], 0, 0
	s_mov_b64 s[34:35], 0
	v_mov_b32_e32 v105, 0
	v_mov_b32_e32 v120, 0
	v_pk_mov_b32 v[54:55], v[4:5], v[4:5] op_sel:[0,1]
	v_mov_b32_e32 v119, 0
	v_pk_mov_b32 v[50:51], v[4:5], v[4:5] op_sel:[0,1]
	;; [unrolled: 2-line block ×5, first 2 shown]
	s_and_saveexec_b64 s[30:31], vcc
	s_cbranch_execz .LBB689_172
; %bb.161:
	v_add_u32_e32 v4, 13, v95
	v_cmp_ne_u64_e32 vcc, 0, v[64:65]
	v_cndmask_b32_e64 v116, 0, 1, vcc
	v_cmp_gt_u32_e32 vcc, s65, v4
	v_pk_mov_b32 v[4:5], 0, 0
	s_waitcnt lgkmcnt(0)
	v_mov_b32_e32 v42, v40
	v_mov_b32_e32 v43, v41
	s_mov_b64 s[36:37], 0
	v_mov_b32_e32 v105, 0
	v_mov_b32_e32 v120, 0
	v_pk_mov_b32 v[54:55], v[4:5], v[4:5] op_sel:[0,1]
	v_mov_b32_e32 v119, 0
	v_pk_mov_b32 v[50:51], v[4:5], v[4:5] op_sel:[0,1]
	;; [unrolled: 2-line block ×4, first 2 shown]
	s_and_saveexec_b64 s[34:35], vcc
	s_cbranch_execz .LBB689_171
; %bb.162:
	ds_read2_b64 v[44:47], v94 offset0:13 offset1:14
	v_add_u32_e32 v4, 14, v95
	v_cmp_ne_u64_e32 vcc, 0, v[66:67]
	v_cndmask_b32_e64 v117, 0, 1, vcc
	v_cmp_gt_u32_e32 vcc, s65, v4
	v_pk_mov_b32 v[4:5], 0, 0
	s_mov_b64 s[38:39], 0
	v_mov_b32_e32 v105, 0
	v_mov_b32_e32 v120, 0
	v_pk_mov_b32 v[54:55], v[4:5], v[4:5] op_sel:[0,1]
	v_mov_b32_e32 v119, 0
	v_pk_mov_b32 v[50:51], v[4:5], v[4:5] op_sel:[0,1]
	;; [unrolled: 2-line block ×3, first 2 shown]
	s_and_saveexec_b64 s[36:37], vcc
	s_cbranch_execz .LBB689_170
; %bb.163:
	v_add_u32_e32 v4, 15, v95
	v_cmp_ne_u64_e32 vcc, 0, v[60:61]
	v_cndmask_b32_e64 v118, 0, 1, vcc
	v_cmp_gt_u32_e32 vcc, s65, v4
	v_pk_mov_b32 v[4:5], 0, 0
	s_waitcnt lgkmcnt(0)
	v_mov_b32_e32 v48, v46
	v_mov_b32_e32 v49, v47
	s_mov_b64 s[40:41], 0
	v_mov_b32_e32 v105, 0
	v_mov_b32_e32 v120, 0
	v_pk_mov_b32 v[54:55], v[4:5], v[4:5] op_sel:[0,1]
	v_mov_b32_e32 v119, 0
	v_pk_mov_b32 v[50:51], v[4:5], v[4:5] op_sel:[0,1]
	s_and_saveexec_b64 s[38:39], vcc
	s_cbranch_execz .LBB689_169
; %bb.164:
	ds_read2_b64 v[50:53], v94 offset0:15 offset1:16
	v_add_u32_e32 v4, 16, v95
	v_cmp_ne_u64_e32 vcc, 0, v[62:63]
	v_cndmask_b32_e64 v119, 0, 1, vcc
	v_cmp_gt_u32_e32 vcc, s65, v4
	v_pk_mov_b32 v[4:5], 0, 0
	s_mov_b64 s[42:43], 0
	v_mov_b32_e32 v105, 0
	v_mov_b32_e32 v120, 0
	v_pk_mov_b32 v[54:55], v[4:5], v[4:5] op_sel:[0,1]
	s_and_saveexec_b64 s[40:41], vcc
	s_cbranch_execz .LBB689_168
; %bb.165:
	v_add_u32_e32 v4, 17, v95
	v_cmp_ne_u64_e32 vcc, 0, v[56:57]
	s_waitcnt lgkmcnt(0)
	v_mov_b32_e32 v54, v52
	v_mov_b32_e32 v55, v53
	v_cndmask_b32_e64 v120, 0, 1, vcc
	v_cmp_gt_u32_e32 vcc, s65, v4
	v_mov_b32_e32 v105, 0
	v_pk_mov_b32 v[4:5], 0, 0
	s_and_saveexec_b64 s[60:61], vcc
	s_xor_b64 s[60:61], exec, s[60:61]
	s_cbranch_execz .LBB689_167
; %bb.166:
	ds_read2_b64 v[4:7], v94 offset0:17 offset1:18
	v_add_u32_e32 v10, 18, v95
	v_cmp_ne_u64_e32 vcc, 0, v[58:59]
	v_cndmask_b32_e64 v105, 0, 1, vcc
	v_cmp_gt_u32_e32 vcc, s65, v10
	s_and_b64 s[42:43], vcc, exec
	s_waitcnt lgkmcnt(0)
	v_pk_mov_b32 v[56:57], v[4:5], v[4:5] op_sel:[0,1]
.LBB689_167:
	s_or_b64 exec, exec, s[60:61]
	s_and_b64 s[42:43], s[42:43], exec
.LBB689_168:
	s_or_b64 exec, exec, s[40:41]
	s_and_b64 s[40:41], s[42:43], exec
.LBB689_169:
	s_or_b64 exec, exec, s[38:39]
	s_and_b64 s[38:39], s[40:41], exec
.LBB689_170:
	s_or_b64 exec, exec, s[36:37]
	s_and_b64 s[36:37], s[38:39], exec
.LBB689_171:
	s_or_b64 exec, exec, s[34:35]
	s_and_b64 s[34:35], s[36:37], exec
.LBB689_172:
	s_or_b64 exec, exec, s[30:31]
	s_and_b64 s[30:31], s[34:35], exec
.LBB689_173:
	s_or_b64 exec, exec, s[28:29]
	s_and_b64 s[28:29], s[30:31], exec
.LBB689_174:
	s_or_b64 exec, exec, s[26:27]
	s_and_b64 s[26:27], s[28:29], exec
.LBB689_175:
	s_or_b64 exec, exec, s[24:25]
	s_and_b64 s[24:25], s[26:27], exec
.LBB689_176:
	s_or_b64 exec, exec, s[22:23]
	s_and_b64 s[22:23], s[24:25], exec
.LBB689_177:
	s_or_b64 exec, exec, s[20:21]
	s_and_b64 s[20:21], s[22:23], exec
.LBB689_178:
	s_or_b64 exec, exec, s[18:19]
	s_and_b64 s[18:19], s[20:21], exec
.LBB689_179:
	s_or_b64 exec, exec, s[16:17]
	s_and_b64 s[16:17], s[18:19], exec
.LBB689_180:
	s_or_b64 exec, exec, s[14:15]
	s_and_b64 s[14:15], s[16:17], exec
.LBB689_181:
	s_or_b64 exec, exec, s[12:13]
	s_and_b64 s[12:13], s[14:15], exec
.LBB689_182:
	s_or_b64 exec, exec, s[10:11]
	s_and_b64 s[10:11], s[12:13], exec
.LBB689_183:
	s_or_b64 exec, exec, s[8:9]
	s_and_b64 s[8:9], s[10:11], exec
.LBB689_184:
	s_or_b64 exec, exec, s[6:7]
	s_mov_b64 s[6:7], 0
	s_and_b64 vcc, exec, s[4:5]
	v_lshlrev_b32_e32 v121, 3, v0
	s_cbranch_vccnz .LBB689_62
	s_branch .LBB689_63
.LBB689_185:
                                        ; implicit-def: $vgpr84_vgpr85_vgpr86_vgpr87
                                        ; implicit-def: $vgpr102_vgpr103
                                        ; implicit-def: $vgpr100_vgpr101
                                        ; implicit-def: $vgpr98_vgpr99
                                        ; implicit-def: $vgpr96_vgpr97
                                        ; implicit-def: $vgpr94_vgpr95
                                        ; implicit-def: $vgpr92_vgpr93
                                        ; implicit-def: $vgpr90_vgpr91
                                        ; implicit-def: $vgpr52_vgpr53
                                        ; implicit-def: $vgpr46_vgpr47
                                        ; implicit-def: $vgpr40_vgpr41
                                        ; implicit-def: $vgpr80_vgpr81_vgpr82_vgpr83
                                        ; implicit-def: $vgpr76_vgpr77_vgpr78_vgpr79
                                        ; implicit-def: $vgpr72_vgpr73_vgpr74_vgpr75
                                        ; implicit-def: $vgpr68_vgpr69_vgpr70_vgpr71
                                        ; implicit-def: $vgpr64_vgpr65_vgpr66_vgpr67
                                        ; implicit-def: $vgpr60_vgpr61_vgpr62_vgpr63
                                        ; implicit-def: $vgpr56_vgpr57_vgpr58_vgpr59
                                        ; implicit-def: $vgpr86_vgpr87_vgpr88_vgpr89
	s_cbranch_execz .LBB689_207
; %bb.186:
	s_cmp_lg_u64 s[68:69], 0
	s_cselect_b32 s7, s67, 0
	s_cselect_b32 s6, s66, 0
	s_cmp_lg_u64 s[6:7], 0
	s_cselect_b64 s[4:5], -1, 0
	s_and_b64 s[8:9], s[0:1], s[4:5]
	s_and_saveexec_b64 s[4:5], s[8:9]
	s_cbranch_execz .LBB689_188
; %bb.187:
	v_mov_b32_e32 v16, 0
	global_load_dwordx2 v[6:7], v16, s[6:7]
	global_load_ubyte v17, v16, s[6:7] offset:8
	v_cmp_eq_u16_sdwa vcc, v1, v16 src0_sel:BYTE_0 src1_sel:DWORD
	s_waitcnt vmcnt(1)
	v_cndmask_b32_e32 v6, 0, v6, vcc
	v_cndmask_b32_e32 v7, 0, v7, vcc
	s_waitcnt vmcnt(0)
	v_or_b32_e32 v1, v1, v17
	v_add_co_u32_e32 v2, vcc, v6, v2
	v_addc_co_u32_e32 v3, vcc, v7, v3, vcc
	v_and_b32_e32 v1, 1, v1
.LBB689_188:
	s_or_b64 exec, exec, s[4:5]
	v_mov_b32_e32 v7, 0
	v_cmp_eq_u16_sdwa vcc, v104, v7 src0_sel:BYTE_0 src1_sel:DWORD
	v_cndmask_b32_e32 v17, 0, v2, vcc
	v_cndmask_b32_e32 v16, 0, v3, vcc
	v_add_co_u32_e64 v40, s[4:5], v17, v8
	v_cmp_eq_u16_sdwa s[6:7], v106, v7 src0_sel:BYTE_0 src1_sel:DWORD
	v_addc_co_u32_e64 v41, s[4:5], v16, v9, s[4:5]
	v_cndmask_b32_e64 v17, 0, v40, s[6:7]
	v_cndmask_b32_e64 v16, 0, v41, s[6:7]
	v_add_co_u32_e64 v56, s[4:5], v17, v12
	v_cmp_eq_u16_sdwa s[8:9], v107, v7 src0_sel:BYTE_0 src1_sel:DWORD
	v_addc_co_u32_e64 v57, s[4:5], v16, v13, s[4:5]
	v_cndmask_b32_e64 v17, 0, v56, s[8:9]
	v_cndmask_b32_e64 v16, 0, v57, s[8:9]
	;; [unrolled: 5-line block ×17, first 2 shown]
	v_add_co_u32_e64 v102, s[4:5], v16, v10
	v_addc_co_u32_e64 v103, s[4:5], v7, v11, s[4:5]
	v_or_b32_e32 v7, v124, v119
	v_or_b32_e32 v7, v7, v118
	;; [unrolled: 1-line block ×15, first 2 shown]
	v_and_b32_e32 v7, 1, v7
	v_and_b32_e32 v6, 0xff, v1
	v_cmp_eq_u32_e64 s[4:5], 1, v7
	v_mbcnt_hi_u32_b32 v22, -1, v123
	v_cndmask_b32_e64 v23, v6, 1, s[4:5]
	v_and_b32_e32 v28, 15, v22
	v_mov_b32_dpp v34, v102 row_shr:1 row_mask:0xf bank_mask:0xf
	v_mov_b32_dpp v35, v103 row_shr:1 row_mask:0xf bank_mask:0xf
	;; [unrolled: 1-line block ×3, first 2 shown]
	v_cmp_ne_u32_e64 s[4:5], 0, v28
	v_pk_mov_b32 v[6:7], v[102:103], v[102:103] op_sel:[0,1]
	v_mov_b32_e32 v17, v103
	v_mov_b32_e32 v16, v102
	s_and_saveexec_b64 s[42:43], s[4:5]
; %bb.189:
	v_cmp_eq_u32_e64 s[4:5], 0, v23
	v_cndmask_b32_e64 v6, 0, v34, s[4:5]
	v_cndmask_b32_e64 v7, 0, v35, s[4:5]
	v_add_co_u32_e64 v6, s[4:5], v102, v6
	v_addc_co_u32_e64 v7, s[4:5], v103, v7, s[4:5]
	v_and_or_b32 v23, v29, 1, v23
	v_mov_b32_e32 v17, v7
	v_mov_b32_e32 v16, v6
; %bb.190:
	s_or_b64 exec, exec, s[42:43]
	s_nop 0
	v_mov_b32_dpp v34, v16 row_shr:2 row_mask:0xf bank_mask:0xf
	v_mov_b32_dpp v35, v17 row_shr:2 row_mask:0xf bank_mask:0xf
	v_mov_b32_dpp v29, v23 row_shr:2 row_mask:0xf bank_mask:0xf
	v_cmp_lt_u32_e64 s[4:5], 1, v28
	s_and_saveexec_b64 s[42:43], s[4:5]
; %bb.191:
	v_cmp_eq_u32_e64 s[4:5], 0, v23
	v_cndmask_b32_e64 v16, 0, v34, s[4:5]
	v_cndmask_b32_e64 v17, 0, v35, s[4:5]
	v_add_co_u32_e64 v16, s[4:5], v16, v6
	v_addc_co_u32_e64 v17, s[4:5], v17, v7, s[4:5]
	v_or_b32_e32 v6, v29, v23
	v_and_b32_e32 v23, 1, v6
	v_pk_mov_b32 v[6:7], v[16:17], v[16:17] op_sel:[0,1]
; %bb.192:
	s_or_b64 exec, exec, s[42:43]
	v_mov_b32_dpp v34, v16 row_shr:4 row_mask:0xf bank_mask:0xf
	v_mov_b32_dpp v35, v17 row_shr:4 row_mask:0xf bank_mask:0xf
	v_mov_b32_dpp v29, v23 row_shr:4 row_mask:0xf bank_mask:0xf
	v_cmp_lt_u32_e64 s[4:5], 3, v28
	s_and_saveexec_b64 s[42:43], s[4:5]
; %bb.193:
	v_cmp_eq_u32_e64 s[4:5], 0, v23
	v_cndmask_b32_e64 v16, 0, v34, s[4:5]
	v_cndmask_b32_e64 v17, 0, v35, s[4:5]
	v_add_co_u32_e64 v16, s[4:5], v16, v6
	v_addc_co_u32_e64 v17, s[4:5], v17, v7, s[4:5]
	v_or_b32_e32 v6, v29, v23
	v_and_b32_e32 v23, 1, v6
	v_pk_mov_b32 v[6:7], v[16:17], v[16:17] op_sel:[0,1]
; %bb.194:
	s_or_b64 exec, exec, s[42:43]
	;; [unrolled: 16-line block ×3, first 2 shown]
	v_and_b32_e32 v35, 16, v22
	v_mov_b32_dpp v29, v16 row_bcast:15 row_mask:0xf bank_mask:0xf
	v_mov_b32_dpp v34, v17 row_bcast:15 row_mask:0xf bank_mask:0xf
	v_mov_b32_dpp v28, v23 row_bcast:15 row_mask:0xf bank_mask:0xf
	v_cmp_ne_u32_e64 s[4:5], 0, v35
	s_and_saveexec_b64 s[42:43], s[4:5]
; %bb.197:
	v_cmp_eq_u32_e64 s[4:5], 0, v23
	v_cndmask_b32_e64 v17, 0, v29, s[4:5]
	v_cndmask_b32_e64 v16, 0, v34, s[4:5]
	v_add_co_u32_e64 v6, s[4:5], v17, v6
	v_addc_co_u32_e64 v7, s[4:5], v16, v7, s[4:5]
	v_or_b32_e32 v16, v28, v23
	v_and_b32_e32 v23, 1, v16
	v_mov_b32_e32 v17, v7
	v_mov_b32_e32 v16, v6
; %bb.198:
	s_or_b64 exec, exec, s[42:43]
	s_nop 0
	v_mov_b32_dpp v28, v16 row_bcast:31 row_mask:0xf bank_mask:0xf
	v_mov_b32_dpp v17, v17 row_bcast:31 row_mask:0xf bank_mask:0xf
	;; [unrolled: 1-line block ×3, first 2 shown]
	v_cmp_lt_u32_e64 s[4:5], 31, v22
	s_and_saveexec_b64 s[42:43], s[4:5]
; %bb.199:
	v_cmp_eq_u32_e64 s[4:5], 0, v23
	v_cndmask_b32_e64 v28, 0, v28, s[4:5]
	v_cndmask_b32_e64 v17, 0, v17, s[4:5]
	v_add_co_u32_e64 v6, s[4:5], v28, v6
	v_or_b32_e32 v16, v16, v23
	v_addc_co_u32_e64 v7, s[4:5], v17, v7, s[4:5]
	v_and_b32_e32 v23, 1, v16
; %bb.200:
	s_or_b64 exec, exec, s[42:43]
	v_cmp_eq_u32_e64 s[4:5], 63, v0
	s_and_saveexec_b64 s[42:43], s[4:5]
	s_cbranch_execz .LBB689_202
; %bb.201:
	v_mov_b32_e32 v16, 0
	ds_write_b64 v16, v[6:7]
	ds_write_b8 v16, v23 offset:8
.LBB689_202:
	s_or_b64 exec, exec, s[42:43]
	v_add_u32_e32 v16, -1, v22
	v_and_b32_e32 v17, 64, v22
	v_cmp_lt_i32_e64 s[4:5], v16, v17
	v_cndmask_b32_e64 v16, v16, v22, s[4:5]
	v_lshlrev_b32_e32 v16, 2, v16
	ds_bpermute_b32 v6, v16, v6
	ds_bpermute_b32 v7, v16, v7
	s_waitcnt lgkmcnt(0)
	; wave barrier
	s_waitcnt lgkmcnt(0)
	s_and_saveexec_b64 s[42:43], s[46:47]
	s_cbranch_execz .LBB689_204
; %bb.203:
	v_mov_b32_e32 v16, 0
	v_cmp_eq_u16_sdwa s[4:5], v1, v16 src0_sel:BYTE_0 src1_sel:DWORD
	v_cndmask_b32_e64 v6, 0, v6, s[4:5]
	v_cndmask_b32_e64 v1, 0, v7, s[4:5]
	v_add_co_u32_e64 v2, s[4:5], v6, v2
	v_addc_co_u32_e64 v3, s[4:5], v1, v3, s[4:5]
	v_cndmask_b32_e32 v6, 0, v2, vcc
	v_cndmask_b32_e32 v1, 0, v3, vcc
	v_add_co_u32_e32 v40, vcc, v6, v8
	v_addc_co_u32_e32 v41, vcc, v1, v9, vcc
	v_cndmask_b32_e64 v6, 0, v40, s[6:7]
	v_cndmask_b32_e64 v1, 0, v41, s[6:7]
	v_add_co_u32_e32 v56, vcc, v6, v12
	v_addc_co_u32_e32 v57, vcc, v1, v13, vcc
	v_cndmask_b32_e64 v6, 0, v56, s[8:9]
	v_cndmask_b32_e64 v1, 0, v57, s[8:9]
	;; [unrolled: 4-line block ×17, first 2 shown]
	v_add_co_u32_e32 v102, vcc, v4, v10
	v_addc_co_u32_e32 v103, vcc, v1, v11, vcc
	;;#ASMSTART
	;;#ASMEND
.LBB689_204:
	s_or_b64 exec, exec, s[42:43]
	s_and_saveexec_b64 s[4:5], s[0:1]
	s_cbranch_execz .LBB689_206
; %bb.205:
	v_mov_b32_e32 v1, 0
	ds_read_b64 v[4:5], v1
	ds_read_u8 v6, v1 offset:8
	v_mov_b32_e32 v7, 2
	s_waitcnt lgkmcnt(1)
	global_store_dwordx2 v1, v[4:5], s[50:51] offset:1024
	s_waitcnt lgkmcnt(0)
	global_store_byte v1, v6, s[50:51] offset:1032
	s_waitcnt vmcnt(0)
	buffer_wbinvl1_vol
	global_store_byte v1, v7, s[52:53] offset:64
.LBB689_206:
	s_or_b64 exec, exec, s[4:5]
	v_pk_mov_b32 v[86:87], v[2:3], v[2:3] op_sel:[0,1]
.LBB689_207:
	s_add_u32 s0, s62, s58
	s_addc_u32 s1, s63, s59
	s_add_u32 s4, s0, s56
	s_addc_u32 s5, s1, s57
	s_and_b64 vcc, exec, s[2:3]
	s_cbranch_vccz .LBB689_245
; %bb.208:
	s_movk_i32 s0, 0x98
	v_mul_i32_i24_e32 v43, 0xffffff70, v0
	v_mul_u32_u24_e32 v42, 0x98, v0
	v_mad_u32_u24 v2, v0, s0, v43
	s_waitcnt lgkmcnt(0)
	; wave barrier
	ds_write2_b64 v42, v[86:87], v[40:41] offset1:1
	ds_write2_b64 v42, v[56:57], v[46:47] offset0:2 offset1:3
	ds_write2_b64 v42, v[60:61], v[52:53] offset0:4 offset1:5
	;; [unrolled: 1-line block ×8, first 2 shown]
	ds_write_b64 v42, v[102:103] offset:144
	s_waitcnt lgkmcnt(0)
	; wave barrier
	s_waitcnt lgkmcnt(0)
	ds_read2st64_b64 v[34:37], v2 offset0:1 offset1:2
	ds_read2st64_b64 v[30:33], v2 offset0:3 offset1:4
	;; [unrolled: 1-line block ×9, first 2 shown]
	v_mov_b32_e32 v39, s5
	v_add_co_u32_e32 v38, vcc, s4, v121
	s_add_i32 s33, s33, s54
	v_addc_co_u32_e32 v39, vcc, 0, v39, vcc
	v_mov_b32_e32 v1, 0
	v_cmp_gt_u32_e32 vcc, s33, v0
	s_and_saveexec_b64 s[0:1], vcc
	s_cbranch_execz .LBB689_210
; %bb.209:
	v_add_u32_e32 v42, v42, v43
	ds_read_b64 v[42:43], v42
	s_waitcnt lgkmcnt(0)
	flat_store_dwordx2 v[38:39], v[42:43]
.LBB689_210:
	s_or_b64 exec, exec, s[0:1]
	v_or_b32_e32 v42, 64, v0
	v_cmp_gt_u32_e32 vcc, s33, v42
	s_and_saveexec_b64 s[0:1], vcc
	s_cbranch_execz .LBB689_212
; %bb.211:
	s_waitcnt lgkmcnt(0)
	flat_store_dwordx2 v[38:39], v[34:35] offset:512
.LBB689_212:
	s_or_b64 exec, exec, s[0:1]
	s_waitcnt lgkmcnt(0)
	v_or_b32_e32 v34, 0x80, v0
	v_cmp_gt_u32_e32 vcc, s33, v34
	s_and_saveexec_b64 s[0:1], vcc
	s_cbranch_execz .LBB689_214
; %bb.213:
	flat_store_dwordx2 v[38:39], v[36:37] offset:1024
.LBB689_214:
	s_or_b64 exec, exec, s[0:1]
	v_or_b32_e32 v34, 0xc0, v0
	v_cmp_gt_u32_e32 vcc, s33, v34
	s_and_saveexec_b64 s[0:1], vcc
	s_cbranch_execz .LBB689_216
; %bb.215:
	flat_store_dwordx2 v[38:39], v[30:31] offset:1536
.LBB689_216:
	s_or_b64 exec, exec, s[0:1]
	;; [unrolled: 8-line block ×6, first 2 shown]
	v_or_b32_e32 v22, 0x200, v0
	v_cmp_gt_u32_e32 vcc, s33, v22
	s_and_saveexec_b64 s[0:1], vcc
	s_cbranch_execz .LBB689_226
; %bb.225:
	v_add_co_u32_e32 v22, vcc, 0x1000, v38
	v_addc_co_u32_e32 v23, vcc, 0, v39, vcc
	flat_store_dwordx2 v[22:23], v[24:25]
.LBB689_226:
	s_or_b64 exec, exec, s[0:1]
	v_or_b32_e32 v22, 0x240, v0
	v_cmp_gt_u32_e32 vcc, s33, v22
	s_and_saveexec_b64 s[0:1], vcc
	s_cbranch_execz .LBB689_228
; %bb.227:
	v_add_co_u32_e32 v22, vcc, 0x1000, v38
	v_addc_co_u32_e32 v23, vcc, 0, v39, vcc
	flat_store_dwordx2 v[22:23], v[18:19] offset:512
.LBB689_228:
	s_or_b64 exec, exec, s[0:1]
	v_or_b32_e32 v18, 0x280, v0
	v_cmp_gt_u32_e32 vcc, s33, v18
	s_and_saveexec_b64 s[0:1], vcc
	s_cbranch_execz .LBB689_230
; %bb.229:
	v_add_co_u32_e32 v18, vcc, 0x1000, v38
	v_addc_co_u32_e32 v19, vcc, 0, v39, vcc
	flat_store_dwordx2 v[18:19], v[20:21] offset:1024
.LBB689_230:
	;; [unrolled: 10-line block ×7, first 2 shown]
	s_or_b64 exec, exec, s[0:1]
	v_or_b32_e32 v6, 0x400, v0
	v_cmp_gt_u32_e32 vcc, s33, v6
	s_and_saveexec_b64 s[0:1], vcc
	s_cbranch_execz .LBB689_242
; %bb.241:
	v_add_co_u32_e32 v6, vcc, 0x2000, v38
	v_addc_co_u32_e32 v7, vcc, 0, v39, vcc
	flat_store_dwordx2 v[6:7], v[8:9]
.LBB689_242:
	s_or_b64 exec, exec, s[0:1]
	v_or_b32_e32 v6, 0x440, v0
	v_cmp_gt_u32_e32 vcc, s33, v6
	s_and_saveexec_b64 s[0:1], vcc
	s_cbranch_execz .LBB689_244
; %bb.243:
	v_add_co_u32_e32 v6, vcc, 0x2000, v38
	v_addc_co_u32_e32 v7, vcc, 0, v39, vcc
	flat_store_dwordx2 v[6:7], v[2:3] offset:512
.LBB689_244:
	s_or_b64 exec, exec, s[0:1]
	v_or_b32_e32 v2, 0x480, v0
	v_cmp_gt_u32_e64 s[0:1], s33, v2
	s_branch .LBB689_247
.LBB689_245:
	s_mov_b64 s[0:1], 0
                                        ; implicit-def: $vgpr4_vgpr5
	s_cbranch_execz .LBB689_247
; %bb.246:
	s_movk_i32 s2, 0x98
	v_mul_i32_i24_e32 v2, 0xffffff70, v0
	v_mul_u32_u24_e32 v1, 0x98, v0
	v_mad_u32_u24 v2, v0, s2, v2
	s_waitcnt lgkmcnt(0)
	; wave barrier
	s_waitcnt lgkmcnt(0)
	ds_write2_b64 v1, v[86:87], v[40:41] offset1:1
	ds_write2_b64 v1, v[56:57], v[46:47] offset0:2 offset1:3
	ds_write2_b64 v1, v[60:61], v[52:53] offset0:4 offset1:5
	;; [unrolled: 1-line block ×8, first 2 shown]
	ds_write_b64 v1, v[102:103] offset:144
	s_waitcnt lgkmcnt(0)
	; wave barrier
	s_waitcnt lgkmcnt(0)
	ds_read2st64_b64 v[6:9], v2 offset1:1
	ds_read2st64_b64 v[10:13], v2 offset0:2 offset1:3
	ds_read2st64_b64 v[14:17], v2 offset0:4 offset1:5
	;; [unrolled: 1-line block ×8, first 2 shown]
	ds_read_b64 v[4:5], v2 offset:9216
	v_mov_b32_e32 v3, s5
	v_add_co_u32_e32 v2, vcc, s4, v121
	v_addc_co_u32_e32 v3, vcc, 0, v3, vcc
	s_movk_i32 s2, 0x1000
	s_waitcnt lgkmcnt(0)
	flat_store_dwordx2 v[2:3], v[6:7]
	flat_store_dwordx2 v[2:3], v[8:9] offset:512
	flat_store_dwordx2 v[2:3], v[10:11] offset:1024
	;; [unrolled: 1-line block ×7, first 2 shown]
	v_add_co_u32_e32 v6, vcc, s2, v2
	v_addc_co_u32_e32 v7, vcc, 0, v3, vcc
	v_add_co_u32_e32 v2, vcc, 0x2000, v2
	v_mov_b32_e32 v1, 0
	v_addc_co_u32_e32 v3, vcc, 0, v3, vcc
	s_or_b64 s[0:1], s[0:1], exec
	flat_store_dwordx2 v[6:7], v[22:23]
	flat_store_dwordx2 v[6:7], v[24:25] offset:512
	flat_store_dwordx2 v[6:7], v[26:27] offset:1024
	;; [unrolled: 1-line block ×7, first 2 shown]
	flat_store_dwordx2 v[2:3], v[38:39]
	flat_store_dwordx2 v[2:3], v[40:41] offset:512
.LBB689_247:
	s_and_saveexec_b64 s[2:3], s[0:1]
	s_cbranch_execz .LBB689_249
; %bb.248:
	v_lshlrev_b64 v[0:1], 3, v[0:1]
	v_mov_b32_e32 v2, s5
	v_add_co_u32_e32 v0, vcc, s4, v0
	v_addc_co_u32_e32 v1, vcc, v2, v1, vcc
	v_add_co_u32_e32 v0, vcc, 0x2000, v0
	v_addc_co_u32_e32 v1, vcc, 0, v1, vcc
	flat_store_dwordx2 v[0:1], v[4:5] offset:1024
	s_endpgm
.LBB689_249:
	s_endpgm
	.section	.rodata,"a",@progbits
	.p2align	6, 0x0
	.amdhsa_kernel _ZN7rocprim17ROCPRIM_400000_NS6detail17trampoline_kernelINS0_14default_configENS1_27scan_by_key_config_selectorIxxEEZZNS1_16scan_by_key_implILNS1_25lookback_scan_determinismE0ELb0ES3_N6thrust23THRUST_200600_302600_NS6detail15normal_iteratorINS9_10device_ptrIxEEEESE_SE_xNS9_4plusIxEE19head_flag_predicatexEE10hipError_tPvRmT2_T3_T4_T5_mT6_T7_P12ihipStream_tbENKUlT_T0_E_clISt17integral_constantIbLb1EESY_EEDaST_SU_EUlST_E_NS1_11comp_targetILNS1_3genE4ELNS1_11target_archE910ELNS1_3gpuE8ELNS1_3repE0EEENS1_30default_config_static_selectorELNS0_4arch9wavefront6targetE1EEEvT1_
		.amdhsa_group_segment_fixed_size 10752
		.amdhsa_private_segment_fixed_size 0
		.amdhsa_kernarg_size 136
		.amdhsa_user_sgpr_count 6
		.amdhsa_user_sgpr_private_segment_buffer 1
		.amdhsa_user_sgpr_dispatch_ptr 0
		.amdhsa_user_sgpr_queue_ptr 0
		.amdhsa_user_sgpr_kernarg_segment_ptr 1
		.amdhsa_user_sgpr_dispatch_id 0
		.amdhsa_user_sgpr_flat_scratch_init 0
		.amdhsa_user_sgpr_kernarg_preload_length 0
		.amdhsa_user_sgpr_kernarg_preload_offset 0
		.amdhsa_user_sgpr_private_segment_size 0
		.amdhsa_uses_dynamic_stack 0
		.amdhsa_system_sgpr_private_segment_wavefront_offset 0
		.amdhsa_system_sgpr_workgroup_id_x 1
		.amdhsa_system_sgpr_workgroup_id_y 0
		.amdhsa_system_sgpr_workgroup_id_z 0
		.amdhsa_system_sgpr_workgroup_info 0
		.amdhsa_system_vgpr_workitem_id 0
		.amdhsa_next_free_vgpr 125
		.amdhsa_next_free_sgpr 74
		.amdhsa_accum_offset 128
		.amdhsa_reserve_vcc 1
		.amdhsa_reserve_flat_scratch 0
		.amdhsa_float_round_mode_32 0
		.amdhsa_float_round_mode_16_64 0
		.amdhsa_float_denorm_mode_32 3
		.amdhsa_float_denorm_mode_16_64 3
		.amdhsa_dx10_clamp 1
		.amdhsa_ieee_mode 1
		.amdhsa_fp16_overflow 0
		.amdhsa_tg_split 0
		.amdhsa_exception_fp_ieee_invalid_op 0
		.amdhsa_exception_fp_denorm_src 0
		.amdhsa_exception_fp_ieee_div_zero 0
		.amdhsa_exception_fp_ieee_overflow 0
		.amdhsa_exception_fp_ieee_underflow 0
		.amdhsa_exception_fp_ieee_inexact 0
		.amdhsa_exception_int_div_zero 0
	.end_amdhsa_kernel
	.section	.text._ZN7rocprim17ROCPRIM_400000_NS6detail17trampoline_kernelINS0_14default_configENS1_27scan_by_key_config_selectorIxxEEZZNS1_16scan_by_key_implILNS1_25lookback_scan_determinismE0ELb0ES3_N6thrust23THRUST_200600_302600_NS6detail15normal_iteratorINS9_10device_ptrIxEEEESE_SE_xNS9_4plusIxEE19head_flag_predicatexEE10hipError_tPvRmT2_T3_T4_T5_mT6_T7_P12ihipStream_tbENKUlT_T0_E_clISt17integral_constantIbLb1EESY_EEDaST_SU_EUlST_E_NS1_11comp_targetILNS1_3genE4ELNS1_11target_archE910ELNS1_3gpuE8ELNS1_3repE0EEENS1_30default_config_static_selectorELNS0_4arch9wavefront6targetE1EEEvT1_,"axG",@progbits,_ZN7rocprim17ROCPRIM_400000_NS6detail17trampoline_kernelINS0_14default_configENS1_27scan_by_key_config_selectorIxxEEZZNS1_16scan_by_key_implILNS1_25lookback_scan_determinismE0ELb0ES3_N6thrust23THRUST_200600_302600_NS6detail15normal_iteratorINS9_10device_ptrIxEEEESE_SE_xNS9_4plusIxEE19head_flag_predicatexEE10hipError_tPvRmT2_T3_T4_T5_mT6_T7_P12ihipStream_tbENKUlT_T0_E_clISt17integral_constantIbLb1EESY_EEDaST_SU_EUlST_E_NS1_11comp_targetILNS1_3genE4ELNS1_11target_archE910ELNS1_3gpuE8ELNS1_3repE0EEENS1_30default_config_static_selectorELNS0_4arch9wavefront6targetE1EEEvT1_,comdat
.Lfunc_end689:
	.size	_ZN7rocprim17ROCPRIM_400000_NS6detail17trampoline_kernelINS0_14default_configENS1_27scan_by_key_config_selectorIxxEEZZNS1_16scan_by_key_implILNS1_25lookback_scan_determinismE0ELb0ES3_N6thrust23THRUST_200600_302600_NS6detail15normal_iteratorINS9_10device_ptrIxEEEESE_SE_xNS9_4plusIxEE19head_flag_predicatexEE10hipError_tPvRmT2_T3_T4_T5_mT6_T7_P12ihipStream_tbENKUlT_T0_E_clISt17integral_constantIbLb1EESY_EEDaST_SU_EUlST_E_NS1_11comp_targetILNS1_3genE4ELNS1_11target_archE910ELNS1_3gpuE8ELNS1_3repE0EEENS1_30default_config_static_selectorELNS0_4arch9wavefront6targetE1EEEvT1_, .Lfunc_end689-_ZN7rocprim17ROCPRIM_400000_NS6detail17trampoline_kernelINS0_14default_configENS1_27scan_by_key_config_selectorIxxEEZZNS1_16scan_by_key_implILNS1_25lookback_scan_determinismE0ELb0ES3_N6thrust23THRUST_200600_302600_NS6detail15normal_iteratorINS9_10device_ptrIxEEEESE_SE_xNS9_4plusIxEE19head_flag_predicatexEE10hipError_tPvRmT2_T3_T4_T5_mT6_T7_P12ihipStream_tbENKUlT_T0_E_clISt17integral_constantIbLb1EESY_EEDaST_SU_EUlST_E_NS1_11comp_targetILNS1_3genE4ELNS1_11target_archE910ELNS1_3gpuE8ELNS1_3repE0EEENS1_30default_config_static_selectorELNS0_4arch9wavefront6targetE1EEEvT1_
                                        ; -- End function
	.section	.AMDGPU.csdata,"",@progbits
; Kernel info:
; codeLenInByte = 14716
; NumSgprs: 78
; NumVgprs: 125
; NumAgprs: 0
; TotalNumVgprs: 125
; ScratchSize: 0
; MemoryBound: 0
; FloatMode: 240
; IeeeMode: 1
; LDSByteSize: 10752 bytes/workgroup (compile time only)
; SGPRBlocks: 9
; VGPRBlocks: 15
; NumSGPRsForWavesPerEU: 78
; NumVGPRsForWavesPerEU: 125
; AccumOffset: 128
; Occupancy: 2
; WaveLimiterHint : 1
; COMPUTE_PGM_RSRC2:SCRATCH_EN: 0
; COMPUTE_PGM_RSRC2:USER_SGPR: 6
; COMPUTE_PGM_RSRC2:TRAP_HANDLER: 0
; COMPUTE_PGM_RSRC2:TGID_X_EN: 1
; COMPUTE_PGM_RSRC2:TGID_Y_EN: 0
; COMPUTE_PGM_RSRC2:TGID_Z_EN: 0
; COMPUTE_PGM_RSRC2:TIDIG_COMP_CNT: 0
; COMPUTE_PGM_RSRC3_GFX90A:ACCUM_OFFSET: 31
; COMPUTE_PGM_RSRC3_GFX90A:TG_SPLIT: 0
	.section	.text._ZN7rocprim17ROCPRIM_400000_NS6detail17trampoline_kernelINS0_14default_configENS1_27scan_by_key_config_selectorIxxEEZZNS1_16scan_by_key_implILNS1_25lookback_scan_determinismE0ELb0ES3_N6thrust23THRUST_200600_302600_NS6detail15normal_iteratorINS9_10device_ptrIxEEEESE_SE_xNS9_4plusIxEE19head_flag_predicatexEE10hipError_tPvRmT2_T3_T4_T5_mT6_T7_P12ihipStream_tbENKUlT_T0_E_clISt17integral_constantIbLb1EESY_EEDaST_SU_EUlST_E_NS1_11comp_targetILNS1_3genE3ELNS1_11target_archE908ELNS1_3gpuE7ELNS1_3repE0EEENS1_30default_config_static_selectorELNS0_4arch9wavefront6targetE1EEEvT1_,"axG",@progbits,_ZN7rocprim17ROCPRIM_400000_NS6detail17trampoline_kernelINS0_14default_configENS1_27scan_by_key_config_selectorIxxEEZZNS1_16scan_by_key_implILNS1_25lookback_scan_determinismE0ELb0ES3_N6thrust23THRUST_200600_302600_NS6detail15normal_iteratorINS9_10device_ptrIxEEEESE_SE_xNS9_4plusIxEE19head_flag_predicatexEE10hipError_tPvRmT2_T3_T4_T5_mT6_T7_P12ihipStream_tbENKUlT_T0_E_clISt17integral_constantIbLb1EESY_EEDaST_SU_EUlST_E_NS1_11comp_targetILNS1_3genE3ELNS1_11target_archE908ELNS1_3gpuE7ELNS1_3repE0EEENS1_30default_config_static_selectorELNS0_4arch9wavefront6targetE1EEEvT1_,comdat
	.protected	_ZN7rocprim17ROCPRIM_400000_NS6detail17trampoline_kernelINS0_14default_configENS1_27scan_by_key_config_selectorIxxEEZZNS1_16scan_by_key_implILNS1_25lookback_scan_determinismE0ELb0ES3_N6thrust23THRUST_200600_302600_NS6detail15normal_iteratorINS9_10device_ptrIxEEEESE_SE_xNS9_4plusIxEE19head_flag_predicatexEE10hipError_tPvRmT2_T3_T4_T5_mT6_T7_P12ihipStream_tbENKUlT_T0_E_clISt17integral_constantIbLb1EESY_EEDaST_SU_EUlST_E_NS1_11comp_targetILNS1_3genE3ELNS1_11target_archE908ELNS1_3gpuE7ELNS1_3repE0EEENS1_30default_config_static_selectorELNS0_4arch9wavefront6targetE1EEEvT1_ ; -- Begin function _ZN7rocprim17ROCPRIM_400000_NS6detail17trampoline_kernelINS0_14default_configENS1_27scan_by_key_config_selectorIxxEEZZNS1_16scan_by_key_implILNS1_25lookback_scan_determinismE0ELb0ES3_N6thrust23THRUST_200600_302600_NS6detail15normal_iteratorINS9_10device_ptrIxEEEESE_SE_xNS9_4plusIxEE19head_flag_predicatexEE10hipError_tPvRmT2_T3_T4_T5_mT6_T7_P12ihipStream_tbENKUlT_T0_E_clISt17integral_constantIbLb1EESY_EEDaST_SU_EUlST_E_NS1_11comp_targetILNS1_3genE3ELNS1_11target_archE908ELNS1_3gpuE7ELNS1_3repE0EEENS1_30default_config_static_selectorELNS0_4arch9wavefront6targetE1EEEvT1_
	.globl	_ZN7rocprim17ROCPRIM_400000_NS6detail17trampoline_kernelINS0_14default_configENS1_27scan_by_key_config_selectorIxxEEZZNS1_16scan_by_key_implILNS1_25lookback_scan_determinismE0ELb0ES3_N6thrust23THRUST_200600_302600_NS6detail15normal_iteratorINS9_10device_ptrIxEEEESE_SE_xNS9_4plusIxEE19head_flag_predicatexEE10hipError_tPvRmT2_T3_T4_T5_mT6_T7_P12ihipStream_tbENKUlT_T0_E_clISt17integral_constantIbLb1EESY_EEDaST_SU_EUlST_E_NS1_11comp_targetILNS1_3genE3ELNS1_11target_archE908ELNS1_3gpuE7ELNS1_3repE0EEENS1_30default_config_static_selectorELNS0_4arch9wavefront6targetE1EEEvT1_
	.p2align	8
	.type	_ZN7rocprim17ROCPRIM_400000_NS6detail17trampoline_kernelINS0_14default_configENS1_27scan_by_key_config_selectorIxxEEZZNS1_16scan_by_key_implILNS1_25lookback_scan_determinismE0ELb0ES3_N6thrust23THRUST_200600_302600_NS6detail15normal_iteratorINS9_10device_ptrIxEEEESE_SE_xNS9_4plusIxEE19head_flag_predicatexEE10hipError_tPvRmT2_T3_T4_T5_mT6_T7_P12ihipStream_tbENKUlT_T0_E_clISt17integral_constantIbLb1EESY_EEDaST_SU_EUlST_E_NS1_11comp_targetILNS1_3genE3ELNS1_11target_archE908ELNS1_3gpuE7ELNS1_3repE0EEENS1_30default_config_static_selectorELNS0_4arch9wavefront6targetE1EEEvT1_,@function
_ZN7rocprim17ROCPRIM_400000_NS6detail17trampoline_kernelINS0_14default_configENS1_27scan_by_key_config_selectorIxxEEZZNS1_16scan_by_key_implILNS1_25lookback_scan_determinismE0ELb0ES3_N6thrust23THRUST_200600_302600_NS6detail15normal_iteratorINS9_10device_ptrIxEEEESE_SE_xNS9_4plusIxEE19head_flag_predicatexEE10hipError_tPvRmT2_T3_T4_T5_mT6_T7_P12ihipStream_tbENKUlT_T0_E_clISt17integral_constantIbLb1EESY_EEDaST_SU_EUlST_E_NS1_11comp_targetILNS1_3genE3ELNS1_11target_archE908ELNS1_3gpuE7ELNS1_3repE0EEENS1_30default_config_static_selectorELNS0_4arch9wavefront6targetE1EEEvT1_: ; @_ZN7rocprim17ROCPRIM_400000_NS6detail17trampoline_kernelINS0_14default_configENS1_27scan_by_key_config_selectorIxxEEZZNS1_16scan_by_key_implILNS1_25lookback_scan_determinismE0ELb0ES3_N6thrust23THRUST_200600_302600_NS6detail15normal_iteratorINS9_10device_ptrIxEEEESE_SE_xNS9_4plusIxEE19head_flag_predicatexEE10hipError_tPvRmT2_T3_T4_T5_mT6_T7_P12ihipStream_tbENKUlT_T0_E_clISt17integral_constantIbLb1EESY_EEDaST_SU_EUlST_E_NS1_11comp_targetILNS1_3genE3ELNS1_11target_archE908ELNS1_3gpuE7ELNS1_3repE0EEENS1_30default_config_static_selectorELNS0_4arch9wavefront6targetE1EEEvT1_
; %bb.0:
	.section	.rodata,"a",@progbits
	.p2align	6, 0x0
	.amdhsa_kernel _ZN7rocprim17ROCPRIM_400000_NS6detail17trampoline_kernelINS0_14default_configENS1_27scan_by_key_config_selectorIxxEEZZNS1_16scan_by_key_implILNS1_25lookback_scan_determinismE0ELb0ES3_N6thrust23THRUST_200600_302600_NS6detail15normal_iteratorINS9_10device_ptrIxEEEESE_SE_xNS9_4plusIxEE19head_flag_predicatexEE10hipError_tPvRmT2_T3_T4_T5_mT6_T7_P12ihipStream_tbENKUlT_T0_E_clISt17integral_constantIbLb1EESY_EEDaST_SU_EUlST_E_NS1_11comp_targetILNS1_3genE3ELNS1_11target_archE908ELNS1_3gpuE7ELNS1_3repE0EEENS1_30default_config_static_selectorELNS0_4arch9wavefront6targetE1EEEvT1_
		.amdhsa_group_segment_fixed_size 0
		.amdhsa_private_segment_fixed_size 0
		.amdhsa_kernarg_size 136
		.amdhsa_user_sgpr_count 6
		.amdhsa_user_sgpr_private_segment_buffer 1
		.amdhsa_user_sgpr_dispatch_ptr 0
		.amdhsa_user_sgpr_queue_ptr 0
		.amdhsa_user_sgpr_kernarg_segment_ptr 1
		.amdhsa_user_sgpr_dispatch_id 0
		.amdhsa_user_sgpr_flat_scratch_init 0
		.amdhsa_user_sgpr_kernarg_preload_length 0
		.amdhsa_user_sgpr_kernarg_preload_offset 0
		.amdhsa_user_sgpr_private_segment_size 0
		.amdhsa_uses_dynamic_stack 0
		.amdhsa_system_sgpr_private_segment_wavefront_offset 0
		.amdhsa_system_sgpr_workgroup_id_x 1
		.amdhsa_system_sgpr_workgroup_id_y 0
		.amdhsa_system_sgpr_workgroup_id_z 0
		.amdhsa_system_sgpr_workgroup_info 0
		.amdhsa_system_vgpr_workitem_id 0
		.amdhsa_next_free_vgpr 1
		.amdhsa_next_free_sgpr 0
		.amdhsa_accum_offset 4
		.amdhsa_reserve_vcc 0
		.amdhsa_reserve_flat_scratch 0
		.amdhsa_float_round_mode_32 0
		.amdhsa_float_round_mode_16_64 0
		.amdhsa_float_denorm_mode_32 3
		.amdhsa_float_denorm_mode_16_64 3
		.amdhsa_dx10_clamp 1
		.amdhsa_ieee_mode 1
		.amdhsa_fp16_overflow 0
		.amdhsa_tg_split 0
		.amdhsa_exception_fp_ieee_invalid_op 0
		.amdhsa_exception_fp_denorm_src 0
		.amdhsa_exception_fp_ieee_div_zero 0
		.amdhsa_exception_fp_ieee_overflow 0
		.amdhsa_exception_fp_ieee_underflow 0
		.amdhsa_exception_fp_ieee_inexact 0
		.amdhsa_exception_int_div_zero 0
	.end_amdhsa_kernel
	.section	.text._ZN7rocprim17ROCPRIM_400000_NS6detail17trampoline_kernelINS0_14default_configENS1_27scan_by_key_config_selectorIxxEEZZNS1_16scan_by_key_implILNS1_25lookback_scan_determinismE0ELb0ES3_N6thrust23THRUST_200600_302600_NS6detail15normal_iteratorINS9_10device_ptrIxEEEESE_SE_xNS9_4plusIxEE19head_flag_predicatexEE10hipError_tPvRmT2_T3_T4_T5_mT6_T7_P12ihipStream_tbENKUlT_T0_E_clISt17integral_constantIbLb1EESY_EEDaST_SU_EUlST_E_NS1_11comp_targetILNS1_3genE3ELNS1_11target_archE908ELNS1_3gpuE7ELNS1_3repE0EEENS1_30default_config_static_selectorELNS0_4arch9wavefront6targetE1EEEvT1_,"axG",@progbits,_ZN7rocprim17ROCPRIM_400000_NS6detail17trampoline_kernelINS0_14default_configENS1_27scan_by_key_config_selectorIxxEEZZNS1_16scan_by_key_implILNS1_25lookback_scan_determinismE0ELb0ES3_N6thrust23THRUST_200600_302600_NS6detail15normal_iteratorINS9_10device_ptrIxEEEESE_SE_xNS9_4plusIxEE19head_flag_predicatexEE10hipError_tPvRmT2_T3_T4_T5_mT6_T7_P12ihipStream_tbENKUlT_T0_E_clISt17integral_constantIbLb1EESY_EEDaST_SU_EUlST_E_NS1_11comp_targetILNS1_3genE3ELNS1_11target_archE908ELNS1_3gpuE7ELNS1_3repE0EEENS1_30default_config_static_selectorELNS0_4arch9wavefront6targetE1EEEvT1_,comdat
.Lfunc_end690:
	.size	_ZN7rocprim17ROCPRIM_400000_NS6detail17trampoline_kernelINS0_14default_configENS1_27scan_by_key_config_selectorIxxEEZZNS1_16scan_by_key_implILNS1_25lookback_scan_determinismE0ELb0ES3_N6thrust23THRUST_200600_302600_NS6detail15normal_iteratorINS9_10device_ptrIxEEEESE_SE_xNS9_4plusIxEE19head_flag_predicatexEE10hipError_tPvRmT2_T3_T4_T5_mT6_T7_P12ihipStream_tbENKUlT_T0_E_clISt17integral_constantIbLb1EESY_EEDaST_SU_EUlST_E_NS1_11comp_targetILNS1_3genE3ELNS1_11target_archE908ELNS1_3gpuE7ELNS1_3repE0EEENS1_30default_config_static_selectorELNS0_4arch9wavefront6targetE1EEEvT1_, .Lfunc_end690-_ZN7rocprim17ROCPRIM_400000_NS6detail17trampoline_kernelINS0_14default_configENS1_27scan_by_key_config_selectorIxxEEZZNS1_16scan_by_key_implILNS1_25lookback_scan_determinismE0ELb0ES3_N6thrust23THRUST_200600_302600_NS6detail15normal_iteratorINS9_10device_ptrIxEEEESE_SE_xNS9_4plusIxEE19head_flag_predicatexEE10hipError_tPvRmT2_T3_T4_T5_mT6_T7_P12ihipStream_tbENKUlT_T0_E_clISt17integral_constantIbLb1EESY_EEDaST_SU_EUlST_E_NS1_11comp_targetILNS1_3genE3ELNS1_11target_archE908ELNS1_3gpuE7ELNS1_3repE0EEENS1_30default_config_static_selectorELNS0_4arch9wavefront6targetE1EEEvT1_
                                        ; -- End function
	.section	.AMDGPU.csdata,"",@progbits
; Kernel info:
; codeLenInByte = 0
; NumSgprs: 4
; NumVgprs: 0
; NumAgprs: 0
; TotalNumVgprs: 0
; ScratchSize: 0
; MemoryBound: 0
; FloatMode: 240
; IeeeMode: 1
; LDSByteSize: 0 bytes/workgroup (compile time only)
; SGPRBlocks: 0
; VGPRBlocks: 0
; NumSGPRsForWavesPerEU: 4
; NumVGPRsForWavesPerEU: 1
; AccumOffset: 4
; Occupancy: 8
; WaveLimiterHint : 0
; COMPUTE_PGM_RSRC2:SCRATCH_EN: 0
; COMPUTE_PGM_RSRC2:USER_SGPR: 6
; COMPUTE_PGM_RSRC2:TRAP_HANDLER: 0
; COMPUTE_PGM_RSRC2:TGID_X_EN: 1
; COMPUTE_PGM_RSRC2:TGID_Y_EN: 0
; COMPUTE_PGM_RSRC2:TGID_Z_EN: 0
; COMPUTE_PGM_RSRC2:TIDIG_COMP_CNT: 0
; COMPUTE_PGM_RSRC3_GFX90A:ACCUM_OFFSET: 0
; COMPUTE_PGM_RSRC3_GFX90A:TG_SPLIT: 0
	.section	.text._ZN7rocprim17ROCPRIM_400000_NS6detail17trampoline_kernelINS0_14default_configENS1_27scan_by_key_config_selectorIxxEEZZNS1_16scan_by_key_implILNS1_25lookback_scan_determinismE0ELb0ES3_N6thrust23THRUST_200600_302600_NS6detail15normal_iteratorINS9_10device_ptrIxEEEESE_SE_xNS9_4plusIxEE19head_flag_predicatexEE10hipError_tPvRmT2_T3_T4_T5_mT6_T7_P12ihipStream_tbENKUlT_T0_E_clISt17integral_constantIbLb1EESY_EEDaST_SU_EUlST_E_NS1_11comp_targetILNS1_3genE2ELNS1_11target_archE906ELNS1_3gpuE6ELNS1_3repE0EEENS1_30default_config_static_selectorELNS0_4arch9wavefront6targetE1EEEvT1_,"axG",@progbits,_ZN7rocprim17ROCPRIM_400000_NS6detail17trampoline_kernelINS0_14default_configENS1_27scan_by_key_config_selectorIxxEEZZNS1_16scan_by_key_implILNS1_25lookback_scan_determinismE0ELb0ES3_N6thrust23THRUST_200600_302600_NS6detail15normal_iteratorINS9_10device_ptrIxEEEESE_SE_xNS9_4plusIxEE19head_flag_predicatexEE10hipError_tPvRmT2_T3_T4_T5_mT6_T7_P12ihipStream_tbENKUlT_T0_E_clISt17integral_constantIbLb1EESY_EEDaST_SU_EUlST_E_NS1_11comp_targetILNS1_3genE2ELNS1_11target_archE906ELNS1_3gpuE6ELNS1_3repE0EEENS1_30default_config_static_selectorELNS0_4arch9wavefront6targetE1EEEvT1_,comdat
	.protected	_ZN7rocprim17ROCPRIM_400000_NS6detail17trampoline_kernelINS0_14default_configENS1_27scan_by_key_config_selectorIxxEEZZNS1_16scan_by_key_implILNS1_25lookback_scan_determinismE0ELb0ES3_N6thrust23THRUST_200600_302600_NS6detail15normal_iteratorINS9_10device_ptrIxEEEESE_SE_xNS9_4plusIxEE19head_flag_predicatexEE10hipError_tPvRmT2_T3_T4_T5_mT6_T7_P12ihipStream_tbENKUlT_T0_E_clISt17integral_constantIbLb1EESY_EEDaST_SU_EUlST_E_NS1_11comp_targetILNS1_3genE2ELNS1_11target_archE906ELNS1_3gpuE6ELNS1_3repE0EEENS1_30default_config_static_selectorELNS0_4arch9wavefront6targetE1EEEvT1_ ; -- Begin function _ZN7rocprim17ROCPRIM_400000_NS6detail17trampoline_kernelINS0_14default_configENS1_27scan_by_key_config_selectorIxxEEZZNS1_16scan_by_key_implILNS1_25lookback_scan_determinismE0ELb0ES3_N6thrust23THRUST_200600_302600_NS6detail15normal_iteratorINS9_10device_ptrIxEEEESE_SE_xNS9_4plusIxEE19head_flag_predicatexEE10hipError_tPvRmT2_T3_T4_T5_mT6_T7_P12ihipStream_tbENKUlT_T0_E_clISt17integral_constantIbLb1EESY_EEDaST_SU_EUlST_E_NS1_11comp_targetILNS1_3genE2ELNS1_11target_archE906ELNS1_3gpuE6ELNS1_3repE0EEENS1_30default_config_static_selectorELNS0_4arch9wavefront6targetE1EEEvT1_
	.globl	_ZN7rocprim17ROCPRIM_400000_NS6detail17trampoline_kernelINS0_14default_configENS1_27scan_by_key_config_selectorIxxEEZZNS1_16scan_by_key_implILNS1_25lookback_scan_determinismE0ELb0ES3_N6thrust23THRUST_200600_302600_NS6detail15normal_iteratorINS9_10device_ptrIxEEEESE_SE_xNS9_4plusIxEE19head_flag_predicatexEE10hipError_tPvRmT2_T3_T4_T5_mT6_T7_P12ihipStream_tbENKUlT_T0_E_clISt17integral_constantIbLb1EESY_EEDaST_SU_EUlST_E_NS1_11comp_targetILNS1_3genE2ELNS1_11target_archE906ELNS1_3gpuE6ELNS1_3repE0EEENS1_30default_config_static_selectorELNS0_4arch9wavefront6targetE1EEEvT1_
	.p2align	8
	.type	_ZN7rocprim17ROCPRIM_400000_NS6detail17trampoline_kernelINS0_14default_configENS1_27scan_by_key_config_selectorIxxEEZZNS1_16scan_by_key_implILNS1_25lookback_scan_determinismE0ELb0ES3_N6thrust23THRUST_200600_302600_NS6detail15normal_iteratorINS9_10device_ptrIxEEEESE_SE_xNS9_4plusIxEE19head_flag_predicatexEE10hipError_tPvRmT2_T3_T4_T5_mT6_T7_P12ihipStream_tbENKUlT_T0_E_clISt17integral_constantIbLb1EESY_EEDaST_SU_EUlST_E_NS1_11comp_targetILNS1_3genE2ELNS1_11target_archE906ELNS1_3gpuE6ELNS1_3repE0EEENS1_30default_config_static_selectorELNS0_4arch9wavefront6targetE1EEEvT1_,@function
_ZN7rocprim17ROCPRIM_400000_NS6detail17trampoline_kernelINS0_14default_configENS1_27scan_by_key_config_selectorIxxEEZZNS1_16scan_by_key_implILNS1_25lookback_scan_determinismE0ELb0ES3_N6thrust23THRUST_200600_302600_NS6detail15normal_iteratorINS9_10device_ptrIxEEEESE_SE_xNS9_4plusIxEE19head_flag_predicatexEE10hipError_tPvRmT2_T3_T4_T5_mT6_T7_P12ihipStream_tbENKUlT_T0_E_clISt17integral_constantIbLb1EESY_EEDaST_SU_EUlST_E_NS1_11comp_targetILNS1_3genE2ELNS1_11target_archE906ELNS1_3gpuE6ELNS1_3repE0EEENS1_30default_config_static_selectorELNS0_4arch9wavefront6targetE1EEEvT1_: ; @_ZN7rocprim17ROCPRIM_400000_NS6detail17trampoline_kernelINS0_14default_configENS1_27scan_by_key_config_selectorIxxEEZZNS1_16scan_by_key_implILNS1_25lookback_scan_determinismE0ELb0ES3_N6thrust23THRUST_200600_302600_NS6detail15normal_iteratorINS9_10device_ptrIxEEEESE_SE_xNS9_4plusIxEE19head_flag_predicatexEE10hipError_tPvRmT2_T3_T4_T5_mT6_T7_P12ihipStream_tbENKUlT_T0_E_clISt17integral_constantIbLb1EESY_EEDaST_SU_EUlST_E_NS1_11comp_targetILNS1_3genE2ELNS1_11target_archE906ELNS1_3gpuE6ELNS1_3repE0EEENS1_30default_config_static_selectorELNS0_4arch9wavefront6targetE1EEEvT1_
; %bb.0:
	.section	.rodata,"a",@progbits
	.p2align	6, 0x0
	.amdhsa_kernel _ZN7rocprim17ROCPRIM_400000_NS6detail17trampoline_kernelINS0_14default_configENS1_27scan_by_key_config_selectorIxxEEZZNS1_16scan_by_key_implILNS1_25lookback_scan_determinismE0ELb0ES3_N6thrust23THRUST_200600_302600_NS6detail15normal_iteratorINS9_10device_ptrIxEEEESE_SE_xNS9_4plusIxEE19head_flag_predicatexEE10hipError_tPvRmT2_T3_T4_T5_mT6_T7_P12ihipStream_tbENKUlT_T0_E_clISt17integral_constantIbLb1EESY_EEDaST_SU_EUlST_E_NS1_11comp_targetILNS1_3genE2ELNS1_11target_archE906ELNS1_3gpuE6ELNS1_3repE0EEENS1_30default_config_static_selectorELNS0_4arch9wavefront6targetE1EEEvT1_
		.amdhsa_group_segment_fixed_size 0
		.amdhsa_private_segment_fixed_size 0
		.amdhsa_kernarg_size 136
		.amdhsa_user_sgpr_count 6
		.amdhsa_user_sgpr_private_segment_buffer 1
		.amdhsa_user_sgpr_dispatch_ptr 0
		.amdhsa_user_sgpr_queue_ptr 0
		.amdhsa_user_sgpr_kernarg_segment_ptr 1
		.amdhsa_user_sgpr_dispatch_id 0
		.amdhsa_user_sgpr_flat_scratch_init 0
		.amdhsa_user_sgpr_kernarg_preload_length 0
		.amdhsa_user_sgpr_kernarg_preload_offset 0
		.amdhsa_user_sgpr_private_segment_size 0
		.amdhsa_uses_dynamic_stack 0
		.amdhsa_system_sgpr_private_segment_wavefront_offset 0
		.amdhsa_system_sgpr_workgroup_id_x 1
		.amdhsa_system_sgpr_workgroup_id_y 0
		.amdhsa_system_sgpr_workgroup_id_z 0
		.amdhsa_system_sgpr_workgroup_info 0
		.amdhsa_system_vgpr_workitem_id 0
		.amdhsa_next_free_vgpr 1
		.amdhsa_next_free_sgpr 0
		.amdhsa_accum_offset 4
		.amdhsa_reserve_vcc 0
		.amdhsa_reserve_flat_scratch 0
		.amdhsa_float_round_mode_32 0
		.amdhsa_float_round_mode_16_64 0
		.amdhsa_float_denorm_mode_32 3
		.amdhsa_float_denorm_mode_16_64 3
		.amdhsa_dx10_clamp 1
		.amdhsa_ieee_mode 1
		.amdhsa_fp16_overflow 0
		.amdhsa_tg_split 0
		.amdhsa_exception_fp_ieee_invalid_op 0
		.amdhsa_exception_fp_denorm_src 0
		.amdhsa_exception_fp_ieee_div_zero 0
		.amdhsa_exception_fp_ieee_overflow 0
		.amdhsa_exception_fp_ieee_underflow 0
		.amdhsa_exception_fp_ieee_inexact 0
		.amdhsa_exception_int_div_zero 0
	.end_amdhsa_kernel
	.section	.text._ZN7rocprim17ROCPRIM_400000_NS6detail17trampoline_kernelINS0_14default_configENS1_27scan_by_key_config_selectorIxxEEZZNS1_16scan_by_key_implILNS1_25lookback_scan_determinismE0ELb0ES3_N6thrust23THRUST_200600_302600_NS6detail15normal_iteratorINS9_10device_ptrIxEEEESE_SE_xNS9_4plusIxEE19head_flag_predicatexEE10hipError_tPvRmT2_T3_T4_T5_mT6_T7_P12ihipStream_tbENKUlT_T0_E_clISt17integral_constantIbLb1EESY_EEDaST_SU_EUlST_E_NS1_11comp_targetILNS1_3genE2ELNS1_11target_archE906ELNS1_3gpuE6ELNS1_3repE0EEENS1_30default_config_static_selectorELNS0_4arch9wavefront6targetE1EEEvT1_,"axG",@progbits,_ZN7rocprim17ROCPRIM_400000_NS6detail17trampoline_kernelINS0_14default_configENS1_27scan_by_key_config_selectorIxxEEZZNS1_16scan_by_key_implILNS1_25lookback_scan_determinismE0ELb0ES3_N6thrust23THRUST_200600_302600_NS6detail15normal_iteratorINS9_10device_ptrIxEEEESE_SE_xNS9_4plusIxEE19head_flag_predicatexEE10hipError_tPvRmT2_T3_T4_T5_mT6_T7_P12ihipStream_tbENKUlT_T0_E_clISt17integral_constantIbLb1EESY_EEDaST_SU_EUlST_E_NS1_11comp_targetILNS1_3genE2ELNS1_11target_archE906ELNS1_3gpuE6ELNS1_3repE0EEENS1_30default_config_static_selectorELNS0_4arch9wavefront6targetE1EEEvT1_,comdat
.Lfunc_end691:
	.size	_ZN7rocprim17ROCPRIM_400000_NS6detail17trampoline_kernelINS0_14default_configENS1_27scan_by_key_config_selectorIxxEEZZNS1_16scan_by_key_implILNS1_25lookback_scan_determinismE0ELb0ES3_N6thrust23THRUST_200600_302600_NS6detail15normal_iteratorINS9_10device_ptrIxEEEESE_SE_xNS9_4plusIxEE19head_flag_predicatexEE10hipError_tPvRmT2_T3_T4_T5_mT6_T7_P12ihipStream_tbENKUlT_T0_E_clISt17integral_constantIbLb1EESY_EEDaST_SU_EUlST_E_NS1_11comp_targetILNS1_3genE2ELNS1_11target_archE906ELNS1_3gpuE6ELNS1_3repE0EEENS1_30default_config_static_selectorELNS0_4arch9wavefront6targetE1EEEvT1_, .Lfunc_end691-_ZN7rocprim17ROCPRIM_400000_NS6detail17trampoline_kernelINS0_14default_configENS1_27scan_by_key_config_selectorIxxEEZZNS1_16scan_by_key_implILNS1_25lookback_scan_determinismE0ELb0ES3_N6thrust23THRUST_200600_302600_NS6detail15normal_iteratorINS9_10device_ptrIxEEEESE_SE_xNS9_4plusIxEE19head_flag_predicatexEE10hipError_tPvRmT2_T3_T4_T5_mT6_T7_P12ihipStream_tbENKUlT_T0_E_clISt17integral_constantIbLb1EESY_EEDaST_SU_EUlST_E_NS1_11comp_targetILNS1_3genE2ELNS1_11target_archE906ELNS1_3gpuE6ELNS1_3repE0EEENS1_30default_config_static_selectorELNS0_4arch9wavefront6targetE1EEEvT1_
                                        ; -- End function
	.section	.AMDGPU.csdata,"",@progbits
; Kernel info:
; codeLenInByte = 0
; NumSgprs: 4
; NumVgprs: 0
; NumAgprs: 0
; TotalNumVgprs: 0
; ScratchSize: 0
; MemoryBound: 0
; FloatMode: 240
; IeeeMode: 1
; LDSByteSize: 0 bytes/workgroup (compile time only)
; SGPRBlocks: 0
; VGPRBlocks: 0
; NumSGPRsForWavesPerEU: 4
; NumVGPRsForWavesPerEU: 1
; AccumOffset: 4
; Occupancy: 8
; WaveLimiterHint : 0
; COMPUTE_PGM_RSRC2:SCRATCH_EN: 0
; COMPUTE_PGM_RSRC2:USER_SGPR: 6
; COMPUTE_PGM_RSRC2:TRAP_HANDLER: 0
; COMPUTE_PGM_RSRC2:TGID_X_EN: 1
; COMPUTE_PGM_RSRC2:TGID_Y_EN: 0
; COMPUTE_PGM_RSRC2:TGID_Z_EN: 0
; COMPUTE_PGM_RSRC2:TIDIG_COMP_CNT: 0
; COMPUTE_PGM_RSRC3_GFX90A:ACCUM_OFFSET: 0
; COMPUTE_PGM_RSRC3_GFX90A:TG_SPLIT: 0
	.section	.text._ZN7rocprim17ROCPRIM_400000_NS6detail17trampoline_kernelINS0_14default_configENS1_27scan_by_key_config_selectorIxxEEZZNS1_16scan_by_key_implILNS1_25lookback_scan_determinismE0ELb0ES3_N6thrust23THRUST_200600_302600_NS6detail15normal_iteratorINS9_10device_ptrIxEEEESE_SE_xNS9_4plusIxEE19head_flag_predicatexEE10hipError_tPvRmT2_T3_T4_T5_mT6_T7_P12ihipStream_tbENKUlT_T0_E_clISt17integral_constantIbLb1EESY_EEDaST_SU_EUlST_E_NS1_11comp_targetILNS1_3genE10ELNS1_11target_archE1200ELNS1_3gpuE4ELNS1_3repE0EEENS1_30default_config_static_selectorELNS0_4arch9wavefront6targetE1EEEvT1_,"axG",@progbits,_ZN7rocprim17ROCPRIM_400000_NS6detail17trampoline_kernelINS0_14default_configENS1_27scan_by_key_config_selectorIxxEEZZNS1_16scan_by_key_implILNS1_25lookback_scan_determinismE0ELb0ES3_N6thrust23THRUST_200600_302600_NS6detail15normal_iteratorINS9_10device_ptrIxEEEESE_SE_xNS9_4plusIxEE19head_flag_predicatexEE10hipError_tPvRmT2_T3_T4_T5_mT6_T7_P12ihipStream_tbENKUlT_T0_E_clISt17integral_constantIbLb1EESY_EEDaST_SU_EUlST_E_NS1_11comp_targetILNS1_3genE10ELNS1_11target_archE1200ELNS1_3gpuE4ELNS1_3repE0EEENS1_30default_config_static_selectorELNS0_4arch9wavefront6targetE1EEEvT1_,comdat
	.protected	_ZN7rocprim17ROCPRIM_400000_NS6detail17trampoline_kernelINS0_14default_configENS1_27scan_by_key_config_selectorIxxEEZZNS1_16scan_by_key_implILNS1_25lookback_scan_determinismE0ELb0ES3_N6thrust23THRUST_200600_302600_NS6detail15normal_iteratorINS9_10device_ptrIxEEEESE_SE_xNS9_4plusIxEE19head_flag_predicatexEE10hipError_tPvRmT2_T3_T4_T5_mT6_T7_P12ihipStream_tbENKUlT_T0_E_clISt17integral_constantIbLb1EESY_EEDaST_SU_EUlST_E_NS1_11comp_targetILNS1_3genE10ELNS1_11target_archE1200ELNS1_3gpuE4ELNS1_3repE0EEENS1_30default_config_static_selectorELNS0_4arch9wavefront6targetE1EEEvT1_ ; -- Begin function _ZN7rocprim17ROCPRIM_400000_NS6detail17trampoline_kernelINS0_14default_configENS1_27scan_by_key_config_selectorIxxEEZZNS1_16scan_by_key_implILNS1_25lookback_scan_determinismE0ELb0ES3_N6thrust23THRUST_200600_302600_NS6detail15normal_iteratorINS9_10device_ptrIxEEEESE_SE_xNS9_4plusIxEE19head_flag_predicatexEE10hipError_tPvRmT2_T3_T4_T5_mT6_T7_P12ihipStream_tbENKUlT_T0_E_clISt17integral_constantIbLb1EESY_EEDaST_SU_EUlST_E_NS1_11comp_targetILNS1_3genE10ELNS1_11target_archE1200ELNS1_3gpuE4ELNS1_3repE0EEENS1_30default_config_static_selectorELNS0_4arch9wavefront6targetE1EEEvT1_
	.globl	_ZN7rocprim17ROCPRIM_400000_NS6detail17trampoline_kernelINS0_14default_configENS1_27scan_by_key_config_selectorIxxEEZZNS1_16scan_by_key_implILNS1_25lookback_scan_determinismE0ELb0ES3_N6thrust23THRUST_200600_302600_NS6detail15normal_iteratorINS9_10device_ptrIxEEEESE_SE_xNS9_4plusIxEE19head_flag_predicatexEE10hipError_tPvRmT2_T3_T4_T5_mT6_T7_P12ihipStream_tbENKUlT_T0_E_clISt17integral_constantIbLb1EESY_EEDaST_SU_EUlST_E_NS1_11comp_targetILNS1_3genE10ELNS1_11target_archE1200ELNS1_3gpuE4ELNS1_3repE0EEENS1_30default_config_static_selectorELNS0_4arch9wavefront6targetE1EEEvT1_
	.p2align	8
	.type	_ZN7rocprim17ROCPRIM_400000_NS6detail17trampoline_kernelINS0_14default_configENS1_27scan_by_key_config_selectorIxxEEZZNS1_16scan_by_key_implILNS1_25lookback_scan_determinismE0ELb0ES3_N6thrust23THRUST_200600_302600_NS6detail15normal_iteratorINS9_10device_ptrIxEEEESE_SE_xNS9_4plusIxEE19head_flag_predicatexEE10hipError_tPvRmT2_T3_T4_T5_mT6_T7_P12ihipStream_tbENKUlT_T0_E_clISt17integral_constantIbLb1EESY_EEDaST_SU_EUlST_E_NS1_11comp_targetILNS1_3genE10ELNS1_11target_archE1200ELNS1_3gpuE4ELNS1_3repE0EEENS1_30default_config_static_selectorELNS0_4arch9wavefront6targetE1EEEvT1_,@function
_ZN7rocprim17ROCPRIM_400000_NS6detail17trampoline_kernelINS0_14default_configENS1_27scan_by_key_config_selectorIxxEEZZNS1_16scan_by_key_implILNS1_25lookback_scan_determinismE0ELb0ES3_N6thrust23THRUST_200600_302600_NS6detail15normal_iteratorINS9_10device_ptrIxEEEESE_SE_xNS9_4plusIxEE19head_flag_predicatexEE10hipError_tPvRmT2_T3_T4_T5_mT6_T7_P12ihipStream_tbENKUlT_T0_E_clISt17integral_constantIbLb1EESY_EEDaST_SU_EUlST_E_NS1_11comp_targetILNS1_3genE10ELNS1_11target_archE1200ELNS1_3gpuE4ELNS1_3repE0EEENS1_30default_config_static_selectorELNS0_4arch9wavefront6targetE1EEEvT1_: ; @_ZN7rocprim17ROCPRIM_400000_NS6detail17trampoline_kernelINS0_14default_configENS1_27scan_by_key_config_selectorIxxEEZZNS1_16scan_by_key_implILNS1_25lookback_scan_determinismE0ELb0ES3_N6thrust23THRUST_200600_302600_NS6detail15normal_iteratorINS9_10device_ptrIxEEEESE_SE_xNS9_4plusIxEE19head_flag_predicatexEE10hipError_tPvRmT2_T3_T4_T5_mT6_T7_P12ihipStream_tbENKUlT_T0_E_clISt17integral_constantIbLb1EESY_EEDaST_SU_EUlST_E_NS1_11comp_targetILNS1_3genE10ELNS1_11target_archE1200ELNS1_3gpuE4ELNS1_3repE0EEENS1_30default_config_static_selectorELNS0_4arch9wavefront6targetE1EEEvT1_
; %bb.0:
	.section	.rodata,"a",@progbits
	.p2align	6, 0x0
	.amdhsa_kernel _ZN7rocprim17ROCPRIM_400000_NS6detail17trampoline_kernelINS0_14default_configENS1_27scan_by_key_config_selectorIxxEEZZNS1_16scan_by_key_implILNS1_25lookback_scan_determinismE0ELb0ES3_N6thrust23THRUST_200600_302600_NS6detail15normal_iteratorINS9_10device_ptrIxEEEESE_SE_xNS9_4plusIxEE19head_flag_predicatexEE10hipError_tPvRmT2_T3_T4_T5_mT6_T7_P12ihipStream_tbENKUlT_T0_E_clISt17integral_constantIbLb1EESY_EEDaST_SU_EUlST_E_NS1_11comp_targetILNS1_3genE10ELNS1_11target_archE1200ELNS1_3gpuE4ELNS1_3repE0EEENS1_30default_config_static_selectorELNS0_4arch9wavefront6targetE1EEEvT1_
		.amdhsa_group_segment_fixed_size 0
		.amdhsa_private_segment_fixed_size 0
		.amdhsa_kernarg_size 136
		.amdhsa_user_sgpr_count 6
		.amdhsa_user_sgpr_private_segment_buffer 1
		.amdhsa_user_sgpr_dispatch_ptr 0
		.amdhsa_user_sgpr_queue_ptr 0
		.amdhsa_user_sgpr_kernarg_segment_ptr 1
		.amdhsa_user_sgpr_dispatch_id 0
		.amdhsa_user_sgpr_flat_scratch_init 0
		.amdhsa_user_sgpr_kernarg_preload_length 0
		.amdhsa_user_sgpr_kernarg_preload_offset 0
		.amdhsa_user_sgpr_private_segment_size 0
		.amdhsa_uses_dynamic_stack 0
		.amdhsa_system_sgpr_private_segment_wavefront_offset 0
		.amdhsa_system_sgpr_workgroup_id_x 1
		.amdhsa_system_sgpr_workgroup_id_y 0
		.amdhsa_system_sgpr_workgroup_id_z 0
		.amdhsa_system_sgpr_workgroup_info 0
		.amdhsa_system_vgpr_workitem_id 0
		.amdhsa_next_free_vgpr 1
		.amdhsa_next_free_sgpr 0
		.amdhsa_accum_offset 4
		.amdhsa_reserve_vcc 0
		.amdhsa_reserve_flat_scratch 0
		.amdhsa_float_round_mode_32 0
		.amdhsa_float_round_mode_16_64 0
		.amdhsa_float_denorm_mode_32 3
		.amdhsa_float_denorm_mode_16_64 3
		.amdhsa_dx10_clamp 1
		.amdhsa_ieee_mode 1
		.amdhsa_fp16_overflow 0
		.amdhsa_tg_split 0
		.amdhsa_exception_fp_ieee_invalid_op 0
		.amdhsa_exception_fp_denorm_src 0
		.amdhsa_exception_fp_ieee_div_zero 0
		.amdhsa_exception_fp_ieee_overflow 0
		.amdhsa_exception_fp_ieee_underflow 0
		.amdhsa_exception_fp_ieee_inexact 0
		.amdhsa_exception_int_div_zero 0
	.end_amdhsa_kernel
	.section	.text._ZN7rocprim17ROCPRIM_400000_NS6detail17trampoline_kernelINS0_14default_configENS1_27scan_by_key_config_selectorIxxEEZZNS1_16scan_by_key_implILNS1_25lookback_scan_determinismE0ELb0ES3_N6thrust23THRUST_200600_302600_NS6detail15normal_iteratorINS9_10device_ptrIxEEEESE_SE_xNS9_4plusIxEE19head_flag_predicatexEE10hipError_tPvRmT2_T3_T4_T5_mT6_T7_P12ihipStream_tbENKUlT_T0_E_clISt17integral_constantIbLb1EESY_EEDaST_SU_EUlST_E_NS1_11comp_targetILNS1_3genE10ELNS1_11target_archE1200ELNS1_3gpuE4ELNS1_3repE0EEENS1_30default_config_static_selectorELNS0_4arch9wavefront6targetE1EEEvT1_,"axG",@progbits,_ZN7rocprim17ROCPRIM_400000_NS6detail17trampoline_kernelINS0_14default_configENS1_27scan_by_key_config_selectorIxxEEZZNS1_16scan_by_key_implILNS1_25lookback_scan_determinismE0ELb0ES3_N6thrust23THRUST_200600_302600_NS6detail15normal_iteratorINS9_10device_ptrIxEEEESE_SE_xNS9_4plusIxEE19head_flag_predicatexEE10hipError_tPvRmT2_T3_T4_T5_mT6_T7_P12ihipStream_tbENKUlT_T0_E_clISt17integral_constantIbLb1EESY_EEDaST_SU_EUlST_E_NS1_11comp_targetILNS1_3genE10ELNS1_11target_archE1200ELNS1_3gpuE4ELNS1_3repE0EEENS1_30default_config_static_selectorELNS0_4arch9wavefront6targetE1EEEvT1_,comdat
.Lfunc_end692:
	.size	_ZN7rocprim17ROCPRIM_400000_NS6detail17trampoline_kernelINS0_14default_configENS1_27scan_by_key_config_selectorIxxEEZZNS1_16scan_by_key_implILNS1_25lookback_scan_determinismE0ELb0ES3_N6thrust23THRUST_200600_302600_NS6detail15normal_iteratorINS9_10device_ptrIxEEEESE_SE_xNS9_4plusIxEE19head_flag_predicatexEE10hipError_tPvRmT2_T3_T4_T5_mT6_T7_P12ihipStream_tbENKUlT_T0_E_clISt17integral_constantIbLb1EESY_EEDaST_SU_EUlST_E_NS1_11comp_targetILNS1_3genE10ELNS1_11target_archE1200ELNS1_3gpuE4ELNS1_3repE0EEENS1_30default_config_static_selectorELNS0_4arch9wavefront6targetE1EEEvT1_, .Lfunc_end692-_ZN7rocprim17ROCPRIM_400000_NS6detail17trampoline_kernelINS0_14default_configENS1_27scan_by_key_config_selectorIxxEEZZNS1_16scan_by_key_implILNS1_25lookback_scan_determinismE0ELb0ES3_N6thrust23THRUST_200600_302600_NS6detail15normal_iteratorINS9_10device_ptrIxEEEESE_SE_xNS9_4plusIxEE19head_flag_predicatexEE10hipError_tPvRmT2_T3_T4_T5_mT6_T7_P12ihipStream_tbENKUlT_T0_E_clISt17integral_constantIbLb1EESY_EEDaST_SU_EUlST_E_NS1_11comp_targetILNS1_3genE10ELNS1_11target_archE1200ELNS1_3gpuE4ELNS1_3repE0EEENS1_30default_config_static_selectorELNS0_4arch9wavefront6targetE1EEEvT1_
                                        ; -- End function
	.section	.AMDGPU.csdata,"",@progbits
; Kernel info:
; codeLenInByte = 0
; NumSgprs: 4
; NumVgprs: 0
; NumAgprs: 0
; TotalNumVgprs: 0
; ScratchSize: 0
; MemoryBound: 0
; FloatMode: 240
; IeeeMode: 1
; LDSByteSize: 0 bytes/workgroup (compile time only)
; SGPRBlocks: 0
; VGPRBlocks: 0
; NumSGPRsForWavesPerEU: 4
; NumVGPRsForWavesPerEU: 1
; AccumOffset: 4
; Occupancy: 8
; WaveLimiterHint : 0
; COMPUTE_PGM_RSRC2:SCRATCH_EN: 0
; COMPUTE_PGM_RSRC2:USER_SGPR: 6
; COMPUTE_PGM_RSRC2:TRAP_HANDLER: 0
; COMPUTE_PGM_RSRC2:TGID_X_EN: 1
; COMPUTE_PGM_RSRC2:TGID_Y_EN: 0
; COMPUTE_PGM_RSRC2:TGID_Z_EN: 0
; COMPUTE_PGM_RSRC2:TIDIG_COMP_CNT: 0
; COMPUTE_PGM_RSRC3_GFX90A:ACCUM_OFFSET: 0
; COMPUTE_PGM_RSRC3_GFX90A:TG_SPLIT: 0
	.section	.text._ZN7rocprim17ROCPRIM_400000_NS6detail17trampoline_kernelINS0_14default_configENS1_27scan_by_key_config_selectorIxxEEZZNS1_16scan_by_key_implILNS1_25lookback_scan_determinismE0ELb0ES3_N6thrust23THRUST_200600_302600_NS6detail15normal_iteratorINS9_10device_ptrIxEEEESE_SE_xNS9_4plusIxEE19head_flag_predicatexEE10hipError_tPvRmT2_T3_T4_T5_mT6_T7_P12ihipStream_tbENKUlT_T0_E_clISt17integral_constantIbLb1EESY_EEDaST_SU_EUlST_E_NS1_11comp_targetILNS1_3genE9ELNS1_11target_archE1100ELNS1_3gpuE3ELNS1_3repE0EEENS1_30default_config_static_selectorELNS0_4arch9wavefront6targetE1EEEvT1_,"axG",@progbits,_ZN7rocprim17ROCPRIM_400000_NS6detail17trampoline_kernelINS0_14default_configENS1_27scan_by_key_config_selectorIxxEEZZNS1_16scan_by_key_implILNS1_25lookback_scan_determinismE0ELb0ES3_N6thrust23THRUST_200600_302600_NS6detail15normal_iteratorINS9_10device_ptrIxEEEESE_SE_xNS9_4plusIxEE19head_flag_predicatexEE10hipError_tPvRmT2_T3_T4_T5_mT6_T7_P12ihipStream_tbENKUlT_T0_E_clISt17integral_constantIbLb1EESY_EEDaST_SU_EUlST_E_NS1_11comp_targetILNS1_3genE9ELNS1_11target_archE1100ELNS1_3gpuE3ELNS1_3repE0EEENS1_30default_config_static_selectorELNS0_4arch9wavefront6targetE1EEEvT1_,comdat
	.protected	_ZN7rocprim17ROCPRIM_400000_NS6detail17trampoline_kernelINS0_14default_configENS1_27scan_by_key_config_selectorIxxEEZZNS1_16scan_by_key_implILNS1_25lookback_scan_determinismE0ELb0ES3_N6thrust23THRUST_200600_302600_NS6detail15normal_iteratorINS9_10device_ptrIxEEEESE_SE_xNS9_4plusIxEE19head_flag_predicatexEE10hipError_tPvRmT2_T3_T4_T5_mT6_T7_P12ihipStream_tbENKUlT_T0_E_clISt17integral_constantIbLb1EESY_EEDaST_SU_EUlST_E_NS1_11comp_targetILNS1_3genE9ELNS1_11target_archE1100ELNS1_3gpuE3ELNS1_3repE0EEENS1_30default_config_static_selectorELNS0_4arch9wavefront6targetE1EEEvT1_ ; -- Begin function _ZN7rocprim17ROCPRIM_400000_NS6detail17trampoline_kernelINS0_14default_configENS1_27scan_by_key_config_selectorIxxEEZZNS1_16scan_by_key_implILNS1_25lookback_scan_determinismE0ELb0ES3_N6thrust23THRUST_200600_302600_NS6detail15normal_iteratorINS9_10device_ptrIxEEEESE_SE_xNS9_4plusIxEE19head_flag_predicatexEE10hipError_tPvRmT2_T3_T4_T5_mT6_T7_P12ihipStream_tbENKUlT_T0_E_clISt17integral_constantIbLb1EESY_EEDaST_SU_EUlST_E_NS1_11comp_targetILNS1_3genE9ELNS1_11target_archE1100ELNS1_3gpuE3ELNS1_3repE0EEENS1_30default_config_static_selectorELNS0_4arch9wavefront6targetE1EEEvT1_
	.globl	_ZN7rocprim17ROCPRIM_400000_NS6detail17trampoline_kernelINS0_14default_configENS1_27scan_by_key_config_selectorIxxEEZZNS1_16scan_by_key_implILNS1_25lookback_scan_determinismE0ELb0ES3_N6thrust23THRUST_200600_302600_NS6detail15normal_iteratorINS9_10device_ptrIxEEEESE_SE_xNS9_4plusIxEE19head_flag_predicatexEE10hipError_tPvRmT2_T3_T4_T5_mT6_T7_P12ihipStream_tbENKUlT_T0_E_clISt17integral_constantIbLb1EESY_EEDaST_SU_EUlST_E_NS1_11comp_targetILNS1_3genE9ELNS1_11target_archE1100ELNS1_3gpuE3ELNS1_3repE0EEENS1_30default_config_static_selectorELNS0_4arch9wavefront6targetE1EEEvT1_
	.p2align	8
	.type	_ZN7rocprim17ROCPRIM_400000_NS6detail17trampoline_kernelINS0_14default_configENS1_27scan_by_key_config_selectorIxxEEZZNS1_16scan_by_key_implILNS1_25lookback_scan_determinismE0ELb0ES3_N6thrust23THRUST_200600_302600_NS6detail15normal_iteratorINS9_10device_ptrIxEEEESE_SE_xNS9_4plusIxEE19head_flag_predicatexEE10hipError_tPvRmT2_T3_T4_T5_mT6_T7_P12ihipStream_tbENKUlT_T0_E_clISt17integral_constantIbLb1EESY_EEDaST_SU_EUlST_E_NS1_11comp_targetILNS1_3genE9ELNS1_11target_archE1100ELNS1_3gpuE3ELNS1_3repE0EEENS1_30default_config_static_selectorELNS0_4arch9wavefront6targetE1EEEvT1_,@function
_ZN7rocprim17ROCPRIM_400000_NS6detail17trampoline_kernelINS0_14default_configENS1_27scan_by_key_config_selectorIxxEEZZNS1_16scan_by_key_implILNS1_25lookback_scan_determinismE0ELb0ES3_N6thrust23THRUST_200600_302600_NS6detail15normal_iteratorINS9_10device_ptrIxEEEESE_SE_xNS9_4plusIxEE19head_flag_predicatexEE10hipError_tPvRmT2_T3_T4_T5_mT6_T7_P12ihipStream_tbENKUlT_T0_E_clISt17integral_constantIbLb1EESY_EEDaST_SU_EUlST_E_NS1_11comp_targetILNS1_3genE9ELNS1_11target_archE1100ELNS1_3gpuE3ELNS1_3repE0EEENS1_30default_config_static_selectorELNS0_4arch9wavefront6targetE1EEEvT1_: ; @_ZN7rocprim17ROCPRIM_400000_NS6detail17trampoline_kernelINS0_14default_configENS1_27scan_by_key_config_selectorIxxEEZZNS1_16scan_by_key_implILNS1_25lookback_scan_determinismE0ELb0ES3_N6thrust23THRUST_200600_302600_NS6detail15normal_iteratorINS9_10device_ptrIxEEEESE_SE_xNS9_4plusIxEE19head_flag_predicatexEE10hipError_tPvRmT2_T3_T4_T5_mT6_T7_P12ihipStream_tbENKUlT_T0_E_clISt17integral_constantIbLb1EESY_EEDaST_SU_EUlST_E_NS1_11comp_targetILNS1_3genE9ELNS1_11target_archE1100ELNS1_3gpuE3ELNS1_3repE0EEENS1_30default_config_static_selectorELNS0_4arch9wavefront6targetE1EEEvT1_
; %bb.0:
	.section	.rodata,"a",@progbits
	.p2align	6, 0x0
	.amdhsa_kernel _ZN7rocprim17ROCPRIM_400000_NS6detail17trampoline_kernelINS0_14default_configENS1_27scan_by_key_config_selectorIxxEEZZNS1_16scan_by_key_implILNS1_25lookback_scan_determinismE0ELb0ES3_N6thrust23THRUST_200600_302600_NS6detail15normal_iteratorINS9_10device_ptrIxEEEESE_SE_xNS9_4plusIxEE19head_flag_predicatexEE10hipError_tPvRmT2_T3_T4_T5_mT6_T7_P12ihipStream_tbENKUlT_T0_E_clISt17integral_constantIbLb1EESY_EEDaST_SU_EUlST_E_NS1_11comp_targetILNS1_3genE9ELNS1_11target_archE1100ELNS1_3gpuE3ELNS1_3repE0EEENS1_30default_config_static_selectorELNS0_4arch9wavefront6targetE1EEEvT1_
		.amdhsa_group_segment_fixed_size 0
		.amdhsa_private_segment_fixed_size 0
		.amdhsa_kernarg_size 136
		.amdhsa_user_sgpr_count 6
		.amdhsa_user_sgpr_private_segment_buffer 1
		.amdhsa_user_sgpr_dispatch_ptr 0
		.amdhsa_user_sgpr_queue_ptr 0
		.amdhsa_user_sgpr_kernarg_segment_ptr 1
		.amdhsa_user_sgpr_dispatch_id 0
		.amdhsa_user_sgpr_flat_scratch_init 0
		.amdhsa_user_sgpr_kernarg_preload_length 0
		.amdhsa_user_sgpr_kernarg_preload_offset 0
		.amdhsa_user_sgpr_private_segment_size 0
		.amdhsa_uses_dynamic_stack 0
		.amdhsa_system_sgpr_private_segment_wavefront_offset 0
		.amdhsa_system_sgpr_workgroup_id_x 1
		.amdhsa_system_sgpr_workgroup_id_y 0
		.amdhsa_system_sgpr_workgroup_id_z 0
		.amdhsa_system_sgpr_workgroup_info 0
		.amdhsa_system_vgpr_workitem_id 0
		.amdhsa_next_free_vgpr 1
		.amdhsa_next_free_sgpr 0
		.amdhsa_accum_offset 4
		.amdhsa_reserve_vcc 0
		.amdhsa_reserve_flat_scratch 0
		.amdhsa_float_round_mode_32 0
		.amdhsa_float_round_mode_16_64 0
		.amdhsa_float_denorm_mode_32 3
		.amdhsa_float_denorm_mode_16_64 3
		.amdhsa_dx10_clamp 1
		.amdhsa_ieee_mode 1
		.amdhsa_fp16_overflow 0
		.amdhsa_tg_split 0
		.amdhsa_exception_fp_ieee_invalid_op 0
		.amdhsa_exception_fp_denorm_src 0
		.amdhsa_exception_fp_ieee_div_zero 0
		.amdhsa_exception_fp_ieee_overflow 0
		.amdhsa_exception_fp_ieee_underflow 0
		.amdhsa_exception_fp_ieee_inexact 0
		.amdhsa_exception_int_div_zero 0
	.end_amdhsa_kernel
	.section	.text._ZN7rocprim17ROCPRIM_400000_NS6detail17trampoline_kernelINS0_14default_configENS1_27scan_by_key_config_selectorIxxEEZZNS1_16scan_by_key_implILNS1_25lookback_scan_determinismE0ELb0ES3_N6thrust23THRUST_200600_302600_NS6detail15normal_iteratorINS9_10device_ptrIxEEEESE_SE_xNS9_4plusIxEE19head_flag_predicatexEE10hipError_tPvRmT2_T3_T4_T5_mT6_T7_P12ihipStream_tbENKUlT_T0_E_clISt17integral_constantIbLb1EESY_EEDaST_SU_EUlST_E_NS1_11comp_targetILNS1_3genE9ELNS1_11target_archE1100ELNS1_3gpuE3ELNS1_3repE0EEENS1_30default_config_static_selectorELNS0_4arch9wavefront6targetE1EEEvT1_,"axG",@progbits,_ZN7rocprim17ROCPRIM_400000_NS6detail17trampoline_kernelINS0_14default_configENS1_27scan_by_key_config_selectorIxxEEZZNS1_16scan_by_key_implILNS1_25lookback_scan_determinismE0ELb0ES3_N6thrust23THRUST_200600_302600_NS6detail15normal_iteratorINS9_10device_ptrIxEEEESE_SE_xNS9_4plusIxEE19head_flag_predicatexEE10hipError_tPvRmT2_T3_T4_T5_mT6_T7_P12ihipStream_tbENKUlT_T0_E_clISt17integral_constantIbLb1EESY_EEDaST_SU_EUlST_E_NS1_11comp_targetILNS1_3genE9ELNS1_11target_archE1100ELNS1_3gpuE3ELNS1_3repE0EEENS1_30default_config_static_selectorELNS0_4arch9wavefront6targetE1EEEvT1_,comdat
.Lfunc_end693:
	.size	_ZN7rocprim17ROCPRIM_400000_NS6detail17trampoline_kernelINS0_14default_configENS1_27scan_by_key_config_selectorIxxEEZZNS1_16scan_by_key_implILNS1_25lookback_scan_determinismE0ELb0ES3_N6thrust23THRUST_200600_302600_NS6detail15normal_iteratorINS9_10device_ptrIxEEEESE_SE_xNS9_4plusIxEE19head_flag_predicatexEE10hipError_tPvRmT2_T3_T4_T5_mT6_T7_P12ihipStream_tbENKUlT_T0_E_clISt17integral_constantIbLb1EESY_EEDaST_SU_EUlST_E_NS1_11comp_targetILNS1_3genE9ELNS1_11target_archE1100ELNS1_3gpuE3ELNS1_3repE0EEENS1_30default_config_static_selectorELNS0_4arch9wavefront6targetE1EEEvT1_, .Lfunc_end693-_ZN7rocprim17ROCPRIM_400000_NS6detail17trampoline_kernelINS0_14default_configENS1_27scan_by_key_config_selectorIxxEEZZNS1_16scan_by_key_implILNS1_25lookback_scan_determinismE0ELb0ES3_N6thrust23THRUST_200600_302600_NS6detail15normal_iteratorINS9_10device_ptrIxEEEESE_SE_xNS9_4plusIxEE19head_flag_predicatexEE10hipError_tPvRmT2_T3_T4_T5_mT6_T7_P12ihipStream_tbENKUlT_T0_E_clISt17integral_constantIbLb1EESY_EEDaST_SU_EUlST_E_NS1_11comp_targetILNS1_3genE9ELNS1_11target_archE1100ELNS1_3gpuE3ELNS1_3repE0EEENS1_30default_config_static_selectorELNS0_4arch9wavefront6targetE1EEEvT1_
                                        ; -- End function
	.section	.AMDGPU.csdata,"",@progbits
; Kernel info:
; codeLenInByte = 0
; NumSgprs: 4
; NumVgprs: 0
; NumAgprs: 0
; TotalNumVgprs: 0
; ScratchSize: 0
; MemoryBound: 0
; FloatMode: 240
; IeeeMode: 1
; LDSByteSize: 0 bytes/workgroup (compile time only)
; SGPRBlocks: 0
; VGPRBlocks: 0
; NumSGPRsForWavesPerEU: 4
; NumVGPRsForWavesPerEU: 1
; AccumOffset: 4
; Occupancy: 8
; WaveLimiterHint : 0
; COMPUTE_PGM_RSRC2:SCRATCH_EN: 0
; COMPUTE_PGM_RSRC2:USER_SGPR: 6
; COMPUTE_PGM_RSRC2:TRAP_HANDLER: 0
; COMPUTE_PGM_RSRC2:TGID_X_EN: 1
; COMPUTE_PGM_RSRC2:TGID_Y_EN: 0
; COMPUTE_PGM_RSRC2:TGID_Z_EN: 0
; COMPUTE_PGM_RSRC2:TIDIG_COMP_CNT: 0
; COMPUTE_PGM_RSRC3_GFX90A:ACCUM_OFFSET: 0
; COMPUTE_PGM_RSRC3_GFX90A:TG_SPLIT: 0
	.section	.text._ZN7rocprim17ROCPRIM_400000_NS6detail17trampoline_kernelINS0_14default_configENS1_27scan_by_key_config_selectorIxxEEZZNS1_16scan_by_key_implILNS1_25lookback_scan_determinismE0ELb0ES3_N6thrust23THRUST_200600_302600_NS6detail15normal_iteratorINS9_10device_ptrIxEEEESE_SE_xNS9_4plusIxEE19head_flag_predicatexEE10hipError_tPvRmT2_T3_T4_T5_mT6_T7_P12ihipStream_tbENKUlT_T0_E_clISt17integral_constantIbLb1EESY_EEDaST_SU_EUlST_E_NS1_11comp_targetILNS1_3genE8ELNS1_11target_archE1030ELNS1_3gpuE2ELNS1_3repE0EEENS1_30default_config_static_selectorELNS0_4arch9wavefront6targetE1EEEvT1_,"axG",@progbits,_ZN7rocprim17ROCPRIM_400000_NS6detail17trampoline_kernelINS0_14default_configENS1_27scan_by_key_config_selectorIxxEEZZNS1_16scan_by_key_implILNS1_25lookback_scan_determinismE0ELb0ES3_N6thrust23THRUST_200600_302600_NS6detail15normal_iteratorINS9_10device_ptrIxEEEESE_SE_xNS9_4plusIxEE19head_flag_predicatexEE10hipError_tPvRmT2_T3_T4_T5_mT6_T7_P12ihipStream_tbENKUlT_T0_E_clISt17integral_constantIbLb1EESY_EEDaST_SU_EUlST_E_NS1_11comp_targetILNS1_3genE8ELNS1_11target_archE1030ELNS1_3gpuE2ELNS1_3repE0EEENS1_30default_config_static_selectorELNS0_4arch9wavefront6targetE1EEEvT1_,comdat
	.protected	_ZN7rocprim17ROCPRIM_400000_NS6detail17trampoline_kernelINS0_14default_configENS1_27scan_by_key_config_selectorIxxEEZZNS1_16scan_by_key_implILNS1_25lookback_scan_determinismE0ELb0ES3_N6thrust23THRUST_200600_302600_NS6detail15normal_iteratorINS9_10device_ptrIxEEEESE_SE_xNS9_4plusIxEE19head_flag_predicatexEE10hipError_tPvRmT2_T3_T4_T5_mT6_T7_P12ihipStream_tbENKUlT_T0_E_clISt17integral_constantIbLb1EESY_EEDaST_SU_EUlST_E_NS1_11comp_targetILNS1_3genE8ELNS1_11target_archE1030ELNS1_3gpuE2ELNS1_3repE0EEENS1_30default_config_static_selectorELNS0_4arch9wavefront6targetE1EEEvT1_ ; -- Begin function _ZN7rocprim17ROCPRIM_400000_NS6detail17trampoline_kernelINS0_14default_configENS1_27scan_by_key_config_selectorIxxEEZZNS1_16scan_by_key_implILNS1_25lookback_scan_determinismE0ELb0ES3_N6thrust23THRUST_200600_302600_NS6detail15normal_iteratorINS9_10device_ptrIxEEEESE_SE_xNS9_4plusIxEE19head_flag_predicatexEE10hipError_tPvRmT2_T3_T4_T5_mT6_T7_P12ihipStream_tbENKUlT_T0_E_clISt17integral_constantIbLb1EESY_EEDaST_SU_EUlST_E_NS1_11comp_targetILNS1_3genE8ELNS1_11target_archE1030ELNS1_3gpuE2ELNS1_3repE0EEENS1_30default_config_static_selectorELNS0_4arch9wavefront6targetE1EEEvT1_
	.globl	_ZN7rocprim17ROCPRIM_400000_NS6detail17trampoline_kernelINS0_14default_configENS1_27scan_by_key_config_selectorIxxEEZZNS1_16scan_by_key_implILNS1_25lookback_scan_determinismE0ELb0ES3_N6thrust23THRUST_200600_302600_NS6detail15normal_iteratorINS9_10device_ptrIxEEEESE_SE_xNS9_4plusIxEE19head_flag_predicatexEE10hipError_tPvRmT2_T3_T4_T5_mT6_T7_P12ihipStream_tbENKUlT_T0_E_clISt17integral_constantIbLb1EESY_EEDaST_SU_EUlST_E_NS1_11comp_targetILNS1_3genE8ELNS1_11target_archE1030ELNS1_3gpuE2ELNS1_3repE0EEENS1_30default_config_static_selectorELNS0_4arch9wavefront6targetE1EEEvT1_
	.p2align	8
	.type	_ZN7rocprim17ROCPRIM_400000_NS6detail17trampoline_kernelINS0_14default_configENS1_27scan_by_key_config_selectorIxxEEZZNS1_16scan_by_key_implILNS1_25lookback_scan_determinismE0ELb0ES3_N6thrust23THRUST_200600_302600_NS6detail15normal_iteratorINS9_10device_ptrIxEEEESE_SE_xNS9_4plusIxEE19head_flag_predicatexEE10hipError_tPvRmT2_T3_T4_T5_mT6_T7_P12ihipStream_tbENKUlT_T0_E_clISt17integral_constantIbLb1EESY_EEDaST_SU_EUlST_E_NS1_11comp_targetILNS1_3genE8ELNS1_11target_archE1030ELNS1_3gpuE2ELNS1_3repE0EEENS1_30default_config_static_selectorELNS0_4arch9wavefront6targetE1EEEvT1_,@function
_ZN7rocprim17ROCPRIM_400000_NS6detail17trampoline_kernelINS0_14default_configENS1_27scan_by_key_config_selectorIxxEEZZNS1_16scan_by_key_implILNS1_25lookback_scan_determinismE0ELb0ES3_N6thrust23THRUST_200600_302600_NS6detail15normal_iteratorINS9_10device_ptrIxEEEESE_SE_xNS9_4plusIxEE19head_flag_predicatexEE10hipError_tPvRmT2_T3_T4_T5_mT6_T7_P12ihipStream_tbENKUlT_T0_E_clISt17integral_constantIbLb1EESY_EEDaST_SU_EUlST_E_NS1_11comp_targetILNS1_3genE8ELNS1_11target_archE1030ELNS1_3gpuE2ELNS1_3repE0EEENS1_30default_config_static_selectorELNS0_4arch9wavefront6targetE1EEEvT1_: ; @_ZN7rocprim17ROCPRIM_400000_NS6detail17trampoline_kernelINS0_14default_configENS1_27scan_by_key_config_selectorIxxEEZZNS1_16scan_by_key_implILNS1_25lookback_scan_determinismE0ELb0ES3_N6thrust23THRUST_200600_302600_NS6detail15normal_iteratorINS9_10device_ptrIxEEEESE_SE_xNS9_4plusIxEE19head_flag_predicatexEE10hipError_tPvRmT2_T3_T4_T5_mT6_T7_P12ihipStream_tbENKUlT_T0_E_clISt17integral_constantIbLb1EESY_EEDaST_SU_EUlST_E_NS1_11comp_targetILNS1_3genE8ELNS1_11target_archE1030ELNS1_3gpuE2ELNS1_3repE0EEENS1_30default_config_static_selectorELNS0_4arch9wavefront6targetE1EEEvT1_
; %bb.0:
	.section	.rodata,"a",@progbits
	.p2align	6, 0x0
	.amdhsa_kernel _ZN7rocprim17ROCPRIM_400000_NS6detail17trampoline_kernelINS0_14default_configENS1_27scan_by_key_config_selectorIxxEEZZNS1_16scan_by_key_implILNS1_25lookback_scan_determinismE0ELb0ES3_N6thrust23THRUST_200600_302600_NS6detail15normal_iteratorINS9_10device_ptrIxEEEESE_SE_xNS9_4plusIxEE19head_flag_predicatexEE10hipError_tPvRmT2_T3_T4_T5_mT6_T7_P12ihipStream_tbENKUlT_T0_E_clISt17integral_constantIbLb1EESY_EEDaST_SU_EUlST_E_NS1_11comp_targetILNS1_3genE8ELNS1_11target_archE1030ELNS1_3gpuE2ELNS1_3repE0EEENS1_30default_config_static_selectorELNS0_4arch9wavefront6targetE1EEEvT1_
		.amdhsa_group_segment_fixed_size 0
		.amdhsa_private_segment_fixed_size 0
		.amdhsa_kernarg_size 136
		.amdhsa_user_sgpr_count 6
		.amdhsa_user_sgpr_private_segment_buffer 1
		.amdhsa_user_sgpr_dispatch_ptr 0
		.amdhsa_user_sgpr_queue_ptr 0
		.amdhsa_user_sgpr_kernarg_segment_ptr 1
		.amdhsa_user_sgpr_dispatch_id 0
		.amdhsa_user_sgpr_flat_scratch_init 0
		.amdhsa_user_sgpr_kernarg_preload_length 0
		.amdhsa_user_sgpr_kernarg_preload_offset 0
		.amdhsa_user_sgpr_private_segment_size 0
		.amdhsa_uses_dynamic_stack 0
		.amdhsa_system_sgpr_private_segment_wavefront_offset 0
		.amdhsa_system_sgpr_workgroup_id_x 1
		.amdhsa_system_sgpr_workgroup_id_y 0
		.amdhsa_system_sgpr_workgroup_id_z 0
		.amdhsa_system_sgpr_workgroup_info 0
		.amdhsa_system_vgpr_workitem_id 0
		.amdhsa_next_free_vgpr 1
		.amdhsa_next_free_sgpr 0
		.amdhsa_accum_offset 4
		.amdhsa_reserve_vcc 0
		.amdhsa_reserve_flat_scratch 0
		.amdhsa_float_round_mode_32 0
		.amdhsa_float_round_mode_16_64 0
		.amdhsa_float_denorm_mode_32 3
		.amdhsa_float_denorm_mode_16_64 3
		.amdhsa_dx10_clamp 1
		.amdhsa_ieee_mode 1
		.amdhsa_fp16_overflow 0
		.amdhsa_tg_split 0
		.amdhsa_exception_fp_ieee_invalid_op 0
		.amdhsa_exception_fp_denorm_src 0
		.amdhsa_exception_fp_ieee_div_zero 0
		.amdhsa_exception_fp_ieee_overflow 0
		.amdhsa_exception_fp_ieee_underflow 0
		.amdhsa_exception_fp_ieee_inexact 0
		.amdhsa_exception_int_div_zero 0
	.end_amdhsa_kernel
	.section	.text._ZN7rocprim17ROCPRIM_400000_NS6detail17trampoline_kernelINS0_14default_configENS1_27scan_by_key_config_selectorIxxEEZZNS1_16scan_by_key_implILNS1_25lookback_scan_determinismE0ELb0ES3_N6thrust23THRUST_200600_302600_NS6detail15normal_iteratorINS9_10device_ptrIxEEEESE_SE_xNS9_4plusIxEE19head_flag_predicatexEE10hipError_tPvRmT2_T3_T4_T5_mT6_T7_P12ihipStream_tbENKUlT_T0_E_clISt17integral_constantIbLb1EESY_EEDaST_SU_EUlST_E_NS1_11comp_targetILNS1_3genE8ELNS1_11target_archE1030ELNS1_3gpuE2ELNS1_3repE0EEENS1_30default_config_static_selectorELNS0_4arch9wavefront6targetE1EEEvT1_,"axG",@progbits,_ZN7rocprim17ROCPRIM_400000_NS6detail17trampoline_kernelINS0_14default_configENS1_27scan_by_key_config_selectorIxxEEZZNS1_16scan_by_key_implILNS1_25lookback_scan_determinismE0ELb0ES3_N6thrust23THRUST_200600_302600_NS6detail15normal_iteratorINS9_10device_ptrIxEEEESE_SE_xNS9_4plusIxEE19head_flag_predicatexEE10hipError_tPvRmT2_T3_T4_T5_mT6_T7_P12ihipStream_tbENKUlT_T0_E_clISt17integral_constantIbLb1EESY_EEDaST_SU_EUlST_E_NS1_11comp_targetILNS1_3genE8ELNS1_11target_archE1030ELNS1_3gpuE2ELNS1_3repE0EEENS1_30default_config_static_selectorELNS0_4arch9wavefront6targetE1EEEvT1_,comdat
.Lfunc_end694:
	.size	_ZN7rocprim17ROCPRIM_400000_NS6detail17trampoline_kernelINS0_14default_configENS1_27scan_by_key_config_selectorIxxEEZZNS1_16scan_by_key_implILNS1_25lookback_scan_determinismE0ELb0ES3_N6thrust23THRUST_200600_302600_NS6detail15normal_iteratorINS9_10device_ptrIxEEEESE_SE_xNS9_4plusIxEE19head_flag_predicatexEE10hipError_tPvRmT2_T3_T4_T5_mT6_T7_P12ihipStream_tbENKUlT_T0_E_clISt17integral_constantIbLb1EESY_EEDaST_SU_EUlST_E_NS1_11comp_targetILNS1_3genE8ELNS1_11target_archE1030ELNS1_3gpuE2ELNS1_3repE0EEENS1_30default_config_static_selectorELNS0_4arch9wavefront6targetE1EEEvT1_, .Lfunc_end694-_ZN7rocprim17ROCPRIM_400000_NS6detail17trampoline_kernelINS0_14default_configENS1_27scan_by_key_config_selectorIxxEEZZNS1_16scan_by_key_implILNS1_25lookback_scan_determinismE0ELb0ES3_N6thrust23THRUST_200600_302600_NS6detail15normal_iteratorINS9_10device_ptrIxEEEESE_SE_xNS9_4plusIxEE19head_flag_predicatexEE10hipError_tPvRmT2_T3_T4_T5_mT6_T7_P12ihipStream_tbENKUlT_T0_E_clISt17integral_constantIbLb1EESY_EEDaST_SU_EUlST_E_NS1_11comp_targetILNS1_3genE8ELNS1_11target_archE1030ELNS1_3gpuE2ELNS1_3repE0EEENS1_30default_config_static_selectorELNS0_4arch9wavefront6targetE1EEEvT1_
                                        ; -- End function
	.section	.AMDGPU.csdata,"",@progbits
; Kernel info:
; codeLenInByte = 0
; NumSgprs: 4
; NumVgprs: 0
; NumAgprs: 0
; TotalNumVgprs: 0
; ScratchSize: 0
; MemoryBound: 0
; FloatMode: 240
; IeeeMode: 1
; LDSByteSize: 0 bytes/workgroup (compile time only)
; SGPRBlocks: 0
; VGPRBlocks: 0
; NumSGPRsForWavesPerEU: 4
; NumVGPRsForWavesPerEU: 1
; AccumOffset: 4
; Occupancy: 8
; WaveLimiterHint : 0
; COMPUTE_PGM_RSRC2:SCRATCH_EN: 0
; COMPUTE_PGM_RSRC2:USER_SGPR: 6
; COMPUTE_PGM_RSRC2:TRAP_HANDLER: 0
; COMPUTE_PGM_RSRC2:TGID_X_EN: 1
; COMPUTE_PGM_RSRC2:TGID_Y_EN: 0
; COMPUTE_PGM_RSRC2:TGID_Z_EN: 0
; COMPUTE_PGM_RSRC2:TIDIG_COMP_CNT: 0
; COMPUTE_PGM_RSRC3_GFX90A:ACCUM_OFFSET: 0
; COMPUTE_PGM_RSRC3_GFX90A:TG_SPLIT: 0
	.section	.text._ZN7rocprim17ROCPRIM_400000_NS6detail17trampoline_kernelINS0_14default_configENS1_27scan_by_key_config_selectorIxxEEZZNS1_16scan_by_key_implILNS1_25lookback_scan_determinismE0ELb0ES3_N6thrust23THRUST_200600_302600_NS6detail15normal_iteratorINS9_10device_ptrIxEEEESE_SE_xNS9_4plusIxEE19head_flag_predicatexEE10hipError_tPvRmT2_T3_T4_T5_mT6_T7_P12ihipStream_tbENKUlT_T0_E_clISt17integral_constantIbLb1EESX_IbLb0EEEEDaST_SU_EUlST_E_NS1_11comp_targetILNS1_3genE0ELNS1_11target_archE4294967295ELNS1_3gpuE0ELNS1_3repE0EEENS1_30default_config_static_selectorELNS0_4arch9wavefront6targetE1EEEvT1_,"axG",@progbits,_ZN7rocprim17ROCPRIM_400000_NS6detail17trampoline_kernelINS0_14default_configENS1_27scan_by_key_config_selectorIxxEEZZNS1_16scan_by_key_implILNS1_25lookback_scan_determinismE0ELb0ES3_N6thrust23THRUST_200600_302600_NS6detail15normal_iteratorINS9_10device_ptrIxEEEESE_SE_xNS9_4plusIxEE19head_flag_predicatexEE10hipError_tPvRmT2_T3_T4_T5_mT6_T7_P12ihipStream_tbENKUlT_T0_E_clISt17integral_constantIbLb1EESX_IbLb0EEEEDaST_SU_EUlST_E_NS1_11comp_targetILNS1_3genE0ELNS1_11target_archE4294967295ELNS1_3gpuE0ELNS1_3repE0EEENS1_30default_config_static_selectorELNS0_4arch9wavefront6targetE1EEEvT1_,comdat
	.protected	_ZN7rocprim17ROCPRIM_400000_NS6detail17trampoline_kernelINS0_14default_configENS1_27scan_by_key_config_selectorIxxEEZZNS1_16scan_by_key_implILNS1_25lookback_scan_determinismE0ELb0ES3_N6thrust23THRUST_200600_302600_NS6detail15normal_iteratorINS9_10device_ptrIxEEEESE_SE_xNS9_4plusIxEE19head_flag_predicatexEE10hipError_tPvRmT2_T3_T4_T5_mT6_T7_P12ihipStream_tbENKUlT_T0_E_clISt17integral_constantIbLb1EESX_IbLb0EEEEDaST_SU_EUlST_E_NS1_11comp_targetILNS1_3genE0ELNS1_11target_archE4294967295ELNS1_3gpuE0ELNS1_3repE0EEENS1_30default_config_static_selectorELNS0_4arch9wavefront6targetE1EEEvT1_ ; -- Begin function _ZN7rocprim17ROCPRIM_400000_NS6detail17trampoline_kernelINS0_14default_configENS1_27scan_by_key_config_selectorIxxEEZZNS1_16scan_by_key_implILNS1_25lookback_scan_determinismE0ELb0ES3_N6thrust23THRUST_200600_302600_NS6detail15normal_iteratorINS9_10device_ptrIxEEEESE_SE_xNS9_4plusIxEE19head_flag_predicatexEE10hipError_tPvRmT2_T3_T4_T5_mT6_T7_P12ihipStream_tbENKUlT_T0_E_clISt17integral_constantIbLb1EESX_IbLb0EEEEDaST_SU_EUlST_E_NS1_11comp_targetILNS1_3genE0ELNS1_11target_archE4294967295ELNS1_3gpuE0ELNS1_3repE0EEENS1_30default_config_static_selectorELNS0_4arch9wavefront6targetE1EEEvT1_
	.globl	_ZN7rocprim17ROCPRIM_400000_NS6detail17trampoline_kernelINS0_14default_configENS1_27scan_by_key_config_selectorIxxEEZZNS1_16scan_by_key_implILNS1_25lookback_scan_determinismE0ELb0ES3_N6thrust23THRUST_200600_302600_NS6detail15normal_iteratorINS9_10device_ptrIxEEEESE_SE_xNS9_4plusIxEE19head_flag_predicatexEE10hipError_tPvRmT2_T3_T4_T5_mT6_T7_P12ihipStream_tbENKUlT_T0_E_clISt17integral_constantIbLb1EESX_IbLb0EEEEDaST_SU_EUlST_E_NS1_11comp_targetILNS1_3genE0ELNS1_11target_archE4294967295ELNS1_3gpuE0ELNS1_3repE0EEENS1_30default_config_static_selectorELNS0_4arch9wavefront6targetE1EEEvT1_
	.p2align	8
	.type	_ZN7rocprim17ROCPRIM_400000_NS6detail17trampoline_kernelINS0_14default_configENS1_27scan_by_key_config_selectorIxxEEZZNS1_16scan_by_key_implILNS1_25lookback_scan_determinismE0ELb0ES3_N6thrust23THRUST_200600_302600_NS6detail15normal_iteratorINS9_10device_ptrIxEEEESE_SE_xNS9_4plusIxEE19head_flag_predicatexEE10hipError_tPvRmT2_T3_T4_T5_mT6_T7_P12ihipStream_tbENKUlT_T0_E_clISt17integral_constantIbLb1EESX_IbLb0EEEEDaST_SU_EUlST_E_NS1_11comp_targetILNS1_3genE0ELNS1_11target_archE4294967295ELNS1_3gpuE0ELNS1_3repE0EEENS1_30default_config_static_selectorELNS0_4arch9wavefront6targetE1EEEvT1_,@function
_ZN7rocprim17ROCPRIM_400000_NS6detail17trampoline_kernelINS0_14default_configENS1_27scan_by_key_config_selectorIxxEEZZNS1_16scan_by_key_implILNS1_25lookback_scan_determinismE0ELb0ES3_N6thrust23THRUST_200600_302600_NS6detail15normal_iteratorINS9_10device_ptrIxEEEESE_SE_xNS9_4plusIxEE19head_flag_predicatexEE10hipError_tPvRmT2_T3_T4_T5_mT6_T7_P12ihipStream_tbENKUlT_T0_E_clISt17integral_constantIbLb1EESX_IbLb0EEEEDaST_SU_EUlST_E_NS1_11comp_targetILNS1_3genE0ELNS1_11target_archE4294967295ELNS1_3gpuE0ELNS1_3repE0EEENS1_30default_config_static_selectorELNS0_4arch9wavefront6targetE1EEEvT1_: ; @_ZN7rocprim17ROCPRIM_400000_NS6detail17trampoline_kernelINS0_14default_configENS1_27scan_by_key_config_selectorIxxEEZZNS1_16scan_by_key_implILNS1_25lookback_scan_determinismE0ELb0ES3_N6thrust23THRUST_200600_302600_NS6detail15normal_iteratorINS9_10device_ptrIxEEEESE_SE_xNS9_4plusIxEE19head_flag_predicatexEE10hipError_tPvRmT2_T3_T4_T5_mT6_T7_P12ihipStream_tbENKUlT_T0_E_clISt17integral_constantIbLb1EESX_IbLb0EEEEDaST_SU_EUlST_E_NS1_11comp_targetILNS1_3genE0ELNS1_11target_archE4294967295ELNS1_3gpuE0ELNS1_3repE0EEENS1_30default_config_static_selectorELNS0_4arch9wavefront6targetE1EEEvT1_
; %bb.0:
	.section	.rodata,"a",@progbits
	.p2align	6, 0x0
	.amdhsa_kernel _ZN7rocprim17ROCPRIM_400000_NS6detail17trampoline_kernelINS0_14default_configENS1_27scan_by_key_config_selectorIxxEEZZNS1_16scan_by_key_implILNS1_25lookback_scan_determinismE0ELb0ES3_N6thrust23THRUST_200600_302600_NS6detail15normal_iteratorINS9_10device_ptrIxEEEESE_SE_xNS9_4plusIxEE19head_flag_predicatexEE10hipError_tPvRmT2_T3_T4_T5_mT6_T7_P12ihipStream_tbENKUlT_T0_E_clISt17integral_constantIbLb1EESX_IbLb0EEEEDaST_SU_EUlST_E_NS1_11comp_targetILNS1_3genE0ELNS1_11target_archE4294967295ELNS1_3gpuE0ELNS1_3repE0EEENS1_30default_config_static_selectorELNS0_4arch9wavefront6targetE1EEEvT1_
		.amdhsa_group_segment_fixed_size 0
		.amdhsa_private_segment_fixed_size 0
		.amdhsa_kernarg_size 136
		.amdhsa_user_sgpr_count 6
		.amdhsa_user_sgpr_private_segment_buffer 1
		.amdhsa_user_sgpr_dispatch_ptr 0
		.amdhsa_user_sgpr_queue_ptr 0
		.amdhsa_user_sgpr_kernarg_segment_ptr 1
		.amdhsa_user_sgpr_dispatch_id 0
		.amdhsa_user_sgpr_flat_scratch_init 0
		.amdhsa_user_sgpr_kernarg_preload_length 0
		.amdhsa_user_sgpr_kernarg_preload_offset 0
		.amdhsa_user_sgpr_private_segment_size 0
		.amdhsa_uses_dynamic_stack 0
		.amdhsa_system_sgpr_private_segment_wavefront_offset 0
		.amdhsa_system_sgpr_workgroup_id_x 1
		.amdhsa_system_sgpr_workgroup_id_y 0
		.amdhsa_system_sgpr_workgroup_id_z 0
		.amdhsa_system_sgpr_workgroup_info 0
		.amdhsa_system_vgpr_workitem_id 0
		.amdhsa_next_free_vgpr 1
		.amdhsa_next_free_sgpr 0
		.amdhsa_accum_offset 4
		.amdhsa_reserve_vcc 0
		.amdhsa_reserve_flat_scratch 0
		.amdhsa_float_round_mode_32 0
		.amdhsa_float_round_mode_16_64 0
		.amdhsa_float_denorm_mode_32 3
		.amdhsa_float_denorm_mode_16_64 3
		.amdhsa_dx10_clamp 1
		.amdhsa_ieee_mode 1
		.amdhsa_fp16_overflow 0
		.amdhsa_tg_split 0
		.amdhsa_exception_fp_ieee_invalid_op 0
		.amdhsa_exception_fp_denorm_src 0
		.amdhsa_exception_fp_ieee_div_zero 0
		.amdhsa_exception_fp_ieee_overflow 0
		.amdhsa_exception_fp_ieee_underflow 0
		.amdhsa_exception_fp_ieee_inexact 0
		.amdhsa_exception_int_div_zero 0
	.end_amdhsa_kernel
	.section	.text._ZN7rocprim17ROCPRIM_400000_NS6detail17trampoline_kernelINS0_14default_configENS1_27scan_by_key_config_selectorIxxEEZZNS1_16scan_by_key_implILNS1_25lookback_scan_determinismE0ELb0ES3_N6thrust23THRUST_200600_302600_NS6detail15normal_iteratorINS9_10device_ptrIxEEEESE_SE_xNS9_4plusIxEE19head_flag_predicatexEE10hipError_tPvRmT2_T3_T4_T5_mT6_T7_P12ihipStream_tbENKUlT_T0_E_clISt17integral_constantIbLb1EESX_IbLb0EEEEDaST_SU_EUlST_E_NS1_11comp_targetILNS1_3genE0ELNS1_11target_archE4294967295ELNS1_3gpuE0ELNS1_3repE0EEENS1_30default_config_static_selectorELNS0_4arch9wavefront6targetE1EEEvT1_,"axG",@progbits,_ZN7rocprim17ROCPRIM_400000_NS6detail17trampoline_kernelINS0_14default_configENS1_27scan_by_key_config_selectorIxxEEZZNS1_16scan_by_key_implILNS1_25lookback_scan_determinismE0ELb0ES3_N6thrust23THRUST_200600_302600_NS6detail15normal_iteratorINS9_10device_ptrIxEEEESE_SE_xNS9_4plusIxEE19head_flag_predicatexEE10hipError_tPvRmT2_T3_T4_T5_mT6_T7_P12ihipStream_tbENKUlT_T0_E_clISt17integral_constantIbLb1EESX_IbLb0EEEEDaST_SU_EUlST_E_NS1_11comp_targetILNS1_3genE0ELNS1_11target_archE4294967295ELNS1_3gpuE0ELNS1_3repE0EEENS1_30default_config_static_selectorELNS0_4arch9wavefront6targetE1EEEvT1_,comdat
.Lfunc_end695:
	.size	_ZN7rocprim17ROCPRIM_400000_NS6detail17trampoline_kernelINS0_14default_configENS1_27scan_by_key_config_selectorIxxEEZZNS1_16scan_by_key_implILNS1_25lookback_scan_determinismE0ELb0ES3_N6thrust23THRUST_200600_302600_NS6detail15normal_iteratorINS9_10device_ptrIxEEEESE_SE_xNS9_4plusIxEE19head_flag_predicatexEE10hipError_tPvRmT2_T3_T4_T5_mT6_T7_P12ihipStream_tbENKUlT_T0_E_clISt17integral_constantIbLb1EESX_IbLb0EEEEDaST_SU_EUlST_E_NS1_11comp_targetILNS1_3genE0ELNS1_11target_archE4294967295ELNS1_3gpuE0ELNS1_3repE0EEENS1_30default_config_static_selectorELNS0_4arch9wavefront6targetE1EEEvT1_, .Lfunc_end695-_ZN7rocprim17ROCPRIM_400000_NS6detail17trampoline_kernelINS0_14default_configENS1_27scan_by_key_config_selectorIxxEEZZNS1_16scan_by_key_implILNS1_25lookback_scan_determinismE0ELb0ES3_N6thrust23THRUST_200600_302600_NS6detail15normal_iteratorINS9_10device_ptrIxEEEESE_SE_xNS9_4plusIxEE19head_flag_predicatexEE10hipError_tPvRmT2_T3_T4_T5_mT6_T7_P12ihipStream_tbENKUlT_T0_E_clISt17integral_constantIbLb1EESX_IbLb0EEEEDaST_SU_EUlST_E_NS1_11comp_targetILNS1_3genE0ELNS1_11target_archE4294967295ELNS1_3gpuE0ELNS1_3repE0EEENS1_30default_config_static_selectorELNS0_4arch9wavefront6targetE1EEEvT1_
                                        ; -- End function
	.section	.AMDGPU.csdata,"",@progbits
; Kernel info:
; codeLenInByte = 0
; NumSgprs: 4
; NumVgprs: 0
; NumAgprs: 0
; TotalNumVgprs: 0
; ScratchSize: 0
; MemoryBound: 0
; FloatMode: 240
; IeeeMode: 1
; LDSByteSize: 0 bytes/workgroup (compile time only)
; SGPRBlocks: 0
; VGPRBlocks: 0
; NumSGPRsForWavesPerEU: 4
; NumVGPRsForWavesPerEU: 1
; AccumOffset: 4
; Occupancy: 8
; WaveLimiterHint : 0
; COMPUTE_PGM_RSRC2:SCRATCH_EN: 0
; COMPUTE_PGM_RSRC2:USER_SGPR: 6
; COMPUTE_PGM_RSRC2:TRAP_HANDLER: 0
; COMPUTE_PGM_RSRC2:TGID_X_EN: 1
; COMPUTE_PGM_RSRC2:TGID_Y_EN: 0
; COMPUTE_PGM_RSRC2:TGID_Z_EN: 0
; COMPUTE_PGM_RSRC2:TIDIG_COMP_CNT: 0
; COMPUTE_PGM_RSRC3_GFX90A:ACCUM_OFFSET: 0
; COMPUTE_PGM_RSRC3_GFX90A:TG_SPLIT: 0
	.section	.text._ZN7rocprim17ROCPRIM_400000_NS6detail17trampoline_kernelINS0_14default_configENS1_27scan_by_key_config_selectorIxxEEZZNS1_16scan_by_key_implILNS1_25lookback_scan_determinismE0ELb0ES3_N6thrust23THRUST_200600_302600_NS6detail15normal_iteratorINS9_10device_ptrIxEEEESE_SE_xNS9_4plusIxEE19head_flag_predicatexEE10hipError_tPvRmT2_T3_T4_T5_mT6_T7_P12ihipStream_tbENKUlT_T0_E_clISt17integral_constantIbLb1EESX_IbLb0EEEEDaST_SU_EUlST_E_NS1_11comp_targetILNS1_3genE10ELNS1_11target_archE1201ELNS1_3gpuE5ELNS1_3repE0EEENS1_30default_config_static_selectorELNS0_4arch9wavefront6targetE1EEEvT1_,"axG",@progbits,_ZN7rocprim17ROCPRIM_400000_NS6detail17trampoline_kernelINS0_14default_configENS1_27scan_by_key_config_selectorIxxEEZZNS1_16scan_by_key_implILNS1_25lookback_scan_determinismE0ELb0ES3_N6thrust23THRUST_200600_302600_NS6detail15normal_iteratorINS9_10device_ptrIxEEEESE_SE_xNS9_4plusIxEE19head_flag_predicatexEE10hipError_tPvRmT2_T3_T4_T5_mT6_T7_P12ihipStream_tbENKUlT_T0_E_clISt17integral_constantIbLb1EESX_IbLb0EEEEDaST_SU_EUlST_E_NS1_11comp_targetILNS1_3genE10ELNS1_11target_archE1201ELNS1_3gpuE5ELNS1_3repE0EEENS1_30default_config_static_selectorELNS0_4arch9wavefront6targetE1EEEvT1_,comdat
	.protected	_ZN7rocprim17ROCPRIM_400000_NS6detail17trampoline_kernelINS0_14default_configENS1_27scan_by_key_config_selectorIxxEEZZNS1_16scan_by_key_implILNS1_25lookback_scan_determinismE0ELb0ES3_N6thrust23THRUST_200600_302600_NS6detail15normal_iteratorINS9_10device_ptrIxEEEESE_SE_xNS9_4plusIxEE19head_flag_predicatexEE10hipError_tPvRmT2_T3_T4_T5_mT6_T7_P12ihipStream_tbENKUlT_T0_E_clISt17integral_constantIbLb1EESX_IbLb0EEEEDaST_SU_EUlST_E_NS1_11comp_targetILNS1_3genE10ELNS1_11target_archE1201ELNS1_3gpuE5ELNS1_3repE0EEENS1_30default_config_static_selectorELNS0_4arch9wavefront6targetE1EEEvT1_ ; -- Begin function _ZN7rocprim17ROCPRIM_400000_NS6detail17trampoline_kernelINS0_14default_configENS1_27scan_by_key_config_selectorIxxEEZZNS1_16scan_by_key_implILNS1_25lookback_scan_determinismE0ELb0ES3_N6thrust23THRUST_200600_302600_NS6detail15normal_iteratorINS9_10device_ptrIxEEEESE_SE_xNS9_4plusIxEE19head_flag_predicatexEE10hipError_tPvRmT2_T3_T4_T5_mT6_T7_P12ihipStream_tbENKUlT_T0_E_clISt17integral_constantIbLb1EESX_IbLb0EEEEDaST_SU_EUlST_E_NS1_11comp_targetILNS1_3genE10ELNS1_11target_archE1201ELNS1_3gpuE5ELNS1_3repE0EEENS1_30default_config_static_selectorELNS0_4arch9wavefront6targetE1EEEvT1_
	.globl	_ZN7rocprim17ROCPRIM_400000_NS6detail17trampoline_kernelINS0_14default_configENS1_27scan_by_key_config_selectorIxxEEZZNS1_16scan_by_key_implILNS1_25lookback_scan_determinismE0ELb0ES3_N6thrust23THRUST_200600_302600_NS6detail15normal_iteratorINS9_10device_ptrIxEEEESE_SE_xNS9_4plusIxEE19head_flag_predicatexEE10hipError_tPvRmT2_T3_T4_T5_mT6_T7_P12ihipStream_tbENKUlT_T0_E_clISt17integral_constantIbLb1EESX_IbLb0EEEEDaST_SU_EUlST_E_NS1_11comp_targetILNS1_3genE10ELNS1_11target_archE1201ELNS1_3gpuE5ELNS1_3repE0EEENS1_30default_config_static_selectorELNS0_4arch9wavefront6targetE1EEEvT1_
	.p2align	8
	.type	_ZN7rocprim17ROCPRIM_400000_NS6detail17trampoline_kernelINS0_14default_configENS1_27scan_by_key_config_selectorIxxEEZZNS1_16scan_by_key_implILNS1_25lookback_scan_determinismE0ELb0ES3_N6thrust23THRUST_200600_302600_NS6detail15normal_iteratorINS9_10device_ptrIxEEEESE_SE_xNS9_4plusIxEE19head_flag_predicatexEE10hipError_tPvRmT2_T3_T4_T5_mT6_T7_P12ihipStream_tbENKUlT_T0_E_clISt17integral_constantIbLb1EESX_IbLb0EEEEDaST_SU_EUlST_E_NS1_11comp_targetILNS1_3genE10ELNS1_11target_archE1201ELNS1_3gpuE5ELNS1_3repE0EEENS1_30default_config_static_selectorELNS0_4arch9wavefront6targetE1EEEvT1_,@function
_ZN7rocprim17ROCPRIM_400000_NS6detail17trampoline_kernelINS0_14default_configENS1_27scan_by_key_config_selectorIxxEEZZNS1_16scan_by_key_implILNS1_25lookback_scan_determinismE0ELb0ES3_N6thrust23THRUST_200600_302600_NS6detail15normal_iteratorINS9_10device_ptrIxEEEESE_SE_xNS9_4plusIxEE19head_flag_predicatexEE10hipError_tPvRmT2_T3_T4_T5_mT6_T7_P12ihipStream_tbENKUlT_T0_E_clISt17integral_constantIbLb1EESX_IbLb0EEEEDaST_SU_EUlST_E_NS1_11comp_targetILNS1_3genE10ELNS1_11target_archE1201ELNS1_3gpuE5ELNS1_3repE0EEENS1_30default_config_static_selectorELNS0_4arch9wavefront6targetE1EEEvT1_: ; @_ZN7rocprim17ROCPRIM_400000_NS6detail17trampoline_kernelINS0_14default_configENS1_27scan_by_key_config_selectorIxxEEZZNS1_16scan_by_key_implILNS1_25lookback_scan_determinismE0ELb0ES3_N6thrust23THRUST_200600_302600_NS6detail15normal_iteratorINS9_10device_ptrIxEEEESE_SE_xNS9_4plusIxEE19head_flag_predicatexEE10hipError_tPvRmT2_T3_T4_T5_mT6_T7_P12ihipStream_tbENKUlT_T0_E_clISt17integral_constantIbLb1EESX_IbLb0EEEEDaST_SU_EUlST_E_NS1_11comp_targetILNS1_3genE10ELNS1_11target_archE1201ELNS1_3gpuE5ELNS1_3repE0EEENS1_30default_config_static_selectorELNS0_4arch9wavefront6targetE1EEEvT1_
; %bb.0:
	.section	.rodata,"a",@progbits
	.p2align	6, 0x0
	.amdhsa_kernel _ZN7rocprim17ROCPRIM_400000_NS6detail17trampoline_kernelINS0_14default_configENS1_27scan_by_key_config_selectorIxxEEZZNS1_16scan_by_key_implILNS1_25lookback_scan_determinismE0ELb0ES3_N6thrust23THRUST_200600_302600_NS6detail15normal_iteratorINS9_10device_ptrIxEEEESE_SE_xNS9_4plusIxEE19head_flag_predicatexEE10hipError_tPvRmT2_T3_T4_T5_mT6_T7_P12ihipStream_tbENKUlT_T0_E_clISt17integral_constantIbLb1EESX_IbLb0EEEEDaST_SU_EUlST_E_NS1_11comp_targetILNS1_3genE10ELNS1_11target_archE1201ELNS1_3gpuE5ELNS1_3repE0EEENS1_30default_config_static_selectorELNS0_4arch9wavefront6targetE1EEEvT1_
		.amdhsa_group_segment_fixed_size 0
		.amdhsa_private_segment_fixed_size 0
		.amdhsa_kernarg_size 136
		.amdhsa_user_sgpr_count 6
		.amdhsa_user_sgpr_private_segment_buffer 1
		.amdhsa_user_sgpr_dispatch_ptr 0
		.amdhsa_user_sgpr_queue_ptr 0
		.amdhsa_user_sgpr_kernarg_segment_ptr 1
		.amdhsa_user_sgpr_dispatch_id 0
		.amdhsa_user_sgpr_flat_scratch_init 0
		.amdhsa_user_sgpr_kernarg_preload_length 0
		.amdhsa_user_sgpr_kernarg_preload_offset 0
		.amdhsa_user_sgpr_private_segment_size 0
		.amdhsa_uses_dynamic_stack 0
		.amdhsa_system_sgpr_private_segment_wavefront_offset 0
		.amdhsa_system_sgpr_workgroup_id_x 1
		.amdhsa_system_sgpr_workgroup_id_y 0
		.amdhsa_system_sgpr_workgroup_id_z 0
		.amdhsa_system_sgpr_workgroup_info 0
		.amdhsa_system_vgpr_workitem_id 0
		.amdhsa_next_free_vgpr 1
		.amdhsa_next_free_sgpr 0
		.amdhsa_accum_offset 4
		.amdhsa_reserve_vcc 0
		.amdhsa_reserve_flat_scratch 0
		.amdhsa_float_round_mode_32 0
		.amdhsa_float_round_mode_16_64 0
		.amdhsa_float_denorm_mode_32 3
		.amdhsa_float_denorm_mode_16_64 3
		.amdhsa_dx10_clamp 1
		.amdhsa_ieee_mode 1
		.amdhsa_fp16_overflow 0
		.amdhsa_tg_split 0
		.amdhsa_exception_fp_ieee_invalid_op 0
		.amdhsa_exception_fp_denorm_src 0
		.amdhsa_exception_fp_ieee_div_zero 0
		.amdhsa_exception_fp_ieee_overflow 0
		.amdhsa_exception_fp_ieee_underflow 0
		.amdhsa_exception_fp_ieee_inexact 0
		.amdhsa_exception_int_div_zero 0
	.end_amdhsa_kernel
	.section	.text._ZN7rocprim17ROCPRIM_400000_NS6detail17trampoline_kernelINS0_14default_configENS1_27scan_by_key_config_selectorIxxEEZZNS1_16scan_by_key_implILNS1_25lookback_scan_determinismE0ELb0ES3_N6thrust23THRUST_200600_302600_NS6detail15normal_iteratorINS9_10device_ptrIxEEEESE_SE_xNS9_4plusIxEE19head_flag_predicatexEE10hipError_tPvRmT2_T3_T4_T5_mT6_T7_P12ihipStream_tbENKUlT_T0_E_clISt17integral_constantIbLb1EESX_IbLb0EEEEDaST_SU_EUlST_E_NS1_11comp_targetILNS1_3genE10ELNS1_11target_archE1201ELNS1_3gpuE5ELNS1_3repE0EEENS1_30default_config_static_selectorELNS0_4arch9wavefront6targetE1EEEvT1_,"axG",@progbits,_ZN7rocprim17ROCPRIM_400000_NS6detail17trampoline_kernelINS0_14default_configENS1_27scan_by_key_config_selectorIxxEEZZNS1_16scan_by_key_implILNS1_25lookback_scan_determinismE0ELb0ES3_N6thrust23THRUST_200600_302600_NS6detail15normal_iteratorINS9_10device_ptrIxEEEESE_SE_xNS9_4plusIxEE19head_flag_predicatexEE10hipError_tPvRmT2_T3_T4_T5_mT6_T7_P12ihipStream_tbENKUlT_T0_E_clISt17integral_constantIbLb1EESX_IbLb0EEEEDaST_SU_EUlST_E_NS1_11comp_targetILNS1_3genE10ELNS1_11target_archE1201ELNS1_3gpuE5ELNS1_3repE0EEENS1_30default_config_static_selectorELNS0_4arch9wavefront6targetE1EEEvT1_,comdat
.Lfunc_end696:
	.size	_ZN7rocprim17ROCPRIM_400000_NS6detail17trampoline_kernelINS0_14default_configENS1_27scan_by_key_config_selectorIxxEEZZNS1_16scan_by_key_implILNS1_25lookback_scan_determinismE0ELb0ES3_N6thrust23THRUST_200600_302600_NS6detail15normal_iteratorINS9_10device_ptrIxEEEESE_SE_xNS9_4plusIxEE19head_flag_predicatexEE10hipError_tPvRmT2_T3_T4_T5_mT6_T7_P12ihipStream_tbENKUlT_T0_E_clISt17integral_constantIbLb1EESX_IbLb0EEEEDaST_SU_EUlST_E_NS1_11comp_targetILNS1_3genE10ELNS1_11target_archE1201ELNS1_3gpuE5ELNS1_3repE0EEENS1_30default_config_static_selectorELNS0_4arch9wavefront6targetE1EEEvT1_, .Lfunc_end696-_ZN7rocprim17ROCPRIM_400000_NS6detail17trampoline_kernelINS0_14default_configENS1_27scan_by_key_config_selectorIxxEEZZNS1_16scan_by_key_implILNS1_25lookback_scan_determinismE0ELb0ES3_N6thrust23THRUST_200600_302600_NS6detail15normal_iteratorINS9_10device_ptrIxEEEESE_SE_xNS9_4plusIxEE19head_flag_predicatexEE10hipError_tPvRmT2_T3_T4_T5_mT6_T7_P12ihipStream_tbENKUlT_T0_E_clISt17integral_constantIbLb1EESX_IbLb0EEEEDaST_SU_EUlST_E_NS1_11comp_targetILNS1_3genE10ELNS1_11target_archE1201ELNS1_3gpuE5ELNS1_3repE0EEENS1_30default_config_static_selectorELNS0_4arch9wavefront6targetE1EEEvT1_
                                        ; -- End function
	.section	.AMDGPU.csdata,"",@progbits
; Kernel info:
; codeLenInByte = 0
; NumSgprs: 4
; NumVgprs: 0
; NumAgprs: 0
; TotalNumVgprs: 0
; ScratchSize: 0
; MemoryBound: 0
; FloatMode: 240
; IeeeMode: 1
; LDSByteSize: 0 bytes/workgroup (compile time only)
; SGPRBlocks: 0
; VGPRBlocks: 0
; NumSGPRsForWavesPerEU: 4
; NumVGPRsForWavesPerEU: 1
; AccumOffset: 4
; Occupancy: 8
; WaveLimiterHint : 0
; COMPUTE_PGM_RSRC2:SCRATCH_EN: 0
; COMPUTE_PGM_RSRC2:USER_SGPR: 6
; COMPUTE_PGM_RSRC2:TRAP_HANDLER: 0
; COMPUTE_PGM_RSRC2:TGID_X_EN: 1
; COMPUTE_PGM_RSRC2:TGID_Y_EN: 0
; COMPUTE_PGM_RSRC2:TGID_Z_EN: 0
; COMPUTE_PGM_RSRC2:TIDIG_COMP_CNT: 0
; COMPUTE_PGM_RSRC3_GFX90A:ACCUM_OFFSET: 0
; COMPUTE_PGM_RSRC3_GFX90A:TG_SPLIT: 0
	.section	.text._ZN7rocprim17ROCPRIM_400000_NS6detail17trampoline_kernelINS0_14default_configENS1_27scan_by_key_config_selectorIxxEEZZNS1_16scan_by_key_implILNS1_25lookback_scan_determinismE0ELb0ES3_N6thrust23THRUST_200600_302600_NS6detail15normal_iteratorINS9_10device_ptrIxEEEESE_SE_xNS9_4plusIxEE19head_flag_predicatexEE10hipError_tPvRmT2_T3_T4_T5_mT6_T7_P12ihipStream_tbENKUlT_T0_E_clISt17integral_constantIbLb1EESX_IbLb0EEEEDaST_SU_EUlST_E_NS1_11comp_targetILNS1_3genE5ELNS1_11target_archE942ELNS1_3gpuE9ELNS1_3repE0EEENS1_30default_config_static_selectorELNS0_4arch9wavefront6targetE1EEEvT1_,"axG",@progbits,_ZN7rocprim17ROCPRIM_400000_NS6detail17trampoline_kernelINS0_14default_configENS1_27scan_by_key_config_selectorIxxEEZZNS1_16scan_by_key_implILNS1_25lookback_scan_determinismE0ELb0ES3_N6thrust23THRUST_200600_302600_NS6detail15normal_iteratorINS9_10device_ptrIxEEEESE_SE_xNS9_4plusIxEE19head_flag_predicatexEE10hipError_tPvRmT2_T3_T4_T5_mT6_T7_P12ihipStream_tbENKUlT_T0_E_clISt17integral_constantIbLb1EESX_IbLb0EEEEDaST_SU_EUlST_E_NS1_11comp_targetILNS1_3genE5ELNS1_11target_archE942ELNS1_3gpuE9ELNS1_3repE0EEENS1_30default_config_static_selectorELNS0_4arch9wavefront6targetE1EEEvT1_,comdat
	.protected	_ZN7rocprim17ROCPRIM_400000_NS6detail17trampoline_kernelINS0_14default_configENS1_27scan_by_key_config_selectorIxxEEZZNS1_16scan_by_key_implILNS1_25lookback_scan_determinismE0ELb0ES3_N6thrust23THRUST_200600_302600_NS6detail15normal_iteratorINS9_10device_ptrIxEEEESE_SE_xNS9_4plusIxEE19head_flag_predicatexEE10hipError_tPvRmT2_T3_T4_T5_mT6_T7_P12ihipStream_tbENKUlT_T0_E_clISt17integral_constantIbLb1EESX_IbLb0EEEEDaST_SU_EUlST_E_NS1_11comp_targetILNS1_3genE5ELNS1_11target_archE942ELNS1_3gpuE9ELNS1_3repE0EEENS1_30default_config_static_selectorELNS0_4arch9wavefront6targetE1EEEvT1_ ; -- Begin function _ZN7rocprim17ROCPRIM_400000_NS6detail17trampoline_kernelINS0_14default_configENS1_27scan_by_key_config_selectorIxxEEZZNS1_16scan_by_key_implILNS1_25lookback_scan_determinismE0ELb0ES3_N6thrust23THRUST_200600_302600_NS6detail15normal_iteratorINS9_10device_ptrIxEEEESE_SE_xNS9_4plusIxEE19head_flag_predicatexEE10hipError_tPvRmT2_T3_T4_T5_mT6_T7_P12ihipStream_tbENKUlT_T0_E_clISt17integral_constantIbLb1EESX_IbLb0EEEEDaST_SU_EUlST_E_NS1_11comp_targetILNS1_3genE5ELNS1_11target_archE942ELNS1_3gpuE9ELNS1_3repE0EEENS1_30default_config_static_selectorELNS0_4arch9wavefront6targetE1EEEvT1_
	.globl	_ZN7rocprim17ROCPRIM_400000_NS6detail17trampoline_kernelINS0_14default_configENS1_27scan_by_key_config_selectorIxxEEZZNS1_16scan_by_key_implILNS1_25lookback_scan_determinismE0ELb0ES3_N6thrust23THRUST_200600_302600_NS6detail15normal_iteratorINS9_10device_ptrIxEEEESE_SE_xNS9_4plusIxEE19head_flag_predicatexEE10hipError_tPvRmT2_T3_T4_T5_mT6_T7_P12ihipStream_tbENKUlT_T0_E_clISt17integral_constantIbLb1EESX_IbLb0EEEEDaST_SU_EUlST_E_NS1_11comp_targetILNS1_3genE5ELNS1_11target_archE942ELNS1_3gpuE9ELNS1_3repE0EEENS1_30default_config_static_selectorELNS0_4arch9wavefront6targetE1EEEvT1_
	.p2align	8
	.type	_ZN7rocprim17ROCPRIM_400000_NS6detail17trampoline_kernelINS0_14default_configENS1_27scan_by_key_config_selectorIxxEEZZNS1_16scan_by_key_implILNS1_25lookback_scan_determinismE0ELb0ES3_N6thrust23THRUST_200600_302600_NS6detail15normal_iteratorINS9_10device_ptrIxEEEESE_SE_xNS9_4plusIxEE19head_flag_predicatexEE10hipError_tPvRmT2_T3_T4_T5_mT6_T7_P12ihipStream_tbENKUlT_T0_E_clISt17integral_constantIbLb1EESX_IbLb0EEEEDaST_SU_EUlST_E_NS1_11comp_targetILNS1_3genE5ELNS1_11target_archE942ELNS1_3gpuE9ELNS1_3repE0EEENS1_30default_config_static_selectorELNS0_4arch9wavefront6targetE1EEEvT1_,@function
_ZN7rocprim17ROCPRIM_400000_NS6detail17trampoline_kernelINS0_14default_configENS1_27scan_by_key_config_selectorIxxEEZZNS1_16scan_by_key_implILNS1_25lookback_scan_determinismE0ELb0ES3_N6thrust23THRUST_200600_302600_NS6detail15normal_iteratorINS9_10device_ptrIxEEEESE_SE_xNS9_4plusIxEE19head_flag_predicatexEE10hipError_tPvRmT2_T3_T4_T5_mT6_T7_P12ihipStream_tbENKUlT_T0_E_clISt17integral_constantIbLb1EESX_IbLb0EEEEDaST_SU_EUlST_E_NS1_11comp_targetILNS1_3genE5ELNS1_11target_archE942ELNS1_3gpuE9ELNS1_3repE0EEENS1_30default_config_static_selectorELNS0_4arch9wavefront6targetE1EEEvT1_: ; @_ZN7rocprim17ROCPRIM_400000_NS6detail17trampoline_kernelINS0_14default_configENS1_27scan_by_key_config_selectorIxxEEZZNS1_16scan_by_key_implILNS1_25lookback_scan_determinismE0ELb0ES3_N6thrust23THRUST_200600_302600_NS6detail15normal_iteratorINS9_10device_ptrIxEEEESE_SE_xNS9_4plusIxEE19head_flag_predicatexEE10hipError_tPvRmT2_T3_T4_T5_mT6_T7_P12ihipStream_tbENKUlT_T0_E_clISt17integral_constantIbLb1EESX_IbLb0EEEEDaST_SU_EUlST_E_NS1_11comp_targetILNS1_3genE5ELNS1_11target_archE942ELNS1_3gpuE9ELNS1_3repE0EEENS1_30default_config_static_selectorELNS0_4arch9wavefront6targetE1EEEvT1_
; %bb.0:
	.section	.rodata,"a",@progbits
	.p2align	6, 0x0
	.amdhsa_kernel _ZN7rocprim17ROCPRIM_400000_NS6detail17trampoline_kernelINS0_14default_configENS1_27scan_by_key_config_selectorIxxEEZZNS1_16scan_by_key_implILNS1_25lookback_scan_determinismE0ELb0ES3_N6thrust23THRUST_200600_302600_NS6detail15normal_iteratorINS9_10device_ptrIxEEEESE_SE_xNS9_4plusIxEE19head_flag_predicatexEE10hipError_tPvRmT2_T3_T4_T5_mT6_T7_P12ihipStream_tbENKUlT_T0_E_clISt17integral_constantIbLb1EESX_IbLb0EEEEDaST_SU_EUlST_E_NS1_11comp_targetILNS1_3genE5ELNS1_11target_archE942ELNS1_3gpuE9ELNS1_3repE0EEENS1_30default_config_static_selectorELNS0_4arch9wavefront6targetE1EEEvT1_
		.amdhsa_group_segment_fixed_size 0
		.amdhsa_private_segment_fixed_size 0
		.amdhsa_kernarg_size 136
		.amdhsa_user_sgpr_count 6
		.amdhsa_user_sgpr_private_segment_buffer 1
		.amdhsa_user_sgpr_dispatch_ptr 0
		.amdhsa_user_sgpr_queue_ptr 0
		.amdhsa_user_sgpr_kernarg_segment_ptr 1
		.amdhsa_user_sgpr_dispatch_id 0
		.amdhsa_user_sgpr_flat_scratch_init 0
		.amdhsa_user_sgpr_kernarg_preload_length 0
		.amdhsa_user_sgpr_kernarg_preload_offset 0
		.amdhsa_user_sgpr_private_segment_size 0
		.amdhsa_uses_dynamic_stack 0
		.amdhsa_system_sgpr_private_segment_wavefront_offset 0
		.amdhsa_system_sgpr_workgroup_id_x 1
		.amdhsa_system_sgpr_workgroup_id_y 0
		.amdhsa_system_sgpr_workgroup_id_z 0
		.amdhsa_system_sgpr_workgroup_info 0
		.amdhsa_system_vgpr_workitem_id 0
		.amdhsa_next_free_vgpr 1
		.amdhsa_next_free_sgpr 0
		.amdhsa_accum_offset 4
		.amdhsa_reserve_vcc 0
		.amdhsa_reserve_flat_scratch 0
		.amdhsa_float_round_mode_32 0
		.amdhsa_float_round_mode_16_64 0
		.amdhsa_float_denorm_mode_32 3
		.amdhsa_float_denorm_mode_16_64 3
		.amdhsa_dx10_clamp 1
		.amdhsa_ieee_mode 1
		.amdhsa_fp16_overflow 0
		.amdhsa_tg_split 0
		.amdhsa_exception_fp_ieee_invalid_op 0
		.amdhsa_exception_fp_denorm_src 0
		.amdhsa_exception_fp_ieee_div_zero 0
		.amdhsa_exception_fp_ieee_overflow 0
		.amdhsa_exception_fp_ieee_underflow 0
		.amdhsa_exception_fp_ieee_inexact 0
		.amdhsa_exception_int_div_zero 0
	.end_amdhsa_kernel
	.section	.text._ZN7rocprim17ROCPRIM_400000_NS6detail17trampoline_kernelINS0_14default_configENS1_27scan_by_key_config_selectorIxxEEZZNS1_16scan_by_key_implILNS1_25lookback_scan_determinismE0ELb0ES3_N6thrust23THRUST_200600_302600_NS6detail15normal_iteratorINS9_10device_ptrIxEEEESE_SE_xNS9_4plusIxEE19head_flag_predicatexEE10hipError_tPvRmT2_T3_T4_T5_mT6_T7_P12ihipStream_tbENKUlT_T0_E_clISt17integral_constantIbLb1EESX_IbLb0EEEEDaST_SU_EUlST_E_NS1_11comp_targetILNS1_3genE5ELNS1_11target_archE942ELNS1_3gpuE9ELNS1_3repE0EEENS1_30default_config_static_selectorELNS0_4arch9wavefront6targetE1EEEvT1_,"axG",@progbits,_ZN7rocprim17ROCPRIM_400000_NS6detail17trampoline_kernelINS0_14default_configENS1_27scan_by_key_config_selectorIxxEEZZNS1_16scan_by_key_implILNS1_25lookback_scan_determinismE0ELb0ES3_N6thrust23THRUST_200600_302600_NS6detail15normal_iteratorINS9_10device_ptrIxEEEESE_SE_xNS9_4plusIxEE19head_flag_predicatexEE10hipError_tPvRmT2_T3_T4_T5_mT6_T7_P12ihipStream_tbENKUlT_T0_E_clISt17integral_constantIbLb1EESX_IbLb0EEEEDaST_SU_EUlST_E_NS1_11comp_targetILNS1_3genE5ELNS1_11target_archE942ELNS1_3gpuE9ELNS1_3repE0EEENS1_30default_config_static_selectorELNS0_4arch9wavefront6targetE1EEEvT1_,comdat
.Lfunc_end697:
	.size	_ZN7rocprim17ROCPRIM_400000_NS6detail17trampoline_kernelINS0_14default_configENS1_27scan_by_key_config_selectorIxxEEZZNS1_16scan_by_key_implILNS1_25lookback_scan_determinismE0ELb0ES3_N6thrust23THRUST_200600_302600_NS6detail15normal_iteratorINS9_10device_ptrIxEEEESE_SE_xNS9_4plusIxEE19head_flag_predicatexEE10hipError_tPvRmT2_T3_T4_T5_mT6_T7_P12ihipStream_tbENKUlT_T0_E_clISt17integral_constantIbLb1EESX_IbLb0EEEEDaST_SU_EUlST_E_NS1_11comp_targetILNS1_3genE5ELNS1_11target_archE942ELNS1_3gpuE9ELNS1_3repE0EEENS1_30default_config_static_selectorELNS0_4arch9wavefront6targetE1EEEvT1_, .Lfunc_end697-_ZN7rocprim17ROCPRIM_400000_NS6detail17trampoline_kernelINS0_14default_configENS1_27scan_by_key_config_selectorIxxEEZZNS1_16scan_by_key_implILNS1_25lookback_scan_determinismE0ELb0ES3_N6thrust23THRUST_200600_302600_NS6detail15normal_iteratorINS9_10device_ptrIxEEEESE_SE_xNS9_4plusIxEE19head_flag_predicatexEE10hipError_tPvRmT2_T3_T4_T5_mT6_T7_P12ihipStream_tbENKUlT_T0_E_clISt17integral_constantIbLb1EESX_IbLb0EEEEDaST_SU_EUlST_E_NS1_11comp_targetILNS1_3genE5ELNS1_11target_archE942ELNS1_3gpuE9ELNS1_3repE0EEENS1_30default_config_static_selectorELNS0_4arch9wavefront6targetE1EEEvT1_
                                        ; -- End function
	.section	.AMDGPU.csdata,"",@progbits
; Kernel info:
; codeLenInByte = 0
; NumSgprs: 4
; NumVgprs: 0
; NumAgprs: 0
; TotalNumVgprs: 0
; ScratchSize: 0
; MemoryBound: 0
; FloatMode: 240
; IeeeMode: 1
; LDSByteSize: 0 bytes/workgroup (compile time only)
; SGPRBlocks: 0
; VGPRBlocks: 0
; NumSGPRsForWavesPerEU: 4
; NumVGPRsForWavesPerEU: 1
; AccumOffset: 4
; Occupancy: 8
; WaveLimiterHint : 0
; COMPUTE_PGM_RSRC2:SCRATCH_EN: 0
; COMPUTE_PGM_RSRC2:USER_SGPR: 6
; COMPUTE_PGM_RSRC2:TRAP_HANDLER: 0
; COMPUTE_PGM_RSRC2:TGID_X_EN: 1
; COMPUTE_PGM_RSRC2:TGID_Y_EN: 0
; COMPUTE_PGM_RSRC2:TGID_Z_EN: 0
; COMPUTE_PGM_RSRC2:TIDIG_COMP_CNT: 0
; COMPUTE_PGM_RSRC3_GFX90A:ACCUM_OFFSET: 0
; COMPUTE_PGM_RSRC3_GFX90A:TG_SPLIT: 0
	.section	.text._ZN7rocprim17ROCPRIM_400000_NS6detail17trampoline_kernelINS0_14default_configENS1_27scan_by_key_config_selectorIxxEEZZNS1_16scan_by_key_implILNS1_25lookback_scan_determinismE0ELb0ES3_N6thrust23THRUST_200600_302600_NS6detail15normal_iteratorINS9_10device_ptrIxEEEESE_SE_xNS9_4plusIxEE19head_flag_predicatexEE10hipError_tPvRmT2_T3_T4_T5_mT6_T7_P12ihipStream_tbENKUlT_T0_E_clISt17integral_constantIbLb1EESX_IbLb0EEEEDaST_SU_EUlST_E_NS1_11comp_targetILNS1_3genE4ELNS1_11target_archE910ELNS1_3gpuE8ELNS1_3repE0EEENS1_30default_config_static_selectorELNS0_4arch9wavefront6targetE1EEEvT1_,"axG",@progbits,_ZN7rocprim17ROCPRIM_400000_NS6detail17trampoline_kernelINS0_14default_configENS1_27scan_by_key_config_selectorIxxEEZZNS1_16scan_by_key_implILNS1_25lookback_scan_determinismE0ELb0ES3_N6thrust23THRUST_200600_302600_NS6detail15normal_iteratorINS9_10device_ptrIxEEEESE_SE_xNS9_4plusIxEE19head_flag_predicatexEE10hipError_tPvRmT2_T3_T4_T5_mT6_T7_P12ihipStream_tbENKUlT_T0_E_clISt17integral_constantIbLb1EESX_IbLb0EEEEDaST_SU_EUlST_E_NS1_11comp_targetILNS1_3genE4ELNS1_11target_archE910ELNS1_3gpuE8ELNS1_3repE0EEENS1_30default_config_static_selectorELNS0_4arch9wavefront6targetE1EEEvT1_,comdat
	.protected	_ZN7rocprim17ROCPRIM_400000_NS6detail17trampoline_kernelINS0_14default_configENS1_27scan_by_key_config_selectorIxxEEZZNS1_16scan_by_key_implILNS1_25lookback_scan_determinismE0ELb0ES3_N6thrust23THRUST_200600_302600_NS6detail15normal_iteratorINS9_10device_ptrIxEEEESE_SE_xNS9_4plusIxEE19head_flag_predicatexEE10hipError_tPvRmT2_T3_T4_T5_mT6_T7_P12ihipStream_tbENKUlT_T0_E_clISt17integral_constantIbLb1EESX_IbLb0EEEEDaST_SU_EUlST_E_NS1_11comp_targetILNS1_3genE4ELNS1_11target_archE910ELNS1_3gpuE8ELNS1_3repE0EEENS1_30default_config_static_selectorELNS0_4arch9wavefront6targetE1EEEvT1_ ; -- Begin function _ZN7rocprim17ROCPRIM_400000_NS6detail17trampoline_kernelINS0_14default_configENS1_27scan_by_key_config_selectorIxxEEZZNS1_16scan_by_key_implILNS1_25lookback_scan_determinismE0ELb0ES3_N6thrust23THRUST_200600_302600_NS6detail15normal_iteratorINS9_10device_ptrIxEEEESE_SE_xNS9_4plusIxEE19head_flag_predicatexEE10hipError_tPvRmT2_T3_T4_T5_mT6_T7_P12ihipStream_tbENKUlT_T0_E_clISt17integral_constantIbLb1EESX_IbLb0EEEEDaST_SU_EUlST_E_NS1_11comp_targetILNS1_3genE4ELNS1_11target_archE910ELNS1_3gpuE8ELNS1_3repE0EEENS1_30default_config_static_selectorELNS0_4arch9wavefront6targetE1EEEvT1_
	.globl	_ZN7rocprim17ROCPRIM_400000_NS6detail17trampoline_kernelINS0_14default_configENS1_27scan_by_key_config_selectorIxxEEZZNS1_16scan_by_key_implILNS1_25lookback_scan_determinismE0ELb0ES3_N6thrust23THRUST_200600_302600_NS6detail15normal_iteratorINS9_10device_ptrIxEEEESE_SE_xNS9_4plusIxEE19head_flag_predicatexEE10hipError_tPvRmT2_T3_T4_T5_mT6_T7_P12ihipStream_tbENKUlT_T0_E_clISt17integral_constantIbLb1EESX_IbLb0EEEEDaST_SU_EUlST_E_NS1_11comp_targetILNS1_3genE4ELNS1_11target_archE910ELNS1_3gpuE8ELNS1_3repE0EEENS1_30default_config_static_selectorELNS0_4arch9wavefront6targetE1EEEvT1_
	.p2align	8
	.type	_ZN7rocprim17ROCPRIM_400000_NS6detail17trampoline_kernelINS0_14default_configENS1_27scan_by_key_config_selectorIxxEEZZNS1_16scan_by_key_implILNS1_25lookback_scan_determinismE0ELb0ES3_N6thrust23THRUST_200600_302600_NS6detail15normal_iteratorINS9_10device_ptrIxEEEESE_SE_xNS9_4plusIxEE19head_flag_predicatexEE10hipError_tPvRmT2_T3_T4_T5_mT6_T7_P12ihipStream_tbENKUlT_T0_E_clISt17integral_constantIbLb1EESX_IbLb0EEEEDaST_SU_EUlST_E_NS1_11comp_targetILNS1_3genE4ELNS1_11target_archE910ELNS1_3gpuE8ELNS1_3repE0EEENS1_30default_config_static_selectorELNS0_4arch9wavefront6targetE1EEEvT1_,@function
_ZN7rocprim17ROCPRIM_400000_NS6detail17trampoline_kernelINS0_14default_configENS1_27scan_by_key_config_selectorIxxEEZZNS1_16scan_by_key_implILNS1_25lookback_scan_determinismE0ELb0ES3_N6thrust23THRUST_200600_302600_NS6detail15normal_iteratorINS9_10device_ptrIxEEEESE_SE_xNS9_4plusIxEE19head_flag_predicatexEE10hipError_tPvRmT2_T3_T4_T5_mT6_T7_P12ihipStream_tbENKUlT_T0_E_clISt17integral_constantIbLb1EESX_IbLb0EEEEDaST_SU_EUlST_E_NS1_11comp_targetILNS1_3genE4ELNS1_11target_archE910ELNS1_3gpuE8ELNS1_3repE0EEENS1_30default_config_static_selectorELNS0_4arch9wavefront6targetE1EEEvT1_: ; @_ZN7rocprim17ROCPRIM_400000_NS6detail17trampoline_kernelINS0_14default_configENS1_27scan_by_key_config_selectorIxxEEZZNS1_16scan_by_key_implILNS1_25lookback_scan_determinismE0ELb0ES3_N6thrust23THRUST_200600_302600_NS6detail15normal_iteratorINS9_10device_ptrIxEEEESE_SE_xNS9_4plusIxEE19head_flag_predicatexEE10hipError_tPvRmT2_T3_T4_T5_mT6_T7_P12ihipStream_tbENKUlT_T0_E_clISt17integral_constantIbLb1EESX_IbLb0EEEEDaST_SU_EUlST_E_NS1_11comp_targetILNS1_3genE4ELNS1_11target_archE910ELNS1_3gpuE8ELNS1_3repE0EEENS1_30default_config_static_selectorELNS0_4arch9wavefront6targetE1EEEvT1_
; %bb.0:
	s_load_dwordx8 s[40:47], s[4:5], 0x0
	s_load_dwordx8 s[48:55], s[4:5], 0x30
	s_load_dwordx2 s[64:65], s[4:5], 0x50
	s_load_dword s0, s[4:5], 0x58
	s_load_dwordx4 s[56:59], s[4:5], 0x60
	s_waitcnt lgkmcnt(0)
	s_lshl_b64 s[60:61], s[42:43], 3
	s_add_u32 s2, s40, s60
	s_addc_u32 s3, s41, s61
	s_add_u32 s4, s44, s60
	s_mul_i32 s1, s65, s0
	s_mul_hi_u32 s7, s64, s0
	s_addc_u32 s5, s45, s61
	s_add_i32 s8, s7, s1
	s_mul_i32 s9, s64, s0
	s_mul_i32 s0, s6, 0x4c0
	s_mov_b32 s1, 0
	s_lshl_b64 s[62:63], s[0:1], 3
	s_add_u32 s44, s2, s62
	s_addc_u32 s45, s3, s63
	s_add_u32 s7, s4, s62
	s_addc_u32 s55, s5, s63
	;; [unrolled: 2-line block ×3, first 2 shown]
	s_add_u32 s4, s56, -1
	s_addc_u32 s5, s57, -1
	v_pk_mov_b32 v[2:3], s[4:5], s[4:5] op_sel:[0,1]
	v_cmp_ge_u64_e64 s[0:1], s[0:1], v[2:3]
	s_mov_b64 s[2:3], -1
	s_and_b64 vcc, exec, s[0:1]
	s_mul_i32 s33, s4, 0xfffffb40
	s_waitcnt lgkmcnt(0)
	; wave barrier
	s_cbranch_vccz .LBB698_57
; %bb.1:
	v_pk_mov_b32 v[2:3], s[44:45], s[44:45] op_sel:[0,1]
	flat_load_dwordx2 v[2:3], v[2:3]
	s_add_i32 s67, s33, s54
	v_cmp_gt_u32_e32 vcc, s67, v0
	s_waitcnt vmcnt(0) lgkmcnt(0)
	v_pk_mov_b32 v[4:5], v[2:3], v[2:3] op_sel:[0,1]
	s_and_saveexec_b64 s[4:5], vcc
	s_cbranch_execz .LBB698_3
; %bb.2:
	v_lshlrev_b32_e32 v1, 3, v0
	v_mov_b32_e32 v5, s45
	v_add_co_u32_e64 v4, s[2:3], s44, v1
	v_addc_co_u32_e64 v5, s[2:3], 0, v5, s[2:3]
	flat_load_dwordx2 v[4:5], v[4:5]
.LBB698_3:
	s_or_b64 exec, exec, s[4:5]
	v_or_b32_e32 v1, 64, v0
	v_cmp_gt_u32_e64 s[2:3], s67, v1
	v_pk_mov_b32 v[6:7], v[2:3], v[2:3] op_sel:[0,1]
	s_and_saveexec_b64 s[8:9], s[2:3]
	s_cbranch_execz .LBB698_5
; %bb.4:
	v_lshlrev_b32_e32 v1, 3, v0
	v_mov_b32_e32 v7, s45
	v_add_co_u32_e64 v6, s[4:5], s44, v1
	v_addc_co_u32_e64 v7, s[4:5], 0, v7, s[4:5]
	flat_load_dwordx2 v[6:7], v[6:7] offset:512
.LBB698_5:
	s_or_b64 exec, exec, s[8:9]
	v_or_b32_e32 v1, 0x80, v0
	v_cmp_gt_u32_e64 s[4:5], s67, v1
	v_pk_mov_b32 v[8:9], v[2:3], v[2:3] op_sel:[0,1]
	s_and_saveexec_b64 s[10:11], s[4:5]
	s_cbranch_execz .LBB698_7
; %bb.6:
	v_lshlrev_b32_e32 v1, 3, v0
	v_mov_b32_e32 v9, s45
	v_add_co_u32_e64 v8, s[8:9], s44, v1
	v_addc_co_u32_e64 v9, s[8:9], 0, v9, s[8:9]
	flat_load_dwordx2 v[8:9], v[8:9] offset:1024
.LBB698_7:
	;; [unrolled: 13-line block ×7, first 2 shown]
	s_or_b64 exec, exec, s[18:19]
	v_or_b32_e32 v1, 0x200, v0
	v_cmp_gt_u32_e64 s[16:17], s67, v1
	v_pk_mov_b32 v[20:21], v[2:3], v[2:3] op_sel:[0,1]
	s_and_saveexec_b64 s[20:21], s[16:17]
	s_cbranch_execz .LBB698_19
; %bb.18:
	v_lshlrev_b32_e32 v20, 3, v1
	v_mov_b32_e32 v21, s45
	v_add_co_u32_e64 v20, s[18:19], s44, v20
	v_addc_co_u32_e64 v21, s[18:19], 0, v21, s[18:19]
	flat_load_dwordx2 v[20:21], v[20:21]
.LBB698_19:
	s_or_b64 exec, exec, s[20:21]
	v_or_b32_e32 v40, 0x240, v0
	v_cmp_gt_u32_e64 s[18:19], s67, v40
	v_pk_mov_b32 v[22:23], v[2:3], v[2:3] op_sel:[0,1]
	s_and_saveexec_b64 s[22:23], s[18:19]
	s_cbranch_execz .LBB698_21
; %bb.20:
	v_lshlrev_b32_e32 v22, 3, v40
	v_mov_b32_e32 v23, s45
	v_add_co_u32_e64 v22, s[20:21], s44, v22
	v_addc_co_u32_e64 v23, s[20:21], 0, v23, s[20:21]
	flat_load_dwordx2 v[22:23], v[22:23]
.LBB698_21:
	;; [unrolled: 13-line block ×10, first 2 shown]
	s_or_b64 exec, exec, s[42:43]
	v_or_b32_e32 v49, 0x480, v0
	v_cmp_gt_u32_e64 s[38:39], s67, v49
	s_and_saveexec_b64 s[56:57], s[38:39]
	s_cbranch_execz .LBB698_39
; %bb.38:
	v_lshlrev_b32_e32 v2, 3, v49
	v_mov_b32_e32 v3, s45
	v_add_co_u32_e64 v2, s[42:43], s44, v2
	v_addc_co_u32_e64 v3, s[42:43], 0, v3, s[42:43]
	flat_load_dwordx2 v[2:3], v[2:3]
.LBB698_39:
	s_or_b64 exec, exec, s[56:57]
	v_lshlrev_b32_e32 v50, 3, v0
	s_movk_i32 s42, 0x90
	v_mad_u32_u24 v94, v0, s42, v50
	s_waitcnt vmcnt(0) lgkmcnt(0)
	ds_write2st64_b64 v50, v[4:5], v[6:7] offset1:1
	ds_write2st64_b64 v50, v[8:9], v[10:11] offset0:2 offset1:3
	ds_write2st64_b64 v50, v[12:13], v[14:15] offset0:4 offset1:5
	ds_write2st64_b64 v50, v[16:17], v[18:19] offset0:6 offset1:7
	ds_write2st64_b64 v50, v[20:21], v[22:23] offset0:8 offset1:9
	ds_write2st64_b64 v50, v[24:25], v[26:27] offset0:10 offset1:11
	ds_write2st64_b64 v50, v[28:29], v[30:31] offset0:12 offset1:13
	ds_write2st64_b64 v50, v[32:33], v[34:35] offset0:14 offset1:15
	ds_write2st64_b64 v50, v[36:37], v[38:39] offset0:16 offset1:17
	ds_write_b64 v50, v[2:3] offset:9216
	s_waitcnt lgkmcnt(0)
	; wave barrier
	s_waitcnt lgkmcnt(0)
	ds_read2_b64 v[88:91], v94 offset1:1
	ds_read2_b64 v[84:87], v94 offset0:2 offset1:3
	ds_read2_b64 v[80:83], v94 offset0:4 offset1:5
	;; [unrolled: 1-line block ×6, first 2 shown]
	ds_read_b64 v[92:93], v94 offset:144
	ds_read2_b64 v[64:67], v94 offset0:12 offset1:13
	ds_read2_b64 v[60:63], v94 offset0:14 offset1:15
	s_movk_i32 s42, 0xff70
	v_mad_i32_i24 v2, v0, s42, v94
	s_waitcnt lgkmcnt(2)
	ds_write_b64 v2, v[92:93] offset:9728
	s_waitcnt lgkmcnt(0)
	; wave barrier
	s_waitcnt lgkmcnt(0)
	s_waitcnt lgkmcnt(0)
	; wave barrier
	s_waitcnt lgkmcnt(0)
                                        ; implicit-def: $vgpr2_vgpr3
	s_and_saveexec_b64 s[42:43], vcc
	s_cbranch_execz .LBB698_124
; %bb.40:
	v_mov_b32_e32 v3, s55
	v_add_co_u32_e32 v2, vcc, s7, v50
	v_addc_co_u32_e32 v3, vcc, 0, v3, vcc
	flat_load_dwordx2 v[2:3], v[2:3]
	s_or_b64 exec, exec, s[42:43]
                                        ; implicit-def: $vgpr4_vgpr5
	s_and_saveexec_b64 s[42:43], s[2:3]
	s_cbranch_execnz .LBB698_125
.LBB698_41:
	s_or_b64 exec, exec, s[42:43]
                                        ; implicit-def: $vgpr6_vgpr7
	s_and_saveexec_b64 s[2:3], s[4:5]
	s_cbranch_execz .LBB698_126
.LBB698_42:
	v_mov_b32_e32 v7, s55
	v_add_co_u32_e32 v6, vcc, s7, v50
	v_addc_co_u32_e32 v7, vcc, 0, v7, vcc
	flat_load_dwordx2 v[6:7], v[6:7] offset:1024
	s_or_b64 exec, exec, s[2:3]
                                        ; implicit-def: $vgpr8_vgpr9
	s_and_saveexec_b64 s[2:3], s[40:41]
	s_cbranch_execnz .LBB698_127
.LBB698_43:
	s_or_b64 exec, exec, s[2:3]
                                        ; implicit-def: $vgpr10_vgpr11
	s_and_saveexec_b64 s[2:3], s[8:9]
	s_cbranch_execz .LBB698_128
.LBB698_44:
	v_mov_b32_e32 v11, s55
	v_add_co_u32_e32 v10, vcc, s7, v50
	v_addc_co_u32_e32 v11, vcc, 0, v11, vcc
	flat_load_dwordx2 v[10:11], v[10:11] offset:2048
	s_or_b64 exec, exec, s[2:3]
                                        ; implicit-def: $vgpr12_vgpr13
	s_and_saveexec_b64 s[2:3], s[10:11]
	s_cbranch_execnz .LBB698_129
.LBB698_45:
	s_or_b64 exec, exec, s[2:3]
                                        ; implicit-def: $vgpr14_vgpr15
	s_and_saveexec_b64 s[2:3], s[12:13]
	s_cbranch_execz .LBB698_130
.LBB698_46:
	v_mov_b32_e32 v15, s55
	v_add_co_u32_e32 v14, vcc, s7, v50
	v_addc_co_u32_e32 v15, vcc, 0, v15, vcc
	flat_load_dwordx2 v[14:15], v[14:15] offset:3072
	s_or_b64 exec, exec, s[2:3]
                                        ; implicit-def: $vgpr16_vgpr17
	s_and_saveexec_b64 s[2:3], s[14:15]
	s_cbranch_execnz .LBB698_131
.LBB698_47:
	s_or_b64 exec, exec, s[2:3]
                                        ; implicit-def: $vgpr18_vgpr19
	s_and_saveexec_b64 s[2:3], s[16:17]
	s_cbranch_execz .LBB698_132
.LBB698_48:
	v_lshlrev_b32_e32 v1, 3, v1
	v_mov_b32_e32 v19, s55
	v_add_co_u32_e32 v18, vcc, s7, v1
	v_addc_co_u32_e32 v19, vcc, 0, v19, vcc
	flat_load_dwordx2 v[18:19], v[18:19]
	s_or_b64 exec, exec, s[2:3]
                                        ; implicit-def: $vgpr20_vgpr21
	s_and_saveexec_b64 s[2:3], s[18:19]
	s_cbranch_execnz .LBB698_133
.LBB698_49:
	s_or_b64 exec, exec, s[2:3]
                                        ; implicit-def: $vgpr22_vgpr23
	s_and_saveexec_b64 s[2:3], s[20:21]
	s_cbranch_execz .LBB698_134
.LBB698_50:
	v_lshlrev_b32_e32 v1, 3, v41
	v_mov_b32_e32 v23, s55
	v_add_co_u32_e32 v22, vcc, s7, v1
	v_addc_co_u32_e32 v23, vcc, 0, v23, vcc
	flat_load_dwordx2 v[22:23], v[22:23]
	s_or_b64 exec, exec, s[2:3]
                                        ; implicit-def: $vgpr24_vgpr25
	s_and_saveexec_b64 s[2:3], s[22:23]
	s_cbranch_execnz .LBB698_135
.LBB698_51:
	s_or_b64 exec, exec, s[2:3]
                                        ; implicit-def: $vgpr26_vgpr27
	s_and_saveexec_b64 s[2:3], s[24:25]
	s_cbranch_execz .LBB698_136
.LBB698_52:
	v_lshlrev_b32_e32 v1, 3, v43
	v_mov_b32_e32 v27, s55
	v_add_co_u32_e32 v26, vcc, s7, v1
	v_addc_co_u32_e32 v27, vcc, 0, v27, vcc
	flat_load_dwordx2 v[26:27], v[26:27]
	s_or_b64 exec, exec, s[2:3]
                                        ; implicit-def: $vgpr28_vgpr29
	s_and_saveexec_b64 s[2:3], s[26:27]
	s_cbranch_execnz .LBB698_137
.LBB698_53:
	s_or_b64 exec, exec, s[2:3]
                                        ; implicit-def: $vgpr30_vgpr31
	s_and_saveexec_b64 s[2:3], s[28:29]
	s_cbranch_execz .LBB698_138
.LBB698_54:
	v_lshlrev_b32_e32 v1, 3, v45
	v_mov_b32_e32 v31, s55
	v_add_co_u32_e32 v30, vcc, s7, v1
	v_addc_co_u32_e32 v31, vcc, 0, v31, vcc
	flat_load_dwordx2 v[30:31], v[30:31]
	s_or_b64 exec, exec, s[2:3]
                                        ; implicit-def: $vgpr32_vgpr33
	s_and_saveexec_b64 s[2:3], s[30:31]
	s_cbranch_execnz .LBB698_139
.LBB698_55:
	s_or_b64 exec, exec, s[2:3]
                                        ; implicit-def: $vgpr34_vgpr35
	s_and_saveexec_b64 s[2:3], s[34:35]
	s_cbranch_execz .LBB698_140
.LBB698_56:
	v_lshlrev_b32_e32 v1, 3, v47
	v_mov_b32_e32 v35, s55
	v_add_co_u32_e32 v34, vcc, s7, v1
	v_addc_co_u32_e32 v35, vcc, 0, v35, vcc
	flat_load_dwordx2 v[34:35], v[34:35]
	s_or_b64 exec, exec, s[2:3]
                                        ; implicit-def: $vgpr36_vgpr37
	s_and_saveexec_b64 s[2:3], s[36:37]
	s_cbranch_execz .LBB698_142
	s_branch .LBB698_141
.LBB698_57:
	s_mov_b64 s[8:9], 0
                                        ; implicit-def: $vgpr92_vgpr93
                                        ; implicit-def: $vgpr6_vgpr7
                                        ; implicit-def: $vgpr105
                                        ; implicit-def: $vgpr56_vgpr57
                                        ; implicit-def: $vgpr120
                                        ; implicit-def: $vgpr119
                                        ; implicit-def: $vgpr50_vgpr51
                                        ; implicit-def: $vgpr118
                                        ; implicit-def: $vgpr48_vgpr49
                                        ; implicit-def: $vgpr117
                                        ; implicit-def: $vgpr44_vgpr45
                                        ; implicit-def: $vgpr116
                                        ; implicit-def: $vgpr42_vgpr43
                                        ; implicit-def: $vgpr115
                                        ; implicit-def: $vgpr38_vgpr39
                                        ; implicit-def: $vgpr114
                                        ; implicit-def: $vgpr36_vgpr37
                                        ; implicit-def: $vgpr113
                                        ; implicit-def: $vgpr32_vgpr33
                                        ; implicit-def: $vgpr112
                                        ; implicit-def: $vgpr30_vgpr31
                                        ; implicit-def: $vgpr111
                                        ; implicit-def: $vgpr26_vgpr27
                                        ; implicit-def: $vgpr110
                                        ; implicit-def: $vgpr24_vgpr25
                                        ; implicit-def: $vgpr109
                                        ; implicit-def: $vgpr20_vgpr21
                                        ; implicit-def: $vgpr108
                                        ; implicit-def: $vgpr18_vgpr19
                                        ; implicit-def: $vgpr107
                                        ; implicit-def: $vgpr14_vgpr15
                                        ; implicit-def: $vgpr106
                                        ; implicit-def: $vgpr12_vgpr13
                                        ; implicit-def: $vgpr104
                                        ; implicit-def: $vgpr8_vgpr9
                                        ; implicit-def: $vgpr1
                                        ; implicit-def: $vgpr2_vgpr3
                                        ; implicit-def: $sgpr66
                                        ; implicit-def: $sgpr4_sgpr5
	s_and_b64 vcc, exec, s[2:3]
	v_lshlrev_b32_e32 v121, 3, v0
	s_cbranch_vccz .LBB698_59
.LBB698_58:
	v_mov_b32_e32 v1, s45
	s_waitcnt lgkmcnt(0)
	v_add_co_u32_e32 v2, vcc, s44, v121
	v_addc_co_u32_e32 v3, vcc, 0, v1, vcc
	v_add_co_u32_e32 v20, vcc, 0x1000, v2
	v_addc_co_u32_e32 v21, vcc, 0, v3, vcc
	flat_load_dwordx2 v[4:5], v[2:3]
	flat_load_dwordx2 v[6:7], v[2:3] offset:512
	flat_load_dwordx2 v[8:9], v[2:3] offset:1024
	;; [unrolled: 1-line block ×7, first 2 shown]
	v_add_co_u32_e32 v2, vcc, 0x2000, v2
	v_addc_co_u32_e32 v3, vcc, 0, v3, vcc
	flat_load_dwordx2 v[22:23], v[20:21]
	flat_load_dwordx2 v[24:25], v[20:21] offset:512
	flat_load_dwordx2 v[26:27], v[20:21] offset:1024
	;; [unrolled: 1-line block ×7, first 2 shown]
	s_nop 0
	flat_load_dwordx2 v[20:21], v[2:3]
	flat_load_dwordx2 v[38:39], v[2:3] offset:512
	flat_load_dwordx2 v[40:41], v[2:3] offset:1024
	v_mov_b32_e32 v1, s55
	v_add_co_u32_e32 v42, vcc, s7, v121
	s_movk_i32 s2, 0x1000
	v_addc_co_u32_e32 v43, vcc, 0, v1, vcc
	s_movk_i32 s4, 0x90
	v_add_co_u32_e32 v44, vcc, s2, v42
	s_movk_i32 s3, 0x2000
	s_movk_i32 s5, 0xff70
	v_mad_u32_u24 v80, v0, s4, v121
	v_addc_co_u32_e32 v45, vcc, 0, v43, vcc
	v_mad_i32_i24 v1, v0, s5, v80
	v_add_co_u32_e32 v46, vcc, s3, v42
	v_addc_co_u32_e32 v47, vcc, 0, v43, vcc
	s_or_b64 s[8:9], s[8:9], exec
                                        ; implicit-def: $sgpr66
                                        ; implicit-def: $sgpr4_sgpr5
	s_waitcnt vmcnt(0) lgkmcnt(0)
	ds_write2st64_b64 v121, v[4:5], v[6:7] offset1:1
	ds_write2st64_b64 v121, v[8:9], v[10:11] offset0:2 offset1:3
	ds_write2st64_b64 v121, v[12:13], v[14:15] offset0:4 offset1:5
	;; [unrolled: 1-line block ×8, first 2 shown]
	ds_write_b64 v121, v[40:41] offset:9216
	s_waitcnt lgkmcnt(0)
	; wave barrier
	s_waitcnt lgkmcnt(0)
	ds_read2_b64 v[2:5], v80 offset1:1
	ds_read2_b64 v[6:9], v80 offset0:2 offset1:3
	ds_read2_b64 v[10:13], v80 offset0:4 offset1:5
	;; [unrolled: 1-line block ×4, first 2 shown]
	ds_read_b64 v[92:93], v80 offset:144
	ds_read2_b64 v[22:25], v80 offset0:8 offset1:9
	ds_read2_b64 v[26:29], v80 offset0:10 offset1:11
	;; [unrolled: 1-line block ×4, first 2 shown]
	s_waitcnt lgkmcnt(4)
	ds_write_b64 v1, v[92:93] offset:9728
	s_waitcnt lgkmcnt(0)
	; wave barrier
	s_waitcnt lgkmcnt(0)
	s_waitcnt lgkmcnt(0)
	; wave barrier
	s_waitcnt lgkmcnt(0)
	flat_load_dwordx2 v[38:39], v[42:43]
	flat_load_dwordx2 v[40:41], v[42:43] offset:512
	flat_load_dwordx2 v[48:49], v[42:43] offset:1024
	flat_load_dwordx2 v[50:51], v[42:43] offset:1536
	flat_load_dwordx2 v[52:53], v[42:43] offset:2048
	flat_load_dwordx2 v[54:55], v[42:43] offset:2560
	flat_load_dwordx2 v[56:57], v[42:43] offset:3072
	flat_load_dwordx2 v[58:59], v[42:43] offset:3584
	flat_load_dwordx2 v[60:61], v[44:45]
	flat_load_dwordx2 v[62:63], v[44:45] offset:512
	flat_load_dwordx2 v[64:65], v[44:45] offset:1024
	;; [unrolled: 1-line block ×6, first 2 shown]
                                        ; kill: killed $vgpr42 killed $vgpr43
	flat_load_dwordx2 v[42:43], v[44:45] offset:3584
	flat_load_dwordx2 v[74:75], v[46:47]
	flat_load_dwordx2 v[76:77], v[46:47] offset:512
	flat_load_dwordx2 v[78:79], v[46:47] offset:1024
	v_cmp_ne_u64_e32 vcc, 0, v[20:21]
	v_cndmask_b32_e64 v105, 0, 1, vcc
	v_cmp_ne_u64_e32 vcc, 0, v[18:19]
	v_cndmask_b32_e64 v120, 0, 1, vcc
	;; [unrolled: 2-line block ×18, first 2 shown]
	s_waitcnt vmcnt(0) lgkmcnt(0)
	ds_write2st64_b64 v121, v[38:39], v[40:41] offset1:1
	ds_write2st64_b64 v121, v[48:49], v[50:51] offset0:2 offset1:3
	ds_write2st64_b64 v121, v[52:53], v[54:55] offset0:4 offset1:5
	;; [unrolled: 1-line block ×8, first 2 shown]
	ds_write_b64 v121, v[78:79] offset:9216
	s_waitcnt lgkmcnt(0)
	; wave barrier
	s_waitcnt lgkmcnt(0)
	ds_read2_b64 v[2:5], v80 offset1:1
	ds_read2_b64 v[12:15], v80 offset0:2 offset1:3
	ds_read2_b64 v[18:21], v80 offset0:4 offset1:5
	;; [unrolled: 1-line block ×8, first 2 shown]
	ds_read_b64 v[6:7], v80 offset:144
	s_waitcnt lgkmcnt(9)
	v_pk_mov_b32 v[8:9], v[4:5], v[4:5] op_sel:[0,1]
.LBB698_59:
	s_waitcnt lgkmcnt(0)
	v_pk_mov_b32 v[10:11], s[4:5], s[4:5] op_sel:[0,1]
	v_mov_b32_e32 v122, s66
	s_and_saveexec_b64 s[2:3], s[8:9]
; %bb.60:
	v_cmp_ne_u64_e32 vcc, 0, v[92:93]
	v_cndmask_b32_e64 v122, 0, 1, vcc
	v_pk_mov_b32 v[4:5], v[56:57], v[56:57] op_sel:[0,1]
	v_pk_mov_b32 v[10:11], v[6:7], v[6:7] op_sel:[0,1]
; %bb.61:
	s_or_b64 exec, exec, s[2:3]
	v_or_b32_e32 v6, v122, v105
	s_cmp_lg_u32 s6, 0
	v_or_b32_e32 v124, v6, v120
	v_mbcnt_lo_u32_b32 v123, -1, 0
	s_waitcnt lgkmcnt(0)
	; wave barrier
	s_cbranch_scc0 .LBB698_181
; %bb.62:
	v_mov_b32_e32 v6, 0
	v_cmp_eq_u16_sdwa s[38:39], v104, v6 src0_sel:BYTE_0 src1_sel:DWORD
	v_cndmask_b32_e64 v17, 0, v2, s[38:39]
	v_cndmask_b32_e64 v7, 0, v3, s[38:39]
	v_add_co_u32_e32 v17, vcc, v17, v8
	v_cmp_eq_u16_sdwa s[36:37], v106, v6 src0_sel:BYTE_0 src1_sel:DWORD
	v_addc_co_u32_e32 v7, vcc, v7, v9, vcc
	v_cndmask_b32_e64 v17, 0, v17, s[36:37]
	v_cndmask_b32_e64 v7, 0, v7, s[36:37]
	v_add_co_u32_e32 v17, vcc, v17, v12
	v_cmp_eq_u16_sdwa s[34:35], v107, v6 src0_sel:BYTE_0 src1_sel:DWORD
	v_addc_co_u32_e32 v7, vcc, v7, v13, vcc
	;; [unrolled: 5-line block ×16, first 2 shown]
	v_cndmask_b32_e64 v17, 0, v17, s[4:5]
	v_add_co_u32_e32 v17, vcc, v17, v4
	v_cmp_eq_u16_sdwa s[2:3], v122, v6 src0_sel:BYTE_0 src1_sel:DWORD
	v_cndmask_b32_e64 v6, 0, v17, s[2:3]
	v_or_b32_e32 v17, v124, v119
	v_or_b32_e32 v17, v17, v118
	;; [unrolled: 1-line block ×12, first 2 shown]
	v_cndmask_b32_e64 v7, 0, v7, s[4:5]
	v_or_b32_e32 v17, v17, v107
	v_addc_co_u32_e32 v7, vcc, v7, v5, vcc
	v_or_b32_e32 v17, v17, v106
	v_cndmask_b32_e64 v7, 0, v7, s[2:3]
	v_add_co_u32_e32 v6, vcc, v6, v10
	v_or_b32_e32 v17, v17, v104
	v_addc_co_u32_e32 v7, vcc, v7, v11, vcc
	v_and_b32_e32 v17, 1, v17
	v_and_b32_e32 v16, 0xff, v1
	v_cmp_eq_u32_e32 vcc, 1, v17
	v_mbcnt_hi_u32_b32 v17, -1, v123
	v_cndmask_b32_e64 v16, v16, 1, vcc
	v_and_b32_e32 v22, 15, v17
	v_mov_b32_dpp v28, v6 row_shr:1 row_mask:0xf bank_mask:0xf
	v_mov_b32_dpp v29, v7 row_shr:1 row_mask:0xf bank_mask:0xf
	;; [unrolled: 1-line block ×3, first 2 shown]
	v_cmp_ne_u32_e32 vcc, 0, v22
	s_and_saveexec_b64 s[40:41], vcc
; %bb.63:
	v_cmp_eq_u32_e32 vcc, 0, v16
	v_cndmask_b32_e32 v28, 0, v28, vcc
	v_cndmask_b32_e32 v29, 0, v29, vcc
	v_add_co_u32_e32 v6, vcc, v28, v6
	v_addc_co_u32_e32 v7, vcc, v29, v7, vcc
	v_and_or_b32 v16, v23, 1, v16
; %bb.64:
	s_or_b64 exec, exec, s[40:41]
	v_mov_b32_dpp v28, v6 row_shr:2 row_mask:0xf bank_mask:0xf
	v_mov_b32_dpp v29, v7 row_shr:2 row_mask:0xf bank_mask:0xf
	v_mov_b32_dpp v23, v16 row_shr:2 row_mask:0xf bank_mask:0xf
	v_cmp_lt_u32_e32 vcc, 1, v22
	s_and_saveexec_b64 s[40:41], vcc
; %bb.65:
	v_cmp_eq_u32_e32 vcc, 0, v16
	v_cndmask_b32_e32 v28, 0, v28, vcc
	v_cndmask_b32_e32 v29, 0, v29, vcc
	v_add_co_u32_e32 v6, vcc, v28, v6
	v_or_b32_e32 v16, v23, v16
	v_addc_co_u32_e32 v7, vcc, v29, v7, vcc
	v_and_b32_e32 v16, 1, v16
; %bb.66:
	s_or_b64 exec, exec, s[40:41]
	v_mov_b32_dpp v28, v6 row_shr:4 row_mask:0xf bank_mask:0xf
	v_mov_b32_dpp v29, v7 row_shr:4 row_mask:0xf bank_mask:0xf
	v_mov_b32_dpp v23, v16 row_shr:4 row_mask:0xf bank_mask:0xf
	v_cmp_lt_u32_e32 vcc, 3, v22
	s_and_saveexec_b64 s[40:41], vcc
; %bb.67:
	v_cmp_eq_u32_e32 vcc, 0, v16
	v_cndmask_b32_e32 v28, 0, v28, vcc
	v_cndmask_b32_e32 v29, 0, v29, vcc
	v_add_co_u32_e32 v6, vcc, v28, v6
	v_or_b32_e32 v16, v23, v16
	v_addc_co_u32_e32 v7, vcc, v29, v7, vcc
	v_and_b32_e32 v16, 1, v16
	;; [unrolled: 15-line block ×3, first 2 shown]
; %bb.70:
	s_or_b64 exec, exec, s[40:41]
	v_and_b32_e32 v29, 16, v17
	v_mov_b32_dpp v23, v6 row_bcast:15 row_mask:0xf bank_mask:0xf
	v_mov_b32_dpp v28, v7 row_bcast:15 row_mask:0xf bank_mask:0xf
	;; [unrolled: 1-line block ×3, first 2 shown]
	v_cmp_ne_u32_e32 vcc, 0, v29
	s_and_saveexec_b64 s[40:41], vcc
; %bb.71:
	v_cmp_eq_u32_e32 vcc, 0, v16
	v_cndmask_b32_e32 v23, 0, v23, vcc
	v_cndmask_b32_e32 v28, 0, v28, vcc
	v_add_co_u32_e32 v6, vcc, v23, v6
	v_or_b32_e32 v16, v22, v16
	v_addc_co_u32_e32 v7, vcc, v28, v7, vcc
	v_and_b32_e32 v16, 1, v16
; %bb.72:
	s_or_b64 exec, exec, s[40:41]
	v_mov_b32_dpp v28, v6 row_bcast:31 row_mask:0xf bank_mask:0xf
	v_mov_b32_dpp v29, v7 row_bcast:31 row_mask:0xf bank_mask:0xf
	;; [unrolled: 1-line block ×3, first 2 shown]
	v_cmp_lt_u32_e32 vcc, 31, v17
	v_mov_b32_e32 v22, v16
	s_and_saveexec_b64 s[40:41], vcc
; %bb.73:
	v_cmp_eq_u32_e32 vcc, 0, v16
	v_cndmask_b32_e32 v28, 0, v28, vcc
	v_cndmask_b32_e32 v22, 0, v29, vcc
	v_add_co_u32_e32 v6, vcc, v28, v6
	v_or_b32_e32 v16, v23, v16
	v_addc_co_u32_e32 v7, vcc, v22, v7, vcc
	v_and_b32_e32 v22, 1, v16
	v_and_b32_e32 v16, 1, v16
; %bb.74:
	s_or_b64 exec, exec, s[40:41]
	v_cmp_eq_u32_e32 vcc, 63, v0
	s_and_saveexec_b64 s[40:41], vcc
	s_cbranch_execz .LBB698_76
; %bb.75:
	v_mov_b32_e32 v23, 0
	ds_write_b64 v23, v[6:7]
	ds_write_b8 v23, v22 offset:8
.LBB698_76:
	s_or_b64 exec, exec, s[40:41]
	v_add_u32_e32 v22, -1, v17
	v_and_b32_e32 v23, 64, v17
	v_cmp_lt_i32_e32 vcc, v22, v23
	v_cndmask_b32_e32 v22, v22, v17, vcc
	v_lshlrev_b32_e32 v22, 2, v22
	ds_bpermute_b32 v41, v22, v6
	ds_bpermute_b32 v46, v22, v7
	;; [unrolled: 1-line block ×3, first 2 shown]
	v_cmp_gt_u32_e32 vcc, 64, v0
	s_waitcnt lgkmcnt(0)
	; wave barrier
	s_waitcnt lgkmcnt(0)
	s_and_saveexec_b64 s[56:57], vcc
	s_cbranch_execz .LBB698_123
; %bb.77:
	v_mov_b32_e32 v23, 0
	ds_read_b64 v[6:7], v23
	ds_read_u8 v47, v23 offset:8
	s_mov_b32 s67, 0
	v_cmp_eq_u32_e64 s[40:41], 0, v17
	s_and_saveexec_b64 s[44:45], s[40:41]
	s_cbranch_execz .LBB698_79
; %bb.78:
	s_add_i32 s66, s6, 64
	s_lshl_b64 s[68:69], s[66:67], 4
	s_add_u32 s68, s48, s68
	s_addc_u32 s69, s49, s69
	v_mov_b32_e32 v16, s66
	v_mov_b32_e32 v22, 1
	s_waitcnt lgkmcnt(1)
	global_store_dwordx2 v23, v[6:7], s[68:69]
	s_waitcnt lgkmcnt(0)
	global_store_byte v23, v47, s[68:69] offset:8
	s_waitcnt vmcnt(0)
	buffer_wbinvl1_vol
	global_store_byte v16, v22, s[52:53]
.LBB698_79:
	s_or_b64 exec, exec, s[44:45]
	v_xad_u32 v16, v17, -1, s6
	v_add_u32_e32 v22, 64, v16
	global_load_ubyte v52, v22, s[52:53] glc
	s_waitcnt vmcnt(0)
	v_cmp_eq_u16_e32 vcc, 0, v52
	s_and_saveexec_b64 s[44:45], vcc
	s_cbranch_execz .LBB698_85
; %bb.80:
	v_mov_b32_e32 v29, s53
	v_add_co_u32_e32 v28, vcc, s52, v22
	v_addc_co_u32_e32 v29, vcc, 0, v29, vcc
	s_mov_b32 s7, 1
	s_mov_b64 s[66:67], 0
.LBB698_81:                             ; =>This Loop Header: Depth=1
                                        ;     Child Loop BB698_82 Depth 2
	s_max_u32 s55, s7, 1
.LBB698_82:                             ;   Parent Loop BB698_81 Depth=1
                                        ; =>  This Inner Loop Header: Depth=2
	s_add_i32 s55, s55, -1
	s_cmp_eq_u32 s55, 0
	s_sleep 1
	s_cbranch_scc0 .LBB698_82
; %bb.83:                               ;   in Loop: Header=BB698_81 Depth=1
	global_load_ubyte v52, v[28:29], off glc
	s_cmp_lt_u32 s7, 32
	s_cselect_b64 s[68:69], -1, 0
	s_cmp_lg_u64 s[68:69], 0
	s_addc_u32 s7, s7, 0
	s_waitcnt vmcnt(0)
	v_cmp_ne_u16_e32 vcc, 0, v52
	s_or_b64 s[66:67], vcc, s[66:67]
	s_andn2_b64 exec, exec, s[66:67]
	s_cbranch_execnz .LBB698_81
; %bb.84:
	s_or_b64 exec, exec, s[66:67]
.LBB698_85:
	s_or_b64 exec, exec, s[44:45]
	v_mov_b32_e32 v28, s51
	v_mov_b32_e32 v29, s49
	v_cmp_eq_u16_e32 vcc, 1, v52
	v_cndmask_b32_e32 v28, v28, v29, vcc
	v_mov_b32_e32 v29, s50
	v_mov_b32_e32 v34, s48
	v_cndmask_b32_e32 v29, v29, v34, vcc
	v_lshlrev_b64 v[22:23], 4, v[22:23]
	v_add_co_u32_e32 v22, vcc, v29, v22
	v_addc_co_u32_e32 v23, vcc, v28, v23, vcc
	s_waitcnt lgkmcnt(0)
	buffer_wbinvl1_vol
	global_load_dwordx2 v[34:35], v[22:23], off
	global_load_ubyte v69, v[22:23], off offset:8
	v_cmp_eq_u16_e32 vcc, 2, v52
	v_lshlrev_b64 v[22:23], v17, -1
	v_and_b32_e32 v53, 63, v17
	v_and_b32_e32 v28, vcc_hi, v23
	v_and_b32_e32 v60, vcc_lo, v22
	v_cmp_ne_u32_e32 vcc, 63, v53
	v_addc_co_u32_e32 v29, vcc, 0, v17, vcc
	v_lshlrev_b32_e32 v56, 2, v29
	v_or_b32_e32 v28, 0x80000000, v28
	v_ffbl_b32_e32 v28, v28
	v_add_u32_e32 v28, 32, v28
	v_ffbl_b32_e32 v60, v60
	v_min_u32_e32 v28, v60, v28
	v_cmp_lt_u32_e32 vcc, v53, v28
	s_waitcnt vmcnt(1)
	ds_bpermute_b32 v58, v56, v34
	s_waitcnt vmcnt(0)
	v_and_b32_e32 v29, 1, v69
	ds_bpermute_b32 v59, v56, v35
	ds_bpermute_b32 v57, v56, v29
	s_and_saveexec_b64 s[44:45], vcc
	s_cbranch_execz .LBB698_87
; %bb.86:
	v_mov_b32_e32 v29, 0
	v_cmp_eq_u16_sdwa vcc, v69, v29 src0_sel:BYTE_0 src1_sel:DWORD
	s_waitcnt lgkmcnt(2)
	v_cndmask_b32_e32 v58, 0, v58, vcc
	s_waitcnt lgkmcnt(1)
	v_cndmask_b32_e32 v29, 0, v59, vcc
	v_add_co_u32_e32 v34, vcc, v58, v34
	v_addc_co_u32_e32 v35, vcc, v29, v35, vcc
	s_waitcnt lgkmcnt(0)
	v_and_b32_e32 v29, 1, v57
	v_or_b32_e32 v69, v29, v69
	v_and_b32_e32 v29, 0xff, v69
.LBB698_87:
	s_or_b64 exec, exec, s[44:45]
	v_cmp_gt_u32_e32 vcc, 62, v53
	s_waitcnt lgkmcnt(0)
	v_cndmask_b32_e64 v57, 0, 1, vcc
	v_lshlrev_b32_e32 v57, 1, v57
	v_add_lshl_u32 v57, v57, v17, 2
	ds_bpermute_b32 v60, v57, v34
	ds_bpermute_b32 v61, v57, v35
	ds_bpermute_b32 v59, v57, v29
	v_add_u32_e32 v58, 2, v53
	v_cmp_le_u32_e32 vcc, v58, v28
	s_and_saveexec_b64 s[66:67], vcc
	s_cbranch_execz .LBB698_89
; %bb.88:
	v_mov_b32_e32 v29, 0
	v_cmp_eq_u16_sdwa vcc, v69, v29 src0_sel:BYTE_0 src1_sel:DWORD
	s_waitcnt lgkmcnt(2)
	v_cndmask_b32_e32 v60, 0, v60, vcc
	s_waitcnt lgkmcnt(1)
	v_cndmask_b32_e32 v29, 0, v61, vcc
	v_add_co_u32_e32 v34, vcc, v60, v34
	v_addc_co_u32_e32 v35, vcc, v29, v35, vcc
	v_and_b32_e32 v29, 1, v69
	v_cmp_eq_u32_e32 vcc, 1, v29
	s_waitcnt lgkmcnt(0)
	v_and_b32_e32 v29, 1, v59
	v_cmp_eq_u32_e64 s[44:45], 1, v29
	s_or_b64 s[44:45], vcc, s[44:45]
	v_cndmask_b32_e64 v69, 0, 1, s[44:45]
	v_cndmask_b32_e64 v29, 0, 1, s[44:45]
.LBB698_89:
	s_or_b64 exec, exec, s[66:67]
	v_cmp_gt_u32_e32 vcc, 60, v53
	s_waitcnt lgkmcnt(0)
	v_cndmask_b32_e64 v59, 0, 1, vcc
	v_lshlrev_b32_e32 v59, 2, v59
	v_add_lshl_u32 v59, v59, v17, 2
	ds_bpermute_b32 v62, v59, v34
	ds_bpermute_b32 v63, v59, v35
	ds_bpermute_b32 v61, v59, v29
	v_add_u32_e32 v60, 4, v53
	v_cmp_le_u32_e32 vcc, v60, v28
	s_and_saveexec_b64 s[66:67], vcc
	s_cbranch_execz .LBB698_91
; %bb.90:
	v_mov_b32_e32 v29, 0
	v_cmp_eq_u16_sdwa vcc, v69, v29 src0_sel:BYTE_0 src1_sel:DWORD
	s_waitcnt lgkmcnt(2)
	v_cndmask_b32_e32 v62, 0, v62, vcc
	s_waitcnt lgkmcnt(1)
	v_cndmask_b32_e32 v29, 0, v63, vcc
	v_add_co_u32_e32 v34, vcc, v62, v34
	v_addc_co_u32_e32 v35, vcc, v29, v35, vcc
	v_and_b32_e32 v29, 1, v69
	v_cmp_eq_u32_e32 vcc, 1, v29
	s_waitcnt lgkmcnt(0)
	v_and_b32_e32 v29, 1, v61
	v_cmp_eq_u32_e64 s[44:45], 1, v29
	s_or_b64 s[44:45], vcc, s[44:45]
	v_cndmask_b32_e64 v69, 0, 1, s[44:45]
	v_cndmask_b32_e64 v29, 0, 1, s[44:45]
.LBB698_91:
	;; [unrolled: 31-line block ×4, first 2 shown]
	s_or_b64 exec, exec, s[66:67]
	v_cmp_gt_u32_e32 vcc, 32, v53
	s_waitcnt lgkmcnt(0)
	v_cndmask_b32_e64 v65, 0, 1, vcc
	v_lshlrev_b32_e32 v65, 5, v65
	v_add_lshl_u32 v66, v65, v17, 2
	ds_bpermute_b32 v65, v66, v34
	ds_bpermute_b32 v68, v66, v35
	;; [unrolled: 1-line block ×3, first 2 shown]
	v_add_u32_e32 v67, 32, v53
	v_cmp_le_u32_e32 vcc, v67, v28
	s_and_saveexec_b64 s[66:67], vcc
	s_cbranch_execz .LBB698_97
; %bb.96:
	v_mov_b32_e32 v28, 0
	v_cmp_eq_u16_sdwa vcc, v69, v28 src0_sel:BYTE_0 src1_sel:DWORD
	s_waitcnt lgkmcnt(2)
	v_cndmask_b32_e32 v29, 0, v65, vcc
	s_waitcnt lgkmcnt(1)
	v_cndmask_b32_e32 v28, 0, v68, vcc
	v_add_co_u32_e32 v34, vcc, v29, v34
	v_addc_co_u32_e32 v35, vcc, v28, v35, vcc
	v_and_b32_e32 v28, 1, v69
	s_waitcnt lgkmcnt(0)
	v_and_b32_e32 v17, 1, v17
	v_cmp_eq_u32_e32 vcc, 1, v28
	v_cmp_eq_u32_e64 s[44:45], 1, v17
	s_or_b64 s[44:45], vcc, s[44:45]
	v_cndmask_b32_e64 v69, 0, 1, s[44:45]
.LBB698_97:
	s_or_b64 exec, exec, s[66:67]
	s_waitcnt lgkmcnt(0)
	v_mov_b32_e32 v17, 0
	v_mov_b32_e32 v68, 2
	s_branch .LBB698_99
.LBB698_98:                             ;   in Loop: Header=BB698_99 Depth=1
	s_or_b64 exec, exec, s[68:69]
	v_cmp_eq_u16_sdwa vcc, v65, v17 src0_sel:BYTE_0 src1_sel:DWORD
	v_cndmask_b32_e32 v34, 0, v34, vcc
	v_cndmask_b32_e32 v35, 0, v35, vcc
	v_add_co_u32_e32 v34, vcc, v34, v28
	v_addc_co_u32_e32 v35, vcc, v35, v29, vcc
	v_and_b32_e32 v69, 1, v65
	v_cmp_eq_u32_e32 vcc, 1, v69
	s_or_b64 s[44:45], vcc, s[66:67]
	v_subrev_u32_e32 v16, 64, v16
	v_cndmask_b32_e64 v69, 0, 1, s[44:45]
.LBB698_99:                             ; =>This Loop Header: Depth=1
                                        ;     Child Loop BB698_102 Depth 2
                                        ;       Child Loop BB698_103 Depth 3
	v_cmp_ne_u16_sdwa s[44:45], v52, v68 src0_sel:BYTE_0 src1_sel:DWORD
	v_cndmask_b32_e64 v28, 0, 1, s[44:45]
	;;#ASMSTART
	;;#ASMEND
	v_cmp_ne_u32_e32 vcc, 0, v28
	v_mov_b32_e32 v65, v69
	s_cmp_lg_u64 vcc, exec
	v_pk_mov_b32 v[28:29], v[34:35], v[34:35] op_sel:[0,1]
	s_cbranch_scc1 .LBB698_118
; %bb.100:                              ;   in Loop: Header=BB698_99 Depth=1
	global_load_ubyte v52, v16, s[52:53] glc
	s_waitcnt vmcnt(0)
	v_cmp_eq_u16_e32 vcc, 0, v52
	s_and_saveexec_b64 s[44:45], vcc
	s_cbranch_execz .LBB698_106
; %bb.101:                              ;   in Loop: Header=BB698_99 Depth=1
	v_mov_b32_e32 v35, s53
	v_add_co_u32_e32 v34, vcc, s52, v16
	v_addc_co_u32_e32 v35, vcc, 0, v35, vcc
	s_mov_b32 s7, 1
	s_mov_b64 s[66:67], 0
.LBB698_102:                            ;   Parent Loop BB698_99 Depth=1
                                        ; =>  This Loop Header: Depth=2
                                        ;       Child Loop BB698_103 Depth 3
	s_max_u32 s55, s7, 1
.LBB698_103:                            ;   Parent Loop BB698_99 Depth=1
                                        ;     Parent Loop BB698_102 Depth=2
                                        ; =>    This Inner Loop Header: Depth=3
	s_add_i32 s55, s55, -1
	s_cmp_eq_u32 s55, 0
	s_sleep 1
	s_cbranch_scc0 .LBB698_103
; %bb.104:                              ;   in Loop: Header=BB698_102 Depth=2
	global_load_ubyte v52, v[34:35], off glc
	s_cmp_lt_u32 s7, 32
	s_cselect_b64 s[68:69], -1, 0
	s_cmp_lg_u64 s[68:69], 0
	s_addc_u32 s7, s7, 0
	s_waitcnt vmcnt(0)
	v_cmp_ne_u16_e32 vcc, 0, v52
	s_or_b64 s[66:67], vcc, s[66:67]
	s_andn2_b64 exec, exec, s[66:67]
	s_cbranch_execnz .LBB698_102
; %bb.105:                              ;   in Loop: Header=BB698_99 Depth=1
	s_or_b64 exec, exec, s[66:67]
.LBB698_106:                            ;   in Loop: Header=BB698_99 Depth=1
	s_or_b64 exec, exec, s[44:45]
	v_mov_b32_e32 v34, s51
	v_mov_b32_e32 v35, s49
	v_cmp_eq_u16_e32 vcc, 1, v52
	v_cndmask_b32_e32 v69, v34, v35, vcc
	v_mov_b32_e32 v34, s50
	v_mov_b32_e32 v35, s48
	v_cndmask_b32_e32 v70, v34, v35, vcc
	v_lshlrev_b64 v[34:35], 4, v[16:17]
	v_add_co_u32_e32 v70, vcc, v70, v34
	s_waitcnt lgkmcnt(0)
	v_addc_co_u32_e32 v71, vcc, v69, v35, vcc
	buffer_wbinvl1_vol
	global_load_dwordx2 v[34:35], v[70:71], off
	global_load_ubyte v69, v[70:71], off offset:8
	v_cmp_eq_u16_e32 vcc, 2, v52
	v_and_b32_e32 v70, vcc_hi, v23
	v_or_b32_e32 v70, 0x80000000, v70
	v_and_b32_e32 v75, vcc_lo, v22
	v_ffbl_b32_e32 v70, v70
	v_add_u32_e32 v70, 32, v70
	v_ffbl_b32_e32 v75, v75
	v_min_u32_e32 v70, v75, v70
	v_cmp_lt_u32_e32 vcc, v53, v70
	s_waitcnt vmcnt(1)
	ds_bpermute_b32 v73, v56, v34
	s_waitcnt vmcnt(0)
	v_and_b32_e32 v71, 1, v69
	ds_bpermute_b32 v74, v56, v35
	ds_bpermute_b32 v72, v56, v71
	s_and_saveexec_b64 s[44:45], vcc
	s_cbranch_execz .LBB698_108
; %bb.107:                              ;   in Loop: Header=BB698_99 Depth=1
	v_cmp_eq_u16_sdwa vcc, v69, v17 src0_sel:BYTE_0 src1_sel:DWORD
	s_waitcnt lgkmcnt(2)
	v_cndmask_b32_e32 v73, 0, v73, vcc
	s_waitcnt lgkmcnt(1)
	v_cndmask_b32_e32 v71, 0, v74, vcc
	v_add_co_u32_e32 v34, vcc, v73, v34
	v_addc_co_u32_e32 v35, vcc, v71, v35, vcc
	s_waitcnt lgkmcnt(0)
	v_and_b32_e32 v71, 1, v72
	v_or_b32_e32 v69, v71, v69
	v_and_b32_e32 v71, 0xff, v69
.LBB698_108:                            ;   in Loop: Header=BB698_99 Depth=1
	s_or_b64 exec, exec, s[44:45]
	s_waitcnt lgkmcnt(2)
	ds_bpermute_b32 v73, v57, v34
	s_waitcnt lgkmcnt(2)
	ds_bpermute_b32 v74, v57, v35
	;; [unrolled: 2-line block ×3, first 2 shown]
	v_and_b32_e32 v75, 1, v69
	v_cmp_le_u32_e32 vcc, v58, v70
	v_cmp_eq_u32_e64 s[66:67], 1, v75
	s_and_saveexec_b64 s[44:45], vcc
	s_cbranch_execz .LBB698_110
; %bb.109:                              ;   in Loop: Header=BB698_99 Depth=1
	v_cmp_eq_u16_sdwa vcc, v69, v17 src0_sel:BYTE_0 src1_sel:DWORD
	s_waitcnt lgkmcnt(2)
	v_cndmask_b32_e32 v71, 0, v73, vcc
	s_waitcnt lgkmcnt(1)
	v_cndmask_b32_e32 v69, 0, v74, vcc
	v_add_co_u32_e32 v34, vcc, v71, v34
	v_addc_co_u32_e32 v35, vcc, v69, v35, vcc
	s_waitcnt lgkmcnt(0)
	v_and_b32_e32 v69, 1, v72
	v_cmp_eq_u32_e32 vcc, 1, v69
	s_or_b64 s[68:69], s[66:67], vcc
	v_cndmask_b32_e64 v69, 0, 1, s[68:69]
	v_cndmask_b32_e64 v71, 0, 1, s[68:69]
	s_andn2_b64 s[66:67], s[66:67], exec
	s_and_b64 s[68:69], s[68:69], exec
	s_or_b64 s[66:67], s[66:67], s[68:69]
.LBB698_110:                            ;   in Loop: Header=BB698_99 Depth=1
	s_or_b64 exec, exec, s[44:45]
	s_waitcnt lgkmcnt(2)
	ds_bpermute_b32 v73, v59, v34
	s_waitcnt lgkmcnt(2)
	ds_bpermute_b32 v74, v59, v35
	s_waitcnt lgkmcnt(2)
	ds_bpermute_b32 v72, v59, v71
	v_cmp_le_u32_e32 vcc, v60, v70
	s_and_saveexec_b64 s[68:69], vcc
	s_cbranch_execz .LBB698_112
; %bb.111:                              ;   in Loop: Header=BB698_99 Depth=1
	v_cmp_eq_u16_sdwa vcc, v69, v17 src0_sel:BYTE_0 src1_sel:DWORD
	s_waitcnt lgkmcnt(2)
	v_cndmask_b32_e32 v73, 0, v73, vcc
	s_waitcnt lgkmcnt(1)
	v_cndmask_b32_e32 v71, 0, v74, vcc
	v_add_co_u32_e32 v34, vcc, v73, v34
	v_addc_co_u32_e32 v35, vcc, v71, v35, vcc
	v_and_b32_e32 v69, 1, v69
	v_cmp_eq_u32_e32 vcc, 1, v69
	s_waitcnt lgkmcnt(0)
	v_and_b32_e32 v69, 1, v72
	v_cmp_eq_u32_e64 s[44:45], 1, v69
	s_or_b64 s[44:45], vcc, s[44:45]
	v_cndmask_b32_e64 v69, 0, 1, s[44:45]
	v_cndmask_b32_e64 v71, 0, 1, s[44:45]
	s_andn2_b64 s[66:67], s[66:67], exec
	s_and_b64 s[44:45], s[44:45], exec
	s_or_b64 s[66:67], s[66:67], s[44:45]
.LBB698_112:                            ;   in Loop: Header=BB698_99 Depth=1
	s_or_b64 exec, exec, s[68:69]
	s_waitcnt lgkmcnt(2)
	ds_bpermute_b32 v73, v61, v34
	s_waitcnt lgkmcnt(2)
	ds_bpermute_b32 v74, v61, v35
	s_waitcnt lgkmcnt(2)
	ds_bpermute_b32 v72, v61, v71
	v_cmp_le_u32_e32 vcc, v62, v70
	s_and_saveexec_b64 s[68:69], vcc
	s_cbranch_execz .LBB698_114
; %bb.113:                              ;   in Loop: Header=BB698_99 Depth=1
	v_cmp_eq_u16_sdwa vcc, v69, v17 src0_sel:BYTE_0 src1_sel:DWORD
	s_waitcnt lgkmcnt(2)
	v_cndmask_b32_e32 v73, 0, v73, vcc
	s_waitcnt lgkmcnt(1)
	v_cndmask_b32_e32 v71, 0, v74, vcc
	v_add_co_u32_e32 v34, vcc, v73, v34
	v_addc_co_u32_e32 v35, vcc, v71, v35, vcc
	v_and_b32_e32 v69, 1, v69
	v_cmp_eq_u32_e32 vcc, 1, v69
	s_waitcnt lgkmcnt(0)
	v_and_b32_e32 v69, 1, v72
	v_cmp_eq_u32_e64 s[44:45], 1, v69
	s_or_b64 s[44:45], vcc, s[44:45]
	v_cndmask_b32_e64 v69, 0, 1, s[44:45]
	v_cndmask_b32_e64 v71, 0, 1, s[44:45]
	s_andn2_b64 s[66:67], s[66:67], exec
	s_and_b64 s[44:45], s[44:45], exec
	s_or_b64 s[66:67], s[66:67], s[44:45]
.LBB698_114:                            ;   in Loop: Header=BB698_99 Depth=1
	;; [unrolled: 30-line block ×3, first 2 shown]
	s_or_b64 exec, exec, s[68:69]
	s_waitcnt lgkmcnt(0)
	ds_bpermute_b32 v72, v66, v34
	ds_bpermute_b32 v73, v66, v35
	;; [unrolled: 1-line block ×3, first 2 shown]
	v_cmp_le_u32_e32 vcc, v67, v70
	s_and_saveexec_b64 s[68:69], vcc
	s_cbranch_execz .LBB698_98
; %bb.117:                              ;   in Loop: Header=BB698_99 Depth=1
	v_cmp_eq_u16_sdwa vcc, v69, v17 src0_sel:BYTE_0 src1_sel:DWORD
	s_waitcnt lgkmcnt(2)
	v_cndmask_b32_e32 v72, 0, v72, vcc
	s_waitcnt lgkmcnt(1)
	v_cndmask_b32_e32 v70, 0, v73, vcc
	v_add_co_u32_e32 v34, vcc, v72, v34
	v_addc_co_u32_e32 v35, vcc, v70, v35, vcc
	v_and_b32_e32 v69, 1, v69
	v_cmp_eq_u32_e32 vcc, 1, v69
	s_waitcnt lgkmcnt(0)
	v_and_b32_e32 v69, 1, v71
	v_cmp_eq_u32_e64 s[44:45], 1, v69
	s_or_b64 s[44:45], vcc, s[44:45]
	s_andn2_b64 s[66:67], s[66:67], exec
	s_and_b64 s[44:45], s[44:45], exec
	s_or_b64 s[66:67], s[66:67], s[44:45]
	s_branch .LBB698_98
.LBB698_118:                            ;   in Loop: Header=BB698_99 Depth=1
                                        ; implicit-def: $vgpr69
                                        ; implicit-def: $vgpr34_vgpr35
                                        ; implicit-def: $vgpr52
	s_cbranch_execz .LBB698_99
; %bb.119:
	s_and_saveexec_b64 s[44:45], s[40:41]
	s_cbranch_execz .LBB698_121
; %bb.120:
	v_mov_b32_e32 v16, 0
	s_mov_b32 s7, 0
	v_cmp_eq_u16_sdwa vcc, v47, v16 src0_sel:BYTE_0 src1_sel:DWORD
	s_add_i32 s6, s6, 64
	v_cndmask_b32_e32 v22, 0, v28, vcc
	s_lshl_b64 s[40:41], s[6:7], 4
	v_cndmask_b32_e32 v17, 0, v29, vcc
	v_add_co_u32_e32 v6, vcc, v22, v6
	s_add_u32 s40, s50, s40
	v_addc_co_u32_e32 v7, vcc, v17, v7, vcc
	v_or_b32_e32 v17, v47, v65
	s_addc_u32 s41, s51, s41
	v_and_b32_e32 v17, 1, v17
	global_store_dwordx2 v16, v[6:7], s[40:41]
	global_store_byte v16, v17, s[40:41] offset:8
	v_mov_b32_e32 v6, s6
	v_mov_b32_e32 v7, 2
	s_waitcnt vmcnt(0) lgkmcnt(0)
	buffer_wbinvl1_vol
	global_store_byte v6, v7, s[52:53]
.LBB698_121:
	s_or_b64 exec, exec, s[44:45]
	v_cmp_eq_u32_e32 vcc, 0, v0
	s_and_b64 exec, exec, vcc
	s_cbranch_execz .LBB698_123
; %bb.122:
	v_mov_b32_e32 v6, 0
	ds_write_b64 v6, v[28:29]
	ds_write_b8 v6, v65 offset:8
.LBB698_123:
	s_or_b64 exec, exec, s[56:57]
	v_mov_b32_e32 v16, 0
	v_cmp_eq_u16_sdwa vcc, v1, v16 src0_sel:BYTE_0 src1_sel:DWORD
	v_and_b32_e32 v23, 1, v1
	v_cndmask_b32_e32 v17, 0, v41, vcc
	v_cndmask_b32_e32 v22, 0, v46, vcc
	v_cmp_eq_u32_e32 vcc, 1, v23
	v_and_b32_e32 v23, 1, v40
	v_cmp_eq_u32_e64 s[6:7], 1, v23
	s_waitcnt lgkmcnt(0)
	; wave barrier
	s_waitcnt lgkmcnt(0)
	ds_read_b64 v[6:7], v16
	s_or_b64 s[6:7], vcc, s[6:7]
	v_cmp_eq_u32_e32 vcc, 0, v0
	v_cndmask_b32_e64 v23, 0, 1, s[6:7]
	v_cndmask_b32_e64 v17, v17, 0, vcc
	v_cndmask_b32_e32 v23, v23, v1, vcc
	v_cndmask_b32_e64 v22, v22, 0, vcc
	v_add_co_u32_e32 v17, vcc, v17, v2
	v_addc_co_u32_e32 v22, vcc, v22, v3, vcc
	v_cmp_eq_u16_sdwa vcc, v23, v16 src0_sel:BYTE_0 src1_sel:DWORD
	s_waitcnt lgkmcnt(0)
	v_cndmask_b32_e32 v6, 0, v6, vcc
	v_cndmask_b32_e32 v7, 0, v7, vcc
	v_add_co_u32_e32 v86, vcc, v17, v6
	v_addc_co_u32_e32 v87, vcc, v22, v7, vcc
	v_cndmask_b32_e64 v7, 0, v86, s[38:39]
	v_cndmask_b32_e64 v6, 0, v87, s[38:39]
	v_add_co_u32_e32 v40, vcc, v7, v8
	v_addc_co_u32_e32 v41, vcc, v6, v9, vcc
	v_cndmask_b32_e64 v7, 0, v40, s[36:37]
	v_cndmask_b32_e64 v6, 0, v41, s[36:37]
	;; [unrolled: 4-line block ×18, first 2 shown]
	v_add_co_u32_e32 v102, vcc, v7, v10
	v_addc_co_u32_e32 v103, vcc, v6, v11, vcc
	s_branch .LBB698_203
.LBB698_124:
	s_or_b64 exec, exec, s[42:43]
                                        ; implicit-def: $vgpr4_vgpr5
	s_and_saveexec_b64 s[42:43], s[2:3]
	s_cbranch_execz .LBB698_41
.LBB698_125:
	v_mov_b32_e32 v5, s55
	v_add_co_u32_e32 v4, vcc, s7, v50
	v_addc_co_u32_e32 v5, vcc, 0, v5, vcc
	flat_load_dwordx2 v[4:5], v[4:5] offset:512
	s_or_b64 exec, exec, s[42:43]
                                        ; implicit-def: $vgpr6_vgpr7
	s_and_saveexec_b64 s[2:3], s[4:5]
	s_cbranch_execnz .LBB698_42
.LBB698_126:
	s_or_b64 exec, exec, s[2:3]
                                        ; implicit-def: $vgpr8_vgpr9
	s_and_saveexec_b64 s[2:3], s[40:41]
	s_cbranch_execz .LBB698_43
.LBB698_127:
	v_mov_b32_e32 v9, s55
	v_add_co_u32_e32 v8, vcc, s7, v50
	v_addc_co_u32_e32 v9, vcc, 0, v9, vcc
	flat_load_dwordx2 v[8:9], v[8:9] offset:1536
	s_or_b64 exec, exec, s[2:3]
                                        ; implicit-def: $vgpr10_vgpr11
	s_and_saveexec_b64 s[2:3], s[8:9]
	s_cbranch_execnz .LBB698_44
.LBB698_128:
	s_or_b64 exec, exec, s[2:3]
                                        ; implicit-def: $vgpr12_vgpr13
	s_and_saveexec_b64 s[2:3], s[10:11]
	s_cbranch_execz .LBB698_45
.LBB698_129:
	v_mov_b32_e32 v13, s55
	v_add_co_u32_e32 v12, vcc, s7, v50
	v_addc_co_u32_e32 v13, vcc, 0, v13, vcc
	flat_load_dwordx2 v[12:13], v[12:13] offset:2560
	s_or_b64 exec, exec, s[2:3]
                                        ; implicit-def: $vgpr14_vgpr15
	s_and_saveexec_b64 s[2:3], s[12:13]
	s_cbranch_execnz .LBB698_46
.LBB698_130:
	s_or_b64 exec, exec, s[2:3]
                                        ; implicit-def: $vgpr16_vgpr17
	s_and_saveexec_b64 s[2:3], s[14:15]
	s_cbranch_execz .LBB698_47
.LBB698_131:
	v_mov_b32_e32 v17, s55
	v_add_co_u32_e32 v16, vcc, s7, v50
	v_addc_co_u32_e32 v17, vcc, 0, v17, vcc
	flat_load_dwordx2 v[16:17], v[16:17] offset:3584
	s_or_b64 exec, exec, s[2:3]
                                        ; implicit-def: $vgpr18_vgpr19
	s_and_saveexec_b64 s[2:3], s[16:17]
	s_cbranch_execnz .LBB698_48
.LBB698_132:
	s_or_b64 exec, exec, s[2:3]
                                        ; implicit-def: $vgpr20_vgpr21
	s_and_saveexec_b64 s[2:3], s[18:19]
	s_cbranch_execz .LBB698_49
.LBB698_133:
	v_lshlrev_b32_e32 v1, 3, v40
	v_mov_b32_e32 v21, s55
	v_add_co_u32_e32 v20, vcc, s7, v1
	v_addc_co_u32_e32 v21, vcc, 0, v21, vcc
	flat_load_dwordx2 v[20:21], v[20:21]
	s_or_b64 exec, exec, s[2:3]
                                        ; implicit-def: $vgpr22_vgpr23
	s_and_saveexec_b64 s[2:3], s[20:21]
	s_cbranch_execnz .LBB698_50
.LBB698_134:
	s_or_b64 exec, exec, s[2:3]
                                        ; implicit-def: $vgpr24_vgpr25
	s_and_saveexec_b64 s[2:3], s[22:23]
	s_cbranch_execz .LBB698_51
.LBB698_135:
	v_lshlrev_b32_e32 v1, 3, v42
	v_mov_b32_e32 v25, s55
	v_add_co_u32_e32 v24, vcc, s7, v1
	v_addc_co_u32_e32 v25, vcc, 0, v25, vcc
	flat_load_dwordx2 v[24:25], v[24:25]
	s_or_b64 exec, exec, s[2:3]
                                        ; implicit-def: $vgpr26_vgpr27
	s_and_saveexec_b64 s[2:3], s[24:25]
	s_cbranch_execnz .LBB698_52
.LBB698_136:
	s_or_b64 exec, exec, s[2:3]
                                        ; implicit-def: $vgpr28_vgpr29
	s_and_saveexec_b64 s[2:3], s[26:27]
	s_cbranch_execz .LBB698_53
.LBB698_137:
	v_lshlrev_b32_e32 v1, 3, v44
	v_mov_b32_e32 v29, s55
	v_add_co_u32_e32 v28, vcc, s7, v1
	v_addc_co_u32_e32 v29, vcc, 0, v29, vcc
	flat_load_dwordx2 v[28:29], v[28:29]
	s_or_b64 exec, exec, s[2:3]
                                        ; implicit-def: $vgpr30_vgpr31
	s_and_saveexec_b64 s[2:3], s[28:29]
	s_cbranch_execnz .LBB698_54
.LBB698_138:
	s_or_b64 exec, exec, s[2:3]
                                        ; implicit-def: $vgpr32_vgpr33
	s_and_saveexec_b64 s[2:3], s[30:31]
	s_cbranch_execz .LBB698_55
.LBB698_139:
	v_lshlrev_b32_e32 v1, 3, v46
	v_mov_b32_e32 v33, s55
	v_add_co_u32_e32 v32, vcc, s7, v1
	v_addc_co_u32_e32 v33, vcc, 0, v33, vcc
	flat_load_dwordx2 v[32:33], v[32:33]
	s_or_b64 exec, exec, s[2:3]
                                        ; implicit-def: $vgpr34_vgpr35
	s_and_saveexec_b64 s[2:3], s[34:35]
	s_cbranch_execnz .LBB698_56
.LBB698_140:
	s_or_b64 exec, exec, s[2:3]
                                        ; implicit-def: $vgpr36_vgpr37
	s_and_saveexec_b64 s[2:3], s[36:37]
	s_cbranch_execz .LBB698_142
.LBB698_141:
	v_lshlrev_b32_e32 v1, 3, v48
	v_mov_b32_e32 v37, s55
	v_add_co_u32_e32 v36, vcc, s7, v1
	v_addc_co_u32_e32 v37, vcc, 0, v37, vcc
	flat_load_dwordx2 v[36:37], v[36:37]
.LBB698_142:
	s_or_b64 exec, exec, s[2:3]
	v_mul_u32_u24_e32 v95, 19, v0
                                        ; implicit-def: $vgpr38_vgpr39
	s_and_saveexec_b64 s[2:3], s[38:39]
	s_cbranch_execz .LBB698_144
; %bb.143:
	v_lshlrev_b32_e32 v1, 3, v49
	v_mov_b32_e32 v39, s55
	v_add_co_u32_e32 v38, vcc, s7, v1
	v_addc_co_u32_e32 v39, vcc, 0, v39, vcc
	flat_load_dwordx2 v[38:39], v[38:39]
.LBB698_144:
	s_or_b64 exec, exec, s[2:3]
	s_waitcnt vmcnt(0) lgkmcnt(0)
	ds_write2st64_b64 v50, v[2:3], v[4:5] offset1:1
	ds_write2st64_b64 v50, v[6:7], v[8:9] offset0:2 offset1:3
	ds_write2st64_b64 v50, v[10:11], v[12:13] offset0:4 offset1:5
	;; [unrolled: 1-line block ×8, first 2 shown]
	ds_write_b64 v50, v[38:39] offset:9216
	v_pk_mov_b32 v[4:5], 0, 0
	v_cmp_gt_u32_e32 vcc, s67, v95
	s_mov_b64 s[8:9], 0
	s_mov_b64 s[2:3], 0
	s_mov_b32 s66, 0
	v_mov_b32_e32 v105, 0
	v_mov_b32_e32 v120, 0
	v_pk_mov_b32 v[54:55], v[4:5], v[4:5] op_sel:[0,1]
	v_mov_b32_e32 v119, 0
	v_pk_mov_b32 v[50:51], v[4:5], v[4:5] op_sel:[0,1]
	;; [unrolled: 2-line block ×17, first 2 shown]
	s_waitcnt lgkmcnt(0)
	; wave barrier
	s_waitcnt lgkmcnt(0)
	s_and_saveexec_b64 s[4:5], vcc
	s_cbranch_execz .LBB698_180
; %bb.145:
	ds_read_b64 v[2:3], v94
	v_add_u32_e32 v4, 1, v95
	v_cmp_ne_u64_e32 vcc, 0, v[88:89]
	v_cndmask_b32_e64 v1, 0, 1, vcc
	v_cmp_gt_u32_e32 vcc, s67, v4
	v_pk_mov_b32 v[4:5], 0, 0
	s_mov_b64 s[10:11], 0
	v_mov_b32_e32 v105, 0
	v_mov_b32_e32 v120, 0
	v_pk_mov_b32 v[54:55], v[4:5], v[4:5] op_sel:[0,1]
	v_mov_b32_e32 v119, 0
	v_pk_mov_b32 v[50:51], v[4:5], v[4:5] op_sel:[0,1]
	;; [unrolled: 2-line block ×16, first 2 shown]
	s_and_saveexec_b64 s[8:9], vcc
	s_cbranch_execz .LBB698_179
; %bb.146:
	ds_read2_b64 v[8:11], v94 offset0:1 offset1:2
	v_add_u32_e32 v4, 2, v95
	v_cmp_ne_u64_e32 vcc, 0, v[90:91]
	v_cndmask_b32_e64 v104, 0, 1, vcc
	v_cmp_gt_u32_e32 vcc, s67, v4
	v_pk_mov_b32 v[4:5], 0, 0
	s_mov_b64 s[12:13], 0
	v_mov_b32_e32 v105, 0
	v_mov_b32_e32 v120, 0
	v_pk_mov_b32 v[54:55], v[4:5], v[4:5] op_sel:[0,1]
	v_mov_b32_e32 v119, 0
	v_pk_mov_b32 v[50:51], v[4:5], v[4:5] op_sel:[0,1]
	;; [unrolled: 2-line block ×15, first 2 shown]
	s_and_saveexec_b64 s[10:11], vcc
	s_cbranch_execz .LBB698_178
; %bb.147:
	v_add_u32_e32 v4, 3, v95
	v_cmp_ne_u64_e32 vcc, 0, v[84:85]
	v_cndmask_b32_e64 v106, 0, 1, vcc
	v_cmp_gt_u32_e32 vcc, s67, v4
	v_pk_mov_b32 v[4:5], 0, 0
	s_waitcnt lgkmcnt(0)
	v_mov_b32_e32 v12, v10
	v_mov_b32_e32 v13, v11
	s_mov_b64 s[14:15], 0
	v_mov_b32_e32 v105, 0
	v_mov_b32_e32 v120, 0
	v_pk_mov_b32 v[54:55], v[4:5], v[4:5] op_sel:[0,1]
	v_mov_b32_e32 v119, 0
	v_pk_mov_b32 v[50:51], v[4:5], v[4:5] op_sel:[0,1]
	;; [unrolled: 2-line block ×14, first 2 shown]
	s_and_saveexec_b64 s[12:13], vcc
	s_cbranch_execz .LBB698_177
; %bb.148:
	ds_read2_b64 v[14:17], v94 offset0:3 offset1:4
	v_add_u32_e32 v4, 4, v95
	v_cmp_ne_u64_e32 vcc, 0, v[86:87]
	v_cndmask_b32_e64 v107, 0, 1, vcc
	v_cmp_gt_u32_e32 vcc, s67, v4
	v_pk_mov_b32 v[4:5], 0, 0
	s_mov_b64 s[16:17], 0
	v_mov_b32_e32 v105, 0
	v_mov_b32_e32 v120, 0
	v_pk_mov_b32 v[54:55], v[4:5], v[4:5] op_sel:[0,1]
	v_mov_b32_e32 v119, 0
	v_pk_mov_b32 v[50:51], v[4:5], v[4:5] op_sel:[0,1]
	;; [unrolled: 2-line block ×13, first 2 shown]
	s_and_saveexec_b64 s[14:15], vcc
	s_cbranch_execz .LBB698_176
; %bb.149:
	v_add_u32_e32 v4, 5, v95
	v_cmp_ne_u64_e32 vcc, 0, v[80:81]
	v_cndmask_b32_e64 v108, 0, 1, vcc
	v_cmp_gt_u32_e32 vcc, s67, v4
	v_pk_mov_b32 v[4:5], 0, 0
	s_waitcnt lgkmcnt(0)
	v_mov_b32_e32 v18, v16
	v_mov_b32_e32 v19, v17
	s_mov_b64 s[18:19], 0
	v_mov_b32_e32 v105, 0
	v_mov_b32_e32 v120, 0
	v_pk_mov_b32 v[54:55], v[4:5], v[4:5] op_sel:[0,1]
	v_mov_b32_e32 v119, 0
	v_pk_mov_b32 v[50:51], v[4:5], v[4:5] op_sel:[0,1]
	;; [unrolled: 2-line block ×12, first 2 shown]
	s_and_saveexec_b64 s[16:17], vcc
	s_cbranch_execz .LBB698_175
; %bb.150:
	ds_read2_b64 v[20:23], v94 offset0:5 offset1:6
	v_add_u32_e32 v4, 6, v95
	v_cmp_ne_u64_e32 vcc, 0, v[82:83]
	v_cndmask_b32_e64 v109, 0, 1, vcc
	v_cmp_gt_u32_e32 vcc, s67, v4
	v_pk_mov_b32 v[4:5], 0, 0
	s_mov_b64 s[20:21], 0
	v_mov_b32_e32 v105, 0
	v_mov_b32_e32 v120, 0
	v_pk_mov_b32 v[54:55], v[4:5], v[4:5] op_sel:[0,1]
	v_mov_b32_e32 v119, 0
	v_pk_mov_b32 v[50:51], v[4:5], v[4:5] op_sel:[0,1]
	;; [unrolled: 2-line block ×11, first 2 shown]
	s_and_saveexec_b64 s[18:19], vcc
	s_cbranch_execz .LBB698_174
; %bb.151:
	v_add_u32_e32 v4, 7, v95
	v_cmp_ne_u64_e32 vcc, 0, v[76:77]
	v_cndmask_b32_e64 v110, 0, 1, vcc
	v_cmp_gt_u32_e32 vcc, s67, v4
	v_pk_mov_b32 v[4:5], 0, 0
	s_waitcnt lgkmcnt(0)
	v_mov_b32_e32 v24, v22
	v_mov_b32_e32 v25, v23
	s_mov_b64 s[22:23], 0
	v_mov_b32_e32 v105, 0
	v_mov_b32_e32 v120, 0
	v_pk_mov_b32 v[54:55], v[4:5], v[4:5] op_sel:[0,1]
	v_mov_b32_e32 v119, 0
	v_pk_mov_b32 v[50:51], v[4:5], v[4:5] op_sel:[0,1]
	v_mov_b32_e32 v118, 0
	v_pk_mov_b32 v[48:49], v[4:5], v[4:5] op_sel:[0,1]
	v_mov_b32_e32 v117, 0
	v_pk_mov_b32 v[44:45], v[4:5], v[4:5] op_sel:[0,1]
	v_mov_b32_e32 v116, 0
	v_pk_mov_b32 v[42:43], v[4:5], v[4:5] op_sel:[0,1]
	v_mov_b32_e32 v115, 0
	v_pk_mov_b32 v[38:39], v[4:5], v[4:5] op_sel:[0,1]
	v_mov_b32_e32 v114, 0
	v_pk_mov_b32 v[36:37], v[4:5], v[4:5] op_sel:[0,1]
	v_mov_b32_e32 v113, 0
	v_pk_mov_b32 v[32:33], v[4:5], v[4:5] op_sel:[0,1]
	v_mov_b32_e32 v112, 0
	v_pk_mov_b32 v[30:31], v[4:5], v[4:5] op_sel:[0,1]
	v_mov_b32_e32 v111, 0
	v_pk_mov_b32 v[26:27], v[4:5], v[4:5] op_sel:[0,1]
	s_and_saveexec_b64 s[20:21], vcc
	s_cbranch_execz .LBB698_173
; %bb.152:
	ds_read2_b64 v[26:29], v94 offset0:7 offset1:8
	v_add_u32_e32 v4, 8, v95
	v_cmp_ne_u64_e32 vcc, 0, v[78:79]
	v_cndmask_b32_e64 v111, 0, 1, vcc
	v_cmp_gt_u32_e32 vcc, s67, v4
	v_pk_mov_b32 v[4:5], 0, 0
	s_mov_b64 s[24:25], 0
	v_mov_b32_e32 v105, 0
	v_mov_b32_e32 v120, 0
	v_pk_mov_b32 v[54:55], v[4:5], v[4:5] op_sel:[0,1]
	v_mov_b32_e32 v119, 0
	v_pk_mov_b32 v[50:51], v[4:5], v[4:5] op_sel:[0,1]
	;; [unrolled: 2-line block ×9, first 2 shown]
	s_and_saveexec_b64 s[22:23], vcc
	s_cbranch_execz .LBB698_172
; %bb.153:
	v_add_u32_e32 v4, 9, v95
	v_cmp_ne_u64_e32 vcc, 0, v[72:73]
	v_cndmask_b32_e64 v112, 0, 1, vcc
	v_cmp_gt_u32_e32 vcc, s67, v4
	v_pk_mov_b32 v[4:5], 0, 0
	s_waitcnt lgkmcnt(0)
	v_mov_b32_e32 v30, v28
	v_mov_b32_e32 v31, v29
	s_mov_b64 s[26:27], 0
	v_mov_b32_e32 v105, 0
	v_mov_b32_e32 v120, 0
	v_pk_mov_b32 v[54:55], v[4:5], v[4:5] op_sel:[0,1]
	v_mov_b32_e32 v119, 0
	v_pk_mov_b32 v[50:51], v[4:5], v[4:5] op_sel:[0,1]
	;; [unrolled: 2-line block ×8, first 2 shown]
	s_and_saveexec_b64 s[24:25], vcc
	s_cbranch_execz .LBB698_171
; %bb.154:
	ds_read2_b64 v[32:35], v94 offset0:9 offset1:10
	v_add_u32_e32 v4, 10, v95
	v_cmp_ne_u64_e32 vcc, 0, v[74:75]
	v_cndmask_b32_e64 v113, 0, 1, vcc
	v_cmp_gt_u32_e32 vcc, s67, v4
	v_pk_mov_b32 v[4:5], 0, 0
	s_mov_b64 s[28:29], 0
	v_mov_b32_e32 v105, 0
	v_mov_b32_e32 v120, 0
	v_pk_mov_b32 v[54:55], v[4:5], v[4:5] op_sel:[0,1]
	v_mov_b32_e32 v119, 0
	v_pk_mov_b32 v[50:51], v[4:5], v[4:5] op_sel:[0,1]
	;; [unrolled: 2-line block ×7, first 2 shown]
	s_and_saveexec_b64 s[26:27], vcc
	s_cbranch_execz .LBB698_170
; %bb.155:
	v_add_u32_e32 v4, 11, v95
	v_cmp_ne_u64_e32 vcc, 0, v[68:69]
	v_cndmask_b32_e64 v114, 0, 1, vcc
	v_cmp_gt_u32_e32 vcc, s67, v4
	v_pk_mov_b32 v[4:5], 0, 0
	s_waitcnt lgkmcnt(0)
	v_mov_b32_e32 v36, v34
	v_mov_b32_e32 v37, v35
	s_mov_b64 s[30:31], 0
	v_mov_b32_e32 v105, 0
	v_mov_b32_e32 v120, 0
	v_pk_mov_b32 v[54:55], v[4:5], v[4:5] op_sel:[0,1]
	v_mov_b32_e32 v119, 0
	v_pk_mov_b32 v[50:51], v[4:5], v[4:5] op_sel:[0,1]
	;; [unrolled: 2-line block ×6, first 2 shown]
	s_and_saveexec_b64 s[28:29], vcc
	s_cbranch_execz .LBB698_169
; %bb.156:
	ds_read2_b64 v[38:41], v94 offset0:11 offset1:12
	v_add_u32_e32 v4, 12, v95
	v_cmp_ne_u64_e32 vcc, 0, v[70:71]
	v_cndmask_b32_e64 v115, 0, 1, vcc
	v_cmp_gt_u32_e32 vcc, s67, v4
	v_pk_mov_b32 v[4:5], 0, 0
	s_mov_b64 s[34:35], 0
	v_mov_b32_e32 v105, 0
	v_mov_b32_e32 v120, 0
	v_pk_mov_b32 v[54:55], v[4:5], v[4:5] op_sel:[0,1]
	v_mov_b32_e32 v119, 0
	v_pk_mov_b32 v[50:51], v[4:5], v[4:5] op_sel:[0,1]
	;; [unrolled: 2-line block ×5, first 2 shown]
	s_and_saveexec_b64 s[30:31], vcc
	s_cbranch_execz .LBB698_168
; %bb.157:
	v_add_u32_e32 v4, 13, v95
	v_cmp_ne_u64_e32 vcc, 0, v[64:65]
	v_cndmask_b32_e64 v116, 0, 1, vcc
	v_cmp_gt_u32_e32 vcc, s67, v4
	v_pk_mov_b32 v[4:5], 0, 0
	s_waitcnt lgkmcnt(0)
	v_mov_b32_e32 v42, v40
	v_mov_b32_e32 v43, v41
	s_mov_b64 s[36:37], 0
	v_mov_b32_e32 v105, 0
	v_mov_b32_e32 v120, 0
	v_pk_mov_b32 v[54:55], v[4:5], v[4:5] op_sel:[0,1]
	v_mov_b32_e32 v119, 0
	v_pk_mov_b32 v[50:51], v[4:5], v[4:5] op_sel:[0,1]
	;; [unrolled: 2-line block ×4, first 2 shown]
	s_and_saveexec_b64 s[34:35], vcc
	s_cbranch_execz .LBB698_167
; %bb.158:
	ds_read2_b64 v[44:47], v94 offset0:13 offset1:14
	v_add_u32_e32 v4, 14, v95
	v_cmp_ne_u64_e32 vcc, 0, v[66:67]
	v_cndmask_b32_e64 v117, 0, 1, vcc
	v_cmp_gt_u32_e32 vcc, s67, v4
	v_pk_mov_b32 v[4:5], 0, 0
	s_mov_b64 s[38:39], 0
	v_mov_b32_e32 v105, 0
	v_mov_b32_e32 v120, 0
	v_pk_mov_b32 v[54:55], v[4:5], v[4:5] op_sel:[0,1]
	v_mov_b32_e32 v119, 0
	v_pk_mov_b32 v[50:51], v[4:5], v[4:5] op_sel:[0,1]
	;; [unrolled: 2-line block ×3, first 2 shown]
	s_and_saveexec_b64 s[36:37], vcc
	s_cbranch_execz .LBB698_166
; %bb.159:
	v_add_u32_e32 v4, 15, v95
	v_cmp_ne_u64_e32 vcc, 0, v[60:61]
	v_cndmask_b32_e64 v118, 0, 1, vcc
	v_cmp_gt_u32_e32 vcc, s67, v4
	v_pk_mov_b32 v[4:5], 0, 0
	s_waitcnt lgkmcnt(0)
	v_mov_b32_e32 v48, v46
	v_mov_b32_e32 v49, v47
	s_mov_b64 s[40:41], 0
	v_mov_b32_e32 v105, 0
	v_mov_b32_e32 v120, 0
	v_pk_mov_b32 v[54:55], v[4:5], v[4:5] op_sel:[0,1]
	v_mov_b32_e32 v119, 0
	v_pk_mov_b32 v[50:51], v[4:5], v[4:5] op_sel:[0,1]
	s_and_saveexec_b64 s[38:39], vcc
	s_cbranch_execz .LBB698_165
; %bb.160:
	ds_read2_b64 v[50:53], v94 offset0:15 offset1:16
	v_add_u32_e32 v4, 16, v95
	v_cmp_ne_u64_e32 vcc, 0, v[62:63]
	v_cndmask_b32_e64 v119, 0, 1, vcc
	v_cmp_gt_u32_e32 vcc, s67, v4
	v_pk_mov_b32 v[4:5], 0, 0
	s_mov_b64 s[42:43], 0
	v_mov_b32_e32 v105, 0
	v_mov_b32_e32 v120, 0
	v_pk_mov_b32 v[54:55], v[4:5], v[4:5] op_sel:[0,1]
	s_and_saveexec_b64 s[40:41], vcc
	s_cbranch_execz .LBB698_164
; %bb.161:
	v_add_u32_e32 v4, 17, v95
	v_cmp_ne_u64_e32 vcc, 0, v[56:57]
	s_waitcnt lgkmcnt(0)
	v_mov_b32_e32 v54, v52
	v_mov_b32_e32 v55, v53
	v_cndmask_b32_e64 v120, 0, 1, vcc
	v_cmp_gt_u32_e32 vcc, s67, v4
	v_mov_b32_e32 v105, 0
	v_pk_mov_b32 v[4:5], 0, 0
	s_and_saveexec_b64 s[56:57], vcc
	s_xor_b64 s[56:57], exec, s[56:57]
	s_cbranch_execz .LBB698_163
; %bb.162:
	ds_read2_b64 v[4:7], v94 offset0:17 offset1:18
	v_add_u32_e32 v10, 18, v95
	v_cmp_ne_u64_e32 vcc, 0, v[58:59]
	v_cndmask_b32_e64 v105, 0, 1, vcc
	v_cmp_gt_u32_e32 vcc, s67, v10
	s_and_b64 s[42:43], vcc, exec
	s_waitcnt lgkmcnt(0)
	v_pk_mov_b32 v[56:57], v[4:5], v[4:5] op_sel:[0,1]
.LBB698_163:
	s_or_b64 exec, exec, s[56:57]
	s_and_b64 s[42:43], s[42:43], exec
.LBB698_164:
	s_or_b64 exec, exec, s[40:41]
	s_and_b64 s[40:41], s[42:43], exec
.LBB698_165:
	s_or_b64 exec, exec, s[38:39]
	s_and_b64 s[38:39], s[40:41], exec
.LBB698_166:
	s_or_b64 exec, exec, s[36:37]
	s_and_b64 s[36:37], s[38:39], exec
.LBB698_167:
	s_or_b64 exec, exec, s[34:35]
	s_and_b64 s[34:35], s[36:37], exec
.LBB698_168:
	s_or_b64 exec, exec, s[30:31]
	s_and_b64 s[30:31], s[34:35], exec
.LBB698_169:
	s_or_b64 exec, exec, s[28:29]
	s_and_b64 s[28:29], s[30:31], exec
.LBB698_170:
	s_or_b64 exec, exec, s[26:27]
	s_and_b64 s[26:27], s[28:29], exec
.LBB698_171:
	s_or_b64 exec, exec, s[24:25]
	s_and_b64 s[24:25], s[26:27], exec
.LBB698_172:
	s_or_b64 exec, exec, s[22:23]
	s_and_b64 s[22:23], s[24:25], exec
.LBB698_173:
	s_or_b64 exec, exec, s[20:21]
	s_and_b64 s[20:21], s[22:23], exec
.LBB698_174:
	s_or_b64 exec, exec, s[18:19]
	s_and_b64 s[18:19], s[20:21], exec
.LBB698_175:
	s_or_b64 exec, exec, s[16:17]
	s_and_b64 s[16:17], s[18:19], exec
.LBB698_176:
	s_or_b64 exec, exec, s[14:15]
	s_and_b64 s[14:15], s[16:17], exec
.LBB698_177:
	s_or_b64 exec, exec, s[12:13]
	s_and_b64 s[12:13], s[14:15], exec
.LBB698_178:
	s_or_b64 exec, exec, s[10:11]
	s_and_b64 s[10:11], s[12:13], exec
.LBB698_179:
	s_or_b64 exec, exec, s[8:9]
	s_and_b64 s[8:9], s[10:11], exec
.LBB698_180:
	s_or_b64 exec, exec, s[4:5]
	s_mov_b64 s[4:5], 0
	s_and_b64 vcc, exec, s[2:3]
	v_lshlrev_b32_e32 v121, 3, v0
	s_cbranch_vccnz .LBB698_58
	s_branch .LBB698_59
.LBB698_181:
                                        ; implicit-def: $vgpr84_vgpr85_vgpr86_vgpr87
                                        ; implicit-def: $vgpr102_vgpr103
                                        ; implicit-def: $vgpr100_vgpr101
                                        ; implicit-def: $vgpr98_vgpr99
                                        ; implicit-def: $vgpr96_vgpr97
                                        ; implicit-def: $vgpr94_vgpr95
                                        ; implicit-def: $vgpr92_vgpr93
                                        ; implicit-def: $vgpr90_vgpr91
                                        ; implicit-def: $vgpr52_vgpr53
                                        ; implicit-def: $vgpr46_vgpr47
                                        ; implicit-def: $vgpr40_vgpr41
                                        ; implicit-def: $vgpr80_vgpr81_vgpr82_vgpr83
                                        ; implicit-def: $vgpr76_vgpr77_vgpr78_vgpr79
                                        ; implicit-def: $vgpr72_vgpr73_vgpr74_vgpr75
                                        ; implicit-def: $vgpr68_vgpr69_vgpr70_vgpr71
                                        ; implicit-def: $vgpr64_vgpr65_vgpr66_vgpr67
                                        ; implicit-def: $vgpr60_vgpr61_vgpr62_vgpr63
                                        ; implicit-def: $vgpr56_vgpr57_vgpr58_vgpr59
                                        ; implicit-def: $vgpr86_vgpr87_vgpr88_vgpr89
	s_cbranch_execz .LBB698_203
; %bb.182:
	s_cmp_lg_u64 s[64:65], 0
	s_cselect_b32 s5, s59, 0
	s_cselect_b32 s4, s58, 0
	s_cmp_lg_u64 s[4:5], 0
	s_cselect_b64 s[6:7], -1, 0
	v_cmp_eq_u32_e32 vcc, 0, v0
	v_cmp_ne_u32_e64 s[2:3], 0, v0
	s_and_b64 s[8:9], vcc, s[6:7]
	s_and_saveexec_b64 s[6:7], s[8:9]
	s_cbranch_execz .LBB698_184
; %bb.183:
	v_mov_b32_e32 v16, 0
	global_load_dwordx2 v[6:7], v16, s[4:5]
	global_load_ubyte v17, v16, s[4:5] offset:8
	v_cmp_eq_u16_sdwa s[4:5], v1, v16 src0_sel:BYTE_0 src1_sel:DWORD
	s_waitcnt vmcnt(1)
	v_cndmask_b32_e64 v6, 0, v6, s[4:5]
	v_cndmask_b32_e64 v7, 0, v7, s[4:5]
	s_waitcnt vmcnt(0)
	v_or_b32_e32 v1, v1, v17
	v_add_co_u32_e64 v2, s[4:5], v6, v2
	v_addc_co_u32_e64 v3, s[4:5], v7, v3, s[4:5]
	v_and_b32_e32 v1, 1, v1
.LBB698_184:
	s_or_b64 exec, exec, s[6:7]
	v_mov_b32_e32 v7, 0
	v_cmp_eq_u16_sdwa s[4:5], v104, v7 src0_sel:BYTE_0 src1_sel:DWORD
	v_cndmask_b32_e64 v17, 0, v2, s[4:5]
	v_cndmask_b32_e64 v16, 0, v3, s[4:5]
	v_add_co_u32_e64 v40, s[6:7], v17, v8
	v_addc_co_u32_e64 v41, s[6:7], v16, v9, s[6:7]
	v_cmp_eq_u16_sdwa s[6:7], v106, v7 src0_sel:BYTE_0 src1_sel:DWORD
	v_cndmask_b32_e64 v17, 0, v40, s[6:7]
	v_cndmask_b32_e64 v16, 0, v41, s[6:7]
	v_add_co_u32_e64 v56, s[8:9], v17, v12
	v_addc_co_u32_e64 v57, s[8:9], v16, v13, s[8:9]
	;; [unrolled: 5-line block ×18, first 2 shown]
	v_or_b32_e32 v7, v124, v119
	v_or_b32_e32 v7, v7, v118
	;; [unrolled: 1-line block ×15, first 2 shown]
	v_and_b32_e32 v7, 1, v7
	v_and_b32_e32 v6, 0xff, v1
	v_cmp_eq_u32_e64 s[42:43], 1, v7
	v_mbcnt_hi_u32_b32 v22, -1, v123
	v_cndmask_b32_e64 v23, v6, 1, s[42:43]
	v_and_b32_e32 v28, 15, v22
	v_mov_b32_dpp v34, v102 row_shr:1 row_mask:0xf bank_mask:0xf
	v_mov_b32_dpp v35, v103 row_shr:1 row_mask:0xf bank_mask:0xf
	;; [unrolled: 1-line block ×3, first 2 shown]
	v_cmp_ne_u32_e64 s[42:43], 0, v28
	v_pk_mov_b32 v[6:7], v[102:103], v[102:103] op_sel:[0,1]
	v_mov_b32_e32 v17, v103
	v_mov_b32_e32 v16, v102
	s_and_saveexec_b64 s[44:45], s[42:43]
; %bb.185:
	v_cmp_eq_u32_e64 s[42:43], 0, v23
	v_cndmask_b32_e64 v6, 0, v34, s[42:43]
	v_cndmask_b32_e64 v7, 0, v35, s[42:43]
	v_add_co_u32_e64 v6, s[42:43], v102, v6
	v_addc_co_u32_e64 v7, s[42:43], v103, v7, s[42:43]
	v_and_or_b32 v23, v29, 1, v23
	v_mov_b32_e32 v17, v7
	v_mov_b32_e32 v16, v6
; %bb.186:
	s_or_b64 exec, exec, s[44:45]
	s_nop 0
	v_mov_b32_dpp v34, v16 row_shr:2 row_mask:0xf bank_mask:0xf
	v_mov_b32_dpp v35, v17 row_shr:2 row_mask:0xf bank_mask:0xf
	v_mov_b32_dpp v29, v23 row_shr:2 row_mask:0xf bank_mask:0xf
	v_cmp_lt_u32_e64 s[42:43], 1, v28
	s_and_saveexec_b64 s[44:45], s[42:43]
; %bb.187:
	v_cmp_eq_u32_e64 s[42:43], 0, v23
	v_cndmask_b32_e64 v16, 0, v34, s[42:43]
	v_cndmask_b32_e64 v17, 0, v35, s[42:43]
	v_add_co_u32_e64 v16, s[42:43], v16, v6
	v_addc_co_u32_e64 v17, s[42:43], v17, v7, s[42:43]
	v_or_b32_e32 v6, v29, v23
	v_and_b32_e32 v23, 1, v6
	v_pk_mov_b32 v[6:7], v[16:17], v[16:17] op_sel:[0,1]
; %bb.188:
	s_or_b64 exec, exec, s[44:45]
	v_mov_b32_dpp v34, v16 row_shr:4 row_mask:0xf bank_mask:0xf
	v_mov_b32_dpp v35, v17 row_shr:4 row_mask:0xf bank_mask:0xf
	v_mov_b32_dpp v29, v23 row_shr:4 row_mask:0xf bank_mask:0xf
	v_cmp_lt_u32_e64 s[42:43], 3, v28
	s_and_saveexec_b64 s[44:45], s[42:43]
; %bb.189:
	v_cmp_eq_u32_e64 s[42:43], 0, v23
	v_cndmask_b32_e64 v16, 0, v34, s[42:43]
	v_cndmask_b32_e64 v17, 0, v35, s[42:43]
	v_add_co_u32_e64 v16, s[42:43], v16, v6
	v_addc_co_u32_e64 v17, s[42:43], v17, v7, s[42:43]
	v_or_b32_e32 v6, v29, v23
	v_and_b32_e32 v23, 1, v6
	v_pk_mov_b32 v[6:7], v[16:17], v[16:17] op_sel:[0,1]
; %bb.190:
	s_or_b64 exec, exec, s[44:45]
	;; [unrolled: 16-line block ×3, first 2 shown]
	v_and_b32_e32 v35, 16, v22
	v_mov_b32_dpp v29, v16 row_bcast:15 row_mask:0xf bank_mask:0xf
	v_mov_b32_dpp v34, v17 row_bcast:15 row_mask:0xf bank_mask:0xf
	;; [unrolled: 1-line block ×3, first 2 shown]
	v_cmp_ne_u32_e64 s[42:43], 0, v35
	s_and_saveexec_b64 s[44:45], s[42:43]
; %bb.193:
	v_cmp_eq_u32_e64 s[42:43], 0, v23
	v_cndmask_b32_e64 v17, 0, v29, s[42:43]
	v_cndmask_b32_e64 v16, 0, v34, s[42:43]
	v_add_co_u32_e64 v6, s[42:43], v17, v6
	v_addc_co_u32_e64 v7, s[42:43], v16, v7, s[42:43]
	v_or_b32_e32 v16, v28, v23
	v_and_b32_e32 v23, 1, v16
	v_mov_b32_e32 v17, v7
	v_mov_b32_e32 v16, v6
; %bb.194:
	s_or_b64 exec, exec, s[44:45]
	s_nop 0
	v_mov_b32_dpp v28, v16 row_bcast:31 row_mask:0xf bank_mask:0xf
	v_mov_b32_dpp v17, v17 row_bcast:31 row_mask:0xf bank_mask:0xf
	;; [unrolled: 1-line block ×3, first 2 shown]
	v_cmp_lt_u32_e64 s[42:43], 31, v22
	s_and_saveexec_b64 s[44:45], s[42:43]
; %bb.195:
	v_cmp_eq_u32_e64 s[42:43], 0, v23
	v_cndmask_b32_e64 v28, 0, v28, s[42:43]
	v_cndmask_b32_e64 v17, 0, v17, s[42:43]
	v_add_co_u32_e64 v6, s[42:43], v28, v6
	v_or_b32_e32 v16, v16, v23
	v_addc_co_u32_e64 v7, s[42:43], v17, v7, s[42:43]
	v_and_b32_e32 v23, 1, v16
; %bb.196:
	s_or_b64 exec, exec, s[44:45]
	v_cmp_eq_u32_e64 s[42:43], 63, v0
	s_and_saveexec_b64 s[44:45], s[42:43]
	s_cbranch_execz .LBB698_198
; %bb.197:
	v_mov_b32_e32 v16, 0
	ds_write_b64 v16, v[6:7]
	ds_write_b8 v16, v23 offset:8
.LBB698_198:
	s_or_b64 exec, exec, s[44:45]
	v_add_u32_e32 v16, -1, v22
	v_and_b32_e32 v17, 64, v22
	v_cmp_lt_i32_e64 s[42:43], v16, v17
	v_cndmask_b32_e64 v16, v16, v22, s[42:43]
	v_lshlrev_b32_e32 v16, 2, v16
	ds_bpermute_b32 v6, v16, v6
	ds_bpermute_b32 v7, v16, v7
	s_waitcnt lgkmcnt(0)
	; wave barrier
	s_waitcnt lgkmcnt(0)
	s_and_saveexec_b64 s[42:43], s[2:3]
	s_cbranch_execz .LBB698_200
; %bb.199:
	v_mov_b32_e32 v16, 0
	v_cmp_eq_u16_sdwa s[2:3], v1, v16 src0_sel:BYTE_0 src1_sel:DWORD
	v_cndmask_b32_e64 v6, 0, v6, s[2:3]
	v_cndmask_b32_e64 v1, 0, v7, s[2:3]
	v_add_co_u32_e64 v2, s[2:3], v6, v2
	v_addc_co_u32_e64 v3, s[2:3], v1, v3, s[2:3]
	v_cndmask_b32_e64 v6, 0, v2, s[4:5]
	v_cndmask_b32_e64 v1, 0, v3, s[4:5]
	v_add_co_u32_e64 v40, s[2:3], v6, v8
	v_addc_co_u32_e64 v41, s[2:3], v1, v9, s[2:3]
	;; [unrolled: 4-line block ×19, first 2 shown]
	;;#ASMSTART
	;;#ASMEND
.LBB698_200:
	s_or_b64 exec, exec, s[42:43]
	s_and_saveexec_b64 s[2:3], vcc
	s_cbranch_execz .LBB698_202
; %bb.201:
	v_mov_b32_e32 v1, 0
	ds_read_b64 v[4:5], v1
	ds_read_u8 v6, v1 offset:8
	v_mov_b32_e32 v7, 2
	s_waitcnt lgkmcnt(1)
	global_store_dwordx2 v1, v[4:5], s[50:51] offset:1024
	s_waitcnt lgkmcnt(0)
	global_store_byte v1, v6, s[50:51] offset:1032
	s_waitcnt vmcnt(0)
	buffer_wbinvl1_vol
	global_store_byte v1, v7, s[52:53] offset:64
.LBB698_202:
	s_or_b64 exec, exec, s[2:3]
	v_pk_mov_b32 v[86:87], v[2:3], v[2:3] op_sel:[0,1]
.LBB698_203:
	s_add_u32 s2, s46, s60
	s_addc_u32 s3, s47, s61
	s_add_u32 s4, s2, s62
	s_addc_u32 s5, s3, s63
	s_and_b64 vcc, exec, s[0:1]
	s_cbranch_vccz .LBB698_241
; %bb.204:
	s_movk_i32 s0, 0x98
	v_mul_i32_i24_e32 v43, 0xffffff70, v0
	v_mul_u32_u24_e32 v42, 0x98, v0
	v_mad_u32_u24 v2, v0, s0, v43
	s_waitcnt lgkmcnt(0)
	; wave barrier
	ds_write2_b64 v42, v[86:87], v[40:41] offset1:1
	ds_write2_b64 v42, v[56:57], v[46:47] offset0:2 offset1:3
	ds_write2_b64 v42, v[60:61], v[52:53] offset0:4 offset1:5
	;; [unrolled: 1-line block ×8, first 2 shown]
	ds_write_b64 v42, v[102:103] offset:144
	s_waitcnt lgkmcnt(0)
	; wave barrier
	s_waitcnt lgkmcnt(0)
	ds_read2st64_b64 v[34:37], v2 offset0:1 offset1:2
	ds_read2st64_b64 v[30:33], v2 offset0:3 offset1:4
	ds_read2st64_b64 v[26:29], v2 offset0:5 offset1:6
	ds_read2st64_b64 v[22:25], v2 offset0:7 offset1:8
	ds_read2st64_b64 v[18:21], v2 offset0:9 offset1:10
	ds_read2st64_b64 v[14:17], v2 offset0:11 offset1:12
	ds_read2st64_b64 v[10:13], v2 offset0:13 offset1:14
	ds_read2st64_b64 v[6:9], v2 offset0:15 offset1:16
	ds_read2st64_b64 v[2:5], v2 offset0:17 offset1:18
	v_mov_b32_e32 v39, s5
	v_add_co_u32_e32 v38, vcc, s4, v121
	s_add_i32 s33, s33, s54
	v_addc_co_u32_e32 v39, vcc, 0, v39, vcc
	v_mov_b32_e32 v1, 0
	v_cmp_gt_u32_e32 vcc, s33, v0
	s_and_saveexec_b64 s[0:1], vcc
	s_cbranch_execz .LBB698_206
; %bb.205:
	v_add_u32_e32 v42, v42, v43
	ds_read_b64 v[42:43], v42
	s_waitcnt lgkmcnt(0)
	flat_store_dwordx2 v[38:39], v[42:43]
.LBB698_206:
	s_or_b64 exec, exec, s[0:1]
	v_or_b32_e32 v42, 64, v0
	v_cmp_gt_u32_e32 vcc, s33, v42
	s_and_saveexec_b64 s[0:1], vcc
	s_cbranch_execz .LBB698_208
; %bb.207:
	s_waitcnt lgkmcnt(0)
	flat_store_dwordx2 v[38:39], v[34:35] offset:512
.LBB698_208:
	s_or_b64 exec, exec, s[0:1]
	s_waitcnt lgkmcnt(0)
	v_or_b32_e32 v34, 0x80, v0
	v_cmp_gt_u32_e32 vcc, s33, v34
	s_and_saveexec_b64 s[0:1], vcc
	s_cbranch_execz .LBB698_210
; %bb.209:
	flat_store_dwordx2 v[38:39], v[36:37] offset:1024
.LBB698_210:
	s_or_b64 exec, exec, s[0:1]
	v_or_b32_e32 v34, 0xc0, v0
	v_cmp_gt_u32_e32 vcc, s33, v34
	s_and_saveexec_b64 s[0:1], vcc
	s_cbranch_execz .LBB698_212
; %bb.211:
	flat_store_dwordx2 v[38:39], v[30:31] offset:1536
.LBB698_212:
	s_or_b64 exec, exec, s[0:1]
	;; [unrolled: 8-line block ×6, first 2 shown]
	v_or_b32_e32 v22, 0x200, v0
	v_cmp_gt_u32_e32 vcc, s33, v22
	s_and_saveexec_b64 s[0:1], vcc
	s_cbranch_execz .LBB698_222
; %bb.221:
	v_add_co_u32_e32 v22, vcc, 0x1000, v38
	v_addc_co_u32_e32 v23, vcc, 0, v39, vcc
	flat_store_dwordx2 v[22:23], v[24:25]
.LBB698_222:
	s_or_b64 exec, exec, s[0:1]
	v_or_b32_e32 v22, 0x240, v0
	v_cmp_gt_u32_e32 vcc, s33, v22
	s_and_saveexec_b64 s[0:1], vcc
	s_cbranch_execz .LBB698_224
; %bb.223:
	v_add_co_u32_e32 v22, vcc, 0x1000, v38
	v_addc_co_u32_e32 v23, vcc, 0, v39, vcc
	flat_store_dwordx2 v[22:23], v[18:19] offset:512
.LBB698_224:
	s_or_b64 exec, exec, s[0:1]
	v_or_b32_e32 v18, 0x280, v0
	v_cmp_gt_u32_e32 vcc, s33, v18
	s_and_saveexec_b64 s[0:1], vcc
	s_cbranch_execz .LBB698_226
; %bb.225:
	v_add_co_u32_e32 v18, vcc, 0x1000, v38
	v_addc_co_u32_e32 v19, vcc, 0, v39, vcc
	flat_store_dwordx2 v[18:19], v[20:21] offset:1024
.LBB698_226:
	;; [unrolled: 10-line block ×7, first 2 shown]
	s_or_b64 exec, exec, s[0:1]
	v_or_b32_e32 v6, 0x400, v0
	v_cmp_gt_u32_e32 vcc, s33, v6
	s_and_saveexec_b64 s[0:1], vcc
	s_cbranch_execz .LBB698_238
; %bb.237:
	v_add_co_u32_e32 v6, vcc, 0x2000, v38
	v_addc_co_u32_e32 v7, vcc, 0, v39, vcc
	flat_store_dwordx2 v[6:7], v[8:9]
.LBB698_238:
	s_or_b64 exec, exec, s[0:1]
	v_or_b32_e32 v6, 0x440, v0
	v_cmp_gt_u32_e32 vcc, s33, v6
	s_and_saveexec_b64 s[0:1], vcc
	s_cbranch_execz .LBB698_240
; %bb.239:
	v_add_co_u32_e32 v6, vcc, 0x2000, v38
	v_addc_co_u32_e32 v7, vcc, 0, v39, vcc
	flat_store_dwordx2 v[6:7], v[2:3] offset:512
.LBB698_240:
	s_or_b64 exec, exec, s[0:1]
	v_or_b32_e32 v2, 0x480, v0
	v_cmp_gt_u32_e64 s[0:1], s33, v2
	s_branch .LBB698_243
.LBB698_241:
	s_mov_b64 s[0:1], 0
                                        ; implicit-def: $vgpr4_vgpr5
	s_cbranch_execz .LBB698_243
; %bb.242:
	s_movk_i32 s2, 0x98
	v_mul_i32_i24_e32 v2, 0xffffff70, v0
	v_mul_u32_u24_e32 v1, 0x98, v0
	v_mad_u32_u24 v2, v0, s2, v2
	s_waitcnt lgkmcnt(0)
	; wave barrier
	s_waitcnt lgkmcnt(0)
	ds_write2_b64 v1, v[86:87], v[40:41] offset1:1
	ds_write2_b64 v1, v[56:57], v[46:47] offset0:2 offset1:3
	ds_write2_b64 v1, v[60:61], v[52:53] offset0:4 offset1:5
	;; [unrolled: 1-line block ×8, first 2 shown]
	ds_write_b64 v1, v[102:103] offset:144
	s_waitcnt lgkmcnt(0)
	; wave barrier
	s_waitcnt lgkmcnt(0)
	ds_read2st64_b64 v[6:9], v2 offset1:1
	ds_read2st64_b64 v[10:13], v2 offset0:2 offset1:3
	ds_read2st64_b64 v[14:17], v2 offset0:4 offset1:5
	;; [unrolled: 1-line block ×8, first 2 shown]
	ds_read_b64 v[4:5], v2 offset:9216
	v_mov_b32_e32 v3, s5
	v_add_co_u32_e32 v2, vcc, s4, v121
	v_addc_co_u32_e32 v3, vcc, 0, v3, vcc
	s_movk_i32 s2, 0x1000
	s_waitcnt lgkmcnt(0)
	flat_store_dwordx2 v[2:3], v[6:7]
	flat_store_dwordx2 v[2:3], v[8:9] offset:512
	flat_store_dwordx2 v[2:3], v[10:11] offset:1024
	;; [unrolled: 1-line block ×7, first 2 shown]
	v_add_co_u32_e32 v6, vcc, s2, v2
	v_addc_co_u32_e32 v7, vcc, 0, v3, vcc
	v_add_co_u32_e32 v2, vcc, 0x2000, v2
	v_mov_b32_e32 v1, 0
	v_addc_co_u32_e32 v3, vcc, 0, v3, vcc
	s_or_b64 s[0:1], s[0:1], exec
	flat_store_dwordx2 v[6:7], v[22:23]
	flat_store_dwordx2 v[6:7], v[24:25] offset:512
	flat_store_dwordx2 v[6:7], v[26:27] offset:1024
	;; [unrolled: 1-line block ×7, first 2 shown]
	flat_store_dwordx2 v[2:3], v[38:39]
	flat_store_dwordx2 v[2:3], v[40:41] offset:512
.LBB698_243:
	s_and_saveexec_b64 s[2:3], s[0:1]
	s_cbranch_execz .LBB698_245
; %bb.244:
	v_lshlrev_b64 v[0:1], 3, v[0:1]
	v_mov_b32_e32 v2, s5
	v_add_co_u32_e32 v0, vcc, s4, v0
	v_addc_co_u32_e32 v1, vcc, v2, v1, vcc
	v_add_co_u32_e32 v0, vcc, 0x2000, v0
	v_addc_co_u32_e32 v1, vcc, 0, v1, vcc
	flat_store_dwordx2 v[0:1], v[4:5] offset:1024
	s_endpgm
.LBB698_245:
	s_endpgm
	.section	.rodata,"a",@progbits
	.p2align	6, 0x0
	.amdhsa_kernel _ZN7rocprim17ROCPRIM_400000_NS6detail17trampoline_kernelINS0_14default_configENS1_27scan_by_key_config_selectorIxxEEZZNS1_16scan_by_key_implILNS1_25lookback_scan_determinismE0ELb0ES3_N6thrust23THRUST_200600_302600_NS6detail15normal_iteratorINS9_10device_ptrIxEEEESE_SE_xNS9_4plusIxEE19head_flag_predicatexEE10hipError_tPvRmT2_T3_T4_T5_mT6_T7_P12ihipStream_tbENKUlT_T0_E_clISt17integral_constantIbLb1EESX_IbLb0EEEEDaST_SU_EUlST_E_NS1_11comp_targetILNS1_3genE4ELNS1_11target_archE910ELNS1_3gpuE8ELNS1_3repE0EEENS1_30default_config_static_selectorELNS0_4arch9wavefront6targetE1EEEvT1_
		.amdhsa_group_segment_fixed_size 10752
		.amdhsa_private_segment_fixed_size 0
		.amdhsa_kernarg_size 136
		.amdhsa_user_sgpr_count 6
		.amdhsa_user_sgpr_private_segment_buffer 1
		.amdhsa_user_sgpr_dispatch_ptr 0
		.amdhsa_user_sgpr_queue_ptr 0
		.amdhsa_user_sgpr_kernarg_segment_ptr 1
		.amdhsa_user_sgpr_dispatch_id 0
		.amdhsa_user_sgpr_flat_scratch_init 0
		.amdhsa_user_sgpr_kernarg_preload_length 0
		.amdhsa_user_sgpr_kernarg_preload_offset 0
		.amdhsa_user_sgpr_private_segment_size 0
		.amdhsa_uses_dynamic_stack 0
		.amdhsa_system_sgpr_private_segment_wavefront_offset 0
		.amdhsa_system_sgpr_workgroup_id_x 1
		.amdhsa_system_sgpr_workgroup_id_y 0
		.amdhsa_system_sgpr_workgroup_id_z 0
		.amdhsa_system_sgpr_workgroup_info 0
		.amdhsa_system_vgpr_workitem_id 0
		.amdhsa_next_free_vgpr 125
		.amdhsa_next_free_sgpr 70
		.amdhsa_accum_offset 128
		.amdhsa_reserve_vcc 1
		.amdhsa_reserve_flat_scratch 0
		.amdhsa_float_round_mode_32 0
		.amdhsa_float_round_mode_16_64 0
		.amdhsa_float_denorm_mode_32 3
		.amdhsa_float_denorm_mode_16_64 3
		.amdhsa_dx10_clamp 1
		.amdhsa_ieee_mode 1
		.amdhsa_fp16_overflow 0
		.amdhsa_tg_split 0
		.amdhsa_exception_fp_ieee_invalid_op 0
		.amdhsa_exception_fp_denorm_src 0
		.amdhsa_exception_fp_ieee_div_zero 0
		.amdhsa_exception_fp_ieee_overflow 0
		.amdhsa_exception_fp_ieee_underflow 0
		.amdhsa_exception_fp_ieee_inexact 0
		.amdhsa_exception_int_div_zero 0
	.end_amdhsa_kernel
	.section	.text._ZN7rocprim17ROCPRIM_400000_NS6detail17trampoline_kernelINS0_14default_configENS1_27scan_by_key_config_selectorIxxEEZZNS1_16scan_by_key_implILNS1_25lookback_scan_determinismE0ELb0ES3_N6thrust23THRUST_200600_302600_NS6detail15normal_iteratorINS9_10device_ptrIxEEEESE_SE_xNS9_4plusIxEE19head_flag_predicatexEE10hipError_tPvRmT2_T3_T4_T5_mT6_T7_P12ihipStream_tbENKUlT_T0_E_clISt17integral_constantIbLb1EESX_IbLb0EEEEDaST_SU_EUlST_E_NS1_11comp_targetILNS1_3genE4ELNS1_11target_archE910ELNS1_3gpuE8ELNS1_3repE0EEENS1_30default_config_static_selectorELNS0_4arch9wavefront6targetE1EEEvT1_,"axG",@progbits,_ZN7rocprim17ROCPRIM_400000_NS6detail17trampoline_kernelINS0_14default_configENS1_27scan_by_key_config_selectorIxxEEZZNS1_16scan_by_key_implILNS1_25lookback_scan_determinismE0ELb0ES3_N6thrust23THRUST_200600_302600_NS6detail15normal_iteratorINS9_10device_ptrIxEEEESE_SE_xNS9_4plusIxEE19head_flag_predicatexEE10hipError_tPvRmT2_T3_T4_T5_mT6_T7_P12ihipStream_tbENKUlT_T0_E_clISt17integral_constantIbLb1EESX_IbLb0EEEEDaST_SU_EUlST_E_NS1_11comp_targetILNS1_3genE4ELNS1_11target_archE910ELNS1_3gpuE8ELNS1_3repE0EEENS1_30default_config_static_selectorELNS0_4arch9wavefront6targetE1EEEvT1_,comdat
.Lfunc_end698:
	.size	_ZN7rocprim17ROCPRIM_400000_NS6detail17trampoline_kernelINS0_14default_configENS1_27scan_by_key_config_selectorIxxEEZZNS1_16scan_by_key_implILNS1_25lookback_scan_determinismE0ELb0ES3_N6thrust23THRUST_200600_302600_NS6detail15normal_iteratorINS9_10device_ptrIxEEEESE_SE_xNS9_4plusIxEE19head_flag_predicatexEE10hipError_tPvRmT2_T3_T4_T5_mT6_T7_P12ihipStream_tbENKUlT_T0_E_clISt17integral_constantIbLb1EESX_IbLb0EEEEDaST_SU_EUlST_E_NS1_11comp_targetILNS1_3genE4ELNS1_11target_archE910ELNS1_3gpuE8ELNS1_3repE0EEENS1_30default_config_static_selectorELNS0_4arch9wavefront6targetE1EEEvT1_, .Lfunc_end698-_ZN7rocprim17ROCPRIM_400000_NS6detail17trampoline_kernelINS0_14default_configENS1_27scan_by_key_config_selectorIxxEEZZNS1_16scan_by_key_implILNS1_25lookback_scan_determinismE0ELb0ES3_N6thrust23THRUST_200600_302600_NS6detail15normal_iteratorINS9_10device_ptrIxEEEESE_SE_xNS9_4plusIxEE19head_flag_predicatexEE10hipError_tPvRmT2_T3_T4_T5_mT6_T7_P12ihipStream_tbENKUlT_T0_E_clISt17integral_constantIbLb1EESX_IbLb0EEEEDaST_SU_EUlST_E_NS1_11comp_targetILNS1_3genE4ELNS1_11target_archE910ELNS1_3gpuE8ELNS1_3repE0EEENS1_30default_config_static_selectorELNS0_4arch9wavefront6targetE1EEEvT1_
                                        ; -- End function
	.section	.AMDGPU.csdata,"",@progbits
; Kernel info:
; codeLenInByte = 14760
; NumSgprs: 74
; NumVgprs: 125
; NumAgprs: 0
; TotalNumVgprs: 125
; ScratchSize: 0
; MemoryBound: 0
; FloatMode: 240
; IeeeMode: 1
; LDSByteSize: 10752 bytes/workgroup (compile time only)
; SGPRBlocks: 9
; VGPRBlocks: 15
; NumSGPRsForWavesPerEU: 74
; NumVGPRsForWavesPerEU: 125
; AccumOffset: 128
; Occupancy: 2
; WaveLimiterHint : 1
; COMPUTE_PGM_RSRC2:SCRATCH_EN: 0
; COMPUTE_PGM_RSRC2:USER_SGPR: 6
; COMPUTE_PGM_RSRC2:TRAP_HANDLER: 0
; COMPUTE_PGM_RSRC2:TGID_X_EN: 1
; COMPUTE_PGM_RSRC2:TGID_Y_EN: 0
; COMPUTE_PGM_RSRC2:TGID_Z_EN: 0
; COMPUTE_PGM_RSRC2:TIDIG_COMP_CNT: 0
; COMPUTE_PGM_RSRC3_GFX90A:ACCUM_OFFSET: 31
; COMPUTE_PGM_RSRC3_GFX90A:TG_SPLIT: 0
	.section	.text._ZN7rocprim17ROCPRIM_400000_NS6detail17trampoline_kernelINS0_14default_configENS1_27scan_by_key_config_selectorIxxEEZZNS1_16scan_by_key_implILNS1_25lookback_scan_determinismE0ELb0ES3_N6thrust23THRUST_200600_302600_NS6detail15normal_iteratorINS9_10device_ptrIxEEEESE_SE_xNS9_4plusIxEE19head_flag_predicatexEE10hipError_tPvRmT2_T3_T4_T5_mT6_T7_P12ihipStream_tbENKUlT_T0_E_clISt17integral_constantIbLb1EESX_IbLb0EEEEDaST_SU_EUlST_E_NS1_11comp_targetILNS1_3genE3ELNS1_11target_archE908ELNS1_3gpuE7ELNS1_3repE0EEENS1_30default_config_static_selectorELNS0_4arch9wavefront6targetE1EEEvT1_,"axG",@progbits,_ZN7rocprim17ROCPRIM_400000_NS6detail17trampoline_kernelINS0_14default_configENS1_27scan_by_key_config_selectorIxxEEZZNS1_16scan_by_key_implILNS1_25lookback_scan_determinismE0ELb0ES3_N6thrust23THRUST_200600_302600_NS6detail15normal_iteratorINS9_10device_ptrIxEEEESE_SE_xNS9_4plusIxEE19head_flag_predicatexEE10hipError_tPvRmT2_T3_T4_T5_mT6_T7_P12ihipStream_tbENKUlT_T0_E_clISt17integral_constantIbLb1EESX_IbLb0EEEEDaST_SU_EUlST_E_NS1_11comp_targetILNS1_3genE3ELNS1_11target_archE908ELNS1_3gpuE7ELNS1_3repE0EEENS1_30default_config_static_selectorELNS0_4arch9wavefront6targetE1EEEvT1_,comdat
	.protected	_ZN7rocprim17ROCPRIM_400000_NS6detail17trampoline_kernelINS0_14default_configENS1_27scan_by_key_config_selectorIxxEEZZNS1_16scan_by_key_implILNS1_25lookback_scan_determinismE0ELb0ES3_N6thrust23THRUST_200600_302600_NS6detail15normal_iteratorINS9_10device_ptrIxEEEESE_SE_xNS9_4plusIxEE19head_flag_predicatexEE10hipError_tPvRmT2_T3_T4_T5_mT6_T7_P12ihipStream_tbENKUlT_T0_E_clISt17integral_constantIbLb1EESX_IbLb0EEEEDaST_SU_EUlST_E_NS1_11comp_targetILNS1_3genE3ELNS1_11target_archE908ELNS1_3gpuE7ELNS1_3repE0EEENS1_30default_config_static_selectorELNS0_4arch9wavefront6targetE1EEEvT1_ ; -- Begin function _ZN7rocprim17ROCPRIM_400000_NS6detail17trampoline_kernelINS0_14default_configENS1_27scan_by_key_config_selectorIxxEEZZNS1_16scan_by_key_implILNS1_25lookback_scan_determinismE0ELb0ES3_N6thrust23THRUST_200600_302600_NS6detail15normal_iteratorINS9_10device_ptrIxEEEESE_SE_xNS9_4plusIxEE19head_flag_predicatexEE10hipError_tPvRmT2_T3_T4_T5_mT6_T7_P12ihipStream_tbENKUlT_T0_E_clISt17integral_constantIbLb1EESX_IbLb0EEEEDaST_SU_EUlST_E_NS1_11comp_targetILNS1_3genE3ELNS1_11target_archE908ELNS1_3gpuE7ELNS1_3repE0EEENS1_30default_config_static_selectorELNS0_4arch9wavefront6targetE1EEEvT1_
	.globl	_ZN7rocprim17ROCPRIM_400000_NS6detail17trampoline_kernelINS0_14default_configENS1_27scan_by_key_config_selectorIxxEEZZNS1_16scan_by_key_implILNS1_25lookback_scan_determinismE0ELb0ES3_N6thrust23THRUST_200600_302600_NS6detail15normal_iteratorINS9_10device_ptrIxEEEESE_SE_xNS9_4plusIxEE19head_flag_predicatexEE10hipError_tPvRmT2_T3_T4_T5_mT6_T7_P12ihipStream_tbENKUlT_T0_E_clISt17integral_constantIbLb1EESX_IbLb0EEEEDaST_SU_EUlST_E_NS1_11comp_targetILNS1_3genE3ELNS1_11target_archE908ELNS1_3gpuE7ELNS1_3repE0EEENS1_30default_config_static_selectorELNS0_4arch9wavefront6targetE1EEEvT1_
	.p2align	8
	.type	_ZN7rocprim17ROCPRIM_400000_NS6detail17trampoline_kernelINS0_14default_configENS1_27scan_by_key_config_selectorIxxEEZZNS1_16scan_by_key_implILNS1_25lookback_scan_determinismE0ELb0ES3_N6thrust23THRUST_200600_302600_NS6detail15normal_iteratorINS9_10device_ptrIxEEEESE_SE_xNS9_4plusIxEE19head_flag_predicatexEE10hipError_tPvRmT2_T3_T4_T5_mT6_T7_P12ihipStream_tbENKUlT_T0_E_clISt17integral_constantIbLb1EESX_IbLb0EEEEDaST_SU_EUlST_E_NS1_11comp_targetILNS1_3genE3ELNS1_11target_archE908ELNS1_3gpuE7ELNS1_3repE0EEENS1_30default_config_static_selectorELNS0_4arch9wavefront6targetE1EEEvT1_,@function
_ZN7rocprim17ROCPRIM_400000_NS6detail17trampoline_kernelINS0_14default_configENS1_27scan_by_key_config_selectorIxxEEZZNS1_16scan_by_key_implILNS1_25lookback_scan_determinismE0ELb0ES3_N6thrust23THRUST_200600_302600_NS6detail15normal_iteratorINS9_10device_ptrIxEEEESE_SE_xNS9_4plusIxEE19head_flag_predicatexEE10hipError_tPvRmT2_T3_T4_T5_mT6_T7_P12ihipStream_tbENKUlT_T0_E_clISt17integral_constantIbLb1EESX_IbLb0EEEEDaST_SU_EUlST_E_NS1_11comp_targetILNS1_3genE3ELNS1_11target_archE908ELNS1_3gpuE7ELNS1_3repE0EEENS1_30default_config_static_selectorELNS0_4arch9wavefront6targetE1EEEvT1_: ; @_ZN7rocprim17ROCPRIM_400000_NS6detail17trampoline_kernelINS0_14default_configENS1_27scan_by_key_config_selectorIxxEEZZNS1_16scan_by_key_implILNS1_25lookback_scan_determinismE0ELb0ES3_N6thrust23THRUST_200600_302600_NS6detail15normal_iteratorINS9_10device_ptrIxEEEESE_SE_xNS9_4plusIxEE19head_flag_predicatexEE10hipError_tPvRmT2_T3_T4_T5_mT6_T7_P12ihipStream_tbENKUlT_T0_E_clISt17integral_constantIbLb1EESX_IbLb0EEEEDaST_SU_EUlST_E_NS1_11comp_targetILNS1_3genE3ELNS1_11target_archE908ELNS1_3gpuE7ELNS1_3repE0EEENS1_30default_config_static_selectorELNS0_4arch9wavefront6targetE1EEEvT1_
; %bb.0:
	.section	.rodata,"a",@progbits
	.p2align	6, 0x0
	.amdhsa_kernel _ZN7rocprim17ROCPRIM_400000_NS6detail17trampoline_kernelINS0_14default_configENS1_27scan_by_key_config_selectorIxxEEZZNS1_16scan_by_key_implILNS1_25lookback_scan_determinismE0ELb0ES3_N6thrust23THRUST_200600_302600_NS6detail15normal_iteratorINS9_10device_ptrIxEEEESE_SE_xNS9_4plusIxEE19head_flag_predicatexEE10hipError_tPvRmT2_T3_T4_T5_mT6_T7_P12ihipStream_tbENKUlT_T0_E_clISt17integral_constantIbLb1EESX_IbLb0EEEEDaST_SU_EUlST_E_NS1_11comp_targetILNS1_3genE3ELNS1_11target_archE908ELNS1_3gpuE7ELNS1_3repE0EEENS1_30default_config_static_selectorELNS0_4arch9wavefront6targetE1EEEvT1_
		.amdhsa_group_segment_fixed_size 0
		.amdhsa_private_segment_fixed_size 0
		.amdhsa_kernarg_size 136
		.amdhsa_user_sgpr_count 6
		.amdhsa_user_sgpr_private_segment_buffer 1
		.amdhsa_user_sgpr_dispatch_ptr 0
		.amdhsa_user_sgpr_queue_ptr 0
		.amdhsa_user_sgpr_kernarg_segment_ptr 1
		.amdhsa_user_sgpr_dispatch_id 0
		.amdhsa_user_sgpr_flat_scratch_init 0
		.amdhsa_user_sgpr_kernarg_preload_length 0
		.amdhsa_user_sgpr_kernarg_preload_offset 0
		.amdhsa_user_sgpr_private_segment_size 0
		.amdhsa_uses_dynamic_stack 0
		.amdhsa_system_sgpr_private_segment_wavefront_offset 0
		.amdhsa_system_sgpr_workgroup_id_x 1
		.amdhsa_system_sgpr_workgroup_id_y 0
		.amdhsa_system_sgpr_workgroup_id_z 0
		.amdhsa_system_sgpr_workgroup_info 0
		.amdhsa_system_vgpr_workitem_id 0
		.amdhsa_next_free_vgpr 1
		.amdhsa_next_free_sgpr 0
		.amdhsa_accum_offset 4
		.amdhsa_reserve_vcc 0
		.amdhsa_reserve_flat_scratch 0
		.amdhsa_float_round_mode_32 0
		.amdhsa_float_round_mode_16_64 0
		.amdhsa_float_denorm_mode_32 3
		.amdhsa_float_denorm_mode_16_64 3
		.amdhsa_dx10_clamp 1
		.amdhsa_ieee_mode 1
		.amdhsa_fp16_overflow 0
		.amdhsa_tg_split 0
		.amdhsa_exception_fp_ieee_invalid_op 0
		.amdhsa_exception_fp_denorm_src 0
		.amdhsa_exception_fp_ieee_div_zero 0
		.amdhsa_exception_fp_ieee_overflow 0
		.amdhsa_exception_fp_ieee_underflow 0
		.amdhsa_exception_fp_ieee_inexact 0
		.amdhsa_exception_int_div_zero 0
	.end_amdhsa_kernel
	.section	.text._ZN7rocprim17ROCPRIM_400000_NS6detail17trampoline_kernelINS0_14default_configENS1_27scan_by_key_config_selectorIxxEEZZNS1_16scan_by_key_implILNS1_25lookback_scan_determinismE0ELb0ES3_N6thrust23THRUST_200600_302600_NS6detail15normal_iteratorINS9_10device_ptrIxEEEESE_SE_xNS9_4plusIxEE19head_flag_predicatexEE10hipError_tPvRmT2_T3_T4_T5_mT6_T7_P12ihipStream_tbENKUlT_T0_E_clISt17integral_constantIbLb1EESX_IbLb0EEEEDaST_SU_EUlST_E_NS1_11comp_targetILNS1_3genE3ELNS1_11target_archE908ELNS1_3gpuE7ELNS1_3repE0EEENS1_30default_config_static_selectorELNS0_4arch9wavefront6targetE1EEEvT1_,"axG",@progbits,_ZN7rocprim17ROCPRIM_400000_NS6detail17trampoline_kernelINS0_14default_configENS1_27scan_by_key_config_selectorIxxEEZZNS1_16scan_by_key_implILNS1_25lookback_scan_determinismE0ELb0ES3_N6thrust23THRUST_200600_302600_NS6detail15normal_iteratorINS9_10device_ptrIxEEEESE_SE_xNS9_4plusIxEE19head_flag_predicatexEE10hipError_tPvRmT2_T3_T4_T5_mT6_T7_P12ihipStream_tbENKUlT_T0_E_clISt17integral_constantIbLb1EESX_IbLb0EEEEDaST_SU_EUlST_E_NS1_11comp_targetILNS1_3genE3ELNS1_11target_archE908ELNS1_3gpuE7ELNS1_3repE0EEENS1_30default_config_static_selectorELNS0_4arch9wavefront6targetE1EEEvT1_,comdat
.Lfunc_end699:
	.size	_ZN7rocprim17ROCPRIM_400000_NS6detail17trampoline_kernelINS0_14default_configENS1_27scan_by_key_config_selectorIxxEEZZNS1_16scan_by_key_implILNS1_25lookback_scan_determinismE0ELb0ES3_N6thrust23THRUST_200600_302600_NS6detail15normal_iteratorINS9_10device_ptrIxEEEESE_SE_xNS9_4plusIxEE19head_flag_predicatexEE10hipError_tPvRmT2_T3_T4_T5_mT6_T7_P12ihipStream_tbENKUlT_T0_E_clISt17integral_constantIbLb1EESX_IbLb0EEEEDaST_SU_EUlST_E_NS1_11comp_targetILNS1_3genE3ELNS1_11target_archE908ELNS1_3gpuE7ELNS1_3repE0EEENS1_30default_config_static_selectorELNS0_4arch9wavefront6targetE1EEEvT1_, .Lfunc_end699-_ZN7rocprim17ROCPRIM_400000_NS6detail17trampoline_kernelINS0_14default_configENS1_27scan_by_key_config_selectorIxxEEZZNS1_16scan_by_key_implILNS1_25lookback_scan_determinismE0ELb0ES3_N6thrust23THRUST_200600_302600_NS6detail15normal_iteratorINS9_10device_ptrIxEEEESE_SE_xNS9_4plusIxEE19head_flag_predicatexEE10hipError_tPvRmT2_T3_T4_T5_mT6_T7_P12ihipStream_tbENKUlT_T0_E_clISt17integral_constantIbLb1EESX_IbLb0EEEEDaST_SU_EUlST_E_NS1_11comp_targetILNS1_3genE3ELNS1_11target_archE908ELNS1_3gpuE7ELNS1_3repE0EEENS1_30default_config_static_selectorELNS0_4arch9wavefront6targetE1EEEvT1_
                                        ; -- End function
	.section	.AMDGPU.csdata,"",@progbits
; Kernel info:
; codeLenInByte = 0
; NumSgprs: 4
; NumVgprs: 0
; NumAgprs: 0
; TotalNumVgprs: 0
; ScratchSize: 0
; MemoryBound: 0
; FloatMode: 240
; IeeeMode: 1
; LDSByteSize: 0 bytes/workgroup (compile time only)
; SGPRBlocks: 0
; VGPRBlocks: 0
; NumSGPRsForWavesPerEU: 4
; NumVGPRsForWavesPerEU: 1
; AccumOffset: 4
; Occupancy: 8
; WaveLimiterHint : 0
; COMPUTE_PGM_RSRC2:SCRATCH_EN: 0
; COMPUTE_PGM_RSRC2:USER_SGPR: 6
; COMPUTE_PGM_RSRC2:TRAP_HANDLER: 0
; COMPUTE_PGM_RSRC2:TGID_X_EN: 1
; COMPUTE_PGM_RSRC2:TGID_Y_EN: 0
; COMPUTE_PGM_RSRC2:TGID_Z_EN: 0
; COMPUTE_PGM_RSRC2:TIDIG_COMP_CNT: 0
; COMPUTE_PGM_RSRC3_GFX90A:ACCUM_OFFSET: 0
; COMPUTE_PGM_RSRC3_GFX90A:TG_SPLIT: 0
	.section	.text._ZN7rocprim17ROCPRIM_400000_NS6detail17trampoline_kernelINS0_14default_configENS1_27scan_by_key_config_selectorIxxEEZZNS1_16scan_by_key_implILNS1_25lookback_scan_determinismE0ELb0ES3_N6thrust23THRUST_200600_302600_NS6detail15normal_iteratorINS9_10device_ptrIxEEEESE_SE_xNS9_4plusIxEE19head_flag_predicatexEE10hipError_tPvRmT2_T3_T4_T5_mT6_T7_P12ihipStream_tbENKUlT_T0_E_clISt17integral_constantIbLb1EESX_IbLb0EEEEDaST_SU_EUlST_E_NS1_11comp_targetILNS1_3genE2ELNS1_11target_archE906ELNS1_3gpuE6ELNS1_3repE0EEENS1_30default_config_static_selectorELNS0_4arch9wavefront6targetE1EEEvT1_,"axG",@progbits,_ZN7rocprim17ROCPRIM_400000_NS6detail17trampoline_kernelINS0_14default_configENS1_27scan_by_key_config_selectorIxxEEZZNS1_16scan_by_key_implILNS1_25lookback_scan_determinismE0ELb0ES3_N6thrust23THRUST_200600_302600_NS6detail15normal_iteratorINS9_10device_ptrIxEEEESE_SE_xNS9_4plusIxEE19head_flag_predicatexEE10hipError_tPvRmT2_T3_T4_T5_mT6_T7_P12ihipStream_tbENKUlT_T0_E_clISt17integral_constantIbLb1EESX_IbLb0EEEEDaST_SU_EUlST_E_NS1_11comp_targetILNS1_3genE2ELNS1_11target_archE906ELNS1_3gpuE6ELNS1_3repE0EEENS1_30default_config_static_selectorELNS0_4arch9wavefront6targetE1EEEvT1_,comdat
	.protected	_ZN7rocprim17ROCPRIM_400000_NS6detail17trampoline_kernelINS0_14default_configENS1_27scan_by_key_config_selectorIxxEEZZNS1_16scan_by_key_implILNS1_25lookback_scan_determinismE0ELb0ES3_N6thrust23THRUST_200600_302600_NS6detail15normal_iteratorINS9_10device_ptrIxEEEESE_SE_xNS9_4plusIxEE19head_flag_predicatexEE10hipError_tPvRmT2_T3_T4_T5_mT6_T7_P12ihipStream_tbENKUlT_T0_E_clISt17integral_constantIbLb1EESX_IbLb0EEEEDaST_SU_EUlST_E_NS1_11comp_targetILNS1_3genE2ELNS1_11target_archE906ELNS1_3gpuE6ELNS1_3repE0EEENS1_30default_config_static_selectorELNS0_4arch9wavefront6targetE1EEEvT1_ ; -- Begin function _ZN7rocprim17ROCPRIM_400000_NS6detail17trampoline_kernelINS0_14default_configENS1_27scan_by_key_config_selectorIxxEEZZNS1_16scan_by_key_implILNS1_25lookback_scan_determinismE0ELb0ES3_N6thrust23THRUST_200600_302600_NS6detail15normal_iteratorINS9_10device_ptrIxEEEESE_SE_xNS9_4plusIxEE19head_flag_predicatexEE10hipError_tPvRmT2_T3_T4_T5_mT6_T7_P12ihipStream_tbENKUlT_T0_E_clISt17integral_constantIbLb1EESX_IbLb0EEEEDaST_SU_EUlST_E_NS1_11comp_targetILNS1_3genE2ELNS1_11target_archE906ELNS1_3gpuE6ELNS1_3repE0EEENS1_30default_config_static_selectorELNS0_4arch9wavefront6targetE1EEEvT1_
	.globl	_ZN7rocprim17ROCPRIM_400000_NS6detail17trampoline_kernelINS0_14default_configENS1_27scan_by_key_config_selectorIxxEEZZNS1_16scan_by_key_implILNS1_25lookback_scan_determinismE0ELb0ES3_N6thrust23THRUST_200600_302600_NS6detail15normal_iteratorINS9_10device_ptrIxEEEESE_SE_xNS9_4plusIxEE19head_flag_predicatexEE10hipError_tPvRmT2_T3_T4_T5_mT6_T7_P12ihipStream_tbENKUlT_T0_E_clISt17integral_constantIbLb1EESX_IbLb0EEEEDaST_SU_EUlST_E_NS1_11comp_targetILNS1_3genE2ELNS1_11target_archE906ELNS1_3gpuE6ELNS1_3repE0EEENS1_30default_config_static_selectorELNS0_4arch9wavefront6targetE1EEEvT1_
	.p2align	8
	.type	_ZN7rocprim17ROCPRIM_400000_NS6detail17trampoline_kernelINS0_14default_configENS1_27scan_by_key_config_selectorIxxEEZZNS1_16scan_by_key_implILNS1_25lookback_scan_determinismE0ELb0ES3_N6thrust23THRUST_200600_302600_NS6detail15normal_iteratorINS9_10device_ptrIxEEEESE_SE_xNS9_4plusIxEE19head_flag_predicatexEE10hipError_tPvRmT2_T3_T4_T5_mT6_T7_P12ihipStream_tbENKUlT_T0_E_clISt17integral_constantIbLb1EESX_IbLb0EEEEDaST_SU_EUlST_E_NS1_11comp_targetILNS1_3genE2ELNS1_11target_archE906ELNS1_3gpuE6ELNS1_3repE0EEENS1_30default_config_static_selectorELNS0_4arch9wavefront6targetE1EEEvT1_,@function
_ZN7rocprim17ROCPRIM_400000_NS6detail17trampoline_kernelINS0_14default_configENS1_27scan_by_key_config_selectorIxxEEZZNS1_16scan_by_key_implILNS1_25lookback_scan_determinismE0ELb0ES3_N6thrust23THRUST_200600_302600_NS6detail15normal_iteratorINS9_10device_ptrIxEEEESE_SE_xNS9_4plusIxEE19head_flag_predicatexEE10hipError_tPvRmT2_T3_T4_T5_mT6_T7_P12ihipStream_tbENKUlT_T0_E_clISt17integral_constantIbLb1EESX_IbLb0EEEEDaST_SU_EUlST_E_NS1_11comp_targetILNS1_3genE2ELNS1_11target_archE906ELNS1_3gpuE6ELNS1_3repE0EEENS1_30default_config_static_selectorELNS0_4arch9wavefront6targetE1EEEvT1_: ; @_ZN7rocprim17ROCPRIM_400000_NS6detail17trampoline_kernelINS0_14default_configENS1_27scan_by_key_config_selectorIxxEEZZNS1_16scan_by_key_implILNS1_25lookback_scan_determinismE0ELb0ES3_N6thrust23THRUST_200600_302600_NS6detail15normal_iteratorINS9_10device_ptrIxEEEESE_SE_xNS9_4plusIxEE19head_flag_predicatexEE10hipError_tPvRmT2_T3_T4_T5_mT6_T7_P12ihipStream_tbENKUlT_T0_E_clISt17integral_constantIbLb1EESX_IbLb0EEEEDaST_SU_EUlST_E_NS1_11comp_targetILNS1_3genE2ELNS1_11target_archE906ELNS1_3gpuE6ELNS1_3repE0EEENS1_30default_config_static_selectorELNS0_4arch9wavefront6targetE1EEEvT1_
; %bb.0:
	.section	.rodata,"a",@progbits
	.p2align	6, 0x0
	.amdhsa_kernel _ZN7rocprim17ROCPRIM_400000_NS6detail17trampoline_kernelINS0_14default_configENS1_27scan_by_key_config_selectorIxxEEZZNS1_16scan_by_key_implILNS1_25lookback_scan_determinismE0ELb0ES3_N6thrust23THRUST_200600_302600_NS6detail15normal_iteratorINS9_10device_ptrIxEEEESE_SE_xNS9_4plusIxEE19head_flag_predicatexEE10hipError_tPvRmT2_T3_T4_T5_mT6_T7_P12ihipStream_tbENKUlT_T0_E_clISt17integral_constantIbLb1EESX_IbLb0EEEEDaST_SU_EUlST_E_NS1_11comp_targetILNS1_3genE2ELNS1_11target_archE906ELNS1_3gpuE6ELNS1_3repE0EEENS1_30default_config_static_selectorELNS0_4arch9wavefront6targetE1EEEvT1_
		.amdhsa_group_segment_fixed_size 0
		.amdhsa_private_segment_fixed_size 0
		.amdhsa_kernarg_size 136
		.amdhsa_user_sgpr_count 6
		.amdhsa_user_sgpr_private_segment_buffer 1
		.amdhsa_user_sgpr_dispatch_ptr 0
		.amdhsa_user_sgpr_queue_ptr 0
		.amdhsa_user_sgpr_kernarg_segment_ptr 1
		.amdhsa_user_sgpr_dispatch_id 0
		.amdhsa_user_sgpr_flat_scratch_init 0
		.amdhsa_user_sgpr_kernarg_preload_length 0
		.amdhsa_user_sgpr_kernarg_preload_offset 0
		.amdhsa_user_sgpr_private_segment_size 0
		.amdhsa_uses_dynamic_stack 0
		.amdhsa_system_sgpr_private_segment_wavefront_offset 0
		.amdhsa_system_sgpr_workgroup_id_x 1
		.amdhsa_system_sgpr_workgroup_id_y 0
		.amdhsa_system_sgpr_workgroup_id_z 0
		.amdhsa_system_sgpr_workgroup_info 0
		.amdhsa_system_vgpr_workitem_id 0
		.amdhsa_next_free_vgpr 1
		.amdhsa_next_free_sgpr 0
		.amdhsa_accum_offset 4
		.amdhsa_reserve_vcc 0
		.amdhsa_reserve_flat_scratch 0
		.amdhsa_float_round_mode_32 0
		.amdhsa_float_round_mode_16_64 0
		.amdhsa_float_denorm_mode_32 3
		.amdhsa_float_denorm_mode_16_64 3
		.amdhsa_dx10_clamp 1
		.amdhsa_ieee_mode 1
		.amdhsa_fp16_overflow 0
		.amdhsa_tg_split 0
		.amdhsa_exception_fp_ieee_invalid_op 0
		.amdhsa_exception_fp_denorm_src 0
		.amdhsa_exception_fp_ieee_div_zero 0
		.amdhsa_exception_fp_ieee_overflow 0
		.amdhsa_exception_fp_ieee_underflow 0
		.amdhsa_exception_fp_ieee_inexact 0
		.amdhsa_exception_int_div_zero 0
	.end_amdhsa_kernel
	.section	.text._ZN7rocprim17ROCPRIM_400000_NS6detail17trampoline_kernelINS0_14default_configENS1_27scan_by_key_config_selectorIxxEEZZNS1_16scan_by_key_implILNS1_25lookback_scan_determinismE0ELb0ES3_N6thrust23THRUST_200600_302600_NS6detail15normal_iteratorINS9_10device_ptrIxEEEESE_SE_xNS9_4plusIxEE19head_flag_predicatexEE10hipError_tPvRmT2_T3_T4_T5_mT6_T7_P12ihipStream_tbENKUlT_T0_E_clISt17integral_constantIbLb1EESX_IbLb0EEEEDaST_SU_EUlST_E_NS1_11comp_targetILNS1_3genE2ELNS1_11target_archE906ELNS1_3gpuE6ELNS1_3repE0EEENS1_30default_config_static_selectorELNS0_4arch9wavefront6targetE1EEEvT1_,"axG",@progbits,_ZN7rocprim17ROCPRIM_400000_NS6detail17trampoline_kernelINS0_14default_configENS1_27scan_by_key_config_selectorIxxEEZZNS1_16scan_by_key_implILNS1_25lookback_scan_determinismE0ELb0ES3_N6thrust23THRUST_200600_302600_NS6detail15normal_iteratorINS9_10device_ptrIxEEEESE_SE_xNS9_4plusIxEE19head_flag_predicatexEE10hipError_tPvRmT2_T3_T4_T5_mT6_T7_P12ihipStream_tbENKUlT_T0_E_clISt17integral_constantIbLb1EESX_IbLb0EEEEDaST_SU_EUlST_E_NS1_11comp_targetILNS1_3genE2ELNS1_11target_archE906ELNS1_3gpuE6ELNS1_3repE0EEENS1_30default_config_static_selectorELNS0_4arch9wavefront6targetE1EEEvT1_,comdat
.Lfunc_end700:
	.size	_ZN7rocprim17ROCPRIM_400000_NS6detail17trampoline_kernelINS0_14default_configENS1_27scan_by_key_config_selectorIxxEEZZNS1_16scan_by_key_implILNS1_25lookback_scan_determinismE0ELb0ES3_N6thrust23THRUST_200600_302600_NS6detail15normal_iteratorINS9_10device_ptrIxEEEESE_SE_xNS9_4plusIxEE19head_flag_predicatexEE10hipError_tPvRmT2_T3_T4_T5_mT6_T7_P12ihipStream_tbENKUlT_T0_E_clISt17integral_constantIbLb1EESX_IbLb0EEEEDaST_SU_EUlST_E_NS1_11comp_targetILNS1_3genE2ELNS1_11target_archE906ELNS1_3gpuE6ELNS1_3repE0EEENS1_30default_config_static_selectorELNS0_4arch9wavefront6targetE1EEEvT1_, .Lfunc_end700-_ZN7rocprim17ROCPRIM_400000_NS6detail17trampoline_kernelINS0_14default_configENS1_27scan_by_key_config_selectorIxxEEZZNS1_16scan_by_key_implILNS1_25lookback_scan_determinismE0ELb0ES3_N6thrust23THRUST_200600_302600_NS6detail15normal_iteratorINS9_10device_ptrIxEEEESE_SE_xNS9_4plusIxEE19head_flag_predicatexEE10hipError_tPvRmT2_T3_T4_T5_mT6_T7_P12ihipStream_tbENKUlT_T0_E_clISt17integral_constantIbLb1EESX_IbLb0EEEEDaST_SU_EUlST_E_NS1_11comp_targetILNS1_3genE2ELNS1_11target_archE906ELNS1_3gpuE6ELNS1_3repE0EEENS1_30default_config_static_selectorELNS0_4arch9wavefront6targetE1EEEvT1_
                                        ; -- End function
	.section	.AMDGPU.csdata,"",@progbits
; Kernel info:
; codeLenInByte = 0
; NumSgprs: 4
; NumVgprs: 0
; NumAgprs: 0
; TotalNumVgprs: 0
; ScratchSize: 0
; MemoryBound: 0
; FloatMode: 240
; IeeeMode: 1
; LDSByteSize: 0 bytes/workgroup (compile time only)
; SGPRBlocks: 0
; VGPRBlocks: 0
; NumSGPRsForWavesPerEU: 4
; NumVGPRsForWavesPerEU: 1
; AccumOffset: 4
; Occupancy: 8
; WaveLimiterHint : 0
; COMPUTE_PGM_RSRC2:SCRATCH_EN: 0
; COMPUTE_PGM_RSRC2:USER_SGPR: 6
; COMPUTE_PGM_RSRC2:TRAP_HANDLER: 0
; COMPUTE_PGM_RSRC2:TGID_X_EN: 1
; COMPUTE_PGM_RSRC2:TGID_Y_EN: 0
; COMPUTE_PGM_RSRC2:TGID_Z_EN: 0
; COMPUTE_PGM_RSRC2:TIDIG_COMP_CNT: 0
; COMPUTE_PGM_RSRC3_GFX90A:ACCUM_OFFSET: 0
; COMPUTE_PGM_RSRC3_GFX90A:TG_SPLIT: 0
	.section	.text._ZN7rocprim17ROCPRIM_400000_NS6detail17trampoline_kernelINS0_14default_configENS1_27scan_by_key_config_selectorIxxEEZZNS1_16scan_by_key_implILNS1_25lookback_scan_determinismE0ELb0ES3_N6thrust23THRUST_200600_302600_NS6detail15normal_iteratorINS9_10device_ptrIxEEEESE_SE_xNS9_4plusIxEE19head_flag_predicatexEE10hipError_tPvRmT2_T3_T4_T5_mT6_T7_P12ihipStream_tbENKUlT_T0_E_clISt17integral_constantIbLb1EESX_IbLb0EEEEDaST_SU_EUlST_E_NS1_11comp_targetILNS1_3genE10ELNS1_11target_archE1200ELNS1_3gpuE4ELNS1_3repE0EEENS1_30default_config_static_selectorELNS0_4arch9wavefront6targetE1EEEvT1_,"axG",@progbits,_ZN7rocprim17ROCPRIM_400000_NS6detail17trampoline_kernelINS0_14default_configENS1_27scan_by_key_config_selectorIxxEEZZNS1_16scan_by_key_implILNS1_25lookback_scan_determinismE0ELb0ES3_N6thrust23THRUST_200600_302600_NS6detail15normal_iteratorINS9_10device_ptrIxEEEESE_SE_xNS9_4plusIxEE19head_flag_predicatexEE10hipError_tPvRmT2_T3_T4_T5_mT6_T7_P12ihipStream_tbENKUlT_T0_E_clISt17integral_constantIbLb1EESX_IbLb0EEEEDaST_SU_EUlST_E_NS1_11comp_targetILNS1_3genE10ELNS1_11target_archE1200ELNS1_3gpuE4ELNS1_3repE0EEENS1_30default_config_static_selectorELNS0_4arch9wavefront6targetE1EEEvT1_,comdat
	.protected	_ZN7rocprim17ROCPRIM_400000_NS6detail17trampoline_kernelINS0_14default_configENS1_27scan_by_key_config_selectorIxxEEZZNS1_16scan_by_key_implILNS1_25lookback_scan_determinismE0ELb0ES3_N6thrust23THRUST_200600_302600_NS6detail15normal_iteratorINS9_10device_ptrIxEEEESE_SE_xNS9_4plusIxEE19head_flag_predicatexEE10hipError_tPvRmT2_T3_T4_T5_mT6_T7_P12ihipStream_tbENKUlT_T0_E_clISt17integral_constantIbLb1EESX_IbLb0EEEEDaST_SU_EUlST_E_NS1_11comp_targetILNS1_3genE10ELNS1_11target_archE1200ELNS1_3gpuE4ELNS1_3repE0EEENS1_30default_config_static_selectorELNS0_4arch9wavefront6targetE1EEEvT1_ ; -- Begin function _ZN7rocprim17ROCPRIM_400000_NS6detail17trampoline_kernelINS0_14default_configENS1_27scan_by_key_config_selectorIxxEEZZNS1_16scan_by_key_implILNS1_25lookback_scan_determinismE0ELb0ES3_N6thrust23THRUST_200600_302600_NS6detail15normal_iteratorINS9_10device_ptrIxEEEESE_SE_xNS9_4plusIxEE19head_flag_predicatexEE10hipError_tPvRmT2_T3_T4_T5_mT6_T7_P12ihipStream_tbENKUlT_T0_E_clISt17integral_constantIbLb1EESX_IbLb0EEEEDaST_SU_EUlST_E_NS1_11comp_targetILNS1_3genE10ELNS1_11target_archE1200ELNS1_3gpuE4ELNS1_3repE0EEENS1_30default_config_static_selectorELNS0_4arch9wavefront6targetE1EEEvT1_
	.globl	_ZN7rocprim17ROCPRIM_400000_NS6detail17trampoline_kernelINS0_14default_configENS1_27scan_by_key_config_selectorIxxEEZZNS1_16scan_by_key_implILNS1_25lookback_scan_determinismE0ELb0ES3_N6thrust23THRUST_200600_302600_NS6detail15normal_iteratorINS9_10device_ptrIxEEEESE_SE_xNS9_4plusIxEE19head_flag_predicatexEE10hipError_tPvRmT2_T3_T4_T5_mT6_T7_P12ihipStream_tbENKUlT_T0_E_clISt17integral_constantIbLb1EESX_IbLb0EEEEDaST_SU_EUlST_E_NS1_11comp_targetILNS1_3genE10ELNS1_11target_archE1200ELNS1_3gpuE4ELNS1_3repE0EEENS1_30default_config_static_selectorELNS0_4arch9wavefront6targetE1EEEvT1_
	.p2align	8
	.type	_ZN7rocprim17ROCPRIM_400000_NS6detail17trampoline_kernelINS0_14default_configENS1_27scan_by_key_config_selectorIxxEEZZNS1_16scan_by_key_implILNS1_25lookback_scan_determinismE0ELb0ES3_N6thrust23THRUST_200600_302600_NS6detail15normal_iteratorINS9_10device_ptrIxEEEESE_SE_xNS9_4plusIxEE19head_flag_predicatexEE10hipError_tPvRmT2_T3_T4_T5_mT6_T7_P12ihipStream_tbENKUlT_T0_E_clISt17integral_constantIbLb1EESX_IbLb0EEEEDaST_SU_EUlST_E_NS1_11comp_targetILNS1_3genE10ELNS1_11target_archE1200ELNS1_3gpuE4ELNS1_3repE0EEENS1_30default_config_static_selectorELNS0_4arch9wavefront6targetE1EEEvT1_,@function
_ZN7rocprim17ROCPRIM_400000_NS6detail17trampoline_kernelINS0_14default_configENS1_27scan_by_key_config_selectorIxxEEZZNS1_16scan_by_key_implILNS1_25lookback_scan_determinismE0ELb0ES3_N6thrust23THRUST_200600_302600_NS6detail15normal_iteratorINS9_10device_ptrIxEEEESE_SE_xNS9_4plusIxEE19head_flag_predicatexEE10hipError_tPvRmT2_T3_T4_T5_mT6_T7_P12ihipStream_tbENKUlT_T0_E_clISt17integral_constantIbLb1EESX_IbLb0EEEEDaST_SU_EUlST_E_NS1_11comp_targetILNS1_3genE10ELNS1_11target_archE1200ELNS1_3gpuE4ELNS1_3repE0EEENS1_30default_config_static_selectorELNS0_4arch9wavefront6targetE1EEEvT1_: ; @_ZN7rocprim17ROCPRIM_400000_NS6detail17trampoline_kernelINS0_14default_configENS1_27scan_by_key_config_selectorIxxEEZZNS1_16scan_by_key_implILNS1_25lookback_scan_determinismE0ELb0ES3_N6thrust23THRUST_200600_302600_NS6detail15normal_iteratorINS9_10device_ptrIxEEEESE_SE_xNS9_4plusIxEE19head_flag_predicatexEE10hipError_tPvRmT2_T3_T4_T5_mT6_T7_P12ihipStream_tbENKUlT_T0_E_clISt17integral_constantIbLb1EESX_IbLb0EEEEDaST_SU_EUlST_E_NS1_11comp_targetILNS1_3genE10ELNS1_11target_archE1200ELNS1_3gpuE4ELNS1_3repE0EEENS1_30default_config_static_selectorELNS0_4arch9wavefront6targetE1EEEvT1_
; %bb.0:
	.section	.rodata,"a",@progbits
	.p2align	6, 0x0
	.amdhsa_kernel _ZN7rocprim17ROCPRIM_400000_NS6detail17trampoline_kernelINS0_14default_configENS1_27scan_by_key_config_selectorIxxEEZZNS1_16scan_by_key_implILNS1_25lookback_scan_determinismE0ELb0ES3_N6thrust23THRUST_200600_302600_NS6detail15normal_iteratorINS9_10device_ptrIxEEEESE_SE_xNS9_4plusIxEE19head_flag_predicatexEE10hipError_tPvRmT2_T3_T4_T5_mT6_T7_P12ihipStream_tbENKUlT_T0_E_clISt17integral_constantIbLb1EESX_IbLb0EEEEDaST_SU_EUlST_E_NS1_11comp_targetILNS1_3genE10ELNS1_11target_archE1200ELNS1_3gpuE4ELNS1_3repE0EEENS1_30default_config_static_selectorELNS0_4arch9wavefront6targetE1EEEvT1_
		.amdhsa_group_segment_fixed_size 0
		.amdhsa_private_segment_fixed_size 0
		.amdhsa_kernarg_size 136
		.amdhsa_user_sgpr_count 6
		.amdhsa_user_sgpr_private_segment_buffer 1
		.amdhsa_user_sgpr_dispatch_ptr 0
		.amdhsa_user_sgpr_queue_ptr 0
		.amdhsa_user_sgpr_kernarg_segment_ptr 1
		.amdhsa_user_sgpr_dispatch_id 0
		.amdhsa_user_sgpr_flat_scratch_init 0
		.amdhsa_user_sgpr_kernarg_preload_length 0
		.amdhsa_user_sgpr_kernarg_preload_offset 0
		.amdhsa_user_sgpr_private_segment_size 0
		.amdhsa_uses_dynamic_stack 0
		.amdhsa_system_sgpr_private_segment_wavefront_offset 0
		.amdhsa_system_sgpr_workgroup_id_x 1
		.amdhsa_system_sgpr_workgroup_id_y 0
		.amdhsa_system_sgpr_workgroup_id_z 0
		.amdhsa_system_sgpr_workgroup_info 0
		.amdhsa_system_vgpr_workitem_id 0
		.amdhsa_next_free_vgpr 1
		.amdhsa_next_free_sgpr 0
		.amdhsa_accum_offset 4
		.amdhsa_reserve_vcc 0
		.amdhsa_reserve_flat_scratch 0
		.amdhsa_float_round_mode_32 0
		.amdhsa_float_round_mode_16_64 0
		.amdhsa_float_denorm_mode_32 3
		.amdhsa_float_denorm_mode_16_64 3
		.amdhsa_dx10_clamp 1
		.amdhsa_ieee_mode 1
		.amdhsa_fp16_overflow 0
		.amdhsa_tg_split 0
		.amdhsa_exception_fp_ieee_invalid_op 0
		.amdhsa_exception_fp_denorm_src 0
		.amdhsa_exception_fp_ieee_div_zero 0
		.amdhsa_exception_fp_ieee_overflow 0
		.amdhsa_exception_fp_ieee_underflow 0
		.amdhsa_exception_fp_ieee_inexact 0
		.amdhsa_exception_int_div_zero 0
	.end_amdhsa_kernel
	.section	.text._ZN7rocprim17ROCPRIM_400000_NS6detail17trampoline_kernelINS0_14default_configENS1_27scan_by_key_config_selectorIxxEEZZNS1_16scan_by_key_implILNS1_25lookback_scan_determinismE0ELb0ES3_N6thrust23THRUST_200600_302600_NS6detail15normal_iteratorINS9_10device_ptrIxEEEESE_SE_xNS9_4plusIxEE19head_flag_predicatexEE10hipError_tPvRmT2_T3_T4_T5_mT6_T7_P12ihipStream_tbENKUlT_T0_E_clISt17integral_constantIbLb1EESX_IbLb0EEEEDaST_SU_EUlST_E_NS1_11comp_targetILNS1_3genE10ELNS1_11target_archE1200ELNS1_3gpuE4ELNS1_3repE0EEENS1_30default_config_static_selectorELNS0_4arch9wavefront6targetE1EEEvT1_,"axG",@progbits,_ZN7rocprim17ROCPRIM_400000_NS6detail17trampoline_kernelINS0_14default_configENS1_27scan_by_key_config_selectorIxxEEZZNS1_16scan_by_key_implILNS1_25lookback_scan_determinismE0ELb0ES3_N6thrust23THRUST_200600_302600_NS6detail15normal_iteratorINS9_10device_ptrIxEEEESE_SE_xNS9_4plusIxEE19head_flag_predicatexEE10hipError_tPvRmT2_T3_T4_T5_mT6_T7_P12ihipStream_tbENKUlT_T0_E_clISt17integral_constantIbLb1EESX_IbLb0EEEEDaST_SU_EUlST_E_NS1_11comp_targetILNS1_3genE10ELNS1_11target_archE1200ELNS1_3gpuE4ELNS1_3repE0EEENS1_30default_config_static_selectorELNS0_4arch9wavefront6targetE1EEEvT1_,comdat
.Lfunc_end701:
	.size	_ZN7rocprim17ROCPRIM_400000_NS6detail17trampoline_kernelINS0_14default_configENS1_27scan_by_key_config_selectorIxxEEZZNS1_16scan_by_key_implILNS1_25lookback_scan_determinismE0ELb0ES3_N6thrust23THRUST_200600_302600_NS6detail15normal_iteratorINS9_10device_ptrIxEEEESE_SE_xNS9_4plusIxEE19head_flag_predicatexEE10hipError_tPvRmT2_T3_T4_T5_mT6_T7_P12ihipStream_tbENKUlT_T0_E_clISt17integral_constantIbLb1EESX_IbLb0EEEEDaST_SU_EUlST_E_NS1_11comp_targetILNS1_3genE10ELNS1_11target_archE1200ELNS1_3gpuE4ELNS1_3repE0EEENS1_30default_config_static_selectorELNS0_4arch9wavefront6targetE1EEEvT1_, .Lfunc_end701-_ZN7rocprim17ROCPRIM_400000_NS6detail17trampoline_kernelINS0_14default_configENS1_27scan_by_key_config_selectorIxxEEZZNS1_16scan_by_key_implILNS1_25lookback_scan_determinismE0ELb0ES3_N6thrust23THRUST_200600_302600_NS6detail15normal_iteratorINS9_10device_ptrIxEEEESE_SE_xNS9_4plusIxEE19head_flag_predicatexEE10hipError_tPvRmT2_T3_T4_T5_mT6_T7_P12ihipStream_tbENKUlT_T0_E_clISt17integral_constantIbLb1EESX_IbLb0EEEEDaST_SU_EUlST_E_NS1_11comp_targetILNS1_3genE10ELNS1_11target_archE1200ELNS1_3gpuE4ELNS1_3repE0EEENS1_30default_config_static_selectorELNS0_4arch9wavefront6targetE1EEEvT1_
                                        ; -- End function
	.section	.AMDGPU.csdata,"",@progbits
; Kernel info:
; codeLenInByte = 0
; NumSgprs: 4
; NumVgprs: 0
; NumAgprs: 0
; TotalNumVgprs: 0
; ScratchSize: 0
; MemoryBound: 0
; FloatMode: 240
; IeeeMode: 1
; LDSByteSize: 0 bytes/workgroup (compile time only)
; SGPRBlocks: 0
; VGPRBlocks: 0
; NumSGPRsForWavesPerEU: 4
; NumVGPRsForWavesPerEU: 1
; AccumOffset: 4
; Occupancy: 8
; WaveLimiterHint : 0
; COMPUTE_PGM_RSRC2:SCRATCH_EN: 0
; COMPUTE_PGM_RSRC2:USER_SGPR: 6
; COMPUTE_PGM_RSRC2:TRAP_HANDLER: 0
; COMPUTE_PGM_RSRC2:TGID_X_EN: 1
; COMPUTE_PGM_RSRC2:TGID_Y_EN: 0
; COMPUTE_PGM_RSRC2:TGID_Z_EN: 0
; COMPUTE_PGM_RSRC2:TIDIG_COMP_CNT: 0
; COMPUTE_PGM_RSRC3_GFX90A:ACCUM_OFFSET: 0
; COMPUTE_PGM_RSRC3_GFX90A:TG_SPLIT: 0
	.section	.text._ZN7rocprim17ROCPRIM_400000_NS6detail17trampoline_kernelINS0_14default_configENS1_27scan_by_key_config_selectorIxxEEZZNS1_16scan_by_key_implILNS1_25lookback_scan_determinismE0ELb0ES3_N6thrust23THRUST_200600_302600_NS6detail15normal_iteratorINS9_10device_ptrIxEEEESE_SE_xNS9_4plusIxEE19head_flag_predicatexEE10hipError_tPvRmT2_T3_T4_T5_mT6_T7_P12ihipStream_tbENKUlT_T0_E_clISt17integral_constantIbLb1EESX_IbLb0EEEEDaST_SU_EUlST_E_NS1_11comp_targetILNS1_3genE9ELNS1_11target_archE1100ELNS1_3gpuE3ELNS1_3repE0EEENS1_30default_config_static_selectorELNS0_4arch9wavefront6targetE1EEEvT1_,"axG",@progbits,_ZN7rocprim17ROCPRIM_400000_NS6detail17trampoline_kernelINS0_14default_configENS1_27scan_by_key_config_selectorIxxEEZZNS1_16scan_by_key_implILNS1_25lookback_scan_determinismE0ELb0ES3_N6thrust23THRUST_200600_302600_NS6detail15normal_iteratorINS9_10device_ptrIxEEEESE_SE_xNS9_4plusIxEE19head_flag_predicatexEE10hipError_tPvRmT2_T3_T4_T5_mT6_T7_P12ihipStream_tbENKUlT_T0_E_clISt17integral_constantIbLb1EESX_IbLb0EEEEDaST_SU_EUlST_E_NS1_11comp_targetILNS1_3genE9ELNS1_11target_archE1100ELNS1_3gpuE3ELNS1_3repE0EEENS1_30default_config_static_selectorELNS0_4arch9wavefront6targetE1EEEvT1_,comdat
	.protected	_ZN7rocprim17ROCPRIM_400000_NS6detail17trampoline_kernelINS0_14default_configENS1_27scan_by_key_config_selectorIxxEEZZNS1_16scan_by_key_implILNS1_25lookback_scan_determinismE0ELb0ES3_N6thrust23THRUST_200600_302600_NS6detail15normal_iteratorINS9_10device_ptrIxEEEESE_SE_xNS9_4plusIxEE19head_flag_predicatexEE10hipError_tPvRmT2_T3_T4_T5_mT6_T7_P12ihipStream_tbENKUlT_T0_E_clISt17integral_constantIbLb1EESX_IbLb0EEEEDaST_SU_EUlST_E_NS1_11comp_targetILNS1_3genE9ELNS1_11target_archE1100ELNS1_3gpuE3ELNS1_3repE0EEENS1_30default_config_static_selectorELNS0_4arch9wavefront6targetE1EEEvT1_ ; -- Begin function _ZN7rocprim17ROCPRIM_400000_NS6detail17trampoline_kernelINS0_14default_configENS1_27scan_by_key_config_selectorIxxEEZZNS1_16scan_by_key_implILNS1_25lookback_scan_determinismE0ELb0ES3_N6thrust23THRUST_200600_302600_NS6detail15normal_iteratorINS9_10device_ptrIxEEEESE_SE_xNS9_4plusIxEE19head_flag_predicatexEE10hipError_tPvRmT2_T3_T4_T5_mT6_T7_P12ihipStream_tbENKUlT_T0_E_clISt17integral_constantIbLb1EESX_IbLb0EEEEDaST_SU_EUlST_E_NS1_11comp_targetILNS1_3genE9ELNS1_11target_archE1100ELNS1_3gpuE3ELNS1_3repE0EEENS1_30default_config_static_selectorELNS0_4arch9wavefront6targetE1EEEvT1_
	.globl	_ZN7rocprim17ROCPRIM_400000_NS6detail17trampoline_kernelINS0_14default_configENS1_27scan_by_key_config_selectorIxxEEZZNS1_16scan_by_key_implILNS1_25lookback_scan_determinismE0ELb0ES3_N6thrust23THRUST_200600_302600_NS6detail15normal_iteratorINS9_10device_ptrIxEEEESE_SE_xNS9_4plusIxEE19head_flag_predicatexEE10hipError_tPvRmT2_T3_T4_T5_mT6_T7_P12ihipStream_tbENKUlT_T0_E_clISt17integral_constantIbLb1EESX_IbLb0EEEEDaST_SU_EUlST_E_NS1_11comp_targetILNS1_3genE9ELNS1_11target_archE1100ELNS1_3gpuE3ELNS1_3repE0EEENS1_30default_config_static_selectorELNS0_4arch9wavefront6targetE1EEEvT1_
	.p2align	8
	.type	_ZN7rocprim17ROCPRIM_400000_NS6detail17trampoline_kernelINS0_14default_configENS1_27scan_by_key_config_selectorIxxEEZZNS1_16scan_by_key_implILNS1_25lookback_scan_determinismE0ELb0ES3_N6thrust23THRUST_200600_302600_NS6detail15normal_iteratorINS9_10device_ptrIxEEEESE_SE_xNS9_4plusIxEE19head_flag_predicatexEE10hipError_tPvRmT2_T3_T4_T5_mT6_T7_P12ihipStream_tbENKUlT_T0_E_clISt17integral_constantIbLb1EESX_IbLb0EEEEDaST_SU_EUlST_E_NS1_11comp_targetILNS1_3genE9ELNS1_11target_archE1100ELNS1_3gpuE3ELNS1_3repE0EEENS1_30default_config_static_selectorELNS0_4arch9wavefront6targetE1EEEvT1_,@function
_ZN7rocprim17ROCPRIM_400000_NS6detail17trampoline_kernelINS0_14default_configENS1_27scan_by_key_config_selectorIxxEEZZNS1_16scan_by_key_implILNS1_25lookback_scan_determinismE0ELb0ES3_N6thrust23THRUST_200600_302600_NS6detail15normal_iteratorINS9_10device_ptrIxEEEESE_SE_xNS9_4plusIxEE19head_flag_predicatexEE10hipError_tPvRmT2_T3_T4_T5_mT6_T7_P12ihipStream_tbENKUlT_T0_E_clISt17integral_constantIbLb1EESX_IbLb0EEEEDaST_SU_EUlST_E_NS1_11comp_targetILNS1_3genE9ELNS1_11target_archE1100ELNS1_3gpuE3ELNS1_3repE0EEENS1_30default_config_static_selectorELNS0_4arch9wavefront6targetE1EEEvT1_: ; @_ZN7rocprim17ROCPRIM_400000_NS6detail17trampoline_kernelINS0_14default_configENS1_27scan_by_key_config_selectorIxxEEZZNS1_16scan_by_key_implILNS1_25lookback_scan_determinismE0ELb0ES3_N6thrust23THRUST_200600_302600_NS6detail15normal_iteratorINS9_10device_ptrIxEEEESE_SE_xNS9_4plusIxEE19head_flag_predicatexEE10hipError_tPvRmT2_T3_T4_T5_mT6_T7_P12ihipStream_tbENKUlT_T0_E_clISt17integral_constantIbLb1EESX_IbLb0EEEEDaST_SU_EUlST_E_NS1_11comp_targetILNS1_3genE9ELNS1_11target_archE1100ELNS1_3gpuE3ELNS1_3repE0EEENS1_30default_config_static_selectorELNS0_4arch9wavefront6targetE1EEEvT1_
; %bb.0:
	.section	.rodata,"a",@progbits
	.p2align	6, 0x0
	.amdhsa_kernel _ZN7rocprim17ROCPRIM_400000_NS6detail17trampoline_kernelINS0_14default_configENS1_27scan_by_key_config_selectorIxxEEZZNS1_16scan_by_key_implILNS1_25lookback_scan_determinismE0ELb0ES3_N6thrust23THRUST_200600_302600_NS6detail15normal_iteratorINS9_10device_ptrIxEEEESE_SE_xNS9_4plusIxEE19head_flag_predicatexEE10hipError_tPvRmT2_T3_T4_T5_mT6_T7_P12ihipStream_tbENKUlT_T0_E_clISt17integral_constantIbLb1EESX_IbLb0EEEEDaST_SU_EUlST_E_NS1_11comp_targetILNS1_3genE9ELNS1_11target_archE1100ELNS1_3gpuE3ELNS1_3repE0EEENS1_30default_config_static_selectorELNS0_4arch9wavefront6targetE1EEEvT1_
		.amdhsa_group_segment_fixed_size 0
		.amdhsa_private_segment_fixed_size 0
		.amdhsa_kernarg_size 136
		.amdhsa_user_sgpr_count 6
		.amdhsa_user_sgpr_private_segment_buffer 1
		.amdhsa_user_sgpr_dispatch_ptr 0
		.amdhsa_user_sgpr_queue_ptr 0
		.amdhsa_user_sgpr_kernarg_segment_ptr 1
		.amdhsa_user_sgpr_dispatch_id 0
		.amdhsa_user_sgpr_flat_scratch_init 0
		.amdhsa_user_sgpr_kernarg_preload_length 0
		.amdhsa_user_sgpr_kernarg_preload_offset 0
		.amdhsa_user_sgpr_private_segment_size 0
		.amdhsa_uses_dynamic_stack 0
		.amdhsa_system_sgpr_private_segment_wavefront_offset 0
		.amdhsa_system_sgpr_workgroup_id_x 1
		.amdhsa_system_sgpr_workgroup_id_y 0
		.amdhsa_system_sgpr_workgroup_id_z 0
		.amdhsa_system_sgpr_workgroup_info 0
		.amdhsa_system_vgpr_workitem_id 0
		.amdhsa_next_free_vgpr 1
		.amdhsa_next_free_sgpr 0
		.amdhsa_accum_offset 4
		.amdhsa_reserve_vcc 0
		.amdhsa_reserve_flat_scratch 0
		.amdhsa_float_round_mode_32 0
		.amdhsa_float_round_mode_16_64 0
		.amdhsa_float_denorm_mode_32 3
		.amdhsa_float_denorm_mode_16_64 3
		.amdhsa_dx10_clamp 1
		.amdhsa_ieee_mode 1
		.amdhsa_fp16_overflow 0
		.amdhsa_tg_split 0
		.amdhsa_exception_fp_ieee_invalid_op 0
		.amdhsa_exception_fp_denorm_src 0
		.amdhsa_exception_fp_ieee_div_zero 0
		.amdhsa_exception_fp_ieee_overflow 0
		.amdhsa_exception_fp_ieee_underflow 0
		.amdhsa_exception_fp_ieee_inexact 0
		.amdhsa_exception_int_div_zero 0
	.end_amdhsa_kernel
	.section	.text._ZN7rocprim17ROCPRIM_400000_NS6detail17trampoline_kernelINS0_14default_configENS1_27scan_by_key_config_selectorIxxEEZZNS1_16scan_by_key_implILNS1_25lookback_scan_determinismE0ELb0ES3_N6thrust23THRUST_200600_302600_NS6detail15normal_iteratorINS9_10device_ptrIxEEEESE_SE_xNS9_4plusIxEE19head_flag_predicatexEE10hipError_tPvRmT2_T3_T4_T5_mT6_T7_P12ihipStream_tbENKUlT_T0_E_clISt17integral_constantIbLb1EESX_IbLb0EEEEDaST_SU_EUlST_E_NS1_11comp_targetILNS1_3genE9ELNS1_11target_archE1100ELNS1_3gpuE3ELNS1_3repE0EEENS1_30default_config_static_selectorELNS0_4arch9wavefront6targetE1EEEvT1_,"axG",@progbits,_ZN7rocprim17ROCPRIM_400000_NS6detail17trampoline_kernelINS0_14default_configENS1_27scan_by_key_config_selectorIxxEEZZNS1_16scan_by_key_implILNS1_25lookback_scan_determinismE0ELb0ES3_N6thrust23THRUST_200600_302600_NS6detail15normal_iteratorINS9_10device_ptrIxEEEESE_SE_xNS9_4plusIxEE19head_flag_predicatexEE10hipError_tPvRmT2_T3_T4_T5_mT6_T7_P12ihipStream_tbENKUlT_T0_E_clISt17integral_constantIbLb1EESX_IbLb0EEEEDaST_SU_EUlST_E_NS1_11comp_targetILNS1_3genE9ELNS1_11target_archE1100ELNS1_3gpuE3ELNS1_3repE0EEENS1_30default_config_static_selectorELNS0_4arch9wavefront6targetE1EEEvT1_,comdat
.Lfunc_end702:
	.size	_ZN7rocprim17ROCPRIM_400000_NS6detail17trampoline_kernelINS0_14default_configENS1_27scan_by_key_config_selectorIxxEEZZNS1_16scan_by_key_implILNS1_25lookback_scan_determinismE0ELb0ES3_N6thrust23THRUST_200600_302600_NS6detail15normal_iteratorINS9_10device_ptrIxEEEESE_SE_xNS9_4plusIxEE19head_flag_predicatexEE10hipError_tPvRmT2_T3_T4_T5_mT6_T7_P12ihipStream_tbENKUlT_T0_E_clISt17integral_constantIbLb1EESX_IbLb0EEEEDaST_SU_EUlST_E_NS1_11comp_targetILNS1_3genE9ELNS1_11target_archE1100ELNS1_3gpuE3ELNS1_3repE0EEENS1_30default_config_static_selectorELNS0_4arch9wavefront6targetE1EEEvT1_, .Lfunc_end702-_ZN7rocprim17ROCPRIM_400000_NS6detail17trampoline_kernelINS0_14default_configENS1_27scan_by_key_config_selectorIxxEEZZNS1_16scan_by_key_implILNS1_25lookback_scan_determinismE0ELb0ES3_N6thrust23THRUST_200600_302600_NS6detail15normal_iteratorINS9_10device_ptrIxEEEESE_SE_xNS9_4plusIxEE19head_flag_predicatexEE10hipError_tPvRmT2_T3_T4_T5_mT6_T7_P12ihipStream_tbENKUlT_T0_E_clISt17integral_constantIbLb1EESX_IbLb0EEEEDaST_SU_EUlST_E_NS1_11comp_targetILNS1_3genE9ELNS1_11target_archE1100ELNS1_3gpuE3ELNS1_3repE0EEENS1_30default_config_static_selectorELNS0_4arch9wavefront6targetE1EEEvT1_
                                        ; -- End function
	.section	.AMDGPU.csdata,"",@progbits
; Kernel info:
; codeLenInByte = 0
; NumSgprs: 4
; NumVgprs: 0
; NumAgprs: 0
; TotalNumVgprs: 0
; ScratchSize: 0
; MemoryBound: 0
; FloatMode: 240
; IeeeMode: 1
; LDSByteSize: 0 bytes/workgroup (compile time only)
; SGPRBlocks: 0
; VGPRBlocks: 0
; NumSGPRsForWavesPerEU: 4
; NumVGPRsForWavesPerEU: 1
; AccumOffset: 4
; Occupancy: 8
; WaveLimiterHint : 0
; COMPUTE_PGM_RSRC2:SCRATCH_EN: 0
; COMPUTE_PGM_RSRC2:USER_SGPR: 6
; COMPUTE_PGM_RSRC2:TRAP_HANDLER: 0
; COMPUTE_PGM_RSRC2:TGID_X_EN: 1
; COMPUTE_PGM_RSRC2:TGID_Y_EN: 0
; COMPUTE_PGM_RSRC2:TGID_Z_EN: 0
; COMPUTE_PGM_RSRC2:TIDIG_COMP_CNT: 0
; COMPUTE_PGM_RSRC3_GFX90A:ACCUM_OFFSET: 0
; COMPUTE_PGM_RSRC3_GFX90A:TG_SPLIT: 0
	.section	.text._ZN7rocprim17ROCPRIM_400000_NS6detail17trampoline_kernelINS0_14default_configENS1_27scan_by_key_config_selectorIxxEEZZNS1_16scan_by_key_implILNS1_25lookback_scan_determinismE0ELb0ES3_N6thrust23THRUST_200600_302600_NS6detail15normal_iteratorINS9_10device_ptrIxEEEESE_SE_xNS9_4plusIxEE19head_flag_predicatexEE10hipError_tPvRmT2_T3_T4_T5_mT6_T7_P12ihipStream_tbENKUlT_T0_E_clISt17integral_constantIbLb1EESX_IbLb0EEEEDaST_SU_EUlST_E_NS1_11comp_targetILNS1_3genE8ELNS1_11target_archE1030ELNS1_3gpuE2ELNS1_3repE0EEENS1_30default_config_static_selectorELNS0_4arch9wavefront6targetE1EEEvT1_,"axG",@progbits,_ZN7rocprim17ROCPRIM_400000_NS6detail17trampoline_kernelINS0_14default_configENS1_27scan_by_key_config_selectorIxxEEZZNS1_16scan_by_key_implILNS1_25lookback_scan_determinismE0ELb0ES3_N6thrust23THRUST_200600_302600_NS6detail15normal_iteratorINS9_10device_ptrIxEEEESE_SE_xNS9_4plusIxEE19head_flag_predicatexEE10hipError_tPvRmT2_T3_T4_T5_mT6_T7_P12ihipStream_tbENKUlT_T0_E_clISt17integral_constantIbLb1EESX_IbLb0EEEEDaST_SU_EUlST_E_NS1_11comp_targetILNS1_3genE8ELNS1_11target_archE1030ELNS1_3gpuE2ELNS1_3repE0EEENS1_30default_config_static_selectorELNS0_4arch9wavefront6targetE1EEEvT1_,comdat
	.protected	_ZN7rocprim17ROCPRIM_400000_NS6detail17trampoline_kernelINS0_14default_configENS1_27scan_by_key_config_selectorIxxEEZZNS1_16scan_by_key_implILNS1_25lookback_scan_determinismE0ELb0ES3_N6thrust23THRUST_200600_302600_NS6detail15normal_iteratorINS9_10device_ptrIxEEEESE_SE_xNS9_4plusIxEE19head_flag_predicatexEE10hipError_tPvRmT2_T3_T4_T5_mT6_T7_P12ihipStream_tbENKUlT_T0_E_clISt17integral_constantIbLb1EESX_IbLb0EEEEDaST_SU_EUlST_E_NS1_11comp_targetILNS1_3genE8ELNS1_11target_archE1030ELNS1_3gpuE2ELNS1_3repE0EEENS1_30default_config_static_selectorELNS0_4arch9wavefront6targetE1EEEvT1_ ; -- Begin function _ZN7rocprim17ROCPRIM_400000_NS6detail17trampoline_kernelINS0_14default_configENS1_27scan_by_key_config_selectorIxxEEZZNS1_16scan_by_key_implILNS1_25lookback_scan_determinismE0ELb0ES3_N6thrust23THRUST_200600_302600_NS6detail15normal_iteratorINS9_10device_ptrIxEEEESE_SE_xNS9_4plusIxEE19head_flag_predicatexEE10hipError_tPvRmT2_T3_T4_T5_mT6_T7_P12ihipStream_tbENKUlT_T0_E_clISt17integral_constantIbLb1EESX_IbLb0EEEEDaST_SU_EUlST_E_NS1_11comp_targetILNS1_3genE8ELNS1_11target_archE1030ELNS1_3gpuE2ELNS1_3repE0EEENS1_30default_config_static_selectorELNS0_4arch9wavefront6targetE1EEEvT1_
	.globl	_ZN7rocprim17ROCPRIM_400000_NS6detail17trampoline_kernelINS0_14default_configENS1_27scan_by_key_config_selectorIxxEEZZNS1_16scan_by_key_implILNS1_25lookback_scan_determinismE0ELb0ES3_N6thrust23THRUST_200600_302600_NS6detail15normal_iteratorINS9_10device_ptrIxEEEESE_SE_xNS9_4plusIxEE19head_flag_predicatexEE10hipError_tPvRmT2_T3_T4_T5_mT6_T7_P12ihipStream_tbENKUlT_T0_E_clISt17integral_constantIbLb1EESX_IbLb0EEEEDaST_SU_EUlST_E_NS1_11comp_targetILNS1_3genE8ELNS1_11target_archE1030ELNS1_3gpuE2ELNS1_3repE0EEENS1_30default_config_static_selectorELNS0_4arch9wavefront6targetE1EEEvT1_
	.p2align	8
	.type	_ZN7rocprim17ROCPRIM_400000_NS6detail17trampoline_kernelINS0_14default_configENS1_27scan_by_key_config_selectorIxxEEZZNS1_16scan_by_key_implILNS1_25lookback_scan_determinismE0ELb0ES3_N6thrust23THRUST_200600_302600_NS6detail15normal_iteratorINS9_10device_ptrIxEEEESE_SE_xNS9_4plusIxEE19head_flag_predicatexEE10hipError_tPvRmT2_T3_T4_T5_mT6_T7_P12ihipStream_tbENKUlT_T0_E_clISt17integral_constantIbLb1EESX_IbLb0EEEEDaST_SU_EUlST_E_NS1_11comp_targetILNS1_3genE8ELNS1_11target_archE1030ELNS1_3gpuE2ELNS1_3repE0EEENS1_30default_config_static_selectorELNS0_4arch9wavefront6targetE1EEEvT1_,@function
_ZN7rocprim17ROCPRIM_400000_NS6detail17trampoline_kernelINS0_14default_configENS1_27scan_by_key_config_selectorIxxEEZZNS1_16scan_by_key_implILNS1_25lookback_scan_determinismE0ELb0ES3_N6thrust23THRUST_200600_302600_NS6detail15normal_iteratorINS9_10device_ptrIxEEEESE_SE_xNS9_4plusIxEE19head_flag_predicatexEE10hipError_tPvRmT2_T3_T4_T5_mT6_T7_P12ihipStream_tbENKUlT_T0_E_clISt17integral_constantIbLb1EESX_IbLb0EEEEDaST_SU_EUlST_E_NS1_11comp_targetILNS1_3genE8ELNS1_11target_archE1030ELNS1_3gpuE2ELNS1_3repE0EEENS1_30default_config_static_selectorELNS0_4arch9wavefront6targetE1EEEvT1_: ; @_ZN7rocprim17ROCPRIM_400000_NS6detail17trampoline_kernelINS0_14default_configENS1_27scan_by_key_config_selectorIxxEEZZNS1_16scan_by_key_implILNS1_25lookback_scan_determinismE0ELb0ES3_N6thrust23THRUST_200600_302600_NS6detail15normal_iteratorINS9_10device_ptrIxEEEESE_SE_xNS9_4plusIxEE19head_flag_predicatexEE10hipError_tPvRmT2_T3_T4_T5_mT6_T7_P12ihipStream_tbENKUlT_T0_E_clISt17integral_constantIbLb1EESX_IbLb0EEEEDaST_SU_EUlST_E_NS1_11comp_targetILNS1_3genE8ELNS1_11target_archE1030ELNS1_3gpuE2ELNS1_3repE0EEENS1_30default_config_static_selectorELNS0_4arch9wavefront6targetE1EEEvT1_
; %bb.0:
	.section	.rodata,"a",@progbits
	.p2align	6, 0x0
	.amdhsa_kernel _ZN7rocprim17ROCPRIM_400000_NS6detail17trampoline_kernelINS0_14default_configENS1_27scan_by_key_config_selectorIxxEEZZNS1_16scan_by_key_implILNS1_25lookback_scan_determinismE0ELb0ES3_N6thrust23THRUST_200600_302600_NS6detail15normal_iteratorINS9_10device_ptrIxEEEESE_SE_xNS9_4plusIxEE19head_flag_predicatexEE10hipError_tPvRmT2_T3_T4_T5_mT6_T7_P12ihipStream_tbENKUlT_T0_E_clISt17integral_constantIbLb1EESX_IbLb0EEEEDaST_SU_EUlST_E_NS1_11comp_targetILNS1_3genE8ELNS1_11target_archE1030ELNS1_3gpuE2ELNS1_3repE0EEENS1_30default_config_static_selectorELNS0_4arch9wavefront6targetE1EEEvT1_
		.amdhsa_group_segment_fixed_size 0
		.amdhsa_private_segment_fixed_size 0
		.amdhsa_kernarg_size 136
		.amdhsa_user_sgpr_count 6
		.amdhsa_user_sgpr_private_segment_buffer 1
		.amdhsa_user_sgpr_dispatch_ptr 0
		.amdhsa_user_sgpr_queue_ptr 0
		.amdhsa_user_sgpr_kernarg_segment_ptr 1
		.amdhsa_user_sgpr_dispatch_id 0
		.amdhsa_user_sgpr_flat_scratch_init 0
		.amdhsa_user_sgpr_kernarg_preload_length 0
		.amdhsa_user_sgpr_kernarg_preload_offset 0
		.amdhsa_user_sgpr_private_segment_size 0
		.amdhsa_uses_dynamic_stack 0
		.amdhsa_system_sgpr_private_segment_wavefront_offset 0
		.amdhsa_system_sgpr_workgroup_id_x 1
		.amdhsa_system_sgpr_workgroup_id_y 0
		.amdhsa_system_sgpr_workgroup_id_z 0
		.amdhsa_system_sgpr_workgroup_info 0
		.amdhsa_system_vgpr_workitem_id 0
		.amdhsa_next_free_vgpr 1
		.amdhsa_next_free_sgpr 0
		.amdhsa_accum_offset 4
		.amdhsa_reserve_vcc 0
		.amdhsa_reserve_flat_scratch 0
		.amdhsa_float_round_mode_32 0
		.amdhsa_float_round_mode_16_64 0
		.amdhsa_float_denorm_mode_32 3
		.amdhsa_float_denorm_mode_16_64 3
		.amdhsa_dx10_clamp 1
		.amdhsa_ieee_mode 1
		.amdhsa_fp16_overflow 0
		.amdhsa_tg_split 0
		.amdhsa_exception_fp_ieee_invalid_op 0
		.amdhsa_exception_fp_denorm_src 0
		.amdhsa_exception_fp_ieee_div_zero 0
		.amdhsa_exception_fp_ieee_overflow 0
		.amdhsa_exception_fp_ieee_underflow 0
		.amdhsa_exception_fp_ieee_inexact 0
		.amdhsa_exception_int_div_zero 0
	.end_amdhsa_kernel
	.section	.text._ZN7rocprim17ROCPRIM_400000_NS6detail17trampoline_kernelINS0_14default_configENS1_27scan_by_key_config_selectorIxxEEZZNS1_16scan_by_key_implILNS1_25lookback_scan_determinismE0ELb0ES3_N6thrust23THRUST_200600_302600_NS6detail15normal_iteratorINS9_10device_ptrIxEEEESE_SE_xNS9_4plusIxEE19head_flag_predicatexEE10hipError_tPvRmT2_T3_T4_T5_mT6_T7_P12ihipStream_tbENKUlT_T0_E_clISt17integral_constantIbLb1EESX_IbLb0EEEEDaST_SU_EUlST_E_NS1_11comp_targetILNS1_3genE8ELNS1_11target_archE1030ELNS1_3gpuE2ELNS1_3repE0EEENS1_30default_config_static_selectorELNS0_4arch9wavefront6targetE1EEEvT1_,"axG",@progbits,_ZN7rocprim17ROCPRIM_400000_NS6detail17trampoline_kernelINS0_14default_configENS1_27scan_by_key_config_selectorIxxEEZZNS1_16scan_by_key_implILNS1_25lookback_scan_determinismE0ELb0ES3_N6thrust23THRUST_200600_302600_NS6detail15normal_iteratorINS9_10device_ptrIxEEEESE_SE_xNS9_4plusIxEE19head_flag_predicatexEE10hipError_tPvRmT2_T3_T4_T5_mT6_T7_P12ihipStream_tbENKUlT_T0_E_clISt17integral_constantIbLb1EESX_IbLb0EEEEDaST_SU_EUlST_E_NS1_11comp_targetILNS1_3genE8ELNS1_11target_archE1030ELNS1_3gpuE2ELNS1_3repE0EEENS1_30default_config_static_selectorELNS0_4arch9wavefront6targetE1EEEvT1_,comdat
.Lfunc_end703:
	.size	_ZN7rocprim17ROCPRIM_400000_NS6detail17trampoline_kernelINS0_14default_configENS1_27scan_by_key_config_selectorIxxEEZZNS1_16scan_by_key_implILNS1_25lookback_scan_determinismE0ELb0ES3_N6thrust23THRUST_200600_302600_NS6detail15normal_iteratorINS9_10device_ptrIxEEEESE_SE_xNS9_4plusIxEE19head_flag_predicatexEE10hipError_tPvRmT2_T3_T4_T5_mT6_T7_P12ihipStream_tbENKUlT_T0_E_clISt17integral_constantIbLb1EESX_IbLb0EEEEDaST_SU_EUlST_E_NS1_11comp_targetILNS1_3genE8ELNS1_11target_archE1030ELNS1_3gpuE2ELNS1_3repE0EEENS1_30default_config_static_selectorELNS0_4arch9wavefront6targetE1EEEvT1_, .Lfunc_end703-_ZN7rocprim17ROCPRIM_400000_NS6detail17trampoline_kernelINS0_14default_configENS1_27scan_by_key_config_selectorIxxEEZZNS1_16scan_by_key_implILNS1_25lookback_scan_determinismE0ELb0ES3_N6thrust23THRUST_200600_302600_NS6detail15normal_iteratorINS9_10device_ptrIxEEEESE_SE_xNS9_4plusIxEE19head_flag_predicatexEE10hipError_tPvRmT2_T3_T4_T5_mT6_T7_P12ihipStream_tbENKUlT_T0_E_clISt17integral_constantIbLb1EESX_IbLb0EEEEDaST_SU_EUlST_E_NS1_11comp_targetILNS1_3genE8ELNS1_11target_archE1030ELNS1_3gpuE2ELNS1_3repE0EEENS1_30default_config_static_selectorELNS0_4arch9wavefront6targetE1EEEvT1_
                                        ; -- End function
	.section	.AMDGPU.csdata,"",@progbits
; Kernel info:
; codeLenInByte = 0
; NumSgprs: 4
; NumVgprs: 0
; NumAgprs: 0
; TotalNumVgprs: 0
; ScratchSize: 0
; MemoryBound: 0
; FloatMode: 240
; IeeeMode: 1
; LDSByteSize: 0 bytes/workgroup (compile time only)
; SGPRBlocks: 0
; VGPRBlocks: 0
; NumSGPRsForWavesPerEU: 4
; NumVGPRsForWavesPerEU: 1
; AccumOffset: 4
; Occupancy: 8
; WaveLimiterHint : 0
; COMPUTE_PGM_RSRC2:SCRATCH_EN: 0
; COMPUTE_PGM_RSRC2:USER_SGPR: 6
; COMPUTE_PGM_RSRC2:TRAP_HANDLER: 0
; COMPUTE_PGM_RSRC2:TGID_X_EN: 1
; COMPUTE_PGM_RSRC2:TGID_Y_EN: 0
; COMPUTE_PGM_RSRC2:TGID_Z_EN: 0
; COMPUTE_PGM_RSRC2:TIDIG_COMP_CNT: 0
; COMPUTE_PGM_RSRC3_GFX90A:ACCUM_OFFSET: 0
; COMPUTE_PGM_RSRC3_GFX90A:TG_SPLIT: 0
	.section	.text._ZN7rocprim17ROCPRIM_400000_NS6detail17trampoline_kernelINS0_14default_configENS1_27scan_by_key_config_selectorIxxEEZZNS1_16scan_by_key_implILNS1_25lookback_scan_determinismE0ELb0ES3_N6thrust23THRUST_200600_302600_NS6detail15normal_iteratorINS9_10device_ptrIxEEEESE_SE_xNS9_4plusIxEE19head_flag_predicatexEE10hipError_tPvRmT2_T3_T4_T5_mT6_T7_P12ihipStream_tbENKUlT_T0_E_clISt17integral_constantIbLb0EESX_IbLb1EEEEDaST_SU_EUlST_E_NS1_11comp_targetILNS1_3genE0ELNS1_11target_archE4294967295ELNS1_3gpuE0ELNS1_3repE0EEENS1_30default_config_static_selectorELNS0_4arch9wavefront6targetE1EEEvT1_,"axG",@progbits,_ZN7rocprim17ROCPRIM_400000_NS6detail17trampoline_kernelINS0_14default_configENS1_27scan_by_key_config_selectorIxxEEZZNS1_16scan_by_key_implILNS1_25lookback_scan_determinismE0ELb0ES3_N6thrust23THRUST_200600_302600_NS6detail15normal_iteratorINS9_10device_ptrIxEEEESE_SE_xNS9_4plusIxEE19head_flag_predicatexEE10hipError_tPvRmT2_T3_T4_T5_mT6_T7_P12ihipStream_tbENKUlT_T0_E_clISt17integral_constantIbLb0EESX_IbLb1EEEEDaST_SU_EUlST_E_NS1_11comp_targetILNS1_3genE0ELNS1_11target_archE4294967295ELNS1_3gpuE0ELNS1_3repE0EEENS1_30default_config_static_selectorELNS0_4arch9wavefront6targetE1EEEvT1_,comdat
	.protected	_ZN7rocprim17ROCPRIM_400000_NS6detail17trampoline_kernelINS0_14default_configENS1_27scan_by_key_config_selectorIxxEEZZNS1_16scan_by_key_implILNS1_25lookback_scan_determinismE0ELb0ES3_N6thrust23THRUST_200600_302600_NS6detail15normal_iteratorINS9_10device_ptrIxEEEESE_SE_xNS9_4plusIxEE19head_flag_predicatexEE10hipError_tPvRmT2_T3_T4_T5_mT6_T7_P12ihipStream_tbENKUlT_T0_E_clISt17integral_constantIbLb0EESX_IbLb1EEEEDaST_SU_EUlST_E_NS1_11comp_targetILNS1_3genE0ELNS1_11target_archE4294967295ELNS1_3gpuE0ELNS1_3repE0EEENS1_30default_config_static_selectorELNS0_4arch9wavefront6targetE1EEEvT1_ ; -- Begin function _ZN7rocprim17ROCPRIM_400000_NS6detail17trampoline_kernelINS0_14default_configENS1_27scan_by_key_config_selectorIxxEEZZNS1_16scan_by_key_implILNS1_25lookback_scan_determinismE0ELb0ES3_N6thrust23THRUST_200600_302600_NS6detail15normal_iteratorINS9_10device_ptrIxEEEESE_SE_xNS9_4plusIxEE19head_flag_predicatexEE10hipError_tPvRmT2_T3_T4_T5_mT6_T7_P12ihipStream_tbENKUlT_T0_E_clISt17integral_constantIbLb0EESX_IbLb1EEEEDaST_SU_EUlST_E_NS1_11comp_targetILNS1_3genE0ELNS1_11target_archE4294967295ELNS1_3gpuE0ELNS1_3repE0EEENS1_30default_config_static_selectorELNS0_4arch9wavefront6targetE1EEEvT1_
	.globl	_ZN7rocprim17ROCPRIM_400000_NS6detail17trampoline_kernelINS0_14default_configENS1_27scan_by_key_config_selectorIxxEEZZNS1_16scan_by_key_implILNS1_25lookback_scan_determinismE0ELb0ES3_N6thrust23THRUST_200600_302600_NS6detail15normal_iteratorINS9_10device_ptrIxEEEESE_SE_xNS9_4plusIxEE19head_flag_predicatexEE10hipError_tPvRmT2_T3_T4_T5_mT6_T7_P12ihipStream_tbENKUlT_T0_E_clISt17integral_constantIbLb0EESX_IbLb1EEEEDaST_SU_EUlST_E_NS1_11comp_targetILNS1_3genE0ELNS1_11target_archE4294967295ELNS1_3gpuE0ELNS1_3repE0EEENS1_30default_config_static_selectorELNS0_4arch9wavefront6targetE1EEEvT1_
	.p2align	8
	.type	_ZN7rocprim17ROCPRIM_400000_NS6detail17trampoline_kernelINS0_14default_configENS1_27scan_by_key_config_selectorIxxEEZZNS1_16scan_by_key_implILNS1_25lookback_scan_determinismE0ELb0ES3_N6thrust23THRUST_200600_302600_NS6detail15normal_iteratorINS9_10device_ptrIxEEEESE_SE_xNS9_4plusIxEE19head_flag_predicatexEE10hipError_tPvRmT2_T3_T4_T5_mT6_T7_P12ihipStream_tbENKUlT_T0_E_clISt17integral_constantIbLb0EESX_IbLb1EEEEDaST_SU_EUlST_E_NS1_11comp_targetILNS1_3genE0ELNS1_11target_archE4294967295ELNS1_3gpuE0ELNS1_3repE0EEENS1_30default_config_static_selectorELNS0_4arch9wavefront6targetE1EEEvT1_,@function
_ZN7rocprim17ROCPRIM_400000_NS6detail17trampoline_kernelINS0_14default_configENS1_27scan_by_key_config_selectorIxxEEZZNS1_16scan_by_key_implILNS1_25lookback_scan_determinismE0ELb0ES3_N6thrust23THRUST_200600_302600_NS6detail15normal_iteratorINS9_10device_ptrIxEEEESE_SE_xNS9_4plusIxEE19head_flag_predicatexEE10hipError_tPvRmT2_T3_T4_T5_mT6_T7_P12ihipStream_tbENKUlT_T0_E_clISt17integral_constantIbLb0EESX_IbLb1EEEEDaST_SU_EUlST_E_NS1_11comp_targetILNS1_3genE0ELNS1_11target_archE4294967295ELNS1_3gpuE0ELNS1_3repE0EEENS1_30default_config_static_selectorELNS0_4arch9wavefront6targetE1EEEvT1_: ; @_ZN7rocprim17ROCPRIM_400000_NS6detail17trampoline_kernelINS0_14default_configENS1_27scan_by_key_config_selectorIxxEEZZNS1_16scan_by_key_implILNS1_25lookback_scan_determinismE0ELb0ES3_N6thrust23THRUST_200600_302600_NS6detail15normal_iteratorINS9_10device_ptrIxEEEESE_SE_xNS9_4plusIxEE19head_flag_predicatexEE10hipError_tPvRmT2_T3_T4_T5_mT6_T7_P12ihipStream_tbENKUlT_T0_E_clISt17integral_constantIbLb0EESX_IbLb1EEEEDaST_SU_EUlST_E_NS1_11comp_targetILNS1_3genE0ELNS1_11target_archE4294967295ELNS1_3gpuE0ELNS1_3repE0EEENS1_30default_config_static_selectorELNS0_4arch9wavefront6targetE1EEEvT1_
; %bb.0:
	.section	.rodata,"a",@progbits
	.p2align	6, 0x0
	.amdhsa_kernel _ZN7rocprim17ROCPRIM_400000_NS6detail17trampoline_kernelINS0_14default_configENS1_27scan_by_key_config_selectorIxxEEZZNS1_16scan_by_key_implILNS1_25lookback_scan_determinismE0ELb0ES3_N6thrust23THRUST_200600_302600_NS6detail15normal_iteratorINS9_10device_ptrIxEEEESE_SE_xNS9_4plusIxEE19head_flag_predicatexEE10hipError_tPvRmT2_T3_T4_T5_mT6_T7_P12ihipStream_tbENKUlT_T0_E_clISt17integral_constantIbLb0EESX_IbLb1EEEEDaST_SU_EUlST_E_NS1_11comp_targetILNS1_3genE0ELNS1_11target_archE4294967295ELNS1_3gpuE0ELNS1_3repE0EEENS1_30default_config_static_selectorELNS0_4arch9wavefront6targetE1EEEvT1_
		.amdhsa_group_segment_fixed_size 0
		.amdhsa_private_segment_fixed_size 0
		.amdhsa_kernarg_size 136
		.amdhsa_user_sgpr_count 6
		.amdhsa_user_sgpr_private_segment_buffer 1
		.amdhsa_user_sgpr_dispatch_ptr 0
		.amdhsa_user_sgpr_queue_ptr 0
		.amdhsa_user_sgpr_kernarg_segment_ptr 1
		.amdhsa_user_sgpr_dispatch_id 0
		.amdhsa_user_sgpr_flat_scratch_init 0
		.amdhsa_user_sgpr_kernarg_preload_length 0
		.amdhsa_user_sgpr_kernarg_preload_offset 0
		.amdhsa_user_sgpr_private_segment_size 0
		.amdhsa_uses_dynamic_stack 0
		.amdhsa_system_sgpr_private_segment_wavefront_offset 0
		.amdhsa_system_sgpr_workgroup_id_x 1
		.amdhsa_system_sgpr_workgroup_id_y 0
		.amdhsa_system_sgpr_workgroup_id_z 0
		.amdhsa_system_sgpr_workgroup_info 0
		.amdhsa_system_vgpr_workitem_id 0
		.amdhsa_next_free_vgpr 1
		.amdhsa_next_free_sgpr 0
		.amdhsa_accum_offset 4
		.amdhsa_reserve_vcc 0
		.amdhsa_reserve_flat_scratch 0
		.amdhsa_float_round_mode_32 0
		.amdhsa_float_round_mode_16_64 0
		.amdhsa_float_denorm_mode_32 3
		.amdhsa_float_denorm_mode_16_64 3
		.amdhsa_dx10_clamp 1
		.amdhsa_ieee_mode 1
		.amdhsa_fp16_overflow 0
		.amdhsa_tg_split 0
		.amdhsa_exception_fp_ieee_invalid_op 0
		.amdhsa_exception_fp_denorm_src 0
		.amdhsa_exception_fp_ieee_div_zero 0
		.amdhsa_exception_fp_ieee_overflow 0
		.amdhsa_exception_fp_ieee_underflow 0
		.amdhsa_exception_fp_ieee_inexact 0
		.amdhsa_exception_int_div_zero 0
	.end_amdhsa_kernel
	.section	.text._ZN7rocprim17ROCPRIM_400000_NS6detail17trampoline_kernelINS0_14default_configENS1_27scan_by_key_config_selectorIxxEEZZNS1_16scan_by_key_implILNS1_25lookback_scan_determinismE0ELb0ES3_N6thrust23THRUST_200600_302600_NS6detail15normal_iteratorINS9_10device_ptrIxEEEESE_SE_xNS9_4plusIxEE19head_flag_predicatexEE10hipError_tPvRmT2_T3_T4_T5_mT6_T7_P12ihipStream_tbENKUlT_T0_E_clISt17integral_constantIbLb0EESX_IbLb1EEEEDaST_SU_EUlST_E_NS1_11comp_targetILNS1_3genE0ELNS1_11target_archE4294967295ELNS1_3gpuE0ELNS1_3repE0EEENS1_30default_config_static_selectorELNS0_4arch9wavefront6targetE1EEEvT1_,"axG",@progbits,_ZN7rocprim17ROCPRIM_400000_NS6detail17trampoline_kernelINS0_14default_configENS1_27scan_by_key_config_selectorIxxEEZZNS1_16scan_by_key_implILNS1_25lookback_scan_determinismE0ELb0ES3_N6thrust23THRUST_200600_302600_NS6detail15normal_iteratorINS9_10device_ptrIxEEEESE_SE_xNS9_4plusIxEE19head_flag_predicatexEE10hipError_tPvRmT2_T3_T4_T5_mT6_T7_P12ihipStream_tbENKUlT_T0_E_clISt17integral_constantIbLb0EESX_IbLb1EEEEDaST_SU_EUlST_E_NS1_11comp_targetILNS1_3genE0ELNS1_11target_archE4294967295ELNS1_3gpuE0ELNS1_3repE0EEENS1_30default_config_static_selectorELNS0_4arch9wavefront6targetE1EEEvT1_,comdat
.Lfunc_end704:
	.size	_ZN7rocprim17ROCPRIM_400000_NS6detail17trampoline_kernelINS0_14default_configENS1_27scan_by_key_config_selectorIxxEEZZNS1_16scan_by_key_implILNS1_25lookback_scan_determinismE0ELb0ES3_N6thrust23THRUST_200600_302600_NS6detail15normal_iteratorINS9_10device_ptrIxEEEESE_SE_xNS9_4plusIxEE19head_flag_predicatexEE10hipError_tPvRmT2_T3_T4_T5_mT6_T7_P12ihipStream_tbENKUlT_T0_E_clISt17integral_constantIbLb0EESX_IbLb1EEEEDaST_SU_EUlST_E_NS1_11comp_targetILNS1_3genE0ELNS1_11target_archE4294967295ELNS1_3gpuE0ELNS1_3repE0EEENS1_30default_config_static_selectorELNS0_4arch9wavefront6targetE1EEEvT1_, .Lfunc_end704-_ZN7rocprim17ROCPRIM_400000_NS6detail17trampoline_kernelINS0_14default_configENS1_27scan_by_key_config_selectorIxxEEZZNS1_16scan_by_key_implILNS1_25lookback_scan_determinismE0ELb0ES3_N6thrust23THRUST_200600_302600_NS6detail15normal_iteratorINS9_10device_ptrIxEEEESE_SE_xNS9_4plusIxEE19head_flag_predicatexEE10hipError_tPvRmT2_T3_T4_T5_mT6_T7_P12ihipStream_tbENKUlT_T0_E_clISt17integral_constantIbLb0EESX_IbLb1EEEEDaST_SU_EUlST_E_NS1_11comp_targetILNS1_3genE0ELNS1_11target_archE4294967295ELNS1_3gpuE0ELNS1_3repE0EEENS1_30default_config_static_selectorELNS0_4arch9wavefront6targetE1EEEvT1_
                                        ; -- End function
	.section	.AMDGPU.csdata,"",@progbits
; Kernel info:
; codeLenInByte = 0
; NumSgprs: 4
; NumVgprs: 0
; NumAgprs: 0
; TotalNumVgprs: 0
; ScratchSize: 0
; MemoryBound: 0
; FloatMode: 240
; IeeeMode: 1
; LDSByteSize: 0 bytes/workgroup (compile time only)
; SGPRBlocks: 0
; VGPRBlocks: 0
; NumSGPRsForWavesPerEU: 4
; NumVGPRsForWavesPerEU: 1
; AccumOffset: 4
; Occupancy: 8
; WaveLimiterHint : 0
; COMPUTE_PGM_RSRC2:SCRATCH_EN: 0
; COMPUTE_PGM_RSRC2:USER_SGPR: 6
; COMPUTE_PGM_RSRC2:TRAP_HANDLER: 0
; COMPUTE_PGM_RSRC2:TGID_X_EN: 1
; COMPUTE_PGM_RSRC2:TGID_Y_EN: 0
; COMPUTE_PGM_RSRC2:TGID_Z_EN: 0
; COMPUTE_PGM_RSRC2:TIDIG_COMP_CNT: 0
; COMPUTE_PGM_RSRC3_GFX90A:ACCUM_OFFSET: 0
; COMPUTE_PGM_RSRC3_GFX90A:TG_SPLIT: 0
	.section	.text._ZN7rocprim17ROCPRIM_400000_NS6detail17trampoline_kernelINS0_14default_configENS1_27scan_by_key_config_selectorIxxEEZZNS1_16scan_by_key_implILNS1_25lookback_scan_determinismE0ELb0ES3_N6thrust23THRUST_200600_302600_NS6detail15normal_iteratorINS9_10device_ptrIxEEEESE_SE_xNS9_4plusIxEE19head_flag_predicatexEE10hipError_tPvRmT2_T3_T4_T5_mT6_T7_P12ihipStream_tbENKUlT_T0_E_clISt17integral_constantIbLb0EESX_IbLb1EEEEDaST_SU_EUlST_E_NS1_11comp_targetILNS1_3genE10ELNS1_11target_archE1201ELNS1_3gpuE5ELNS1_3repE0EEENS1_30default_config_static_selectorELNS0_4arch9wavefront6targetE1EEEvT1_,"axG",@progbits,_ZN7rocprim17ROCPRIM_400000_NS6detail17trampoline_kernelINS0_14default_configENS1_27scan_by_key_config_selectorIxxEEZZNS1_16scan_by_key_implILNS1_25lookback_scan_determinismE0ELb0ES3_N6thrust23THRUST_200600_302600_NS6detail15normal_iteratorINS9_10device_ptrIxEEEESE_SE_xNS9_4plusIxEE19head_flag_predicatexEE10hipError_tPvRmT2_T3_T4_T5_mT6_T7_P12ihipStream_tbENKUlT_T0_E_clISt17integral_constantIbLb0EESX_IbLb1EEEEDaST_SU_EUlST_E_NS1_11comp_targetILNS1_3genE10ELNS1_11target_archE1201ELNS1_3gpuE5ELNS1_3repE0EEENS1_30default_config_static_selectorELNS0_4arch9wavefront6targetE1EEEvT1_,comdat
	.protected	_ZN7rocprim17ROCPRIM_400000_NS6detail17trampoline_kernelINS0_14default_configENS1_27scan_by_key_config_selectorIxxEEZZNS1_16scan_by_key_implILNS1_25lookback_scan_determinismE0ELb0ES3_N6thrust23THRUST_200600_302600_NS6detail15normal_iteratorINS9_10device_ptrIxEEEESE_SE_xNS9_4plusIxEE19head_flag_predicatexEE10hipError_tPvRmT2_T3_T4_T5_mT6_T7_P12ihipStream_tbENKUlT_T0_E_clISt17integral_constantIbLb0EESX_IbLb1EEEEDaST_SU_EUlST_E_NS1_11comp_targetILNS1_3genE10ELNS1_11target_archE1201ELNS1_3gpuE5ELNS1_3repE0EEENS1_30default_config_static_selectorELNS0_4arch9wavefront6targetE1EEEvT1_ ; -- Begin function _ZN7rocprim17ROCPRIM_400000_NS6detail17trampoline_kernelINS0_14default_configENS1_27scan_by_key_config_selectorIxxEEZZNS1_16scan_by_key_implILNS1_25lookback_scan_determinismE0ELb0ES3_N6thrust23THRUST_200600_302600_NS6detail15normal_iteratorINS9_10device_ptrIxEEEESE_SE_xNS9_4plusIxEE19head_flag_predicatexEE10hipError_tPvRmT2_T3_T4_T5_mT6_T7_P12ihipStream_tbENKUlT_T0_E_clISt17integral_constantIbLb0EESX_IbLb1EEEEDaST_SU_EUlST_E_NS1_11comp_targetILNS1_3genE10ELNS1_11target_archE1201ELNS1_3gpuE5ELNS1_3repE0EEENS1_30default_config_static_selectorELNS0_4arch9wavefront6targetE1EEEvT1_
	.globl	_ZN7rocprim17ROCPRIM_400000_NS6detail17trampoline_kernelINS0_14default_configENS1_27scan_by_key_config_selectorIxxEEZZNS1_16scan_by_key_implILNS1_25lookback_scan_determinismE0ELb0ES3_N6thrust23THRUST_200600_302600_NS6detail15normal_iteratorINS9_10device_ptrIxEEEESE_SE_xNS9_4plusIxEE19head_flag_predicatexEE10hipError_tPvRmT2_T3_T4_T5_mT6_T7_P12ihipStream_tbENKUlT_T0_E_clISt17integral_constantIbLb0EESX_IbLb1EEEEDaST_SU_EUlST_E_NS1_11comp_targetILNS1_3genE10ELNS1_11target_archE1201ELNS1_3gpuE5ELNS1_3repE0EEENS1_30default_config_static_selectorELNS0_4arch9wavefront6targetE1EEEvT1_
	.p2align	8
	.type	_ZN7rocprim17ROCPRIM_400000_NS6detail17trampoline_kernelINS0_14default_configENS1_27scan_by_key_config_selectorIxxEEZZNS1_16scan_by_key_implILNS1_25lookback_scan_determinismE0ELb0ES3_N6thrust23THRUST_200600_302600_NS6detail15normal_iteratorINS9_10device_ptrIxEEEESE_SE_xNS9_4plusIxEE19head_flag_predicatexEE10hipError_tPvRmT2_T3_T4_T5_mT6_T7_P12ihipStream_tbENKUlT_T0_E_clISt17integral_constantIbLb0EESX_IbLb1EEEEDaST_SU_EUlST_E_NS1_11comp_targetILNS1_3genE10ELNS1_11target_archE1201ELNS1_3gpuE5ELNS1_3repE0EEENS1_30default_config_static_selectorELNS0_4arch9wavefront6targetE1EEEvT1_,@function
_ZN7rocprim17ROCPRIM_400000_NS6detail17trampoline_kernelINS0_14default_configENS1_27scan_by_key_config_selectorIxxEEZZNS1_16scan_by_key_implILNS1_25lookback_scan_determinismE0ELb0ES3_N6thrust23THRUST_200600_302600_NS6detail15normal_iteratorINS9_10device_ptrIxEEEESE_SE_xNS9_4plusIxEE19head_flag_predicatexEE10hipError_tPvRmT2_T3_T4_T5_mT6_T7_P12ihipStream_tbENKUlT_T0_E_clISt17integral_constantIbLb0EESX_IbLb1EEEEDaST_SU_EUlST_E_NS1_11comp_targetILNS1_3genE10ELNS1_11target_archE1201ELNS1_3gpuE5ELNS1_3repE0EEENS1_30default_config_static_selectorELNS0_4arch9wavefront6targetE1EEEvT1_: ; @_ZN7rocprim17ROCPRIM_400000_NS6detail17trampoline_kernelINS0_14default_configENS1_27scan_by_key_config_selectorIxxEEZZNS1_16scan_by_key_implILNS1_25lookback_scan_determinismE0ELb0ES3_N6thrust23THRUST_200600_302600_NS6detail15normal_iteratorINS9_10device_ptrIxEEEESE_SE_xNS9_4plusIxEE19head_flag_predicatexEE10hipError_tPvRmT2_T3_T4_T5_mT6_T7_P12ihipStream_tbENKUlT_T0_E_clISt17integral_constantIbLb0EESX_IbLb1EEEEDaST_SU_EUlST_E_NS1_11comp_targetILNS1_3genE10ELNS1_11target_archE1201ELNS1_3gpuE5ELNS1_3repE0EEENS1_30default_config_static_selectorELNS0_4arch9wavefront6targetE1EEEvT1_
; %bb.0:
	.section	.rodata,"a",@progbits
	.p2align	6, 0x0
	.amdhsa_kernel _ZN7rocprim17ROCPRIM_400000_NS6detail17trampoline_kernelINS0_14default_configENS1_27scan_by_key_config_selectorIxxEEZZNS1_16scan_by_key_implILNS1_25lookback_scan_determinismE0ELb0ES3_N6thrust23THRUST_200600_302600_NS6detail15normal_iteratorINS9_10device_ptrIxEEEESE_SE_xNS9_4plusIxEE19head_flag_predicatexEE10hipError_tPvRmT2_T3_T4_T5_mT6_T7_P12ihipStream_tbENKUlT_T0_E_clISt17integral_constantIbLb0EESX_IbLb1EEEEDaST_SU_EUlST_E_NS1_11comp_targetILNS1_3genE10ELNS1_11target_archE1201ELNS1_3gpuE5ELNS1_3repE0EEENS1_30default_config_static_selectorELNS0_4arch9wavefront6targetE1EEEvT1_
		.amdhsa_group_segment_fixed_size 0
		.amdhsa_private_segment_fixed_size 0
		.amdhsa_kernarg_size 136
		.amdhsa_user_sgpr_count 6
		.amdhsa_user_sgpr_private_segment_buffer 1
		.amdhsa_user_sgpr_dispatch_ptr 0
		.amdhsa_user_sgpr_queue_ptr 0
		.amdhsa_user_sgpr_kernarg_segment_ptr 1
		.amdhsa_user_sgpr_dispatch_id 0
		.amdhsa_user_sgpr_flat_scratch_init 0
		.amdhsa_user_sgpr_kernarg_preload_length 0
		.amdhsa_user_sgpr_kernarg_preload_offset 0
		.amdhsa_user_sgpr_private_segment_size 0
		.amdhsa_uses_dynamic_stack 0
		.amdhsa_system_sgpr_private_segment_wavefront_offset 0
		.amdhsa_system_sgpr_workgroup_id_x 1
		.amdhsa_system_sgpr_workgroup_id_y 0
		.amdhsa_system_sgpr_workgroup_id_z 0
		.amdhsa_system_sgpr_workgroup_info 0
		.amdhsa_system_vgpr_workitem_id 0
		.amdhsa_next_free_vgpr 1
		.amdhsa_next_free_sgpr 0
		.amdhsa_accum_offset 4
		.amdhsa_reserve_vcc 0
		.amdhsa_reserve_flat_scratch 0
		.amdhsa_float_round_mode_32 0
		.amdhsa_float_round_mode_16_64 0
		.amdhsa_float_denorm_mode_32 3
		.amdhsa_float_denorm_mode_16_64 3
		.amdhsa_dx10_clamp 1
		.amdhsa_ieee_mode 1
		.amdhsa_fp16_overflow 0
		.amdhsa_tg_split 0
		.amdhsa_exception_fp_ieee_invalid_op 0
		.amdhsa_exception_fp_denorm_src 0
		.amdhsa_exception_fp_ieee_div_zero 0
		.amdhsa_exception_fp_ieee_overflow 0
		.amdhsa_exception_fp_ieee_underflow 0
		.amdhsa_exception_fp_ieee_inexact 0
		.amdhsa_exception_int_div_zero 0
	.end_amdhsa_kernel
	.section	.text._ZN7rocprim17ROCPRIM_400000_NS6detail17trampoline_kernelINS0_14default_configENS1_27scan_by_key_config_selectorIxxEEZZNS1_16scan_by_key_implILNS1_25lookback_scan_determinismE0ELb0ES3_N6thrust23THRUST_200600_302600_NS6detail15normal_iteratorINS9_10device_ptrIxEEEESE_SE_xNS9_4plusIxEE19head_flag_predicatexEE10hipError_tPvRmT2_T3_T4_T5_mT6_T7_P12ihipStream_tbENKUlT_T0_E_clISt17integral_constantIbLb0EESX_IbLb1EEEEDaST_SU_EUlST_E_NS1_11comp_targetILNS1_3genE10ELNS1_11target_archE1201ELNS1_3gpuE5ELNS1_3repE0EEENS1_30default_config_static_selectorELNS0_4arch9wavefront6targetE1EEEvT1_,"axG",@progbits,_ZN7rocprim17ROCPRIM_400000_NS6detail17trampoline_kernelINS0_14default_configENS1_27scan_by_key_config_selectorIxxEEZZNS1_16scan_by_key_implILNS1_25lookback_scan_determinismE0ELb0ES3_N6thrust23THRUST_200600_302600_NS6detail15normal_iteratorINS9_10device_ptrIxEEEESE_SE_xNS9_4plusIxEE19head_flag_predicatexEE10hipError_tPvRmT2_T3_T4_T5_mT6_T7_P12ihipStream_tbENKUlT_T0_E_clISt17integral_constantIbLb0EESX_IbLb1EEEEDaST_SU_EUlST_E_NS1_11comp_targetILNS1_3genE10ELNS1_11target_archE1201ELNS1_3gpuE5ELNS1_3repE0EEENS1_30default_config_static_selectorELNS0_4arch9wavefront6targetE1EEEvT1_,comdat
.Lfunc_end705:
	.size	_ZN7rocprim17ROCPRIM_400000_NS6detail17trampoline_kernelINS0_14default_configENS1_27scan_by_key_config_selectorIxxEEZZNS1_16scan_by_key_implILNS1_25lookback_scan_determinismE0ELb0ES3_N6thrust23THRUST_200600_302600_NS6detail15normal_iteratorINS9_10device_ptrIxEEEESE_SE_xNS9_4plusIxEE19head_flag_predicatexEE10hipError_tPvRmT2_T3_T4_T5_mT6_T7_P12ihipStream_tbENKUlT_T0_E_clISt17integral_constantIbLb0EESX_IbLb1EEEEDaST_SU_EUlST_E_NS1_11comp_targetILNS1_3genE10ELNS1_11target_archE1201ELNS1_3gpuE5ELNS1_3repE0EEENS1_30default_config_static_selectorELNS0_4arch9wavefront6targetE1EEEvT1_, .Lfunc_end705-_ZN7rocprim17ROCPRIM_400000_NS6detail17trampoline_kernelINS0_14default_configENS1_27scan_by_key_config_selectorIxxEEZZNS1_16scan_by_key_implILNS1_25lookback_scan_determinismE0ELb0ES3_N6thrust23THRUST_200600_302600_NS6detail15normal_iteratorINS9_10device_ptrIxEEEESE_SE_xNS9_4plusIxEE19head_flag_predicatexEE10hipError_tPvRmT2_T3_T4_T5_mT6_T7_P12ihipStream_tbENKUlT_T0_E_clISt17integral_constantIbLb0EESX_IbLb1EEEEDaST_SU_EUlST_E_NS1_11comp_targetILNS1_3genE10ELNS1_11target_archE1201ELNS1_3gpuE5ELNS1_3repE0EEENS1_30default_config_static_selectorELNS0_4arch9wavefront6targetE1EEEvT1_
                                        ; -- End function
	.section	.AMDGPU.csdata,"",@progbits
; Kernel info:
; codeLenInByte = 0
; NumSgprs: 4
; NumVgprs: 0
; NumAgprs: 0
; TotalNumVgprs: 0
; ScratchSize: 0
; MemoryBound: 0
; FloatMode: 240
; IeeeMode: 1
; LDSByteSize: 0 bytes/workgroup (compile time only)
; SGPRBlocks: 0
; VGPRBlocks: 0
; NumSGPRsForWavesPerEU: 4
; NumVGPRsForWavesPerEU: 1
; AccumOffset: 4
; Occupancy: 8
; WaveLimiterHint : 0
; COMPUTE_PGM_RSRC2:SCRATCH_EN: 0
; COMPUTE_PGM_RSRC2:USER_SGPR: 6
; COMPUTE_PGM_RSRC2:TRAP_HANDLER: 0
; COMPUTE_PGM_RSRC2:TGID_X_EN: 1
; COMPUTE_PGM_RSRC2:TGID_Y_EN: 0
; COMPUTE_PGM_RSRC2:TGID_Z_EN: 0
; COMPUTE_PGM_RSRC2:TIDIG_COMP_CNT: 0
; COMPUTE_PGM_RSRC3_GFX90A:ACCUM_OFFSET: 0
; COMPUTE_PGM_RSRC3_GFX90A:TG_SPLIT: 0
	.section	.text._ZN7rocprim17ROCPRIM_400000_NS6detail17trampoline_kernelINS0_14default_configENS1_27scan_by_key_config_selectorIxxEEZZNS1_16scan_by_key_implILNS1_25lookback_scan_determinismE0ELb0ES3_N6thrust23THRUST_200600_302600_NS6detail15normal_iteratorINS9_10device_ptrIxEEEESE_SE_xNS9_4plusIxEE19head_flag_predicatexEE10hipError_tPvRmT2_T3_T4_T5_mT6_T7_P12ihipStream_tbENKUlT_T0_E_clISt17integral_constantIbLb0EESX_IbLb1EEEEDaST_SU_EUlST_E_NS1_11comp_targetILNS1_3genE5ELNS1_11target_archE942ELNS1_3gpuE9ELNS1_3repE0EEENS1_30default_config_static_selectorELNS0_4arch9wavefront6targetE1EEEvT1_,"axG",@progbits,_ZN7rocprim17ROCPRIM_400000_NS6detail17trampoline_kernelINS0_14default_configENS1_27scan_by_key_config_selectorIxxEEZZNS1_16scan_by_key_implILNS1_25lookback_scan_determinismE0ELb0ES3_N6thrust23THRUST_200600_302600_NS6detail15normal_iteratorINS9_10device_ptrIxEEEESE_SE_xNS9_4plusIxEE19head_flag_predicatexEE10hipError_tPvRmT2_T3_T4_T5_mT6_T7_P12ihipStream_tbENKUlT_T0_E_clISt17integral_constantIbLb0EESX_IbLb1EEEEDaST_SU_EUlST_E_NS1_11comp_targetILNS1_3genE5ELNS1_11target_archE942ELNS1_3gpuE9ELNS1_3repE0EEENS1_30default_config_static_selectorELNS0_4arch9wavefront6targetE1EEEvT1_,comdat
	.protected	_ZN7rocprim17ROCPRIM_400000_NS6detail17trampoline_kernelINS0_14default_configENS1_27scan_by_key_config_selectorIxxEEZZNS1_16scan_by_key_implILNS1_25lookback_scan_determinismE0ELb0ES3_N6thrust23THRUST_200600_302600_NS6detail15normal_iteratorINS9_10device_ptrIxEEEESE_SE_xNS9_4plusIxEE19head_flag_predicatexEE10hipError_tPvRmT2_T3_T4_T5_mT6_T7_P12ihipStream_tbENKUlT_T0_E_clISt17integral_constantIbLb0EESX_IbLb1EEEEDaST_SU_EUlST_E_NS1_11comp_targetILNS1_3genE5ELNS1_11target_archE942ELNS1_3gpuE9ELNS1_3repE0EEENS1_30default_config_static_selectorELNS0_4arch9wavefront6targetE1EEEvT1_ ; -- Begin function _ZN7rocprim17ROCPRIM_400000_NS6detail17trampoline_kernelINS0_14default_configENS1_27scan_by_key_config_selectorIxxEEZZNS1_16scan_by_key_implILNS1_25lookback_scan_determinismE0ELb0ES3_N6thrust23THRUST_200600_302600_NS6detail15normal_iteratorINS9_10device_ptrIxEEEESE_SE_xNS9_4plusIxEE19head_flag_predicatexEE10hipError_tPvRmT2_T3_T4_T5_mT6_T7_P12ihipStream_tbENKUlT_T0_E_clISt17integral_constantIbLb0EESX_IbLb1EEEEDaST_SU_EUlST_E_NS1_11comp_targetILNS1_3genE5ELNS1_11target_archE942ELNS1_3gpuE9ELNS1_3repE0EEENS1_30default_config_static_selectorELNS0_4arch9wavefront6targetE1EEEvT1_
	.globl	_ZN7rocprim17ROCPRIM_400000_NS6detail17trampoline_kernelINS0_14default_configENS1_27scan_by_key_config_selectorIxxEEZZNS1_16scan_by_key_implILNS1_25lookback_scan_determinismE0ELb0ES3_N6thrust23THRUST_200600_302600_NS6detail15normal_iteratorINS9_10device_ptrIxEEEESE_SE_xNS9_4plusIxEE19head_flag_predicatexEE10hipError_tPvRmT2_T3_T4_T5_mT6_T7_P12ihipStream_tbENKUlT_T0_E_clISt17integral_constantIbLb0EESX_IbLb1EEEEDaST_SU_EUlST_E_NS1_11comp_targetILNS1_3genE5ELNS1_11target_archE942ELNS1_3gpuE9ELNS1_3repE0EEENS1_30default_config_static_selectorELNS0_4arch9wavefront6targetE1EEEvT1_
	.p2align	8
	.type	_ZN7rocprim17ROCPRIM_400000_NS6detail17trampoline_kernelINS0_14default_configENS1_27scan_by_key_config_selectorIxxEEZZNS1_16scan_by_key_implILNS1_25lookback_scan_determinismE0ELb0ES3_N6thrust23THRUST_200600_302600_NS6detail15normal_iteratorINS9_10device_ptrIxEEEESE_SE_xNS9_4plusIxEE19head_flag_predicatexEE10hipError_tPvRmT2_T3_T4_T5_mT6_T7_P12ihipStream_tbENKUlT_T0_E_clISt17integral_constantIbLb0EESX_IbLb1EEEEDaST_SU_EUlST_E_NS1_11comp_targetILNS1_3genE5ELNS1_11target_archE942ELNS1_3gpuE9ELNS1_3repE0EEENS1_30default_config_static_selectorELNS0_4arch9wavefront6targetE1EEEvT1_,@function
_ZN7rocprim17ROCPRIM_400000_NS6detail17trampoline_kernelINS0_14default_configENS1_27scan_by_key_config_selectorIxxEEZZNS1_16scan_by_key_implILNS1_25lookback_scan_determinismE0ELb0ES3_N6thrust23THRUST_200600_302600_NS6detail15normal_iteratorINS9_10device_ptrIxEEEESE_SE_xNS9_4plusIxEE19head_flag_predicatexEE10hipError_tPvRmT2_T3_T4_T5_mT6_T7_P12ihipStream_tbENKUlT_T0_E_clISt17integral_constantIbLb0EESX_IbLb1EEEEDaST_SU_EUlST_E_NS1_11comp_targetILNS1_3genE5ELNS1_11target_archE942ELNS1_3gpuE9ELNS1_3repE0EEENS1_30default_config_static_selectorELNS0_4arch9wavefront6targetE1EEEvT1_: ; @_ZN7rocprim17ROCPRIM_400000_NS6detail17trampoline_kernelINS0_14default_configENS1_27scan_by_key_config_selectorIxxEEZZNS1_16scan_by_key_implILNS1_25lookback_scan_determinismE0ELb0ES3_N6thrust23THRUST_200600_302600_NS6detail15normal_iteratorINS9_10device_ptrIxEEEESE_SE_xNS9_4plusIxEE19head_flag_predicatexEE10hipError_tPvRmT2_T3_T4_T5_mT6_T7_P12ihipStream_tbENKUlT_T0_E_clISt17integral_constantIbLb0EESX_IbLb1EEEEDaST_SU_EUlST_E_NS1_11comp_targetILNS1_3genE5ELNS1_11target_archE942ELNS1_3gpuE9ELNS1_3repE0EEENS1_30default_config_static_selectorELNS0_4arch9wavefront6targetE1EEEvT1_
; %bb.0:
	.section	.rodata,"a",@progbits
	.p2align	6, 0x0
	.amdhsa_kernel _ZN7rocprim17ROCPRIM_400000_NS6detail17trampoline_kernelINS0_14default_configENS1_27scan_by_key_config_selectorIxxEEZZNS1_16scan_by_key_implILNS1_25lookback_scan_determinismE0ELb0ES3_N6thrust23THRUST_200600_302600_NS6detail15normal_iteratorINS9_10device_ptrIxEEEESE_SE_xNS9_4plusIxEE19head_flag_predicatexEE10hipError_tPvRmT2_T3_T4_T5_mT6_T7_P12ihipStream_tbENKUlT_T0_E_clISt17integral_constantIbLb0EESX_IbLb1EEEEDaST_SU_EUlST_E_NS1_11comp_targetILNS1_3genE5ELNS1_11target_archE942ELNS1_3gpuE9ELNS1_3repE0EEENS1_30default_config_static_selectorELNS0_4arch9wavefront6targetE1EEEvT1_
		.amdhsa_group_segment_fixed_size 0
		.amdhsa_private_segment_fixed_size 0
		.amdhsa_kernarg_size 136
		.amdhsa_user_sgpr_count 6
		.amdhsa_user_sgpr_private_segment_buffer 1
		.amdhsa_user_sgpr_dispatch_ptr 0
		.amdhsa_user_sgpr_queue_ptr 0
		.amdhsa_user_sgpr_kernarg_segment_ptr 1
		.amdhsa_user_sgpr_dispatch_id 0
		.amdhsa_user_sgpr_flat_scratch_init 0
		.amdhsa_user_sgpr_kernarg_preload_length 0
		.amdhsa_user_sgpr_kernarg_preload_offset 0
		.amdhsa_user_sgpr_private_segment_size 0
		.amdhsa_uses_dynamic_stack 0
		.amdhsa_system_sgpr_private_segment_wavefront_offset 0
		.amdhsa_system_sgpr_workgroup_id_x 1
		.amdhsa_system_sgpr_workgroup_id_y 0
		.amdhsa_system_sgpr_workgroup_id_z 0
		.amdhsa_system_sgpr_workgroup_info 0
		.amdhsa_system_vgpr_workitem_id 0
		.amdhsa_next_free_vgpr 1
		.amdhsa_next_free_sgpr 0
		.amdhsa_accum_offset 4
		.amdhsa_reserve_vcc 0
		.amdhsa_reserve_flat_scratch 0
		.amdhsa_float_round_mode_32 0
		.amdhsa_float_round_mode_16_64 0
		.amdhsa_float_denorm_mode_32 3
		.amdhsa_float_denorm_mode_16_64 3
		.amdhsa_dx10_clamp 1
		.amdhsa_ieee_mode 1
		.amdhsa_fp16_overflow 0
		.amdhsa_tg_split 0
		.amdhsa_exception_fp_ieee_invalid_op 0
		.amdhsa_exception_fp_denorm_src 0
		.amdhsa_exception_fp_ieee_div_zero 0
		.amdhsa_exception_fp_ieee_overflow 0
		.amdhsa_exception_fp_ieee_underflow 0
		.amdhsa_exception_fp_ieee_inexact 0
		.amdhsa_exception_int_div_zero 0
	.end_amdhsa_kernel
	.section	.text._ZN7rocprim17ROCPRIM_400000_NS6detail17trampoline_kernelINS0_14default_configENS1_27scan_by_key_config_selectorIxxEEZZNS1_16scan_by_key_implILNS1_25lookback_scan_determinismE0ELb0ES3_N6thrust23THRUST_200600_302600_NS6detail15normal_iteratorINS9_10device_ptrIxEEEESE_SE_xNS9_4plusIxEE19head_flag_predicatexEE10hipError_tPvRmT2_T3_T4_T5_mT6_T7_P12ihipStream_tbENKUlT_T0_E_clISt17integral_constantIbLb0EESX_IbLb1EEEEDaST_SU_EUlST_E_NS1_11comp_targetILNS1_3genE5ELNS1_11target_archE942ELNS1_3gpuE9ELNS1_3repE0EEENS1_30default_config_static_selectorELNS0_4arch9wavefront6targetE1EEEvT1_,"axG",@progbits,_ZN7rocprim17ROCPRIM_400000_NS6detail17trampoline_kernelINS0_14default_configENS1_27scan_by_key_config_selectorIxxEEZZNS1_16scan_by_key_implILNS1_25lookback_scan_determinismE0ELb0ES3_N6thrust23THRUST_200600_302600_NS6detail15normal_iteratorINS9_10device_ptrIxEEEESE_SE_xNS9_4plusIxEE19head_flag_predicatexEE10hipError_tPvRmT2_T3_T4_T5_mT6_T7_P12ihipStream_tbENKUlT_T0_E_clISt17integral_constantIbLb0EESX_IbLb1EEEEDaST_SU_EUlST_E_NS1_11comp_targetILNS1_3genE5ELNS1_11target_archE942ELNS1_3gpuE9ELNS1_3repE0EEENS1_30default_config_static_selectorELNS0_4arch9wavefront6targetE1EEEvT1_,comdat
.Lfunc_end706:
	.size	_ZN7rocprim17ROCPRIM_400000_NS6detail17trampoline_kernelINS0_14default_configENS1_27scan_by_key_config_selectorIxxEEZZNS1_16scan_by_key_implILNS1_25lookback_scan_determinismE0ELb0ES3_N6thrust23THRUST_200600_302600_NS6detail15normal_iteratorINS9_10device_ptrIxEEEESE_SE_xNS9_4plusIxEE19head_flag_predicatexEE10hipError_tPvRmT2_T3_T4_T5_mT6_T7_P12ihipStream_tbENKUlT_T0_E_clISt17integral_constantIbLb0EESX_IbLb1EEEEDaST_SU_EUlST_E_NS1_11comp_targetILNS1_3genE5ELNS1_11target_archE942ELNS1_3gpuE9ELNS1_3repE0EEENS1_30default_config_static_selectorELNS0_4arch9wavefront6targetE1EEEvT1_, .Lfunc_end706-_ZN7rocprim17ROCPRIM_400000_NS6detail17trampoline_kernelINS0_14default_configENS1_27scan_by_key_config_selectorIxxEEZZNS1_16scan_by_key_implILNS1_25lookback_scan_determinismE0ELb0ES3_N6thrust23THRUST_200600_302600_NS6detail15normal_iteratorINS9_10device_ptrIxEEEESE_SE_xNS9_4plusIxEE19head_flag_predicatexEE10hipError_tPvRmT2_T3_T4_T5_mT6_T7_P12ihipStream_tbENKUlT_T0_E_clISt17integral_constantIbLb0EESX_IbLb1EEEEDaST_SU_EUlST_E_NS1_11comp_targetILNS1_3genE5ELNS1_11target_archE942ELNS1_3gpuE9ELNS1_3repE0EEENS1_30default_config_static_selectorELNS0_4arch9wavefront6targetE1EEEvT1_
                                        ; -- End function
	.section	.AMDGPU.csdata,"",@progbits
; Kernel info:
; codeLenInByte = 0
; NumSgprs: 4
; NumVgprs: 0
; NumAgprs: 0
; TotalNumVgprs: 0
; ScratchSize: 0
; MemoryBound: 0
; FloatMode: 240
; IeeeMode: 1
; LDSByteSize: 0 bytes/workgroup (compile time only)
; SGPRBlocks: 0
; VGPRBlocks: 0
; NumSGPRsForWavesPerEU: 4
; NumVGPRsForWavesPerEU: 1
; AccumOffset: 4
; Occupancy: 8
; WaveLimiterHint : 0
; COMPUTE_PGM_RSRC2:SCRATCH_EN: 0
; COMPUTE_PGM_RSRC2:USER_SGPR: 6
; COMPUTE_PGM_RSRC2:TRAP_HANDLER: 0
; COMPUTE_PGM_RSRC2:TGID_X_EN: 1
; COMPUTE_PGM_RSRC2:TGID_Y_EN: 0
; COMPUTE_PGM_RSRC2:TGID_Z_EN: 0
; COMPUTE_PGM_RSRC2:TIDIG_COMP_CNT: 0
; COMPUTE_PGM_RSRC3_GFX90A:ACCUM_OFFSET: 0
; COMPUTE_PGM_RSRC3_GFX90A:TG_SPLIT: 0
	.section	.text._ZN7rocprim17ROCPRIM_400000_NS6detail17trampoline_kernelINS0_14default_configENS1_27scan_by_key_config_selectorIxxEEZZNS1_16scan_by_key_implILNS1_25lookback_scan_determinismE0ELb0ES3_N6thrust23THRUST_200600_302600_NS6detail15normal_iteratorINS9_10device_ptrIxEEEESE_SE_xNS9_4plusIxEE19head_flag_predicatexEE10hipError_tPvRmT2_T3_T4_T5_mT6_T7_P12ihipStream_tbENKUlT_T0_E_clISt17integral_constantIbLb0EESX_IbLb1EEEEDaST_SU_EUlST_E_NS1_11comp_targetILNS1_3genE4ELNS1_11target_archE910ELNS1_3gpuE8ELNS1_3repE0EEENS1_30default_config_static_selectorELNS0_4arch9wavefront6targetE1EEEvT1_,"axG",@progbits,_ZN7rocprim17ROCPRIM_400000_NS6detail17trampoline_kernelINS0_14default_configENS1_27scan_by_key_config_selectorIxxEEZZNS1_16scan_by_key_implILNS1_25lookback_scan_determinismE0ELb0ES3_N6thrust23THRUST_200600_302600_NS6detail15normal_iteratorINS9_10device_ptrIxEEEESE_SE_xNS9_4plusIxEE19head_flag_predicatexEE10hipError_tPvRmT2_T3_T4_T5_mT6_T7_P12ihipStream_tbENKUlT_T0_E_clISt17integral_constantIbLb0EESX_IbLb1EEEEDaST_SU_EUlST_E_NS1_11comp_targetILNS1_3genE4ELNS1_11target_archE910ELNS1_3gpuE8ELNS1_3repE0EEENS1_30default_config_static_selectorELNS0_4arch9wavefront6targetE1EEEvT1_,comdat
	.protected	_ZN7rocprim17ROCPRIM_400000_NS6detail17trampoline_kernelINS0_14default_configENS1_27scan_by_key_config_selectorIxxEEZZNS1_16scan_by_key_implILNS1_25lookback_scan_determinismE0ELb0ES3_N6thrust23THRUST_200600_302600_NS6detail15normal_iteratorINS9_10device_ptrIxEEEESE_SE_xNS9_4plusIxEE19head_flag_predicatexEE10hipError_tPvRmT2_T3_T4_T5_mT6_T7_P12ihipStream_tbENKUlT_T0_E_clISt17integral_constantIbLb0EESX_IbLb1EEEEDaST_SU_EUlST_E_NS1_11comp_targetILNS1_3genE4ELNS1_11target_archE910ELNS1_3gpuE8ELNS1_3repE0EEENS1_30default_config_static_selectorELNS0_4arch9wavefront6targetE1EEEvT1_ ; -- Begin function _ZN7rocprim17ROCPRIM_400000_NS6detail17trampoline_kernelINS0_14default_configENS1_27scan_by_key_config_selectorIxxEEZZNS1_16scan_by_key_implILNS1_25lookback_scan_determinismE0ELb0ES3_N6thrust23THRUST_200600_302600_NS6detail15normal_iteratorINS9_10device_ptrIxEEEESE_SE_xNS9_4plusIxEE19head_flag_predicatexEE10hipError_tPvRmT2_T3_T4_T5_mT6_T7_P12ihipStream_tbENKUlT_T0_E_clISt17integral_constantIbLb0EESX_IbLb1EEEEDaST_SU_EUlST_E_NS1_11comp_targetILNS1_3genE4ELNS1_11target_archE910ELNS1_3gpuE8ELNS1_3repE0EEENS1_30default_config_static_selectorELNS0_4arch9wavefront6targetE1EEEvT1_
	.globl	_ZN7rocprim17ROCPRIM_400000_NS6detail17trampoline_kernelINS0_14default_configENS1_27scan_by_key_config_selectorIxxEEZZNS1_16scan_by_key_implILNS1_25lookback_scan_determinismE0ELb0ES3_N6thrust23THRUST_200600_302600_NS6detail15normal_iteratorINS9_10device_ptrIxEEEESE_SE_xNS9_4plusIxEE19head_flag_predicatexEE10hipError_tPvRmT2_T3_T4_T5_mT6_T7_P12ihipStream_tbENKUlT_T0_E_clISt17integral_constantIbLb0EESX_IbLb1EEEEDaST_SU_EUlST_E_NS1_11comp_targetILNS1_3genE4ELNS1_11target_archE910ELNS1_3gpuE8ELNS1_3repE0EEENS1_30default_config_static_selectorELNS0_4arch9wavefront6targetE1EEEvT1_
	.p2align	8
	.type	_ZN7rocprim17ROCPRIM_400000_NS6detail17trampoline_kernelINS0_14default_configENS1_27scan_by_key_config_selectorIxxEEZZNS1_16scan_by_key_implILNS1_25lookback_scan_determinismE0ELb0ES3_N6thrust23THRUST_200600_302600_NS6detail15normal_iteratorINS9_10device_ptrIxEEEESE_SE_xNS9_4plusIxEE19head_flag_predicatexEE10hipError_tPvRmT2_T3_T4_T5_mT6_T7_P12ihipStream_tbENKUlT_T0_E_clISt17integral_constantIbLb0EESX_IbLb1EEEEDaST_SU_EUlST_E_NS1_11comp_targetILNS1_3genE4ELNS1_11target_archE910ELNS1_3gpuE8ELNS1_3repE0EEENS1_30default_config_static_selectorELNS0_4arch9wavefront6targetE1EEEvT1_,@function
_ZN7rocprim17ROCPRIM_400000_NS6detail17trampoline_kernelINS0_14default_configENS1_27scan_by_key_config_selectorIxxEEZZNS1_16scan_by_key_implILNS1_25lookback_scan_determinismE0ELb0ES3_N6thrust23THRUST_200600_302600_NS6detail15normal_iteratorINS9_10device_ptrIxEEEESE_SE_xNS9_4plusIxEE19head_flag_predicatexEE10hipError_tPvRmT2_T3_T4_T5_mT6_T7_P12ihipStream_tbENKUlT_T0_E_clISt17integral_constantIbLb0EESX_IbLb1EEEEDaST_SU_EUlST_E_NS1_11comp_targetILNS1_3genE4ELNS1_11target_archE910ELNS1_3gpuE8ELNS1_3repE0EEENS1_30default_config_static_selectorELNS0_4arch9wavefront6targetE1EEEvT1_: ; @_ZN7rocprim17ROCPRIM_400000_NS6detail17trampoline_kernelINS0_14default_configENS1_27scan_by_key_config_selectorIxxEEZZNS1_16scan_by_key_implILNS1_25lookback_scan_determinismE0ELb0ES3_N6thrust23THRUST_200600_302600_NS6detail15normal_iteratorINS9_10device_ptrIxEEEESE_SE_xNS9_4plusIxEE19head_flag_predicatexEE10hipError_tPvRmT2_T3_T4_T5_mT6_T7_P12ihipStream_tbENKUlT_T0_E_clISt17integral_constantIbLb0EESX_IbLb1EEEEDaST_SU_EUlST_E_NS1_11comp_targetILNS1_3genE4ELNS1_11target_archE910ELNS1_3gpuE8ELNS1_3repE0EEENS1_30default_config_static_selectorELNS0_4arch9wavefront6targetE1EEEvT1_
; %bb.0:
	s_load_dwordx8 s[48:55], s[4:5], 0x30
	s_load_dwordx2 s[68:69], s[4:5], 0x50
	v_cmp_ne_u32_e64 s[46:47], 0, v0
	v_cmp_eq_u32_e64 s[0:1], 0, v0
	s_and_saveexec_b64 s[2:3], s[0:1]
	s_cbranch_execz .LBB707_4
; %bb.1:
	s_mov_b64 s[8:9], exec
	v_mbcnt_lo_u32_b32 v1, s8, 0
	v_mbcnt_hi_u32_b32 v1, s9, v1
	v_cmp_eq_u32_e32 vcc, 0, v1
                                        ; implicit-def: $vgpr2
	s_and_saveexec_b64 s[6:7], vcc
	s_cbranch_execz .LBB707_3
; %bb.2:
	s_load_dwordx2 s[10:11], s[4:5], 0x80
	s_bcnt1_i32_b64 s8, s[8:9]
	v_mov_b32_e32 v2, 0
	v_mov_b32_e32 v3, s8
	s_waitcnt lgkmcnt(0)
	global_atomic_add v2, v2, v3, s[10:11] glc
.LBB707_3:
	s_or_b64 exec, exec, s[6:7]
	s_waitcnt vmcnt(0)
	v_readfirstlane_b32 s6, v2
	v_add_u32_e32 v1, s6, v1
	v_mov_b32_e32 v2, 0
	ds_write_b32 v2, v1
.LBB707_4:
	s_or_b64 exec, exec, s[2:3]
	s_load_dwordx8 s[56:63], s[4:5], 0x0
	s_load_dword s2, s[4:5], 0x58
	s_load_dwordx4 s[64:67], s[4:5], 0x60
	v_mov_b32_e32 v1, 0
	s_waitcnt lgkmcnt(0)
	; wave barrier
	s_waitcnt lgkmcnt(0)
	ds_read_b32 v1, v1
	s_lshl_b64 s[58:59], s[58:59], 3
	s_add_u32 s4, s56, s58
	s_addc_u32 s5, s57, s59
	s_add_u32 s6, s60, s58
	s_mul_i32 s3, s69, s2
	s_mul_hi_u32 s8, s68, s2
	s_waitcnt lgkmcnt(0)
	v_readfirstlane_b32 s55, v1
	s_addc_u32 s7, s61, s59
	s_add_i32 s8, s8, s3
	s_mul_i32 s9, s68, s2
	s_mov_b32 s3, 0
	s_mul_i32 s2, s55, 0x4c0
	s_lshl_b64 s[56:57], s[2:3], 3
	s_add_u32 s44, s4, s56
	s_addc_u32 s45, s5, s57
	s_add_u32 s70, s6, s56
	s_addc_u32 s71, s7, s57
	v_mov_b32_e32 v3, s8
	v_add_co_u32_e32 v2, vcc, s9, v1
	s_add_u32 s6, s64, -1
	v_addc_co_u32_e32 v3, vcc, 0, v3, vcc
	s_addc_u32 s7, s65, -1
	v_cmp_le_u64_e64 s[2:3], s[6:7], v[2:3]
	s_mov_b64 s[4:5], -1
	s_and_b64 vcc, exec, s[2:3]
	s_mul_i32 s33, s6, 0xfffffb40
	s_waitcnt lgkmcnt(0)
	; wave barrier
	s_waitcnt lgkmcnt(0)
	s_waitcnt lgkmcnt(0)
	; wave barrier
	s_cbranch_vccz .LBB707_61
; %bb.5:
	v_pk_mov_b32 v[2:3], s[44:45], s[44:45] op_sel:[0,1]
	flat_load_dwordx2 v[2:3], v[2:3]
	s_add_i32 s65, s33, s54
	v_cmp_gt_u32_e32 vcc, s65, v0
	s_waitcnt vmcnt(0) lgkmcnt(0)
	v_pk_mov_b32 v[4:5], v[2:3], v[2:3] op_sel:[0,1]
	s_and_saveexec_b64 s[6:7], vcc
	s_cbranch_execz .LBB707_7
; %bb.6:
	v_lshlrev_b32_e32 v1, 3, v0
	v_mov_b32_e32 v5, s45
	v_add_co_u32_e64 v4, s[4:5], s44, v1
	v_addc_co_u32_e64 v5, s[4:5], 0, v5, s[4:5]
	flat_load_dwordx2 v[4:5], v[4:5]
.LBB707_7:
	s_or_b64 exec, exec, s[6:7]
	v_or_b32_e32 v1, 64, v0
	v_cmp_gt_u32_e64 s[6:7], s65, v1
	v_pk_mov_b32 v[6:7], v[2:3], v[2:3] op_sel:[0,1]
	s_and_saveexec_b64 s[8:9], s[6:7]
	s_cbranch_execz .LBB707_9
; %bb.8:
	v_lshlrev_b32_e32 v1, 3, v0
	v_mov_b32_e32 v7, s45
	v_add_co_u32_e64 v6, s[4:5], s44, v1
	v_addc_co_u32_e64 v7, s[4:5], 0, v7, s[4:5]
	flat_load_dwordx2 v[6:7], v[6:7] offset:512
.LBB707_9:
	s_or_b64 exec, exec, s[8:9]
	v_or_b32_e32 v1, 0x80, v0
	v_cmp_gt_u32_e64 s[8:9], s65, v1
	v_pk_mov_b32 v[8:9], v[2:3], v[2:3] op_sel:[0,1]
	s_and_saveexec_b64 s[10:11], s[8:9]
	s_cbranch_execz .LBB707_11
; %bb.10:
	v_lshlrev_b32_e32 v1, 3, v0
	v_mov_b32_e32 v9, s45
	v_add_co_u32_e64 v8, s[4:5], s44, v1
	v_addc_co_u32_e64 v9, s[4:5], 0, v9, s[4:5]
	flat_load_dwordx2 v[8:9], v[8:9] offset:1024
.LBB707_11:
	;; [unrolled: 13-line block ×7, first 2 shown]
	s_or_b64 exec, exec, s[20:21]
	v_or_b32_e32 v1, 0x200, v0
	v_cmp_gt_u32_e64 s[20:21], s65, v1
	v_lshlrev_b32_e32 v1, 3, v1
	v_pk_mov_b32 v[20:21], v[2:3], v[2:3] op_sel:[0,1]
	s_and_saveexec_b64 s[22:23], s[20:21]
	s_cbranch_execz .LBB707_23
; %bb.22:
	v_mov_b32_e32 v21, s45
	v_add_co_u32_e64 v20, s[4:5], s44, v1
	v_addc_co_u32_e64 v21, s[4:5], 0, v21, s[4:5]
	flat_load_dwordx2 v[20:21], v[20:21]
.LBB707_23:
	s_or_b64 exec, exec, s[22:23]
	v_or_b32_e32 v22, 0x240, v0
	v_cmp_gt_u32_e64 s[22:23], s65, v22
	v_lshlrev_b32_e32 v40, 3, v22
	v_pk_mov_b32 v[22:23], v[2:3], v[2:3] op_sel:[0,1]
	s_and_saveexec_b64 s[24:25], s[22:23]
	s_cbranch_execz .LBB707_25
; %bb.24:
	v_mov_b32_e32 v23, s45
	v_add_co_u32_e64 v22, s[4:5], s44, v40
	v_addc_co_u32_e64 v23, s[4:5], 0, v23, s[4:5]
	flat_load_dwordx2 v[22:23], v[22:23]
.LBB707_25:
	;; [unrolled: 13-line block ×10, first 2 shown]
	s_or_b64 exec, exec, s[42:43]
	v_or_b32_e32 v49, 0x480, v0
	v_cmp_gt_u32_e64 s[42:43], s65, v49
	v_lshlrev_b32_e32 v49, 3, v49
	s_and_saveexec_b64 s[60:61], s[42:43]
	s_cbranch_execz .LBB707_43
; %bb.42:
	v_mov_b32_e32 v3, s45
	v_add_co_u32_e64 v2, s[4:5], s44, v49
	v_addc_co_u32_e64 v3, s[4:5], 0, v3, s[4:5]
	flat_load_dwordx2 v[2:3], v[2:3]
.LBB707_43:
	s_or_b64 exec, exec, s[60:61]
	v_lshlrev_b32_e32 v50, 3, v0
	s_movk_i32 s4, 0x90
	v_mad_u32_u24 v94, v0, s4, v50
	s_waitcnt vmcnt(0) lgkmcnt(0)
	ds_write2st64_b64 v50, v[4:5], v[6:7] offset1:1
	ds_write2st64_b64 v50, v[8:9], v[10:11] offset0:2 offset1:3
	ds_write2st64_b64 v50, v[12:13], v[14:15] offset0:4 offset1:5
	;; [unrolled: 1-line block ×8, first 2 shown]
	ds_write_b64 v50, v[2:3] offset:9216
	s_waitcnt lgkmcnt(0)
	; wave barrier
	s_waitcnt lgkmcnt(0)
	ds_read2_b64 v[88:91], v94 offset1:1
	ds_read2_b64 v[84:87], v94 offset0:2 offset1:3
	ds_read2_b64 v[80:83], v94 offset0:4 offset1:5
	ds_read2_b64 v[76:79], v94 offset0:6 offset1:7
	ds_read2_b64 v[72:75], v94 offset0:8 offset1:9
	ds_read2_b64 v[68:71], v94 offset0:10 offset1:11
	ds_read2_b64 v[56:59], v94 offset0:16 offset1:17
	ds_read_b64 v[92:93], v94 offset:144
	ds_read2_b64 v[64:67], v94 offset0:12 offset1:13
	ds_read2_b64 v[60:63], v94 offset0:14 offset1:15
	s_movk_i32 s4, 0xff70
	v_mad_i32_i24 v2, v0, s4, v94
	s_waitcnt lgkmcnt(2)
	ds_write_b64 v2, v[92:93] offset:9728
	s_waitcnt lgkmcnt(0)
	; wave barrier
	s_waitcnt lgkmcnt(0)
	s_waitcnt lgkmcnt(0)
	; wave barrier
	s_waitcnt lgkmcnt(0)
                                        ; implicit-def: $vgpr2_vgpr3
	s_and_saveexec_b64 s[4:5], vcc
	s_cbranch_execz .LBB707_124
; %bb.44:
	v_mov_b32_e32 v3, s71
	v_add_co_u32_e32 v2, vcc, s70, v50
	v_addc_co_u32_e32 v3, vcc, 0, v3, vcc
	flat_load_dwordx2 v[2:3], v[2:3]
	s_or_b64 exec, exec, s[4:5]
                                        ; implicit-def: $vgpr4_vgpr5
	s_and_saveexec_b64 s[4:5], s[6:7]
	s_cbranch_execnz .LBB707_125
.LBB707_45:
	s_or_b64 exec, exec, s[4:5]
                                        ; implicit-def: $vgpr6_vgpr7
	s_and_saveexec_b64 s[4:5], s[8:9]
	s_cbranch_execz .LBB707_126
.LBB707_46:
	v_mov_b32_e32 v7, s71
	v_add_co_u32_e32 v6, vcc, s70, v50
	v_addc_co_u32_e32 v7, vcc, 0, v7, vcc
	flat_load_dwordx2 v[6:7], v[6:7] offset:1024
	s_or_b64 exec, exec, s[4:5]
                                        ; implicit-def: $vgpr8_vgpr9
	s_and_saveexec_b64 s[4:5], s[10:11]
	s_cbranch_execnz .LBB707_127
.LBB707_47:
	s_or_b64 exec, exec, s[4:5]
                                        ; implicit-def: $vgpr10_vgpr11
	s_and_saveexec_b64 s[4:5], s[12:13]
	s_cbranch_execz .LBB707_128
.LBB707_48:
	v_mov_b32_e32 v11, s71
	v_add_co_u32_e32 v10, vcc, s70, v50
	v_addc_co_u32_e32 v11, vcc, 0, v11, vcc
	flat_load_dwordx2 v[10:11], v[10:11] offset:2048
	s_or_b64 exec, exec, s[4:5]
                                        ; implicit-def: $vgpr12_vgpr13
	s_and_saveexec_b64 s[4:5], s[14:15]
	s_cbranch_execnz .LBB707_129
.LBB707_49:
	s_or_b64 exec, exec, s[4:5]
                                        ; implicit-def: $vgpr14_vgpr15
	s_and_saveexec_b64 s[4:5], s[16:17]
	s_cbranch_execz .LBB707_130
.LBB707_50:
	v_mov_b32_e32 v15, s71
	v_add_co_u32_e32 v14, vcc, s70, v50
	v_addc_co_u32_e32 v15, vcc, 0, v15, vcc
	flat_load_dwordx2 v[14:15], v[14:15] offset:3072
	s_or_b64 exec, exec, s[4:5]
                                        ; implicit-def: $vgpr16_vgpr17
	s_and_saveexec_b64 s[4:5], s[18:19]
	s_cbranch_execnz .LBB707_131
.LBB707_51:
	s_or_b64 exec, exec, s[4:5]
                                        ; implicit-def: $vgpr18_vgpr19
	s_and_saveexec_b64 s[4:5], s[20:21]
	s_cbranch_execz .LBB707_132
.LBB707_52:
	v_mov_b32_e32 v19, s71
	v_add_co_u32_e32 v18, vcc, s70, v1
	v_addc_co_u32_e32 v19, vcc, 0, v19, vcc
	flat_load_dwordx2 v[18:19], v[18:19]
	s_or_b64 exec, exec, s[4:5]
                                        ; implicit-def: $vgpr20_vgpr21
	s_and_saveexec_b64 s[4:5], s[22:23]
	s_cbranch_execnz .LBB707_133
.LBB707_53:
	s_or_b64 exec, exec, s[4:5]
                                        ; implicit-def: $vgpr22_vgpr23
	s_and_saveexec_b64 s[4:5], s[24:25]
	s_cbranch_execz .LBB707_134
.LBB707_54:
	v_mov_b32_e32 v1, s71
	v_add_co_u32_e32 v22, vcc, s70, v41
	v_addc_co_u32_e32 v23, vcc, 0, v1, vcc
	flat_load_dwordx2 v[22:23], v[22:23]
	s_or_b64 exec, exec, s[4:5]
                                        ; implicit-def: $vgpr24_vgpr25
	s_and_saveexec_b64 s[4:5], s[26:27]
	s_cbranch_execnz .LBB707_135
.LBB707_55:
	s_or_b64 exec, exec, s[4:5]
                                        ; implicit-def: $vgpr26_vgpr27
	s_and_saveexec_b64 s[4:5], s[28:29]
	s_cbranch_execz .LBB707_136
.LBB707_56:
	v_mov_b32_e32 v1, s71
	v_add_co_u32_e32 v26, vcc, s70, v43
	v_addc_co_u32_e32 v27, vcc, 0, v1, vcc
	flat_load_dwordx2 v[26:27], v[26:27]
	s_or_b64 exec, exec, s[4:5]
                                        ; implicit-def: $vgpr28_vgpr29
	s_and_saveexec_b64 s[4:5], s[30:31]
	s_cbranch_execnz .LBB707_137
.LBB707_57:
	s_or_b64 exec, exec, s[4:5]
                                        ; implicit-def: $vgpr30_vgpr31
	s_and_saveexec_b64 s[4:5], s[34:35]
	s_cbranch_execz .LBB707_138
.LBB707_58:
	v_mov_b32_e32 v1, s71
	v_add_co_u32_e32 v30, vcc, s70, v45
	v_addc_co_u32_e32 v31, vcc, 0, v1, vcc
	flat_load_dwordx2 v[30:31], v[30:31]
	s_or_b64 exec, exec, s[4:5]
                                        ; implicit-def: $vgpr32_vgpr33
	s_and_saveexec_b64 s[4:5], s[36:37]
	s_cbranch_execnz .LBB707_139
.LBB707_59:
	s_or_b64 exec, exec, s[4:5]
                                        ; implicit-def: $vgpr34_vgpr35
	s_and_saveexec_b64 s[4:5], s[38:39]
	s_cbranch_execz .LBB707_140
.LBB707_60:
	v_mov_b32_e32 v1, s71
	v_add_co_u32_e32 v34, vcc, s70, v47
	v_addc_co_u32_e32 v35, vcc, 0, v1, vcc
	flat_load_dwordx2 v[34:35], v[34:35]
	s_or_b64 exec, exec, s[4:5]
                                        ; implicit-def: $vgpr36_vgpr37
	s_and_saveexec_b64 s[4:5], s[40:41]
	s_cbranch_execz .LBB707_142
	s_branch .LBB707_141
.LBB707_61:
	s_mov_b64 s[8:9], 0
                                        ; implicit-def: $vgpr92_vgpr93
                                        ; implicit-def: $vgpr6_vgpr7
                                        ; implicit-def: $vgpr105
                                        ; implicit-def: $vgpr56_vgpr57
                                        ; implicit-def: $vgpr120
                                        ; implicit-def: $vgpr119
                                        ; implicit-def: $vgpr50_vgpr51
                                        ; implicit-def: $vgpr118
                                        ; implicit-def: $vgpr48_vgpr49
                                        ; implicit-def: $vgpr117
                                        ; implicit-def: $vgpr44_vgpr45
                                        ; implicit-def: $vgpr116
                                        ; implicit-def: $vgpr42_vgpr43
                                        ; implicit-def: $vgpr115
                                        ; implicit-def: $vgpr38_vgpr39
                                        ; implicit-def: $vgpr114
                                        ; implicit-def: $vgpr36_vgpr37
                                        ; implicit-def: $vgpr113
                                        ; implicit-def: $vgpr32_vgpr33
                                        ; implicit-def: $vgpr112
                                        ; implicit-def: $vgpr30_vgpr31
                                        ; implicit-def: $vgpr111
                                        ; implicit-def: $vgpr26_vgpr27
                                        ; implicit-def: $vgpr110
                                        ; implicit-def: $vgpr24_vgpr25
                                        ; implicit-def: $vgpr109
                                        ; implicit-def: $vgpr20_vgpr21
                                        ; implicit-def: $vgpr108
                                        ; implicit-def: $vgpr18_vgpr19
                                        ; implicit-def: $vgpr107
                                        ; implicit-def: $vgpr14_vgpr15
                                        ; implicit-def: $vgpr106
                                        ; implicit-def: $vgpr12_vgpr13
                                        ; implicit-def: $vgpr104
                                        ; implicit-def: $vgpr8_vgpr9
                                        ; implicit-def: $vgpr1
                                        ; implicit-def: $vgpr2_vgpr3
                                        ; implicit-def: $sgpr64
                                        ; implicit-def: $sgpr6_sgpr7
	s_and_b64 vcc, exec, s[4:5]
	v_lshlrev_b32_e32 v121, 3, v0
	s_cbranch_vccz .LBB707_63
.LBB707_62:
	v_mov_b32_e32 v1, s45
	s_waitcnt lgkmcnt(0)
	v_add_co_u32_e32 v2, vcc, s44, v121
	v_addc_co_u32_e32 v3, vcc, 0, v1, vcc
	v_add_co_u32_e32 v20, vcc, 0x1000, v2
	v_addc_co_u32_e32 v21, vcc, 0, v3, vcc
	flat_load_dwordx2 v[4:5], v[2:3]
	flat_load_dwordx2 v[6:7], v[2:3] offset:512
	flat_load_dwordx2 v[8:9], v[2:3] offset:1024
	;; [unrolled: 1-line block ×7, first 2 shown]
	v_add_co_u32_e32 v2, vcc, 0x2000, v2
	v_addc_co_u32_e32 v3, vcc, 0, v3, vcc
	flat_load_dwordx2 v[22:23], v[20:21]
	flat_load_dwordx2 v[24:25], v[20:21] offset:512
	flat_load_dwordx2 v[26:27], v[20:21] offset:1024
	;; [unrolled: 1-line block ×7, first 2 shown]
	s_nop 0
	flat_load_dwordx2 v[20:21], v[2:3]
	flat_load_dwordx2 v[38:39], v[2:3] offset:512
	flat_load_dwordx2 v[40:41], v[2:3] offset:1024
	v_mov_b32_e32 v1, s71
	v_add_co_u32_e32 v42, vcc, s70, v121
	s_movk_i32 s4, 0x1000
	v_addc_co_u32_e32 v43, vcc, 0, v1, vcc
	s_movk_i32 s6, 0x90
	v_add_co_u32_e32 v44, vcc, s4, v42
	s_movk_i32 s5, 0x2000
	s_movk_i32 s7, 0xff70
	v_mad_u32_u24 v80, v0, s6, v121
	v_addc_co_u32_e32 v45, vcc, 0, v43, vcc
	v_mad_i32_i24 v1, v0, s7, v80
	v_add_co_u32_e32 v46, vcc, s5, v42
	v_addc_co_u32_e32 v47, vcc, 0, v43, vcc
	s_or_b64 s[8:9], s[8:9], exec
                                        ; implicit-def: $sgpr64
                                        ; implicit-def: $sgpr6_sgpr7
	s_waitcnt vmcnt(0) lgkmcnt(0)
	ds_write2st64_b64 v121, v[4:5], v[6:7] offset1:1
	ds_write2st64_b64 v121, v[8:9], v[10:11] offset0:2 offset1:3
	ds_write2st64_b64 v121, v[12:13], v[14:15] offset0:4 offset1:5
	;; [unrolled: 1-line block ×8, first 2 shown]
	ds_write_b64 v121, v[40:41] offset:9216
	s_waitcnt lgkmcnt(0)
	; wave barrier
	s_waitcnt lgkmcnt(0)
	ds_read2_b64 v[2:5], v80 offset1:1
	ds_read2_b64 v[6:9], v80 offset0:2 offset1:3
	ds_read2_b64 v[10:13], v80 offset0:4 offset1:5
	;; [unrolled: 1-line block ×4, first 2 shown]
	ds_read_b64 v[92:93], v80 offset:144
	ds_read2_b64 v[22:25], v80 offset0:8 offset1:9
	ds_read2_b64 v[26:29], v80 offset0:10 offset1:11
	;; [unrolled: 1-line block ×4, first 2 shown]
	s_waitcnt lgkmcnt(4)
	ds_write_b64 v1, v[92:93] offset:9728
	s_waitcnt lgkmcnt(0)
	; wave barrier
	s_waitcnt lgkmcnt(0)
	s_waitcnt lgkmcnt(0)
	; wave barrier
	s_waitcnt lgkmcnt(0)
	flat_load_dwordx2 v[38:39], v[42:43]
	flat_load_dwordx2 v[40:41], v[42:43] offset:512
	flat_load_dwordx2 v[48:49], v[42:43] offset:1024
	;; [unrolled: 1-line block ×7, first 2 shown]
	flat_load_dwordx2 v[60:61], v[44:45]
	flat_load_dwordx2 v[62:63], v[44:45] offset:512
	flat_load_dwordx2 v[64:65], v[44:45] offset:1024
	;; [unrolled: 1-line block ×6, first 2 shown]
                                        ; kill: killed $vgpr42 killed $vgpr43
	flat_load_dwordx2 v[42:43], v[44:45] offset:3584
	flat_load_dwordx2 v[74:75], v[46:47]
	flat_load_dwordx2 v[76:77], v[46:47] offset:512
	flat_load_dwordx2 v[78:79], v[46:47] offset:1024
	v_cmp_ne_u64_e32 vcc, 0, v[20:21]
	v_cndmask_b32_e64 v105, 0, 1, vcc
	v_cmp_ne_u64_e32 vcc, 0, v[18:19]
	v_cndmask_b32_e64 v120, 0, 1, vcc
	;; [unrolled: 2-line block ×18, first 2 shown]
	s_waitcnt vmcnt(0) lgkmcnt(0)
	ds_write2st64_b64 v121, v[38:39], v[40:41] offset1:1
	ds_write2st64_b64 v121, v[48:49], v[50:51] offset0:2 offset1:3
	ds_write2st64_b64 v121, v[52:53], v[54:55] offset0:4 offset1:5
	;; [unrolled: 1-line block ×8, first 2 shown]
	ds_write_b64 v121, v[78:79] offset:9216
	s_waitcnt lgkmcnt(0)
	; wave barrier
	s_waitcnt lgkmcnt(0)
	ds_read2_b64 v[2:5], v80 offset1:1
	ds_read2_b64 v[12:15], v80 offset0:2 offset1:3
	ds_read2_b64 v[18:21], v80 offset0:4 offset1:5
	;; [unrolled: 1-line block ×8, first 2 shown]
	ds_read_b64 v[6:7], v80 offset:144
	s_waitcnt lgkmcnt(9)
	v_pk_mov_b32 v[8:9], v[4:5], v[4:5] op_sel:[0,1]
.LBB707_63:
	s_waitcnt lgkmcnt(0)
	v_pk_mov_b32 v[10:11], s[6:7], s[6:7] op_sel:[0,1]
	v_mov_b32_e32 v122, s64
	s_and_saveexec_b64 s[4:5], s[8:9]
; %bb.64:
	v_cmp_ne_u64_e32 vcc, 0, v[92:93]
	v_cndmask_b32_e64 v122, 0, 1, vcc
	v_pk_mov_b32 v[4:5], v[56:57], v[56:57] op_sel:[0,1]
	v_pk_mov_b32 v[10:11], v[6:7], v[6:7] op_sel:[0,1]
; %bb.65:
	s_or_b64 exec, exec, s[4:5]
	v_or_b32_e32 v6, v122, v105
	s_cmp_lg_u32 s55, 0
	v_or_b32_e32 v124, v6, v120
	v_mbcnt_lo_u32_b32 v123, -1, 0
	s_waitcnt lgkmcnt(0)
	; wave barrier
	s_cbranch_scc0 .LBB707_181
; %bb.66:
	v_mov_b32_e32 v6, 0
	v_cmp_eq_u16_sdwa s[42:43], v104, v6 src0_sel:BYTE_0 src1_sel:DWORD
	v_cndmask_b32_e64 v17, 0, v2, s[42:43]
	v_cndmask_b32_e64 v7, 0, v3, s[42:43]
	v_add_co_u32_e32 v17, vcc, v17, v8
	v_cmp_eq_u16_sdwa s[40:41], v106, v6 src0_sel:BYTE_0 src1_sel:DWORD
	v_addc_co_u32_e32 v7, vcc, v7, v9, vcc
	v_cndmask_b32_e64 v17, 0, v17, s[40:41]
	v_cndmask_b32_e64 v7, 0, v7, s[40:41]
	v_add_co_u32_e32 v17, vcc, v17, v12
	v_cmp_eq_u16_sdwa s[38:39], v107, v6 src0_sel:BYTE_0 src1_sel:DWORD
	v_addc_co_u32_e32 v7, vcc, v7, v13, vcc
	;; [unrolled: 5-line block ×16, first 2 shown]
	v_cndmask_b32_e64 v17, 0, v17, s[8:9]
	v_add_co_u32_e32 v17, vcc, v17, v4
	v_cmp_eq_u16_sdwa s[6:7], v122, v6 src0_sel:BYTE_0 src1_sel:DWORD
	v_cndmask_b32_e64 v6, 0, v17, s[6:7]
	v_or_b32_e32 v17, v124, v119
	v_or_b32_e32 v17, v17, v118
	;; [unrolled: 1-line block ×12, first 2 shown]
	v_cndmask_b32_e64 v7, 0, v7, s[8:9]
	v_or_b32_e32 v17, v17, v107
	v_addc_co_u32_e32 v7, vcc, v7, v5, vcc
	v_or_b32_e32 v17, v17, v106
	v_cndmask_b32_e64 v7, 0, v7, s[6:7]
	v_add_co_u32_e32 v6, vcc, v6, v10
	v_or_b32_e32 v17, v17, v104
	v_addc_co_u32_e32 v7, vcc, v7, v11, vcc
	v_and_b32_e32 v17, 1, v17
	v_and_b32_e32 v16, 0xff, v1
	v_cmp_eq_u32_e32 vcc, 1, v17
	v_mbcnt_hi_u32_b32 v17, -1, v123
	v_cndmask_b32_e64 v16, v16, 1, vcc
	v_and_b32_e32 v22, 15, v17
	v_mov_b32_dpp v28, v6 row_shr:1 row_mask:0xf bank_mask:0xf
	v_mov_b32_dpp v29, v7 row_shr:1 row_mask:0xf bank_mask:0xf
	;; [unrolled: 1-line block ×3, first 2 shown]
	v_cmp_ne_u32_e32 vcc, 0, v22
	s_and_saveexec_b64 s[4:5], vcc
; %bb.67:
	v_cmp_eq_u32_e32 vcc, 0, v16
	v_cndmask_b32_e32 v28, 0, v28, vcc
	v_cndmask_b32_e32 v29, 0, v29, vcc
	v_add_co_u32_e32 v6, vcc, v28, v6
	v_addc_co_u32_e32 v7, vcc, v29, v7, vcc
	v_and_or_b32 v16, v23, 1, v16
; %bb.68:
	s_or_b64 exec, exec, s[4:5]
	v_mov_b32_dpp v28, v6 row_shr:2 row_mask:0xf bank_mask:0xf
	v_mov_b32_dpp v29, v7 row_shr:2 row_mask:0xf bank_mask:0xf
	v_mov_b32_dpp v23, v16 row_shr:2 row_mask:0xf bank_mask:0xf
	v_cmp_lt_u32_e32 vcc, 1, v22
	s_and_saveexec_b64 s[4:5], vcc
; %bb.69:
	v_cmp_eq_u32_e32 vcc, 0, v16
	v_cndmask_b32_e32 v28, 0, v28, vcc
	v_cndmask_b32_e32 v29, 0, v29, vcc
	v_add_co_u32_e32 v6, vcc, v28, v6
	v_or_b32_e32 v16, v23, v16
	v_addc_co_u32_e32 v7, vcc, v29, v7, vcc
	v_and_b32_e32 v16, 1, v16
; %bb.70:
	s_or_b64 exec, exec, s[4:5]
	v_mov_b32_dpp v28, v6 row_shr:4 row_mask:0xf bank_mask:0xf
	v_mov_b32_dpp v29, v7 row_shr:4 row_mask:0xf bank_mask:0xf
	v_mov_b32_dpp v23, v16 row_shr:4 row_mask:0xf bank_mask:0xf
	v_cmp_lt_u32_e32 vcc, 3, v22
	s_and_saveexec_b64 s[4:5], vcc
; %bb.71:
	v_cmp_eq_u32_e32 vcc, 0, v16
	v_cndmask_b32_e32 v28, 0, v28, vcc
	v_cndmask_b32_e32 v29, 0, v29, vcc
	v_add_co_u32_e32 v6, vcc, v28, v6
	v_or_b32_e32 v16, v23, v16
	v_addc_co_u32_e32 v7, vcc, v29, v7, vcc
	v_and_b32_e32 v16, 1, v16
	;; [unrolled: 15-line block ×3, first 2 shown]
; %bb.74:
	s_or_b64 exec, exec, s[4:5]
	v_and_b32_e32 v29, 16, v17
	v_mov_b32_dpp v23, v6 row_bcast:15 row_mask:0xf bank_mask:0xf
	v_mov_b32_dpp v28, v7 row_bcast:15 row_mask:0xf bank_mask:0xf
	v_mov_b32_dpp v22, v16 row_bcast:15 row_mask:0xf bank_mask:0xf
	v_cmp_ne_u32_e32 vcc, 0, v29
	s_and_saveexec_b64 s[4:5], vcc
; %bb.75:
	v_cmp_eq_u32_e32 vcc, 0, v16
	v_cndmask_b32_e32 v23, 0, v23, vcc
	v_cndmask_b32_e32 v28, 0, v28, vcc
	v_add_co_u32_e32 v6, vcc, v23, v6
	v_or_b32_e32 v16, v22, v16
	v_addc_co_u32_e32 v7, vcc, v28, v7, vcc
	v_and_b32_e32 v16, 1, v16
; %bb.76:
	s_or_b64 exec, exec, s[4:5]
	v_mov_b32_dpp v28, v6 row_bcast:31 row_mask:0xf bank_mask:0xf
	v_mov_b32_dpp v29, v7 row_bcast:31 row_mask:0xf bank_mask:0xf
	;; [unrolled: 1-line block ×3, first 2 shown]
	v_cmp_lt_u32_e32 vcc, 31, v17
	v_mov_b32_e32 v22, v16
	s_and_saveexec_b64 s[4:5], vcc
; %bb.77:
	v_cmp_eq_u32_e32 vcc, 0, v16
	v_cndmask_b32_e32 v28, 0, v28, vcc
	v_cndmask_b32_e32 v22, 0, v29, vcc
	v_add_co_u32_e32 v6, vcc, v28, v6
	v_or_b32_e32 v16, v23, v16
	v_addc_co_u32_e32 v7, vcc, v22, v7, vcc
	v_and_b32_e32 v22, 1, v16
	v_and_b32_e32 v16, 1, v16
; %bb.78:
	s_or_b64 exec, exec, s[4:5]
	v_cmp_eq_u32_e32 vcc, 63, v0
	s_and_saveexec_b64 s[4:5], vcc
	s_cbranch_execz .LBB707_80
; %bb.79:
	v_mov_b32_e32 v23, 0
	ds_write_b64 v23, v[6:7]
	ds_write_b8 v23, v22 offset:8
.LBB707_80:
	s_or_b64 exec, exec, s[4:5]
	v_add_u32_e32 v22, -1, v17
	v_and_b32_e32 v23, 64, v17
	v_cmp_lt_i32_e32 vcc, v22, v23
	v_cndmask_b32_e32 v22, v22, v17, vcc
	v_lshlrev_b32_e32 v22, 2, v22
	ds_bpermute_b32 v41, v22, v6
	ds_bpermute_b32 v46, v22, v7
	;; [unrolled: 1-line block ×3, first 2 shown]
	v_cmp_gt_u32_e32 vcc, 64, v0
	s_waitcnt lgkmcnt(0)
	; wave barrier
	s_waitcnt lgkmcnt(0)
	s_and_saveexec_b64 s[60:61], vcc
	s_cbranch_execz .LBB707_123
; %bb.81:
	v_mov_b32_e32 v23, 0
	ds_read_b64 v[6:7], v23
	ds_read_u8 v47, v23 offset:8
	s_mov_b32 s65, 0
	v_cmp_eq_u32_e64 s[44:45], 0, v17
	s_and_saveexec_b64 s[4:5], s[44:45]
	s_cbranch_execz .LBB707_83
; %bb.82:
	s_add_i32 s64, s55, 64
	s_lshl_b64 s[70:71], s[64:65], 4
	s_add_u32 s70, s48, s70
	s_addc_u32 s71, s49, s71
	v_mov_b32_e32 v16, s64
	v_mov_b32_e32 v22, 1
	s_waitcnt lgkmcnt(1)
	global_store_dwordx2 v23, v[6:7], s[70:71]
	s_waitcnt lgkmcnt(0)
	global_store_byte v23, v47, s[70:71] offset:8
	s_waitcnt vmcnt(0)
	buffer_wbinvl1_vol
	global_store_byte v16, v22, s[52:53]
.LBB707_83:
	s_or_b64 exec, exec, s[4:5]
	v_xad_u32 v16, v17, -1, s55
	v_add_u32_e32 v22, 64, v16
	global_load_ubyte v52, v22, s[52:53] glc
	s_waitcnt vmcnt(0)
	v_cmp_eq_u16_e32 vcc, 0, v52
	s_and_saveexec_b64 s[4:5], vcc
	s_cbranch_execz .LBB707_87
; %bb.84:
	v_mov_b32_e32 v29, s53
	v_add_co_u32_e32 v28, vcc, s52, v22
	v_addc_co_u32_e32 v29, vcc, 0, v29, vcc
	s_mov_b64 s[64:65], 0
.LBB707_85:                             ; =>This Inner Loop Header: Depth=1
	global_load_ubyte v52, v[28:29], off glc
	s_waitcnt vmcnt(0)
	v_cmp_ne_u16_e32 vcc, 0, v52
	s_or_b64 s[64:65], vcc, s[64:65]
	s_andn2_b64 exec, exec, s[64:65]
	s_cbranch_execnz .LBB707_85
; %bb.86:
	s_or_b64 exec, exec, s[64:65]
.LBB707_87:
	s_or_b64 exec, exec, s[4:5]
	v_mov_b32_e32 v28, s51
	v_mov_b32_e32 v29, s49
	v_cmp_eq_u16_e32 vcc, 1, v52
	v_cndmask_b32_e32 v28, v28, v29, vcc
	v_mov_b32_e32 v29, s50
	v_mov_b32_e32 v34, s48
	v_cndmask_b32_e32 v29, v29, v34, vcc
	v_lshlrev_b64 v[22:23], 4, v[22:23]
	v_add_co_u32_e32 v22, vcc, v29, v22
	v_addc_co_u32_e32 v23, vcc, v28, v23, vcc
	s_waitcnt lgkmcnt(0)
	buffer_wbinvl1_vol
	global_load_dwordx2 v[34:35], v[22:23], off
	global_load_ubyte v69, v[22:23], off offset:8
	v_cmp_eq_u16_e32 vcc, 2, v52
	v_lshlrev_b64 v[22:23], v17, -1
	v_and_b32_e32 v53, 63, v17
	v_and_b32_e32 v28, vcc_hi, v23
	v_and_b32_e32 v60, vcc_lo, v22
	v_cmp_ne_u32_e32 vcc, 63, v53
	v_addc_co_u32_e32 v29, vcc, 0, v17, vcc
	v_lshlrev_b32_e32 v56, 2, v29
	v_or_b32_e32 v28, 0x80000000, v28
	v_ffbl_b32_e32 v28, v28
	v_add_u32_e32 v28, 32, v28
	v_ffbl_b32_e32 v60, v60
	v_min_u32_e32 v28, v60, v28
	v_cmp_lt_u32_e32 vcc, v53, v28
	s_waitcnt vmcnt(1)
	ds_bpermute_b32 v58, v56, v34
	s_waitcnt vmcnt(0)
	v_and_b32_e32 v29, 1, v69
	ds_bpermute_b32 v59, v56, v35
	ds_bpermute_b32 v57, v56, v29
	s_and_saveexec_b64 s[4:5], vcc
	s_cbranch_execz .LBB707_89
; %bb.88:
	v_mov_b32_e32 v29, 0
	v_cmp_eq_u16_sdwa vcc, v69, v29 src0_sel:BYTE_0 src1_sel:DWORD
	s_waitcnt lgkmcnt(2)
	v_cndmask_b32_e32 v58, 0, v58, vcc
	s_waitcnt lgkmcnt(1)
	v_cndmask_b32_e32 v29, 0, v59, vcc
	v_add_co_u32_e32 v34, vcc, v58, v34
	v_addc_co_u32_e32 v35, vcc, v29, v35, vcc
	s_waitcnt lgkmcnt(0)
	v_and_b32_e32 v29, 1, v57
	v_or_b32_e32 v69, v29, v69
	v_and_b32_e32 v29, 0xff, v69
.LBB707_89:
	s_or_b64 exec, exec, s[4:5]
	v_cmp_gt_u32_e32 vcc, 62, v53
	s_waitcnt lgkmcnt(0)
	v_cndmask_b32_e64 v57, 0, 1, vcc
	v_lshlrev_b32_e32 v57, 1, v57
	v_add_lshl_u32 v57, v57, v17, 2
	ds_bpermute_b32 v60, v57, v34
	ds_bpermute_b32 v61, v57, v35
	ds_bpermute_b32 v59, v57, v29
	v_add_u32_e32 v58, 2, v53
	v_cmp_le_u32_e32 vcc, v58, v28
	s_and_saveexec_b64 s[64:65], vcc
	s_cbranch_execz .LBB707_91
; %bb.90:
	v_mov_b32_e32 v29, 0
	v_cmp_eq_u16_sdwa vcc, v69, v29 src0_sel:BYTE_0 src1_sel:DWORD
	s_waitcnt lgkmcnt(2)
	v_cndmask_b32_e32 v60, 0, v60, vcc
	s_waitcnt lgkmcnt(1)
	v_cndmask_b32_e32 v29, 0, v61, vcc
	v_add_co_u32_e32 v34, vcc, v60, v34
	v_addc_co_u32_e32 v35, vcc, v29, v35, vcc
	v_and_b32_e32 v29, 1, v69
	v_cmp_eq_u32_e32 vcc, 1, v29
	s_waitcnt lgkmcnt(0)
	v_and_b32_e32 v29, 1, v59
	v_cmp_eq_u32_e64 s[4:5], 1, v29
	s_or_b64 s[4:5], vcc, s[4:5]
	v_cndmask_b32_e64 v69, 0, 1, s[4:5]
	v_cndmask_b32_e64 v29, 0, 1, s[4:5]
.LBB707_91:
	s_or_b64 exec, exec, s[64:65]
	v_cmp_gt_u32_e32 vcc, 60, v53
	s_waitcnt lgkmcnt(0)
	v_cndmask_b32_e64 v59, 0, 1, vcc
	v_lshlrev_b32_e32 v59, 2, v59
	v_add_lshl_u32 v59, v59, v17, 2
	ds_bpermute_b32 v62, v59, v34
	ds_bpermute_b32 v63, v59, v35
	ds_bpermute_b32 v61, v59, v29
	v_add_u32_e32 v60, 4, v53
	v_cmp_le_u32_e32 vcc, v60, v28
	s_and_saveexec_b64 s[64:65], vcc
	s_cbranch_execz .LBB707_93
; %bb.92:
	v_mov_b32_e32 v29, 0
	v_cmp_eq_u16_sdwa vcc, v69, v29 src0_sel:BYTE_0 src1_sel:DWORD
	s_waitcnt lgkmcnt(2)
	v_cndmask_b32_e32 v62, 0, v62, vcc
	s_waitcnt lgkmcnt(1)
	v_cndmask_b32_e32 v29, 0, v63, vcc
	v_add_co_u32_e32 v34, vcc, v62, v34
	v_addc_co_u32_e32 v35, vcc, v29, v35, vcc
	v_and_b32_e32 v29, 1, v69
	v_cmp_eq_u32_e32 vcc, 1, v29
	s_waitcnt lgkmcnt(0)
	v_and_b32_e32 v29, 1, v61
	v_cmp_eq_u32_e64 s[4:5], 1, v29
	s_or_b64 s[4:5], vcc, s[4:5]
	v_cndmask_b32_e64 v69, 0, 1, s[4:5]
	v_cndmask_b32_e64 v29, 0, 1, s[4:5]
.LBB707_93:
	s_or_b64 exec, exec, s[64:65]
	v_cmp_gt_u32_e32 vcc, 56, v53
	s_waitcnt lgkmcnt(0)
	v_cndmask_b32_e64 v61, 0, 1, vcc
	v_lshlrev_b32_e32 v61, 3, v61
	v_add_lshl_u32 v61, v61, v17, 2
	ds_bpermute_b32 v64, v61, v34
	ds_bpermute_b32 v65, v61, v35
	ds_bpermute_b32 v63, v61, v29
	v_add_u32_e32 v62, 8, v53
	v_cmp_le_u32_e32 vcc, v62, v28
	s_and_saveexec_b64 s[64:65], vcc
	s_cbranch_execz .LBB707_95
; %bb.94:
	v_mov_b32_e32 v29, 0
	v_cmp_eq_u16_sdwa vcc, v69, v29 src0_sel:BYTE_0 src1_sel:DWORD
	s_waitcnt lgkmcnt(2)
	v_cndmask_b32_e32 v64, 0, v64, vcc
	s_waitcnt lgkmcnt(1)
	v_cndmask_b32_e32 v29, 0, v65, vcc
	v_add_co_u32_e32 v34, vcc, v64, v34
	v_addc_co_u32_e32 v35, vcc, v29, v35, vcc
	v_and_b32_e32 v29, 1, v69
	v_cmp_eq_u32_e32 vcc, 1, v29
	s_waitcnt lgkmcnt(0)
	v_and_b32_e32 v29, 1, v63
	v_cmp_eq_u32_e64 s[4:5], 1, v29
	s_or_b64 s[4:5], vcc, s[4:5]
	v_cndmask_b32_e64 v69, 0, 1, s[4:5]
	v_cndmask_b32_e64 v29, 0, 1, s[4:5]
.LBB707_95:
	s_or_b64 exec, exec, s[64:65]
	v_cmp_gt_u32_e32 vcc, 48, v53
	s_waitcnt lgkmcnt(0)
	v_cndmask_b32_e64 v63, 0, 1, vcc
	v_lshlrev_b32_e32 v63, 4, v63
	v_add_lshl_u32 v63, v63, v17, 2
	ds_bpermute_b32 v66, v63, v34
	ds_bpermute_b32 v67, v63, v35
	ds_bpermute_b32 v65, v63, v29
	v_add_u32_e32 v64, 16, v53
	v_cmp_le_u32_e32 vcc, v64, v28
	s_and_saveexec_b64 s[64:65], vcc
	s_cbranch_execz .LBB707_97
; %bb.96:
	v_mov_b32_e32 v29, 0
	v_cmp_eq_u16_sdwa vcc, v69, v29 src0_sel:BYTE_0 src1_sel:DWORD
	s_waitcnt lgkmcnt(2)
	v_cndmask_b32_e32 v66, 0, v66, vcc
	s_waitcnt lgkmcnt(1)
	v_cndmask_b32_e32 v29, 0, v67, vcc
	v_add_co_u32_e32 v34, vcc, v66, v34
	v_addc_co_u32_e32 v35, vcc, v29, v35, vcc
	v_and_b32_e32 v29, 1, v69
	v_cmp_eq_u32_e32 vcc, 1, v29
	s_waitcnt lgkmcnt(0)
	v_and_b32_e32 v29, 1, v65
	v_cmp_eq_u32_e64 s[4:5], 1, v29
	s_or_b64 s[4:5], vcc, s[4:5]
	v_cndmask_b32_e64 v69, 0, 1, s[4:5]
	v_cndmask_b32_e64 v29, 0, 1, s[4:5]
.LBB707_97:
	s_or_b64 exec, exec, s[64:65]
	v_cmp_gt_u32_e32 vcc, 32, v53
	s_waitcnt lgkmcnt(0)
	v_cndmask_b32_e64 v65, 0, 1, vcc
	v_lshlrev_b32_e32 v65, 5, v65
	v_add_lshl_u32 v66, v65, v17, 2
	ds_bpermute_b32 v65, v66, v34
	ds_bpermute_b32 v68, v66, v35
	ds_bpermute_b32 v17, v66, v29
	v_add_u32_e32 v67, 32, v53
	v_cmp_le_u32_e32 vcc, v67, v28
	s_and_saveexec_b64 s[64:65], vcc
	s_cbranch_execz .LBB707_99
; %bb.98:
	v_mov_b32_e32 v28, 0
	v_cmp_eq_u16_sdwa vcc, v69, v28 src0_sel:BYTE_0 src1_sel:DWORD
	s_waitcnt lgkmcnt(2)
	v_cndmask_b32_e32 v29, 0, v65, vcc
	s_waitcnt lgkmcnt(1)
	v_cndmask_b32_e32 v28, 0, v68, vcc
	v_add_co_u32_e32 v34, vcc, v29, v34
	v_addc_co_u32_e32 v35, vcc, v28, v35, vcc
	v_and_b32_e32 v28, 1, v69
	s_waitcnt lgkmcnt(0)
	v_and_b32_e32 v17, 1, v17
	v_cmp_eq_u32_e32 vcc, 1, v28
	v_cmp_eq_u32_e64 s[4:5], 1, v17
	s_or_b64 s[4:5], vcc, s[4:5]
	v_cndmask_b32_e64 v69, 0, 1, s[4:5]
.LBB707_99:
	s_or_b64 exec, exec, s[64:65]
	s_waitcnt lgkmcnt(0)
	v_mov_b32_e32 v17, 0
	v_mov_b32_e32 v68, 2
	s_branch .LBB707_101
.LBB707_100:                            ;   in Loop: Header=BB707_101 Depth=1
	s_or_b64 exec, exec, s[70:71]
	v_cmp_eq_u16_sdwa vcc, v65, v17 src0_sel:BYTE_0 src1_sel:DWORD
	v_cndmask_b32_e32 v34, 0, v34, vcc
	v_cndmask_b32_e32 v35, 0, v35, vcc
	v_add_co_u32_e32 v34, vcc, v34, v28
	v_addc_co_u32_e32 v35, vcc, v35, v29, vcc
	v_and_b32_e32 v69, 1, v65
	v_cmp_eq_u32_e32 vcc, 1, v69
	s_or_b64 s[4:5], vcc, s[64:65]
	v_subrev_u32_e32 v16, 64, v16
	v_cndmask_b32_e64 v69, 0, 1, s[4:5]
.LBB707_101:                            ; =>This Loop Header: Depth=1
                                        ;     Child Loop BB707_104 Depth 2
	v_cmp_ne_u16_sdwa s[4:5], v52, v68 src0_sel:BYTE_0 src1_sel:DWORD
	v_cndmask_b32_e64 v28, 0, 1, s[4:5]
	;;#ASMSTART
	;;#ASMEND
	v_cmp_ne_u32_e32 vcc, 0, v28
	v_mov_b32_e32 v65, v69
	s_cmp_lg_u64 vcc, exec
	v_pk_mov_b32 v[28:29], v[34:35], v[34:35] op_sel:[0,1]
	s_cbranch_scc1 .LBB707_118
; %bb.102:                              ;   in Loop: Header=BB707_101 Depth=1
	global_load_ubyte v52, v16, s[52:53] glc
	s_waitcnt vmcnt(0)
	v_cmp_eq_u16_e32 vcc, 0, v52
	s_and_saveexec_b64 s[4:5], vcc
	s_cbranch_execz .LBB707_106
; %bb.103:                              ;   in Loop: Header=BB707_101 Depth=1
	v_mov_b32_e32 v35, s53
	v_add_co_u32_e32 v34, vcc, s52, v16
	v_addc_co_u32_e32 v35, vcc, 0, v35, vcc
	s_mov_b64 s[64:65], 0
.LBB707_104:                            ;   Parent Loop BB707_101 Depth=1
                                        ; =>  This Inner Loop Header: Depth=2
	global_load_ubyte v52, v[34:35], off glc
	s_waitcnt vmcnt(0)
	v_cmp_ne_u16_e32 vcc, 0, v52
	s_or_b64 s[64:65], vcc, s[64:65]
	s_andn2_b64 exec, exec, s[64:65]
	s_cbranch_execnz .LBB707_104
; %bb.105:                              ;   in Loop: Header=BB707_101 Depth=1
	s_or_b64 exec, exec, s[64:65]
.LBB707_106:                            ;   in Loop: Header=BB707_101 Depth=1
	s_or_b64 exec, exec, s[4:5]
	v_mov_b32_e32 v34, s51
	v_mov_b32_e32 v35, s49
	v_cmp_eq_u16_e32 vcc, 1, v52
	v_cndmask_b32_e32 v69, v34, v35, vcc
	v_mov_b32_e32 v34, s50
	v_mov_b32_e32 v35, s48
	v_cndmask_b32_e32 v70, v34, v35, vcc
	v_lshlrev_b64 v[34:35], 4, v[16:17]
	v_add_co_u32_e32 v70, vcc, v70, v34
	s_waitcnt lgkmcnt(0)
	v_addc_co_u32_e32 v71, vcc, v69, v35, vcc
	buffer_wbinvl1_vol
	global_load_dwordx2 v[34:35], v[70:71], off
	global_load_ubyte v69, v[70:71], off offset:8
	v_cmp_eq_u16_e32 vcc, 2, v52
	v_and_b32_e32 v70, vcc_hi, v23
	v_or_b32_e32 v70, 0x80000000, v70
	v_and_b32_e32 v75, vcc_lo, v22
	v_ffbl_b32_e32 v70, v70
	v_add_u32_e32 v70, 32, v70
	v_ffbl_b32_e32 v75, v75
	v_min_u32_e32 v70, v75, v70
	v_cmp_lt_u32_e32 vcc, v53, v70
	s_waitcnt vmcnt(1)
	ds_bpermute_b32 v73, v56, v34
	s_waitcnt vmcnt(0)
	v_and_b32_e32 v71, 1, v69
	ds_bpermute_b32 v74, v56, v35
	ds_bpermute_b32 v72, v56, v71
	s_and_saveexec_b64 s[4:5], vcc
	s_cbranch_execz .LBB707_108
; %bb.107:                              ;   in Loop: Header=BB707_101 Depth=1
	v_cmp_eq_u16_sdwa vcc, v69, v17 src0_sel:BYTE_0 src1_sel:DWORD
	s_waitcnt lgkmcnt(2)
	v_cndmask_b32_e32 v73, 0, v73, vcc
	s_waitcnt lgkmcnt(1)
	v_cndmask_b32_e32 v71, 0, v74, vcc
	v_add_co_u32_e32 v34, vcc, v73, v34
	v_addc_co_u32_e32 v35, vcc, v71, v35, vcc
	s_waitcnt lgkmcnt(0)
	v_and_b32_e32 v71, 1, v72
	v_or_b32_e32 v69, v71, v69
	v_and_b32_e32 v71, 0xff, v69
.LBB707_108:                            ;   in Loop: Header=BB707_101 Depth=1
	s_or_b64 exec, exec, s[4:5]
	s_waitcnt lgkmcnt(2)
	ds_bpermute_b32 v73, v57, v34
	s_waitcnt lgkmcnt(2)
	ds_bpermute_b32 v74, v57, v35
	;; [unrolled: 2-line block ×3, first 2 shown]
	v_and_b32_e32 v75, 1, v69
	v_cmp_le_u32_e32 vcc, v58, v70
	v_cmp_eq_u32_e64 s[64:65], 1, v75
	s_and_saveexec_b64 s[4:5], vcc
	s_cbranch_execz .LBB707_110
; %bb.109:                              ;   in Loop: Header=BB707_101 Depth=1
	v_cmp_eq_u16_sdwa vcc, v69, v17 src0_sel:BYTE_0 src1_sel:DWORD
	s_waitcnt lgkmcnt(2)
	v_cndmask_b32_e32 v71, 0, v73, vcc
	s_waitcnt lgkmcnt(1)
	v_cndmask_b32_e32 v69, 0, v74, vcc
	v_add_co_u32_e32 v34, vcc, v71, v34
	v_addc_co_u32_e32 v35, vcc, v69, v35, vcc
	s_waitcnt lgkmcnt(0)
	v_and_b32_e32 v69, 1, v72
	v_cmp_eq_u32_e32 vcc, 1, v69
	s_or_b64 s[70:71], s[64:65], vcc
	v_cndmask_b32_e64 v69, 0, 1, s[70:71]
	v_cndmask_b32_e64 v71, 0, 1, s[70:71]
	s_andn2_b64 s[64:65], s[64:65], exec
	s_and_b64 s[70:71], s[70:71], exec
	s_or_b64 s[64:65], s[64:65], s[70:71]
.LBB707_110:                            ;   in Loop: Header=BB707_101 Depth=1
	s_or_b64 exec, exec, s[4:5]
	s_waitcnt lgkmcnt(2)
	ds_bpermute_b32 v73, v59, v34
	s_waitcnt lgkmcnt(2)
	ds_bpermute_b32 v74, v59, v35
	s_waitcnt lgkmcnt(2)
	ds_bpermute_b32 v72, v59, v71
	v_cmp_le_u32_e32 vcc, v60, v70
	s_and_saveexec_b64 s[70:71], vcc
	s_cbranch_execz .LBB707_112
; %bb.111:                              ;   in Loop: Header=BB707_101 Depth=1
	v_cmp_eq_u16_sdwa vcc, v69, v17 src0_sel:BYTE_0 src1_sel:DWORD
	s_waitcnt lgkmcnt(2)
	v_cndmask_b32_e32 v73, 0, v73, vcc
	s_waitcnt lgkmcnt(1)
	v_cndmask_b32_e32 v71, 0, v74, vcc
	v_add_co_u32_e32 v34, vcc, v73, v34
	v_addc_co_u32_e32 v35, vcc, v71, v35, vcc
	v_and_b32_e32 v69, 1, v69
	v_cmp_eq_u32_e32 vcc, 1, v69
	s_waitcnt lgkmcnt(0)
	v_and_b32_e32 v69, 1, v72
	v_cmp_eq_u32_e64 s[4:5], 1, v69
	s_or_b64 s[4:5], vcc, s[4:5]
	v_cndmask_b32_e64 v69, 0, 1, s[4:5]
	v_cndmask_b32_e64 v71, 0, 1, s[4:5]
	s_andn2_b64 s[64:65], s[64:65], exec
	s_and_b64 s[4:5], s[4:5], exec
	s_or_b64 s[64:65], s[64:65], s[4:5]
.LBB707_112:                            ;   in Loop: Header=BB707_101 Depth=1
	s_or_b64 exec, exec, s[70:71]
	s_waitcnt lgkmcnt(2)
	ds_bpermute_b32 v73, v61, v34
	s_waitcnt lgkmcnt(2)
	ds_bpermute_b32 v74, v61, v35
	s_waitcnt lgkmcnt(2)
	ds_bpermute_b32 v72, v61, v71
	v_cmp_le_u32_e32 vcc, v62, v70
	s_and_saveexec_b64 s[70:71], vcc
	s_cbranch_execz .LBB707_114
; %bb.113:                              ;   in Loop: Header=BB707_101 Depth=1
	v_cmp_eq_u16_sdwa vcc, v69, v17 src0_sel:BYTE_0 src1_sel:DWORD
	s_waitcnt lgkmcnt(2)
	v_cndmask_b32_e32 v73, 0, v73, vcc
	s_waitcnt lgkmcnt(1)
	v_cndmask_b32_e32 v71, 0, v74, vcc
	v_add_co_u32_e32 v34, vcc, v73, v34
	v_addc_co_u32_e32 v35, vcc, v71, v35, vcc
	v_and_b32_e32 v69, 1, v69
	v_cmp_eq_u32_e32 vcc, 1, v69
	s_waitcnt lgkmcnt(0)
	v_and_b32_e32 v69, 1, v72
	v_cmp_eq_u32_e64 s[4:5], 1, v69
	s_or_b64 s[4:5], vcc, s[4:5]
	v_cndmask_b32_e64 v69, 0, 1, s[4:5]
	v_cndmask_b32_e64 v71, 0, 1, s[4:5]
	s_andn2_b64 s[64:65], s[64:65], exec
	s_and_b64 s[4:5], s[4:5], exec
	s_or_b64 s[64:65], s[64:65], s[4:5]
.LBB707_114:                            ;   in Loop: Header=BB707_101 Depth=1
	;; [unrolled: 30-line block ×3, first 2 shown]
	s_or_b64 exec, exec, s[70:71]
	s_waitcnt lgkmcnt(0)
	ds_bpermute_b32 v72, v66, v34
	ds_bpermute_b32 v73, v66, v35
	;; [unrolled: 1-line block ×3, first 2 shown]
	v_cmp_le_u32_e32 vcc, v67, v70
	s_and_saveexec_b64 s[70:71], vcc
	s_cbranch_execz .LBB707_100
; %bb.117:                              ;   in Loop: Header=BB707_101 Depth=1
	v_cmp_eq_u16_sdwa vcc, v69, v17 src0_sel:BYTE_0 src1_sel:DWORD
	s_waitcnt lgkmcnt(2)
	v_cndmask_b32_e32 v72, 0, v72, vcc
	s_waitcnt lgkmcnt(1)
	v_cndmask_b32_e32 v70, 0, v73, vcc
	v_add_co_u32_e32 v34, vcc, v72, v34
	v_addc_co_u32_e32 v35, vcc, v70, v35, vcc
	v_and_b32_e32 v69, 1, v69
	v_cmp_eq_u32_e32 vcc, 1, v69
	s_waitcnt lgkmcnt(0)
	v_and_b32_e32 v69, 1, v71
	v_cmp_eq_u32_e64 s[4:5], 1, v69
	s_or_b64 s[4:5], vcc, s[4:5]
	s_andn2_b64 s[64:65], s[64:65], exec
	s_and_b64 s[4:5], s[4:5], exec
	s_or_b64 s[64:65], s[64:65], s[4:5]
	s_branch .LBB707_100
.LBB707_118:                            ;   in Loop: Header=BB707_101 Depth=1
                                        ; implicit-def: $vgpr69
                                        ; implicit-def: $vgpr34_vgpr35
                                        ; implicit-def: $vgpr52
	s_cbranch_execz .LBB707_101
; %bb.119:
	s_and_saveexec_b64 s[4:5], s[44:45]
	s_cbranch_execz .LBB707_121
; %bb.120:
	v_mov_b32_e32 v16, 0
	s_mov_b32 s45, 0
	v_cmp_eq_u16_sdwa vcc, v47, v16 src0_sel:BYTE_0 src1_sel:DWORD
	s_add_i32 s44, s55, 64
	v_cndmask_b32_e32 v22, 0, v28, vcc
	s_lshl_b64 s[48:49], s[44:45], 4
	v_cndmask_b32_e32 v17, 0, v29, vcc
	v_add_co_u32_e32 v6, vcc, v22, v6
	s_add_u32 s48, s50, s48
	v_addc_co_u32_e32 v7, vcc, v17, v7, vcc
	v_or_b32_e32 v17, v47, v65
	s_addc_u32 s49, s51, s49
	v_and_b32_e32 v17, 1, v17
	global_store_dwordx2 v16, v[6:7], s[48:49]
	global_store_byte v16, v17, s[48:49] offset:8
	v_mov_b32_e32 v6, s44
	v_mov_b32_e32 v7, 2
	s_waitcnt vmcnt(0) lgkmcnt(0)
	buffer_wbinvl1_vol
	global_store_byte v6, v7, s[52:53]
.LBB707_121:
	s_or_b64 exec, exec, s[4:5]
	s_and_b64 exec, exec, s[0:1]
	s_cbranch_execz .LBB707_123
; %bb.122:
	v_mov_b32_e32 v6, 0
	ds_write_b64 v6, v[28:29]
	ds_write_b8 v6, v65 offset:8
.LBB707_123:
	s_or_b64 exec, exec, s[60:61]
	v_mov_b32_e32 v16, 0
	v_cmp_eq_u16_sdwa vcc, v1, v16 src0_sel:BYTE_0 src1_sel:DWORD
	v_and_b32_e32 v23, 1, v1
	v_cndmask_b32_e32 v17, 0, v41, vcc
	v_cndmask_b32_e32 v22, 0, v46, vcc
	v_cmp_eq_u32_e32 vcc, 1, v23
	v_and_b32_e32 v23, 1, v40
	s_waitcnt lgkmcnt(0)
	; wave barrier
	s_waitcnt lgkmcnt(0)
	ds_read_b64 v[6:7], v16
	v_cmp_eq_u32_e64 s[4:5], 1, v23
	s_or_b64 s[4:5], vcc, s[4:5]
	v_cndmask_b32_e64 v17, v17, 0, s[0:1]
	v_cndmask_b32_e64 v23, 0, 1, s[4:5]
	v_cndmask_b32_e64 v22, v22, 0, s[0:1]
	v_add_co_u32_e32 v17, vcc, v17, v2
	v_cndmask_b32_e64 v23, v23, v1, s[0:1]
	v_addc_co_u32_e32 v22, vcc, v22, v3, vcc
	v_cmp_eq_u16_sdwa vcc, v23, v16 src0_sel:BYTE_0 src1_sel:DWORD
	s_waitcnt lgkmcnt(0)
	v_cndmask_b32_e32 v6, 0, v6, vcc
	v_cndmask_b32_e32 v7, 0, v7, vcc
	v_add_co_u32_e32 v86, vcc, v17, v6
	v_addc_co_u32_e32 v87, vcc, v22, v7, vcc
	v_cndmask_b32_e64 v7, 0, v86, s[42:43]
	v_cndmask_b32_e64 v6, 0, v87, s[42:43]
	v_add_co_u32_e32 v40, vcc, v7, v8
	v_addc_co_u32_e32 v41, vcc, v6, v9, vcc
	v_cndmask_b32_e64 v7, 0, v40, s[40:41]
	v_cndmask_b32_e64 v6, 0, v41, s[40:41]
	;; [unrolled: 4-line block ×18, first 2 shown]
	v_add_co_u32_e32 v102, vcc, v7, v10
	v_addc_co_u32_e32 v103, vcc, v6, v11, vcc
	s_branch .LBB707_203
.LBB707_124:
	s_or_b64 exec, exec, s[4:5]
                                        ; implicit-def: $vgpr4_vgpr5
	s_and_saveexec_b64 s[4:5], s[6:7]
	s_cbranch_execz .LBB707_45
.LBB707_125:
	v_mov_b32_e32 v5, s71
	v_add_co_u32_e32 v4, vcc, s70, v50
	v_addc_co_u32_e32 v5, vcc, 0, v5, vcc
	flat_load_dwordx2 v[4:5], v[4:5] offset:512
	s_or_b64 exec, exec, s[4:5]
                                        ; implicit-def: $vgpr6_vgpr7
	s_and_saveexec_b64 s[4:5], s[8:9]
	s_cbranch_execnz .LBB707_46
.LBB707_126:
	s_or_b64 exec, exec, s[4:5]
                                        ; implicit-def: $vgpr8_vgpr9
	s_and_saveexec_b64 s[4:5], s[10:11]
	s_cbranch_execz .LBB707_47
.LBB707_127:
	v_mov_b32_e32 v9, s71
	v_add_co_u32_e32 v8, vcc, s70, v50
	v_addc_co_u32_e32 v9, vcc, 0, v9, vcc
	flat_load_dwordx2 v[8:9], v[8:9] offset:1536
	s_or_b64 exec, exec, s[4:5]
                                        ; implicit-def: $vgpr10_vgpr11
	s_and_saveexec_b64 s[4:5], s[12:13]
	s_cbranch_execnz .LBB707_48
.LBB707_128:
	s_or_b64 exec, exec, s[4:5]
                                        ; implicit-def: $vgpr12_vgpr13
	s_and_saveexec_b64 s[4:5], s[14:15]
	s_cbranch_execz .LBB707_49
.LBB707_129:
	v_mov_b32_e32 v13, s71
	v_add_co_u32_e32 v12, vcc, s70, v50
	v_addc_co_u32_e32 v13, vcc, 0, v13, vcc
	flat_load_dwordx2 v[12:13], v[12:13] offset:2560
	s_or_b64 exec, exec, s[4:5]
                                        ; implicit-def: $vgpr14_vgpr15
	s_and_saveexec_b64 s[4:5], s[16:17]
	s_cbranch_execnz .LBB707_50
.LBB707_130:
	s_or_b64 exec, exec, s[4:5]
                                        ; implicit-def: $vgpr16_vgpr17
	s_and_saveexec_b64 s[4:5], s[18:19]
	s_cbranch_execz .LBB707_51
.LBB707_131:
	v_mov_b32_e32 v17, s71
	v_add_co_u32_e32 v16, vcc, s70, v50
	v_addc_co_u32_e32 v17, vcc, 0, v17, vcc
	flat_load_dwordx2 v[16:17], v[16:17] offset:3584
	s_or_b64 exec, exec, s[4:5]
                                        ; implicit-def: $vgpr18_vgpr19
	s_and_saveexec_b64 s[4:5], s[20:21]
	s_cbranch_execnz .LBB707_52
.LBB707_132:
	s_or_b64 exec, exec, s[4:5]
                                        ; implicit-def: $vgpr20_vgpr21
	s_and_saveexec_b64 s[4:5], s[22:23]
	s_cbranch_execz .LBB707_53
.LBB707_133:
	v_mov_b32_e32 v1, s71
	v_add_co_u32_e32 v20, vcc, s70, v40
	v_addc_co_u32_e32 v21, vcc, 0, v1, vcc
	flat_load_dwordx2 v[20:21], v[20:21]
	s_or_b64 exec, exec, s[4:5]
                                        ; implicit-def: $vgpr22_vgpr23
	s_and_saveexec_b64 s[4:5], s[24:25]
	s_cbranch_execnz .LBB707_54
.LBB707_134:
	s_or_b64 exec, exec, s[4:5]
                                        ; implicit-def: $vgpr24_vgpr25
	s_and_saveexec_b64 s[4:5], s[26:27]
	s_cbranch_execz .LBB707_55
.LBB707_135:
	v_mov_b32_e32 v1, s71
	v_add_co_u32_e32 v24, vcc, s70, v42
	v_addc_co_u32_e32 v25, vcc, 0, v1, vcc
	flat_load_dwordx2 v[24:25], v[24:25]
	s_or_b64 exec, exec, s[4:5]
                                        ; implicit-def: $vgpr26_vgpr27
	s_and_saveexec_b64 s[4:5], s[28:29]
	s_cbranch_execnz .LBB707_56
.LBB707_136:
	s_or_b64 exec, exec, s[4:5]
                                        ; implicit-def: $vgpr28_vgpr29
	s_and_saveexec_b64 s[4:5], s[30:31]
	s_cbranch_execz .LBB707_57
.LBB707_137:
	v_mov_b32_e32 v1, s71
	v_add_co_u32_e32 v28, vcc, s70, v44
	v_addc_co_u32_e32 v29, vcc, 0, v1, vcc
	flat_load_dwordx2 v[28:29], v[28:29]
	s_or_b64 exec, exec, s[4:5]
                                        ; implicit-def: $vgpr30_vgpr31
	s_and_saveexec_b64 s[4:5], s[34:35]
	s_cbranch_execnz .LBB707_58
.LBB707_138:
	s_or_b64 exec, exec, s[4:5]
                                        ; implicit-def: $vgpr32_vgpr33
	s_and_saveexec_b64 s[4:5], s[36:37]
	s_cbranch_execz .LBB707_59
.LBB707_139:
	v_mov_b32_e32 v1, s71
	v_add_co_u32_e32 v32, vcc, s70, v46
	v_addc_co_u32_e32 v33, vcc, 0, v1, vcc
	flat_load_dwordx2 v[32:33], v[32:33]
	s_or_b64 exec, exec, s[4:5]
                                        ; implicit-def: $vgpr34_vgpr35
	s_and_saveexec_b64 s[4:5], s[38:39]
	s_cbranch_execnz .LBB707_60
.LBB707_140:
	s_or_b64 exec, exec, s[4:5]
                                        ; implicit-def: $vgpr36_vgpr37
	s_and_saveexec_b64 s[4:5], s[40:41]
	s_cbranch_execz .LBB707_142
.LBB707_141:
	v_mov_b32_e32 v1, s71
	v_add_co_u32_e32 v36, vcc, s70, v48
	v_addc_co_u32_e32 v37, vcc, 0, v1, vcc
	flat_load_dwordx2 v[36:37], v[36:37]
.LBB707_142:
	s_or_b64 exec, exec, s[4:5]
	v_mul_u32_u24_e32 v95, 19, v0
                                        ; implicit-def: $vgpr38_vgpr39
	s_and_saveexec_b64 s[4:5], s[42:43]
	s_cbranch_execz .LBB707_144
; %bb.143:
	v_mov_b32_e32 v1, s71
	v_add_co_u32_e32 v38, vcc, s70, v49
	v_addc_co_u32_e32 v39, vcc, 0, v1, vcc
	flat_load_dwordx2 v[38:39], v[38:39]
.LBB707_144:
	s_or_b64 exec, exec, s[4:5]
	s_waitcnt vmcnt(0) lgkmcnt(0)
	ds_write2st64_b64 v50, v[2:3], v[4:5] offset1:1
	ds_write2st64_b64 v50, v[6:7], v[8:9] offset0:2 offset1:3
	ds_write2st64_b64 v50, v[10:11], v[12:13] offset0:4 offset1:5
	;; [unrolled: 1-line block ×8, first 2 shown]
	ds_write_b64 v50, v[38:39] offset:9216
	v_pk_mov_b32 v[4:5], 0, 0
	v_cmp_gt_u32_e32 vcc, s65, v95
	s_mov_b64 s[8:9], 0
	s_mov_b64 s[4:5], 0
	s_mov_b32 s64, 0
	v_mov_b32_e32 v105, 0
	v_mov_b32_e32 v120, 0
	v_pk_mov_b32 v[54:55], v[4:5], v[4:5] op_sel:[0,1]
	v_mov_b32_e32 v119, 0
	v_pk_mov_b32 v[50:51], v[4:5], v[4:5] op_sel:[0,1]
	;; [unrolled: 2-line block ×17, first 2 shown]
	s_waitcnt lgkmcnt(0)
	; wave barrier
	s_waitcnt lgkmcnt(0)
	s_and_saveexec_b64 s[6:7], vcc
	s_cbranch_execz .LBB707_180
; %bb.145:
	ds_read_b64 v[2:3], v94
	v_add_u32_e32 v4, 1, v95
	v_cmp_ne_u64_e32 vcc, 0, v[88:89]
	v_cndmask_b32_e64 v1, 0, 1, vcc
	v_cmp_gt_u32_e32 vcc, s65, v4
	v_pk_mov_b32 v[4:5], 0, 0
	s_mov_b64 s[10:11], 0
	v_mov_b32_e32 v105, 0
	v_mov_b32_e32 v120, 0
	v_pk_mov_b32 v[54:55], v[4:5], v[4:5] op_sel:[0,1]
	v_mov_b32_e32 v119, 0
	v_pk_mov_b32 v[50:51], v[4:5], v[4:5] op_sel:[0,1]
	;; [unrolled: 2-line block ×16, first 2 shown]
	s_and_saveexec_b64 s[8:9], vcc
	s_cbranch_execz .LBB707_179
; %bb.146:
	ds_read2_b64 v[8:11], v94 offset0:1 offset1:2
	v_add_u32_e32 v4, 2, v95
	v_cmp_ne_u64_e32 vcc, 0, v[90:91]
	v_cndmask_b32_e64 v104, 0, 1, vcc
	v_cmp_gt_u32_e32 vcc, s65, v4
	v_pk_mov_b32 v[4:5], 0, 0
	s_mov_b64 s[12:13], 0
	v_mov_b32_e32 v105, 0
	v_mov_b32_e32 v120, 0
	v_pk_mov_b32 v[54:55], v[4:5], v[4:5] op_sel:[0,1]
	v_mov_b32_e32 v119, 0
	v_pk_mov_b32 v[50:51], v[4:5], v[4:5] op_sel:[0,1]
	;; [unrolled: 2-line block ×15, first 2 shown]
	s_and_saveexec_b64 s[10:11], vcc
	s_cbranch_execz .LBB707_178
; %bb.147:
	v_add_u32_e32 v4, 3, v95
	v_cmp_ne_u64_e32 vcc, 0, v[84:85]
	v_cndmask_b32_e64 v106, 0, 1, vcc
	v_cmp_gt_u32_e32 vcc, s65, v4
	v_pk_mov_b32 v[4:5], 0, 0
	s_waitcnt lgkmcnt(0)
	v_mov_b32_e32 v12, v10
	v_mov_b32_e32 v13, v11
	s_mov_b64 s[14:15], 0
	v_mov_b32_e32 v105, 0
	v_mov_b32_e32 v120, 0
	v_pk_mov_b32 v[54:55], v[4:5], v[4:5] op_sel:[0,1]
	v_mov_b32_e32 v119, 0
	v_pk_mov_b32 v[50:51], v[4:5], v[4:5] op_sel:[0,1]
	;; [unrolled: 2-line block ×14, first 2 shown]
	s_and_saveexec_b64 s[12:13], vcc
	s_cbranch_execz .LBB707_177
; %bb.148:
	ds_read2_b64 v[14:17], v94 offset0:3 offset1:4
	v_add_u32_e32 v4, 4, v95
	v_cmp_ne_u64_e32 vcc, 0, v[86:87]
	v_cndmask_b32_e64 v107, 0, 1, vcc
	v_cmp_gt_u32_e32 vcc, s65, v4
	v_pk_mov_b32 v[4:5], 0, 0
	s_mov_b64 s[16:17], 0
	v_mov_b32_e32 v105, 0
	v_mov_b32_e32 v120, 0
	v_pk_mov_b32 v[54:55], v[4:5], v[4:5] op_sel:[0,1]
	v_mov_b32_e32 v119, 0
	v_pk_mov_b32 v[50:51], v[4:5], v[4:5] op_sel:[0,1]
	;; [unrolled: 2-line block ×13, first 2 shown]
	s_and_saveexec_b64 s[14:15], vcc
	s_cbranch_execz .LBB707_176
; %bb.149:
	v_add_u32_e32 v4, 5, v95
	v_cmp_ne_u64_e32 vcc, 0, v[80:81]
	v_cndmask_b32_e64 v108, 0, 1, vcc
	v_cmp_gt_u32_e32 vcc, s65, v4
	v_pk_mov_b32 v[4:5], 0, 0
	s_waitcnt lgkmcnt(0)
	v_mov_b32_e32 v18, v16
	v_mov_b32_e32 v19, v17
	s_mov_b64 s[18:19], 0
	v_mov_b32_e32 v105, 0
	v_mov_b32_e32 v120, 0
	v_pk_mov_b32 v[54:55], v[4:5], v[4:5] op_sel:[0,1]
	v_mov_b32_e32 v119, 0
	v_pk_mov_b32 v[50:51], v[4:5], v[4:5] op_sel:[0,1]
	;; [unrolled: 2-line block ×12, first 2 shown]
	s_and_saveexec_b64 s[16:17], vcc
	s_cbranch_execz .LBB707_175
; %bb.150:
	ds_read2_b64 v[20:23], v94 offset0:5 offset1:6
	v_add_u32_e32 v4, 6, v95
	v_cmp_ne_u64_e32 vcc, 0, v[82:83]
	v_cndmask_b32_e64 v109, 0, 1, vcc
	v_cmp_gt_u32_e32 vcc, s65, v4
	v_pk_mov_b32 v[4:5], 0, 0
	s_mov_b64 s[20:21], 0
	v_mov_b32_e32 v105, 0
	v_mov_b32_e32 v120, 0
	v_pk_mov_b32 v[54:55], v[4:5], v[4:5] op_sel:[0,1]
	v_mov_b32_e32 v119, 0
	v_pk_mov_b32 v[50:51], v[4:5], v[4:5] op_sel:[0,1]
	;; [unrolled: 2-line block ×11, first 2 shown]
	s_and_saveexec_b64 s[18:19], vcc
	s_cbranch_execz .LBB707_174
; %bb.151:
	v_add_u32_e32 v4, 7, v95
	v_cmp_ne_u64_e32 vcc, 0, v[76:77]
	v_cndmask_b32_e64 v110, 0, 1, vcc
	v_cmp_gt_u32_e32 vcc, s65, v4
	v_pk_mov_b32 v[4:5], 0, 0
	s_waitcnt lgkmcnt(0)
	v_mov_b32_e32 v24, v22
	v_mov_b32_e32 v25, v23
	s_mov_b64 s[22:23], 0
	v_mov_b32_e32 v105, 0
	v_mov_b32_e32 v120, 0
	v_pk_mov_b32 v[54:55], v[4:5], v[4:5] op_sel:[0,1]
	v_mov_b32_e32 v119, 0
	v_pk_mov_b32 v[50:51], v[4:5], v[4:5] op_sel:[0,1]
	v_mov_b32_e32 v118, 0
	v_pk_mov_b32 v[48:49], v[4:5], v[4:5] op_sel:[0,1]
	v_mov_b32_e32 v117, 0
	v_pk_mov_b32 v[44:45], v[4:5], v[4:5] op_sel:[0,1]
	v_mov_b32_e32 v116, 0
	v_pk_mov_b32 v[42:43], v[4:5], v[4:5] op_sel:[0,1]
	v_mov_b32_e32 v115, 0
	v_pk_mov_b32 v[38:39], v[4:5], v[4:5] op_sel:[0,1]
	v_mov_b32_e32 v114, 0
	v_pk_mov_b32 v[36:37], v[4:5], v[4:5] op_sel:[0,1]
	v_mov_b32_e32 v113, 0
	v_pk_mov_b32 v[32:33], v[4:5], v[4:5] op_sel:[0,1]
	v_mov_b32_e32 v112, 0
	v_pk_mov_b32 v[30:31], v[4:5], v[4:5] op_sel:[0,1]
	v_mov_b32_e32 v111, 0
	v_pk_mov_b32 v[26:27], v[4:5], v[4:5] op_sel:[0,1]
	s_and_saveexec_b64 s[20:21], vcc
	s_cbranch_execz .LBB707_173
; %bb.152:
	ds_read2_b64 v[26:29], v94 offset0:7 offset1:8
	v_add_u32_e32 v4, 8, v95
	v_cmp_ne_u64_e32 vcc, 0, v[78:79]
	v_cndmask_b32_e64 v111, 0, 1, vcc
	v_cmp_gt_u32_e32 vcc, s65, v4
	v_pk_mov_b32 v[4:5], 0, 0
	s_mov_b64 s[24:25], 0
	v_mov_b32_e32 v105, 0
	v_mov_b32_e32 v120, 0
	v_pk_mov_b32 v[54:55], v[4:5], v[4:5] op_sel:[0,1]
	v_mov_b32_e32 v119, 0
	v_pk_mov_b32 v[50:51], v[4:5], v[4:5] op_sel:[0,1]
	;; [unrolled: 2-line block ×9, first 2 shown]
	s_and_saveexec_b64 s[22:23], vcc
	s_cbranch_execz .LBB707_172
; %bb.153:
	v_add_u32_e32 v4, 9, v95
	v_cmp_ne_u64_e32 vcc, 0, v[72:73]
	v_cndmask_b32_e64 v112, 0, 1, vcc
	v_cmp_gt_u32_e32 vcc, s65, v4
	v_pk_mov_b32 v[4:5], 0, 0
	s_waitcnt lgkmcnt(0)
	v_mov_b32_e32 v30, v28
	v_mov_b32_e32 v31, v29
	s_mov_b64 s[26:27], 0
	v_mov_b32_e32 v105, 0
	v_mov_b32_e32 v120, 0
	v_pk_mov_b32 v[54:55], v[4:5], v[4:5] op_sel:[0,1]
	v_mov_b32_e32 v119, 0
	v_pk_mov_b32 v[50:51], v[4:5], v[4:5] op_sel:[0,1]
	;; [unrolled: 2-line block ×8, first 2 shown]
	s_and_saveexec_b64 s[24:25], vcc
	s_cbranch_execz .LBB707_171
; %bb.154:
	ds_read2_b64 v[32:35], v94 offset0:9 offset1:10
	v_add_u32_e32 v4, 10, v95
	v_cmp_ne_u64_e32 vcc, 0, v[74:75]
	v_cndmask_b32_e64 v113, 0, 1, vcc
	v_cmp_gt_u32_e32 vcc, s65, v4
	v_pk_mov_b32 v[4:5], 0, 0
	s_mov_b64 s[28:29], 0
	v_mov_b32_e32 v105, 0
	v_mov_b32_e32 v120, 0
	v_pk_mov_b32 v[54:55], v[4:5], v[4:5] op_sel:[0,1]
	v_mov_b32_e32 v119, 0
	v_pk_mov_b32 v[50:51], v[4:5], v[4:5] op_sel:[0,1]
	;; [unrolled: 2-line block ×7, first 2 shown]
	s_and_saveexec_b64 s[26:27], vcc
	s_cbranch_execz .LBB707_170
; %bb.155:
	v_add_u32_e32 v4, 11, v95
	v_cmp_ne_u64_e32 vcc, 0, v[68:69]
	v_cndmask_b32_e64 v114, 0, 1, vcc
	v_cmp_gt_u32_e32 vcc, s65, v4
	v_pk_mov_b32 v[4:5], 0, 0
	s_waitcnt lgkmcnt(0)
	v_mov_b32_e32 v36, v34
	v_mov_b32_e32 v37, v35
	s_mov_b64 s[30:31], 0
	v_mov_b32_e32 v105, 0
	v_mov_b32_e32 v120, 0
	v_pk_mov_b32 v[54:55], v[4:5], v[4:5] op_sel:[0,1]
	v_mov_b32_e32 v119, 0
	v_pk_mov_b32 v[50:51], v[4:5], v[4:5] op_sel:[0,1]
	;; [unrolled: 2-line block ×6, first 2 shown]
	s_and_saveexec_b64 s[28:29], vcc
	s_cbranch_execz .LBB707_169
; %bb.156:
	ds_read2_b64 v[38:41], v94 offset0:11 offset1:12
	v_add_u32_e32 v4, 12, v95
	v_cmp_ne_u64_e32 vcc, 0, v[70:71]
	v_cndmask_b32_e64 v115, 0, 1, vcc
	v_cmp_gt_u32_e32 vcc, s65, v4
	v_pk_mov_b32 v[4:5], 0, 0
	s_mov_b64 s[34:35], 0
	v_mov_b32_e32 v105, 0
	v_mov_b32_e32 v120, 0
	v_pk_mov_b32 v[54:55], v[4:5], v[4:5] op_sel:[0,1]
	v_mov_b32_e32 v119, 0
	v_pk_mov_b32 v[50:51], v[4:5], v[4:5] op_sel:[0,1]
	;; [unrolled: 2-line block ×5, first 2 shown]
	s_and_saveexec_b64 s[30:31], vcc
	s_cbranch_execz .LBB707_168
; %bb.157:
	v_add_u32_e32 v4, 13, v95
	v_cmp_ne_u64_e32 vcc, 0, v[64:65]
	v_cndmask_b32_e64 v116, 0, 1, vcc
	v_cmp_gt_u32_e32 vcc, s65, v4
	v_pk_mov_b32 v[4:5], 0, 0
	s_waitcnt lgkmcnt(0)
	v_mov_b32_e32 v42, v40
	v_mov_b32_e32 v43, v41
	s_mov_b64 s[36:37], 0
	v_mov_b32_e32 v105, 0
	v_mov_b32_e32 v120, 0
	v_pk_mov_b32 v[54:55], v[4:5], v[4:5] op_sel:[0,1]
	v_mov_b32_e32 v119, 0
	v_pk_mov_b32 v[50:51], v[4:5], v[4:5] op_sel:[0,1]
	;; [unrolled: 2-line block ×4, first 2 shown]
	s_and_saveexec_b64 s[34:35], vcc
	s_cbranch_execz .LBB707_167
; %bb.158:
	ds_read2_b64 v[44:47], v94 offset0:13 offset1:14
	v_add_u32_e32 v4, 14, v95
	v_cmp_ne_u64_e32 vcc, 0, v[66:67]
	v_cndmask_b32_e64 v117, 0, 1, vcc
	v_cmp_gt_u32_e32 vcc, s65, v4
	v_pk_mov_b32 v[4:5], 0, 0
	s_mov_b64 s[38:39], 0
	v_mov_b32_e32 v105, 0
	v_mov_b32_e32 v120, 0
	v_pk_mov_b32 v[54:55], v[4:5], v[4:5] op_sel:[0,1]
	v_mov_b32_e32 v119, 0
	v_pk_mov_b32 v[50:51], v[4:5], v[4:5] op_sel:[0,1]
	;; [unrolled: 2-line block ×3, first 2 shown]
	s_and_saveexec_b64 s[36:37], vcc
	s_cbranch_execz .LBB707_166
; %bb.159:
	v_add_u32_e32 v4, 15, v95
	v_cmp_ne_u64_e32 vcc, 0, v[60:61]
	v_cndmask_b32_e64 v118, 0, 1, vcc
	v_cmp_gt_u32_e32 vcc, s65, v4
	v_pk_mov_b32 v[4:5], 0, 0
	s_waitcnt lgkmcnt(0)
	v_mov_b32_e32 v48, v46
	v_mov_b32_e32 v49, v47
	s_mov_b64 s[40:41], 0
	v_mov_b32_e32 v105, 0
	v_mov_b32_e32 v120, 0
	v_pk_mov_b32 v[54:55], v[4:5], v[4:5] op_sel:[0,1]
	v_mov_b32_e32 v119, 0
	v_pk_mov_b32 v[50:51], v[4:5], v[4:5] op_sel:[0,1]
	s_and_saveexec_b64 s[38:39], vcc
	s_cbranch_execz .LBB707_165
; %bb.160:
	ds_read2_b64 v[50:53], v94 offset0:15 offset1:16
	v_add_u32_e32 v4, 16, v95
	v_cmp_ne_u64_e32 vcc, 0, v[62:63]
	v_cndmask_b32_e64 v119, 0, 1, vcc
	v_cmp_gt_u32_e32 vcc, s65, v4
	v_pk_mov_b32 v[4:5], 0, 0
	s_mov_b64 s[42:43], 0
	v_mov_b32_e32 v105, 0
	v_mov_b32_e32 v120, 0
	v_pk_mov_b32 v[54:55], v[4:5], v[4:5] op_sel:[0,1]
	s_and_saveexec_b64 s[40:41], vcc
	s_cbranch_execz .LBB707_164
; %bb.161:
	v_add_u32_e32 v4, 17, v95
	v_cmp_ne_u64_e32 vcc, 0, v[56:57]
	s_waitcnt lgkmcnt(0)
	v_mov_b32_e32 v54, v52
	v_mov_b32_e32 v55, v53
	v_cndmask_b32_e64 v120, 0, 1, vcc
	v_cmp_gt_u32_e32 vcc, s65, v4
	v_mov_b32_e32 v105, 0
	v_pk_mov_b32 v[4:5], 0, 0
	s_and_saveexec_b64 s[60:61], vcc
	s_xor_b64 s[60:61], exec, s[60:61]
	s_cbranch_execz .LBB707_163
; %bb.162:
	ds_read2_b64 v[4:7], v94 offset0:17 offset1:18
	v_add_u32_e32 v10, 18, v95
	v_cmp_ne_u64_e32 vcc, 0, v[58:59]
	v_cndmask_b32_e64 v105, 0, 1, vcc
	v_cmp_gt_u32_e32 vcc, s65, v10
	s_and_b64 s[42:43], vcc, exec
	s_waitcnt lgkmcnt(0)
	v_pk_mov_b32 v[56:57], v[4:5], v[4:5] op_sel:[0,1]
.LBB707_163:
	s_or_b64 exec, exec, s[60:61]
	s_and_b64 s[42:43], s[42:43], exec
.LBB707_164:
	s_or_b64 exec, exec, s[40:41]
	s_and_b64 s[40:41], s[42:43], exec
.LBB707_165:
	s_or_b64 exec, exec, s[38:39]
	s_and_b64 s[38:39], s[40:41], exec
.LBB707_166:
	s_or_b64 exec, exec, s[36:37]
	s_and_b64 s[36:37], s[38:39], exec
.LBB707_167:
	s_or_b64 exec, exec, s[34:35]
	s_and_b64 s[34:35], s[36:37], exec
.LBB707_168:
	s_or_b64 exec, exec, s[30:31]
	s_and_b64 s[30:31], s[34:35], exec
.LBB707_169:
	s_or_b64 exec, exec, s[28:29]
	s_and_b64 s[28:29], s[30:31], exec
.LBB707_170:
	s_or_b64 exec, exec, s[26:27]
	s_and_b64 s[26:27], s[28:29], exec
.LBB707_171:
	s_or_b64 exec, exec, s[24:25]
	s_and_b64 s[24:25], s[26:27], exec
.LBB707_172:
	s_or_b64 exec, exec, s[22:23]
	s_and_b64 s[22:23], s[24:25], exec
.LBB707_173:
	s_or_b64 exec, exec, s[20:21]
	s_and_b64 s[20:21], s[22:23], exec
.LBB707_174:
	s_or_b64 exec, exec, s[18:19]
	s_and_b64 s[18:19], s[20:21], exec
.LBB707_175:
	s_or_b64 exec, exec, s[16:17]
	s_and_b64 s[16:17], s[18:19], exec
.LBB707_176:
	s_or_b64 exec, exec, s[14:15]
	s_and_b64 s[14:15], s[16:17], exec
.LBB707_177:
	s_or_b64 exec, exec, s[12:13]
	s_and_b64 s[12:13], s[14:15], exec
.LBB707_178:
	s_or_b64 exec, exec, s[10:11]
	s_and_b64 s[10:11], s[12:13], exec
.LBB707_179:
	s_or_b64 exec, exec, s[8:9]
	s_and_b64 s[8:9], s[10:11], exec
.LBB707_180:
	s_or_b64 exec, exec, s[6:7]
	s_mov_b64 s[6:7], 0
	s_and_b64 vcc, exec, s[4:5]
	v_lshlrev_b32_e32 v121, 3, v0
	s_cbranch_vccnz .LBB707_62
	s_branch .LBB707_63
.LBB707_181:
                                        ; implicit-def: $vgpr84_vgpr85_vgpr86_vgpr87
                                        ; implicit-def: $vgpr102_vgpr103
                                        ; implicit-def: $vgpr100_vgpr101
                                        ; implicit-def: $vgpr98_vgpr99
                                        ; implicit-def: $vgpr96_vgpr97
                                        ; implicit-def: $vgpr94_vgpr95
                                        ; implicit-def: $vgpr92_vgpr93
                                        ; implicit-def: $vgpr90_vgpr91
                                        ; implicit-def: $vgpr52_vgpr53
                                        ; implicit-def: $vgpr46_vgpr47
                                        ; implicit-def: $vgpr40_vgpr41
                                        ; implicit-def: $vgpr80_vgpr81_vgpr82_vgpr83
                                        ; implicit-def: $vgpr76_vgpr77_vgpr78_vgpr79
                                        ; implicit-def: $vgpr72_vgpr73_vgpr74_vgpr75
                                        ; implicit-def: $vgpr68_vgpr69_vgpr70_vgpr71
                                        ; implicit-def: $vgpr64_vgpr65_vgpr66_vgpr67
                                        ; implicit-def: $vgpr60_vgpr61_vgpr62_vgpr63
                                        ; implicit-def: $vgpr56_vgpr57_vgpr58_vgpr59
                                        ; implicit-def: $vgpr86_vgpr87_vgpr88_vgpr89
	s_cbranch_execz .LBB707_203
; %bb.182:
	s_cmp_lg_u64 s[68:69], 0
	s_cselect_b32 s7, s67, 0
	s_cselect_b32 s6, s66, 0
	s_cmp_lg_u64 s[6:7], 0
	s_cselect_b64 s[4:5], -1, 0
	s_and_b64 s[8:9], s[0:1], s[4:5]
	s_and_saveexec_b64 s[4:5], s[8:9]
	s_cbranch_execz .LBB707_184
; %bb.183:
	v_mov_b32_e32 v16, 0
	global_load_dwordx2 v[6:7], v16, s[6:7]
	global_load_ubyte v17, v16, s[6:7] offset:8
	v_cmp_eq_u16_sdwa vcc, v1, v16 src0_sel:BYTE_0 src1_sel:DWORD
	s_waitcnt vmcnt(1)
	v_cndmask_b32_e32 v6, 0, v6, vcc
	v_cndmask_b32_e32 v7, 0, v7, vcc
	s_waitcnt vmcnt(0)
	v_or_b32_e32 v1, v1, v17
	v_add_co_u32_e32 v2, vcc, v6, v2
	v_addc_co_u32_e32 v3, vcc, v7, v3, vcc
	v_and_b32_e32 v1, 1, v1
.LBB707_184:
	s_or_b64 exec, exec, s[4:5]
	v_mov_b32_e32 v7, 0
	v_cmp_eq_u16_sdwa vcc, v104, v7 src0_sel:BYTE_0 src1_sel:DWORD
	v_cndmask_b32_e32 v17, 0, v2, vcc
	v_cndmask_b32_e32 v16, 0, v3, vcc
	v_add_co_u32_e64 v40, s[4:5], v17, v8
	v_cmp_eq_u16_sdwa s[6:7], v106, v7 src0_sel:BYTE_0 src1_sel:DWORD
	v_addc_co_u32_e64 v41, s[4:5], v16, v9, s[4:5]
	v_cndmask_b32_e64 v17, 0, v40, s[6:7]
	v_cndmask_b32_e64 v16, 0, v41, s[6:7]
	v_add_co_u32_e64 v56, s[4:5], v17, v12
	v_cmp_eq_u16_sdwa s[8:9], v107, v7 src0_sel:BYTE_0 src1_sel:DWORD
	v_addc_co_u32_e64 v57, s[4:5], v16, v13, s[4:5]
	v_cndmask_b32_e64 v17, 0, v56, s[8:9]
	v_cndmask_b32_e64 v16, 0, v57, s[8:9]
	;; [unrolled: 5-line block ×17, first 2 shown]
	v_add_co_u32_e64 v102, s[4:5], v16, v10
	v_addc_co_u32_e64 v103, s[4:5], v7, v11, s[4:5]
	v_or_b32_e32 v7, v124, v119
	v_or_b32_e32 v7, v7, v118
	;; [unrolled: 1-line block ×15, first 2 shown]
	v_and_b32_e32 v7, 1, v7
	v_and_b32_e32 v6, 0xff, v1
	v_cmp_eq_u32_e64 s[4:5], 1, v7
	v_mbcnt_hi_u32_b32 v22, -1, v123
	v_cndmask_b32_e64 v23, v6, 1, s[4:5]
	v_and_b32_e32 v28, 15, v22
	v_mov_b32_dpp v34, v102 row_shr:1 row_mask:0xf bank_mask:0xf
	v_mov_b32_dpp v35, v103 row_shr:1 row_mask:0xf bank_mask:0xf
	;; [unrolled: 1-line block ×3, first 2 shown]
	v_cmp_ne_u32_e64 s[4:5], 0, v28
	v_pk_mov_b32 v[6:7], v[102:103], v[102:103] op_sel:[0,1]
	v_mov_b32_e32 v17, v103
	v_mov_b32_e32 v16, v102
	s_and_saveexec_b64 s[42:43], s[4:5]
; %bb.185:
	v_cmp_eq_u32_e64 s[4:5], 0, v23
	v_cndmask_b32_e64 v6, 0, v34, s[4:5]
	v_cndmask_b32_e64 v7, 0, v35, s[4:5]
	v_add_co_u32_e64 v6, s[4:5], v102, v6
	v_addc_co_u32_e64 v7, s[4:5], v103, v7, s[4:5]
	v_and_or_b32 v23, v29, 1, v23
	v_mov_b32_e32 v17, v7
	v_mov_b32_e32 v16, v6
; %bb.186:
	s_or_b64 exec, exec, s[42:43]
	s_nop 0
	v_mov_b32_dpp v34, v16 row_shr:2 row_mask:0xf bank_mask:0xf
	v_mov_b32_dpp v35, v17 row_shr:2 row_mask:0xf bank_mask:0xf
	v_mov_b32_dpp v29, v23 row_shr:2 row_mask:0xf bank_mask:0xf
	v_cmp_lt_u32_e64 s[4:5], 1, v28
	s_and_saveexec_b64 s[42:43], s[4:5]
; %bb.187:
	v_cmp_eq_u32_e64 s[4:5], 0, v23
	v_cndmask_b32_e64 v16, 0, v34, s[4:5]
	v_cndmask_b32_e64 v17, 0, v35, s[4:5]
	v_add_co_u32_e64 v16, s[4:5], v16, v6
	v_addc_co_u32_e64 v17, s[4:5], v17, v7, s[4:5]
	v_or_b32_e32 v6, v29, v23
	v_and_b32_e32 v23, 1, v6
	v_pk_mov_b32 v[6:7], v[16:17], v[16:17] op_sel:[0,1]
; %bb.188:
	s_or_b64 exec, exec, s[42:43]
	v_mov_b32_dpp v34, v16 row_shr:4 row_mask:0xf bank_mask:0xf
	v_mov_b32_dpp v35, v17 row_shr:4 row_mask:0xf bank_mask:0xf
	v_mov_b32_dpp v29, v23 row_shr:4 row_mask:0xf bank_mask:0xf
	v_cmp_lt_u32_e64 s[4:5], 3, v28
	s_and_saveexec_b64 s[42:43], s[4:5]
; %bb.189:
	v_cmp_eq_u32_e64 s[4:5], 0, v23
	v_cndmask_b32_e64 v16, 0, v34, s[4:5]
	v_cndmask_b32_e64 v17, 0, v35, s[4:5]
	v_add_co_u32_e64 v16, s[4:5], v16, v6
	v_addc_co_u32_e64 v17, s[4:5], v17, v7, s[4:5]
	v_or_b32_e32 v6, v29, v23
	v_and_b32_e32 v23, 1, v6
	v_pk_mov_b32 v[6:7], v[16:17], v[16:17] op_sel:[0,1]
; %bb.190:
	s_or_b64 exec, exec, s[42:43]
	;; [unrolled: 16-line block ×3, first 2 shown]
	v_and_b32_e32 v35, 16, v22
	v_mov_b32_dpp v29, v16 row_bcast:15 row_mask:0xf bank_mask:0xf
	v_mov_b32_dpp v34, v17 row_bcast:15 row_mask:0xf bank_mask:0xf
	;; [unrolled: 1-line block ×3, first 2 shown]
	v_cmp_ne_u32_e64 s[4:5], 0, v35
	s_and_saveexec_b64 s[42:43], s[4:5]
; %bb.193:
	v_cmp_eq_u32_e64 s[4:5], 0, v23
	v_cndmask_b32_e64 v17, 0, v29, s[4:5]
	v_cndmask_b32_e64 v16, 0, v34, s[4:5]
	v_add_co_u32_e64 v6, s[4:5], v17, v6
	v_addc_co_u32_e64 v7, s[4:5], v16, v7, s[4:5]
	v_or_b32_e32 v16, v28, v23
	v_and_b32_e32 v23, 1, v16
	v_mov_b32_e32 v17, v7
	v_mov_b32_e32 v16, v6
; %bb.194:
	s_or_b64 exec, exec, s[42:43]
	s_nop 0
	v_mov_b32_dpp v28, v16 row_bcast:31 row_mask:0xf bank_mask:0xf
	v_mov_b32_dpp v17, v17 row_bcast:31 row_mask:0xf bank_mask:0xf
	v_mov_b32_dpp v16, v23 row_bcast:31 row_mask:0xf bank_mask:0xf
	v_cmp_lt_u32_e64 s[4:5], 31, v22
	s_and_saveexec_b64 s[42:43], s[4:5]
; %bb.195:
	v_cmp_eq_u32_e64 s[4:5], 0, v23
	v_cndmask_b32_e64 v28, 0, v28, s[4:5]
	v_cndmask_b32_e64 v17, 0, v17, s[4:5]
	v_add_co_u32_e64 v6, s[4:5], v28, v6
	v_or_b32_e32 v16, v16, v23
	v_addc_co_u32_e64 v7, s[4:5], v17, v7, s[4:5]
	v_and_b32_e32 v23, 1, v16
; %bb.196:
	s_or_b64 exec, exec, s[42:43]
	v_cmp_eq_u32_e64 s[4:5], 63, v0
	s_and_saveexec_b64 s[42:43], s[4:5]
	s_cbranch_execz .LBB707_198
; %bb.197:
	v_mov_b32_e32 v16, 0
	ds_write_b64 v16, v[6:7]
	ds_write_b8 v16, v23 offset:8
.LBB707_198:
	s_or_b64 exec, exec, s[42:43]
	v_add_u32_e32 v16, -1, v22
	v_and_b32_e32 v17, 64, v22
	v_cmp_lt_i32_e64 s[4:5], v16, v17
	v_cndmask_b32_e64 v16, v16, v22, s[4:5]
	v_lshlrev_b32_e32 v16, 2, v16
	ds_bpermute_b32 v6, v16, v6
	ds_bpermute_b32 v7, v16, v7
	s_waitcnt lgkmcnt(0)
	; wave barrier
	s_waitcnt lgkmcnt(0)
	s_and_saveexec_b64 s[42:43], s[46:47]
	s_cbranch_execz .LBB707_200
; %bb.199:
	v_mov_b32_e32 v16, 0
	v_cmp_eq_u16_sdwa s[4:5], v1, v16 src0_sel:BYTE_0 src1_sel:DWORD
	v_cndmask_b32_e64 v6, 0, v6, s[4:5]
	v_cndmask_b32_e64 v1, 0, v7, s[4:5]
	v_add_co_u32_e64 v2, s[4:5], v6, v2
	v_addc_co_u32_e64 v3, s[4:5], v1, v3, s[4:5]
	v_cndmask_b32_e32 v6, 0, v2, vcc
	v_cndmask_b32_e32 v1, 0, v3, vcc
	v_add_co_u32_e32 v40, vcc, v6, v8
	v_addc_co_u32_e32 v41, vcc, v1, v9, vcc
	v_cndmask_b32_e64 v6, 0, v40, s[6:7]
	v_cndmask_b32_e64 v1, 0, v41, s[6:7]
	v_add_co_u32_e32 v56, vcc, v6, v12
	v_addc_co_u32_e32 v57, vcc, v1, v13, vcc
	v_cndmask_b32_e64 v6, 0, v56, s[8:9]
	v_cndmask_b32_e64 v1, 0, v57, s[8:9]
	;; [unrolled: 4-line block ×17, first 2 shown]
	v_add_co_u32_e32 v102, vcc, v4, v10
	v_addc_co_u32_e32 v103, vcc, v1, v11, vcc
	;;#ASMSTART
	;;#ASMEND
.LBB707_200:
	s_or_b64 exec, exec, s[42:43]
	s_and_saveexec_b64 s[4:5], s[0:1]
	s_cbranch_execz .LBB707_202
; %bb.201:
	v_mov_b32_e32 v1, 0
	ds_read_b64 v[4:5], v1
	ds_read_u8 v6, v1 offset:8
	v_mov_b32_e32 v7, 2
	s_waitcnt lgkmcnt(1)
	global_store_dwordx2 v1, v[4:5], s[50:51] offset:1024
	s_waitcnt lgkmcnt(0)
	global_store_byte v1, v6, s[50:51] offset:1032
	s_waitcnt vmcnt(0)
	buffer_wbinvl1_vol
	global_store_byte v1, v7, s[52:53] offset:64
.LBB707_202:
	s_or_b64 exec, exec, s[4:5]
	v_pk_mov_b32 v[86:87], v[2:3], v[2:3] op_sel:[0,1]
.LBB707_203:
	s_add_u32 s0, s62, s58
	s_addc_u32 s1, s63, s59
	s_add_u32 s4, s0, s56
	s_addc_u32 s5, s1, s57
	s_and_b64 vcc, exec, s[2:3]
	s_cbranch_vccz .LBB707_241
; %bb.204:
	s_movk_i32 s0, 0x98
	v_mul_i32_i24_e32 v43, 0xffffff70, v0
	v_mul_u32_u24_e32 v42, 0x98, v0
	v_mad_u32_u24 v2, v0, s0, v43
	s_waitcnt lgkmcnt(0)
	; wave barrier
	ds_write2_b64 v42, v[86:87], v[40:41] offset1:1
	ds_write2_b64 v42, v[56:57], v[46:47] offset0:2 offset1:3
	ds_write2_b64 v42, v[60:61], v[52:53] offset0:4 offset1:5
	;; [unrolled: 1-line block ×8, first 2 shown]
	ds_write_b64 v42, v[102:103] offset:144
	s_waitcnt lgkmcnt(0)
	; wave barrier
	s_waitcnt lgkmcnt(0)
	ds_read2st64_b64 v[34:37], v2 offset0:1 offset1:2
	ds_read2st64_b64 v[30:33], v2 offset0:3 offset1:4
	;; [unrolled: 1-line block ×9, first 2 shown]
	v_mov_b32_e32 v39, s5
	v_add_co_u32_e32 v38, vcc, s4, v121
	s_add_i32 s33, s33, s54
	v_addc_co_u32_e32 v39, vcc, 0, v39, vcc
	v_mov_b32_e32 v1, 0
	v_cmp_gt_u32_e32 vcc, s33, v0
	s_and_saveexec_b64 s[0:1], vcc
	s_cbranch_execz .LBB707_206
; %bb.205:
	v_add_u32_e32 v42, v42, v43
	ds_read_b64 v[42:43], v42
	s_waitcnt lgkmcnt(0)
	flat_store_dwordx2 v[38:39], v[42:43]
.LBB707_206:
	s_or_b64 exec, exec, s[0:1]
	v_or_b32_e32 v42, 64, v0
	v_cmp_gt_u32_e32 vcc, s33, v42
	s_and_saveexec_b64 s[0:1], vcc
	s_cbranch_execz .LBB707_208
; %bb.207:
	s_waitcnt lgkmcnt(0)
	flat_store_dwordx2 v[38:39], v[34:35] offset:512
.LBB707_208:
	s_or_b64 exec, exec, s[0:1]
	s_waitcnt lgkmcnt(0)
	v_or_b32_e32 v34, 0x80, v0
	v_cmp_gt_u32_e32 vcc, s33, v34
	s_and_saveexec_b64 s[0:1], vcc
	s_cbranch_execz .LBB707_210
; %bb.209:
	flat_store_dwordx2 v[38:39], v[36:37] offset:1024
.LBB707_210:
	s_or_b64 exec, exec, s[0:1]
	v_or_b32_e32 v34, 0xc0, v0
	v_cmp_gt_u32_e32 vcc, s33, v34
	s_and_saveexec_b64 s[0:1], vcc
	s_cbranch_execz .LBB707_212
; %bb.211:
	flat_store_dwordx2 v[38:39], v[30:31] offset:1536
.LBB707_212:
	s_or_b64 exec, exec, s[0:1]
	;; [unrolled: 8-line block ×6, first 2 shown]
	v_or_b32_e32 v22, 0x200, v0
	v_cmp_gt_u32_e32 vcc, s33, v22
	s_and_saveexec_b64 s[0:1], vcc
	s_cbranch_execz .LBB707_222
; %bb.221:
	v_add_co_u32_e32 v22, vcc, 0x1000, v38
	v_addc_co_u32_e32 v23, vcc, 0, v39, vcc
	flat_store_dwordx2 v[22:23], v[24:25]
.LBB707_222:
	s_or_b64 exec, exec, s[0:1]
	v_or_b32_e32 v22, 0x240, v0
	v_cmp_gt_u32_e32 vcc, s33, v22
	s_and_saveexec_b64 s[0:1], vcc
	s_cbranch_execz .LBB707_224
; %bb.223:
	v_add_co_u32_e32 v22, vcc, 0x1000, v38
	v_addc_co_u32_e32 v23, vcc, 0, v39, vcc
	flat_store_dwordx2 v[22:23], v[18:19] offset:512
.LBB707_224:
	s_or_b64 exec, exec, s[0:1]
	v_or_b32_e32 v18, 0x280, v0
	v_cmp_gt_u32_e32 vcc, s33, v18
	s_and_saveexec_b64 s[0:1], vcc
	s_cbranch_execz .LBB707_226
; %bb.225:
	v_add_co_u32_e32 v18, vcc, 0x1000, v38
	v_addc_co_u32_e32 v19, vcc, 0, v39, vcc
	flat_store_dwordx2 v[18:19], v[20:21] offset:1024
.LBB707_226:
	s_or_b64 exec, exec, s[0:1]
	v_or_b32_e32 v18, 0x2c0, v0
	v_cmp_gt_u32_e32 vcc, s33, v18
	s_and_saveexec_b64 s[0:1], vcc
	s_cbranch_execz .LBB707_228
; %bb.227:
	v_add_co_u32_e32 v18, vcc, 0x1000, v38
	v_addc_co_u32_e32 v19, vcc, 0, v39, vcc
	flat_store_dwordx2 v[18:19], v[14:15] offset:1536
.LBB707_228:
	s_or_b64 exec, exec, s[0:1]
	v_or_b32_e32 v14, 0x300, v0
	v_cmp_gt_u32_e32 vcc, s33, v14
	s_and_saveexec_b64 s[0:1], vcc
	s_cbranch_execz .LBB707_230
; %bb.229:
	v_add_co_u32_e32 v14, vcc, 0x1000, v38
	v_addc_co_u32_e32 v15, vcc, 0, v39, vcc
	flat_store_dwordx2 v[14:15], v[16:17] offset:2048
.LBB707_230:
	s_or_b64 exec, exec, s[0:1]
	v_or_b32_e32 v14, 0x340, v0
	v_cmp_gt_u32_e32 vcc, s33, v14
	s_and_saveexec_b64 s[0:1], vcc
	s_cbranch_execz .LBB707_232
; %bb.231:
	v_add_co_u32_e32 v14, vcc, 0x1000, v38
	v_addc_co_u32_e32 v15, vcc, 0, v39, vcc
	flat_store_dwordx2 v[14:15], v[10:11] offset:2560
.LBB707_232:
	s_or_b64 exec, exec, s[0:1]
	v_or_b32_e32 v10, 0x380, v0
	v_cmp_gt_u32_e32 vcc, s33, v10
	s_and_saveexec_b64 s[0:1], vcc
	s_cbranch_execz .LBB707_234
; %bb.233:
	v_add_co_u32_e32 v10, vcc, 0x1000, v38
	v_addc_co_u32_e32 v11, vcc, 0, v39, vcc
	flat_store_dwordx2 v[10:11], v[12:13] offset:3072
.LBB707_234:
	s_or_b64 exec, exec, s[0:1]
	v_or_b32_e32 v10, 0x3c0, v0
	v_cmp_gt_u32_e32 vcc, s33, v10
	s_and_saveexec_b64 s[0:1], vcc
	s_cbranch_execz .LBB707_236
; %bb.235:
	v_add_co_u32_e32 v10, vcc, 0x1000, v38
	v_addc_co_u32_e32 v11, vcc, 0, v39, vcc
	flat_store_dwordx2 v[10:11], v[6:7] offset:3584
.LBB707_236:
	s_or_b64 exec, exec, s[0:1]
	v_or_b32_e32 v6, 0x400, v0
	v_cmp_gt_u32_e32 vcc, s33, v6
	s_and_saveexec_b64 s[0:1], vcc
	s_cbranch_execz .LBB707_238
; %bb.237:
	v_add_co_u32_e32 v6, vcc, 0x2000, v38
	v_addc_co_u32_e32 v7, vcc, 0, v39, vcc
	flat_store_dwordx2 v[6:7], v[8:9]
.LBB707_238:
	s_or_b64 exec, exec, s[0:1]
	v_or_b32_e32 v6, 0x440, v0
	v_cmp_gt_u32_e32 vcc, s33, v6
	s_and_saveexec_b64 s[0:1], vcc
	s_cbranch_execz .LBB707_240
; %bb.239:
	v_add_co_u32_e32 v6, vcc, 0x2000, v38
	v_addc_co_u32_e32 v7, vcc, 0, v39, vcc
	flat_store_dwordx2 v[6:7], v[2:3] offset:512
.LBB707_240:
	s_or_b64 exec, exec, s[0:1]
	v_or_b32_e32 v2, 0x480, v0
	v_cmp_gt_u32_e64 s[0:1], s33, v2
	s_branch .LBB707_243
.LBB707_241:
	s_mov_b64 s[0:1], 0
                                        ; implicit-def: $vgpr4_vgpr5
	s_cbranch_execz .LBB707_243
; %bb.242:
	s_movk_i32 s2, 0x98
	v_mul_i32_i24_e32 v2, 0xffffff70, v0
	v_mul_u32_u24_e32 v1, 0x98, v0
	v_mad_u32_u24 v2, v0, s2, v2
	s_waitcnt lgkmcnt(0)
	; wave barrier
	s_waitcnt lgkmcnt(0)
	ds_write2_b64 v1, v[86:87], v[40:41] offset1:1
	ds_write2_b64 v1, v[56:57], v[46:47] offset0:2 offset1:3
	ds_write2_b64 v1, v[60:61], v[52:53] offset0:4 offset1:5
	;; [unrolled: 1-line block ×8, first 2 shown]
	ds_write_b64 v1, v[102:103] offset:144
	s_waitcnt lgkmcnt(0)
	; wave barrier
	s_waitcnt lgkmcnt(0)
	ds_read2st64_b64 v[6:9], v2 offset1:1
	ds_read2st64_b64 v[10:13], v2 offset0:2 offset1:3
	ds_read2st64_b64 v[14:17], v2 offset0:4 offset1:5
	;; [unrolled: 1-line block ×8, first 2 shown]
	ds_read_b64 v[4:5], v2 offset:9216
	v_mov_b32_e32 v3, s5
	v_add_co_u32_e32 v2, vcc, s4, v121
	v_addc_co_u32_e32 v3, vcc, 0, v3, vcc
	s_movk_i32 s2, 0x1000
	s_waitcnt lgkmcnt(0)
	flat_store_dwordx2 v[2:3], v[6:7]
	flat_store_dwordx2 v[2:3], v[8:9] offset:512
	flat_store_dwordx2 v[2:3], v[10:11] offset:1024
	flat_store_dwordx2 v[2:3], v[12:13] offset:1536
	flat_store_dwordx2 v[2:3], v[14:15] offset:2048
	flat_store_dwordx2 v[2:3], v[16:17] offset:2560
	flat_store_dwordx2 v[2:3], v[18:19] offset:3072
	flat_store_dwordx2 v[2:3], v[20:21] offset:3584
	v_add_co_u32_e32 v6, vcc, s2, v2
	v_addc_co_u32_e32 v7, vcc, 0, v3, vcc
	v_add_co_u32_e32 v2, vcc, 0x2000, v2
	v_mov_b32_e32 v1, 0
	v_addc_co_u32_e32 v3, vcc, 0, v3, vcc
	s_or_b64 s[0:1], s[0:1], exec
	flat_store_dwordx2 v[6:7], v[22:23]
	flat_store_dwordx2 v[6:7], v[24:25] offset:512
	flat_store_dwordx2 v[6:7], v[26:27] offset:1024
	flat_store_dwordx2 v[6:7], v[28:29] offset:1536
	flat_store_dwordx2 v[6:7], v[30:31] offset:2048
	flat_store_dwordx2 v[6:7], v[32:33] offset:2560
	flat_store_dwordx2 v[6:7], v[34:35] offset:3072
	flat_store_dwordx2 v[6:7], v[36:37] offset:3584
	flat_store_dwordx2 v[2:3], v[38:39]
	flat_store_dwordx2 v[2:3], v[40:41] offset:512
.LBB707_243:
	s_and_saveexec_b64 s[2:3], s[0:1]
	s_cbranch_execz .LBB707_245
; %bb.244:
	v_lshlrev_b64 v[0:1], 3, v[0:1]
	v_mov_b32_e32 v2, s5
	v_add_co_u32_e32 v0, vcc, s4, v0
	v_addc_co_u32_e32 v1, vcc, v2, v1, vcc
	v_add_co_u32_e32 v0, vcc, 0x2000, v0
	v_addc_co_u32_e32 v1, vcc, 0, v1, vcc
	flat_store_dwordx2 v[0:1], v[4:5] offset:1024
	s_endpgm
.LBB707_245:
	s_endpgm
	.section	.rodata,"a",@progbits
	.p2align	6, 0x0
	.amdhsa_kernel _ZN7rocprim17ROCPRIM_400000_NS6detail17trampoline_kernelINS0_14default_configENS1_27scan_by_key_config_selectorIxxEEZZNS1_16scan_by_key_implILNS1_25lookback_scan_determinismE0ELb0ES3_N6thrust23THRUST_200600_302600_NS6detail15normal_iteratorINS9_10device_ptrIxEEEESE_SE_xNS9_4plusIxEE19head_flag_predicatexEE10hipError_tPvRmT2_T3_T4_T5_mT6_T7_P12ihipStream_tbENKUlT_T0_E_clISt17integral_constantIbLb0EESX_IbLb1EEEEDaST_SU_EUlST_E_NS1_11comp_targetILNS1_3genE4ELNS1_11target_archE910ELNS1_3gpuE8ELNS1_3repE0EEENS1_30default_config_static_selectorELNS0_4arch9wavefront6targetE1EEEvT1_
		.amdhsa_group_segment_fixed_size 10752
		.amdhsa_private_segment_fixed_size 0
		.amdhsa_kernarg_size 136
		.amdhsa_user_sgpr_count 6
		.amdhsa_user_sgpr_private_segment_buffer 1
		.amdhsa_user_sgpr_dispatch_ptr 0
		.amdhsa_user_sgpr_queue_ptr 0
		.amdhsa_user_sgpr_kernarg_segment_ptr 1
		.amdhsa_user_sgpr_dispatch_id 0
		.amdhsa_user_sgpr_flat_scratch_init 0
		.amdhsa_user_sgpr_kernarg_preload_length 0
		.amdhsa_user_sgpr_kernarg_preload_offset 0
		.amdhsa_user_sgpr_private_segment_size 0
		.amdhsa_uses_dynamic_stack 0
		.amdhsa_system_sgpr_private_segment_wavefront_offset 0
		.amdhsa_system_sgpr_workgroup_id_x 1
		.amdhsa_system_sgpr_workgroup_id_y 0
		.amdhsa_system_sgpr_workgroup_id_z 0
		.amdhsa_system_sgpr_workgroup_info 0
		.amdhsa_system_vgpr_workitem_id 0
		.amdhsa_next_free_vgpr 125
		.amdhsa_next_free_sgpr 72
		.amdhsa_accum_offset 128
		.amdhsa_reserve_vcc 1
		.amdhsa_reserve_flat_scratch 0
		.amdhsa_float_round_mode_32 0
		.amdhsa_float_round_mode_16_64 0
		.amdhsa_float_denorm_mode_32 3
		.amdhsa_float_denorm_mode_16_64 3
		.amdhsa_dx10_clamp 1
		.amdhsa_ieee_mode 1
		.amdhsa_fp16_overflow 0
		.amdhsa_tg_split 0
		.amdhsa_exception_fp_ieee_invalid_op 0
		.amdhsa_exception_fp_denorm_src 0
		.amdhsa_exception_fp_ieee_div_zero 0
		.amdhsa_exception_fp_ieee_overflow 0
		.amdhsa_exception_fp_ieee_underflow 0
		.amdhsa_exception_fp_ieee_inexact 0
		.amdhsa_exception_int_div_zero 0
	.end_amdhsa_kernel
	.section	.text._ZN7rocprim17ROCPRIM_400000_NS6detail17trampoline_kernelINS0_14default_configENS1_27scan_by_key_config_selectorIxxEEZZNS1_16scan_by_key_implILNS1_25lookback_scan_determinismE0ELb0ES3_N6thrust23THRUST_200600_302600_NS6detail15normal_iteratorINS9_10device_ptrIxEEEESE_SE_xNS9_4plusIxEE19head_flag_predicatexEE10hipError_tPvRmT2_T3_T4_T5_mT6_T7_P12ihipStream_tbENKUlT_T0_E_clISt17integral_constantIbLb0EESX_IbLb1EEEEDaST_SU_EUlST_E_NS1_11comp_targetILNS1_3genE4ELNS1_11target_archE910ELNS1_3gpuE8ELNS1_3repE0EEENS1_30default_config_static_selectorELNS0_4arch9wavefront6targetE1EEEvT1_,"axG",@progbits,_ZN7rocprim17ROCPRIM_400000_NS6detail17trampoline_kernelINS0_14default_configENS1_27scan_by_key_config_selectorIxxEEZZNS1_16scan_by_key_implILNS1_25lookback_scan_determinismE0ELb0ES3_N6thrust23THRUST_200600_302600_NS6detail15normal_iteratorINS9_10device_ptrIxEEEESE_SE_xNS9_4plusIxEE19head_flag_predicatexEE10hipError_tPvRmT2_T3_T4_T5_mT6_T7_P12ihipStream_tbENKUlT_T0_E_clISt17integral_constantIbLb0EESX_IbLb1EEEEDaST_SU_EUlST_E_NS1_11comp_targetILNS1_3genE4ELNS1_11target_archE910ELNS1_3gpuE8ELNS1_3repE0EEENS1_30default_config_static_selectorELNS0_4arch9wavefront6targetE1EEEvT1_,comdat
.Lfunc_end707:
	.size	_ZN7rocprim17ROCPRIM_400000_NS6detail17trampoline_kernelINS0_14default_configENS1_27scan_by_key_config_selectorIxxEEZZNS1_16scan_by_key_implILNS1_25lookback_scan_determinismE0ELb0ES3_N6thrust23THRUST_200600_302600_NS6detail15normal_iteratorINS9_10device_ptrIxEEEESE_SE_xNS9_4plusIxEE19head_flag_predicatexEE10hipError_tPvRmT2_T3_T4_T5_mT6_T7_P12ihipStream_tbENKUlT_T0_E_clISt17integral_constantIbLb0EESX_IbLb1EEEEDaST_SU_EUlST_E_NS1_11comp_targetILNS1_3genE4ELNS1_11target_archE910ELNS1_3gpuE8ELNS1_3repE0EEENS1_30default_config_static_selectorELNS0_4arch9wavefront6targetE1EEEvT1_, .Lfunc_end707-_ZN7rocprim17ROCPRIM_400000_NS6detail17trampoline_kernelINS0_14default_configENS1_27scan_by_key_config_selectorIxxEEZZNS1_16scan_by_key_implILNS1_25lookback_scan_determinismE0ELb0ES3_N6thrust23THRUST_200600_302600_NS6detail15normal_iteratorINS9_10device_ptrIxEEEESE_SE_xNS9_4plusIxEE19head_flag_predicatexEE10hipError_tPvRmT2_T3_T4_T5_mT6_T7_P12ihipStream_tbENKUlT_T0_E_clISt17integral_constantIbLb0EESX_IbLb1EEEEDaST_SU_EUlST_E_NS1_11comp_targetILNS1_3genE4ELNS1_11target_archE910ELNS1_3gpuE8ELNS1_3repE0EEENS1_30default_config_static_selectorELNS0_4arch9wavefront6targetE1EEEvT1_
                                        ; -- End function
	.section	.AMDGPU.csdata,"",@progbits
; Kernel info:
; codeLenInByte = 14592
; NumSgprs: 76
; NumVgprs: 125
; NumAgprs: 0
; TotalNumVgprs: 125
; ScratchSize: 0
; MemoryBound: 0
; FloatMode: 240
; IeeeMode: 1
; LDSByteSize: 10752 bytes/workgroup (compile time only)
; SGPRBlocks: 9
; VGPRBlocks: 15
; NumSGPRsForWavesPerEU: 76
; NumVGPRsForWavesPerEU: 125
; AccumOffset: 128
; Occupancy: 2
; WaveLimiterHint : 1
; COMPUTE_PGM_RSRC2:SCRATCH_EN: 0
; COMPUTE_PGM_RSRC2:USER_SGPR: 6
; COMPUTE_PGM_RSRC2:TRAP_HANDLER: 0
; COMPUTE_PGM_RSRC2:TGID_X_EN: 1
; COMPUTE_PGM_RSRC2:TGID_Y_EN: 0
; COMPUTE_PGM_RSRC2:TGID_Z_EN: 0
; COMPUTE_PGM_RSRC2:TIDIG_COMP_CNT: 0
; COMPUTE_PGM_RSRC3_GFX90A:ACCUM_OFFSET: 31
; COMPUTE_PGM_RSRC3_GFX90A:TG_SPLIT: 0
	.section	.text._ZN7rocprim17ROCPRIM_400000_NS6detail17trampoline_kernelINS0_14default_configENS1_27scan_by_key_config_selectorIxxEEZZNS1_16scan_by_key_implILNS1_25lookback_scan_determinismE0ELb0ES3_N6thrust23THRUST_200600_302600_NS6detail15normal_iteratorINS9_10device_ptrIxEEEESE_SE_xNS9_4plusIxEE19head_flag_predicatexEE10hipError_tPvRmT2_T3_T4_T5_mT6_T7_P12ihipStream_tbENKUlT_T0_E_clISt17integral_constantIbLb0EESX_IbLb1EEEEDaST_SU_EUlST_E_NS1_11comp_targetILNS1_3genE3ELNS1_11target_archE908ELNS1_3gpuE7ELNS1_3repE0EEENS1_30default_config_static_selectorELNS0_4arch9wavefront6targetE1EEEvT1_,"axG",@progbits,_ZN7rocprim17ROCPRIM_400000_NS6detail17trampoline_kernelINS0_14default_configENS1_27scan_by_key_config_selectorIxxEEZZNS1_16scan_by_key_implILNS1_25lookback_scan_determinismE0ELb0ES3_N6thrust23THRUST_200600_302600_NS6detail15normal_iteratorINS9_10device_ptrIxEEEESE_SE_xNS9_4plusIxEE19head_flag_predicatexEE10hipError_tPvRmT2_T3_T4_T5_mT6_T7_P12ihipStream_tbENKUlT_T0_E_clISt17integral_constantIbLb0EESX_IbLb1EEEEDaST_SU_EUlST_E_NS1_11comp_targetILNS1_3genE3ELNS1_11target_archE908ELNS1_3gpuE7ELNS1_3repE0EEENS1_30default_config_static_selectorELNS0_4arch9wavefront6targetE1EEEvT1_,comdat
	.protected	_ZN7rocprim17ROCPRIM_400000_NS6detail17trampoline_kernelINS0_14default_configENS1_27scan_by_key_config_selectorIxxEEZZNS1_16scan_by_key_implILNS1_25lookback_scan_determinismE0ELb0ES3_N6thrust23THRUST_200600_302600_NS6detail15normal_iteratorINS9_10device_ptrIxEEEESE_SE_xNS9_4plusIxEE19head_flag_predicatexEE10hipError_tPvRmT2_T3_T4_T5_mT6_T7_P12ihipStream_tbENKUlT_T0_E_clISt17integral_constantIbLb0EESX_IbLb1EEEEDaST_SU_EUlST_E_NS1_11comp_targetILNS1_3genE3ELNS1_11target_archE908ELNS1_3gpuE7ELNS1_3repE0EEENS1_30default_config_static_selectorELNS0_4arch9wavefront6targetE1EEEvT1_ ; -- Begin function _ZN7rocprim17ROCPRIM_400000_NS6detail17trampoline_kernelINS0_14default_configENS1_27scan_by_key_config_selectorIxxEEZZNS1_16scan_by_key_implILNS1_25lookback_scan_determinismE0ELb0ES3_N6thrust23THRUST_200600_302600_NS6detail15normal_iteratorINS9_10device_ptrIxEEEESE_SE_xNS9_4plusIxEE19head_flag_predicatexEE10hipError_tPvRmT2_T3_T4_T5_mT6_T7_P12ihipStream_tbENKUlT_T0_E_clISt17integral_constantIbLb0EESX_IbLb1EEEEDaST_SU_EUlST_E_NS1_11comp_targetILNS1_3genE3ELNS1_11target_archE908ELNS1_3gpuE7ELNS1_3repE0EEENS1_30default_config_static_selectorELNS0_4arch9wavefront6targetE1EEEvT1_
	.globl	_ZN7rocprim17ROCPRIM_400000_NS6detail17trampoline_kernelINS0_14default_configENS1_27scan_by_key_config_selectorIxxEEZZNS1_16scan_by_key_implILNS1_25lookback_scan_determinismE0ELb0ES3_N6thrust23THRUST_200600_302600_NS6detail15normal_iteratorINS9_10device_ptrIxEEEESE_SE_xNS9_4plusIxEE19head_flag_predicatexEE10hipError_tPvRmT2_T3_T4_T5_mT6_T7_P12ihipStream_tbENKUlT_T0_E_clISt17integral_constantIbLb0EESX_IbLb1EEEEDaST_SU_EUlST_E_NS1_11comp_targetILNS1_3genE3ELNS1_11target_archE908ELNS1_3gpuE7ELNS1_3repE0EEENS1_30default_config_static_selectorELNS0_4arch9wavefront6targetE1EEEvT1_
	.p2align	8
	.type	_ZN7rocprim17ROCPRIM_400000_NS6detail17trampoline_kernelINS0_14default_configENS1_27scan_by_key_config_selectorIxxEEZZNS1_16scan_by_key_implILNS1_25lookback_scan_determinismE0ELb0ES3_N6thrust23THRUST_200600_302600_NS6detail15normal_iteratorINS9_10device_ptrIxEEEESE_SE_xNS9_4plusIxEE19head_flag_predicatexEE10hipError_tPvRmT2_T3_T4_T5_mT6_T7_P12ihipStream_tbENKUlT_T0_E_clISt17integral_constantIbLb0EESX_IbLb1EEEEDaST_SU_EUlST_E_NS1_11comp_targetILNS1_3genE3ELNS1_11target_archE908ELNS1_3gpuE7ELNS1_3repE0EEENS1_30default_config_static_selectorELNS0_4arch9wavefront6targetE1EEEvT1_,@function
_ZN7rocprim17ROCPRIM_400000_NS6detail17trampoline_kernelINS0_14default_configENS1_27scan_by_key_config_selectorIxxEEZZNS1_16scan_by_key_implILNS1_25lookback_scan_determinismE0ELb0ES3_N6thrust23THRUST_200600_302600_NS6detail15normal_iteratorINS9_10device_ptrIxEEEESE_SE_xNS9_4plusIxEE19head_flag_predicatexEE10hipError_tPvRmT2_T3_T4_T5_mT6_T7_P12ihipStream_tbENKUlT_T0_E_clISt17integral_constantIbLb0EESX_IbLb1EEEEDaST_SU_EUlST_E_NS1_11comp_targetILNS1_3genE3ELNS1_11target_archE908ELNS1_3gpuE7ELNS1_3repE0EEENS1_30default_config_static_selectorELNS0_4arch9wavefront6targetE1EEEvT1_: ; @_ZN7rocprim17ROCPRIM_400000_NS6detail17trampoline_kernelINS0_14default_configENS1_27scan_by_key_config_selectorIxxEEZZNS1_16scan_by_key_implILNS1_25lookback_scan_determinismE0ELb0ES3_N6thrust23THRUST_200600_302600_NS6detail15normal_iteratorINS9_10device_ptrIxEEEESE_SE_xNS9_4plusIxEE19head_flag_predicatexEE10hipError_tPvRmT2_T3_T4_T5_mT6_T7_P12ihipStream_tbENKUlT_T0_E_clISt17integral_constantIbLb0EESX_IbLb1EEEEDaST_SU_EUlST_E_NS1_11comp_targetILNS1_3genE3ELNS1_11target_archE908ELNS1_3gpuE7ELNS1_3repE0EEENS1_30default_config_static_selectorELNS0_4arch9wavefront6targetE1EEEvT1_
; %bb.0:
	.section	.rodata,"a",@progbits
	.p2align	6, 0x0
	.amdhsa_kernel _ZN7rocprim17ROCPRIM_400000_NS6detail17trampoline_kernelINS0_14default_configENS1_27scan_by_key_config_selectorIxxEEZZNS1_16scan_by_key_implILNS1_25lookback_scan_determinismE0ELb0ES3_N6thrust23THRUST_200600_302600_NS6detail15normal_iteratorINS9_10device_ptrIxEEEESE_SE_xNS9_4plusIxEE19head_flag_predicatexEE10hipError_tPvRmT2_T3_T4_T5_mT6_T7_P12ihipStream_tbENKUlT_T0_E_clISt17integral_constantIbLb0EESX_IbLb1EEEEDaST_SU_EUlST_E_NS1_11comp_targetILNS1_3genE3ELNS1_11target_archE908ELNS1_3gpuE7ELNS1_3repE0EEENS1_30default_config_static_selectorELNS0_4arch9wavefront6targetE1EEEvT1_
		.amdhsa_group_segment_fixed_size 0
		.amdhsa_private_segment_fixed_size 0
		.amdhsa_kernarg_size 136
		.amdhsa_user_sgpr_count 6
		.amdhsa_user_sgpr_private_segment_buffer 1
		.amdhsa_user_sgpr_dispatch_ptr 0
		.amdhsa_user_sgpr_queue_ptr 0
		.amdhsa_user_sgpr_kernarg_segment_ptr 1
		.amdhsa_user_sgpr_dispatch_id 0
		.amdhsa_user_sgpr_flat_scratch_init 0
		.amdhsa_user_sgpr_kernarg_preload_length 0
		.amdhsa_user_sgpr_kernarg_preload_offset 0
		.amdhsa_user_sgpr_private_segment_size 0
		.amdhsa_uses_dynamic_stack 0
		.amdhsa_system_sgpr_private_segment_wavefront_offset 0
		.amdhsa_system_sgpr_workgroup_id_x 1
		.amdhsa_system_sgpr_workgroup_id_y 0
		.amdhsa_system_sgpr_workgroup_id_z 0
		.amdhsa_system_sgpr_workgroup_info 0
		.amdhsa_system_vgpr_workitem_id 0
		.amdhsa_next_free_vgpr 1
		.amdhsa_next_free_sgpr 0
		.amdhsa_accum_offset 4
		.amdhsa_reserve_vcc 0
		.amdhsa_reserve_flat_scratch 0
		.amdhsa_float_round_mode_32 0
		.amdhsa_float_round_mode_16_64 0
		.amdhsa_float_denorm_mode_32 3
		.amdhsa_float_denorm_mode_16_64 3
		.amdhsa_dx10_clamp 1
		.amdhsa_ieee_mode 1
		.amdhsa_fp16_overflow 0
		.amdhsa_tg_split 0
		.amdhsa_exception_fp_ieee_invalid_op 0
		.amdhsa_exception_fp_denorm_src 0
		.amdhsa_exception_fp_ieee_div_zero 0
		.amdhsa_exception_fp_ieee_overflow 0
		.amdhsa_exception_fp_ieee_underflow 0
		.amdhsa_exception_fp_ieee_inexact 0
		.amdhsa_exception_int_div_zero 0
	.end_amdhsa_kernel
	.section	.text._ZN7rocprim17ROCPRIM_400000_NS6detail17trampoline_kernelINS0_14default_configENS1_27scan_by_key_config_selectorIxxEEZZNS1_16scan_by_key_implILNS1_25lookback_scan_determinismE0ELb0ES3_N6thrust23THRUST_200600_302600_NS6detail15normal_iteratorINS9_10device_ptrIxEEEESE_SE_xNS9_4plusIxEE19head_flag_predicatexEE10hipError_tPvRmT2_T3_T4_T5_mT6_T7_P12ihipStream_tbENKUlT_T0_E_clISt17integral_constantIbLb0EESX_IbLb1EEEEDaST_SU_EUlST_E_NS1_11comp_targetILNS1_3genE3ELNS1_11target_archE908ELNS1_3gpuE7ELNS1_3repE0EEENS1_30default_config_static_selectorELNS0_4arch9wavefront6targetE1EEEvT1_,"axG",@progbits,_ZN7rocprim17ROCPRIM_400000_NS6detail17trampoline_kernelINS0_14default_configENS1_27scan_by_key_config_selectorIxxEEZZNS1_16scan_by_key_implILNS1_25lookback_scan_determinismE0ELb0ES3_N6thrust23THRUST_200600_302600_NS6detail15normal_iteratorINS9_10device_ptrIxEEEESE_SE_xNS9_4plusIxEE19head_flag_predicatexEE10hipError_tPvRmT2_T3_T4_T5_mT6_T7_P12ihipStream_tbENKUlT_T0_E_clISt17integral_constantIbLb0EESX_IbLb1EEEEDaST_SU_EUlST_E_NS1_11comp_targetILNS1_3genE3ELNS1_11target_archE908ELNS1_3gpuE7ELNS1_3repE0EEENS1_30default_config_static_selectorELNS0_4arch9wavefront6targetE1EEEvT1_,comdat
.Lfunc_end708:
	.size	_ZN7rocprim17ROCPRIM_400000_NS6detail17trampoline_kernelINS0_14default_configENS1_27scan_by_key_config_selectorIxxEEZZNS1_16scan_by_key_implILNS1_25lookback_scan_determinismE0ELb0ES3_N6thrust23THRUST_200600_302600_NS6detail15normal_iteratorINS9_10device_ptrIxEEEESE_SE_xNS9_4plusIxEE19head_flag_predicatexEE10hipError_tPvRmT2_T3_T4_T5_mT6_T7_P12ihipStream_tbENKUlT_T0_E_clISt17integral_constantIbLb0EESX_IbLb1EEEEDaST_SU_EUlST_E_NS1_11comp_targetILNS1_3genE3ELNS1_11target_archE908ELNS1_3gpuE7ELNS1_3repE0EEENS1_30default_config_static_selectorELNS0_4arch9wavefront6targetE1EEEvT1_, .Lfunc_end708-_ZN7rocprim17ROCPRIM_400000_NS6detail17trampoline_kernelINS0_14default_configENS1_27scan_by_key_config_selectorIxxEEZZNS1_16scan_by_key_implILNS1_25lookback_scan_determinismE0ELb0ES3_N6thrust23THRUST_200600_302600_NS6detail15normal_iteratorINS9_10device_ptrIxEEEESE_SE_xNS9_4plusIxEE19head_flag_predicatexEE10hipError_tPvRmT2_T3_T4_T5_mT6_T7_P12ihipStream_tbENKUlT_T0_E_clISt17integral_constantIbLb0EESX_IbLb1EEEEDaST_SU_EUlST_E_NS1_11comp_targetILNS1_3genE3ELNS1_11target_archE908ELNS1_3gpuE7ELNS1_3repE0EEENS1_30default_config_static_selectorELNS0_4arch9wavefront6targetE1EEEvT1_
                                        ; -- End function
	.section	.AMDGPU.csdata,"",@progbits
; Kernel info:
; codeLenInByte = 0
; NumSgprs: 4
; NumVgprs: 0
; NumAgprs: 0
; TotalNumVgprs: 0
; ScratchSize: 0
; MemoryBound: 0
; FloatMode: 240
; IeeeMode: 1
; LDSByteSize: 0 bytes/workgroup (compile time only)
; SGPRBlocks: 0
; VGPRBlocks: 0
; NumSGPRsForWavesPerEU: 4
; NumVGPRsForWavesPerEU: 1
; AccumOffset: 4
; Occupancy: 8
; WaveLimiterHint : 0
; COMPUTE_PGM_RSRC2:SCRATCH_EN: 0
; COMPUTE_PGM_RSRC2:USER_SGPR: 6
; COMPUTE_PGM_RSRC2:TRAP_HANDLER: 0
; COMPUTE_PGM_RSRC2:TGID_X_EN: 1
; COMPUTE_PGM_RSRC2:TGID_Y_EN: 0
; COMPUTE_PGM_RSRC2:TGID_Z_EN: 0
; COMPUTE_PGM_RSRC2:TIDIG_COMP_CNT: 0
; COMPUTE_PGM_RSRC3_GFX90A:ACCUM_OFFSET: 0
; COMPUTE_PGM_RSRC3_GFX90A:TG_SPLIT: 0
	.section	.text._ZN7rocprim17ROCPRIM_400000_NS6detail17trampoline_kernelINS0_14default_configENS1_27scan_by_key_config_selectorIxxEEZZNS1_16scan_by_key_implILNS1_25lookback_scan_determinismE0ELb0ES3_N6thrust23THRUST_200600_302600_NS6detail15normal_iteratorINS9_10device_ptrIxEEEESE_SE_xNS9_4plusIxEE19head_flag_predicatexEE10hipError_tPvRmT2_T3_T4_T5_mT6_T7_P12ihipStream_tbENKUlT_T0_E_clISt17integral_constantIbLb0EESX_IbLb1EEEEDaST_SU_EUlST_E_NS1_11comp_targetILNS1_3genE2ELNS1_11target_archE906ELNS1_3gpuE6ELNS1_3repE0EEENS1_30default_config_static_selectorELNS0_4arch9wavefront6targetE1EEEvT1_,"axG",@progbits,_ZN7rocprim17ROCPRIM_400000_NS6detail17trampoline_kernelINS0_14default_configENS1_27scan_by_key_config_selectorIxxEEZZNS1_16scan_by_key_implILNS1_25lookback_scan_determinismE0ELb0ES3_N6thrust23THRUST_200600_302600_NS6detail15normal_iteratorINS9_10device_ptrIxEEEESE_SE_xNS9_4plusIxEE19head_flag_predicatexEE10hipError_tPvRmT2_T3_T4_T5_mT6_T7_P12ihipStream_tbENKUlT_T0_E_clISt17integral_constantIbLb0EESX_IbLb1EEEEDaST_SU_EUlST_E_NS1_11comp_targetILNS1_3genE2ELNS1_11target_archE906ELNS1_3gpuE6ELNS1_3repE0EEENS1_30default_config_static_selectorELNS0_4arch9wavefront6targetE1EEEvT1_,comdat
	.protected	_ZN7rocprim17ROCPRIM_400000_NS6detail17trampoline_kernelINS0_14default_configENS1_27scan_by_key_config_selectorIxxEEZZNS1_16scan_by_key_implILNS1_25lookback_scan_determinismE0ELb0ES3_N6thrust23THRUST_200600_302600_NS6detail15normal_iteratorINS9_10device_ptrIxEEEESE_SE_xNS9_4plusIxEE19head_flag_predicatexEE10hipError_tPvRmT2_T3_T4_T5_mT6_T7_P12ihipStream_tbENKUlT_T0_E_clISt17integral_constantIbLb0EESX_IbLb1EEEEDaST_SU_EUlST_E_NS1_11comp_targetILNS1_3genE2ELNS1_11target_archE906ELNS1_3gpuE6ELNS1_3repE0EEENS1_30default_config_static_selectorELNS0_4arch9wavefront6targetE1EEEvT1_ ; -- Begin function _ZN7rocprim17ROCPRIM_400000_NS6detail17trampoline_kernelINS0_14default_configENS1_27scan_by_key_config_selectorIxxEEZZNS1_16scan_by_key_implILNS1_25lookback_scan_determinismE0ELb0ES3_N6thrust23THRUST_200600_302600_NS6detail15normal_iteratorINS9_10device_ptrIxEEEESE_SE_xNS9_4plusIxEE19head_flag_predicatexEE10hipError_tPvRmT2_T3_T4_T5_mT6_T7_P12ihipStream_tbENKUlT_T0_E_clISt17integral_constantIbLb0EESX_IbLb1EEEEDaST_SU_EUlST_E_NS1_11comp_targetILNS1_3genE2ELNS1_11target_archE906ELNS1_3gpuE6ELNS1_3repE0EEENS1_30default_config_static_selectorELNS0_4arch9wavefront6targetE1EEEvT1_
	.globl	_ZN7rocprim17ROCPRIM_400000_NS6detail17trampoline_kernelINS0_14default_configENS1_27scan_by_key_config_selectorIxxEEZZNS1_16scan_by_key_implILNS1_25lookback_scan_determinismE0ELb0ES3_N6thrust23THRUST_200600_302600_NS6detail15normal_iteratorINS9_10device_ptrIxEEEESE_SE_xNS9_4plusIxEE19head_flag_predicatexEE10hipError_tPvRmT2_T3_T4_T5_mT6_T7_P12ihipStream_tbENKUlT_T0_E_clISt17integral_constantIbLb0EESX_IbLb1EEEEDaST_SU_EUlST_E_NS1_11comp_targetILNS1_3genE2ELNS1_11target_archE906ELNS1_3gpuE6ELNS1_3repE0EEENS1_30default_config_static_selectorELNS0_4arch9wavefront6targetE1EEEvT1_
	.p2align	8
	.type	_ZN7rocprim17ROCPRIM_400000_NS6detail17trampoline_kernelINS0_14default_configENS1_27scan_by_key_config_selectorIxxEEZZNS1_16scan_by_key_implILNS1_25lookback_scan_determinismE0ELb0ES3_N6thrust23THRUST_200600_302600_NS6detail15normal_iteratorINS9_10device_ptrIxEEEESE_SE_xNS9_4plusIxEE19head_flag_predicatexEE10hipError_tPvRmT2_T3_T4_T5_mT6_T7_P12ihipStream_tbENKUlT_T0_E_clISt17integral_constantIbLb0EESX_IbLb1EEEEDaST_SU_EUlST_E_NS1_11comp_targetILNS1_3genE2ELNS1_11target_archE906ELNS1_3gpuE6ELNS1_3repE0EEENS1_30default_config_static_selectorELNS0_4arch9wavefront6targetE1EEEvT1_,@function
_ZN7rocprim17ROCPRIM_400000_NS6detail17trampoline_kernelINS0_14default_configENS1_27scan_by_key_config_selectorIxxEEZZNS1_16scan_by_key_implILNS1_25lookback_scan_determinismE0ELb0ES3_N6thrust23THRUST_200600_302600_NS6detail15normal_iteratorINS9_10device_ptrIxEEEESE_SE_xNS9_4plusIxEE19head_flag_predicatexEE10hipError_tPvRmT2_T3_T4_T5_mT6_T7_P12ihipStream_tbENKUlT_T0_E_clISt17integral_constantIbLb0EESX_IbLb1EEEEDaST_SU_EUlST_E_NS1_11comp_targetILNS1_3genE2ELNS1_11target_archE906ELNS1_3gpuE6ELNS1_3repE0EEENS1_30default_config_static_selectorELNS0_4arch9wavefront6targetE1EEEvT1_: ; @_ZN7rocprim17ROCPRIM_400000_NS6detail17trampoline_kernelINS0_14default_configENS1_27scan_by_key_config_selectorIxxEEZZNS1_16scan_by_key_implILNS1_25lookback_scan_determinismE0ELb0ES3_N6thrust23THRUST_200600_302600_NS6detail15normal_iteratorINS9_10device_ptrIxEEEESE_SE_xNS9_4plusIxEE19head_flag_predicatexEE10hipError_tPvRmT2_T3_T4_T5_mT6_T7_P12ihipStream_tbENKUlT_T0_E_clISt17integral_constantIbLb0EESX_IbLb1EEEEDaST_SU_EUlST_E_NS1_11comp_targetILNS1_3genE2ELNS1_11target_archE906ELNS1_3gpuE6ELNS1_3repE0EEENS1_30default_config_static_selectorELNS0_4arch9wavefront6targetE1EEEvT1_
; %bb.0:
	.section	.rodata,"a",@progbits
	.p2align	6, 0x0
	.amdhsa_kernel _ZN7rocprim17ROCPRIM_400000_NS6detail17trampoline_kernelINS0_14default_configENS1_27scan_by_key_config_selectorIxxEEZZNS1_16scan_by_key_implILNS1_25lookback_scan_determinismE0ELb0ES3_N6thrust23THRUST_200600_302600_NS6detail15normal_iteratorINS9_10device_ptrIxEEEESE_SE_xNS9_4plusIxEE19head_flag_predicatexEE10hipError_tPvRmT2_T3_T4_T5_mT6_T7_P12ihipStream_tbENKUlT_T0_E_clISt17integral_constantIbLb0EESX_IbLb1EEEEDaST_SU_EUlST_E_NS1_11comp_targetILNS1_3genE2ELNS1_11target_archE906ELNS1_3gpuE6ELNS1_3repE0EEENS1_30default_config_static_selectorELNS0_4arch9wavefront6targetE1EEEvT1_
		.amdhsa_group_segment_fixed_size 0
		.amdhsa_private_segment_fixed_size 0
		.amdhsa_kernarg_size 136
		.amdhsa_user_sgpr_count 6
		.amdhsa_user_sgpr_private_segment_buffer 1
		.amdhsa_user_sgpr_dispatch_ptr 0
		.amdhsa_user_sgpr_queue_ptr 0
		.amdhsa_user_sgpr_kernarg_segment_ptr 1
		.amdhsa_user_sgpr_dispatch_id 0
		.amdhsa_user_sgpr_flat_scratch_init 0
		.amdhsa_user_sgpr_kernarg_preload_length 0
		.amdhsa_user_sgpr_kernarg_preload_offset 0
		.amdhsa_user_sgpr_private_segment_size 0
		.amdhsa_uses_dynamic_stack 0
		.amdhsa_system_sgpr_private_segment_wavefront_offset 0
		.amdhsa_system_sgpr_workgroup_id_x 1
		.amdhsa_system_sgpr_workgroup_id_y 0
		.amdhsa_system_sgpr_workgroup_id_z 0
		.amdhsa_system_sgpr_workgroup_info 0
		.amdhsa_system_vgpr_workitem_id 0
		.amdhsa_next_free_vgpr 1
		.amdhsa_next_free_sgpr 0
		.amdhsa_accum_offset 4
		.amdhsa_reserve_vcc 0
		.amdhsa_reserve_flat_scratch 0
		.amdhsa_float_round_mode_32 0
		.amdhsa_float_round_mode_16_64 0
		.amdhsa_float_denorm_mode_32 3
		.amdhsa_float_denorm_mode_16_64 3
		.amdhsa_dx10_clamp 1
		.amdhsa_ieee_mode 1
		.amdhsa_fp16_overflow 0
		.amdhsa_tg_split 0
		.amdhsa_exception_fp_ieee_invalid_op 0
		.amdhsa_exception_fp_denorm_src 0
		.amdhsa_exception_fp_ieee_div_zero 0
		.amdhsa_exception_fp_ieee_overflow 0
		.amdhsa_exception_fp_ieee_underflow 0
		.amdhsa_exception_fp_ieee_inexact 0
		.amdhsa_exception_int_div_zero 0
	.end_amdhsa_kernel
	.section	.text._ZN7rocprim17ROCPRIM_400000_NS6detail17trampoline_kernelINS0_14default_configENS1_27scan_by_key_config_selectorIxxEEZZNS1_16scan_by_key_implILNS1_25lookback_scan_determinismE0ELb0ES3_N6thrust23THRUST_200600_302600_NS6detail15normal_iteratorINS9_10device_ptrIxEEEESE_SE_xNS9_4plusIxEE19head_flag_predicatexEE10hipError_tPvRmT2_T3_T4_T5_mT6_T7_P12ihipStream_tbENKUlT_T0_E_clISt17integral_constantIbLb0EESX_IbLb1EEEEDaST_SU_EUlST_E_NS1_11comp_targetILNS1_3genE2ELNS1_11target_archE906ELNS1_3gpuE6ELNS1_3repE0EEENS1_30default_config_static_selectorELNS0_4arch9wavefront6targetE1EEEvT1_,"axG",@progbits,_ZN7rocprim17ROCPRIM_400000_NS6detail17trampoline_kernelINS0_14default_configENS1_27scan_by_key_config_selectorIxxEEZZNS1_16scan_by_key_implILNS1_25lookback_scan_determinismE0ELb0ES3_N6thrust23THRUST_200600_302600_NS6detail15normal_iteratorINS9_10device_ptrIxEEEESE_SE_xNS9_4plusIxEE19head_flag_predicatexEE10hipError_tPvRmT2_T3_T4_T5_mT6_T7_P12ihipStream_tbENKUlT_T0_E_clISt17integral_constantIbLb0EESX_IbLb1EEEEDaST_SU_EUlST_E_NS1_11comp_targetILNS1_3genE2ELNS1_11target_archE906ELNS1_3gpuE6ELNS1_3repE0EEENS1_30default_config_static_selectorELNS0_4arch9wavefront6targetE1EEEvT1_,comdat
.Lfunc_end709:
	.size	_ZN7rocprim17ROCPRIM_400000_NS6detail17trampoline_kernelINS0_14default_configENS1_27scan_by_key_config_selectorIxxEEZZNS1_16scan_by_key_implILNS1_25lookback_scan_determinismE0ELb0ES3_N6thrust23THRUST_200600_302600_NS6detail15normal_iteratorINS9_10device_ptrIxEEEESE_SE_xNS9_4plusIxEE19head_flag_predicatexEE10hipError_tPvRmT2_T3_T4_T5_mT6_T7_P12ihipStream_tbENKUlT_T0_E_clISt17integral_constantIbLb0EESX_IbLb1EEEEDaST_SU_EUlST_E_NS1_11comp_targetILNS1_3genE2ELNS1_11target_archE906ELNS1_3gpuE6ELNS1_3repE0EEENS1_30default_config_static_selectorELNS0_4arch9wavefront6targetE1EEEvT1_, .Lfunc_end709-_ZN7rocprim17ROCPRIM_400000_NS6detail17trampoline_kernelINS0_14default_configENS1_27scan_by_key_config_selectorIxxEEZZNS1_16scan_by_key_implILNS1_25lookback_scan_determinismE0ELb0ES3_N6thrust23THRUST_200600_302600_NS6detail15normal_iteratorINS9_10device_ptrIxEEEESE_SE_xNS9_4plusIxEE19head_flag_predicatexEE10hipError_tPvRmT2_T3_T4_T5_mT6_T7_P12ihipStream_tbENKUlT_T0_E_clISt17integral_constantIbLb0EESX_IbLb1EEEEDaST_SU_EUlST_E_NS1_11comp_targetILNS1_3genE2ELNS1_11target_archE906ELNS1_3gpuE6ELNS1_3repE0EEENS1_30default_config_static_selectorELNS0_4arch9wavefront6targetE1EEEvT1_
                                        ; -- End function
	.section	.AMDGPU.csdata,"",@progbits
; Kernel info:
; codeLenInByte = 0
; NumSgprs: 4
; NumVgprs: 0
; NumAgprs: 0
; TotalNumVgprs: 0
; ScratchSize: 0
; MemoryBound: 0
; FloatMode: 240
; IeeeMode: 1
; LDSByteSize: 0 bytes/workgroup (compile time only)
; SGPRBlocks: 0
; VGPRBlocks: 0
; NumSGPRsForWavesPerEU: 4
; NumVGPRsForWavesPerEU: 1
; AccumOffset: 4
; Occupancy: 8
; WaveLimiterHint : 0
; COMPUTE_PGM_RSRC2:SCRATCH_EN: 0
; COMPUTE_PGM_RSRC2:USER_SGPR: 6
; COMPUTE_PGM_RSRC2:TRAP_HANDLER: 0
; COMPUTE_PGM_RSRC2:TGID_X_EN: 1
; COMPUTE_PGM_RSRC2:TGID_Y_EN: 0
; COMPUTE_PGM_RSRC2:TGID_Z_EN: 0
; COMPUTE_PGM_RSRC2:TIDIG_COMP_CNT: 0
; COMPUTE_PGM_RSRC3_GFX90A:ACCUM_OFFSET: 0
; COMPUTE_PGM_RSRC3_GFX90A:TG_SPLIT: 0
	.section	.text._ZN7rocprim17ROCPRIM_400000_NS6detail17trampoline_kernelINS0_14default_configENS1_27scan_by_key_config_selectorIxxEEZZNS1_16scan_by_key_implILNS1_25lookback_scan_determinismE0ELb0ES3_N6thrust23THRUST_200600_302600_NS6detail15normal_iteratorINS9_10device_ptrIxEEEESE_SE_xNS9_4plusIxEE19head_flag_predicatexEE10hipError_tPvRmT2_T3_T4_T5_mT6_T7_P12ihipStream_tbENKUlT_T0_E_clISt17integral_constantIbLb0EESX_IbLb1EEEEDaST_SU_EUlST_E_NS1_11comp_targetILNS1_3genE10ELNS1_11target_archE1200ELNS1_3gpuE4ELNS1_3repE0EEENS1_30default_config_static_selectorELNS0_4arch9wavefront6targetE1EEEvT1_,"axG",@progbits,_ZN7rocprim17ROCPRIM_400000_NS6detail17trampoline_kernelINS0_14default_configENS1_27scan_by_key_config_selectorIxxEEZZNS1_16scan_by_key_implILNS1_25lookback_scan_determinismE0ELb0ES3_N6thrust23THRUST_200600_302600_NS6detail15normal_iteratorINS9_10device_ptrIxEEEESE_SE_xNS9_4plusIxEE19head_flag_predicatexEE10hipError_tPvRmT2_T3_T4_T5_mT6_T7_P12ihipStream_tbENKUlT_T0_E_clISt17integral_constantIbLb0EESX_IbLb1EEEEDaST_SU_EUlST_E_NS1_11comp_targetILNS1_3genE10ELNS1_11target_archE1200ELNS1_3gpuE4ELNS1_3repE0EEENS1_30default_config_static_selectorELNS0_4arch9wavefront6targetE1EEEvT1_,comdat
	.protected	_ZN7rocprim17ROCPRIM_400000_NS6detail17trampoline_kernelINS0_14default_configENS1_27scan_by_key_config_selectorIxxEEZZNS1_16scan_by_key_implILNS1_25lookback_scan_determinismE0ELb0ES3_N6thrust23THRUST_200600_302600_NS6detail15normal_iteratorINS9_10device_ptrIxEEEESE_SE_xNS9_4plusIxEE19head_flag_predicatexEE10hipError_tPvRmT2_T3_T4_T5_mT6_T7_P12ihipStream_tbENKUlT_T0_E_clISt17integral_constantIbLb0EESX_IbLb1EEEEDaST_SU_EUlST_E_NS1_11comp_targetILNS1_3genE10ELNS1_11target_archE1200ELNS1_3gpuE4ELNS1_3repE0EEENS1_30default_config_static_selectorELNS0_4arch9wavefront6targetE1EEEvT1_ ; -- Begin function _ZN7rocprim17ROCPRIM_400000_NS6detail17trampoline_kernelINS0_14default_configENS1_27scan_by_key_config_selectorIxxEEZZNS1_16scan_by_key_implILNS1_25lookback_scan_determinismE0ELb0ES3_N6thrust23THRUST_200600_302600_NS6detail15normal_iteratorINS9_10device_ptrIxEEEESE_SE_xNS9_4plusIxEE19head_flag_predicatexEE10hipError_tPvRmT2_T3_T4_T5_mT6_T7_P12ihipStream_tbENKUlT_T0_E_clISt17integral_constantIbLb0EESX_IbLb1EEEEDaST_SU_EUlST_E_NS1_11comp_targetILNS1_3genE10ELNS1_11target_archE1200ELNS1_3gpuE4ELNS1_3repE0EEENS1_30default_config_static_selectorELNS0_4arch9wavefront6targetE1EEEvT1_
	.globl	_ZN7rocprim17ROCPRIM_400000_NS6detail17trampoline_kernelINS0_14default_configENS1_27scan_by_key_config_selectorIxxEEZZNS1_16scan_by_key_implILNS1_25lookback_scan_determinismE0ELb0ES3_N6thrust23THRUST_200600_302600_NS6detail15normal_iteratorINS9_10device_ptrIxEEEESE_SE_xNS9_4plusIxEE19head_flag_predicatexEE10hipError_tPvRmT2_T3_T4_T5_mT6_T7_P12ihipStream_tbENKUlT_T0_E_clISt17integral_constantIbLb0EESX_IbLb1EEEEDaST_SU_EUlST_E_NS1_11comp_targetILNS1_3genE10ELNS1_11target_archE1200ELNS1_3gpuE4ELNS1_3repE0EEENS1_30default_config_static_selectorELNS0_4arch9wavefront6targetE1EEEvT1_
	.p2align	8
	.type	_ZN7rocprim17ROCPRIM_400000_NS6detail17trampoline_kernelINS0_14default_configENS1_27scan_by_key_config_selectorIxxEEZZNS1_16scan_by_key_implILNS1_25lookback_scan_determinismE0ELb0ES3_N6thrust23THRUST_200600_302600_NS6detail15normal_iteratorINS9_10device_ptrIxEEEESE_SE_xNS9_4plusIxEE19head_flag_predicatexEE10hipError_tPvRmT2_T3_T4_T5_mT6_T7_P12ihipStream_tbENKUlT_T0_E_clISt17integral_constantIbLb0EESX_IbLb1EEEEDaST_SU_EUlST_E_NS1_11comp_targetILNS1_3genE10ELNS1_11target_archE1200ELNS1_3gpuE4ELNS1_3repE0EEENS1_30default_config_static_selectorELNS0_4arch9wavefront6targetE1EEEvT1_,@function
_ZN7rocprim17ROCPRIM_400000_NS6detail17trampoline_kernelINS0_14default_configENS1_27scan_by_key_config_selectorIxxEEZZNS1_16scan_by_key_implILNS1_25lookback_scan_determinismE0ELb0ES3_N6thrust23THRUST_200600_302600_NS6detail15normal_iteratorINS9_10device_ptrIxEEEESE_SE_xNS9_4plusIxEE19head_flag_predicatexEE10hipError_tPvRmT2_T3_T4_T5_mT6_T7_P12ihipStream_tbENKUlT_T0_E_clISt17integral_constantIbLb0EESX_IbLb1EEEEDaST_SU_EUlST_E_NS1_11comp_targetILNS1_3genE10ELNS1_11target_archE1200ELNS1_3gpuE4ELNS1_3repE0EEENS1_30default_config_static_selectorELNS0_4arch9wavefront6targetE1EEEvT1_: ; @_ZN7rocprim17ROCPRIM_400000_NS6detail17trampoline_kernelINS0_14default_configENS1_27scan_by_key_config_selectorIxxEEZZNS1_16scan_by_key_implILNS1_25lookback_scan_determinismE0ELb0ES3_N6thrust23THRUST_200600_302600_NS6detail15normal_iteratorINS9_10device_ptrIxEEEESE_SE_xNS9_4plusIxEE19head_flag_predicatexEE10hipError_tPvRmT2_T3_T4_T5_mT6_T7_P12ihipStream_tbENKUlT_T0_E_clISt17integral_constantIbLb0EESX_IbLb1EEEEDaST_SU_EUlST_E_NS1_11comp_targetILNS1_3genE10ELNS1_11target_archE1200ELNS1_3gpuE4ELNS1_3repE0EEENS1_30default_config_static_selectorELNS0_4arch9wavefront6targetE1EEEvT1_
; %bb.0:
	.section	.rodata,"a",@progbits
	.p2align	6, 0x0
	.amdhsa_kernel _ZN7rocprim17ROCPRIM_400000_NS6detail17trampoline_kernelINS0_14default_configENS1_27scan_by_key_config_selectorIxxEEZZNS1_16scan_by_key_implILNS1_25lookback_scan_determinismE0ELb0ES3_N6thrust23THRUST_200600_302600_NS6detail15normal_iteratorINS9_10device_ptrIxEEEESE_SE_xNS9_4plusIxEE19head_flag_predicatexEE10hipError_tPvRmT2_T3_T4_T5_mT6_T7_P12ihipStream_tbENKUlT_T0_E_clISt17integral_constantIbLb0EESX_IbLb1EEEEDaST_SU_EUlST_E_NS1_11comp_targetILNS1_3genE10ELNS1_11target_archE1200ELNS1_3gpuE4ELNS1_3repE0EEENS1_30default_config_static_selectorELNS0_4arch9wavefront6targetE1EEEvT1_
		.amdhsa_group_segment_fixed_size 0
		.amdhsa_private_segment_fixed_size 0
		.amdhsa_kernarg_size 136
		.amdhsa_user_sgpr_count 6
		.amdhsa_user_sgpr_private_segment_buffer 1
		.amdhsa_user_sgpr_dispatch_ptr 0
		.amdhsa_user_sgpr_queue_ptr 0
		.amdhsa_user_sgpr_kernarg_segment_ptr 1
		.amdhsa_user_sgpr_dispatch_id 0
		.amdhsa_user_sgpr_flat_scratch_init 0
		.amdhsa_user_sgpr_kernarg_preload_length 0
		.amdhsa_user_sgpr_kernarg_preload_offset 0
		.amdhsa_user_sgpr_private_segment_size 0
		.amdhsa_uses_dynamic_stack 0
		.amdhsa_system_sgpr_private_segment_wavefront_offset 0
		.amdhsa_system_sgpr_workgroup_id_x 1
		.amdhsa_system_sgpr_workgroup_id_y 0
		.amdhsa_system_sgpr_workgroup_id_z 0
		.amdhsa_system_sgpr_workgroup_info 0
		.amdhsa_system_vgpr_workitem_id 0
		.amdhsa_next_free_vgpr 1
		.amdhsa_next_free_sgpr 0
		.amdhsa_accum_offset 4
		.amdhsa_reserve_vcc 0
		.amdhsa_reserve_flat_scratch 0
		.amdhsa_float_round_mode_32 0
		.amdhsa_float_round_mode_16_64 0
		.amdhsa_float_denorm_mode_32 3
		.amdhsa_float_denorm_mode_16_64 3
		.amdhsa_dx10_clamp 1
		.amdhsa_ieee_mode 1
		.amdhsa_fp16_overflow 0
		.amdhsa_tg_split 0
		.amdhsa_exception_fp_ieee_invalid_op 0
		.amdhsa_exception_fp_denorm_src 0
		.amdhsa_exception_fp_ieee_div_zero 0
		.amdhsa_exception_fp_ieee_overflow 0
		.amdhsa_exception_fp_ieee_underflow 0
		.amdhsa_exception_fp_ieee_inexact 0
		.amdhsa_exception_int_div_zero 0
	.end_amdhsa_kernel
	.section	.text._ZN7rocprim17ROCPRIM_400000_NS6detail17trampoline_kernelINS0_14default_configENS1_27scan_by_key_config_selectorIxxEEZZNS1_16scan_by_key_implILNS1_25lookback_scan_determinismE0ELb0ES3_N6thrust23THRUST_200600_302600_NS6detail15normal_iteratorINS9_10device_ptrIxEEEESE_SE_xNS9_4plusIxEE19head_flag_predicatexEE10hipError_tPvRmT2_T3_T4_T5_mT6_T7_P12ihipStream_tbENKUlT_T0_E_clISt17integral_constantIbLb0EESX_IbLb1EEEEDaST_SU_EUlST_E_NS1_11comp_targetILNS1_3genE10ELNS1_11target_archE1200ELNS1_3gpuE4ELNS1_3repE0EEENS1_30default_config_static_selectorELNS0_4arch9wavefront6targetE1EEEvT1_,"axG",@progbits,_ZN7rocprim17ROCPRIM_400000_NS6detail17trampoline_kernelINS0_14default_configENS1_27scan_by_key_config_selectorIxxEEZZNS1_16scan_by_key_implILNS1_25lookback_scan_determinismE0ELb0ES3_N6thrust23THRUST_200600_302600_NS6detail15normal_iteratorINS9_10device_ptrIxEEEESE_SE_xNS9_4plusIxEE19head_flag_predicatexEE10hipError_tPvRmT2_T3_T4_T5_mT6_T7_P12ihipStream_tbENKUlT_T0_E_clISt17integral_constantIbLb0EESX_IbLb1EEEEDaST_SU_EUlST_E_NS1_11comp_targetILNS1_3genE10ELNS1_11target_archE1200ELNS1_3gpuE4ELNS1_3repE0EEENS1_30default_config_static_selectorELNS0_4arch9wavefront6targetE1EEEvT1_,comdat
.Lfunc_end710:
	.size	_ZN7rocprim17ROCPRIM_400000_NS6detail17trampoline_kernelINS0_14default_configENS1_27scan_by_key_config_selectorIxxEEZZNS1_16scan_by_key_implILNS1_25lookback_scan_determinismE0ELb0ES3_N6thrust23THRUST_200600_302600_NS6detail15normal_iteratorINS9_10device_ptrIxEEEESE_SE_xNS9_4plusIxEE19head_flag_predicatexEE10hipError_tPvRmT2_T3_T4_T5_mT6_T7_P12ihipStream_tbENKUlT_T0_E_clISt17integral_constantIbLb0EESX_IbLb1EEEEDaST_SU_EUlST_E_NS1_11comp_targetILNS1_3genE10ELNS1_11target_archE1200ELNS1_3gpuE4ELNS1_3repE0EEENS1_30default_config_static_selectorELNS0_4arch9wavefront6targetE1EEEvT1_, .Lfunc_end710-_ZN7rocprim17ROCPRIM_400000_NS6detail17trampoline_kernelINS0_14default_configENS1_27scan_by_key_config_selectorIxxEEZZNS1_16scan_by_key_implILNS1_25lookback_scan_determinismE0ELb0ES3_N6thrust23THRUST_200600_302600_NS6detail15normal_iteratorINS9_10device_ptrIxEEEESE_SE_xNS9_4plusIxEE19head_flag_predicatexEE10hipError_tPvRmT2_T3_T4_T5_mT6_T7_P12ihipStream_tbENKUlT_T0_E_clISt17integral_constantIbLb0EESX_IbLb1EEEEDaST_SU_EUlST_E_NS1_11comp_targetILNS1_3genE10ELNS1_11target_archE1200ELNS1_3gpuE4ELNS1_3repE0EEENS1_30default_config_static_selectorELNS0_4arch9wavefront6targetE1EEEvT1_
                                        ; -- End function
	.section	.AMDGPU.csdata,"",@progbits
; Kernel info:
; codeLenInByte = 0
; NumSgprs: 4
; NumVgprs: 0
; NumAgprs: 0
; TotalNumVgprs: 0
; ScratchSize: 0
; MemoryBound: 0
; FloatMode: 240
; IeeeMode: 1
; LDSByteSize: 0 bytes/workgroup (compile time only)
; SGPRBlocks: 0
; VGPRBlocks: 0
; NumSGPRsForWavesPerEU: 4
; NumVGPRsForWavesPerEU: 1
; AccumOffset: 4
; Occupancy: 8
; WaveLimiterHint : 0
; COMPUTE_PGM_RSRC2:SCRATCH_EN: 0
; COMPUTE_PGM_RSRC2:USER_SGPR: 6
; COMPUTE_PGM_RSRC2:TRAP_HANDLER: 0
; COMPUTE_PGM_RSRC2:TGID_X_EN: 1
; COMPUTE_PGM_RSRC2:TGID_Y_EN: 0
; COMPUTE_PGM_RSRC2:TGID_Z_EN: 0
; COMPUTE_PGM_RSRC2:TIDIG_COMP_CNT: 0
; COMPUTE_PGM_RSRC3_GFX90A:ACCUM_OFFSET: 0
; COMPUTE_PGM_RSRC3_GFX90A:TG_SPLIT: 0
	.section	.text._ZN7rocprim17ROCPRIM_400000_NS6detail17trampoline_kernelINS0_14default_configENS1_27scan_by_key_config_selectorIxxEEZZNS1_16scan_by_key_implILNS1_25lookback_scan_determinismE0ELb0ES3_N6thrust23THRUST_200600_302600_NS6detail15normal_iteratorINS9_10device_ptrIxEEEESE_SE_xNS9_4plusIxEE19head_flag_predicatexEE10hipError_tPvRmT2_T3_T4_T5_mT6_T7_P12ihipStream_tbENKUlT_T0_E_clISt17integral_constantIbLb0EESX_IbLb1EEEEDaST_SU_EUlST_E_NS1_11comp_targetILNS1_3genE9ELNS1_11target_archE1100ELNS1_3gpuE3ELNS1_3repE0EEENS1_30default_config_static_selectorELNS0_4arch9wavefront6targetE1EEEvT1_,"axG",@progbits,_ZN7rocprim17ROCPRIM_400000_NS6detail17trampoline_kernelINS0_14default_configENS1_27scan_by_key_config_selectorIxxEEZZNS1_16scan_by_key_implILNS1_25lookback_scan_determinismE0ELb0ES3_N6thrust23THRUST_200600_302600_NS6detail15normal_iteratorINS9_10device_ptrIxEEEESE_SE_xNS9_4plusIxEE19head_flag_predicatexEE10hipError_tPvRmT2_T3_T4_T5_mT6_T7_P12ihipStream_tbENKUlT_T0_E_clISt17integral_constantIbLb0EESX_IbLb1EEEEDaST_SU_EUlST_E_NS1_11comp_targetILNS1_3genE9ELNS1_11target_archE1100ELNS1_3gpuE3ELNS1_3repE0EEENS1_30default_config_static_selectorELNS0_4arch9wavefront6targetE1EEEvT1_,comdat
	.protected	_ZN7rocprim17ROCPRIM_400000_NS6detail17trampoline_kernelINS0_14default_configENS1_27scan_by_key_config_selectorIxxEEZZNS1_16scan_by_key_implILNS1_25lookback_scan_determinismE0ELb0ES3_N6thrust23THRUST_200600_302600_NS6detail15normal_iteratorINS9_10device_ptrIxEEEESE_SE_xNS9_4plusIxEE19head_flag_predicatexEE10hipError_tPvRmT2_T3_T4_T5_mT6_T7_P12ihipStream_tbENKUlT_T0_E_clISt17integral_constantIbLb0EESX_IbLb1EEEEDaST_SU_EUlST_E_NS1_11comp_targetILNS1_3genE9ELNS1_11target_archE1100ELNS1_3gpuE3ELNS1_3repE0EEENS1_30default_config_static_selectorELNS0_4arch9wavefront6targetE1EEEvT1_ ; -- Begin function _ZN7rocprim17ROCPRIM_400000_NS6detail17trampoline_kernelINS0_14default_configENS1_27scan_by_key_config_selectorIxxEEZZNS1_16scan_by_key_implILNS1_25lookback_scan_determinismE0ELb0ES3_N6thrust23THRUST_200600_302600_NS6detail15normal_iteratorINS9_10device_ptrIxEEEESE_SE_xNS9_4plusIxEE19head_flag_predicatexEE10hipError_tPvRmT2_T3_T4_T5_mT6_T7_P12ihipStream_tbENKUlT_T0_E_clISt17integral_constantIbLb0EESX_IbLb1EEEEDaST_SU_EUlST_E_NS1_11comp_targetILNS1_3genE9ELNS1_11target_archE1100ELNS1_3gpuE3ELNS1_3repE0EEENS1_30default_config_static_selectorELNS0_4arch9wavefront6targetE1EEEvT1_
	.globl	_ZN7rocprim17ROCPRIM_400000_NS6detail17trampoline_kernelINS0_14default_configENS1_27scan_by_key_config_selectorIxxEEZZNS1_16scan_by_key_implILNS1_25lookback_scan_determinismE0ELb0ES3_N6thrust23THRUST_200600_302600_NS6detail15normal_iteratorINS9_10device_ptrIxEEEESE_SE_xNS9_4plusIxEE19head_flag_predicatexEE10hipError_tPvRmT2_T3_T4_T5_mT6_T7_P12ihipStream_tbENKUlT_T0_E_clISt17integral_constantIbLb0EESX_IbLb1EEEEDaST_SU_EUlST_E_NS1_11comp_targetILNS1_3genE9ELNS1_11target_archE1100ELNS1_3gpuE3ELNS1_3repE0EEENS1_30default_config_static_selectorELNS0_4arch9wavefront6targetE1EEEvT1_
	.p2align	8
	.type	_ZN7rocprim17ROCPRIM_400000_NS6detail17trampoline_kernelINS0_14default_configENS1_27scan_by_key_config_selectorIxxEEZZNS1_16scan_by_key_implILNS1_25lookback_scan_determinismE0ELb0ES3_N6thrust23THRUST_200600_302600_NS6detail15normal_iteratorINS9_10device_ptrIxEEEESE_SE_xNS9_4plusIxEE19head_flag_predicatexEE10hipError_tPvRmT2_T3_T4_T5_mT6_T7_P12ihipStream_tbENKUlT_T0_E_clISt17integral_constantIbLb0EESX_IbLb1EEEEDaST_SU_EUlST_E_NS1_11comp_targetILNS1_3genE9ELNS1_11target_archE1100ELNS1_3gpuE3ELNS1_3repE0EEENS1_30default_config_static_selectorELNS0_4arch9wavefront6targetE1EEEvT1_,@function
_ZN7rocprim17ROCPRIM_400000_NS6detail17trampoline_kernelINS0_14default_configENS1_27scan_by_key_config_selectorIxxEEZZNS1_16scan_by_key_implILNS1_25lookback_scan_determinismE0ELb0ES3_N6thrust23THRUST_200600_302600_NS6detail15normal_iteratorINS9_10device_ptrIxEEEESE_SE_xNS9_4plusIxEE19head_flag_predicatexEE10hipError_tPvRmT2_T3_T4_T5_mT6_T7_P12ihipStream_tbENKUlT_T0_E_clISt17integral_constantIbLb0EESX_IbLb1EEEEDaST_SU_EUlST_E_NS1_11comp_targetILNS1_3genE9ELNS1_11target_archE1100ELNS1_3gpuE3ELNS1_3repE0EEENS1_30default_config_static_selectorELNS0_4arch9wavefront6targetE1EEEvT1_: ; @_ZN7rocprim17ROCPRIM_400000_NS6detail17trampoline_kernelINS0_14default_configENS1_27scan_by_key_config_selectorIxxEEZZNS1_16scan_by_key_implILNS1_25lookback_scan_determinismE0ELb0ES3_N6thrust23THRUST_200600_302600_NS6detail15normal_iteratorINS9_10device_ptrIxEEEESE_SE_xNS9_4plusIxEE19head_flag_predicatexEE10hipError_tPvRmT2_T3_T4_T5_mT6_T7_P12ihipStream_tbENKUlT_T0_E_clISt17integral_constantIbLb0EESX_IbLb1EEEEDaST_SU_EUlST_E_NS1_11comp_targetILNS1_3genE9ELNS1_11target_archE1100ELNS1_3gpuE3ELNS1_3repE0EEENS1_30default_config_static_selectorELNS0_4arch9wavefront6targetE1EEEvT1_
; %bb.0:
	.section	.rodata,"a",@progbits
	.p2align	6, 0x0
	.amdhsa_kernel _ZN7rocprim17ROCPRIM_400000_NS6detail17trampoline_kernelINS0_14default_configENS1_27scan_by_key_config_selectorIxxEEZZNS1_16scan_by_key_implILNS1_25lookback_scan_determinismE0ELb0ES3_N6thrust23THRUST_200600_302600_NS6detail15normal_iteratorINS9_10device_ptrIxEEEESE_SE_xNS9_4plusIxEE19head_flag_predicatexEE10hipError_tPvRmT2_T3_T4_T5_mT6_T7_P12ihipStream_tbENKUlT_T0_E_clISt17integral_constantIbLb0EESX_IbLb1EEEEDaST_SU_EUlST_E_NS1_11comp_targetILNS1_3genE9ELNS1_11target_archE1100ELNS1_3gpuE3ELNS1_3repE0EEENS1_30default_config_static_selectorELNS0_4arch9wavefront6targetE1EEEvT1_
		.amdhsa_group_segment_fixed_size 0
		.amdhsa_private_segment_fixed_size 0
		.amdhsa_kernarg_size 136
		.amdhsa_user_sgpr_count 6
		.amdhsa_user_sgpr_private_segment_buffer 1
		.amdhsa_user_sgpr_dispatch_ptr 0
		.amdhsa_user_sgpr_queue_ptr 0
		.amdhsa_user_sgpr_kernarg_segment_ptr 1
		.amdhsa_user_sgpr_dispatch_id 0
		.amdhsa_user_sgpr_flat_scratch_init 0
		.amdhsa_user_sgpr_kernarg_preload_length 0
		.amdhsa_user_sgpr_kernarg_preload_offset 0
		.amdhsa_user_sgpr_private_segment_size 0
		.amdhsa_uses_dynamic_stack 0
		.amdhsa_system_sgpr_private_segment_wavefront_offset 0
		.amdhsa_system_sgpr_workgroup_id_x 1
		.amdhsa_system_sgpr_workgroup_id_y 0
		.amdhsa_system_sgpr_workgroup_id_z 0
		.amdhsa_system_sgpr_workgroup_info 0
		.amdhsa_system_vgpr_workitem_id 0
		.amdhsa_next_free_vgpr 1
		.amdhsa_next_free_sgpr 0
		.amdhsa_accum_offset 4
		.amdhsa_reserve_vcc 0
		.amdhsa_reserve_flat_scratch 0
		.amdhsa_float_round_mode_32 0
		.amdhsa_float_round_mode_16_64 0
		.amdhsa_float_denorm_mode_32 3
		.amdhsa_float_denorm_mode_16_64 3
		.amdhsa_dx10_clamp 1
		.amdhsa_ieee_mode 1
		.amdhsa_fp16_overflow 0
		.amdhsa_tg_split 0
		.amdhsa_exception_fp_ieee_invalid_op 0
		.amdhsa_exception_fp_denorm_src 0
		.amdhsa_exception_fp_ieee_div_zero 0
		.amdhsa_exception_fp_ieee_overflow 0
		.amdhsa_exception_fp_ieee_underflow 0
		.amdhsa_exception_fp_ieee_inexact 0
		.amdhsa_exception_int_div_zero 0
	.end_amdhsa_kernel
	.section	.text._ZN7rocprim17ROCPRIM_400000_NS6detail17trampoline_kernelINS0_14default_configENS1_27scan_by_key_config_selectorIxxEEZZNS1_16scan_by_key_implILNS1_25lookback_scan_determinismE0ELb0ES3_N6thrust23THRUST_200600_302600_NS6detail15normal_iteratorINS9_10device_ptrIxEEEESE_SE_xNS9_4plusIxEE19head_flag_predicatexEE10hipError_tPvRmT2_T3_T4_T5_mT6_T7_P12ihipStream_tbENKUlT_T0_E_clISt17integral_constantIbLb0EESX_IbLb1EEEEDaST_SU_EUlST_E_NS1_11comp_targetILNS1_3genE9ELNS1_11target_archE1100ELNS1_3gpuE3ELNS1_3repE0EEENS1_30default_config_static_selectorELNS0_4arch9wavefront6targetE1EEEvT1_,"axG",@progbits,_ZN7rocprim17ROCPRIM_400000_NS6detail17trampoline_kernelINS0_14default_configENS1_27scan_by_key_config_selectorIxxEEZZNS1_16scan_by_key_implILNS1_25lookback_scan_determinismE0ELb0ES3_N6thrust23THRUST_200600_302600_NS6detail15normal_iteratorINS9_10device_ptrIxEEEESE_SE_xNS9_4plusIxEE19head_flag_predicatexEE10hipError_tPvRmT2_T3_T4_T5_mT6_T7_P12ihipStream_tbENKUlT_T0_E_clISt17integral_constantIbLb0EESX_IbLb1EEEEDaST_SU_EUlST_E_NS1_11comp_targetILNS1_3genE9ELNS1_11target_archE1100ELNS1_3gpuE3ELNS1_3repE0EEENS1_30default_config_static_selectorELNS0_4arch9wavefront6targetE1EEEvT1_,comdat
.Lfunc_end711:
	.size	_ZN7rocprim17ROCPRIM_400000_NS6detail17trampoline_kernelINS0_14default_configENS1_27scan_by_key_config_selectorIxxEEZZNS1_16scan_by_key_implILNS1_25lookback_scan_determinismE0ELb0ES3_N6thrust23THRUST_200600_302600_NS6detail15normal_iteratorINS9_10device_ptrIxEEEESE_SE_xNS9_4plusIxEE19head_flag_predicatexEE10hipError_tPvRmT2_T3_T4_T5_mT6_T7_P12ihipStream_tbENKUlT_T0_E_clISt17integral_constantIbLb0EESX_IbLb1EEEEDaST_SU_EUlST_E_NS1_11comp_targetILNS1_3genE9ELNS1_11target_archE1100ELNS1_3gpuE3ELNS1_3repE0EEENS1_30default_config_static_selectorELNS0_4arch9wavefront6targetE1EEEvT1_, .Lfunc_end711-_ZN7rocprim17ROCPRIM_400000_NS6detail17trampoline_kernelINS0_14default_configENS1_27scan_by_key_config_selectorIxxEEZZNS1_16scan_by_key_implILNS1_25lookback_scan_determinismE0ELb0ES3_N6thrust23THRUST_200600_302600_NS6detail15normal_iteratorINS9_10device_ptrIxEEEESE_SE_xNS9_4plusIxEE19head_flag_predicatexEE10hipError_tPvRmT2_T3_T4_T5_mT6_T7_P12ihipStream_tbENKUlT_T0_E_clISt17integral_constantIbLb0EESX_IbLb1EEEEDaST_SU_EUlST_E_NS1_11comp_targetILNS1_3genE9ELNS1_11target_archE1100ELNS1_3gpuE3ELNS1_3repE0EEENS1_30default_config_static_selectorELNS0_4arch9wavefront6targetE1EEEvT1_
                                        ; -- End function
	.section	.AMDGPU.csdata,"",@progbits
; Kernel info:
; codeLenInByte = 0
; NumSgprs: 4
; NumVgprs: 0
; NumAgprs: 0
; TotalNumVgprs: 0
; ScratchSize: 0
; MemoryBound: 0
; FloatMode: 240
; IeeeMode: 1
; LDSByteSize: 0 bytes/workgroup (compile time only)
; SGPRBlocks: 0
; VGPRBlocks: 0
; NumSGPRsForWavesPerEU: 4
; NumVGPRsForWavesPerEU: 1
; AccumOffset: 4
; Occupancy: 8
; WaveLimiterHint : 0
; COMPUTE_PGM_RSRC2:SCRATCH_EN: 0
; COMPUTE_PGM_RSRC2:USER_SGPR: 6
; COMPUTE_PGM_RSRC2:TRAP_HANDLER: 0
; COMPUTE_PGM_RSRC2:TGID_X_EN: 1
; COMPUTE_PGM_RSRC2:TGID_Y_EN: 0
; COMPUTE_PGM_RSRC2:TGID_Z_EN: 0
; COMPUTE_PGM_RSRC2:TIDIG_COMP_CNT: 0
; COMPUTE_PGM_RSRC3_GFX90A:ACCUM_OFFSET: 0
; COMPUTE_PGM_RSRC3_GFX90A:TG_SPLIT: 0
	.section	.text._ZN7rocprim17ROCPRIM_400000_NS6detail17trampoline_kernelINS0_14default_configENS1_27scan_by_key_config_selectorIxxEEZZNS1_16scan_by_key_implILNS1_25lookback_scan_determinismE0ELb0ES3_N6thrust23THRUST_200600_302600_NS6detail15normal_iteratorINS9_10device_ptrIxEEEESE_SE_xNS9_4plusIxEE19head_flag_predicatexEE10hipError_tPvRmT2_T3_T4_T5_mT6_T7_P12ihipStream_tbENKUlT_T0_E_clISt17integral_constantIbLb0EESX_IbLb1EEEEDaST_SU_EUlST_E_NS1_11comp_targetILNS1_3genE8ELNS1_11target_archE1030ELNS1_3gpuE2ELNS1_3repE0EEENS1_30default_config_static_selectorELNS0_4arch9wavefront6targetE1EEEvT1_,"axG",@progbits,_ZN7rocprim17ROCPRIM_400000_NS6detail17trampoline_kernelINS0_14default_configENS1_27scan_by_key_config_selectorIxxEEZZNS1_16scan_by_key_implILNS1_25lookback_scan_determinismE0ELb0ES3_N6thrust23THRUST_200600_302600_NS6detail15normal_iteratorINS9_10device_ptrIxEEEESE_SE_xNS9_4plusIxEE19head_flag_predicatexEE10hipError_tPvRmT2_T3_T4_T5_mT6_T7_P12ihipStream_tbENKUlT_T0_E_clISt17integral_constantIbLb0EESX_IbLb1EEEEDaST_SU_EUlST_E_NS1_11comp_targetILNS1_3genE8ELNS1_11target_archE1030ELNS1_3gpuE2ELNS1_3repE0EEENS1_30default_config_static_selectorELNS0_4arch9wavefront6targetE1EEEvT1_,comdat
	.protected	_ZN7rocprim17ROCPRIM_400000_NS6detail17trampoline_kernelINS0_14default_configENS1_27scan_by_key_config_selectorIxxEEZZNS1_16scan_by_key_implILNS1_25lookback_scan_determinismE0ELb0ES3_N6thrust23THRUST_200600_302600_NS6detail15normal_iteratorINS9_10device_ptrIxEEEESE_SE_xNS9_4plusIxEE19head_flag_predicatexEE10hipError_tPvRmT2_T3_T4_T5_mT6_T7_P12ihipStream_tbENKUlT_T0_E_clISt17integral_constantIbLb0EESX_IbLb1EEEEDaST_SU_EUlST_E_NS1_11comp_targetILNS1_3genE8ELNS1_11target_archE1030ELNS1_3gpuE2ELNS1_3repE0EEENS1_30default_config_static_selectorELNS0_4arch9wavefront6targetE1EEEvT1_ ; -- Begin function _ZN7rocprim17ROCPRIM_400000_NS6detail17trampoline_kernelINS0_14default_configENS1_27scan_by_key_config_selectorIxxEEZZNS1_16scan_by_key_implILNS1_25lookback_scan_determinismE0ELb0ES3_N6thrust23THRUST_200600_302600_NS6detail15normal_iteratorINS9_10device_ptrIxEEEESE_SE_xNS9_4plusIxEE19head_flag_predicatexEE10hipError_tPvRmT2_T3_T4_T5_mT6_T7_P12ihipStream_tbENKUlT_T0_E_clISt17integral_constantIbLb0EESX_IbLb1EEEEDaST_SU_EUlST_E_NS1_11comp_targetILNS1_3genE8ELNS1_11target_archE1030ELNS1_3gpuE2ELNS1_3repE0EEENS1_30default_config_static_selectorELNS0_4arch9wavefront6targetE1EEEvT1_
	.globl	_ZN7rocprim17ROCPRIM_400000_NS6detail17trampoline_kernelINS0_14default_configENS1_27scan_by_key_config_selectorIxxEEZZNS1_16scan_by_key_implILNS1_25lookback_scan_determinismE0ELb0ES3_N6thrust23THRUST_200600_302600_NS6detail15normal_iteratorINS9_10device_ptrIxEEEESE_SE_xNS9_4plusIxEE19head_flag_predicatexEE10hipError_tPvRmT2_T3_T4_T5_mT6_T7_P12ihipStream_tbENKUlT_T0_E_clISt17integral_constantIbLb0EESX_IbLb1EEEEDaST_SU_EUlST_E_NS1_11comp_targetILNS1_3genE8ELNS1_11target_archE1030ELNS1_3gpuE2ELNS1_3repE0EEENS1_30default_config_static_selectorELNS0_4arch9wavefront6targetE1EEEvT1_
	.p2align	8
	.type	_ZN7rocprim17ROCPRIM_400000_NS6detail17trampoline_kernelINS0_14default_configENS1_27scan_by_key_config_selectorIxxEEZZNS1_16scan_by_key_implILNS1_25lookback_scan_determinismE0ELb0ES3_N6thrust23THRUST_200600_302600_NS6detail15normal_iteratorINS9_10device_ptrIxEEEESE_SE_xNS9_4plusIxEE19head_flag_predicatexEE10hipError_tPvRmT2_T3_T4_T5_mT6_T7_P12ihipStream_tbENKUlT_T0_E_clISt17integral_constantIbLb0EESX_IbLb1EEEEDaST_SU_EUlST_E_NS1_11comp_targetILNS1_3genE8ELNS1_11target_archE1030ELNS1_3gpuE2ELNS1_3repE0EEENS1_30default_config_static_selectorELNS0_4arch9wavefront6targetE1EEEvT1_,@function
_ZN7rocprim17ROCPRIM_400000_NS6detail17trampoline_kernelINS0_14default_configENS1_27scan_by_key_config_selectorIxxEEZZNS1_16scan_by_key_implILNS1_25lookback_scan_determinismE0ELb0ES3_N6thrust23THRUST_200600_302600_NS6detail15normal_iteratorINS9_10device_ptrIxEEEESE_SE_xNS9_4plusIxEE19head_flag_predicatexEE10hipError_tPvRmT2_T3_T4_T5_mT6_T7_P12ihipStream_tbENKUlT_T0_E_clISt17integral_constantIbLb0EESX_IbLb1EEEEDaST_SU_EUlST_E_NS1_11comp_targetILNS1_3genE8ELNS1_11target_archE1030ELNS1_3gpuE2ELNS1_3repE0EEENS1_30default_config_static_selectorELNS0_4arch9wavefront6targetE1EEEvT1_: ; @_ZN7rocprim17ROCPRIM_400000_NS6detail17trampoline_kernelINS0_14default_configENS1_27scan_by_key_config_selectorIxxEEZZNS1_16scan_by_key_implILNS1_25lookback_scan_determinismE0ELb0ES3_N6thrust23THRUST_200600_302600_NS6detail15normal_iteratorINS9_10device_ptrIxEEEESE_SE_xNS9_4plusIxEE19head_flag_predicatexEE10hipError_tPvRmT2_T3_T4_T5_mT6_T7_P12ihipStream_tbENKUlT_T0_E_clISt17integral_constantIbLb0EESX_IbLb1EEEEDaST_SU_EUlST_E_NS1_11comp_targetILNS1_3genE8ELNS1_11target_archE1030ELNS1_3gpuE2ELNS1_3repE0EEENS1_30default_config_static_selectorELNS0_4arch9wavefront6targetE1EEEvT1_
; %bb.0:
	.section	.rodata,"a",@progbits
	.p2align	6, 0x0
	.amdhsa_kernel _ZN7rocprim17ROCPRIM_400000_NS6detail17trampoline_kernelINS0_14default_configENS1_27scan_by_key_config_selectorIxxEEZZNS1_16scan_by_key_implILNS1_25lookback_scan_determinismE0ELb0ES3_N6thrust23THRUST_200600_302600_NS6detail15normal_iteratorINS9_10device_ptrIxEEEESE_SE_xNS9_4plusIxEE19head_flag_predicatexEE10hipError_tPvRmT2_T3_T4_T5_mT6_T7_P12ihipStream_tbENKUlT_T0_E_clISt17integral_constantIbLb0EESX_IbLb1EEEEDaST_SU_EUlST_E_NS1_11comp_targetILNS1_3genE8ELNS1_11target_archE1030ELNS1_3gpuE2ELNS1_3repE0EEENS1_30default_config_static_selectorELNS0_4arch9wavefront6targetE1EEEvT1_
		.amdhsa_group_segment_fixed_size 0
		.amdhsa_private_segment_fixed_size 0
		.amdhsa_kernarg_size 136
		.amdhsa_user_sgpr_count 6
		.amdhsa_user_sgpr_private_segment_buffer 1
		.amdhsa_user_sgpr_dispatch_ptr 0
		.amdhsa_user_sgpr_queue_ptr 0
		.amdhsa_user_sgpr_kernarg_segment_ptr 1
		.amdhsa_user_sgpr_dispatch_id 0
		.amdhsa_user_sgpr_flat_scratch_init 0
		.amdhsa_user_sgpr_kernarg_preload_length 0
		.amdhsa_user_sgpr_kernarg_preload_offset 0
		.amdhsa_user_sgpr_private_segment_size 0
		.amdhsa_uses_dynamic_stack 0
		.amdhsa_system_sgpr_private_segment_wavefront_offset 0
		.amdhsa_system_sgpr_workgroup_id_x 1
		.amdhsa_system_sgpr_workgroup_id_y 0
		.amdhsa_system_sgpr_workgroup_id_z 0
		.amdhsa_system_sgpr_workgroup_info 0
		.amdhsa_system_vgpr_workitem_id 0
		.amdhsa_next_free_vgpr 1
		.amdhsa_next_free_sgpr 0
		.amdhsa_accum_offset 4
		.amdhsa_reserve_vcc 0
		.amdhsa_reserve_flat_scratch 0
		.amdhsa_float_round_mode_32 0
		.amdhsa_float_round_mode_16_64 0
		.amdhsa_float_denorm_mode_32 3
		.amdhsa_float_denorm_mode_16_64 3
		.amdhsa_dx10_clamp 1
		.amdhsa_ieee_mode 1
		.amdhsa_fp16_overflow 0
		.amdhsa_tg_split 0
		.amdhsa_exception_fp_ieee_invalid_op 0
		.amdhsa_exception_fp_denorm_src 0
		.amdhsa_exception_fp_ieee_div_zero 0
		.amdhsa_exception_fp_ieee_overflow 0
		.amdhsa_exception_fp_ieee_underflow 0
		.amdhsa_exception_fp_ieee_inexact 0
		.amdhsa_exception_int_div_zero 0
	.end_amdhsa_kernel
	.section	.text._ZN7rocprim17ROCPRIM_400000_NS6detail17trampoline_kernelINS0_14default_configENS1_27scan_by_key_config_selectorIxxEEZZNS1_16scan_by_key_implILNS1_25lookback_scan_determinismE0ELb0ES3_N6thrust23THRUST_200600_302600_NS6detail15normal_iteratorINS9_10device_ptrIxEEEESE_SE_xNS9_4plusIxEE19head_flag_predicatexEE10hipError_tPvRmT2_T3_T4_T5_mT6_T7_P12ihipStream_tbENKUlT_T0_E_clISt17integral_constantIbLb0EESX_IbLb1EEEEDaST_SU_EUlST_E_NS1_11comp_targetILNS1_3genE8ELNS1_11target_archE1030ELNS1_3gpuE2ELNS1_3repE0EEENS1_30default_config_static_selectorELNS0_4arch9wavefront6targetE1EEEvT1_,"axG",@progbits,_ZN7rocprim17ROCPRIM_400000_NS6detail17trampoline_kernelINS0_14default_configENS1_27scan_by_key_config_selectorIxxEEZZNS1_16scan_by_key_implILNS1_25lookback_scan_determinismE0ELb0ES3_N6thrust23THRUST_200600_302600_NS6detail15normal_iteratorINS9_10device_ptrIxEEEESE_SE_xNS9_4plusIxEE19head_flag_predicatexEE10hipError_tPvRmT2_T3_T4_T5_mT6_T7_P12ihipStream_tbENKUlT_T0_E_clISt17integral_constantIbLb0EESX_IbLb1EEEEDaST_SU_EUlST_E_NS1_11comp_targetILNS1_3genE8ELNS1_11target_archE1030ELNS1_3gpuE2ELNS1_3repE0EEENS1_30default_config_static_selectorELNS0_4arch9wavefront6targetE1EEEvT1_,comdat
.Lfunc_end712:
	.size	_ZN7rocprim17ROCPRIM_400000_NS6detail17trampoline_kernelINS0_14default_configENS1_27scan_by_key_config_selectorIxxEEZZNS1_16scan_by_key_implILNS1_25lookback_scan_determinismE0ELb0ES3_N6thrust23THRUST_200600_302600_NS6detail15normal_iteratorINS9_10device_ptrIxEEEESE_SE_xNS9_4plusIxEE19head_flag_predicatexEE10hipError_tPvRmT2_T3_T4_T5_mT6_T7_P12ihipStream_tbENKUlT_T0_E_clISt17integral_constantIbLb0EESX_IbLb1EEEEDaST_SU_EUlST_E_NS1_11comp_targetILNS1_3genE8ELNS1_11target_archE1030ELNS1_3gpuE2ELNS1_3repE0EEENS1_30default_config_static_selectorELNS0_4arch9wavefront6targetE1EEEvT1_, .Lfunc_end712-_ZN7rocprim17ROCPRIM_400000_NS6detail17trampoline_kernelINS0_14default_configENS1_27scan_by_key_config_selectorIxxEEZZNS1_16scan_by_key_implILNS1_25lookback_scan_determinismE0ELb0ES3_N6thrust23THRUST_200600_302600_NS6detail15normal_iteratorINS9_10device_ptrIxEEEESE_SE_xNS9_4plusIxEE19head_flag_predicatexEE10hipError_tPvRmT2_T3_T4_T5_mT6_T7_P12ihipStream_tbENKUlT_T0_E_clISt17integral_constantIbLb0EESX_IbLb1EEEEDaST_SU_EUlST_E_NS1_11comp_targetILNS1_3genE8ELNS1_11target_archE1030ELNS1_3gpuE2ELNS1_3repE0EEENS1_30default_config_static_selectorELNS0_4arch9wavefront6targetE1EEEvT1_
                                        ; -- End function
	.section	.AMDGPU.csdata,"",@progbits
; Kernel info:
; codeLenInByte = 0
; NumSgprs: 4
; NumVgprs: 0
; NumAgprs: 0
; TotalNumVgprs: 0
; ScratchSize: 0
; MemoryBound: 0
; FloatMode: 240
; IeeeMode: 1
; LDSByteSize: 0 bytes/workgroup (compile time only)
; SGPRBlocks: 0
; VGPRBlocks: 0
; NumSGPRsForWavesPerEU: 4
; NumVGPRsForWavesPerEU: 1
; AccumOffset: 4
; Occupancy: 8
; WaveLimiterHint : 0
; COMPUTE_PGM_RSRC2:SCRATCH_EN: 0
; COMPUTE_PGM_RSRC2:USER_SGPR: 6
; COMPUTE_PGM_RSRC2:TRAP_HANDLER: 0
; COMPUTE_PGM_RSRC2:TGID_X_EN: 1
; COMPUTE_PGM_RSRC2:TGID_Y_EN: 0
; COMPUTE_PGM_RSRC2:TGID_Z_EN: 0
; COMPUTE_PGM_RSRC2:TIDIG_COMP_CNT: 0
; COMPUTE_PGM_RSRC3_GFX90A:ACCUM_OFFSET: 0
; COMPUTE_PGM_RSRC3_GFX90A:TG_SPLIT: 0
	.section	.text._ZN7rocprim17ROCPRIM_400000_NS6detail17trampoline_kernelINS0_14default_configENS1_27scan_by_key_config_selectorIxxEEZZNS1_16scan_by_key_implILNS1_25lookback_scan_determinismE0ELb1ES3_N6thrust23THRUST_200600_302600_NS6detail15normal_iteratorINS9_10device_ptrIxEEEESE_SE_xNS9_4plusIxEE19head_flag_predicatexEE10hipError_tPvRmT2_T3_T4_T5_mT6_T7_P12ihipStream_tbENKUlT_T0_E_clISt17integral_constantIbLb0EESY_EEDaST_SU_EUlST_E_NS1_11comp_targetILNS1_3genE0ELNS1_11target_archE4294967295ELNS1_3gpuE0ELNS1_3repE0EEENS1_30default_config_static_selectorELNS0_4arch9wavefront6targetE1EEEvT1_,"axG",@progbits,_ZN7rocprim17ROCPRIM_400000_NS6detail17trampoline_kernelINS0_14default_configENS1_27scan_by_key_config_selectorIxxEEZZNS1_16scan_by_key_implILNS1_25lookback_scan_determinismE0ELb1ES3_N6thrust23THRUST_200600_302600_NS6detail15normal_iteratorINS9_10device_ptrIxEEEESE_SE_xNS9_4plusIxEE19head_flag_predicatexEE10hipError_tPvRmT2_T3_T4_T5_mT6_T7_P12ihipStream_tbENKUlT_T0_E_clISt17integral_constantIbLb0EESY_EEDaST_SU_EUlST_E_NS1_11comp_targetILNS1_3genE0ELNS1_11target_archE4294967295ELNS1_3gpuE0ELNS1_3repE0EEENS1_30default_config_static_selectorELNS0_4arch9wavefront6targetE1EEEvT1_,comdat
	.protected	_ZN7rocprim17ROCPRIM_400000_NS6detail17trampoline_kernelINS0_14default_configENS1_27scan_by_key_config_selectorIxxEEZZNS1_16scan_by_key_implILNS1_25lookback_scan_determinismE0ELb1ES3_N6thrust23THRUST_200600_302600_NS6detail15normal_iteratorINS9_10device_ptrIxEEEESE_SE_xNS9_4plusIxEE19head_flag_predicatexEE10hipError_tPvRmT2_T3_T4_T5_mT6_T7_P12ihipStream_tbENKUlT_T0_E_clISt17integral_constantIbLb0EESY_EEDaST_SU_EUlST_E_NS1_11comp_targetILNS1_3genE0ELNS1_11target_archE4294967295ELNS1_3gpuE0ELNS1_3repE0EEENS1_30default_config_static_selectorELNS0_4arch9wavefront6targetE1EEEvT1_ ; -- Begin function _ZN7rocprim17ROCPRIM_400000_NS6detail17trampoline_kernelINS0_14default_configENS1_27scan_by_key_config_selectorIxxEEZZNS1_16scan_by_key_implILNS1_25lookback_scan_determinismE0ELb1ES3_N6thrust23THRUST_200600_302600_NS6detail15normal_iteratorINS9_10device_ptrIxEEEESE_SE_xNS9_4plusIxEE19head_flag_predicatexEE10hipError_tPvRmT2_T3_T4_T5_mT6_T7_P12ihipStream_tbENKUlT_T0_E_clISt17integral_constantIbLb0EESY_EEDaST_SU_EUlST_E_NS1_11comp_targetILNS1_3genE0ELNS1_11target_archE4294967295ELNS1_3gpuE0ELNS1_3repE0EEENS1_30default_config_static_selectorELNS0_4arch9wavefront6targetE1EEEvT1_
	.globl	_ZN7rocprim17ROCPRIM_400000_NS6detail17trampoline_kernelINS0_14default_configENS1_27scan_by_key_config_selectorIxxEEZZNS1_16scan_by_key_implILNS1_25lookback_scan_determinismE0ELb1ES3_N6thrust23THRUST_200600_302600_NS6detail15normal_iteratorINS9_10device_ptrIxEEEESE_SE_xNS9_4plusIxEE19head_flag_predicatexEE10hipError_tPvRmT2_T3_T4_T5_mT6_T7_P12ihipStream_tbENKUlT_T0_E_clISt17integral_constantIbLb0EESY_EEDaST_SU_EUlST_E_NS1_11comp_targetILNS1_3genE0ELNS1_11target_archE4294967295ELNS1_3gpuE0ELNS1_3repE0EEENS1_30default_config_static_selectorELNS0_4arch9wavefront6targetE1EEEvT1_
	.p2align	8
	.type	_ZN7rocprim17ROCPRIM_400000_NS6detail17trampoline_kernelINS0_14default_configENS1_27scan_by_key_config_selectorIxxEEZZNS1_16scan_by_key_implILNS1_25lookback_scan_determinismE0ELb1ES3_N6thrust23THRUST_200600_302600_NS6detail15normal_iteratorINS9_10device_ptrIxEEEESE_SE_xNS9_4plusIxEE19head_flag_predicatexEE10hipError_tPvRmT2_T3_T4_T5_mT6_T7_P12ihipStream_tbENKUlT_T0_E_clISt17integral_constantIbLb0EESY_EEDaST_SU_EUlST_E_NS1_11comp_targetILNS1_3genE0ELNS1_11target_archE4294967295ELNS1_3gpuE0ELNS1_3repE0EEENS1_30default_config_static_selectorELNS0_4arch9wavefront6targetE1EEEvT1_,@function
_ZN7rocprim17ROCPRIM_400000_NS6detail17trampoline_kernelINS0_14default_configENS1_27scan_by_key_config_selectorIxxEEZZNS1_16scan_by_key_implILNS1_25lookback_scan_determinismE0ELb1ES3_N6thrust23THRUST_200600_302600_NS6detail15normal_iteratorINS9_10device_ptrIxEEEESE_SE_xNS9_4plusIxEE19head_flag_predicatexEE10hipError_tPvRmT2_T3_T4_T5_mT6_T7_P12ihipStream_tbENKUlT_T0_E_clISt17integral_constantIbLb0EESY_EEDaST_SU_EUlST_E_NS1_11comp_targetILNS1_3genE0ELNS1_11target_archE4294967295ELNS1_3gpuE0ELNS1_3repE0EEENS1_30default_config_static_selectorELNS0_4arch9wavefront6targetE1EEEvT1_: ; @_ZN7rocprim17ROCPRIM_400000_NS6detail17trampoline_kernelINS0_14default_configENS1_27scan_by_key_config_selectorIxxEEZZNS1_16scan_by_key_implILNS1_25lookback_scan_determinismE0ELb1ES3_N6thrust23THRUST_200600_302600_NS6detail15normal_iteratorINS9_10device_ptrIxEEEESE_SE_xNS9_4plusIxEE19head_flag_predicatexEE10hipError_tPvRmT2_T3_T4_T5_mT6_T7_P12ihipStream_tbENKUlT_T0_E_clISt17integral_constantIbLb0EESY_EEDaST_SU_EUlST_E_NS1_11comp_targetILNS1_3genE0ELNS1_11target_archE4294967295ELNS1_3gpuE0ELNS1_3repE0EEENS1_30default_config_static_selectorELNS0_4arch9wavefront6targetE1EEEvT1_
; %bb.0:
	.section	.rodata,"a",@progbits
	.p2align	6, 0x0
	.amdhsa_kernel _ZN7rocprim17ROCPRIM_400000_NS6detail17trampoline_kernelINS0_14default_configENS1_27scan_by_key_config_selectorIxxEEZZNS1_16scan_by_key_implILNS1_25lookback_scan_determinismE0ELb1ES3_N6thrust23THRUST_200600_302600_NS6detail15normal_iteratorINS9_10device_ptrIxEEEESE_SE_xNS9_4plusIxEE19head_flag_predicatexEE10hipError_tPvRmT2_T3_T4_T5_mT6_T7_P12ihipStream_tbENKUlT_T0_E_clISt17integral_constantIbLb0EESY_EEDaST_SU_EUlST_E_NS1_11comp_targetILNS1_3genE0ELNS1_11target_archE4294967295ELNS1_3gpuE0ELNS1_3repE0EEENS1_30default_config_static_selectorELNS0_4arch9wavefront6targetE1EEEvT1_
		.amdhsa_group_segment_fixed_size 0
		.amdhsa_private_segment_fixed_size 0
		.amdhsa_kernarg_size 136
		.amdhsa_user_sgpr_count 6
		.amdhsa_user_sgpr_private_segment_buffer 1
		.amdhsa_user_sgpr_dispatch_ptr 0
		.amdhsa_user_sgpr_queue_ptr 0
		.amdhsa_user_sgpr_kernarg_segment_ptr 1
		.amdhsa_user_sgpr_dispatch_id 0
		.amdhsa_user_sgpr_flat_scratch_init 0
		.amdhsa_user_sgpr_kernarg_preload_length 0
		.amdhsa_user_sgpr_kernarg_preload_offset 0
		.amdhsa_user_sgpr_private_segment_size 0
		.amdhsa_uses_dynamic_stack 0
		.amdhsa_system_sgpr_private_segment_wavefront_offset 0
		.amdhsa_system_sgpr_workgroup_id_x 1
		.amdhsa_system_sgpr_workgroup_id_y 0
		.amdhsa_system_sgpr_workgroup_id_z 0
		.amdhsa_system_sgpr_workgroup_info 0
		.amdhsa_system_vgpr_workitem_id 0
		.amdhsa_next_free_vgpr 1
		.amdhsa_next_free_sgpr 0
		.amdhsa_accum_offset 4
		.amdhsa_reserve_vcc 0
		.amdhsa_reserve_flat_scratch 0
		.amdhsa_float_round_mode_32 0
		.amdhsa_float_round_mode_16_64 0
		.amdhsa_float_denorm_mode_32 3
		.amdhsa_float_denorm_mode_16_64 3
		.amdhsa_dx10_clamp 1
		.amdhsa_ieee_mode 1
		.amdhsa_fp16_overflow 0
		.amdhsa_tg_split 0
		.amdhsa_exception_fp_ieee_invalid_op 0
		.amdhsa_exception_fp_denorm_src 0
		.amdhsa_exception_fp_ieee_div_zero 0
		.amdhsa_exception_fp_ieee_overflow 0
		.amdhsa_exception_fp_ieee_underflow 0
		.amdhsa_exception_fp_ieee_inexact 0
		.amdhsa_exception_int_div_zero 0
	.end_amdhsa_kernel
	.section	.text._ZN7rocprim17ROCPRIM_400000_NS6detail17trampoline_kernelINS0_14default_configENS1_27scan_by_key_config_selectorIxxEEZZNS1_16scan_by_key_implILNS1_25lookback_scan_determinismE0ELb1ES3_N6thrust23THRUST_200600_302600_NS6detail15normal_iteratorINS9_10device_ptrIxEEEESE_SE_xNS9_4plusIxEE19head_flag_predicatexEE10hipError_tPvRmT2_T3_T4_T5_mT6_T7_P12ihipStream_tbENKUlT_T0_E_clISt17integral_constantIbLb0EESY_EEDaST_SU_EUlST_E_NS1_11comp_targetILNS1_3genE0ELNS1_11target_archE4294967295ELNS1_3gpuE0ELNS1_3repE0EEENS1_30default_config_static_selectorELNS0_4arch9wavefront6targetE1EEEvT1_,"axG",@progbits,_ZN7rocprim17ROCPRIM_400000_NS6detail17trampoline_kernelINS0_14default_configENS1_27scan_by_key_config_selectorIxxEEZZNS1_16scan_by_key_implILNS1_25lookback_scan_determinismE0ELb1ES3_N6thrust23THRUST_200600_302600_NS6detail15normal_iteratorINS9_10device_ptrIxEEEESE_SE_xNS9_4plusIxEE19head_flag_predicatexEE10hipError_tPvRmT2_T3_T4_T5_mT6_T7_P12ihipStream_tbENKUlT_T0_E_clISt17integral_constantIbLb0EESY_EEDaST_SU_EUlST_E_NS1_11comp_targetILNS1_3genE0ELNS1_11target_archE4294967295ELNS1_3gpuE0ELNS1_3repE0EEENS1_30default_config_static_selectorELNS0_4arch9wavefront6targetE1EEEvT1_,comdat
.Lfunc_end713:
	.size	_ZN7rocprim17ROCPRIM_400000_NS6detail17trampoline_kernelINS0_14default_configENS1_27scan_by_key_config_selectorIxxEEZZNS1_16scan_by_key_implILNS1_25lookback_scan_determinismE0ELb1ES3_N6thrust23THRUST_200600_302600_NS6detail15normal_iteratorINS9_10device_ptrIxEEEESE_SE_xNS9_4plusIxEE19head_flag_predicatexEE10hipError_tPvRmT2_T3_T4_T5_mT6_T7_P12ihipStream_tbENKUlT_T0_E_clISt17integral_constantIbLb0EESY_EEDaST_SU_EUlST_E_NS1_11comp_targetILNS1_3genE0ELNS1_11target_archE4294967295ELNS1_3gpuE0ELNS1_3repE0EEENS1_30default_config_static_selectorELNS0_4arch9wavefront6targetE1EEEvT1_, .Lfunc_end713-_ZN7rocprim17ROCPRIM_400000_NS6detail17trampoline_kernelINS0_14default_configENS1_27scan_by_key_config_selectorIxxEEZZNS1_16scan_by_key_implILNS1_25lookback_scan_determinismE0ELb1ES3_N6thrust23THRUST_200600_302600_NS6detail15normal_iteratorINS9_10device_ptrIxEEEESE_SE_xNS9_4plusIxEE19head_flag_predicatexEE10hipError_tPvRmT2_T3_T4_T5_mT6_T7_P12ihipStream_tbENKUlT_T0_E_clISt17integral_constantIbLb0EESY_EEDaST_SU_EUlST_E_NS1_11comp_targetILNS1_3genE0ELNS1_11target_archE4294967295ELNS1_3gpuE0ELNS1_3repE0EEENS1_30default_config_static_selectorELNS0_4arch9wavefront6targetE1EEEvT1_
                                        ; -- End function
	.section	.AMDGPU.csdata,"",@progbits
; Kernel info:
; codeLenInByte = 0
; NumSgprs: 4
; NumVgprs: 0
; NumAgprs: 0
; TotalNumVgprs: 0
; ScratchSize: 0
; MemoryBound: 0
; FloatMode: 240
; IeeeMode: 1
; LDSByteSize: 0 bytes/workgroup (compile time only)
; SGPRBlocks: 0
; VGPRBlocks: 0
; NumSGPRsForWavesPerEU: 4
; NumVGPRsForWavesPerEU: 1
; AccumOffset: 4
; Occupancy: 8
; WaveLimiterHint : 0
; COMPUTE_PGM_RSRC2:SCRATCH_EN: 0
; COMPUTE_PGM_RSRC2:USER_SGPR: 6
; COMPUTE_PGM_RSRC2:TRAP_HANDLER: 0
; COMPUTE_PGM_RSRC2:TGID_X_EN: 1
; COMPUTE_PGM_RSRC2:TGID_Y_EN: 0
; COMPUTE_PGM_RSRC2:TGID_Z_EN: 0
; COMPUTE_PGM_RSRC2:TIDIG_COMP_CNT: 0
; COMPUTE_PGM_RSRC3_GFX90A:ACCUM_OFFSET: 0
; COMPUTE_PGM_RSRC3_GFX90A:TG_SPLIT: 0
	.section	.text._ZN7rocprim17ROCPRIM_400000_NS6detail17trampoline_kernelINS0_14default_configENS1_27scan_by_key_config_selectorIxxEEZZNS1_16scan_by_key_implILNS1_25lookback_scan_determinismE0ELb1ES3_N6thrust23THRUST_200600_302600_NS6detail15normal_iteratorINS9_10device_ptrIxEEEESE_SE_xNS9_4plusIxEE19head_flag_predicatexEE10hipError_tPvRmT2_T3_T4_T5_mT6_T7_P12ihipStream_tbENKUlT_T0_E_clISt17integral_constantIbLb0EESY_EEDaST_SU_EUlST_E_NS1_11comp_targetILNS1_3genE10ELNS1_11target_archE1201ELNS1_3gpuE5ELNS1_3repE0EEENS1_30default_config_static_selectorELNS0_4arch9wavefront6targetE1EEEvT1_,"axG",@progbits,_ZN7rocprim17ROCPRIM_400000_NS6detail17trampoline_kernelINS0_14default_configENS1_27scan_by_key_config_selectorIxxEEZZNS1_16scan_by_key_implILNS1_25lookback_scan_determinismE0ELb1ES3_N6thrust23THRUST_200600_302600_NS6detail15normal_iteratorINS9_10device_ptrIxEEEESE_SE_xNS9_4plusIxEE19head_flag_predicatexEE10hipError_tPvRmT2_T3_T4_T5_mT6_T7_P12ihipStream_tbENKUlT_T0_E_clISt17integral_constantIbLb0EESY_EEDaST_SU_EUlST_E_NS1_11comp_targetILNS1_3genE10ELNS1_11target_archE1201ELNS1_3gpuE5ELNS1_3repE0EEENS1_30default_config_static_selectorELNS0_4arch9wavefront6targetE1EEEvT1_,comdat
	.protected	_ZN7rocprim17ROCPRIM_400000_NS6detail17trampoline_kernelINS0_14default_configENS1_27scan_by_key_config_selectorIxxEEZZNS1_16scan_by_key_implILNS1_25lookback_scan_determinismE0ELb1ES3_N6thrust23THRUST_200600_302600_NS6detail15normal_iteratorINS9_10device_ptrIxEEEESE_SE_xNS9_4plusIxEE19head_flag_predicatexEE10hipError_tPvRmT2_T3_T4_T5_mT6_T7_P12ihipStream_tbENKUlT_T0_E_clISt17integral_constantIbLb0EESY_EEDaST_SU_EUlST_E_NS1_11comp_targetILNS1_3genE10ELNS1_11target_archE1201ELNS1_3gpuE5ELNS1_3repE0EEENS1_30default_config_static_selectorELNS0_4arch9wavefront6targetE1EEEvT1_ ; -- Begin function _ZN7rocprim17ROCPRIM_400000_NS6detail17trampoline_kernelINS0_14default_configENS1_27scan_by_key_config_selectorIxxEEZZNS1_16scan_by_key_implILNS1_25lookback_scan_determinismE0ELb1ES3_N6thrust23THRUST_200600_302600_NS6detail15normal_iteratorINS9_10device_ptrIxEEEESE_SE_xNS9_4plusIxEE19head_flag_predicatexEE10hipError_tPvRmT2_T3_T4_T5_mT6_T7_P12ihipStream_tbENKUlT_T0_E_clISt17integral_constantIbLb0EESY_EEDaST_SU_EUlST_E_NS1_11comp_targetILNS1_3genE10ELNS1_11target_archE1201ELNS1_3gpuE5ELNS1_3repE0EEENS1_30default_config_static_selectorELNS0_4arch9wavefront6targetE1EEEvT1_
	.globl	_ZN7rocprim17ROCPRIM_400000_NS6detail17trampoline_kernelINS0_14default_configENS1_27scan_by_key_config_selectorIxxEEZZNS1_16scan_by_key_implILNS1_25lookback_scan_determinismE0ELb1ES3_N6thrust23THRUST_200600_302600_NS6detail15normal_iteratorINS9_10device_ptrIxEEEESE_SE_xNS9_4plusIxEE19head_flag_predicatexEE10hipError_tPvRmT2_T3_T4_T5_mT6_T7_P12ihipStream_tbENKUlT_T0_E_clISt17integral_constantIbLb0EESY_EEDaST_SU_EUlST_E_NS1_11comp_targetILNS1_3genE10ELNS1_11target_archE1201ELNS1_3gpuE5ELNS1_3repE0EEENS1_30default_config_static_selectorELNS0_4arch9wavefront6targetE1EEEvT1_
	.p2align	8
	.type	_ZN7rocprim17ROCPRIM_400000_NS6detail17trampoline_kernelINS0_14default_configENS1_27scan_by_key_config_selectorIxxEEZZNS1_16scan_by_key_implILNS1_25lookback_scan_determinismE0ELb1ES3_N6thrust23THRUST_200600_302600_NS6detail15normal_iteratorINS9_10device_ptrIxEEEESE_SE_xNS9_4plusIxEE19head_flag_predicatexEE10hipError_tPvRmT2_T3_T4_T5_mT6_T7_P12ihipStream_tbENKUlT_T0_E_clISt17integral_constantIbLb0EESY_EEDaST_SU_EUlST_E_NS1_11comp_targetILNS1_3genE10ELNS1_11target_archE1201ELNS1_3gpuE5ELNS1_3repE0EEENS1_30default_config_static_selectorELNS0_4arch9wavefront6targetE1EEEvT1_,@function
_ZN7rocprim17ROCPRIM_400000_NS6detail17trampoline_kernelINS0_14default_configENS1_27scan_by_key_config_selectorIxxEEZZNS1_16scan_by_key_implILNS1_25lookback_scan_determinismE0ELb1ES3_N6thrust23THRUST_200600_302600_NS6detail15normal_iteratorINS9_10device_ptrIxEEEESE_SE_xNS9_4plusIxEE19head_flag_predicatexEE10hipError_tPvRmT2_T3_T4_T5_mT6_T7_P12ihipStream_tbENKUlT_T0_E_clISt17integral_constantIbLb0EESY_EEDaST_SU_EUlST_E_NS1_11comp_targetILNS1_3genE10ELNS1_11target_archE1201ELNS1_3gpuE5ELNS1_3repE0EEENS1_30default_config_static_selectorELNS0_4arch9wavefront6targetE1EEEvT1_: ; @_ZN7rocprim17ROCPRIM_400000_NS6detail17trampoline_kernelINS0_14default_configENS1_27scan_by_key_config_selectorIxxEEZZNS1_16scan_by_key_implILNS1_25lookback_scan_determinismE0ELb1ES3_N6thrust23THRUST_200600_302600_NS6detail15normal_iteratorINS9_10device_ptrIxEEEESE_SE_xNS9_4plusIxEE19head_flag_predicatexEE10hipError_tPvRmT2_T3_T4_T5_mT6_T7_P12ihipStream_tbENKUlT_T0_E_clISt17integral_constantIbLb0EESY_EEDaST_SU_EUlST_E_NS1_11comp_targetILNS1_3genE10ELNS1_11target_archE1201ELNS1_3gpuE5ELNS1_3repE0EEENS1_30default_config_static_selectorELNS0_4arch9wavefront6targetE1EEEvT1_
; %bb.0:
	.section	.rodata,"a",@progbits
	.p2align	6, 0x0
	.amdhsa_kernel _ZN7rocprim17ROCPRIM_400000_NS6detail17trampoline_kernelINS0_14default_configENS1_27scan_by_key_config_selectorIxxEEZZNS1_16scan_by_key_implILNS1_25lookback_scan_determinismE0ELb1ES3_N6thrust23THRUST_200600_302600_NS6detail15normal_iteratorINS9_10device_ptrIxEEEESE_SE_xNS9_4plusIxEE19head_flag_predicatexEE10hipError_tPvRmT2_T3_T4_T5_mT6_T7_P12ihipStream_tbENKUlT_T0_E_clISt17integral_constantIbLb0EESY_EEDaST_SU_EUlST_E_NS1_11comp_targetILNS1_3genE10ELNS1_11target_archE1201ELNS1_3gpuE5ELNS1_3repE0EEENS1_30default_config_static_selectorELNS0_4arch9wavefront6targetE1EEEvT1_
		.amdhsa_group_segment_fixed_size 0
		.amdhsa_private_segment_fixed_size 0
		.amdhsa_kernarg_size 136
		.amdhsa_user_sgpr_count 6
		.amdhsa_user_sgpr_private_segment_buffer 1
		.amdhsa_user_sgpr_dispatch_ptr 0
		.amdhsa_user_sgpr_queue_ptr 0
		.amdhsa_user_sgpr_kernarg_segment_ptr 1
		.amdhsa_user_sgpr_dispatch_id 0
		.amdhsa_user_sgpr_flat_scratch_init 0
		.amdhsa_user_sgpr_kernarg_preload_length 0
		.amdhsa_user_sgpr_kernarg_preload_offset 0
		.amdhsa_user_sgpr_private_segment_size 0
		.amdhsa_uses_dynamic_stack 0
		.amdhsa_system_sgpr_private_segment_wavefront_offset 0
		.amdhsa_system_sgpr_workgroup_id_x 1
		.amdhsa_system_sgpr_workgroup_id_y 0
		.amdhsa_system_sgpr_workgroup_id_z 0
		.amdhsa_system_sgpr_workgroup_info 0
		.amdhsa_system_vgpr_workitem_id 0
		.amdhsa_next_free_vgpr 1
		.amdhsa_next_free_sgpr 0
		.amdhsa_accum_offset 4
		.amdhsa_reserve_vcc 0
		.amdhsa_reserve_flat_scratch 0
		.amdhsa_float_round_mode_32 0
		.amdhsa_float_round_mode_16_64 0
		.amdhsa_float_denorm_mode_32 3
		.amdhsa_float_denorm_mode_16_64 3
		.amdhsa_dx10_clamp 1
		.amdhsa_ieee_mode 1
		.amdhsa_fp16_overflow 0
		.amdhsa_tg_split 0
		.amdhsa_exception_fp_ieee_invalid_op 0
		.amdhsa_exception_fp_denorm_src 0
		.amdhsa_exception_fp_ieee_div_zero 0
		.amdhsa_exception_fp_ieee_overflow 0
		.amdhsa_exception_fp_ieee_underflow 0
		.amdhsa_exception_fp_ieee_inexact 0
		.amdhsa_exception_int_div_zero 0
	.end_amdhsa_kernel
	.section	.text._ZN7rocprim17ROCPRIM_400000_NS6detail17trampoline_kernelINS0_14default_configENS1_27scan_by_key_config_selectorIxxEEZZNS1_16scan_by_key_implILNS1_25lookback_scan_determinismE0ELb1ES3_N6thrust23THRUST_200600_302600_NS6detail15normal_iteratorINS9_10device_ptrIxEEEESE_SE_xNS9_4plusIxEE19head_flag_predicatexEE10hipError_tPvRmT2_T3_T4_T5_mT6_T7_P12ihipStream_tbENKUlT_T0_E_clISt17integral_constantIbLb0EESY_EEDaST_SU_EUlST_E_NS1_11comp_targetILNS1_3genE10ELNS1_11target_archE1201ELNS1_3gpuE5ELNS1_3repE0EEENS1_30default_config_static_selectorELNS0_4arch9wavefront6targetE1EEEvT1_,"axG",@progbits,_ZN7rocprim17ROCPRIM_400000_NS6detail17trampoline_kernelINS0_14default_configENS1_27scan_by_key_config_selectorIxxEEZZNS1_16scan_by_key_implILNS1_25lookback_scan_determinismE0ELb1ES3_N6thrust23THRUST_200600_302600_NS6detail15normal_iteratorINS9_10device_ptrIxEEEESE_SE_xNS9_4plusIxEE19head_flag_predicatexEE10hipError_tPvRmT2_T3_T4_T5_mT6_T7_P12ihipStream_tbENKUlT_T0_E_clISt17integral_constantIbLb0EESY_EEDaST_SU_EUlST_E_NS1_11comp_targetILNS1_3genE10ELNS1_11target_archE1201ELNS1_3gpuE5ELNS1_3repE0EEENS1_30default_config_static_selectorELNS0_4arch9wavefront6targetE1EEEvT1_,comdat
.Lfunc_end714:
	.size	_ZN7rocprim17ROCPRIM_400000_NS6detail17trampoline_kernelINS0_14default_configENS1_27scan_by_key_config_selectorIxxEEZZNS1_16scan_by_key_implILNS1_25lookback_scan_determinismE0ELb1ES3_N6thrust23THRUST_200600_302600_NS6detail15normal_iteratorINS9_10device_ptrIxEEEESE_SE_xNS9_4plusIxEE19head_flag_predicatexEE10hipError_tPvRmT2_T3_T4_T5_mT6_T7_P12ihipStream_tbENKUlT_T0_E_clISt17integral_constantIbLb0EESY_EEDaST_SU_EUlST_E_NS1_11comp_targetILNS1_3genE10ELNS1_11target_archE1201ELNS1_3gpuE5ELNS1_3repE0EEENS1_30default_config_static_selectorELNS0_4arch9wavefront6targetE1EEEvT1_, .Lfunc_end714-_ZN7rocprim17ROCPRIM_400000_NS6detail17trampoline_kernelINS0_14default_configENS1_27scan_by_key_config_selectorIxxEEZZNS1_16scan_by_key_implILNS1_25lookback_scan_determinismE0ELb1ES3_N6thrust23THRUST_200600_302600_NS6detail15normal_iteratorINS9_10device_ptrIxEEEESE_SE_xNS9_4plusIxEE19head_flag_predicatexEE10hipError_tPvRmT2_T3_T4_T5_mT6_T7_P12ihipStream_tbENKUlT_T0_E_clISt17integral_constantIbLb0EESY_EEDaST_SU_EUlST_E_NS1_11comp_targetILNS1_3genE10ELNS1_11target_archE1201ELNS1_3gpuE5ELNS1_3repE0EEENS1_30default_config_static_selectorELNS0_4arch9wavefront6targetE1EEEvT1_
                                        ; -- End function
	.section	.AMDGPU.csdata,"",@progbits
; Kernel info:
; codeLenInByte = 0
; NumSgprs: 4
; NumVgprs: 0
; NumAgprs: 0
; TotalNumVgprs: 0
; ScratchSize: 0
; MemoryBound: 0
; FloatMode: 240
; IeeeMode: 1
; LDSByteSize: 0 bytes/workgroup (compile time only)
; SGPRBlocks: 0
; VGPRBlocks: 0
; NumSGPRsForWavesPerEU: 4
; NumVGPRsForWavesPerEU: 1
; AccumOffset: 4
; Occupancy: 8
; WaveLimiterHint : 0
; COMPUTE_PGM_RSRC2:SCRATCH_EN: 0
; COMPUTE_PGM_RSRC2:USER_SGPR: 6
; COMPUTE_PGM_RSRC2:TRAP_HANDLER: 0
; COMPUTE_PGM_RSRC2:TGID_X_EN: 1
; COMPUTE_PGM_RSRC2:TGID_Y_EN: 0
; COMPUTE_PGM_RSRC2:TGID_Z_EN: 0
; COMPUTE_PGM_RSRC2:TIDIG_COMP_CNT: 0
; COMPUTE_PGM_RSRC3_GFX90A:ACCUM_OFFSET: 0
; COMPUTE_PGM_RSRC3_GFX90A:TG_SPLIT: 0
	.section	.text._ZN7rocprim17ROCPRIM_400000_NS6detail17trampoline_kernelINS0_14default_configENS1_27scan_by_key_config_selectorIxxEEZZNS1_16scan_by_key_implILNS1_25lookback_scan_determinismE0ELb1ES3_N6thrust23THRUST_200600_302600_NS6detail15normal_iteratorINS9_10device_ptrIxEEEESE_SE_xNS9_4plusIxEE19head_flag_predicatexEE10hipError_tPvRmT2_T3_T4_T5_mT6_T7_P12ihipStream_tbENKUlT_T0_E_clISt17integral_constantIbLb0EESY_EEDaST_SU_EUlST_E_NS1_11comp_targetILNS1_3genE5ELNS1_11target_archE942ELNS1_3gpuE9ELNS1_3repE0EEENS1_30default_config_static_selectorELNS0_4arch9wavefront6targetE1EEEvT1_,"axG",@progbits,_ZN7rocprim17ROCPRIM_400000_NS6detail17trampoline_kernelINS0_14default_configENS1_27scan_by_key_config_selectorIxxEEZZNS1_16scan_by_key_implILNS1_25lookback_scan_determinismE0ELb1ES3_N6thrust23THRUST_200600_302600_NS6detail15normal_iteratorINS9_10device_ptrIxEEEESE_SE_xNS9_4plusIxEE19head_flag_predicatexEE10hipError_tPvRmT2_T3_T4_T5_mT6_T7_P12ihipStream_tbENKUlT_T0_E_clISt17integral_constantIbLb0EESY_EEDaST_SU_EUlST_E_NS1_11comp_targetILNS1_3genE5ELNS1_11target_archE942ELNS1_3gpuE9ELNS1_3repE0EEENS1_30default_config_static_selectorELNS0_4arch9wavefront6targetE1EEEvT1_,comdat
	.protected	_ZN7rocprim17ROCPRIM_400000_NS6detail17trampoline_kernelINS0_14default_configENS1_27scan_by_key_config_selectorIxxEEZZNS1_16scan_by_key_implILNS1_25lookback_scan_determinismE0ELb1ES3_N6thrust23THRUST_200600_302600_NS6detail15normal_iteratorINS9_10device_ptrIxEEEESE_SE_xNS9_4plusIxEE19head_flag_predicatexEE10hipError_tPvRmT2_T3_T4_T5_mT6_T7_P12ihipStream_tbENKUlT_T0_E_clISt17integral_constantIbLb0EESY_EEDaST_SU_EUlST_E_NS1_11comp_targetILNS1_3genE5ELNS1_11target_archE942ELNS1_3gpuE9ELNS1_3repE0EEENS1_30default_config_static_selectorELNS0_4arch9wavefront6targetE1EEEvT1_ ; -- Begin function _ZN7rocprim17ROCPRIM_400000_NS6detail17trampoline_kernelINS0_14default_configENS1_27scan_by_key_config_selectorIxxEEZZNS1_16scan_by_key_implILNS1_25lookback_scan_determinismE0ELb1ES3_N6thrust23THRUST_200600_302600_NS6detail15normal_iteratorINS9_10device_ptrIxEEEESE_SE_xNS9_4plusIxEE19head_flag_predicatexEE10hipError_tPvRmT2_T3_T4_T5_mT6_T7_P12ihipStream_tbENKUlT_T0_E_clISt17integral_constantIbLb0EESY_EEDaST_SU_EUlST_E_NS1_11comp_targetILNS1_3genE5ELNS1_11target_archE942ELNS1_3gpuE9ELNS1_3repE0EEENS1_30default_config_static_selectorELNS0_4arch9wavefront6targetE1EEEvT1_
	.globl	_ZN7rocprim17ROCPRIM_400000_NS6detail17trampoline_kernelINS0_14default_configENS1_27scan_by_key_config_selectorIxxEEZZNS1_16scan_by_key_implILNS1_25lookback_scan_determinismE0ELb1ES3_N6thrust23THRUST_200600_302600_NS6detail15normal_iteratorINS9_10device_ptrIxEEEESE_SE_xNS9_4plusIxEE19head_flag_predicatexEE10hipError_tPvRmT2_T3_T4_T5_mT6_T7_P12ihipStream_tbENKUlT_T0_E_clISt17integral_constantIbLb0EESY_EEDaST_SU_EUlST_E_NS1_11comp_targetILNS1_3genE5ELNS1_11target_archE942ELNS1_3gpuE9ELNS1_3repE0EEENS1_30default_config_static_selectorELNS0_4arch9wavefront6targetE1EEEvT1_
	.p2align	8
	.type	_ZN7rocprim17ROCPRIM_400000_NS6detail17trampoline_kernelINS0_14default_configENS1_27scan_by_key_config_selectorIxxEEZZNS1_16scan_by_key_implILNS1_25lookback_scan_determinismE0ELb1ES3_N6thrust23THRUST_200600_302600_NS6detail15normal_iteratorINS9_10device_ptrIxEEEESE_SE_xNS9_4plusIxEE19head_flag_predicatexEE10hipError_tPvRmT2_T3_T4_T5_mT6_T7_P12ihipStream_tbENKUlT_T0_E_clISt17integral_constantIbLb0EESY_EEDaST_SU_EUlST_E_NS1_11comp_targetILNS1_3genE5ELNS1_11target_archE942ELNS1_3gpuE9ELNS1_3repE0EEENS1_30default_config_static_selectorELNS0_4arch9wavefront6targetE1EEEvT1_,@function
_ZN7rocprim17ROCPRIM_400000_NS6detail17trampoline_kernelINS0_14default_configENS1_27scan_by_key_config_selectorIxxEEZZNS1_16scan_by_key_implILNS1_25lookback_scan_determinismE0ELb1ES3_N6thrust23THRUST_200600_302600_NS6detail15normal_iteratorINS9_10device_ptrIxEEEESE_SE_xNS9_4plusIxEE19head_flag_predicatexEE10hipError_tPvRmT2_T3_T4_T5_mT6_T7_P12ihipStream_tbENKUlT_T0_E_clISt17integral_constantIbLb0EESY_EEDaST_SU_EUlST_E_NS1_11comp_targetILNS1_3genE5ELNS1_11target_archE942ELNS1_3gpuE9ELNS1_3repE0EEENS1_30default_config_static_selectorELNS0_4arch9wavefront6targetE1EEEvT1_: ; @_ZN7rocprim17ROCPRIM_400000_NS6detail17trampoline_kernelINS0_14default_configENS1_27scan_by_key_config_selectorIxxEEZZNS1_16scan_by_key_implILNS1_25lookback_scan_determinismE0ELb1ES3_N6thrust23THRUST_200600_302600_NS6detail15normal_iteratorINS9_10device_ptrIxEEEESE_SE_xNS9_4plusIxEE19head_flag_predicatexEE10hipError_tPvRmT2_T3_T4_T5_mT6_T7_P12ihipStream_tbENKUlT_T0_E_clISt17integral_constantIbLb0EESY_EEDaST_SU_EUlST_E_NS1_11comp_targetILNS1_3genE5ELNS1_11target_archE942ELNS1_3gpuE9ELNS1_3repE0EEENS1_30default_config_static_selectorELNS0_4arch9wavefront6targetE1EEEvT1_
; %bb.0:
	.section	.rodata,"a",@progbits
	.p2align	6, 0x0
	.amdhsa_kernel _ZN7rocprim17ROCPRIM_400000_NS6detail17trampoline_kernelINS0_14default_configENS1_27scan_by_key_config_selectorIxxEEZZNS1_16scan_by_key_implILNS1_25lookback_scan_determinismE0ELb1ES3_N6thrust23THRUST_200600_302600_NS6detail15normal_iteratorINS9_10device_ptrIxEEEESE_SE_xNS9_4plusIxEE19head_flag_predicatexEE10hipError_tPvRmT2_T3_T4_T5_mT6_T7_P12ihipStream_tbENKUlT_T0_E_clISt17integral_constantIbLb0EESY_EEDaST_SU_EUlST_E_NS1_11comp_targetILNS1_3genE5ELNS1_11target_archE942ELNS1_3gpuE9ELNS1_3repE0EEENS1_30default_config_static_selectorELNS0_4arch9wavefront6targetE1EEEvT1_
		.amdhsa_group_segment_fixed_size 0
		.amdhsa_private_segment_fixed_size 0
		.amdhsa_kernarg_size 136
		.amdhsa_user_sgpr_count 6
		.amdhsa_user_sgpr_private_segment_buffer 1
		.amdhsa_user_sgpr_dispatch_ptr 0
		.amdhsa_user_sgpr_queue_ptr 0
		.amdhsa_user_sgpr_kernarg_segment_ptr 1
		.amdhsa_user_sgpr_dispatch_id 0
		.amdhsa_user_sgpr_flat_scratch_init 0
		.amdhsa_user_sgpr_kernarg_preload_length 0
		.amdhsa_user_sgpr_kernarg_preload_offset 0
		.amdhsa_user_sgpr_private_segment_size 0
		.amdhsa_uses_dynamic_stack 0
		.amdhsa_system_sgpr_private_segment_wavefront_offset 0
		.amdhsa_system_sgpr_workgroup_id_x 1
		.amdhsa_system_sgpr_workgroup_id_y 0
		.amdhsa_system_sgpr_workgroup_id_z 0
		.amdhsa_system_sgpr_workgroup_info 0
		.amdhsa_system_vgpr_workitem_id 0
		.amdhsa_next_free_vgpr 1
		.amdhsa_next_free_sgpr 0
		.amdhsa_accum_offset 4
		.amdhsa_reserve_vcc 0
		.amdhsa_reserve_flat_scratch 0
		.amdhsa_float_round_mode_32 0
		.amdhsa_float_round_mode_16_64 0
		.amdhsa_float_denorm_mode_32 3
		.amdhsa_float_denorm_mode_16_64 3
		.amdhsa_dx10_clamp 1
		.amdhsa_ieee_mode 1
		.amdhsa_fp16_overflow 0
		.amdhsa_tg_split 0
		.amdhsa_exception_fp_ieee_invalid_op 0
		.amdhsa_exception_fp_denorm_src 0
		.amdhsa_exception_fp_ieee_div_zero 0
		.amdhsa_exception_fp_ieee_overflow 0
		.amdhsa_exception_fp_ieee_underflow 0
		.amdhsa_exception_fp_ieee_inexact 0
		.amdhsa_exception_int_div_zero 0
	.end_amdhsa_kernel
	.section	.text._ZN7rocprim17ROCPRIM_400000_NS6detail17trampoline_kernelINS0_14default_configENS1_27scan_by_key_config_selectorIxxEEZZNS1_16scan_by_key_implILNS1_25lookback_scan_determinismE0ELb1ES3_N6thrust23THRUST_200600_302600_NS6detail15normal_iteratorINS9_10device_ptrIxEEEESE_SE_xNS9_4plusIxEE19head_flag_predicatexEE10hipError_tPvRmT2_T3_T4_T5_mT6_T7_P12ihipStream_tbENKUlT_T0_E_clISt17integral_constantIbLb0EESY_EEDaST_SU_EUlST_E_NS1_11comp_targetILNS1_3genE5ELNS1_11target_archE942ELNS1_3gpuE9ELNS1_3repE0EEENS1_30default_config_static_selectorELNS0_4arch9wavefront6targetE1EEEvT1_,"axG",@progbits,_ZN7rocprim17ROCPRIM_400000_NS6detail17trampoline_kernelINS0_14default_configENS1_27scan_by_key_config_selectorIxxEEZZNS1_16scan_by_key_implILNS1_25lookback_scan_determinismE0ELb1ES3_N6thrust23THRUST_200600_302600_NS6detail15normal_iteratorINS9_10device_ptrIxEEEESE_SE_xNS9_4plusIxEE19head_flag_predicatexEE10hipError_tPvRmT2_T3_T4_T5_mT6_T7_P12ihipStream_tbENKUlT_T0_E_clISt17integral_constantIbLb0EESY_EEDaST_SU_EUlST_E_NS1_11comp_targetILNS1_3genE5ELNS1_11target_archE942ELNS1_3gpuE9ELNS1_3repE0EEENS1_30default_config_static_selectorELNS0_4arch9wavefront6targetE1EEEvT1_,comdat
.Lfunc_end715:
	.size	_ZN7rocprim17ROCPRIM_400000_NS6detail17trampoline_kernelINS0_14default_configENS1_27scan_by_key_config_selectorIxxEEZZNS1_16scan_by_key_implILNS1_25lookback_scan_determinismE0ELb1ES3_N6thrust23THRUST_200600_302600_NS6detail15normal_iteratorINS9_10device_ptrIxEEEESE_SE_xNS9_4plusIxEE19head_flag_predicatexEE10hipError_tPvRmT2_T3_T4_T5_mT6_T7_P12ihipStream_tbENKUlT_T0_E_clISt17integral_constantIbLb0EESY_EEDaST_SU_EUlST_E_NS1_11comp_targetILNS1_3genE5ELNS1_11target_archE942ELNS1_3gpuE9ELNS1_3repE0EEENS1_30default_config_static_selectorELNS0_4arch9wavefront6targetE1EEEvT1_, .Lfunc_end715-_ZN7rocprim17ROCPRIM_400000_NS6detail17trampoline_kernelINS0_14default_configENS1_27scan_by_key_config_selectorIxxEEZZNS1_16scan_by_key_implILNS1_25lookback_scan_determinismE0ELb1ES3_N6thrust23THRUST_200600_302600_NS6detail15normal_iteratorINS9_10device_ptrIxEEEESE_SE_xNS9_4plusIxEE19head_flag_predicatexEE10hipError_tPvRmT2_T3_T4_T5_mT6_T7_P12ihipStream_tbENKUlT_T0_E_clISt17integral_constantIbLb0EESY_EEDaST_SU_EUlST_E_NS1_11comp_targetILNS1_3genE5ELNS1_11target_archE942ELNS1_3gpuE9ELNS1_3repE0EEENS1_30default_config_static_selectorELNS0_4arch9wavefront6targetE1EEEvT1_
                                        ; -- End function
	.section	.AMDGPU.csdata,"",@progbits
; Kernel info:
; codeLenInByte = 0
; NumSgprs: 4
; NumVgprs: 0
; NumAgprs: 0
; TotalNumVgprs: 0
; ScratchSize: 0
; MemoryBound: 0
; FloatMode: 240
; IeeeMode: 1
; LDSByteSize: 0 bytes/workgroup (compile time only)
; SGPRBlocks: 0
; VGPRBlocks: 0
; NumSGPRsForWavesPerEU: 4
; NumVGPRsForWavesPerEU: 1
; AccumOffset: 4
; Occupancy: 8
; WaveLimiterHint : 0
; COMPUTE_PGM_RSRC2:SCRATCH_EN: 0
; COMPUTE_PGM_RSRC2:USER_SGPR: 6
; COMPUTE_PGM_RSRC2:TRAP_HANDLER: 0
; COMPUTE_PGM_RSRC2:TGID_X_EN: 1
; COMPUTE_PGM_RSRC2:TGID_Y_EN: 0
; COMPUTE_PGM_RSRC2:TGID_Z_EN: 0
; COMPUTE_PGM_RSRC2:TIDIG_COMP_CNT: 0
; COMPUTE_PGM_RSRC3_GFX90A:ACCUM_OFFSET: 0
; COMPUTE_PGM_RSRC3_GFX90A:TG_SPLIT: 0
	.section	.text._ZN7rocprim17ROCPRIM_400000_NS6detail17trampoline_kernelINS0_14default_configENS1_27scan_by_key_config_selectorIxxEEZZNS1_16scan_by_key_implILNS1_25lookback_scan_determinismE0ELb1ES3_N6thrust23THRUST_200600_302600_NS6detail15normal_iteratorINS9_10device_ptrIxEEEESE_SE_xNS9_4plusIxEE19head_flag_predicatexEE10hipError_tPvRmT2_T3_T4_T5_mT6_T7_P12ihipStream_tbENKUlT_T0_E_clISt17integral_constantIbLb0EESY_EEDaST_SU_EUlST_E_NS1_11comp_targetILNS1_3genE4ELNS1_11target_archE910ELNS1_3gpuE8ELNS1_3repE0EEENS1_30default_config_static_selectorELNS0_4arch9wavefront6targetE1EEEvT1_,"axG",@progbits,_ZN7rocprim17ROCPRIM_400000_NS6detail17trampoline_kernelINS0_14default_configENS1_27scan_by_key_config_selectorIxxEEZZNS1_16scan_by_key_implILNS1_25lookback_scan_determinismE0ELb1ES3_N6thrust23THRUST_200600_302600_NS6detail15normal_iteratorINS9_10device_ptrIxEEEESE_SE_xNS9_4plusIxEE19head_flag_predicatexEE10hipError_tPvRmT2_T3_T4_T5_mT6_T7_P12ihipStream_tbENKUlT_T0_E_clISt17integral_constantIbLb0EESY_EEDaST_SU_EUlST_E_NS1_11comp_targetILNS1_3genE4ELNS1_11target_archE910ELNS1_3gpuE8ELNS1_3repE0EEENS1_30default_config_static_selectorELNS0_4arch9wavefront6targetE1EEEvT1_,comdat
	.protected	_ZN7rocprim17ROCPRIM_400000_NS6detail17trampoline_kernelINS0_14default_configENS1_27scan_by_key_config_selectorIxxEEZZNS1_16scan_by_key_implILNS1_25lookback_scan_determinismE0ELb1ES3_N6thrust23THRUST_200600_302600_NS6detail15normal_iteratorINS9_10device_ptrIxEEEESE_SE_xNS9_4plusIxEE19head_flag_predicatexEE10hipError_tPvRmT2_T3_T4_T5_mT6_T7_P12ihipStream_tbENKUlT_T0_E_clISt17integral_constantIbLb0EESY_EEDaST_SU_EUlST_E_NS1_11comp_targetILNS1_3genE4ELNS1_11target_archE910ELNS1_3gpuE8ELNS1_3repE0EEENS1_30default_config_static_selectorELNS0_4arch9wavefront6targetE1EEEvT1_ ; -- Begin function _ZN7rocprim17ROCPRIM_400000_NS6detail17trampoline_kernelINS0_14default_configENS1_27scan_by_key_config_selectorIxxEEZZNS1_16scan_by_key_implILNS1_25lookback_scan_determinismE0ELb1ES3_N6thrust23THRUST_200600_302600_NS6detail15normal_iteratorINS9_10device_ptrIxEEEESE_SE_xNS9_4plusIxEE19head_flag_predicatexEE10hipError_tPvRmT2_T3_T4_T5_mT6_T7_P12ihipStream_tbENKUlT_T0_E_clISt17integral_constantIbLb0EESY_EEDaST_SU_EUlST_E_NS1_11comp_targetILNS1_3genE4ELNS1_11target_archE910ELNS1_3gpuE8ELNS1_3repE0EEENS1_30default_config_static_selectorELNS0_4arch9wavefront6targetE1EEEvT1_
	.globl	_ZN7rocprim17ROCPRIM_400000_NS6detail17trampoline_kernelINS0_14default_configENS1_27scan_by_key_config_selectorIxxEEZZNS1_16scan_by_key_implILNS1_25lookback_scan_determinismE0ELb1ES3_N6thrust23THRUST_200600_302600_NS6detail15normal_iteratorINS9_10device_ptrIxEEEESE_SE_xNS9_4plusIxEE19head_flag_predicatexEE10hipError_tPvRmT2_T3_T4_T5_mT6_T7_P12ihipStream_tbENKUlT_T0_E_clISt17integral_constantIbLb0EESY_EEDaST_SU_EUlST_E_NS1_11comp_targetILNS1_3genE4ELNS1_11target_archE910ELNS1_3gpuE8ELNS1_3repE0EEENS1_30default_config_static_selectorELNS0_4arch9wavefront6targetE1EEEvT1_
	.p2align	8
	.type	_ZN7rocprim17ROCPRIM_400000_NS6detail17trampoline_kernelINS0_14default_configENS1_27scan_by_key_config_selectorIxxEEZZNS1_16scan_by_key_implILNS1_25lookback_scan_determinismE0ELb1ES3_N6thrust23THRUST_200600_302600_NS6detail15normal_iteratorINS9_10device_ptrIxEEEESE_SE_xNS9_4plusIxEE19head_flag_predicatexEE10hipError_tPvRmT2_T3_T4_T5_mT6_T7_P12ihipStream_tbENKUlT_T0_E_clISt17integral_constantIbLb0EESY_EEDaST_SU_EUlST_E_NS1_11comp_targetILNS1_3genE4ELNS1_11target_archE910ELNS1_3gpuE8ELNS1_3repE0EEENS1_30default_config_static_selectorELNS0_4arch9wavefront6targetE1EEEvT1_,@function
_ZN7rocprim17ROCPRIM_400000_NS6detail17trampoline_kernelINS0_14default_configENS1_27scan_by_key_config_selectorIxxEEZZNS1_16scan_by_key_implILNS1_25lookback_scan_determinismE0ELb1ES3_N6thrust23THRUST_200600_302600_NS6detail15normal_iteratorINS9_10device_ptrIxEEEESE_SE_xNS9_4plusIxEE19head_flag_predicatexEE10hipError_tPvRmT2_T3_T4_T5_mT6_T7_P12ihipStream_tbENKUlT_T0_E_clISt17integral_constantIbLb0EESY_EEDaST_SU_EUlST_E_NS1_11comp_targetILNS1_3genE4ELNS1_11target_archE910ELNS1_3gpuE8ELNS1_3repE0EEENS1_30default_config_static_selectorELNS0_4arch9wavefront6targetE1EEEvT1_: ; @_ZN7rocprim17ROCPRIM_400000_NS6detail17trampoline_kernelINS0_14default_configENS1_27scan_by_key_config_selectorIxxEEZZNS1_16scan_by_key_implILNS1_25lookback_scan_determinismE0ELb1ES3_N6thrust23THRUST_200600_302600_NS6detail15normal_iteratorINS9_10device_ptrIxEEEESE_SE_xNS9_4plusIxEE19head_flag_predicatexEE10hipError_tPvRmT2_T3_T4_T5_mT6_T7_P12ihipStream_tbENKUlT_T0_E_clISt17integral_constantIbLb0EESY_EEDaST_SU_EUlST_E_NS1_11comp_targetILNS1_3genE4ELNS1_11target_archE910ELNS1_3gpuE8ELNS1_3repE0EEENS1_30default_config_static_selectorELNS0_4arch9wavefront6targetE1EEEvT1_
; %bb.0:
	s_load_dwordx8 s[52:59], s[4:5], 0x0
	s_load_dwordx2 s[64:65], s[4:5], 0x20
	s_load_dwordx8 s[44:51], s[4:5], 0x30
	s_load_dwordx2 s[66:67], s[4:5], 0x50
	s_load_dword s0, s[4:5], 0x58
	s_load_dwordx4 s[60:63], s[4:5], 0x60
	s_waitcnt lgkmcnt(0)
	s_lshl_b64 s[54:55], s[54:55], 3
	s_add_u32 s2, s52, s54
	s_addc_u32 s3, s53, s55
	s_add_u32 s4, s56, s54
	s_mul_i32 s1, s67, s0
	s_mul_hi_u32 s7, s66, s0
	s_addc_u32 s5, s57, s55
	s_add_i32 s8, s7, s1
	s_mul_i32 s9, s66, s0
	s_mul_i32 s0, s6, 0x4c0
	s_mov_b32 s1, 0
	s_lshl_b64 s[52:53], s[0:1], 3
	s_add_u32 s56, s2, s52
	s_addc_u32 s57, s3, s53
	s_add_u32 s7, s4, s52
	s_addc_u32 s51, s5, s53
	;; [unrolled: 2-line block ×3, first 2 shown]
	s_add_u32 s4, s60, -1
	s_addc_u32 s5, s61, -1
	v_pk_mov_b32 v[2:3], s[4:5], s[4:5] op_sel:[0,1]
	v_cmp_ge_u64_e64 s[0:1], s[0:1], v[2:3]
	s_mov_b64 s[2:3], -1
	s_and_b64 vcc, exec, s[0:1]
	s_mul_i32 s33, s4, 0xfffffb40
	s_waitcnt lgkmcnt(0)
	; wave barrier
	s_cbranch_vccz .LBB716_59
; %bb.1:
	v_pk_mov_b32 v[2:3], s[56:57], s[56:57] op_sel:[0,1]
	flat_load_dwordx2 v[2:3], v[2:3]
	s_add_i32 s70, s33, s50
	v_cmp_gt_u32_e32 vcc, s70, v0
	s_waitcnt vmcnt(0) lgkmcnt(0)
	v_pk_mov_b32 v[4:5], v[2:3], v[2:3] op_sel:[0,1]
	s_and_saveexec_b64 s[4:5], vcc
	s_cbranch_execz .LBB716_3
; %bb.2:
	v_lshlrev_b32_e32 v1, 3, v0
	v_mov_b32_e32 v5, s57
	v_add_co_u32_e64 v4, s[2:3], s56, v1
	v_addc_co_u32_e64 v5, s[2:3], 0, v5, s[2:3]
	flat_load_dwordx2 v[4:5], v[4:5]
.LBB716_3:
	s_or_b64 exec, exec, s[4:5]
	v_or_b32_e32 v1, 64, v0
	v_cmp_gt_u32_e64 s[2:3], s70, v1
	v_pk_mov_b32 v[6:7], v[2:3], v[2:3] op_sel:[0,1]
	s_and_saveexec_b64 s[8:9], s[2:3]
	s_cbranch_execz .LBB716_5
; %bb.4:
	v_lshlrev_b32_e32 v1, 3, v0
	v_mov_b32_e32 v7, s57
	v_add_co_u32_e64 v6, s[4:5], s56, v1
	v_addc_co_u32_e64 v7, s[4:5], 0, v7, s[4:5]
	flat_load_dwordx2 v[6:7], v[6:7] offset:512
.LBB716_5:
	s_or_b64 exec, exec, s[8:9]
	v_or_b32_e32 v1, 0x80, v0
	v_cmp_gt_u32_e64 s[4:5], s70, v1
	v_pk_mov_b32 v[8:9], v[2:3], v[2:3] op_sel:[0,1]
	s_and_saveexec_b64 s[10:11], s[4:5]
	s_cbranch_execz .LBB716_7
; %bb.6:
	v_lshlrev_b32_e32 v1, 3, v0
	v_mov_b32_e32 v9, s57
	v_add_co_u32_e64 v8, s[8:9], s56, v1
	v_addc_co_u32_e64 v9, s[8:9], 0, v9, s[8:9]
	flat_load_dwordx2 v[8:9], v[8:9] offset:1024
.LBB716_7:
	;; [unrolled: 13-line block ×7, first 2 shown]
	s_or_b64 exec, exec, s[18:19]
	v_or_b32_e32 v1, 0x200, v0
	v_cmp_gt_u32_e64 s[16:17], s70, v1
	v_lshlrev_b32_e32 v1, 3, v1
	v_pk_mov_b32 v[20:21], v[2:3], v[2:3] op_sel:[0,1]
	s_and_saveexec_b64 s[20:21], s[16:17]
	s_cbranch_execz .LBB716_19
; %bb.18:
	v_mov_b32_e32 v21, s57
	v_add_co_u32_e64 v20, s[18:19], s56, v1
	v_addc_co_u32_e64 v21, s[18:19], 0, v21, s[18:19]
	flat_load_dwordx2 v[20:21], v[20:21]
.LBB716_19:
	s_or_b64 exec, exec, s[20:21]
	v_or_b32_e32 v22, 0x240, v0
	v_cmp_gt_u32_e64 s[18:19], s70, v22
	v_lshlrev_b32_e32 v56, 3, v22
	v_pk_mov_b32 v[22:23], v[2:3], v[2:3] op_sel:[0,1]
	s_and_saveexec_b64 s[22:23], s[18:19]
	s_cbranch_execz .LBB716_21
; %bb.20:
	v_mov_b32_e32 v23, s57
	v_add_co_u32_e64 v22, s[20:21], s56, v56
	v_addc_co_u32_e64 v23, s[20:21], 0, v23, s[20:21]
	flat_load_dwordx2 v[22:23], v[22:23]
.LBB716_21:
	;; [unrolled: 13-line block ×10, first 2 shown]
	s_or_b64 exec, exec, s[42:43]
	v_or_b32_e32 v40, 0x480, v0
	v_cmp_gt_u32_e64 s[38:39], s70, v40
	v_lshlrev_b32_e32 v80, 3, v40
	s_and_saveexec_b64 s[60:61], s[38:39]
	s_cbranch_execz .LBB716_39
; %bb.38:
	v_mov_b32_e32 v3, s57
	v_add_co_u32_e64 v2, s[42:43], s56, v80
	v_addc_co_u32_e64 v3, s[42:43], 0, v3, s[42:43]
	flat_load_dwordx2 v[2:3], v[2:3]
.LBB716_39:
	s_or_b64 exec, exec, s[60:61]
	v_lshlrev_b32_e32 v81, 3, v0
	s_waitcnt vmcnt(0) lgkmcnt(0)
	ds_write2st64_b64 v81, v[4:5], v[6:7] offset1:1
	ds_write2st64_b64 v81, v[8:9], v[10:11] offset0:2 offset1:3
	ds_write2st64_b64 v81, v[12:13], v[14:15] offset0:4 offset1:5
	;; [unrolled: 1-line block ×8, first 2 shown]
	ds_write_b64 v81, v[2:3] offset:9216
	v_pk_mov_b32 v[2:3], s[56:57], s[56:57] op_sel:[0,1]
	s_waitcnt lgkmcnt(0)
	; wave barrier
	s_waitcnt lgkmcnt(0)
	flat_load_dwordx2 v[74:75], v[2:3]
	s_movk_i32 s42, 0x90
	v_mad_u32_u24 v78, v0, s42, v81
	s_movk_i32 s42, 0xff70
	v_mad_i32_i24 v38, v0, s42, v78
	v_cmp_ne_u32_e64 s[42:43], 63, v0
	ds_read2_b64 v[34:37], v78 offset1:1
	ds_read2_b64 v[30:33], v78 offset0:2 offset1:3
	ds_read2_b64 v[26:29], v78 offset0:4 offset1:5
	;; [unrolled: 1-line block ×8, first 2 shown]
	ds_read_b64 v[76:77], v78 offset:144
	s_waitcnt lgkmcnt(0)
	ds_write_b64 v38, v[34:35] offset:10240
	s_waitcnt lgkmcnt(0)
	; wave barrier
	s_waitcnt lgkmcnt(0)
	s_and_saveexec_b64 s[60:61], s[42:43]
	s_cbranch_execz .LBB716_41
; %bb.40:
	s_waitcnt vmcnt(0)
	ds_read_b64 v[74:75], v81 offset:10248
.LBB716_41:
	s_or_b64 exec, exec, s[60:61]
	s_waitcnt lgkmcnt(0)
	; wave barrier
	s_waitcnt lgkmcnt(0)
                                        ; implicit-def: $vgpr34_vgpr35
	s_and_saveexec_b64 s[42:43], vcc
	s_cbranch_execz .LBB716_60
; %bb.42:
	v_mov_b32_e32 v35, s51
	v_add_co_u32_e32 v34, vcc, s7, v81
	v_addc_co_u32_e32 v35, vcc, 0, v35, vcc
	flat_load_dwordx2 v[34:35], v[34:35]
	s_or_b64 exec, exec, s[42:43]
                                        ; implicit-def: $vgpr38_vgpr39
	s_and_saveexec_b64 s[42:43], s[2:3]
	s_cbranch_execnz .LBB716_61
.LBB716_43:
	s_or_b64 exec, exec, s[42:43]
                                        ; implicit-def: $vgpr40_vgpr41
	s_and_saveexec_b64 s[2:3], s[4:5]
	s_cbranch_execz .LBB716_62
.LBB716_44:
	v_mov_b32_e32 v41, s51
	v_add_co_u32_e32 v40, vcc, s7, v81
	v_addc_co_u32_e32 v41, vcc, 0, v41, vcc
	flat_load_dwordx2 v[40:41], v[40:41] offset:1024
	s_or_b64 exec, exec, s[2:3]
                                        ; implicit-def: $vgpr42_vgpr43
	s_and_saveexec_b64 s[2:3], s[40:41]
	s_cbranch_execnz .LBB716_63
.LBB716_45:
	s_or_b64 exec, exec, s[2:3]
                                        ; implicit-def: $vgpr44_vgpr45
	s_and_saveexec_b64 s[2:3], s[8:9]
	s_cbranch_execz .LBB716_64
.LBB716_46:
	v_mov_b32_e32 v45, s51
	v_add_co_u32_e32 v44, vcc, s7, v81
	v_addc_co_u32_e32 v45, vcc, 0, v45, vcc
	flat_load_dwordx2 v[44:45], v[44:45] offset:2048
	s_or_b64 exec, exec, s[2:3]
                                        ; implicit-def: $vgpr46_vgpr47
	s_and_saveexec_b64 s[2:3], s[10:11]
	s_cbranch_execnz .LBB716_65
.LBB716_47:
	s_or_b64 exec, exec, s[2:3]
                                        ; implicit-def: $vgpr48_vgpr49
	s_and_saveexec_b64 s[2:3], s[12:13]
	s_cbranch_execz .LBB716_66
.LBB716_48:
	v_mov_b32_e32 v49, s51
	v_add_co_u32_e32 v48, vcc, s7, v81
	v_addc_co_u32_e32 v49, vcc, 0, v49, vcc
	flat_load_dwordx2 v[48:49], v[48:49] offset:3072
	s_or_b64 exec, exec, s[2:3]
                                        ; implicit-def: $vgpr50_vgpr51
	s_and_saveexec_b64 s[2:3], s[14:15]
	s_cbranch_execnz .LBB716_67
.LBB716_49:
	s_or_b64 exec, exec, s[2:3]
                                        ; implicit-def: $vgpr52_vgpr53
	s_and_saveexec_b64 s[2:3], s[16:17]
	s_cbranch_execz .LBB716_68
.LBB716_50:
	v_mov_b32_e32 v53, s51
	v_add_co_u32_e32 v52, vcc, s7, v1
	v_addc_co_u32_e32 v53, vcc, 0, v53, vcc
	flat_load_dwordx2 v[52:53], v[52:53]
	s_or_b64 exec, exec, s[2:3]
                                        ; implicit-def: $vgpr54_vgpr55
	s_and_saveexec_b64 s[2:3], s[18:19]
	s_cbranch_execnz .LBB716_69
.LBB716_51:
	s_or_b64 exec, exec, s[2:3]
                                        ; implicit-def: $vgpr56_vgpr57
	s_and_saveexec_b64 s[2:3], s[20:21]
	s_cbranch_execz .LBB716_70
.LBB716_52:
	v_mov_b32_e32 v1, s51
	v_add_co_u32_e32 v56, vcc, s7, v58
	v_addc_co_u32_e32 v57, vcc, 0, v1, vcc
	flat_load_dwordx2 v[56:57], v[56:57]
	s_or_b64 exec, exec, s[2:3]
                                        ; implicit-def: $vgpr58_vgpr59
	s_and_saveexec_b64 s[2:3], s[22:23]
	s_cbranch_execnz .LBB716_71
.LBB716_53:
	s_or_b64 exec, exec, s[2:3]
                                        ; implicit-def: $vgpr60_vgpr61
	s_and_saveexec_b64 s[2:3], s[24:25]
	s_cbranch_execz .LBB716_72
.LBB716_54:
	v_mov_b32_e32 v1, s51
	v_add_co_u32_e32 v60, vcc, s7, v62
	v_addc_co_u32_e32 v61, vcc, 0, v1, vcc
	flat_load_dwordx2 v[60:61], v[60:61]
	s_or_b64 exec, exec, s[2:3]
                                        ; implicit-def: $vgpr62_vgpr63
	s_and_saveexec_b64 s[2:3], s[26:27]
	s_cbranch_execnz .LBB716_73
.LBB716_55:
	s_or_b64 exec, exec, s[2:3]
                                        ; implicit-def: $vgpr64_vgpr65
	s_and_saveexec_b64 s[2:3], s[28:29]
	s_cbranch_execz .LBB716_74
.LBB716_56:
	v_mov_b32_e32 v1, s51
	v_add_co_u32_e32 v64, vcc, s7, v66
	v_addc_co_u32_e32 v65, vcc, 0, v1, vcc
	flat_load_dwordx2 v[64:65], v[64:65]
	s_or_b64 exec, exec, s[2:3]
                                        ; implicit-def: $vgpr66_vgpr67
	s_and_saveexec_b64 s[2:3], s[30:31]
	s_cbranch_execnz .LBB716_75
.LBB716_57:
	s_or_b64 exec, exec, s[2:3]
                                        ; implicit-def: $vgpr68_vgpr69
	s_and_saveexec_b64 s[2:3], s[34:35]
	s_cbranch_execz .LBB716_76
.LBB716_58:
	v_mov_b32_e32 v1, s51
	v_add_co_u32_e32 v68, vcc, s7, v70
	v_addc_co_u32_e32 v69, vcc, 0, v1, vcc
	flat_load_dwordx2 v[68:69], v[68:69]
	s_or_b64 exec, exec, s[2:3]
                                        ; implicit-def: $vgpr70_vgpr71
	s_and_saveexec_b64 s[2:3], s[36:37]
	s_cbranch_execz .LBB716_78
	s_branch .LBB716_77
.LBB716_59:
	s_mov_b64 s[10:11], 0
                                        ; implicit-def: $sgpr8_sgpr9
                                        ; implicit-def: $vgpr34_vgpr35
                                        ; implicit-def: $vgpr70_vgpr71
                                        ; implicit-def: $vgpr98
                                        ; implicit-def: $vgpr40_vgpr41
                                        ; implicit-def: $vgpr112
                                        ; implicit-def: $vgpr72_vgpr73
                                        ; implicit-def: $vgpr111
                                        ; implicit-def: $vgpr68_vgpr69
                                        ; implicit-def: $vgpr110
                                        ; implicit-def: $vgpr66_vgpr67
                                        ; implicit-def: $vgpr109
                                        ; implicit-def: $vgpr64_vgpr65
                                        ; implicit-def: $vgpr108
                                        ; implicit-def: $vgpr48_vgpr49
                                        ; implicit-def: $vgpr107
                                        ; implicit-def: $vgpr46_vgpr47
                                        ; implicit-def: $vgpr106
                                        ; implicit-def: $vgpr52_vgpr53
                                        ; implicit-def: $vgpr105
                                        ; implicit-def: $vgpr50_vgpr51
                                        ; implicit-def: $vgpr104
                                        ; implicit-def: $vgpr56_vgpr57
                                        ; implicit-def: $vgpr103
                                        ; implicit-def: $vgpr54_vgpr55
                                        ; implicit-def: $vgpr102
                                        ; implicit-def: $vgpr60_vgpr61
                                        ; implicit-def: $vgpr101
                                        ; implicit-def: $vgpr58_vgpr59
                                        ; implicit-def: $vgpr100
                                        ; implicit-def: $vgpr62_vgpr63
                                        ; implicit-def: $vgpr99
                                        ; implicit-def: $vgpr44_vgpr45
                                        ; implicit-def: $vgpr97
                                        ; implicit-def: $vgpr42_vgpr43
                                        ; implicit-def: $vgpr96
                                        ; implicit-def: $vgpr38_vgpr39
                                        ; implicit-def: $vgpr1
                                        ; implicit-def: $sgpr72
                                        ; implicit-def: $sgpr4_sgpr5
	s_and_b64 vcc, exec, s[2:3]
	v_lshlrev_b32_e32 v113, 3, v0
	s_cbranch_vccz .LBB716_124
	s_branch .LBB716_119
.LBB716_60:
	s_or_b64 exec, exec, s[42:43]
                                        ; implicit-def: $vgpr38_vgpr39
	s_and_saveexec_b64 s[42:43], s[2:3]
	s_cbranch_execz .LBB716_43
.LBB716_61:
	v_mov_b32_e32 v39, s51
	v_add_co_u32_e32 v38, vcc, s7, v81
	v_addc_co_u32_e32 v39, vcc, 0, v39, vcc
	flat_load_dwordx2 v[38:39], v[38:39] offset:512
	s_or_b64 exec, exec, s[42:43]
                                        ; implicit-def: $vgpr40_vgpr41
	s_and_saveexec_b64 s[2:3], s[4:5]
	s_cbranch_execnz .LBB716_44
.LBB716_62:
	s_or_b64 exec, exec, s[2:3]
                                        ; implicit-def: $vgpr42_vgpr43
	s_and_saveexec_b64 s[2:3], s[40:41]
	s_cbranch_execz .LBB716_45
.LBB716_63:
	v_mov_b32_e32 v43, s51
	v_add_co_u32_e32 v42, vcc, s7, v81
	v_addc_co_u32_e32 v43, vcc, 0, v43, vcc
	flat_load_dwordx2 v[42:43], v[42:43] offset:1536
	s_or_b64 exec, exec, s[2:3]
                                        ; implicit-def: $vgpr44_vgpr45
	s_and_saveexec_b64 s[2:3], s[8:9]
	s_cbranch_execnz .LBB716_46
.LBB716_64:
	s_or_b64 exec, exec, s[2:3]
                                        ; implicit-def: $vgpr46_vgpr47
	s_and_saveexec_b64 s[2:3], s[10:11]
	s_cbranch_execz .LBB716_47
.LBB716_65:
	v_mov_b32_e32 v47, s51
	v_add_co_u32_e32 v46, vcc, s7, v81
	v_addc_co_u32_e32 v47, vcc, 0, v47, vcc
	flat_load_dwordx2 v[46:47], v[46:47] offset:2560
	s_or_b64 exec, exec, s[2:3]
                                        ; implicit-def: $vgpr48_vgpr49
	s_and_saveexec_b64 s[2:3], s[12:13]
	s_cbranch_execnz .LBB716_48
.LBB716_66:
	s_or_b64 exec, exec, s[2:3]
                                        ; implicit-def: $vgpr50_vgpr51
	s_and_saveexec_b64 s[2:3], s[14:15]
	s_cbranch_execz .LBB716_49
.LBB716_67:
	v_mov_b32_e32 v51, s51
	v_add_co_u32_e32 v50, vcc, s7, v81
	v_addc_co_u32_e32 v51, vcc, 0, v51, vcc
	flat_load_dwordx2 v[50:51], v[50:51] offset:3584
	s_or_b64 exec, exec, s[2:3]
                                        ; implicit-def: $vgpr52_vgpr53
	s_and_saveexec_b64 s[2:3], s[16:17]
	s_cbranch_execnz .LBB716_50
.LBB716_68:
	s_or_b64 exec, exec, s[2:3]
                                        ; implicit-def: $vgpr54_vgpr55
	s_and_saveexec_b64 s[2:3], s[18:19]
	s_cbranch_execz .LBB716_51
.LBB716_69:
	v_mov_b32_e32 v1, s51
	v_add_co_u32_e32 v54, vcc, s7, v56
	v_addc_co_u32_e32 v55, vcc, 0, v1, vcc
	flat_load_dwordx2 v[54:55], v[54:55]
	s_or_b64 exec, exec, s[2:3]
                                        ; implicit-def: $vgpr56_vgpr57
	s_and_saveexec_b64 s[2:3], s[20:21]
	s_cbranch_execnz .LBB716_52
.LBB716_70:
	s_or_b64 exec, exec, s[2:3]
                                        ; implicit-def: $vgpr58_vgpr59
	s_and_saveexec_b64 s[2:3], s[22:23]
	s_cbranch_execz .LBB716_53
.LBB716_71:
	v_mov_b32_e32 v1, s51
	v_add_co_u32_e32 v58, vcc, s7, v60
	v_addc_co_u32_e32 v59, vcc, 0, v1, vcc
	flat_load_dwordx2 v[58:59], v[58:59]
	s_or_b64 exec, exec, s[2:3]
                                        ; implicit-def: $vgpr60_vgpr61
	s_and_saveexec_b64 s[2:3], s[24:25]
	s_cbranch_execnz .LBB716_54
.LBB716_72:
	s_or_b64 exec, exec, s[2:3]
                                        ; implicit-def: $vgpr62_vgpr63
	s_and_saveexec_b64 s[2:3], s[26:27]
	s_cbranch_execz .LBB716_55
.LBB716_73:
	v_mov_b32_e32 v1, s51
	v_add_co_u32_e32 v62, vcc, s7, v64
	v_addc_co_u32_e32 v63, vcc, 0, v1, vcc
	flat_load_dwordx2 v[62:63], v[62:63]
	s_or_b64 exec, exec, s[2:3]
                                        ; implicit-def: $vgpr64_vgpr65
	s_and_saveexec_b64 s[2:3], s[28:29]
	s_cbranch_execnz .LBB716_56
.LBB716_74:
	s_or_b64 exec, exec, s[2:3]
                                        ; implicit-def: $vgpr66_vgpr67
	s_and_saveexec_b64 s[2:3], s[30:31]
	s_cbranch_execz .LBB716_57
.LBB716_75:
	v_mov_b32_e32 v1, s51
	v_add_co_u32_e32 v66, vcc, s7, v68
	v_addc_co_u32_e32 v67, vcc, 0, v1, vcc
	flat_load_dwordx2 v[66:67], v[66:67]
	s_or_b64 exec, exec, s[2:3]
                                        ; implicit-def: $vgpr68_vgpr69
	s_and_saveexec_b64 s[2:3], s[34:35]
	s_cbranch_execnz .LBB716_58
.LBB716_76:
	s_or_b64 exec, exec, s[2:3]
                                        ; implicit-def: $vgpr70_vgpr71
	s_and_saveexec_b64 s[2:3], s[36:37]
	s_cbranch_execz .LBB716_78
.LBB716_77:
	v_mov_b32_e32 v1, s51
	v_add_co_u32_e32 v70, vcc, s7, v72
	v_addc_co_u32_e32 v71, vcc, 0, v1, vcc
	flat_load_dwordx2 v[70:71], v[70:71]
.LBB716_78:
	s_or_b64 exec, exec, s[2:3]
	v_mul_u32_u24_e32 v79, 19, v0
                                        ; implicit-def: $vgpr72_vgpr73
	s_and_saveexec_b64 s[2:3], s[38:39]
	s_cbranch_execz .LBB716_80
; %bb.79:
	v_mov_b32_e32 v1, s51
	v_add_co_u32_e32 v72, vcc, s7, v80
	v_addc_co_u32_e32 v73, vcc, 0, v1, vcc
	flat_load_dwordx2 v[72:73], v[72:73]
.LBB716_80:
	s_or_b64 exec, exec, s[2:3]
	s_waitcnt vmcnt(0) lgkmcnt(0)
	ds_write2st64_b64 v81, v[34:35], v[38:39] offset1:1
	ds_write2st64_b64 v81, v[40:41], v[42:43] offset0:2 offset1:3
	ds_write2st64_b64 v81, v[44:45], v[46:47] offset0:4 offset1:5
	;; [unrolled: 1-line block ×8, first 2 shown]
	ds_write_b64 v81, v[72:73] offset:9216
	v_pk_mov_b32 v[70:71], 0, 0
	v_cmp_gt_u32_e32 vcc, s70, v79
	s_mov_b64 s[10:11], 0
	s_mov_b32 s72, 0
	s_mov_b64 s[2:3], 0
	v_mov_b32_e32 v98, 0
	v_pk_mov_b32 v[40:41], v[70:71], v[70:71] op_sel:[0,1]
	v_mov_b32_e32 v112, 0
	v_pk_mov_b32 v[72:73], v[70:71], v[70:71] op_sel:[0,1]
	;; [unrolled: 2-line block ×17, first 2 shown]
	v_mov_b32_e32 v1, 0
	s_waitcnt lgkmcnt(0)
	; wave barrier
	s_waitcnt lgkmcnt(0)
                                        ; implicit-def: $sgpr8_sgpr9
                                        ; implicit-def: $vgpr34_vgpr35
	s_and_saveexec_b64 s[4:5], vcc
	s_cbranch_execz .LBB716_118
; %bb.81:
	ds_read_b64 v[34:35], v78
	v_cmp_ne_u64_e32 vcc, 0, v[36:37]
	v_mov_b32_e32 v36, s65
	v_add_u32_e32 v38, 1, v79
	v_pk_mov_b32 v[40:41], 0, 0
	s_waitcnt lgkmcnt(0)
	v_cndmask_b32_e32 v71, v35, v36, vcc
	v_mov_b32_e32 v35, s64
	v_cndmask_b32_e64 v1, 0, 1, vcc
	v_cndmask_b32_e32 v70, v34, v35, vcc
	v_cmp_gt_u32_e32 vcc, s70, v38
	v_mov_b32_e32 v98, 0
	v_mov_b32_e32 v112, 0
	v_pk_mov_b32 v[72:73], v[40:41], v[40:41] op_sel:[0,1]
	v_mov_b32_e32 v111, 0
	v_pk_mov_b32 v[68:69], v[40:41], v[40:41] op_sel:[0,1]
	;; [unrolled: 2-line block ×16, first 2 shown]
                                        ; implicit-def: $sgpr14_sgpr15
                                        ; implicit-def: $vgpr34_vgpr35
	s_and_saveexec_b64 s[8:9], vcc
	s_cbranch_execz .LBB716_117
; %bb.82:
	ds_read2_b64 v[34:37], v78 offset0:1 offset1:2
	v_cmp_ne_u64_e32 vcc, 0, v[30:31]
	v_mov_b32_e32 v30, s65
	v_add_u32_e32 v40, 2, v79
	v_cndmask_b32_e64 v96, 0, 1, vcc
	s_waitcnt lgkmcnt(0)
	v_cndmask_b32_e32 v39, v35, v30, vcc
	v_mov_b32_e32 v30, s64
	v_cndmask_b32_e32 v38, v34, v30, vcc
	v_cmp_gt_u32_e32 vcc, s70, v40
	v_pk_mov_b32 v[40:41], 0, 0
	s_mov_b64 s[12:13], 0
	v_mov_b32_e32 v98, 0
	v_mov_b32_e32 v112, 0
	v_pk_mov_b32 v[72:73], v[40:41], v[40:41] op_sel:[0,1]
	v_mov_b32_e32 v111, 0
	v_pk_mov_b32 v[68:69], v[40:41], v[40:41] op_sel:[0,1]
	v_mov_b32_e32 v110, 0
	v_pk_mov_b32 v[66:67], v[40:41], v[40:41] op_sel:[0,1]
	v_mov_b32_e32 v109, 0
	v_pk_mov_b32 v[64:65], v[40:41], v[40:41] op_sel:[0,1]
	v_mov_b32_e32 v108, 0
	v_pk_mov_b32 v[48:49], v[40:41], v[40:41] op_sel:[0,1]
	v_mov_b32_e32 v107, 0
	v_pk_mov_b32 v[46:47], v[40:41], v[40:41] op_sel:[0,1]
	v_mov_b32_e32 v106, 0
	v_pk_mov_b32 v[52:53], v[40:41], v[40:41] op_sel:[0,1]
	v_mov_b32_e32 v105, 0
	v_pk_mov_b32 v[50:51], v[40:41], v[40:41] op_sel:[0,1]
	v_mov_b32_e32 v104, 0
	v_pk_mov_b32 v[56:57], v[40:41], v[40:41] op_sel:[0,1]
	v_mov_b32_e32 v103, 0
	v_pk_mov_b32 v[54:55], v[40:41], v[40:41] op_sel:[0,1]
	v_mov_b32_e32 v102, 0
	v_pk_mov_b32 v[60:61], v[40:41], v[40:41] op_sel:[0,1]
	v_mov_b32_e32 v101, 0
	v_pk_mov_b32 v[58:59], v[40:41], v[40:41] op_sel:[0,1]
	v_mov_b32_e32 v100, 0
	v_pk_mov_b32 v[62:63], v[40:41], v[40:41] op_sel:[0,1]
	v_mov_b32_e32 v99, 0
	v_pk_mov_b32 v[44:45], v[40:41], v[40:41] op_sel:[0,1]
	v_mov_b32_e32 v97, 0
	v_pk_mov_b32 v[42:43], v[40:41], v[40:41] op_sel:[0,1]
                                        ; implicit-def: $sgpr16_sgpr17
                                        ; implicit-def: $vgpr34_vgpr35
	s_and_saveexec_b64 s[10:11], vcc
	s_cbranch_execz .LBB716_116
; %bb.83:
	v_cmp_ne_u64_e32 vcc, 0, v[32:33]
	v_mov_b32_e32 v31, s65
	v_add_u32_e32 v30, 3, v79
	v_cndmask_b32_e32 v43, v37, v31, vcc
	v_mov_b32_e32 v31, s64
	v_pk_mov_b32 v[40:41], 0, 0
	s_mov_b64 s[14:15], 0
	v_cndmask_b32_e64 v97, 0, 1, vcc
	v_cndmask_b32_e32 v42, v36, v31, vcc
	v_cmp_gt_u32_e32 vcc, s70, v30
	v_mov_b32_e32 v98, 0
	v_mov_b32_e32 v112, 0
	v_pk_mov_b32 v[72:73], v[40:41], v[40:41] op_sel:[0,1]
	v_mov_b32_e32 v111, 0
	v_pk_mov_b32 v[68:69], v[40:41], v[40:41] op_sel:[0,1]
	;; [unrolled: 2-line block ×14, first 2 shown]
                                        ; implicit-def: $sgpr18_sgpr19
                                        ; implicit-def: $vgpr34_vgpr35
	s_and_saveexec_b64 s[12:13], vcc
	s_cbranch_execz .LBB716_115
; %bb.84:
	ds_read2_b64 v[30:33], v78 offset0:3 offset1:4
	v_cmp_ne_u64_e32 vcc, 0, v[26:27]
	v_mov_b32_e32 v26, s65
	v_add_u32_e32 v34, 4, v79
	v_pk_mov_b32 v[40:41], 0, 0
	s_waitcnt lgkmcnt(0)
	v_cndmask_b32_e32 v45, v31, v26, vcc
	v_mov_b32_e32 v26, s64
	s_mov_b64 s[16:17], 0
	v_cndmask_b32_e64 v99, 0, 1, vcc
	v_cndmask_b32_e32 v44, v30, v26, vcc
	v_cmp_gt_u32_e32 vcc, s70, v34
	v_mov_b32_e32 v98, 0
	v_mov_b32_e32 v112, 0
	v_pk_mov_b32 v[72:73], v[40:41], v[40:41] op_sel:[0,1]
	v_mov_b32_e32 v111, 0
	v_pk_mov_b32 v[68:69], v[40:41], v[40:41] op_sel:[0,1]
	;; [unrolled: 2-line block ×13, first 2 shown]
                                        ; implicit-def: $sgpr20_sgpr21
                                        ; implicit-def: $vgpr34_vgpr35
	s_and_saveexec_b64 s[14:15], vcc
	s_cbranch_execz .LBB716_114
; %bb.85:
	v_cmp_ne_u64_e32 vcc, 0, v[28:29]
	v_mov_b32_e32 v27, s65
	v_add_u32_e32 v26, 5, v79
	v_cndmask_b32_e32 v63, v33, v27, vcc
	v_mov_b32_e32 v27, s64
	v_pk_mov_b32 v[40:41], 0, 0
	s_mov_b64 s[18:19], 0
	v_cndmask_b32_e64 v100, 0, 1, vcc
	v_cndmask_b32_e32 v62, v32, v27, vcc
	v_cmp_gt_u32_e32 vcc, s70, v26
	v_mov_b32_e32 v98, 0
	v_mov_b32_e32 v112, 0
	v_pk_mov_b32 v[72:73], v[40:41], v[40:41] op_sel:[0,1]
	v_mov_b32_e32 v111, 0
	v_pk_mov_b32 v[68:69], v[40:41], v[40:41] op_sel:[0,1]
	v_mov_b32_e32 v110, 0
	v_pk_mov_b32 v[66:67], v[40:41], v[40:41] op_sel:[0,1]
	v_mov_b32_e32 v109, 0
	v_pk_mov_b32 v[64:65], v[40:41], v[40:41] op_sel:[0,1]
	v_mov_b32_e32 v108, 0
	v_pk_mov_b32 v[48:49], v[40:41], v[40:41] op_sel:[0,1]
	v_mov_b32_e32 v107, 0
	v_pk_mov_b32 v[46:47], v[40:41], v[40:41] op_sel:[0,1]
	v_mov_b32_e32 v106, 0
	v_pk_mov_b32 v[52:53], v[40:41], v[40:41] op_sel:[0,1]
	v_mov_b32_e32 v105, 0
	v_pk_mov_b32 v[50:51], v[40:41], v[40:41] op_sel:[0,1]
	v_mov_b32_e32 v104, 0
	v_pk_mov_b32 v[56:57], v[40:41], v[40:41] op_sel:[0,1]
	v_mov_b32_e32 v103, 0
	v_pk_mov_b32 v[54:55], v[40:41], v[40:41] op_sel:[0,1]
	v_mov_b32_e32 v102, 0
	v_pk_mov_b32 v[60:61], v[40:41], v[40:41] op_sel:[0,1]
	v_mov_b32_e32 v101, 0
	v_pk_mov_b32 v[58:59], v[40:41], v[40:41] op_sel:[0,1]
                                        ; implicit-def: $sgpr22_sgpr23
                                        ; implicit-def: $vgpr34_vgpr35
	s_and_saveexec_b64 s[16:17], vcc
	s_cbranch_execz .LBB716_113
; %bb.86:
	ds_read2_b64 v[26:29], v78 offset0:5 offset1:6
	v_cmp_ne_u64_e32 vcc, 0, v[22:23]
	v_mov_b32_e32 v22, s65
	v_add_u32_e32 v30, 6, v79
	v_pk_mov_b32 v[40:41], 0, 0
	s_waitcnt lgkmcnt(0)
	v_cndmask_b32_e32 v59, v27, v22, vcc
	v_mov_b32_e32 v22, s64
	s_mov_b64 s[20:21], 0
	v_cndmask_b32_e64 v101, 0, 1, vcc
	v_cndmask_b32_e32 v58, v26, v22, vcc
	v_cmp_gt_u32_e32 vcc, s70, v30
	v_mov_b32_e32 v98, 0
	v_mov_b32_e32 v112, 0
	v_pk_mov_b32 v[72:73], v[40:41], v[40:41] op_sel:[0,1]
	v_mov_b32_e32 v111, 0
	v_pk_mov_b32 v[68:69], v[40:41], v[40:41] op_sel:[0,1]
	;; [unrolled: 2-line block ×11, first 2 shown]
                                        ; implicit-def: $sgpr24_sgpr25
                                        ; implicit-def: $vgpr34_vgpr35
	s_and_saveexec_b64 s[18:19], vcc
	s_cbranch_execz .LBB716_112
; %bb.87:
	v_cmp_ne_u64_e32 vcc, 0, v[24:25]
	v_mov_b32_e32 v23, s65
	v_add_u32_e32 v22, 7, v79
	v_cndmask_b32_e32 v61, v29, v23, vcc
	v_mov_b32_e32 v23, s64
	v_pk_mov_b32 v[40:41], 0, 0
	s_mov_b64 s[22:23], 0
	v_cndmask_b32_e64 v102, 0, 1, vcc
	v_cndmask_b32_e32 v60, v28, v23, vcc
	v_cmp_gt_u32_e32 vcc, s70, v22
	v_mov_b32_e32 v98, 0
	v_mov_b32_e32 v112, 0
	v_pk_mov_b32 v[72:73], v[40:41], v[40:41] op_sel:[0,1]
	v_mov_b32_e32 v111, 0
	v_pk_mov_b32 v[68:69], v[40:41], v[40:41] op_sel:[0,1]
	;; [unrolled: 2-line block ×10, first 2 shown]
                                        ; implicit-def: $sgpr26_sgpr27
                                        ; implicit-def: $vgpr34_vgpr35
	s_and_saveexec_b64 s[20:21], vcc
	s_cbranch_execz .LBB716_111
; %bb.88:
	ds_read2_b64 v[22:25], v78 offset0:7 offset1:8
	v_cmp_ne_u64_e32 vcc, 0, v[18:19]
	v_mov_b32_e32 v18, s65
	v_add_u32_e32 v26, 8, v79
	v_pk_mov_b32 v[40:41], 0, 0
	s_waitcnt lgkmcnt(0)
	v_cndmask_b32_e32 v55, v23, v18, vcc
	v_mov_b32_e32 v18, s64
	s_mov_b64 s[24:25], 0
	v_cndmask_b32_e64 v103, 0, 1, vcc
	v_cndmask_b32_e32 v54, v22, v18, vcc
	v_cmp_gt_u32_e32 vcc, s70, v26
	v_mov_b32_e32 v98, 0
	v_mov_b32_e32 v112, 0
	v_pk_mov_b32 v[72:73], v[40:41], v[40:41] op_sel:[0,1]
	v_mov_b32_e32 v111, 0
	v_pk_mov_b32 v[68:69], v[40:41], v[40:41] op_sel:[0,1]
	;; [unrolled: 2-line block ×9, first 2 shown]
                                        ; implicit-def: $sgpr28_sgpr29
                                        ; implicit-def: $vgpr34_vgpr35
	s_and_saveexec_b64 s[22:23], vcc
	s_cbranch_execz .LBB716_110
; %bb.89:
	v_cmp_ne_u64_e32 vcc, 0, v[20:21]
	v_mov_b32_e32 v19, s65
	v_add_u32_e32 v18, 9, v79
	v_cndmask_b32_e32 v57, v25, v19, vcc
	v_mov_b32_e32 v19, s64
	v_pk_mov_b32 v[40:41], 0, 0
	s_mov_b64 s[26:27], 0
	v_cndmask_b32_e64 v104, 0, 1, vcc
	v_cndmask_b32_e32 v56, v24, v19, vcc
	v_cmp_gt_u32_e32 vcc, s70, v18
	v_mov_b32_e32 v98, 0
	v_mov_b32_e32 v112, 0
	v_pk_mov_b32 v[72:73], v[40:41], v[40:41] op_sel:[0,1]
	v_mov_b32_e32 v111, 0
	v_pk_mov_b32 v[68:69], v[40:41], v[40:41] op_sel:[0,1]
	;; [unrolled: 2-line block ×8, first 2 shown]
                                        ; implicit-def: $sgpr30_sgpr31
                                        ; implicit-def: $vgpr34_vgpr35
	s_and_saveexec_b64 s[24:25], vcc
	s_cbranch_execz .LBB716_109
; %bb.90:
	ds_read2_b64 v[18:21], v78 offset0:9 offset1:10
	v_cmp_ne_u64_e32 vcc, 0, v[14:15]
	v_mov_b32_e32 v14, s65
	v_add_u32_e32 v22, 10, v79
	v_pk_mov_b32 v[40:41], 0, 0
	s_waitcnt lgkmcnt(0)
	v_cndmask_b32_e32 v51, v19, v14, vcc
	v_mov_b32_e32 v14, s64
	s_mov_b64 s[28:29], 0
	v_cndmask_b32_e64 v105, 0, 1, vcc
	v_cndmask_b32_e32 v50, v18, v14, vcc
	v_cmp_gt_u32_e32 vcc, s70, v22
	v_mov_b32_e32 v98, 0
	v_mov_b32_e32 v112, 0
	v_pk_mov_b32 v[72:73], v[40:41], v[40:41] op_sel:[0,1]
	v_mov_b32_e32 v111, 0
	v_pk_mov_b32 v[68:69], v[40:41], v[40:41] op_sel:[0,1]
	;; [unrolled: 2-line block ×7, first 2 shown]
                                        ; implicit-def: $sgpr34_sgpr35
                                        ; implicit-def: $vgpr34_vgpr35
	s_and_saveexec_b64 s[26:27], vcc
	s_cbranch_execz .LBB716_108
; %bb.91:
	v_cmp_ne_u64_e32 vcc, 0, v[16:17]
	v_mov_b32_e32 v15, s65
	v_add_u32_e32 v14, 11, v79
	v_cndmask_b32_e32 v53, v21, v15, vcc
	v_mov_b32_e32 v15, s64
	v_pk_mov_b32 v[40:41], 0, 0
	s_mov_b64 s[30:31], 0
	v_cndmask_b32_e64 v106, 0, 1, vcc
	v_cndmask_b32_e32 v52, v20, v15, vcc
	v_cmp_gt_u32_e32 vcc, s70, v14
	v_mov_b32_e32 v98, 0
	v_mov_b32_e32 v112, 0
	v_pk_mov_b32 v[72:73], v[40:41], v[40:41] op_sel:[0,1]
	v_mov_b32_e32 v111, 0
	v_pk_mov_b32 v[68:69], v[40:41], v[40:41] op_sel:[0,1]
	;; [unrolled: 2-line block ×6, first 2 shown]
                                        ; implicit-def: $sgpr36_sgpr37
                                        ; implicit-def: $vgpr34_vgpr35
	s_and_saveexec_b64 s[28:29], vcc
	s_cbranch_execz .LBB716_107
; %bb.92:
	ds_read2_b64 v[14:17], v78 offset0:11 offset1:12
	v_cmp_ne_u64_e32 vcc, 0, v[10:11]
	v_mov_b32_e32 v10, s65
	v_add_u32_e32 v18, 12, v79
	v_pk_mov_b32 v[40:41], 0, 0
	s_waitcnt lgkmcnt(0)
	v_cndmask_b32_e32 v47, v15, v10, vcc
	v_mov_b32_e32 v10, s64
	s_mov_b64 s[34:35], 0
	v_cndmask_b32_e64 v107, 0, 1, vcc
	v_cndmask_b32_e32 v46, v14, v10, vcc
	v_cmp_gt_u32_e32 vcc, s70, v18
	v_mov_b32_e32 v98, 0
	v_mov_b32_e32 v112, 0
	v_pk_mov_b32 v[72:73], v[40:41], v[40:41] op_sel:[0,1]
	v_mov_b32_e32 v111, 0
	v_pk_mov_b32 v[68:69], v[40:41], v[40:41] op_sel:[0,1]
	;; [unrolled: 2-line block ×5, first 2 shown]
                                        ; implicit-def: $sgpr38_sgpr39
                                        ; implicit-def: $vgpr34_vgpr35
	s_and_saveexec_b64 s[30:31], vcc
	s_cbranch_execz .LBB716_106
; %bb.93:
	v_cmp_ne_u64_e32 vcc, 0, v[12:13]
	v_mov_b32_e32 v11, s65
	v_add_u32_e32 v10, 13, v79
	v_cndmask_b32_e32 v49, v17, v11, vcc
	v_mov_b32_e32 v11, s64
	v_pk_mov_b32 v[40:41], 0, 0
	s_mov_b64 s[36:37], 0
	v_cndmask_b32_e64 v108, 0, 1, vcc
	v_cndmask_b32_e32 v48, v16, v11, vcc
	v_cmp_gt_u32_e32 vcc, s70, v10
	v_mov_b32_e32 v98, 0
	v_mov_b32_e32 v112, 0
	v_pk_mov_b32 v[72:73], v[40:41], v[40:41] op_sel:[0,1]
	v_mov_b32_e32 v111, 0
	v_pk_mov_b32 v[68:69], v[40:41], v[40:41] op_sel:[0,1]
	v_mov_b32_e32 v110, 0
	v_pk_mov_b32 v[66:67], v[40:41], v[40:41] op_sel:[0,1]
	v_mov_b32_e32 v109, 0
	v_pk_mov_b32 v[64:65], v[40:41], v[40:41] op_sel:[0,1]
                                        ; implicit-def: $sgpr40_sgpr41
                                        ; implicit-def: $vgpr34_vgpr35
	s_and_saveexec_b64 s[34:35], vcc
	s_cbranch_execz .LBB716_105
; %bb.94:
	ds_read2_b64 v[10:13], v78 offset0:13 offset1:14
	v_cmp_ne_u64_e32 vcc, 0, v[6:7]
	v_mov_b32_e32 v6, s65
	v_add_u32_e32 v14, 14, v79
	v_pk_mov_b32 v[40:41], 0, 0
	s_waitcnt lgkmcnt(0)
	v_cndmask_b32_e32 v65, v11, v6, vcc
	v_mov_b32_e32 v6, s64
	s_mov_b64 s[38:39], 0
	v_cndmask_b32_e64 v109, 0, 1, vcc
	v_cndmask_b32_e32 v64, v10, v6, vcc
	v_cmp_gt_u32_e32 vcc, s70, v14
	v_mov_b32_e32 v98, 0
	v_mov_b32_e32 v112, 0
	v_pk_mov_b32 v[72:73], v[40:41], v[40:41] op_sel:[0,1]
	v_mov_b32_e32 v111, 0
	v_pk_mov_b32 v[68:69], v[40:41], v[40:41] op_sel:[0,1]
	;; [unrolled: 2-line block ×3, first 2 shown]
                                        ; implicit-def: $sgpr42_sgpr43
                                        ; implicit-def: $vgpr34_vgpr35
	s_and_saveexec_b64 s[36:37], vcc
	s_cbranch_execz .LBB716_104
; %bb.95:
	v_cmp_ne_u64_e32 vcc, 0, v[8:9]
	v_mov_b32_e32 v7, s65
	v_add_u32_e32 v6, 15, v79
	v_cndmask_b32_e32 v67, v13, v7, vcc
	v_mov_b32_e32 v7, s64
	v_pk_mov_b32 v[40:41], 0, 0
	s_mov_b64 s[40:41], 0
	v_cndmask_b32_e64 v110, 0, 1, vcc
	v_cndmask_b32_e32 v66, v12, v7, vcc
	v_cmp_gt_u32_e32 vcc, s70, v6
	v_mov_b32_e32 v98, 0
	v_mov_b32_e32 v112, 0
	v_pk_mov_b32 v[72:73], v[40:41], v[40:41] op_sel:[0,1]
	v_mov_b32_e32 v111, 0
	v_pk_mov_b32 v[68:69], v[40:41], v[40:41] op_sel:[0,1]
                                        ; implicit-def: $sgpr60_sgpr61
                                        ; implicit-def: $vgpr34_vgpr35
	s_and_saveexec_b64 s[38:39], vcc
	s_cbranch_execz .LBB716_103
; %bb.96:
	ds_read2_b64 v[6:9], v78 offset0:15 offset1:16
	v_cmp_ne_u64_e32 vcc, 0, v[2:3]
	v_mov_b32_e32 v2, s65
	v_add_u32_e32 v10, 16, v79
	v_pk_mov_b32 v[40:41], 0, 0
	s_waitcnt lgkmcnt(0)
	v_cndmask_b32_e32 v69, v7, v2, vcc
	v_mov_b32_e32 v2, s64
	s_mov_b64 s[42:43], 0
	v_cndmask_b32_e64 v111, 0, 1, vcc
	v_cndmask_b32_e32 v68, v6, v2, vcc
	v_cmp_gt_u32_e32 vcc, s70, v10
	v_mov_b32_e32 v98, 0
	v_mov_b32_e32 v112, 0
	v_pk_mov_b32 v[72:73], v[40:41], v[40:41] op_sel:[0,1]
                                        ; implicit-def: $sgpr68_sgpr69
                                        ; implicit-def: $vgpr34_vgpr35
	s_and_saveexec_b64 s[40:41], vcc
	s_cbranch_execz .LBB716_102
; %bb.97:
	v_cmp_ne_u64_e32 vcc, 0, v[4:5]
	v_mov_b32_e32 v3, s65
	v_add_u32_e32 v2, 17, v79
	v_cndmask_b32_e32 v73, v9, v3, vcc
	v_mov_b32_e32 v3, s64
	s_mov_b64 s[60:61], 0
	v_cndmask_b32_e64 v112, 0, 1, vcc
	v_cndmask_b32_e32 v72, v8, v3, vcc
	v_cmp_gt_u32_e32 vcc, s70, v2
	v_mov_b32_e32 v98, 0
	v_pk_mov_b32 v[40:41], 0, 0
                                        ; implicit-def: $sgpr68_sgpr69
                                        ; implicit-def: $vgpr34_vgpr35
	s_and_saveexec_b64 s[42:43], vcc
	s_cbranch_execz .LBB716_101
; %bb.98:
	ds_read2_b64 v[2:5], v78 offset0:17 offset1:18
	v_cmp_ne_u64_e32 vcc, 0, v[76:77]
	v_mov_b32_e32 v7, s65
	v_add_u32_e32 v6, 18, v79
	v_cndmask_b32_e64 v98, 0, 1, vcc
	s_waitcnt lgkmcnt(0)
	v_cndmask_b32_e32 v41, v3, v7, vcc
	v_mov_b32_e32 v3, s64
	v_cndmask_b32_e32 v40, v2, v3, vcc
	v_cmp_gt_u32_e32 vcc, s70, v6
                                        ; implicit-def: $sgpr68_sgpr69
                                        ; implicit-def: $vgpr34_vgpr35
	s_and_saveexec_b64 s[70:71], vcc
	s_xor_b64 s[70:71], exec, s[70:71]
; %bb.99:
	v_mov_b32_e32 v2, s65
	v_cmp_ne_u64_e32 vcc, 0, v[74:75]
	v_cndmask_b32_e32 v35, v5, v2, vcc
	v_mov_b32_e32 v2, s64
	s_mov_b64 s[60:61], exec
	v_cndmask_b32_e32 v34, v4, v2, vcc
	s_and_b64 s[68:69], vcc, exec
; %bb.100:
	s_or_b64 exec, exec, s[70:71]
	s_and_b64 s[68:69], s[68:69], exec
	s_and_b64 s[60:61], s[60:61], exec
.LBB716_101:
	s_or_b64 exec, exec, s[42:43]
	s_and_b64 s[68:69], s[68:69], exec
	s_and_b64 s[42:43], s[60:61], exec
.LBB716_102:
	s_or_b64 exec, exec, s[40:41]
	s_and_b64 s[60:61], s[68:69], exec
	s_and_b64 s[40:41], s[42:43], exec
.LBB716_103:
	s_or_b64 exec, exec, s[38:39]
	s_and_b64 s[42:43], s[60:61], exec
	s_and_b64 s[38:39], s[40:41], exec
.LBB716_104:
	s_or_b64 exec, exec, s[36:37]
	s_and_b64 s[40:41], s[42:43], exec
	s_and_b64 s[36:37], s[38:39], exec
.LBB716_105:
	s_or_b64 exec, exec, s[34:35]
	s_and_b64 s[38:39], s[40:41], exec
	s_and_b64 s[34:35], s[36:37], exec
.LBB716_106:
	s_or_b64 exec, exec, s[30:31]
	s_and_b64 s[36:37], s[38:39], exec
	s_and_b64 s[30:31], s[34:35], exec
.LBB716_107:
	s_or_b64 exec, exec, s[28:29]
	s_and_b64 s[34:35], s[36:37], exec
	s_and_b64 s[28:29], s[30:31], exec
.LBB716_108:
	s_or_b64 exec, exec, s[26:27]
	s_and_b64 s[30:31], s[34:35], exec
	s_and_b64 s[26:27], s[28:29], exec
.LBB716_109:
	s_or_b64 exec, exec, s[24:25]
	s_and_b64 s[28:29], s[30:31], exec
	s_and_b64 s[24:25], s[26:27], exec
.LBB716_110:
	s_or_b64 exec, exec, s[22:23]
	s_and_b64 s[26:27], s[28:29], exec
	s_and_b64 s[22:23], s[24:25], exec
.LBB716_111:
	s_or_b64 exec, exec, s[20:21]
	s_and_b64 s[24:25], s[26:27], exec
	s_and_b64 s[20:21], s[22:23], exec
.LBB716_112:
	s_or_b64 exec, exec, s[18:19]
	s_and_b64 s[22:23], s[24:25], exec
	s_and_b64 s[18:19], s[20:21], exec
.LBB716_113:
	s_or_b64 exec, exec, s[16:17]
	s_and_b64 s[20:21], s[22:23], exec
	s_and_b64 s[16:17], s[18:19], exec
.LBB716_114:
	s_or_b64 exec, exec, s[14:15]
	s_and_b64 s[18:19], s[20:21], exec
	s_and_b64 s[14:15], s[16:17], exec
.LBB716_115:
	s_or_b64 exec, exec, s[12:13]
	s_and_b64 s[16:17], s[18:19], exec
	s_and_b64 s[12:13], s[14:15], exec
.LBB716_116:
	s_or_b64 exec, exec, s[10:11]
	s_and_b64 s[14:15], s[16:17], exec
	s_and_b64 s[10:11], s[12:13], exec
.LBB716_117:
	s_or_b64 exec, exec, s[8:9]
	s_and_b64 s[8:9], s[14:15], exec
	s_and_b64 s[10:11], s[10:11], exec
.LBB716_118:
	s_or_b64 exec, exec, s[4:5]
	s_mov_b64 s[4:5], 0
	s_and_b64 vcc, exec, s[2:3]
	v_lshlrev_b32_e32 v113, 3, v0
	s_cbranch_vccz .LBB716_124
.LBB716_119:
	v_mov_b32_e32 v1, s57
	v_add_co_u32_e32 v2, vcc, s56, v113
	v_addc_co_u32_e32 v3, vcc, 0, v1, vcc
	v_add_co_u32_e32 v20, vcc, 0x1000, v2
	v_addc_co_u32_e32 v21, vcc, 0, v3, vcc
	flat_load_dwordx2 v[4:5], v[2:3]
	flat_load_dwordx2 v[6:7], v[2:3] offset:512
	flat_load_dwordx2 v[8:9], v[2:3] offset:1024
	;; [unrolled: 1-line block ×7, first 2 shown]
	v_add_co_u32_e32 v2, vcc, 0x2000, v2
	v_addc_co_u32_e32 v3, vcc, 0, v3, vcc
	flat_load_dwordx2 v[22:23], v[20:21]
	flat_load_dwordx2 v[24:25], v[20:21] offset:512
	flat_load_dwordx2 v[26:27], v[20:21] offset:1024
	;; [unrolled: 1-line block ×7, first 2 shown]
	s_nop 0
	flat_load_dwordx2 v[20:21], v[2:3]
	flat_load_dwordx2 v[38:39], v[2:3] offset:512
	flat_load_dwordx2 v[40:41], v[2:3] offset:1024
	v_mov_b32_e32 v1, s56
	v_mov_b32_e32 v3, s57
	v_add_co_u32_e32 v2, vcc, 0x2000, v1
	v_addc_co_u32_e32 v3, vcc, 0, v3, vcc
	s_movk_i32 s2, 0x90
	v_mad_u32_u24 v1, v0, s2, v113
	s_movk_i32 s2, 0xff70
	s_movk_i32 s5, 0x1000
	;; [unrolled: 1-line block ×3, first 2 shown]
	v_cmp_ne_u32_e32 vcc, 63, v0
	s_waitcnt vmcnt(0) lgkmcnt(0)
	ds_write2st64_b64 v113, v[4:5], v[6:7] offset1:1
	ds_write2st64_b64 v113, v[8:9], v[10:11] offset0:2 offset1:3
	ds_write2st64_b64 v113, v[12:13], v[14:15] offset0:4 offset1:5
	;; [unrolled: 1-line block ×8, first 2 shown]
	ds_write_b64 v113, v[40:41] offset:9216
	s_waitcnt lgkmcnt(0)
	; wave barrier
	s_waitcnt lgkmcnt(0)
	flat_load_dwordx2 v[74:75], v[2:3] offset:1536
	v_mad_i32_i24 v2, v0, s2, v1
	ds_read2_b64 v[68:71], v1 offset1:1
	ds_read2_b64 v[42:45], v1 offset0:2 offset1:3
	ds_read2_b64 v[38:41], v1 offset0:4 offset1:5
	;; [unrolled: 1-line block ×8, first 2 shown]
	ds_read_b64 v[72:73], v1 offset:144
	s_waitcnt lgkmcnt(0)
	ds_write_b64 v2, v[68:69] offset:10240
	s_waitcnt lgkmcnt(0)
	; wave barrier
	s_waitcnt lgkmcnt(0)
	s_and_saveexec_b64 s[2:3], vcc
	s_cbranch_execz .LBB716_121
; %bb.120:
	s_waitcnt vmcnt(0)
	ds_read_b64 v[74:75], v113 offset:10248
.LBB716_121:
	s_or_b64 exec, exec, s[2:3]
	v_mov_b32_e32 v3, s51
	v_add_co_u32_e32 v2, vcc, s7, v113
	v_addc_co_u32_e32 v3, vcc, 0, v3, vcc
	v_add_co_u32_e32 v52, vcc, s5, v2
	v_addc_co_u32_e32 v53, vcc, 0, v3, vcc
	s_waitcnt lgkmcnt(0)
	; wave barrier
	s_waitcnt lgkmcnt(0)
	flat_load_dwordx2 v[4:5], v[2:3]
	flat_load_dwordx2 v[14:15], v[2:3] offset:512
	flat_load_dwordx2 v[16:17], v[2:3] offset:1024
	;; [unrolled: 1-line block ×7, first 2 shown]
	v_add_co_u32_e32 v2, vcc, s4, v2
	v_addc_co_u32_e32 v3, vcc, 0, v3, vcc
	flat_load_dwordx2 v[54:55], v[52:53]
	flat_load_dwordx2 v[56:57], v[52:53] offset:512
	flat_load_dwordx2 v[58:59], v[52:53] offset:1024
	;; [unrolled: 1-line block ×7, first 2 shown]
	s_nop 0
	flat_load_dwordx2 v[52:53], v[2:3]
	flat_load_dwordx2 v[76:77], v[2:3] offset:512
	flat_load_dwordx2 v[78:79], v[2:3] offset:1024
	v_cmp_ne_u64_e32 vcc, 0, v[70:71]
	v_cmp_eq_u64_e64 s[2:3], 0, v[70:71]
	v_pk_mov_b32 v[70:71], s[64:65], s[64:65] op_sel:[0,1]
	s_waitcnt vmcnt(0) lgkmcnt(0)
	ds_write2st64_b64 v113, v[4:5], v[14:15] offset1:1
	ds_write2st64_b64 v113, v[16:17], v[30:31] offset0:2 offset1:3
	ds_write2st64_b64 v113, v[32:33], v[46:47] offset0:4 offset1:5
	;; [unrolled: 1-line block ×8, first 2 shown]
	ds_write_b64 v113, v[78:79] offset:9216
	s_waitcnt lgkmcnt(0)
	; wave barrier
	s_waitcnt lgkmcnt(0)
	ds_read2_b64 v[66:69], v1 offset0:1 offset1:2
	ds_read2_b64 v[62:65], v1 offset0:3 offset1:4
	;; [unrolled: 1-line block ×9, first 2 shown]
	s_and_saveexec_b64 s[4:5], s[2:3]
	s_cbranch_execz .LBB716_123
; %bb.122:
	ds_read_b64 v[70:71], v1
.LBB716_123:
	s_or_b64 exec, exec, s[4:5]
	v_cmp_ne_u64_e64 s[4:5], 0, v[38:39]
	v_cmp_ne_u64_e64 s[8:9], 0, v[40:41]
	;; [unrolled: 1-line block ×3, first 2 shown]
	v_mov_b32_e32 v6, s65
	v_mov_b32_e32 v7, s64
	v_cndmask_b32_e64 v1, 0, 1, vcc
	v_cmp_ne_u64_e32 vcc, 0, v[42:43]
	v_cmp_ne_u64_e64 s[2:3], 0, v[44:45]
	v_cndmask_b32_e64 v100, 0, 1, s[8:9]
	v_cmp_ne_u64_e64 s[10:11], 0, v[34:35]
	v_cmp_ne_u64_e64 s[12:13], 0, v[36:37]
	v_cmp_ne_u64_e64 s[14:15], 0, v[26:27]
	v_cmp_ne_u64_e64 s[16:17], 0, v[28:29]
	v_cmp_ne_u64_e64 s[18:19], 0, v[22:23]
	v_cmp_ne_u64_e64 s[20:21], 0, v[24:25]
	v_cmp_ne_u64_e64 s[22:23], 0, v[18:19]
	v_cmp_ne_u64_e64 s[24:25], 0, v[20:21]
	v_cmp_ne_u64_e64 s[26:27], 0, v[10:11]
	v_cmp_ne_u64_e64 s[28:29], 0, v[12:13]
	v_cmp_ne_u64_e64 s[34:35], 0, v[8:9]
	v_cmp_ne_u64_e64 s[36:37], 0, v[72:73]
	s_waitcnt lgkmcnt(7)
	v_cndmask_b32_e64 v45, v63, v6, s[4:5]
	v_cndmask_b32_e64 v44, v62, v7, s[4:5]
	;; [unrolled: 1-line block ×4, first 2 shown]
	v_cmp_ne_u64_e64 s[8:9], 0, v[74:75]
	v_cndmask_b32_e64 v96, 0, 1, vcc
	v_cndmask_b32_e64 v97, 0, 1, s[2:3]
	v_cndmask_b32_e64 v99, 0, 1, s[4:5]
	;; [unrolled: 1-line block ×15, first 2 shown]
	v_cndmask_b32_e32 v39, v67, v6, vcc
	v_cndmask_b32_e32 v38, v66, v7, vcc
	v_cndmask_b32_e64 v43, v69, v6, s[2:3]
	v_cndmask_b32_e64 v42, v68, v7, s[2:3]
	s_waitcnt lgkmcnt(6)
	v_cndmask_b32_e64 v59, v59, v6, s[10:11]
	v_cndmask_b32_e64 v58, v58, v7, s[10:11]
	v_cndmask_b32_e64 v61, v61, v6, s[12:13]
	v_cndmask_b32_e64 v60, v60, v7, s[12:13]
	s_waitcnt lgkmcnt(5)
	v_cndmask_b32_e64 v55, v55, v6, s[14:15]
	v_cndmask_b32_e64 v54, v54, v7, s[14:15]
	;; [unrolled: 5-line block ×7, first 2 shown]
	v_cndmask_b32_e64 v35, v5, v6, s[8:9]
	v_cndmask_b32_e64 v34, v4, v7, s[8:9]
	s_mov_b64 s[10:11], -1
                                        ; implicit-def: $sgpr72
                                        ; implicit-def: $sgpr4_sgpr5
.LBB716_124:
	v_pk_mov_b32 v[74:75], s[4:5], s[4:5] op_sel:[0,1]
	v_mov_b32_e32 v114, s72
	s_and_saveexec_b64 s[2:3], s[10:11]
; %bb.125:
	v_cndmask_b32_e64 v114, 0, 1, s[8:9]
	v_pk_mov_b32 v[74:75], v[34:35], v[34:35] op_sel:[0,1]
; %bb.126:
	s_or_b64 exec, exec, s[2:3]
	v_or_b32_e32 v2, v114, v98
	s_cmp_lg_u32 s6, 0
	v_or_b32_e32 v116, v2, v112
	v_mbcnt_lo_u32_b32 v115, -1, 0
	s_waitcnt lgkmcnt(0)
	; wave barrier
	s_waitcnt lgkmcnt(0)
	s_cbranch_scc0 .LBB716_185
; %bb.127:
	v_mov_b32_e32 v2, 0
	v_cmp_eq_u16_sdwa s[36:37], v96, v2 src0_sel:BYTE_0 src1_sel:DWORD
	v_cndmask_b32_e64 v4, 0, v70, s[36:37]
	v_cndmask_b32_e64 v3, 0, v71, s[36:37]
	v_add_co_u32_e32 v4, vcc, v4, v38
	v_cmp_eq_u16_sdwa s[34:35], v97, v2 src0_sel:BYTE_0 src1_sel:DWORD
	v_addc_co_u32_e32 v3, vcc, v3, v39, vcc
	v_cndmask_b32_e64 v4, 0, v4, s[34:35]
	v_cndmask_b32_e64 v3, 0, v3, s[34:35]
	v_add_co_u32_e32 v4, vcc, v4, v42
	v_cmp_eq_u16_sdwa s[30:31], v99, v2 src0_sel:BYTE_0 src1_sel:DWORD
	v_addc_co_u32_e32 v3, vcc, v3, v43, vcc
	;; [unrolled: 5-line block ×16, first 2 shown]
	v_cndmask_b32_e64 v4, 0, v4, s[2:3]
	v_cndmask_b32_e64 v3, 0, v3, s[2:3]
	v_add_co_u32_e32 v4, vcc, v4, v40
	v_addc_co_u32_e32 v3, vcc, v3, v41, vcc
	v_cmp_eq_u16_sdwa vcc, v114, v2 src0_sel:BYTE_0 src1_sel:DWORD
	v_cndmask_b32_e32 v2, 0, v4, vcc
	v_or_b32_e32 v4, v116, v111
	v_or_b32_e32 v4, v4, v110
	;; [unrolled: 1-line block ×15, first 2 shown]
	v_cndmask_b32_e32 v3, 0, v3, vcc
	v_add_co_u32_e32 v2, vcc, v2, v74
	v_or_b32_e32 v4, v4, v1
	v_mbcnt_hi_u32_b32 v5, -1, v115
	v_addc_co_u32_e32 v3, vcc, v3, v75, vcc
	v_and_b32_e32 v4, 1, v4
	v_and_b32_e32 v7, 15, v5
	v_cmp_eq_u32_e32 vcc, 1, v4
	v_mov_b32_dpp v9, v2 row_shr:1 row_mask:0xf bank_mask:0xf
	v_mov_b32_dpp v10, v3 row_shr:1 row_mask:0xf bank_mask:0xf
	v_mov_b32_dpp v8, v4 row_shr:1 row_mask:0xf bank_mask:0xf
	v_cmp_ne_u32_e64 s[38:39], 0, v7
	v_mov_b32_e32 v6, v4
	s_and_saveexec_b64 s[42:43], s[38:39]
; %bb.128:
	v_cndmask_b32_e64 v9, v9, 0, vcc
	v_cndmask_b32_e64 v6, v10, 0, vcc
	v_add_co_u32_e32 v2, vcc, v9, v2
	v_addc_co_u32_e32 v3, vcc, v6, v3, vcc
	v_and_b32_e32 v6, 1, v8
	v_or_b32_e32 v4, v6, v4
	v_and_b32_e32 v6, 0xffff, v4
; %bb.129:
	s_or_b64 exec, exec, s[42:43]
	v_mov_b32_dpp v9, v2 row_shr:2 row_mask:0xf bank_mask:0xf
	v_mov_b32_dpp v10, v3 row_shr:2 row_mask:0xf bank_mask:0xf
	v_mov_b32_dpp v8, v6 row_shr:2 row_mask:0xf bank_mask:0xf
	v_cmp_lt_u32_e32 vcc, 1, v7
	s_and_saveexec_b64 s[42:43], vcc
	s_cbranch_execz .LBB716_131
; %bb.130:
	v_cmp_eq_u16_e32 vcc, 0, v4
	v_cndmask_b32_e32 v9, 0, v9, vcc
	v_cndmask_b32_e32 v6, 0, v10, vcc
	v_add_co_u32_e32 v2, vcc, v9, v2
	v_addc_co_u32_e32 v3, vcc, v6, v3, vcc
	v_and_b32_e32 v4, 1, v4
	v_cmp_eq_u32_e32 vcc, 1, v4
	v_and_b32_e32 v4, 1, v8
	v_cmp_eq_u32_e64 s[38:39], 1, v4
	s_or_b64 s[38:39], vcc, s[38:39]
	v_cndmask_b32_e64 v4, 0, 1, s[38:39]
	v_cndmask_b32_e64 v6, 0, 1, s[38:39]
.LBB716_131:
	s_or_b64 exec, exec, s[42:43]
	v_mov_b32_dpp v9, v2 row_shr:4 row_mask:0xf bank_mask:0xf
	v_mov_b32_dpp v10, v3 row_shr:4 row_mask:0xf bank_mask:0xf
	v_mov_b32_dpp v8, v6 row_shr:4 row_mask:0xf bank_mask:0xf
	v_cmp_lt_u32_e32 vcc, 3, v7
	s_and_saveexec_b64 s[42:43], vcc
	s_cbranch_execz .LBB716_133
; %bb.132:
	v_cmp_eq_u16_e32 vcc, 0, v4
	v_cndmask_b32_e32 v9, 0, v9, vcc
	v_cndmask_b32_e32 v6, 0, v10, vcc
	v_add_co_u32_e32 v2, vcc, v9, v2
	v_addc_co_u32_e32 v3, vcc, v6, v3, vcc
	v_and_b32_e32 v4, 1, v4
	v_cmp_eq_u32_e32 vcc, 1, v4
	v_and_b32_e32 v4, 1, v8
	v_cmp_eq_u32_e64 s[38:39], 1, v4
	s_or_b64 s[38:39], vcc, s[38:39]
	v_cndmask_b32_e64 v4, 0, 1, s[38:39]
	v_cndmask_b32_e64 v6, 0, 1, s[38:39]
.LBB716_133:
	;; [unrolled: 21-line block ×3, first 2 shown]
	s_or_b64 exec, exec, s[42:43]
	v_and_b32_e32 v10, 16, v5
	v_mov_b32_dpp v8, v2 row_bcast:15 row_mask:0xf bank_mask:0xf
	v_mov_b32_dpp v9, v3 row_bcast:15 row_mask:0xf bank_mask:0xf
	;; [unrolled: 1-line block ×3, first 2 shown]
	v_cmp_ne_u32_e32 vcc, 0, v10
	s_and_saveexec_b64 s[42:43], vcc
	s_cbranch_execz .LBB716_137
; %bb.136:
	v_cmp_eq_u16_e32 vcc, 0, v4
	v_cndmask_b32_e32 v8, 0, v8, vcc
	v_cndmask_b32_e32 v6, 0, v9, vcc
	v_add_co_u32_e32 v2, vcc, v8, v2
	v_addc_co_u32_e32 v3, vcc, v6, v3, vcc
	v_and_b32_e32 v4, 1, v4
	v_cmp_eq_u32_e32 vcc, 1, v4
	v_and_b32_e32 v4, 1, v7
	v_cmp_eq_u32_e64 s[38:39], 1, v4
	s_or_b64 s[38:39], vcc, s[38:39]
	v_cndmask_b32_e64 v4, 0, 1, s[38:39]
	v_cndmask_b32_e64 v6, 0, 1, s[38:39]
.LBB716_137:
	s_or_b64 exec, exec, s[42:43]
	v_mov_b32_dpp v7, v2 row_bcast:31 row_mask:0xf bank_mask:0xf
	v_mov_b32_dpp v8, v3 row_bcast:31 row_mask:0xf bank_mask:0xf
	v_mov_b32_dpp v6, v6 row_bcast:31 row_mask:0xf bank_mask:0xf
	v_cmp_lt_u32_e32 vcc, 31, v5
	s_and_saveexec_b64 s[42:43], vcc
; %bb.138:
	v_cmp_eq_u16_e32 vcc, 0, v4
	v_cndmask_b32_e32 v7, 0, v7, vcc
	v_cndmask_b32_e32 v8, 0, v8, vcc
	v_add_co_u32_e32 v2, vcc, v7, v2
	v_addc_co_u32_e32 v3, vcc, v8, v3, vcc
	v_and_b32_e32 v4, 1, v4
	v_cmp_eq_u32_e32 vcc, 1, v4
	v_and_b32_e32 v4, 1, v6
	v_cmp_eq_u32_e64 s[38:39], 1, v4
	s_or_b64 s[38:39], vcc, s[38:39]
	v_cndmask_b32_e64 v4, 0, 1, s[38:39]
; %bb.139:
	s_or_b64 exec, exec, s[42:43]
	v_cmp_eq_u32_e32 vcc, 63, v0
	s_and_saveexec_b64 s[38:39], vcc
	s_cbranch_execz .LBB716_141
; %bb.140:
	v_mov_b32_e32 v6, 0
	ds_write_b64 v6, v[2:3]
	ds_write_b8 v6, v4 offset:8
.LBB716_141:
	s_or_b64 exec, exec, s[38:39]
	v_add_u32_e32 v6, -1, v5
	v_and_b32_e32 v7, 64, v5
	v_cmp_lt_i32_e32 vcc, v6, v7
	v_cndmask_b32_e32 v6, v6, v5, vcc
	v_lshlrev_b32_e32 v6, 2, v6
	ds_bpermute_b32 v12, v6, v2
	v_and_b32_e32 v2, 0xffff, v4
	ds_bpermute_b32 v13, v6, v3
	ds_bpermute_b32 v14, v6, v2
	v_cmp_gt_u32_e32 vcc, 64, v0
	s_waitcnt lgkmcnt(0)
	; wave barrier
	s_waitcnt lgkmcnt(0)
	s_and_saveexec_b64 s[56:57], vcc
	s_cbranch_execz .LBB716_184
; %bb.142:
	v_mov_b32_e32 v7, 0
	ds_read_b64 v[2:3], v7
	ds_read_u8 v15, v7 offset:8
	s_mov_b32 s61, 0
	v_cmp_eq_u32_e64 s[38:39], 0, v5
	s_and_saveexec_b64 s[42:43], s[38:39]
	s_cbranch_execz .LBB716_144
; %bb.143:
	s_add_i32 s60, s6, 64
	s_lshl_b64 s[68:69], s[60:61], 4
	s_add_u32 s68, s44, s68
	s_addc_u32 s69, s45, s69
	v_mov_b32_e32 v4, s60
	v_mov_b32_e32 v6, 1
	s_waitcnt lgkmcnt(1)
	global_store_dwordx2 v7, v[2:3], s[68:69]
	s_waitcnt lgkmcnt(0)
	global_store_byte v7, v15, s[68:69] offset:8
	s_waitcnt vmcnt(0)
	buffer_wbinvl1_vol
	global_store_byte v4, v6, s[48:49]
.LBB716_144:
	s_or_b64 exec, exec, s[42:43]
	v_xad_u32 v4, v5, -1, s6
	v_add_u32_e32 v6, 64, v4
	global_load_ubyte v16, v6, s[48:49] glc
	s_waitcnt vmcnt(0)
	v_cmp_eq_u16_e32 vcc, 0, v16
	s_and_saveexec_b64 s[42:43], vcc
	s_cbranch_execz .LBB716_148
; %bb.145:
	v_mov_b32_e32 v9, s49
	v_add_co_u32_e32 v8, vcc, s48, v6
	v_addc_co_u32_e32 v9, vcc, 0, v9, vcc
	s_mov_b64 s[60:61], 0
.LBB716_146:                            ; =>This Inner Loop Header: Depth=1
	global_load_ubyte v16, v[8:9], off glc
	s_waitcnt vmcnt(0)
	v_cmp_ne_u16_e32 vcc, 0, v16
	s_or_b64 s[60:61], vcc, s[60:61]
	s_andn2_b64 exec, exec, s[60:61]
	s_cbranch_execnz .LBB716_146
; %bb.147:
	s_or_b64 exec, exec, s[60:61]
.LBB716_148:
	s_or_b64 exec, exec, s[42:43]
	v_mov_b32_e32 v8, s47
	v_mov_b32_e32 v9, s45
	v_cmp_eq_u16_e32 vcc, 1, v16
	v_cndmask_b32_e32 v8, v8, v9, vcc
	v_mov_b32_e32 v9, s46
	v_mov_b32_e32 v10, s44
	v_cndmask_b32_e32 v9, v9, v10, vcc
	v_lshlrev_b64 v[6:7], 4, v[6:7]
	v_add_co_u32_e32 v6, vcc, v9, v6
	v_addc_co_u32_e32 v7, vcc, v8, v7, vcc
	s_waitcnt lgkmcnt(0)
	buffer_wbinvl1_vol
	global_load_dwordx2 v[10:11], v[6:7], off
	global_load_ubyte v31, v[6:7], off offset:8
	v_cmp_eq_u16_e32 vcc, 2, v16
	v_lshlrev_b64 v[6:7], v5, -1
	v_and_b32_e32 v17, 63, v5
	v_and_b32_e32 v8, vcc_hi, v7
	v_and_b32_e32 v22, vcc_lo, v6
	v_cmp_ne_u32_e32 vcc, 63, v17
	v_addc_co_u32_e32 v9, vcc, 0, v5, vcc
	v_lshlrev_b32_e32 v18, 2, v9
	v_or_b32_e32 v8, 0x80000000, v8
	v_ffbl_b32_e32 v8, v8
	v_add_u32_e32 v8, 32, v8
	v_ffbl_b32_e32 v22, v22
	v_min_u32_e32 v8, v22, v8
	v_cmp_lt_u32_e32 vcc, v17, v8
	s_waitcnt vmcnt(1)
	ds_bpermute_b32 v20, v18, v10
	s_waitcnt vmcnt(0)
	v_and_b32_e32 v9, 1, v31
	ds_bpermute_b32 v21, v18, v11
	ds_bpermute_b32 v19, v18, v9
	s_and_saveexec_b64 s[42:43], vcc
	s_cbranch_execz .LBB716_150
; %bb.149:
	v_mov_b32_e32 v9, 0
	v_cmp_eq_u16_sdwa vcc, v31, v9 src0_sel:BYTE_0 src1_sel:DWORD
	s_waitcnt lgkmcnt(2)
	v_cndmask_b32_e32 v20, 0, v20, vcc
	s_waitcnt lgkmcnt(1)
	v_cndmask_b32_e32 v9, 0, v21, vcc
	v_add_co_u32_e32 v10, vcc, v20, v10
	v_addc_co_u32_e32 v11, vcc, v9, v11, vcc
	s_waitcnt lgkmcnt(0)
	v_and_b32_e32 v9, 1, v19
	v_or_b32_e32 v31, v9, v31
	v_and_b32_e32 v9, 0xff, v31
.LBB716_150:
	s_or_b64 exec, exec, s[42:43]
	v_cmp_gt_u32_e32 vcc, 62, v17
	s_waitcnt lgkmcnt(0)
	v_cndmask_b32_e64 v19, 0, 1, vcc
	v_lshlrev_b32_e32 v19, 1, v19
	v_add_lshl_u32 v19, v19, v5, 2
	ds_bpermute_b32 v22, v19, v10
	ds_bpermute_b32 v23, v19, v11
	ds_bpermute_b32 v21, v19, v9
	v_add_u32_e32 v20, 2, v17
	v_cmp_le_u32_e32 vcc, v20, v8
	s_and_saveexec_b64 s[60:61], vcc
	s_cbranch_execz .LBB716_152
; %bb.151:
	v_mov_b32_e32 v9, 0
	v_cmp_eq_u16_sdwa vcc, v31, v9 src0_sel:BYTE_0 src1_sel:DWORD
	s_waitcnt lgkmcnt(2)
	v_cndmask_b32_e32 v22, 0, v22, vcc
	s_waitcnt lgkmcnt(1)
	v_cndmask_b32_e32 v9, 0, v23, vcc
	v_add_co_u32_e32 v10, vcc, v22, v10
	v_addc_co_u32_e32 v11, vcc, v9, v11, vcc
	v_and_b32_e32 v9, 1, v31
	v_cmp_eq_u32_e32 vcc, 1, v9
	s_waitcnt lgkmcnt(0)
	v_and_b32_e32 v9, 1, v21
	v_cmp_eq_u32_e64 s[42:43], 1, v9
	s_or_b64 s[42:43], vcc, s[42:43]
	v_cndmask_b32_e64 v31, 0, 1, s[42:43]
	v_cndmask_b32_e64 v9, 0, 1, s[42:43]
.LBB716_152:
	s_or_b64 exec, exec, s[60:61]
	v_cmp_gt_u32_e32 vcc, 60, v17
	s_waitcnt lgkmcnt(0)
	v_cndmask_b32_e64 v21, 0, 1, vcc
	v_lshlrev_b32_e32 v21, 2, v21
	v_add_lshl_u32 v21, v21, v5, 2
	ds_bpermute_b32 v24, v21, v10
	ds_bpermute_b32 v25, v21, v11
	ds_bpermute_b32 v23, v21, v9
	v_add_u32_e32 v22, 4, v17
	v_cmp_le_u32_e32 vcc, v22, v8
	s_and_saveexec_b64 s[60:61], vcc
	s_cbranch_execz .LBB716_154
; %bb.153:
	v_mov_b32_e32 v9, 0
	v_cmp_eq_u16_sdwa vcc, v31, v9 src0_sel:BYTE_0 src1_sel:DWORD
	s_waitcnt lgkmcnt(2)
	v_cndmask_b32_e32 v24, 0, v24, vcc
	s_waitcnt lgkmcnt(1)
	v_cndmask_b32_e32 v9, 0, v25, vcc
	v_add_co_u32_e32 v10, vcc, v24, v10
	v_addc_co_u32_e32 v11, vcc, v9, v11, vcc
	v_and_b32_e32 v9, 1, v31
	v_cmp_eq_u32_e32 vcc, 1, v9
	s_waitcnt lgkmcnt(0)
	v_and_b32_e32 v9, 1, v23
	v_cmp_eq_u32_e64 s[42:43], 1, v9
	s_or_b64 s[42:43], vcc, s[42:43]
	v_cndmask_b32_e64 v31, 0, 1, s[42:43]
	v_cndmask_b32_e64 v9, 0, 1, s[42:43]
.LBB716_154:
	;; [unrolled: 31-line block ×4, first 2 shown]
	s_or_b64 exec, exec, s[60:61]
	v_cmp_gt_u32_e32 vcc, 32, v17
	s_waitcnt lgkmcnt(0)
	v_cndmask_b32_e64 v27, 0, 1, vcc
	v_lshlrev_b32_e32 v27, 5, v27
	v_add_lshl_u32 v28, v27, v5, 2
	ds_bpermute_b32 v27, v28, v10
	ds_bpermute_b32 v30, v28, v11
	;; [unrolled: 1-line block ×3, first 2 shown]
	v_add_u32_e32 v29, 32, v17
	v_cmp_le_u32_e32 vcc, v29, v8
	s_and_saveexec_b64 s[60:61], vcc
	s_cbranch_execz .LBB716_160
; %bb.159:
	v_mov_b32_e32 v8, 0
	v_cmp_eq_u16_sdwa vcc, v31, v8 src0_sel:BYTE_0 src1_sel:DWORD
	s_waitcnt lgkmcnt(2)
	v_cndmask_b32_e32 v9, 0, v27, vcc
	s_waitcnt lgkmcnt(1)
	v_cndmask_b32_e32 v8, 0, v30, vcc
	v_add_co_u32_e32 v10, vcc, v9, v10
	v_addc_co_u32_e32 v11, vcc, v8, v11, vcc
	v_and_b32_e32 v8, 1, v31
	s_waitcnt lgkmcnt(0)
	v_and_b32_e32 v5, 1, v5
	v_cmp_eq_u32_e32 vcc, 1, v8
	v_cmp_eq_u32_e64 s[42:43], 1, v5
	s_or_b64 s[42:43], vcc, s[42:43]
	v_cndmask_b32_e64 v31, 0, 1, s[42:43]
.LBB716_160:
	s_or_b64 exec, exec, s[60:61]
	s_waitcnt lgkmcnt(0)
	v_mov_b32_e32 v5, 0
	v_mov_b32_e32 v30, 2
	s_branch .LBB716_162
.LBB716_161:                            ;   in Loop: Header=BB716_162 Depth=1
	s_or_b64 exec, exec, s[68:69]
	v_cmp_eq_u16_sdwa vcc, v27, v5 src0_sel:BYTE_0 src1_sel:DWORD
	v_cndmask_b32_e32 v10, 0, v10, vcc
	v_cndmask_b32_e32 v11, 0, v11, vcc
	v_add_co_u32_e32 v10, vcc, v10, v8
	v_addc_co_u32_e32 v11, vcc, v11, v9, vcc
	v_and_b32_e32 v31, 1, v27
	v_cmp_eq_u32_e32 vcc, 1, v31
	s_or_b64 s[42:43], vcc, s[60:61]
	v_subrev_u32_e32 v4, 64, v4
	v_cndmask_b32_e64 v31, 0, 1, s[42:43]
.LBB716_162:                            ; =>This Loop Header: Depth=1
                                        ;     Child Loop BB716_165 Depth 2
	v_cmp_ne_u16_sdwa s[42:43], v16, v30 src0_sel:BYTE_0 src1_sel:DWORD
	v_cndmask_b32_e64 v8, 0, 1, s[42:43]
	;;#ASMSTART
	;;#ASMEND
	v_cmp_ne_u32_e32 vcc, 0, v8
	v_mov_b32_e32 v27, v31
	s_cmp_lg_u64 vcc, exec
	v_pk_mov_b32 v[8:9], v[10:11], v[10:11] op_sel:[0,1]
	s_cbranch_scc1 .LBB716_179
; %bb.163:                              ;   in Loop: Header=BB716_162 Depth=1
	global_load_ubyte v16, v4, s[48:49] glc
	s_waitcnt vmcnt(0)
	v_cmp_eq_u16_e32 vcc, 0, v16
	s_and_saveexec_b64 s[42:43], vcc
	s_cbranch_execz .LBB716_167
; %bb.164:                              ;   in Loop: Header=BB716_162 Depth=1
	v_mov_b32_e32 v11, s49
	v_add_co_u32_e32 v10, vcc, s48, v4
	v_addc_co_u32_e32 v11, vcc, 0, v11, vcc
	s_mov_b64 s[60:61], 0
.LBB716_165:                            ;   Parent Loop BB716_162 Depth=1
                                        ; =>  This Inner Loop Header: Depth=2
	global_load_ubyte v16, v[10:11], off glc
	s_waitcnt vmcnt(0)
	v_cmp_ne_u16_e32 vcc, 0, v16
	s_or_b64 s[60:61], vcc, s[60:61]
	s_andn2_b64 exec, exec, s[60:61]
	s_cbranch_execnz .LBB716_165
; %bb.166:                              ;   in Loop: Header=BB716_162 Depth=1
	s_or_b64 exec, exec, s[60:61]
.LBB716_167:                            ;   in Loop: Header=BB716_162 Depth=1
	s_or_b64 exec, exec, s[42:43]
	v_mov_b32_e32 v10, s47
	v_mov_b32_e32 v11, s45
	v_cmp_eq_u16_e32 vcc, 1, v16
	v_cndmask_b32_e32 v31, v10, v11, vcc
	v_mov_b32_e32 v10, s46
	v_mov_b32_e32 v11, s44
	v_cndmask_b32_e32 v32, v10, v11, vcc
	v_lshlrev_b64 v[10:11], 4, v[4:5]
	v_add_co_u32_e32 v32, vcc, v32, v10
	s_waitcnt lgkmcnt(0)
	v_addc_co_u32_e32 v33, vcc, v31, v11, vcc
	buffer_wbinvl1_vol
	global_load_dwordx2 v[10:11], v[32:33], off
	global_load_ubyte v31, v[32:33], off offset:8
	v_cmp_eq_u16_e32 vcc, 2, v16
	v_and_b32_e32 v32, vcc_hi, v7
	v_or_b32_e32 v32, 0x80000000, v32
	v_and_b32_e32 v37, vcc_lo, v6
	v_ffbl_b32_e32 v32, v32
	v_add_u32_e32 v32, 32, v32
	v_ffbl_b32_e32 v37, v37
	v_min_u32_e32 v32, v37, v32
	v_cmp_lt_u32_e32 vcc, v17, v32
	s_waitcnt vmcnt(1)
	ds_bpermute_b32 v35, v18, v10
	s_waitcnt vmcnt(0)
	v_and_b32_e32 v33, 1, v31
	ds_bpermute_b32 v36, v18, v11
	ds_bpermute_b32 v34, v18, v33
	s_and_saveexec_b64 s[42:43], vcc
	s_cbranch_execz .LBB716_169
; %bb.168:                              ;   in Loop: Header=BB716_162 Depth=1
	v_cmp_eq_u16_sdwa vcc, v31, v5 src0_sel:BYTE_0 src1_sel:DWORD
	s_waitcnt lgkmcnt(2)
	v_cndmask_b32_e32 v35, 0, v35, vcc
	s_waitcnt lgkmcnt(1)
	v_cndmask_b32_e32 v33, 0, v36, vcc
	v_add_co_u32_e32 v10, vcc, v35, v10
	v_addc_co_u32_e32 v11, vcc, v33, v11, vcc
	s_waitcnt lgkmcnt(0)
	v_and_b32_e32 v33, 1, v34
	v_or_b32_e32 v31, v33, v31
	v_and_b32_e32 v33, 0xff, v31
.LBB716_169:                            ;   in Loop: Header=BB716_162 Depth=1
	s_or_b64 exec, exec, s[42:43]
	s_waitcnt lgkmcnt(2)
	ds_bpermute_b32 v35, v19, v10
	s_waitcnt lgkmcnt(2)
	ds_bpermute_b32 v36, v19, v11
	;; [unrolled: 2-line block ×3, first 2 shown]
	v_and_b32_e32 v37, 1, v31
	v_cmp_le_u32_e32 vcc, v20, v32
	v_cmp_eq_u32_e64 s[60:61], 1, v37
	s_and_saveexec_b64 s[42:43], vcc
	s_cbranch_execz .LBB716_171
; %bb.170:                              ;   in Loop: Header=BB716_162 Depth=1
	v_cmp_eq_u16_sdwa vcc, v31, v5 src0_sel:BYTE_0 src1_sel:DWORD
	s_waitcnt lgkmcnt(2)
	v_cndmask_b32_e32 v33, 0, v35, vcc
	s_waitcnt lgkmcnt(1)
	v_cndmask_b32_e32 v31, 0, v36, vcc
	v_add_co_u32_e32 v10, vcc, v33, v10
	v_addc_co_u32_e32 v11, vcc, v31, v11, vcc
	s_waitcnt lgkmcnt(0)
	v_and_b32_e32 v31, 1, v34
	v_cmp_eq_u32_e32 vcc, 1, v31
	s_or_b64 s[68:69], s[60:61], vcc
	v_cndmask_b32_e64 v31, 0, 1, s[68:69]
	v_cndmask_b32_e64 v33, 0, 1, s[68:69]
	s_andn2_b64 s[60:61], s[60:61], exec
	s_and_b64 s[68:69], s[68:69], exec
	s_or_b64 s[60:61], s[60:61], s[68:69]
.LBB716_171:                            ;   in Loop: Header=BB716_162 Depth=1
	s_or_b64 exec, exec, s[42:43]
	s_waitcnt lgkmcnt(2)
	ds_bpermute_b32 v35, v21, v10
	s_waitcnt lgkmcnt(2)
	ds_bpermute_b32 v36, v21, v11
	s_waitcnt lgkmcnt(2)
	ds_bpermute_b32 v34, v21, v33
	v_cmp_le_u32_e32 vcc, v22, v32
	s_and_saveexec_b64 s[68:69], vcc
	s_cbranch_execz .LBB716_173
; %bb.172:                              ;   in Loop: Header=BB716_162 Depth=1
	v_cmp_eq_u16_sdwa vcc, v31, v5 src0_sel:BYTE_0 src1_sel:DWORD
	s_waitcnt lgkmcnt(2)
	v_cndmask_b32_e32 v35, 0, v35, vcc
	s_waitcnt lgkmcnt(1)
	v_cndmask_b32_e32 v33, 0, v36, vcc
	v_add_co_u32_e32 v10, vcc, v35, v10
	v_addc_co_u32_e32 v11, vcc, v33, v11, vcc
	v_and_b32_e32 v31, 1, v31
	v_cmp_eq_u32_e32 vcc, 1, v31
	s_waitcnt lgkmcnt(0)
	v_and_b32_e32 v31, 1, v34
	v_cmp_eq_u32_e64 s[42:43], 1, v31
	s_or_b64 s[42:43], vcc, s[42:43]
	v_cndmask_b32_e64 v31, 0, 1, s[42:43]
	v_cndmask_b32_e64 v33, 0, 1, s[42:43]
	s_andn2_b64 s[60:61], s[60:61], exec
	s_and_b64 s[42:43], s[42:43], exec
	s_or_b64 s[60:61], s[60:61], s[42:43]
.LBB716_173:                            ;   in Loop: Header=BB716_162 Depth=1
	s_or_b64 exec, exec, s[68:69]
	s_waitcnt lgkmcnt(2)
	ds_bpermute_b32 v35, v23, v10
	s_waitcnt lgkmcnt(2)
	ds_bpermute_b32 v36, v23, v11
	s_waitcnt lgkmcnt(2)
	ds_bpermute_b32 v34, v23, v33
	v_cmp_le_u32_e32 vcc, v24, v32
	s_and_saveexec_b64 s[68:69], vcc
	s_cbranch_execz .LBB716_175
; %bb.174:                              ;   in Loop: Header=BB716_162 Depth=1
	v_cmp_eq_u16_sdwa vcc, v31, v5 src0_sel:BYTE_0 src1_sel:DWORD
	s_waitcnt lgkmcnt(2)
	v_cndmask_b32_e32 v35, 0, v35, vcc
	s_waitcnt lgkmcnt(1)
	v_cndmask_b32_e32 v33, 0, v36, vcc
	v_add_co_u32_e32 v10, vcc, v35, v10
	v_addc_co_u32_e32 v11, vcc, v33, v11, vcc
	v_and_b32_e32 v31, 1, v31
	v_cmp_eq_u32_e32 vcc, 1, v31
	s_waitcnt lgkmcnt(0)
	v_and_b32_e32 v31, 1, v34
	v_cmp_eq_u32_e64 s[42:43], 1, v31
	s_or_b64 s[42:43], vcc, s[42:43]
	v_cndmask_b32_e64 v31, 0, 1, s[42:43]
	v_cndmask_b32_e64 v33, 0, 1, s[42:43]
	s_andn2_b64 s[60:61], s[60:61], exec
	s_and_b64 s[42:43], s[42:43], exec
	s_or_b64 s[60:61], s[60:61], s[42:43]
.LBB716_175:                            ;   in Loop: Header=BB716_162 Depth=1
	;; [unrolled: 30-line block ×3, first 2 shown]
	s_or_b64 exec, exec, s[68:69]
	s_waitcnt lgkmcnt(0)
	ds_bpermute_b32 v34, v28, v10
	ds_bpermute_b32 v35, v28, v11
	;; [unrolled: 1-line block ×3, first 2 shown]
	v_cmp_le_u32_e32 vcc, v29, v32
	s_and_saveexec_b64 s[68:69], vcc
	s_cbranch_execz .LBB716_161
; %bb.178:                              ;   in Loop: Header=BB716_162 Depth=1
	v_cmp_eq_u16_sdwa vcc, v31, v5 src0_sel:BYTE_0 src1_sel:DWORD
	s_waitcnt lgkmcnt(2)
	v_cndmask_b32_e32 v34, 0, v34, vcc
	s_waitcnt lgkmcnt(1)
	v_cndmask_b32_e32 v32, 0, v35, vcc
	v_add_co_u32_e32 v10, vcc, v34, v10
	v_addc_co_u32_e32 v11, vcc, v32, v11, vcc
	v_and_b32_e32 v31, 1, v31
	v_cmp_eq_u32_e32 vcc, 1, v31
	s_waitcnt lgkmcnt(0)
	v_and_b32_e32 v31, 1, v33
	v_cmp_eq_u32_e64 s[42:43], 1, v31
	s_or_b64 s[42:43], vcc, s[42:43]
	s_andn2_b64 s[60:61], s[60:61], exec
	s_and_b64 s[42:43], s[42:43], exec
	s_or_b64 s[60:61], s[60:61], s[42:43]
	s_branch .LBB716_161
.LBB716_179:                            ;   in Loop: Header=BB716_162 Depth=1
                                        ; implicit-def: $vgpr31
                                        ; implicit-def: $vgpr10_vgpr11
                                        ; implicit-def: $vgpr16
	s_cbranch_execz .LBB716_162
; %bb.180:
	s_and_saveexec_b64 s[42:43], s[38:39]
	s_cbranch_execz .LBB716_182
; %bb.181:
	v_mov_b32_e32 v4, 0
	s_mov_b32 s7, 0
	v_cmp_eq_u16_sdwa vcc, v15, v4 src0_sel:BYTE_0 src1_sel:DWORD
	s_add_i32 s6, s6, 64
	v_cndmask_b32_e32 v6, 0, v8, vcc
	s_lshl_b64 s[38:39], s[6:7], 4
	v_cndmask_b32_e32 v5, 0, v9, vcc
	v_add_co_u32_e32 v2, vcc, v6, v2
	s_add_u32 s38, s46, s38
	v_addc_co_u32_e32 v3, vcc, v5, v3, vcc
	v_or_b32_e32 v5, v15, v27
	s_addc_u32 s39, s47, s39
	v_and_b32_e32 v5, 1, v5
	global_store_dwordx2 v4, v[2:3], s[38:39]
	global_store_byte v4, v5, s[38:39] offset:8
	v_mov_b32_e32 v2, s6
	v_mov_b32_e32 v3, 2
	s_waitcnt vmcnt(0) lgkmcnt(0)
	buffer_wbinvl1_vol
	global_store_byte v2, v3, s[48:49]
.LBB716_182:
	s_or_b64 exec, exec, s[42:43]
	v_cmp_eq_u32_e32 vcc, 0, v0
	s_and_b64 exec, exec, vcc
	s_cbranch_execz .LBB716_184
; %bb.183:
	v_mov_b32_e32 v2, 0
	ds_write_b64 v2, v[8:9]
	ds_write_b8 v2, v27 offset:8
.LBB716_184:
	s_or_b64 exec, exec, s[56:57]
	v_mov_b32_e32 v4, 0
	s_waitcnt lgkmcnt(0)
	; wave barrier
	s_waitcnt lgkmcnt(0)
	ds_read_b64 v[2:3], v4
	v_cmp_eq_u32_sdwa vcc, v14, v4 src0_sel:BYTE_0 src1_sel:DWORD
	s_waitcnt lgkmcnt(0)
	v_cndmask_b32_e32 v6, 0, v2, vcc
	v_cndmask_b32_e32 v5, 0, v3, vcc
	v_add_co_u32_e32 v6, vcc, v12, v6
	v_addc_co_u32_e32 v5, vcc, v13, v5, vcc
	v_cmp_eq_u32_e32 vcc, 0, v0
	v_cndmask_b32_e32 v77, v5, v3, vcc
	v_cndmask_b32_e32 v76, v6, v2, vcc
	v_cmp_eq_u16_sdwa vcc, v1, v4 src0_sel:BYTE_0 src1_sel:DWORD
	v_cndmask_b32_e32 v3, 0, v76, vcc
	v_cndmask_b32_e32 v2, 0, v77, vcc
	v_add_co_u32_e32 v4, vcc, v3, v70
	v_addc_co_u32_e32 v5, vcc, v2, v71, vcc
	v_cndmask_b32_e64 v3, 0, v4, s[36:37]
	v_cndmask_b32_e64 v2, 0, v5, s[36:37]
	v_add_co_u32_e32 v6, vcc, v3, v38
	v_addc_co_u32_e32 v7, vcc, v2, v39, vcc
	v_cndmask_b32_e64 v3, 0, v6, s[34:35]
	v_cndmask_b32_e64 v2, 0, v7, s[34:35]
	;; [unrolled: 4-line block ×17, first 2 shown]
	s_branch .LBB716_205
.LBB716_185:
                                        ; implicit-def: $vgpr76_vgpr77
                                        ; implicit-def: $vgpr94_vgpr95
                                        ; implicit-def: $vgpr92_vgpr93
                                        ; implicit-def: $vgpr90_vgpr91
                                        ; implicit-def: $vgpr88_vgpr89
                                        ; implicit-def: $vgpr86_vgpr87
                                        ; implicit-def: $vgpr84_vgpr85
                                        ; implicit-def: $vgpr82_vgpr83
                                        ; implicit-def: $vgpr80_vgpr81
                                        ; implicit-def: $vgpr78_vgpr79
                                        ; implicit-def: $vgpr34_vgpr35_vgpr36_vgpr37
                                        ; implicit-def: $vgpr30_vgpr31_vgpr32_vgpr33
                                        ; implicit-def: $vgpr26_vgpr27_vgpr28_vgpr29
                                        ; implicit-def: $vgpr22_vgpr23_vgpr24_vgpr25
                                        ; implicit-def: $vgpr18_vgpr19_vgpr20_vgpr21
                                        ; implicit-def: $vgpr14_vgpr15_vgpr16_vgpr17
                                        ; implicit-def: $vgpr10_vgpr11_vgpr12_vgpr13
                                        ; implicit-def: $vgpr6_vgpr7_vgpr8_vgpr9
                                        ; implicit-def: $vgpr2_vgpr3_vgpr4_vgpr5
	s_cbranch_execz .LBB716_205
; %bb.186:
	s_cmp_lg_u64 s[66:67], 0
	s_cselect_b32 s3, s63, 0
	s_cselect_b32 s2, s62, 0
	s_cmp_eq_u64 s[2:3], 0
	v_pk_mov_b32 v[2:3], s[64:65], s[64:65] op_sel:[0,1]
	s_cbranch_scc1 .LBB716_188
; %bb.187:
	v_mov_b32_e32 v2, 0
	global_load_dwordx2 v[2:3], v2, s[2:3]
.LBB716_188:
	v_mov_b32_e32 v4, 0
	v_cmp_eq_u16_sdwa s[34:35], v96, v4 src0_sel:BYTE_0 src1_sel:DWORD
	v_cndmask_b32_e64 v6, 0, v70, s[34:35]
	v_cndmask_b32_e64 v5, 0, v71, s[34:35]
	v_add_co_u32_e32 v6, vcc, v6, v38
	v_cmp_eq_u16_sdwa s[30:31], v97, v4 src0_sel:BYTE_0 src1_sel:DWORD
	v_addc_co_u32_e32 v5, vcc, v5, v39, vcc
	v_cndmask_b32_e64 v6, 0, v6, s[30:31]
	v_cndmask_b32_e64 v5, 0, v5, s[30:31]
	v_add_co_u32_e32 v6, vcc, v6, v42
	v_cmp_eq_u16_sdwa s[28:29], v99, v4 src0_sel:BYTE_0 src1_sel:DWORD
	v_addc_co_u32_e32 v5, vcc, v5, v43, vcc
	;; [unrolled: 5-line block ×15, first 2 shown]
	v_cndmask_b32_e64 v6, 0, v6, s[2:3]
	v_cndmask_b32_e64 v5, 0, v5, s[2:3]
	v_add_co_u32_e32 v6, vcc, v6, v72
	v_addc_co_u32_e32 v5, vcc, v5, v73, vcc
	v_cmp_eq_u16_sdwa vcc, v98, v4 src0_sel:BYTE_0 src1_sel:DWORD
	v_cndmask_b32_e32 v6, 0, v6, vcc
	v_cndmask_b32_e32 v5, 0, v5, vcc
	v_add_co_u32_e64 v6, s[36:37], v6, v40
	v_addc_co_u32_e64 v5, s[36:37], v5, v41, s[36:37]
	v_cmp_eq_u16_sdwa s[36:37], v114, v4 src0_sel:BYTE_0 src1_sel:DWORD
	v_cndmask_b32_e64 v4, 0, v6, s[36:37]
	v_or_b32_e32 v6, v116, v111
	v_or_b32_e32 v6, v6, v110
	v_or_b32_e32 v6, v6, v109
	v_or_b32_e32 v6, v6, v108
	v_or_b32_e32 v6, v6, v107
	v_or_b32_e32 v6, v6, v106
	v_or_b32_e32 v6, v6, v105
	v_or_b32_e32 v6, v6, v104
	v_or_b32_e32 v6, v6, v103
	v_or_b32_e32 v6, v6, v102
	v_or_b32_e32 v6, v6, v101
	v_or_b32_e32 v6, v6, v100
	v_or_b32_e32 v6, v6, v99
	v_or_b32_e32 v6, v6, v97
	v_or_b32_e32 v6, v6, v96
	v_or_b32_e32 v6, v6, v1
	v_cndmask_b32_e64 v5, 0, v5, s[36:37]
	v_add_co_u32_e64 v4, s[36:37], v4, v74
	v_and_b32_e32 v7, 1, v6
	v_mbcnt_hi_u32_b32 v6, -1, v115
	v_addc_co_u32_e64 v5, s[36:37], v5, v75, s[36:37]
	v_and_b32_e32 v9, 15, v6
	v_cmp_eq_u32_e64 s[36:37], 1, v7
	v_mov_b32_dpp v11, v4 row_shr:1 row_mask:0xf bank_mask:0xf
	v_mov_b32_dpp v12, v5 row_shr:1 row_mask:0xf bank_mask:0xf
	;; [unrolled: 1-line block ×3, first 2 shown]
	v_cmp_ne_u32_e64 s[38:39], 0, v9
	v_mov_b32_e32 v8, v7
	s_and_saveexec_b64 s[40:41], s[38:39]
; %bb.189:
	v_cndmask_b32_e64 v11, v11, 0, s[36:37]
	v_cndmask_b32_e64 v8, v12, 0, s[36:37]
	v_add_co_u32_e64 v4, s[36:37], v11, v4
	v_addc_co_u32_e64 v5, s[36:37], v8, v5, s[36:37]
	v_and_b32_e32 v8, 1, v10
	v_or_b32_e32 v7, v8, v7
	v_and_b32_e32 v8, 0xffff, v7
; %bb.190:
	s_or_b64 exec, exec, s[40:41]
	v_mov_b32_dpp v11, v4 row_shr:2 row_mask:0xf bank_mask:0xf
	v_mov_b32_dpp v12, v5 row_shr:2 row_mask:0xf bank_mask:0xf
	v_mov_b32_dpp v10, v8 row_shr:2 row_mask:0xf bank_mask:0xf
	v_cmp_lt_u32_e64 s[36:37], 1, v9
	s_and_saveexec_b64 s[40:41], s[36:37]
	s_cbranch_execz .LBB716_192
; %bb.191:
	v_cmp_eq_u16_e64 s[36:37], 0, v7
	v_cndmask_b32_e64 v11, 0, v11, s[36:37]
	v_cndmask_b32_e64 v8, 0, v12, s[36:37]
	v_add_co_u32_e64 v4, s[36:37], v11, v4
	v_addc_co_u32_e64 v5, s[36:37], v8, v5, s[36:37]
	v_and_b32_e32 v7, 1, v7
	v_cmp_eq_u32_e64 s[36:37], 1, v7
	v_and_b32_e32 v7, 1, v10
	v_cmp_eq_u32_e64 s[38:39], 1, v7
	s_or_b64 s[36:37], s[36:37], s[38:39]
	v_cndmask_b32_e64 v7, 0, 1, s[36:37]
	v_cndmask_b32_e64 v8, 0, 1, s[36:37]
.LBB716_192:
	s_or_b64 exec, exec, s[40:41]
	v_mov_b32_dpp v11, v4 row_shr:4 row_mask:0xf bank_mask:0xf
	v_mov_b32_dpp v12, v5 row_shr:4 row_mask:0xf bank_mask:0xf
	v_mov_b32_dpp v10, v8 row_shr:4 row_mask:0xf bank_mask:0xf
	v_cmp_lt_u32_e64 s[36:37], 3, v9
	s_and_saveexec_b64 s[40:41], s[36:37]
	s_cbranch_execz .LBB716_194
; %bb.193:
	v_cmp_eq_u16_e64 s[36:37], 0, v7
	v_cndmask_b32_e64 v11, 0, v11, s[36:37]
	v_cndmask_b32_e64 v8, 0, v12, s[36:37]
	v_add_co_u32_e64 v4, s[36:37], v11, v4
	v_addc_co_u32_e64 v5, s[36:37], v8, v5, s[36:37]
	v_and_b32_e32 v7, 1, v7
	v_cmp_eq_u32_e64 s[36:37], 1, v7
	v_and_b32_e32 v7, 1, v10
	v_cmp_eq_u32_e64 s[38:39], 1, v7
	s_or_b64 s[36:37], s[36:37], s[38:39]
	v_cndmask_b32_e64 v7, 0, 1, s[36:37]
	v_cndmask_b32_e64 v8, 0, 1, s[36:37]
.LBB716_194:
	;; [unrolled: 21-line block ×3, first 2 shown]
	s_or_b64 exec, exec, s[40:41]
	v_and_b32_e32 v12, 16, v6
	v_mov_b32_dpp v10, v4 row_bcast:15 row_mask:0xf bank_mask:0xf
	v_mov_b32_dpp v11, v5 row_bcast:15 row_mask:0xf bank_mask:0xf
	;; [unrolled: 1-line block ×3, first 2 shown]
	v_cmp_ne_u32_e64 s[36:37], 0, v12
	s_and_saveexec_b64 s[40:41], s[36:37]
	s_cbranch_execz .LBB716_198
; %bb.197:
	v_cmp_eq_u16_e64 s[36:37], 0, v7
	v_cndmask_b32_e64 v10, 0, v10, s[36:37]
	v_cndmask_b32_e64 v8, 0, v11, s[36:37]
	v_add_co_u32_e64 v4, s[36:37], v10, v4
	v_addc_co_u32_e64 v5, s[36:37], v8, v5, s[36:37]
	v_and_b32_e32 v7, 1, v7
	v_cmp_eq_u32_e64 s[36:37], 1, v7
	v_and_b32_e32 v7, 1, v9
	v_cmp_eq_u32_e64 s[38:39], 1, v7
	s_or_b64 s[36:37], s[36:37], s[38:39]
	v_cndmask_b32_e64 v7, 0, 1, s[36:37]
	v_cndmask_b32_e64 v8, 0, 1, s[36:37]
.LBB716_198:
	s_or_b64 exec, exec, s[40:41]
	v_mov_b32_dpp v9, v4 row_bcast:31 row_mask:0xf bank_mask:0xf
	v_mov_b32_dpp v10, v5 row_bcast:31 row_mask:0xf bank_mask:0xf
	;; [unrolled: 1-line block ×3, first 2 shown]
	v_cmp_lt_u32_e64 s[36:37], 31, v6
	s_and_saveexec_b64 s[40:41], s[36:37]
; %bb.199:
	v_cmp_eq_u16_e64 s[36:37], 0, v7
	v_cndmask_b32_e64 v9, 0, v9, s[36:37]
	v_cndmask_b32_e64 v10, 0, v10, s[36:37]
	v_add_co_u32_e64 v4, s[36:37], v9, v4
	v_addc_co_u32_e64 v5, s[36:37], v10, v5, s[36:37]
	v_and_b32_e32 v7, 1, v7
	v_cmp_eq_u32_e64 s[36:37], 1, v7
	v_and_b32_e32 v7, 1, v8
	v_cmp_eq_u32_e64 s[38:39], 1, v7
	s_or_b64 s[36:37], s[36:37], s[38:39]
	v_cndmask_b32_e64 v7, 0, 1, s[36:37]
; %bb.200:
	s_or_b64 exec, exec, s[40:41]
	v_cmp_eq_u32_e64 s[36:37], 63, v0
	s_and_saveexec_b64 s[38:39], s[36:37]
	s_cbranch_execz .LBB716_202
; %bb.201:
	v_mov_b32_e32 v8, 0
	ds_write_b64 v8, v[4:5]
	ds_write_b8 v8, v7 offset:8
.LBB716_202:
	s_or_b64 exec, exec, s[38:39]
	v_cmp_eq_u16_e64 s[36:37], 0, v7
	s_waitcnt vmcnt(0)
	v_cndmask_b32_e64 v8, 0, v2, s[36:37]
	v_cndmask_b32_e64 v7, 0, v3, s[36:37]
	v_add_co_u32_e64 v4, s[36:37], v8, v4
	v_addc_co_u32_e64 v5, s[36:37], v7, v5, s[36:37]
	v_add_u32_e32 v7, -1, v6
	v_and_b32_e32 v8, 64, v6
	v_cmp_lt_i32_e64 s[36:37], v7, v8
	v_cndmask_b32_e64 v7, v7, v6, s[36:37]
	v_lshlrev_b32_e32 v7, 2, v7
	ds_bpermute_b32 v5, v7, v5
	ds_bpermute_b32 v4, v7, v4
	v_cmp_eq_u32_e64 s[38:39], 0, v6
	v_cmp_eq_u32_e64 s[36:37], 0, v0
	s_or_b64 s[38:39], s[36:37], s[38:39]
	v_mov_b32_e32 v8, 0
	s_waitcnt lgkmcnt(1)
	v_cndmask_b32_e64 v77, v5, v3, s[38:39]
	s_waitcnt lgkmcnt(0)
	v_cndmask_b32_e64 v76, v4, v2, s[38:39]
	v_cmp_eq_u16_sdwa s[38:39], v1, v8 src0_sel:BYTE_0 src1_sel:DWORD
	v_cndmask_b32_e64 v4, 0, v76, s[38:39]
	v_cndmask_b32_e64 v1, 0, v77, s[38:39]
	v_add_co_u32_e64 v4, s[38:39], v4, v70
	v_addc_co_u32_e64 v5, s[38:39], v1, v71, s[38:39]
	v_cndmask_b32_e64 v6, 0, v4, s[34:35]
	v_cndmask_b32_e64 v1, 0, v5, s[34:35]
	v_add_co_u32_e64 v6, s[34:35], v6, v38
	v_addc_co_u32_e64 v7, s[34:35], v1, v39, s[34:35]
	;; [unrolled: 4-line block ×17, first 2 shown]
	v_cndmask_b32_e32 v95, 0, v93, vcc
	v_cndmask_b32_e32 v94, 0, v92, vcc
	s_waitcnt lgkmcnt(0)
	; wave barrier
	s_and_saveexec_b64 s[2:3], s[36:37]
	s_cbranch_execz .LBB716_204
; %bb.203:
	ds_read_u8 v1, v8 offset:8
	ds_read_b64 v[12:13], v8
	v_pk_mov_b32 v[76:77], v[2:3], v[2:3] op_sel:[0,1]
	s_waitcnt lgkmcnt(1)
	v_cmp_eq_u16_e32 vcc, 0, v1
	v_cndmask_b32_e32 v16, 0, v2, vcc
	v_cndmask_b32_e32 v9, 0, v3, vcc
	s_waitcnt lgkmcnt(0)
	v_add_co_u32_e32 v12, vcc, v16, v12
	v_addc_co_u32_e32 v13, vcc, v9, v13, vcc
	global_store_dwordx2 v8, v[12:13], s[46:47] offset:1024
	global_store_byte v8, v1, s[46:47] offset:1032
	v_mov_b32_e32 v1, 2
	s_waitcnt vmcnt(0)
	buffer_wbinvl1_vol
	global_store_byte v8, v1, s[48:49] offset:64
.LBB716_204:
	s_or_b64 exec, exec, s[2:3]
.LBB716_205:
	s_add_u32 s2, s58, s54
	s_addc_u32 s3, s59, s55
	v_add_co_u32_e32 v2, vcc, v94, v40
	v_addc_co_u32_e32 v3, vcc, v95, v41, vcc
	s_add_u32 s4, s2, s52
	s_addc_u32 s5, s3, s53
	s_and_b64 vcc, exec, s[0:1]
	s_cbranch_vccz .LBB716_243
; %bb.206:
	s_movk_i32 s0, 0x98
	v_mul_i32_i24_e32 v13, 0xffffff70, v0
	v_mul_u32_u24_e32 v12, 0x98, v0
	v_mad_u32_u24 v8, v0, s0, v13
	s_waitcnt lgkmcnt(0)
	; wave barrier
	ds_write2_b64 v12, v[76:77], v[4:5] offset1:1
	ds_write2_b64 v12, v[6:7], v[78:79] offset0:2 offset1:3
	ds_write2_b64 v12, v[10:11], v[80:81] offset0:4 offset1:5
	;; [unrolled: 1-line block ×8, first 2 shown]
	ds_write_b64 v12, v[2:3] offset:144
	s_waitcnt lgkmcnt(0)
	; wave barrier
	s_waitcnt lgkmcnt(0)
	ds_read2st64_b64 v[68:71], v8 offset0:1 offset1:2
	ds_read2st64_b64 v[64:67], v8 offset0:3 offset1:4
	;; [unrolled: 1-line block ×9, first 2 shown]
	v_mov_b32_e32 v9, s5
	v_add_co_u32_e32 v8, vcc, s4, v113
	s_add_i32 s33, s33, s50
	v_addc_co_u32_e32 v9, vcc, 0, v9, vcc
	v_mov_b32_e32 v1, 0
	v_cmp_gt_u32_e32 vcc, s33, v0
	s_and_saveexec_b64 s[0:1], vcc
	s_cbranch_execz .LBB716_208
; %bb.207:
	v_add_u32_e32 v12, v12, v13
	ds_read_b64 v[12:13], v12
	s_waitcnt lgkmcnt(0)
	flat_store_dwordx2 v[8:9], v[12:13]
.LBB716_208:
	s_or_b64 exec, exec, s[0:1]
	v_or_b32_e32 v12, 64, v0
	v_cmp_gt_u32_e32 vcc, s33, v12
	s_and_saveexec_b64 s[0:1], vcc
	s_cbranch_execz .LBB716_210
; %bb.209:
	s_waitcnt lgkmcnt(0)
	flat_store_dwordx2 v[8:9], v[68:69] offset:512
.LBB716_210:
	s_or_b64 exec, exec, s[0:1]
	v_or_b32_e32 v12, 0x80, v0
	v_cmp_gt_u32_e32 vcc, s33, v12
	s_and_saveexec_b64 s[0:1], vcc
	s_cbranch_execz .LBB716_212
; %bb.211:
	s_waitcnt lgkmcnt(0)
	flat_store_dwordx2 v[8:9], v[70:71] offset:1024
.LBB716_212:
	;; [unrolled: 9-line block ×7, first 2 shown]
	s_or_b64 exec, exec, s[0:1]
	v_or_b32_e32 v12, 0x200, v0
	v_cmp_gt_u32_e32 vcc, s33, v12
	s_and_saveexec_b64 s[0:1], vcc
	s_cbranch_execz .LBB716_224
; %bb.223:
	v_add_co_u32_e32 v12, vcc, 0x1000, v8
	v_addc_co_u32_e32 v13, vcc, 0, v9, vcc
	s_waitcnt lgkmcnt(0)
	flat_store_dwordx2 v[12:13], v[58:59]
.LBB716_224:
	s_or_b64 exec, exec, s[0:1]
	v_or_b32_e32 v12, 0x240, v0
	v_cmp_gt_u32_e32 vcc, s33, v12
	s_and_saveexec_b64 s[0:1], vcc
	s_cbranch_execz .LBB716_226
; %bb.225:
	v_add_co_u32_e32 v12, vcc, 0x1000, v8
	v_addc_co_u32_e32 v13, vcc, 0, v9, vcc
	s_waitcnt lgkmcnt(0)
	flat_store_dwordx2 v[12:13], v[52:53] offset:512
.LBB716_226:
	s_or_b64 exec, exec, s[0:1]
	v_or_b32_e32 v12, 0x280, v0
	v_cmp_gt_u32_e32 vcc, s33, v12
	s_and_saveexec_b64 s[0:1], vcc
	s_cbranch_execz .LBB716_228
; %bb.227:
	v_add_co_u32_e32 v12, vcc, 0x1000, v8
	v_addc_co_u32_e32 v13, vcc, 0, v9, vcc
	s_waitcnt lgkmcnt(0)
	flat_store_dwordx2 v[12:13], v[54:55] offset:1024
.LBB716_228:
	;; [unrolled: 11-line block ×7, first 2 shown]
	s_or_b64 exec, exec, s[0:1]
	v_or_b32_e32 v12, 0x400, v0
	v_cmp_gt_u32_e32 vcc, s33, v12
	s_and_saveexec_b64 s[0:1], vcc
	s_cbranch_execz .LBB716_240
; %bb.239:
	v_add_co_u32_e32 v12, vcc, 0x2000, v8
	v_addc_co_u32_e32 v13, vcc, 0, v9, vcc
	s_waitcnt lgkmcnt(0)
	flat_store_dwordx2 v[12:13], v[42:43]
.LBB716_240:
	s_or_b64 exec, exec, s[0:1]
	v_or_b32_e32 v12, 0x440, v0
	v_cmp_gt_u32_e32 vcc, s33, v12
	s_and_saveexec_b64 s[0:1], vcc
	s_cbranch_execz .LBB716_242
; %bb.241:
	v_add_co_u32_e32 v8, vcc, 0x2000, v8
	v_addc_co_u32_e32 v9, vcc, 0, v9, vcc
	s_waitcnt lgkmcnt(0)
	flat_store_dwordx2 v[8:9], v[36:37] offset:512
.LBB716_242:
	s_or_b64 exec, exec, s[0:1]
	v_or_b32_e32 v8, 0x480, v0
	v_cmp_gt_u32_e64 s[0:1], s33, v8
	s_branch .LBB716_245
.LBB716_243:
	s_mov_b64 s[0:1], 0
                                        ; implicit-def: $vgpr38_vgpr39
	s_cbranch_execz .LBB716_245
; %bb.244:
	v_mul_u32_u24_e32 v1, 0x98, v0
	s_waitcnt lgkmcnt(0)
	; wave barrier
	s_waitcnt lgkmcnt(0)
	s_movk_i32 s2, 0x98
	ds_write2_b64 v1, v[76:77], v[4:5] offset1:1
	ds_write2_b64 v1, v[6:7], v[78:79] offset0:2 offset1:3
	ds_write2_b64 v1, v[10:11], v[80:81] offset0:4 offset1:5
	;; [unrolled: 1-line block ×8, first 2 shown]
	ds_write_b64 v1, v[2:3] offset:144
	v_mul_i32_i24_e32 v2, 0xffffff70, v0
	v_mad_u32_u24 v38, v0, s2, v2
	v_mov_b32_e32 v41, s5
	v_add_co_u32_e32 v40, vcc, s4, v113
	s_waitcnt lgkmcnt(0)
	; wave barrier
	s_waitcnt lgkmcnt(0)
	ds_read2st64_b64 v[2:5], v38 offset1:1
	ds_read2st64_b64 v[6:9], v38 offset0:2 offset1:3
	ds_read2st64_b64 v[10:13], v38 offset0:4 offset1:5
	;; [unrolled: 1-line block ×8, first 2 shown]
	ds_read_b64 v[38:39], v38 offset:9216
	v_addc_co_u32_e32 v41, vcc, 0, v41, vcc
	s_movk_i32 s2, 0x1000
	s_waitcnt lgkmcnt(0)
	flat_store_dwordx2 v[40:41], v[2:3]
	flat_store_dwordx2 v[40:41], v[4:5] offset:512
	flat_store_dwordx2 v[40:41], v[6:7] offset:1024
	;; [unrolled: 1-line block ×7, first 2 shown]
	v_add_co_u32_e32 v2, vcc, s2, v40
	v_addc_co_u32_e32 v3, vcc, 0, v41, vcc
	flat_store_dwordx2 v[2:3], v[18:19]
	flat_store_dwordx2 v[2:3], v[20:21] offset:512
	flat_store_dwordx2 v[2:3], v[22:23] offset:1024
	;; [unrolled: 1-line block ×7, first 2 shown]
	v_add_co_u32_e32 v2, vcc, 0x2000, v40
	v_mov_b32_e32 v1, 0
	v_addc_co_u32_e32 v3, vcc, 0, v41, vcc
	s_or_b64 s[0:1], s[0:1], exec
	flat_store_dwordx2 v[2:3], v[34:35]
	flat_store_dwordx2 v[2:3], v[36:37] offset:512
.LBB716_245:
	s_and_saveexec_b64 s[2:3], s[0:1]
	s_cbranch_execz .LBB716_247
; %bb.246:
	v_lshlrev_b64 v[0:1], 3, v[0:1]
	v_mov_b32_e32 v2, s5
	v_add_co_u32_e32 v0, vcc, s4, v0
	v_addc_co_u32_e32 v1, vcc, v2, v1, vcc
	v_add_co_u32_e32 v0, vcc, 0x2000, v0
	v_addc_co_u32_e32 v1, vcc, 0, v1, vcc
	s_waitcnt lgkmcnt(0)
	flat_store_dwordx2 v[0:1], v[38:39] offset:1024
	s_endpgm
.LBB716_247:
	s_endpgm
	.section	.rodata,"a",@progbits
	.p2align	6, 0x0
	.amdhsa_kernel _ZN7rocprim17ROCPRIM_400000_NS6detail17trampoline_kernelINS0_14default_configENS1_27scan_by_key_config_selectorIxxEEZZNS1_16scan_by_key_implILNS1_25lookback_scan_determinismE0ELb1ES3_N6thrust23THRUST_200600_302600_NS6detail15normal_iteratorINS9_10device_ptrIxEEEESE_SE_xNS9_4plusIxEE19head_flag_predicatexEE10hipError_tPvRmT2_T3_T4_T5_mT6_T7_P12ihipStream_tbENKUlT_T0_E_clISt17integral_constantIbLb0EESY_EEDaST_SU_EUlST_E_NS1_11comp_targetILNS1_3genE4ELNS1_11target_archE910ELNS1_3gpuE8ELNS1_3repE0EEENS1_30default_config_static_selectorELNS0_4arch9wavefront6targetE1EEEvT1_
		.amdhsa_group_segment_fixed_size 10752
		.amdhsa_private_segment_fixed_size 0
		.amdhsa_kernarg_size 136
		.amdhsa_user_sgpr_count 6
		.amdhsa_user_sgpr_private_segment_buffer 1
		.amdhsa_user_sgpr_dispatch_ptr 0
		.amdhsa_user_sgpr_queue_ptr 0
		.amdhsa_user_sgpr_kernarg_segment_ptr 1
		.amdhsa_user_sgpr_dispatch_id 0
		.amdhsa_user_sgpr_flat_scratch_init 0
		.amdhsa_user_sgpr_kernarg_preload_length 0
		.amdhsa_user_sgpr_kernarg_preload_offset 0
		.amdhsa_user_sgpr_private_segment_size 0
		.amdhsa_uses_dynamic_stack 0
		.amdhsa_system_sgpr_private_segment_wavefront_offset 0
		.amdhsa_system_sgpr_workgroup_id_x 1
		.amdhsa_system_sgpr_workgroup_id_y 0
		.amdhsa_system_sgpr_workgroup_id_z 0
		.amdhsa_system_sgpr_workgroup_info 0
		.amdhsa_system_vgpr_workitem_id 0
		.amdhsa_next_free_vgpr 117
		.amdhsa_next_free_sgpr 73
		.amdhsa_accum_offset 120
		.amdhsa_reserve_vcc 1
		.amdhsa_reserve_flat_scratch 0
		.amdhsa_float_round_mode_32 0
		.amdhsa_float_round_mode_16_64 0
		.amdhsa_float_denorm_mode_32 3
		.amdhsa_float_denorm_mode_16_64 3
		.amdhsa_dx10_clamp 1
		.amdhsa_ieee_mode 1
		.amdhsa_fp16_overflow 0
		.amdhsa_tg_split 0
		.amdhsa_exception_fp_ieee_invalid_op 0
		.amdhsa_exception_fp_denorm_src 0
		.amdhsa_exception_fp_ieee_div_zero 0
		.amdhsa_exception_fp_ieee_overflow 0
		.amdhsa_exception_fp_ieee_underflow 0
		.amdhsa_exception_fp_ieee_inexact 0
		.amdhsa_exception_int_div_zero 0
	.end_amdhsa_kernel
	.section	.text._ZN7rocprim17ROCPRIM_400000_NS6detail17trampoline_kernelINS0_14default_configENS1_27scan_by_key_config_selectorIxxEEZZNS1_16scan_by_key_implILNS1_25lookback_scan_determinismE0ELb1ES3_N6thrust23THRUST_200600_302600_NS6detail15normal_iteratorINS9_10device_ptrIxEEEESE_SE_xNS9_4plusIxEE19head_flag_predicatexEE10hipError_tPvRmT2_T3_T4_T5_mT6_T7_P12ihipStream_tbENKUlT_T0_E_clISt17integral_constantIbLb0EESY_EEDaST_SU_EUlST_E_NS1_11comp_targetILNS1_3genE4ELNS1_11target_archE910ELNS1_3gpuE8ELNS1_3repE0EEENS1_30default_config_static_selectorELNS0_4arch9wavefront6targetE1EEEvT1_,"axG",@progbits,_ZN7rocprim17ROCPRIM_400000_NS6detail17trampoline_kernelINS0_14default_configENS1_27scan_by_key_config_selectorIxxEEZZNS1_16scan_by_key_implILNS1_25lookback_scan_determinismE0ELb1ES3_N6thrust23THRUST_200600_302600_NS6detail15normal_iteratorINS9_10device_ptrIxEEEESE_SE_xNS9_4plusIxEE19head_flag_predicatexEE10hipError_tPvRmT2_T3_T4_T5_mT6_T7_P12ihipStream_tbENKUlT_T0_E_clISt17integral_constantIbLb0EESY_EEDaST_SU_EUlST_E_NS1_11comp_targetILNS1_3genE4ELNS1_11target_archE910ELNS1_3gpuE8ELNS1_3repE0EEENS1_30default_config_static_selectorELNS0_4arch9wavefront6targetE1EEEvT1_,comdat
.Lfunc_end716:
	.size	_ZN7rocprim17ROCPRIM_400000_NS6detail17trampoline_kernelINS0_14default_configENS1_27scan_by_key_config_selectorIxxEEZZNS1_16scan_by_key_implILNS1_25lookback_scan_determinismE0ELb1ES3_N6thrust23THRUST_200600_302600_NS6detail15normal_iteratorINS9_10device_ptrIxEEEESE_SE_xNS9_4plusIxEE19head_flag_predicatexEE10hipError_tPvRmT2_T3_T4_T5_mT6_T7_P12ihipStream_tbENKUlT_T0_E_clISt17integral_constantIbLb0EESY_EEDaST_SU_EUlST_E_NS1_11comp_targetILNS1_3genE4ELNS1_11target_archE910ELNS1_3gpuE8ELNS1_3repE0EEENS1_30default_config_static_selectorELNS0_4arch9wavefront6targetE1EEEvT1_, .Lfunc_end716-_ZN7rocprim17ROCPRIM_400000_NS6detail17trampoline_kernelINS0_14default_configENS1_27scan_by_key_config_selectorIxxEEZZNS1_16scan_by_key_implILNS1_25lookback_scan_determinismE0ELb1ES3_N6thrust23THRUST_200600_302600_NS6detail15normal_iteratorINS9_10device_ptrIxEEEESE_SE_xNS9_4plusIxEE19head_flag_predicatexEE10hipError_tPvRmT2_T3_T4_T5_mT6_T7_P12ihipStream_tbENKUlT_T0_E_clISt17integral_constantIbLb0EESY_EEDaST_SU_EUlST_E_NS1_11comp_targetILNS1_3genE4ELNS1_11target_archE910ELNS1_3gpuE8ELNS1_3repE0EEENS1_30default_config_static_selectorELNS0_4arch9wavefront6targetE1EEEvT1_
                                        ; -- End function
	.section	.AMDGPU.csdata,"",@progbits
; Kernel info:
; codeLenInByte = 15564
; NumSgprs: 77
; NumVgprs: 117
; NumAgprs: 0
; TotalNumVgprs: 117
; ScratchSize: 0
; MemoryBound: 0
; FloatMode: 240
; IeeeMode: 1
; LDSByteSize: 10752 bytes/workgroup (compile time only)
; SGPRBlocks: 9
; VGPRBlocks: 14
; NumSGPRsForWavesPerEU: 77
; NumVGPRsForWavesPerEU: 117
; AccumOffset: 120
; Occupancy: 2
; WaveLimiterHint : 1
; COMPUTE_PGM_RSRC2:SCRATCH_EN: 0
; COMPUTE_PGM_RSRC2:USER_SGPR: 6
; COMPUTE_PGM_RSRC2:TRAP_HANDLER: 0
; COMPUTE_PGM_RSRC2:TGID_X_EN: 1
; COMPUTE_PGM_RSRC2:TGID_Y_EN: 0
; COMPUTE_PGM_RSRC2:TGID_Z_EN: 0
; COMPUTE_PGM_RSRC2:TIDIG_COMP_CNT: 0
; COMPUTE_PGM_RSRC3_GFX90A:ACCUM_OFFSET: 29
; COMPUTE_PGM_RSRC3_GFX90A:TG_SPLIT: 0
	.section	.text._ZN7rocprim17ROCPRIM_400000_NS6detail17trampoline_kernelINS0_14default_configENS1_27scan_by_key_config_selectorIxxEEZZNS1_16scan_by_key_implILNS1_25lookback_scan_determinismE0ELb1ES3_N6thrust23THRUST_200600_302600_NS6detail15normal_iteratorINS9_10device_ptrIxEEEESE_SE_xNS9_4plusIxEE19head_flag_predicatexEE10hipError_tPvRmT2_T3_T4_T5_mT6_T7_P12ihipStream_tbENKUlT_T0_E_clISt17integral_constantIbLb0EESY_EEDaST_SU_EUlST_E_NS1_11comp_targetILNS1_3genE3ELNS1_11target_archE908ELNS1_3gpuE7ELNS1_3repE0EEENS1_30default_config_static_selectorELNS0_4arch9wavefront6targetE1EEEvT1_,"axG",@progbits,_ZN7rocprim17ROCPRIM_400000_NS6detail17trampoline_kernelINS0_14default_configENS1_27scan_by_key_config_selectorIxxEEZZNS1_16scan_by_key_implILNS1_25lookback_scan_determinismE0ELb1ES3_N6thrust23THRUST_200600_302600_NS6detail15normal_iteratorINS9_10device_ptrIxEEEESE_SE_xNS9_4plusIxEE19head_flag_predicatexEE10hipError_tPvRmT2_T3_T4_T5_mT6_T7_P12ihipStream_tbENKUlT_T0_E_clISt17integral_constantIbLb0EESY_EEDaST_SU_EUlST_E_NS1_11comp_targetILNS1_3genE3ELNS1_11target_archE908ELNS1_3gpuE7ELNS1_3repE0EEENS1_30default_config_static_selectorELNS0_4arch9wavefront6targetE1EEEvT1_,comdat
	.protected	_ZN7rocprim17ROCPRIM_400000_NS6detail17trampoline_kernelINS0_14default_configENS1_27scan_by_key_config_selectorIxxEEZZNS1_16scan_by_key_implILNS1_25lookback_scan_determinismE0ELb1ES3_N6thrust23THRUST_200600_302600_NS6detail15normal_iteratorINS9_10device_ptrIxEEEESE_SE_xNS9_4plusIxEE19head_flag_predicatexEE10hipError_tPvRmT2_T3_T4_T5_mT6_T7_P12ihipStream_tbENKUlT_T0_E_clISt17integral_constantIbLb0EESY_EEDaST_SU_EUlST_E_NS1_11comp_targetILNS1_3genE3ELNS1_11target_archE908ELNS1_3gpuE7ELNS1_3repE0EEENS1_30default_config_static_selectorELNS0_4arch9wavefront6targetE1EEEvT1_ ; -- Begin function _ZN7rocprim17ROCPRIM_400000_NS6detail17trampoline_kernelINS0_14default_configENS1_27scan_by_key_config_selectorIxxEEZZNS1_16scan_by_key_implILNS1_25lookback_scan_determinismE0ELb1ES3_N6thrust23THRUST_200600_302600_NS6detail15normal_iteratorINS9_10device_ptrIxEEEESE_SE_xNS9_4plusIxEE19head_flag_predicatexEE10hipError_tPvRmT2_T3_T4_T5_mT6_T7_P12ihipStream_tbENKUlT_T0_E_clISt17integral_constantIbLb0EESY_EEDaST_SU_EUlST_E_NS1_11comp_targetILNS1_3genE3ELNS1_11target_archE908ELNS1_3gpuE7ELNS1_3repE0EEENS1_30default_config_static_selectorELNS0_4arch9wavefront6targetE1EEEvT1_
	.globl	_ZN7rocprim17ROCPRIM_400000_NS6detail17trampoline_kernelINS0_14default_configENS1_27scan_by_key_config_selectorIxxEEZZNS1_16scan_by_key_implILNS1_25lookback_scan_determinismE0ELb1ES3_N6thrust23THRUST_200600_302600_NS6detail15normal_iteratorINS9_10device_ptrIxEEEESE_SE_xNS9_4plusIxEE19head_flag_predicatexEE10hipError_tPvRmT2_T3_T4_T5_mT6_T7_P12ihipStream_tbENKUlT_T0_E_clISt17integral_constantIbLb0EESY_EEDaST_SU_EUlST_E_NS1_11comp_targetILNS1_3genE3ELNS1_11target_archE908ELNS1_3gpuE7ELNS1_3repE0EEENS1_30default_config_static_selectorELNS0_4arch9wavefront6targetE1EEEvT1_
	.p2align	8
	.type	_ZN7rocprim17ROCPRIM_400000_NS6detail17trampoline_kernelINS0_14default_configENS1_27scan_by_key_config_selectorIxxEEZZNS1_16scan_by_key_implILNS1_25lookback_scan_determinismE0ELb1ES3_N6thrust23THRUST_200600_302600_NS6detail15normal_iteratorINS9_10device_ptrIxEEEESE_SE_xNS9_4plusIxEE19head_flag_predicatexEE10hipError_tPvRmT2_T3_T4_T5_mT6_T7_P12ihipStream_tbENKUlT_T0_E_clISt17integral_constantIbLb0EESY_EEDaST_SU_EUlST_E_NS1_11comp_targetILNS1_3genE3ELNS1_11target_archE908ELNS1_3gpuE7ELNS1_3repE0EEENS1_30default_config_static_selectorELNS0_4arch9wavefront6targetE1EEEvT1_,@function
_ZN7rocprim17ROCPRIM_400000_NS6detail17trampoline_kernelINS0_14default_configENS1_27scan_by_key_config_selectorIxxEEZZNS1_16scan_by_key_implILNS1_25lookback_scan_determinismE0ELb1ES3_N6thrust23THRUST_200600_302600_NS6detail15normal_iteratorINS9_10device_ptrIxEEEESE_SE_xNS9_4plusIxEE19head_flag_predicatexEE10hipError_tPvRmT2_T3_T4_T5_mT6_T7_P12ihipStream_tbENKUlT_T0_E_clISt17integral_constantIbLb0EESY_EEDaST_SU_EUlST_E_NS1_11comp_targetILNS1_3genE3ELNS1_11target_archE908ELNS1_3gpuE7ELNS1_3repE0EEENS1_30default_config_static_selectorELNS0_4arch9wavefront6targetE1EEEvT1_: ; @_ZN7rocprim17ROCPRIM_400000_NS6detail17trampoline_kernelINS0_14default_configENS1_27scan_by_key_config_selectorIxxEEZZNS1_16scan_by_key_implILNS1_25lookback_scan_determinismE0ELb1ES3_N6thrust23THRUST_200600_302600_NS6detail15normal_iteratorINS9_10device_ptrIxEEEESE_SE_xNS9_4plusIxEE19head_flag_predicatexEE10hipError_tPvRmT2_T3_T4_T5_mT6_T7_P12ihipStream_tbENKUlT_T0_E_clISt17integral_constantIbLb0EESY_EEDaST_SU_EUlST_E_NS1_11comp_targetILNS1_3genE3ELNS1_11target_archE908ELNS1_3gpuE7ELNS1_3repE0EEENS1_30default_config_static_selectorELNS0_4arch9wavefront6targetE1EEEvT1_
; %bb.0:
	.section	.rodata,"a",@progbits
	.p2align	6, 0x0
	.amdhsa_kernel _ZN7rocprim17ROCPRIM_400000_NS6detail17trampoline_kernelINS0_14default_configENS1_27scan_by_key_config_selectorIxxEEZZNS1_16scan_by_key_implILNS1_25lookback_scan_determinismE0ELb1ES3_N6thrust23THRUST_200600_302600_NS6detail15normal_iteratorINS9_10device_ptrIxEEEESE_SE_xNS9_4plusIxEE19head_flag_predicatexEE10hipError_tPvRmT2_T3_T4_T5_mT6_T7_P12ihipStream_tbENKUlT_T0_E_clISt17integral_constantIbLb0EESY_EEDaST_SU_EUlST_E_NS1_11comp_targetILNS1_3genE3ELNS1_11target_archE908ELNS1_3gpuE7ELNS1_3repE0EEENS1_30default_config_static_selectorELNS0_4arch9wavefront6targetE1EEEvT1_
		.amdhsa_group_segment_fixed_size 0
		.amdhsa_private_segment_fixed_size 0
		.amdhsa_kernarg_size 136
		.amdhsa_user_sgpr_count 6
		.amdhsa_user_sgpr_private_segment_buffer 1
		.amdhsa_user_sgpr_dispatch_ptr 0
		.amdhsa_user_sgpr_queue_ptr 0
		.amdhsa_user_sgpr_kernarg_segment_ptr 1
		.amdhsa_user_sgpr_dispatch_id 0
		.amdhsa_user_sgpr_flat_scratch_init 0
		.amdhsa_user_sgpr_kernarg_preload_length 0
		.amdhsa_user_sgpr_kernarg_preload_offset 0
		.amdhsa_user_sgpr_private_segment_size 0
		.amdhsa_uses_dynamic_stack 0
		.amdhsa_system_sgpr_private_segment_wavefront_offset 0
		.amdhsa_system_sgpr_workgroup_id_x 1
		.amdhsa_system_sgpr_workgroup_id_y 0
		.amdhsa_system_sgpr_workgroup_id_z 0
		.amdhsa_system_sgpr_workgroup_info 0
		.amdhsa_system_vgpr_workitem_id 0
		.amdhsa_next_free_vgpr 1
		.amdhsa_next_free_sgpr 0
		.amdhsa_accum_offset 4
		.amdhsa_reserve_vcc 0
		.amdhsa_reserve_flat_scratch 0
		.amdhsa_float_round_mode_32 0
		.amdhsa_float_round_mode_16_64 0
		.amdhsa_float_denorm_mode_32 3
		.amdhsa_float_denorm_mode_16_64 3
		.amdhsa_dx10_clamp 1
		.amdhsa_ieee_mode 1
		.amdhsa_fp16_overflow 0
		.amdhsa_tg_split 0
		.amdhsa_exception_fp_ieee_invalid_op 0
		.amdhsa_exception_fp_denorm_src 0
		.amdhsa_exception_fp_ieee_div_zero 0
		.amdhsa_exception_fp_ieee_overflow 0
		.amdhsa_exception_fp_ieee_underflow 0
		.amdhsa_exception_fp_ieee_inexact 0
		.amdhsa_exception_int_div_zero 0
	.end_amdhsa_kernel
	.section	.text._ZN7rocprim17ROCPRIM_400000_NS6detail17trampoline_kernelINS0_14default_configENS1_27scan_by_key_config_selectorIxxEEZZNS1_16scan_by_key_implILNS1_25lookback_scan_determinismE0ELb1ES3_N6thrust23THRUST_200600_302600_NS6detail15normal_iteratorINS9_10device_ptrIxEEEESE_SE_xNS9_4plusIxEE19head_flag_predicatexEE10hipError_tPvRmT2_T3_T4_T5_mT6_T7_P12ihipStream_tbENKUlT_T0_E_clISt17integral_constantIbLb0EESY_EEDaST_SU_EUlST_E_NS1_11comp_targetILNS1_3genE3ELNS1_11target_archE908ELNS1_3gpuE7ELNS1_3repE0EEENS1_30default_config_static_selectorELNS0_4arch9wavefront6targetE1EEEvT1_,"axG",@progbits,_ZN7rocprim17ROCPRIM_400000_NS6detail17trampoline_kernelINS0_14default_configENS1_27scan_by_key_config_selectorIxxEEZZNS1_16scan_by_key_implILNS1_25lookback_scan_determinismE0ELb1ES3_N6thrust23THRUST_200600_302600_NS6detail15normal_iteratorINS9_10device_ptrIxEEEESE_SE_xNS9_4plusIxEE19head_flag_predicatexEE10hipError_tPvRmT2_T3_T4_T5_mT6_T7_P12ihipStream_tbENKUlT_T0_E_clISt17integral_constantIbLb0EESY_EEDaST_SU_EUlST_E_NS1_11comp_targetILNS1_3genE3ELNS1_11target_archE908ELNS1_3gpuE7ELNS1_3repE0EEENS1_30default_config_static_selectorELNS0_4arch9wavefront6targetE1EEEvT1_,comdat
.Lfunc_end717:
	.size	_ZN7rocprim17ROCPRIM_400000_NS6detail17trampoline_kernelINS0_14default_configENS1_27scan_by_key_config_selectorIxxEEZZNS1_16scan_by_key_implILNS1_25lookback_scan_determinismE0ELb1ES3_N6thrust23THRUST_200600_302600_NS6detail15normal_iteratorINS9_10device_ptrIxEEEESE_SE_xNS9_4plusIxEE19head_flag_predicatexEE10hipError_tPvRmT2_T3_T4_T5_mT6_T7_P12ihipStream_tbENKUlT_T0_E_clISt17integral_constantIbLb0EESY_EEDaST_SU_EUlST_E_NS1_11comp_targetILNS1_3genE3ELNS1_11target_archE908ELNS1_3gpuE7ELNS1_3repE0EEENS1_30default_config_static_selectorELNS0_4arch9wavefront6targetE1EEEvT1_, .Lfunc_end717-_ZN7rocprim17ROCPRIM_400000_NS6detail17trampoline_kernelINS0_14default_configENS1_27scan_by_key_config_selectorIxxEEZZNS1_16scan_by_key_implILNS1_25lookback_scan_determinismE0ELb1ES3_N6thrust23THRUST_200600_302600_NS6detail15normal_iteratorINS9_10device_ptrIxEEEESE_SE_xNS9_4plusIxEE19head_flag_predicatexEE10hipError_tPvRmT2_T3_T4_T5_mT6_T7_P12ihipStream_tbENKUlT_T0_E_clISt17integral_constantIbLb0EESY_EEDaST_SU_EUlST_E_NS1_11comp_targetILNS1_3genE3ELNS1_11target_archE908ELNS1_3gpuE7ELNS1_3repE0EEENS1_30default_config_static_selectorELNS0_4arch9wavefront6targetE1EEEvT1_
                                        ; -- End function
	.section	.AMDGPU.csdata,"",@progbits
; Kernel info:
; codeLenInByte = 0
; NumSgprs: 4
; NumVgprs: 0
; NumAgprs: 0
; TotalNumVgprs: 0
; ScratchSize: 0
; MemoryBound: 0
; FloatMode: 240
; IeeeMode: 1
; LDSByteSize: 0 bytes/workgroup (compile time only)
; SGPRBlocks: 0
; VGPRBlocks: 0
; NumSGPRsForWavesPerEU: 4
; NumVGPRsForWavesPerEU: 1
; AccumOffset: 4
; Occupancy: 8
; WaveLimiterHint : 0
; COMPUTE_PGM_RSRC2:SCRATCH_EN: 0
; COMPUTE_PGM_RSRC2:USER_SGPR: 6
; COMPUTE_PGM_RSRC2:TRAP_HANDLER: 0
; COMPUTE_PGM_RSRC2:TGID_X_EN: 1
; COMPUTE_PGM_RSRC2:TGID_Y_EN: 0
; COMPUTE_PGM_RSRC2:TGID_Z_EN: 0
; COMPUTE_PGM_RSRC2:TIDIG_COMP_CNT: 0
; COMPUTE_PGM_RSRC3_GFX90A:ACCUM_OFFSET: 0
; COMPUTE_PGM_RSRC3_GFX90A:TG_SPLIT: 0
	.section	.text._ZN7rocprim17ROCPRIM_400000_NS6detail17trampoline_kernelINS0_14default_configENS1_27scan_by_key_config_selectorIxxEEZZNS1_16scan_by_key_implILNS1_25lookback_scan_determinismE0ELb1ES3_N6thrust23THRUST_200600_302600_NS6detail15normal_iteratorINS9_10device_ptrIxEEEESE_SE_xNS9_4plusIxEE19head_flag_predicatexEE10hipError_tPvRmT2_T3_T4_T5_mT6_T7_P12ihipStream_tbENKUlT_T0_E_clISt17integral_constantIbLb0EESY_EEDaST_SU_EUlST_E_NS1_11comp_targetILNS1_3genE2ELNS1_11target_archE906ELNS1_3gpuE6ELNS1_3repE0EEENS1_30default_config_static_selectorELNS0_4arch9wavefront6targetE1EEEvT1_,"axG",@progbits,_ZN7rocprim17ROCPRIM_400000_NS6detail17trampoline_kernelINS0_14default_configENS1_27scan_by_key_config_selectorIxxEEZZNS1_16scan_by_key_implILNS1_25lookback_scan_determinismE0ELb1ES3_N6thrust23THRUST_200600_302600_NS6detail15normal_iteratorINS9_10device_ptrIxEEEESE_SE_xNS9_4plusIxEE19head_flag_predicatexEE10hipError_tPvRmT2_T3_T4_T5_mT6_T7_P12ihipStream_tbENKUlT_T0_E_clISt17integral_constantIbLb0EESY_EEDaST_SU_EUlST_E_NS1_11comp_targetILNS1_3genE2ELNS1_11target_archE906ELNS1_3gpuE6ELNS1_3repE0EEENS1_30default_config_static_selectorELNS0_4arch9wavefront6targetE1EEEvT1_,comdat
	.protected	_ZN7rocprim17ROCPRIM_400000_NS6detail17trampoline_kernelINS0_14default_configENS1_27scan_by_key_config_selectorIxxEEZZNS1_16scan_by_key_implILNS1_25lookback_scan_determinismE0ELb1ES3_N6thrust23THRUST_200600_302600_NS6detail15normal_iteratorINS9_10device_ptrIxEEEESE_SE_xNS9_4plusIxEE19head_flag_predicatexEE10hipError_tPvRmT2_T3_T4_T5_mT6_T7_P12ihipStream_tbENKUlT_T0_E_clISt17integral_constantIbLb0EESY_EEDaST_SU_EUlST_E_NS1_11comp_targetILNS1_3genE2ELNS1_11target_archE906ELNS1_3gpuE6ELNS1_3repE0EEENS1_30default_config_static_selectorELNS0_4arch9wavefront6targetE1EEEvT1_ ; -- Begin function _ZN7rocprim17ROCPRIM_400000_NS6detail17trampoline_kernelINS0_14default_configENS1_27scan_by_key_config_selectorIxxEEZZNS1_16scan_by_key_implILNS1_25lookback_scan_determinismE0ELb1ES3_N6thrust23THRUST_200600_302600_NS6detail15normal_iteratorINS9_10device_ptrIxEEEESE_SE_xNS9_4plusIxEE19head_flag_predicatexEE10hipError_tPvRmT2_T3_T4_T5_mT6_T7_P12ihipStream_tbENKUlT_T0_E_clISt17integral_constantIbLb0EESY_EEDaST_SU_EUlST_E_NS1_11comp_targetILNS1_3genE2ELNS1_11target_archE906ELNS1_3gpuE6ELNS1_3repE0EEENS1_30default_config_static_selectorELNS0_4arch9wavefront6targetE1EEEvT1_
	.globl	_ZN7rocprim17ROCPRIM_400000_NS6detail17trampoline_kernelINS0_14default_configENS1_27scan_by_key_config_selectorIxxEEZZNS1_16scan_by_key_implILNS1_25lookback_scan_determinismE0ELb1ES3_N6thrust23THRUST_200600_302600_NS6detail15normal_iteratorINS9_10device_ptrIxEEEESE_SE_xNS9_4plusIxEE19head_flag_predicatexEE10hipError_tPvRmT2_T3_T4_T5_mT6_T7_P12ihipStream_tbENKUlT_T0_E_clISt17integral_constantIbLb0EESY_EEDaST_SU_EUlST_E_NS1_11comp_targetILNS1_3genE2ELNS1_11target_archE906ELNS1_3gpuE6ELNS1_3repE0EEENS1_30default_config_static_selectorELNS0_4arch9wavefront6targetE1EEEvT1_
	.p2align	8
	.type	_ZN7rocprim17ROCPRIM_400000_NS6detail17trampoline_kernelINS0_14default_configENS1_27scan_by_key_config_selectorIxxEEZZNS1_16scan_by_key_implILNS1_25lookback_scan_determinismE0ELb1ES3_N6thrust23THRUST_200600_302600_NS6detail15normal_iteratorINS9_10device_ptrIxEEEESE_SE_xNS9_4plusIxEE19head_flag_predicatexEE10hipError_tPvRmT2_T3_T4_T5_mT6_T7_P12ihipStream_tbENKUlT_T0_E_clISt17integral_constantIbLb0EESY_EEDaST_SU_EUlST_E_NS1_11comp_targetILNS1_3genE2ELNS1_11target_archE906ELNS1_3gpuE6ELNS1_3repE0EEENS1_30default_config_static_selectorELNS0_4arch9wavefront6targetE1EEEvT1_,@function
_ZN7rocprim17ROCPRIM_400000_NS6detail17trampoline_kernelINS0_14default_configENS1_27scan_by_key_config_selectorIxxEEZZNS1_16scan_by_key_implILNS1_25lookback_scan_determinismE0ELb1ES3_N6thrust23THRUST_200600_302600_NS6detail15normal_iteratorINS9_10device_ptrIxEEEESE_SE_xNS9_4plusIxEE19head_flag_predicatexEE10hipError_tPvRmT2_T3_T4_T5_mT6_T7_P12ihipStream_tbENKUlT_T0_E_clISt17integral_constantIbLb0EESY_EEDaST_SU_EUlST_E_NS1_11comp_targetILNS1_3genE2ELNS1_11target_archE906ELNS1_3gpuE6ELNS1_3repE0EEENS1_30default_config_static_selectorELNS0_4arch9wavefront6targetE1EEEvT1_: ; @_ZN7rocprim17ROCPRIM_400000_NS6detail17trampoline_kernelINS0_14default_configENS1_27scan_by_key_config_selectorIxxEEZZNS1_16scan_by_key_implILNS1_25lookback_scan_determinismE0ELb1ES3_N6thrust23THRUST_200600_302600_NS6detail15normal_iteratorINS9_10device_ptrIxEEEESE_SE_xNS9_4plusIxEE19head_flag_predicatexEE10hipError_tPvRmT2_T3_T4_T5_mT6_T7_P12ihipStream_tbENKUlT_T0_E_clISt17integral_constantIbLb0EESY_EEDaST_SU_EUlST_E_NS1_11comp_targetILNS1_3genE2ELNS1_11target_archE906ELNS1_3gpuE6ELNS1_3repE0EEENS1_30default_config_static_selectorELNS0_4arch9wavefront6targetE1EEEvT1_
; %bb.0:
	.section	.rodata,"a",@progbits
	.p2align	6, 0x0
	.amdhsa_kernel _ZN7rocprim17ROCPRIM_400000_NS6detail17trampoline_kernelINS0_14default_configENS1_27scan_by_key_config_selectorIxxEEZZNS1_16scan_by_key_implILNS1_25lookback_scan_determinismE0ELb1ES3_N6thrust23THRUST_200600_302600_NS6detail15normal_iteratorINS9_10device_ptrIxEEEESE_SE_xNS9_4plusIxEE19head_flag_predicatexEE10hipError_tPvRmT2_T3_T4_T5_mT6_T7_P12ihipStream_tbENKUlT_T0_E_clISt17integral_constantIbLb0EESY_EEDaST_SU_EUlST_E_NS1_11comp_targetILNS1_3genE2ELNS1_11target_archE906ELNS1_3gpuE6ELNS1_3repE0EEENS1_30default_config_static_selectorELNS0_4arch9wavefront6targetE1EEEvT1_
		.amdhsa_group_segment_fixed_size 0
		.amdhsa_private_segment_fixed_size 0
		.amdhsa_kernarg_size 136
		.amdhsa_user_sgpr_count 6
		.amdhsa_user_sgpr_private_segment_buffer 1
		.amdhsa_user_sgpr_dispatch_ptr 0
		.amdhsa_user_sgpr_queue_ptr 0
		.amdhsa_user_sgpr_kernarg_segment_ptr 1
		.amdhsa_user_sgpr_dispatch_id 0
		.amdhsa_user_sgpr_flat_scratch_init 0
		.amdhsa_user_sgpr_kernarg_preload_length 0
		.amdhsa_user_sgpr_kernarg_preload_offset 0
		.amdhsa_user_sgpr_private_segment_size 0
		.amdhsa_uses_dynamic_stack 0
		.amdhsa_system_sgpr_private_segment_wavefront_offset 0
		.amdhsa_system_sgpr_workgroup_id_x 1
		.amdhsa_system_sgpr_workgroup_id_y 0
		.amdhsa_system_sgpr_workgroup_id_z 0
		.amdhsa_system_sgpr_workgroup_info 0
		.amdhsa_system_vgpr_workitem_id 0
		.amdhsa_next_free_vgpr 1
		.amdhsa_next_free_sgpr 0
		.amdhsa_accum_offset 4
		.amdhsa_reserve_vcc 0
		.amdhsa_reserve_flat_scratch 0
		.amdhsa_float_round_mode_32 0
		.amdhsa_float_round_mode_16_64 0
		.amdhsa_float_denorm_mode_32 3
		.amdhsa_float_denorm_mode_16_64 3
		.amdhsa_dx10_clamp 1
		.amdhsa_ieee_mode 1
		.amdhsa_fp16_overflow 0
		.amdhsa_tg_split 0
		.amdhsa_exception_fp_ieee_invalid_op 0
		.amdhsa_exception_fp_denorm_src 0
		.amdhsa_exception_fp_ieee_div_zero 0
		.amdhsa_exception_fp_ieee_overflow 0
		.amdhsa_exception_fp_ieee_underflow 0
		.amdhsa_exception_fp_ieee_inexact 0
		.amdhsa_exception_int_div_zero 0
	.end_amdhsa_kernel
	.section	.text._ZN7rocprim17ROCPRIM_400000_NS6detail17trampoline_kernelINS0_14default_configENS1_27scan_by_key_config_selectorIxxEEZZNS1_16scan_by_key_implILNS1_25lookback_scan_determinismE0ELb1ES3_N6thrust23THRUST_200600_302600_NS6detail15normal_iteratorINS9_10device_ptrIxEEEESE_SE_xNS9_4plusIxEE19head_flag_predicatexEE10hipError_tPvRmT2_T3_T4_T5_mT6_T7_P12ihipStream_tbENKUlT_T0_E_clISt17integral_constantIbLb0EESY_EEDaST_SU_EUlST_E_NS1_11comp_targetILNS1_3genE2ELNS1_11target_archE906ELNS1_3gpuE6ELNS1_3repE0EEENS1_30default_config_static_selectorELNS0_4arch9wavefront6targetE1EEEvT1_,"axG",@progbits,_ZN7rocprim17ROCPRIM_400000_NS6detail17trampoline_kernelINS0_14default_configENS1_27scan_by_key_config_selectorIxxEEZZNS1_16scan_by_key_implILNS1_25lookback_scan_determinismE0ELb1ES3_N6thrust23THRUST_200600_302600_NS6detail15normal_iteratorINS9_10device_ptrIxEEEESE_SE_xNS9_4plusIxEE19head_flag_predicatexEE10hipError_tPvRmT2_T3_T4_T5_mT6_T7_P12ihipStream_tbENKUlT_T0_E_clISt17integral_constantIbLb0EESY_EEDaST_SU_EUlST_E_NS1_11comp_targetILNS1_3genE2ELNS1_11target_archE906ELNS1_3gpuE6ELNS1_3repE0EEENS1_30default_config_static_selectorELNS0_4arch9wavefront6targetE1EEEvT1_,comdat
.Lfunc_end718:
	.size	_ZN7rocprim17ROCPRIM_400000_NS6detail17trampoline_kernelINS0_14default_configENS1_27scan_by_key_config_selectorIxxEEZZNS1_16scan_by_key_implILNS1_25lookback_scan_determinismE0ELb1ES3_N6thrust23THRUST_200600_302600_NS6detail15normal_iteratorINS9_10device_ptrIxEEEESE_SE_xNS9_4plusIxEE19head_flag_predicatexEE10hipError_tPvRmT2_T3_T4_T5_mT6_T7_P12ihipStream_tbENKUlT_T0_E_clISt17integral_constantIbLb0EESY_EEDaST_SU_EUlST_E_NS1_11comp_targetILNS1_3genE2ELNS1_11target_archE906ELNS1_3gpuE6ELNS1_3repE0EEENS1_30default_config_static_selectorELNS0_4arch9wavefront6targetE1EEEvT1_, .Lfunc_end718-_ZN7rocprim17ROCPRIM_400000_NS6detail17trampoline_kernelINS0_14default_configENS1_27scan_by_key_config_selectorIxxEEZZNS1_16scan_by_key_implILNS1_25lookback_scan_determinismE0ELb1ES3_N6thrust23THRUST_200600_302600_NS6detail15normal_iteratorINS9_10device_ptrIxEEEESE_SE_xNS9_4plusIxEE19head_flag_predicatexEE10hipError_tPvRmT2_T3_T4_T5_mT6_T7_P12ihipStream_tbENKUlT_T0_E_clISt17integral_constantIbLb0EESY_EEDaST_SU_EUlST_E_NS1_11comp_targetILNS1_3genE2ELNS1_11target_archE906ELNS1_3gpuE6ELNS1_3repE0EEENS1_30default_config_static_selectorELNS0_4arch9wavefront6targetE1EEEvT1_
                                        ; -- End function
	.section	.AMDGPU.csdata,"",@progbits
; Kernel info:
; codeLenInByte = 0
; NumSgprs: 4
; NumVgprs: 0
; NumAgprs: 0
; TotalNumVgprs: 0
; ScratchSize: 0
; MemoryBound: 0
; FloatMode: 240
; IeeeMode: 1
; LDSByteSize: 0 bytes/workgroup (compile time only)
; SGPRBlocks: 0
; VGPRBlocks: 0
; NumSGPRsForWavesPerEU: 4
; NumVGPRsForWavesPerEU: 1
; AccumOffset: 4
; Occupancy: 8
; WaveLimiterHint : 0
; COMPUTE_PGM_RSRC2:SCRATCH_EN: 0
; COMPUTE_PGM_RSRC2:USER_SGPR: 6
; COMPUTE_PGM_RSRC2:TRAP_HANDLER: 0
; COMPUTE_PGM_RSRC2:TGID_X_EN: 1
; COMPUTE_PGM_RSRC2:TGID_Y_EN: 0
; COMPUTE_PGM_RSRC2:TGID_Z_EN: 0
; COMPUTE_PGM_RSRC2:TIDIG_COMP_CNT: 0
; COMPUTE_PGM_RSRC3_GFX90A:ACCUM_OFFSET: 0
; COMPUTE_PGM_RSRC3_GFX90A:TG_SPLIT: 0
	.section	.text._ZN7rocprim17ROCPRIM_400000_NS6detail17trampoline_kernelINS0_14default_configENS1_27scan_by_key_config_selectorIxxEEZZNS1_16scan_by_key_implILNS1_25lookback_scan_determinismE0ELb1ES3_N6thrust23THRUST_200600_302600_NS6detail15normal_iteratorINS9_10device_ptrIxEEEESE_SE_xNS9_4plusIxEE19head_flag_predicatexEE10hipError_tPvRmT2_T3_T4_T5_mT6_T7_P12ihipStream_tbENKUlT_T0_E_clISt17integral_constantIbLb0EESY_EEDaST_SU_EUlST_E_NS1_11comp_targetILNS1_3genE10ELNS1_11target_archE1200ELNS1_3gpuE4ELNS1_3repE0EEENS1_30default_config_static_selectorELNS0_4arch9wavefront6targetE1EEEvT1_,"axG",@progbits,_ZN7rocprim17ROCPRIM_400000_NS6detail17trampoline_kernelINS0_14default_configENS1_27scan_by_key_config_selectorIxxEEZZNS1_16scan_by_key_implILNS1_25lookback_scan_determinismE0ELb1ES3_N6thrust23THRUST_200600_302600_NS6detail15normal_iteratorINS9_10device_ptrIxEEEESE_SE_xNS9_4plusIxEE19head_flag_predicatexEE10hipError_tPvRmT2_T3_T4_T5_mT6_T7_P12ihipStream_tbENKUlT_T0_E_clISt17integral_constantIbLb0EESY_EEDaST_SU_EUlST_E_NS1_11comp_targetILNS1_3genE10ELNS1_11target_archE1200ELNS1_3gpuE4ELNS1_3repE0EEENS1_30default_config_static_selectorELNS0_4arch9wavefront6targetE1EEEvT1_,comdat
	.protected	_ZN7rocprim17ROCPRIM_400000_NS6detail17trampoline_kernelINS0_14default_configENS1_27scan_by_key_config_selectorIxxEEZZNS1_16scan_by_key_implILNS1_25lookback_scan_determinismE0ELb1ES3_N6thrust23THRUST_200600_302600_NS6detail15normal_iteratorINS9_10device_ptrIxEEEESE_SE_xNS9_4plusIxEE19head_flag_predicatexEE10hipError_tPvRmT2_T3_T4_T5_mT6_T7_P12ihipStream_tbENKUlT_T0_E_clISt17integral_constantIbLb0EESY_EEDaST_SU_EUlST_E_NS1_11comp_targetILNS1_3genE10ELNS1_11target_archE1200ELNS1_3gpuE4ELNS1_3repE0EEENS1_30default_config_static_selectorELNS0_4arch9wavefront6targetE1EEEvT1_ ; -- Begin function _ZN7rocprim17ROCPRIM_400000_NS6detail17trampoline_kernelINS0_14default_configENS1_27scan_by_key_config_selectorIxxEEZZNS1_16scan_by_key_implILNS1_25lookback_scan_determinismE0ELb1ES3_N6thrust23THRUST_200600_302600_NS6detail15normal_iteratorINS9_10device_ptrIxEEEESE_SE_xNS9_4plusIxEE19head_flag_predicatexEE10hipError_tPvRmT2_T3_T4_T5_mT6_T7_P12ihipStream_tbENKUlT_T0_E_clISt17integral_constantIbLb0EESY_EEDaST_SU_EUlST_E_NS1_11comp_targetILNS1_3genE10ELNS1_11target_archE1200ELNS1_3gpuE4ELNS1_3repE0EEENS1_30default_config_static_selectorELNS0_4arch9wavefront6targetE1EEEvT1_
	.globl	_ZN7rocprim17ROCPRIM_400000_NS6detail17trampoline_kernelINS0_14default_configENS1_27scan_by_key_config_selectorIxxEEZZNS1_16scan_by_key_implILNS1_25lookback_scan_determinismE0ELb1ES3_N6thrust23THRUST_200600_302600_NS6detail15normal_iteratorINS9_10device_ptrIxEEEESE_SE_xNS9_4plusIxEE19head_flag_predicatexEE10hipError_tPvRmT2_T3_T4_T5_mT6_T7_P12ihipStream_tbENKUlT_T0_E_clISt17integral_constantIbLb0EESY_EEDaST_SU_EUlST_E_NS1_11comp_targetILNS1_3genE10ELNS1_11target_archE1200ELNS1_3gpuE4ELNS1_3repE0EEENS1_30default_config_static_selectorELNS0_4arch9wavefront6targetE1EEEvT1_
	.p2align	8
	.type	_ZN7rocprim17ROCPRIM_400000_NS6detail17trampoline_kernelINS0_14default_configENS1_27scan_by_key_config_selectorIxxEEZZNS1_16scan_by_key_implILNS1_25lookback_scan_determinismE0ELb1ES3_N6thrust23THRUST_200600_302600_NS6detail15normal_iteratorINS9_10device_ptrIxEEEESE_SE_xNS9_4plusIxEE19head_flag_predicatexEE10hipError_tPvRmT2_T3_T4_T5_mT6_T7_P12ihipStream_tbENKUlT_T0_E_clISt17integral_constantIbLb0EESY_EEDaST_SU_EUlST_E_NS1_11comp_targetILNS1_3genE10ELNS1_11target_archE1200ELNS1_3gpuE4ELNS1_3repE0EEENS1_30default_config_static_selectorELNS0_4arch9wavefront6targetE1EEEvT1_,@function
_ZN7rocprim17ROCPRIM_400000_NS6detail17trampoline_kernelINS0_14default_configENS1_27scan_by_key_config_selectorIxxEEZZNS1_16scan_by_key_implILNS1_25lookback_scan_determinismE0ELb1ES3_N6thrust23THRUST_200600_302600_NS6detail15normal_iteratorINS9_10device_ptrIxEEEESE_SE_xNS9_4plusIxEE19head_flag_predicatexEE10hipError_tPvRmT2_T3_T4_T5_mT6_T7_P12ihipStream_tbENKUlT_T0_E_clISt17integral_constantIbLb0EESY_EEDaST_SU_EUlST_E_NS1_11comp_targetILNS1_3genE10ELNS1_11target_archE1200ELNS1_3gpuE4ELNS1_3repE0EEENS1_30default_config_static_selectorELNS0_4arch9wavefront6targetE1EEEvT1_: ; @_ZN7rocprim17ROCPRIM_400000_NS6detail17trampoline_kernelINS0_14default_configENS1_27scan_by_key_config_selectorIxxEEZZNS1_16scan_by_key_implILNS1_25lookback_scan_determinismE0ELb1ES3_N6thrust23THRUST_200600_302600_NS6detail15normal_iteratorINS9_10device_ptrIxEEEESE_SE_xNS9_4plusIxEE19head_flag_predicatexEE10hipError_tPvRmT2_T3_T4_T5_mT6_T7_P12ihipStream_tbENKUlT_T0_E_clISt17integral_constantIbLb0EESY_EEDaST_SU_EUlST_E_NS1_11comp_targetILNS1_3genE10ELNS1_11target_archE1200ELNS1_3gpuE4ELNS1_3repE0EEENS1_30default_config_static_selectorELNS0_4arch9wavefront6targetE1EEEvT1_
; %bb.0:
	.section	.rodata,"a",@progbits
	.p2align	6, 0x0
	.amdhsa_kernel _ZN7rocprim17ROCPRIM_400000_NS6detail17trampoline_kernelINS0_14default_configENS1_27scan_by_key_config_selectorIxxEEZZNS1_16scan_by_key_implILNS1_25lookback_scan_determinismE0ELb1ES3_N6thrust23THRUST_200600_302600_NS6detail15normal_iteratorINS9_10device_ptrIxEEEESE_SE_xNS9_4plusIxEE19head_flag_predicatexEE10hipError_tPvRmT2_T3_T4_T5_mT6_T7_P12ihipStream_tbENKUlT_T0_E_clISt17integral_constantIbLb0EESY_EEDaST_SU_EUlST_E_NS1_11comp_targetILNS1_3genE10ELNS1_11target_archE1200ELNS1_3gpuE4ELNS1_3repE0EEENS1_30default_config_static_selectorELNS0_4arch9wavefront6targetE1EEEvT1_
		.amdhsa_group_segment_fixed_size 0
		.amdhsa_private_segment_fixed_size 0
		.amdhsa_kernarg_size 136
		.amdhsa_user_sgpr_count 6
		.amdhsa_user_sgpr_private_segment_buffer 1
		.amdhsa_user_sgpr_dispatch_ptr 0
		.amdhsa_user_sgpr_queue_ptr 0
		.amdhsa_user_sgpr_kernarg_segment_ptr 1
		.amdhsa_user_sgpr_dispatch_id 0
		.amdhsa_user_sgpr_flat_scratch_init 0
		.amdhsa_user_sgpr_kernarg_preload_length 0
		.amdhsa_user_sgpr_kernarg_preload_offset 0
		.amdhsa_user_sgpr_private_segment_size 0
		.amdhsa_uses_dynamic_stack 0
		.amdhsa_system_sgpr_private_segment_wavefront_offset 0
		.amdhsa_system_sgpr_workgroup_id_x 1
		.amdhsa_system_sgpr_workgroup_id_y 0
		.amdhsa_system_sgpr_workgroup_id_z 0
		.amdhsa_system_sgpr_workgroup_info 0
		.amdhsa_system_vgpr_workitem_id 0
		.amdhsa_next_free_vgpr 1
		.amdhsa_next_free_sgpr 0
		.amdhsa_accum_offset 4
		.amdhsa_reserve_vcc 0
		.amdhsa_reserve_flat_scratch 0
		.amdhsa_float_round_mode_32 0
		.amdhsa_float_round_mode_16_64 0
		.amdhsa_float_denorm_mode_32 3
		.amdhsa_float_denorm_mode_16_64 3
		.amdhsa_dx10_clamp 1
		.amdhsa_ieee_mode 1
		.amdhsa_fp16_overflow 0
		.amdhsa_tg_split 0
		.amdhsa_exception_fp_ieee_invalid_op 0
		.amdhsa_exception_fp_denorm_src 0
		.amdhsa_exception_fp_ieee_div_zero 0
		.amdhsa_exception_fp_ieee_overflow 0
		.amdhsa_exception_fp_ieee_underflow 0
		.amdhsa_exception_fp_ieee_inexact 0
		.amdhsa_exception_int_div_zero 0
	.end_amdhsa_kernel
	.section	.text._ZN7rocprim17ROCPRIM_400000_NS6detail17trampoline_kernelINS0_14default_configENS1_27scan_by_key_config_selectorIxxEEZZNS1_16scan_by_key_implILNS1_25lookback_scan_determinismE0ELb1ES3_N6thrust23THRUST_200600_302600_NS6detail15normal_iteratorINS9_10device_ptrIxEEEESE_SE_xNS9_4plusIxEE19head_flag_predicatexEE10hipError_tPvRmT2_T3_T4_T5_mT6_T7_P12ihipStream_tbENKUlT_T0_E_clISt17integral_constantIbLb0EESY_EEDaST_SU_EUlST_E_NS1_11comp_targetILNS1_3genE10ELNS1_11target_archE1200ELNS1_3gpuE4ELNS1_3repE0EEENS1_30default_config_static_selectorELNS0_4arch9wavefront6targetE1EEEvT1_,"axG",@progbits,_ZN7rocprim17ROCPRIM_400000_NS6detail17trampoline_kernelINS0_14default_configENS1_27scan_by_key_config_selectorIxxEEZZNS1_16scan_by_key_implILNS1_25lookback_scan_determinismE0ELb1ES3_N6thrust23THRUST_200600_302600_NS6detail15normal_iteratorINS9_10device_ptrIxEEEESE_SE_xNS9_4plusIxEE19head_flag_predicatexEE10hipError_tPvRmT2_T3_T4_T5_mT6_T7_P12ihipStream_tbENKUlT_T0_E_clISt17integral_constantIbLb0EESY_EEDaST_SU_EUlST_E_NS1_11comp_targetILNS1_3genE10ELNS1_11target_archE1200ELNS1_3gpuE4ELNS1_3repE0EEENS1_30default_config_static_selectorELNS0_4arch9wavefront6targetE1EEEvT1_,comdat
.Lfunc_end719:
	.size	_ZN7rocprim17ROCPRIM_400000_NS6detail17trampoline_kernelINS0_14default_configENS1_27scan_by_key_config_selectorIxxEEZZNS1_16scan_by_key_implILNS1_25lookback_scan_determinismE0ELb1ES3_N6thrust23THRUST_200600_302600_NS6detail15normal_iteratorINS9_10device_ptrIxEEEESE_SE_xNS9_4plusIxEE19head_flag_predicatexEE10hipError_tPvRmT2_T3_T4_T5_mT6_T7_P12ihipStream_tbENKUlT_T0_E_clISt17integral_constantIbLb0EESY_EEDaST_SU_EUlST_E_NS1_11comp_targetILNS1_3genE10ELNS1_11target_archE1200ELNS1_3gpuE4ELNS1_3repE0EEENS1_30default_config_static_selectorELNS0_4arch9wavefront6targetE1EEEvT1_, .Lfunc_end719-_ZN7rocprim17ROCPRIM_400000_NS6detail17trampoline_kernelINS0_14default_configENS1_27scan_by_key_config_selectorIxxEEZZNS1_16scan_by_key_implILNS1_25lookback_scan_determinismE0ELb1ES3_N6thrust23THRUST_200600_302600_NS6detail15normal_iteratorINS9_10device_ptrIxEEEESE_SE_xNS9_4plusIxEE19head_flag_predicatexEE10hipError_tPvRmT2_T3_T4_T5_mT6_T7_P12ihipStream_tbENKUlT_T0_E_clISt17integral_constantIbLb0EESY_EEDaST_SU_EUlST_E_NS1_11comp_targetILNS1_3genE10ELNS1_11target_archE1200ELNS1_3gpuE4ELNS1_3repE0EEENS1_30default_config_static_selectorELNS0_4arch9wavefront6targetE1EEEvT1_
                                        ; -- End function
	.section	.AMDGPU.csdata,"",@progbits
; Kernel info:
; codeLenInByte = 0
; NumSgprs: 4
; NumVgprs: 0
; NumAgprs: 0
; TotalNumVgprs: 0
; ScratchSize: 0
; MemoryBound: 0
; FloatMode: 240
; IeeeMode: 1
; LDSByteSize: 0 bytes/workgroup (compile time only)
; SGPRBlocks: 0
; VGPRBlocks: 0
; NumSGPRsForWavesPerEU: 4
; NumVGPRsForWavesPerEU: 1
; AccumOffset: 4
; Occupancy: 8
; WaveLimiterHint : 0
; COMPUTE_PGM_RSRC2:SCRATCH_EN: 0
; COMPUTE_PGM_RSRC2:USER_SGPR: 6
; COMPUTE_PGM_RSRC2:TRAP_HANDLER: 0
; COMPUTE_PGM_RSRC2:TGID_X_EN: 1
; COMPUTE_PGM_RSRC2:TGID_Y_EN: 0
; COMPUTE_PGM_RSRC2:TGID_Z_EN: 0
; COMPUTE_PGM_RSRC2:TIDIG_COMP_CNT: 0
; COMPUTE_PGM_RSRC3_GFX90A:ACCUM_OFFSET: 0
; COMPUTE_PGM_RSRC3_GFX90A:TG_SPLIT: 0
	.section	.text._ZN7rocprim17ROCPRIM_400000_NS6detail17trampoline_kernelINS0_14default_configENS1_27scan_by_key_config_selectorIxxEEZZNS1_16scan_by_key_implILNS1_25lookback_scan_determinismE0ELb1ES3_N6thrust23THRUST_200600_302600_NS6detail15normal_iteratorINS9_10device_ptrIxEEEESE_SE_xNS9_4plusIxEE19head_flag_predicatexEE10hipError_tPvRmT2_T3_T4_T5_mT6_T7_P12ihipStream_tbENKUlT_T0_E_clISt17integral_constantIbLb0EESY_EEDaST_SU_EUlST_E_NS1_11comp_targetILNS1_3genE9ELNS1_11target_archE1100ELNS1_3gpuE3ELNS1_3repE0EEENS1_30default_config_static_selectorELNS0_4arch9wavefront6targetE1EEEvT1_,"axG",@progbits,_ZN7rocprim17ROCPRIM_400000_NS6detail17trampoline_kernelINS0_14default_configENS1_27scan_by_key_config_selectorIxxEEZZNS1_16scan_by_key_implILNS1_25lookback_scan_determinismE0ELb1ES3_N6thrust23THRUST_200600_302600_NS6detail15normal_iteratorINS9_10device_ptrIxEEEESE_SE_xNS9_4plusIxEE19head_flag_predicatexEE10hipError_tPvRmT2_T3_T4_T5_mT6_T7_P12ihipStream_tbENKUlT_T0_E_clISt17integral_constantIbLb0EESY_EEDaST_SU_EUlST_E_NS1_11comp_targetILNS1_3genE9ELNS1_11target_archE1100ELNS1_3gpuE3ELNS1_3repE0EEENS1_30default_config_static_selectorELNS0_4arch9wavefront6targetE1EEEvT1_,comdat
	.protected	_ZN7rocprim17ROCPRIM_400000_NS6detail17trampoline_kernelINS0_14default_configENS1_27scan_by_key_config_selectorIxxEEZZNS1_16scan_by_key_implILNS1_25lookback_scan_determinismE0ELb1ES3_N6thrust23THRUST_200600_302600_NS6detail15normal_iteratorINS9_10device_ptrIxEEEESE_SE_xNS9_4plusIxEE19head_flag_predicatexEE10hipError_tPvRmT2_T3_T4_T5_mT6_T7_P12ihipStream_tbENKUlT_T0_E_clISt17integral_constantIbLb0EESY_EEDaST_SU_EUlST_E_NS1_11comp_targetILNS1_3genE9ELNS1_11target_archE1100ELNS1_3gpuE3ELNS1_3repE0EEENS1_30default_config_static_selectorELNS0_4arch9wavefront6targetE1EEEvT1_ ; -- Begin function _ZN7rocprim17ROCPRIM_400000_NS6detail17trampoline_kernelINS0_14default_configENS1_27scan_by_key_config_selectorIxxEEZZNS1_16scan_by_key_implILNS1_25lookback_scan_determinismE0ELb1ES3_N6thrust23THRUST_200600_302600_NS6detail15normal_iteratorINS9_10device_ptrIxEEEESE_SE_xNS9_4plusIxEE19head_flag_predicatexEE10hipError_tPvRmT2_T3_T4_T5_mT6_T7_P12ihipStream_tbENKUlT_T0_E_clISt17integral_constantIbLb0EESY_EEDaST_SU_EUlST_E_NS1_11comp_targetILNS1_3genE9ELNS1_11target_archE1100ELNS1_3gpuE3ELNS1_3repE0EEENS1_30default_config_static_selectorELNS0_4arch9wavefront6targetE1EEEvT1_
	.globl	_ZN7rocprim17ROCPRIM_400000_NS6detail17trampoline_kernelINS0_14default_configENS1_27scan_by_key_config_selectorIxxEEZZNS1_16scan_by_key_implILNS1_25lookback_scan_determinismE0ELb1ES3_N6thrust23THRUST_200600_302600_NS6detail15normal_iteratorINS9_10device_ptrIxEEEESE_SE_xNS9_4plusIxEE19head_flag_predicatexEE10hipError_tPvRmT2_T3_T4_T5_mT6_T7_P12ihipStream_tbENKUlT_T0_E_clISt17integral_constantIbLb0EESY_EEDaST_SU_EUlST_E_NS1_11comp_targetILNS1_3genE9ELNS1_11target_archE1100ELNS1_3gpuE3ELNS1_3repE0EEENS1_30default_config_static_selectorELNS0_4arch9wavefront6targetE1EEEvT1_
	.p2align	8
	.type	_ZN7rocprim17ROCPRIM_400000_NS6detail17trampoline_kernelINS0_14default_configENS1_27scan_by_key_config_selectorIxxEEZZNS1_16scan_by_key_implILNS1_25lookback_scan_determinismE0ELb1ES3_N6thrust23THRUST_200600_302600_NS6detail15normal_iteratorINS9_10device_ptrIxEEEESE_SE_xNS9_4plusIxEE19head_flag_predicatexEE10hipError_tPvRmT2_T3_T4_T5_mT6_T7_P12ihipStream_tbENKUlT_T0_E_clISt17integral_constantIbLb0EESY_EEDaST_SU_EUlST_E_NS1_11comp_targetILNS1_3genE9ELNS1_11target_archE1100ELNS1_3gpuE3ELNS1_3repE0EEENS1_30default_config_static_selectorELNS0_4arch9wavefront6targetE1EEEvT1_,@function
_ZN7rocprim17ROCPRIM_400000_NS6detail17trampoline_kernelINS0_14default_configENS1_27scan_by_key_config_selectorIxxEEZZNS1_16scan_by_key_implILNS1_25lookback_scan_determinismE0ELb1ES3_N6thrust23THRUST_200600_302600_NS6detail15normal_iteratorINS9_10device_ptrIxEEEESE_SE_xNS9_4plusIxEE19head_flag_predicatexEE10hipError_tPvRmT2_T3_T4_T5_mT6_T7_P12ihipStream_tbENKUlT_T0_E_clISt17integral_constantIbLb0EESY_EEDaST_SU_EUlST_E_NS1_11comp_targetILNS1_3genE9ELNS1_11target_archE1100ELNS1_3gpuE3ELNS1_3repE0EEENS1_30default_config_static_selectorELNS0_4arch9wavefront6targetE1EEEvT1_: ; @_ZN7rocprim17ROCPRIM_400000_NS6detail17trampoline_kernelINS0_14default_configENS1_27scan_by_key_config_selectorIxxEEZZNS1_16scan_by_key_implILNS1_25lookback_scan_determinismE0ELb1ES3_N6thrust23THRUST_200600_302600_NS6detail15normal_iteratorINS9_10device_ptrIxEEEESE_SE_xNS9_4plusIxEE19head_flag_predicatexEE10hipError_tPvRmT2_T3_T4_T5_mT6_T7_P12ihipStream_tbENKUlT_T0_E_clISt17integral_constantIbLb0EESY_EEDaST_SU_EUlST_E_NS1_11comp_targetILNS1_3genE9ELNS1_11target_archE1100ELNS1_3gpuE3ELNS1_3repE0EEENS1_30default_config_static_selectorELNS0_4arch9wavefront6targetE1EEEvT1_
; %bb.0:
	.section	.rodata,"a",@progbits
	.p2align	6, 0x0
	.amdhsa_kernel _ZN7rocprim17ROCPRIM_400000_NS6detail17trampoline_kernelINS0_14default_configENS1_27scan_by_key_config_selectorIxxEEZZNS1_16scan_by_key_implILNS1_25lookback_scan_determinismE0ELb1ES3_N6thrust23THRUST_200600_302600_NS6detail15normal_iteratorINS9_10device_ptrIxEEEESE_SE_xNS9_4plusIxEE19head_flag_predicatexEE10hipError_tPvRmT2_T3_T4_T5_mT6_T7_P12ihipStream_tbENKUlT_T0_E_clISt17integral_constantIbLb0EESY_EEDaST_SU_EUlST_E_NS1_11comp_targetILNS1_3genE9ELNS1_11target_archE1100ELNS1_3gpuE3ELNS1_3repE0EEENS1_30default_config_static_selectorELNS0_4arch9wavefront6targetE1EEEvT1_
		.amdhsa_group_segment_fixed_size 0
		.amdhsa_private_segment_fixed_size 0
		.amdhsa_kernarg_size 136
		.amdhsa_user_sgpr_count 6
		.amdhsa_user_sgpr_private_segment_buffer 1
		.amdhsa_user_sgpr_dispatch_ptr 0
		.amdhsa_user_sgpr_queue_ptr 0
		.amdhsa_user_sgpr_kernarg_segment_ptr 1
		.amdhsa_user_sgpr_dispatch_id 0
		.amdhsa_user_sgpr_flat_scratch_init 0
		.amdhsa_user_sgpr_kernarg_preload_length 0
		.amdhsa_user_sgpr_kernarg_preload_offset 0
		.amdhsa_user_sgpr_private_segment_size 0
		.amdhsa_uses_dynamic_stack 0
		.amdhsa_system_sgpr_private_segment_wavefront_offset 0
		.amdhsa_system_sgpr_workgroup_id_x 1
		.amdhsa_system_sgpr_workgroup_id_y 0
		.amdhsa_system_sgpr_workgroup_id_z 0
		.amdhsa_system_sgpr_workgroup_info 0
		.amdhsa_system_vgpr_workitem_id 0
		.amdhsa_next_free_vgpr 1
		.amdhsa_next_free_sgpr 0
		.amdhsa_accum_offset 4
		.amdhsa_reserve_vcc 0
		.amdhsa_reserve_flat_scratch 0
		.amdhsa_float_round_mode_32 0
		.amdhsa_float_round_mode_16_64 0
		.amdhsa_float_denorm_mode_32 3
		.amdhsa_float_denorm_mode_16_64 3
		.amdhsa_dx10_clamp 1
		.amdhsa_ieee_mode 1
		.amdhsa_fp16_overflow 0
		.amdhsa_tg_split 0
		.amdhsa_exception_fp_ieee_invalid_op 0
		.amdhsa_exception_fp_denorm_src 0
		.amdhsa_exception_fp_ieee_div_zero 0
		.amdhsa_exception_fp_ieee_overflow 0
		.amdhsa_exception_fp_ieee_underflow 0
		.amdhsa_exception_fp_ieee_inexact 0
		.amdhsa_exception_int_div_zero 0
	.end_amdhsa_kernel
	.section	.text._ZN7rocprim17ROCPRIM_400000_NS6detail17trampoline_kernelINS0_14default_configENS1_27scan_by_key_config_selectorIxxEEZZNS1_16scan_by_key_implILNS1_25lookback_scan_determinismE0ELb1ES3_N6thrust23THRUST_200600_302600_NS6detail15normal_iteratorINS9_10device_ptrIxEEEESE_SE_xNS9_4plusIxEE19head_flag_predicatexEE10hipError_tPvRmT2_T3_T4_T5_mT6_T7_P12ihipStream_tbENKUlT_T0_E_clISt17integral_constantIbLb0EESY_EEDaST_SU_EUlST_E_NS1_11comp_targetILNS1_3genE9ELNS1_11target_archE1100ELNS1_3gpuE3ELNS1_3repE0EEENS1_30default_config_static_selectorELNS0_4arch9wavefront6targetE1EEEvT1_,"axG",@progbits,_ZN7rocprim17ROCPRIM_400000_NS6detail17trampoline_kernelINS0_14default_configENS1_27scan_by_key_config_selectorIxxEEZZNS1_16scan_by_key_implILNS1_25lookback_scan_determinismE0ELb1ES3_N6thrust23THRUST_200600_302600_NS6detail15normal_iteratorINS9_10device_ptrIxEEEESE_SE_xNS9_4plusIxEE19head_flag_predicatexEE10hipError_tPvRmT2_T3_T4_T5_mT6_T7_P12ihipStream_tbENKUlT_T0_E_clISt17integral_constantIbLb0EESY_EEDaST_SU_EUlST_E_NS1_11comp_targetILNS1_3genE9ELNS1_11target_archE1100ELNS1_3gpuE3ELNS1_3repE0EEENS1_30default_config_static_selectorELNS0_4arch9wavefront6targetE1EEEvT1_,comdat
.Lfunc_end720:
	.size	_ZN7rocprim17ROCPRIM_400000_NS6detail17trampoline_kernelINS0_14default_configENS1_27scan_by_key_config_selectorIxxEEZZNS1_16scan_by_key_implILNS1_25lookback_scan_determinismE0ELb1ES3_N6thrust23THRUST_200600_302600_NS6detail15normal_iteratorINS9_10device_ptrIxEEEESE_SE_xNS9_4plusIxEE19head_flag_predicatexEE10hipError_tPvRmT2_T3_T4_T5_mT6_T7_P12ihipStream_tbENKUlT_T0_E_clISt17integral_constantIbLb0EESY_EEDaST_SU_EUlST_E_NS1_11comp_targetILNS1_3genE9ELNS1_11target_archE1100ELNS1_3gpuE3ELNS1_3repE0EEENS1_30default_config_static_selectorELNS0_4arch9wavefront6targetE1EEEvT1_, .Lfunc_end720-_ZN7rocprim17ROCPRIM_400000_NS6detail17trampoline_kernelINS0_14default_configENS1_27scan_by_key_config_selectorIxxEEZZNS1_16scan_by_key_implILNS1_25lookback_scan_determinismE0ELb1ES3_N6thrust23THRUST_200600_302600_NS6detail15normal_iteratorINS9_10device_ptrIxEEEESE_SE_xNS9_4plusIxEE19head_flag_predicatexEE10hipError_tPvRmT2_T3_T4_T5_mT6_T7_P12ihipStream_tbENKUlT_T0_E_clISt17integral_constantIbLb0EESY_EEDaST_SU_EUlST_E_NS1_11comp_targetILNS1_3genE9ELNS1_11target_archE1100ELNS1_3gpuE3ELNS1_3repE0EEENS1_30default_config_static_selectorELNS0_4arch9wavefront6targetE1EEEvT1_
                                        ; -- End function
	.section	.AMDGPU.csdata,"",@progbits
; Kernel info:
; codeLenInByte = 0
; NumSgprs: 4
; NumVgprs: 0
; NumAgprs: 0
; TotalNumVgprs: 0
; ScratchSize: 0
; MemoryBound: 0
; FloatMode: 240
; IeeeMode: 1
; LDSByteSize: 0 bytes/workgroup (compile time only)
; SGPRBlocks: 0
; VGPRBlocks: 0
; NumSGPRsForWavesPerEU: 4
; NumVGPRsForWavesPerEU: 1
; AccumOffset: 4
; Occupancy: 8
; WaveLimiterHint : 0
; COMPUTE_PGM_RSRC2:SCRATCH_EN: 0
; COMPUTE_PGM_RSRC2:USER_SGPR: 6
; COMPUTE_PGM_RSRC2:TRAP_HANDLER: 0
; COMPUTE_PGM_RSRC2:TGID_X_EN: 1
; COMPUTE_PGM_RSRC2:TGID_Y_EN: 0
; COMPUTE_PGM_RSRC2:TGID_Z_EN: 0
; COMPUTE_PGM_RSRC2:TIDIG_COMP_CNT: 0
; COMPUTE_PGM_RSRC3_GFX90A:ACCUM_OFFSET: 0
; COMPUTE_PGM_RSRC3_GFX90A:TG_SPLIT: 0
	.section	.text._ZN7rocprim17ROCPRIM_400000_NS6detail17trampoline_kernelINS0_14default_configENS1_27scan_by_key_config_selectorIxxEEZZNS1_16scan_by_key_implILNS1_25lookback_scan_determinismE0ELb1ES3_N6thrust23THRUST_200600_302600_NS6detail15normal_iteratorINS9_10device_ptrIxEEEESE_SE_xNS9_4plusIxEE19head_flag_predicatexEE10hipError_tPvRmT2_T3_T4_T5_mT6_T7_P12ihipStream_tbENKUlT_T0_E_clISt17integral_constantIbLb0EESY_EEDaST_SU_EUlST_E_NS1_11comp_targetILNS1_3genE8ELNS1_11target_archE1030ELNS1_3gpuE2ELNS1_3repE0EEENS1_30default_config_static_selectorELNS0_4arch9wavefront6targetE1EEEvT1_,"axG",@progbits,_ZN7rocprim17ROCPRIM_400000_NS6detail17trampoline_kernelINS0_14default_configENS1_27scan_by_key_config_selectorIxxEEZZNS1_16scan_by_key_implILNS1_25lookback_scan_determinismE0ELb1ES3_N6thrust23THRUST_200600_302600_NS6detail15normal_iteratorINS9_10device_ptrIxEEEESE_SE_xNS9_4plusIxEE19head_flag_predicatexEE10hipError_tPvRmT2_T3_T4_T5_mT6_T7_P12ihipStream_tbENKUlT_T0_E_clISt17integral_constantIbLb0EESY_EEDaST_SU_EUlST_E_NS1_11comp_targetILNS1_3genE8ELNS1_11target_archE1030ELNS1_3gpuE2ELNS1_3repE0EEENS1_30default_config_static_selectorELNS0_4arch9wavefront6targetE1EEEvT1_,comdat
	.protected	_ZN7rocprim17ROCPRIM_400000_NS6detail17trampoline_kernelINS0_14default_configENS1_27scan_by_key_config_selectorIxxEEZZNS1_16scan_by_key_implILNS1_25lookback_scan_determinismE0ELb1ES3_N6thrust23THRUST_200600_302600_NS6detail15normal_iteratorINS9_10device_ptrIxEEEESE_SE_xNS9_4plusIxEE19head_flag_predicatexEE10hipError_tPvRmT2_T3_T4_T5_mT6_T7_P12ihipStream_tbENKUlT_T0_E_clISt17integral_constantIbLb0EESY_EEDaST_SU_EUlST_E_NS1_11comp_targetILNS1_3genE8ELNS1_11target_archE1030ELNS1_3gpuE2ELNS1_3repE0EEENS1_30default_config_static_selectorELNS0_4arch9wavefront6targetE1EEEvT1_ ; -- Begin function _ZN7rocprim17ROCPRIM_400000_NS6detail17trampoline_kernelINS0_14default_configENS1_27scan_by_key_config_selectorIxxEEZZNS1_16scan_by_key_implILNS1_25lookback_scan_determinismE0ELb1ES3_N6thrust23THRUST_200600_302600_NS6detail15normal_iteratorINS9_10device_ptrIxEEEESE_SE_xNS9_4plusIxEE19head_flag_predicatexEE10hipError_tPvRmT2_T3_T4_T5_mT6_T7_P12ihipStream_tbENKUlT_T0_E_clISt17integral_constantIbLb0EESY_EEDaST_SU_EUlST_E_NS1_11comp_targetILNS1_3genE8ELNS1_11target_archE1030ELNS1_3gpuE2ELNS1_3repE0EEENS1_30default_config_static_selectorELNS0_4arch9wavefront6targetE1EEEvT1_
	.globl	_ZN7rocprim17ROCPRIM_400000_NS6detail17trampoline_kernelINS0_14default_configENS1_27scan_by_key_config_selectorIxxEEZZNS1_16scan_by_key_implILNS1_25lookback_scan_determinismE0ELb1ES3_N6thrust23THRUST_200600_302600_NS6detail15normal_iteratorINS9_10device_ptrIxEEEESE_SE_xNS9_4plusIxEE19head_flag_predicatexEE10hipError_tPvRmT2_T3_T4_T5_mT6_T7_P12ihipStream_tbENKUlT_T0_E_clISt17integral_constantIbLb0EESY_EEDaST_SU_EUlST_E_NS1_11comp_targetILNS1_3genE8ELNS1_11target_archE1030ELNS1_3gpuE2ELNS1_3repE0EEENS1_30default_config_static_selectorELNS0_4arch9wavefront6targetE1EEEvT1_
	.p2align	8
	.type	_ZN7rocprim17ROCPRIM_400000_NS6detail17trampoline_kernelINS0_14default_configENS1_27scan_by_key_config_selectorIxxEEZZNS1_16scan_by_key_implILNS1_25lookback_scan_determinismE0ELb1ES3_N6thrust23THRUST_200600_302600_NS6detail15normal_iteratorINS9_10device_ptrIxEEEESE_SE_xNS9_4plusIxEE19head_flag_predicatexEE10hipError_tPvRmT2_T3_T4_T5_mT6_T7_P12ihipStream_tbENKUlT_T0_E_clISt17integral_constantIbLb0EESY_EEDaST_SU_EUlST_E_NS1_11comp_targetILNS1_3genE8ELNS1_11target_archE1030ELNS1_3gpuE2ELNS1_3repE0EEENS1_30default_config_static_selectorELNS0_4arch9wavefront6targetE1EEEvT1_,@function
_ZN7rocprim17ROCPRIM_400000_NS6detail17trampoline_kernelINS0_14default_configENS1_27scan_by_key_config_selectorIxxEEZZNS1_16scan_by_key_implILNS1_25lookback_scan_determinismE0ELb1ES3_N6thrust23THRUST_200600_302600_NS6detail15normal_iteratorINS9_10device_ptrIxEEEESE_SE_xNS9_4plusIxEE19head_flag_predicatexEE10hipError_tPvRmT2_T3_T4_T5_mT6_T7_P12ihipStream_tbENKUlT_T0_E_clISt17integral_constantIbLb0EESY_EEDaST_SU_EUlST_E_NS1_11comp_targetILNS1_3genE8ELNS1_11target_archE1030ELNS1_3gpuE2ELNS1_3repE0EEENS1_30default_config_static_selectorELNS0_4arch9wavefront6targetE1EEEvT1_: ; @_ZN7rocprim17ROCPRIM_400000_NS6detail17trampoline_kernelINS0_14default_configENS1_27scan_by_key_config_selectorIxxEEZZNS1_16scan_by_key_implILNS1_25lookback_scan_determinismE0ELb1ES3_N6thrust23THRUST_200600_302600_NS6detail15normal_iteratorINS9_10device_ptrIxEEEESE_SE_xNS9_4plusIxEE19head_flag_predicatexEE10hipError_tPvRmT2_T3_T4_T5_mT6_T7_P12ihipStream_tbENKUlT_T0_E_clISt17integral_constantIbLb0EESY_EEDaST_SU_EUlST_E_NS1_11comp_targetILNS1_3genE8ELNS1_11target_archE1030ELNS1_3gpuE2ELNS1_3repE0EEENS1_30default_config_static_selectorELNS0_4arch9wavefront6targetE1EEEvT1_
; %bb.0:
	.section	.rodata,"a",@progbits
	.p2align	6, 0x0
	.amdhsa_kernel _ZN7rocprim17ROCPRIM_400000_NS6detail17trampoline_kernelINS0_14default_configENS1_27scan_by_key_config_selectorIxxEEZZNS1_16scan_by_key_implILNS1_25lookback_scan_determinismE0ELb1ES3_N6thrust23THRUST_200600_302600_NS6detail15normal_iteratorINS9_10device_ptrIxEEEESE_SE_xNS9_4plusIxEE19head_flag_predicatexEE10hipError_tPvRmT2_T3_T4_T5_mT6_T7_P12ihipStream_tbENKUlT_T0_E_clISt17integral_constantIbLb0EESY_EEDaST_SU_EUlST_E_NS1_11comp_targetILNS1_3genE8ELNS1_11target_archE1030ELNS1_3gpuE2ELNS1_3repE0EEENS1_30default_config_static_selectorELNS0_4arch9wavefront6targetE1EEEvT1_
		.amdhsa_group_segment_fixed_size 0
		.amdhsa_private_segment_fixed_size 0
		.amdhsa_kernarg_size 136
		.amdhsa_user_sgpr_count 6
		.amdhsa_user_sgpr_private_segment_buffer 1
		.amdhsa_user_sgpr_dispatch_ptr 0
		.amdhsa_user_sgpr_queue_ptr 0
		.amdhsa_user_sgpr_kernarg_segment_ptr 1
		.amdhsa_user_sgpr_dispatch_id 0
		.amdhsa_user_sgpr_flat_scratch_init 0
		.amdhsa_user_sgpr_kernarg_preload_length 0
		.amdhsa_user_sgpr_kernarg_preload_offset 0
		.amdhsa_user_sgpr_private_segment_size 0
		.amdhsa_uses_dynamic_stack 0
		.amdhsa_system_sgpr_private_segment_wavefront_offset 0
		.amdhsa_system_sgpr_workgroup_id_x 1
		.amdhsa_system_sgpr_workgroup_id_y 0
		.amdhsa_system_sgpr_workgroup_id_z 0
		.amdhsa_system_sgpr_workgroup_info 0
		.amdhsa_system_vgpr_workitem_id 0
		.amdhsa_next_free_vgpr 1
		.amdhsa_next_free_sgpr 0
		.amdhsa_accum_offset 4
		.amdhsa_reserve_vcc 0
		.amdhsa_reserve_flat_scratch 0
		.amdhsa_float_round_mode_32 0
		.amdhsa_float_round_mode_16_64 0
		.amdhsa_float_denorm_mode_32 3
		.amdhsa_float_denorm_mode_16_64 3
		.amdhsa_dx10_clamp 1
		.amdhsa_ieee_mode 1
		.amdhsa_fp16_overflow 0
		.amdhsa_tg_split 0
		.amdhsa_exception_fp_ieee_invalid_op 0
		.amdhsa_exception_fp_denorm_src 0
		.amdhsa_exception_fp_ieee_div_zero 0
		.amdhsa_exception_fp_ieee_overflow 0
		.amdhsa_exception_fp_ieee_underflow 0
		.amdhsa_exception_fp_ieee_inexact 0
		.amdhsa_exception_int_div_zero 0
	.end_amdhsa_kernel
	.section	.text._ZN7rocprim17ROCPRIM_400000_NS6detail17trampoline_kernelINS0_14default_configENS1_27scan_by_key_config_selectorIxxEEZZNS1_16scan_by_key_implILNS1_25lookback_scan_determinismE0ELb1ES3_N6thrust23THRUST_200600_302600_NS6detail15normal_iteratorINS9_10device_ptrIxEEEESE_SE_xNS9_4plusIxEE19head_flag_predicatexEE10hipError_tPvRmT2_T3_T4_T5_mT6_T7_P12ihipStream_tbENKUlT_T0_E_clISt17integral_constantIbLb0EESY_EEDaST_SU_EUlST_E_NS1_11comp_targetILNS1_3genE8ELNS1_11target_archE1030ELNS1_3gpuE2ELNS1_3repE0EEENS1_30default_config_static_selectorELNS0_4arch9wavefront6targetE1EEEvT1_,"axG",@progbits,_ZN7rocprim17ROCPRIM_400000_NS6detail17trampoline_kernelINS0_14default_configENS1_27scan_by_key_config_selectorIxxEEZZNS1_16scan_by_key_implILNS1_25lookback_scan_determinismE0ELb1ES3_N6thrust23THRUST_200600_302600_NS6detail15normal_iteratorINS9_10device_ptrIxEEEESE_SE_xNS9_4plusIxEE19head_flag_predicatexEE10hipError_tPvRmT2_T3_T4_T5_mT6_T7_P12ihipStream_tbENKUlT_T0_E_clISt17integral_constantIbLb0EESY_EEDaST_SU_EUlST_E_NS1_11comp_targetILNS1_3genE8ELNS1_11target_archE1030ELNS1_3gpuE2ELNS1_3repE0EEENS1_30default_config_static_selectorELNS0_4arch9wavefront6targetE1EEEvT1_,comdat
.Lfunc_end721:
	.size	_ZN7rocprim17ROCPRIM_400000_NS6detail17trampoline_kernelINS0_14default_configENS1_27scan_by_key_config_selectorIxxEEZZNS1_16scan_by_key_implILNS1_25lookback_scan_determinismE0ELb1ES3_N6thrust23THRUST_200600_302600_NS6detail15normal_iteratorINS9_10device_ptrIxEEEESE_SE_xNS9_4plusIxEE19head_flag_predicatexEE10hipError_tPvRmT2_T3_T4_T5_mT6_T7_P12ihipStream_tbENKUlT_T0_E_clISt17integral_constantIbLb0EESY_EEDaST_SU_EUlST_E_NS1_11comp_targetILNS1_3genE8ELNS1_11target_archE1030ELNS1_3gpuE2ELNS1_3repE0EEENS1_30default_config_static_selectorELNS0_4arch9wavefront6targetE1EEEvT1_, .Lfunc_end721-_ZN7rocprim17ROCPRIM_400000_NS6detail17trampoline_kernelINS0_14default_configENS1_27scan_by_key_config_selectorIxxEEZZNS1_16scan_by_key_implILNS1_25lookback_scan_determinismE0ELb1ES3_N6thrust23THRUST_200600_302600_NS6detail15normal_iteratorINS9_10device_ptrIxEEEESE_SE_xNS9_4plusIxEE19head_flag_predicatexEE10hipError_tPvRmT2_T3_T4_T5_mT6_T7_P12ihipStream_tbENKUlT_T0_E_clISt17integral_constantIbLb0EESY_EEDaST_SU_EUlST_E_NS1_11comp_targetILNS1_3genE8ELNS1_11target_archE1030ELNS1_3gpuE2ELNS1_3repE0EEENS1_30default_config_static_selectorELNS0_4arch9wavefront6targetE1EEEvT1_
                                        ; -- End function
	.section	.AMDGPU.csdata,"",@progbits
; Kernel info:
; codeLenInByte = 0
; NumSgprs: 4
; NumVgprs: 0
; NumAgprs: 0
; TotalNumVgprs: 0
; ScratchSize: 0
; MemoryBound: 0
; FloatMode: 240
; IeeeMode: 1
; LDSByteSize: 0 bytes/workgroup (compile time only)
; SGPRBlocks: 0
; VGPRBlocks: 0
; NumSGPRsForWavesPerEU: 4
; NumVGPRsForWavesPerEU: 1
; AccumOffset: 4
; Occupancy: 8
; WaveLimiterHint : 0
; COMPUTE_PGM_RSRC2:SCRATCH_EN: 0
; COMPUTE_PGM_RSRC2:USER_SGPR: 6
; COMPUTE_PGM_RSRC2:TRAP_HANDLER: 0
; COMPUTE_PGM_RSRC2:TGID_X_EN: 1
; COMPUTE_PGM_RSRC2:TGID_Y_EN: 0
; COMPUTE_PGM_RSRC2:TGID_Z_EN: 0
; COMPUTE_PGM_RSRC2:TIDIG_COMP_CNT: 0
; COMPUTE_PGM_RSRC3_GFX90A:ACCUM_OFFSET: 0
; COMPUTE_PGM_RSRC3_GFX90A:TG_SPLIT: 0
	.section	.text._ZN7rocprim17ROCPRIM_400000_NS6detail17trampoline_kernelINS0_14default_configENS1_27scan_by_key_config_selectorIxxEEZZNS1_16scan_by_key_implILNS1_25lookback_scan_determinismE0ELb1ES3_N6thrust23THRUST_200600_302600_NS6detail15normal_iteratorINS9_10device_ptrIxEEEESE_SE_xNS9_4plusIxEE19head_flag_predicatexEE10hipError_tPvRmT2_T3_T4_T5_mT6_T7_P12ihipStream_tbENKUlT_T0_E_clISt17integral_constantIbLb1EESY_EEDaST_SU_EUlST_E_NS1_11comp_targetILNS1_3genE0ELNS1_11target_archE4294967295ELNS1_3gpuE0ELNS1_3repE0EEENS1_30default_config_static_selectorELNS0_4arch9wavefront6targetE1EEEvT1_,"axG",@progbits,_ZN7rocprim17ROCPRIM_400000_NS6detail17trampoline_kernelINS0_14default_configENS1_27scan_by_key_config_selectorIxxEEZZNS1_16scan_by_key_implILNS1_25lookback_scan_determinismE0ELb1ES3_N6thrust23THRUST_200600_302600_NS6detail15normal_iteratorINS9_10device_ptrIxEEEESE_SE_xNS9_4plusIxEE19head_flag_predicatexEE10hipError_tPvRmT2_T3_T4_T5_mT6_T7_P12ihipStream_tbENKUlT_T0_E_clISt17integral_constantIbLb1EESY_EEDaST_SU_EUlST_E_NS1_11comp_targetILNS1_3genE0ELNS1_11target_archE4294967295ELNS1_3gpuE0ELNS1_3repE0EEENS1_30default_config_static_selectorELNS0_4arch9wavefront6targetE1EEEvT1_,comdat
	.protected	_ZN7rocprim17ROCPRIM_400000_NS6detail17trampoline_kernelINS0_14default_configENS1_27scan_by_key_config_selectorIxxEEZZNS1_16scan_by_key_implILNS1_25lookback_scan_determinismE0ELb1ES3_N6thrust23THRUST_200600_302600_NS6detail15normal_iteratorINS9_10device_ptrIxEEEESE_SE_xNS9_4plusIxEE19head_flag_predicatexEE10hipError_tPvRmT2_T3_T4_T5_mT6_T7_P12ihipStream_tbENKUlT_T0_E_clISt17integral_constantIbLb1EESY_EEDaST_SU_EUlST_E_NS1_11comp_targetILNS1_3genE0ELNS1_11target_archE4294967295ELNS1_3gpuE0ELNS1_3repE0EEENS1_30default_config_static_selectorELNS0_4arch9wavefront6targetE1EEEvT1_ ; -- Begin function _ZN7rocprim17ROCPRIM_400000_NS6detail17trampoline_kernelINS0_14default_configENS1_27scan_by_key_config_selectorIxxEEZZNS1_16scan_by_key_implILNS1_25lookback_scan_determinismE0ELb1ES3_N6thrust23THRUST_200600_302600_NS6detail15normal_iteratorINS9_10device_ptrIxEEEESE_SE_xNS9_4plusIxEE19head_flag_predicatexEE10hipError_tPvRmT2_T3_T4_T5_mT6_T7_P12ihipStream_tbENKUlT_T0_E_clISt17integral_constantIbLb1EESY_EEDaST_SU_EUlST_E_NS1_11comp_targetILNS1_3genE0ELNS1_11target_archE4294967295ELNS1_3gpuE0ELNS1_3repE0EEENS1_30default_config_static_selectorELNS0_4arch9wavefront6targetE1EEEvT1_
	.globl	_ZN7rocprim17ROCPRIM_400000_NS6detail17trampoline_kernelINS0_14default_configENS1_27scan_by_key_config_selectorIxxEEZZNS1_16scan_by_key_implILNS1_25lookback_scan_determinismE0ELb1ES3_N6thrust23THRUST_200600_302600_NS6detail15normal_iteratorINS9_10device_ptrIxEEEESE_SE_xNS9_4plusIxEE19head_flag_predicatexEE10hipError_tPvRmT2_T3_T4_T5_mT6_T7_P12ihipStream_tbENKUlT_T0_E_clISt17integral_constantIbLb1EESY_EEDaST_SU_EUlST_E_NS1_11comp_targetILNS1_3genE0ELNS1_11target_archE4294967295ELNS1_3gpuE0ELNS1_3repE0EEENS1_30default_config_static_selectorELNS0_4arch9wavefront6targetE1EEEvT1_
	.p2align	8
	.type	_ZN7rocprim17ROCPRIM_400000_NS6detail17trampoline_kernelINS0_14default_configENS1_27scan_by_key_config_selectorIxxEEZZNS1_16scan_by_key_implILNS1_25lookback_scan_determinismE0ELb1ES3_N6thrust23THRUST_200600_302600_NS6detail15normal_iteratorINS9_10device_ptrIxEEEESE_SE_xNS9_4plusIxEE19head_flag_predicatexEE10hipError_tPvRmT2_T3_T4_T5_mT6_T7_P12ihipStream_tbENKUlT_T0_E_clISt17integral_constantIbLb1EESY_EEDaST_SU_EUlST_E_NS1_11comp_targetILNS1_3genE0ELNS1_11target_archE4294967295ELNS1_3gpuE0ELNS1_3repE0EEENS1_30default_config_static_selectorELNS0_4arch9wavefront6targetE1EEEvT1_,@function
_ZN7rocprim17ROCPRIM_400000_NS6detail17trampoline_kernelINS0_14default_configENS1_27scan_by_key_config_selectorIxxEEZZNS1_16scan_by_key_implILNS1_25lookback_scan_determinismE0ELb1ES3_N6thrust23THRUST_200600_302600_NS6detail15normal_iteratorINS9_10device_ptrIxEEEESE_SE_xNS9_4plusIxEE19head_flag_predicatexEE10hipError_tPvRmT2_T3_T4_T5_mT6_T7_P12ihipStream_tbENKUlT_T0_E_clISt17integral_constantIbLb1EESY_EEDaST_SU_EUlST_E_NS1_11comp_targetILNS1_3genE0ELNS1_11target_archE4294967295ELNS1_3gpuE0ELNS1_3repE0EEENS1_30default_config_static_selectorELNS0_4arch9wavefront6targetE1EEEvT1_: ; @_ZN7rocprim17ROCPRIM_400000_NS6detail17trampoline_kernelINS0_14default_configENS1_27scan_by_key_config_selectorIxxEEZZNS1_16scan_by_key_implILNS1_25lookback_scan_determinismE0ELb1ES3_N6thrust23THRUST_200600_302600_NS6detail15normal_iteratorINS9_10device_ptrIxEEEESE_SE_xNS9_4plusIxEE19head_flag_predicatexEE10hipError_tPvRmT2_T3_T4_T5_mT6_T7_P12ihipStream_tbENKUlT_T0_E_clISt17integral_constantIbLb1EESY_EEDaST_SU_EUlST_E_NS1_11comp_targetILNS1_3genE0ELNS1_11target_archE4294967295ELNS1_3gpuE0ELNS1_3repE0EEENS1_30default_config_static_selectorELNS0_4arch9wavefront6targetE1EEEvT1_
; %bb.0:
	.section	.rodata,"a",@progbits
	.p2align	6, 0x0
	.amdhsa_kernel _ZN7rocprim17ROCPRIM_400000_NS6detail17trampoline_kernelINS0_14default_configENS1_27scan_by_key_config_selectorIxxEEZZNS1_16scan_by_key_implILNS1_25lookback_scan_determinismE0ELb1ES3_N6thrust23THRUST_200600_302600_NS6detail15normal_iteratorINS9_10device_ptrIxEEEESE_SE_xNS9_4plusIxEE19head_flag_predicatexEE10hipError_tPvRmT2_T3_T4_T5_mT6_T7_P12ihipStream_tbENKUlT_T0_E_clISt17integral_constantIbLb1EESY_EEDaST_SU_EUlST_E_NS1_11comp_targetILNS1_3genE0ELNS1_11target_archE4294967295ELNS1_3gpuE0ELNS1_3repE0EEENS1_30default_config_static_selectorELNS0_4arch9wavefront6targetE1EEEvT1_
		.amdhsa_group_segment_fixed_size 0
		.amdhsa_private_segment_fixed_size 0
		.amdhsa_kernarg_size 136
		.amdhsa_user_sgpr_count 6
		.amdhsa_user_sgpr_private_segment_buffer 1
		.amdhsa_user_sgpr_dispatch_ptr 0
		.amdhsa_user_sgpr_queue_ptr 0
		.amdhsa_user_sgpr_kernarg_segment_ptr 1
		.amdhsa_user_sgpr_dispatch_id 0
		.amdhsa_user_sgpr_flat_scratch_init 0
		.amdhsa_user_sgpr_kernarg_preload_length 0
		.amdhsa_user_sgpr_kernarg_preload_offset 0
		.amdhsa_user_sgpr_private_segment_size 0
		.amdhsa_uses_dynamic_stack 0
		.amdhsa_system_sgpr_private_segment_wavefront_offset 0
		.amdhsa_system_sgpr_workgroup_id_x 1
		.amdhsa_system_sgpr_workgroup_id_y 0
		.amdhsa_system_sgpr_workgroup_id_z 0
		.amdhsa_system_sgpr_workgroup_info 0
		.amdhsa_system_vgpr_workitem_id 0
		.amdhsa_next_free_vgpr 1
		.amdhsa_next_free_sgpr 0
		.amdhsa_accum_offset 4
		.amdhsa_reserve_vcc 0
		.amdhsa_reserve_flat_scratch 0
		.amdhsa_float_round_mode_32 0
		.amdhsa_float_round_mode_16_64 0
		.amdhsa_float_denorm_mode_32 3
		.amdhsa_float_denorm_mode_16_64 3
		.amdhsa_dx10_clamp 1
		.amdhsa_ieee_mode 1
		.amdhsa_fp16_overflow 0
		.amdhsa_tg_split 0
		.amdhsa_exception_fp_ieee_invalid_op 0
		.amdhsa_exception_fp_denorm_src 0
		.amdhsa_exception_fp_ieee_div_zero 0
		.amdhsa_exception_fp_ieee_overflow 0
		.amdhsa_exception_fp_ieee_underflow 0
		.amdhsa_exception_fp_ieee_inexact 0
		.amdhsa_exception_int_div_zero 0
	.end_amdhsa_kernel
	.section	.text._ZN7rocprim17ROCPRIM_400000_NS6detail17trampoline_kernelINS0_14default_configENS1_27scan_by_key_config_selectorIxxEEZZNS1_16scan_by_key_implILNS1_25lookback_scan_determinismE0ELb1ES3_N6thrust23THRUST_200600_302600_NS6detail15normal_iteratorINS9_10device_ptrIxEEEESE_SE_xNS9_4plusIxEE19head_flag_predicatexEE10hipError_tPvRmT2_T3_T4_T5_mT6_T7_P12ihipStream_tbENKUlT_T0_E_clISt17integral_constantIbLb1EESY_EEDaST_SU_EUlST_E_NS1_11comp_targetILNS1_3genE0ELNS1_11target_archE4294967295ELNS1_3gpuE0ELNS1_3repE0EEENS1_30default_config_static_selectorELNS0_4arch9wavefront6targetE1EEEvT1_,"axG",@progbits,_ZN7rocprim17ROCPRIM_400000_NS6detail17trampoline_kernelINS0_14default_configENS1_27scan_by_key_config_selectorIxxEEZZNS1_16scan_by_key_implILNS1_25lookback_scan_determinismE0ELb1ES3_N6thrust23THRUST_200600_302600_NS6detail15normal_iteratorINS9_10device_ptrIxEEEESE_SE_xNS9_4plusIxEE19head_flag_predicatexEE10hipError_tPvRmT2_T3_T4_T5_mT6_T7_P12ihipStream_tbENKUlT_T0_E_clISt17integral_constantIbLb1EESY_EEDaST_SU_EUlST_E_NS1_11comp_targetILNS1_3genE0ELNS1_11target_archE4294967295ELNS1_3gpuE0ELNS1_3repE0EEENS1_30default_config_static_selectorELNS0_4arch9wavefront6targetE1EEEvT1_,comdat
.Lfunc_end722:
	.size	_ZN7rocprim17ROCPRIM_400000_NS6detail17trampoline_kernelINS0_14default_configENS1_27scan_by_key_config_selectorIxxEEZZNS1_16scan_by_key_implILNS1_25lookback_scan_determinismE0ELb1ES3_N6thrust23THRUST_200600_302600_NS6detail15normal_iteratorINS9_10device_ptrIxEEEESE_SE_xNS9_4plusIxEE19head_flag_predicatexEE10hipError_tPvRmT2_T3_T4_T5_mT6_T7_P12ihipStream_tbENKUlT_T0_E_clISt17integral_constantIbLb1EESY_EEDaST_SU_EUlST_E_NS1_11comp_targetILNS1_3genE0ELNS1_11target_archE4294967295ELNS1_3gpuE0ELNS1_3repE0EEENS1_30default_config_static_selectorELNS0_4arch9wavefront6targetE1EEEvT1_, .Lfunc_end722-_ZN7rocprim17ROCPRIM_400000_NS6detail17trampoline_kernelINS0_14default_configENS1_27scan_by_key_config_selectorIxxEEZZNS1_16scan_by_key_implILNS1_25lookback_scan_determinismE0ELb1ES3_N6thrust23THRUST_200600_302600_NS6detail15normal_iteratorINS9_10device_ptrIxEEEESE_SE_xNS9_4plusIxEE19head_flag_predicatexEE10hipError_tPvRmT2_T3_T4_T5_mT6_T7_P12ihipStream_tbENKUlT_T0_E_clISt17integral_constantIbLb1EESY_EEDaST_SU_EUlST_E_NS1_11comp_targetILNS1_3genE0ELNS1_11target_archE4294967295ELNS1_3gpuE0ELNS1_3repE0EEENS1_30default_config_static_selectorELNS0_4arch9wavefront6targetE1EEEvT1_
                                        ; -- End function
	.section	.AMDGPU.csdata,"",@progbits
; Kernel info:
; codeLenInByte = 0
; NumSgprs: 4
; NumVgprs: 0
; NumAgprs: 0
; TotalNumVgprs: 0
; ScratchSize: 0
; MemoryBound: 0
; FloatMode: 240
; IeeeMode: 1
; LDSByteSize: 0 bytes/workgroup (compile time only)
; SGPRBlocks: 0
; VGPRBlocks: 0
; NumSGPRsForWavesPerEU: 4
; NumVGPRsForWavesPerEU: 1
; AccumOffset: 4
; Occupancy: 8
; WaveLimiterHint : 0
; COMPUTE_PGM_RSRC2:SCRATCH_EN: 0
; COMPUTE_PGM_RSRC2:USER_SGPR: 6
; COMPUTE_PGM_RSRC2:TRAP_HANDLER: 0
; COMPUTE_PGM_RSRC2:TGID_X_EN: 1
; COMPUTE_PGM_RSRC2:TGID_Y_EN: 0
; COMPUTE_PGM_RSRC2:TGID_Z_EN: 0
; COMPUTE_PGM_RSRC2:TIDIG_COMP_CNT: 0
; COMPUTE_PGM_RSRC3_GFX90A:ACCUM_OFFSET: 0
; COMPUTE_PGM_RSRC3_GFX90A:TG_SPLIT: 0
	.section	.text._ZN7rocprim17ROCPRIM_400000_NS6detail17trampoline_kernelINS0_14default_configENS1_27scan_by_key_config_selectorIxxEEZZNS1_16scan_by_key_implILNS1_25lookback_scan_determinismE0ELb1ES3_N6thrust23THRUST_200600_302600_NS6detail15normal_iteratorINS9_10device_ptrIxEEEESE_SE_xNS9_4plusIxEE19head_flag_predicatexEE10hipError_tPvRmT2_T3_T4_T5_mT6_T7_P12ihipStream_tbENKUlT_T0_E_clISt17integral_constantIbLb1EESY_EEDaST_SU_EUlST_E_NS1_11comp_targetILNS1_3genE10ELNS1_11target_archE1201ELNS1_3gpuE5ELNS1_3repE0EEENS1_30default_config_static_selectorELNS0_4arch9wavefront6targetE1EEEvT1_,"axG",@progbits,_ZN7rocprim17ROCPRIM_400000_NS6detail17trampoline_kernelINS0_14default_configENS1_27scan_by_key_config_selectorIxxEEZZNS1_16scan_by_key_implILNS1_25lookback_scan_determinismE0ELb1ES3_N6thrust23THRUST_200600_302600_NS6detail15normal_iteratorINS9_10device_ptrIxEEEESE_SE_xNS9_4plusIxEE19head_flag_predicatexEE10hipError_tPvRmT2_T3_T4_T5_mT6_T7_P12ihipStream_tbENKUlT_T0_E_clISt17integral_constantIbLb1EESY_EEDaST_SU_EUlST_E_NS1_11comp_targetILNS1_3genE10ELNS1_11target_archE1201ELNS1_3gpuE5ELNS1_3repE0EEENS1_30default_config_static_selectorELNS0_4arch9wavefront6targetE1EEEvT1_,comdat
	.protected	_ZN7rocprim17ROCPRIM_400000_NS6detail17trampoline_kernelINS0_14default_configENS1_27scan_by_key_config_selectorIxxEEZZNS1_16scan_by_key_implILNS1_25lookback_scan_determinismE0ELb1ES3_N6thrust23THRUST_200600_302600_NS6detail15normal_iteratorINS9_10device_ptrIxEEEESE_SE_xNS9_4plusIxEE19head_flag_predicatexEE10hipError_tPvRmT2_T3_T4_T5_mT6_T7_P12ihipStream_tbENKUlT_T0_E_clISt17integral_constantIbLb1EESY_EEDaST_SU_EUlST_E_NS1_11comp_targetILNS1_3genE10ELNS1_11target_archE1201ELNS1_3gpuE5ELNS1_3repE0EEENS1_30default_config_static_selectorELNS0_4arch9wavefront6targetE1EEEvT1_ ; -- Begin function _ZN7rocprim17ROCPRIM_400000_NS6detail17trampoline_kernelINS0_14default_configENS1_27scan_by_key_config_selectorIxxEEZZNS1_16scan_by_key_implILNS1_25lookback_scan_determinismE0ELb1ES3_N6thrust23THRUST_200600_302600_NS6detail15normal_iteratorINS9_10device_ptrIxEEEESE_SE_xNS9_4plusIxEE19head_flag_predicatexEE10hipError_tPvRmT2_T3_T4_T5_mT6_T7_P12ihipStream_tbENKUlT_T0_E_clISt17integral_constantIbLb1EESY_EEDaST_SU_EUlST_E_NS1_11comp_targetILNS1_3genE10ELNS1_11target_archE1201ELNS1_3gpuE5ELNS1_3repE0EEENS1_30default_config_static_selectorELNS0_4arch9wavefront6targetE1EEEvT1_
	.globl	_ZN7rocprim17ROCPRIM_400000_NS6detail17trampoline_kernelINS0_14default_configENS1_27scan_by_key_config_selectorIxxEEZZNS1_16scan_by_key_implILNS1_25lookback_scan_determinismE0ELb1ES3_N6thrust23THRUST_200600_302600_NS6detail15normal_iteratorINS9_10device_ptrIxEEEESE_SE_xNS9_4plusIxEE19head_flag_predicatexEE10hipError_tPvRmT2_T3_T4_T5_mT6_T7_P12ihipStream_tbENKUlT_T0_E_clISt17integral_constantIbLb1EESY_EEDaST_SU_EUlST_E_NS1_11comp_targetILNS1_3genE10ELNS1_11target_archE1201ELNS1_3gpuE5ELNS1_3repE0EEENS1_30default_config_static_selectorELNS0_4arch9wavefront6targetE1EEEvT1_
	.p2align	8
	.type	_ZN7rocprim17ROCPRIM_400000_NS6detail17trampoline_kernelINS0_14default_configENS1_27scan_by_key_config_selectorIxxEEZZNS1_16scan_by_key_implILNS1_25lookback_scan_determinismE0ELb1ES3_N6thrust23THRUST_200600_302600_NS6detail15normal_iteratorINS9_10device_ptrIxEEEESE_SE_xNS9_4plusIxEE19head_flag_predicatexEE10hipError_tPvRmT2_T3_T4_T5_mT6_T7_P12ihipStream_tbENKUlT_T0_E_clISt17integral_constantIbLb1EESY_EEDaST_SU_EUlST_E_NS1_11comp_targetILNS1_3genE10ELNS1_11target_archE1201ELNS1_3gpuE5ELNS1_3repE0EEENS1_30default_config_static_selectorELNS0_4arch9wavefront6targetE1EEEvT1_,@function
_ZN7rocprim17ROCPRIM_400000_NS6detail17trampoline_kernelINS0_14default_configENS1_27scan_by_key_config_selectorIxxEEZZNS1_16scan_by_key_implILNS1_25lookback_scan_determinismE0ELb1ES3_N6thrust23THRUST_200600_302600_NS6detail15normal_iteratorINS9_10device_ptrIxEEEESE_SE_xNS9_4plusIxEE19head_flag_predicatexEE10hipError_tPvRmT2_T3_T4_T5_mT6_T7_P12ihipStream_tbENKUlT_T0_E_clISt17integral_constantIbLb1EESY_EEDaST_SU_EUlST_E_NS1_11comp_targetILNS1_3genE10ELNS1_11target_archE1201ELNS1_3gpuE5ELNS1_3repE0EEENS1_30default_config_static_selectorELNS0_4arch9wavefront6targetE1EEEvT1_: ; @_ZN7rocprim17ROCPRIM_400000_NS6detail17trampoline_kernelINS0_14default_configENS1_27scan_by_key_config_selectorIxxEEZZNS1_16scan_by_key_implILNS1_25lookback_scan_determinismE0ELb1ES3_N6thrust23THRUST_200600_302600_NS6detail15normal_iteratorINS9_10device_ptrIxEEEESE_SE_xNS9_4plusIxEE19head_flag_predicatexEE10hipError_tPvRmT2_T3_T4_T5_mT6_T7_P12ihipStream_tbENKUlT_T0_E_clISt17integral_constantIbLb1EESY_EEDaST_SU_EUlST_E_NS1_11comp_targetILNS1_3genE10ELNS1_11target_archE1201ELNS1_3gpuE5ELNS1_3repE0EEENS1_30default_config_static_selectorELNS0_4arch9wavefront6targetE1EEEvT1_
; %bb.0:
	.section	.rodata,"a",@progbits
	.p2align	6, 0x0
	.amdhsa_kernel _ZN7rocprim17ROCPRIM_400000_NS6detail17trampoline_kernelINS0_14default_configENS1_27scan_by_key_config_selectorIxxEEZZNS1_16scan_by_key_implILNS1_25lookback_scan_determinismE0ELb1ES3_N6thrust23THRUST_200600_302600_NS6detail15normal_iteratorINS9_10device_ptrIxEEEESE_SE_xNS9_4plusIxEE19head_flag_predicatexEE10hipError_tPvRmT2_T3_T4_T5_mT6_T7_P12ihipStream_tbENKUlT_T0_E_clISt17integral_constantIbLb1EESY_EEDaST_SU_EUlST_E_NS1_11comp_targetILNS1_3genE10ELNS1_11target_archE1201ELNS1_3gpuE5ELNS1_3repE0EEENS1_30default_config_static_selectorELNS0_4arch9wavefront6targetE1EEEvT1_
		.amdhsa_group_segment_fixed_size 0
		.amdhsa_private_segment_fixed_size 0
		.amdhsa_kernarg_size 136
		.amdhsa_user_sgpr_count 6
		.amdhsa_user_sgpr_private_segment_buffer 1
		.amdhsa_user_sgpr_dispatch_ptr 0
		.amdhsa_user_sgpr_queue_ptr 0
		.amdhsa_user_sgpr_kernarg_segment_ptr 1
		.amdhsa_user_sgpr_dispatch_id 0
		.amdhsa_user_sgpr_flat_scratch_init 0
		.amdhsa_user_sgpr_kernarg_preload_length 0
		.amdhsa_user_sgpr_kernarg_preload_offset 0
		.amdhsa_user_sgpr_private_segment_size 0
		.amdhsa_uses_dynamic_stack 0
		.amdhsa_system_sgpr_private_segment_wavefront_offset 0
		.amdhsa_system_sgpr_workgroup_id_x 1
		.amdhsa_system_sgpr_workgroup_id_y 0
		.amdhsa_system_sgpr_workgroup_id_z 0
		.amdhsa_system_sgpr_workgroup_info 0
		.amdhsa_system_vgpr_workitem_id 0
		.amdhsa_next_free_vgpr 1
		.amdhsa_next_free_sgpr 0
		.amdhsa_accum_offset 4
		.amdhsa_reserve_vcc 0
		.amdhsa_reserve_flat_scratch 0
		.amdhsa_float_round_mode_32 0
		.amdhsa_float_round_mode_16_64 0
		.amdhsa_float_denorm_mode_32 3
		.amdhsa_float_denorm_mode_16_64 3
		.amdhsa_dx10_clamp 1
		.amdhsa_ieee_mode 1
		.amdhsa_fp16_overflow 0
		.amdhsa_tg_split 0
		.amdhsa_exception_fp_ieee_invalid_op 0
		.amdhsa_exception_fp_denorm_src 0
		.amdhsa_exception_fp_ieee_div_zero 0
		.amdhsa_exception_fp_ieee_overflow 0
		.amdhsa_exception_fp_ieee_underflow 0
		.amdhsa_exception_fp_ieee_inexact 0
		.amdhsa_exception_int_div_zero 0
	.end_amdhsa_kernel
	.section	.text._ZN7rocprim17ROCPRIM_400000_NS6detail17trampoline_kernelINS0_14default_configENS1_27scan_by_key_config_selectorIxxEEZZNS1_16scan_by_key_implILNS1_25lookback_scan_determinismE0ELb1ES3_N6thrust23THRUST_200600_302600_NS6detail15normal_iteratorINS9_10device_ptrIxEEEESE_SE_xNS9_4plusIxEE19head_flag_predicatexEE10hipError_tPvRmT2_T3_T4_T5_mT6_T7_P12ihipStream_tbENKUlT_T0_E_clISt17integral_constantIbLb1EESY_EEDaST_SU_EUlST_E_NS1_11comp_targetILNS1_3genE10ELNS1_11target_archE1201ELNS1_3gpuE5ELNS1_3repE0EEENS1_30default_config_static_selectorELNS0_4arch9wavefront6targetE1EEEvT1_,"axG",@progbits,_ZN7rocprim17ROCPRIM_400000_NS6detail17trampoline_kernelINS0_14default_configENS1_27scan_by_key_config_selectorIxxEEZZNS1_16scan_by_key_implILNS1_25lookback_scan_determinismE0ELb1ES3_N6thrust23THRUST_200600_302600_NS6detail15normal_iteratorINS9_10device_ptrIxEEEESE_SE_xNS9_4plusIxEE19head_flag_predicatexEE10hipError_tPvRmT2_T3_T4_T5_mT6_T7_P12ihipStream_tbENKUlT_T0_E_clISt17integral_constantIbLb1EESY_EEDaST_SU_EUlST_E_NS1_11comp_targetILNS1_3genE10ELNS1_11target_archE1201ELNS1_3gpuE5ELNS1_3repE0EEENS1_30default_config_static_selectorELNS0_4arch9wavefront6targetE1EEEvT1_,comdat
.Lfunc_end723:
	.size	_ZN7rocprim17ROCPRIM_400000_NS6detail17trampoline_kernelINS0_14default_configENS1_27scan_by_key_config_selectorIxxEEZZNS1_16scan_by_key_implILNS1_25lookback_scan_determinismE0ELb1ES3_N6thrust23THRUST_200600_302600_NS6detail15normal_iteratorINS9_10device_ptrIxEEEESE_SE_xNS9_4plusIxEE19head_flag_predicatexEE10hipError_tPvRmT2_T3_T4_T5_mT6_T7_P12ihipStream_tbENKUlT_T0_E_clISt17integral_constantIbLb1EESY_EEDaST_SU_EUlST_E_NS1_11comp_targetILNS1_3genE10ELNS1_11target_archE1201ELNS1_3gpuE5ELNS1_3repE0EEENS1_30default_config_static_selectorELNS0_4arch9wavefront6targetE1EEEvT1_, .Lfunc_end723-_ZN7rocprim17ROCPRIM_400000_NS6detail17trampoline_kernelINS0_14default_configENS1_27scan_by_key_config_selectorIxxEEZZNS1_16scan_by_key_implILNS1_25lookback_scan_determinismE0ELb1ES3_N6thrust23THRUST_200600_302600_NS6detail15normal_iteratorINS9_10device_ptrIxEEEESE_SE_xNS9_4plusIxEE19head_flag_predicatexEE10hipError_tPvRmT2_T3_T4_T5_mT6_T7_P12ihipStream_tbENKUlT_T0_E_clISt17integral_constantIbLb1EESY_EEDaST_SU_EUlST_E_NS1_11comp_targetILNS1_3genE10ELNS1_11target_archE1201ELNS1_3gpuE5ELNS1_3repE0EEENS1_30default_config_static_selectorELNS0_4arch9wavefront6targetE1EEEvT1_
                                        ; -- End function
	.section	.AMDGPU.csdata,"",@progbits
; Kernel info:
; codeLenInByte = 0
; NumSgprs: 4
; NumVgprs: 0
; NumAgprs: 0
; TotalNumVgprs: 0
; ScratchSize: 0
; MemoryBound: 0
; FloatMode: 240
; IeeeMode: 1
; LDSByteSize: 0 bytes/workgroup (compile time only)
; SGPRBlocks: 0
; VGPRBlocks: 0
; NumSGPRsForWavesPerEU: 4
; NumVGPRsForWavesPerEU: 1
; AccumOffset: 4
; Occupancy: 8
; WaveLimiterHint : 0
; COMPUTE_PGM_RSRC2:SCRATCH_EN: 0
; COMPUTE_PGM_RSRC2:USER_SGPR: 6
; COMPUTE_PGM_RSRC2:TRAP_HANDLER: 0
; COMPUTE_PGM_RSRC2:TGID_X_EN: 1
; COMPUTE_PGM_RSRC2:TGID_Y_EN: 0
; COMPUTE_PGM_RSRC2:TGID_Z_EN: 0
; COMPUTE_PGM_RSRC2:TIDIG_COMP_CNT: 0
; COMPUTE_PGM_RSRC3_GFX90A:ACCUM_OFFSET: 0
; COMPUTE_PGM_RSRC3_GFX90A:TG_SPLIT: 0
	.section	.text._ZN7rocprim17ROCPRIM_400000_NS6detail17trampoline_kernelINS0_14default_configENS1_27scan_by_key_config_selectorIxxEEZZNS1_16scan_by_key_implILNS1_25lookback_scan_determinismE0ELb1ES3_N6thrust23THRUST_200600_302600_NS6detail15normal_iteratorINS9_10device_ptrIxEEEESE_SE_xNS9_4plusIxEE19head_flag_predicatexEE10hipError_tPvRmT2_T3_T4_T5_mT6_T7_P12ihipStream_tbENKUlT_T0_E_clISt17integral_constantIbLb1EESY_EEDaST_SU_EUlST_E_NS1_11comp_targetILNS1_3genE5ELNS1_11target_archE942ELNS1_3gpuE9ELNS1_3repE0EEENS1_30default_config_static_selectorELNS0_4arch9wavefront6targetE1EEEvT1_,"axG",@progbits,_ZN7rocprim17ROCPRIM_400000_NS6detail17trampoline_kernelINS0_14default_configENS1_27scan_by_key_config_selectorIxxEEZZNS1_16scan_by_key_implILNS1_25lookback_scan_determinismE0ELb1ES3_N6thrust23THRUST_200600_302600_NS6detail15normal_iteratorINS9_10device_ptrIxEEEESE_SE_xNS9_4plusIxEE19head_flag_predicatexEE10hipError_tPvRmT2_T3_T4_T5_mT6_T7_P12ihipStream_tbENKUlT_T0_E_clISt17integral_constantIbLb1EESY_EEDaST_SU_EUlST_E_NS1_11comp_targetILNS1_3genE5ELNS1_11target_archE942ELNS1_3gpuE9ELNS1_3repE0EEENS1_30default_config_static_selectorELNS0_4arch9wavefront6targetE1EEEvT1_,comdat
	.protected	_ZN7rocprim17ROCPRIM_400000_NS6detail17trampoline_kernelINS0_14default_configENS1_27scan_by_key_config_selectorIxxEEZZNS1_16scan_by_key_implILNS1_25lookback_scan_determinismE0ELb1ES3_N6thrust23THRUST_200600_302600_NS6detail15normal_iteratorINS9_10device_ptrIxEEEESE_SE_xNS9_4plusIxEE19head_flag_predicatexEE10hipError_tPvRmT2_T3_T4_T5_mT6_T7_P12ihipStream_tbENKUlT_T0_E_clISt17integral_constantIbLb1EESY_EEDaST_SU_EUlST_E_NS1_11comp_targetILNS1_3genE5ELNS1_11target_archE942ELNS1_3gpuE9ELNS1_3repE0EEENS1_30default_config_static_selectorELNS0_4arch9wavefront6targetE1EEEvT1_ ; -- Begin function _ZN7rocprim17ROCPRIM_400000_NS6detail17trampoline_kernelINS0_14default_configENS1_27scan_by_key_config_selectorIxxEEZZNS1_16scan_by_key_implILNS1_25lookback_scan_determinismE0ELb1ES3_N6thrust23THRUST_200600_302600_NS6detail15normal_iteratorINS9_10device_ptrIxEEEESE_SE_xNS9_4plusIxEE19head_flag_predicatexEE10hipError_tPvRmT2_T3_T4_T5_mT6_T7_P12ihipStream_tbENKUlT_T0_E_clISt17integral_constantIbLb1EESY_EEDaST_SU_EUlST_E_NS1_11comp_targetILNS1_3genE5ELNS1_11target_archE942ELNS1_3gpuE9ELNS1_3repE0EEENS1_30default_config_static_selectorELNS0_4arch9wavefront6targetE1EEEvT1_
	.globl	_ZN7rocprim17ROCPRIM_400000_NS6detail17trampoline_kernelINS0_14default_configENS1_27scan_by_key_config_selectorIxxEEZZNS1_16scan_by_key_implILNS1_25lookback_scan_determinismE0ELb1ES3_N6thrust23THRUST_200600_302600_NS6detail15normal_iteratorINS9_10device_ptrIxEEEESE_SE_xNS9_4plusIxEE19head_flag_predicatexEE10hipError_tPvRmT2_T3_T4_T5_mT6_T7_P12ihipStream_tbENKUlT_T0_E_clISt17integral_constantIbLb1EESY_EEDaST_SU_EUlST_E_NS1_11comp_targetILNS1_3genE5ELNS1_11target_archE942ELNS1_3gpuE9ELNS1_3repE0EEENS1_30default_config_static_selectorELNS0_4arch9wavefront6targetE1EEEvT1_
	.p2align	8
	.type	_ZN7rocprim17ROCPRIM_400000_NS6detail17trampoline_kernelINS0_14default_configENS1_27scan_by_key_config_selectorIxxEEZZNS1_16scan_by_key_implILNS1_25lookback_scan_determinismE0ELb1ES3_N6thrust23THRUST_200600_302600_NS6detail15normal_iteratorINS9_10device_ptrIxEEEESE_SE_xNS9_4plusIxEE19head_flag_predicatexEE10hipError_tPvRmT2_T3_T4_T5_mT6_T7_P12ihipStream_tbENKUlT_T0_E_clISt17integral_constantIbLb1EESY_EEDaST_SU_EUlST_E_NS1_11comp_targetILNS1_3genE5ELNS1_11target_archE942ELNS1_3gpuE9ELNS1_3repE0EEENS1_30default_config_static_selectorELNS0_4arch9wavefront6targetE1EEEvT1_,@function
_ZN7rocprim17ROCPRIM_400000_NS6detail17trampoline_kernelINS0_14default_configENS1_27scan_by_key_config_selectorIxxEEZZNS1_16scan_by_key_implILNS1_25lookback_scan_determinismE0ELb1ES3_N6thrust23THRUST_200600_302600_NS6detail15normal_iteratorINS9_10device_ptrIxEEEESE_SE_xNS9_4plusIxEE19head_flag_predicatexEE10hipError_tPvRmT2_T3_T4_T5_mT6_T7_P12ihipStream_tbENKUlT_T0_E_clISt17integral_constantIbLb1EESY_EEDaST_SU_EUlST_E_NS1_11comp_targetILNS1_3genE5ELNS1_11target_archE942ELNS1_3gpuE9ELNS1_3repE0EEENS1_30default_config_static_selectorELNS0_4arch9wavefront6targetE1EEEvT1_: ; @_ZN7rocprim17ROCPRIM_400000_NS6detail17trampoline_kernelINS0_14default_configENS1_27scan_by_key_config_selectorIxxEEZZNS1_16scan_by_key_implILNS1_25lookback_scan_determinismE0ELb1ES3_N6thrust23THRUST_200600_302600_NS6detail15normal_iteratorINS9_10device_ptrIxEEEESE_SE_xNS9_4plusIxEE19head_flag_predicatexEE10hipError_tPvRmT2_T3_T4_T5_mT6_T7_P12ihipStream_tbENKUlT_T0_E_clISt17integral_constantIbLb1EESY_EEDaST_SU_EUlST_E_NS1_11comp_targetILNS1_3genE5ELNS1_11target_archE942ELNS1_3gpuE9ELNS1_3repE0EEENS1_30default_config_static_selectorELNS0_4arch9wavefront6targetE1EEEvT1_
; %bb.0:
	.section	.rodata,"a",@progbits
	.p2align	6, 0x0
	.amdhsa_kernel _ZN7rocprim17ROCPRIM_400000_NS6detail17trampoline_kernelINS0_14default_configENS1_27scan_by_key_config_selectorIxxEEZZNS1_16scan_by_key_implILNS1_25lookback_scan_determinismE0ELb1ES3_N6thrust23THRUST_200600_302600_NS6detail15normal_iteratorINS9_10device_ptrIxEEEESE_SE_xNS9_4plusIxEE19head_flag_predicatexEE10hipError_tPvRmT2_T3_T4_T5_mT6_T7_P12ihipStream_tbENKUlT_T0_E_clISt17integral_constantIbLb1EESY_EEDaST_SU_EUlST_E_NS1_11comp_targetILNS1_3genE5ELNS1_11target_archE942ELNS1_3gpuE9ELNS1_3repE0EEENS1_30default_config_static_selectorELNS0_4arch9wavefront6targetE1EEEvT1_
		.amdhsa_group_segment_fixed_size 0
		.amdhsa_private_segment_fixed_size 0
		.amdhsa_kernarg_size 136
		.amdhsa_user_sgpr_count 6
		.amdhsa_user_sgpr_private_segment_buffer 1
		.amdhsa_user_sgpr_dispatch_ptr 0
		.amdhsa_user_sgpr_queue_ptr 0
		.amdhsa_user_sgpr_kernarg_segment_ptr 1
		.amdhsa_user_sgpr_dispatch_id 0
		.amdhsa_user_sgpr_flat_scratch_init 0
		.amdhsa_user_sgpr_kernarg_preload_length 0
		.amdhsa_user_sgpr_kernarg_preload_offset 0
		.amdhsa_user_sgpr_private_segment_size 0
		.amdhsa_uses_dynamic_stack 0
		.amdhsa_system_sgpr_private_segment_wavefront_offset 0
		.amdhsa_system_sgpr_workgroup_id_x 1
		.amdhsa_system_sgpr_workgroup_id_y 0
		.amdhsa_system_sgpr_workgroup_id_z 0
		.amdhsa_system_sgpr_workgroup_info 0
		.amdhsa_system_vgpr_workitem_id 0
		.amdhsa_next_free_vgpr 1
		.amdhsa_next_free_sgpr 0
		.amdhsa_accum_offset 4
		.amdhsa_reserve_vcc 0
		.amdhsa_reserve_flat_scratch 0
		.amdhsa_float_round_mode_32 0
		.amdhsa_float_round_mode_16_64 0
		.amdhsa_float_denorm_mode_32 3
		.amdhsa_float_denorm_mode_16_64 3
		.amdhsa_dx10_clamp 1
		.amdhsa_ieee_mode 1
		.amdhsa_fp16_overflow 0
		.amdhsa_tg_split 0
		.amdhsa_exception_fp_ieee_invalid_op 0
		.amdhsa_exception_fp_denorm_src 0
		.amdhsa_exception_fp_ieee_div_zero 0
		.amdhsa_exception_fp_ieee_overflow 0
		.amdhsa_exception_fp_ieee_underflow 0
		.amdhsa_exception_fp_ieee_inexact 0
		.amdhsa_exception_int_div_zero 0
	.end_amdhsa_kernel
	.section	.text._ZN7rocprim17ROCPRIM_400000_NS6detail17trampoline_kernelINS0_14default_configENS1_27scan_by_key_config_selectorIxxEEZZNS1_16scan_by_key_implILNS1_25lookback_scan_determinismE0ELb1ES3_N6thrust23THRUST_200600_302600_NS6detail15normal_iteratorINS9_10device_ptrIxEEEESE_SE_xNS9_4plusIxEE19head_flag_predicatexEE10hipError_tPvRmT2_T3_T4_T5_mT6_T7_P12ihipStream_tbENKUlT_T0_E_clISt17integral_constantIbLb1EESY_EEDaST_SU_EUlST_E_NS1_11comp_targetILNS1_3genE5ELNS1_11target_archE942ELNS1_3gpuE9ELNS1_3repE0EEENS1_30default_config_static_selectorELNS0_4arch9wavefront6targetE1EEEvT1_,"axG",@progbits,_ZN7rocprim17ROCPRIM_400000_NS6detail17trampoline_kernelINS0_14default_configENS1_27scan_by_key_config_selectorIxxEEZZNS1_16scan_by_key_implILNS1_25lookback_scan_determinismE0ELb1ES3_N6thrust23THRUST_200600_302600_NS6detail15normal_iteratorINS9_10device_ptrIxEEEESE_SE_xNS9_4plusIxEE19head_flag_predicatexEE10hipError_tPvRmT2_T3_T4_T5_mT6_T7_P12ihipStream_tbENKUlT_T0_E_clISt17integral_constantIbLb1EESY_EEDaST_SU_EUlST_E_NS1_11comp_targetILNS1_3genE5ELNS1_11target_archE942ELNS1_3gpuE9ELNS1_3repE0EEENS1_30default_config_static_selectorELNS0_4arch9wavefront6targetE1EEEvT1_,comdat
.Lfunc_end724:
	.size	_ZN7rocprim17ROCPRIM_400000_NS6detail17trampoline_kernelINS0_14default_configENS1_27scan_by_key_config_selectorIxxEEZZNS1_16scan_by_key_implILNS1_25lookback_scan_determinismE0ELb1ES3_N6thrust23THRUST_200600_302600_NS6detail15normal_iteratorINS9_10device_ptrIxEEEESE_SE_xNS9_4plusIxEE19head_flag_predicatexEE10hipError_tPvRmT2_T3_T4_T5_mT6_T7_P12ihipStream_tbENKUlT_T0_E_clISt17integral_constantIbLb1EESY_EEDaST_SU_EUlST_E_NS1_11comp_targetILNS1_3genE5ELNS1_11target_archE942ELNS1_3gpuE9ELNS1_3repE0EEENS1_30default_config_static_selectorELNS0_4arch9wavefront6targetE1EEEvT1_, .Lfunc_end724-_ZN7rocprim17ROCPRIM_400000_NS6detail17trampoline_kernelINS0_14default_configENS1_27scan_by_key_config_selectorIxxEEZZNS1_16scan_by_key_implILNS1_25lookback_scan_determinismE0ELb1ES3_N6thrust23THRUST_200600_302600_NS6detail15normal_iteratorINS9_10device_ptrIxEEEESE_SE_xNS9_4plusIxEE19head_flag_predicatexEE10hipError_tPvRmT2_T3_T4_T5_mT6_T7_P12ihipStream_tbENKUlT_T0_E_clISt17integral_constantIbLb1EESY_EEDaST_SU_EUlST_E_NS1_11comp_targetILNS1_3genE5ELNS1_11target_archE942ELNS1_3gpuE9ELNS1_3repE0EEENS1_30default_config_static_selectorELNS0_4arch9wavefront6targetE1EEEvT1_
                                        ; -- End function
	.section	.AMDGPU.csdata,"",@progbits
; Kernel info:
; codeLenInByte = 0
; NumSgprs: 4
; NumVgprs: 0
; NumAgprs: 0
; TotalNumVgprs: 0
; ScratchSize: 0
; MemoryBound: 0
; FloatMode: 240
; IeeeMode: 1
; LDSByteSize: 0 bytes/workgroup (compile time only)
; SGPRBlocks: 0
; VGPRBlocks: 0
; NumSGPRsForWavesPerEU: 4
; NumVGPRsForWavesPerEU: 1
; AccumOffset: 4
; Occupancy: 8
; WaveLimiterHint : 0
; COMPUTE_PGM_RSRC2:SCRATCH_EN: 0
; COMPUTE_PGM_RSRC2:USER_SGPR: 6
; COMPUTE_PGM_RSRC2:TRAP_HANDLER: 0
; COMPUTE_PGM_RSRC2:TGID_X_EN: 1
; COMPUTE_PGM_RSRC2:TGID_Y_EN: 0
; COMPUTE_PGM_RSRC2:TGID_Z_EN: 0
; COMPUTE_PGM_RSRC2:TIDIG_COMP_CNT: 0
; COMPUTE_PGM_RSRC3_GFX90A:ACCUM_OFFSET: 0
; COMPUTE_PGM_RSRC3_GFX90A:TG_SPLIT: 0
	.section	.text._ZN7rocprim17ROCPRIM_400000_NS6detail17trampoline_kernelINS0_14default_configENS1_27scan_by_key_config_selectorIxxEEZZNS1_16scan_by_key_implILNS1_25lookback_scan_determinismE0ELb1ES3_N6thrust23THRUST_200600_302600_NS6detail15normal_iteratorINS9_10device_ptrIxEEEESE_SE_xNS9_4plusIxEE19head_flag_predicatexEE10hipError_tPvRmT2_T3_T4_T5_mT6_T7_P12ihipStream_tbENKUlT_T0_E_clISt17integral_constantIbLb1EESY_EEDaST_SU_EUlST_E_NS1_11comp_targetILNS1_3genE4ELNS1_11target_archE910ELNS1_3gpuE8ELNS1_3repE0EEENS1_30default_config_static_selectorELNS0_4arch9wavefront6targetE1EEEvT1_,"axG",@progbits,_ZN7rocprim17ROCPRIM_400000_NS6detail17trampoline_kernelINS0_14default_configENS1_27scan_by_key_config_selectorIxxEEZZNS1_16scan_by_key_implILNS1_25lookback_scan_determinismE0ELb1ES3_N6thrust23THRUST_200600_302600_NS6detail15normal_iteratorINS9_10device_ptrIxEEEESE_SE_xNS9_4plusIxEE19head_flag_predicatexEE10hipError_tPvRmT2_T3_T4_T5_mT6_T7_P12ihipStream_tbENKUlT_T0_E_clISt17integral_constantIbLb1EESY_EEDaST_SU_EUlST_E_NS1_11comp_targetILNS1_3genE4ELNS1_11target_archE910ELNS1_3gpuE8ELNS1_3repE0EEENS1_30default_config_static_selectorELNS0_4arch9wavefront6targetE1EEEvT1_,comdat
	.protected	_ZN7rocprim17ROCPRIM_400000_NS6detail17trampoline_kernelINS0_14default_configENS1_27scan_by_key_config_selectorIxxEEZZNS1_16scan_by_key_implILNS1_25lookback_scan_determinismE0ELb1ES3_N6thrust23THRUST_200600_302600_NS6detail15normal_iteratorINS9_10device_ptrIxEEEESE_SE_xNS9_4plusIxEE19head_flag_predicatexEE10hipError_tPvRmT2_T3_T4_T5_mT6_T7_P12ihipStream_tbENKUlT_T0_E_clISt17integral_constantIbLb1EESY_EEDaST_SU_EUlST_E_NS1_11comp_targetILNS1_3genE4ELNS1_11target_archE910ELNS1_3gpuE8ELNS1_3repE0EEENS1_30default_config_static_selectorELNS0_4arch9wavefront6targetE1EEEvT1_ ; -- Begin function _ZN7rocprim17ROCPRIM_400000_NS6detail17trampoline_kernelINS0_14default_configENS1_27scan_by_key_config_selectorIxxEEZZNS1_16scan_by_key_implILNS1_25lookback_scan_determinismE0ELb1ES3_N6thrust23THRUST_200600_302600_NS6detail15normal_iteratorINS9_10device_ptrIxEEEESE_SE_xNS9_4plusIxEE19head_flag_predicatexEE10hipError_tPvRmT2_T3_T4_T5_mT6_T7_P12ihipStream_tbENKUlT_T0_E_clISt17integral_constantIbLb1EESY_EEDaST_SU_EUlST_E_NS1_11comp_targetILNS1_3genE4ELNS1_11target_archE910ELNS1_3gpuE8ELNS1_3repE0EEENS1_30default_config_static_selectorELNS0_4arch9wavefront6targetE1EEEvT1_
	.globl	_ZN7rocprim17ROCPRIM_400000_NS6detail17trampoline_kernelINS0_14default_configENS1_27scan_by_key_config_selectorIxxEEZZNS1_16scan_by_key_implILNS1_25lookback_scan_determinismE0ELb1ES3_N6thrust23THRUST_200600_302600_NS6detail15normal_iteratorINS9_10device_ptrIxEEEESE_SE_xNS9_4plusIxEE19head_flag_predicatexEE10hipError_tPvRmT2_T3_T4_T5_mT6_T7_P12ihipStream_tbENKUlT_T0_E_clISt17integral_constantIbLb1EESY_EEDaST_SU_EUlST_E_NS1_11comp_targetILNS1_3genE4ELNS1_11target_archE910ELNS1_3gpuE8ELNS1_3repE0EEENS1_30default_config_static_selectorELNS0_4arch9wavefront6targetE1EEEvT1_
	.p2align	8
	.type	_ZN7rocprim17ROCPRIM_400000_NS6detail17trampoline_kernelINS0_14default_configENS1_27scan_by_key_config_selectorIxxEEZZNS1_16scan_by_key_implILNS1_25lookback_scan_determinismE0ELb1ES3_N6thrust23THRUST_200600_302600_NS6detail15normal_iteratorINS9_10device_ptrIxEEEESE_SE_xNS9_4plusIxEE19head_flag_predicatexEE10hipError_tPvRmT2_T3_T4_T5_mT6_T7_P12ihipStream_tbENKUlT_T0_E_clISt17integral_constantIbLb1EESY_EEDaST_SU_EUlST_E_NS1_11comp_targetILNS1_3genE4ELNS1_11target_archE910ELNS1_3gpuE8ELNS1_3repE0EEENS1_30default_config_static_selectorELNS0_4arch9wavefront6targetE1EEEvT1_,@function
_ZN7rocprim17ROCPRIM_400000_NS6detail17trampoline_kernelINS0_14default_configENS1_27scan_by_key_config_selectorIxxEEZZNS1_16scan_by_key_implILNS1_25lookback_scan_determinismE0ELb1ES3_N6thrust23THRUST_200600_302600_NS6detail15normal_iteratorINS9_10device_ptrIxEEEESE_SE_xNS9_4plusIxEE19head_flag_predicatexEE10hipError_tPvRmT2_T3_T4_T5_mT6_T7_P12ihipStream_tbENKUlT_T0_E_clISt17integral_constantIbLb1EESY_EEDaST_SU_EUlST_E_NS1_11comp_targetILNS1_3genE4ELNS1_11target_archE910ELNS1_3gpuE8ELNS1_3repE0EEENS1_30default_config_static_selectorELNS0_4arch9wavefront6targetE1EEEvT1_: ; @_ZN7rocprim17ROCPRIM_400000_NS6detail17trampoline_kernelINS0_14default_configENS1_27scan_by_key_config_selectorIxxEEZZNS1_16scan_by_key_implILNS1_25lookback_scan_determinismE0ELb1ES3_N6thrust23THRUST_200600_302600_NS6detail15normal_iteratorINS9_10device_ptrIxEEEESE_SE_xNS9_4plusIxEE19head_flag_predicatexEE10hipError_tPvRmT2_T3_T4_T5_mT6_T7_P12ihipStream_tbENKUlT_T0_E_clISt17integral_constantIbLb1EESY_EEDaST_SU_EUlST_E_NS1_11comp_targetILNS1_3genE4ELNS1_11target_archE910ELNS1_3gpuE8ELNS1_3repE0EEENS1_30default_config_static_selectorELNS0_4arch9wavefront6targetE1EEEvT1_
; %bb.0:
	s_load_dwordx8 s[52:59], s[4:5], 0x0
	s_load_dwordx2 s[64:65], s[4:5], 0x20
	s_load_dwordx8 s[44:51], s[4:5], 0x30
	s_load_dwordx2 s[66:67], s[4:5], 0x50
	v_cmp_eq_u32_e64 s[0:1], 0, v0
	s_and_saveexec_b64 s[2:3], s[0:1]
	s_cbranch_execz .LBB725_4
; %bb.1:
	s_mov_b64 s[8:9], exec
	v_mbcnt_lo_u32_b32 v1, s8, 0
	v_mbcnt_hi_u32_b32 v1, s9, v1
	v_cmp_eq_u32_e32 vcc, 0, v1
                                        ; implicit-def: $vgpr2
	s_and_saveexec_b64 s[6:7], vcc
	s_cbranch_execz .LBB725_3
; %bb.2:
	s_load_dwordx2 s[10:11], s[4:5], 0x80
	s_bcnt1_i32_b64 s8, s[8:9]
	v_mov_b32_e32 v2, 0
	v_mov_b32_e32 v3, s8
	s_waitcnt lgkmcnt(0)
	global_atomic_add v2, v2, v3, s[10:11] glc
.LBB725_3:
	s_or_b64 exec, exec, s[6:7]
	s_waitcnt vmcnt(0)
	v_readfirstlane_b32 s6, v2
	v_add_u32_e32 v1, s6, v1
	v_mov_b32_e32 v2, 0
	ds_write_b32 v2, v1
.LBB725_4:
	s_or_b64 exec, exec, s[2:3]
	s_load_dword s2, s[4:5], 0x58
	s_load_dwordx4 s[60:63], s[4:5], 0x60
	v_mov_b32_e32 v3, 0
	s_waitcnt lgkmcnt(0)
	s_lshl_b64 s[54:55], s[54:55], 3
	s_waitcnt lgkmcnt(0)
	; wave barrier
	ds_read_b32 v1, v3
	s_add_u32 s3, s52, s54
	s_addc_u32 s4, s53, s55
	s_add_u32 s5, s56, s54
	s_mul_i32 s7, s67, s2
	s_mul_hi_u32 s8, s66, s2
	s_addc_u32 s6, s57, s55
	s_add_i32 s7, s8, s7
	s_movk_i32 s8, 0x4c0
	s_waitcnt lgkmcnt(0)
	v_mul_lo_u32 v2, v1, s8
	v_lshlrev_b64 v[72:73], 3, v[2:3]
	v_mov_b32_e32 v2, s4
	v_add_co_u32_e32 v76, vcc, s3, v72
	v_addc_co_u32_e32 v77, vcc, v2, v73, vcc
	v_mov_b32_e32 v2, s6
	v_add_co_u32_e32 v82, vcc, s5, v72
	s_mul_i32 s2, s66, s2
	v_addc_co_u32_e32 v83, vcc, v2, v73, vcc
	v_mov_b32_e32 v3, s7
	v_add_co_u32_e32 v2, vcc, s2, v1
	s_add_u32 s6, s60, -1
	v_addc_co_u32_e32 v3, vcc, 0, v3, vcc
	s_addc_u32 s7, s61, -1
	v_cmp_le_u64_e64 s[2:3], s[6:7], v[2:3]
	v_readfirstlane_b32 s51, v1
	s_mov_b64 s[4:5], -1
	s_and_b64 vcc, exec, s[2:3]
	s_mul_i32 s33, s6, 0xfffffb40
	s_waitcnt lgkmcnt(0)
	; wave barrier
	s_waitcnt lgkmcnt(0)
	s_waitcnt lgkmcnt(0)
	; wave barrier
	s_cbranch_vccz .LBB725_63
; %bb.5:
	flat_load_dwordx2 v[2:3], v[76:77]
	s_add_i32 s60, s33, s50
	v_cmp_gt_u32_e32 vcc, s60, v0
	s_waitcnt vmcnt(0) lgkmcnt(0)
	v_pk_mov_b32 v[4:5], v[2:3], v[2:3] op_sel:[0,1]
	s_and_saveexec_b64 s[6:7], vcc
	s_cbranch_execz .LBB725_7
; %bb.6:
	v_lshlrev_b32_e32 v1, 3, v0
	v_add_co_u32_e64 v4, s[4:5], v76, v1
	v_addc_co_u32_e64 v5, s[4:5], 0, v77, s[4:5]
	flat_load_dwordx2 v[4:5], v[4:5]
.LBB725_7:
	s_or_b64 exec, exec, s[6:7]
	v_or_b32_e32 v1, 64, v0
	v_cmp_gt_u32_e64 s[4:5], s60, v1
	v_pk_mov_b32 v[6:7], v[2:3], v[2:3] op_sel:[0,1]
	s_and_saveexec_b64 s[8:9], s[4:5]
	s_cbranch_execz .LBB725_9
; %bb.8:
	v_lshlrev_b32_e32 v1, 3, v0
	v_add_co_u32_e64 v6, s[6:7], v76, v1
	v_addc_co_u32_e64 v7, s[6:7], 0, v77, s[6:7]
	flat_load_dwordx2 v[6:7], v[6:7] offset:512
.LBB725_9:
	s_or_b64 exec, exec, s[8:9]
	v_or_b32_e32 v1, 0x80, v0
	v_cmp_gt_u32_e64 s[6:7], s60, v1
	v_pk_mov_b32 v[8:9], v[2:3], v[2:3] op_sel:[0,1]
	s_and_saveexec_b64 s[10:11], s[6:7]
	s_cbranch_execz .LBB725_11
; %bb.10:
	v_lshlrev_b32_e32 v1, 3, v0
	v_add_co_u32_e64 v8, s[8:9], v76, v1
	v_addc_co_u32_e64 v9, s[8:9], 0, v77, s[8:9]
	flat_load_dwordx2 v[8:9], v[8:9] offset:1024
.LBB725_11:
	;; [unrolled: 12-line block ×7, first 2 shown]
	s_or_b64 exec, exec, s[20:21]
	v_or_b32_e32 v1, 0x200, v0
	v_cmp_gt_u32_e64 s[18:19], s60, v1
	v_pk_mov_b32 v[20:21], v[2:3], v[2:3] op_sel:[0,1]
	s_and_saveexec_b64 s[22:23], s[18:19]
	s_cbranch_execz .LBB725_23
; %bb.22:
	v_lshlrev_b32_e32 v20, 3, v1
	v_add_co_u32_e64 v20, s[20:21], v76, v20
	v_addc_co_u32_e64 v21, s[20:21], 0, v77, s[20:21]
	flat_load_dwordx2 v[20:21], v[20:21]
.LBB725_23:
	s_or_b64 exec, exec, s[22:23]
	v_or_b32_e32 v56, 0x240, v0
	v_cmp_gt_u32_e64 s[20:21], s60, v56
	v_pk_mov_b32 v[22:23], v[2:3], v[2:3] op_sel:[0,1]
	s_and_saveexec_b64 s[24:25], s[20:21]
	s_cbranch_execz .LBB725_25
; %bb.24:
	v_lshlrev_b32_e32 v22, 3, v56
	v_add_co_u32_e64 v22, s[22:23], v76, v22
	v_addc_co_u32_e64 v23, s[22:23], 0, v77, s[22:23]
	flat_load_dwordx2 v[22:23], v[22:23]
.LBB725_25:
	;; [unrolled: 12-line block ×10, first 2 shown]
	s_or_b64 exec, exec, s[42:43]
	v_or_b32_e32 v86, 0x480, v0
	v_cmp_gt_u32_e64 s[40:41], s60, v86
	s_and_saveexec_b64 s[52:53], s[40:41]
	s_cbranch_execz .LBB725_43
; %bb.42:
	v_lshlrev_b32_e32 v2, 3, v86
	v_add_co_u32_e64 v2, s[42:43], v76, v2
	v_addc_co_u32_e64 v3, s[42:43], 0, v77, s[42:43]
	flat_load_dwordx2 v[2:3], v[2:3]
.LBB725_43:
	s_or_b64 exec, exec, s[52:53]
	v_lshlrev_b32_e32 v87, 3, v0
	s_waitcnt vmcnt(0) lgkmcnt(0)
	ds_write2st64_b64 v87, v[4:5], v[6:7] offset1:1
	ds_write2st64_b64 v87, v[8:9], v[10:11] offset0:2 offset1:3
	ds_write2st64_b64 v87, v[12:13], v[14:15] offset0:4 offset1:5
	;; [unrolled: 1-line block ×8, first 2 shown]
	ds_write_b64 v87, v[2:3] offset:9216
	s_waitcnt lgkmcnt(0)
	; wave barrier
	s_waitcnt lgkmcnt(0)
	flat_load_dwordx2 v[78:79], v[76:77]
	s_movk_i32 s42, 0x90
	v_mad_u32_u24 v84, v0, s42, v87
	s_movk_i32 s42, 0xff70
	v_mad_i32_i24 v38, v0, s42, v84
	v_cmp_ne_u32_e64 s[42:43], 63, v0
	ds_read2_b64 v[34:37], v84 offset1:1
	ds_read2_b64 v[30:33], v84 offset0:2 offset1:3
	ds_read2_b64 v[26:29], v84 offset0:4 offset1:5
	ds_read2_b64 v[22:25], v84 offset0:6 offset1:7
	ds_read2_b64 v[18:21], v84 offset0:8 offset1:9
	ds_read2_b64 v[14:17], v84 offset0:10 offset1:11
	ds_read2_b64 v[10:13], v84 offset0:12 offset1:13
	ds_read2_b64 v[6:9], v84 offset0:14 offset1:15
	ds_read2_b64 v[2:5], v84 offset0:16 offset1:17
	ds_read_b64 v[80:81], v84 offset:144
	s_waitcnt lgkmcnt(0)
	ds_write_b64 v38, v[34:35] offset:10240
	s_waitcnt lgkmcnt(0)
	; wave barrier
	s_waitcnt lgkmcnt(0)
	s_and_saveexec_b64 s[52:53], s[42:43]
	s_cbranch_execz .LBB725_45
; %bb.44:
	s_waitcnt vmcnt(0)
	ds_read_b64 v[78:79], v87 offset:10248
.LBB725_45:
	s_or_b64 exec, exec, s[52:53]
	s_waitcnt lgkmcnt(0)
	; wave barrier
	s_waitcnt lgkmcnt(0)
                                        ; implicit-def: $vgpr34_vgpr35
	s_and_saveexec_b64 s[42:43], vcc
	s_cbranch_execz .LBB725_64
; %bb.46:
	v_add_co_u32_e32 v34, vcc, v82, v87
	v_addc_co_u32_e32 v35, vcc, 0, v83, vcc
	flat_load_dwordx2 v[34:35], v[34:35]
	s_or_b64 exec, exec, s[42:43]
                                        ; implicit-def: $vgpr38_vgpr39
	s_and_saveexec_b64 s[42:43], s[4:5]
	s_cbranch_execnz .LBB725_65
.LBB725_47:
	s_or_b64 exec, exec, s[42:43]
                                        ; implicit-def: $vgpr40_vgpr41
	s_and_saveexec_b64 s[4:5], s[6:7]
	s_cbranch_execz .LBB725_66
.LBB725_48:
	v_add_co_u32_e32 v40, vcc, v82, v87
	v_addc_co_u32_e32 v41, vcc, 0, v83, vcc
	flat_load_dwordx2 v[40:41], v[40:41] offset:1024
	s_or_b64 exec, exec, s[4:5]
                                        ; implicit-def: $vgpr42_vgpr43
	s_and_saveexec_b64 s[4:5], s[8:9]
	s_cbranch_execnz .LBB725_67
.LBB725_49:
	s_or_b64 exec, exec, s[4:5]
                                        ; implicit-def: $vgpr44_vgpr45
	s_and_saveexec_b64 s[4:5], s[10:11]
	s_cbranch_execz .LBB725_68
.LBB725_50:
	v_add_co_u32_e32 v44, vcc, v82, v87
	v_addc_co_u32_e32 v45, vcc, 0, v83, vcc
	flat_load_dwordx2 v[44:45], v[44:45] offset:2048
	s_or_b64 exec, exec, s[4:5]
                                        ; implicit-def: $vgpr46_vgpr47
	s_and_saveexec_b64 s[4:5], s[12:13]
	s_cbranch_execnz .LBB725_69
.LBB725_51:
	s_or_b64 exec, exec, s[4:5]
                                        ; implicit-def: $vgpr48_vgpr49
	s_and_saveexec_b64 s[4:5], s[14:15]
	s_cbranch_execz .LBB725_70
.LBB725_52:
	v_add_co_u32_e32 v48, vcc, v82, v87
	v_addc_co_u32_e32 v49, vcc, 0, v83, vcc
	flat_load_dwordx2 v[48:49], v[48:49] offset:3072
	s_or_b64 exec, exec, s[4:5]
                                        ; implicit-def: $vgpr50_vgpr51
	s_and_saveexec_b64 s[4:5], s[16:17]
	s_cbranch_execnz .LBB725_71
.LBB725_53:
	s_or_b64 exec, exec, s[4:5]
                                        ; implicit-def: $vgpr52_vgpr53
	s_and_saveexec_b64 s[4:5], s[18:19]
	s_cbranch_execz .LBB725_72
.LBB725_54:
	v_lshlrev_b32_e32 v1, 3, v1
	v_add_co_u32_e32 v52, vcc, v82, v1
	v_addc_co_u32_e32 v53, vcc, 0, v83, vcc
	flat_load_dwordx2 v[52:53], v[52:53]
	s_or_b64 exec, exec, s[4:5]
                                        ; implicit-def: $vgpr54_vgpr55
	s_and_saveexec_b64 s[4:5], s[20:21]
	s_cbranch_execnz .LBB725_73
.LBB725_55:
	s_or_b64 exec, exec, s[4:5]
                                        ; implicit-def: $vgpr56_vgpr57
	s_and_saveexec_b64 s[4:5], s[22:23]
	s_cbranch_execz .LBB725_74
.LBB725_56:
	v_lshlrev_b32_e32 v1, 3, v58
	v_add_co_u32_e32 v56, vcc, v82, v1
	v_addc_co_u32_e32 v57, vcc, 0, v83, vcc
	flat_load_dwordx2 v[56:57], v[56:57]
	s_or_b64 exec, exec, s[4:5]
                                        ; implicit-def: $vgpr58_vgpr59
	s_and_saveexec_b64 s[4:5], s[24:25]
	s_cbranch_execnz .LBB725_75
.LBB725_57:
	s_or_b64 exec, exec, s[4:5]
                                        ; implicit-def: $vgpr60_vgpr61
	s_and_saveexec_b64 s[4:5], s[26:27]
	s_cbranch_execz .LBB725_76
.LBB725_58:
	v_lshlrev_b32_e32 v1, 3, v62
	v_add_co_u32_e32 v60, vcc, v82, v1
	v_addc_co_u32_e32 v61, vcc, 0, v83, vcc
	flat_load_dwordx2 v[60:61], v[60:61]
	s_or_b64 exec, exec, s[4:5]
                                        ; implicit-def: $vgpr62_vgpr63
	s_and_saveexec_b64 s[4:5], s[28:29]
	s_cbranch_execnz .LBB725_77
.LBB725_59:
	s_or_b64 exec, exec, s[4:5]
                                        ; implicit-def: $vgpr64_vgpr65
	s_and_saveexec_b64 s[4:5], s[30:31]
	s_cbranch_execz .LBB725_78
.LBB725_60:
	v_lshlrev_b32_e32 v1, 3, v66
	v_add_co_u32_e32 v64, vcc, v82, v1
	v_addc_co_u32_e32 v65, vcc, 0, v83, vcc
	flat_load_dwordx2 v[64:65], v[64:65]
	s_or_b64 exec, exec, s[4:5]
                                        ; implicit-def: $vgpr66_vgpr67
	s_and_saveexec_b64 s[4:5], s[34:35]
	s_cbranch_execnz .LBB725_79
.LBB725_61:
	s_or_b64 exec, exec, s[4:5]
                                        ; implicit-def: $vgpr68_vgpr69
	s_and_saveexec_b64 s[4:5], s[36:37]
	s_cbranch_execz .LBB725_80
.LBB725_62:
	v_lshlrev_b32_e32 v1, 3, v70
	v_add_co_u32_e32 v68, vcc, v82, v1
	v_addc_co_u32_e32 v69, vcc, 0, v83, vcc
	flat_load_dwordx2 v[68:69], v[68:69]
	s_or_b64 exec, exec, s[4:5]
                                        ; implicit-def: $vgpr70_vgpr71
	s_and_saveexec_b64 s[4:5], s[38:39]
	s_cbranch_execz .LBB725_82
	s_branch .LBB725_81
.LBB725_63:
	s_mov_b64 s[10:11], 0
                                        ; implicit-def: $sgpr8_sgpr9
                                        ; implicit-def: $vgpr34_vgpr35
                                        ; implicit-def: $vgpr70_vgpr71
                                        ; implicit-def: $vgpr100
                                        ; implicit-def: $vgpr40_vgpr41
                                        ; implicit-def: $vgpr114
                                        ; implicit-def: $vgpr74_vgpr75
                                        ; implicit-def: $vgpr113
                                        ; implicit-def: $vgpr68_vgpr69
                                        ; implicit-def: $vgpr112
                                        ; implicit-def: $vgpr66_vgpr67
                                        ; implicit-def: $vgpr111
                                        ; implicit-def: $vgpr64_vgpr65
                                        ; implicit-def: $vgpr110
                                        ; implicit-def: $vgpr44_vgpr45
                                        ; implicit-def: $vgpr109
                                        ; implicit-def: $vgpr42_vgpr43
                                        ; implicit-def: $vgpr108
                                        ; implicit-def: $vgpr52_vgpr53
                                        ; implicit-def: $vgpr107
                                        ; implicit-def: $vgpr50_vgpr51
                                        ; implicit-def: $vgpr106
                                        ; implicit-def: $vgpr56_vgpr57
                                        ; implicit-def: $vgpr105
                                        ; implicit-def: $vgpr54_vgpr55
                                        ; implicit-def: $vgpr104
                                        ; implicit-def: $vgpr60_vgpr61
                                        ; implicit-def: $vgpr103
                                        ; implicit-def: $vgpr58_vgpr59
                                        ; implicit-def: $vgpr102
                                        ; implicit-def: $vgpr62_vgpr63
                                        ; implicit-def: $vgpr101
                                        ; implicit-def: $vgpr48_vgpr49
                                        ; implicit-def: $vgpr99
                                        ; implicit-def: $vgpr46_vgpr47
                                        ; implicit-def: $vgpr98
                                        ; implicit-def: $vgpr38_vgpr39
                                        ; implicit-def: $vgpr1
                                        ; implicit-def: $sgpr68
                                        ; implicit-def: $sgpr6_sgpr7
	s_and_b64 vcc, exec, s[4:5]
	v_lshlrev_b32_e32 v115, 3, v0
	s_cbranch_vccz .LBB725_128
	s_branch .LBB725_123
.LBB725_64:
	s_or_b64 exec, exec, s[42:43]
                                        ; implicit-def: $vgpr38_vgpr39
	s_and_saveexec_b64 s[42:43], s[4:5]
	s_cbranch_execz .LBB725_47
.LBB725_65:
	v_add_co_u32_e32 v38, vcc, v82, v87
	v_addc_co_u32_e32 v39, vcc, 0, v83, vcc
	flat_load_dwordx2 v[38:39], v[38:39] offset:512
	s_or_b64 exec, exec, s[42:43]
                                        ; implicit-def: $vgpr40_vgpr41
	s_and_saveexec_b64 s[4:5], s[6:7]
	s_cbranch_execnz .LBB725_48
.LBB725_66:
	s_or_b64 exec, exec, s[4:5]
                                        ; implicit-def: $vgpr42_vgpr43
	s_and_saveexec_b64 s[4:5], s[8:9]
	s_cbranch_execz .LBB725_49
.LBB725_67:
	v_add_co_u32_e32 v42, vcc, v82, v87
	v_addc_co_u32_e32 v43, vcc, 0, v83, vcc
	flat_load_dwordx2 v[42:43], v[42:43] offset:1536
	s_or_b64 exec, exec, s[4:5]
                                        ; implicit-def: $vgpr44_vgpr45
	s_and_saveexec_b64 s[4:5], s[10:11]
	s_cbranch_execnz .LBB725_50
.LBB725_68:
	s_or_b64 exec, exec, s[4:5]
                                        ; implicit-def: $vgpr46_vgpr47
	s_and_saveexec_b64 s[4:5], s[12:13]
	s_cbranch_execz .LBB725_51
.LBB725_69:
	v_add_co_u32_e32 v46, vcc, v82, v87
	v_addc_co_u32_e32 v47, vcc, 0, v83, vcc
	flat_load_dwordx2 v[46:47], v[46:47] offset:2560
	s_or_b64 exec, exec, s[4:5]
                                        ; implicit-def: $vgpr48_vgpr49
	s_and_saveexec_b64 s[4:5], s[14:15]
	s_cbranch_execnz .LBB725_52
.LBB725_70:
	s_or_b64 exec, exec, s[4:5]
                                        ; implicit-def: $vgpr50_vgpr51
	s_and_saveexec_b64 s[4:5], s[16:17]
	s_cbranch_execz .LBB725_53
.LBB725_71:
	v_add_co_u32_e32 v50, vcc, v82, v87
	v_addc_co_u32_e32 v51, vcc, 0, v83, vcc
	flat_load_dwordx2 v[50:51], v[50:51] offset:3584
	s_or_b64 exec, exec, s[4:5]
                                        ; implicit-def: $vgpr52_vgpr53
	s_and_saveexec_b64 s[4:5], s[18:19]
	s_cbranch_execnz .LBB725_54
.LBB725_72:
	s_or_b64 exec, exec, s[4:5]
                                        ; implicit-def: $vgpr54_vgpr55
	s_and_saveexec_b64 s[4:5], s[20:21]
	s_cbranch_execz .LBB725_55
.LBB725_73:
	v_lshlrev_b32_e32 v1, 3, v56
	v_add_co_u32_e32 v54, vcc, v82, v1
	v_addc_co_u32_e32 v55, vcc, 0, v83, vcc
	flat_load_dwordx2 v[54:55], v[54:55]
	s_or_b64 exec, exec, s[4:5]
                                        ; implicit-def: $vgpr56_vgpr57
	s_and_saveexec_b64 s[4:5], s[22:23]
	s_cbranch_execnz .LBB725_56
.LBB725_74:
	s_or_b64 exec, exec, s[4:5]
                                        ; implicit-def: $vgpr58_vgpr59
	s_and_saveexec_b64 s[4:5], s[24:25]
	s_cbranch_execz .LBB725_57
.LBB725_75:
	v_lshlrev_b32_e32 v1, 3, v60
	v_add_co_u32_e32 v58, vcc, v82, v1
	v_addc_co_u32_e32 v59, vcc, 0, v83, vcc
	flat_load_dwordx2 v[58:59], v[58:59]
	s_or_b64 exec, exec, s[4:5]
                                        ; implicit-def: $vgpr60_vgpr61
	s_and_saveexec_b64 s[4:5], s[26:27]
	s_cbranch_execnz .LBB725_58
.LBB725_76:
	s_or_b64 exec, exec, s[4:5]
                                        ; implicit-def: $vgpr62_vgpr63
	s_and_saveexec_b64 s[4:5], s[28:29]
	s_cbranch_execz .LBB725_59
.LBB725_77:
	v_lshlrev_b32_e32 v1, 3, v64
	v_add_co_u32_e32 v62, vcc, v82, v1
	v_addc_co_u32_e32 v63, vcc, 0, v83, vcc
	flat_load_dwordx2 v[62:63], v[62:63]
	s_or_b64 exec, exec, s[4:5]
                                        ; implicit-def: $vgpr64_vgpr65
	s_and_saveexec_b64 s[4:5], s[30:31]
	s_cbranch_execnz .LBB725_60
.LBB725_78:
	s_or_b64 exec, exec, s[4:5]
                                        ; implicit-def: $vgpr66_vgpr67
	s_and_saveexec_b64 s[4:5], s[34:35]
	s_cbranch_execz .LBB725_61
.LBB725_79:
	v_lshlrev_b32_e32 v1, 3, v68
	v_add_co_u32_e32 v66, vcc, v82, v1
	v_addc_co_u32_e32 v67, vcc, 0, v83, vcc
	flat_load_dwordx2 v[66:67], v[66:67]
	s_or_b64 exec, exec, s[4:5]
                                        ; implicit-def: $vgpr68_vgpr69
	s_and_saveexec_b64 s[4:5], s[36:37]
	s_cbranch_execnz .LBB725_62
.LBB725_80:
	s_or_b64 exec, exec, s[4:5]
                                        ; implicit-def: $vgpr70_vgpr71
	s_and_saveexec_b64 s[4:5], s[38:39]
	s_cbranch_execz .LBB725_82
.LBB725_81:
	v_lshlrev_b32_e32 v1, 3, v74
	v_add_co_u32_e32 v70, vcc, v82, v1
	v_addc_co_u32_e32 v71, vcc, 0, v83, vcc
	flat_load_dwordx2 v[70:71], v[70:71]
.LBB725_82:
	s_or_b64 exec, exec, s[4:5]
	v_mul_u32_u24_e32 v85, 19, v0
                                        ; implicit-def: $vgpr74_vgpr75
	s_and_saveexec_b64 s[4:5], s[40:41]
	s_cbranch_execz .LBB725_84
; %bb.83:
	v_lshlrev_b32_e32 v1, 3, v86
	v_add_co_u32_e32 v74, vcc, v82, v1
	v_addc_co_u32_e32 v75, vcc, 0, v83, vcc
	flat_load_dwordx2 v[74:75], v[74:75]
.LBB725_84:
	s_or_b64 exec, exec, s[4:5]
	s_waitcnt vmcnt(0) lgkmcnt(0)
	ds_write2st64_b64 v87, v[34:35], v[38:39] offset1:1
	ds_write2st64_b64 v87, v[40:41], v[42:43] offset0:2 offset1:3
	ds_write2st64_b64 v87, v[44:45], v[46:47] offset0:4 offset1:5
	;; [unrolled: 1-line block ×8, first 2 shown]
	ds_write_b64 v87, v[74:75] offset:9216
	v_pk_mov_b32 v[70:71], 0, 0
	v_cmp_gt_u32_e32 vcc, s60, v85
	s_mov_b64 s[10:11], 0
	s_mov_b32 s68, 0
	s_mov_b64 s[4:5], 0
	v_mov_b32_e32 v100, 0
	v_pk_mov_b32 v[40:41], v[70:71], v[70:71] op_sel:[0,1]
	v_mov_b32_e32 v114, 0
	v_pk_mov_b32 v[74:75], v[70:71], v[70:71] op_sel:[0,1]
	;; [unrolled: 2-line block ×17, first 2 shown]
	v_mov_b32_e32 v1, 0
	s_waitcnt lgkmcnt(0)
	; wave barrier
	s_waitcnt lgkmcnt(0)
                                        ; implicit-def: $sgpr8_sgpr9
                                        ; implicit-def: $vgpr34_vgpr35
	s_and_saveexec_b64 s[6:7], vcc
	s_cbranch_execz .LBB725_122
; %bb.85:
	ds_read_b64 v[34:35], v84
	v_cmp_ne_u64_e32 vcc, 0, v[36:37]
	v_mov_b32_e32 v36, s65
	v_add_u32_e32 v38, 1, v85
	v_pk_mov_b32 v[40:41], 0, 0
	s_waitcnt lgkmcnt(0)
	v_cndmask_b32_e32 v71, v35, v36, vcc
	v_mov_b32_e32 v35, s64
	v_cndmask_b32_e64 v1, 0, 1, vcc
	v_cndmask_b32_e32 v70, v34, v35, vcc
	v_cmp_gt_u32_e32 vcc, s60, v38
	v_mov_b32_e32 v100, 0
	v_mov_b32_e32 v114, 0
	v_pk_mov_b32 v[74:75], v[40:41], v[40:41] op_sel:[0,1]
	v_mov_b32_e32 v113, 0
	v_pk_mov_b32 v[68:69], v[40:41], v[40:41] op_sel:[0,1]
	;; [unrolled: 2-line block ×16, first 2 shown]
                                        ; implicit-def: $sgpr14_sgpr15
                                        ; implicit-def: $vgpr34_vgpr35
	s_and_saveexec_b64 s[8:9], vcc
	s_cbranch_execz .LBB725_121
; %bb.86:
	ds_read2_b64 v[34:37], v84 offset0:1 offset1:2
	v_cmp_ne_u64_e32 vcc, 0, v[30:31]
	v_mov_b32_e32 v30, s65
	v_add_u32_e32 v40, 2, v85
	v_cndmask_b32_e64 v98, 0, 1, vcc
	s_waitcnt lgkmcnt(0)
	v_cndmask_b32_e32 v39, v35, v30, vcc
	v_mov_b32_e32 v30, s64
	v_cndmask_b32_e32 v38, v34, v30, vcc
	v_cmp_gt_u32_e32 vcc, s60, v40
	v_pk_mov_b32 v[40:41], 0, 0
	s_mov_b64 s[12:13], 0
	v_mov_b32_e32 v100, 0
	v_mov_b32_e32 v114, 0
	v_pk_mov_b32 v[74:75], v[40:41], v[40:41] op_sel:[0,1]
	v_mov_b32_e32 v113, 0
	v_pk_mov_b32 v[68:69], v[40:41], v[40:41] op_sel:[0,1]
	;; [unrolled: 2-line block ×15, first 2 shown]
                                        ; implicit-def: $sgpr16_sgpr17
                                        ; implicit-def: $vgpr34_vgpr35
	s_and_saveexec_b64 s[10:11], vcc
	s_cbranch_execz .LBB725_120
; %bb.87:
	v_cmp_ne_u64_e32 vcc, 0, v[32:33]
	v_mov_b32_e32 v31, s65
	v_add_u32_e32 v30, 3, v85
	v_cndmask_b32_e32 v47, v37, v31, vcc
	v_mov_b32_e32 v31, s64
	v_pk_mov_b32 v[40:41], 0, 0
	s_mov_b64 s[14:15], 0
	v_cndmask_b32_e64 v99, 0, 1, vcc
	v_cndmask_b32_e32 v46, v36, v31, vcc
	v_cmp_gt_u32_e32 vcc, s60, v30
	v_mov_b32_e32 v100, 0
	v_mov_b32_e32 v114, 0
	v_pk_mov_b32 v[74:75], v[40:41], v[40:41] op_sel:[0,1]
	v_mov_b32_e32 v113, 0
	v_pk_mov_b32 v[68:69], v[40:41], v[40:41] op_sel:[0,1]
	;; [unrolled: 2-line block ×14, first 2 shown]
                                        ; implicit-def: $sgpr18_sgpr19
                                        ; implicit-def: $vgpr34_vgpr35
	s_and_saveexec_b64 s[12:13], vcc
	s_cbranch_execz .LBB725_119
; %bb.88:
	ds_read2_b64 v[30:33], v84 offset0:3 offset1:4
	v_cmp_ne_u64_e32 vcc, 0, v[26:27]
	v_mov_b32_e32 v26, s65
	v_add_u32_e32 v34, 4, v85
	v_pk_mov_b32 v[40:41], 0, 0
	s_waitcnt lgkmcnt(0)
	v_cndmask_b32_e32 v49, v31, v26, vcc
	v_mov_b32_e32 v26, s64
	s_mov_b64 s[16:17], 0
	v_cndmask_b32_e64 v101, 0, 1, vcc
	v_cndmask_b32_e32 v48, v30, v26, vcc
	v_cmp_gt_u32_e32 vcc, s60, v34
	v_mov_b32_e32 v100, 0
	v_mov_b32_e32 v114, 0
	v_pk_mov_b32 v[74:75], v[40:41], v[40:41] op_sel:[0,1]
	v_mov_b32_e32 v113, 0
	v_pk_mov_b32 v[68:69], v[40:41], v[40:41] op_sel:[0,1]
	v_mov_b32_e32 v112, 0
	v_pk_mov_b32 v[66:67], v[40:41], v[40:41] op_sel:[0,1]
	v_mov_b32_e32 v111, 0
	v_pk_mov_b32 v[64:65], v[40:41], v[40:41] op_sel:[0,1]
	v_mov_b32_e32 v110, 0
	v_pk_mov_b32 v[44:45], v[40:41], v[40:41] op_sel:[0,1]
	v_mov_b32_e32 v109, 0
	v_pk_mov_b32 v[42:43], v[40:41], v[40:41] op_sel:[0,1]
	v_mov_b32_e32 v108, 0
	v_pk_mov_b32 v[52:53], v[40:41], v[40:41] op_sel:[0,1]
	v_mov_b32_e32 v107, 0
	v_pk_mov_b32 v[50:51], v[40:41], v[40:41] op_sel:[0,1]
	v_mov_b32_e32 v106, 0
	v_pk_mov_b32 v[56:57], v[40:41], v[40:41] op_sel:[0,1]
	v_mov_b32_e32 v105, 0
	v_pk_mov_b32 v[54:55], v[40:41], v[40:41] op_sel:[0,1]
	v_mov_b32_e32 v104, 0
	v_pk_mov_b32 v[60:61], v[40:41], v[40:41] op_sel:[0,1]
	v_mov_b32_e32 v103, 0
	v_pk_mov_b32 v[58:59], v[40:41], v[40:41] op_sel:[0,1]
	v_mov_b32_e32 v102, 0
	v_pk_mov_b32 v[62:63], v[40:41], v[40:41] op_sel:[0,1]
                                        ; implicit-def: $sgpr20_sgpr21
                                        ; implicit-def: $vgpr34_vgpr35
	s_and_saveexec_b64 s[14:15], vcc
	s_cbranch_execz .LBB725_118
; %bb.89:
	v_cmp_ne_u64_e32 vcc, 0, v[28:29]
	v_mov_b32_e32 v27, s65
	v_add_u32_e32 v26, 5, v85
	v_cndmask_b32_e32 v63, v33, v27, vcc
	v_mov_b32_e32 v27, s64
	v_pk_mov_b32 v[40:41], 0, 0
	s_mov_b64 s[18:19], 0
	v_cndmask_b32_e64 v102, 0, 1, vcc
	v_cndmask_b32_e32 v62, v32, v27, vcc
	v_cmp_gt_u32_e32 vcc, s60, v26
	v_mov_b32_e32 v100, 0
	v_mov_b32_e32 v114, 0
	v_pk_mov_b32 v[74:75], v[40:41], v[40:41] op_sel:[0,1]
	v_mov_b32_e32 v113, 0
	v_pk_mov_b32 v[68:69], v[40:41], v[40:41] op_sel:[0,1]
	;; [unrolled: 2-line block ×12, first 2 shown]
                                        ; implicit-def: $sgpr22_sgpr23
                                        ; implicit-def: $vgpr34_vgpr35
	s_and_saveexec_b64 s[16:17], vcc
	s_cbranch_execz .LBB725_117
; %bb.90:
	ds_read2_b64 v[26:29], v84 offset0:5 offset1:6
	v_cmp_ne_u64_e32 vcc, 0, v[22:23]
	v_mov_b32_e32 v22, s65
	v_add_u32_e32 v30, 6, v85
	v_pk_mov_b32 v[40:41], 0, 0
	s_waitcnt lgkmcnt(0)
	v_cndmask_b32_e32 v59, v27, v22, vcc
	v_mov_b32_e32 v22, s64
	s_mov_b64 s[20:21], 0
	v_cndmask_b32_e64 v103, 0, 1, vcc
	v_cndmask_b32_e32 v58, v26, v22, vcc
	v_cmp_gt_u32_e32 vcc, s60, v30
	v_mov_b32_e32 v100, 0
	v_mov_b32_e32 v114, 0
	v_pk_mov_b32 v[74:75], v[40:41], v[40:41] op_sel:[0,1]
	v_mov_b32_e32 v113, 0
	v_pk_mov_b32 v[68:69], v[40:41], v[40:41] op_sel:[0,1]
	;; [unrolled: 2-line block ×11, first 2 shown]
                                        ; implicit-def: $sgpr24_sgpr25
                                        ; implicit-def: $vgpr34_vgpr35
	s_and_saveexec_b64 s[18:19], vcc
	s_cbranch_execz .LBB725_116
; %bb.91:
	v_cmp_ne_u64_e32 vcc, 0, v[24:25]
	v_mov_b32_e32 v23, s65
	v_add_u32_e32 v22, 7, v85
	v_cndmask_b32_e32 v61, v29, v23, vcc
	v_mov_b32_e32 v23, s64
	v_pk_mov_b32 v[40:41], 0, 0
	s_mov_b64 s[22:23], 0
	v_cndmask_b32_e64 v104, 0, 1, vcc
	v_cndmask_b32_e32 v60, v28, v23, vcc
	v_cmp_gt_u32_e32 vcc, s60, v22
	v_mov_b32_e32 v100, 0
	v_mov_b32_e32 v114, 0
	v_pk_mov_b32 v[74:75], v[40:41], v[40:41] op_sel:[0,1]
	v_mov_b32_e32 v113, 0
	v_pk_mov_b32 v[68:69], v[40:41], v[40:41] op_sel:[0,1]
	;; [unrolled: 2-line block ×10, first 2 shown]
                                        ; implicit-def: $sgpr26_sgpr27
                                        ; implicit-def: $vgpr34_vgpr35
	s_and_saveexec_b64 s[20:21], vcc
	s_cbranch_execz .LBB725_115
; %bb.92:
	ds_read2_b64 v[22:25], v84 offset0:7 offset1:8
	v_cmp_ne_u64_e32 vcc, 0, v[18:19]
	v_mov_b32_e32 v18, s65
	v_add_u32_e32 v26, 8, v85
	v_pk_mov_b32 v[40:41], 0, 0
	s_waitcnt lgkmcnt(0)
	v_cndmask_b32_e32 v55, v23, v18, vcc
	v_mov_b32_e32 v18, s64
	s_mov_b64 s[24:25], 0
	v_cndmask_b32_e64 v105, 0, 1, vcc
	v_cndmask_b32_e32 v54, v22, v18, vcc
	v_cmp_gt_u32_e32 vcc, s60, v26
	v_mov_b32_e32 v100, 0
	v_mov_b32_e32 v114, 0
	v_pk_mov_b32 v[74:75], v[40:41], v[40:41] op_sel:[0,1]
	v_mov_b32_e32 v113, 0
	v_pk_mov_b32 v[68:69], v[40:41], v[40:41] op_sel:[0,1]
	;; [unrolled: 2-line block ×9, first 2 shown]
                                        ; implicit-def: $sgpr28_sgpr29
                                        ; implicit-def: $vgpr34_vgpr35
	s_and_saveexec_b64 s[22:23], vcc
	s_cbranch_execz .LBB725_114
; %bb.93:
	v_cmp_ne_u64_e32 vcc, 0, v[20:21]
	v_mov_b32_e32 v19, s65
	v_add_u32_e32 v18, 9, v85
	v_cndmask_b32_e32 v57, v25, v19, vcc
	v_mov_b32_e32 v19, s64
	v_pk_mov_b32 v[40:41], 0, 0
	s_mov_b64 s[26:27], 0
	v_cndmask_b32_e64 v106, 0, 1, vcc
	v_cndmask_b32_e32 v56, v24, v19, vcc
	v_cmp_gt_u32_e32 vcc, s60, v18
	v_mov_b32_e32 v100, 0
	v_mov_b32_e32 v114, 0
	v_pk_mov_b32 v[74:75], v[40:41], v[40:41] op_sel:[0,1]
	v_mov_b32_e32 v113, 0
	v_pk_mov_b32 v[68:69], v[40:41], v[40:41] op_sel:[0,1]
	;; [unrolled: 2-line block ×8, first 2 shown]
                                        ; implicit-def: $sgpr30_sgpr31
                                        ; implicit-def: $vgpr34_vgpr35
	s_and_saveexec_b64 s[24:25], vcc
	s_cbranch_execz .LBB725_113
; %bb.94:
	ds_read2_b64 v[18:21], v84 offset0:9 offset1:10
	v_cmp_ne_u64_e32 vcc, 0, v[14:15]
	v_mov_b32_e32 v14, s65
	v_add_u32_e32 v22, 10, v85
	v_pk_mov_b32 v[40:41], 0, 0
	s_waitcnt lgkmcnt(0)
	v_cndmask_b32_e32 v51, v19, v14, vcc
	v_mov_b32_e32 v14, s64
	s_mov_b64 s[28:29], 0
	v_cndmask_b32_e64 v107, 0, 1, vcc
	v_cndmask_b32_e32 v50, v18, v14, vcc
	v_cmp_gt_u32_e32 vcc, s60, v22
	v_mov_b32_e32 v100, 0
	v_mov_b32_e32 v114, 0
	v_pk_mov_b32 v[74:75], v[40:41], v[40:41] op_sel:[0,1]
	v_mov_b32_e32 v113, 0
	v_pk_mov_b32 v[68:69], v[40:41], v[40:41] op_sel:[0,1]
	;; [unrolled: 2-line block ×7, first 2 shown]
                                        ; implicit-def: $sgpr34_sgpr35
                                        ; implicit-def: $vgpr34_vgpr35
	s_and_saveexec_b64 s[26:27], vcc
	s_cbranch_execz .LBB725_112
; %bb.95:
	v_cmp_ne_u64_e32 vcc, 0, v[16:17]
	v_mov_b32_e32 v15, s65
	v_add_u32_e32 v14, 11, v85
	v_cndmask_b32_e32 v53, v21, v15, vcc
	v_mov_b32_e32 v15, s64
	v_pk_mov_b32 v[40:41], 0, 0
	s_mov_b64 s[30:31], 0
	v_cndmask_b32_e64 v108, 0, 1, vcc
	v_cndmask_b32_e32 v52, v20, v15, vcc
	v_cmp_gt_u32_e32 vcc, s60, v14
	v_mov_b32_e32 v100, 0
	v_mov_b32_e32 v114, 0
	v_pk_mov_b32 v[74:75], v[40:41], v[40:41] op_sel:[0,1]
	v_mov_b32_e32 v113, 0
	v_pk_mov_b32 v[68:69], v[40:41], v[40:41] op_sel:[0,1]
	;; [unrolled: 2-line block ×6, first 2 shown]
                                        ; implicit-def: $sgpr36_sgpr37
                                        ; implicit-def: $vgpr34_vgpr35
	s_and_saveexec_b64 s[28:29], vcc
	s_cbranch_execz .LBB725_111
; %bb.96:
	ds_read2_b64 v[14:17], v84 offset0:11 offset1:12
	v_cmp_ne_u64_e32 vcc, 0, v[10:11]
	v_mov_b32_e32 v10, s65
	v_add_u32_e32 v18, 12, v85
	v_pk_mov_b32 v[40:41], 0, 0
	s_waitcnt lgkmcnt(0)
	v_cndmask_b32_e32 v43, v15, v10, vcc
	v_mov_b32_e32 v10, s64
	s_mov_b64 s[34:35], 0
	v_cndmask_b32_e64 v109, 0, 1, vcc
	v_cndmask_b32_e32 v42, v14, v10, vcc
	v_cmp_gt_u32_e32 vcc, s60, v18
	v_mov_b32_e32 v100, 0
	v_mov_b32_e32 v114, 0
	v_pk_mov_b32 v[74:75], v[40:41], v[40:41] op_sel:[0,1]
	v_mov_b32_e32 v113, 0
	v_pk_mov_b32 v[68:69], v[40:41], v[40:41] op_sel:[0,1]
	v_mov_b32_e32 v112, 0
	v_pk_mov_b32 v[66:67], v[40:41], v[40:41] op_sel:[0,1]
	v_mov_b32_e32 v111, 0
	v_pk_mov_b32 v[64:65], v[40:41], v[40:41] op_sel:[0,1]
	v_mov_b32_e32 v110, 0
	v_pk_mov_b32 v[44:45], v[40:41], v[40:41] op_sel:[0,1]
                                        ; implicit-def: $sgpr38_sgpr39
                                        ; implicit-def: $vgpr34_vgpr35
	s_and_saveexec_b64 s[30:31], vcc
	s_cbranch_execz .LBB725_110
; %bb.97:
	v_cmp_ne_u64_e32 vcc, 0, v[12:13]
	v_mov_b32_e32 v11, s65
	v_add_u32_e32 v10, 13, v85
	v_cndmask_b32_e32 v45, v17, v11, vcc
	v_mov_b32_e32 v11, s64
	v_pk_mov_b32 v[40:41], 0, 0
	s_mov_b64 s[36:37], 0
	v_cndmask_b32_e64 v110, 0, 1, vcc
	v_cndmask_b32_e32 v44, v16, v11, vcc
	v_cmp_gt_u32_e32 vcc, s60, v10
	v_mov_b32_e32 v100, 0
	v_mov_b32_e32 v114, 0
	v_pk_mov_b32 v[74:75], v[40:41], v[40:41] op_sel:[0,1]
	v_mov_b32_e32 v113, 0
	v_pk_mov_b32 v[68:69], v[40:41], v[40:41] op_sel:[0,1]
	;; [unrolled: 2-line block ×4, first 2 shown]
                                        ; implicit-def: $sgpr40_sgpr41
                                        ; implicit-def: $vgpr34_vgpr35
	s_and_saveexec_b64 s[34:35], vcc
	s_cbranch_execz .LBB725_109
; %bb.98:
	ds_read2_b64 v[10:13], v84 offset0:13 offset1:14
	v_cmp_ne_u64_e32 vcc, 0, v[6:7]
	v_mov_b32_e32 v6, s65
	v_add_u32_e32 v14, 14, v85
	v_pk_mov_b32 v[40:41], 0, 0
	s_waitcnt lgkmcnt(0)
	v_cndmask_b32_e32 v65, v11, v6, vcc
	v_mov_b32_e32 v6, s64
	s_mov_b64 s[38:39], 0
	v_cndmask_b32_e64 v111, 0, 1, vcc
	v_cndmask_b32_e32 v64, v10, v6, vcc
	v_cmp_gt_u32_e32 vcc, s60, v14
	v_mov_b32_e32 v100, 0
	v_mov_b32_e32 v114, 0
	v_pk_mov_b32 v[74:75], v[40:41], v[40:41] op_sel:[0,1]
	v_mov_b32_e32 v113, 0
	v_pk_mov_b32 v[68:69], v[40:41], v[40:41] op_sel:[0,1]
	;; [unrolled: 2-line block ×3, first 2 shown]
                                        ; implicit-def: $sgpr42_sgpr43
                                        ; implicit-def: $vgpr34_vgpr35
	s_and_saveexec_b64 s[36:37], vcc
	s_cbranch_execz .LBB725_108
; %bb.99:
	v_cmp_ne_u64_e32 vcc, 0, v[8:9]
	v_mov_b32_e32 v7, s65
	v_add_u32_e32 v6, 15, v85
	v_cndmask_b32_e32 v67, v13, v7, vcc
	v_mov_b32_e32 v7, s64
	v_pk_mov_b32 v[40:41], 0, 0
	s_mov_b64 s[40:41], 0
	v_cndmask_b32_e64 v112, 0, 1, vcc
	v_cndmask_b32_e32 v66, v12, v7, vcc
	v_cmp_gt_u32_e32 vcc, s60, v6
	v_mov_b32_e32 v100, 0
	v_mov_b32_e32 v114, 0
	v_pk_mov_b32 v[74:75], v[40:41], v[40:41] op_sel:[0,1]
	v_mov_b32_e32 v113, 0
	v_pk_mov_b32 v[68:69], v[40:41], v[40:41] op_sel:[0,1]
                                        ; implicit-def: $sgpr52_sgpr53
                                        ; implicit-def: $vgpr34_vgpr35
	s_and_saveexec_b64 s[38:39], vcc
	s_cbranch_execz .LBB725_107
; %bb.100:
	ds_read2_b64 v[6:9], v84 offset0:15 offset1:16
	v_cmp_ne_u64_e32 vcc, 0, v[2:3]
	v_mov_b32_e32 v2, s65
	v_add_u32_e32 v10, 16, v85
	v_pk_mov_b32 v[40:41], 0, 0
	s_waitcnt lgkmcnt(0)
	v_cndmask_b32_e32 v69, v7, v2, vcc
	v_mov_b32_e32 v2, s64
	s_mov_b64 s[42:43], 0
	v_cndmask_b32_e64 v113, 0, 1, vcc
	v_cndmask_b32_e32 v68, v6, v2, vcc
	v_cmp_gt_u32_e32 vcc, s60, v10
	v_mov_b32_e32 v100, 0
	v_mov_b32_e32 v114, 0
	v_pk_mov_b32 v[74:75], v[40:41], v[40:41] op_sel:[0,1]
                                        ; implicit-def: $sgpr56_sgpr57
                                        ; implicit-def: $vgpr34_vgpr35
	s_and_saveexec_b64 s[40:41], vcc
	s_cbranch_execz .LBB725_106
; %bb.101:
	v_cmp_ne_u64_e32 vcc, 0, v[4:5]
	v_mov_b32_e32 v3, s65
	v_add_u32_e32 v2, 17, v85
	v_cndmask_b32_e32 v75, v9, v3, vcc
	v_mov_b32_e32 v3, s64
	s_mov_b64 s[52:53], 0
	v_cndmask_b32_e64 v114, 0, 1, vcc
	v_cndmask_b32_e32 v74, v8, v3, vcc
	v_cmp_gt_u32_e32 vcc, s60, v2
	v_mov_b32_e32 v100, 0
	v_pk_mov_b32 v[40:41], 0, 0
                                        ; implicit-def: $sgpr56_sgpr57
                                        ; implicit-def: $vgpr34_vgpr35
	s_and_saveexec_b64 s[42:43], vcc
	s_cbranch_execz .LBB725_105
; %bb.102:
	ds_read2_b64 v[2:5], v84 offset0:17 offset1:18
	v_cmp_ne_u64_e32 vcc, 0, v[80:81]
	v_mov_b32_e32 v7, s65
	v_add_u32_e32 v6, 18, v85
	v_cndmask_b32_e64 v100, 0, 1, vcc
	s_waitcnt lgkmcnt(0)
	v_cndmask_b32_e32 v41, v3, v7, vcc
	v_mov_b32_e32 v3, s64
	v_cndmask_b32_e32 v40, v2, v3, vcc
	v_cmp_gt_u32_e32 vcc, s60, v6
                                        ; implicit-def: $sgpr56_sgpr57
                                        ; implicit-def: $vgpr34_vgpr35
	s_and_saveexec_b64 s[60:61], vcc
	s_xor_b64 s[60:61], exec, s[60:61]
; %bb.103:
	v_mov_b32_e32 v2, s65
	v_cmp_ne_u64_e32 vcc, 0, v[78:79]
	v_cndmask_b32_e32 v35, v5, v2, vcc
	v_mov_b32_e32 v2, s64
	s_mov_b64 s[52:53], exec
	v_cndmask_b32_e32 v34, v4, v2, vcc
	s_and_b64 s[56:57], vcc, exec
; %bb.104:
	s_or_b64 exec, exec, s[60:61]
	s_and_b64 s[56:57], s[56:57], exec
	s_and_b64 s[52:53], s[52:53], exec
.LBB725_105:
	s_or_b64 exec, exec, s[42:43]
	s_and_b64 s[56:57], s[56:57], exec
	s_and_b64 s[42:43], s[52:53], exec
.LBB725_106:
	s_or_b64 exec, exec, s[40:41]
	s_and_b64 s[52:53], s[56:57], exec
	s_and_b64 s[40:41], s[42:43], exec
.LBB725_107:
	s_or_b64 exec, exec, s[38:39]
	s_and_b64 s[42:43], s[52:53], exec
	s_and_b64 s[38:39], s[40:41], exec
.LBB725_108:
	s_or_b64 exec, exec, s[36:37]
	s_and_b64 s[40:41], s[42:43], exec
	s_and_b64 s[36:37], s[38:39], exec
.LBB725_109:
	s_or_b64 exec, exec, s[34:35]
	s_and_b64 s[38:39], s[40:41], exec
	s_and_b64 s[34:35], s[36:37], exec
.LBB725_110:
	s_or_b64 exec, exec, s[30:31]
	s_and_b64 s[36:37], s[38:39], exec
	s_and_b64 s[30:31], s[34:35], exec
.LBB725_111:
	s_or_b64 exec, exec, s[28:29]
	s_and_b64 s[34:35], s[36:37], exec
	s_and_b64 s[28:29], s[30:31], exec
.LBB725_112:
	s_or_b64 exec, exec, s[26:27]
	s_and_b64 s[30:31], s[34:35], exec
	s_and_b64 s[26:27], s[28:29], exec
.LBB725_113:
	s_or_b64 exec, exec, s[24:25]
	s_and_b64 s[28:29], s[30:31], exec
	s_and_b64 s[24:25], s[26:27], exec
.LBB725_114:
	s_or_b64 exec, exec, s[22:23]
	s_and_b64 s[26:27], s[28:29], exec
	s_and_b64 s[22:23], s[24:25], exec
.LBB725_115:
	s_or_b64 exec, exec, s[20:21]
	s_and_b64 s[24:25], s[26:27], exec
	s_and_b64 s[20:21], s[22:23], exec
.LBB725_116:
	s_or_b64 exec, exec, s[18:19]
	s_and_b64 s[22:23], s[24:25], exec
	s_and_b64 s[18:19], s[20:21], exec
.LBB725_117:
	s_or_b64 exec, exec, s[16:17]
	s_and_b64 s[20:21], s[22:23], exec
	s_and_b64 s[16:17], s[18:19], exec
.LBB725_118:
	s_or_b64 exec, exec, s[14:15]
	s_and_b64 s[18:19], s[20:21], exec
	s_and_b64 s[14:15], s[16:17], exec
.LBB725_119:
	s_or_b64 exec, exec, s[12:13]
	s_and_b64 s[16:17], s[18:19], exec
	s_and_b64 s[12:13], s[14:15], exec
.LBB725_120:
	s_or_b64 exec, exec, s[10:11]
	s_and_b64 s[14:15], s[16:17], exec
	s_and_b64 s[10:11], s[12:13], exec
.LBB725_121:
	s_or_b64 exec, exec, s[8:9]
	s_and_b64 s[8:9], s[14:15], exec
	s_and_b64 s[10:11], s[10:11], exec
.LBB725_122:
	s_or_b64 exec, exec, s[6:7]
	s_mov_b64 s[6:7], 0
	s_and_b64 vcc, exec, s[4:5]
	v_lshlrev_b32_e32 v115, 3, v0
	s_cbranch_vccz .LBB725_128
.LBB725_123:
	v_add_co_u32_e32 v2, vcc, v76, v115
	v_addc_co_u32_e32 v3, vcc, 0, v77, vcc
	v_add_co_u32_e32 v20, vcc, 0x1000, v2
	v_addc_co_u32_e32 v21, vcc, 0, v3, vcc
	flat_load_dwordx2 v[4:5], v[2:3]
	flat_load_dwordx2 v[6:7], v[2:3] offset:512
	flat_load_dwordx2 v[8:9], v[2:3] offset:1024
	;; [unrolled: 1-line block ×7, first 2 shown]
	v_add_co_u32_e32 v2, vcc, 0x2000, v2
	v_addc_co_u32_e32 v3, vcc, 0, v3, vcc
	flat_load_dwordx2 v[22:23], v[20:21]
	flat_load_dwordx2 v[24:25], v[20:21] offset:512
	flat_load_dwordx2 v[26:27], v[20:21] offset:1024
	;; [unrolled: 1-line block ×7, first 2 shown]
	s_nop 0
	flat_load_dwordx2 v[20:21], v[2:3]
	flat_load_dwordx2 v[38:39], v[2:3] offset:512
	flat_load_dwordx2 v[40:41], v[2:3] offset:1024
	v_add_co_u32_e32 v2, vcc, 0x2000, v76
	v_addc_co_u32_e32 v3, vcc, 0, v77, vcc
	s_movk_i32 s4, 0x90
	v_mad_u32_u24 v1, v0, s4, v115
	s_movk_i32 s4, 0xff70
	s_movk_i32 s7, 0x1000
	;; [unrolled: 1-line block ×3, first 2 shown]
	v_cmp_ne_u32_e32 vcc, 63, v0
	s_waitcnt vmcnt(0) lgkmcnt(0)
	ds_write2st64_b64 v115, v[4:5], v[6:7] offset1:1
	ds_write2st64_b64 v115, v[8:9], v[10:11] offset0:2 offset1:3
	ds_write2st64_b64 v115, v[12:13], v[14:15] offset0:4 offset1:5
	;; [unrolled: 1-line block ×8, first 2 shown]
	ds_write_b64 v115, v[40:41] offset:9216
	s_waitcnt lgkmcnt(0)
	; wave barrier
	s_waitcnt lgkmcnt(0)
	flat_load_dwordx2 v[76:77], v[2:3] offset:1536
	v_mad_i32_i24 v2, v0, s4, v1
	ds_read2_b64 v[68:71], v1 offset1:1
	ds_read2_b64 v[46:49], v1 offset0:2 offset1:3
	ds_read2_b64 v[38:41], v1 offset0:4 offset1:5
	;; [unrolled: 1-line block ×8, first 2 shown]
	ds_read_b64 v[74:75], v1 offset:144
	s_waitcnt lgkmcnt(0)
	ds_write_b64 v2, v[68:69] offset:10240
	s_waitcnt lgkmcnt(0)
	; wave barrier
	s_waitcnt lgkmcnt(0)
	s_and_saveexec_b64 s[4:5], vcc
	s_cbranch_execz .LBB725_125
; %bb.124:
	s_waitcnt vmcnt(0)
	ds_read_b64 v[76:77], v115 offset:10248
.LBB725_125:
	s_or_b64 exec, exec, s[4:5]
	v_add_co_u32_e32 v2, vcc, v82, v115
	v_addc_co_u32_e32 v3, vcc, 0, v83, vcc
	v_add_co_u32_e32 v52, vcc, s7, v2
	v_addc_co_u32_e32 v53, vcc, 0, v3, vcc
	s_waitcnt lgkmcnt(0)
	; wave barrier
	s_waitcnt lgkmcnt(0)
	flat_load_dwordx2 v[4:5], v[2:3]
	flat_load_dwordx2 v[10:11], v[2:3] offset:512
	flat_load_dwordx2 v[12:13], v[2:3] offset:1024
	;; [unrolled: 1-line block ×7, first 2 shown]
	v_add_co_u32_e32 v2, vcc, s6, v2
	v_addc_co_u32_e32 v3, vcc, 0, v3, vcc
	flat_load_dwordx2 v[54:55], v[52:53]
	flat_load_dwordx2 v[56:57], v[52:53] offset:512
	flat_load_dwordx2 v[58:59], v[52:53] offset:1024
	;; [unrolled: 1-line block ×7, first 2 shown]
	s_nop 0
	flat_load_dwordx2 v[52:53], v[2:3]
	flat_load_dwordx2 v[78:79], v[2:3] offset:512
	flat_load_dwordx2 v[80:81], v[2:3] offset:1024
	v_cmp_ne_u64_e32 vcc, 0, v[70:71]
	v_cmp_eq_u64_e64 s[4:5], 0, v[70:71]
	v_pk_mov_b32 v[70:71], s[64:65], s[64:65] op_sel:[0,1]
	s_waitcnt vmcnt(0) lgkmcnt(0)
	ds_write2st64_b64 v115, v[4:5], v[10:11] offset1:1
	ds_write2st64_b64 v115, v[12:13], v[26:27] offset0:2 offset1:3
	ds_write2st64_b64 v115, v[28:29], v[42:43] offset0:4 offset1:5
	;; [unrolled: 1-line block ×8, first 2 shown]
	ds_write_b64 v115, v[80:81] offset:9216
	s_waitcnt lgkmcnt(0)
	; wave barrier
	s_waitcnt lgkmcnt(0)
	ds_read2_b64 v[66:69], v1 offset0:1 offset1:2
	ds_read2_b64 v[62:65], v1 offset0:3 offset1:4
	;; [unrolled: 1-line block ×9, first 2 shown]
	s_and_saveexec_b64 s[6:7], s[4:5]
	s_cbranch_execz .LBB725_127
; %bb.126:
	ds_read_b64 v[70:71], v1
.LBB725_127:
	s_or_b64 exec, exec, s[6:7]
	v_cmp_ne_u64_e64 s[6:7], 0, v[38:39]
	v_cmp_ne_u64_e64 s[8:9], 0, v[40:41]
	;; [unrolled: 1-line block ×3, first 2 shown]
	v_mov_b32_e32 v6, s65
	v_mov_b32_e32 v7, s64
	v_cndmask_b32_e64 v1, 0, 1, vcc
	v_cmp_ne_u64_e32 vcc, 0, v[46:47]
	v_cmp_ne_u64_e64 s[4:5], 0, v[48:49]
	v_cndmask_b32_e64 v102, 0, 1, s[8:9]
	v_cmp_ne_u64_e64 s[10:11], 0, v[34:35]
	v_cmp_ne_u64_e64 s[12:13], 0, v[36:37]
	;; [unrolled: 1-line block ×12, first 2 shown]
	s_waitcnt lgkmcnt(7)
	v_cndmask_b32_e64 v49, v63, v6, s[6:7]
	v_cndmask_b32_e64 v48, v62, v7, s[6:7]
	;; [unrolled: 1-line block ×4, first 2 shown]
	v_cmp_ne_u64_e64 s[8:9], 0, v[76:77]
	v_cndmask_b32_e64 v98, 0, 1, vcc
	v_cndmask_b32_e64 v99, 0, 1, s[4:5]
	v_cndmask_b32_e64 v101, 0, 1, s[6:7]
	;; [unrolled: 1-line block ×15, first 2 shown]
	v_cndmask_b32_e32 v39, v67, v6, vcc
	v_cndmask_b32_e32 v38, v66, v7, vcc
	v_cndmask_b32_e64 v47, v69, v6, s[4:5]
	v_cndmask_b32_e64 v46, v68, v7, s[4:5]
	s_waitcnt lgkmcnt(6)
	v_cndmask_b32_e64 v59, v59, v6, s[10:11]
	v_cndmask_b32_e64 v58, v58, v7, s[10:11]
	v_cndmask_b32_e64 v61, v61, v6, s[12:13]
	v_cndmask_b32_e64 v60, v60, v7, s[12:13]
	s_waitcnt lgkmcnt(5)
	v_cndmask_b32_e64 v55, v55, v6, s[14:15]
	v_cndmask_b32_e64 v54, v54, v7, s[14:15]
	;; [unrolled: 5-line block ×7, first 2 shown]
	v_cndmask_b32_e64 v35, v5, v6, s[8:9]
	v_cndmask_b32_e64 v34, v4, v7, s[8:9]
	s_mov_b64 s[10:11], -1
                                        ; implicit-def: $sgpr68
                                        ; implicit-def: $sgpr6_sgpr7
.LBB725_128:
	v_pk_mov_b32 v[76:77], s[6:7], s[6:7] op_sel:[0,1]
	v_mov_b32_e32 v116, s68
	s_and_saveexec_b64 s[4:5], s[10:11]
; %bb.129:
	v_cndmask_b32_e64 v116, 0, 1, s[8:9]
	v_pk_mov_b32 v[76:77], v[34:35], v[34:35] op_sel:[0,1]
; %bb.130:
	s_or_b64 exec, exec, s[4:5]
	v_or_b32_e32 v2, v116, v100
	s_cmp_lg_u32 s51, 0
	v_or_b32_e32 v118, v2, v114
	v_mbcnt_lo_u32_b32 v117, -1, 0
	s_waitcnt lgkmcnt(0)
	; wave barrier
	s_waitcnt lgkmcnt(0)
	s_cbranch_scc0 .LBB725_193
; %bb.131:
	v_mov_b32_e32 v2, 0
	v_cmp_eq_u16_sdwa s[38:39], v98, v2 src0_sel:BYTE_0 src1_sel:DWORD
	v_cndmask_b32_e64 v4, 0, v70, s[38:39]
	v_cndmask_b32_e64 v3, 0, v71, s[38:39]
	v_add_co_u32_e32 v4, vcc, v4, v38
	v_cmp_eq_u16_sdwa s[36:37], v99, v2 src0_sel:BYTE_0 src1_sel:DWORD
	v_addc_co_u32_e32 v3, vcc, v3, v39, vcc
	v_cndmask_b32_e64 v4, 0, v4, s[36:37]
	v_cndmask_b32_e64 v3, 0, v3, s[36:37]
	v_add_co_u32_e32 v4, vcc, v4, v46
	v_cmp_eq_u16_sdwa s[34:35], v101, v2 src0_sel:BYTE_0 src1_sel:DWORD
	v_addc_co_u32_e32 v3, vcc, v3, v47, vcc
	;; [unrolled: 5-line block ×16, first 2 shown]
	v_cndmask_b32_e64 v4, 0, v4, s[4:5]
	v_cndmask_b32_e64 v3, 0, v3, s[4:5]
	v_add_co_u32_e32 v4, vcc, v4, v40
	v_addc_co_u32_e32 v3, vcc, v3, v41, vcc
	v_cmp_eq_u16_sdwa vcc, v116, v2 src0_sel:BYTE_0 src1_sel:DWORD
	v_cndmask_b32_e32 v2, 0, v4, vcc
	v_or_b32_e32 v4, v118, v113
	v_or_b32_e32 v4, v4, v112
	;; [unrolled: 1-line block ×15, first 2 shown]
	v_cndmask_b32_e32 v3, 0, v3, vcc
	v_add_co_u32_e32 v2, vcc, v2, v76
	v_or_b32_e32 v4, v4, v1
	v_mbcnt_hi_u32_b32 v5, -1, v117
	v_addc_co_u32_e32 v3, vcc, v3, v77, vcc
	v_and_b32_e32 v4, 1, v4
	v_and_b32_e32 v7, 15, v5
	v_cmp_eq_u32_e32 vcc, 1, v4
	v_mov_b32_dpp v9, v2 row_shr:1 row_mask:0xf bank_mask:0xf
	v_mov_b32_dpp v10, v3 row_shr:1 row_mask:0xf bank_mask:0xf
	;; [unrolled: 1-line block ×3, first 2 shown]
	v_cmp_ne_u32_e64 s[40:41], 0, v7
	v_mov_b32_e32 v6, v4
	s_and_saveexec_b64 s[42:43], s[40:41]
; %bb.132:
	v_cndmask_b32_e64 v9, v9, 0, vcc
	v_cndmask_b32_e64 v6, v10, 0, vcc
	v_add_co_u32_e32 v2, vcc, v9, v2
	v_addc_co_u32_e32 v3, vcc, v6, v3, vcc
	v_and_b32_e32 v6, 1, v8
	v_or_b32_e32 v4, v6, v4
	v_and_b32_e32 v6, 0xffff, v4
; %bb.133:
	s_or_b64 exec, exec, s[42:43]
	v_mov_b32_dpp v9, v2 row_shr:2 row_mask:0xf bank_mask:0xf
	v_mov_b32_dpp v10, v3 row_shr:2 row_mask:0xf bank_mask:0xf
	v_mov_b32_dpp v8, v6 row_shr:2 row_mask:0xf bank_mask:0xf
	v_cmp_lt_u32_e32 vcc, 1, v7
	s_and_saveexec_b64 s[42:43], vcc
	s_cbranch_execz .LBB725_135
; %bb.134:
	v_cmp_eq_u16_e32 vcc, 0, v4
	v_cndmask_b32_e32 v9, 0, v9, vcc
	v_cndmask_b32_e32 v6, 0, v10, vcc
	v_add_co_u32_e32 v2, vcc, v9, v2
	v_addc_co_u32_e32 v3, vcc, v6, v3, vcc
	v_and_b32_e32 v4, 1, v4
	v_cmp_eq_u32_e32 vcc, 1, v4
	v_and_b32_e32 v4, 1, v8
	v_cmp_eq_u32_e64 s[40:41], 1, v4
	s_or_b64 s[40:41], vcc, s[40:41]
	v_cndmask_b32_e64 v4, 0, 1, s[40:41]
	v_cndmask_b32_e64 v6, 0, 1, s[40:41]
.LBB725_135:
	s_or_b64 exec, exec, s[42:43]
	v_mov_b32_dpp v9, v2 row_shr:4 row_mask:0xf bank_mask:0xf
	v_mov_b32_dpp v10, v3 row_shr:4 row_mask:0xf bank_mask:0xf
	v_mov_b32_dpp v8, v6 row_shr:4 row_mask:0xf bank_mask:0xf
	v_cmp_lt_u32_e32 vcc, 3, v7
	s_and_saveexec_b64 s[42:43], vcc
	s_cbranch_execz .LBB725_137
; %bb.136:
	v_cmp_eq_u16_e32 vcc, 0, v4
	v_cndmask_b32_e32 v9, 0, v9, vcc
	v_cndmask_b32_e32 v6, 0, v10, vcc
	v_add_co_u32_e32 v2, vcc, v9, v2
	v_addc_co_u32_e32 v3, vcc, v6, v3, vcc
	v_and_b32_e32 v4, 1, v4
	v_cmp_eq_u32_e32 vcc, 1, v4
	v_and_b32_e32 v4, 1, v8
	v_cmp_eq_u32_e64 s[40:41], 1, v4
	s_or_b64 s[40:41], vcc, s[40:41]
	v_cndmask_b32_e64 v4, 0, 1, s[40:41]
	v_cndmask_b32_e64 v6, 0, 1, s[40:41]
.LBB725_137:
	;; [unrolled: 21-line block ×3, first 2 shown]
	s_or_b64 exec, exec, s[42:43]
	v_and_b32_e32 v10, 16, v5
	v_mov_b32_dpp v8, v2 row_bcast:15 row_mask:0xf bank_mask:0xf
	v_mov_b32_dpp v9, v3 row_bcast:15 row_mask:0xf bank_mask:0xf
	;; [unrolled: 1-line block ×3, first 2 shown]
	v_cmp_ne_u32_e32 vcc, 0, v10
	s_and_saveexec_b64 s[42:43], vcc
	s_cbranch_execz .LBB725_141
; %bb.140:
	v_cmp_eq_u16_e32 vcc, 0, v4
	v_cndmask_b32_e32 v8, 0, v8, vcc
	v_cndmask_b32_e32 v6, 0, v9, vcc
	v_add_co_u32_e32 v2, vcc, v8, v2
	v_addc_co_u32_e32 v3, vcc, v6, v3, vcc
	v_and_b32_e32 v4, 1, v4
	v_cmp_eq_u32_e32 vcc, 1, v4
	v_and_b32_e32 v4, 1, v7
	v_cmp_eq_u32_e64 s[40:41], 1, v4
	s_or_b64 s[40:41], vcc, s[40:41]
	v_cndmask_b32_e64 v4, 0, 1, s[40:41]
	v_cndmask_b32_e64 v6, 0, 1, s[40:41]
.LBB725_141:
	s_or_b64 exec, exec, s[42:43]
	v_mov_b32_dpp v7, v2 row_bcast:31 row_mask:0xf bank_mask:0xf
	v_mov_b32_dpp v8, v3 row_bcast:31 row_mask:0xf bank_mask:0xf
	;; [unrolled: 1-line block ×3, first 2 shown]
	v_cmp_lt_u32_e32 vcc, 31, v5
	s_and_saveexec_b64 s[42:43], vcc
; %bb.142:
	v_cmp_eq_u16_e32 vcc, 0, v4
	v_cndmask_b32_e32 v7, 0, v7, vcc
	v_cndmask_b32_e32 v8, 0, v8, vcc
	v_add_co_u32_e32 v2, vcc, v7, v2
	v_addc_co_u32_e32 v3, vcc, v8, v3, vcc
	v_and_b32_e32 v4, 1, v4
	v_cmp_eq_u32_e32 vcc, 1, v4
	v_and_b32_e32 v4, 1, v6
	v_cmp_eq_u32_e64 s[40:41], 1, v4
	s_or_b64 s[40:41], vcc, s[40:41]
	v_cndmask_b32_e64 v4, 0, 1, s[40:41]
; %bb.143:
	s_or_b64 exec, exec, s[42:43]
	v_cmp_eq_u32_e32 vcc, 63, v0
	s_and_saveexec_b64 s[40:41], vcc
	s_cbranch_execz .LBB725_145
; %bb.144:
	v_mov_b32_e32 v6, 0
	ds_write_b64 v6, v[2:3]
	ds_write_b8 v6, v4 offset:8
.LBB725_145:
	s_or_b64 exec, exec, s[40:41]
	v_add_u32_e32 v6, -1, v5
	v_and_b32_e32 v7, 64, v5
	v_cmp_lt_i32_e32 vcc, v6, v7
	v_cndmask_b32_e32 v6, v6, v5, vcc
	v_lshlrev_b32_e32 v6, 2, v6
	ds_bpermute_b32 v12, v6, v2
	v_and_b32_e32 v2, 0xffff, v4
	ds_bpermute_b32 v13, v6, v3
	ds_bpermute_b32 v14, v6, v2
	v_cmp_gt_u32_e32 vcc, 64, v0
	s_waitcnt lgkmcnt(0)
	; wave barrier
	s_waitcnt lgkmcnt(0)
	s_and_saveexec_b64 s[52:53], vcc
	s_cbranch_execz .LBB725_192
; %bb.146:
	v_mov_b32_e32 v7, 0
	ds_read_b64 v[2:3], v7
	ds_read_u8 v15, v7 offset:8
	s_mov_b32 s57, 0
	v_cmp_eq_u32_e64 s[40:41], 0, v5
	s_and_saveexec_b64 s[42:43], s[40:41]
	s_cbranch_execz .LBB725_148
; %bb.147:
	s_add_i32 s56, s51, 64
	s_lshl_b64 s[60:61], s[56:57], 4
	s_add_u32 s60, s44, s60
	s_addc_u32 s61, s45, s61
	v_mov_b32_e32 v4, s56
	v_mov_b32_e32 v6, 1
	s_waitcnt lgkmcnt(1)
	global_store_dwordx2 v7, v[2:3], s[60:61]
	s_waitcnt lgkmcnt(0)
	global_store_byte v7, v15, s[60:61] offset:8
	s_waitcnt vmcnt(0)
	buffer_wbinvl1_vol
	global_store_byte v4, v6, s[48:49]
.LBB725_148:
	s_or_b64 exec, exec, s[42:43]
	v_xad_u32 v4, v5, -1, s51
	v_add_u32_e32 v6, 64, v4
	global_load_ubyte v16, v6, s[48:49] glc
	s_waitcnt vmcnt(0)
	v_cmp_eq_u16_e32 vcc, 0, v16
	s_and_saveexec_b64 s[42:43], vcc
	s_cbranch_execz .LBB725_154
; %bb.149:
	v_mov_b32_e32 v9, s49
	v_add_co_u32_e32 v8, vcc, s48, v6
	v_addc_co_u32_e32 v9, vcc, 0, v9, vcc
	s_mov_b32 s60, 1
	s_mov_b64 s[56:57], 0
.LBB725_150:                            ; =>This Loop Header: Depth=1
                                        ;     Child Loop BB725_151 Depth 2
	s_max_u32 s61, s60, 1
.LBB725_151:                            ;   Parent Loop BB725_150 Depth=1
                                        ; =>  This Inner Loop Header: Depth=2
	s_add_i32 s61, s61, -1
	s_cmp_eq_u32 s61, 0
	s_sleep 1
	s_cbranch_scc0 .LBB725_151
; %bb.152:                              ;   in Loop: Header=BB725_150 Depth=1
	global_load_ubyte v16, v[8:9], off glc
	s_cmp_lt_u32 s60, 32
	s_cselect_b64 s[68:69], -1, 0
	s_cmp_lg_u64 s[68:69], 0
	s_addc_u32 s60, s60, 0
	s_waitcnt vmcnt(0)
	v_cmp_ne_u16_e32 vcc, 0, v16
	s_or_b64 s[56:57], vcc, s[56:57]
	s_andn2_b64 exec, exec, s[56:57]
	s_cbranch_execnz .LBB725_150
; %bb.153:
	s_or_b64 exec, exec, s[56:57]
.LBB725_154:
	s_or_b64 exec, exec, s[42:43]
	v_mov_b32_e32 v8, s47
	v_mov_b32_e32 v9, s45
	v_cmp_eq_u16_e32 vcc, 1, v16
	v_cndmask_b32_e32 v8, v8, v9, vcc
	v_mov_b32_e32 v9, s46
	v_mov_b32_e32 v10, s44
	v_cndmask_b32_e32 v9, v9, v10, vcc
	v_lshlrev_b64 v[6:7], 4, v[6:7]
	v_add_co_u32_e32 v6, vcc, v9, v6
	v_addc_co_u32_e32 v7, vcc, v8, v7, vcc
	s_waitcnt lgkmcnt(0)
	buffer_wbinvl1_vol
	global_load_dwordx2 v[10:11], v[6:7], off
	global_load_ubyte v31, v[6:7], off offset:8
	v_cmp_eq_u16_e32 vcc, 2, v16
	v_lshlrev_b64 v[6:7], v5, -1
	v_and_b32_e32 v17, 63, v5
	v_and_b32_e32 v8, vcc_hi, v7
	v_and_b32_e32 v22, vcc_lo, v6
	v_cmp_ne_u32_e32 vcc, 63, v17
	v_addc_co_u32_e32 v9, vcc, 0, v5, vcc
	v_lshlrev_b32_e32 v18, 2, v9
	v_or_b32_e32 v8, 0x80000000, v8
	v_ffbl_b32_e32 v8, v8
	v_add_u32_e32 v8, 32, v8
	v_ffbl_b32_e32 v22, v22
	v_min_u32_e32 v8, v22, v8
	v_cmp_lt_u32_e32 vcc, v17, v8
	s_waitcnt vmcnt(1)
	ds_bpermute_b32 v20, v18, v10
	s_waitcnt vmcnt(0)
	v_and_b32_e32 v9, 1, v31
	ds_bpermute_b32 v21, v18, v11
	ds_bpermute_b32 v19, v18, v9
	s_and_saveexec_b64 s[42:43], vcc
	s_cbranch_execz .LBB725_156
; %bb.155:
	v_mov_b32_e32 v9, 0
	v_cmp_eq_u16_sdwa vcc, v31, v9 src0_sel:BYTE_0 src1_sel:DWORD
	s_waitcnt lgkmcnt(2)
	v_cndmask_b32_e32 v20, 0, v20, vcc
	s_waitcnt lgkmcnt(1)
	v_cndmask_b32_e32 v9, 0, v21, vcc
	v_add_co_u32_e32 v10, vcc, v20, v10
	v_addc_co_u32_e32 v11, vcc, v9, v11, vcc
	s_waitcnt lgkmcnt(0)
	v_and_b32_e32 v9, 1, v19
	v_or_b32_e32 v31, v9, v31
	v_and_b32_e32 v9, 0xff, v31
.LBB725_156:
	s_or_b64 exec, exec, s[42:43]
	v_cmp_gt_u32_e32 vcc, 62, v17
	s_waitcnt lgkmcnt(0)
	v_cndmask_b32_e64 v19, 0, 1, vcc
	v_lshlrev_b32_e32 v19, 1, v19
	v_add_lshl_u32 v19, v19, v5, 2
	ds_bpermute_b32 v22, v19, v10
	ds_bpermute_b32 v23, v19, v11
	ds_bpermute_b32 v21, v19, v9
	v_add_u32_e32 v20, 2, v17
	v_cmp_le_u32_e32 vcc, v20, v8
	s_and_saveexec_b64 s[56:57], vcc
	s_cbranch_execz .LBB725_158
; %bb.157:
	v_mov_b32_e32 v9, 0
	v_cmp_eq_u16_sdwa vcc, v31, v9 src0_sel:BYTE_0 src1_sel:DWORD
	s_waitcnt lgkmcnt(2)
	v_cndmask_b32_e32 v22, 0, v22, vcc
	s_waitcnt lgkmcnt(1)
	v_cndmask_b32_e32 v9, 0, v23, vcc
	v_add_co_u32_e32 v10, vcc, v22, v10
	v_addc_co_u32_e32 v11, vcc, v9, v11, vcc
	v_and_b32_e32 v9, 1, v31
	v_cmp_eq_u32_e32 vcc, 1, v9
	s_waitcnt lgkmcnt(0)
	v_and_b32_e32 v9, 1, v21
	v_cmp_eq_u32_e64 s[42:43], 1, v9
	s_or_b64 s[42:43], vcc, s[42:43]
	v_cndmask_b32_e64 v31, 0, 1, s[42:43]
	v_cndmask_b32_e64 v9, 0, 1, s[42:43]
.LBB725_158:
	s_or_b64 exec, exec, s[56:57]
	v_cmp_gt_u32_e32 vcc, 60, v17
	s_waitcnt lgkmcnt(0)
	v_cndmask_b32_e64 v21, 0, 1, vcc
	v_lshlrev_b32_e32 v21, 2, v21
	v_add_lshl_u32 v21, v21, v5, 2
	ds_bpermute_b32 v24, v21, v10
	ds_bpermute_b32 v25, v21, v11
	ds_bpermute_b32 v23, v21, v9
	v_add_u32_e32 v22, 4, v17
	v_cmp_le_u32_e32 vcc, v22, v8
	s_and_saveexec_b64 s[56:57], vcc
	s_cbranch_execz .LBB725_160
; %bb.159:
	v_mov_b32_e32 v9, 0
	v_cmp_eq_u16_sdwa vcc, v31, v9 src0_sel:BYTE_0 src1_sel:DWORD
	s_waitcnt lgkmcnt(2)
	v_cndmask_b32_e32 v24, 0, v24, vcc
	s_waitcnt lgkmcnt(1)
	v_cndmask_b32_e32 v9, 0, v25, vcc
	v_add_co_u32_e32 v10, vcc, v24, v10
	v_addc_co_u32_e32 v11, vcc, v9, v11, vcc
	v_and_b32_e32 v9, 1, v31
	v_cmp_eq_u32_e32 vcc, 1, v9
	s_waitcnt lgkmcnt(0)
	v_and_b32_e32 v9, 1, v23
	v_cmp_eq_u32_e64 s[42:43], 1, v9
	s_or_b64 s[42:43], vcc, s[42:43]
	v_cndmask_b32_e64 v31, 0, 1, s[42:43]
	v_cndmask_b32_e64 v9, 0, 1, s[42:43]
.LBB725_160:
	;; [unrolled: 31-line block ×4, first 2 shown]
	s_or_b64 exec, exec, s[56:57]
	v_cmp_gt_u32_e32 vcc, 32, v17
	s_waitcnt lgkmcnt(0)
	v_cndmask_b32_e64 v27, 0, 1, vcc
	v_lshlrev_b32_e32 v27, 5, v27
	v_add_lshl_u32 v28, v27, v5, 2
	ds_bpermute_b32 v27, v28, v10
	ds_bpermute_b32 v30, v28, v11
	;; [unrolled: 1-line block ×3, first 2 shown]
	v_add_u32_e32 v29, 32, v17
	v_cmp_le_u32_e32 vcc, v29, v8
	s_and_saveexec_b64 s[56:57], vcc
	s_cbranch_execz .LBB725_166
; %bb.165:
	v_mov_b32_e32 v8, 0
	v_cmp_eq_u16_sdwa vcc, v31, v8 src0_sel:BYTE_0 src1_sel:DWORD
	s_waitcnt lgkmcnt(2)
	v_cndmask_b32_e32 v9, 0, v27, vcc
	s_waitcnt lgkmcnt(1)
	v_cndmask_b32_e32 v8, 0, v30, vcc
	v_add_co_u32_e32 v10, vcc, v9, v10
	v_addc_co_u32_e32 v11, vcc, v8, v11, vcc
	v_and_b32_e32 v8, 1, v31
	s_waitcnt lgkmcnt(0)
	v_and_b32_e32 v5, 1, v5
	v_cmp_eq_u32_e32 vcc, 1, v8
	v_cmp_eq_u32_e64 s[42:43], 1, v5
	s_or_b64 s[42:43], vcc, s[42:43]
	v_cndmask_b32_e64 v31, 0, 1, s[42:43]
.LBB725_166:
	s_or_b64 exec, exec, s[56:57]
	s_waitcnt lgkmcnt(0)
	v_mov_b32_e32 v5, 0
	v_mov_b32_e32 v30, 2
	s_branch .LBB725_168
.LBB725_167:                            ;   in Loop: Header=BB725_168 Depth=1
	s_or_b64 exec, exec, s[60:61]
	v_cmp_eq_u16_sdwa vcc, v27, v5 src0_sel:BYTE_0 src1_sel:DWORD
	v_cndmask_b32_e32 v10, 0, v10, vcc
	v_cndmask_b32_e32 v11, 0, v11, vcc
	v_add_co_u32_e32 v10, vcc, v10, v8
	v_addc_co_u32_e32 v11, vcc, v11, v9, vcc
	v_and_b32_e32 v31, 1, v27
	v_cmp_eq_u32_e32 vcc, 1, v31
	s_or_b64 s[42:43], vcc, s[56:57]
	v_subrev_u32_e32 v4, 64, v4
	v_cndmask_b32_e64 v31, 0, 1, s[42:43]
.LBB725_168:                            ; =>This Loop Header: Depth=1
                                        ;     Child Loop BB725_171 Depth 2
                                        ;       Child Loop BB725_172 Depth 3
	v_cmp_ne_u16_sdwa s[42:43], v16, v30 src0_sel:BYTE_0 src1_sel:DWORD
	v_cndmask_b32_e64 v8, 0, 1, s[42:43]
	;;#ASMSTART
	;;#ASMEND
	v_cmp_ne_u32_e32 vcc, 0, v8
	v_mov_b32_e32 v27, v31
	s_cmp_lg_u64 vcc, exec
	v_pk_mov_b32 v[8:9], v[10:11], v[10:11] op_sel:[0,1]
	s_cbranch_scc1 .LBB725_187
; %bb.169:                              ;   in Loop: Header=BB725_168 Depth=1
	global_load_ubyte v16, v4, s[48:49] glc
	s_waitcnt vmcnt(0)
	v_cmp_eq_u16_e32 vcc, 0, v16
	s_and_saveexec_b64 s[42:43], vcc
	s_cbranch_execz .LBB725_175
; %bb.170:                              ;   in Loop: Header=BB725_168 Depth=1
	v_mov_b32_e32 v11, s49
	v_add_co_u32_e32 v10, vcc, s48, v4
	v_addc_co_u32_e32 v11, vcc, 0, v11, vcc
	s_mov_b32 s60, 1
	s_mov_b64 s[56:57], 0
.LBB725_171:                            ;   Parent Loop BB725_168 Depth=1
                                        ; =>  This Loop Header: Depth=2
                                        ;       Child Loop BB725_172 Depth 3
	s_max_u32 s61, s60, 1
.LBB725_172:                            ;   Parent Loop BB725_168 Depth=1
                                        ;     Parent Loop BB725_171 Depth=2
                                        ; =>    This Inner Loop Header: Depth=3
	s_add_i32 s61, s61, -1
	s_cmp_eq_u32 s61, 0
	s_sleep 1
	s_cbranch_scc0 .LBB725_172
; %bb.173:                              ;   in Loop: Header=BB725_171 Depth=2
	global_load_ubyte v16, v[10:11], off glc
	s_cmp_lt_u32 s60, 32
	s_cselect_b64 s[68:69], -1, 0
	s_cmp_lg_u64 s[68:69], 0
	s_addc_u32 s60, s60, 0
	s_waitcnt vmcnt(0)
	v_cmp_ne_u16_e32 vcc, 0, v16
	s_or_b64 s[56:57], vcc, s[56:57]
	s_andn2_b64 exec, exec, s[56:57]
	s_cbranch_execnz .LBB725_171
; %bb.174:                              ;   in Loop: Header=BB725_168 Depth=1
	s_or_b64 exec, exec, s[56:57]
.LBB725_175:                            ;   in Loop: Header=BB725_168 Depth=1
	s_or_b64 exec, exec, s[42:43]
	v_mov_b32_e32 v10, s47
	v_mov_b32_e32 v11, s45
	v_cmp_eq_u16_e32 vcc, 1, v16
	v_cndmask_b32_e32 v31, v10, v11, vcc
	v_mov_b32_e32 v10, s46
	v_mov_b32_e32 v11, s44
	v_cndmask_b32_e32 v32, v10, v11, vcc
	v_lshlrev_b64 v[10:11], 4, v[4:5]
	v_add_co_u32_e32 v32, vcc, v32, v10
	s_waitcnt lgkmcnt(0)
	v_addc_co_u32_e32 v33, vcc, v31, v11, vcc
	buffer_wbinvl1_vol
	global_load_dwordx2 v[10:11], v[32:33], off
	global_load_ubyte v31, v[32:33], off offset:8
	v_cmp_eq_u16_e32 vcc, 2, v16
	v_and_b32_e32 v32, vcc_hi, v7
	v_or_b32_e32 v32, 0x80000000, v32
	v_and_b32_e32 v37, vcc_lo, v6
	v_ffbl_b32_e32 v32, v32
	v_add_u32_e32 v32, 32, v32
	v_ffbl_b32_e32 v37, v37
	v_min_u32_e32 v32, v37, v32
	v_cmp_lt_u32_e32 vcc, v17, v32
	s_waitcnt vmcnt(1)
	ds_bpermute_b32 v35, v18, v10
	s_waitcnt vmcnt(0)
	v_and_b32_e32 v33, 1, v31
	ds_bpermute_b32 v36, v18, v11
	ds_bpermute_b32 v34, v18, v33
	s_and_saveexec_b64 s[42:43], vcc
	s_cbranch_execz .LBB725_177
; %bb.176:                              ;   in Loop: Header=BB725_168 Depth=1
	v_cmp_eq_u16_sdwa vcc, v31, v5 src0_sel:BYTE_0 src1_sel:DWORD
	s_waitcnt lgkmcnt(2)
	v_cndmask_b32_e32 v35, 0, v35, vcc
	s_waitcnt lgkmcnt(1)
	v_cndmask_b32_e32 v33, 0, v36, vcc
	v_add_co_u32_e32 v10, vcc, v35, v10
	v_addc_co_u32_e32 v11, vcc, v33, v11, vcc
	s_waitcnt lgkmcnt(0)
	v_and_b32_e32 v33, 1, v34
	v_or_b32_e32 v31, v33, v31
	v_and_b32_e32 v33, 0xff, v31
.LBB725_177:                            ;   in Loop: Header=BB725_168 Depth=1
	s_or_b64 exec, exec, s[42:43]
	s_waitcnt lgkmcnt(2)
	ds_bpermute_b32 v35, v19, v10
	s_waitcnt lgkmcnt(2)
	ds_bpermute_b32 v36, v19, v11
	;; [unrolled: 2-line block ×3, first 2 shown]
	v_and_b32_e32 v37, 1, v31
	v_cmp_le_u32_e32 vcc, v20, v32
	v_cmp_eq_u32_e64 s[56:57], 1, v37
	s_and_saveexec_b64 s[42:43], vcc
	s_cbranch_execz .LBB725_179
; %bb.178:                              ;   in Loop: Header=BB725_168 Depth=1
	v_cmp_eq_u16_sdwa vcc, v31, v5 src0_sel:BYTE_0 src1_sel:DWORD
	s_waitcnt lgkmcnt(2)
	v_cndmask_b32_e32 v33, 0, v35, vcc
	s_waitcnt lgkmcnt(1)
	v_cndmask_b32_e32 v31, 0, v36, vcc
	v_add_co_u32_e32 v10, vcc, v33, v10
	v_addc_co_u32_e32 v11, vcc, v31, v11, vcc
	s_waitcnt lgkmcnt(0)
	v_and_b32_e32 v31, 1, v34
	v_cmp_eq_u32_e32 vcc, 1, v31
	s_or_b64 s[60:61], s[56:57], vcc
	v_cndmask_b32_e64 v31, 0, 1, s[60:61]
	v_cndmask_b32_e64 v33, 0, 1, s[60:61]
	s_andn2_b64 s[56:57], s[56:57], exec
	s_and_b64 s[60:61], s[60:61], exec
	s_or_b64 s[56:57], s[56:57], s[60:61]
.LBB725_179:                            ;   in Loop: Header=BB725_168 Depth=1
	s_or_b64 exec, exec, s[42:43]
	s_waitcnt lgkmcnt(2)
	ds_bpermute_b32 v35, v21, v10
	s_waitcnt lgkmcnt(2)
	ds_bpermute_b32 v36, v21, v11
	s_waitcnt lgkmcnt(2)
	ds_bpermute_b32 v34, v21, v33
	v_cmp_le_u32_e32 vcc, v22, v32
	s_and_saveexec_b64 s[60:61], vcc
	s_cbranch_execz .LBB725_181
; %bb.180:                              ;   in Loop: Header=BB725_168 Depth=1
	v_cmp_eq_u16_sdwa vcc, v31, v5 src0_sel:BYTE_0 src1_sel:DWORD
	s_waitcnt lgkmcnt(2)
	v_cndmask_b32_e32 v35, 0, v35, vcc
	s_waitcnt lgkmcnt(1)
	v_cndmask_b32_e32 v33, 0, v36, vcc
	v_add_co_u32_e32 v10, vcc, v35, v10
	v_addc_co_u32_e32 v11, vcc, v33, v11, vcc
	v_and_b32_e32 v31, 1, v31
	v_cmp_eq_u32_e32 vcc, 1, v31
	s_waitcnt lgkmcnt(0)
	v_and_b32_e32 v31, 1, v34
	v_cmp_eq_u32_e64 s[42:43], 1, v31
	s_or_b64 s[42:43], vcc, s[42:43]
	v_cndmask_b32_e64 v31, 0, 1, s[42:43]
	v_cndmask_b32_e64 v33, 0, 1, s[42:43]
	s_andn2_b64 s[56:57], s[56:57], exec
	s_and_b64 s[42:43], s[42:43], exec
	s_or_b64 s[56:57], s[56:57], s[42:43]
.LBB725_181:                            ;   in Loop: Header=BB725_168 Depth=1
	s_or_b64 exec, exec, s[60:61]
	s_waitcnt lgkmcnt(2)
	ds_bpermute_b32 v35, v23, v10
	s_waitcnt lgkmcnt(2)
	ds_bpermute_b32 v36, v23, v11
	s_waitcnt lgkmcnt(2)
	ds_bpermute_b32 v34, v23, v33
	v_cmp_le_u32_e32 vcc, v24, v32
	s_and_saveexec_b64 s[60:61], vcc
	s_cbranch_execz .LBB725_183
; %bb.182:                              ;   in Loop: Header=BB725_168 Depth=1
	v_cmp_eq_u16_sdwa vcc, v31, v5 src0_sel:BYTE_0 src1_sel:DWORD
	s_waitcnt lgkmcnt(2)
	v_cndmask_b32_e32 v35, 0, v35, vcc
	s_waitcnt lgkmcnt(1)
	v_cndmask_b32_e32 v33, 0, v36, vcc
	v_add_co_u32_e32 v10, vcc, v35, v10
	v_addc_co_u32_e32 v11, vcc, v33, v11, vcc
	v_and_b32_e32 v31, 1, v31
	v_cmp_eq_u32_e32 vcc, 1, v31
	s_waitcnt lgkmcnt(0)
	v_and_b32_e32 v31, 1, v34
	v_cmp_eq_u32_e64 s[42:43], 1, v31
	s_or_b64 s[42:43], vcc, s[42:43]
	v_cndmask_b32_e64 v31, 0, 1, s[42:43]
	v_cndmask_b32_e64 v33, 0, 1, s[42:43]
	s_andn2_b64 s[56:57], s[56:57], exec
	s_and_b64 s[42:43], s[42:43], exec
	s_or_b64 s[56:57], s[56:57], s[42:43]
.LBB725_183:                            ;   in Loop: Header=BB725_168 Depth=1
	;; [unrolled: 30-line block ×3, first 2 shown]
	s_or_b64 exec, exec, s[60:61]
	s_waitcnt lgkmcnt(0)
	ds_bpermute_b32 v34, v28, v10
	ds_bpermute_b32 v35, v28, v11
	;; [unrolled: 1-line block ×3, first 2 shown]
	v_cmp_le_u32_e32 vcc, v29, v32
	s_and_saveexec_b64 s[60:61], vcc
	s_cbranch_execz .LBB725_167
; %bb.186:                              ;   in Loop: Header=BB725_168 Depth=1
	v_cmp_eq_u16_sdwa vcc, v31, v5 src0_sel:BYTE_0 src1_sel:DWORD
	s_waitcnt lgkmcnt(2)
	v_cndmask_b32_e32 v34, 0, v34, vcc
	s_waitcnt lgkmcnt(1)
	v_cndmask_b32_e32 v32, 0, v35, vcc
	v_add_co_u32_e32 v10, vcc, v34, v10
	v_addc_co_u32_e32 v11, vcc, v32, v11, vcc
	v_and_b32_e32 v31, 1, v31
	v_cmp_eq_u32_e32 vcc, 1, v31
	s_waitcnt lgkmcnt(0)
	v_and_b32_e32 v31, 1, v33
	v_cmp_eq_u32_e64 s[42:43], 1, v31
	s_or_b64 s[42:43], vcc, s[42:43]
	s_andn2_b64 s[56:57], s[56:57], exec
	s_and_b64 s[42:43], s[42:43], exec
	s_or_b64 s[56:57], s[56:57], s[42:43]
	s_branch .LBB725_167
.LBB725_187:                            ;   in Loop: Header=BB725_168 Depth=1
                                        ; implicit-def: $vgpr31
                                        ; implicit-def: $vgpr10_vgpr11
                                        ; implicit-def: $vgpr16
	s_cbranch_execz .LBB725_168
; %bb.188:
	s_and_saveexec_b64 s[42:43], s[40:41]
	s_cbranch_execz .LBB725_190
; %bb.189:
	v_mov_b32_e32 v4, 0
	s_mov_b32 s41, 0
	v_cmp_eq_u16_sdwa vcc, v15, v4 src0_sel:BYTE_0 src1_sel:DWORD
	s_add_i32 s40, s51, 64
	v_cndmask_b32_e32 v6, 0, v8, vcc
	s_lshl_b64 s[44:45], s[40:41], 4
	v_cndmask_b32_e32 v5, 0, v9, vcc
	v_add_co_u32_e32 v2, vcc, v6, v2
	s_add_u32 s44, s46, s44
	v_addc_co_u32_e32 v3, vcc, v5, v3, vcc
	v_or_b32_e32 v5, v15, v27
	s_addc_u32 s45, s47, s45
	v_and_b32_e32 v5, 1, v5
	global_store_dwordx2 v4, v[2:3], s[44:45]
	global_store_byte v4, v5, s[44:45] offset:8
	v_mov_b32_e32 v2, s40
	v_mov_b32_e32 v3, 2
	s_waitcnt vmcnt(0) lgkmcnt(0)
	buffer_wbinvl1_vol
	global_store_byte v2, v3, s[48:49]
.LBB725_190:
	s_or_b64 exec, exec, s[42:43]
	s_and_b64 exec, exec, s[0:1]
	s_cbranch_execz .LBB725_192
; %bb.191:
	v_mov_b32_e32 v2, 0
	ds_write_b64 v2, v[8:9]
	ds_write_b8 v2, v27 offset:8
.LBB725_192:
	s_or_b64 exec, exec, s[52:53]
	v_mov_b32_e32 v4, 0
	s_waitcnt lgkmcnt(0)
	; wave barrier
	s_waitcnt lgkmcnt(0)
	ds_read_b64 v[2:3], v4
	v_cmp_eq_u32_sdwa vcc, v14, v4 src0_sel:BYTE_0 src1_sel:DWORD
	s_waitcnt lgkmcnt(0)
	v_cndmask_b32_e32 v6, 0, v2, vcc
	v_cndmask_b32_e32 v5, 0, v3, vcc
	v_add_co_u32_e32 v6, vcc, v12, v6
	v_addc_co_u32_e32 v5, vcc, v13, v5, vcc
	v_cndmask_b32_e64 v78, v6, v2, s[0:1]
	v_cmp_eq_u16_sdwa vcc, v1, v4 src0_sel:BYTE_0 src1_sel:DWORD
	v_cndmask_b32_e64 v79, v5, v3, s[0:1]
	v_cndmask_b32_e32 v3, 0, v78, vcc
	v_cndmask_b32_e32 v2, 0, v79, vcc
	v_add_co_u32_e32 v4, vcc, v3, v70
	v_addc_co_u32_e32 v5, vcc, v2, v71, vcc
	v_cndmask_b32_e64 v3, 0, v4, s[38:39]
	v_cndmask_b32_e64 v2, 0, v5, s[38:39]
	v_add_co_u32_e32 v6, vcc, v3, v38
	v_addc_co_u32_e32 v7, vcc, v2, v39, vcc
	v_cndmask_b32_e64 v3, 0, v6, s[36:37]
	v_cndmask_b32_e64 v2, 0, v7, s[36:37]
	;; [unrolled: 4-line block ×17, first 2 shown]
	s_branch .LBB725_213
.LBB725_193:
                                        ; implicit-def: $vgpr78_vgpr79
                                        ; implicit-def: $vgpr96_vgpr97
                                        ; implicit-def: $vgpr94_vgpr95
                                        ; implicit-def: $vgpr92_vgpr93
                                        ; implicit-def: $vgpr90_vgpr91
                                        ; implicit-def: $vgpr88_vgpr89
                                        ; implicit-def: $vgpr86_vgpr87
                                        ; implicit-def: $vgpr84_vgpr85
                                        ; implicit-def: $vgpr82_vgpr83
                                        ; implicit-def: $vgpr80_vgpr81
                                        ; implicit-def: $vgpr34_vgpr35_vgpr36_vgpr37
                                        ; implicit-def: $vgpr30_vgpr31_vgpr32_vgpr33
                                        ; implicit-def: $vgpr26_vgpr27_vgpr28_vgpr29
                                        ; implicit-def: $vgpr22_vgpr23_vgpr24_vgpr25
                                        ; implicit-def: $vgpr18_vgpr19_vgpr20_vgpr21
                                        ; implicit-def: $vgpr14_vgpr15_vgpr16_vgpr17
                                        ; implicit-def: $vgpr10_vgpr11_vgpr12_vgpr13
                                        ; implicit-def: $vgpr6_vgpr7_vgpr8_vgpr9
                                        ; implicit-def: $vgpr2_vgpr3_vgpr4_vgpr5
	s_cbranch_execz .LBB725_213
; %bb.194:
	s_cmp_lg_u64 s[66:67], 0
	s_cselect_b32 s5, s63, 0
	s_cselect_b32 s4, s62, 0
	s_cmp_eq_u64 s[4:5], 0
	v_pk_mov_b32 v[2:3], s[64:65], s[64:65] op_sel:[0,1]
	s_cbranch_scc1 .LBB725_196
; %bb.195:
	v_mov_b32_e32 v2, 0
	global_load_dwordx2 v[2:3], v2, s[4:5]
.LBB725_196:
	v_mov_b32_e32 v4, 0
	v_cmp_eq_u16_sdwa s[36:37], v98, v4 src0_sel:BYTE_0 src1_sel:DWORD
	v_cndmask_b32_e64 v6, 0, v70, s[36:37]
	v_cndmask_b32_e64 v5, 0, v71, s[36:37]
	v_add_co_u32_e32 v6, vcc, v6, v38
	v_cmp_eq_u16_sdwa s[34:35], v99, v4 src0_sel:BYTE_0 src1_sel:DWORD
	v_addc_co_u32_e32 v5, vcc, v5, v39, vcc
	v_cndmask_b32_e64 v6, 0, v6, s[34:35]
	v_cndmask_b32_e64 v5, 0, v5, s[34:35]
	v_add_co_u32_e32 v6, vcc, v6, v46
	v_cmp_eq_u16_sdwa s[30:31], v101, v4 src0_sel:BYTE_0 src1_sel:DWORD
	v_addc_co_u32_e32 v5, vcc, v5, v47, vcc
	;; [unrolled: 5-line block ×15, first 2 shown]
	v_cndmask_b32_e64 v6, 0, v6, s[4:5]
	v_cndmask_b32_e64 v5, 0, v5, s[4:5]
	v_add_co_u32_e32 v6, vcc, v6, v74
	v_addc_co_u32_e32 v5, vcc, v5, v75, vcc
	v_cmp_eq_u16_sdwa vcc, v100, v4 src0_sel:BYTE_0 src1_sel:DWORD
	v_cndmask_b32_e32 v6, 0, v6, vcc
	v_cndmask_b32_e32 v5, 0, v5, vcc
	v_add_co_u32_e64 v6, s[38:39], v6, v40
	v_addc_co_u32_e64 v5, s[38:39], v5, v41, s[38:39]
	v_cmp_eq_u16_sdwa s[38:39], v116, v4 src0_sel:BYTE_0 src1_sel:DWORD
	v_cndmask_b32_e64 v4, 0, v6, s[38:39]
	v_or_b32_e32 v6, v118, v113
	v_or_b32_e32 v6, v6, v112
	;; [unrolled: 1-line block ×16, first 2 shown]
	v_cndmask_b32_e64 v5, 0, v5, s[38:39]
	v_add_co_u32_e64 v4, s[38:39], v4, v76
	v_and_b32_e32 v7, 1, v6
	v_mbcnt_hi_u32_b32 v6, -1, v117
	v_addc_co_u32_e64 v5, s[38:39], v5, v77, s[38:39]
	v_and_b32_e32 v9, 15, v6
	v_cmp_eq_u32_e64 s[38:39], 1, v7
	v_mov_b32_dpp v11, v4 row_shr:1 row_mask:0xf bank_mask:0xf
	v_mov_b32_dpp v12, v5 row_shr:1 row_mask:0xf bank_mask:0xf
	;; [unrolled: 1-line block ×3, first 2 shown]
	v_cmp_ne_u32_e64 s[40:41], 0, v9
	v_mov_b32_e32 v8, v7
	s_and_saveexec_b64 s[42:43], s[40:41]
; %bb.197:
	v_cndmask_b32_e64 v11, v11, 0, s[38:39]
	v_cndmask_b32_e64 v8, v12, 0, s[38:39]
	v_add_co_u32_e64 v4, s[38:39], v11, v4
	v_addc_co_u32_e64 v5, s[38:39], v8, v5, s[38:39]
	v_and_b32_e32 v8, 1, v10
	v_or_b32_e32 v7, v8, v7
	v_and_b32_e32 v8, 0xffff, v7
; %bb.198:
	s_or_b64 exec, exec, s[42:43]
	v_mov_b32_dpp v11, v4 row_shr:2 row_mask:0xf bank_mask:0xf
	v_mov_b32_dpp v12, v5 row_shr:2 row_mask:0xf bank_mask:0xf
	v_mov_b32_dpp v10, v8 row_shr:2 row_mask:0xf bank_mask:0xf
	v_cmp_lt_u32_e64 s[38:39], 1, v9
	s_and_saveexec_b64 s[42:43], s[38:39]
	s_cbranch_execz .LBB725_200
; %bb.199:
	v_cmp_eq_u16_e64 s[38:39], 0, v7
	v_cndmask_b32_e64 v11, 0, v11, s[38:39]
	v_cndmask_b32_e64 v8, 0, v12, s[38:39]
	v_add_co_u32_e64 v4, s[38:39], v11, v4
	v_addc_co_u32_e64 v5, s[38:39], v8, v5, s[38:39]
	v_and_b32_e32 v7, 1, v7
	v_cmp_eq_u32_e64 s[38:39], 1, v7
	v_and_b32_e32 v7, 1, v10
	v_cmp_eq_u32_e64 s[40:41], 1, v7
	s_or_b64 s[38:39], s[38:39], s[40:41]
	v_cndmask_b32_e64 v7, 0, 1, s[38:39]
	v_cndmask_b32_e64 v8, 0, 1, s[38:39]
.LBB725_200:
	s_or_b64 exec, exec, s[42:43]
	v_mov_b32_dpp v11, v4 row_shr:4 row_mask:0xf bank_mask:0xf
	v_mov_b32_dpp v12, v5 row_shr:4 row_mask:0xf bank_mask:0xf
	v_mov_b32_dpp v10, v8 row_shr:4 row_mask:0xf bank_mask:0xf
	v_cmp_lt_u32_e64 s[38:39], 3, v9
	s_and_saveexec_b64 s[42:43], s[38:39]
	s_cbranch_execz .LBB725_202
; %bb.201:
	v_cmp_eq_u16_e64 s[38:39], 0, v7
	v_cndmask_b32_e64 v11, 0, v11, s[38:39]
	v_cndmask_b32_e64 v8, 0, v12, s[38:39]
	v_add_co_u32_e64 v4, s[38:39], v11, v4
	v_addc_co_u32_e64 v5, s[38:39], v8, v5, s[38:39]
	v_and_b32_e32 v7, 1, v7
	v_cmp_eq_u32_e64 s[38:39], 1, v7
	v_and_b32_e32 v7, 1, v10
	v_cmp_eq_u32_e64 s[40:41], 1, v7
	s_or_b64 s[38:39], s[38:39], s[40:41]
	v_cndmask_b32_e64 v7, 0, 1, s[38:39]
	v_cndmask_b32_e64 v8, 0, 1, s[38:39]
.LBB725_202:
	;; [unrolled: 21-line block ×3, first 2 shown]
	s_or_b64 exec, exec, s[42:43]
	v_and_b32_e32 v12, 16, v6
	v_mov_b32_dpp v10, v4 row_bcast:15 row_mask:0xf bank_mask:0xf
	v_mov_b32_dpp v11, v5 row_bcast:15 row_mask:0xf bank_mask:0xf
	;; [unrolled: 1-line block ×3, first 2 shown]
	v_cmp_ne_u32_e64 s[38:39], 0, v12
	s_and_saveexec_b64 s[42:43], s[38:39]
	s_cbranch_execz .LBB725_206
; %bb.205:
	v_cmp_eq_u16_e64 s[38:39], 0, v7
	v_cndmask_b32_e64 v10, 0, v10, s[38:39]
	v_cndmask_b32_e64 v8, 0, v11, s[38:39]
	v_add_co_u32_e64 v4, s[38:39], v10, v4
	v_addc_co_u32_e64 v5, s[38:39], v8, v5, s[38:39]
	v_and_b32_e32 v7, 1, v7
	v_cmp_eq_u32_e64 s[38:39], 1, v7
	v_and_b32_e32 v7, 1, v9
	v_cmp_eq_u32_e64 s[40:41], 1, v7
	s_or_b64 s[38:39], s[38:39], s[40:41]
	v_cndmask_b32_e64 v7, 0, 1, s[38:39]
	v_cndmask_b32_e64 v8, 0, 1, s[38:39]
.LBB725_206:
	s_or_b64 exec, exec, s[42:43]
	v_mov_b32_dpp v9, v4 row_bcast:31 row_mask:0xf bank_mask:0xf
	v_mov_b32_dpp v10, v5 row_bcast:31 row_mask:0xf bank_mask:0xf
	v_mov_b32_dpp v8, v8 row_bcast:31 row_mask:0xf bank_mask:0xf
	v_cmp_lt_u32_e64 s[38:39], 31, v6
	s_and_saveexec_b64 s[42:43], s[38:39]
; %bb.207:
	v_cmp_eq_u16_e64 s[38:39], 0, v7
	v_cndmask_b32_e64 v9, 0, v9, s[38:39]
	v_cndmask_b32_e64 v10, 0, v10, s[38:39]
	v_add_co_u32_e64 v4, s[38:39], v9, v4
	v_addc_co_u32_e64 v5, s[38:39], v10, v5, s[38:39]
	v_and_b32_e32 v7, 1, v7
	v_cmp_eq_u32_e64 s[38:39], 1, v7
	v_and_b32_e32 v7, 1, v8
	v_cmp_eq_u32_e64 s[40:41], 1, v7
	s_or_b64 s[38:39], s[38:39], s[40:41]
	v_cndmask_b32_e64 v7, 0, 1, s[38:39]
; %bb.208:
	s_or_b64 exec, exec, s[42:43]
	v_cmp_eq_u32_e64 s[38:39], 63, v0
	s_and_saveexec_b64 s[40:41], s[38:39]
	s_cbranch_execz .LBB725_210
; %bb.209:
	v_mov_b32_e32 v8, 0
	ds_write_b64 v8, v[4:5]
	ds_write_b8 v8, v7 offset:8
.LBB725_210:
	s_or_b64 exec, exec, s[40:41]
	v_cmp_eq_u16_e64 s[38:39], 0, v7
	s_waitcnt vmcnt(0)
	v_cndmask_b32_e64 v8, 0, v2, s[38:39]
	v_cndmask_b32_e64 v7, 0, v3, s[38:39]
	v_add_co_u32_e64 v4, s[38:39], v8, v4
	v_addc_co_u32_e64 v5, s[38:39], v7, v5, s[38:39]
	v_add_u32_e32 v7, -1, v6
	v_and_b32_e32 v8, 64, v6
	v_cmp_lt_i32_e64 s[38:39], v7, v8
	v_cndmask_b32_e64 v7, v7, v6, s[38:39]
	v_lshlrev_b32_e32 v7, 2, v7
	ds_bpermute_b32 v5, v7, v5
	ds_bpermute_b32 v4, v7, v4
	v_cmp_eq_u32_e64 s[38:39], 0, v6
	s_or_b64 s[38:39], s[0:1], s[38:39]
	v_mov_b32_e32 v8, 0
	s_waitcnt lgkmcnt(1)
	v_cndmask_b32_e64 v79, v5, v3, s[38:39]
	s_waitcnt lgkmcnt(0)
	v_cndmask_b32_e64 v78, v4, v2, s[38:39]
	v_cmp_eq_u16_sdwa s[38:39], v1, v8 src0_sel:BYTE_0 src1_sel:DWORD
	v_cndmask_b32_e64 v4, 0, v78, s[38:39]
	v_cndmask_b32_e64 v1, 0, v79, s[38:39]
	v_add_co_u32_e64 v4, s[38:39], v4, v70
	v_addc_co_u32_e64 v5, s[38:39], v1, v71, s[38:39]
	v_cndmask_b32_e64 v6, 0, v4, s[36:37]
	v_cndmask_b32_e64 v1, 0, v5, s[36:37]
	v_add_co_u32_e64 v6, s[36:37], v6, v38
	v_addc_co_u32_e64 v7, s[36:37], v1, v39, s[36:37]
	;; [unrolled: 4-line block ×17, first 2 shown]
	v_cndmask_b32_e32 v97, 0, v95, vcc
	v_cndmask_b32_e32 v96, 0, v94, vcc
	s_waitcnt lgkmcnt(0)
	; wave barrier
	s_and_saveexec_b64 s[4:5], s[0:1]
	s_cbranch_execz .LBB725_212
; %bb.211:
	ds_read_u8 v1, v8 offset:8
	ds_read_b64 v[12:13], v8
	v_pk_mov_b32 v[78:79], v[2:3], v[2:3] op_sel:[0,1]
	s_waitcnt lgkmcnt(1)
	v_cmp_eq_u16_e32 vcc, 0, v1
	v_cndmask_b32_e32 v16, 0, v2, vcc
	v_cndmask_b32_e32 v9, 0, v3, vcc
	s_waitcnt lgkmcnt(0)
	v_add_co_u32_e32 v12, vcc, v16, v12
	v_addc_co_u32_e32 v13, vcc, v9, v13, vcc
	global_store_dwordx2 v8, v[12:13], s[46:47] offset:1024
	global_store_byte v8, v1, s[46:47] offset:1032
	v_mov_b32_e32 v1, 2
	s_waitcnt vmcnt(0)
	buffer_wbinvl1_vol
	global_store_byte v8, v1, s[48:49] offset:64
.LBB725_212:
	s_or_b64 exec, exec, s[4:5]
.LBB725_213:
	s_add_u32 s0, s58, s54
	v_add_co_u32_e32 v2, vcc, v96, v40
	s_addc_u32 s1, s59, s55
	v_addc_co_u32_e32 v3, vcc, v97, v41, vcc
	v_mov_b32_e32 v1, s1
	v_add_co_u32_e32 v12, vcc, s0, v72
	v_addc_co_u32_e32 v13, vcc, v1, v73, vcc
	s_and_b64 vcc, exec, s[2:3]
	s_cbranch_vccz .LBB725_251
; %bb.214:
	s_movk_i32 s0, 0x98
	v_mul_i32_i24_e32 v17, 0xffffff70, v0
	v_mul_u32_u24_e32 v16, 0x98, v0
	v_mad_u32_u24 v8, v0, s0, v17
	s_waitcnt lgkmcnt(0)
	; wave barrier
	ds_write2_b64 v16, v[78:79], v[4:5] offset1:1
	ds_write2_b64 v16, v[6:7], v[80:81] offset0:2 offset1:3
	ds_write2_b64 v16, v[10:11], v[82:83] offset0:4 offset1:5
	;; [unrolled: 1-line block ×8, first 2 shown]
	ds_write_b64 v16, v[2:3] offset:144
	s_waitcnt lgkmcnt(0)
	; wave barrier
	s_waitcnt lgkmcnt(0)
	ds_read2st64_b64 v[68:71], v8 offset0:1 offset1:2
	ds_read2st64_b64 v[64:67], v8 offset0:3 offset1:4
	;; [unrolled: 1-line block ×9, first 2 shown]
	v_add_co_u32_e32 v8, vcc, v12, v115
	s_add_i32 s33, s33, s50
	v_addc_co_u32_e32 v9, vcc, 0, v13, vcc
	v_mov_b32_e32 v1, 0
	v_cmp_gt_u32_e32 vcc, s33, v0
	s_and_saveexec_b64 s[0:1], vcc
	s_cbranch_execz .LBB725_216
; %bb.215:
	v_add_u32_e32 v16, v16, v17
	ds_read_b64 v[16:17], v16
	s_waitcnt lgkmcnt(0)
	flat_store_dwordx2 v[8:9], v[16:17]
.LBB725_216:
	s_or_b64 exec, exec, s[0:1]
	v_or_b32_e32 v16, 64, v0
	v_cmp_gt_u32_e32 vcc, s33, v16
	s_and_saveexec_b64 s[0:1], vcc
	s_cbranch_execz .LBB725_218
; %bb.217:
	s_waitcnt lgkmcnt(0)
	flat_store_dwordx2 v[8:9], v[68:69] offset:512
.LBB725_218:
	s_or_b64 exec, exec, s[0:1]
	v_or_b32_e32 v16, 0x80, v0
	v_cmp_gt_u32_e32 vcc, s33, v16
	s_and_saveexec_b64 s[0:1], vcc
	s_cbranch_execz .LBB725_220
; %bb.219:
	s_waitcnt lgkmcnt(0)
	flat_store_dwordx2 v[8:9], v[70:71] offset:1024
.LBB725_220:
	;; [unrolled: 9-line block ×7, first 2 shown]
	s_or_b64 exec, exec, s[0:1]
	v_or_b32_e32 v16, 0x200, v0
	v_cmp_gt_u32_e32 vcc, s33, v16
	s_and_saveexec_b64 s[0:1], vcc
	s_cbranch_execz .LBB725_232
; %bb.231:
	v_add_co_u32_e32 v16, vcc, 0x1000, v8
	v_addc_co_u32_e32 v17, vcc, 0, v9, vcc
	s_waitcnt lgkmcnt(0)
	flat_store_dwordx2 v[16:17], v[58:59]
.LBB725_232:
	s_or_b64 exec, exec, s[0:1]
	v_or_b32_e32 v16, 0x240, v0
	v_cmp_gt_u32_e32 vcc, s33, v16
	s_and_saveexec_b64 s[0:1], vcc
	s_cbranch_execz .LBB725_234
; %bb.233:
	v_add_co_u32_e32 v16, vcc, 0x1000, v8
	v_addc_co_u32_e32 v17, vcc, 0, v9, vcc
	s_waitcnt lgkmcnt(0)
	flat_store_dwordx2 v[16:17], v[52:53] offset:512
.LBB725_234:
	s_or_b64 exec, exec, s[0:1]
	v_or_b32_e32 v16, 0x280, v0
	v_cmp_gt_u32_e32 vcc, s33, v16
	s_and_saveexec_b64 s[0:1], vcc
	s_cbranch_execz .LBB725_236
; %bb.235:
	v_add_co_u32_e32 v16, vcc, 0x1000, v8
	v_addc_co_u32_e32 v17, vcc, 0, v9, vcc
	s_waitcnt lgkmcnt(0)
	flat_store_dwordx2 v[16:17], v[54:55] offset:1024
.LBB725_236:
	;; [unrolled: 11-line block ×7, first 2 shown]
	s_or_b64 exec, exec, s[0:1]
	v_or_b32_e32 v16, 0x400, v0
	v_cmp_gt_u32_e32 vcc, s33, v16
	s_and_saveexec_b64 s[0:1], vcc
	s_cbranch_execz .LBB725_248
; %bb.247:
	v_add_co_u32_e32 v16, vcc, 0x2000, v8
	v_addc_co_u32_e32 v17, vcc, 0, v9, vcc
	s_waitcnt lgkmcnt(0)
	flat_store_dwordx2 v[16:17], v[42:43]
.LBB725_248:
	s_or_b64 exec, exec, s[0:1]
	v_or_b32_e32 v16, 0x440, v0
	v_cmp_gt_u32_e32 vcc, s33, v16
	s_and_saveexec_b64 s[0:1], vcc
	s_cbranch_execz .LBB725_250
; %bb.249:
	v_add_co_u32_e32 v8, vcc, 0x2000, v8
	v_addc_co_u32_e32 v9, vcc, 0, v9, vcc
	s_waitcnt lgkmcnt(0)
	flat_store_dwordx2 v[8:9], v[36:37] offset:512
.LBB725_250:
	s_or_b64 exec, exec, s[0:1]
	v_or_b32_e32 v8, 0x480, v0
	v_cmp_gt_u32_e64 s[0:1], s33, v8
	s_branch .LBB725_253
.LBB725_251:
	s_mov_b64 s[0:1], 0
                                        ; implicit-def: $vgpr38_vgpr39
	s_cbranch_execz .LBB725_253
; %bb.252:
	v_mul_u32_u24_e32 v1, 0x98, v0
	s_waitcnt lgkmcnt(0)
	; wave barrier
	s_waitcnt lgkmcnt(0)
	s_movk_i32 s2, 0x98
	ds_write2_b64 v1, v[78:79], v[4:5] offset1:1
	ds_write2_b64 v1, v[6:7], v[80:81] offset0:2 offset1:3
	ds_write2_b64 v1, v[10:11], v[82:83] offset0:4 offset1:5
	;; [unrolled: 1-line block ×8, first 2 shown]
	ds_write_b64 v1, v[2:3] offset:144
	v_mul_i32_i24_e32 v2, 0xffffff70, v0
	v_mad_u32_u24 v10, v0, s2, v2
	s_waitcnt lgkmcnt(0)
	; wave barrier
	s_waitcnt lgkmcnt(0)
	ds_read2st64_b64 v[2:5], v10 offset1:1
	ds_read2st64_b64 v[6:9], v10 offset0:2 offset1:3
	ds_read2st64_b64 v[14:17], v10 offset0:4 offset1:5
	ds_read2st64_b64 v[18:21], v10 offset0:6 offset1:7
	ds_read2st64_b64 v[22:25], v10 offset0:8 offset1:9
	ds_read2st64_b64 v[26:29], v10 offset0:10 offset1:11
	ds_read2st64_b64 v[30:33], v10 offset0:12 offset1:13
	ds_read2st64_b64 v[34:37], v10 offset0:14 offset1:15
	ds_read2st64_b64 v[40:43], v10 offset0:16 offset1:17
	ds_read_b64 v[38:39], v10 offset:9216
	v_add_co_u32_e32 v10, vcc, v12, v115
	v_addc_co_u32_e32 v11, vcc, 0, v13, vcc
	s_movk_i32 s2, 0x1000
	s_waitcnt lgkmcnt(0)
	flat_store_dwordx2 v[10:11], v[2:3]
	flat_store_dwordx2 v[10:11], v[4:5] offset:512
	flat_store_dwordx2 v[10:11], v[6:7] offset:1024
	;; [unrolled: 1-line block ×7, first 2 shown]
	v_add_co_u32_e32 v2, vcc, s2, v10
	v_addc_co_u32_e32 v3, vcc, 0, v11, vcc
	flat_store_dwordx2 v[2:3], v[22:23]
	flat_store_dwordx2 v[2:3], v[24:25] offset:512
	flat_store_dwordx2 v[2:3], v[26:27] offset:1024
	;; [unrolled: 1-line block ×7, first 2 shown]
	v_add_co_u32_e32 v2, vcc, 0x2000, v10
	v_mov_b32_e32 v1, 0
	v_addc_co_u32_e32 v3, vcc, 0, v11, vcc
	s_or_b64 s[0:1], s[0:1], exec
	flat_store_dwordx2 v[2:3], v[40:41]
	flat_store_dwordx2 v[2:3], v[42:43] offset:512
.LBB725_253:
	s_and_saveexec_b64 s[2:3], s[0:1]
	s_cbranch_execz .LBB725_255
; %bb.254:
	v_lshlrev_b64 v[0:1], 3, v[0:1]
	v_add_co_u32_e32 v0, vcc, v12, v0
	v_addc_co_u32_e32 v1, vcc, v13, v1, vcc
	v_add_co_u32_e32 v0, vcc, 0x2000, v0
	v_addc_co_u32_e32 v1, vcc, 0, v1, vcc
	s_waitcnt lgkmcnt(0)
	flat_store_dwordx2 v[0:1], v[38:39] offset:1024
	s_endpgm
.LBB725_255:
	s_endpgm
	.section	.rodata,"a",@progbits
	.p2align	6, 0x0
	.amdhsa_kernel _ZN7rocprim17ROCPRIM_400000_NS6detail17trampoline_kernelINS0_14default_configENS1_27scan_by_key_config_selectorIxxEEZZNS1_16scan_by_key_implILNS1_25lookback_scan_determinismE0ELb1ES3_N6thrust23THRUST_200600_302600_NS6detail15normal_iteratorINS9_10device_ptrIxEEEESE_SE_xNS9_4plusIxEE19head_flag_predicatexEE10hipError_tPvRmT2_T3_T4_T5_mT6_T7_P12ihipStream_tbENKUlT_T0_E_clISt17integral_constantIbLb1EESY_EEDaST_SU_EUlST_E_NS1_11comp_targetILNS1_3genE4ELNS1_11target_archE910ELNS1_3gpuE8ELNS1_3repE0EEENS1_30default_config_static_selectorELNS0_4arch9wavefront6targetE1EEEvT1_
		.amdhsa_group_segment_fixed_size 10752
		.amdhsa_private_segment_fixed_size 0
		.amdhsa_kernarg_size 136
		.amdhsa_user_sgpr_count 6
		.amdhsa_user_sgpr_private_segment_buffer 1
		.amdhsa_user_sgpr_dispatch_ptr 0
		.amdhsa_user_sgpr_queue_ptr 0
		.amdhsa_user_sgpr_kernarg_segment_ptr 1
		.amdhsa_user_sgpr_dispatch_id 0
		.amdhsa_user_sgpr_flat_scratch_init 0
		.amdhsa_user_sgpr_kernarg_preload_length 0
		.amdhsa_user_sgpr_kernarg_preload_offset 0
		.amdhsa_user_sgpr_private_segment_size 0
		.amdhsa_uses_dynamic_stack 0
		.amdhsa_system_sgpr_private_segment_wavefront_offset 0
		.amdhsa_system_sgpr_workgroup_id_x 1
		.amdhsa_system_sgpr_workgroup_id_y 0
		.amdhsa_system_sgpr_workgroup_id_z 0
		.amdhsa_system_sgpr_workgroup_info 0
		.amdhsa_system_vgpr_workitem_id 0
		.amdhsa_next_free_vgpr 119
		.amdhsa_next_free_sgpr 70
		.amdhsa_accum_offset 120
		.amdhsa_reserve_vcc 1
		.amdhsa_reserve_flat_scratch 0
		.amdhsa_float_round_mode_32 0
		.amdhsa_float_round_mode_16_64 0
		.amdhsa_float_denorm_mode_32 3
		.amdhsa_float_denorm_mode_16_64 3
		.amdhsa_dx10_clamp 1
		.amdhsa_ieee_mode 1
		.amdhsa_fp16_overflow 0
		.amdhsa_tg_split 0
		.amdhsa_exception_fp_ieee_invalid_op 0
		.amdhsa_exception_fp_denorm_src 0
		.amdhsa_exception_fp_ieee_div_zero 0
		.amdhsa_exception_fp_ieee_overflow 0
		.amdhsa_exception_fp_ieee_underflow 0
		.amdhsa_exception_fp_ieee_inexact 0
		.amdhsa_exception_int_div_zero 0
	.end_amdhsa_kernel
	.section	.text._ZN7rocprim17ROCPRIM_400000_NS6detail17trampoline_kernelINS0_14default_configENS1_27scan_by_key_config_selectorIxxEEZZNS1_16scan_by_key_implILNS1_25lookback_scan_determinismE0ELb1ES3_N6thrust23THRUST_200600_302600_NS6detail15normal_iteratorINS9_10device_ptrIxEEEESE_SE_xNS9_4plusIxEE19head_flag_predicatexEE10hipError_tPvRmT2_T3_T4_T5_mT6_T7_P12ihipStream_tbENKUlT_T0_E_clISt17integral_constantIbLb1EESY_EEDaST_SU_EUlST_E_NS1_11comp_targetILNS1_3genE4ELNS1_11target_archE910ELNS1_3gpuE8ELNS1_3repE0EEENS1_30default_config_static_selectorELNS0_4arch9wavefront6targetE1EEEvT1_,"axG",@progbits,_ZN7rocprim17ROCPRIM_400000_NS6detail17trampoline_kernelINS0_14default_configENS1_27scan_by_key_config_selectorIxxEEZZNS1_16scan_by_key_implILNS1_25lookback_scan_determinismE0ELb1ES3_N6thrust23THRUST_200600_302600_NS6detail15normal_iteratorINS9_10device_ptrIxEEEESE_SE_xNS9_4plusIxEE19head_flag_predicatexEE10hipError_tPvRmT2_T3_T4_T5_mT6_T7_P12ihipStream_tbENKUlT_T0_E_clISt17integral_constantIbLb1EESY_EEDaST_SU_EUlST_E_NS1_11comp_targetILNS1_3genE4ELNS1_11target_archE910ELNS1_3gpuE8ELNS1_3repE0EEENS1_30default_config_static_selectorELNS0_4arch9wavefront6targetE1EEEvT1_,comdat
.Lfunc_end725:
	.size	_ZN7rocprim17ROCPRIM_400000_NS6detail17trampoline_kernelINS0_14default_configENS1_27scan_by_key_config_selectorIxxEEZZNS1_16scan_by_key_implILNS1_25lookback_scan_determinismE0ELb1ES3_N6thrust23THRUST_200600_302600_NS6detail15normal_iteratorINS9_10device_ptrIxEEEESE_SE_xNS9_4plusIxEE19head_flag_predicatexEE10hipError_tPvRmT2_T3_T4_T5_mT6_T7_P12ihipStream_tbENKUlT_T0_E_clISt17integral_constantIbLb1EESY_EEDaST_SU_EUlST_E_NS1_11comp_targetILNS1_3genE4ELNS1_11target_archE910ELNS1_3gpuE8ELNS1_3repE0EEENS1_30default_config_static_selectorELNS0_4arch9wavefront6targetE1EEEvT1_, .Lfunc_end725-_ZN7rocprim17ROCPRIM_400000_NS6detail17trampoline_kernelINS0_14default_configENS1_27scan_by_key_config_selectorIxxEEZZNS1_16scan_by_key_implILNS1_25lookback_scan_determinismE0ELb1ES3_N6thrust23THRUST_200600_302600_NS6detail15normal_iteratorINS9_10device_ptrIxEEEESE_SE_xNS9_4plusIxEE19head_flag_predicatexEE10hipError_tPvRmT2_T3_T4_T5_mT6_T7_P12ihipStream_tbENKUlT_T0_E_clISt17integral_constantIbLb1EESY_EEDaST_SU_EUlST_E_NS1_11comp_targetILNS1_3genE4ELNS1_11target_archE910ELNS1_3gpuE8ELNS1_3repE0EEENS1_30default_config_static_selectorELNS0_4arch9wavefront6targetE1EEEvT1_
                                        ; -- End function
	.section	.AMDGPU.csdata,"",@progbits
; Kernel info:
; codeLenInByte = 15640
; NumSgprs: 74
; NumVgprs: 119
; NumAgprs: 0
; TotalNumVgprs: 119
; ScratchSize: 0
; MemoryBound: 0
; FloatMode: 240
; IeeeMode: 1
; LDSByteSize: 10752 bytes/workgroup (compile time only)
; SGPRBlocks: 9
; VGPRBlocks: 14
; NumSGPRsForWavesPerEU: 74
; NumVGPRsForWavesPerEU: 119
; AccumOffset: 120
; Occupancy: 2
; WaveLimiterHint : 1
; COMPUTE_PGM_RSRC2:SCRATCH_EN: 0
; COMPUTE_PGM_RSRC2:USER_SGPR: 6
; COMPUTE_PGM_RSRC2:TRAP_HANDLER: 0
; COMPUTE_PGM_RSRC2:TGID_X_EN: 1
; COMPUTE_PGM_RSRC2:TGID_Y_EN: 0
; COMPUTE_PGM_RSRC2:TGID_Z_EN: 0
; COMPUTE_PGM_RSRC2:TIDIG_COMP_CNT: 0
; COMPUTE_PGM_RSRC3_GFX90A:ACCUM_OFFSET: 29
; COMPUTE_PGM_RSRC3_GFX90A:TG_SPLIT: 0
	.section	.text._ZN7rocprim17ROCPRIM_400000_NS6detail17trampoline_kernelINS0_14default_configENS1_27scan_by_key_config_selectorIxxEEZZNS1_16scan_by_key_implILNS1_25lookback_scan_determinismE0ELb1ES3_N6thrust23THRUST_200600_302600_NS6detail15normal_iteratorINS9_10device_ptrIxEEEESE_SE_xNS9_4plusIxEE19head_flag_predicatexEE10hipError_tPvRmT2_T3_T4_T5_mT6_T7_P12ihipStream_tbENKUlT_T0_E_clISt17integral_constantIbLb1EESY_EEDaST_SU_EUlST_E_NS1_11comp_targetILNS1_3genE3ELNS1_11target_archE908ELNS1_3gpuE7ELNS1_3repE0EEENS1_30default_config_static_selectorELNS0_4arch9wavefront6targetE1EEEvT1_,"axG",@progbits,_ZN7rocprim17ROCPRIM_400000_NS6detail17trampoline_kernelINS0_14default_configENS1_27scan_by_key_config_selectorIxxEEZZNS1_16scan_by_key_implILNS1_25lookback_scan_determinismE0ELb1ES3_N6thrust23THRUST_200600_302600_NS6detail15normal_iteratorINS9_10device_ptrIxEEEESE_SE_xNS9_4plusIxEE19head_flag_predicatexEE10hipError_tPvRmT2_T3_T4_T5_mT6_T7_P12ihipStream_tbENKUlT_T0_E_clISt17integral_constantIbLb1EESY_EEDaST_SU_EUlST_E_NS1_11comp_targetILNS1_3genE3ELNS1_11target_archE908ELNS1_3gpuE7ELNS1_3repE0EEENS1_30default_config_static_selectorELNS0_4arch9wavefront6targetE1EEEvT1_,comdat
	.protected	_ZN7rocprim17ROCPRIM_400000_NS6detail17trampoline_kernelINS0_14default_configENS1_27scan_by_key_config_selectorIxxEEZZNS1_16scan_by_key_implILNS1_25lookback_scan_determinismE0ELb1ES3_N6thrust23THRUST_200600_302600_NS6detail15normal_iteratorINS9_10device_ptrIxEEEESE_SE_xNS9_4plusIxEE19head_flag_predicatexEE10hipError_tPvRmT2_T3_T4_T5_mT6_T7_P12ihipStream_tbENKUlT_T0_E_clISt17integral_constantIbLb1EESY_EEDaST_SU_EUlST_E_NS1_11comp_targetILNS1_3genE3ELNS1_11target_archE908ELNS1_3gpuE7ELNS1_3repE0EEENS1_30default_config_static_selectorELNS0_4arch9wavefront6targetE1EEEvT1_ ; -- Begin function _ZN7rocprim17ROCPRIM_400000_NS6detail17trampoline_kernelINS0_14default_configENS1_27scan_by_key_config_selectorIxxEEZZNS1_16scan_by_key_implILNS1_25lookback_scan_determinismE0ELb1ES3_N6thrust23THRUST_200600_302600_NS6detail15normal_iteratorINS9_10device_ptrIxEEEESE_SE_xNS9_4plusIxEE19head_flag_predicatexEE10hipError_tPvRmT2_T3_T4_T5_mT6_T7_P12ihipStream_tbENKUlT_T0_E_clISt17integral_constantIbLb1EESY_EEDaST_SU_EUlST_E_NS1_11comp_targetILNS1_3genE3ELNS1_11target_archE908ELNS1_3gpuE7ELNS1_3repE0EEENS1_30default_config_static_selectorELNS0_4arch9wavefront6targetE1EEEvT1_
	.globl	_ZN7rocprim17ROCPRIM_400000_NS6detail17trampoline_kernelINS0_14default_configENS1_27scan_by_key_config_selectorIxxEEZZNS1_16scan_by_key_implILNS1_25lookback_scan_determinismE0ELb1ES3_N6thrust23THRUST_200600_302600_NS6detail15normal_iteratorINS9_10device_ptrIxEEEESE_SE_xNS9_4plusIxEE19head_flag_predicatexEE10hipError_tPvRmT2_T3_T4_T5_mT6_T7_P12ihipStream_tbENKUlT_T0_E_clISt17integral_constantIbLb1EESY_EEDaST_SU_EUlST_E_NS1_11comp_targetILNS1_3genE3ELNS1_11target_archE908ELNS1_3gpuE7ELNS1_3repE0EEENS1_30default_config_static_selectorELNS0_4arch9wavefront6targetE1EEEvT1_
	.p2align	8
	.type	_ZN7rocprim17ROCPRIM_400000_NS6detail17trampoline_kernelINS0_14default_configENS1_27scan_by_key_config_selectorIxxEEZZNS1_16scan_by_key_implILNS1_25lookback_scan_determinismE0ELb1ES3_N6thrust23THRUST_200600_302600_NS6detail15normal_iteratorINS9_10device_ptrIxEEEESE_SE_xNS9_4plusIxEE19head_flag_predicatexEE10hipError_tPvRmT2_T3_T4_T5_mT6_T7_P12ihipStream_tbENKUlT_T0_E_clISt17integral_constantIbLb1EESY_EEDaST_SU_EUlST_E_NS1_11comp_targetILNS1_3genE3ELNS1_11target_archE908ELNS1_3gpuE7ELNS1_3repE0EEENS1_30default_config_static_selectorELNS0_4arch9wavefront6targetE1EEEvT1_,@function
_ZN7rocprim17ROCPRIM_400000_NS6detail17trampoline_kernelINS0_14default_configENS1_27scan_by_key_config_selectorIxxEEZZNS1_16scan_by_key_implILNS1_25lookback_scan_determinismE0ELb1ES3_N6thrust23THRUST_200600_302600_NS6detail15normal_iteratorINS9_10device_ptrIxEEEESE_SE_xNS9_4plusIxEE19head_flag_predicatexEE10hipError_tPvRmT2_T3_T4_T5_mT6_T7_P12ihipStream_tbENKUlT_T0_E_clISt17integral_constantIbLb1EESY_EEDaST_SU_EUlST_E_NS1_11comp_targetILNS1_3genE3ELNS1_11target_archE908ELNS1_3gpuE7ELNS1_3repE0EEENS1_30default_config_static_selectorELNS0_4arch9wavefront6targetE1EEEvT1_: ; @_ZN7rocprim17ROCPRIM_400000_NS6detail17trampoline_kernelINS0_14default_configENS1_27scan_by_key_config_selectorIxxEEZZNS1_16scan_by_key_implILNS1_25lookback_scan_determinismE0ELb1ES3_N6thrust23THRUST_200600_302600_NS6detail15normal_iteratorINS9_10device_ptrIxEEEESE_SE_xNS9_4plusIxEE19head_flag_predicatexEE10hipError_tPvRmT2_T3_T4_T5_mT6_T7_P12ihipStream_tbENKUlT_T0_E_clISt17integral_constantIbLb1EESY_EEDaST_SU_EUlST_E_NS1_11comp_targetILNS1_3genE3ELNS1_11target_archE908ELNS1_3gpuE7ELNS1_3repE0EEENS1_30default_config_static_selectorELNS0_4arch9wavefront6targetE1EEEvT1_
; %bb.0:
	.section	.rodata,"a",@progbits
	.p2align	6, 0x0
	.amdhsa_kernel _ZN7rocprim17ROCPRIM_400000_NS6detail17trampoline_kernelINS0_14default_configENS1_27scan_by_key_config_selectorIxxEEZZNS1_16scan_by_key_implILNS1_25lookback_scan_determinismE0ELb1ES3_N6thrust23THRUST_200600_302600_NS6detail15normal_iteratorINS9_10device_ptrIxEEEESE_SE_xNS9_4plusIxEE19head_flag_predicatexEE10hipError_tPvRmT2_T3_T4_T5_mT6_T7_P12ihipStream_tbENKUlT_T0_E_clISt17integral_constantIbLb1EESY_EEDaST_SU_EUlST_E_NS1_11comp_targetILNS1_3genE3ELNS1_11target_archE908ELNS1_3gpuE7ELNS1_3repE0EEENS1_30default_config_static_selectorELNS0_4arch9wavefront6targetE1EEEvT1_
		.amdhsa_group_segment_fixed_size 0
		.amdhsa_private_segment_fixed_size 0
		.amdhsa_kernarg_size 136
		.amdhsa_user_sgpr_count 6
		.amdhsa_user_sgpr_private_segment_buffer 1
		.amdhsa_user_sgpr_dispatch_ptr 0
		.amdhsa_user_sgpr_queue_ptr 0
		.amdhsa_user_sgpr_kernarg_segment_ptr 1
		.amdhsa_user_sgpr_dispatch_id 0
		.amdhsa_user_sgpr_flat_scratch_init 0
		.amdhsa_user_sgpr_kernarg_preload_length 0
		.amdhsa_user_sgpr_kernarg_preload_offset 0
		.amdhsa_user_sgpr_private_segment_size 0
		.amdhsa_uses_dynamic_stack 0
		.amdhsa_system_sgpr_private_segment_wavefront_offset 0
		.amdhsa_system_sgpr_workgroup_id_x 1
		.amdhsa_system_sgpr_workgroup_id_y 0
		.amdhsa_system_sgpr_workgroup_id_z 0
		.amdhsa_system_sgpr_workgroup_info 0
		.amdhsa_system_vgpr_workitem_id 0
		.amdhsa_next_free_vgpr 1
		.amdhsa_next_free_sgpr 0
		.amdhsa_accum_offset 4
		.amdhsa_reserve_vcc 0
		.amdhsa_reserve_flat_scratch 0
		.amdhsa_float_round_mode_32 0
		.amdhsa_float_round_mode_16_64 0
		.amdhsa_float_denorm_mode_32 3
		.amdhsa_float_denorm_mode_16_64 3
		.amdhsa_dx10_clamp 1
		.amdhsa_ieee_mode 1
		.amdhsa_fp16_overflow 0
		.amdhsa_tg_split 0
		.amdhsa_exception_fp_ieee_invalid_op 0
		.amdhsa_exception_fp_denorm_src 0
		.amdhsa_exception_fp_ieee_div_zero 0
		.amdhsa_exception_fp_ieee_overflow 0
		.amdhsa_exception_fp_ieee_underflow 0
		.amdhsa_exception_fp_ieee_inexact 0
		.amdhsa_exception_int_div_zero 0
	.end_amdhsa_kernel
	.section	.text._ZN7rocprim17ROCPRIM_400000_NS6detail17trampoline_kernelINS0_14default_configENS1_27scan_by_key_config_selectorIxxEEZZNS1_16scan_by_key_implILNS1_25lookback_scan_determinismE0ELb1ES3_N6thrust23THRUST_200600_302600_NS6detail15normal_iteratorINS9_10device_ptrIxEEEESE_SE_xNS9_4plusIxEE19head_flag_predicatexEE10hipError_tPvRmT2_T3_T4_T5_mT6_T7_P12ihipStream_tbENKUlT_T0_E_clISt17integral_constantIbLb1EESY_EEDaST_SU_EUlST_E_NS1_11comp_targetILNS1_3genE3ELNS1_11target_archE908ELNS1_3gpuE7ELNS1_3repE0EEENS1_30default_config_static_selectorELNS0_4arch9wavefront6targetE1EEEvT1_,"axG",@progbits,_ZN7rocprim17ROCPRIM_400000_NS6detail17trampoline_kernelINS0_14default_configENS1_27scan_by_key_config_selectorIxxEEZZNS1_16scan_by_key_implILNS1_25lookback_scan_determinismE0ELb1ES3_N6thrust23THRUST_200600_302600_NS6detail15normal_iteratorINS9_10device_ptrIxEEEESE_SE_xNS9_4plusIxEE19head_flag_predicatexEE10hipError_tPvRmT2_T3_T4_T5_mT6_T7_P12ihipStream_tbENKUlT_T0_E_clISt17integral_constantIbLb1EESY_EEDaST_SU_EUlST_E_NS1_11comp_targetILNS1_3genE3ELNS1_11target_archE908ELNS1_3gpuE7ELNS1_3repE0EEENS1_30default_config_static_selectorELNS0_4arch9wavefront6targetE1EEEvT1_,comdat
.Lfunc_end726:
	.size	_ZN7rocprim17ROCPRIM_400000_NS6detail17trampoline_kernelINS0_14default_configENS1_27scan_by_key_config_selectorIxxEEZZNS1_16scan_by_key_implILNS1_25lookback_scan_determinismE0ELb1ES3_N6thrust23THRUST_200600_302600_NS6detail15normal_iteratorINS9_10device_ptrIxEEEESE_SE_xNS9_4plusIxEE19head_flag_predicatexEE10hipError_tPvRmT2_T3_T4_T5_mT6_T7_P12ihipStream_tbENKUlT_T0_E_clISt17integral_constantIbLb1EESY_EEDaST_SU_EUlST_E_NS1_11comp_targetILNS1_3genE3ELNS1_11target_archE908ELNS1_3gpuE7ELNS1_3repE0EEENS1_30default_config_static_selectorELNS0_4arch9wavefront6targetE1EEEvT1_, .Lfunc_end726-_ZN7rocprim17ROCPRIM_400000_NS6detail17trampoline_kernelINS0_14default_configENS1_27scan_by_key_config_selectorIxxEEZZNS1_16scan_by_key_implILNS1_25lookback_scan_determinismE0ELb1ES3_N6thrust23THRUST_200600_302600_NS6detail15normal_iteratorINS9_10device_ptrIxEEEESE_SE_xNS9_4plusIxEE19head_flag_predicatexEE10hipError_tPvRmT2_T3_T4_T5_mT6_T7_P12ihipStream_tbENKUlT_T0_E_clISt17integral_constantIbLb1EESY_EEDaST_SU_EUlST_E_NS1_11comp_targetILNS1_3genE3ELNS1_11target_archE908ELNS1_3gpuE7ELNS1_3repE0EEENS1_30default_config_static_selectorELNS0_4arch9wavefront6targetE1EEEvT1_
                                        ; -- End function
	.section	.AMDGPU.csdata,"",@progbits
; Kernel info:
; codeLenInByte = 0
; NumSgprs: 4
; NumVgprs: 0
; NumAgprs: 0
; TotalNumVgprs: 0
; ScratchSize: 0
; MemoryBound: 0
; FloatMode: 240
; IeeeMode: 1
; LDSByteSize: 0 bytes/workgroup (compile time only)
; SGPRBlocks: 0
; VGPRBlocks: 0
; NumSGPRsForWavesPerEU: 4
; NumVGPRsForWavesPerEU: 1
; AccumOffset: 4
; Occupancy: 8
; WaveLimiterHint : 0
; COMPUTE_PGM_RSRC2:SCRATCH_EN: 0
; COMPUTE_PGM_RSRC2:USER_SGPR: 6
; COMPUTE_PGM_RSRC2:TRAP_HANDLER: 0
; COMPUTE_PGM_RSRC2:TGID_X_EN: 1
; COMPUTE_PGM_RSRC2:TGID_Y_EN: 0
; COMPUTE_PGM_RSRC2:TGID_Z_EN: 0
; COMPUTE_PGM_RSRC2:TIDIG_COMP_CNT: 0
; COMPUTE_PGM_RSRC3_GFX90A:ACCUM_OFFSET: 0
; COMPUTE_PGM_RSRC3_GFX90A:TG_SPLIT: 0
	.section	.text._ZN7rocprim17ROCPRIM_400000_NS6detail17trampoline_kernelINS0_14default_configENS1_27scan_by_key_config_selectorIxxEEZZNS1_16scan_by_key_implILNS1_25lookback_scan_determinismE0ELb1ES3_N6thrust23THRUST_200600_302600_NS6detail15normal_iteratorINS9_10device_ptrIxEEEESE_SE_xNS9_4plusIxEE19head_flag_predicatexEE10hipError_tPvRmT2_T3_T4_T5_mT6_T7_P12ihipStream_tbENKUlT_T0_E_clISt17integral_constantIbLb1EESY_EEDaST_SU_EUlST_E_NS1_11comp_targetILNS1_3genE2ELNS1_11target_archE906ELNS1_3gpuE6ELNS1_3repE0EEENS1_30default_config_static_selectorELNS0_4arch9wavefront6targetE1EEEvT1_,"axG",@progbits,_ZN7rocprim17ROCPRIM_400000_NS6detail17trampoline_kernelINS0_14default_configENS1_27scan_by_key_config_selectorIxxEEZZNS1_16scan_by_key_implILNS1_25lookback_scan_determinismE0ELb1ES3_N6thrust23THRUST_200600_302600_NS6detail15normal_iteratorINS9_10device_ptrIxEEEESE_SE_xNS9_4plusIxEE19head_flag_predicatexEE10hipError_tPvRmT2_T3_T4_T5_mT6_T7_P12ihipStream_tbENKUlT_T0_E_clISt17integral_constantIbLb1EESY_EEDaST_SU_EUlST_E_NS1_11comp_targetILNS1_3genE2ELNS1_11target_archE906ELNS1_3gpuE6ELNS1_3repE0EEENS1_30default_config_static_selectorELNS0_4arch9wavefront6targetE1EEEvT1_,comdat
	.protected	_ZN7rocprim17ROCPRIM_400000_NS6detail17trampoline_kernelINS0_14default_configENS1_27scan_by_key_config_selectorIxxEEZZNS1_16scan_by_key_implILNS1_25lookback_scan_determinismE0ELb1ES3_N6thrust23THRUST_200600_302600_NS6detail15normal_iteratorINS9_10device_ptrIxEEEESE_SE_xNS9_4plusIxEE19head_flag_predicatexEE10hipError_tPvRmT2_T3_T4_T5_mT6_T7_P12ihipStream_tbENKUlT_T0_E_clISt17integral_constantIbLb1EESY_EEDaST_SU_EUlST_E_NS1_11comp_targetILNS1_3genE2ELNS1_11target_archE906ELNS1_3gpuE6ELNS1_3repE0EEENS1_30default_config_static_selectorELNS0_4arch9wavefront6targetE1EEEvT1_ ; -- Begin function _ZN7rocprim17ROCPRIM_400000_NS6detail17trampoline_kernelINS0_14default_configENS1_27scan_by_key_config_selectorIxxEEZZNS1_16scan_by_key_implILNS1_25lookback_scan_determinismE0ELb1ES3_N6thrust23THRUST_200600_302600_NS6detail15normal_iteratorINS9_10device_ptrIxEEEESE_SE_xNS9_4plusIxEE19head_flag_predicatexEE10hipError_tPvRmT2_T3_T4_T5_mT6_T7_P12ihipStream_tbENKUlT_T0_E_clISt17integral_constantIbLb1EESY_EEDaST_SU_EUlST_E_NS1_11comp_targetILNS1_3genE2ELNS1_11target_archE906ELNS1_3gpuE6ELNS1_3repE0EEENS1_30default_config_static_selectorELNS0_4arch9wavefront6targetE1EEEvT1_
	.globl	_ZN7rocprim17ROCPRIM_400000_NS6detail17trampoline_kernelINS0_14default_configENS1_27scan_by_key_config_selectorIxxEEZZNS1_16scan_by_key_implILNS1_25lookback_scan_determinismE0ELb1ES3_N6thrust23THRUST_200600_302600_NS6detail15normal_iteratorINS9_10device_ptrIxEEEESE_SE_xNS9_4plusIxEE19head_flag_predicatexEE10hipError_tPvRmT2_T3_T4_T5_mT6_T7_P12ihipStream_tbENKUlT_T0_E_clISt17integral_constantIbLb1EESY_EEDaST_SU_EUlST_E_NS1_11comp_targetILNS1_3genE2ELNS1_11target_archE906ELNS1_3gpuE6ELNS1_3repE0EEENS1_30default_config_static_selectorELNS0_4arch9wavefront6targetE1EEEvT1_
	.p2align	8
	.type	_ZN7rocprim17ROCPRIM_400000_NS6detail17trampoline_kernelINS0_14default_configENS1_27scan_by_key_config_selectorIxxEEZZNS1_16scan_by_key_implILNS1_25lookback_scan_determinismE0ELb1ES3_N6thrust23THRUST_200600_302600_NS6detail15normal_iteratorINS9_10device_ptrIxEEEESE_SE_xNS9_4plusIxEE19head_flag_predicatexEE10hipError_tPvRmT2_T3_T4_T5_mT6_T7_P12ihipStream_tbENKUlT_T0_E_clISt17integral_constantIbLb1EESY_EEDaST_SU_EUlST_E_NS1_11comp_targetILNS1_3genE2ELNS1_11target_archE906ELNS1_3gpuE6ELNS1_3repE0EEENS1_30default_config_static_selectorELNS0_4arch9wavefront6targetE1EEEvT1_,@function
_ZN7rocprim17ROCPRIM_400000_NS6detail17trampoline_kernelINS0_14default_configENS1_27scan_by_key_config_selectorIxxEEZZNS1_16scan_by_key_implILNS1_25lookback_scan_determinismE0ELb1ES3_N6thrust23THRUST_200600_302600_NS6detail15normal_iteratorINS9_10device_ptrIxEEEESE_SE_xNS9_4plusIxEE19head_flag_predicatexEE10hipError_tPvRmT2_T3_T4_T5_mT6_T7_P12ihipStream_tbENKUlT_T0_E_clISt17integral_constantIbLb1EESY_EEDaST_SU_EUlST_E_NS1_11comp_targetILNS1_3genE2ELNS1_11target_archE906ELNS1_3gpuE6ELNS1_3repE0EEENS1_30default_config_static_selectorELNS0_4arch9wavefront6targetE1EEEvT1_: ; @_ZN7rocprim17ROCPRIM_400000_NS6detail17trampoline_kernelINS0_14default_configENS1_27scan_by_key_config_selectorIxxEEZZNS1_16scan_by_key_implILNS1_25lookback_scan_determinismE0ELb1ES3_N6thrust23THRUST_200600_302600_NS6detail15normal_iteratorINS9_10device_ptrIxEEEESE_SE_xNS9_4plusIxEE19head_flag_predicatexEE10hipError_tPvRmT2_T3_T4_T5_mT6_T7_P12ihipStream_tbENKUlT_T0_E_clISt17integral_constantIbLb1EESY_EEDaST_SU_EUlST_E_NS1_11comp_targetILNS1_3genE2ELNS1_11target_archE906ELNS1_3gpuE6ELNS1_3repE0EEENS1_30default_config_static_selectorELNS0_4arch9wavefront6targetE1EEEvT1_
; %bb.0:
	.section	.rodata,"a",@progbits
	.p2align	6, 0x0
	.amdhsa_kernel _ZN7rocprim17ROCPRIM_400000_NS6detail17trampoline_kernelINS0_14default_configENS1_27scan_by_key_config_selectorIxxEEZZNS1_16scan_by_key_implILNS1_25lookback_scan_determinismE0ELb1ES3_N6thrust23THRUST_200600_302600_NS6detail15normal_iteratorINS9_10device_ptrIxEEEESE_SE_xNS9_4plusIxEE19head_flag_predicatexEE10hipError_tPvRmT2_T3_T4_T5_mT6_T7_P12ihipStream_tbENKUlT_T0_E_clISt17integral_constantIbLb1EESY_EEDaST_SU_EUlST_E_NS1_11comp_targetILNS1_3genE2ELNS1_11target_archE906ELNS1_3gpuE6ELNS1_3repE0EEENS1_30default_config_static_selectorELNS0_4arch9wavefront6targetE1EEEvT1_
		.amdhsa_group_segment_fixed_size 0
		.amdhsa_private_segment_fixed_size 0
		.amdhsa_kernarg_size 136
		.amdhsa_user_sgpr_count 6
		.amdhsa_user_sgpr_private_segment_buffer 1
		.amdhsa_user_sgpr_dispatch_ptr 0
		.amdhsa_user_sgpr_queue_ptr 0
		.amdhsa_user_sgpr_kernarg_segment_ptr 1
		.amdhsa_user_sgpr_dispatch_id 0
		.amdhsa_user_sgpr_flat_scratch_init 0
		.amdhsa_user_sgpr_kernarg_preload_length 0
		.amdhsa_user_sgpr_kernarg_preload_offset 0
		.amdhsa_user_sgpr_private_segment_size 0
		.amdhsa_uses_dynamic_stack 0
		.amdhsa_system_sgpr_private_segment_wavefront_offset 0
		.amdhsa_system_sgpr_workgroup_id_x 1
		.amdhsa_system_sgpr_workgroup_id_y 0
		.amdhsa_system_sgpr_workgroup_id_z 0
		.amdhsa_system_sgpr_workgroup_info 0
		.amdhsa_system_vgpr_workitem_id 0
		.amdhsa_next_free_vgpr 1
		.amdhsa_next_free_sgpr 0
		.amdhsa_accum_offset 4
		.amdhsa_reserve_vcc 0
		.amdhsa_reserve_flat_scratch 0
		.amdhsa_float_round_mode_32 0
		.amdhsa_float_round_mode_16_64 0
		.amdhsa_float_denorm_mode_32 3
		.amdhsa_float_denorm_mode_16_64 3
		.amdhsa_dx10_clamp 1
		.amdhsa_ieee_mode 1
		.amdhsa_fp16_overflow 0
		.amdhsa_tg_split 0
		.amdhsa_exception_fp_ieee_invalid_op 0
		.amdhsa_exception_fp_denorm_src 0
		.amdhsa_exception_fp_ieee_div_zero 0
		.amdhsa_exception_fp_ieee_overflow 0
		.amdhsa_exception_fp_ieee_underflow 0
		.amdhsa_exception_fp_ieee_inexact 0
		.amdhsa_exception_int_div_zero 0
	.end_amdhsa_kernel
	.section	.text._ZN7rocprim17ROCPRIM_400000_NS6detail17trampoline_kernelINS0_14default_configENS1_27scan_by_key_config_selectorIxxEEZZNS1_16scan_by_key_implILNS1_25lookback_scan_determinismE0ELb1ES3_N6thrust23THRUST_200600_302600_NS6detail15normal_iteratorINS9_10device_ptrIxEEEESE_SE_xNS9_4plusIxEE19head_flag_predicatexEE10hipError_tPvRmT2_T3_T4_T5_mT6_T7_P12ihipStream_tbENKUlT_T0_E_clISt17integral_constantIbLb1EESY_EEDaST_SU_EUlST_E_NS1_11comp_targetILNS1_3genE2ELNS1_11target_archE906ELNS1_3gpuE6ELNS1_3repE0EEENS1_30default_config_static_selectorELNS0_4arch9wavefront6targetE1EEEvT1_,"axG",@progbits,_ZN7rocprim17ROCPRIM_400000_NS6detail17trampoline_kernelINS0_14default_configENS1_27scan_by_key_config_selectorIxxEEZZNS1_16scan_by_key_implILNS1_25lookback_scan_determinismE0ELb1ES3_N6thrust23THRUST_200600_302600_NS6detail15normal_iteratorINS9_10device_ptrIxEEEESE_SE_xNS9_4plusIxEE19head_flag_predicatexEE10hipError_tPvRmT2_T3_T4_T5_mT6_T7_P12ihipStream_tbENKUlT_T0_E_clISt17integral_constantIbLb1EESY_EEDaST_SU_EUlST_E_NS1_11comp_targetILNS1_3genE2ELNS1_11target_archE906ELNS1_3gpuE6ELNS1_3repE0EEENS1_30default_config_static_selectorELNS0_4arch9wavefront6targetE1EEEvT1_,comdat
.Lfunc_end727:
	.size	_ZN7rocprim17ROCPRIM_400000_NS6detail17trampoline_kernelINS0_14default_configENS1_27scan_by_key_config_selectorIxxEEZZNS1_16scan_by_key_implILNS1_25lookback_scan_determinismE0ELb1ES3_N6thrust23THRUST_200600_302600_NS6detail15normal_iteratorINS9_10device_ptrIxEEEESE_SE_xNS9_4plusIxEE19head_flag_predicatexEE10hipError_tPvRmT2_T3_T4_T5_mT6_T7_P12ihipStream_tbENKUlT_T0_E_clISt17integral_constantIbLb1EESY_EEDaST_SU_EUlST_E_NS1_11comp_targetILNS1_3genE2ELNS1_11target_archE906ELNS1_3gpuE6ELNS1_3repE0EEENS1_30default_config_static_selectorELNS0_4arch9wavefront6targetE1EEEvT1_, .Lfunc_end727-_ZN7rocprim17ROCPRIM_400000_NS6detail17trampoline_kernelINS0_14default_configENS1_27scan_by_key_config_selectorIxxEEZZNS1_16scan_by_key_implILNS1_25lookback_scan_determinismE0ELb1ES3_N6thrust23THRUST_200600_302600_NS6detail15normal_iteratorINS9_10device_ptrIxEEEESE_SE_xNS9_4plusIxEE19head_flag_predicatexEE10hipError_tPvRmT2_T3_T4_T5_mT6_T7_P12ihipStream_tbENKUlT_T0_E_clISt17integral_constantIbLb1EESY_EEDaST_SU_EUlST_E_NS1_11comp_targetILNS1_3genE2ELNS1_11target_archE906ELNS1_3gpuE6ELNS1_3repE0EEENS1_30default_config_static_selectorELNS0_4arch9wavefront6targetE1EEEvT1_
                                        ; -- End function
	.section	.AMDGPU.csdata,"",@progbits
; Kernel info:
; codeLenInByte = 0
; NumSgprs: 4
; NumVgprs: 0
; NumAgprs: 0
; TotalNumVgprs: 0
; ScratchSize: 0
; MemoryBound: 0
; FloatMode: 240
; IeeeMode: 1
; LDSByteSize: 0 bytes/workgroup (compile time only)
; SGPRBlocks: 0
; VGPRBlocks: 0
; NumSGPRsForWavesPerEU: 4
; NumVGPRsForWavesPerEU: 1
; AccumOffset: 4
; Occupancy: 8
; WaveLimiterHint : 0
; COMPUTE_PGM_RSRC2:SCRATCH_EN: 0
; COMPUTE_PGM_RSRC2:USER_SGPR: 6
; COMPUTE_PGM_RSRC2:TRAP_HANDLER: 0
; COMPUTE_PGM_RSRC2:TGID_X_EN: 1
; COMPUTE_PGM_RSRC2:TGID_Y_EN: 0
; COMPUTE_PGM_RSRC2:TGID_Z_EN: 0
; COMPUTE_PGM_RSRC2:TIDIG_COMP_CNT: 0
; COMPUTE_PGM_RSRC3_GFX90A:ACCUM_OFFSET: 0
; COMPUTE_PGM_RSRC3_GFX90A:TG_SPLIT: 0
	.section	.text._ZN7rocprim17ROCPRIM_400000_NS6detail17trampoline_kernelINS0_14default_configENS1_27scan_by_key_config_selectorIxxEEZZNS1_16scan_by_key_implILNS1_25lookback_scan_determinismE0ELb1ES3_N6thrust23THRUST_200600_302600_NS6detail15normal_iteratorINS9_10device_ptrIxEEEESE_SE_xNS9_4plusIxEE19head_flag_predicatexEE10hipError_tPvRmT2_T3_T4_T5_mT6_T7_P12ihipStream_tbENKUlT_T0_E_clISt17integral_constantIbLb1EESY_EEDaST_SU_EUlST_E_NS1_11comp_targetILNS1_3genE10ELNS1_11target_archE1200ELNS1_3gpuE4ELNS1_3repE0EEENS1_30default_config_static_selectorELNS0_4arch9wavefront6targetE1EEEvT1_,"axG",@progbits,_ZN7rocprim17ROCPRIM_400000_NS6detail17trampoline_kernelINS0_14default_configENS1_27scan_by_key_config_selectorIxxEEZZNS1_16scan_by_key_implILNS1_25lookback_scan_determinismE0ELb1ES3_N6thrust23THRUST_200600_302600_NS6detail15normal_iteratorINS9_10device_ptrIxEEEESE_SE_xNS9_4plusIxEE19head_flag_predicatexEE10hipError_tPvRmT2_T3_T4_T5_mT6_T7_P12ihipStream_tbENKUlT_T0_E_clISt17integral_constantIbLb1EESY_EEDaST_SU_EUlST_E_NS1_11comp_targetILNS1_3genE10ELNS1_11target_archE1200ELNS1_3gpuE4ELNS1_3repE0EEENS1_30default_config_static_selectorELNS0_4arch9wavefront6targetE1EEEvT1_,comdat
	.protected	_ZN7rocprim17ROCPRIM_400000_NS6detail17trampoline_kernelINS0_14default_configENS1_27scan_by_key_config_selectorIxxEEZZNS1_16scan_by_key_implILNS1_25lookback_scan_determinismE0ELb1ES3_N6thrust23THRUST_200600_302600_NS6detail15normal_iteratorINS9_10device_ptrIxEEEESE_SE_xNS9_4plusIxEE19head_flag_predicatexEE10hipError_tPvRmT2_T3_T4_T5_mT6_T7_P12ihipStream_tbENKUlT_T0_E_clISt17integral_constantIbLb1EESY_EEDaST_SU_EUlST_E_NS1_11comp_targetILNS1_3genE10ELNS1_11target_archE1200ELNS1_3gpuE4ELNS1_3repE0EEENS1_30default_config_static_selectorELNS0_4arch9wavefront6targetE1EEEvT1_ ; -- Begin function _ZN7rocprim17ROCPRIM_400000_NS6detail17trampoline_kernelINS0_14default_configENS1_27scan_by_key_config_selectorIxxEEZZNS1_16scan_by_key_implILNS1_25lookback_scan_determinismE0ELb1ES3_N6thrust23THRUST_200600_302600_NS6detail15normal_iteratorINS9_10device_ptrIxEEEESE_SE_xNS9_4plusIxEE19head_flag_predicatexEE10hipError_tPvRmT2_T3_T4_T5_mT6_T7_P12ihipStream_tbENKUlT_T0_E_clISt17integral_constantIbLb1EESY_EEDaST_SU_EUlST_E_NS1_11comp_targetILNS1_3genE10ELNS1_11target_archE1200ELNS1_3gpuE4ELNS1_3repE0EEENS1_30default_config_static_selectorELNS0_4arch9wavefront6targetE1EEEvT1_
	.globl	_ZN7rocprim17ROCPRIM_400000_NS6detail17trampoline_kernelINS0_14default_configENS1_27scan_by_key_config_selectorIxxEEZZNS1_16scan_by_key_implILNS1_25lookback_scan_determinismE0ELb1ES3_N6thrust23THRUST_200600_302600_NS6detail15normal_iteratorINS9_10device_ptrIxEEEESE_SE_xNS9_4plusIxEE19head_flag_predicatexEE10hipError_tPvRmT2_T3_T4_T5_mT6_T7_P12ihipStream_tbENKUlT_T0_E_clISt17integral_constantIbLb1EESY_EEDaST_SU_EUlST_E_NS1_11comp_targetILNS1_3genE10ELNS1_11target_archE1200ELNS1_3gpuE4ELNS1_3repE0EEENS1_30default_config_static_selectorELNS0_4arch9wavefront6targetE1EEEvT1_
	.p2align	8
	.type	_ZN7rocprim17ROCPRIM_400000_NS6detail17trampoline_kernelINS0_14default_configENS1_27scan_by_key_config_selectorIxxEEZZNS1_16scan_by_key_implILNS1_25lookback_scan_determinismE0ELb1ES3_N6thrust23THRUST_200600_302600_NS6detail15normal_iteratorINS9_10device_ptrIxEEEESE_SE_xNS9_4plusIxEE19head_flag_predicatexEE10hipError_tPvRmT2_T3_T4_T5_mT6_T7_P12ihipStream_tbENKUlT_T0_E_clISt17integral_constantIbLb1EESY_EEDaST_SU_EUlST_E_NS1_11comp_targetILNS1_3genE10ELNS1_11target_archE1200ELNS1_3gpuE4ELNS1_3repE0EEENS1_30default_config_static_selectorELNS0_4arch9wavefront6targetE1EEEvT1_,@function
_ZN7rocprim17ROCPRIM_400000_NS6detail17trampoline_kernelINS0_14default_configENS1_27scan_by_key_config_selectorIxxEEZZNS1_16scan_by_key_implILNS1_25lookback_scan_determinismE0ELb1ES3_N6thrust23THRUST_200600_302600_NS6detail15normal_iteratorINS9_10device_ptrIxEEEESE_SE_xNS9_4plusIxEE19head_flag_predicatexEE10hipError_tPvRmT2_T3_T4_T5_mT6_T7_P12ihipStream_tbENKUlT_T0_E_clISt17integral_constantIbLb1EESY_EEDaST_SU_EUlST_E_NS1_11comp_targetILNS1_3genE10ELNS1_11target_archE1200ELNS1_3gpuE4ELNS1_3repE0EEENS1_30default_config_static_selectorELNS0_4arch9wavefront6targetE1EEEvT1_: ; @_ZN7rocprim17ROCPRIM_400000_NS6detail17trampoline_kernelINS0_14default_configENS1_27scan_by_key_config_selectorIxxEEZZNS1_16scan_by_key_implILNS1_25lookback_scan_determinismE0ELb1ES3_N6thrust23THRUST_200600_302600_NS6detail15normal_iteratorINS9_10device_ptrIxEEEESE_SE_xNS9_4plusIxEE19head_flag_predicatexEE10hipError_tPvRmT2_T3_T4_T5_mT6_T7_P12ihipStream_tbENKUlT_T0_E_clISt17integral_constantIbLb1EESY_EEDaST_SU_EUlST_E_NS1_11comp_targetILNS1_3genE10ELNS1_11target_archE1200ELNS1_3gpuE4ELNS1_3repE0EEENS1_30default_config_static_selectorELNS0_4arch9wavefront6targetE1EEEvT1_
; %bb.0:
	.section	.rodata,"a",@progbits
	.p2align	6, 0x0
	.amdhsa_kernel _ZN7rocprim17ROCPRIM_400000_NS6detail17trampoline_kernelINS0_14default_configENS1_27scan_by_key_config_selectorIxxEEZZNS1_16scan_by_key_implILNS1_25lookback_scan_determinismE0ELb1ES3_N6thrust23THRUST_200600_302600_NS6detail15normal_iteratorINS9_10device_ptrIxEEEESE_SE_xNS9_4plusIxEE19head_flag_predicatexEE10hipError_tPvRmT2_T3_T4_T5_mT6_T7_P12ihipStream_tbENKUlT_T0_E_clISt17integral_constantIbLb1EESY_EEDaST_SU_EUlST_E_NS1_11comp_targetILNS1_3genE10ELNS1_11target_archE1200ELNS1_3gpuE4ELNS1_3repE0EEENS1_30default_config_static_selectorELNS0_4arch9wavefront6targetE1EEEvT1_
		.amdhsa_group_segment_fixed_size 0
		.amdhsa_private_segment_fixed_size 0
		.amdhsa_kernarg_size 136
		.amdhsa_user_sgpr_count 6
		.amdhsa_user_sgpr_private_segment_buffer 1
		.amdhsa_user_sgpr_dispatch_ptr 0
		.amdhsa_user_sgpr_queue_ptr 0
		.amdhsa_user_sgpr_kernarg_segment_ptr 1
		.amdhsa_user_sgpr_dispatch_id 0
		.amdhsa_user_sgpr_flat_scratch_init 0
		.amdhsa_user_sgpr_kernarg_preload_length 0
		.amdhsa_user_sgpr_kernarg_preload_offset 0
		.amdhsa_user_sgpr_private_segment_size 0
		.amdhsa_uses_dynamic_stack 0
		.amdhsa_system_sgpr_private_segment_wavefront_offset 0
		.amdhsa_system_sgpr_workgroup_id_x 1
		.amdhsa_system_sgpr_workgroup_id_y 0
		.amdhsa_system_sgpr_workgroup_id_z 0
		.amdhsa_system_sgpr_workgroup_info 0
		.amdhsa_system_vgpr_workitem_id 0
		.amdhsa_next_free_vgpr 1
		.amdhsa_next_free_sgpr 0
		.amdhsa_accum_offset 4
		.amdhsa_reserve_vcc 0
		.amdhsa_reserve_flat_scratch 0
		.amdhsa_float_round_mode_32 0
		.amdhsa_float_round_mode_16_64 0
		.amdhsa_float_denorm_mode_32 3
		.amdhsa_float_denorm_mode_16_64 3
		.amdhsa_dx10_clamp 1
		.amdhsa_ieee_mode 1
		.amdhsa_fp16_overflow 0
		.amdhsa_tg_split 0
		.amdhsa_exception_fp_ieee_invalid_op 0
		.amdhsa_exception_fp_denorm_src 0
		.amdhsa_exception_fp_ieee_div_zero 0
		.amdhsa_exception_fp_ieee_overflow 0
		.amdhsa_exception_fp_ieee_underflow 0
		.amdhsa_exception_fp_ieee_inexact 0
		.amdhsa_exception_int_div_zero 0
	.end_amdhsa_kernel
	.section	.text._ZN7rocprim17ROCPRIM_400000_NS6detail17trampoline_kernelINS0_14default_configENS1_27scan_by_key_config_selectorIxxEEZZNS1_16scan_by_key_implILNS1_25lookback_scan_determinismE0ELb1ES3_N6thrust23THRUST_200600_302600_NS6detail15normal_iteratorINS9_10device_ptrIxEEEESE_SE_xNS9_4plusIxEE19head_flag_predicatexEE10hipError_tPvRmT2_T3_T4_T5_mT6_T7_P12ihipStream_tbENKUlT_T0_E_clISt17integral_constantIbLb1EESY_EEDaST_SU_EUlST_E_NS1_11comp_targetILNS1_3genE10ELNS1_11target_archE1200ELNS1_3gpuE4ELNS1_3repE0EEENS1_30default_config_static_selectorELNS0_4arch9wavefront6targetE1EEEvT1_,"axG",@progbits,_ZN7rocprim17ROCPRIM_400000_NS6detail17trampoline_kernelINS0_14default_configENS1_27scan_by_key_config_selectorIxxEEZZNS1_16scan_by_key_implILNS1_25lookback_scan_determinismE0ELb1ES3_N6thrust23THRUST_200600_302600_NS6detail15normal_iteratorINS9_10device_ptrIxEEEESE_SE_xNS9_4plusIxEE19head_flag_predicatexEE10hipError_tPvRmT2_T3_T4_T5_mT6_T7_P12ihipStream_tbENKUlT_T0_E_clISt17integral_constantIbLb1EESY_EEDaST_SU_EUlST_E_NS1_11comp_targetILNS1_3genE10ELNS1_11target_archE1200ELNS1_3gpuE4ELNS1_3repE0EEENS1_30default_config_static_selectorELNS0_4arch9wavefront6targetE1EEEvT1_,comdat
.Lfunc_end728:
	.size	_ZN7rocprim17ROCPRIM_400000_NS6detail17trampoline_kernelINS0_14default_configENS1_27scan_by_key_config_selectorIxxEEZZNS1_16scan_by_key_implILNS1_25lookback_scan_determinismE0ELb1ES3_N6thrust23THRUST_200600_302600_NS6detail15normal_iteratorINS9_10device_ptrIxEEEESE_SE_xNS9_4plusIxEE19head_flag_predicatexEE10hipError_tPvRmT2_T3_T4_T5_mT6_T7_P12ihipStream_tbENKUlT_T0_E_clISt17integral_constantIbLb1EESY_EEDaST_SU_EUlST_E_NS1_11comp_targetILNS1_3genE10ELNS1_11target_archE1200ELNS1_3gpuE4ELNS1_3repE0EEENS1_30default_config_static_selectorELNS0_4arch9wavefront6targetE1EEEvT1_, .Lfunc_end728-_ZN7rocprim17ROCPRIM_400000_NS6detail17trampoline_kernelINS0_14default_configENS1_27scan_by_key_config_selectorIxxEEZZNS1_16scan_by_key_implILNS1_25lookback_scan_determinismE0ELb1ES3_N6thrust23THRUST_200600_302600_NS6detail15normal_iteratorINS9_10device_ptrIxEEEESE_SE_xNS9_4plusIxEE19head_flag_predicatexEE10hipError_tPvRmT2_T3_T4_T5_mT6_T7_P12ihipStream_tbENKUlT_T0_E_clISt17integral_constantIbLb1EESY_EEDaST_SU_EUlST_E_NS1_11comp_targetILNS1_3genE10ELNS1_11target_archE1200ELNS1_3gpuE4ELNS1_3repE0EEENS1_30default_config_static_selectorELNS0_4arch9wavefront6targetE1EEEvT1_
                                        ; -- End function
	.section	.AMDGPU.csdata,"",@progbits
; Kernel info:
; codeLenInByte = 0
; NumSgprs: 4
; NumVgprs: 0
; NumAgprs: 0
; TotalNumVgprs: 0
; ScratchSize: 0
; MemoryBound: 0
; FloatMode: 240
; IeeeMode: 1
; LDSByteSize: 0 bytes/workgroup (compile time only)
; SGPRBlocks: 0
; VGPRBlocks: 0
; NumSGPRsForWavesPerEU: 4
; NumVGPRsForWavesPerEU: 1
; AccumOffset: 4
; Occupancy: 8
; WaveLimiterHint : 0
; COMPUTE_PGM_RSRC2:SCRATCH_EN: 0
; COMPUTE_PGM_RSRC2:USER_SGPR: 6
; COMPUTE_PGM_RSRC2:TRAP_HANDLER: 0
; COMPUTE_PGM_RSRC2:TGID_X_EN: 1
; COMPUTE_PGM_RSRC2:TGID_Y_EN: 0
; COMPUTE_PGM_RSRC2:TGID_Z_EN: 0
; COMPUTE_PGM_RSRC2:TIDIG_COMP_CNT: 0
; COMPUTE_PGM_RSRC3_GFX90A:ACCUM_OFFSET: 0
; COMPUTE_PGM_RSRC3_GFX90A:TG_SPLIT: 0
	.section	.text._ZN7rocprim17ROCPRIM_400000_NS6detail17trampoline_kernelINS0_14default_configENS1_27scan_by_key_config_selectorIxxEEZZNS1_16scan_by_key_implILNS1_25lookback_scan_determinismE0ELb1ES3_N6thrust23THRUST_200600_302600_NS6detail15normal_iteratorINS9_10device_ptrIxEEEESE_SE_xNS9_4plusIxEE19head_flag_predicatexEE10hipError_tPvRmT2_T3_T4_T5_mT6_T7_P12ihipStream_tbENKUlT_T0_E_clISt17integral_constantIbLb1EESY_EEDaST_SU_EUlST_E_NS1_11comp_targetILNS1_3genE9ELNS1_11target_archE1100ELNS1_3gpuE3ELNS1_3repE0EEENS1_30default_config_static_selectorELNS0_4arch9wavefront6targetE1EEEvT1_,"axG",@progbits,_ZN7rocprim17ROCPRIM_400000_NS6detail17trampoline_kernelINS0_14default_configENS1_27scan_by_key_config_selectorIxxEEZZNS1_16scan_by_key_implILNS1_25lookback_scan_determinismE0ELb1ES3_N6thrust23THRUST_200600_302600_NS6detail15normal_iteratorINS9_10device_ptrIxEEEESE_SE_xNS9_4plusIxEE19head_flag_predicatexEE10hipError_tPvRmT2_T3_T4_T5_mT6_T7_P12ihipStream_tbENKUlT_T0_E_clISt17integral_constantIbLb1EESY_EEDaST_SU_EUlST_E_NS1_11comp_targetILNS1_3genE9ELNS1_11target_archE1100ELNS1_3gpuE3ELNS1_3repE0EEENS1_30default_config_static_selectorELNS0_4arch9wavefront6targetE1EEEvT1_,comdat
	.protected	_ZN7rocprim17ROCPRIM_400000_NS6detail17trampoline_kernelINS0_14default_configENS1_27scan_by_key_config_selectorIxxEEZZNS1_16scan_by_key_implILNS1_25lookback_scan_determinismE0ELb1ES3_N6thrust23THRUST_200600_302600_NS6detail15normal_iteratorINS9_10device_ptrIxEEEESE_SE_xNS9_4plusIxEE19head_flag_predicatexEE10hipError_tPvRmT2_T3_T4_T5_mT6_T7_P12ihipStream_tbENKUlT_T0_E_clISt17integral_constantIbLb1EESY_EEDaST_SU_EUlST_E_NS1_11comp_targetILNS1_3genE9ELNS1_11target_archE1100ELNS1_3gpuE3ELNS1_3repE0EEENS1_30default_config_static_selectorELNS0_4arch9wavefront6targetE1EEEvT1_ ; -- Begin function _ZN7rocprim17ROCPRIM_400000_NS6detail17trampoline_kernelINS0_14default_configENS1_27scan_by_key_config_selectorIxxEEZZNS1_16scan_by_key_implILNS1_25lookback_scan_determinismE0ELb1ES3_N6thrust23THRUST_200600_302600_NS6detail15normal_iteratorINS9_10device_ptrIxEEEESE_SE_xNS9_4plusIxEE19head_flag_predicatexEE10hipError_tPvRmT2_T3_T4_T5_mT6_T7_P12ihipStream_tbENKUlT_T0_E_clISt17integral_constantIbLb1EESY_EEDaST_SU_EUlST_E_NS1_11comp_targetILNS1_3genE9ELNS1_11target_archE1100ELNS1_3gpuE3ELNS1_3repE0EEENS1_30default_config_static_selectorELNS0_4arch9wavefront6targetE1EEEvT1_
	.globl	_ZN7rocprim17ROCPRIM_400000_NS6detail17trampoline_kernelINS0_14default_configENS1_27scan_by_key_config_selectorIxxEEZZNS1_16scan_by_key_implILNS1_25lookback_scan_determinismE0ELb1ES3_N6thrust23THRUST_200600_302600_NS6detail15normal_iteratorINS9_10device_ptrIxEEEESE_SE_xNS9_4plusIxEE19head_flag_predicatexEE10hipError_tPvRmT2_T3_T4_T5_mT6_T7_P12ihipStream_tbENKUlT_T0_E_clISt17integral_constantIbLb1EESY_EEDaST_SU_EUlST_E_NS1_11comp_targetILNS1_3genE9ELNS1_11target_archE1100ELNS1_3gpuE3ELNS1_3repE0EEENS1_30default_config_static_selectorELNS0_4arch9wavefront6targetE1EEEvT1_
	.p2align	8
	.type	_ZN7rocprim17ROCPRIM_400000_NS6detail17trampoline_kernelINS0_14default_configENS1_27scan_by_key_config_selectorIxxEEZZNS1_16scan_by_key_implILNS1_25lookback_scan_determinismE0ELb1ES3_N6thrust23THRUST_200600_302600_NS6detail15normal_iteratorINS9_10device_ptrIxEEEESE_SE_xNS9_4plusIxEE19head_flag_predicatexEE10hipError_tPvRmT2_T3_T4_T5_mT6_T7_P12ihipStream_tbENKUlT_T0_E_clISt17integral_constantIbLb1EESY_EEDaST_SU_EUlST_E_NS1_11comp_targetILNS1_3genE9ELNS1_11target_archE1100ELNS1_3gpuE3ELNS1_3repE0EEENS1_30default_config_static_selectorELNS0_4arch9wavefront6targetE1EEEvT1_,@function
_ZN7rocprim17ROCPRIM_400000_NS6detail17trampoline_kernelINS0_14default_configENS1_27scan_by_key_config_selectorIxxEEZZNS1_16scan_by_key_implILNS1_25lookback_scan_determinismE0ELb1ES3_N6thrust23THRUST_200600_302600_NS6detail15normal_iteratorINS9_10device_ptrIxEEEESE_SE_xNS9_4plusIxEE19head_flag_predicatexEE10hipError_tPvRmT2_T3_T4_T5_mT6_T7_P12ihipStream_tbENKUlT_T0_E_clISt17integral_constantIbLb1EESY_EEDaST_SU_EUlST_E_NS1_11comp_targetILNS1_3genE9ELNS1_11target_archE1100ELNS1_3gpuE3ELNS1_3repE0EEENS1_30default_config_static_selectorELNS0_4arch9wavefront6targetE1EEEvT1_: ; @_ZN7rocprim17ROCPRIM_400000_NS6detail17trampoline_kernelINS0_14default_configENS1_27scan_by_key_config_selectorIxxEEZZNS1_16scan_by_key_implILNS1_25lookback_scan_determinismE0ELb1ES3_N6thrust23THRUST_200600_302600_NS6detail15normal_iteratorINS9_10device_ptrIxEEEESE_SE_xNS9_4plusIxEE19head_flag_predicatexEE10hipError_tPvRmT2_T3_T4_T5_mT6_T7_P12ihipStream_tbENKUlT_T0_E_clISt17integral_constantIbLb1EESY_EEDaST_SU_EUlST_E_NS1_11comp_targetILNS1_3genE9ELNS1_11target_archE1100ELNS1_3gpuE3ELNS1_3repE0EEENS1_30default_config_static_selectorELNS0_4arch9wavefront6targetE1EEEvT1_
; %bb.0:
	.section	.rodata,"a",@progbits
	.p2align	6, 0x0
	.amdhsa_kernel _ZN7rocprim17ROCPRIM_400000_NS6detail17trampoline_kernelINS0_14default_configENS1_27scan_by_key_config_selectorIxxEEZZNS1_16scan_by_key_implILNS1_25lookback_scan_determinismE0ELb1ES3_N6thrust23THRUST_200600_302600_NS6detail15normal_iteratorINS9_10device_ptrIxEEEESE_SE_xNS9_4plusIxEE19head_flag_predicatexEE10hipError_tPvRmT2_T3_T4_T5_mT6_T7_P12ihipStream_tbENKUlT_T0_E_clISt17integral_constantIbLb1EESY_EEDaST_SU_EUlST_E_NS1_11comp_targetILNS1_3genE9ELNS1_11target_archE1100ELNS1_3gpuE3ELNS1_3repE0EEENS1_30default_config_static_selectorELNS0_4arch9wavefront6targetE1EEEvT1_
		.amdhsa_group_segment_fixed_size 0
		.amdhsa_private_segment_fixed_size 0
		.amdhsa_kernarg_size 136
		.amdhsa_user_sgpr_count 6
		.amdhsa_user_sgpr_private_segment_buffer 1
		.amdhsa_user_sgpr_dispatch_ptr 0
		.amdhsa_user_sgpr_queue_ptr 0
		.amdhsa_user_sgpr_kernarg_segment_ptr 1
		.amdhsa_user_sgpr_dispatch_id 0
		.amdhsa_user_sgpr_flat_scratch_init 0
		.amdhsa_user_sgpr_kernarg_preload_length 0
		.amdhsa_user_sgpr_kernarg_preload_offset 0
		.amdhsa_user_sgpr_private_segment_size 0
		.amdhsa_uses_dynamic_stack 0
		.amdhsa_system_sgpr_private_segment_wavefront_offset 0
		.amdhsa_system_sgpr_workgroup_id_x 1
		.amdhsa_system_sgpr_workgroup_id_y 0
		.amdhsa_system_sgpr_workgroup_id_z 0
		.amdhsa_system_sgpr_workgroup_info 0
		.amdhsa_system_vgpr_workitem_id 0
		.amdhsa_next_free_vgpr 1
		.amdhsa_next_free_sgpr 0
		.amdhsa_accum_offset 4
		.amdhsa_reserve_vcc 0
		.amdhsa_reserve_flat_scratch 0
		.amdhsa_float_round_mode_32 0
		.amdhsa_float_round_mode_16_64 0
		.amdhsa_float_denorm_mode_32 3
		.amdhsa_float_denorm_mode_16_64 3
		.amdhsa_dx10_clamp 1
		.amdhsa_ieee_mode 1
		.amdhsa_fp16_overflow 0
		.amdhsa_tg_split 0
		.amdhsa_exception_fp_ieee_invalid_op 0
		.amdhsa_exception_fp_denorm_src 0
		.amdhsa_exception_fp_ieee_div_zero 0
		.amdhsa_exception_fp_ieee_overflow 0
		.amdhsa_exception_fp_ieee_underflow 0
		.amdhsa_exception_fp_ieee_inexact 0
		.amdhsa_exception_int_div_zero 0
	.end_amdhsa_kernel
	.section	.text._ZN7rocprim17ROCPRIM_400000_NS6detail17trampoline_kernelINS0_14default_configENS1_27scan_by_key_config_selectorIxxEEZZNS1_16scan_by_key_implILNS1_25lookback_scan_determinismE0ELb1ES3_N6thrust23THRUST_200600_302600_NS6detail15normal_iteratorINS9_10device_ptrIxEEEESE_SE_xNS9_4plusIxEE19head_flag_predicatexEE10hipError_tPvRmT2_T3_T4_T5_mT6_T7_P12ihipStream_tbENKUlT_T0_E_clISt17integral_constantIbLb1EESY_EEDaST_SU_EUlST_E_NS1_11comp_targetILNS1_3genE9ELNS1_11target_archE1100ELNS1_3gpuE3ELNS1_3repE0EEENS1_30default_config_static_selectorELNS0_4arch9wavefront6targetE1EEEvT1_,"axG",@progbits,_ZN7rocprim17ROCPRIM_400000_NS6detail17trampoline_kernelINS0_14default_configENS1_27scan_by_key_config_selectorIxxEEZZNS1_16scan_by_key_implILNS1_25lookback_scan_determinismE0ELb1ES3_N6thrust23THRUST_200600_302600_NS6detail15normal_iteratorINS9_10device_ptrIxEEEESE_SE_xNS9_4plusIxEE19head_flag_predicatexEE10hipError_tPvRmT2_T3_T4_T5_mT6_T7_P12ihipStream_tbENKUlT_T0_E_clISt17integral_constantIbLb1EESY_EEDaST_SU_EUlST_E_NS1_11comp_targetILNS1_3genE9ELNS1_11target_archE1100ELNS1_3gpuE3ELNS1_3repE0EEENS1_30default_config_static_selectorELNS0_4arch9wavefront6targetE1EEEvT1_,comdat
.Lfunc_end729:
	.size	_ZN7rocprim17ROCPRIM_400000_NS6detail17trampoline_kernelINS0_14default_configENS1_27scan_by_key_config_selectorIxxEEZZNS1_16scan_by_key_implILNS1_25lookback_scan_determinismE0ELb1ES3_N6thrust23THRUST_200600_302600_NS6detail15normal_iteratorINS9_10device_ptrIxEEEESE_SE_xNS9_4plusIxEE19head_flag_predicatexEE10hipError_tPvRmT2_T3_T4_T5_mT6_T7_P12ihipStream_tbENKUlT_T0_E_clISt17integral_constantIbLb1EESY_EEDaST_SU_EUlST_E_NS1_11comp_targetILNS1_3genE9ELNS1_11target_archE1100ELNS1_3gpuE3ELNS1_3repE0EEENS1_30default_config_static_selectorELNS0_4arch9wavefront6targetE1EEEvT1_, .Lfunc_end729-_ZN7rocprim17ROCPRIM_400000_NS6detail17trampoline_kernelINS0_14default_configENS1_27scan_by_key_config_selectorIxxEEZZNS1_16scan_by_key_implILNS1_25lookback_scan_determinismE0ELb1ES3_N6thrust23THRUST_200600_302600_NS6detail15normal_iteratorINS9_10device_ptrIxEEEESE_SE_xNS9_4plusIxEE19head_flag_predicatexEE10hipError_tPvRmT2_T3_T4_T5_mT6_T7_P12ihipStream_tbENKUlT_T0_E_clISt17integral_constantIbLb1EESY_EEDaST_SU_EUlST_E_NS1_11comp_targetILNS1_3genE9ELNS1_11target_archE1100ELNS1_3gpuE3ELNS1_3repE0EEENS1_30default_config_static_selectorELNS0_4arch9wavefront6targetE1EEEvT1_
                                        ; -- End function
	.section	.AMDGPU.csdata,"",@progbits
; Kernel info:
; codeLenInByte = 0
; NumSgprs: 4
; NumVgprs: 0
; NumAgprs: 0
; TotalNumVgprs: 0
; ScratchSize: 0
; MemoryBound: 0
; FloatMode: 240
; IeeeMode: 1
; LDSByteSize: 0 bytes/workgroup (compile time only)
; SGPRBlocks: 0
; VGPRBlocks: 0
; NumSGPRsForWavesPerEU: 4
; NumVGPRsForWavesPerEU: 1
; AccumOffset: 4
; Occupancy: 8
; WaveLimiterHint : 0
; COMPUTE_PGM_RSRC2:SCRATCH_EN: 0
; COMPUTE_PGM_RSRC2:USER_SGPR: 6
; COMPUTE_PGM_RSRC2:TRAP_HANDLER: 0
; COMPUTE_PGM_RSRC2:TGID_X_EN: 1
; COMPUTE_PGM_RSRC2:TGID_Y_EN: 0
; COMPUTE_PGM_RSRC2:TGID_Z_EN: 0
; COMPUTE_PGM_RSRC2:TIDIG_COMP_CNT: 0
; COMPUTE_PGM_RSRC3_GFX90A:ACCUM_OFFSET: 0
; COMPUTE_PGM_RSRC3_GFX90A:TG_SPLIT: 0
	.section	.text._ZN7rocprim17ROCPRIM_400000_NS6detail17trampoline_kernelINS0_14default_configENS1_27scan_by_key_config_selectorIxxEEZZNS1_16scan_by_key_implILNS1_25lookback_scan_determinismE0ELb1ES3_N6thrust23THRUST_200600_302600_NS6detail15normal_iteratorINS9_10device_ptrIxEEEESE_SE_xNS9_4plusIxEE19head_flag_predicatexEE10hipError_tPvRmT2_T3_T4_T5_mT6_T7_P12ihipStream_tbENKUlT_T0_E_clISt17integral_constantIbLb1EESY_EEDaST_SU_EUlST_E_NS1_11comp_targetILNS1_3genE8ELNS1_11target_archE1030ELNS1_3gpuE2ELNS1_3repE0EEENS1_30default_config_static_selectorELNS0_4arch9wavefront6targetE1EEEvT1_,"axG",@progbits,_ZN7rocprim17ROCPRIM_400000_NS6detail17trampoline_kernelINS0_14default_configENS1_27scan_by_key_config_selectorIxxEEZZNS1_16scan_by_key_implILNS1_25lookback_scan_determinismE0ELb1ES3_N6thrust23THRUST_200600_302600_NS6detail15normal_iteratorINS9_10device_ptrIxEEEESE_SE_xNS9_4plusIxEE19head_flag_predicatexEE10hipError_tPvRmT2_T3_T4_T5_mT6_T7_P12ihipStream_tbENKUlT_T0_E_clISt17integral_constantIbLb1EESY_EEDaST_SU_EUlST_E_NS1_11comp_targetILNS1_3genE8ELNS1_11target_archE1030ELNS1_3gpuE2ELNS1_3repE0EEENS1_30default_config_static_selectorELNS0_4arch9wavefront6targetE1EEEvT1_,comdat
	.protected	_ZN7rocprim17ROCPRIM_400000_NS6detail17trampoline_kernelINS0_14default_configENS1_27scan_by_key_config_selectorIxxEEZZNS1_16scan_by_key_implILNS1_25lookback_scan_determinismE0ELb1ES3_N6thrust23THRUST_200600_302600_NS6detail15normal_iteratorINS9_10device_ptrIxEEEESE_SE_xNS9_4plusIxEE19head_flag_predicatexEE10hipError_tPvRmT2_T3_T4_T5_mT6_T7_P12ihipStream_tbENKUlT_T0_E_clISt17integral_constantIbLb1EESY_EEDaST_SU_EUlST_E_NS1_11comp_targetILNS1_3genE8ELNS1_11target_archE1030ELNS1_3gpuE2ELNS1_3repE0EEENS1_30default_config_static_selectorELNS0_4arch9wavefront6targetE1EEEvT1_ ; -- Begin function _ZN7rocprim17ROCPRIM_400000_NS6detail17trampoline_kernelINS0_14default_configENS1_27scan_by_key_config_selectorIxxEEZZNS1_16scan_by_key_implILNS1_25lookback_scan_determinismE0ELb1ES3_N6thrust23THRUST_200600_302600_NS6detail15normal_iteratorINS9_10device_ptrIxEEEESE_SE_xNS9_4plusIxEE19head_flag_predicatexEE10hipError_tPvRmT2_T3_T4_T5_mT6_T7_P12ihipStream_tbENKUlT_T0_E_clISt17integral_constantIbLb1EESY_EEDaST_SU_EUlST_E_NS1_11comp_targetILNS1_3genE8ELNS1_11target_archE1030ELNS1_3gpuE2ELNS1_3repE0EEENS1_30default_config_static_selectorELNS0_4arch9wavefront6targetE1EEEvT1_
	.globl	_ZN7rocprim17ROCPRIM_400000_NS6detail17trampoline_kernelINS0_14default_configENS1_27scan_by_key_config_selectorIxxEEZZNS1_16scan_by_key_implILNS1_25lookback_scan_determinismE0ELb1ES3_N6thrust23THRUST_200600_302600_NS6detail15normal_iteratorINS9_10device_ptrIxEEEESE_SE_xNS9_4plusIxEE19head_flag_predicatexEE10hipError_tPvRmT2_T3_T4_T5_mT6_T7_P12ihipStream_tbENKUlT_T0_E_clISt17integral_constantIbLb1EESY_EEDaST_SU_EUlST_E_NS1_11comp_targetILNS1_3genE8ELNS1_11target_archE1030ELNS1_3gpuE2ELNS1_3repE0EEENS1_30default_config_static_selectorELNS0_4arch9wavefront6targetE1EEEvT1_
	.p2align	8
	.type	_ZN7rocprim17ROCPRIM_400000_NS6detail17trampoline_kernelINS0_14default_configENS1_27scan_by_key_config_selectorIxxEEZZNS1_16scan_by_key_implILNS1_25lookback_scan_determinismE0ELb1ES3_N6thrust23THRUST_200600_302600_NS6detail15normal_iteratorINS9_10device_ptrIxEEEESE_SE_xNS9_4plusIxEE19head_flag_predicatexEE10hipError_tPvRmT2_T3_T4_T5_mT6_T7_P12ihipStream_tbENKUlT_T0_E_clISt17integral_constantIbLb1EESY_EEDaST_SU_EUlST_E_NS1_11comp_targetILNS1_3genE8ELNS1_11target_archE1030ELNS1_3gpuE2ELNS1_3repE0EEENS1_30default_config_static_selectorELNS0_4arch9wavefront6targetE1EEEvT1_,@function
_ZN7rocprim17ROCPRIM_400000_NS6detail17trampoline_kernelINS0_14default_configENS1_27scan_by_key_config_selectorIxxEEZZNS1_16scan_by_key_implILNS1_25lookback_scan_determinismE0ELb1ES3_N6thrust23THRUST_200600_302600_NS6detail15normal_iteratorINS9_10device_ptrIxEEEESE_SE_xNS9_4plusIxEE19head_flag_predicatexEE10hipError_tPvRmT2_T3_T4_T5_mT6_T7_P12ihipStream_tbENKUlT_T0_E_clISt17integral_constantIbLb1EESY_EEDaST_SU_EUlST_E_NS1_11comp_targetILNS1_3genE8ELNS1_11target_archE1030ELNS1_3gpuE2ELNS1_3repE0EEENS1_30default_config_static_selectorELNS0_4arch9wavefront6targetE1EEEvT1_: ; @_ZN7rocprim17ROCPRIM_400000_NS6detail17trampoline_kernelINS0_14default_configENS1_27scan_by_key_config_selectorIxxEEZZNS1_16scan_by_key_implILNS1_25lookback_scan_determinismE0ELb1ES3_N6thrust23THRUST_200600_302600_NS6detail15normal_iteratorINS9_10device_ptrIxEEEESE_SE_xNS9_4plusIxEE19head_flag_predicatexEE10hipError_tPvRmT2_T3_T4_T5_mT6_T7_P12ihipStream_tbENKUlT_T0_E_clISt17integral_constantIbLb1EESY_EEDaST_SU_EUlST_E_NS1_11comp_targetILNS1_3genE8ELNS1_11target_archE1030ELNS1_3gpuE2ELNS1_3repE0EEENS1_30default_config_static_selectorELNS0_4arch9wavefront6targetE1EEEvT1_
; %bb.0:
	.section	.rodata,"a",@progbits
	.p2align	6, 0x0
	.amdhsa_kernel _ZN7rocprim17ROCPRIM_400000_NS6detail17trampoline_kernelINS0_14default_configENS1_27scan_by_key_config_selectorIxxEEZZNS1_16scan_by_key_implILNS1_25lookback_scan_determinismE0ELb1ES3_N6thrust23THRUST_200600_302600_NS6detail15normal_iteratorINS9_10device_ptrIxEEEESE_SE_xNS9_4plusIxEE19head_flag_predicatexEE10hipError_tPvRmT2_T3_T4_T5_mT6_T7_P12ihipStream_tbENKUlT_T0_E_clISt17integral_constantIbLb1EESY_EEDaST_SU_EUlST_E_NS1_11comp_targetILNS1_3genE8ELNS1_11target_archE1030ELNS1_3gpuE2ELNS1_3repE0EEENS1_30default_config_static_selectorELNS0_4arch9wavefront6targetE1EEEvT1_
		.amdhsa_group_segment_fixed_size 0
		.amdhsa_private_segment_fixed_size 0
		.amdhsa_kernarg_size 136
		.amdhsa_user_sgpr_count 6
		.amdhsa_user_sgpr_private_segment_buffer 1
		.amdhsa_user_sgpr_dispatch_ptr 0
		.amdhsa_user_sgpr_queue_ptr 0
		.amdhsa_user_sgpr_kernarg_segment_ptr 1
		.amdhsa_user_sgpr_dispatch_id 0
		.amdhsa_user_sgpr_flat_scratch_init 0
		.amdhsa_user_sgpr_kernarg_preload_length 0
		.amdhsa_user_sgpr_kernarg_preload_offset 0
		.amdhsa_user_sgpr_private_segment_size 0
		.amdhsa_uses_dynamic_stack 0
		.amdhsa_system_sgpr_private_segment_wavefront_offset 0
		.amdhsa_system_sgpr_workgroup_id_x 1
		.amdhsa_system_sgpr_workgroup_id_y 0
		.amdhsa_system_sgpr_workgroup_id_z 0
		.amdhsa_system_sgpr_workgroup_info 0
		.amdhsa_system_vgpr_workitem_id 0
		.amdhsa_next_free_vgpr 1
		.amdhsa_next_free_sgpr 0
		.amdhsa_accum_offset 4
		.amdhsa_reserve_vcc 0
		.amdhsa_reserve_flat_scratch 0
		.amdhsa_float_round_mode_32 0
		.amdhsa_float_round_mode_16_64 0
		.amdhsa_float_denorm_mode_32 3
		.amdhsa_float_denorm_mode_16_64 3
		.amdhsa_dx10_clamp 1
		.amdhsa_ieee_mode 1
		.amdhsa_fp16_overflow 0
		.amdhsa_tg_split 0
		.amdhsa_exception_fp_ieee_invalid_op 0
		.amdhsa_exception_fp_denorm_src 0
		.amdhsa_exception_fp_ieee_div_zero 0
		.amdhsa_exception_fp_ieee_overflow 0
		.amdhsa_exception_fp_ieee_underflow 0
		.amdhsa_exception_fp_ieee_inexact 0
		.amdhsa_exception_int_div_zero 0
	.end_amdhsa_kernel
	.section	.text._ZN7rocprim17ROCPRIM_400000_NS6detail17trampoline_kernelINS0_14default_configENS1_27scan_by_key_config_selectorIxxEEZZNS1_16scan_by_key_implILNS1_25lookback_scan_determinismE0ELb1ES3_N6thrust23THRUST_200600_302600_NS6detail15normal_iteratorINS9_10device_ptrIxEEEESE_SE_xNS9_4plusIxEE19head_flag_predicatexEE10hipError_tPvRmT2_T3_T4_T5_mT6_T7_P12ihipStream_tbENKUlT_T0_E_clISt17integral_constantIbLb1EESY_EEDaST_SU_EUlST_E_NS1_11comp_targetILNS1_3genE8ELNS1_11target_archE1030ELNS1_3gpuE2ELNS1_3repE0EEENS1_30default_config_static_selectorELNS0_4arch9wavefront6targetE1EEEvT1_,"axG",@progbits,_ZN7rocprim17ROCPRIM_400000_NS6detail17trampoline_kernelINS0_14default_configENS1_27scan_by_key_config_selectorIxxEEZZNS1_16scan_by_key_implILNS1_25lookback_scan_determinismE0ELb1ES3_N6thrust23THRUST_200600_302600_NS6detail15normal_iteratorINS9_10device_ptrIxEEEESE_SE_xNS9_4plusIxEE19head_flag_predicatexEE10hipError_tPvRmT2_T3_T4_T5_mT6_T7_P12ihipStream_tbENKUlT_T0_E_clISt17integral_constantIbLb1EESY_EEDaST_SU_EUlST_E_NS1_11comp_targetILNS1_3genE8ELNS1_11target_archE1030ELNS1_3gpuE2ELNS1_3repE0EEENS1_30default_config_static_selectorELNS0_4arch9wavefront6targetE1EEEvT1_,comdat
.Lfunc_end730:
	.size	_ZN7rocprim17ROCPRIM_400000_NS6detail17trampoline_kernelINS0_14default_configENS1_27scan_by_key_config_selectorIxxEEZZNS1_16scan_by_key_implILNS1_25lookback_scan_determinismE0ELb1ES3_N6thrust23THRUST_200600_302600_NS6detail15normal_iteratorINS9_10device_ptrIxEEEESE_SE_xNS9_4plusIxEE19head_flag_predicatexEE10hipError_tPvRmT2_T3_T4_T5_mT6_T7_P12ihipStream_tbENKUlT_T0_E_clISt17integral_constantIbLb1EESY_EEDaST_SU_EUlST_E_NS1_11comp_targetILNS1_3genE8ELNS1_11target_archE1030ELNS1_3gpuE2ELNS1_3repE0EEENS1_30default_config_static_selectorELNS0_4arch9wavefront6targetE1EEEvT1_, .Lfunc_end730-_ZN7rocprim17ROCPRIM_400000_NS6detail17trampoline_kernelINS0_14default_configENS1_27scan_by_key_config_selectorIxxEEZZNS1_16scan_by_key_implILNS1_25lookback_scan_determinismE0ELb1ES3_N6thrust23THRUST_200600_302600_NS6detail15normal_iteratorINS9_10device_ptrIxEEEESE_SE_xNS9_4plusIxEE19head_flag_predicatexEE10hipError_tPvRmT2_T3_T4_T5_mT6_T7_P12ihipStream_tbENKUlT_T0_E_clISt17integral_constantIbLb1EESY_EEDaST_SU_EUlST_E_NS1_11comp_targetILNS1_3genE8ELNS1_11target_archE1030ELNS1_3gpuE2ELNS1_3repE0EEENS1_30default_config_static_selectorELNS0_4arch9wavefront6targetE1EEEvT1_
                                        ; -- End function
	.section	.AMDGPU.csdata,"",@progbits
; Kernel info:
; codeLenInByte = 0
; NumSgprs: 4
; NumVgprs: 0
; NumAgprs: 0
; TotalNumVgprs: 0
; ScratchSize: 0
; MemoryBound: 0
; FloatMode: 240
; IeeeMode: 1
; LDSByteSize: 0 bytes/workgroup (compile time only)
; SGPRBlocks: 0
; VGPRBlocks: 0
; NumSGPRsForWavesPerEU: 4
; NumVGPRsForWavesPerEU: 1
; AccumOffset: 4
; Occupancy: 8
; WaveLimiterHint : 0
; COMPUTE_PGM_RSRC2:SCRATCH_EN: 0
; COMPUTE_PGM_RSRC2:USER_SGPR: 6
; COMPUTE_PGM_RSRC2:TRAP_HANDLER: 0
; COMPUTE_PGM_RSRC2:TGID_X_EN: 1
; COMPUTE_PGM_RSRC2:TGID_Y_EN: 0
; COMPUTE_PGM_RSRC2:TGID_Z_EN: 0
; COMPUTE_PGM_RSRC2:TIDIG_COMP_CNT: 0
; COMPUTE_PGM_RSRC3_GFX90A:ACCUM_OFFSET: 0
; COMPUTE_PGM_RSRC3_GFX90A:TG_SPLIT: 0
	.section	.text._ZN7rocprim17ROCPRIM_400000_NS6detail17trampoline_kernelINS0_14default_configENS1_27scan_by_key_config_selectorIxxEEZZNS1_16scan_by_key_implILNS1_25lookback_scan_determinismE0ELb1ES3_N6thrust23THRUST_200600_302600_NS6detail15normal_iteratorINS9_10device_ptrIxEEEESE_SE_xNS9_4plusIxEE19head_flag_predicatexEE10hipError_tPvRmT2_T3_T4_T5_mT6_T7_P12ihipStream_tbENKUlT_T0_E_clISt17integral_constantIbLb1EESX_IbLb0EEEEDaST_SU_EUlST_E_NS1_11comp_targetILNS1_3genE0ELNS1_11target_archE4294967295ELNS1_3gpuE0ELNS1_3repE0EEENS1_30default_config_static_selectorELNS0_4arch9wavefront6targetE1EEEvT1_,"axG",@progbits,_ZN7rocprim17ROCPRIM_400000_NS6detail17trampoline_kernelINS0_14default_configENS1_27scan_by_key_config_selectorIxxEEZZNS1_16scan_by_key_implILNS1_25lookback_scan_determinismE0ELb1ES3_N6thrust23THRUST_200600_302600_NS6detail15normal_iteratorINS9_10device_ptrIxEEEESE_SE_xNS9_4plusIxEE19head_flag_predicatexEE10hipError_tPvRmT2_T3_T4_T5_mT6_T7_P12ihipStream_tbENKUlT_T0_E_clISt17integral_constantIbLb1EESX_IbLb0EEEEDaST_SU_EUlST_E_NS1_11comp_targetILNS1_3genE0ELNS1_11target_archE4294967295ELNS1_3gpuE0ELNS1_3repE0EEENS1_30default_config_static_selectorELNS0_4arch9wavefront6targetE1EEEvT1_,comdat
	.protected	_ZN7rocprim17ROCPRIM_400000_NS6detail17trampoline_kernelINS0_14default_configENS1_27scan_by_key_config_selectorIxxEEZZNS1_16scan_by_key_implILNS1_25lookback_scan_determinismE0ELb1ES3_N6thrust23THRUST_200600_302600_NS6detail15normal_iteratorINS9_10device_ptrIxEEEESE_SE_xNS9_4plusIxEE19head_flag_predicatexEE10hipError_tPvRmT2_T3_T4_T5_mT6_T7_P12ihipStream_tbENKUlT_T0_E_clISt17integral_constantIbLb1EESX_IbLb0EEEEDaST_SU_EUlST_E_NS1_11comp_targetILNS1_3genE0ELNS1_11target_archE4294967295ELNS1_3gpuE0ELNS1_3repE0EEENS1_30default_config_static_selectorELNS0_4arch9wavefront6targetE1EEEvT1_ ; -- Begin function _ZN7rocprim17ROCPRIM_400000_NS6detail17trampoline_kernelINS0_14default_configENS1_27scan_by_key_config_selectorIxxEEZZNS1_16scan_by_key_implILNS1_25lookback_scan_determinismE0ELb1ES3_N6thrust23THRUST_200600_302600_NS6detail15normal_iteratorINS9_10device_ptrIxEEEESE_SE_xNS9_4plusIxEE19head_flag_predicatexEE10hipError_tPvRmT2_T3_T4_T5_mT6_T7_P12ihipStream_tbENKUlT_T0_E_clISt17integral_constantIbLb1EESX_IbLb0EEEEDaST_SU_EUlST_E_NS1_11comp_targetILNS1_3genE0ELNS1_11target_archE4294967295ELNS1_3gpuE0ELNS1_3repE0EEENS1_30default_config_static_selectorELNS0_4arch9wavefront6targetE1EEEvT1_
	.globl	_ZN7rocprim17ROCPRIM_400000_NS6detail17trampoline_kernelINS0_14default_configENS1_27scan_by_key_config_selectorIxxEEZZNS1_16scan_by_key_implILNS1_25lookback_scan_determinismE0ELb1ES3_N6thrust23THRUST_200600_302600_NS6detail15normal_iteratorINS9_10device_ptrIxEEEESE_SE_xNS9_4plusIxEE19head_flag_predicatexEE10hipError_tPvRmT2_T3_T4_T5_mT6_T7_P12ihipStream_tbENKUlT_T0_E_clISt17integral_constantIbLb1EESX_IbLb0EEEEDaST_SU_EUlST_E_NS1_11comp_targetILNS1_3genE0ELNS1_11target_archE4294967295ELNS1_3gpuE0ELNS1_3repE0EEENS1_30default_config_static_selectorELNS0_4arch9wavefront6targetE1EEEvT1_
	.p2align	8
	.type	_ZN7rocprim17ROCPRIM_400000_NS6detail17trampoline_kernelINS0_14default_configENS1_27scan_by_key_config_selectorIxxEEZZNS1_16scan_by_key_implILNS1_25lookback_scan_determinismE0ELb1ES3_N6thrust23THRUST_200600_302600_NS6detail15normal_iteratorINS9_10device_ptrIxEEEESE_SE_xNS9_4plusIxEE19head_flag_predicatexEE10hipError_tPvRmT2_T3_T4_T5_mT6_T7_P12ihipStream_tbENKUlT_T0_E_clISt17integral_constantIbLb1EESX_IbLb0EEEEDaST_SU_EUlST_E_NS1_11comp_targetILNS1_3genE0ELNS1_11target_archE4294967295ELNS1_3gpuE0ELNS1_3repE0EEENS1_30default_config_static_selectorELNS0_4arch9wavefront6targetE1EEEvT1_,@function
_ZN7rocprim17ROCPRIM_400000_NS6detail17trampoline_kernelINS0_14default_configENS1_27scan_by_key_config_selectorIxxEEZZNS1_16scan_by_key_implILNS1_25lookback_scan_determinismE0ELb1ES3_N6thrust23THRUST_200600_302600_NS6detail15normal_iteratorINS9_10device_ptrIxEEEESE_SE_xNS9_4plusIxEE19head_flag_predicatexEE10hipError_tPvRmT2_T3_T4_T5_mT6_T7_P12ihipStream_tbENKUlT_T0_E_clISt17integral_constantIbLb1EESX_IbLb0EEEEDaST_SU_EUlST_E_NS1_11comp_targetILNS1_3genE0ELNS1_11target_archE4294967295ELNS1_3gpuE0ELNS1_3repE0EEENS1_30default_config_static_selectorELNS0_4arch9wavefront6targetE1EEEvT1_: ; @_ZN7rocprim17ROCPRIM_400000_NS6detail17trampoline_kernelINS0_14default_configENS1_27scan_by_key_config_selectorIxxEEZZNS1_16scan_by_key_implILNS1_25lookback_scan_determinismE0ELb1ES3_N6thrust23THRUST_200600_302600_NS6detail15normal_iteratorINS9_10device_ptrIxEEEESE_SE_xNS9_4plusIxEE19head_flag_predicatexEE10hipError_tPvRmT2_T3_T4_T5_mT6_T7_P12ihipStream_tbENKUlT_T0_E_clISt17integral_constantIbLb1EESX_IbLb0EEEEDaST_SU_EUlST_E_NS1_11comp_targetILNS1_3genE0ELNS1_11target_archE4294967295ELNS1_3gpuE0ELNS1_3repE0EEENS1_30default_config_static_selectorELNS0_4arch9wavefront6targetE1EEEvT1_
; %bb.0:
	.section	.rodata,"a",@progbits
	.p2align	6, 0x0
	.amdhsa_kernel _ZN7rocprim17ROCPRIM_400000_NS6detail17trampoline_kernelINS0_14default_configENS1_27scan_by_key_config_selectorIxxEEZZNS1_16scan_by_key_implILNS1_25lookback_scan_determinismE0ELb1ES3_N6thrust23THRUST_200600_302600_NS6detail15normal_iteratorINS9_10device_ptrIxEEEESE_SE_xNS9_4plusIxEE19head_flag_predicatexEE10hipError_tPvRmT2_T3_T4_T5_mT6_T7_P12ihipStream_tbENKUlT_T0_E_clISt17integral_constantIbLb1EESX_IbLb0EEEEDaST_SU_EUlST_E_NS1_11comp_targetILNS1_3genE0ELNS1_11target_archE4294967295ELNS1_3gpuE0ELNS1_3repE0EEENS1_30default_config_static_selectorELNS0_4arch9wavefront6targetE1EEEvT1_
		.amdhsa_group_segment_fixed_size 0
		.amdhsa_private_segment_fixed_size 0
		.amdhsa_kernarg_size 136
		.amdhsa_user_sgpr_count 6
		.amdhsa_user_sgpr_private_segment_buffer 1
		.amdhsa_user_sgpr_dispatch_ptr 0
		.amdhsa_user_sgpr_queue_ptr 0
		.amdhsa_user_sgpr_kernarg_segment_ptr 1
		.amdhsa_user_sgpr_dispatch_id 0
		.amdhsa_user_sgpr_flat_scratch_init 0
		.amdhsa_user_sgpr_kernarg_preload_length 0
		.amdhsa_user_sgpr_kernarg_preload_offset 0
		.amdhsa_user_sgpr_private_segment_size 0
		.amdhsa_uses_dynamic_stack 0
		.amdhsa_system_sgpr_private_segment_wavefront_offset 0
		.amdhsa_system_sgpr_workgroup_id_x 1
		.amdhsa_system_sgpr_workgroup_id_y 0
		.amdhsa_system_sgpr_workgroup_id_z 0
		.amdhsa_system_sgpr_workgroup_info 0
		.amdhsa_system_vgpr_workitem_id 0
		.amdhsa_next_free_vgpr 1
		.amdhsa_next_free_sgpr 0
		.amdhsa_accum_offset 4
		.amdhsa_reserve_vcc 0
		.amdhsa_reserve_flat_scratch 0
		.amdhsa_float_round_mode_32 0
		.amdhsa_float_round_mode_16_64 0
		.amdhsa_float_denorm_mode_32 3
		.amdhsa_float_denorm_mode_16_64 3
		.amdhsa_dx10_clamp 1
		.amdhsa_ieee_mode 1
		.amdhsa_fp16_overflow 0
		.amdhsa_tg_split 0
		.amdhsa_exception_fp_ieee_invalid_op 0
		.amdhsa_exception_fp_denorm_src 0
		.amdhsa_exception_fp_ieee_div_zero 0
		.amdhsa_exception_fp_ieee_overflow 0
		.amdhsa_exception_fp_ieee_underflow 0
		.amdhsa_exception_fp_ieee_inexact 0
		.amdhsa_exception_int_div_zero 0
	.end_amdhsa_kernel
	.section	.text._ZN7rocprim17ROCPRIM_400000_NS6detail17trampoline_kernelINS0_14default_configENS1_27scan_by_key_config_selectorIxxEEZZNS1_16scan_by_key_implILNS1_25lookback_scan_determinismE0ELb1ES3_N6thrust23THRUST_200600_302600_NS6detail15normal_iteratorINS9_10device_ptrIxEEEESE_SE_xNS9_4plusIxEE19head_flag_predicatexEE10hipError_tPvRmT2_T3_T4_T5_mT6_T7_P12ihipStream_tbENKUlT_T0_E_clISt17integral_constantIbLb1EESX_IbLb0EEEEDaST_SU_EUlST_E_NS1_11comp_targetILNS1_3genE0ELNS1_11target_archE4294967295ELNS1_3gpuE0ELNS1_3repE0EEENS1_30default_config_static_selectorELNS0_4arch9wavefront6targetE1EEEvT1_,"axG",@progbits,_ZN7rocprim17ROCPRIM_400000_NS6detail17trampoline_kernelINS0_14default_configENS1_27scan_by_key_config_selectorIxxEEZZNS1_16scan_by_key_implILNS1_25lookback_scan_determinismE0ELb1ES3_N6thrust23THRUST_200600_302600_NS6detail15normal_iteratorINS9_10device_ptrIxEEEESE_SE_xNS9_4plusIxEE19head_flag_predicatexEE10hipError_tPvRmT2_T3_T4_T5_mT6_T7_P12ihipStream_tbENKUlT_T0_E_clISt17integral_constantIbLb1EESX_IbLb0EEEEDaST_SU_EUlST_E_NS1_11comp_targetILNS1_3genE0ELNS1_11target_archE4294967295ELNS1_3gpuE0ELNS1_3repE0EEENS1_30default_config_static_selectorELNS0_4arch9wavefront6targetE1EEEvT1_,comdat
.Lfunc_end731:
	.size	_ZN7rocprim17ROCPRIM_400000_NS6detail17trampoline_kernelINS0_14default_configENS1_27scan_by_key_config_selectorIxxEEZZNS1_16scan_by_key_implILNS1_25lookback_scan_determinismE0ELb1ES3_N6thrust23THRUST_200600_302600_NS6detail15normal_iteratorINS9_10device_ptrIxEEEESE_SE_xNS9_4plusIxEE19head_flag_predicatexEE10hipError_tPvRmT2_T3_T4_T5_mT6_T7_P12ihipStream_tbENKUlT_T0_E_clISt17integral_constantIbLb1EESX_IbLb0EEEEDaST_SU_EUlST_E_NS1_11comp_targetILNS1_3genE0ELNS1_11target_archE4294967295ELNS1_3gpuE0ELNS1_3repE0EEENS1_30default_config_static_selectorELNS0_4arch9wavefront6targetE1EEEvT1_, .Lfunc_end731-_ZN7rocprim17ROCPRIM_400000_NS6detail17trampoline_kernelINS0_14default_configENS1_27scan_by_key_config_selectorIxxEEZZNS1_16scan_by_key_implILNS1_25lookback_scan_determinismE0ELb1ES3_N6thrust23THRUST_200600_302600_NS6detail15normal_iteratorINS9_10device_ptrIxEEEESE_SE_xNS9_4plusIxEE19head_flag_predicatexEE10hipError_tPvRmT2_T3_T4_T5_mT6_T7_P12ihipStream_tbENKUlT_T0_E_clISt17integral_constantIbLb1EESX_IbLb0EEEEDaST_SU_EUlST_E_NS1_11comp_targetILNS1_3genE0ELNS1_11target_archE4294967295ELNS1_3gpuE0ELNS1_3repE0EEENS1_30default_config_static_selectorELNS0_4arch9wavefront6targetE1EEEvT1_
                                        ; -- End function
	.section	.AMDGPU.csdata,"",@progbits
; Kernel info:
; codeLenInByte = 0
; NumSgprs: 4
; NumVgprs: 0
; NumAgprs: 0
; TotalNumVgprs: 0
; ScratchSize: 0
; MemoryBound: 0
; FloatMode: 240
; IeeeMode: 1
; LDSByteSize: 0 bytes/workgroup (compile time only)
; SGPRBlocks: 0
; VGPRBlocks: 0
; NumSGPRsForWavesPerEU: 4
; NumVGPRsForWavesPerEU: 1
; AccumOffset: 4
; Occupancy: 8
; WaveLimiterHint : 0
; COMPUTE_PGM_RSRC2:SCRATCH_EN: 0
; COMPUTE_PGM_RSRC2:USER_SGPR: 6
; COMPUTE_PGM_RSRC2:TRAP_HANDLER: 0
; COMPUTE_PGM_RSRC2:TGID_X_EN: 1
; COMPUTE_PGM_RSRC2:TGID_Y_EN: 0
; COMPUTE_PGM_RSRC2:TGID_Z_EN: 0
; COMPUTE_PGM_RSRC2:TIDIG_COMP_CNT: 0
; COMPUTE_PGM_RSRC3_GFX90A:ACCUM_OFFSET: 0
; COMPUTE_PGM_RSRC3_GFX90A:TG_SPLIT: 0
	.section	.text._ZN7rocprim17ROCPRIM_400000_NS6detail17trampoline_kernelINS0_14default_configENS1_27scan_by_key_config_selectorIxxEEZZNS1_16scan_by_key_implILNS1_25lookback_scan_determinismE0ELb1ES3_N6thrust23THRUST_200600_302600_NS6detail15normal_iteratorINS9_10device_ptrIxEEEESE_SE_xNS9_4plusIxEE19head_flag_predicatexEE10hipError_tPvRmT2_T3_T4_T5_mT6_T7_P12ihipStream_tbENKUlT_T0_E_clISt17integral_constantIbLb1EESX_IbLb0EEEEDaST_SU_EUlST_E_NS1_11comp_targetILNS1_3genE10ELNS1_11target_archE1201ELNS1_3gpuE5ELNS1_3repE0EEENS1_30default_config_static_selectorELNS0_4arch9wavefront6targetE1EEEvT1_,"axG",@progbits,_ZN7rocprim17ROCPRIM_400000_NS6detail17trampoline_kernelINS0_14default_configENS1_27scan_by_key_config_selectorIxxEEZZNS1_16scan_by_key_implILNS1_25lookback_scan_determinismE0ELb1ES3_N6thrust23THRUST_200600_302600_NS6detail15normal_iteratorINS9_10device_ptrIxEEEESE_SE_xNS9_4plusIxEE19head_flag_predicatexEE10hipError_tPvRmT2_T3_T4_T5_mT6_T7_P12ihipStream_tbENKUlT_T0_E_clISt17integral_constantIbLb1EESX_IbLb0EEEEDaST_SU_EUlST_E_NS1_11comp_targetILNS1_3genE10ELNS1_11target_archE1201ELNS1_3gpuE5ELNS1_3repE0EEENS1_30default_config_static_selectorELNS0_4arch9wavefront6targetE1EEEvT1_,comdat
	.protected	_ZN7rocprim17ROCPRIM_400000_NS6detail17trampoline_kernelINS0_14default_configENS1_27scan_by_key_config_selectorIxxEEZZNS1_16scan_by_key_implILNS1_25lookback_scan_determinismE0ELb1ES3_N6thrust23THRUST_200600_302600_NS6detail15normal_iteratorINS9_10device_ptrIxEEEESE_SE_xNS9_4plusIxEE19head_flag_predicatexEE10hipError_tPvRmT2_T3_T4_T5_mT6_T7_P12ihipStream_tbENKUlT_T0_E_clISt17integral_constantIbLb1EESX_IbLb0EEEEDaST_SU_EUlST_E_NS1_11comp_targetILNS1_3genE10ELNS1_11target_archE1201ELNS1_3gpuE5ELNS1_3repE0EEENS1_30default_config_static_selectorELNS0_4arch9wavefront6targetE1EEEvT1_ ; -- Begin function _ZN7rocprim17ROCPRIM_400000_NS6detail17trampoline_kernelINS0_14default_configENS1_27scan_by_key_config_selectorIxxEEZZNS1_16scan_by_key_implILNS1_25lookback_scan_determinismE0ELb1ES3_N6thrust23THRUST_200600_302600_NS6detail15normal_iteratorINS9_10device_ptrIxEEEESE_SE_xNS9_4plusIxEE19head_flag_predicatexEE10hipError_tPvRmT2_T3_T4_T5_mT6_T7_P12ihipStream_tbENKUlT_T0_E_clISt17integral_constantIbLb1EESX_IbLb0EEEEDaST_SU_EUlST_E_NS1_11comp_targetILNS1_3genE10ELNS1_11target_archE1201ELNS1_3gpuE5ELNS1_3repE0EEENS1_30default_config_static_selectorELNS0_4arch9wavefront6targetE1EEEvT1_
	.globl	_ZN7rocprim17ROCPRIM_400000_NS6detail17trampoline_kernelINS0_14default_configENS1_27scan_by_key_config_selectorIxxEEZZNS1_16scan_by_key_implILNS1_25lookback_scan_determinismE0ELb1ES3_N6thrust23THRUST_200600_302600_NS6detail15normal_iteratorINS9_10device_ptrIxEEEESE_SE_xNS9_4plusIxEE19head_flag_predicatexEE10hipError_tPvRmT2_T3_T4_T5_mT6_T7_P12ihipStream_tbENKUlT_T0_E_clISt17integral_constantIbLb1EESX_IbLb0EEEEDaST_SU_EUlST_E_NS1_11comp_targetILNS1_3genE10ELNS1_11target_archE1201ELNS1_3gpuE5ELNS1_3repE0EEENS1_30default_config_static_selectorELNS0_4arch9wavefront6targetE1EEEvT1_
	.p2align	8
	.type	_ZN7rocprim17ROCPRIM_400000_NS6detail17trampoline_kernelINS0_14default_configENS1_27scan_by_key_config_selectorIxxEEZZNS1_16scan_by_key_implILNS1_25lookback_scan_determinismE0ELb1ES3_N6thrust23THRUST_200600_302600_NS6detail15normal_iteratorINS9_10device_ptrIxEEEESE_SE_xNS9_4plusIxEE19head_flag_predicatexEE10hipError_tPvRmT2_T3_T4_T5_mT6_T7_P12ihipStream_tbENKUlT_T0_E_clISt17integral_constantIbLb1EESX_IbLb0EEEEDaST_SU_EUlST_E_NS1_11comp_targetILNS1_3genE10ELNS1_11target_archE1201ELNS1_3gpuE5ELNS1_3repE0EEENS1_30default_config_static_selectorELNS0_4arch9wavefront6targetE1EEEvT1_,@function
_ZN7rocprim17ROCPRIM_400000_NS6detail17trampoline_kernelINS0_14default_configENS1_27scan_by_key_config_selectorIxxEEZZNS1_16scan_by_key_implILNS1_25lookback_scan_determinismE0ELb1ES3_N6thrust23THRUST_200600_302600_NS6detail15normal_iteratorINS9_10device_ptrIxEEEESE_SE_xNS9_4plusIxEE19head_flag_predicatexEE10hipError_tPvRmT2_T3_T4_T5_mT6_T7_P12ihipStream_tbENKUlT_T0_E_clISt17integral_constantIbLb1EESX_IbLb0EEEEDaST_SU_EUlST_E_NS1_11comp_targetILNS1_3genE10ELNS1_11target_archE1201ELNS1_3gpuE5ELNS1_3repE0EEENS1_30default_config_static_selectorELNS0_4arch9wavefront6targetE1EEEvT1_: ; @_ZN7rocprim17ROCPRIM_400000_NS6detail17trampoline_kernelINS0_14default_configENS1_27scan_by_key_config_selectorIxxEEZZNS1_16scan_by_key_implILNS1_25lookback_scan_determinismE0ELb1ES3_N6thrust23THRUST_200600_302600_NS6detail15normal_iteratorINS9_10device_ptrIxEEEESE_SE_xNS9_4plusIxEE19head_flag_predicatexEE10hipError_tPvRmT2_T3_T4_T5_mT6_T7_P12ihipStream_tbENKUlT_T0_E_clISt17integral_constantIbLb1EESX_IbLb0EEEEDaST_SU_EUlST_E_NS1_11comp_targetILNS1_3genE10ELNS1_11target_archE1201ELNS1_3gpuE5ELNS1_3repE0EEENS1_30default_config_static_selectorELNS0_4arch9wavefront6targetE1EEEvT1_
; %bb.0:
	.section	.rodata,"a",@progbits
	.p2align	6, 0x0
	.amdhsa_kernel _ZN7rocprim17ROCPRIM_400000_NS6detail17trampoline_kernelINS0_14default_configENS1_27scan_by_key_config_selectorIxxEEZZNS1_16scan_by_key_implILNS1_25lookback_scan_determinismE0ELb1ES3_N6thrust23THRUST_200600_302600_NS6detail15normal_iteratorINS9_10device_ptrIxEEEESE_SE_xNS9_4plusIxEE19head_flag_predicatexEE10hipError_tPvRmT2_T3_T4_T5_mT6_T7_P12ihipStream_tbENKUlT_T0_E_clISt17integral_constantIbLb1EESX_IbLb0EEEEDaST_SU_EUlST_E_NS1_11comp_targetILNS1_3genE10ELNS1_11target_archE1201ELNS1_3gpuE5ELNS1_3repE0EEENS1_30default_config_static_selectorELNS0_4arch9wavefront6targetE1EEEvT1_
		.amdhsa_group_segment_fixed_size 0
		.amdhsa_private_segment_fixed_size 0
		.amdhsa_kernarg_size 136
		.amdhsa_user_sgpr_count 6
		.amdhsa_user_sgpr_private_segment_buffer 1
		.amdhsa_user_sgpr_dispatch_ptr 0
		.amdhsa_user_sgpr_queue_ptr 0
		.amdhsa_user_sgpr_kernarg_segment_ptr 1
		.amdhsa_user_sgpr_dispatch_id 0
		.amdhsa_user_sgpr_flat_scratch_init 0
		.amdhsa_user_sgpr_kernarg_preload_length 0
		.amdhsa_user_sgpr_kernarg_preload_offset 0
		.amdhsa_user_sgpr_private_segment_size 0
		.amdhsa_uses_dynamic_stack 0
		.amdhsa_system_sgpr_private_segment_wavefront_offset 0
		.amdhsa_system_sgpr_workgroup_id_x 1
		.amdhsa_system_sgpr_workgroup_id_y 0
		.amdhsa_system_sgpr_workgroup_id_z 0
		.amdhsa_system_sgpr_workgroup_info 0
		.amdhsa_system_vgpr_workitem_id 0
		.amdhsa_next_free_vgpr 1
		.amdhsa_next_free_sgpr 0
		.amdhsa_accum_offset 4
		.amdhsa_reserve_vcc 0
		.amdhsa_reserve_flat_scratch 0
		.amdhsa_float_round_mode_32 0
		.amdhsa_float_round_mode_16_64 0
		.amdhsa_float_denorm_mode_32 3
		.amdhsa_float_denorm_mode_16_64 3
		.amdhsa_dx10_clamp 1
		.amdhsa_ieee_mode 1
		.amdhsa_fp16_overflow 0
		.amdhsa_tg_split 0
		.amdhsa_exception_fp_ieee_invalid_op 0
		.amdhsa_exception_fp_denorm_src 0
		.amdhsa_exception_fp_ieee_div_zero 0
		.amdhsa_exception_fp_ieee_overflow 0
		.amdhsa_exception_fp_ieee_underflow 0
		.amdhsa_exception_fp_ieee_inexact 0
		.amdhsa_exception_int_div_zero 0
	.end_amdhsa_kernel
	.section	.text._ZN7rocprim17ROCPRIM_400000_NS6detail17trampoline_kernelINS0_14default_configENS1_27scan_by_key_config_selectorIxxEEZZNS1_16scan_by_key_implILNS1_25lookback_scan_determinismE0ELb1ES3_N6thrust23THRUST_200600_302600_NS6detail15normal_iteratorINS9_10device_ptrIxEEEESE_SE_xNS9_4plusIxEE19head_flag_predicatexEE10hipError_tPvRmT2_T3_T4_T5_mT6_T7_P12ihipStream_tbENKUlT_T0_E_clISt17integral_constantIbLb1EESX_IbLb0EEEEDaST_SU_EUlST_E_NS1_11comp_targetILNS1_3genE10ELNS1_11target_archE1201ELNS1_3gpuE5ELNS1_3repE0EEENS1_30default_config_static_selectorELNS0_4arch9wavefront6targetE1EEEvT1_,"axG",@progbits,_ZN7rocprim17ROCPRIM_400000_NS6detail17trampoline_kernelINS0_14default_configENS1_27scan_by_key_config_selectorIxxEEZZNS1_16scan_by_key_implILNS1_25lookback_scan_determinismE0ELb1ES3_N6thrust23THRUST_200600_302600_NS6detail15normal_iteratorINS9_10device_ptrIxEEEESE_SE_xNS9_4plusIxEE19head_flag_predicatexEE10hipError_tPvRmT2_T3_T4_T5_mT6_T7_P12ihipStream_tbENKUlT_T0_E_clISt17integral_constantIbLb1EESX_IbLb0EEEEDaST_SU_EUlST_E_NS1_11comp_targetILNS1_3genE10ELNS1_11target_archE1201ELNS1_3gpuE5ELNS1_3repE0EEENS1_30default_config_static_selectorELNS0_4arch9wavefront6targetE1EEEvT1_,comdat
.Lfunc_end732:
	.size	_ZN7rocprim17ROCPRIM_400000_NS6detail17trampoline_kernelINS0_14default_configENS1_27scan_by_key_config_selectorIxxEEZZNS1_16scan_by_key_implILNS1_25lookback_scan_determinismE0ELb1ES3_N6thrust23THRUST_200600_302600_NS6detail15normal_iteratorINS9_10device_ptrIxEEEESE_SE_xNS9_4plusIxEE19head_flag_predicatexEE10hipError_tPvRmT2_T3_T4_T5_mT6_T7_P12ihipStream_tbENKUlT_T0_E_clISt17integral_constantIbLb1EESX_IbLb0EEEEDaST_SU_EUlST_E_NS1_11comp_targetILNS1_3genE10ELNS1_11target_archE1201ELNS1_3gpuE5ELNS1_3repE0EEENS1_30default_config_static_selectorELNS0_4arch9wavefront6targetE1EEEvT1_, .Lfunc_end732-_ZN7rocprim17ROCPRIM_400000_NS6detail17trampoline_kernelINS0_14default_configENS1_27scan_by_key_config_selectorIxxEEZZNS1_16scan_by_key_implILNS1_25lookback_scan_determinismE0ELb1ES3_N6thrust23THRUST_200600_302600_NS6detail15normal_iteratorINS9_10device_ptrIxEEEESE_SE_xNS9_4plusIxEE19head_flag_predicatexEE10hipError_tPvRmT2_T3_T4_T5_mT6_T7_P12ihipStream_tbENKUlT_T0_E_clISt17integral_constantIbLb1EESX_IbLb0EEEEDaST_SU_EUlST_E_NS1_11comp_targetILNS1_3genE10ELNS1_11target_archE1201ELNS1_3gpuE5ELNS1_3repE0EEENS1_30default_config_static_selectorELNS0_4arch9wavefront6targetE1EEEvT1_
                                        ; -- End function
	.section	.AMDGPU.csdata,"",@progbits
; Kernel info:
; codeLenInByte = 0
; NumSgprs: 4
; NumVgprs: 0
; NumAgprs: 0
; TotalNumVgprs: 0
; ScratchSize: 0
; MemoryBound: 0
; FloatMode: 240
; IeeeMode: 1
; LDSByteSize: 0 bytes/workgroup (compile time only)
; SGPRBlocks: 0
; VGPRBlocks: 0
; NumSGPRsForWavesPerEU: 4
; NumVGPRsForWavesPerEU: 1
; AccumOffset: 4
; Occupancy: 8
; WaveLimiterHint : 0
; COMPUTE_PGM_RSRC2:SCRATCH_EN: 0
; COMPUTE_PGM_RSRC2:USER_SGPR: 6
; COMPUTE_PGM_RSRC2:TRAP_HANDLER: 0
; COMPUTE_PGM_RSRC2:TGID_X_EN: 1
; COMPUTE_PGM_RSRC2:TGID_Y_EN: 0
; COMPUTE_PGM_RSRC2:TGID_Z_EN: 0
; COMPUTE_PGM_RSRC2:TIDIG_COMP_CNT: 0
; COMPUTE_PGM_RSRC3_GFX90A:ACCUM_OFFSET: 0
; COMPUTE_PGM_RSRC3_GFX90A:TG_SPLIT: 0
	.section	.text._ZN7rocprim17ROCPRIM_400000_NS6detail17trampoline_kernelINS0_14default_configENS1_27scan_by_key_config_selectorIxxEEZZNS1_16scan_by_key_implILNS1_25lookback_scan_determinismE0ELb1ES3_N6thrust23THRUST_200600_302600_NS6detail15normal_iteratorINS9_10device_ptrIxEEEESE_SE_xNS9_4plusIxEE19head_flag_predicatexEE10hipError_tPvRmT2_T3_T4_T5_mT6_T7_P12ihipStream_tbENKUlT_T0_E_clISt17integral_constantIbLb1EESX_IbLb0EEEEDaST_SU_EUlST_E_NS1_11comp_targetILNS1_3genE5ELNS1_11target_archE942ELNS1_3gpuE9ELNS1_3repE0EEENS1_30default_config_static_selectorELNS0_4arch9wavefront6targetE1EEEvT1_,"axG",@progbits,_ZN7rocprim17ROCPRIM_400000_NS6detail17trampoline_kernelINS0_14default_configENS1_27scan_by_key_config_selectorIxxEEZZNS1_16scan_by_key_implILNS1_25lookback_scan_determinismE0ELb1ES3_N6thrust23THRUST_200600_302600_NS6detail15normal_iteratorINS9_10device_ptrIxEEEESE_SE_xNS9_4plusIxEE19head_flag_predicatexEE10hipError_tPvRmT2_T3_T4_T5_mT6_T7_P12ihipStream_tbENKUlT_T0_E_clISt17integral_constantIbLb1EESX_IbLb0EEEEDaST_SU_EUlST_E_NS1_11comp_targetILNS1_3genE5ELNS1_11target_archE942ELNS1_3gpuE9ELNS1_3repE0EEENS1_30default_config_static_selectorELNS0_4arch9wavefront6targetE1EEEvT1_,comdat
	.protected	_ZN7rocprim17ROCPRIM_400000_NS6detail17trampoline_kernelINS0_14default_configENS1_27scan_by_key_config_selectorIxxEEZZNS1_16scan_by_key_implILNS1_25lookback_scan_determinismE0ELb1ES3_N6thrust23THRUST_200600_302600_NS6detail15normal_iteratorINS9_10device_ptrIxEEEESE_SE_xNS9_4plusIxEE19head_flag_predicatexEE10hipError_tPvRmT2_T3_T4_T5_mT6_T7_P12ihipStream_tbENKUlT_T0_E_clISt17integral_constantIbLb1EESX_IbLb0EEEEDaST_SU_EUlST_E_NS1_11comp_targetILNS1_3genE5ELNS1_11target_archE942ELNS1_3gpuE9ELNS1_3repE0EEENS1_30default_config_static_selectorELNS0_4arch9wavefront6targetE1EEEvT1_ ; -- Begin function _ZN7rocprim17ROCPRIM_400000_NS6detail17trampoline_kernelINS0_14default_configENS1_27scan_by_key_config_selectorIxxEEZZNS1_16scan_by_key_implILNS1_25lookback_scan_determinismE0ELb1ES3_N6thrust23THRUST_200600_302600_NS6detail15normal_iteratorINS9_10device_ptrIxEEEESE_SE_xNS9_4plusIxEE19head_flag_predicatexEE10hipError_tPvRmT2_T3_T4_T5_mT6_T7_P12ihipStream_tbENKUlT_T0_E_clISt17integral_constantIbLb1EESX_IbLb0EEEEDaST_SU_EUlST_E_NS1_11comp_targetILNS1_3genE5ELNS1_11target_archE942ELNS1_3gpuE9ELNS1_3repE0EEENS1_30default_config_static_selectorELNS0_4arch9wavefront6targetE1EEEvT1_
	.globl	_ZN7rocprim17ROCPRIM_400000_NS6detail17trampoline_kernelINS0_14default_configENS1_27scan_by_key_config_selectorIxxEEZZNS1_16scan_by_key_implILNS1_25lookback_scan_determinismE0ELb1ES3_N6thrust23THRUST_200600_302600_NS6detail15normal_iteratorINS9_10device_ptrIxEEEESE_SE_xNS9_4plusIxEE19head_flag_predicatexEE10hipError_tPvRmT2_T3_T4_T5_mT6_T7_P12ihipStream_tbENKUlT_T0_E_clISt17integral_constantIbLb1EESX_IbLb0EEEEDaST_SU_EUlST_E_NS1_11comp_targetILNS1_3genE5ELNS1_11target_archE942ELNS1_3gpuE9ELNS1_3repE0EEENS1_30default_config_static_selectorELNS0_4arch9wavefront6targetE1EEEvT1_
	.p2align	8
	.type	_ZN7rocprim17ROCPRIM_400000_NS6detail17trampoline_kernelINS0_14default_configENS1_27scan_by_key_config_selectorIxxEEZZNS1_16scan_by_key_implILNS1_25lookback_scan_determinismE0ELb1ES3_N6thrust23THRUST_200600_302600_NS6detail15normal_iteratorINS9_10device_ptrIxEEEESE_SE_xNS9_4plusIxEE19head_flag_predicatexEE10hipError_tPvRmT2_T3_T4_T5_mT6_T7_P12ihipStream_tbENKUlT_T0_E_clISt17integral_constantIbLb1EESX_IbLb0EEEEDaST_SU_EUlST_E_NS1_11comp_targetILNS1_3genE5ELNS1_11target_archE942ELNS1_3gpuE9ELNS1_3repE0EEENS1_30default_config_static_selectorELNS0_4arch9wavefront6targetE1EEEvT1_,@function
_ZN7rocprim17ROCPRIM_400000_NS6detail17trampoline_kernelINS0_14default_configENS1_27scan_by_key_config_selectorIxxEEZZNS1_16scan_by_key_implILNS1_25lookback_scan_determinismE0ELb1ES3_N6thrust23THRUST_200600_302600_NS6detail15normal_iteratorINS9_10device_ptrIxEEEESE_SE_xNS9_4plusIxEE19head_flag_predicatexEE10hipError_tPvRmT2_T3_T4_T5_mT6_T7_P12ihipStream_tbENKUlT_T0_E_clISt17integral_constantIbLb1EESX_IbLb0EEEEDaST_SU_EUlST_E_NS1_11comp_targetILNS1_3genE5ELNS1_11target_archE942ELNS1_3gpuE9ELNS1_3repE0EEENS1_30default_config_static_selectorELNS0_4arch9wavefront6targetE1EEEvT1_: ; @_ZN7rocprim17ROCPRIM_400000_NS6detail17trampoline_kernelINS0_14default_configENS1_27scan_by_key_config_selectorIxxEEZZNS1_16scan_by_key_implILNS1_25lookback_scan_determinismE0ELb1ES3_N6thrust23THRUST_200600_302600_NS6detail15normal_iteratorINS9_10device_ptrIxEEEESE_SE_xNS9_4plusIxEE19head_flag_predicatexEE10hipError_tPvRmT2_T3_T4_T5_mT6_T7_P12ihipStream_tbENKUlT_T0_E_clISt17integral_constantIbLb1EESX_IbLb0EEEEDaST_SU_EUlST_E_NS1_11comp_targetILNS1_3genE5ELNS1_11target_archE942ELNS1_3gpuE9ELNS1_3repE0EEENS1_30default_config_static_selectorELNS0_4arch9wavefront6targetE1EEEvT1_
; %bb.0:
	.section	.rodata,"a",@progbits
	.p2align	6, 0x0
	.amdhsa_kernel _ZN7rocprim17ROCPRIM_400000_NS6detail17trampoline_kernelINS0_14default_configENS1_27scan_by_key_config_selectorIxxEEZZNS1_16scan_by_key_implILNS1_25lookback_scan_determinismE0ELb1ES3_N6thrust23THRUST_200600_302600_NS6detail15normal_iteratorINS9_10device_ptrIxEEEESE_SE_xNS9_4plusIxEE19head_flag_predicatexEE10hipError_tPvRmT2_T3_T4_T5_mT6_T7_P12ihipStream_tbENKUlT_T0_E_clISt17integral_constantIbLb1EESX_IbLb0EEEEDaST_SU_EUlST_E_NS1_11comp_targetILNS1_3genE5ELNS1_11target_archE942ELNS1_3gpuE9ELNS1_3repE0EEENS1_30default_config_static_selectorELNS0_4arch9wavefront6targetE1EEEvT1_
		.amdhsa_group_segment_fixed_size 0
		.amdhsa_private_segment_fixed_size 0
		.amdhsa_kernarg_size 136
		.amdhsa_user_sgpr_count 6
		.amdhsa_user_sgpr_private_segment_buffer 1
		.amdhsa_user_sgpr_dispatch_ptr 0
		.amdhsa_user_sgpr_queue_ptr 0
		.amdhsa_user_sgpr_kernarg_segment_ptr 1
		.amdhsa_user_sgpr_dispatch_id 0
		.amdhsa_user_sgpr_flat_scratch_init 0
		.amdhsa_user_sgpr_kernarg_preload_length 0
		.amdhsa_user_sgpr_kernarg_preload_offset 0
		.amdhsa_user_sgpr_private_segment_size 0
		.amdhsa_uses_dynamic_stack 0
		.amdhsa_system_sgpr_private_segment_wavefront_offset 0
		.amdhsa_system_sgpr_workgroup_id_x 1
		.amdhsa_system_sgpr_workgroup_id_y 0
		.amdhsa_system_sgpr_workgroup_id_z 0
		.amdhsa_system_sgpr_workgroup_info 0
		.amdhsa_system_vgpr_workitem_id 0
		.amdhsa_next_free_vgpr 1
		.amdhsa_next_free_sgpr 0
		.amdhsa_accum_offset 4
		.amdhsa_reserve_vcc 0
		.amdhsa_reserve_flat_scratch 0
		.amdhsa_float_round_mode_32 0
		.amdhsa_float_round_mode_16_64 0
		.amdhsa_float_denorm_mode_32 3
		.amdhsa_float_denorm_mode_16_64 3
		.amdhsa_dx10_clamp 1
		.amdhsa_ieee_mode 1
		.amdhsa_fp16_overflow 0
		.amdhsa_tg_split 0
		.amdhsa_exception_fp_ieee_invalid_op 0
		.amdhsa_exception_fp_denorm_src 0
		.amdhsa_exception_fp_ieee_div_zero 0
		.amdhsa_exception_fp_ieee_overflow 0
		.amdhsa_exception_fp_ieee_underflow 0
		.amdhsa_exception_fp_ieee_inexact 0
		.amdhsa_exception_int_div_zero 0
	.end_amdhsa_kernel
	.section	.text._ZN7rocprim17ROCPRIM_400000_NS6detail17trampoline_kernelINS0_14default_configENS1_27scan_by_key_config_selectorIxxEEZZNS1_16scan_by_key_implILNS1_25lookback_scan_determinismE0ELb1ES3_N6thrust23THRUST_200600_302600_NS6detail15normal_iteratorINS9_10device_ptrIxEEEESE_SE_xNS9_4plusIxEE19head_flag_predicatexEE10hipError_tPvRmT2_T3_T4_T5_mT6_T7_P12ihipStream_tbENKUlT_T0_E_clISt17integral_constantIbLb1EESX_IbLb0EEEEDaST_SU_EUlST_E_NS1_11comp_targetILNS1_3genE5ELNS1_11target_archE942ELNS1_3gpuE9ELNS1_3repE0EEENS1_30default_config_static_selectorELNS0_4arch9wavefront6targetE1EEEvT1_,"axG",@progbits,_ZN7rocprim17ROCPRIM_400000_NS6detail17trampoline_kernelINS0_14default_configENS1_27scan_by_key_config_selectorIxxEEZZNS1_16scan_by_key_implILNS1_25lookback_scan_determinismE0ELb1ES3_N6thrust23THRUST_200600_302600_NS6detail15normal_iteratorINS9_10device_ptrIxEEEESE_SE_xNS9_4plusIxEE19head_flag_predicatexEE10hipError_tPvRmT2_T3_T4_T5_mT6_T7_P12ihipStream_tbENKUlT_T0_E_clISt17integral_constantIbLb1EESX_IbLb0EEEEDaST_SU_EUlST_E_NS1_11comp_targetILNS1_3genE5ELNS1_11target_archE942ELNS1_3gpuE9ELNS1_3repE0EEENS1_30default_config_static_selectorELNS0_4arch9wavefront6targetE1EEEvT1_,comdat
.Lfunc_end733:
	.size	_ZN7rocprim17ROCPRIM_400000_NS6detail17trampoline_kernelINS0_14default_configENS1_27scan_by_key_config_selectorIxxEEZZNS1_16scan_by_key_implILNS1_25lookback_scan_determinismE0ELb1ES3_N6thrust23THRUST_200600_302600_NS6detail15normal_iteratorINS9_10device_ptrIxEEEESE_SE_xNS9_4plusIxEE19head_flag_predicatexEE10hipError_tPvRmT2_T3_T4_T5_mT6_T7_P12ihipStream_tbENKUlT_T0_E_clISt17integral_constantIbLb1EESX_IbLb0EEEEDaST_SU_EUlST_E_NS1_11comp_targetILNS1_3genE5ELNS1_11target_archE942ELNS1_3gpuE9ELNS1_3repE0EEENS1_30default_config_static_selectorELNS0_4arch9wavefront6targetE1EEEvT1_, .Lfunc_end733-_ZN7rocprim17ROCPRIM_400000_NS6detail17trampoline_kernelINS0_14default_configENS1_27scan_by_key_config_selectorIxxEEZZNS1_16scan_by_key_implILNS1_25lookback_scan_determinismE0ELb1ES3_N6thrust23THRUST_200600_302600_NS6detail15normal_iteratorINS9_10device_ptrIxEEEESE_SE_xNS9_4plusIxEE19head_flag_predicatexEE10hipError_tPvRmT2_T3_T4_T5_mT6_T7_P12ihipStream_tbENKUlT_T0_E_clISt17integral_constantIbLb1EESX_IbLb0EEEEDaST_SU_EUlST_E_NS1_11comp_targetILNS1_3genE5ELNS1_11target_archE942ELNS1_3gpuE9ELNS1_3repE0EEENS1_30default_config_static_selectorELNS0_4arch9wavefront6targetE1EEEvT1_
                                        ; -- End function
	.section	.AMDGPU.csdata,"",@progbits
; Kernel info:
; codeLenInByte = 0
; NumSgprs: 4
; NumVgprs: 0
; NumAgprs: 0
; TotalNumVgprs: 0
; ScratchSize: 0
; MemoryBound: 0
; FloatMode: 240
; IeeeMode: 1
; LDSByteSize: 0 bytes/workgroup (compile time only)
; SGPRBlocks: 0
; VGPRBlocks: 0
; NumSGPRsForWavesPerEU: 4
; NumVGPRsForWavesPerEU: 1
; AccumOffset: 4
; Occupancy: 8
; WaveLimiterHint : 0
; COMPUTE_PGM_RSRC2:SCRATCH_EN: 0
; COMPUTE_PGM_RSRC2:USER_SGPR: 6
; COMPUTE_PGM_RSRC2:TRAP_HANDLER: 0
; COMPUTE_PGM_RSRC2:TGID_X_EN: 1
; COMPUTE_PGM_RSRC2:TGID_Y_EN: 0
; COMPUTE_PGM_RSRC2:TGID_Z_EN: 0
; COMPUTE_PGM_RSRC2:TIDIG_COMP_CNT: 0
; COMPUTE_PGM_RSRC3_GFX90A:ACCUM_OFFSET: 0
; COMPUTE_PGM_RSRC3_GFX90A:TG_SPLIT: 0
	.section	.text._ZN7rocprim17ROCPRIM_400000_NS6detail17trampoline_kernelINS0_14default_configENS1_27scan_by_key_config_selectorIxxEEZZNS1_16scan_by_key_implILNS1_25lookback_scan_determinismE0ELb1ES3_N6thrust23THRUST_200600_302600_NS6detail15normal_iteratorINS9_10device_ptrIxEEEESE_SE_xNS9_4plusIxEE19head_flag_predicatexEE10hipError_tPvRmT2_T3_T4_T5_mT6_T7_P12ihipStream_tbENKUlT_T0_E_clISt17integral_constantIbLb1EESX_IbLb0EEEEDaST_SU_EUlST_E_NS1_11comp_targetILNS1_3genE4ELNS1_11target_archE910ELNS1_3gpuE8ELNS1_3repE0EEENS1_30default_config_static_selectorELNS0_4arch9wavefront6targetE1EEEvT1_,"axG",@progbits,_ZN7rocprim17ROCPRIM_400000_NS6detail17trampoline_kernelINS0_14default_configENS1_27scan_by_key_config_selectorIxxEEZZNS1_16scan_by_key_implILNS1_25lookback_scan_determinismE0ELb1ES3_N6thrust23THRUST_200600_302600_NS6detail15normal_iteratorINS9_10device_ptrIxEEEESE_SE_xNS9_4plusIxEE19head_flag_predicatexEE10hipError_tPvRmT2_T3_T4_T5_mT6_T7_P12ihipStream_tbENKUlT_T0_E_clISt17integral_constantIbLb1EESX_IbLb0EEEEDaST_SU_EUlST_E_NS1_11comp_targetILNS1_3genE4ELNS1_11target_archE910ELNS1_3gpuE8ELNS1_3repE0EEENS1_30default_config_static_selectorELNS0_4arch9wavefront6targetE1EEEvT1_,comdat
	.protected	_ZN7rocprim17ROCPRIM_400000_NS6detail17trampoline_kernelINS0_14default_configENS1_27scan_by_key_config_selectorIxxEEZZNS1_16scan_by_key_implILNS1_25lookback_scan_determinismE0ELb1ES3_N6thrust23THRUST_200600_302600_NS6detail15normal_iteratorINS9_10device_ptrIxEEEESE_SE_xNS9_4plusIxEE19head_flag_predicatexEE10hipError_tPvRmT2_T3_T4_T5_mT6_T7_P12ihipStream_tbENKUlT_T0_E_clISt17integral_constantIbLb1EESX_IbLb0EEEEDaST_SU_EUlST_E_NS1_11comp_targetILNS1_3genE4ELNS1_11target_archE910ELNS1_3gpuE8ELNS1_3repE0EEENS1_30default_config_static_selectorELNS0_4arch9wavefront6targetE1EEEvT1_ ; -- Begin function _ZN7rocprim17ROCPRIM_400000_NS6detail17trampoline_kernelINS0_14default_configENS1_27scan_by_key_config_selectorIxxEEZZNS1_16scan_by_key_implILNS1_25lookback_scan_determinismE0ELb1ES3_N6thrust23THRUST_200600_302600_NS6detail15normal_iteratorINS9_10device_ptrIxEEEESE_SE_xNS9_4plusIxEE19head_flag_predicatexEE10hipError_tPvRmT2_T3_T4_T5_mT6_T7_P12ihipStream_tbENKUlT_T0_E_clISt17integral_constantIbLb1EESX_IbLb0EEEEDaST_SU_EUlST_E_NS1_11comp_targetILNS1_3genE4ELNS1_11target_archE910ELNS1_3gpuE8ELNS1_3repE0EEENS1_30default_config_static_selectorELNS0_4arch9wavefront6targetE1EEEvT1_
	.globl	_ZN7rocprim17ROCPRIM_400000_NS6detail17trampoline_kernelINS0_14default_configENS1_27scan_by_key_config_selectorIxxEEZZNS1_16scan_by_key_implILNS1_25lookback_scan_determinismE0ELb1ES3_N6thrust23THRUST_200600_302600_NS6detail15normal_iteratorINS9_10device_ptrIxEEEESE_SE_xNS9_4plusIxEE19head_flag_predicatexEE10hipError_tPvRmT2_T3_T4_T5_mT6_T7_P12ihipStream_tbENKUlT_T0_E_clISt17integral_constantIbLb1EESX_IbLb0EEEEDaST_SU_EUlST_E_NS1_11comp_targetILNS1_3genE4ELNS1_11target_archE910ELNS1_3gpuE8ELNS1_3repE0EEENS1_30default_config_static_selectorELNS0_4arch9wavefront6targetE1EEEvT1_
	.p2align	8
	.type	_ZN7rocprim17ROCPRIM_400000_NS6detail17trampoline_kernelINS0_14default_configENS1_27scan_by_key_config_selectorIxxEEZZNS1_16scan_by_key_implILNS1_25lookback_scan_determinismE0ELb1ES3_N6thrust23THRUST_200600_302600_NS6detail15normal_iteratorINS9_10device_ptrIxEEEESE_SE_xNS9_4plusIxEE19head_flag_predicatexEE10hipError_tPvRmT2_T3_T4_T5_mT6_T7_P12ihipStream_tbENKUlT_T0_E_clISt17integral_constantIbLb1EESX_IbLb0EEEEDaST_SU_EUlST_E_NS1_11comp_targetILNS1_3genE4ELNS1_11target_archE910ELNS1_3gpuE8ELNS1_3repE0EEENS1_30default_config_static_selectorELNS0_4arch9wavefront6targetE1EEEvT1_,@function
_ZN7rocprim17ROCPRIM_400000_NS6detail17trampoline_kernelINS0_14default_configENS1_27scan_by_key_config_selectorIxxEEZZNS1_16scan_by_key_implILNS1_25lookback_scan_determinismE0ELb1ES3_N6thrust23THRUST_200600_302600_NS6detail15normal_iteratorINS9_10device_ptrIxEEEESE_SE_xNS9_4plusIxEE19head_flag_predicatexEE10hipError_tPvRmT2_T3_T4_T5_mT6_T7_P12ihipStream_tbENKUlT_T0_E_clISt17integral_constantIbLb1EESX_IbLb0EEEEDaST_SU_EUlST_E_NS1_11comp_targetILNS1_3genE4ELNS1_11target_archE910ELNS1_3gpuE8ELNS1_3repE0EEENS1_30default_config_static_selectorELNS0_4arch9wavefront6targetE1EEEvT1_: ; @_ZN7rocprim17ROCPRIM_400000_NS6detail17trampoline_kernelINS0_14default_configENS1_27scan_by_key_config_selectorIxxEEZZNS1_16scan_by_key_implILNS1_25lookback_scan_determinismE0ELb1ES3_N6thrust23THRUST_200600_302600_NS6detail15normal_iteratorINS9_10device_ptrIxEEEESE_SE_xNS9_4plusIxEE19head_flag_predicatexEE10hipError_tPvRmT2_T3_T4_T5_mT6_T7_P12ihipStream_tbENKUlT_T0_E_clISt17integral_constantIbLb1EESX_IbLb0EEEEDaST_SU_EUlST_E_NS1_11comp_targetILNS1_3genE4ELNS1_11target_archE910ELNS1_3gpuE8ELNS1_3repE0EEENS1_30default_config_static_selectorELNS0_4arch9wavefront6targetE1EEEvT1_
; %bb.0:
	s_load_dwordx8 s[52:59], s[4:5], 0x0
	s_load_dwordx2 s[64:65], s[4:5], 0x20
	s_load_dwordx8 s[44:51], s[4:5], 0x30
	s_load_dwordx2 s[66:67], s[4:5], 0x50
	s_load_dword s0, s[4:5], 0x58
	s_load_dwordx4 s[60:63], s[4:5], 0x60
	s_waitcnt lgkmcnt(0)
	s_lshl_b64 s[54:55], s[54:55], 3
	s_add_u32 s2, s52, s54
	s_addc_u32 s3, s53, s55
	s_add_u32 s4, s56, s54
	s_mul_i32 s1, s67, s0
	s_mul_hi_u32 s7, s66, s0
	s_addc_u32 s5, s57, s55
	s_add_i32 s8, s7, s1
	s_mul_i32 s9, s66, s0
	s_mul_i32 s0, s6, 0x4c0
	s_mov_b32 s1, 0
	s_lshl_b64 s[52:53], s[0:1], 3
	s_add_u32 s56, s2, s52
	s_addc_u32 s57, s3, s53
	s_add_u32 s7, s4, s52
	s_addc_u32 s51, s5, s53
	s_add_u32 s0, s9, s6
	s_addc_u32 s1, s8, 0
	s_add_u32 s4, s60, -1
	s_addc_u32 s5, s61, -1
	v_pk_mov_b32 v[2:3], s[4:5], s[4:5] op_sel:[0,1]
	v_cmp_ge_u64_e64 s[0:1], s[0:1], v[2:3]
	s_mov_b64 s[2:3], -1
	s_and_b64 vcc, exec, s[0:1]
	s_mul_i32 s33, s4, 0xfffffb40
	s_waitcnt lgkmcnt(0)
	; wave barrier
	s_cbranch_vccz .LBB734_59
; %bb.1:
	v_pk_mov_b32 v[2:3], s[56:57], s[56:57] op_sel:[0,1]
	flat_load_dwordx2 v[2:3], v[2:3]
	s_add_i32 s70, s33, s50
	v_cmp_gt_u32_e32 vcc, s70, v0
	s_waitcnt vmcnt(0) lgkmcnt(0)
	v_pk_mov_b32 v[4:5], v[2:3], v[2:3] op_sel:[0,1]
	s_and_saveexec_b64 s[4:5], vcc
	s_cbranch_execz .LBB734_3
; %bb.2:
	v_lshlrev_b32_e32 v1, 3, v0
	v_mov_b32_e32 v5, s57
	v_add_co_u32_e64 v4, s[2:3], s56, v1
	v_addc_co_u32_e64 v5, s[2:3], 0, v5, s[2:3]
	flat_load_dwordx2 v[4:5], v[4:5]
.LBB734_3:
	s_or_b64 exec, exec, s[4:5]
	v_or_b32_e32 v1, 64, v0
	v_cmp_gt_u32_e64 s[2:3], s70, v1
	v_pk_mov_b32 v[6:7], v[2:3], v[2:3] op_sel:[0,1]
	s_and_saveexec_b64 s[8:9], s[2:3]
	s_cbranch_execz .LBB734_5
; %bb.4:
	v_lshlrev_b32_e32 v1, 3, v0
	v_mov_b32_e32 v7, s57
	v_add_co_u32_e64 v6, s[4:5], s56, v1
	v_addc_co_u32_e64 v7, s[4:5], 0, v7, s[4:5]
	flat_load_dwordx2 v[6:7], v[6:7] offset:512
.LBB734_5:
	s_or_b64 exec, exec, s[8:9]
	v_or_b32_e32 v1, 0x80, v0
	v_cmp_gt_u32_e64 s[4:5], s70, v1
	v_pk_mov_b32 v[8:9], v[2:3], v[2:3] op_sel:[0,1]
	s_and_saveexec_b64 s[10:11], s[4:5]
	s_cbranch_execz .LBB734_7
; %bb.6:
	v_lshlrev_b32_e32 v1, 3, v0
	v_mov_b32_e32 v9, s57
	v_add_co_u32_e64 v8, s[8:9], s56, v1
	v_addc_co_u32_e64 v9, s[8:9], 0, v9, s[8:9]
	flat_load_dwordx2 v[8:9], v[8:9] offset:1024
.LBB734_7:
	;; [unrolled: 13-line block ×7, first 2 shown]
	s_or_b64 exec, exec, s[18:19]
	v_or_b32_e32 v1, 0x200, v0
	v_cmp_gt_u32_e64 s[16:17], s70, v1
	v_pk_mov_b32 v[20:21], v[2:3], v[2:3] op_sel:[0,1]
	s_and_saveexec_b64 s[20:21], s[16:17]
	s_cbranch_execz .LBB734_19
; %bb.18:
	v_lshlrev_b32_e32 v20, 3, v1
	v_mov_b32_e32 v21, s57
	v_add_co_u32_e64 v20, s[18:19], s56, v20
	v_addc_co_u32_e64 v21, s[18:19], 0, v21, s[18:19]
	flat_load_dwordx2 v[20:21], v[20:21]
.LBB734_19:
	s_or_b64 exec, exec, s[20:21]
	v_or_b32_e32 v56, 0x240, v0
	v_cmp_gt_u32_e64 s[18:19], s70, v56
	v_pk_mov_b32 v[22:23], v[2:3], v[2:3] op_sel:[0,1]
	s_and_saveexec_b64 s[22:23], s[18:19]
	s_cbranch_execz .LBB734_21
; %bb.20:
	v_lshlrev_b32_e32 v22, 3, v56
	v_mov_b32_e32 v23, s57
	v_add_co_u32_e64 v22, s[20:21], s56, v22
	v_addc_co_u32_e64 v23, s[20:21], 0, v23, s[20:21]
	flat_load_dwordx2 v[22:23], v[22:23]
.LBB734_21:
	;; [unrolled: 13-line block ×10, first 2 shown]
	s_or_b64 exec, exec, s[42:43]
	v_or_b32_e32 v80, 0x480, v0
	v_cmp_gt_u32_e64 s[38:39], s70, v80
	s_and_saveexec_b64 s[60:61], s[38:39]
	s_cbranch_execz .LBB734_39
; %bb.38:
	v_lshlrev_b32_e32 v2, 3, v80
	v_mov_b32_e32 v3, s57
	v_add_co_u32_e64 v2, s[42:43], s56, v2
	v_addc_co_u32_e64 v3, s[42:43], 0, v3, s[42:43]
	flat_load_dwordx2 v[2:3], v[2:3]
.LBB734_39:
	s_or_b64 exec, exec, s[60:61]
	v_lshlrev_b32_e32 v81, 3, v0
	s_waitcnt vmcnt(0) lgkmcnt(0)
	ds_write2st64_b64 v81, v[4:5], v[6:7] offset1:1
	ds_write2st64_b64 v81, v[8:9], v[10:11] offset0:2 offset1:3
	ds_write2st64_b64 v81, v[12:13], v[14:15] offset0:4 offset1:5
	;; [unrolled: 1-line block ×8, first 2 shown]
	ds_write_b64 v81, v[2:3] offset:9216
	v_pk_mov_b32 v[2:3], s[56:57], s[56:57] op_sel:[0,1]
	s_waitcnt lgkmcnt(0)
	; wave barrier
	s_waitcnt lgkmcnt(0)
	flat_load_dwordx2 v[74:75], v[2:3]
	s_movk_i32 s42, 0x90
	v_mad_u32_u24 v78, v0, s42, v81
	s_movk_i32 s42, 0xff70
	v_mad_i32_i24 v38, v0, s42, v78
	v_cmp_ne_u32_e64 s[42:43], 63, v0
	ds_read2_b64 v[34:37], v78 offset1:1
	ds_read2_b64 v[30:33], v78 offset0:2 offset1:3
	ds_read2_b64 v[26:29], v78 offset0:4 offset1:5
	;; [unrolled: 1-line block ×8, first 2 shown]
	ds_read_b64 v[76:77], v78 offset:144
	s_waitcnt lgkmcnt(0)
	ds_write_b64 v38, v[34:35] offset:10240
	s_waitcnt lgkmcnt(0)
	; wave barrier
	s_waitcnt lgkmcnt(0)
	s_and_saveexec_b64 s[60:61], s[42:43]
	s_cbranch_execz .LBB734_41
; %bb.40:
	s_waitcnt vmcnt(0)
	ds_read_b64 v[74:75], v81 offset:10248
.LBB734_41:
	s_or_b64 exec, exec, s[60:61]
	s_waitcnt lgkmcnt(0)
	; wave barrier
	s_waitcnt lgkmcnt(0)
                                        ; implicit-def: $vgpr34_vgpr35
	s_and_saveexec_b64 s[42:43], vcc
	s_cbranch_execz .LBB734_60
; %bb.42:
	v_mov_b32_e32 v35, s51
	v_add_co_u32_e32 v34, vcc, s7, v81
	v_addc_co_u32_e32 v35, vcc, 0, v35, vcc
	flat_load_dwordx2 v[34:35], v[34:35]
	s_or_b64 exec, exec, s[42:43]
                                        ; implicit-def: $vgpr38_vgpr39
	s_and_saveexec_b64 s[42:43], s[2:3]
	s_cbranch_execnz .LBB734_61
.LBB734_43:
	s_or_b64 exec, exec, s[42:43]
                                        ; implicit-def: $vgpr40_vgpr41
	s_and_saveexec_b64 s[2:3], s[4:5]
	s_cbranch_execz .LBB734_62
.LBB734_44:
	v_mov_b32_e32 v41, s51
	v_add_co_u32_e32 v40, vcc, s7, v81
	v_addc_co_u32_e32 v41, vcc, 0, v41, vcc
	flat_load_dwordx2 v[40:41], v[40:41] offset:1024
	s_or_b64 exec, exec, s[2:3]
                                        ; implicit-def: $vgpr42_vgpr43
	s_and_saveexec_b64 s[2:3], s[40:41]
	s_cbranch_execnz .LBB734_63
.LBB734_45:
	s_or_b64 exec, exec, s[2:3]
                                        ; implicit-def: $vgpr44_vgpr45
	s_and_saveexec_b64 s[2:3], s[8:9]
	s_cbranch_execz .LBB734_64
.LBB734_46:
	v_mov_b32_e32 v45, s51
	v_add_co_u32_e32 v44, vcc, s7, v81
	v_addc_co_u32_e32 v45, vcc, 0, v45, vcc
	flat_load_dwordx2 v[44:45], v[44:45] offset:2048
	s_or_b64 exec, exec, s[2:3]
                                        ; implicit-def: $vgpr46_vgpr47
	s_and_saveexec_b64 s[2:3], s[10:11]
	s_cbranch_execnz .LBB734_65
.LBB734_47:
	s_or_b64 exec, exec, s[2:3]
                                        ; implicit-def: $vgpr48_vgpr49
	s_and_saveexec_b64 s[2:3], s[12:13]
	s_cbranch_execz .LBB734_66
.LBB734_48:
	v_mov_b32_e32 v49, s51
	v_add_co_u32_e32 v48, vcc, s7, v81
	v_addc_co_u32_e32 v49, vcc, 0, v49, vcc
	flat_load_dwordx2 v[48:49], v[48:49] offset:3072
	s_or_b64 exec, exec, s[2:3]
                                        ; implicit-def: $vgpr50_vgpr51
	s_and_saveexec_b64 s[2:3], s[14:15]
	s_cbranch_execnz .LBB734_67
.LBB734_49:
	s_or_b64 exec, exec, s[2:3]
                                        ; implicit-def: $vgpr52_vgpr53
	s_and_saveexec_b64 s[2:3], s[16:17]
	s_cbranch_execz .LBB734_68
.LBB734_50:
	v_lshlrev_b32_e32 v1, 3, v1
	v_mov_b32_e32 v53, s51
	v_add_co_u32_e32 v52, vcc, s7, v1
	v_addc_co_u32_e32 v53, vcc, 0, v53, vcc
	flat_load_dwordx2 v[52:53], v[52:53]
	s_or_b64 exec, exec, s[2:3]
                                        ; implicit-def: $vgpr54_vgpr55
	s_and_saveexec_b64 s[2:3], s[18:19]
	s_cbranch_execnz .LBB734_69
.LBB734_51:
	s_or_b64 exec, exec, s[2:3]
                                        ; implicit-def: $vgpr56_vgpr57
	s_and_saveexec_b64 s[2:3], s[20:21]
	s_cbranch_execz .LBB734_70
.LBB734_52:
	v_lshlrev_b32_e32 v1, 3, v58
	v_mov_b32_e32 v57, s51
	v_add_co_u32_e32 v56, vcc, s7, v1
	v_addc_co_u32_e32 v57, vcc, 0, v57, vcc
	flat_load_dwordx2 v[56:57], v[56:57]
	s_or_b64 exec, exec, s[2:3]
                                        ; implicit-def: $vgpr58_vgpr59
	s_and_saveexec_b64 s[2:3], s[22:23]
	s_cbranch_execnz .LBB734_71
.LBB734_53:
	s_or_b64 exec, exec, s[2:3]
                                        ; implicit-def: $vgpr60_vgpr61
	s_and_saveexec_b64 s[2:3], s[24:25]
	s_cbranch_execz .LBB734_72
.LBB734_54:
	v_lshlrev_b32_e32 v1, 3, v62
	v_mov_b32_e32 v61, s51
	v_add_co_u32_e32 v60, vcc, s7, v1
	v_addc_co_u32_e32 v61, vcc, 0, v61, vcc
	flat_load_dwordx2 v[60:61], v[60:61]
	s_or_b64 exec, exec, s[2:3]
                                        ; implicit-def: $vgpr62_vgpr63
	s_and_saveexec_b64 s[2:3], s[26:27]
	s_cbranch_execnz .LBB734_73
.LBB734_55:
	s_or_b64 exec, exec, s[2:3]
                                        ; implicit-def: $vgpr64_vgpr65
	s_and_saveexec_b64 s[2:3], s[28:29]
	s_cbranch_execz .LBB734_74
.LBB734_56:
	v_lshlrev_b32_e32 v1, 3, v66
	v_mov_b32_e32 v65, s51
	v_add_co_u32_e32 v64, vcc, s7, v1
	v_addc_co_u32_e32 v65, vcc, 0, v65, vcc
	flat_load_dwordx2 v[64:65], v[64:65]
	s_or_b64 exec, exec, s[2:3]
                                        ; implicit-def: $vgpr66_vgpr67
	s_and_saveexec_b64 s[2:3], s[30:31]
	s_cbranch_execnz .LBB734_75
.LBB734_57:
	s_or_b64 exec, exec, s[2:3]
                                        ; implicit-def: $vgpr68_vgpr69
	s_and_saveexec_b64 s[2:3], s[34:35]
	s_cbranch_execz .LBB734_76
.LBB734_58:
	v_lshlrev_b32_e32 v1, 3, v70
	v_mov_b32_e32 v69, s51
	v_add_co_u32_e32 v68, vcc, s7, v1
	v_addc_co_u32_e32 v69, vcc, 0, v69, vcc
	flat_load_dwordx2 v[68:69], v[68:69]
	s_or_b64 exec, exec, s[2:3]
                                        ; implicit-def: $vgpr70_vgpr71
	s_and_saveexec_b64 s[2:3], s[36:37]
	s_cbranch_execz .LBB734_78
	s_branch .LBB734_77
.LBB734_59:
	s_mov_b64 s[10:11], 0
                                        ; implicit-def: $sgpr8_sgpr9
                                        ; implicit-def: $vgpr34_vgpr35
                                        ; implicit-def: $vgpr70_vgpr71
                                        ; implicit-def: $vgpr98
                                        ; implicit-def: $vgpr40_vgpr41
                                        ; implicit-def: $vgpr112
                                        ; implicit-def: $vgpr72_vgpr73
                                        ; implicit-def: $vgpr111
                                        ; implicit-def: $vgpr68_vgpr69
                                        ; implicit-def: $vgpr110
                                        ; implicit-def: $vgpr66_vgpr67
                                        ; implicit-def: $vgpr109
                                        ; implicit-def: $vgpr64_vgpr65
                                        ; implicit-def: $vgpr108
                                        ; implicit-def: $vgpr48_vgpr49
                                        ; implicit-def: $vgpr107
                                        ; implicit-def: $vgpr46_vgpr47
                                        ; implicit-def: $vgpr106
                                        ; implicit-def: $vgpr52_vgpr53
                                        ; implicit-def: $vgpr105
                                        ; implicit-def: $vgpr50_vgpr51
                                        ; implicit-def: $vgpr104
                                        ; implicit-def: $vgpr56_vgpr57
                                        ; implicit-def: $vgpr103
                                        ; implicit-def: $vgpr54_vgpr55
                                        ; implicit-def: $vgpr102
                                        ; implicit-def: $vgpr60_vgpr61
                                        ; implicit-def: $vgpr101
                                        ; implicit-def: $vgpr58_vgpr59
                                        ; implicit-def: $vgpr100
                                        ; implicit-def: $vgpr62_vgpr63
                                        ; implicit-def: $vgpr99
                                        ; implicit-def: $vgpr44_vgpr45
                                        ; implicit-def: $vgpr97
                                        ; implicit-def: $vgpr42_vgpr43
                                        ; implicit-def: $vgpr96
                                        ; implicit-def: $vgpr38_vgpr39
                                        ; implicit-def: $vgpr1
                                        ; implicit-def: $sgpr72
                                        ; implicit-def: $sgpr4_sgpr5
	s_and_b64 vcc, exec, s[2:3]
	v_lshlrev_b32_e32 v113, 3, v0
	s_cbranch_vccz .LBB734_124
	s_branch .LBB734_119
.LBB734_60:
	s_or_b64 exec, exec, s[42:43]
                                        ; implicit-def: $vgpr38_vgpr39
	s_and_saveexec_b64 s[42:43], s[2:3]
	s_cbranch_execz .LBB734_43
.LBB734_61:
	v_mov_b32_e32 v39, s51
	v_add_co_u32_e32 v38, vcc, s7, v81
	v_addc_co_u32_e32 v39, vcc, 0, v39, vcc
	flat_load_dwordx2 v[38:39], v[38:39] offset:512
	s_or_b64 exec, exec, s[42:43]
                                        ; implicit-def: $vgpr40_vgpr41
	s_and_saveexec_b64 s[2:3], s[4:5]
	s_cbranch_execnz .LBB734_44
.LBB734_62:
	s_or_b64 exec, exec, s[2:3]
                                        ; implicit-def: $vgpr42_vgpr43
	s_and_saveexec_b64 s[2:3], s[40:41]
	s_cbranch_execz .LBB734_45
.LBB734_63:
	v_mov_b32_e32 v43, s51
	v_add_co_u32_e32 v42, vcc, s7, v81
	v_addc_co_u32_e32 v43, vcc, 0, v43, vcc
	flat_load_dwordx2 v[42:43], v[42:43] offset:1536
	s_or_b64 exec, exec, s[2:3]
                                        ; implicit-def: $vgpr44_vgpr45
	s_and_saveexec_b64 s[2:3], s[8:9]
	s_cbranch_execnz .LBB734_46
.LBB734_64:
	s_or_b64 exec, exec, s[2:3]
                                        ; implicit-def: $vgpr46_vgpr47
	s_and_saveexec_b64 s[2:3], s[10:11]
	s_cbranch_execz .LBB734_47
.LBB734_65:
	v_mov_b32_e32 v47, s51
	v_add_co_u32_e32 v46, vcc, s7, v81
	v_addc_co_u32_e32 v47, vcc, 0, v47, vcc
	flat_load_dwordx2 v[46:47], v[46:47] offset:2560
	s_or_b64 exec, exec, s[2:3]
                                        ; implicit-def: $vgpr48_vgpr49
	s_and_saveexec_b64 s[2:3], s[12:13]
	s_cbranch_execnz .LBB734_48
.LBB734_66:
	s_or_b64 exec, exec, s[2:3]
                                        ; implicit-def: $vgpr50_vgpr51
	s_and_saveexec_b64 s[2:3], s[14:15]
	s_cbranch_execz .LBB734_49
.LBB734_67:
	v_mov_b32_e32 v51, s51
	v_add_co_u32_e32 v50, vcc, s7, v81
	v_addc_co_u32_e32 v51, vcc, 0, v51, vcc
	flat_load_dwordx2 v[50:51], v[50:51] offset:3584
	s_or_b64 exec, exec, s[2:3]
                                        ; implicit-def: $vgpr52_vgpr53
	s_and_saveexec_b64 s[2:3], s[16:17]
	s_cbranch_execnz .LBB734_50
.LBB734_68:
	s_or_b64 exec, exec, s[2:3]
                                        ; implicit-def: $vgpr54_vgpr55
	s_and_saveexec_b64 s[2:3], s[18:19]
	s_cbranch_execz .LBB734_51
.LBB734_69:
	v_lshlrev_b32_e32 v1, 3, v56
	v_mov_b32_e32 v55, s51
	v_add_co_u32_e32 v54, vcc, s7, v1
	v_addc_co_u32_e32 v55, vcc, 0, v55, vcc
	flat_load_dwordx2 v[54:55], v[54:55]
	s_or_b64 exec, exec, s[2:3]
                                        ; implicit-def: $vgpr56_vgpr57
	s_and_saveexec_b64 s[2:3], s[20:21]
	s_cbranch_execnz .LBB734_52
.LBB734_70:
	s_or_b64 exec, exec, s[2:3]
                                        ; implicit-def: $vgpr58_vgpr59
	s_and_saveexec_b64 s[2:3], s[22:23]
	s_cbranch_execz .LBB734_53
.LBB734_71:
	v_lshlrev_b32_e32 v1, 3, v60
	v_mov_b32_e32 v59, s51
	v_add_co_u32_e32 v58, vcc, s7, v1
	v_addc_co_u32_e32 v59, vcc, 0, v59, vcc
	flat_load_dwordx2 v[58:59], v[58:59]
	s_or_b64 exec, exec, s[2:3]
                                        ; implicit-def: $vgpr60_vgpr61
	s_and_saveexec_b64 s[2:3], s[24:25]
	s_cbranch_execnz .LBB734_54
.LBB734_72:
	s_or_b64 exec, exec, s[2:3]
                                        ; implicit-def: $vgpr62_vgpr63
	s_and_saveexec_b64 s[2:3], s[26:27]
	s_cbranch_execz .LBB734_55
.LBB734_73:
	v_lshlrev_b32_e32 v1, 3, v64
	v_mov_b32_e32 v63, s51
	v_add_co_u32_e32 v62, vcc, s7, v1
	v_addc_co_u32_e32 v63, vcc, 0, v63, vcc
	flat_load_dwordx2 v[62:63], v[62:63]
	s_or_b64 exec, exec, s[2:3]
                                        ; implicit-def: $vgpr64_vgpr65
	s_and_saveexec_b64 s[2:3], s[28:29]
	s_cbranch_execnz .LBB734_56
.LBB734_74:
	s_or_b64 exec, exec, s[2:3]
                                        ; implicit-def: $vgpr66_vgpr67
	s_and_saveexec_b64 s[2:3], s[30:31]
	s_cbranch_execz .LBB734_57
.LBB734_75:
	v_lshlrev_b32_e32 v1, 3, v68
	v_mov_b32_e32 v67, s51
	v_add_co_u32_e32 v66, vcc, s7, v1
	v_addc_co_u32_e32 v67, vcc, 0, v67, vcc
	flat_load_dwordx2 v[66:67], v[66:67]
	s_or_b64 exec, exec, s[2:3]
                                        ; implicit-def: $vgpr68_vgpr69
	s_and_saveexec_b64 s[2:3], s[34:35]
	s_cbranch_execnz .LBB734_58
.LBB734_76:
	s_or_b64 exec, exec, s[2:3]
                                        ; implicit-def: $vgpr70_vgpr71
	s_and_saveexec_b64 s[2:3], s[36:37]
	s_cbranch_execz .LBB734_78
.LBB734_77:
	v_lshlrev_b32_e32 v1, 3, v72
	v_mov_b32_e32 v71, s51
	v_add_co_u32_e32 v70, vcc, s7, v1
	v_addc_co_u32_e32 v71, vcc, 0, v71, vcc
	flat_load_dwordx2 v[70:71], v[70:71]
.LBB734_78:
	s_or_b64 exec, exec, s[2:3]
	v_mul_u32_u24_e32 v79, 19, v0
                                        ; implicit-def: $vgpr72_vgpr73
	s_and_saveexec_b64 s[2:3], s[38:39]
	s_cbranch_execz .LBB734_80
; %bb.79:
	v_lshlrev_b32_e32 v1, 3, v80
	v_mov_b32_e32 v73, s51
	v_add_co_u32_e32 v72, vcc, s7, v1
	v_addc_co_u32_e32 v73, vcc, 0, v73, vcc
	flat_load_dwordx2 v[72:73], v[72:73]
.LBB734_80:
	s_or_b64 exec, exec, s[2:3]
	s_waitcnt vmcnt(0) lgkmcnt(0)
	ds_write2st64_b64 v81, v[34:35], v[38:39] offset1:1
	ds_write2st64_b64 v81, v[40:41], v[42:43] offset0:2 offset1:3
	ds_write2st64_b64 v81, v[44:45], v[46:47] offset0:4 offset1:5
	;; [unrolled: 1-line block ×8, first 2 shown]
	ds_write_b64 v81, v[72:73] offset:9216
	v_pk_mov_b32 v[70:71], 0, 0
	v_cmp_gt_u32_e32 vcc, s70, v79
	s_mov_b64 s[10:11], 0
	s_mov_b32 s72, 0
	s_mov_b64 s[2:3], 0
	v_mov_b32_e32 v98, 0
	v_pk_mov_b32 v[40:41], v[70:71], v[70:71] op_sel:[0,1]
	v_mov_b32_e32 v112, 0
	v_pk_mov_b32 v[72:73], v[70:71], v[70:71] op_sel:[0,1]
	;; [unrolled: 2-line block ×17, first 2 shown]
	v_mov_b32_e32 v1, 0
	s_waitcnt lgkmcnt(0)
	; wave barrier
	s_waitcnt lgkmcnt(0)
                                        ; implicit-def: $sgpr8_sgpr9
                                        ; implicit-def: $vgpr34_vgpr35
	s_and_saveexec_b64 s[4:5], vcc
	s_cbranch_execz .LBB734_118
; %bb.81:
	ds_read_b64 v[34:35], v78
	v_cmp_ne_u64_e32 vcc, 0, v[36:37]
	v_mov_b32_e32 v36, s65
	v_add_u32_e32 v38, 1, v79
	v_pk_mov_b32 v[40:41], 0, 0
	s_waitcnt lgkmcnt(0)
	v_cndmask_b32_e32 v71, v35, v36, vcc
	v_mov_b32_e32 v35, s64
	v_cndmask_b32_e64 v1, 0, 1, vcc
	v_cndmask_b32_e32 v70, v34, v35, vcc
	v_cmp_gt_u32_e32 vcc, s70, v38
	v_mov_b32_e32 v98, 0
	v_mov_b32_e32 v112, 0
	v_pk_mov_b32 v[72:73], v[40:41], v[40:41] op_sel:[0,1]
	v_mov_b32_e32 v111, 0
	v_pk_mov_b32 v[68:69], v[40:41], v[40:41] op_sel:[0,1]
	;; [unrolled: 2-line block ×16, first 2 shown]
                                        ; implicit-def: $sgpr14_sgpr15
                                        ; implicit-def: $vgpr34_vgpr35
	s_and_saveexec_b64 s[8:9], vcc
	s_cbranch_execz .LBB734_117
; %bb.82:
	ds_read2_b64 v[34:37], v78 offset0:1 offset1:2
	v_cmp_ne_u64_e32 vcc, 0, v[30:31]
	v_mov_b32_e32 v30, s65
	v_add_u32_e32 v40, 2, v79
	v_cndmask_b32_e64 v96, 0, 1, vcc
	s_waitcnt lgkmcnt(0)
	v_cndmask_b32_e32 v39, v35, v30, vcc
	v_mov_b32_e32 v30, s64
	v_cndmask_b32_e32 v38, v34, v30, vcc
	v_cmp_gt_u32_e32 vcc, s70, v40
	v_pk_mov_b32 v[40:41], 0, 0
	s_mov_b64 s[12:13], 0
	v_mov_b32_e32 v98, 0
	v_mov_b32_e32 v112, 0
	v_pk_mov_b32 v[72:73], v[40:41], v[40:41] op_sel:[0,1]
	v_mov_b32_e32 v111, 0
	v_pk_mov_b32 v[68:69], v[40:41], v[40:41] op_sel:[0,1]
	;; [unrolled: 2-line block ×15, first 2 shown]
                                        ; implicit-def: $sgpr16_sgpr17
                                        ; implicit-def: $vgpr34_vgpr35
	s_and_saveexec_b64 s[10:11], vcc
	s_cbranch_execz .LBB734_116
; %bb.83:
	v_cmp_ne_u64_e32 vcc, 0, v[32:33]
	v_mov_b32_e32 v31, s65
	v_add_u32_e32 v30, 3, v79
	v_cndmask_b32_e32 v43, v37, v31, vcc
	v_mov_b32_e32 v31, s64
	v_pk_mov_b32 v[40:41], 0, 0
	s_mov_b64 s[14:15], 0
	v_cndmask_b32_e64 v97, 0, 1, vcc
	v_cndmask_b32_e32 v42, v36, v31, vcc
	v_cmp_gt_u32_e32 vcc, s70, v30
	v_mov_b32_e32 v98, 0
	v_mov_b32_e32 v112, 0
	v_pk_mov_b32 v[72:73], v[40:41], v[40:41] op_sel:[0,1]
	v_mov_b32_e32 v111, 0
	v_pk_mov_b32 v[68:69], v[40:41], v[40:41] op_sel:[0,1]
	;; [unrolled: 2-line block ×14, first 2 shown]
                                        ; implicit-def: $sgpr18_sgpr19
                                        ; implicit-def: $vgpr34_vgpr35
	s_and_saveexec_b64 s[12:13], vcc
	s_cbranch_execz .LBB734_115
; %bb.84:
	ds_read2_b64 v[30:33], v78 offset0:3 offset1:4
	v_cmp_ne_u64_e32 vcc, 0, v[26:27]
	v_mov_b32_e32 v26, s65
	v_add_u32_e32 v34, 4, v79
	v_pk_mov_b32 v[40:41], 0, 0
	s_waitcnt lgkmcnt(0)
	v_cndmask_b32_e32 v45, v31, v26, vcc
	v_mov_b32_e32 v26, s64
	s_mov_b64 s[16:17], 0
	v_cndmask_b32_e64 v99, 0, 1, vcc
	v_cndmask_b32_e32 v44, v30, v26, vcc
	v_cmp_gt_u32_e32 vcc, s70, v34
	v_mov_b32_e32 v98, 0
	v_mov_b32_e32 v112, 0
	v_pk_mov_b32 v[72:73], v[40:41], v[40:41] op_sel:[0,1]
	v_mov_b32_e32 v111, 0
	v_pk_mov_b32 v[68:69], v[40:41], v[40:41] op_sel:[0,1]
	;; [unrolled: 2-line block ×13, first 2 shown]
                                        ; implicit-def: $sgpr20_sgpr21
                                        ; implicit-def: $vgpr34_vgpr35
	s_and_saveexec_b64 s[14:15], vcc
	s_cbranch_execz .LBB734_114
; %bb.85:
	v_cmp_ne_u64_e32 vcc, 0, v[28:29]
	v_mov_b32_e32 v27, s65
	v_add_u32_e32 v26, 5, v79
	v_cndmask_b32_e32 v63, v33, v27, vcc
	v_mov_b32_e32 v27, s64
	v_pk_mov_b32 v[40:41], 0, 0
	s_mov_b64 s[18:19], 0
	v_cndmask_b32_e64 v100, 0, 1, vcc
	v_cndmask_b32_e32 v62, v32, v27, vcc
	v_cmp_gt_u32_e32 vcc, s70, v26
	v_mov_b32_e32 v98, 0
	v_mov_b32_e32 v112, 0
	v_pk_mov_b32 v[72:73], v[40:41], v[40:41] op_sel:[0,1]
	v_mov_b32_e32 v111, 0
	v_pk_mov_b32 v[68:69], v[40:41], v[40:41] op_sel:[0,1]
	;; [unrolled: 2-line block ×12, first 2 shown]
                                        ; implicit-def: $sgpr22_sgpr23
                                        ; implicit-def: $vgpr34_vgpr35
	s_and_saveexec_b64 s[16:17], vcc
	s_cbranch_execz .LBB734_113
; %bb.86:
	ds_read2_b64 v[26:29], v78 offset0:5 offset1:6
	v_cmp_ne_u64_e32 vcc, 0, v[22:23]
	v_mov_b32_e32 v22, s65
	v_add_u32_e32 v30, 6, v79
	v_pk_mov_b32 v[40:41], 0, 0
	s_waitcnt lgkmcnt(0)
	v_cndmask_b32_e32 v59, v27, v22, vcc
	v_mov_b32_e32 v22, s64
	s_mov_b64 s[20:21], 0
	v_cndmask_b32_e64 v101, 0, 1, vcc
	v_cndmask_b32_e32 v58, v26, v22, vcc
	v_cmp_gt_u32_e32 vcc, s70, v30
	v_mov_b32_e32 v98, 0
	v_mov_b32_e32 v112, 0
	v_pk_mov_b32 v[72:73], v[40:41], v[40:41] op_sel:[0,1]
	v_mov_b32_e32 v111, 0
	v_pk_mov_b32 v[68:69], v[40:41], v[40:41] op_sel:[0,1]
	;; [unrolled: 2-line block ×11, first 2 shown]
                                        ; implicit-def: $sgpr24_sgpr25
                                        ; implicit-def: $vgpr34_vgpr35
	s_and_saveexec_b64 s[18:19], vcc
	s_cbranch_execz .LBB734_112
; %bb.87:
	v_cmp_ne_u64_e32 vcc, 0, v[24:25]
	v_mov_b32_e32 v23, s65
	v_add_u32_e32 v22, 7, v79
	v_cndmask_b32_e32 v61, v29, v23, vcc
	v_mov_b32_e32 v23, s64
	v_pk_mov_b32 v[40:41], 0, 0
	s_mov_b64 s[22:23], 0
	v_cndmask_b32_e64 v102, 0, 1, vcc
	v_cndmask_b32_e32 v60, v28, v23, vcc
	v_cmp_gt_u32_e32 vcc, s70, v22
	v_mov_b32_e32 v98, 0
	v_mov_b32_e32 v112, 0
	v_pk_mov_b32 v[72:73], v[40:41], v[40:41] op_sel:[0,1]
	v_mov_b32_e32 v111, 0
	v_pk_mov_b32 v[68:69], v[40:41], v[40:41] op_sel:[0,1]
	;; [unrolled: 2-line block ×10, first 2 shown]
                                        ; implicit-def: $sgpr26_sgpr27
                                        ; implicit-def: $vgpr34_vgpr35
	s_and_saveexec_b64 s[20:21], vcc
	s_cbranch_execz .LBB734_111
; %bb.88:
	ds_read2_b64 v[22:25], v78 offset0:7 offset1:8
	v_cmp_ne_u64_e32 vcc, 0, v[18:19]
	v_mov_b32_e32 v18, s65
	v_add_u32_e32 v26, 8, v79
	v_pk_mov_b32 v[40:41], 0, 0
	s_waitcnt lgkmcnt(0)
	v_cndmask_b32_e32 v55, v23, v18, vcc
	v_mov_b32_e32 v18, s64
	s_mov_b64 s[24:25], 0
	v_cndmask_b32_e64 v103, 0, 1, vcc
	v_cndmask_b32_e32 v54, v22, v18, vcc
	v_cmp_gt_u32_e32 vcc, s70, v26
	v_mov_b32_e32 v98, 0
	v_mov_b32_e32 v112, 0
	v_pk_mov_b32 v[72:73], v[40:41], v[40:41] op_sel:[0,1]
	v_mov_b32_e32 v111, 0
	v_pk_mov_b32 v[68:69], v[40:41], v[40:41] op_sel:[0,1]
	;; [unrolled: 2-line block ×9, first 2 shown]
                                        ; implicit-def: $sgpr28_sgpr29
                                        ; implicit-def: $vgpr34_vgpr35
	s_and_saveexec_b64 s[22:23], vcc
	s_cbranch_execz .LBB734_110
; %bb.89:
	v_cmp_ne_u64_e32 vcc, 0, v[20:21]
	v_mov_b32_e32 v19, s65
	v_add_u32_e32 v18, 9, v79
	v_cndmask_b32_e32 v57, v25, v19, vcc
	v_mov_b32_e32 v19, s64
	v_pk_mov_b32 v[40:41], 0, 0
	s_mov_b64 s[26:27], 0
	v_cndmask_b32_e64 v104, 0, 1, vcc
	v_cndmask_b32_e32 v56, v24, v19, vcc
	v_cmp_gt_u32_e32 vcc, s70, v18
	v_mov_b32_e32 v98, 0
	v_mov_b32_e32 v112, 0
	v_pk_mov_b32 v[72:73], v[40:41], v[40:41] op_sel:[0,1]
	v_mov_b32_e32 v111, 0
	v_pk_mov_b32 v[68:69], v[40:41], v[40:41] op_sel:[0,1]
	;; [unrolled: 2-line block ×8, first 2 shown]
                                        ; implicit-def: $sgpr30_sgpr31
                                        ; implicit-def: $vgpr34_vgpr35
	s_and_saveexec_b64 s[24:25], vcc
	s_cbranch_execz .LBB734_109
; %bb.90:
	ds_read2_b64 v[18:21], v78 offset0:9 offset1:10
	v_cmp_ne_u64_e32 vcc, 0, v[14:15]
	v_mov_b32_e32 v14, s65
	v_add_u32_e32 v22, 10, v79
	v_pk_mov_b32 v[40:41], 0, 0
	s_waitcnt lgkmcnt(0)
	v_cndmask_b32_e32 v51, v19, v14, vcc
	v_mov_b32_e32 v14, s64
	s_mov_b64 s[28:29], 0
	v_cndmask_b32_e64 v105, 0, 1, vcc
	v_cndmask_b32_e32 v50, v18, v14, vcc
	v_cmp_gt_u32_e32 vcc, s70, v22
	v_mov_b32_e32 v98, 0
	v_mov_b32_e32 v112, 0
	v_pk_mov_b32 v[72:73], v[40:41], v[40:41] op_sel:[0,1]
	v_mov_b32_e32 v111, 0
	v_pk_mov_b32 v[68:69], v[40:41], v[40:41] op_sel:[0,1]
	;; [unrolled: 2-line block ×7, first 2 shown]
                                        ; implicit-def: $sgpr34_sgpr35
                                        ; implicit-def: $vgpr34_vgpr35
	s_and_saveexec_b64 s[26:27], vcc
	s_cbranch_execz .LBB734_108
; %bb.91:
	v_cmp_ne_u64_e32 vcc, 0, v[16:17]
	v_mov_b32_e32 v15, s65
	v_add_u32_e32 v14, 11, v79
	v_cndmask_b32_e32 v53, v21, v15, vcc
	v_mov_b32_e32 v15, s64
	v_pk_mov_b32 v[40:41], 0, 0
	s_mov_b64 s[30:31], 0
	v_cndmask_b32_e64 v106, 0, 1, vcc
	v_cndmask_b32_e32 v52, v20, v15, vcc
	v_cmp_gt_u32_e32 vcc, s70, v14
	v_mov_b32_e32 v98, 0
	v_mov_b32_e32 v112, 0
	v_pk_mov_b32 v[72:73], v[40:41], v[40:41] op_sel:[0,1]
	v_mov_b32_e32 v111, 0
	v_pk_mov_b32 v[68:69], v[40:41], v[40:41] op_sel:[0,1]
	;; [unrolled: 2-line block ×6, first 2 shown]
                                        ; implicit-def: $sgpr36_sgpr37
                                        ; implicit-def: $vgpr34_vgpr35
	s_and_saveexec_b64 s[28:29], vcc
	s_cbranch_execz .LBB734_107
; %bb.92:
	ds_read2_b64 v[14:17], v78 offset0:11 offset1:12
	v_cmp_ne_u64_e32 vcc, 0, v[10:11]
	v_mov_b32_e32 v10, s65
	v_add_u32_e32 v18, 12, v79
	v_pk_mov_b32 v[40:41], 0, 0
	s_waitcnt lgkmcnt(0)
	v_cndmask_b32_e32 v47, v15, v10, vcc
	v_mov_b32_e32 v10, s64
	s_mov_b64 s[34:35], 0
	v_cndmask_b32_e64 v107, 0, 1, vcc
	v_cndmask_b32_e32 v46, v14, v10, vcc
	v_cmp_gt_u32_e32 vcc, s70, v18
	v_mov_b32_e32 v98, 0
	v_mov_b32_e32 v112, 0
	v_pk_mov_b32 v[72:73], v[40:41], v[40:41] op_sel:[0,1]
	v_mov_b32_e32 v111, 0
	v_pk_mov_b32 v[68:69], v[40:41], v[40:41] op_sel:[0,1]
	;; [unrolled: 2-line block ×5, first 2 shown]
                                        ; implicit-def: $sgpr38_sgpr39
                                        ; implicit-def: $vgpr34_vgpr35
	s_and_saveexec_b64 s[30:31], vcc
	s_cbranch_execz .LBB734_106
; %bb.93:
	v_cmp_ne_u64_e32 vcc, 0, v[12:13]
	v_mov_b32_e32 v11, s65
	v_add_u32_e32 v10, 13, v79
	v_cndmask_b32_e32 v49, v17, v11, vcc
	v_mov_b32_e32 v11, s64
	v_pk_mov_b32 v[40:41], 0, 0
	s_mov_b64 s[36:37], 0
	v_cndmask_b32_e64 v108, 0, 1, vcc
	v_cndmask_b32_e32 v48, v16, v11, vcc
	v_cmp_gt_u32_e32 vcc, s70, v10
	v_mov_b32_e32 v98, 0
	v_mov_b32_e32 v112, 0
	v_pk_mov_b32 v[72:73], v[40:41], v[40:41] op_sel:[0,1]
	v_mov_b32_e32 v111, 0
	v_pk_mov_b32 v[68:69], v[40:41], v[40:41] op_sel:[0,1]
	;; [unrolled: 2-line block ×4, first 2 shown]
                                        ; implicit-def: $sgpr40_sgpr41
                                        ; implicit-def: $vgpr34_vgpr35
	s_and_saveexec_b64 s[34:35], vcc
	s_cbranch_execz .LBB734_105
; %bb.94:
	ds_read2_b64 v[10:13], v78 offset0:13 offset1:14
	v_cmp_ne_u64_e32 vcc, 0, v[6:7]
	v_mov_b32_e32 v6, s65
	v_add_u32_e32 v14, 14, v79
	v_pk_mov_b32 v[40:41], 0, 0
	s_waitcnt lgkmcnt(0)
	v_cndmask_b32_e32 v65, v11, v6, vcc
	v_mov_b32_e32 v6, s64
	s_mov_b64 s[38:39], 0
	v_cndmask_b32_e64 v109, 0, 1, vcc
	v_cndmask_b32_e32 v64, v10, v6, vcc
	v_cmp_gt_u32_e32 vcc, s70, v14
	v_mov_b32_e32 v98, 0
	v_mov_b32_e32 v112, 0
	v_pk_mov_b32 v[72:73], v[40:41], v[40:41] op_sel:[0,1]
	v_mov_b32_e32 v111, 0
	v_pk_mov_b32 v[68:69], v[40:41], v[40:41] op_sel:[0,1]
	;; [unrolled: 2-line block ×3, first 2 shown]
                                        ; implicit-def: $sgpr42_sgpr43
                                        ; implicit-def: $vgpr34_vgpr35
	s_and_saveexec_b64 s[36:37], vcc
	s_cbranch_execz .LBB734_104
; %bb.95:
	v_cmp_ne_u64_e32 vcc, 0, v[8:9]
	v_mov_b32_e32 v7, s65
	v_add_u32_e32 v6, 15, v79
	v_cndmask_b32_e32 v67, v13, v7, vcc
	v_mov_b32_e32 v7, s64
	v_pk_mov_b32 v[40:41], 0, 0
	s_mov_b64 s[40:41], 0
	v_cndmask_b32_e64 v110, 0, 1, vcc
	v_cndmask_b32_e32 v66, v12, v7, vcc
	v_cmp_gt_u32_e32 vcc, s70, v6
	v_mov_b32_e32 v98, 0
	v_mov_b32_e32 v112, 0
	v_pk_mov_b32 v[72:73], v[40:41], v[40:41] op_sel:[0,1]
	v_mov_b32_e32 v111, 0
	v_pk_mov_b32 v[68:69], v[40:41], v[40:41] op_sel:[0,1]
                                        ; implicit-def: $sgpr60_sgpr61
                                        ; implicit-def: $vgpr34_vgpr35
	s_and_saveexec_b64 s[38:39], vcc
	s_cbranch_execz .LBB734_103
; %bb.96:
	ds_read2_b64 v[6:9], v78 offset0:15 offset1:16
	v_cmp_ne_u64_e32 vcc, 0, v[2:3]
	v_mov_b32_e32 v2, s65
	v_add_u32_e32 v10, 16, v79
	v_pk_mov_b32 v[40:41], 0, 0
	s_waitcnt lgkmcnt(0)
	v_cndmask_b32_e32 v69, v7, v2, vcc
	v_mov_b32_e32 v2, s64
	s_mov_b64 s[42:43], 0
	v_cndmask_b32_e64 v111, 0, 1, vcc
	v_cndmask_b32_e32 v68, v6, v2, vcc
	v_cmp_gt_u32_e32 vcc, s70, v10
	v_mov_b32_e32 v98, 0
	v_mov_b32_e32 v112, 0
	v_pk_mov_b32 v[72:73], v[40:41], v[40:41] op_sel:[0,1]
                                        ; implicit-def: $sgpr68_sgpr69
                                        ; implicit-def: $vgpr34_vgpr35
	s_and_saveexec_b64 s[40:41], vcc
	s_cbranch_execz .LBB734_102
; %bb.97:
	v_cmp_ne_u64_e32 vcc, 0, v[4:5]
	v_mov_b32_e32 v3, s65
	v_add_u32_e32 v2, 17, v79
	v_cndmask_b32_e32 v73, v9, v3, vcc
	v_mov_b32_e32 v3, s64
	s_mov_b64 s[60:61], 0
	v_cndmask_b32_e64 v112, 0, 1, vcc
	v_cndmask_b32_e32 v72, v8, v3, vcc
	v_cmp_gt_u32_e32 vcc, s70, v2
	v_mov_b32_e32 v98, 0
	v_pk_mov_b32 v[40:41], 0, 0
                                        ; implicit-def: $sgpr68_sgpr69
                                        ; implicit-def: $vgpr34_vgpr35
	s_and_saveexec_b64 s[42:43], vcc
	s_cbranch_execz .LBB734_101
; %bb.98:
	ds_read2_b64 v[2:5], v78 offset0:17 offset1:18
	v_cmp_ne_u64_e32 vcc, 0, v[76:77]
	v_mov_b32_e32 v7, s65
	v_add_u32_e32 v6, 18, v79
	v_cndmask_b32_e64 v98, 0, 1, vcc
	s_waitcnt lgkmcnt(0)
	v_cndmask_b32_e32 v41, v3, v7, vcc
	v_mov_b32_e32 v3, s64
	v_cndmask_b32_e32 v40, v2, v3, vcc
	v_cmp_gt_u32_e32 vcc, s70, v6
                                        ; implicit-def: $sgpr68_sgpr69
                                        ; implicit-def: $vgpr34_vgpr35
	s_and_saveexec_b64 s[70:71], vcc
	s_xor_b64 s[70:71], exec, s[70:71]
; %bb.99:
	v_mov_b32_e32 v2, s65
	v_cmp_ne_u64_e32 vcc, 0, v[74:75]
	v_cndmask_b32_e32 v35, v5, v2, vcc
	v_mov_b32_e32 v2, s64
	s_mov_b64 s[60:61], exec
	v_cndmask_b32_e32 v34, v4, v2, vcc
	s_and_b64 s[68:69], vcc, exec
; %bb.100:
	s_or_b64 exec, exec, s[70:71]
	s_and_b64 s[68:69], s[68:69], exec
	s_and_b64 s[60:61], s[60:61], exec
.LBB734_101:
	s_or_b64 exec, exec, s[42:43]
	s_and_b64 s[68:69], s[68:69], exec
	s_and_b64 s[42:43], s[60:61], exec
.LBB734_102:
	s_or_b64 exec, exec, s[40:41]
	s_and_b64 s[60:61], s[68:69], exec
	s_and_b64 s[40:41], s[42:43], exec
.LBB734_103:
	s_or_b64 exec, exec, s[38:39]
	s_and_b64 s[42:43], s[60:61], exec
	s_and_b64 s[38:39], s[40:41], exec
.LBB734_104:
	s_or_b64 exec, exec, s[36:37]
	s_and_b64 s[40:41], s[42:43], exec
	s_and_b64 s[36:37], s[38:39], exec
.LBB734_105:
	s_or_b64 exec, exec, s[34:35]
	s_and_b64 s[38:39], s[40:41], exec
	s_and_b64 s[34:35], s[36:37], exec
.LBB734_106:
	s_or_b64 exec, exec, s[30:31]
	s_and_b64 s[36:37], s[38:39], exec
	s_and_b64 s[30:31], s[34:35], exec
.LBB734_107:
	s_or_b64 exec, exec, s[28:29]
	s_and_b64 s[34:35], s[36:37], exec
	s_and_b64 s[28:29], s[30:31], exec
.LBB734_108:
	s_or_b64 exec, exec, s[26:27]
	s_and_b64 s[30:31], s[34:35], exec
	s_and_b64 s[26:27], s[28:29], exec
.LBB734_109:
	s_or_b64 exec, exec, s[24:25]
	s_and_b64 s[28:29], s[30:31], exec
	s_and_b64 s[24:25], s[26:27], exec
.LBB734_110:
	s_or_b64 exec, exec, s[22:23]
	s_and_b64 s[26:27], s[28:29], exec
	s_and_b64 s[22:23], s[24:25], exec
.LBB734_111:
	s_or_b64 exec, exec, s[20:21]
	s_and_b64 s[24:25], s[26:27], exec
	s_and_b64 s[20:21], s[22:23], exec
.LBB734_112:
	s_or_b64 exec, exec, s[18:19]
	s_and_b64 s[22:23], s[24:25], exec
	s_and_b64 s[18:19], s[20:21], exec
.LBB734_113:
	s_or_b64 exec, exec, s[16:17]
	s_and_b64 s[20:21], s[22:23], exec
	s_and_b64 s[16:17], s[18:19], exec
.LBB734_114:
	s_or_b64 exec, exec, s[14:15]
	s_and_b64 s[18:19], s[20:21], exec
	s_and_b64 s[14:15], s[16:17], exec
.LBB734_115:
	s_or_b64 exec, exec, s[12:13]
	s_and_b64 s[16:17], s[18:19], exec
	s_and_b64 s[12:13], s[14:15], exec
.LBB734_116:
	s_or_b64 exec, exec, s[10:11]
	s_and_b64 s[14:15], s[16:17], exec
	s_and_b64 s[10:11], s[12:13], exec
.LBB734_117:
	s_or_b64 exec, exec, s[8:9]
	s_and_b64 s[8:9], s[14:15], exec
	s_and_b64 s[10:11], s[10:11], exec
.LBB734_118:
	s_or_b64 exec, exec, s[4:5]
	s_mov_b64 s[4:5], 0
	s_and_b64 vcc, exec, s[2:3]
	v_lshlrev_b32_e32 v113, 3, v0
	s_cbranch_vccz .LBB734_124
.LBB734_119:
	v_mov_b32_e32 v1, s57
	v_add_co_u32_e32 v2, vcc, s56, v113
	v_addc_co_u32_e32 v3, vcc, 0, v1, vcc
	v_add_co_u32_e32 v20, vcc, 0x1000, v2
	v_addc_co_u32_e32 v21, vcc, 0, v3, vcc
	flat_load_dwordx2 v[4:5], v[2:3]
	flat_load_dwordx2 v[6:7], v[2:3] offset:512
	flat_load_dwordx2 v[8:9], v[2:3] offset:1024
	;; [unrolled: 1-line block ×7, first 2 shown]
	v_add_co_u32_e32 v2, vcc, 0x2000, v2
	v_addc_co_u32_e32 v3, vcc, 0, v3, vcc
	flat_load_dwordx2 v[22:23], v[20:21]
	flat_load_dwordx2 v[24:25], v[20:21] offset:512
	flat_load_dwordx2 v[26:27], v[20:21] offset:1024
	;; [unrolled: 1-line block ×7, first 2 shown]
	s_nop 0
	flat_load_dwordx2 v[20:21], v[2:3]
	flat_load_dwordx2 v[38:39], v[2:3] offset:512
	flat_load_dwordx2 v[40:41], v[2:3] offset:1024
	v_mov_b32_e32 v1, s56
	v_mov_b32_e32 v3, s57
	v_add_co_u32_e32 v2, vcc, 0x2000, v1
	v_addc_co_u32_e32 v3, vcc, 0, v3, vcc
	s_movk_i32 s2, 0x90
	v_mad_u32_u24 v1, v0, s2, v113
	s_movk_i32 s2, 0xff70
	s_movk_i32 s5, 0x1000
	;; [unrolled: 1-line block ×3, first 2 shown]
	v_cmp_ne_u32_e32 vcc, 63, v0
	s_waitcnt vmcnt(0) lgkmcnt(0)
	ds_write2st64_b64 v113, v[4:5], v[6:7] offset1:1
	ds_write2st64_b64 v113, v[8:9], v[10:11] offset0:2 offset1:3
	ds_write2st64_b64 v113, v[12:13], v[14:15] offset0:4 offset1:5
	;; [unrolled: 1-line block ×8, first 2 shown]
	ds_write_b64 v113, v[40:41] offset:9216
	s_waitcnt lgkmcnt(0)
	; wave barrier
	s_waitcnt lgkmcnt(0)
	flat_load_dwordx2 v[74:75], v[2:3] offset:1536
	v_mad_i32_i24 v2, v0, s2, v1
	ds_read2_b64 v[68:71], v1 offset1:1
	ds_read2_b64 v[42:45], v1 offset0:2 offset1:3
	ds_read2_b64 v[38:41], v1 offset0:4 offset1:5
	;; [unrolled: 1-line block ×8, first 2 shown]
	ds_read_b64 v[72:73], v1 offset:144
	s_waitcnt lgkmcnt(0)
	ds_write_b64 v2, v[68:69] offset:10240
	s_waitcnt lgkmcnt(0)
	; wave barrier
	s_waitcnt lgkmcnt(0)
	s_and_saveexec_b64 s[2:3], vcc
	s_cbranch_execz .LBB734_121
; %bb.120:
	s_waitcnt vmcnt(0)
	ds_read_b64 v[74:75], v113 offset:10248
.LBB734_121:
	s_or_b64 exec, exec, s[2:3]
	v_mov_b32_e32 v3, s51
	v_add_co_u32_e32 v2, vcc, s7, v113
	v_addc_co_u32_e32 v3, vcc, 0, v3, vcc
	v_add_co_u32_e32 v52, vcc, s5, v2
	v_addc_co_u32_e32 v53, vcc, 0, v3, vcc
	s_waitcnt lgkmcnt(0)
	; wave barrier
	s_waitcnt lgkmcnt(0)
	flat_load_dwordx2 v[4:5], v[2:3]
	flat_load_dwordx2 v[14:15], v[2:3] offset:512
	flat_load_dwordx2 v[16:17], v[2:3] offset:1024
	;; [unrolled: 1-line block ×7, first 2 shown]
	v_add_co_u32_e32 v2, vcc, s4, v2
	v_addc_co_u32_e32 v3, vcc, 0, v3, vcc
	flat_load_dwordx2 v[54:55], v[52:53]
	flat_load_dwordx2 v[56:57], v[52:53] offset:512
	flat_load_dwordx2 v[58:59], v[52:53] offset:1024
	;; [unrolled: 1-line block ×7, first 2 shown]
	s_nop 0
	flat_load_dwordx2 v[52:53], v[2:3]
	flat_load_dwordx2 v[76:77], v[2:3] offset:512
	flat_load_dwordx2 v[78:79], v[2:3] offset:1024
	v_cmp_ne_u64_e32 vcc, 0, v[70:71]
	v_cmp_eq_u64_e64 s[2:3], 0, v[70:71]
	v_pk_mov_b32 v[70:71], s[64:65], s[64:65] op_sel:[0,1]
	s_waitcnt vmcnt(0) lgkmcnt(0)
	ds_write2st64_b64 v113, v[4:5], v[14:15] offset1:1
	ds_write2st64_b64 v113, v[16:17], v[30:31] offset0:2 offset1:3
	ds_write2st64_b64 v113, v[32:33], v[46:47] offset0:4 offset1:5
	ds_write2st64_b64 v113, v[48:49], v[50:51] offset0:6 offset1:7
	ds_write2st64_b64 v113, v[54:55], v[56:57] offset0:8 offset1:9
	ds_write2st64_b64 v113, v[58:59], v[60:61] offset0:10 offset1:11
	ds_write2st64_b64 v113, v[62:63], v[64:65] offset0:12 offset1:13
	ds_write2st64_b64 v113, v[66:67], v[68:69] offset0:14 offset1:15
	ds_write2st64_b64 v113, v[52:53], v[76:77] offset0:16 offset1:17
	ds_write_b64 v113, v[78:79] offset:9216
	s_waitcnt lgkmcnt(0)
	; wave barrier
	s_waitcnt lgkmcnt(0)
	ds_read2_b64 v[66:69], v1 offset0:1 offset1:2
	ds_read2_b64 v[62:65], v1 offset0:3 offset1:4
	;; [unrolled: 1-line block ×9, first 2 shown]
	s_and_saveexec_b64 s[4:5], s[2:3]
	s_cbranch_execz .LBB734_123
; %bb.122:
	ds_read_b64 v[70:71], v1
.LBB734_123:
	s_or_b64 exec, exec, s[4:5]
	v_cmp_ne_u64_e64 s[4:5], 0, v[38:39]
	v_cmp_ne_u64_e64 s[8:9], 0, v[40:41]
	;; [unrolled: 1-line block ×3, first 2 shown]
	v_mov_b32_e32 v6, s65
	v_mov_b32_e32 v7, s64
	v_cndmask_b32_e64 v1, 0, 1, vcc
	v_cmp_ne_u64_e32 vcc, 0, v[42:43]
	v_cmp_ne_u64_e64 s[2:3], 0, v[44:45]
	v_cndmask_b32_e64 v100, 0, 1, s[8:9]
	v_cmp_ne_u64_e64 s[10:11], 0, v[34:35]
	v_cmp_ne_u64_e64 s[12:13], 0, v[36:37]
	;; [unrolled: 1-line block ×12, first 2 shown]
	s_waitcnt lgkmcnt(7)
	v_cndmask_b32_e64 v45, v63, v6, s[4:5]
	v_cndmask_b32_e64 v44, v62, v7, s[4:5]
	;; [unrolled: 1-line block ×4, first 2 shown]
	v_cmp_ne_u64_e64 s[8:9], 0, v[74:75]
	v_cndmask_b32_e64 v96, 0, 1, vcc
	v_cndmask_b32_e64 v97, 0, 1, s[2:3]
	v_cndmask_b32_e64 v99, 0, 1, s[4:5]
	;; [unrolled: 1-line block ×15, first 2 shown]
	v_cndmask_b32_e32 v39, v67, v6, vcc
	v_cndmask_b32_e32 v38, v66, v7, vcc
	v_cndmask_b32_e64 v43, v69, v6, s[2:3]
	v_cndmask_b32_e64 v42, v68, v7, s[2:3]
	s_waitcnt lgkmcnt(6)
	v_cndmask_b32_e64 v59, v59, v6, s[10:11]
	v_cndmask_b32_e64 v58, v58, v7, s[10:11]
	v_cndmask_b32_e64 v61, v61, v6, s[12:13]
	v_cndmask_b32_e64 v60, v60, v7, s[12:13]
	s_waitcnt lgkmcnt(5)
	v_cndmask_b32_e64 v55, v55, v6, s[14:15]
	v_cndmask_b32_e64 v54, v54, v7, s[14:15]
	;; [unrolled: 5-line block ×7, first 2 shown]
	v_cndmask_b32_e64 v35, v5, v6, s[8:9]
	v_cndmask_b32_e64 v34, v4, v7, s[8:9]
	s_mov_b64 s[10:11], -1
                                        ; implicit-def: $sgpr72
                                        ; implicit-def: $sgpr4_sgpr5
.LBB734_124:
	v_pk_mov_b32 v[74:75], s[4:5], s[4:5] op_sel:[0,1]
	v_mov_b32_e32 v114, s72
	s_and_saveexec_b64 s[2:3], s[10:11]
; %bb.125:
	v_cndmask_b32_e64 v114, 0, 1, s[8:9]
	v_pk_mov_b32 v[74:75], v[34:35], v[34:35] op_sel:[0,1]
; %bb.126:
	s_or_b64 exec, exec, s[2:3]
	v_or_b32_e32 v2, v114, v98
	s_cmp_lg_u32 s6, 0
	v_or_b32_e32 v116, v2, v112
	v_mbcnt_lo_u32_b32 v115, -1, 0
	s_waitcnt lgkmcnt(0)
	; wave barrier
	s_waitcnt lgkmcnt(0)
	s_cbranch_scc0 .LBB734_189
; %bb.127:
	v_mov_b32_e32 v2, 0
	v_cmp_eq_u16_sdwa s[36:37], v96, v2 src0_sel:BYTE_0 src1_sel:DWORD
	v_cndmask_b32_e64 v4, 0, v70, s[36:37]
	v_cndmask_b32_e64 v3, 0, v71, s[36:37]
	v_add_co_u32_e32 v4, vcc, v4, v38
	v_cmp_eq_u16_sdwa s[34:35], v97, v2 src0_sel:BYTE_0 src1_sel:DWORD
	v_addc_co_u32_e32 v3, vcc, v3, v39, vcc
	v_cndmask_b32_e64 v4, 0, v4, s[34:35]
	v_cndmask_b32_e64 v3, 0, v3, s[34:35]
	v_add_co_u32_e32 v4, vcc, v4, v42
	v_cmp_eq_u16_sdwa s[30:31], v99, v2 src0_sel:BYTE_0 src1_sel:DWORD
	v_addc_co_u32_e32 v3, vcc, v3, v43, vcc
	;; [unrolled: 5-line block ×16, first 2 shown]
	v_cndmask_b32_e64 v4, 0, v4, s[2:3]
	v_cndmask_b32_e64 v3, 0, v3, s[2:3]
	v_add_co_u32_e32 v4, vcc, v4, v40
	v_addc_co_u32_e32 v3, vcc, v3, v41, vcc
	v_cmp_eq_u16_sdwa vcc, v114, v2 src0_sel:BYTE_0 src1_sel:DWORD
	v_cndmask_b32_e32 v2, 0, v4, vcc
	v_or_b32_e32 v4, v116, v111
	v_or_b32_e32 v4, v4, v110
	;; [unrolled: 1-line block ×15, first 2 shown]
	v_cndmask_b32_e32 v3, 0, v3, vcc
	v_add_co_u32_e32 v2, vcc, v2, v74
	v_or_b32_e32 v4, v4, v1
	v_mbcnt_hi_u32_b32 v5, -1, v115
	v_addc_co_u32_e32 v3, vcc, v3, v75, vcc
	v_and_b32_e32 v4, 1, v4
	v_and_b32_e32 v7, 15, v5
	v_cmp_eq_u32_e32 vcc, 1, v4
	v_mov_b32_dpp v9, v2 row_shr:1 row_mask:0xf bank_mask:0xf
	v_mov_b32_dpp v10, v3 row_shr:1 row_mask:0xf bank_mask:0xf
	;; [unrolled: 1-line block ×3, first 2 shown]
	v_cmp_ne_u32_e64 s[38:39], 0, v7
	v_mov_b32_e32 v6, v4
	s_and_saveexec_b64 s[42:43], s[38:39]
; %bb.128:
	v_cndmask_b32_e64 v9, v9, 0, vcc
	v_cndmask_b32_e64 v6, v10, 0, vcc
	v_add_co_u32_e32 v2, vcc, v9, v2
	v_addc_co_u32_e32 v3, vcc, v6, v3, vcc
	v_and_b32_e32 v6, 1, v8
	v_or_b32_e32 v4, v6, v4
	v_and_b32_e32 v6, 0xffff, v4
; %bb.129:
	s_or_b64 exec, exec, s[42:43]
	v_mov_b32_dpp v9, v2 row_shr:2 row_mask:0xf bank_mask:0xf
	v_mov_b32_dpp v10, v3 row_shr:2 row_mask:0xf bank_mask:0xf
	v_mov_b32_dpp v8, v6 row_shr:2 row_mask:0xf bank_mask:0xf
	v_cmp_lt_u32_e32 vcc, 1, v7
	s_and_saveexec_b64 s[42:43], vcc
	s_cbranch_execz .LBB734_131
; %bb.130:
	v_cmp_eq_u16_e32 vcc, 0, v4
	v_cndmask_b32_e32 v9, 0, v9, vcc
	v_cndmask_b32_e32 v6, 0, v10, vcc
	v_add_co_u32_e32 v2, vcc, v9, v2
	v_addc_co_u32_e32 v3, vcc, v6, v3, vcc
	v_and_b32_e32 v4, 1, v4
	v_cmp_eq_u32_e32 vcc, 1, v4
	v_and_b32_e32 v4, 1, v8
	v_cmp_eq_u32_e64 s[38:39], 1, v4
	s_or_b64 s[38:39], vcc, s[38:39]
	v_cndmask_b32_e64 v4, 0, 1, s[38:39]
	v_cndmask_b32_e64 v6, 0, 1, s[38:39]
.LBB734_131:
	s_or_b64 exec, exec, s[42:43]
	v_mov_b32_dpp v9, v2 row_shr:4 row_mask:0xf bank_mask:0xf
	v_mov_b32_dpp v10, v3 row_shr:4 row_mask:0xf bank_mask:0xf
	v_mov_b32_dpp v8, v6 row_shr:4 row_mask:0xf bank_mask:0xf
	v_cmp_lt_u32_e32 vcc, 3, v7
	s_and_saveexec_b64 s[42:43], vcc
	s_cbranch_execz .LBB734_133
; %bb.132:
	v_cmp_eq_u16_e32 vcc, 0, v4
	v_cndmask_b32_e32 v9, 0, v9, vcc
	v_cndmask_b32_e32 v6, 0, v10, vcc
	v_add_co_u32_e32 v2, vcc, v9, v2
	v_addc_co_u32_e32 v3, vcc, v6, v3, vcc
	v_and_b32_e32 v4, 1, v4
	v_cmp_eq_u32_e32 vcc, 1, v4
	v_and_b32_e32 v4, 1, v8
	v_cmp_eq_u32_e64 s[38:39], 1, v4
	s_or_b64 s[38:39], vcc, s[38:39]
	v_cndmask_b32_e64 v4, 0, 1, s[38:39]
	v_cndmask_b32_e64 v6, 0, 1, s[38:39]
.LBB734_133:
	;; [unrolled: 21-line block ×3, first 2 shown]
	s_or_b64 exec, exec, s[42:43]
	v_and_b32_e32 v10, 16, v5
	v_mov_b32_dpp v8, v2 row_bcast:15 row_mask:0xf bank_mask:0xf
	v_mov_b32_dpp v9, v3 row_bcast:15 row_mask:0xf bank_mask:0xf
	;; [unrolled: 1-line block ×3, first 2 shown]
	v_cmp_ne_u32_e32 vcc, 0, v10
	s_and_saveexec_b64 s[42:43], vcc
	s_cbranch_execz .LBB734_137
; %bb.136:
	v_cmp_eq_u16_e32 vcc, 0, v4
	v_cndmask_b32_e32 v8, 0, v8, vcc
	v_cndmask_b32_e32 v6, 0, v9, vcc
	v_add_co_u32_e32 v2, vcc, v8, v2
	v_addc_co_u32_e32 v3, vcc, v6, v3, vcc
	v_and_b32_e32 v4, 1, v4
	v_cmp_eq_u32_e32 vcc, 1, v4
	v_and_b32_e32 v4, 1, v7
	v_cmp_eq_u32_e64 s[38:39], 1, v4
	s_or_b64 s[38:39], vcc, s[38:39]
	v_cndmask_b32_e64 v4, 0, 1, s[38:39]
	v_cndmask_b32_e64 v6, 0, 1, s[38:39]
.LBB734_137:
	s_or_b64 exec, exec, s[42:43]
	v_mov_b32_dpp v7, v2 row_bcast:31 row_mask:0xf bank_mask:0xf
	v_mov_b32_dpp v8, v3 row_bcast:31 row_mask:0xf bank_mask:0xf
	;; [unrolled: 1-line block ×3, first 2 shown]
	v_cmp_lt_u32_e32 vcc, 31, v5
	s_and_saveexec_b64 s[42:43], vcc
; %bb.138:
	v_cmp_eq_u16_e32 vcc, 0, v4
	v_cndmask_b32_e32 v7, 0, v7, vcc
	v_cndmask_b32_e32 v8, 0, v8, vcc
	v_add_co_u32_e32 v2, vcc, v7, v2
	v_addc_co_u32_e32 v3, vcc, v8, v3, vcc
	v_and_b32_e32 v4, 1, v4
	v_cmp_eq_u32_e32 vcc, 1, v4
	v_and_b32_e32 v4, 1, v6
	v_cmp_eq_u32_e64 s[38:39], 1, v4
	s_or_b64 s[38:39], vcc, s[38:39]
	v_cndmask_b32_e64 v4, 0, 1, s[38:39]
; %bb.139:
	s_or_b64 exec, exec, s[42:43]
	v_cmp_eq_u32_e32 vcc, 63, v0
	s_and_saveexec_b64 s[38:39], vcc
	s_cbranch_execz .LBB734_141
; %bb.140:
	v_mov_b32_e32 v6, 0
	ds_write_b64 v6, v[2:3]
	ds_write_b8 v6, v4 offset:8
.LBB734_141:
	s_or_b64 exec, exec, s[38:39]
	v_add_u32_e32 v6, -1, v5
	v_and_b32_e32 v7, 64, v5
	v_cmp_lt_i32_e32 vcc, v6, v7
	v_cndmask_b32_e32 v6, v6, v5, vcc
	v_lshlrev_b32_e32 v6, 2, v6
	ds_bpermute_b32 v12, v6, v2
	v_and_b32_e32 v2, 0xffff, v4
	ds_bpermute_b32 v13, v6, v3
	ds_bpermute_b32 v14, v6, v2
	v_cmp_gt_u32_e32 vcc, 64, v0
	s_waitcnt lgkmcnt(0)
	; wave barrier
	s_waitcnt lgkmcnt(0)
	s_and_saveexec_b64 s[56:57], vcc
	s_cbranch_execz .LBB734_188
; %bb.142:
	v_mov_b32_e32 v7, 0
	ds_read_b64 v[2:3], v7
	ds_read_u8 v15, v7 offset:8
	s_mov_b32 s61, 0
	v_cmp_eq_u32_e64 s[38:39], 0, v5
	s_and_saveexec_b64 s[42:43], s[38:39]
	s_cbranch_execz .LBB734_144
; %bb.143:
	s_add_i32 s60, s6, 64
	s_lshl_b64 s[68:69], s[60:61], 4
	s_add_u32 s68, s44, s68
	s_addc_u32 s69, s45, s69
	v_mov_b32_e32 v4, s60
	v_mov_b32_e32 v6, 1
	s_waitcnt lgkmcnt(1)
	global_store_dwordx2 v7, v[2:3], s[68:69]
	s_waitcnt lgkmcnt(0)
	global_store_byte v7, v15, s[68:69] offset:8
	s_waitcnt vmcnt(0)
	buffer_wbinvl1_vol
	global_store_byte v4, v6, s[48:49]
.LBB734_144:
	s_or_b64 exec, exec, s[42:43]
	v_xad_u32 v4, v5, -1, s6
	v_add_u32_e32 v6, 64, v4
	global_load_ubyte v16, v6, s[48:49] glc
	s_waitcnt vmcnt(0)
	v_cmp_eq_u16_e32 vcc, 0, v16
	s_and_saveexec_b64 s[42:43], vcc
	s_cbranch_execz .LBB734_150
; %bb.145:
	v_mov_b32_e32 v9, s49
	v_add_co_u32_e32 v8, vcc, s48, v6
	v_addc_co_u32_e32 v9, vcc, 0, v9, vcc
	s_mov_b32 s7, 1
	s_mov_b64 s[60:61], 0
.LBB734_146:                            ; =>This Loop Header: Depth=1
                                        ;     Child Loop BB734_147 Depth 2
	s_max_u32 s51, s7, 1
.LBB734_147:                            ;   Parent Loop BB734_146 Depth=1
                                        ; =>  This Inner Loop Header: Depth=2
	s_add_i32 s51, s51, -1
	s_cmp_eq_u32 s51, 0
	s_sleep 1
	s_cbranch_scc0 .LBB734_147
; %bb.148:                              ;   in Loop: Header=BB734_146 Depth=1
	global_load_ubyte v16, v[8:9], off glc
	s_cmp_lt_u32 s7, 32
	s_cselect_b64 s[68:69], -1, 0
	s_cmp_lg_u64 s[68:69], 0
	s_addc_u32 s7, s7, 0
	s_waitcnt vmcnt(0)
	v_cmp_ne_u16_e32 vcc, 0, v16
	s_or_b64 s[60:61], vcc, s[60:61]
	s_andn2_b64 exec, exec, s[60:61]
	s_cbranch_execnz .LBB734_146
; %bb.149:
	s_or_b64 exec, exec, s[60:61]
.LBB734_150:
	s_or_b64 exec, exec, s[42:43]
	v_mov_b32_e32 v8, s47
	v_mov_b32_e32 v9, s45
	v_cmp_eq_u16_e32 vcc, 1, v16
	v_cndmask_b32_e32 v8, v8, v9, vcc
	v_mov_b32_e32 v9, s46
	v_mov_b32_e32 v10, s44
	v_cndmask_b32_e32 v9, v9, v10, vcc
	v_lshlrev_b64 v[6:7], 4, v[6:7]
	v_add_co_u32_e32 v6, vcc, v9, v6
	v_addc_co_u32_e32 v7, vcc, v8, v7, vcc
	s_waitcnt lgkmcnt(0)
	buffer_wbinvl1_vol
	global_load_dwordx2 v[10:11], v[6:7], off
	global_load_ubyte v31, v[6:7], off offset:8
	v_cmp_eq_u16_e32 vcc, 2, v16
	v_lshlrev_b64 v[6:7], v5, -1
	v_and_b32_e32 v17, 63, v5
	v_and_b32_e32 v8, vcc_hi, v7
	v_and_b32_e32 v22, vcc_lo, v6
	v_cmp_ne_u32_e32 vcc, 63, v17
	v_addc_co_u32_e32 v9, vcc, 0, v5, vcc
	v_lshlrev_b32_e32 v18, 2, v9
	v_or_b32_e32 v8, 0x80000000, v8
	v_ffbl_b32_e32 v8, v8
	v_add_u32_e32 v8, 32, v8
	v_ffbl_b32_e32 v22, v22
	v_min_u32_e32 v8, v22, v8
	v_cmp_lt_u32_e32 vcc, v17, v8
	s_waitcnt vmcnt(1)
	ds_bpermute_b32 v20, v18, v10
	s_waitcnt vmcnt(0)
	v_and_b32_e32 v9, 1, v31
	ds_bpermute_b32 v21, v18, v11
	ds_bpermute_b32 v19, v18, v9
	s_and_saveexec_b64 s[42:43], vcc
	s_cbranch_execz .LBB734_152
; %bb.151:
	v_mov_b32_e32 v9, 0
	v_cmp_eq_u16_sdwa vcc, v31, v9 src0_sel:BYTE_0 src1_sel:DWORD
	s_waitcnt lgkmcnt(2)
	v_cndmask_b32_e32 v20, 0, v20, vcc
	s_waitcnt lgkmcnt(1)
	v_cndmask_b32_e32 v9, 0, v21, vcc
	v_add_co_u32_e32 v10, vcc, v20, v10
	v_addc_co_u32_e32 v11, vcc, v9, v11, vcc
	s_waitcnt lgkmcnt(0)
	v_and_b32_e32 v9, 1, v19
	v_or_b32_e32 v31, v9, v31
	v_and_b32_e32 v9, 0xff, v31
.LBB734_152:
	s_or_b64 exec, exec, s[42:43]
	v_cmp_gt_u32_e32 vcc, 62, v17
	s_waitcnt lgkmcnt(0)
	v_cndmask_b32_e64 v19, 0, 1, vcc
	v_lshlrev_b32_e32 v19, 1, v19
	v_add_lshl_u32 v19, v19, v5, 2
	ds_bpermute_b32 v22, v19, v10
	ds_bpermute_b32 v23, v19, v11
	ds_bpermute_b32 v21, v19, v9
	v_add_u32_e32 v20, 2, v17
	v_cmp_le_u32_e32 vcc, v20, v8
	s_and_saveexec_b64 s[60:61], vcc
	s_cbranch_execz .LBB734_154
; %bb.153:
	v_mov_b32_e32 v9, 0
	v_cmp_eq_u16_sdwa vcc, v31, v9 src0_sel:BYTE_0 src1_sel:DWORD
	s_waitcnt lgkmcnt(2)
	v_cndmask_b32_e32 v22, 0, v22, vcc
	s_waitcnt lgkmcnt(1)
	v_cndmask_b32_e32 v9, 0, v23, vcc
	v_add_co_u32_e32 v10, vcc, v22, v10
	v_addc_co_u32_e32 v11, vcc, v9, v11, vcc
	v_and_b32_e32 v9, 1, v31
	v_cmp_eq_u32_e32 vcc, 1, v9
	s_waitcnt lgkmcnt(0)
	v_and_b32_e32 v9, 1, v21
	v_cmp_eq_u32_e64 s[42:43], 1, v9
	s_or_b64 s[42:43], vcc, s[42:43]
	v_cndmask_b32_e64 v31, 0, 1, s[42:43]
	v_cndmask_b32_e64 v9, 0, 1, s[42:43]
.LBB734_154:
	s_or_b64 exec, exec, s[60:61]
	v_cmp_gt_u32_e32 vcc, 60, v17
	s_waitcnt lgkmcnt(0)
	v_cndmask_b32_e64 v21, 0, 1, vcc
	v_lshlrev_b32_e32 v21, 2, v21
	v_add_lshl_u32 v21, v21, v5, 2
	ds_bpermute_b32 v24, v21, v10
	ds_bpermute_b32 v25, v21, v11
	ds_bpermute_b32 v23, v21, v9
	v_add_u32_e32 v22, 4, v17
	v_cmp_le_u32_e32 vcc, v22, v8
	s_and_saveexec_b64 s[60:61], vcc
	s_cbranch_execz .LBB734_156
; %bb.155:
	v_mov_b32_e32 v9, 0
	v_cmp_eq_u16_sdwa vcc, v31, v9 src0_sel:BYTE_0 src1_sel:DWORD
	s_waitcnt lgkmcnt(2)
	v_cndmask_b32_e32 v24, 0, v24, vcc
	s_waitcnt lgkmcnt(1)
	v_cndmask_b32_e32 v9, 0, v25, vcc
	v_add_co_u32_e32 v10, vcc, v24, v10
	v_addc_co_u32_e32 v11, vcc, v9, v11, vcc
	v_and_b32_e32 v9, 1, v31
	v_cmp_eq_u32_e32 vcc, 1, v9
	s_waitcnt lgkmcnt(0)
	v_and_b32_e32 v9, 1, v23
	v_cmp_eq_u32_e64 s[42:43], 1, v9
	s_or_b64 s[42:43], vcc, s[42:43]
	v_cndmask_b32_e64 v31, 0, 1, s[42:43]
	v_cndmask_b32_e64 v9, 0, 1, s[42:43]
.LBB734_156:
	;; [unrolled: 31-line block ×4, first 2 shown]
	s_or_b64 exec, exec, s[60:61]
	v_cmp_gt_u32_e32 vcc, 32, v17
	s_waitcnt lgkmcnt(0)
	v_cndmask_b32_e64 v27, 0, 1, vcc
	v_lshlrev_b32_e32 v27, 5, v27
	v_add_lshl_u32 v28, v27, v5, 2
	ds_bpermute_b32 v27, v28, v10
	ds_bpermute_b32 v30, v28, v11
	;; [unrolled: 1-line block ×3, first 2 shown]
	v_add_u32_e32 v29, 32, v17
	v_cmp_le_u32_e32 vcc, v29, v8
	s_and_saveexec_b64 s[60:61], vcc
	s_cbranch_execz .LBB734_162
; %bb.161:
	v_mov_b32_e32 v8, 0
	v_cmp_eq_u16_sdwa vcc, v31, v8 src0_sel:BYTE_0 src1_sel:DWORD
	s_waitcnt lgkmcnt(2)
	v_cndmask_b32_e32 v9, 0, v27, vcc
	s_waitcnt lgkmcnt(1)
	v_cndmask_b32_e32 v8, 0, v30, vcc
	v_add_co_u32_e32 v10, vcc, v9, v10
	v_addc_co_u32_e32 v11, vcc, v8, v11, vcc
	v_and_b32_e32 v8, 1, v31
	s_waitcnt lgkmcnt(0)
	v_and_b32_e32 v5, 1, v5
	v_cmp_eq_u32_e32 vcc, 1, v8
	v_cmp_eq_u32_e64 s[42:43], 1, v5
	s_or_b64 s[42:43], vcc, s[42:43]
	v_cndmask_b32_e64 v31, 0, 1, s[42:43]
.LBB734_162:
	s_or_b64 exec, exec, s[60:61]
	s_waitcnt lgkmcnt(0)
	v_mov_b32_e32 v5, 0
	v_mov_b32_e32 v30, 2
	s_branch .LBB734_164
.LBB734_163:                            ;   in Loop: Header=BB734_164 Depth=1
	s_or_b64 exec, exec, s[68:69]
	v_cmp_eq_u16_sdwa vcc, v27, v5 src0_sel:BYTE_0 src1_sel:DWORD
	v_cndmask_b32_e32 v10, 0, v10, vcc
	v_cndmask_b32_e32 v11, 0, v11, vcc
	v_add_co_u32_e32 v10, vcc, v10, v8
	v_addc_co_u32_e32 v11, vcc, v11, v9, vcc
	v_and_b32_e32 v31, 1, v27
	v_cmp_eq_u32_e32 vcc, 1, v31
	s_or_b64 s[42:43], vcc, s[60:61]
	v_subrev_u32_e32 v4, 64, v4
	v_cndmask_b32_e64 v31, 0, 1, s[42:43]
.LBB734_164:                            ; =>This Loop Header: Depth=1
                                        ;     Child Loop BB734_167 Depth 2
                                        ;       Child Loop BB734_168 Depth 3
	v_cmp_ne_u16_sdwa s[42:43], v16, v30 src0_sel:BYTE_0 src1_sel:DWORD
	v_cndmask_b32_e64 v8, 0, 1, s[42:43]
	;;#ASMSTART
	;;#ASMEND
	v_cmp_ne_u32_e32 vcc, 0, v8
	v_mov_b32_e32 v27, v31
	s_cmp_lg_u64 vcc, exec
	v_pk_mov_b32 v[8:9], v[10:11], v[10:11] op_sel:[0,1]
	s_cbranch_scc1 .LBB734_183
; %bb.165:                              ;   in Loop: Header=BB734_164 Depth=1
	global_load_ubyte v16, v4, s[48:49] glc
	s_waitcnt vmcnt(0)
	v_cmp_eq_u16_e32 vcc, 0, v16
	s_and_saveexec_b64 s[42:43], vcc
	s_cbranch_execz .LBB734_171
; %bb.166:                              ;   in Loop: Header=BB734_164 Depth=1
	v_mov_b32_e32 v11, s49
	v_add_co_u32_e32 v10, vcc, s48, v4
	v_addc_co_u32_e32 v11, vcc, 0, v11, vcc
	s_mov_b32 s7, 1
	s_mov_b64 s[60:61], 0
.LBB734_167:                            ;   Parent Loop BB734_164 Depth=1
                                        ; =>  This Loop Header: Depth=2
                                        ;       Child Loop BB734_168 Depth 3
	s_max_u32 s51, s7, 1
.LBB734_168:                            ;   Parent Loop BB734_164 Depth=1
                                        ;     Parent Loop BB734_167 Depth=2
                                        ; =>    This Inner Loop Header: Depth=3
	s_add_i32 s51, s51, -1
	s_cmp_eq_u32 s51, 0
	s_sleep 1
	s_cbranch_scc0 .LBB734_168
; %bb.169:                              ;   in Loop: Header=BB734_167 Depth=2
	global_load_ubyte v16, v[10:11], off glc
	s_cmp_lt_u32 s7, 32
	s_cselect_b64 s[68:69], -1, 0
	s_cmp_lg_u64 s[68:69], 0
	s_addc_u32 s7, s7, 0
	s_waitcnt vmcnt(0)
	v_cmp_ne_u16_e32 vcc, 0, v16
	s_or_b64 s[60:61], vcc, s[60:61]
	s_andn2_b64 exec, exec, s[60:61]
	s_cbranch_execnz .LBB734_167
; %bb.170:                              ;   in Loop: Header=BB734_164 Depth=1
	s_or_b64 exec, exec, s[60:61]
.LBB734_171:                            ;   in Loop: Header=BB734_164 Depth=1
	s_or_b64 exec, exec, s[42:43]
	v_mov_b32_e32 v10, s47
	v_mov_b32_e32 v11, s45
	v_cmp_eq_u16_e32 vcc, 1, v16
	v_cndmask_b32_e32 v31, v10, v11, vcc
	v_mov_b32_e32 v10, s46
	v_mov_b32_e32 v11, s44
	v_cndmask_b32_e32 v32, v10, v11, vcc
	v_lshlrev_b64 v[10:11], 4, v[4:5]
	v_add_co_u32_e32 v32, vcc, v32, v10
	s_waitcnt lgkmcnt(0)
	v_addc_co_u32_e32 v33, vcc, v31, v11, vcc
	buffer_wbinvl1_vol
	global_load_dwordx2 v[10:11], v[32:33], off
	global_load_ubyte v31, v[32:33], off offset:8
	v_cmp_eq_u16_e32 vcc, 2, v16
	v_and_b32_e32 v32, vcc_hi, v7
	v_or_b32_e32 v32, 0x80000000, v32
	v_and_b32_e32 v37, vcc_lo, v6
	v_ffbl_b32_e32 v32, v32
	v_add_u32_e32 v32, 32, v32
	v_ffbl_b32_e32 v37, v37
	v_min_u32_e32 v32, v37, v32
	v_cmp_lt_u32_e32 vcc, v17, v32
	s_waitcnt vmcnt(1)
	ds_bpermute_b32 v35, v18, v10
	s_waitcnt vmcnt(0)
	v_and_b32_e32 v33, 1, v31
	ds_bpermute_b32 v36, v18, v11
	ds_bpermute_b32 v34, v18, v33
	s_and_saveexec_b64 s[42:43], vcc
	s_cbranch_execz .LBB734_173
; %bb.172:                              ;   in Loop: Header=BB734_164 Depth=1
	v_cmp_eq_u16_sdwa vcc, v31, v5 src0_sel:BYTE_0 src1_sel:DWORD
	s_waitcnt lgkmcnt(2)
	v_cndmask_b32_e32 v35, 0, v35, vcc
	s_waitcnt lgkmcnt(1)
	v_cndmask_b32_e32 v33, 0, v36, vcc
	v_add_co_u32_e32 v10, vcc, v35, v10
	v_addc_co_u32_e32 v11, vcc, v33, v11, vcc
	s_waitcnt lgkmcnt(0)
	v_and_b32_e32 v33, 1, v34
	v_or_b32_e32 v31, v33, v31
	v_and_b32_e32 v33, 0xff, v31
.LBB734_173:                            ;   in Loop: Header=BB734_164 Depth=1
	s_or_b64 exec, exec, s[42:43]
	s_waitcnt lgkmcnt(2)
	ds_bpermute_b32 v35, v19, v10
	s_waitcnt lgkmcnt(2)
	ds_bpermute_b32 v36, v19, v11
	;; [unrolled: 2-line block ×3, first 2 shown]
	v_and_b32_e32 v37, 1, v31
	v_cmp_le_u32_e32 vcc, v20, v32
	v_cmp_eq_u32_e64 s[60:61], 1, v37
	s_and_saveexec_b64 s[42:43], vcc
	s_cbranch_execz .LBB734_175
; %bb.174:                              ;   in Loop: Header=BB734_164 Depth=1
	v_cmp_eq_u16_sdwa vcc, v31, v5 src0_sel:BYTE_0 src1_sel:DWORD
	s_waitcnt lgkmcnt(2)
	v_cndmask_b32_e32 v33, 0, v35, vcc
	s_waitcnt lgkmcnt(1)
	v_cndmask_b32_e32 v31, 0, v36, vcc
	v_add_co_u32_e32 v10, vcc, v33, v10
	v_addc_co_u32_e32 v11, vcc, v31, v11, vcc
	s_waitcnt lgkmcnt(0)
	v_and_b32_e32 v31, 1, v34
	v_cmp_eq_u32_e32 vcc, 1, v31
	s_or_b64 s[68:69], s[60:61], vcc
	v_cndmask_b32_e64 v31, 0, 1, s[68:69]
	v_cndmask_b32_e64 v33, 0, 1, s[68:69]
	s_andn2_b64 s[60:61], s[60:61], exec
	s_and_b64 s[68:69], s[68:69], exec
	s_or_b64 s[60:61], s[60:61], s[68:69]
.LBB734_175:                            ;   in Loop: Header=BB734_164 Depth=1
	s_or_b64 exec, exec, s[42:43]
	s_waitcnt lgkmcnt(2)
	ds_bpermute_b32 v35, v21, v10
	s_waitcnt lgkmcnt(2)
	ds_bpermute_b32 v36, v21, v11
	s_waitcnt lgkmcnt(2)
	ds_bpermute_b32 v34, v21, v33
	v_cmp_le_u32_e32 vcc, v22, v32
	s_and_saveexec_b64 s[68:69], vcc
	s_cbranch_execz .LBB734_177
; %bb.176:                              ;   in Loop: Header=BB734_164 Depth=1
	v_cmp_eq_u16_sdwa vcc, v31, v5 src0_sel:BYTE_0 src1_sel:DWORD
	s_waitcnt lgkmcnt(2)
	v_cndmask_b32_e32 v35, 0, v35, vcc
	s_waitcnt lgkmcnt(1)
	v_cndmask_b32_e32 v33, 0, v36, vcc
	v_add_co_u32_e32 v10, vcc, v35, v10
	v_addc_co_u32_e32 v11, vcc, v33, v11, vcc
	v_and_b32_e32 v31, 1, v31
	v_cmp_eq_u32_e32 vcc, 1, v31
	s_waitcnt lgkmcnt(0)
	v_and_b32_e32 v31, 1, v34
	v_cmp_eq_u32_e64 s[42:43], 1, v31
	s_or_b64 s[42:43], vcc, s[42:43]
	v_cndmask_b32_e64 v31, 0, 1, s[42:43]
	v_cndmask_b32_e64 v33, 0, 1, s[42:43]
	s_andn2_b64 s[60:61], s[60:61], exec
	s_and_b64 s[42:43], s[42:43], exec
	s_or_b64 s[60:61], s[60:61], s[42:43]
.LBB734_177:                            ;   in Loop: Header=BB734_164 Depth=1
	s_or_b64 exec, exec, s[68:69]
	s_waitcnt lgkmcnt(2)
	ds_bpermute_b32 v35, v23, v10
	s_waitcnt lgkmcnt(2)
	ds_bpermute_b32 v36, v23, v11
	s_waitcnt lgkmcnt(2)
	ds_bpermute_b32 v34, v23, v33
	v_cmp_le_u32_e32 vcc, v24, v32
	s_and_saveexec_b64 s[68:69], vcc
	s_cbranch_execz .LBB734_179
; %bb.178:                              ;   in Loop: Header=BB734_164 Depth=1
	v_cmp_eq_u16_sdwa vcc, v31, v5 src0_sel:BYTE_0 src1_sel:DWORD
	s_waitcnt lgkmcnt(2)
	v_cndmask_b32_e32 v35, 0, v35, vcc
	s_waitcnt lgkmcnt(1)
	v_cndmask_b32_e32 v33, 0, v36, vcc
	v_add_co_u32_e32 v10, vcc, v35, v10
	v_addc_co_u32_e32 v11, vcc, v33, v11, vcc
	v_and_b32_e32 v31, 1, v31
	v_cmp_eq_u32_e32 vcc, 1, v31
	s_waitcnt lgkmcnt(0)
	v_and_b32_e32 v31, 1, v34
	v_cmp_eq_u32_e64 s[42:43], 1, v31
	s_or_b64 s[42:43], vcc, s[42:43]
	v_cndmask_b32_e64 v31, 0, 1, s[42:43]
	v_cndmask_b32_e64 v33, 0, 1, s[42:43]
	s_andn2_b64 s[60:61], s[60:61], exec
	s_and_b64 s[42:43], s[42:43], exec
	s_or_b64 s[60:61], s[60:61], s[42:43]
.LBB734_179:                            ;   in Loop: Header=BB734_164 Depth=1
	;; [unrolled: 30-line block ×3, first 2 shown]
	s_or_b64 exec, exec, s[68:69]
	s_waitcnt lgkmcnt(0)
	ds_bpermute_b32 v34, v28, v10
	ds_bpermute_b32 v35, v28, v11
	ds_bpermute_b32 v33, v28, v33
	v_cmp_le_u32_e32 vcc, v29, v32
	s_and_saveexec_b64 s[68:69], vcc
	s_cbranch_execz .LBB734_163
; %bb.182:                              ;   in Loop: Header=BB734_164 Depth=1
	v_cmp_eq_u16_sdwa vcc, v31, v5 src0_sel:BYTE_0 src1_sel:DWORD
	s_waitcnt lgkmcnt(2)
	v_cndmask_b32_e32 v34, 0, v34, vcc
	s_waitcnt lgkmcnt(1)
	v_cndmask_b32_e32 v32, 0, v35, vcc
	v_add_co_u32_e32 v10, vcc, v34, v10
	v_addc_co_u32_e32 v11, vcc, v32, v11, vcc
	v_and_b32_e32 v31, 1, v31
	v_cmp_eq_u32_e32 vcc, 1, v31
	s_waitcnt lgkmcnt(0)
	v_and_b32_e32 v31, 1, v33
	v_cmp_eq_u32_e64 s[42:43], 1, v31
	s_or_b64 s[42:43], vcc, s[42:43]
	s_andn2_b64 s[60:61], s[60:61], exec
	s_and_b64 s[42:43], s[42:43], exec
	s_or_b64 s[60:61], s[60:61], s[42:43]
	s_branch .LBB734_163
.LBB734_183:                            ;   in Loop: Header=BB734_164 Depth=1
                                        ; implicit-def: $vgpr31
                                        ; implicit-def: $vgpr10_vgpr11
                                        ; implicit-def: $vgpr16
	s_cbranch_execz .LBB734_164
; %bb.184:
	s_and_saveexec_b64 s[42:43], s[38:39]
	s_cbranch_execz .LBB734_186
; %bb.185:
	v_mov_b32_e32 v4, 0
	s_mov_b32 s7, 0
	v_cmp_eq_u16_sdwa vcc, v15, v4 src0_sel:BYTE_0 src1_sel:DWORD
	s_add_i32 s6, s6, 64
	v_cndmask_b32_e32 v6, 0, v8, vcc
	s_lshl_b64 s[38:39], s[6:7], 4
	v_cndmask_b32_e32 v5, 0, v9, vcc
	v_add_co_u32_e32 v2, vcc, v6, v2
	s_add_u32 s38, s46, s38
	v_addc_co_u32_e32 v3, vcc, v5, v3, vcc
	v_or_b32_e32 v5, v15, v27
	s_addc_u32 s39, s47, s39
	v_and_b32_e32 v5, 1, v5
	global_store_dwordx2 v4, v[2:3], s[38:39]
	global_store_byte v4, v5, s[38:39] offset:8
	v_mov_b32_e32 v2, s6
	v_mov_b32_e32 v3, 2
	s_waitcnt vmcnt(0) lgkmcnt(0)
	buffer_wbinvl1_vol
	global_store_byte v2, v3, s[48:49]
.LBB734_186:
	s_or_b64 exec, exec, s[42:43]
	v_cmp_eq_u32_e32 vcc, 0, v0
	s_and_b64 exec, exec, vcc
	s_cbranch_execz .LBB734_188
; %bb.187:
	v_mov_b32_e32 v2, 0
	ds_write_b64 v2, v[8:9]
	ds_write_b8 v2, v27 offset:8
.LBB734_188:
	s_or_b64 exec, exec, s[56:57]
	v_mov_b32_e32 v4, 0
	s_waitcnt lgkmcnt(0)
	; wave barrier
	s_waitcnt lgkmcnt(0)
	ds_read_b64 v[2:3], v4
	v_cmp_eq_u32_sdwa vcc, v14, v4 src0_sel:BYTE_0 src1_sel:DWORD
	s_waitcnt lgkmcnt(0)
	v_cndmask_b32_e32 v6, 0, v2, vcc
	v_cndmask_b32_e32 v5, 0, v3, vcc
	v_add_co_u32_e32 v6, vcc, v12, v6
	v_addc_co_u32_e32 v5, vcc, v13, v5, vcc
	v_cmp_eq_u32_e32 vcc, 0, v0
	v_cndmask_b32_e32 v77, v5, v3, vcc
	v_cndmask_b32_e32 v76, v6, v2, vcc
	v_cmp_eq_u16_sdwa vcc, v1, v4 src0_sel:BYTE_0 src1_sel:DWORD
	v_cndmask_b32_e32 v3, 0, v76, vcc
	v_cndmask_b32_e32 v2, 0, v77, vcc
	v_add_co_u32_e32 v4, vcc, v3, v70
	v_addc_co_u32_e32 v5, vcc, v2, v71, vcc
	v_cndmask_b32_e64 v3, 0, v4, s[36:37]
	v_cndmask_b32_e64 v2, 0, v5, s[36:37]
	v_add_co_u32_e32 v6, vcc, v3, v38
	v_addc_co_u32_e32 v7, vcc, v2, v39, vcc
	v_cndmask_b32_e64 v3, 0, v6, s[34:35]
	v_cndmask_b32_e64 v2, 0, v7, s[34:35]
	;; [unrolled: 4-line block ×17, first 2 shown]
	s_branch .LBB734_209
.LBB734_189:
                                        ; implicit-def: $vgpr76_vgpr77
                                        ; implicit-def: $vgpr94_vgpr95
                                        ; implicit-def: $vgpr92_vgpr93
                                        ; implicit-def: $vgpr90_vgpr91
                                        ; implicit-def: $vgpr88_vgpr89
                                        ; implicit-def: $vgpr86_vgpr87
                                        ; implicit-def: $vgpr84_vgpr85
                                        ; implicit-def: $vgpr82_vgpr83
                                        ; implicit-def: $vgpr80_vgpr81
                                        ; implicit-def: $vgpr78_vgpr79
                                        ; implicit-def: $vgpr34_vgpr35_vgpr36_vgpr37
                                        ; implicit-def: $vgpr30_vgpr31_vgpr32_vgpr33
                                        ; implicit-def: $vgpr26_vgpr27_vgpr28_vgpr29
                                        ; implicit-def: $vgpr22_vgpr23_vgpr24_vgpr25
                                        ; implicit-def: $vgpr18_vgpr19_vgpr20_vgpr21
                                        ; implicit-def: $vgpr14_vgpr15_vgpr16_vgpr17
                                        ; implicit-def: $vgpr10_vgpr11_vgpr12_vgpr13
                                        ; implicit-def: $vgpr6_vgpr7_vgpr8_vgpr9
                                        ; implicit-def: $vgpr2_vgpr3_vgpr4_vgpr5
	s_cbranch_execz .LBB734_209
; %bb.190:
	s_cmp_lg_u64 s[66:67], 0
	s_cselect_b32 s3, s63, 0
	s_cselect_b32 s2, s62, 0
	s_cmp_eq_u64 s[2:3], 0
	v_pk_mov_b32 v[2:3], s[64:65], s[64:65] op_sel:[0,1]
	s_cbranch_scc1 .LBB734_192
; %bb.191:
	v_mov_b32_e32 v2, 0
	global_load_dwordx2 v[2:3], v2, s[2:3]
.LBB734_192:
	v_mov_b32_e32 v4, 0
	v_cmp_eq_u16_sdwa s[34:35], v96, v4 src0_sel:BYTE_0 src1_sel:DWORD
	v_cndmask_b32_e64 v6, 0, v70, s[34:35]
	v_cndmask_b32_e64 v5, 0, v71, s[34:35]
	v_add_co_u32_e32 v6, vcc, v6, v38
	v_cmp_eq_u16_sdwa s[30:31], v97, v4 src0_sel:BYTE_0 src1_sel:DWORD
	v_addc_co_u32_e32 v5, vcc, v5, v39, vcc
	v_cndmask_b32_e64 v6, 0, v6, s[30:31]
	v_cndmask_b32_e64 v5, 0, v5, s[30:31]
	v_add_co_u32_e32 v6, vcc, v6, v42
	v_cmp_eq_u16_sdwa s[28:29], v99, v4 src0_sel:BYTE_0 src1_sel:DWORD
	v_addc_co_u32_e32 v5, vcc, v5, v43, vcc
	;; [unrolled: 5-line block ×15, first 2 shown]
	v_cndmask_b32_e64 v6, 0, v6, s[2:3]
	v_cndmask_b32_e64 v5, 0, v5, s[2:3]
	v_add_co_u32_e32 v6, vcc, v6, v72
	v_addc_co_u32_e32 v5, vcc, v5, v73, vcc
	v_cmp_eq_u16_sdwa vcc, v98, v4 src0_sel:BYTE_0 src1_sel:DWORD
	v_cndmask_b32_e32 v6, 0, v6, vcc
	v_cndmask_b32_e32 v5, 0, v5, vcc
	v_add_co_u32_e64 v6, s[36:37], v6, v40
	v_addc_co_u32_e64 v5, s[36:37], v5, v41, s[36:37]
	v_cmp_eq_u16_sdwa s[36:37], v114, v4 src0_sel:BYTE_0 src1_sel:DWORD
	v_cndmask_b32_e64 v4, 0, v6, s[36:37]
	v_or_b32_e32 v6, v116, v111
	v_or_b32_e32 v6, v6, v110
	;; [unrolled: 1-line block ×16, first 2 shown]
	v_cndmask_b32_e64 v5, 0, v5, s[36:37]
	v_add_co_u32_e64 v4, s[36:37], v4, v74
	v_and_b32_e32 v7, 1, v6
	v_mbcnt_hi_u32_b32 v6, -1, v115
	v_addc_co_u32_e64 v5, s[36:37], v5, v75, s[36:37]
	v_and_b32_e32 v9, 15, v6
	v_cmp_eq_u32_e64 s[36:37], 1, v7
	v_mov_b32_dpp v11, v4 row_shr:1 row_mask:0xf bank_mask:0xf
	v_mov_b32_dpp v12, v5 row_shr:1 row_mask:0xf bank_mask:0xf
	;; [unrolled: 1-line block ×3, first 2 shown]
	v_cmp_ne_u32_e64 s[38:39], 0, v9
	v_mov_b32_e32 v8, v7
	s_and_saveexec_b64 s[40:41], s[38:39]
; %bb.193:
	v_cndmask_b32_e64 v11, v11, 0, s[36:37]
	v_cndmask_b32_e64 v8, v12, 0, s[36:37]
	v_add_co_u32_e64 v4, s[36:37], v11, v4
	v_addc_co_u32_e64 v5, s[36:37], v8, v5, s[36:37]
	v_and_b32_e32 v8, 1, v10
	v_or_b32_e32 v7, v8, v7
	v_and_b32_e32 v8, 0xffff, v7
; %bb.194:
	s_or_b64 exec, exec, s[40:41]
	v_mov_b32_dpp v11, v4 row_shr:2 row_mask:0xf bank_mask:0xf
	v_mov_b32_dpp v12, v5 row_shr:2 row_mask:0xf bank_mask:0xf
	v_mov_b32_dpp v10, v8 row_shr:2 row_mask:0xf bank_mask:0xf
	v_cmp_lt_u32_e64 s[36:37], 1, v9
	s_and_saveexec_b64 s[40:41], s[36:37]
	s_cbranch_execz .LBB734_196
; %bb.195:
	v_cmp_eq_u16_e64 s[36:37], 0, v7
	v_cndmask_b32_e64 v11, 0, v11, s[36:37]
	v_cndmask_b32_e64 v8, 0, v12, s[36:37]
	v_add_co_u32_e64 v4, s[36:37], v11, v4
	v_addc_co_u32_e64 v5, s[36:37], v8, v5, s[36:37]
	v_and_b32_e32 v7, 1, v7
	v_cmp_eq_u32_e64 s[36:37], 1, v7
	v_and_b32_e32 v7, 1, v10
	v_cmp_eq_u32_e64 s[38:39], 1, v7
	s_or_b64 s[36:37], s[36:37], s[38:39]
	v_cndmask_b32_e64 v7, 0, 1, s[36:37]
	v_cndmask_b32_e64 v8, 0, 1, s[36:37]
.LBB734_196:
	s_or_b64 exec, exec, s[40:41]
	v_mov_b32_dpp v11, v4 row_shr:4 row_mask:0xf bank_mask:0xf
	v_mov_b32_dpp v12, v5 row_shr:4 row_mask:0xf bank_mask:0xf
	v_mov_b32_dpp v10, v8 row_shr:4 row_mask:0xf bank_mask:0xf
	v_cmp_lt_u32_e64 s[36:37], 3, v9
	s_and_saveexec_b64 s[40:41], s[36:37]
	s_cbranch_execz .LBB734_198
; %bb.197:
	v_cmp_eq_u16_e64 s[36:37], 0, v7
	v_cndmask_b32_e64 v11, 0, v11, s[36:37]
	v_cndmask_b32_e64 v8, 0, v12, s[36:37]
	v_add_co_u32_e64 v4, s[36:37], v11, v4
	v_addc_co_u32_e64 v5, s[36:37], v8, v5, s[36:37]
	v_and_b32_e32 v7, 1, v7
	v_cmp_eq_u32_e64 s[36:37], 1, v7
	v_and_b32_e32 v7, 1, v10
	v_cmp_eq_u32_e64 s[38:39], 1, v7
	s_or_b64 s[36:37], s[36:37], s[38:39]
	v_cndmask_b32_e64 v7, 0, 1, s[36:37]
	v_cndmask_b32_e64 v8, 0, 1, s[36:37]
.LBB734_198:
	;; [unrolled: 21-line block ×3, first 2 shown]
	s_or_b64 exec, exec, s[40:41]
	v_and_b32_e32 v12, 16, v6
	v_mov_b32_dpp v10, v4 row_bcast:15 row_mask:0xf bank_mask:0xf
	v_mov_b32_dpp v11, v5 row_bcast:15 row_mask:0xf bank_mask:0xf
	;; [unrolled: 1-line block ×3, first 2 shown]
	v_cmp_ne_u32_e64 s[36:37], 0, v12
	s_and_saveexec_b64 s[40:41], s[36:37]
	s_cbranch_execz .LBB734_202
; %bb.201:
	v_cmp_eq_u16_e64 s[36:37], 0, v7
	v_cndmask_b32_e64 v10, 0, v10, s[36:37]
	v_cndmask_b32_e64 v8, 0, v11, s[36:37]
	v_add_co_u32_e64 v4, s[36:37], v10, v4
	v_addc_co_u32_e64 v5, s[36:37], v8, v5, s[36:37]
	v_and_b32_e32 v7, 1, v7
	v_cmp_eq_u32_e64 s[36:37], 1, v7
	v_and_b32_e32 v7, 1, v9
	v_cmp_eq_u32_e64 s[38:39], 1, v7
	s_or_b64 s[36:37], s[36:37], s[38:39]
	v_cndmask_b32_e64 v7, 0, 1, s[36:37]
	v_cndmask_b32_e64 v8, 0, 1, s[36:37]
.LBB734_202:
	s_or_b64 exec, exec, s[40:41]
	v_mov_b32_dpp v9, v4 row_bcast:31 row_mask:0xf bank_mask:0xf
	v_mov_b32_dpp v10, v5 row_bcast:31 row_mask:0xf bank_mask:0xf
	;; [unrolled: 1-line block ×3, first 2 shown]
	v_cmp_lt_u32_e64 s[36:37], 31, v6
	s_and_saveexec_b64 s[40:41], s[36:37]
; %bb.203:
	v_cmp_eq_u16_e64 s[36:37], 0, v7
	v_cndmask_b32_e64 v9, 0, v9, s[36:37]
	v_cndmask_b32_e64 v10, 0, v10, s[36:37]
	v_add_co_u32_e64 v4, s[36:37], v9, v4
	v_addc_co_u32_e64 v5, s[36:37], v10, v5, s[36:37]
	v_and_b32_e32 v7, 1, v7
	v_cmp_eq_u32_e64 s[36:37], 1, v7
	v_and_b32_e32 v7, 1, v8
	v_cmp_eq_u32_e64 s[38:39], 1, v7
	s_or_b64 s[36:37], s[36:37], s[38:39]
	v_cndmask_b32_e64 v7, 0, 1, s[36:37]
; %bb.204:
	s_or_b64 exec, exec, s[40:41]
	v_cmp_eq_u32_e64 s[36:37], 63, v0
	s_and_saveexec_b64 s[38:39], s[36:37]
	s_cbranch_execz .LBB734_206
; %bb.205:
	v_mov_b32_e32 v8, 0
	ds_write_b64 v8, v[4:5]
	ds_write_b8 v8, v7 offset:8
.LBB734_206:
	s_or_b64 exec, exec, s[38:39]
	v_cmp_eq_u16_e64 s[36:37], 0, v7
	s_waitcnt vmcnt(0)
	v_cndmask_b32_e64 v8, 0, v2, s[36:37]
	v_cndmask_b32_e64 v7, 0, v3, s[36:37]
	v_add_co_u32_e64 v4, s[36:37], v8, v4
	v_addc_co_u32_e64 v5, s[36:37], v7, v5, s[36:37]
	v_add_u32_e32 v7, -1, v6
	v_and_b32_e32 v8, 64, v6
	v_cmp_lt_i32_e64 s[36:37], v7, v8
	v_cndmask_b32_e64 v7, v7, v6, s[36:37]
	v_lshlrev_b32_e32 v7, 2, v7
	ds_bpermute_b32 v5, v7, v5
	ds_bpermute_b32 v4, v7, v4
	v_cmp_eq_u32_e64 s[38:39], 0, v6
	v_cmp_eq_u32_e64 s[36:37], 0, v0
	s_or_b64 s[38:39], s[36:37], s[38:39]
	v_mov_b32_e32 v8, 0
	s_waitcnt lgkmcnt(1)
	v_cndmask_b32_e64 v77, v5, v3, s[38:39]
	s_waitcnt lgkmcnt(0)
	v_cndmask_b32_e64 v76, v4, v2, s[38:39]
	v_cmp_eq_u16_sdwa s[38:39], v1, v8 src0_sel:BYTE_0 src1_sel:DWORD
	v_cndmask_b32_e64 v4, 0, v76, s[38:39]
	v_cndmask_b32_e64 v1, 0, v77, s[38:39]
	v_add_co_u32_e64 v4, s[38:39], v4, v70
	v_addc_co_u32_e64 v5, s[38:39], v1, v71, s[38:39]
	v_cndmask_b32_e64 v6, 0, v4, s[34:35]
	v_cndmask_b32_e64 v1, 0, v5, s[34:35]
	v_add_co_u32_e64 v6, s[34:35], v6, v38
	v_addc_co_u32_e64 v7, s[34:35], v1, v39, s[34:35]
	;; [unrolled: 4-line block ×17, first 2 shown]
	v_cndmask_b32_e32 v95, 0, v93, vcc
	v_cndmask_b32_e32 v94, 0, v92, vcc
	s_waitcnt lgkmcnt(0)
	; wave barrier
	s_and_saveexec_b64 s[2:3], s[36:37]
	s_cbranch_execz .LBB734_208
; %bb.207:
	ds_read_u8 v1, v8 offset:8
	ds_read_b64 v[12:13], v8
	v_pk_mov_b32 v[76:77], v[2:3], v[2:3] op_sel:[0,1]
	s_waitcnt lgkmcnt(1)
	v_cmp_eq_u16_e32 vcc, 0, v1
	v_cndmask_b32_e32 v16, 0, v2, vcc
	v_cndmask_b32_e32 v9, 0, v3, vcc
	s_waitcnt lgkmcnt(0)
	v_add_co_u32_e32 v12, vcc, v16, v12
	v_addc_co_u32_e32 v13, vcc, v9, v13, vcc
	global_store_dwordx2 v8, v[12:13], s[46:47] offset:1024
	global_store_byte v8, v1, s[46:47] offset:1032
	v_mov_b32_e32 v1, 2
	s_waitcnt vmcnt(0)
	buffer_wbinvl1_vol
	global_store_byte v8, v1, s[48:49] offset:64
.LBB734_208:
	s_or_b64 exec, exec, s[2:3]
.LBB734_209:
	s_add_u32 s2, s58, s54
	s_addc_u32 s3, s59, s55
	v_add_co_u32_e32 v2, vcc, v94, v40
	v_addc_co_u32_e32 v3, vcc, v95, v41, vcc
	s_add_u32 s4, s2, s52
	s_addc_u32 s5, s3, s53
	s_and_b64 vcc, exec, s[0:1]
	s_cbranch_vccz .LBB734_247
; %bb.210:
	s_movk_i32 s0, 0x98
	v_mul_i32_i24_e32 v13, 0xffffff70, v0
	v_mul_u32_u24_e32 v12, 0x98, v0
	v_mad_u32_u24 v8, v0, s0, v13
	s_waitcnt lgkmcnt(0)
	; wave barrier
	ds_write2_b64 v12, v[76:77], v[4:5] offset1:1
	ds_write2_b64 v12, v[6:7], v[78:79] offset0:2 offset1:3
	ds_write2_b64 v12, v[10:11], v[80:81] offset0:4 offset1:5
	;; [unrolled: 1-line block ×8, first 2 shown]
	ds_write_b64 v12, v[2:3] offset:144
	s_waitcnt lgkmcnt(0)
	; wave barrier
	s_waitcnt lgkmcnt(0)
	ds_read2st64_b64 v[68:71], v8 offset0:1 offset1:2
	ds_read2st64_b64 v[64:67], v8 offset0:3 offset1:4
	;; [unrolled: 1-line block ×9, first 2 shown]
	v_mov_b32_e32 v9, s5
	v_add_co_u32_e32 v8, vcc, s4, v113
	s_add_i32 s33, s33, s50
	v_addc_co_u32_e32 v9, vcc, 0, v9, vcc
	v_mov_b32_e32 v1, 0
	v_cmp_gt_u32_e32 vcc, s33, v0
	s_and_saveexec_b64 s[0:1], vcc
	s_cbranch_execz .LBB734_212
; %bb.211:
	v_add_u32_e32 v12, v12, v13
	ds_read_b64 v[12:13], v12
	s_waitcnt lgkmcnt(0)
	flat_store_dwordx2 v[8:9], v[12:13]
.LBB734_212:
	s_or_b64 exec, exec, s[0:1]
	v_or_b32_e32 v12, 64, v0
	v_cmp_gt_u32_e32 vcc, s33, v12
	s_and_saveexec_b64 s[0:1], vcc
	s_cbranch_execz .LBB734_214
; %bb.213:
	s_waitcnt lgkmcnt(0)
	flat_store_dwordx2 v[8:9], v[68:69] offset:512
.LBB734_214:
	s_or_b64 exec, exec, s[0:1]
	v_or_b32_e32 v12, 0x80, v0
	v_cmp_gt_u32_e32 vcc, s33, v12
	s_and_saveexec_b64 s[0:1], vcc
	s_cbranch_execz .LBB734_216
; %bb.215:
	s_waitcnt lgkmcnt(0)
	flat_store_dwordx2 v[8:9], v[70:71] offset:1024
.LBB734_216:
	;; [unrolled: 9-line block ×7, first 2 shown]
	s_or_b64 exec, exec, s[0:1]
	v_or_b32_e32 v12, 0x200, v0
	v_cmp_gt_u32_e32 vcc, s33, v12
	s_and_saveexec_b64 s[0:1], vcc
	s_cbranch_execz .LBB734_228
; %bb.227:
	v_add_co_u32_e32 v12, vcc, 0x1000, v8
	v_addc_co_u32_e32 v13, vcc, 0, v9, vcc
	s_waitcnt lgkmcnt(0)
	flat_store_dwordx2 v[12:13], v[58:59]
.LBB734_228:
	s_or_b64 exec, exec, s[0:1]
	v_or_b32_e32 v12, 0x240, v0
	v_cmp_gt_u32_e32 vcc, s33, v12
	s_and_saveexec_b64 s[0:1], vcc
	s_cbranch_execz .LBB734_230
; %bb.229:
	v_add_co_u32_e32 v12, vcc, 0x1000, v8
	v_addc_co_u32_e32 v13, vcc, 0, v9, vcc
	s_waitcnt lgkmcnt(0)
	flat_store_dwordx2 v[12:13], v[52:53] offset:512
.LBB734_230:
	s_or_b64 exec, exec, s[0:1]
	v_or_b32_e32 v12, 0x280, v0
	v_cmp_gt_u32_e32 vcc, s33, v12
	s_and_saveexec_b64 s[0:1], vcc
	s_cbranch_execz .LBB734_232
; %bb.231:
	v_add_co_u32_e32 v12, vcc, 0x1000, v8
	v_addc_co_u32_e32 v13, vcc, 0, v9, vcc
	s_waitcnt lgkmcnt(0)
	flat_store_dwordx2 v[12:13], v[54:55] offset:1024
.LBB734_232:
	s_or_b64 exec, exec, s[0:1]
	v_or_b32_e32 v12, 0x2c0, v0
	v_cmp_gt_u32_e32 vcc, s33, v12
	s_and_saveexec_b64 s[0:1], vcc
	s_cbranch_execz .LBB734_234
; %bb.233:
	v_add_co_u32_e32 v12, vcc, 0x1000, v8
	v_addc_co_u32_e32 v13, vcc, 0, v9, vcc
	s_waitcnt lgkmcnt(0)
	flat_store_dwordx2 v[12:13], v[48:49] offset:1536
.LBB734_234:
	s_or_b64 exec, exec, s[0:1]
	v_or_b32_e32 v12, 0x300, v0
	v_cmp_gt_u32_e32 vcc, s33, v12
	s_and_saveexec_b64 s[0:1], vcc
	s_cbranch_execz .LBB734_236
; %bb.235:
	v_add_co_u32_e32 v12, vcc, 0x1000, v8
	v_addc_co_u32_e32 v13, vcc, 0, v9, vcc
	s_waitcnt lgkmcnt(0)
	flat_store_dwordx2 v[12:13], v[50:51] offset:2048
.LBB734_236:
	s_or_b64 exec, exec, s[0:1]
	v_or_b32_e32 v12, 0x340, v0
	v_cmp_gt_u32_e32 vcc, s33, v12
	s_and_saveexec_b64 s[0:1], vcc
	s_cbranch_execz .LBB734_238
; %bb.237:
	v_add_co_u32_e32 v12, vcc, 0x1000, v8
	v_addc_co_u32_e32 v13, vcc, 0, v9, vcc
	s_waitcnt lgkmcnt(0)
	flat_store_dwordx2 v[12:13], v[44:45] offset:2560
.LBB734_238:
	s_or_b64 exec, exec, s[0:1]
	v_or_b32_e32 v12, 0x380, v0
	v_cmp_gt_u32_e32 vcc, s33, v12
	s_and_saveexec_b64 s[0:1], vcc
	s_cbranch_execz .LBB734_240
; %bb.239:
	v_add_co_u32_e32 v12, vcc, 0x1000, v8
	v_addc_co_u32_e32 v13, vcc, 0, v9, vcc
	s_waitcnt lgkmcnt(0)
	flat_store_dwordx2 v[12:13], v[46:47] offset:3072
.LBB734_240:
	s_or_b64 exec, exec, s[0:1]
	v_or_b32_e32 v12, 0x3c0, v0
	v_cmp_gt_u32_e32 vcc, s33, v12
	s_and_saveexec_b64 s[0:1], vcc
	s_cbranch_execz .LBB734_242
; %bb.241:
	v_add_co_u32_e32 v12, vcc, 0x1000, v8
	v_addc_co_u32_e32 v13, vcc, 0, v9, vcc
	s_waitcnt lgkmcnt(0)
	flat_store_dwordx2 v[12:13], v[40:41] offset:3584
.LBB734_242:
	s_or_b64 exec, exec, s[0:1]
	v_or_b32_e32 v12, 0x400, v0
	v_cmp_gt_u32_e32 vcc, s33, v12
	s_and_saveexec_b64 s[0:1], vcc
	s_cbranch_execz .LBB734_244
; %bb.243:
	v_add_co_u32_e32 v12, vcc, 0x2000, v8
	v_addc_co_u32_e32 v13, vcc, 0, v9, vcc
	s_waitcnt lgkmcnt(0)
	flat_store_dwordx2 v[12:13], v[42:43]
.LBB734_244:
	s_or_b64 exec, exec, s[0:1]
	v_or_b32_e32 v12, 0x440, v0
	v_cmp_gt_u32_e32 vcc, s33, v12
	s_and_saveexec_b64 s[0:1], vcc
	s_cbranch_execz .LBB734_246
; %bb.245:
	v_add_co_u32_e32 v8, vcc, 0x2000, v8
	v_addc_co_u32_e32 v9, vcc, 0, v9, vcc
	s_waitcnt lgkmcnt(0)
	flat_store_dwordx2 v[8:9], v[36:37] offset:512
.LBB734_246:
	s_or_b64 exec, exec, s[0:1]
	v_or_b32_e32 v8, 0x480, v0
	v_cmp_gt_u32_e64 s[0:1], s33, v8
	s_branch .LBB734_249
.LBB734_247:
	s_mov_b64 s[0:1], 0
                                        ; implicit-def: $vgpr38_vgpr39
	s_cbranch_execz .LBB734_249
; %bb.248:
	v_mul_u32_u24_e32 v1, 0x98, v0
	s_waitcnt lgkmcnt(0)
	; wave barrier
	s_waitcnt lgkmcnt(0)
	s_movk_i32 s2, 0x98
	ds_write2_b64 v1, v[76:77], v[4:5] offset1:1
	ds_write2_b64 v1, v[6:7], v[78:79] offset0:2 offset1:3
	ds_write2_b64 v1, v[10:11], v[80:81] offset0:4 offset1:5
	;; [unrolled: 1-line block ×8, first 2 shown]
	ds_write_b64 v1, v[2:3] offset:144
	v_mul_i32_i24_e32 v2, 0xffffff70, v0
	v_mad_u32_u24 v38, v0, s2, v2
	v_mov_b32_e32 v41, s5
	v_add_co_u32_e32 v40, vcc, s4, v113
	s_waitcnt lgkmcnt(0)
	; wave barrier
	s_waitcnt lgkmcnt(0)
	ds_read2st64_b64 v[2:5], v38 offset1:1
	ds_read2st64_b64 v[6:9], v38 offset0:2 offset1:3
	ds_read2st64_b64 v[10:13], v38 offset0:4 offset1:5
	;; [unrolled: 1-line block ×8, first 2 shown]
	ds_read_b64 v[38:39], v38 offset:9216
	v_addc_co_u32_e32 v41, vcc, 0, v41, vcc
	s_movk_i32 s2, 0x1000
	s_waitcnt lgkmcnt(0)
	flat_store_dwordx2 v[40:41], v[2:3]
	flat_store_dwordx2 v[40:41], v[4:5] offset:512
	flat_store_dwordx2 v[40:41], v[6:7] offset:1024
	;; [unrolled: 1-line block ×7, first 2 shown]
	v_add_co_u32_e32 v2, vcc, s2, v40
	v_addc_co_u32_e32 v3, vcc, 0, v41, vcc
	flat_store_dwordx2 v[2:3], v[18:19]
	flat_store_dwordx2 v[2:3], v[20:21] offset:512
	flat_store_dwordx2 v[2:3], v[22:23] offset:1024
	;; [unrolled: 1-line block ×7, first 2 shown]
	v_add_co_u32_e32 v2, vcc, 0x2000, v40
	v_mov_b32_e32 v1, 0
	v_addc_co_u32_e32 v3, vcc, 0, v41, vcc
	s_or_b64 s[0:1], s[0:1], exec
	flat_store_dwordx2 v[2:3], v[34:35]
	flat_store_dwordx2 v[2:3], v[36:37] offset:512
.LBB734_249:
	s_and_saveexec_b64 s[2:3], s[0:1]
	s_cbranch_execz .LBB734_251
; %bb.250:
	v_lshlrev_b64 v[0:1], 3, v[0:1]
	v_mov_b32_e32 v2, s5
	v_add_co_u32_e32 v0, vcc, s4, v0
	v_addc_co_u32_e32 v1, vcc, v2, v1, vcc
	v_add_co_u32_e32 v0, vcc, 0x2000, v0
	v_addc_co_u32_e32 v1, vcc, 0, v1, vcc
	s_waitcnt lgkmcnt(0)
	flat_store_dwordx2 v[0:1], v[38:39] offset:1024
	s_endpgm
.LBB734_251:
	s_endpgm
	.section	.rodata,"a",@progbits
	.p2align	6, 0x0
	.amdhsa_kernel _ZN7rocprim17ROCPRIM_400000_NS6detail17trampoline_kernelINS0_14default_configENS1_27scan_by_key_config_selectorIxxEEZZNS1_16scan_by_key_implILNS1_25lookback_scan_determinismE0ELb1ES3_N6thrust23THRUST_200600_302600_NS6detail15normal_iteratorINS9_10device_ptrIxEEEESE_SE_xNS9_4plusIxEE19head_flag_predicatexEE10hipError_tPvRmT2_T3_T4_T5_mT6_T7_P12ihipStream_tbENKUlT_T0_E_clISt17integral_constantIbLb1EESX_IbLb0EEEEDaST_SU_EUlST_E_NS1_11comp_targetILNS1_3genE4ELNS1_11target_archE910ELNS1_3gpuE8ELNS1_3repE0EEENS1_30default_config_static_selectorELNS0_4arch9wavefront6targetE1EEEvT1_
		.amdhsa_group_segment_fixed_size 10752
		.amdhsa_private_segment_fixed_size 0
		.amdhsa_kernarg_size 136
		.amdhsa_user_sgpr_count 6
		.amdhsa_user_sgpr_private_segment_buffer 1
		.amdhsa_user_sgpr_dispatch_ptr 0
		.amdhsa_user_sgpr_queue_ptr 0
		.amdhsa_user_sgpr_kernarg_segment_ptr 1
		.amdhsa_user_sgpr_dispatch_id 0
		.amdhsa_user_sgpr_flat_scratch_init 0
		.amdhsa_user_sgpr_kernarg_preload_length 0
		.amdhsa_user_sgpr_kernarg_preload_offset 0
		.amdhsa_user_sgpr_private_segment_size 0
		.amdhsa_uses_dynamic_stack 0
		.amdhsa_system_sgpr_private_segment_wavefront_offset 0
		.amdhsa_system_sgpr_workgroup_id_x 1
		.amdhsa_system_sgpr_workgroup_id_y 0
		.amdhsa_system_sgpr_workgroup_id_z 0
		.amdhsa_system_sgpr_workgroup_info 0
		.amdhsa_system_vgpr_workitem_id 0
		.amdhsa_next_free_vgpr 117
		.amdhsa_next_free_sgpr 73
		.amdhsa_accum_offset 120
		.amdhsa_reserve_vcc 1
		.amdhsa_reserve_flat_scratch 0
		.amdhsa_float_round_mode_32 0
		.amdhsa_float_round_mode_16_64 0
		.amdhsa_float_denorm_mode_32 3
		.amdhsa_float_denorm_mode_16_64 3
		.amdhsa_dx10_clamp 1
		.amdhsa_ieee_mode 1
		.amdhsa_fp16_overflow 0
		.amdhsa_tg_split 0
		.amdhsa_exception_fp_ieee_invalid_op 0
		.amdhsa_exception_fp_denorm_src 0
		.amdhsa_exception_fp_ieee_div_zero 0
		.amdhsa_exception_fp_ieee_overflow 0
		.amdhsa_exception_fp_ieee_underflow 0
		.amdhsa_exception_fp_ieee_inexact 0
		.amdhsa_exception_int_div_zero 0
	.end_amdhsa_kernel
	.section	.text._ZN7rocprim17ROCPRIM_400000_NS6detail17trampoline_kernelINS0_14default_configENS1_27scan_by_key_config_selectorIxxEEZZNS1_16scan_by_key_implILNS1_25lookback_scan_determinismE0ELb1ES3_N6thrust23THRUST_200600_302600_NS6detail15normal_iteratorINS9_10device_ptrIxEEEESE_SE_xNS9_4plusIxEE19head_flag_predicatexEE10hipError_tPvRmT2_T3_T4_T5_mT6_T7_P12ihipStream_tbENKUlT_T0_E_clISt17integral_constantIbLb1EESX_IbLb0EEEEDaST_SU_EUlST_E_NS1_11comp_targetILNS1_3genE4ELNS1_11target_archE910ELNS1_3gpuE8ELNS1_3repE0EEENS1_30default_config_static_selectorELNS0_4arch9wavefront6targetE1EEEvT1_,"axG",@progbits,_ZN7rocprim17ROCPRIM_400000_NS6detail17trampoline_kernelINS0_14default_configENS1_27scan_by_key_config_selectorIxxEEZZNS1_16scan_by_key_implILNS1_25lookback_scan_determinismE0ELb1ES3_N6thrust23THRUST_200600_302600_NS6detail15normal_iteratorINS9_10device_ptrIxEEEESE_SE_xNS9_4plusIxEE19head_flag_predicatexEE10hipError_tPvRmT2_T3_T4_T5_mT6_T7_P12ihipStream_tbENKUlT_T0_E_clISt17integral_constantIbLb1EESX_IbLb0EEEEDaST_SU_EUlST_E_NS1_11comp_targetILNS1_3genE4ELNS1_11target_archE910ELNS1_3gpuE8ELNS1_3repE0EEENS1_30default_config_static_selectorELNS0_4arch9wavefront6targetE1EEEvT1_,comdat
.Lfunc_end734:
	.size	_ZN7rocprim17ROCPRIM_400000_NS6detail17trampoline_kernelINS0_14default_configENS1_27scan_by_key_config_selectorIxxEEZZNS1_16scan_by_key_implILNS1_25lookback_scan_determinismE0ELb1ES3_N6thrust23THRUST_200600_302600_NS6detail15normal_iteratorINS9_10device_ptrIxEEEESE_SE_xNS9_4plusIxEE19head_flag_predicatexEE10hipError_tPvRmT2_T3_T4_T5_mT6_T7_P12ihipStream_tbENKUlT_T0_E_clISt17integral_constantIbLb1EESX_IbLb0EEEEDaST_SU_EUlST_E_NS1_11comp_targetILNS1_3genE4ELNS1_11target_archE910ELNS1_3gpuE8ELNS1_3repE0EEENS1_30default_config_static_selectorELNS0_4arch9wavefront6targetE1EEEvT1_, .Lfunc_end734-_ZN7rocprim17ROCPRIM_400000_NS6detail17trampoline_kernelINS0_14default_configENS1_27scan_by_key_config_selectorIxxEEZZNS1_16scan_by_key_implILNS1_25lookback_scan_determinismE0ELb1ES3_N6thrust23THRUST_200600_302600_NS6detail15normal_iteratorINS9_10device_ptrIxEEEESE_SE_xNS9_4plusIxEE19head_flag_predicatexEE10hipError_tPvRmT2_T3_T4_T5_mT6_T7_P12ihipStream_tbENKUlT_T0_E_clISt17integral_constantIbLb1EESX_IbLb0EEEEDaST_SU_EUlST_E_NS1_11comp_targetILNS1_3genE4ELNS1_11target_archE910ELNS1_3gpuE8ELNS1_3repE0EEENS1_30default_config_static_selectorELNS0_4arch9wavefront6targetE1EEEvT1_
                                        ; -- End function
	.section	.AMDGPU.csdata,"",@progbits
; Kernel info:
; codeLenInByte = 15688
; NumSgprs: 77
; NumVgprs: 117
; NumAgprs: 0
; TotalNumVgprs: 117
; ScratchSize: 0
; MemoryBound: 0
; FloatMode: 240
; IeeeMode: 1
; LDSByteSize: 10752 bytes/workgroup (compile time only)
; SGPRBlocks: 9
; VGPRBlocks: 14
; NumSGPRsForWavesPerEU: 77
; NumVGPRsForWavesPerEU: 117
; AccumOffset: 120
; Occupancy: 2
; WaveLimiterHint : 1
; COMPUTE_PGM_RSRC2:SCRATCH_EN: 0
; COMPUTE_PGM_RSRC2:USER_SGPR: 6
; COMPUTE_PGM_RSRC2:TRAP_HANDLER: 0
; COMPUTE_PGM_RSRC2:TGID_X_EN: 1
; COMPUTE_PGM_RSRC2:TGID_Y_EN: 0
; COMPUTE_PGM_RSRC2:TGID_Z_EN: 0
; COMPUTE_PGM_RSRC2:TIDIG_COMP_CNT: 0
; COMPUTE_PGM_RSRC3_GFX90A:ACCUM_OFFSET: 29
; COMPUTE_PGM_RSRC3_GFX90A:TG_SPLIT: 0
	.section	.text._ZN7rocprim17ROCPRIM_400000_NS6detail17trampoline_kernelINS0_14default_configENS1_27scan_by_key_config_selectorIxxEEZZNS1_16scan_by_key_implILNS1_25lookback_scan_determinismE0ELb1ES3_N6thrust23THRUST_200600_302600_NS6detail15normal_iteratorINS9_10device_ptrIxEEEESE_SE_xNS9_4plusIxEE19head_flag_predicatexEE10hipError_tPvRmT2_T3_T4_T5_mT6_T7_P12ihipStream_tbENKUlT_T0_E_clISt17integral_constantIbLb1EESX_IbLb0EEEEDaST_SU_EUlST_E_NS1_11comp_targetILNS1_3genE3ELNS1_11target_archE908ELNS1_3gpuE7ELNS1_3repE0EEENS1_30default_config_static_selectorELNS0_4arch9wavefront6targetE1EEEvT1_,"axG",@progbits,_ZN7rocprim17ROCPRIM_400000_NS6detail17trampoline_kernelINS0_14default_configENS1_27scan_by_key_config_selectorIxxEEZZNS1_16scan_by_key_implILNS1_25lookback_scan_determinismE0ELb1ES3_N6thrust23THRUST_200600_302600_NS6detail15normal_iteratorINS9_10device_ptrIxEEEESE_SE_xNS9_4plusIxEE19head_flag_predicatexEE10hipError_tPvRmT2_T3_T4_T5_mT6_T7_P12ihipStream_tbENKUlT_T0_E_clISt17integral_constantIbLb1EESX_IbLb0EEEEDaST_SU_EUlST_E_NS1_11comp_targetILNS1_3genE3ELNS1_11target_archE908ELNS1_3gpuE7ELNS1_3repE0EEENS1_30default_config_static_selectorELNS0_4arch9wavefront6targetE1EEEvT1_,comdat
	.protected	_ZN7rocprim17ROCPRIM_400000_NS6detail17trampoline_kernelINS0_14default_configENS1_27scan_by_key_config_selectorIxxEEZZNS1_16scan_by_key_implILNS1_25lookback_scan_determinismE0ELb1ES3_N6thrust23THRUST_200600_302600_NS6detail15normal_iteratorINS9_10device_ptrIxEEEESE_SE_xNS9_4plusIxEE19head_flag_predicatexEE10hipError_tPvRmT2_T3_T4_T5_mT6_T7_P12ihipStream_tbENKUlT_T0_E_clISt17integral_constantIbLb1EESX_IbLb0EEEEDaST_SU_EUlST_E_NS1_11comp_targetILNS1_3genE3ELNS1_11target_archE908ELNS1_3gpuE7ELNS1_3repE0EEENS1_30default_config_static_selectorELNS0_4arch9wavefront6targetE1EEEvT1_ ; -- Begin function _ZN7rocprim17ROCPRIM_400000_NS6detail17trampoline_kernelINS0_14default_configENS1_27scan_by_key_config_selectorIxxEEZZNS1_16scan_by_key_implILNS1_25lookback_scan_determinismE0ELb1ES3_N6thrust23THRUST_200600_302600_NS6detail15normal_iteratorINS9_10device_ptrIxEEEESE_SE_xNS9_4plusIxEE19head_flag_predicatexEE10hipError_tPvRmT2_T3_T4_T5_mT6_T7_P12ihipStream_tbENKUlT_T0_E_clISt17integral_constantIbLb1EESX_IbLb0EEEEDaST_SU_EUlST_E_NS1_11comp_targetILNS1_3genE3ELNS1_11target_archE908ELNS1_3gpuE7ELNS1_3repE0EEENS1_30default_config_static_selectorELNS0_4arch9wavefront6targetE1EEEvT1_
	.globl	_ZN7rocprim17ROCPRIM_400000_NS6detail17trampoline_kernelINS0_14default_configENS1_27scan_by_key_config_selectorIxxEEZZNS1_16scan_by_key_implILNS1_25lookback_scan_determinismE0ELb1ES3_N6thrust23THRUST_200600_302600_NS6detail15normal_iteratorINS9_10device_ptrIxEEEESE_SE_xNS9_4plusIxEE19head_flag_predicatexEE10hipError_tPvRmT2_T3_T4_T5_mT6_T7_P12ihipStream_tbENKUlT_T0_E_clISt17integral_constantIbLb1EESX_IbLb0EEEEDaST_SU_EUlST_E_NS1_11comp_targetILNS1_3genE3ELNS1_11target_archE908ELNS1_3gpuE7ELNS1_3repE0EEENS1_30default_config_static_selectorELNS0_4arch9wavefront6targetE1EEEvT1_
	.p2align	8
	.type	_ZN7rocprim17ROCPRIM_400000_NS6detail17trampoline_kernelINS0_14default_configENS1_27scan_by_key_config_selectorIxxEEZZNS1_16scan_by_key_implILNS1_25lookback_scan_determinismE0ELb1ES3_N6thrust23THRUST_200600_302600_NS6detail15normal_iteratorINS9_10device_ptrIxEEEESE_SE_xNS9_4plusIxEE19head_flag_predicatexEE10hipError_tPvRmT2_T3_T4_T5_mT6_T7_P12ihipStream_tbENKUlT_T0_E_clISt17integral_constantIbLb1EESX_IbLb0EEEEDaST_SU_EUlST_E_NS1_11comp_targetILNS1_3genE3ELNS1_11target_archE908ELNS1_3gpuE7ELNS1_3repE0EEENS1_30default_config_static_selectorELNS0_4arch9wavefront6targetE1EEEvT1_,@function
_ZN7rocprim17ROCPRIM_400000_NS6detail17trampoline_kernelINS0_14default_configENS1_27scan_by_key_config_selectorIxxEEZZNS1_16scan_by_key_implILNS1_25lookback_scan_determinismE0ELb1ES3_N6thrust23THRUST_200600_302600_NS6detail15normal_iteratorINS9_10device_ptrIxEEEESE_SE_xNS9_4plusIxEE19head_flag_predicatexEE10hipError_tPvRmT2_T3_T4_T5_mT6_T7_P12ihipStream_tbENKUlT_T0_E_clISt17integral_constantIbLb1EESX_IbLb0EEEEDaST_SU_EUlST_E_NS1_11comp_targetILNS1_3genE3ELNS1_11target_archE908ELNS1_3gpuE7ELNS1_3repE0EEENS1_30default_config_static_selectorELNS0_4arch9wavefront6targetE1EEEvT1_: ; @_ZN7rocprim17ROCPRIM_400000_NS6detail17trampoline_kernelINS0_14default_configENS1_27scan_by_key_config_selectorIxxEEZZNS1_16scan_by_key_implILNS1_25lookback_scan_determinismE0ELb1ES3_N6thrust23THRUST_200600_302600_NS6detail15normal_iteratorINS9_10device_ptrIxEEEESE_SE_xNS9_4plusIxEE19head_flag_predicatexEE10hipError_tPvRmT2_T3_T4_T5_mT6_T7_P12ihipStream_tbENKUlT_T0_E_clISt17integral_constantIbLb1EESX_IbLb0EEEEDaST_SU_EUlST_E_NS1_11comp_targetILNS1_3genE3ELNS1_11target_archE908ELNS1_3gpuE7ELNS1_3repE0EEENS1_30default_config_static_selectorELNS0_4arch9wavefront6targetE1EEEvT1_
; %bb.0:
	.section	.rodata,"a",@progbits
	.p2align	6, 0x0
	.amdhsa_kernel _ZN7rocprim17ROCPRIM_400000_NS6detail17trampoline_kernelINS0_14default_configENS1_27scan_by_key_config_selectorIxxEEZZNS1_16scan_by_key_implILNS1_25lookback_scan_determinismE0ELb1ES3_N6thrust23THRUST_200600_302600_NS6detail15normal_iteratorINS9_10device_ptrIxEEEESE_SE_xNS9_4plusIxEE19head_flag_predicatexEE10hipError_tPvRmT2_T3_T4_T5_mT6_T7_P12ihipStream_tbENKUlT_T0_E_clISt17integral_constantIbLb1EESX_IbLb0EEEEDaST_SU_EUlST_E_NS1_11comp_targetILNS1_3genE3ELNS1_11target_archE908ELNS1_3gpuE7ELNS1_3repE0EEENS1_30default_config_static_selectorELNS0_4arch9wavefront6targetE1EEEvT1_
		.amdhsa_group_segment_fixed_size 0
		.amdhsa_private_segment_fixed_size 0
		.amdhsa_kernarg_size 136
		.amdhsa_user_sgpr_count 6
		.amdhsa_user_sgpr_private_segment_buffer 1
		.amdhsa_user_sgpr_dispatch_ptr 0
		.amdhsa_user_sgpr_queue_ptr 0
		.amdhsa_user_sgpr_kernarg_segment_ptr 1
		.amdhsa_user_sgpr_dispatch_id 0
		.amdhsa_user_sgpr_flat_scratch_init 0
		.amdhsa_user_sgpr_kernarg_preload_length 0
		.amdhsa_user_sgpr_kernarg_preload_offset 0
		.amdhsa_user_sgpr_private_segment_size 0
		.amdhsa_uses_dynamic_stack 0
		.amdhsa_system_sgpr_private_segment_wavefront_offset 0
		.amdhsa_system_sgpr_workgroup_id_x 1
		.amdhsa_system_sgpr_workgroup_id_y 0
		.amdhsa_system_sgpr_workgroup_id_z 0
		.amdhsa_system_sgpr_workgroup_info 0
		.amdhsa_system_vgpr_workitem_id 0
		.amdhsa_next_free_vgpr 1
		.amdhsa_next_free_sgpr 0
		.amdhsa_accum_offset 4
		.amdhsa_reserve_vcc 0
		.amdhsa_reserve_flat_scratch 0
		.amdhsa_float_round_mode_32 0
		.amdhsa_float_round_mode_16_64 0
		.amdhsa_float_denorm_mode_32 3
		.amdhsa_float_denorm_mode_16_64 3
		.amdhsa_dx10_clamp 1
		.amdhsa_ieee_mode 1
		.amdhsa_fp16_overflow 0
		.amdhsa_tg_split 0
		.amdhsa_exception_fp_ieee_invalid_op 0
		.amdhsa_exception_fp_denorm_src 0
		.amdhsa_exception_fp_ieee_div_zero 0
		.amdhsa_exception_fp_ieee_overflow 0
		.amdhsa_exception_fp_ieee_underflow 0
		.amdhsa_exception_fp_ieee_inexact 0
		.amdhsa_exception_int_div_zero 0
	.end_amdhsa_kernel
	.section	.text._ZN7rocprim17ROCPRIM_400000_NS6detail17trampoline_kernelINS0_14default_configENS1_27scan_by_key_config_selectorIxxEEZZNS1_16scan_by_key_implILNS1_25lookback_scan_determinismE0ELb1ES3_N6thrust23THRUST_200600_302600_NS6detail15normal_iteratorINS9_10device_ptrIxEEEESE_SE_xNS9_4plusIxEE19head_flag_predicatexEE10hipError_tPvRmT2_T3_T4_T5_mT6_T7_P12ihipStream_tbENKUlT_T0_E_clISt17integral_constantIbLb1EESX_IbLb0EEEEDaST_SU_EUlST_E_NS1_11comp_targetILNS1_3genE3ELNS1_11target_archE908ELNS1_3gpuE7ELNS1_3repE0EEENS1_30default_config_static_selectorELNS0_4arch9wavefront6targetE1EEEvT1_,"axG",@progbits,_ZN7rocprim17ROCPRIM_400000_NS6detail17trampoline_kernelINS0_14default_configENS1_27scan_by_key_config_selectorIxxEEZZNS1_16scan_by_key_implILNS1_25lookback_scan_determinismE0ELb1ES3_N6thrust23THRUST_200600_302600_NS6detail15normal_iteratorINS9_10device_ptrIxEEEESE_SE_xNS9_4plusIxEE19head_flag_predicatexEE10hipError_tPvRmT2_T3_T4_T5_mT6_T7_P12ihipStream_tbENKUlT_T0_E_clISt17integral_constantIbLb1EESX_IbLb0EEEEDaST_SU_EUlST_E_NS1_11comp_targetILNS1_3genE3ELNS1_11target_archE908ELNS1_3gpuE7ELNS1_3repE0EEENS1_30default_config_static_selectorELNS0_4arch9wavefront6targetE1EEEvT1_,comdat
.Lfunc_end735:
	.size	_ZN7rocprim17ROCPRIM_400000_NS6detail17trampoline_kernelINS0_14default_configENS1_27scan_by_key_config_selectorIxxEEZZNS1_16scan_by_key_implILNS1_25lookback_scan_determinismE0ELb1ES3_N6thrust23THRUST_200600_302600_NS6detail15normal_iteratorINS9_10device_ptrIxEEEESE_SE_xNS9_4plusIxEE19head_flag_predicatexEE10hipError_tPvRmT2_T3_T4_T5_mT6_T7_P12ihipStream_tbENKUlT_T0_E_clISt17integral_constantIbLb1EESX_IbLb0EEEEDaST_SU_EUlST_E_NS1_11comp_targetILNS1_3genE3ELNS1_11target_archE908ELNS1_3gpuE7ELNS1_3repE0EEENS1_30default_config_static_selectorELNS0_4arch9wavefront6targetE1EEEvT1_, .Lfunc_end735-_ZN7rocprim17ROCPRIM_400000_NS6detail17trampoline_kernelINS0_14default_configENS1_27scan_by_key_config_selectorIxxEEZZNS1_16scan_by_key_implILNS1_25lookback_scan_determinismE0ELb1ES3_N6thrust23THRUST_200600_302600_NS6detail15normal_iteratorINS9_10device_ptrIxEEEESE_SE_xNS9_4plusIxEE19head_flag_predicatexEE10hipError_tPvRmT2_T3_T4_T5_mT6_T7_P12ihipStream_tbENKUlT_T0_E_clISt17integral_constantIbLb1EESX_IbLb0EEEEDaST_SU_EUlST_E_NS1_11comp_targetILNS1_3genE3ELNS1_11target_archE908ELNS1_3gpuE7ELNS1_3repE0EEENS1_30default_config_static_selectorELNS0_4arch9wavefront6targetE1EEEvT1_
                                        ; -- End function
	.section	.AMDGPU.csdata,"",@progbits
; Kernel info:
; codeLenInByte = 0
; NumSgprs: 4
; NumVgprs: 0
; NumAgprs: 0
; TotalNumVgprs: 0
; ScratchSize: 0
; MemoryBound: 0
; FloatMode: 240
; IeeeMode: 1
; LDSByteSize: 0 bytes/workgroup (compile time only)
; SGPRBlocks: 0
; VGPRBlocks: 0
; NumSGPRsForWavesPerEU: 4
; NumVGPRsForWavesPerEU: 1
; AccumOffset: 4
; Occupancy: 8
; WaveLimiterHint : 0
; COMPUTE_PGM_RSRC2:SCRATCH_EN: 0
; COMPUTE_PGM_RSRC2:USER_SGPR: 6
; COMPUTE_PGM_RSRC2:TRAP_HANDLER: 0
; COMPUTE_PGM_RSRC2:TGID_X_EN: 1
; COMPUTE_PGM_RSRC2:TGID_Y_EN: 0
; COMPUTE_PGM_RSRC2:TGID_Z_EN: 0
; COMPUTE_PGM_RSRC2:TIDIG_COMP_CNT: 0
; COMPUTE_PGM_RSRC3_GFX90A:ACCUM_OFFSET: 0
; COMPUTE_PGM_RSRC3_GFX90A:TG_SPLIT: 0
	.section	.text._ZN7rocprim17ROCPRIM_400000_NS6detail17trampoline_kernelINS0_14default_configENS1_27scan_by_key_config_selectorIxxEEZZNS1_16scan_by_key_implILNS1_25lookback_scan_determinismE0ELb1ES3_N6thrust23THRUST_200600_302600_NS6detail15normal_iteratorINS9_10device_ptrIxEEEESE_SE_xNS9_4plusIxEE19head_flag_predicatexEE10hipError_tPvRmT2_T3_T4_T5_mT6_T7_P12ihipStream_tbENKUlT_T0_E_clISt17integral_constantIbLb1EESX_IbLb0EEEEDaST_SU_EUlST_E_NS1_11comp_targetILNS1_3genE2ELNS1_11target_archE906ELNS1_3gpuE6ELNS1_3repE0EEENS1_30default_config_static_selectorELNS0_4arch9wavefront6targetE1EEEvT1_,"axG",@progbits,_ZN7rocprim17ROCPRIM_400000_NS6detail17trampoline_kernelINS0_14default_configENS1_27scan_by_key_config_selectorIxxEEZZNS1_16scan_by_key_implILNS1_25lookback_scan_determinismE0ELb1ES3_N6thrust23THRUST_200600_302600_NS6detail15normal_iteratorINS9_10device_ptrIxEEEESE_SE_xNS9_4plusIxEE19head_flag_predicatexEE10hipError_tPvRmT2_T3_T4_T5_mT6_T7_P12ihipStream_tbENKUlT_T0_E_clISt17integral_constantIbLb1EESX_IbLb0EEEEDaST_SU_EUlST_E_NS1_11comp_targetILNS1_3genE2ELNS1_11target_archE906ELNS1_3gpuE6ELNS1_3repE0EEENS1_30default_config_static_selectorELNS0_4arch9wavefront6targetE1EEEvT1_,comdat
	.protected	_ZN7rocprim17ROCPRIM_400000_NS6detail17trampoline_kernelINS0_14default_configENS1_27scan_by_key_config_selectorIxxEEZZNS1_16scan_by_key_implILNS1_25lookback_scan_determinismE0ELb1ES3_N6thrust23THRUST_200600_302600_NS6detail15normal_iteratorINS9_10device_ptrIxEEEESE_SE_xNS9_4plusIxEE19head_flag_predicatexEE10hipError_tPvRmT2_T3_T4_T5_mT6_T7_P12ihipStream_tbENKUlT_T0_E_clISt17integral_constantIbLb1EESX_IbLb0EEEEDaST_SU_EUlST_E_NS1_11comp_targetILNS1_3genE2ELNS1_11target_archE906ELNS1_3gpuE6ELNS1_3repE0EEENS1_30default_config_static_selectorELNS0_4arch9wavefront6targetE1EEEvT1_ ; -- Begin function _ZN7rocprim17ROCPRIM_400000_NS6detail17trampoline_kernelINS0_14default_configENS1_27scan_by_key_config_selectorIxxEEZZNS1_16scan_by_key_implILNS1_25lookback_scan_determinismE0ELb1ES3_N6thrust23THRUST_200600_302600_NS6detail15normal_iteratorINS9_10device_ptrIxEEEESE_SE_xNS9_4plusIxEE19head_flag_predicatexEE10hipError_tPvRmT2_T3_T4_T5_mT6_T7_P12ihipStream_tbENKUlT_T0_E_clISt17integral_constantIbLb1EESX_IbLb0EEEEDaST_SU_EUlST_E_NS1_11comp_targetILNS1_3genE2ELNS1_11target_archE906ELNS1_3gpuE6ELNS1_3repE0EEENS1_30default_config_static_selectorELNS0_4arch9wavefront6targetE1EEEvT1_
	.globl	_ZN7rocprim17ROCPRIM_400000_NS6detail17trampoline_kernelINS0_14default_configENS1_27scan_by_key_config_selectorIxxEEZZNS1_16scan_by_key_implILNS1_25lookback_scan_determinismE0ELb1ES3_N6thrust23THRUST_200600_302600_NS6detail15normal_iteratorINS9_10device_ptrIxEEEESE_SE_xNS9_4plusIxEE19head_flag_predicatexEE10hipError_tPvRmT2_T3_T4_T5_mT6_T7_P12ihipStream_tbENKUlT_T0_E_clISt17integral_constantIbLb1EESX_IbLb0EEEEDaST_SU_EUlST_E_NS1_11comp_targetILNS1_3genE2ELNS1_11target_archE906ELNS1_3gpuE6ELNS1_3repE0EEENS1_30default_config_static_selectorELNS0_4arch9wavefront6targetE1EEEvT1_
	.p2align	8
	.type	_ZN7rocprim17ROCPRIM_400000_NS6detail17trampoline_kernelINS0_14default_configENS1_27scan_by_key_config_selectorIxxEEZZNS1_16scan_by_key_implILNS1_25lookback_scan_determinismE0ELb1ES3_N6thrust23THRUST_200600_302600_NS6detail15normal_iteratorINS9_10device_ptrIxEEEESE_SE_xNS9_4plusIxEE19head_flag_predicatexEE10hipError_tPvRmT2_T3_T4_T5_mT6_T7_P12ihipStream_tbENKUlT_T0_E_clISt17integral_constantIbLb1EESX_IbLb0EEEEDaST_SU_EUlST_E_NS1_11comp_targetILNS1_3genE2ELNS1_11target_archE906ELNS1_3gpuE6ELNS1_3repE0EEENS1_30default_config_static_selectorELNS0_4arch9wavefront6targetE1EEEvT1_,@function
_ZN7rocprim17ROCPRIM_400000_NS6detail17trampoline_kernelINS0_14default_configENS1_27scan_by_key_config_selectorIxxEEZZNS1_16scan_by_key_implILNS1_25lookback_scan_determinismE0ELb1ES3_N6thrust23THRUST_200600_302600_NS6detail15normal_iteratorINS9_10device_ptrIxEEEESE_SE_xNS9_4plusIxEE19head_flag_predicatexEE10hipError_tPvRmT2_T3_T4_T5_mT6_T7_P12ihipStream_tbENKUlT_T0_E_clISt17integral_constantIbLb1EESX_IbLb0EEEEDaST_SU_EUlST_E_NS1_11comp_targetILNS1_3genE2ELNS1_11target_archE906ELNS1_3gpuE6ELNS1_3repE0EEENS1_30default_config_static_selectorELNS0_4arch9wavefront6targetE1EEEvT1_: ; @_ZN7rocprim17ROCPRIM_400000_NS6detail17trampoline_kernelINS0_14default_configENS1_27scan_by_key_config_selectorIxxEEZZNS1_16scan_by_key_implILNS1_25lookback_scan_determinismE0ELb1ES3_N6thrust23THRUST_200600_302600_NS6detail15normal_iteratorINS9_10device_ptrIxEEEESE_SE_xNS9_4plusIxEE19head_flag_predicatexEE10hipError_tPvRmT2_T3_T4_T5_mT6_T7_P12ihipStream_tbENKUlT_T0_E_clISt17integral_constantIbLb1EESX_IbLb0EEEEDaST_SU_EUlST_E_NS1_11comp_targetILNS1_3genE2ELNS1_11target_archE906ELNS1_3gpuE6ELNS1_3repE0EEENS1_30default_config_static_selectorELNS0_4arch9wavefront6targetE1EEEvT1_
; %bb.0:
	.section	.rodata,"a",@progbits
	.p2align	6, 0x0
	.amdhsa_kernel _ZN7rocprim17ROCPRIM_400000_NS6detail17trampoline_kernelINS0_14default_configENS1_27scan_by_key_config_selectorIxxEEZZNS1_16scan_by_key_implILNS1_25lookback_scan_determinismE0ELb1ES3_N6thrust23THRUST_200600_302600_NS6detail15normal_iteratorINS9_10device_ptrIxEEEESE_SE_xNS9_4plusIxEE19head_flag_predicatexEE10hipError_tPvRmT2_T3_T4_T5_mT6_T7_P12ihipStream_tbENKUlT_T0_E_clISt17integral_constantIbLb1EESX_IbLb0EEEEDaST_SU_EUlST_E_NS1_11comp_targetILNS1_3genE2ELNS1_11target_archE906ELNS1_3gpuE6ELNS1_3repE0EEENS1_30default_config_static_selectorELNS0_4arch9wavefront6targetE1EEEvT1_
		.amdhsa_group_segment_fixed_size 0
		.amdhsa_private_segment_fixed_size 0
		.amdhsa_kernarg_size 136
		.amdhsa_user_sgpr_count 6
		.amdhsa_user_sgpr_private_segment_buffer 1
		.amdhsa_user_sgpr_dispatch_ptr 0
		.amdhsa_user_sgpr_queue_ptr 0
		.amdhsa_user_sgpr_kernarg_segment_ptr 1
		.amdhsa_user_sgpr_dispatch_id 0
		.amdhsa_user_sgpr_flat_scratch_init 0
		.amdhsa_user_sgpr_kernarg_preload_length 0
		.amdhsa_user_sgpr_kernarg_preload_offset 0
		.amdhsa_user_sgpr_private_segment_size 0
		.amdhsa_uses_dynamic_stack 0
		.amdhsa_system_sgpr_private_segment_wavefront_offset 0
		.amdhsa_system_sgpr_workgroup_id_x 1
		.amdhsa_system_sgpr_workgroup_id_y 0
		.amdhsa_system_sgpr_workgroup_id_z 0
		.amdhsa_system_sgpr_workgroup_info 0
		.amdhsa_system_vgpr_workitem_id 0
		.amdhsa_next_free_vgpr 1
		.amdhsa_next_free_sgpr 0
		.amdhsa_accum_offset 4
		.amdhsa_reserve_vcc 0
		.amdhsa_reserve_flat_scratch 0
		.amdhsa_float_round_mode_32 0
		.amdhsa_float_round_mode_16_64 0
		.amdhsa_float_denorm_mode_32 3
		.amdhsa_float_denorm_mode_16_64 3
		.amdhsa_dx10_clamp 1
		.amdhsa_ieee_mode 1
		.amdhsa_fp16_overflow 0
		.amdhsa_tg_split 0
		.amdhsa_exception_fp_ieee_invalid_op 0
		.amdhsa_exception_fp_denorm_src 0
		.amdhsa_exception_fp_ieee_div_zero 0
		.amdhsa_exception_fp_ieee_overflow 0
		.amdhsa_exception_fp_ieee_underflow 0
		.amdhsa_exception_fp_ieee_inexact 0
		.amdhsa_exception_int_div_zero 0
	.end_amdhsa_kernel
	.section	.text._ZN7rocprim17ROCPRIM_400000_NS6detail17trampoline_kernelINS0_14default_configENS1_27scan_by_key_config_selectorIxxEEZZNS1_16scan_by_key_implILNS1_25lookback_scan_determinismE0ELb1ES3_N6thrust23THRUST_200600_302600_NS6detail15normal_iteratorINS9_10device_ptrIxEEEESE_SE_xNS9_4plusIxEE19head_flag_predicatexEE10hipError_tPvRmT2_T3_T4_T5_mT6_T7_P12ihipStream_tbENKUlT_T0_E_clISt17integral_constantIbLb1EESX_IbLb0EEEEDaST_SU_EUlST_E_NS1_11comp_targetILNS1_3genE2ELNS1_11target_archE906ELNS1_3gpuE6ELNS1_3repE0EEENS1_30default_config_static_selectorELNS0_4arch9wavefront6targetE1EEEvT1_,"axG",@progbits,_ZN7rocprim17ROCPRIM_400000_NS6detail17trampoline_kernelINS0_14default_configENS1_27scan_by_key_config_selectorIxxEEZZNS1_16scan_by_key_implILNS1_25lookback_scan_determinismE0ELb1ES3_N6thrust23THRUST_200600_302600_NS6detail15normal_iteratorINS9_10device_ptrIxEEEESE_SE_xNS9_4plusIxEE19head_flag_predicatexEE10hipError_tPvRmT2_T3_T4_T5_mT6_T7_P12ihipStream_tbENKUlT_T0_E_clISt17integral_constantIbLb1EESX_IbLb0EEEEDaST_SU_EUlST_E_NS1_11comp_targetILNS1_3genE2ELNS1_11target_archE906ELNS1_3gpuE6ELNS1_3repE0EEENS1_30default_config_static_selectorELNS0_4arch9wavefront6targetE1EEEvT1_,comdat
.Lfunc_end736:
	.size	_ZN7rocprim17ROCPRIM_400000_NS6detail17trampoline_kernelINS0_14default_configENS1_27scan_by_key_config_selectorIxxEEZZNS1_16scan_by_key_implILNS1_25lookback_scan_determinismE0ELb1ES3_N6thrust23THRUST_200600_302600_NS6detail15normal_iteratorINS9_10device_ptrIxEEEESE_SE_xNS9_4plusIxEE19head_flag_predicatexEE10hipError_tPvRmT2_T3_T4_T5_mT6_T7_P12ihipStream_tbENKUlT_T0_E_clISt17integral_constantIbLb1EESX_IbLb0EEEEDaST_SU_EUlST_E_NS1_11comp_targetILNS1_3genE2ELNS1_11target_archE906ELNS1_3gpuE6ELNS1_3repE0EEENS1_30default_config_static_selectorELNS0_4arch9wavefront6targetE1EEEvT1_, .Lfunc_end736-_ZN7rocprim17ROCPRIM_400000_NS6detail17trampoline_kernelINS0_14default_configENS1_27scan_by_key_config_selectorIxxEEZZNS1_16scan_by_key_implILNS1_25lookback_scan_determinismE0ELb1ES3_N6thrust23THRUST_200600_302600_NS6detail15normal_iteratorINS9_10device_ptrIxEEEESE_SE_xNS9_4plusIxEE19head_flag_predicatexEE10hipError_tPvRmT2_T3_T4_T5_mT6_T7_P12ihipStream_tbENKUlT_T0_E_clISt17integral_constantIbLb1EESX_IbLb0EEEEDaST_SU_EUlST_E_NS1_11comp_targetILNS1_3genE2ELNS1_11target_archE906ELNS1_3gpuE6ELNS1_3repE0EEENS1_30default_config_static_selectorELNS0_4arch9wavefront6targetE1EEEvT1_
                                        ; -- End function
	.section	.AMDGPU.csdata,"",@progbits
; Kernel info:
; codeLenInByte = 0
; NumSgprs: 4
; NumVgprs: 0
; NumAgprs: 0
; TotalNumVgprs: 0
; ScratchSize: 0
; MemoryBound: 0
; FloatMode: 240
; IeeeMode: 1
; LDSByteSize: 0 bytes/workgroup (compile time only)
; SGPRBlocks: 0
; VGPRBlocks: 0
; NumSGPRsForWavesPerEU: 4
; NumVGPRsForWavesPerEU: 1
; AccumOffset: 4
; Occupancy: 8
; WaveLimiterHint : 0
; COMPUTE_PGM_RSRC2:SCRATCH_EN: 0
; COMPUTE_PGM_RSRC2:USER_SGPR: 6
; COMPUTE_PGM_RSRC2:TRAP_HANDLER: 0
; COMPUTE_PGM_RSRC2:TGID_X_EN: 1
; COMPUTE_PGM_RSRC2:TGID_Y_EN: 0
; COMPUTE_PGM_RSRC2:TGID_Z_EN: 0
; COMPUTE_PGM_RSRC2:TIDIG_COMP_CNT: 0
; COMPUTE_PGM_RSRC3_GFX90A:ACCUM_OFFSET: 0
; COMPUTE_PGM_RSRC3_GFX90A:TG_SPLIT: 0
	.section	.text._ZN7rocprim17ROCPRIM_400000_NS6detail17trampoline_kernelINS0_14default_configENS1_27scan_by_key_config_selectorIxxEEZZNS1_16scan_by_key_implILNS1_25lookback_scan_determinismE0ELb1ES3_N6thrust23THRUST_200600_302600_NS6detail15normal_iteratorINS9_10device_ptrIxEEEESE_SE_xNS9_4plusIxEE19head_flag_predicatexEE10hipError_tPvRmT2_T3_T4_T5_mT6_T7_P12ihipStream_tbENKUlT_T0_E_clISt17integral_constantIbLb1EESX_IbLb0EEEEDaST_SU_EUlST_E_NS1_11comp_targetILNS1_3genE10ELNS1_11target_archE1200ELNS1_3gpuE4ELNS1_3repE0EEENS1_30default_config_static_selectorELNS0_4arch9wavefront6targetE1EEEvT1_,"axG",@progbits,_ZN7rocprim17ROCPRIM_400000_NS6detail17trampoline_kernelINS0_14default_configENS1_27scan_by_key_config_selectorIxxEEZZNS1_16scan_by_key_implILNS1_25lookback_scan_determinismE0ELb1ES3_N6thrust23THRUST_200600_302600_NS6detail15normal_iteratorINS9_10device_ptrIxEEEESE_SE_xNS9_4plusIxEE19head_flag_predicatexEE10hipError_tPvRmT2_T3_T4_T5_mT6_T7_P12ihipStream_tbENKUlT_T0_E_clISt17integral_constantIbLb1EESX_IbLb0EEEEDaST_SU_EUlST_E_NS1_11comp_targetILNS1_3genE10ELNS1_11target_archE1200ELNS1_3gpuE4ELNS1_3repE0EEENS1_30default_config_static_selectorELNS0_4arch9wavefront6targetE1EEEvT1_,comdat
	.protected	_ZN7rocprim17ROCPRIM_400000_NS6detail17trampoline_kernelINS0_14default_configENS1_27scan_by_key_config_selectorIxxEEZZNS1_16scan_by_key_implILNS1_25lookback_scan_determinismE0ELb1ES3_N6thrust23THRUST_200600_302600_NS6detail15normal_iteratorINS9_10device_ptrIxEEEESE_SE_xNS9_4plusIxEE19head_flag_predicatexEE10hipError_tPvRmT2_T3_T4_T5_mT6_T7_P12ihipStream_tbENKUlT_T0_E_clISt17integral_constantIbLb1EESX_IbLb0EEEEDaST_SU_EUlST_E_NS1_11comp_targetILNS1_3genE10ELNS1_11target_archE1200ELNS1_3gpuE4ELNS1_3repE0EEENS1_30default_config_static_selectorELNS0_4arch9wavefront6targetE1EEEvT1_ ; -- Begin function _ZN7rocprim17ROCPRIM_400000_NS6detail17trampoline_kernelINS0_14default_configENS1_27scan_by_key_config_selectorIxxEEZZNS1_16scan_by_key_implILNS1_25lookback_scan_determinismE0ELb1ES3_N6thrust23THRUST_200600_302600_NS6detail15normal_iteratorINS9_10device_ptrIxEEEESE_SE_xNS9_4plusIxEE19head_flag_predicatexEE10hipError_tPvRmT2_T3_T4_T5_mT6_T7_P12ihipStream_tbENKUlT_T0_E_clISt17integral_constantIbLb1EESX_IbLb0EEEEDaST_SU_EUlST_E_NS1_11comp_targetILNS1_3genE10ELNS1_11target_archE1200ELNS1_3gpuE4ELNS1_3repE0EEENS1_30default_config_static_selectorELNS0_4arch9wavefront6targetE1EEEvT1_
	.globl	_ZN7rocprim17ROCPRIM_400000_NS6detail17trampoline_kernelINS0_14default_configENS1_27scan_by_key_config_selectorIxxEEZZNS1_16scan_by_key_implILNS1_25lookback_scan_determinismE0ELb1ES3_N6thrust23THRUST_200600_302600_NS6detail15normal_iteratorINS9_10device_ptrIxEEEESE_SE_xNS9_4plusIxEE19head_flag_predicatexEE10hipError_tPvRmT2_T3_T4_T5_mT6_T7_P12ihipStream_tbENKUlT_T0_E_clISt17integral_constantIbLb1EESX_IbLb0EEEEDaST_SU_EUlST_E_NS1_11comp_targetILNS1_3genE10ELNS1_11target_archE1200ELNS1_3gpuE4ELNS1_3repE0EEENS1_30default_config_static_selectorELNS0_4arch9wavefront6targetE1EEEvT1_
	.p2align	8
	.type	_ZN7rocprim17ROCPRIM_400000_NS6detail17trampoline_kernelINS0_14default_configENS1_27scan_by_key_config_selectorIxxEEZZNS1_16scan_by_key_implILNS1_25lookback_scan_determinismE0ELb1ES3_N6thrust23THRUST_200600_302600_NS6detail15normal_iteratorINS9_10device_ptrIxEEEESE_SE_xNS9_4plusIxEE19head_flag_predicatexEE10hipError_tPvRmT2_T3_T4_T5_mT6_T7_P12ihipStream_tbENKUlT_T0_E_clISt17integral_constantIbLb1EESX_IbLb0EEEEDaST_SU_EUlST_E_NS1_11comp_targetILNS1_3genE10ELNS1_11target_archE1200ELNS1_3gpuE4ELNS1_3repE0EEENS1_30default_config_static_selectorELNS0_4arch9wavefront6targetE1EEEvT1_,@function
_ZN7rocprim17ROCPRIM_400000_NS6detail17trampoline_kernelINS0_14default_configENS1_27scan_by_key_config_selectorIxxEEZZNS1_16scan_by_key_implILNS1_25lookback_scan_determinismE0ELb1ES3_N6thrust23THRUST_200600_302600_NS6detail15normal_iteratorINS9_10device_ptrIxEEEESE_SE_xNS9_4plusIxEE19head_flag_predicatexEE10hipError_tPvRmT2_T3_T4_T5_mT6_T7_P12ihipStream_tbENKUlT_T0_E_clISt17integral_constantIbLb1EESX_IbLb0EEEEDaST_SU_EUlST_E_NS1_11comp_targetILNS1_3genE10ELNS1_11target_archE1200ELNS1_3gpuE4ELNS1_3repE0EEENS1_30default_config_static_selectorELNS0_4arch9wavefront6targetE1EEEvT1_: ; @_ZN7rocprim17ROCPRIM_400000_NS6detail17trampoline_kernelINS0_14default_configENS1_27scan_by_key_config_selectorIxxEEZZNS1_16scan_by_key_implILNS1_25lookback_scan_determinismE0ELb1ES3_N6thrust23THRUST_200600_302600_NS6detail15normal_iteratorINS9_10device_ptrIxEEEESE_SE_xNS9_4plusIxEE19head_flag_predicatexEE10hipError_tPvRmT2_T3_T4_T5_mT6_T7_P12ihipStream_tbENKUlT_T0_E_clISt17integral_constantIbLb1EESX_IbLb0EEEEDaST_SU_EUlST_E_NS1_11comp_targetILNS1_3genE10ELNS1_11target_archE1200ELNS1_3gpuE4ELNS1_3repE0EEENS1_30default_config_static_selectorELNS0_4arch9wavefront6targetE1EEEvT1_
; %bb.0:
	.section	.rodata,"a",@progbits
	.p2align	6, 0x0
	.amdhsa_kernel _ZN7rocprim17ROCPRIM_400000_NS6detail17trampoline_kernelINS0_14default_configENS1_27scan_by_key_config_selectorIxxEEZZNS1_16scan_by_key_implILNS1_25lookback_scan_determinismE0ELb1ES3_N6thrust23THRUST_200600_302600_NS6detail15normal_iteratorINS9_10device_ptrIxEEEESE_SE_xNS9_4plusIxEE19head_flag_predicatexEE10hipError_tPvRmT2_T3_T4_T5_mT6_T7_P12ihipStream_tbENKUlT_T0_E_clISt17integral_constantIbLb1EESX_IbLb0EEEEDaST_SU_EUlST_E_NS1_11comp_targetILNS1_3genE10ELNS1_11target_archE1200ELNS1_3gpuE4ELNS1_3repE0EEENS1_30default_config_static_selectorELNS0_4arch9wavefront6targetE1EEEvT1_
		.amdhsa_group_segment_fixed_size 0
		.amdhsa_private_segment_fixed_size 0
		.amdhsa_kernarg_size 136
		.amdhsa_user_sgpr_count 6
		.amdhsa_user_sgpr_private_segment_buffer 1
		.amdhsa_user_sgpr_dispatch_ptr 0
		.amdhsa_user_sgpr_queue_ptr 0
		.amdhsa_user_sgpr_kernarg_segment_ptr 1
		.amdhsa_user_sgpr_dispatch_id 0
		.amdhsa_user_sgpr_flat_scratch_init 0
		.amdhsa_user_sgpr_kernarg_preload_length 0
		.amdhsa_user_sgpr_kernarg_preload_offset 0
		.amdhsa_user_sgpr_private_segment_size 0
		.amdhsa_uses_dynamic_stack 0
		.amdhsa_system_sgpr_private_segment_wavefront_offset 0
		.amdhsa_system_sgpr_workgroup_id_x 1
		.amdhsa_system_sgpr_workgroup_id_y 0
		.amdhsa_system_sgpr_workgroup_id_z 0
		.amdhsa_system_sgpr_workgroup_info 0
		.amdhsa_system_vgpr_workitem_id 0
		.amdhsa_next_free_vgpr 1
		.amdhsa_next_free_sgpr 0
		.amdhsa_accum_offset 4
		.amdhsa_reserve_vcc 0
		.amdhsa_reserve_flat_scratch 0
		.amdhsa_float_round_mode_32 0
		.amdhsa_float_round_mode_16_64 0
		.amdhsa_float_denorm_mode_32 3
		.amdhsa_float_denorm_mode_16_64 3
		.amdhsa_dx10_clamp 1
		.amdhsa_ieee_mode 1
		.amdhsa_fp16_overflow 0
		.amdhsa_tg_split 0
		.amdhsa_exception_fp_ieee_invalid_op 0
		.amdhsa_exception_fp_denorm_src 0
		.amdhsa_exception_fp_ieee_div_zero 0
		.amdhsa_exception_fp_ieee_overflow 0
		.amdhsa_exception_fp_ieee_underflow 0
		.amdhsa_exception_fp_ieee_inexact 0
		.amdhsa_exception_int_div_zero 0
	.end_amdhsa_kernel
	.section	.text._ZN7rocprim17ROCPRIM_400000_NS6detail17trampoline_kernelINS0_14default_configENS1_27scan_by_key_config_selectorIxxEEZZNS1_16scan_by_key_implILNS1_25lookback_scan_determinismE0ELb1ES3_N6thrust23THRUST_200600_302600_NS6detail15normal_iteratorINS9_10device_ptrIxEEEESE_SE_xNS9_4plusIxEE19head_flag_predicatexEE10hipError_tPvRmT2_T3_T4_T5_mT6_T7_P12ihipStream_tbENKUlT_T0_E_clISt17integral_constantIbLb1EESX_IbLb0EEEEDaST_SU_EUlST_E_NS1_11comp_targetILNS1_3genE10ELNS1_11target_archE1200ELNS1_3gpuE4ELNS1_3repE0EEENS1_30default_config_static_selectorELNS0_4arch9wavefront6targetE1EEEvT1_,"axG",@progbits,_ZN7rocprim17ROCPRIM_400000_NS6detail17trampoline_kernelINS0_14default_configENS1_27scan_by_key_config_selectorIxxEEZZNS1_16scan_by_key_implILNS1_25lookback_scan_determinismE0ELb1ES3_N6thrust23THRUST_200600_302600_NS6detail15normal_iteratorINS9_10device_ptrIxEEEESE_SE_xNS9_4plusIxEE19head_flag_predicatexEE10hipError_tPvRmT2_T3_T4_T5_mT6_T7_P12ihipStream_tbENKUlT_T0_E_clISt17integral_constantIbLb1EESX_IbLb0EEEEDaST_SU_EUlST_E_NS1_11comp_targetILNS1_3genE10ELNS1_11target_archE1200ELNS1_3gpuE4ELNS1_3repE0EEENS1_30default_config_static_selectorELNS0_4arch9wavefront6targetE1EEEvT1_,comdat
.Lfunc_end737:
	.size	_ZN7rocprim17ROCPRIM_400000_NS6detail17trampoline_kernelINS0_14default_configENS1_27scan_by_key_config_selectorIxxEEZZNS1_16scan_by_key_implILNS1_25lookback_scan_determinismE0ELb1ES3_N6thrust23THRUST_200600_302600_NS6detail15normal_iteratorINS9_10device_ptrIxEEEESE_SE_xNS9_4plusIxEE19head_flag_predicatexEE10hipError_tPvRmT2_T3_T4_T5_mT6_T7_P12ihipStream_tbENKUlT_T0_E_clISt17integral_constantIbLb1EESX_IbLb0EEEEDaST_SU_EUlST_E_NS1_11comp_targetILNS1_3genE10ELNS1_11target_archE1200ELNS1_3gpuE4ELNS1_3repE0EEENS1_30default_config_static_selectorELNS0_4arch9wavefront6targetE1EEEvT1_, .Lfunc_end737-_ZN7rocprim17ROCPRIM_400000_NS6detail17trampoline_kernelINS0_14default_configENS1_27scan_by_key_config_selectorIxxEEZZNS1_16scan_by_key_implILNS1_25lookback_scan_determinismE0ELb1ES3_N6thrust23THRUST_200600_302600_NS6detail15normal_iteratorINS9_10device_ptrIxEEEESE_SE_xNS9_4plusIxEE19head_flag_predicatexEE10hipError_tPvRmT2_T3_T4_T5_mT6_T7_P12ihipStream_tbENKUlT_T0_E_clISt17integral_constantIbLb1EESX_IbLb0EEEEDaST_SU_EUlST_E_NS1_11comp_targetILNS1_3genE10ELNS1_11target_archE1200ELNS1_3gpuE4ELNS1_3repE0EEENS1_30default_config_static_selectorELNS0_4arch9wavefront6targetE1EEEvT1_
                                        ; -- End function
	.section	.AMDGPU.csdata,"",@progbits
; Kernel info:
; codeLenInByte = 0
; NumSgprs: 4
; NumVgprs: 0
; NumAgprs: 0
; TotalNumVgprs: 0
; ScratchSize: 0
; MemoryBound: 0
; FloatMode: 240
; IeeeMode: 1
; LDSByteSize: 0 bytes/workgroup (compile time only)
; SGPRBlocks: 0
; VGPRBlocks: 0
; NumSGPRsForWavesPerEU: 4
; NumVGPRsForWavesPerEU: 1
; AccumOffset: 4
; Occupancy: 8
; WaveLimiterHint : 0
; COMPUTE_PGM_RSRC2:SCRATCH_EN: 0
; COMPUTE_PGM_RSRC2:USER_SGPR: 6
; COMPUTE_PGM_RSRC2:TRAP_HANDLER: 0
; COMPUTE_PGM_RSRC2:TGID_X_EN: 1
; COMPUTE_PGM_RSRC2:TGID_Y_EN: 0
; COMPUTE_PGM_RSRC2:TGID_Z_EN: 0
; COMPUTE_PGM_RSRC2:TIDIG_COMP_CNT: 0
; COMPUTE_PGM_RSRC3_GFX90A:ACCUM_OFFSET: 0
; COMPUTE_PGM_RSRC3_GFX90A:TG_SPLIT: 0
	.section	.text._ZN7rocprim17ROCPRIM_400000_NS6detail17trampoline_kernelINS0_14default_configENS1_27scan_by_key_config_selectorIxxEEZZNS1_16scan_by_key_implILNS1_25lookback_scan_determinismE0ELb1ES3_N6thrust23THRUST_200600_302600_NS6detail15normal_iteratorINS9_10device_ptrIxEEEESE_SE_xNS9_4plusIxEE19head_flag_predicatexEE10hipError_tPvRmT2_T3_T4_T5_mT6_T7_P12ihipStream_tbENKUlT_T0_E_clISt17integral_constantIbLb1EESX_IbLb0EEEEDaST_SU_EUlST_E_NS1_11comp_targetILNS1_3genE9ELNS1_11target_archE1100ELNS1_3gpuE3ELNS1_3repE0EEENS1_30default_config_static_selectorELNS0_4arch9wavefront6targetE1EEEvT1_,"axG",@progbits,_ZN7rocprim17ROCPRIM_400000_NS6detail17trampoline_kernelINS0_14default_configENS1_27scan_by_key_config_selectorIxxEEZZNS1_16scan_by_key_implILNS1_25lookback_scan_determinismE0ELb1ES3_N6thrust23THRUST_200600_302600_NS6detail15normal_iteratorINS9_10device_ptrIxEEEESE_SE_xNS9_4plusIxEE19head_flag_predicatexEE10hipError_tPvRmT2_T3_T4_T5_mT6_T7_P12ihipStream_tbENKUlT_T0_E_clISt17integral_constantIbLb1EESX_IbLb0EEEEDaST_SU_EUlST_E_NS1_11comp_targetILNS1_3genE9ELNS1_11target_archE1100ELNS1_3gpuE3ELNS1_3repE0EEENS1_30default_config_static_selectorELNS0_4arch9wavefront6targetE1EEEvT1_,comdat
	.protected	_ZN7rocprim17ROCPRIM_400000_NS6detail17trampoline_kernelINS0_14default_configENS1_27scan_by_key_config_selectorIxxEEZZNS1_16scan_by_key_implILNS1_25lookback_scan_determinismE0ELb1ES3_N6thrust23THRUST_200600_302600_NS6detail15normal_iteratorINS9_10device_ptrIxEEEESE_SE_xNS9_4plusIxEE19head_flag_predicatexEE10hipError_tPvRmT2_T3_T4_T5_mT6_T7_P12ihipStream_tbENKUlT_T0_E_clISt17integral_constantIbLb1EESX_IbLb0EEEEDaST_SU_EUlST_E_NS1_11comp_targetILNS1_3genE9ELNS1_11target_archE1100ELNS1_3gpuE3ELNS1_3repE0EEENS1_30default_config_static_selectorELNS0_4arch9wavefront6targetE1EEEvT1_ ; -- Begin function _ZN7rocprim17ROCPRIM_400000_NS6detail17trampoline_kernelINS0_14default_configENS1_27scan_by_key_config_selectorIxxEEZZNS1_16scan_by_key_implILNS1_25lookback_scan_determinismE0ELb1ES3_N6thrust23THRUST_200600_302600_NS6detail15normal_iteratorINS9_10device_ptrIxEEEESE_SE_xNS9_4plusIxEE19head_flag_predicatexEE10hipError_tPvRmT2_T3_T4_T5_mT6_T7_P12ihipStream_tbENKUlT_T0_E_clISt17integral_constantIbLb1EESX_IbLb0EEEEDaST_SU_EUlST_E_NS1_11comp_targetILNS1_3genE9ELNS1_11target_archE1100ELNS1_3gpuE3ELNS1_3repE0EEENS1_30default_config_static_selectorELNS0_4arch9wavefront6targetE1EEEvT1_
	.globl	_ZN7rocprim17ROCPRIM_400000_NS6detail17trampoline_kernelINS0_14default_configENS1_27scan_by_key_config_selectorIxxEEZZNS1_16scan_by_key_implILNS1_25lookback_scan_determinismE0ELb1ES3_N6thrust23THRUST_200600_302600_NS6detail15normal_iteratorINS9_10device_ptrIxEEEESE_SE_xNS9_4plusIxEE19head_flag_predicatexEE10hipError_tPvRmT2_T3_T4_T5_mT6_T7_P12ihipStream_tbENKUlT_T0_E_clISt17integral_constantIbLb1EESX_IbLb0EEEEDaST_SU_EUlST_E_NS1_11comp_targetILNS1_3genE9ELNS1_11target_archE1100ELNS1_3gpuE3ELNS1_3repE0EEENS1_30default_config_static_selectorELNS0_4arch9wavefront6targetE1EEEvT1_
	.p2align	8
	.type	_ZN7rocprim17ROCPRIM_400000_NS6detail17trampoline_kernelINS0_14default_configENS1_27scan_by_key_config_selectorIxxEEZZNS1_16scan_by_key_implILNS1_25lookback_scan_determinismE0ELb1ES3_N6thrust23THRUST_200600_302600_NS6detail15normal_iteratorINS9_10device_ptrIxEEEESE_SE_xNS9_4plusIxEE19head_flag_predicatexEE10hipError_tPvRmT2_T3_T4_T5_mT6_T7_P12ihipStream_tbENKUlT_T0_E_clISt17integral_constantIbLb1EESX_IbLb0EEEEDaST_SU_EUlST_E_NS1_11comp_targetILNS1_3genE9ELNS1_11target_archE1100ELNS1_3gpuE3ELNS1_3repE0EEENS1_30default_config_static_selectorELNS0_4arch9wavefront6targetE1EEEvT1_,@function
_ZN7rocprim17ROCPRIM_400000_NS6detail17trampoline_kernelINS0_14default_configENS1_27scan_by_key_config_selectorIxxEEZZNS1_16scan_by_key_implILNS1_25lookback_scan_determinismE0ELb1ES3_N6thrust23THRUST_200600_302600_NS6detail15normal_iteratorINS9_10device_ptrIxEEEESE_SE_xNS9_4plusIxEE19head_flag_predicatexEE10hipError_tPvRmT2_T3_T4_T5_mT6_T7_P12ihipStream_tbENKUlT_T0_E_clISt17integral_constantIbLb1EESX_IbLb0EEEEDaST_SU_EUlST_E_NS1_11comp_targetILNS1_3genE9ELNS1_11target_archE1100ELNS1_3gpuE3ELNS1_3repE0EEENS1_30default_config_static_selectorELNS0_4arch9wavefront6targetE1EEEvT1_: ; @_ZN7rocprim17ROCPRIM_400000_NS6detail17trampoline_kernelINS0_14default_configENS1_27scan_by_key_config_selectorIxxEEZZNS1_16scan_by_key_implILNS1_25lookback_scan_determinismE0ELb1ES3_N6thrust23THRUST_200600_302600_NS6detail15normal_iteratorINS9_10device_ptrIxEEEESE_SE_xNS9_4plusIxEE19head_flag_predicatexEE10hipError_tPvRmT2_T3_T4_T5_mT6_T7_P12ihipStream_tbENKUlT_T0_E_clISt17integral_constantIbLb1EESX_IbLb0EEEEDaST_SU_EUlST_E_NS1_11comp_targetILNS1_3genE9ELNS1_11target_archE1100ELNS1_3gpuE3ELNS1_3repE0EEENS1_30default_config_static_selectorELNS0_4arch9wavefront6targetE1EEEvT1_
; %bb.0:
	.section	.rodata,"a",@progbits
	.p2align	6, 0x0
	.amdhsa_kernel _ZN7rocprim17ROCPRIM_400000_NS6detail17trampoline_kernelINS0_14default_configENS1_27scan_by_key_config_selectorIxxEEZZNS1_16scan_by_key_implILNS1_25lookback_scan_determinismE0ELb1ES3_N6thrust23THRUST_200600_302600_NS6detail15normal_iteratorINS9_10device_ptrIxEEEESE_SE_xNS9_4plusIxEE19head_flag_predicatexEE10hipError_tPvRmT2_T3_T4_T5_mT6_T7_P12ihipStream_tbENKUlT_T0_E_clISt17integral_constantIbLb1EESX_IbLb0EEEEDaST_SU_EUlST_E_NS1_11comp_targetILNS1_3genE9ELNS1_11target_archE1100ELNS1_3gpuE3ELNS1_3repE0EEENS1_30default_config_static_selectorELNS0_4arch9wavefront6targetE1EEEvT1_
		.amdhsa_group_segment_fixed_size 0
		.amdhsa_private_segment_fixed_size 0
		.amdhsa_kernarg_size 136
		.amdhsa_user_sgpr_count 6
		.amdhsa_user_sgpr_private_segment_buffer 1
		.amdhsa_user_sgpr_dispatch_ptr 0
		.amdhsa_user_sgpr_queue_ptr 0
		.amdhsa_user_sgpr_kernarg_segment_ptr 1
		.amdhsa_user_sgpr_dispatch_id 0
		.amdhsa_user_sgpr_flat_scratch_init 0
		.amdhsa_user_sgpr_kernarg_preload_length 0
		.amdhsa_user_sgpr_kernarg_preload_offset 0
		.amdhsa_user_sgpr_private_segment_size 0
		.amdhsa_uses_dynamic_stack 0
		.amdhsa_system_sgpr_private_segment_wavefront_offset 0
		.amdhsa_system_sgpr_workgroup_id_x 1
		.amdhsa_system_sgpr_workgroup_id_y 0
		.amdhsa_system_sgpr_workgroup_id_z 0
		.amdhsa_system_sgpr_workgroup_info 0
		.amdhsa_system_vgpr_workitem_id 0
		.amdhsa_next_free_vgpr 1
		.amdhsa_next_free_sgpr 0
		.amdhsa_accum_offset 4
		.amdhsa_reserve_vcc 0
		.amdhsa_reserve_flat_scratch 0
		.amdhsa_float_round_mode_32 0
		.amdhsa_float_round_mode_16_64 0
		.amdhsa_float_denorm_mode_32 3
		.amdhsa_float_denorm_mode_16_64 3
		.amdhsa_dx10_clamp 1
		.amdhsa_ieee_mode 1
		.amdhsa_fp16_overflow 0
		.amdhsa_tg_split 0
		.amdhsa_exception_fp_ieee_invalid_op 0
		.amdhsa_exception_fp_denorm_src 0
		.amdhsa_exception_fp_ieee_div_zero 0
		.amdhsa_exception_fp_ieee_overflow 0
		.amdhsa_exception_fp_ieee_underflow 0
		.amdhsa_exception_fp_ieee_inexact 0
		.amdhsa_exception_int_div_zero 0
	.end_amdhsa_kernel
	.section	.text._ZN7rocprim17ROCPRIM_400000_NS6detail17trampoline_kernelINS0_14default_configENS1_27scan_by_key_config_selectorIxxEEZZNS1_16scan_by_key_implILNS1_25lookback_scan_determinismE0ELb1ES3_N6thrust23THRUST_200600_302600_NS6detail15normal_iteratorINS9_10device_ptrIxEEEESE_SE_xNS9_4plusIxEE19head_flag_predicatexEE10hipError_tPvRmT2_T3_T4_T5_mT6_T7_P12ihipStream_tbENKUlT_T0_E_clISt17integral_constantIbLb1EESX_IbLb0EEEEDaST_SU_EUlST_E_NS1_11comp_targetILNS1_3genE9ELNS1_11target_archE1100ELNS1_3gpuE3ELNS1_3repE0EEENS1_30default_config_static_selectorELNS0_4arch9wavefront6targetE1EEEvT1_,"axG",@progbits,_ZN7rocprim17ROCPRIM_400000_NS6detail17trampoline_kernelINS0_14default_configENS1_27scan_by_key_config_selectorIxxEEZZNS1_16scan_by_key_implILNS1_25lookback_scan_determinismE0ELb1ES3_N6thrust23THRUST_200600_302600_NS6detail15normal_iteratorINS9_10device_ptrIxEEEESE_SE_xNS9_4plusIxEE19head_flag_predicatexEE10hipError_tPvRmT2_T3_T4_T5_mT6_T7_P12ihipStream_tbENKUlT_T0_E_clISt17integral_constantIbLb1EESX_IbLb0EEEEDaST_SU_EUlST_E_NS1_11comp_targetILNS1_3genE9ELNS1_11target_archE1100ELNS1_3gpuE3ELNS1_3repE0EEENS1_30default_config_static_selectorELNS0_4arch9wavefront6targetE1EEEvT1_,comdat
.Lfunc_end738:
	.size	_ZN7rocprim17ROCPRIM_400000_NS6detail17trampoline_kernelINS0_14default_configENS1_27scan_by_key_config_selectorIxxEEZZNS1_16scan_by_key_implILNS1_25lookback_scan_determinismE0ELb1ES3_N6thrust23THRUST_200600_302600_NS6detail15normal_iteratorINS9_10device_ptrIxEEEESE_SE_xNS9_4plusIxEE19head_flag_predicatexEE10hipError_tPvRmT2_T3_T4_T5_mT6_T7_P12ihipStream_tbENKUlT_T0_E_clISt17integral_constantIbLb1EESX_IbLb0EEEEDaST_SU_EUlST_E_NS1_11comp_targetILNS1_3genE9ELNS1_11target_archE1100ELNS1_3gpuE3ELNS1_3repE0EEENS1_30default_config_static_selectorELNS0_4arch9wavefront6targetE1EEEvT1_, .Lfunc_end738-_ZN7rocprim17ROCPRIM_400000_NS6detail17trampoline_kernelINS0_14default_configENS1_27scan_by_key_config_selectorIxxEEZZNS1_16scan_by_key_implILNS1_25lookback_scan_determinismE0ELb1ES3_N6thrust23THRUST_200600_302600_NS6detail15normal_iteratorINS9_10device_ptrIxEEEESE_SE_xNS9_4plusIxEE19head_flag_predicatexEE10hipError_tPvRmT2_T3_T4_T5_mT6_T7_P12ihipStream_tbENKUlT_T0_E_clISt17integral_constantIbLb1EESX_IbLb0EEEEDaST_SU_EUlST_E_NS1_11comp_targetILNS1_3genE9ELNS1_11target_archE1100ELNS1_3gpuE3ELNS1_3repE0EEENS1_30default_config_static_selectorELNS0_4arch9wavefront6targetE1EEEvT1_
                                        ; -- End function
	.section	.AMDGPU.csdata,"",@progbits
; Kernel info:
; codeLenInByte = 0
; NumSgprs: 4
; NumVgprs: 0
; NumAgprs: 0
; TotalNumVgprs: 0
; ScratchSize: 0
; MemoryBound: 0
; FloatMode: 240
; IeeeMode: 1
; LDSByteSize: 0 bytes/workgroup (compile time only)
; SGPRBlocks: 0
; VGPRBlocks: 0
; NumSGPRsForWavesPerEU: 4
; NumVGPRsForWavesPerEU: 1
; AccumOffset: 4
; Occupancy: 8
; WaveLimiterHint : 0
; COMPUTE_PGM_RSRC2:SCRATCH_EN: 0
; COMPUTE_PGM_RSRC2:USER_SGPR: 6
; COMPUTE_PGM_RSRC2:TRAP_HANDLER: 0
; COMPUTE_PGM_RSRC2:TGID_X_EN: 1
; COMPUTE_PGM_RSRC2:TGID_Y_EN: 0
; COMPUTE_PGM_RSRC2:TGID_Z_EN: 0
; COMPUTE_PGM_RSRC2:TIDIG_COMP_CNT: 0
; COMPUTE_PGM_RSRC3_GFX90A:ACCUM_OFFSET: 0
; COMPUTE_PGM_RSRC3_GFX90A:TG_SPLIT: 0
	.section	.text._ZN7rocprim17ROCPRIM_400000_NS6detail17trampoline_kernelINS0_14default_configENS1_27scan_by_key_config_selectorIxxEEZZNS1_16scan_by_key_implILNS1_25lookback_scan_determinismE0ELb1ES3_N6thrust23THRUST_200600_302600_NS6detail15normal_iteratorINS9_10device_ptrIxEEEESE_SE_xNS9_4plusIxEE19head_flag_predicatexEE10hipError_tPvRmT2_T3_T4_T5_mT6_T7_P12ihipStream_tbENKUlT_T0_E_clISt17integral_constantIbLb1EESX_IbLb0EEEEDaST_SU_EUlST_E_NS1_11comp_targetILNS1_3genE8ELNS1_11target_archE1030ELNS1_3gpuE2ELNS1_3repE0EEENS1_30default_config_static_selectorELNS0_4arch9wavefront6targetE1EEEvT1_,"axG",@progbits,_ZN7rocprim17ROCPRIM_400000_NS6detail17trampoline_kernelINS0_14default_configENS1_27scan_by_key_config_selectorIxxEEZZNS1_16scan_by_key_implILNS1_25lookback_scan_determinismE0ELb1ES3_N6thrust23THRUST_200600_302600_NS6detail15normal_iteratorINS9_10device_ptrIxEEEESE_SE_xNS9_4plusIxEE19head_flag_predicatexEE10hipError_tPvRmT2_T3_T4_T5_mT6_T7_P12ihipStream_tbENKUlT_T0_E_clISt17integral_constantIbLb1EESX_IbLb0EEEEDaST_SU_EUlST_E_NS1_11comp_targetILNS1_3genE8ELNS1_11target_archE1030ELNS1_3gpuE2ELNS1_3repE0EEENS1_30default_config_static_selectorELNS0_4arch9wavefront6targetE1EEEvT1_,comdat
	.protected	_ZN7rocprim17ROCPRIM_400000_NS6detail17trampoline_kernelINS0_14default_configENS1_27scan_by_key_config_selectorIxxEEZZNS1_16scan_by_key_implILNS1_25lookback_scan_determinismE0ELb1ES3_N6thrust23THRUST_200600_302600_NS6detail15normal_iteratorINS9_10device_ptrIxEEEESE_SE_xNS9_4plusIxEE19head_flag_predicatexEE10hipError_tPvRmT2_T3_T4_T5_mT6_T7_P12ihipStream_tbENKUlT_T0_E_clISt17integral_constantIbLb1EESX_IbLb0EEEEDaST_SU_EUlST_E_NS1_11comp_targetILNS1_3genE8ELNS1_11target_archE1030ELNS1_3gpuE2ELNS1_3repE0EEENS1_30default_config_static_selectorELNS0_4arch9wavefront6targetE1EEEvT1_ ; -- Begin function _ZN7rocprim17ROCPRIM_400000_NS6detail17trampoline_kernelINS0_14default_configENS1_27scan_by_key_config_selectorIxxEEZZNS1_16scan_by_key_implILNS1_25lookback_scan_determinismE0ELb1ES3_N6thrust23THRUST_200600_302600_NS6detail15normal_iteratorINS9_10device_ptrIxEEEESE_SE_xNS9_4plusIxEE19head_flag_predicatexEE10hipError_tPvRmT2_T3_T4_T5_mT6_T7_P12ihipStream_tbENKUlT_T0_E_clISt17integral_constantIbLb1EESX_IbLb0EEEEDaST_SU_EUlST_E_NS1_11comp_targetILNS1_3genE8ELNS1_11target_archE1030ELNS1_3gpuE2ELNS1_3repE0EEENS1_30default_config_static_selectorELNS0_4arch9wavefront6targetE1EEEvT1_
	.globl	_ZN7rocprim17ROCPRIM_400000_NS6detail17trampoline_kernelINS0_14default_configENS1_27scan_by_key_config_selectorIxxEEZZNS1_16scan_by_key_implILNS1_25lookback_scan_determinismE0ELb1ES3_N6thrust23THRUST_200600_302600_NS6detail15normal_iteratorINS9_10device_ptrIxEEEESE_SE_xNS9_4plusIxEE19head_flag_predicatexEE10hipError_tPvRmT2_T3_T4_T5_mT6_T7_P12ihipStream_tbENKUlT_T0_E_clISt17integral_constantIbLb1EESX_IbLb0EEEEDaST_SU_EUlST_E_NS1_11comp_targetILNS1_3genE8ELNS1_11target_archE1030ELNS1_3gpuE2ELNS1_3repE0EEENS1_30default_config_static_selectorELNS0_4arch9wavefront6targetE1EEEvT1_
	.p2align	8
	.type	_ZN7rocprim17ROCPRIM_400000_NS6detail17trampoline_kernelINS0_14default_configENS1_27scan_by_key_config_selectorIxxEEZZNS1_16scan_by_key_implILNS1_25lookback_scan_determinismE0ELb1ES3_N6thrust23THRUST_200600_302600_NS6detail15normal_iteratorINS9_10device_ptrIxEEEESE_SE_xNS9_4plusIxEE19head_flag_predicatexEE10hipError_tPvRmT2_T3_T4_T5_mT6_T7_P12ihipStream_tbENKUlT_T0_E_clISt17integral_constantIbLb1EESX_IbLb0EEEEDaST_SU_EUlST_E_NS1_11comp_targetILNS1_3genE8ELNS1_11target_archE1030ELNS1_3gpuE2ELNS1_3repE0EEENS1_30default_config_static_selectorELNS0_4arch9wavefront6targetE1EEEvT1_,@function
_ZN7rocprim17ROCPRIM_400000_NS6detail17trampoline_kernelINS0_14default_configENS1_27scan_by_key_config_selectorIxxEEZZNS1_16scan_by_key_implILNS1_25lookback_scan_determinismE0ELb1ES3_N6thrust23THRUST_200600_302600_NS6detail15normal_iteratorINS9_10device_ptrIxEEEESE_SE_xNS9_4plusIxEE19head_flag_predicatexEE10hipError_tPvRmT2_T3_T4_T5_mT6_T7_P12ihipStream_tbENKUlT_T0_E_clISt17integral_constantIbLb1EESX_IbLb0EEEEDaST_SU_EUlST_E_NS1_11comp_targetILNS1_3genE8ELNS1_11target_archE1030ELNS1_3gpuE2ELNS1_3repE0EEENS1_30default_config_static_selectorELNS0_4arch9wavefront6targetE1EEEvT1_: ; @_ZN7rocprim17ROCPRIM_400000_NS6detail17trampoline_kernelINS0_14default_configENS1_27scan_by_key_config_selectorIxxEEZZNS1_16scan_by_key_implILNS1_25lookback_scan_determinismE0ELb1ES3_N6thrust23THRUST_200600_302600_NS6detail15normal_iteratorINS9_10device_ptrIxEEEESE_SE_xNS9_4plusIxEE19head_flag_predicatexEE10hipError_tPvRmT2_T3_T4_T5_mT6_T7_P12ihipStream_tbENKUlT_T0_E_clISt17integral_constantIbLb1EESX_IbLb0EEEEDaST_SU_EUlST_E_NS1_11comp_targetILNS1_3genE8ELNS1_11target_archE1030ELNS1_3gpuE2ELNS1_3repE0EEENS1_30default_config_static_selectorELNS0_4arch9wavefront6targetE1EEEvT1_
; %bb.0:
	.section	.rodata,"a",@progbits
	.p2align	6, 0x0
	.amdhsa_kernel _ZN7rocprim17ROCPRIM_400000_NS6detail17trampoline_kernelINS0_14default_configENS1_27scan_by_key_config_selectorIxxEEZZNS1_16scan_by_key_implILNS1_25lookback_scan_determinismE0ELb1ES3_N6thrust23THRUST_200600_302600_NS6detail15normal_iteratorINS9_10device_ptrIxEEEESE_SE_xNS9_4plusIxEE19head_flag_predicatexEE10hipError_tPvRmT2_T3_T4_T5_mT6_T7_P12ihipStream_tbENKUlT_T0_E_clISt17integral_constantIbLb1EESX_IbLb0EEEEDaST_SU_EUlST_E_NS1_11comp_targetILNS1_3genE8ELNS1_11target_archE1030ELNS1_3gpuE2ELNS1_3repE0EEENS1_30default_config_static_selectorELNS0_4arch9wavefront6targetE1EEEvT1_
		.amdhsa_group_segment_fixed_size 0
		.amdhsa_private_segment_fixed_size 0
		.amdhsa_kernarg_size 136
		.amdhsa_user_sgpr_count 6
		.amdhsa_user_sgpr_private_segment_buffer 1
		.amdhsa_user_sgpr_dispatch_ptr 0
		.amdhsa_user_sgpr_queue_ptr 0
		.amdhsa_user_sgpr_kernarg_segment_ptr 1
		.amdhsa_user_sgpr_dispatch_id 0
		.amdhsa_user_sgpr_flat_scratch_init 0
		.amdhsa_user_sgpr_kernarg_preload_length 0
		.amdhsa_user_sgpr_kernarg_preload_offset 0
		.amdhsa_user_sgpr_private_segment_size 0
		.amdhsa_uses_dynamic_stack 0
		.amdhsa_system_sgpr_private_segment_wavefront_offset 0
		.amdhsa_system_sgpr_workgroup_id_x 1
		.amdhsa_system_sgpr_workgroup_id_y 0
		.amdhsa_system_sgpr_workgroup_id_z 0
		.amdhsa_system_sgpr_workgroup_info 0
		.amdhsa_system_vgpr_workitem_id 0
		.amdhsa_next_free_vgpr 1
		.amdhsa_next_free_sgpr 0
		.amdhsa_accum_offset 4
		.amdhsa_reserve_vcc 0
		.amdhsa_reserve_flat_scratch 0
		.amdhsa_float_round_mode_32 0
		.amdhsa_float_round_mode_16_64 0
		.amdhsa_float_denorm_mode_32 3
		.amdhsa_float_denorm_mode_16_64 3
		.amdhsa_dx10_clamp 1
		.amdhsa_ieee_mode 1
		.amdhsa_fp16_overflow 0
		.amdhsa_tg_split 0
		.amdhsa_exception_fp_ieee_invalid_op 0
		.amdhsa_exception_fp_denorm_src 0
		.amdhsa_exception_fp_ieee_div_zero 0
		.amdhsa_exception_fp_ieee_overflow 0
		.amdhsa_exception_fp_ieee_underflow 0
		.amdhsa_exception_fp_ieee_inexact 0
		.amdhsa_exception_int_div_zero 0
	.end_amdhsa_kernel
	.section	.text._ZN7rocprim17ROCPRIM_400000_NS6detail17trampoline_kernelINS0_14default_configENS1_27scan_by_key_config_selectorIxxEEZZNS1_16scan_by_key_implILNS1_25lookback_scan_determinismE0ELb1ES3_N6thrust23THRUST_200600_302600_NS6detail15normal_iteratorINS9_10device_ptrIxEEEESE_SE_xNS9_4plusIxEE19head_flag_predicatexEE10hipError_tPvRmT2_T3_T4_T5_mT6_T7_P12ihipStream_tbENKUlT_T0_E_clISt17integral_constantIbLb1EESX_IbLb0EEEEDaST_SU_EUlST_E_NS1_11comp_targetILNS1_3genE8ELNS1_11target_archE1030ELNS1_3gpuE2ELNS1_3repE0EEENS1_30default_config_static_selectorELNS0_4arch9wavefront6targetE1EEEvT1_,"axG",@progbits,_ZN7rocprim17ROCPRIM_400000_NS6detail17trampoline_kernelINS0_14default_configENS1_27scan_by_key_config_selectorIxxEEZZNS1_16scan_by_key_implILNS1_25lookback_scan_determinismE0ELb1ES3_N6thrust23THRUST_200600_302600_NS6detail15normal_iteratorINS9_10device_ptrIxEEEESE_SE_xNS9_4plusIxEE19head_flag_predicatexEE10hipError_tPvRmT2_T3_T4_T5_mT6_T7_P12ihipStream_tbENKUlT_T0_E_clISt17integral_constantIbLb1EESX_IbLb0EEEEDaST_SU_EUlST_E_NS1_11comp_targetILNS1_3genE8ELNS1_11target_archE1030ELNS1_3gpuE2ELNS1_3repE0EEENS1_30default_config_static_selectorELNS0_4arch9wavefront6targetE1EEEvT1_,comdat
.Lfunc_end739:
	.size	_ZN7rocprim17ROCPRIM_400000_NS6detail17trampoline_kernelINS0_14default_configENS1_27scan_by_key_config_selectorIxxEEZZNS1_16scan_by_key_implILNS1_25lookback_scan_determinismE0ELb1ES3_N6thrust23THRUST_200600_302600_NS6detail15normal_iteratorINS9_10device_ptrIxEEEESE_SE_xNS9_4plusIxEE19head_flag_predicatexEE10hipError_tPvRmT2_T3_T4_T5_mT6_T7_P12ihipStream_tbENKUlT_T0_E_clISt17integral_constantIbLb1EESX_IbLb0EEEEDaST_SU_EUlST_E_NS1_11comp_targetILNS1_3genE8ELNS1_11target_archE1030ELNS1_3gpuE2ELNS1_3repE0EEENS1_30default_config_static_selectorELNS0_4arch9wavefront6targetE1EEEvT1_, .Lfunc_end739-_ZN7rocprim17ROCPRIM_400000_NS6detail17trampoline_kernelINS0_14default_configENS1_27scan_by_key_config_selectorIxxEEZZNS1_16scan_by_key_implILNS1_25lookback_scan_determinismE0ELb1ES3_N6thrust23THRUST_200600_302600_NS6detail15normal_iteratorINS9_10device_ptrIxEEEESE_SE_xNS9_4plusIxEE19head_flag_predicatexEE10hipError_tPvRmT2_T3_T4_T5_mT6_T7_P12ihipStream_tbENKUlT_T0_E_clISt17integral_constantIbLb1EESX_IbLb0EEEEDaST_SU_EUlST_E_NS1_11comp_targetILNS1_3genE8ELNS1_11target_archE1030ELNS1_3gpuE2ELNS1_3repE0EEENS1_30default_config_static_selectorELNS0_4arch9wavefront6targetE1EEEvT1_
                                        ; -- End function
	.section	.AMDGPU.csdata,"",@progbits
; Kernel info:
; codeLenInByte = 0
; NumSgprs: 4
; NumVgprs: 0
; NumAgprs: 0
; TotalNumVgprs: 0
; ScratchSize: 0
; MemoryBound: 0
; FloatMode: 240
; IeeeMode: 1
; LDSByteSize: 0 bytes/workgroup (compile time only)
; SGPRBlocks: 0
; VGPRBlocks: 0
; NumSGPRsForWavesPerEU: 4
; NumVGPRsForWavesPerEU: 1
; AccumOffset: 4
; Occupancy: 8
; WaveLimiterHint : 0
; COMPUTE_PGM_RSRC2:SCRATCH_EN: 0
; COMPUTE_PGM_RSRC2:USER_SGPR: 6
; COMPUTE_PGM_RSRC2:TRAP_HANDLER: 0
; COMPUTE_PGM_RSRC2:TGID_X_EN: 1
; COMPUTE_PGM_RSRC2:TGID_Y_EN: 0
; COMPUTE_PGM_RSRC2:TGID_Z_EN: 0
; COMPUTE_PGM_RSRC2:TIDIG_COMP_CNT: 0
; COMPUTE_PGM_RSRC3_GFX90A:ACCUM_OFFSET: 0
; COMPUTE_PGM_RSRC3_GFX90A:TG_SPLIT: 0
	.section	.text._ZN7rocprim17ROCPRIM_400000_NS6detail17trampoline_kernelINS0_14default_configENS1_27scan_by_key_config_selectorIxxEEZZNS1_16scan_by_key_implILNS1_25lookback_scan_determinismE0ELb1ES3_N6thrust23THRUST_200600_302600_NS6detail15normal_iteratorINS9_10device_ptrIxEEEESE_SE_xNS9_4plusIxEE19head_flag_predicatexEE10hipError_tPvRmT2_T3_T4_T5_mT6_T7_P12ihipStream_tbENKUlT_T0_E_clISt17integral_constantIbLb0EESX_IbLb1EEEEDaST_SU_EUlST_E_NS1_11comp_targetILNS1_3genE0ELNS1_11target_archE4294967295ELNS1_3gpuE0ELNS1_3repE0EEENS1_30default_config_static_selectorELNS0_4arch9wavefront6targetE1EEEvT1_,"axG",@progbits,_ZN7rocprim17ROCPRIM_400000_NS6detail17trampoline_kernelINS0_14default_configENS1_27scan_by_key_config_selectorIxxEEZZNS1_16scan_by_key_implILNS1_25lookback_scan_determinismE0ELb1ES3_N6thrust23THRUST_200600_302600_NS6detail15normal_iteratorINS9_10device_ptrIxEEEESE_SE_xNS9_4plusIxEE19head_flag_predicatexEE10hipError_tPvRmT2_T3_T4_T5_mT6_T7_P12ihipStream_tbENKUlT_T0_E_clISt17integral_constantIbLb0EESX_IbLb1EEEEDaST_SU_EUlST_E_NS1_11comp_targetILNS1_3genE0ELNS1_11target_archE4294967295ELNS1_3gpuE0ELNS1_3repE0EEENS1_30default_config_static_selectorELNS0_4arch9wavefront6targetE1EEEvT1_,comdat
	.protected	_ZN7rocprim17ROCPRIM_400000_NS6detail17trampoline_kernelINS0_14default_configENS1_27scan_by_key_config_selectorIxxEEZZNS1_16scan_by_key_implILNS1_25lookback_scan_determinismE0ELb1ES3_N6thrust23THRUST_200600_302600_NS6detail15normal_iteratorINS9_10device_ptrIxEEEESE_SE_xNS9_4plusIxEE19head_flag_predicatexEE10hipError_tPvRmT2_T3_T4_T5_mT6_T7_P12ihipStream_tbENKUlT_T0_E_clISt17integral_constantIbLb0EESX_IbLb1EEEEDaST_SU_EUlST_E_NS1_11comp_targetILNS1_3genE0ELNS1_11target_archE4294967295ELNS1_3gpuE0ELNS1_3repE0EEENS1_30default_config_static_selectorELNS0_4arch9wavefront6targetE1EEEvT1_ ; -- Begin function _ZN7rocprim17ROCPRIM_400000_NS6detail17trampoline_kernelINS0_14default_configENS1_27scan_by_key_config_selectorIxxEEZZNS1_16scan_by_key_implILNS1_25lookback_scan_determinismE0ELb1ES3_N6thrust23THRUST_200600_302600_NS6detail15normal_iteratorINS9_10device_ptrIxEEEESE_SE_xNS9_4plusIxEE19head_flag_predicatexEE10hipError_tPvRmT2_T3_T4_T5_mT6_T7_P12ihipStream_tbENKUlT_T0_E_clISt17integral_constantIbLb0EESX_IbLb1EEEEDaST_SU_EUlST_E_NS1_11comp_targetILNS1_3genE0ELNS1_11target_archE4294967295ELNS1_3gpuE0ELNS1_3repE0EEENS1_30default_config_static_selectorELNS0_4arch9wavefront6targetE1EEEvT1_
	.globl	_ZN7rocprim17ROCPRIM_400000_NS6detail17trampoline_kernelINS0_14default_configENS1_27scan_by_key_config_selectorIxxEEZZNS1_16scan_by_key_implILNS1_25lookback_scan_determinismE0ELb1ES3_N6thrust23THRUST_200600_302600_NS6detail15normal_iteratorINS9_10device_ptrIxEEEESE_SE_xNS9_4plusIxEE19head_flag_predicatexEE10hipError_tPvRmT2_T3_T4_T5_mT6_T7_P12ihipStream_tbENKUlT_T0_E_clISt17integral_constantIbLb0EESX_IbLb1EEEEDaST_SU_EUlST_E_NS1_11comp_targetILNS1_3genE0ELNS1_11target_archE4294967295ELNS1_3gpuE0ELNS1_3repE0EEENS1_30default_config_static_selectorELNS0_4arch9wavefront6targetE1EEEvT1_
	.p2align	8
	.type	_ZN7rocprim17ROCPRIM_400000_NS6detail17trampoline_kernelINS0_14default_configENS1_27scan_by_key_config_selectorIxxEEZZNS1_16scan_by_key_implILNS1_25lookback_scan_determinismE0ELb1ES3_N6thrust23THRUST_200600_302600_NS6detail15normal_iteratorINS9_10device_ptrIxEEEESE_SE_xNS9_4plusIxEE19head_flag_predicatexEE10hipError_tPvRmT2_T3_T4_T5_mT6_T7_P12ihipStream_tbENKUlT_T0_E_clISt17integral_constantIbLb0EESX_IbLb1EEEEDaST_SU_EUlST_E_NS1_11comp_targetILNS1_3genE0ELNS1_11target_archE4294967295ELNS1_3gpuE0ELNS1_3repE0EEENS1_30default_config_static_selectorELNS0_4arch9wavefront6targetE1EEEvT1_,@function
_ZN7rocprim17ROCPRIM_400000_NS6detail17trampoline_kernelINS0_14default_configENS1_27scan_by_key_config_selectorIxxEEZZNS1_16scan_by_key_implILNS1_25lookback_scan_determinismE0ELb1ES3_N6thrust23THRUST_200600_302600_NS6detail15normal_iteratorINS9_10device_ptrIxEEEESE_SE_xNS9_4plusIxEE19head_flag_predicatexEE10hipError_tPvRmT2_T3_T4_T5_mT6_T7_P12ihipStream_tbENKUlT_T0_E_clISt17integral_constantIbLb0EESX_IbLb1EEEEDaST_SU_EUlST_E_NS1_11comp_targetILNS1_3genE0ELNS1_11target_archE4294967295ELNS1_3gpuE0ELNS1_3repE0EEENS1_30default_config_static_selectorELNS0_4arch9wavefront6targetE1EEEvT1_: ; @_ZN7rocprim17ROCPRIM_400000_NS6detail17trampoline_kernelINS0_14default_configENS1_27scan_by_key_config_selectorIxxEEZZNS1_16scan_by_key_implILNS1_25lookback_scan_determinismE0ELb1ES3_N6thrust23THRUST_200600_302600_NS6detail15normal_iteratorINS9_10device_ptrIxEEEESE_SE_xNS9_4plusIxEE19head_flag_predicatexEE10hipError_tPvRmT2_T3_T4_T5_mT6_T7_P12ihipStream_tbENKUlT_T0_E_clISt17integral_constantIbLb0EESX_IbLb1EEEEDaST_SU_EUlST_E_NS1_11comp_targetILNS1_3genE0ELNS1_11target_archE4294967295ELNS1_3gpuE0ELNS1_3repE0EEENS1_30default_config_static_selectorELNS0_4arch9wavefront6targetE1EEEvT1_
; %bb.0:
	.section	.rodata,"a",@progbits
	.p2align	6, 0x0
	.amdhsa_kernel _ZN7rocprim17ROCPRIM_400000_NS6detail17trampoline_kernelINS0_14default_configENS1_27scan_by_key_config_selectorIxxEEZZNS1_16scan_by_key_implILNS1_25lookback_scan_determinismE0ELb1ES3_N6thrust23THRUST_200600_302600_NS6detail15normal_iteratorINS9_10device_ptrIxEEEESE_SE_xNS9_4plusIxEE19head_flag_predicatexEE10hipError_tPvRmT2_T3_T4_T5_mT6_T7_P12ihipStream_tbENKUlT_T0_E_clISt17integral_constantIbLb0EESX_IbLb1EEEEDaST_SU_EUlST_E_NS1_11comp_targetILNS1_3genE0ELNS1_11target_archE4294967295ELNS1_3gpuE0ELNS1_3repE0EEENS1_30default_config_static_selectorELNS0_4arch9wavefront6targetE1EEEvT1_
		.amdhsa_group_segment_fixed_size 0
		.amdhsa_private_segment_fixed_size 0
		.amdhsa_kernarg_size 136
		.amdhsa_user_sgpr_count 6
		.amdhsa_user_sgpr_private_segment_buffer 1
		.amdhsa_user_sgpr_dispatch_ptr 0
		.amdhsa_user_sgpr_queue_ptr 0
		.amdhsa_user_sgpr_kernarg_segment_ptr 1
		.amdhsa_user_sgpr_dispatch_id 0
		.amdhsa_user_sgpr_flat_scratch_init 0
		.amdhsa_user_sgpr_kernarg_preload_length 0
		.amdhsa_user_sgpr_kernarg_preload_offset 0
		.amdhsa_user_sgpr_private_segment_size 0
		.amdhsa_uses_dynamic_stack 0
		.amdhsa_system_sgpr_private_segment_wavefront_offset 0
		.amdhsa_system_sgpr_workgroup_id_x 1
		.amdhsa_system_sgpr_workgroup_id_y 0
		.amdhsa_system_sgpr_workgroup_id_z 0
		.amdhsa_system_sgpr_workgroup_info 0
		.amdhsa_system_vgpr_workitem_id 0
		.amdhsa_next_free_vgpr 1
		.amdhsa_next_free_sgpr 0
		.amdhsa_accum_offset 4
		.amdhsa_reserve_vcc 0
		.amdhsa_reserve_flat_scratch 0
		.amdhsa_float_round_mode_32 0
		.amdhsa_float_round_mode_16_64 0
		.amdhsa_float_denorm_mode_32 3
		.amdhsa_float_denorm_mode_16_64 3
		.amdhsa_dx10_clamp 1
		.amdhsa_ieee_mode 1
		.amdhsa_fp16_overflow 0
		.amdhsa_tg_split 0
		.amdhsa_exception_fp_ieee_invalid_op 0
		.amdhsa_exception_fp_denorm_src 0
		.amdhsa_exception_fp_ieee_div_zero 0
		.amdhsa_exception_fp_ieee_overflow 0
		.amdhsa_exception_fp_ieee_underflow 0
		.amdhsa_exception_fp_ieee_inexact 0
		.amdhsa_exception_int_div_zero 0
	.end_amdhsa_kernel
	.section	.text._ZN7rocprim17ROCPRIM_400000_NS6detail17trampoline_kernelINS0_14default_configENS1_27scan_by_key_config_selectorIxxEEZZNS1_16scan_by_key_implILNS1_25lookback_scan_determinismE0ELb1ES3_N6thrust23THRUST_200600_302600_NS6detail15normal_iteratorINS9_10device_ptrIxEEEESE_SE_xNS9_4plusIxEE19head_flag_predicatexEE10hipError_tPvRmT2_T3_T4_T5_mT6_T7_P12ihipStream_tbENKUlT_T0_E_clISt17integral_constantIbLb0EESX_IbLb1EEEEDaST_SU_EUlST_E_NS1_11comp_targetILNS1_3genE0ELNS1_11target_archE4294967295ELNS1_3gpuE0ELNS1_3repE0EEENS1_30default_config_static_selectorELNS0_4arch9wavefront6targetE1EEEvT1_,"axG",@progbits,_ZN7rocprim17ROCPRIM_400000_NS6detail17trampoline_kernelINS0_14default_configENS1_27scan_by_key_config_selectorIxxEEZZNS1_16scan_by_key_implILNS1_25lookback_scan_determinismE0ELb1ES3_N6thrust23THRUST_200600_302600_NS6detail15normal_iteratorINS9_10device_ptrIxEEEESE_SE_xNS9_4plusIxEE19head_flag_predicatexEE10hipError_tPvRmT2_T3_T4_T5_mT6_T7_P12ihipStream_tbENKUlT_T0_E_clISt17integral_constantIbLb0EESX_IbLb1EEEEDaST_SU_EUlST_E_NS1_11comp_targetILNS1_3genE0ELNS1_11target_archE4294967295ELNS1_3gpuE0ELNS1_3repE0EEENS1_30default_config_static_selectorELNS0_4arch9wavefront6targetE1EEEvT1_,comdat
.Lfunc_end740:
	.size	_ZN7rocprim17ROCPRIM_400000_NS6detail17trampoline_kernelINS0_14default_configENS1_27scan_by_key_config_selectorIxxEEZZNS1_16scan_by_key_implILNS1_25lookback_scan_determinismE0ELb1ES3_N6thrust23THRUST_200600_302600_NS6detail15normal_iteratorINS9_10device_ptrIxEEEESE_SE_xNS9_4plusIxEE19head_flag_predicatexEE10hipError_tPvRmT2_T3_T4_T5_mT6_T7_P12ihipStream_tbENKUlT_T0_E_clISt17integral_constantIbLb0EESX_IbLb1EEEEDaST_SU_EUlST_E_NS1_11comp_targetILNS1_3genE0ELNS1_11target_archE4294967295ELNS1_3gpuE0ELNS1_3repE0EEENS1_30default_config_static_selectorELNS0_4arch9wavefront6targetE1EEEvT1_, .Lfunc_end740-_ZN7rocprim17ROCPRIM_400000_NS6detail17trampoline_kernelINS0_14default_configENS1_27scan_by_key_config_selectorIxxEEZZNS1_16scan_by_key_implILNS1_25lookback_scan_determinismE0ELb1ES3_N6thrust23THRUST_200600_302600_NS6detail15normal_iteratorINS9_10device_ptrIxEEEESE_SE_xNS9_4plusIxEE19head_flag_predicatexEE10hipError_tPvRmT2_T3_T4_T5_mT6_T7_P12ihipStream_tbENKUlT_T0_E_clISt17integral_constantIbLb0EESX_IbLb1EEEEDaST_SU_EUlST_E_NS1_11comp_targetILNS1_3genE0ELNS1_11target_archE4294967295ELNS1_3gpuE0ELNS1_3repE0EEENS1_30default_config_static_selectorELNS0_4arch9wavefront6targetE1EEEvT1_
                                        ; -- End function
	.section	.AMDGPU.csdata,"",@progbits
; Kernel info:
; codeLenInByte = 0
; NumSgprs: 4
; NumVgprs: 0
; NumAgprs: 0
; TotalNumVgprs: 0
; ScratchSize: 0
; MemoryBound: 0
; FloatMode: 240
; IeeeMode: 1
; LDSByteSize: 0 bytes/workgroup (compile time only)
; SGPRBlocks: 0
; VGPRBlocks: 0
; NumSGPRsForWavesPerEU: 4
; NumVGPRsForWavesPerEU: 1
; AccumOffset: 4
; Occupancy: 8
; WaveLimiterHint : 0
; COMPUTE_PGM_RSRC2:SCRATCH_EN: 0
; COMPUTE_PGM_RSRC2:USER_SGPR: 6
; COMPUTE_PGM_RSRC2:TRAP_HANDLER: 0
; COMPUTE_PGM_RSRC2:TGID_X_EN: 1
; COMPUTE_PGM_RSRC2:TGID_Y_EN: 0
; COMPUTE_PGM_RSRC2:TGID_Z_EN: 0
; COMPUTE_PGM_RSRC2:TIDIG_COMP_CNT: 0
; COMPUTE_PGM_RSRC3_GFX90A:ACCUM_OFFSET: 0
; COMPUTE_PGM_RSRC3_GFX90A:TG_SPLIT: 0
	.section	.text._ZN7rocprim17ROCPRIM_400000_NS6detail17trampoline_kernelINS0_14default_configENS1_27scan_by_key_config_selectorIxxEEZZNS1_16scan_by_key_implILNS1_25lookback_scan_determinismE0ELb1ES3_N6thrust23THRUST_200600_302600_NS6detail15normal_iteratorINS9_10device_ptrIxEEEESE_SE_xNS9_4plusIxEE19head_flag_predicatexEE10hipError_tPvRmT2_T3_T4_T5_mT6_T7_P12ihipStream_tbENKUlT_T0_E_clISt17integral_constantIbLb0EESX_IbLb1EEEEDaST_SU_EUlST_E_NS1_11comp_targetILNS1_3genE10ELNS1_11target_archE1201ELNS1_3gpuE5ELNS1_3repE0EEENS1_30default_config_static_selectorELNS0_4arch9wavefront6targetE1EEEvT1_,"axG",@progbits,_ZN7rocprim17ROCPRIM_400000_NS6detail17trampoline_kernelINS0_14default_configENS1_27scan_by_key_config_selectorIxxEEZZNS1_16scan_by_key_implILNS1_25lookback_scan_determinismE0ELb1ES3_N6thrust23THRUST_200600_302600_NS6detail15normal_iteratorINS9_10device_ptrIxEEEESE_SE_xNS9_4plusIxEE19head_flag_predicatexEE10hipError_tPvRmT2_T3_T4_T5_mT6_T7_P12ihipStream_tbENKUlT_T0_E_clISt17integral_constantIbLb0EESX_IbLb1EEEEDaST_SU_EUlST_E_NS1_11comp_targetILNS1_3genE10ELNS1_11target_archE1201ELNS1_3gpuE5ELNS1_3repE0EEENS1_30default_config_static_selectorELNS0_4arch9wavefront6targetE1EEEvT1_,comdat
	.protected	_ZN7rocprim17ROCPRIM_400000_NS6detail17trampoline_kernelINS0_14default_configENS1_27scan_by_key_config_selectorIxxEEZZNS1_16scan_by_key_implILNS1_25lookback_scan_determinismE0ELb1ES3_N6thrust23THRUST_200600_302600_NS6detail15normal_iteratorINS9_10device_ptrIxEEEESE_SE_xNS9_4plusIxEE19head_flag_predicatexEE10hipError_tPvRmT2_T3_T4_T5_mT6_T7_P12ihipStream_tbENKUlT_T0_E_clISt17integral_constantIbLb0EESX_IbLb1EEEEDaST_SU_EUlST_E_NS1_11comp_targetILNS1_3genE10ELNS1_11target_archE1201ELNS1_3gpuE5ELNS1_3repE0EEENS1_30default_config_static_selectorELNS0_4arch9wavefront6targetE1EEEvT1_ ; -- Begin function _ZN7rocprim17ROCPRIM_400000_NS6detail17trampoline_kernelINS0_14default_configENS1_27scan_by_key_config_selectorIxxEEZZNS1_16scan_by_key_implILNS1_25lookback_scan_determinismE0ELb1ES3_N6thrust23THRUST_200600_302600_NS6detail15normal_iteratorINS9_10device_ptrIxEEEESE_SE_xNS9_4plusIxEE19head_flag_predicatexEE10hipError_tPvRmT2_T3_T4_T5_mT6_T7_P12ihipStream_tbENKUlT_T0_E_clISt17integral_constantIbLb0EESX_IbLb1EEEEDaST_SU_EUlST_E_NS1_11comp_targetILNS1_3genE10ELNS1_11target_archE1201ELNS1_3gpuE5ELNS1_3repE0EEENS1_30default_config_static_selectorELNS0_4arch9wavefront6targetE1EEEvT1_
	.globl	_ZN7rocprim17ROCPRIM_400000_NS6detail17trampoline_kernelINS0_14default_configENS1_27scan_by_key_config_selectorIxxEEZZNS1_16scan_by_key_implILNS1_25lookback_scan_determinismE0ELb1ES3_N6thrust23THRUST_200600_302600_NS6detail15normal_iteratorINS9_10device_ptrIxEEEESE_SE_xNS9_4plusIxEE19head_flag_predicatexEE10hipError_tPvRmT2_T3_T4_T5_mT6_T7_P12ihipStream_tbENKUlT_T0_E_clISt17integral_constantIbLb0EESX_IbLb1EEEEDaST_SU_EUlST_E_NS1_11comp_targetILNS1_3genE10ELNS1_11target_archE1201ELNS1_3gpuE5ELNS1_3repE0EEENS1_30default_config_static_selectorELNS0_4arch9wavefront6targetE1EEEvT1_
	.p2align	8
	.type	_ZN7rocprim17ROCPRIM_400000_NS6detail17trampoline_kernelINS0_14default_configENS1_27scan_by_key_config_selectorIxxEEZZNS1_16scan_by_key_implILNS1_25lookback_scan_determinismE0ELb1ES3_N6thrust23THRUST_200600_302600_NS6detail15normal_iteratorINS9_10device_ptrIxEEEESE_SE_xNS9_4plusIxEE19head_flag_predicatexEE10hipError_tPvRmT2_T3_T4_T5_mT6_T7_P12ihipStream_tbENKUlT_T0_E_clISt17integral_constantIbLb0EESX_IbLb1EEEEDaST_SU_EUlST_E_NS1_11comp_targetILNS1_3genE10ELNS1_11target_archE1201ELNS1_3gpuE5ELNS1_3repE0EEENS1_30default_config_static_selectorELNS0_4arch9wavefront6targetE1EEEvT1_,@function
_ZN7rocprim17ROCPRIM_400000_NS6detail17trampoline_kernelINS0_14default_configENS1_27scan_by_key_config_selectorIxxEEZZNS1_16scan_by_key_implILNS1_25lookback_scan_determinismE0ELb1ES3_N6thrust23THRUST_200600_302600_NS6detail15normal_iteratorINS9_10device_ptrIxEEEESE_SE_xNS9_4plusIxEE19head_flag_predicatexEE10hipError_tPvRmT2_T3_T4_T5_mT6_T7_P12ihipStream_tbENKUlT_T0_E_clISt17integral_constantIbLb0EESX_IbLb1EEEEDaST_SU_EUlST_E_NS1_11comp_targetILNS1_3genE10ELNS1_11target_archE1201ELNS1_3gpuE5ELNS1_3repE0EEENS1_30default_config_static_selectorELNS0_4arch9wavefront6targetE1EEEvT1_: ; @_ZN7rocprim17ROCPRIM_400000_NS6detail17trampoline_kernelINS0_14default_configENS1_27scan_by_key_config_selectorIxxEEZZNS1_16scan_by_key_implILNS1_25lookback_scan_determinismE0ELb1ES3_N6thrust23THRUST_200600_302600_NS6detail15normal_iteratorINS9_10device_ptrIxEEEESE_SE_xNS9_4plusIxEE19head_flag_predicatexEE10hipError_tPvRmT2_T3_T4_T5_mT6_T7_P12ihipStream_tbENKUlT_T0_E_clISt17integral_constantIbLb0EESX_IbLb1EEEEDaST_SU_EUlST_E_NS1_11comp_targetILNS1_3genE10ELNS1_11target_archE1201ELNS1_3gpuE5ELNS1_3repE0EEENS1_30default_config_static_selectorELNS0_4arch9wavefront6targetE1EEEvT1_
; %bb.0:
	.section	.rodata,"a",@progbits
	.p2align	6, 0x0
	.amdhsa_kernel _ZN7rocprim17ROCPRIM_400000_NS6detail17trampoline_kernelINS0_14default_configENS1_27scan_by_key_config_selectorIxxEEZZNS1_16scan_by_key_implILNS1_25lookback_scan_determinismE0ELb1ES3_N6thrust23THRUST_200600_302600_NS6detail15normal_iteratorINS9_10device_ptrIxEEEESE_SE_xNS9_4plusIxEE19head_flag_predicatexEE10hipError_tPvRmT2_T3_T4_T5_mT6_T7_P12ihipStream_tbENKUlT_T0_E_clISt17integral_constantIbLb0EESX_IbLb1EEEEDaST_SU_EUlST_E_NS1_11comp_targetILNS1_3genE10ELNS1_11target_archE1201ELNS1_3gpuE5ELNS1_3repE0EEENS1_30default_config_static_selectorELNS0_4arch9wavefront6targetE1EEEvT1_
		.amdhsa_group_segment_fixed_size 0
		.amdhsa_private_segment_fixed_size 0
		.amdhsa_kernarg_size 136
		.amdhsa_user_sgpr_count 6
		.amdhsa_user_sgpr_private_segment_buffer 1
		.amdhsa_user_sgpr_dispatch_ptr 0
		.amdhsa_user_sgpr_queue_ptr 0
		.amdhsa_user_sgpr_kernarg_segment_ptr 1
		.amdhsa_user_sgpr_dispatch_id 0
		.amdhsa_user_sgpr_flat_scratch_init 0
		.amdhsa_user_sgpr_kernarg_preload_length 0
		.amdhsa_user_sgpr_kernarg_preload_offset 0
		.amdhsa_user_sgpr_private_segment_size 0
		.amdhsa_uses_dynamic_stack 0
		.amdhsa_system_sgpr_private_segment_wavefront_offset 0
		.amdhsa_system_sgpr_workgroup_id_x 1
		.amdhsa_system_sgpr_workgroup_id_y 0
		.amdhsa_system_sgpr_workgroup_id_z 0
		.amdhsa_system_sgpr_workgroup_info 0
		.amdhsa_system_vgpr_workitem_id 0
		.amdhsa_next_free_vgpr 1
		.amdhsa_next_free_sgpr 0
		.amdhsa_accum_offset 4
		.amdhsa_reserve_vcc 0
		.amdhsa_reserve_flat_scratch 0
		.amdhsa_float_round_mode_32 0
		.amdhsa_float_round_mode_16_64 0
		.amdhsa_float_denorm_mode_32 3
		.amdhsa_float_denorm_mode_16_64 3
		.amdhsa_dx10_clamp 1
		.amdhsa_ieee_mode 1
		.amdhsa_fp16_overflow 0
		.amdhsa_tg_split 0
		.amdhsa_exception_fp_ieee_invalid_op 0
		.amdhsa_exception_fp_denorm_src 0
		.amdhsa_exception_fp_ieee_div_zero 0
		.amdhsa_exception_fp_ieee_overflow 0
		.amdhsa_exception_fp_ieee_underflow 0
		.amdhsa_exception_fp_ieee_inexact 0
		.amdhsa_exception_int_div_zero 0
	.end_amdhsa_kernel
	.section	.text._ZN7rocprim17ROCPRIM_400000_NS6detail17trampoline_kernelINS0_14default_configENS1_27scan_by_key_config_selectorIxxEEZZNS1_16scan_by_key_implILNS1_25lookback_scan_determinismE0ELb1ES3_N6thrust23THRUST_200600_302600_NS6detail15normal_iteratorINS9_10device_ptrIxEEEESE_SE_xNS9_4plusIxEE19head_flag_predicatexEE10hipError_tPvRmT2_T3_T4_T5_mT6_T7_P12ihipStream_tbENKUlT_T0_E_clISt17integral_constantIbLb0EESX_IbLb1EEEEDaST_SU_EUlST_E_NS1_11comp_targetILNS1_3genE10ELNS1_11target_archE1201ELNS1_3gpuE5ELNS1_3repE0EEENS1_30default_config_static_selectorELNS0_4arch9wavefront6targetE1EEEvT1_,"axG",@progbits,_ZN7rocprim17ROCPRIM_400000_NS6detail17trampoline_kernelINS0_14default_configENS1_27scan_by_key_config_selectorIxxEEZZNS1_16scan_by_key_implILNS1_25lookback_scan_determinismE0ELb1ES3_N6thrust23THRUST_200600_302600_NS6detail15normal_iteratorINS9_10device_ptrIxEEEESE_SE_xNS9_4plusIxEE19head_flag_predicatexEE10hipError_tPvRmT2_T3_T4_T5_mT6_T7_P12ihipStream_tbENKUlT_T0_E_clISt17integral_constantIbLb0EESX_IbLb1EEEEDaST_SU_EUlST_E_NS1_11comp_targetILNS1_3genE10ELNS1_11target_archE1201ELNS1_3gpuE5ELNS1_3repE0EEENS1_30default_config_static_selectorELNS0_4arch9wavefront6targetE1EEEvT1_,comdat
.Lfunc_end741:
	.size	_ZN7rocprim17ROCPRIM_400000_NS6detail17trampoline_kernelINS0_14default_configENS1_27scan_by_key_config_selectorIxxEEZZNS1_16scan_by_key_implILNS1_25lookback_scan_determinismE0ELb1ES3_N6thrust23THRUST_200600_302600_NS6detail15normal_iteratorINS9_10device_ptrIxEEEESE_SE_xNS9_4plusIxEE19head_flag_predicatexEE10hipError_tPvRmT2_T3_T4_T5_mT6_T7_P12ihipStream_tbENKUlT_T0_E_clISt17integral_constantIbLb0EESX_IbLb1EEEEDaST_SU_EUlST_E_NS1_11comp_targetILNS1_3genE10ELNS1_11target_archE1201ELNS1_3gpuE5ELNS1_3repE0EEENS1_30default_config_static_selectorELNS0_4arch9wavefront6targetE1EEEvT1_, .Lfunc_end741-_ZN7rocprim17ROCPRIM_400000_NS6detail17trampoline_kernelINS0_14default_configENS1_27scan_by_key_config_selectorIxxEEZZNS1_16scan_by_key_implILNS1_25lookback_scan_determinismE0ELb1ES3_N6thrust23THRUST_200600_302600_NS6detail15normal_iteratorINS9_10device_ptrIxEEEESE_SE_xNS9_4plusIxEE19head_flag_predicatexEE10hipError_tPvRmT2_T3_T4_T5_mT6_T7_P12ihipStream_tbENKUlT_T0_E_clISt17integral_constantIbLb0EESX_IbLb1EEEEDaST_SU_EUlST_E_NS1_11comp_targetILNS1_3genE10ELNS1_11target_archE1201ELNS1_3gpuE5ELNS1_3repE0EEENS1_30default_config_static_selectorELNS0_4arch9wavefront6targetE1EEEvT1_
                                        ; -- End function
	.section	.AMDGPU.csdata,"",@progbits
; Kernel info:
; codeLenInByte = 0
; NumSgprs: 4
; NumVgprs: 0
; NumAgprs: 0
; TotalNumVgprs: 0
; ScratchSize: 0
; MemoryBound: 0
; FloatMode: 240
; IeeeMode: 1
; LDSByteSize: 0 bytes/workgroup (compile time only)
; SGPRBlocks: 0
; VGPRBlocks: 0
; NumSGPRsForWavesPerEU: 4
; NumVGPRsForWavesPerEU: 1
; AccumOffset: 4
; Occupancy: 8
; WaveLimiterHint : 0
; COMPUTE_PGM_RSRC2:SCRATCH_EN: 0
; COMPUTE_PGM_RSRC2:USER_SGPR: 6
; COMPUTE_PGM_RSRC2:TRAP_HANDLER: 0
; COMPUTE_PGM_RSRC2:TGID_X_EN: 1
; COMPUTE_PGM_RSRC2:TGID_Y_EN: 0
; COMPUTE_PGM_RSRC2:TGID_Z_EN: 0
; COMPUTE_PGM_RSRC2:TIDIG_COMP_CNT: 0
; COMPUTE_PGM_RSRC3_GFX90A:ACCUM_OFFSET: 0
; COMPUTE_PGM_RSRC3_GFX90A:TG_SPLIT: 0
	.section	.text._ZN7rocprim17ROCPRIM_400000_NS6detail17trampoline_kernelINS0_14default_configENS1_27scan_by_key_config_selectorIxxEEZZNS1_16scan_by_key_implILNS1_25lookback_scan_determinismE0ELb1ES3_N6thrust23THRUST_200600_302600_NS6detail15normal_iteratorINS9_10device_ptrIxEEEESE_SE_xNS9_4plusIxEE19head_flag_predicatexEE10hipError_tPvRmT2_T3_T4_T5_mT6_T7_P12ihipStream_tbENKUlT_T0_E_clISt17integral_constantIbLb0EESX_IbLb1EEEEDaST_SU_EUlST_E_NS1_11comp_targetILNS1_3genE5ELNS1_11target_archE942ELNS1_3gpuE9ELNS1_3repE0EEENS1_30default_config_static_selectorELNS0_4arch9wavefront6targetE1EEEvT1_,"axG",@progbits,_ZN7rocprim17ROCPRIM_400000_NS6detail17trampoline_kernelINS0_14default_configENS1_27scan_by_key_config_selectorIxxEEZZNS1_16scan_by_key_implILNS1_25lookback_scan_determinismE0ELb1ES3_N6thrust23THRUST_200600_302600_NS6detail15normal_iteratorINS9_10device_ptrIxEEEESE_SE_xNS9_4plusIxEE19head_flag_predicatexEE10hipError_tPvRmT2_T3_T4_T5_mT6_T7_P12ihipStream_tbENKUlT_T0_E_clISt17integral_constantIbLb0EESX_IbLb1EEEEDaST_SU_EUlST_E_NS1_11comp_targetILNS1_3genE5ELNS1_11target_archE942ELNS1_3gpuE9ELNS1_3repE0EEENS1_30default_config_static_selectorELNS0_4arch9wavefront6targetE1EEEvT1_,comdat
	.protected	_ZN7rocprim17ROCPRIM_400000_NS6detail17trampoline_kernelINS0_14default_configENS1_27scan_by_key_config_selectorIxxEEZZNS1_16scan_by_key_implILNS1_25lookback_scan_determinismE0ELb1ES3_N6thrust23THRUST_200600_302600_NS6detail15normal_iteratorINS9_10device_ptrIxEEEESE_SE_xNS9_4plusIxEE19head_flag_predicatexEE10hipError_tPvRmT2_T3_T4_T5_mT6_T7_P12ihipStream_tbENKUlT_T0_E_clISt17integral_constantIbLb0EESX_IbLb1EEEEDaST_SU_EUlST_E_NS1_11comp_targetILNS1_3genE5ELNS1_11target_archE942ELNS1_3gpuE9ELNS1_3repE0EEENS1_30default_config_static_selectorELNS0_4arch9wavefront6targetE1EEEvT1_ ; -- Begin function _ZN7rocprim17ROCPRIM_400000_NS6detail17trampoline_kernelINS0_14default_configENS1_27scan_by_key_config_selectorIxxEEZZNS1_16scan_by_key_implILNS1_25lookback_scan_determinismE0ELb1ES3_N6thrust23THRUST_200600_302600_NS6detail15normal_iteratorINS9_10device_ptrIxEEEESE_SE_xNS9_4plusIxEE19head_flag_predicatexEE10hipError_tPvRmT2_T3_T4_T5_mT6_T7_P12ihipStream_tbENKUlT_T0_E_clISt17integral_constantIbLb0EESX_IbLb1EEEEDaST_SU_EUlST_E_NS1_11comp_targetILNS1_3genE5ELNS1_11target_archE942ELNS1_3gpuE9ELNS1_3repE0EEENS1_30default_config_static_selectorELNS0_4arch9wavefront6targetE1EEEvT1_
	.globl	_ZN7rocprim17ROCPRIM_400000_NS6detail17trampoline_kernelINS0_14default_configENS1_27scan_by_key_config_selectorIxxEEZZNS1_16scan_by_key_implILNS1_25lookback_scan_determinismE0ELb1ES3_N6thrust23THRUST_200600_302600_NS6detail15normal_iteratorINS9_10device_ptrIxEEEESE_SE_xNS9_4plusIxEE19head_flag_predicatexEE10hipError_tPvRmT2_T3_T4_T5_mT6_T7_P12ihipStream_tbENKUlT_T0_E_clISt17integral_constantIbLb0EESX_IbLb1EEEEDaST_SU_EUlST_E_NS1_11comp_targetILNS1_3genE5ELNS1_11target_archE942ELNS1_3gpuE9ELNS1_3repE0EEENS1_30default_config_static_selectorELNS0_4arch9wavefront6targetE1EEEvT1_
	.p2align	8
	.type	_ZN7rocprim17ROCPRIM_400000_NS6detail17trampoline_kernelINS0_14default_configENS1_27scan_by_key_config_selectorIxxEEZZNS1_16scan_by_key_implILNS1_25lookback_scan_determinismE0ELb1ES3_N6thrust23THRUST_200600_302600_NS6detail15normal_iteratorINS9_10device_ptrIxEEEESE_SE_xNS9_4plusIxEE19head_flag_predicatexEE10hipError_tPvRmT2_T3_T4_T5_mT6_T7_P12ihipStream_tbENKUlT_T0_E_clISt17integral_constantIbLb0EESX_IbLb1EEEEDaST_SU_EUlST_E_NS1_11comp_targetILNS1_3genE5ELNS1_11target_archE942ELNS1_3gpuE9ELNS1_3repE0EEENS1_30default_config_static_selectorELNS0_4arch9wavefront6targetE1EEEvT1_,@function
_ZN7rocprim17ROCPRIM_400000_NS6detail17trampoline_kernelINS0_14default_configENS1_27scan_by_key_config_selectorIxxEEZZNS1_16scan_by_key_implILNS1_25lookback_scan_determinismE0ELb1ES3_N6thrust23THRUST_200600_302600_NS6detail15normal_iteratorINS9_10device_ptrIxEEEESE_SE_xNS9_4plusIxEE19head_flag_predicatexEE10hipError_tPvRmT2_T3_T4_T5_mT6_T7_P12ihipStream_tbENKUlT_T0_E_clISt17integral_constantIbLb0EESX_IbLb1EEEEDaST_SU_EUlST_E_NS1_11comp_targetILNS1_3genE5ELNS1_11target_archE942ELNS1_3gpuE9ELNS1_3repE0EEENS1_30default_config_static_selectorELNS0_4arch9wavefront6targetE1EEEvT1_: ; @_ZN7rocprim17ROCPRIM_400000_NS6detail17trampoline_kernelINS0_14default_configENS1_27scan_by_key_config_selectorIxxEEZZNS1_16scan_by_key_implILNS1_25lookback_scan_determinismE0ELb1ES3_N6thrust23THRUST_200600_302600_NS6detail15normal_iteratorINS9_10device_ptrIxEEEESE_SE_xNS9_4plusIxEE19head_flag_predicatexEE10hipError_tPvRmT2_T3_T4_T5_mT6_T7_P12ihipStream_tbENKUlT_T0_E_clISt17integral_constantIbLb0EESX_IbLb1EEEEDaST_SU_EUlST_E_NS1_11comp_targetILNS1_3genE5ELNS1_11target_archE942ELNS1_3gpuE9ELNS1_3repE0EEENS1_30default_config_static_selectorELNS0_4arch9wavefront6targetE1EEEvT1_
; %bb.0:
	.section	.rodata,"a",@progbits
	.p2align	6, 0x0
	.amdhsa_kernel _ZN7rocprim17ROCPRIM_400000_NS6detail17trampoline_kernelINS0_14default_configENS1_27scan_by_key_config_selectorIxxEEZZNS1_16scan_by_key_implILNS1_25lookback_scan_determinismE0ELb1ES3_N6thrust23THRUST_200600_302600_NS6detail15normal_iteratorINS9_10device_ptrIxEEEESE_SE_xNS9_4plusIxEE19head_flag_predicatexEE10hipError_tPvRmT2_T3_T4_T5_mT6_T7_P12ihipStream_tbENKUlT_T0_E_clISt17integral_constantIbLb0EESX_IbLb1EEEEDaST_SU_EUlST_E_NS1_11comp_targetILNS1_3genE5ELNS1_11target_archE942ELNS1_3gpuE9ELNS1_3repE0EEENS1_30default_config_static_selectorELNS0_4arch9wavefront6targetE1EEEvT1_
		.amdhsa_group_segment_fixed_size 0
		.amdhsa_private_segment_fixed_size 0
		.amdhsa_kernarg_size 136
		.amdhsa_user_sgpr_count 6
		.amdhsa_user_sgpr_private_segment_buffer 1
		.amdhsa_user_sgpr_dispatch_ptr 0
		.amdhsa_user_sgpr_queue_ptr 0
		.amdhsa_user_sgpr_kernarg_segment_ptr 1
		.amdhsa_user_sgpr_dispatch_id 0
		.amdhsa_user_sgpr_flat_scratch_init 0
		.amdhsa_user_sgpr_kernarg_preload_length 0
		.amdhsa_user_sgpr_kernarg_preload_offset 0
		.amdhsa_user_sgpr_private_segment_size 0
		.amdhsa_uses_dynamic_stack 0
		.amdhsa_system_sgpr_private_segment_wavefront_offset 0
		.amdhsa_system_sgpr_workgroup_id_x 1
		.amdhsa_system_sgpr_workgroup_id_y 0
		.amdhsa_system_sgpr_workgroup_id_z 0
		.amdhsa_system_sgpr_workgroup_info 0
		.amdhsa_system_vgpr_workitem_id 0
		.amdhsa_next_free_vgpr 1
		.amdhsa_next_free_sgpr 0
		.amdhsa_accum_offset 4
		.amdhsa_reserve_vcc 0
		.amdhsa_reserve_flat_scratch 0
		.amdhsa_float_round_mode_32 0
		.amdhsa_float_round_mode_16_64 0
		.amdhsa_float_denorm_mode_32 3
		.amdhsa_float_denorm_mode_16_64 3
		.amdhsa_dx10_clamp 1
		.amdhsa_ieee_mode 1
		.amdhsa_fp16_overflow 0
		.amdhsa_tg_split 0
		.amdhsa_exception_fp_ieee_invalid_op 0
		.amdhsa_exception_fp_denorm_src 0
		.amdhsa_exception_fp_ieee_div_zero 0
		.amdhsa_exception_fp_ieee_overflow 0
		.amdhsa_exception_fp_ieee_underflow 0
		.amdhsa_exception_fp_ieee_inexact 0
		.amdhsa_exception_int_div_zero 0
	.end_amdhsa_kernel
	.section	.text._ZN7rocprim17ROCPRIM_400000_NS6detail17trampoline_kernelINS0_14default_configENS1_27scan_by_key_config_selectorIxxEEZZNS1_16scan_by_key_implILNS1_25lookback_scan_determinismE0ELb1ES3_N6thrust23THRUST_200600_302600_NS6detail15normal_iteratorINS9_10device_ptrIxEEEESE_SE_xNS9_4plusIxEE19head_flag_predicatexEE10hipError_tPvRmT2_T3_T4_T5_mT6_T7_P12ihipStream_tbENKUlT_T0_E_clISt17integral_constantIbLb0EESX_IbLb1EEEEDaST_SU_EUlST_E_NS1_11comp_targetILNS1_3genE5ELNS1_11target_archE942ELNS1_3gpuE9ELNS1_3repE0EEENS1_30default_config_static_selectorELNS0_4arch9wavefront6targetE1EEEvT1_,"axG",@progbits,_ZN7rocprim17ROCPRIM_400000_NS6detail17trampoline_kernelINS0_14default_configENS1_27scan_by_key_config_selectorIxxEEZZNS1_16scan_by_key_implILNS1_25lookback_scan_determinismE0ELb1ES3_N6thrust23THRUST_200600_302600_NS6detail15normal_iteratorINS9_10device_ptrIxEEEESE_SE_xNS9_4plusIxEE19head_flag_predicatexEE10hipError_tPvRmT2_T3_T4_T5_mT6_T7_P12ihipStream_tbENKUlT_T0_E_clISt17integral_constantIbLb0EESX_IbLb1EEEEDaST_SU_EUlST_E_NS1_11comp_targetILNS1_3genE5ELNS1_11target_archE942ELNS1_3gpuE9ELNS1_3repE0EEENS1_30default_config_static_selectorELNS0_4arch9wavefront6targetE1EEEvT1_,comdat
.Lfunc_end742:
	.size	_ZN7rocprim17ROCPRIM_400000_NS6detail17trampoline_kernelINS0_14default_configENS1_27scan_by_key_config_selectorIxxEEZZNS1_16scan_by_key_implILNS1_25lookback_scan_determinismE0ELb1ES3_N6thrust23THRUST_200600_302600_NS6detail15normal_iteratorINS9_10device_ptrIxEEEESE_SE_xNS9_4plusIxEE19head_flag_predicatexEE10hipError_tPvRmT2_T3_T4_T5_mT6_T7_P12ihipStream_tbENKUlT_T0_E_clISt17integral_constantIbLb0EESX_IbLb1EEEEDaST_SU_EUlST_E_NS1_11comp_targetILNS1_3genE5ELNS1_11target_archE942ELNS1_3gpuE9ELNS1_3repE0EEENS1_30default_config_static_selectorELNS0_4arch9wavefront6targetE1EEEvT1_, .Lfunc_end742-_ZN7rocprim17ROCPRIM_400000_NS6detail17trampoline_kernelINS0_14default_configENS1_27scan_by_key_config_selectorIxxEEZZNS1_16scan_by_key_implILNS1_25lookback_scan_determinismE0ELb1ES3_N6thrust23THRUST_200600_302600_NS6detail15normal_iteratorINS9_10device_ptrIxEEEESE_SE_xNS9_4plusIxEE19head_flag_predicatexEE10hipError_tPvRmT2_T3_T4_T5_mT6_T7_P12ihipStream_tbENKUlT_T0_E_clISt17integral_constantIbLb0EESX_IbLb1EEEEDaST_SU_EUlST_E_NS1_11comp_targetILNS1_3genE5ELNS1_11target_archE942ELNS1_3gpuE9ELNS1_3repE0EEENS1_30default_config_static_selectorELNS0_4arch9wavefront6targetE1EEEvT1_
                                        ; -- End function
	.section	.AMDGPU.csdata,"",@progbits
; Kernel info:
; codeLenInByte = 0
; NumSgprs: 4
; NumVgprs: 0
; NumAgprs: 0
; TotalNumVgprs: 0
; ScratchSize: 0
; MemoryBound: 0
; FloatMode: 240
; IeeeMode: 1
; LDSByteSize: 0 bytes/workgroup (compile time only)
; SGPRBlocks: 0
; VGPRBlocks: 0
; NumSGPRsForWavesPerEU: 4
; NumVGPRsForWavesPerEU: 1
; AccumOffset: 4
; Occupancy: 8
; WaveLimiterHint : 0
; COMPUTE_PGM_RSRC2:SCRATCH_EN: 0
; COMPUTE_PGM_RSRC2:USER_SGPR: 6
; COMPUTE_PGM_RSRC2:TRAP_HANDLER: 0
; COMPUTE_PGM_RSRC2:TGID_X_EN: 1
; COMPUTE_PGM_RSRC2:TGID_Y_EN: 0
; COMPUTE_PGM_RSRC2:TGID_Z_EN: 0
; COMPUTE_PGM_RSRC2:TIDIG_COMP_CNT: 0
; COMPUTE_PGM_RSRC3_GFX90A:ACCUM_OFFSET: 0
; COMPUTE_PGM_RSRC3_GFX90A:TG_SPLIT: 0
	.section	.text._ZN7rocprim17ROCPRIM_400000_NS6detail17trampoline_kernelINS0_14default_configENS1_27scan_by_key_config_selectorIxxEEZZNS1_16scan_by_key_implILNS1_25lookback_scan_determinismE0ELb1ES3_N6thrust23THRUST_200600_302600_NS6detail15normal_iteratorINS9_10device_ptrIxEEEESE_SE_xNS9_4plusIxEE19head_flag_predicatexEE10hipError_tPvRmT2_T3_T4_T5_mT6_T7_P12ihipStream_tbENKUlT_T0_E_clISt17integral_constantIbLb0EESX_IbLb1EEEEDaST_SU_EUlST_E_NS1_11comp_targetILNS1_3genE4ELNS1_11target_archE910ELNS1_3gpuE8ELNS1_3repE0EEENS1_30default_config_static_selectorELNS0_4arch9wavefront6targetE1EEEvT1_,"axG",@progbits,_ZN7rocprim17ROCPRIM_400000_NS6detail17trampoline_kernelINS0_14default_configENS1_27scan_by_key_config_selectorIxxEEZZNS1_16scan_by_key_implILNS1_25lookback_scan_determinismE0ELb1ES3_N6thrust23THRUST_200600_302600_NS6detail15normal_iteratorINS9_10device_ptrIxEEEESE_SE_xNS9_4plusIxEE19head_flag_predicatexEE10hipError_tPvRmT2_T3_T4_T5_mT6_T7_P12ihipStream_tbENKUlT_T0_E_clISt17integral_constantIbLb0EESX_IbLb1EEEEDaST_SU_EUlST_E_NS1_11comp_targetILNS1_3genE4ELNS1_11target_archE910ELNS1_3gpuE8ELNS1_3repE0EEENS1_30default_config_static_selectorELNS0_4arch9wavefront6targetE1EEEvT1_,comdat
	.protected	_ZN7rocprim17ROCPRIM_400000_NS6detail17trampoline_kernelINS0_14default_configENS1_27scan_by_key_config_selectorIxxEEZZNS1_16scan_by_key_implILNS1_25lookback_scan_determinismE0ELb1ES3_N6thrust23THRUST_200600_302600_NS6detail15normal_iteratorINS9_10device_ptrIxEEEESE_SE_xNS9_4plusIxEE19head_flag_predicatexEE10hipError_tPvRmT2_T3_T4_T5_mT6_T7_P12ihipStream_tbENKUlT_T0_E_clISt17integral_constantIbLb0EESX_IbLb1EEEEDaST_SU_EUlST_E_NS1_11comp_targetILNS1_3genE4ELNS1_11target_archE910ELNS1_3gpuE8ELNS1_3repE0EEENS1_30default_config_static_selectorELNS0_4arch9wavefront6targetE1EEEvT1_ ; -- Begin function _ZN7rocprim17ROCPRIM_400000_NS6detail17trampoline_kernelINS0_14default_configENS1_27scan_by_key_config_selectorIxxEEZZNS1_16scan_by_key_implILNS1_25lookback_scan_determinismE0ELb1ES3_N6thrust23THRUST_200600_302600_NS6detail15normal_iteratorINS9_10device_ptrIxEEEESE_SE_xNS9_4plusIxEE19head_flag_predicatexEE10hipError_tPvRmT2_T3_T4_T5_mT6_T7_P12ihipStream_tbENKUlT_T0_E_clISt17integral_constantIbLb0EESX_IbLb1EEEEDaST_SU_EUlST_E_NS1_11comp_targetILNS1_3genE4ELNS1_11target_archE910ELNS1_3gpuE8ELNS1_3repE0EEENS1_30default_config_static_selectorELNS0_4arch9wavefront6targetE1EEEvT1_
	.globl	_ZN7rocprim17ROCPRIM_400000_NS6detail17trampoline_kernelINS0_14default_configENS1_27scan_by_key_config_selectorIxxEEZZNS1_16scan_by_key_implILNS1_25lookback_scan_determinismE0ELb1ES3_N6thrust23THRUST_200600_302600_NS6detail15normal_iteratorINS9_10device_ptrIxEEEESE_SE_xNS9_4plusIxEE19head_flag_predicatexEE10hipError_tPvRmT2_T3_T4_T5_mT6_T7_P12ihipStream_tbENKUlT_T0_E_clISt17integral_constantIbLb0EESX_IbLb1EEEEDaST_SU_EUlST_E_NS1_11comp_targetILNS1_3genE4ELNS1_11target_archE910ELNS1_3gpuE8ELNS1_3repE0EEENS1_30default_config_static_selectorELNS0_4arch9wavefront6targetE1EEEvT1_
	.p2align	8
	.type	_ZN7rocprim17ROCPRIM_400000_NS6detail17trampoline_kernelINS0_14default_configENS1_27scan_by_key_config_selectorIxxEEZZNS1_16scan_by_key_implILNS1_25lookback_scan_determinismE0ELb1ES3_N6thrust23THRUST_200600_302600_NS6detail15normal_iteratorINS9_10device_ptrIxEEEESE_SE_xNS9_4plusIxEE19head_flag_predicatexEE10hipError_tPvRmT2_T3_T4_T5_mT6_T7_P12ihipStream_tbENKUlT_T0_E_clISt17integral_constantIbLb0EESX_IbLb1EEEEDaST_SU_EUlST_E_NS1_11comp_targetILNS1_3genE4ELNS1_11target_archE910ELNS1_3gpuE8ELNS1_3repE0EEENS1_30default_config_static_selectorELNS0_4arch9wavefront6targetE1EEEvT1_,@function
_ZN7rocprim17ROCPRIM_400000_NS6detail17trampoline_kernelINS0_14default_configENS1_27scan_by_key_config_selectorIxxEEZZNS1_16scan_by_key_implILNS1_25lookback_scan_determinismE0ELb1ES3_N6thrust23THRUST_200600_302600_NS6detail15normal_iteratorINS9_10device_ptrIxEEEESE_SE_xNS9_4plusIxEE19head_flag_predicatexEE10hipError_tPvRmT2_T3_T4_T5_mT6_T7_P12ihipStream_tbENKUlT_T0_E_clISt17integral_constantIbLb0EESX_IbLb1EEEEDaST_SU_EUlST_E_NS1_11comp_targetILNS1_3genE4ELNS1_11target_archE910ELNS1_3gpuE8ELNS1_3repE0EEENS1_30default_config_static_selectorELNS0_4arch9wavefront6targetE1EEEvT1_: ; @_ZN7rocprim17ROCPRIM_400000_NS6detail17trampoline_kernelINS0_14default_configENS1_27scan_by_key_config_selectorIxxEEZZNS1_16scan_by_key_implILNS1_25lookback_scan_determinismE0ELb1ES3_N6thrust23THRUST_200600_302600_NS6detail15normal_iteratorINS9_10device_ptrIxEEEESE_SE_xNS9_4plusIxEE19head_flag_predicatexEE10hipError_tPvRmT2_T3_T4_T5_mT6_T7_P12ihipStream_tbENKUlT_T0_E_clISt17integral_constantIbLb0EESX_IbLb1EEEEDaST_SU_EUlST_E_NS1_11comp_targetILNS1_3genE4ELNS1_11target_archE910ELNS1_3gpuE8ELNS1_3repE0EEENS1_30default_config_static_selectorELNS0_4arch9wavefront6targetE1EEEvT1_
; %bb.0:
	s_load_dwordx8 s[52:59], s[4:5], 0x0
	s_load_dwordx2 s[64:65], s[4:5], 0x20
	s_load_dwordx8 s[44:51], s[4:5], 0x30
	s_load_dwordx2 s[66:67], s[4:5], 0x50
	v_cmp_eq_u32_e64 s[0:1], 0, v0
	s_and_saveexec_b64 s[2:3], s[0:1]
	s_cbranch_execz .LBB743_4
; %bb.1:
	s_mov_b64 s[8:9], exec
	v_mbcnt_lo_u32_b32 v1, s8, 0
	v_mbcnt_hi_u32_b32 v1, s9, v1
	v_cmp_eq_u32_e32 vcc, 0, v1
                                        ; implicit-def: $vgpr2
	s_and_saveexec_b64 s[6:7], vcc
	s_cbranch_execz .LBB743_3
; %bb.2:
	s_load_dwordx2 s[10:11], s[4:5], 0x80
	s_bcnt1_i32_b64 s8, s[8:9]
	v_mov_b32_e32 v2, 0
	v_mov_b32_e32 v3, s8
	s_waitcnt lgkmcnt(0)
	global_atomic_add v2, v2, v3, s[10:11] glc
.LBB743_3:
	s_or_b64 exec, exec, s[6:7]
	s_waitcnt vmcnt(0)
	v_readfirstlane_b32 s6, v2
	v_add_u32_e32 v1, s6, v1
	v_mov_b32_e32 v2, 0
	ds_write_b32 v2, v1
.LBB743_4:
	s_or_b64 exec, exec, s[2:3]
	s_load_dword s2, s[4:5], 0x58
	s_load_dwordx4 s[60:63], s[4:5], 0x60
	v_mov_b32_e32 v3, 0
	s_waitcnt lgkmcnt(0)
	s_lshl_b64 s[54:55], s[54:55], 3
	s_waitcnt lgkmcnt(0)
	; wave barrier
	ds_read_b32 v1, v3
	s_add_u32 s3, s52, s54
	s_addc_u32 s4, s53, s55
	s_add_u32 s5, s56, s54
	s_mul_i32 s7, s67, s2
	s_mul_hi_u32 s8, s66, s2
	s_addc_u32 s6, s57, s55
	s_add_i32 s7, s8, s7
	s_movk_i32 s8, 0x4c0
	s_waitcnt lgkmcnt(0)
	v_mul_lo_u32 v2, v1, s8
	v_lshlrev_b64 v[72:73], 3, v[2:3]
	v_mov_b32_e32 v2, s4
	v_add_co_u32_e32 v76, vcc, s3, v72
	v_addc_co_u32_e32 v77, vcc, v2, v73, vcc
	v_mov_b32_e32 v2, s6
	v_add_co_u32_e32 v82, vcc, s5, v72
	s_mul_i32 s2, s66, s2
	v_addc_co_u32_e32 v83, vcc, v2, v73, vcc
	v_mov_b32_e32 v3, s7
	v_add_co_u32_e32 v2, vcc, s2, v1
	s_add_u32 s6, s60, -1
	v_addc_co_u32_e32 v3, vcc, 0, v3, vcc
	s_addc_u32 s7, s61, -1
	v_cmp_le_u64_e64 s[2:3], s[6:7], v[2:3]
	v_readfirstlane_b32 s51, v1
	s_mov_b64 s[4:5], -1
	s_and_b64 vcc, exec, s[2:3]
	s_mul_i32 s33, s6, 0xfffffb40
	s_waitcnt lgkmcnt(0)
	; wave barrier
	s_waitcnt lgkmcnt(0)
	s_waitcnt lgkmcnt(0)
	; wave barrier
	s_cbranch_vccz .LBB743_63
; %bb.5:
	flat_load_dwordx2 v[2:3], v[76:77]
	s_add_i32 s60, s33, s50
	v_cmp_gt_u32_e32 vcc, s60, v0
	s_waitcnt vmcnt(0) lgkmcnt(0)
	v_pk_mov_b32 v[4:5], v[2:3], v[2:3] op_sel:[0,1]
	s_and_saveexec_b64 s[6:7], vcc
	s_cbranch_execz .LBB743_7
; %bb.6:
	v_lshlrev_b32_e32 v1, 3, v0
	v_add_co_u32_e64 v4, s[4:5], v76, v1
	v_addc_co_u32_e64 v5, s[4:5], 0, v77, s[4:5]
	flat_load_dwordx2 v[4:5], v[4:5]
.LBB743_7:
	s_or_b64 exec, exec, s[6:7]
	v_or_b32_e32 v1, 64, v0
	v_cmp_gt_u32_e64 s[4:5], s60, v1
	v_pk_mov_b32 v[6:7], v[2:3], v[2:3] op_sel:[0,1]
	s_and_saveexec_b64 s[8:9], s[4:5]
	s_cbranch_execz .LBB743_9
; %bb.8:
	v_lshlrev_b32_e32 v1, 3, v0
	v_add_co_u32_e64 v6, s[6:7], v76, v1
	v_addc_co_u32_e64 v7, s[6:7], 0, v77, s[6:7]
	flat_load_dwordx2 v[6:7], v[6:7] offset:512
.LBB743_9:
	s_or_b64 exec, exec, s[8:9]
	v_or_b32_e32 v1, 0x80, v0
	v_cmp_gt_u32_e64 s[6:7], s60, v1
	v_pk_mov_b32 v[8:9], v[2:3], v[2:3] op_sel:[0,1]
	s_and_saveexec_b64 s[10:11], s[6:7]
	s_cbranch_execz .LBB743_11
; %bb.10:
	v_lshlrev_b32_e32 v1, 3, v0
	v_add_co_u32_e64 v8, s[8:9], v76, v1
	v_addc_co_u32_e64 v9, s[8:9], 0, v77, s[8:9]
	flat_load_dwordx2 v[8:9], v[8:9] offset:1024
.LBB743_11:
	;; [unrolled: 12-line block ×7, first 2 shown]
	s_or_b64 exec, exec, s[20:21]
	v_or_b32_e32 v1, 0x200, v0
	v_cmp_gt_u32_e64 s[18:19], s60, v1
	v_lshlrev_b32_e32 v1, 3, v1
	v_pk_mov_b32 v[20:21], v[2:3], v[2:3] op_sel:[0,1]
	s_and_saveexec_b64 s[22:23], s[18:19]
	s_cbranch_execz .LBB743_23
; %bb.22:
	v_add_co_u32_e64 v20, s[20:21], v76, v1
	v_addc_co_u32_e64 v21, s[20:21], 0, v77, s[20:21]
	flat_load_dwordx2 v[20:21], v[20:21]
.LBB743_23:
	s_or_b64 exec, exec, s[22:23]
	v_or_b32_e32 v22, 0x240, v0
	v_cmp_gt_u32_e64 s[20:21], s60, v22
	v_lshlrev_b32_e32 v56, 3, v22
	v_pk_mov_b32 v[22:23], v[2:3], v[2:3] op_sel:[0,1]
	s_and_saveexec_b64 s[24:25], s[20:21]
	s_cbranch_execz .LBB743_25
; %bb.24:
	v_add_co_u32_e64 v22, s[22:23], v76, v56
	v_addc_co_u32_e64 v23, s[22:23], 0, v77, s[22:23]
	flat_load_dwordx2 v[22:23], v[22:23]
.LBB743_25:
	;; [unrolled: 12-line block ×10, first 2 shown]
	s_or_b64 exec, exec, s[42:43]
	v_or_b32_e32 v40, 0x480, v0
	v_cmp_gt_u32_e64 s[40:41], s60, v40
	v_lshlrev_b32_e32 v87, 3, v40
	s_and_saveexec_b64 s[52:53], s[40:41]
	s_cbranch_execz .LBB743_43
; %bb.42:
	v_add_co_u32_e64 v2, s[42:43], v76, v87
	v_addc_co_u32_e64 v3, s[42:43], 0, v77, s[42:43]
	flat_load_dwordx2 v[2:3], v[2:3]
.LBB743_43:
	s_or_b64 exec, exec, s[52:53]
	v_lshlrev_b32_e32 v86, 3, v0
	s_waitcnt vmcnt(0) lgkmcnt(0)
	ds_write2st64_b64 v86, v[4:5], v[6:7] offset1:1
	ds_write2st64_b64 v86, v[8:9], v[10:11] offset0:2 offset1:3
	ds_write2st64_b64 v86, v[12:13], v[14:15] offset0:4 offset1:5
	;; [unrolled: 1-line block ×8, first 2 shown]
	ds_write_b64 v86, v[2:3] offset:9216
	s_waitcnt lgkmcnt(0)
	; wave barrier
	s_waitcnt lgkmcnt(0)
	flat_load_dwordx2 v[78:79], v[76:77]
	s_movk_i32 s42, 0x90
	v_mad_u32_u24 v84, v0, s42, v86
	s_movk_i32 s42, 0xff70
	v_mad_i32_i24 v38, v0, s42, v84
	v_cmp_ne_u32_e64 s[42:43], 63, v0
	ds_read2_b64 v[34:37], v84 offset1:1
	ds_read2_b64 v[30:33], v84 offset0:2 offset1:3
	ds_read2_b64 v[26:29], v84 offset0:4 offset1:5
	;; [unrolled: 1-line block ×8, first 2 shown]
	ds_read_b64 v[80:81], v84 offset:144
	s_waitcnt lgkmcnt(0)
	ds_write_b64 v38, v[34:35] offset:10240
	s_waitcnt lgkmcnt(0)
	; wave barrier
	s_waitcnt lgkmcnt(0)
	s_and_saveexec_b64 s[52:53], s[42:43]
	s_cbranch_execz .LBB743_45
; %bb.44:
	s_waitcnt vmcnt(0)
	ds_read_b64 v[78:79], v86 offset:10248
.LBB743_45:
	s_or_b64 exec, exec, s[52:53]
	s_waitcnt lgkmcnt(0)
	; wave barrier
	s_waitcnt lgkmcnt(0)
                                        ; implicit-def: $vgpr34_vgpr35
	s_and_saveexec_b64 s[42:43], vcc
	s_cbranch_execz .LBB743_64
; %bb.46:
	v_add_co_u32_e32 v34, vcc, v82, v86
	v_addc_co_u32_e32 v35, vcc, 0, v83, vcc
	flat_load_dwordx2 v[34:35], v[34:35]
	s_or_b64 exec, exec, s[42:43]
                                        ; implicit-def: $vgpr38_vgpr39
	s_and_saveexec_b64 s[42:43], s[4:5]
	s_cbranch_execnz .LBB743_65
.LBB743_47:
	s_or_b64 exec, exec, s[42:43]
                                        ; implicit-def: $vgpr40_vgpr41
	s_and_saveexec_b64 s[4:5], s[6:7]
	s_cbranch_execz .LBB743_66
.LBB743_48:
	v_add_co_u32_e32 v40, vcc, v82, v86
	v_addc_co_u32_e32 v41, vcc, 0, v83, vcc
	flat_load_dwordx2 v[40:41], v[40:41] offset:1024
	s_or_b64 exec, exec, s[4:5]
                                        ; implicit-def: $vgpr42_vgpr43
	s_and_saveexec_b64 s[4:5], s[8:9]
	s_cbranch_execnz .LBB743_67
.LBB743_49:
	s_or_b64 exec, exec, s[4:5]
                                        ; implicit-def: $vgpr44_vgpr45
	s_and_saveexec_b64 s[4:5], s[10:11]
	s_cbranch_execz .LBB743_68
.LBB743_50:
	v_add_co_u32_e32 v44, vcc, v82, v86
	v_addc_co_u32_e32 v45, vcc, 0, v83, vcc
	flat_load_dwordx2 v[44:45], v[44:45] offset:2048
	s_or_b64 exec, exec, s[4:5]
                                        ; implicit-def: $vgpr46_vgpr47
	s_and_saveexec_b64 s[4:5], s[12:13]
	s_cbranch_execnz .LBB743_69
.LBB743_51:
	s_or_b64 exec, exec, s[4:5]
                                        ; implicit-def: $vgpr48_vgpr49
	s_and_saveexec_b64 s[4:5], s[14:15]
	s_cbranch_execz .LBB743_70
.LBB743_52:
	v_add_co_u32_e32 v48, vcc, v82, v86
	v_addc_co_u32_e32 v49, vcc, 0, v83, vcc
	flat_load_dwordx2 v[48:49], v[48:49] offset:3072
	s_or_b64 exec, exec, s[4:5]
                                        ; implicit-def: $vgpr50_vgpr51
	s_and_saveexec_b64 s[4:5], s[16:17]
	s_cbranch_execnz .LBB743_71
.LBB743_53:
	s_or_b64 exec, exec, s[4:5]
                                        ; implicit-def: $vgpr52_vgpr53
	s_and_saveexec_b64 s[4:5], s[18:19]
	s_cbranch_execz .LBB743_72
.LBB743_54:
	v_add_co_u32_e32 v52, vcc, v82, v1
	v_addc_co_u32_e32 v53, vcc, 0, v83, vcc
	flat_load_dwordx2 v[52:53], v[52:53]
	s_or_b64 exec, exec, s[4:5]
                                        ; implicit-def: $vgpr54_vgpr55
	s_and_saveexec_b64 s[4:5], s[20:21]
	s_cbranch_execnz .LBB743_73
.LBB743_55:
	s_or_b64 exec, exec, s[4:5]
                                        ; implicit-def: $vgpr56_vgpr57
	s_and_saveexec_b64 s[4:5], s[22:23]
	s_cbranch_execz .LBB743_74
.LBB743_56:
	v_add_co_u32_e32 v56, vcc, v82, v58
	v_addc_co_u32_e32 v57, vcc, 0, v83, vcc
	flat_load_dwordx2 v[56:57], v[56:57]
	s_or_b64 exec, exec, s[4:5]
                                        ; implicit-def: $vgpr58_vgpr59
	s_and_saveexec_b64 s[4:5], s[24:25]
	s_cbranch_execnz .LBB743_75
.LBB743_57:
	s_or_b64 exec, exec, s[4:5]
                                        ; implicit-def: $vgpr60_vgpr61
	s_and_saveexec_b64 s[4:5], s[26:27]
	s_cbranch_execz .LBB743_76
.LBB743_58:
	v_add_co_u32_e32 v60, vcc, v82, v62
	v_addc_co_u32_e32 v61, vcc, 0, v83, vcc
	flat_load_dwordx2 v[60:61], v[60:61]
	s_or_b64 exec, exec, s[4:5]
                                        ; implicit-def: $vgpr62_vgpr63
	s_and_saveexec_b64 s[4:5], s[28:29]
	s_cbranch_execnz .LBB743_77
.LBB743_59:
	s_or_b64 exec, exec, s[4:5]
                                        ; implicit-def: $vgpr64_vgpr65
	s_and_saveexec_b64 s[4:5], s[30:31]
	s_cbranch_execz .LBB743_78
.LBB743_60:
	v_add_co_u32_e32 v64, vcc, v82, v66
	v_addc_co_u32_e32 v65, vcc, 0, v83, vcc
	flat_load_dwordx2 v[64:65], v[64:65]
	s_or_b64 exec, exec, s[4:5]
                                        ; implicit-def: $vgpr66_vgpr67
	s_and_saveexec_b64 s[4:5], s[34:35]
	s_cbranch_execnz .LBB743_79
.LBB743_61:
	s_or_b64 exec, exec, s[4:5]
                                        ; implicit-def: $vgpr68_vgpr69
	s_and_saveexec_b64 s[4:5], s[36:37]
	s_cbranch_execz .LBB743_80
.LBB743_62:
	v_add_co_u32_e32 v68, vcc, v82, v70
	v_addc_co_u32_e32 v69, vcc, 0, v83, vcc
	flat_load_dwordx2 v[68:69], v[68:69]
	s_or_b64 exec, exec, s[4:5]
                                        ; implicit-def: $vgpr70_vgpr71
	s_and_saveexec_b64 s[4:5], s[38:39]
	s_cbranch_execz .LBB743_82
	s_branch .LBB743_81
.LBB743_63:
	s_mov_b64 s[10:11], 0
                                        ; implicit-def: $sgpr8_sgpr9
                                        ; implicit-def: $vgpr34_vgpr35
                                        ; implicit-def: $vgpr70_vgpr71
                                        ; implicit-def: $vgpr100
                                        ; implicit-def: $vgpr40_vgpr41
                                        ; implicit-def: $vgpr114
                                        ; implicit-def: $vgpr74_vgpr75
                                        ; implicit-def: $vgpr113
                                        ; implicit-def: $vgpr68_vgpr69
                                        ; implicit-def: $vgpr112
                                        ; implicit-def: $vgpr66_vgpr67
                                        ; implicit-def: $vgpr111
                                        ; implicit-def: $vgpr64_vgpr65
                                        ; implicit-def: $vgpr110
                                        ; implicit-def: $vgpr44_vgpr45
                                        ; implicit-def: $vgpr109
                                        ; implicit-def: $vgpr42_vgpr43
                                        ; implicit-def: $vgpr108
                                        ; implicit-def: $vgpr52_vgpr53
                                        ; implicit-def: $vgpr107
                                        ; implicit-def: $vgpr50_vgpr51
                                        ; implicit-def: $vgpr106
                                        ; implicit-def: $vgpr56_vgpr57
                                        ; implicit-def: $vgpr105
                                        ; implicit-def: $vgpr54_vgpr55
                                        ; implicit-def: $vgpr104
                                        ; implicit-def: $vgpr60_vgpr61
                                        ; implicit-def: $vgpr103
                                        ; implicit-def: $vgpr58_vgpr59
                                        ; implicit-def: $vgpr102
                                        ; implicit-def: $vgpr62_vgpr63
                                        ; implicit-def: $vgpr101
                                        ; implicit-def: $vgpr48_vgpr49
                                        ; implicit-def: $vgpr99
                                        ; implicit-def: $vgpr46_vgpr47
                                        ; implicit-def: $vgpr98
                                        ; implicit-def: $vgpr38_vgpr39
                                        ; implicit-def: $vgpr1
                                        ; implicit-def: $sgpr68
                                        ; implicit-def: $sgpr6_sgpr7
	s_and_b64 vcc, exec, s[4:5]
	v_lshlrev_b32_e32 v115, 3, v0
	s_cbranch_vccz .LBB743_128
	s_branch .LBB743_123
.LBB743_64:
	s_or_b64 exec, exec, s[42:43]
                                        ; implicit-def: $vgpr38_vgpr39
	s_and_saveexec_b64 s[42:43], s[4:5]
	s_cbranch_execz .LBB743_47
.LBB743_65:
	v_add_co_u32_e32 v38, vcc, v82, v86
	v_addc_co_u32_e32 v39, vcc, 0, v83, vcc
	flat_load_dwordx2 v[38:39], v[38:39] offset:512
	s_or_b64 exec, exec, s[42:43]
                                        ; implicit-def: $vgpr40_vgpr41
	s_and_saveexec_b64 s[4:5], s[6:7]
	s_cbranch_execnz .LBB743_48
.LBB743_66:
	s_or_b64 exec, exec, s[4:5]
                                        ; implicit-def: $vgpr42_vgpr43
	s_and_saveexec_b64 s[4:5], s[8:9]
	s_cbranch_execz .LBB743_49
.LBB743_67:
	v_add_co_u32_e32 v42, vcc, v82, v86
	v_addc_co_u32_e32 v43, vcc, 0, v83, vcc
	flat_load_dwordx2 v[42:43], v[42:43] offset:1536
	s_or_b64 exec, exec, s[4:5]
                                        ; implicit-def: $vgpr44_vgpr45
	s_and_saveexec_b64 s[4:5], s[10:11]
	s_cbranch_execnz .LBB743_50
.LBB743_68:
	s_or_b64 exec, exec, s[4:5]
                                        ; implicit-def: $vgpr46_vgpr47
	s_and_saveexec_b64 s[4:5], s[12:13]
	s_cbranch_execz .LBB743_51
.LBB743_69:
	v_add_co_u32_e32 v46, vcc, v82, v86
	v_addc_co_u32_e32 v47, vcc, 0, v83, vcc
	flat_load_dwordx2 v[46:47], v[46:47] offset:2560
	s_or_b64 exec, exec, s[4:5]
                                        ; implicit-def: $vgpr48_vgpr49
	s_and_saveexec_b64 s[4:5], s[14:15]
	s_cbranch_execnz .LBB743_52
.LBB743_70:
	s_or_b64 exec, exec, s[4:5]
                                        ; implicit-def: $vgpr50_vgpr51
	s_and_saveexec_b64 s[4:5], s[16:17]
	s_cbranch_execz .LBB743_53
.LBB743_71:
	v_add_co_u32_e32 v50, vcc, v82, v86
	v_addc_co_u32_e32 v51, vcc, 0, v83, vcc
	flat_load_dwordx2 v[50:51], v[50:51] offset:3584
	s_or_b64 exec, exec, s[4:5]
                                        ; implicit-def: $vgpr52_vgpr53
	s_and_saveexec_b64 s[4:5], s[18:19]
	s_cbranch_execnz .LBB743_54
.LBB743_72:
	s_or_b64 exec, exec, s[4:5]
                                        ; implicit-def: $vgpr54_vgpr55
	s_and_saveexec_b64 s[4:5], s[20:21]
	s_cbranch_execz .LBB743_55
.LBB743_73:
	v_add_co_u32_e32 v54, vcc, v82, v56
	v_addc_co_u32_e32 v55, vcc, 0, v83, vcc
	flat_load_dwordx2 v[54:55], v[54:55]
	s_or_b64 exec, exec, s[4:5]
                                        ; implicit-def: $vgpr56_vgpr57
	s_and_saveexec_b64 s[4:5], s[22:23]
	s_cbranch_execnz .LBB743_56
.LBB743_74:
	s_or_b64 exec, exec, s[4:5]
                                        ; implicit-def: $vgpr58_vgpr59
	s_and_saveexec_b64 s[4:5], s[24:25]
	s_cbranch_execz .LBB743_57
.LBB743_75:
	v_add_co_u32_e32 v58, vcc, v82, v60
	v_addc_co_u32_e32 v59, vcc, 0, v83, vcc
	flat_load_dwordx2 v[58:59], v[58:59]
	s_or_b64 exec, exec, s[4:5]
                                        ; implicit-def: $vgpr60_vgpr61
	s_and_saveexec_b64 s[4:5], s[26:27]
	s_cbranch_execnz .LBB743_58
.LBB743_76:
	s_or_b64 exec, exec, s[4:5]
                                        ; implicit-def: $vgpr62_vgpr63
	s_and_saveexec_b64 s[4:5], s[28:29]
	s_cbranch_execz .LBB743_59
.LBB743_77:
	v_add_co_u32_e32 v62, vcc, v82, v64
	v_addc_co_u32_e32 v63, vcc, 0, v83, vcc
	flat_load_dwordx2 v[62:63], v[62:63]
	s_or_b64 exec, exec, s[4:5]
                                        ; implicit-def: $vgpr64_vgpr65
	s_and_saveexec_b64 s[4:5], s[30:31]
	s_cbranch_execnz .LBB743_60
.LBB743_78:
	s_or_b64 exec, exec, s[4:5]
                                        ; implicit-def: $vgpr66_vgpr67
	s_and_saveexec_b64 s[4:5], s[34:35]
	s_cbranch_execz .LBB743_61
.LBB743_79:
	v_add_co_u32_e32 v66, vcc, v82, v68
	v_addc_co_u32_e32 v67, vcc, 0, v83, vcc
	flat_load_dwordx2 v[66:67], v[66:67]
	s_or_b64 exec, exec, s[4:5]
                                        ; implicit-def: $vgpr68_vgpr69
	s_and_saveexec_b64 s[4:5], s[36:37]
	s_cbranch_execnz .LBB743_62
.LBB743_80:
	s_or_b64 exec, exec, s[4:5]
                                        ; implicit-def: $vgpr70_vgpr71
	s_and_saveexec_b64 s[4:5], s[38:39]
	s_cbranch_execz .LBB743_82
.LBB743_81:
	v_add_co_u32_e32 v70, vcc, v82, v74
	v_addc_co_u32_e32 v71, vcc, 0, v83, vcc
	flat_load_dwordx2 v[70:71], v[70:71]
.LBB743_82:
	s_or_b64 exec, exec, s[4:5]
	v_mul_u32_u24_e32 v85, 19, v0
                                        ; implicit-def: $vgpr74_vgpr75
	s_and_saveexec_b64 s[4:5], s[40:41]
	s_cbranch_execz .LBB743_84
; %bb.83:
	v_add_co_u32_e32 v74, vcc, v82, v87
	v_addc_co_u32_e32 v75, vcc, 0, v83, vcc
	flat_load_dwordx2 v[74:75], v[74:75]
.LBB743_84:
	s_or_b64 exec, exec, s[4:5]
	s_waitcnt vmcnt(0) lgkmcnt(0)
	ds_write2st64_b64 v86, v[34:35], v[38:39] offset1:1
	ds_write2st64_b64 v86, v[40:41], v[42:43] offset0:2 offset1:3
	ds_write2st64_b64 v86, v[44:45], v[46:47] offset0:4 offset1:5
	;; [unrolled: 1-line block ×8, first 2 shown]
	ds_write_b64 v86, v[74:75] offset:9216
	v_pk_mov_b32 v[70:71], 0, 0
	v_cmp_gt_u32_e32 vcc, s60, v85
	s_mov_b64 s[10:11], 0
	s_mov_b32 s68, 0
	s_mov_b64 s[4:5], 0
	v_mov_b32_e32 v100, 0
	v_pk_mov_b32 v[40:41], v[70:71], v[70:71] op_sel:[0,1]
	v_mov_b32_e32 v114, 0
	v_pk_mov_b32 v[74:75], v[70:71], v[70:71] op_sel:[0,1]
	;; [unrolled: 2-line block ×17, first 2 shown]
	v_mov_b32_e32 v1, 0
	s_waitcnt lgkmcnt(0)
	; wave barrier
	s_waitcnt lgkmcnt(0)
                                        ; implicit-def: $sgpr8_sgpr9
                                        ; implicit-def: $vgpr34_vgpr35
	s_and_saveexec_b64 s[6:7], vcc
	s_cbranch_execz .LBB743_122
; %bb.85:
	ds_read_b64 v[34:35], v84
	v_cmp_ne_u64_e32 vcc, 0, v[36:37]
	v_mov_b32_e32 v36, s65
	v_add_u32_e32 v38, 1, v85
	v_pk_mov_b32 v[40:41], 0, 0
	s_waitcnt lgkmcnt(0)
	v_cndmask_b32_e32 v71, v35, v36, vcc
	v_mov_b32_e32 v35, s64
	v_cndmask_b32_e64 v1, 0, 1, vcc
	v_cndmask_b32_e32 v70, v34, v35, vcc
	v_cmp_gt_u32_e32 vcc, s60, v38
	v_mov_b32_e32 v100, 0
	v_mov_b32_e32 v114, 0
	v_pk_mov_b32 v[74:75], v[40:41], v[40:41] op_sel:[0,1]
	v_mov_b32_e32 v113, 0
	v_pk_mov_b32 v[68:69], v[40:41], v[40:41] op_sel:[0,1]
	;; [unrolled: 2-line block ×16, first 2 shown]
                                        ; implicit-def: $sgpr14_sgpr15
                                        ; implicit-def: $vgpr34_vgpr35
	s_and_saveexec_b64 s[8:9], vcc
	s_cbranch_execz .LBB743_121
; %bb.86:
	ds_read2_b64 v[34:37], v84 offset0:1 offset1:2
	v_cmp_ne_u64_e32 vcc, 0, v[30:31]
	v_mov_b32_e32 v30, s65
	v_add_u32_e32 v40, 2, v85
	v_cndmask_b32_e64 v98, 0, 1, vcc
	s_waitcnt lgkmcnt(0)
	v_cndmask_b32_e32 v39, v35, v30, vcc
	v_mov_b32_e32 v30, s64
	v_cndmask_b32_e32 v38, v34, v30, vcc
	v_cmp_gt_u32_e32 vcc, s60, v40
	v_pk_mov_b32 v[40:41], 0, 0
	s_mov_b64 s[12:13], 0
	v_mov_b32_e32 v100, 0
	v_mov_b32_e32 v114, 0
	v_pk_mov_b32 v[74:75], v[40:41], v[40:41] op_sel:[0,1]
	v_mov_b32_e32 v113, 0
	v_pk_mov_b32 v[68:69], v[40:41], v[40:41] op_sel:[0,1]
	;; [unrolled: 2-line block ×15, first 2 shown]
                                        ; implicit-def: $sgpr16_sgpr17
                                        ; implicit-def: $vgpr34_vgpr35
	s_and_saveexec_b64 s[10:11], vcc
	s_cbranch_execz .LBB743_120
; %bb.87:
	v_cmp_ne_u64_e32 vcc, 0, v[32:33]
	v_mov_b32_e32 v31, s65
	v_add_u32_e32 v30, 3, v85
	v_cndmask_b32_e32 v47, v37, v31, vcc
	v_mov_b32_e32 v31, s64
	v_pk_mov_b32 v[40:41], 0, 0
	s_mov_b64 s[14:15], 0
	v_cndmask_b32_e64 v99, 0, 1, vcc
	v_cndmask_b32_e32 v46, v36, v31, vcc
	v_cmp_gt_u32_e32 vcc, s60, v30
	v_mov_b32_e32 v100, 0
	v_mov_b32_e32 v114, 0
	v_pk_mov_b32 v[74:75], v[40:41], v[40:41] op_sel:[0,1]
	v_mov_b32_e32 v113, 0
	v_pk_mov_b32 v[68:69], v[40:41], v[40:41] op_sel:[0,1]
	;; [unrolled: 2-line block ×14, first 2 shown]
                                        ; implicit-def: $sgpr18_sgpr19
                                        ; implicit-def: $vgpr34_vgpr35
	s_and_saveexec_b64 s[12:13], vcc
	s_cbranch_execz .LBB743_119
; %bb.88:
	ds_read2_b64 v[30:33], v84 offset0:3 offset1:4
	v_cmp_ne_u64_e32 vcc, 0, v[26:27]
	v_mov_b32_e32 v26, s65
	v_add_u32_e32 v34, 4, v85
	v_pk_mov_b32 v[40:41], 0, 0
	s_waitcnt lgkmcnt(0)
	v_cndmask_b32_e32 v49, v31, v26, vcc
	v_mov_b32_e32 v26, s64
	s_mov_b64 s[16:17], 0
	v_cndmask_b32_e64 v101, 0, 1, vcc
	v_cndmask_b32_e32 v48, v30, v26, vcc
	v_cmp_gt_u32_e32 vcc, s60, v34
	v_mov_b32_e32 v100, 0
	v_mov_b32_e32 v114, 0
	v_pk_mov_b32 v[74:75], v[40:41], v[40:41] op_sel:[0,1]
	v_mov_b32_e32 v113, 0
	v_pk_mov_b32 v[68:69], v[40:41], v[40:41] op_sel:[0,1]
	;; [unrolled: 2-line block ×13, first 2 shown]
                                        ; implicit-def: $sgpr20_sgpr21
                                        ; implicit-def: $vgpr34_vgpr35
	s_and_saveexec_b64 s[14:15], vcc
	s_cbranch_execz .LBB743_118
; %bb.89:
	v_cmp_ne_u64_e32 vcc, 0, v[28:29]
	v_mov_b32_e32 v27, s65
	v_add_u32_e32 v26, 5, v85
	v_cndmask_b32_e32 v63, v33, v27, vcc
	v_mov_b32_e32 v27, s64
	v_pk_mov_b32 v[40:41], 0, 0
	s_mov_b64 s[18:19], 0
	v_cndmask_b32_e64 v102, 0, 1, vcc
	v_cndmask_b32_e32 v62, v32, v27, vcc
	v_cmp_gt_u32_e32 vcc, s60, v26
	v_mov_b32_e32 v100, 0
	v_mov_b32_e32 v114, 0
	v_pk_mov_b32 v[74:75], v[40:41], v[40:41] op_sel:[0,1]
	v_mov_b32_e32 v113, 0
	v_pk_mov_b32 v[68:69], v[40:41], v[40:41] op_sel:[0,1]
	;; [unrolled: 2-line block ×12, first 2 shown]
                                        ; implicit-def: $sgpr22_sgpr23
                                        ; implicit-def: $vgpr34_vgpr35
	s_and_saveexec_b64 s[16:17], vcc
	s_cbranch_execz .LBB743_117
; %bb.90:
	ds_read2_b64 v[26:29], v84 offset0:5 offset1:6
	v_cmp_ne_u64_e32 vcc, 0, v[22:23]
	v_mov_b32_e32 v22, s65
	v_add_u32_e32 v30, 6, v85
	v_pk_mov_b32 v[40:41], 0, 0
	s_waitcnt lgkmcnt(0)
	v_cndmask_b32_e32 v59, v27, v22, vcc
	v_mov_b32_e32 v22, s64
	s_mov_b64 s[20:21], 0
	v_cndmask_b32_e64 v103, 0, 1, vcc
	v_cndmask_b32_e32 v58, v26, v22, vcc
	v_cmp_gt_u32_e32 vcc, s60, v30
	v_mov_b32_e32 v100, 0
	v_mov_b32_e32 v114, 0
	v_pk_mov_b32 v[74:75], v[40:41], v[40:41] op_sel:[0,1]
	v_mov_b32_e32 v113, 0
	v_pk_mov_b32 v[68:69], v[40:41], v[40:41] op_sel:[0,1]
	;; [unrolled: 2-line block ×11, first 2 shown]
                                        ; implicit-def: $sgpr24_sgpr25
                                        ; implicit-def: $vgpr34_vgpr35
	s_and_saveexec_b64 s[18:19], vcc
	s_cbranch_execz .LBB743_116
; %bb.91:
	v_cmp_ne_u64_e32 vcc, 0, v[24:25]
	v_mov_b32_e32 v23, s65
	v_add_u32_e32 v22, 7, v85
	v_cndmask_b32_e32 v61, v29, v23, vcc
	v_mov_b32_e32 v23, s64
	v_pk_mov_b32 v[40:41], 0, 0
	s_mov_b64 s[22:23], 0
	v_cndmask_b32_e64 v104, 0, 1, vcc
	v_cndmask_b32_e32 v60, v28, v23, vcc
	v_cmp_gt_u32_e32 vcc, s60, v22
	v_mov_b32_e32 v100, 0
	v_mov_b32_e32 v114, 0
	v_pk_mov_b32 v[74:75], v[40:41], v[40:41] op_sel:[0,1]
	v_mov_b32_e32 v113, 0
	v_pk_mov_b32 v[68:69], v[40:41], v[40:41] op_sel:[0,1]
	;; [unrolled: 2-line block ×10, first 2 shown]
                                        ; implicit-def: $sgpr26_sgpr27
                                        ; implicit-def: $vgpr34_vgpr35
	s_and_saveexec_b64 s[20:21], vcc
	s_cbranch_execz .LBB743_115
; %bb.92:
	ds_read2_b64 v[22:25], v84 offset0:7 offset1:8
	v_cmp_ne_u64_e32 vcc, 0, v[18:19]
	v_mov_b32_e32 v18, s65
	v_add_u32_e32 v26, 8, v85
	v_pk_mov_b32 v[40:41], 0, 0
	s_waitcnt lgkmcnt(0)
	v_cndmask_b32_e32 v55, v23, v18, vcc
	v_mov_b32_e32 v18, s64
	s_mov_b64 s[24:25], 0
	v_cndmask_b32_e64 v105, 0, 1, vcc
	v_cndmask_b32_e32 v54, v22, v18, vcc
	v_cmp_gt_u32_e32 vcc, s60, v26
	v_mov_b32_e32 v100, 0
	v_mov_b32_e32 v114, 0
	v_pk_mov_b32 v[74:75], v[40:41], v[40:41] op_sel:[0,1]
	v_mov_b32_e32 v113, 0
	v_pk_mov_b32 v[68:69], v[40:41], v[40:41] op_sel:[0,1]
	v_mov_b32_e32 v112, 0
	v_pk_mov_b32 v[66:67], v[40:41], v[40:41] op_sel:[0,1]
	v_mov_b32_e32 v111, 0
	v_pk_mov_b32 v[64:65], v[40:41], v[40:41] op_sel:[0,1]
	v_mov_b32_e32 v110, 0
	v_pk_mov_b32 v[44:45], v[40:41], v[40:41] op_sel:[0,1]
	v_mov_b32_e32 v109, 0
	v_pk_mov_b32 v[42:43], v[40:41], v[40:41] op_sel:[0,1]
	v_mov_b32_e32 v108, 0
	v_pk_mov_b32 v[52:53], v[40:41], v[40:41] op_sel:[0,1]
	v_mov_b32_e32 v107, 0
	v_pk_mov_b32 v[50:51], v[40:41], v[40:41] op_sel:[0,1]
	v_mov_b32_e32 v106, 0
	v_pk_mov_b32 v[56:57], v[40:41], v[40:41] op_sel:[0,1]
                                        ; implicit-def: $sgpr28_sgpr29
                                        ; implicit-def: $vgpr34_vgpr35
	s_and_saveexec_b64 s[22:23], vcc
	s_cbranch_execz .LBB743_114
; %bb.93:
	v_cmp_ne_u64_e32 vcc, 0, v[20:21]
	v_mov_b32_e32 v19, s65
	v_add_u32_e32 v18, 9, v85
	v_cndmask_b32_e32 v57, v25, v19, vcc
	v_mov_b32_e32 v19, s64
	v_pk_mov_b32 v[40:41], 0, 0
	s_mov_b64 s[26:27], 0
	v_cndmask_b32_e64 v106, 0, 1, vcc
	v_cndmask_b32_e32 v56, v24, v19, vcc
	v_cmp_gt_u32_e32 vcc, s60, v18
	v_mov_b32_e32 v100, 0
	v_mov_b32_e32 v114, 0
	v_pk_mov_b32 v[74:75], v[40:41], v[40:41] op_sel:[0,1]
	v_mov_b32_e32 v113, 0
	v_pk_mov_b32 v[68:69], v[40:41], v[40:41] op_sel:[0,1]
	;; [unrolled: 2-line block ×8, first 2 shown]
                                        ; implicit-def: $sgpr30_sgpr31
                                        ; implicit-def: $vgpr34_vgpr35
	s_and_saveexec_b64 s[24:25], vcc
	s_cbranch_execz .LBB743_113
; %bb.94:
	ds_read2_b64 v[18:21], v84 offset0:9 offset1:10
	v_cmp_ne_u64_e32 vcc, 0, v[14:15]
	v_mov_b32_e32 v14, s65
	v_add_u32_e32 v22, 10, v85
	v_pk_mov_b32 v[40:41], 0, 0
	s_waitcnt lgkmcnt(0)
	v_cndmask_b32_e32 v51, v19, v14, vcc
	v_mov_b32_e32 v14, s64
	s_mov_b64 s[28:29], 0
	v_cndmask_b32_e64 v107, 0, 1, vcc
	v_cndmask_b32_e32 v50, v18, v14, vcc
	v_cmp_gt_u32_e32 vcc, s60, v22
	v_mov_b32_e32 v100, 0
	v_mov_b32_e32 v114, 0
	v_pk_mov_b32 v[74:75], v[40:41], v[40:41] op_sel:[0,1]
	v_mov_b32_e32 v113, 0
	v_pk_mov_b32 v[68:69], v[40:41], v[40:41] op_sel:[0,1]
	v_mov_b32_e32 v112, 0
	v_pk_mov_b32 v[66:67], v[40:41], v[40:41] op_sel:[0,1]
	v_mov_b32_e32 v111, 0
	v_pk_mov_b32 v[64:65], v[40:41], v[40:41] op_sel:[0,1]
	v_mov_b32_e32 v110, 0
	v_pk_mov_b32 v[44:45], v[40:41], v[40:41] op_sel:[0,1]
	v_mov_b32_e32 v109, 0
	v_pk_mov_b32 v[42:43], v[40:41], v[40:41] op_sel:[0,1]
	v_mov_b32_e32 v108, 0
	v_pk_mov_b32 v[52:53], v[40:41], v[40:41] op_sel:[0,1]
                                        ; implicit-def: $sgpr34_sgpr35
                                        ; implicit-def: $vgpr34_vgpr35
	s_and_saveexec_b64 s[26:27], vcc
	s_cbranch_execz .LBB743_112
; %bb.95:
	v_cmp_ne_u64_e32 vcc, 0, v[16:17]
	v_mov_b32_e32 v15, s65
	v_add_u32_e32 v14, 11, v85
	v_cndmask_b32_e32 v53, v21, v15, vcc
	v_mov_b32_e32 v15, s64
	v_pk_mov_b32 v[40:41], 0, 0
	s_mov_b64 s[30:31], 0
	v_cndmask_b32_e64 v108, 0, 1, vcc
	v_cndmask_b32_e32 v52, v20, v15, vcc
	v_cmp_gt_u32_e32 vcc, s60, v14
	v_mov_b32_e32 v100, 0
	v_mov_b32_e32 v114, 0
	v_pk_mov_b32 v[74:75], v[40:41], v[40:41] op_sel:[0,1]
	v_mov_b32_e32 v113, 0
	v_pk_mov_b32 v[68:69], v[40:41], v[40:41] op_sel:[0,1]
	;; [unrolled: 2-line block ×6, first 2 shown]
                                        ; implicit-def: $sgpr36_sgpr37
                                        ; implicit-def: $vgpr34_vgpr35
	s_and_saveexec_b64 s[28:29], vcc
	s_cbranch_execz .LBB743_111
; %bb.96:
	ds_read2_b64 v[14:17], v84 offset0:11 offset1:12
	v_cmp_ne_u64_e32 vcc, 0, v[10:11]
	v_mov_b32_e32 v10, s65
	v_add_u32_e32 v18, 12, v85
	v_pk_mov_b32 v[40:41], 0, 0
	s_waitcnt lgkmcnt(0)
	v_cndmask_b32_e32 v43, v15, v10, vcc
	v_mov_b32_e32 v10, s64
	s_mov_b64 s[34:35], 0
	v_cndmask_b32_e64 v109, 0, 1, vcc
	v_cndmask_b32_e32 v42, v14, v10, vcc
	v_cmp_gt_u32_e32 vcc, s60, v18
	v_mov_b32_e32 v100, 0
	v_mov_b32_e32 v114, 0
	v_pk_mov_b32 v[74:75], v[40:41], v[40:41] op_sel:[0,1]
	v_mov_b32_e32 v113, 0
	v_pk_mov_b32 v[68:69], v[40:41], v[40:41] op_sel:[0,1]
	v_mov_b32_e32 v112, 0
	v_pk_mov_b32 v[66:67], v[40:41], v[40:41] op_sel:[0,1]
	v_mov_b32_e32 v111, 0
	v_pk_mov_b32 v[64:65], v[40:41], v[40:41] op_sel:[0,1]
	v_mov_b32_e32 v110, 0
	v_pk_mov_b32 v[44:45], v[40:41], v[40:41] op_sel:[0,1]
                                        ; implicit-def: $sgpr38_sgpr39
                                        ; implicit-def: $vgpr34_vgpr35
	s_and_saveexec_b64 s[30:31], vcc
	s_cbranch_execz .LBB743_110
; %bb.97:
	v_cmp_ne_u64_e32 vcc, 0, v[12:13]
	v_mov_b32_e32 v11, s65
	v_add_u32_e32 v10, 13, v85
	v_cndmask_b32_e32 v45, v17, v11, vcc
	v_mov_b32_e32 v11, s64
	v_pk_mov_b32 v[40:41], 0, 0
	s_mov_b64 s[36:37], 0
	v_cndmask_b32_e64 v110, 0, 1, vcc
	v_cndmask_b32_e32 v44, v16, v11, vcc
	v_cmp_gt_u32_e32 vcc, s60, v10
	v_mov_b32_e32 v100, 0
	v_mov_b32_e32 v114, 0
	v_pk_mov_b32 v[74:75], v[40:41], v[40:41] op_sel:[0,1]
	v_mov_b32_e32 v113, 0
	v_pk_mov_b32 v[68:69], v[40:41], v[40:41] op_sel:[0,1]
	;; [unrolled: 2-line block ×4, first 2 shown]
                                        ; implicit-def: $sgpr40_sgpr41
                                        ; implicit-def: $vgpr34_vgpr35
	s_and_saveexec_b64 s[34:35], vcc
	s_cbranch_execz .LBB743_109
; %bb.98:
	ds_read2_b64 v[10:13], v84 offset0:13 offset1:14
	v_cmp_ne_u64_e32 vcc, 0, v[6:7]
	v_mov_b32_e32 v6, s65
	v_add_u32_e32 v14, 14, v85
	v_pk_mov_b32 v[40:41], 0, 0
	s_waitcnt lgkmcnt(0)
	v_cndmask_b32_e32 v65, v11, v6, vcc
	v_mov_b32_e32 v6, s64
	s_mov_b64 s[38:39], 0
	v_cndmask_b32_e64 v111, 0, 1, vcc
	v_cndmask_b32_e32 v64, v10, v6, vcc
	v_cmp_gt_u32_e32 vcc, s60, v14
	v_mov_b32_e32 v100, 0
	v_mov_b32_e32 v114, 0
	v_pk_mov_b32 v[74:75], v[40:41], v[40:41] op_sel:[0,1]
	v_mov_b32_e32 v113, 0
	v_pk_mov_b32 v[68:69], v[40:41], v[40:41] op_sel:[0,1]
	;; [unrolled: 2-line block ×3, first 2 shown]
                                        ; implicit-def: $sgpr42_sgpr43
                                        ; implicit-def: $vgpr34_vgpr35
	s_and_saveexec_b64 s[36:37], vcc
	s_cbranch_execz .LBB743_108
; %bb.99:
	v_cmp_ne_u64_e32 vcc, 0, v[8:9]
	v_mov_b32_e32 v7, s65
	v_add_u32_e32 v6, 15, v85
	v_cndmask_b32_e32 v67, v13, v7, vcc
	v_mov_b32_e32 v7, s64
	v_pk_mov_b32 v[40:41], 0, 0
	s_mov_b64 s[40:41], 0
	v_cndmask_b32_e64 v112, 0, 1, vcc
	v_cndmask_b32_e32 v66, v12, v7, vcc
	v_cmp_gt_u32_e32 vcc, s60, v6
	v_mov_b32_e32 v100, 0
	v_mov_b32_e32 v114, 0
	v_pk_mov_b32 v[74:75], v[40:41], v[40:41] op_sel:[0,1]
	v_mov_b32_e32 v113, 0
	v_pk_mov_b32 v[68:69], v[40:41], v[40:41] op_sel:[0,1]
                                        ; implicit-def: $sgpr52_sgpr53
                                        ; implicit-def: $vgpr34_vgpr35
	s_and_saveexec_b64 s[38:39], vcc
	s_cbranch_execz .LBB743_107
; %bb.100:
	ds_read2_b64 v[6:9], v84 offset0:15 offset1:16
	v_cmp_ne_u64_e32 vcc, 0, v[2:3]
	v_mov_b32_e32 v2, s65
	v_add_u32_e32 v10, 16, v85
	v_pk_mov_b32 v[40:41], 0, 0
	s_waitcnt lgkmcnt(0)
	v_cndmask_b32_e32 v69, v7, v2, vcc
	v_mov_b32_e32 v2, s64
	s_mov_b64 s[42:43], 0
	v_cndmask_b32_e64 v113, 0, 1, vcc
	v_cndmask_b32_e32 v68, v6, v2, vcc
	v_cmp_gt_u32_e32 vcc, s60, v10
	v_mov_b32_e32 v100, 0
	v_mov_b32_e32 v114, 0
	v_pk_mov_b32 v[74:75], v[40:41], v[40:41] op_sel:[0,1]
                                        ; implicit-def: $sgpr56_sgpr57
                                        ; implicit-def: $vgpr34_vgpr35
	s_and_saveexec_b64 s[40:41], vcc
	s_cbranch_execz .LBB743_106
; %bb.101:
	v_cmp_ne_u64_e32 vcc, 0, v[4:5]
	v_mov_b32_e32 v3, s65
	v_add_u32_e32 v2, 17, v85
	v_cndmask_b32_e32 v75, v9, v3, vcc
	v_mov_b32_e32 v3, s64
	s_mov_b64 s[52:53], 0
	v_cndmask_b32_e64 v114, 0, 1, vcc
	v_cndmask_b32_e32 v74, v8, v3, vcc
	v_cmp_gt_u32_e32 vcc, s60, v2
	v_mov_b32_e32 v100, 0
	v_pk_mov_b32 v[40:41], 0, 0
                                        ; implicit-def: $sgpr56_sgpr57
                                        ; implicit-def: $vgpr34_vgpr35
	s_and_saveexec_b64 s[42:43], vcc
	s_cbranch_execz .LBB743_105
; %bb.102:
	ds_read2_b64 v[2:5], v84 offset0:17 offset1:18
	v_cmp_ne_u64_e32 vcc, 0, v[80:81]
	v_mov_b32_e32 v7, s65
	v_add_u32_e32 v6, 18, v85
	v_cndmask_b32_e64 v100, 0, 1, vcc
	s_waitcnt lgkmcnt(0)
	v_cndmask_b32_e32 v41, v3, v7, vcc
	v_mov_b32_e32 v3, s64
	v_cndmask_b32_e32 v40, v2, v3, vcc
	v_cmp_gt_u32_e32 vcc, s60, v6
                                        ; implicit-def: $sgpr56_sgpr57
                                        ; implicit-def: $vgpr34_vgpr35
	s_and_saveexec_b64 s[60:61], vcc
	s_xor_b64 s[60:61], exec, s[60:61]
; %bb.103:
	v_mov_b32_e32 v2, s65
	v_cmp_ne_u64_e32 vcc, 0, v[78:79]
	v_cndmask_b32_e32 v35, v5, v2, vcc
	v_mov_b32_e32 v2, s64
	s_mov_b64 s[52:53], exec
	v_cndmask_b32_e32 v34, v4, v2, vcc
	s_and_b64 s[56:57], vcc, exec
; %bb.104:
	s_or_b64 exec, exec, s[60:61]
	s_and_b64 s[56:57], s[56:57], exec
	s_and_b64 s[52:53], s[52:53], exec
.LBB743_105:
	s_or_b64 exec, exec, s[42:43]
	s_and_b64 s[56:57], s[56:57], exec
	s_and_b64 s[42:43], s[52:53], exec
.LBB743_106:
	s_or_b64 exec, exec, s[40:41]
	s_and_b64 s[52:53], s[56:57], exec
	s_and_b64 s[40:41], s[42:43], exec
.LBB743_107:
	s_or_b64 exec, exec, s[38:39]
	s_and_b64 s[42:43], s[52:53], exec
	s_and_b64 s[38:39], s[40:41], exec
.LBB743_108:
	s_or_b64 exec, exec, s[36:37]
	s_and_b64 s[40:41], s[42:43], exec
	s_and_b64 s[36:37], s[38:39], exec
.LBB743_109:
	s_or_b64 exec, exec, s[34:35]
	s_and_b64 s[38:39], s[40:41], exec
	s_and_b64 s[34:35], s[36:37], exec
.LBB743_110:
	s_or_b64 exec, exec, s[30:31]
	s_and_b64 s[36:37], s[38:39], exec
	s_and_b64 s[30:31], s[34:35], exec
.LBB743_111:
	s_or_b64 exec, exec, s[28:29]
	s_and_b64 s[34:35], s[36:37], exec
	s_and_b64 s[28:29], s[30:31], exec
.LBB743_112:
	s_or_b64 exec, exec, s[26:27]
	s_and_b64 s[30:31], s[34:35], exec
	s_and_b64 s[26:27], s[28:29], exec
.LBB743_113:
	s_or_b64 exec, exec, s[24:25]
	s_and_b64 s[28:29], s[30:31], exec
	s_and_b64 s[24:25], s[26:27], exec
.LBB743_114:
	s_or_b64 exec, exec, s[22:23]
	s_and_b64 s[26:27], s[28:29], exec
	s_and_b64 s[22:23], s[24:25], exec
.LBB743_115:
	s_or_b64 exec, exec, s[20:21]
	s_and_b64 s[24:25], s[26:27], exec
	s_and_b64 s[20:21], s[22:23], exec
.LBB743_116:
	s_or_b64 exec, exec, s[18:19]
	s_and_b64 s[22:23], s[24:25], exec
	s_and_b64 s[18:19], s[20:21], exec
.LBB743_117:
	s_or_b64 exec, exec, s[16:17]
	s_and_b64 s[20:21], s[22:23], exec
	s_and_b64 s[16:17], s[18:19], exec
.LBB743_118:
	s_or_b64 exec, exec, s[14:15]
	s_and_b64 s[18:19], s[20:21], exec
	s_and_b64 s[14:15], s[16:17], exec
.LBB743_119:
	s_or_b64 exec, exec, s[12:13]
	s_and_b64 s[16:17], s[18:19], exec
	s_and_b64 s[12:13], s[14:15], exec
.LBB743_120:
	s_or_b64 exec, exec, s[10:11]
	s_and_b64 s[14:15], s[16:17], exec
	s_and_b64 s[10:11], s[12:13], exec
.LBB743_121:
	s_or_b64 exec, exec, s[8:9]
	s_and_b64 s[8:9], s[14:15], exec
	s_and_b64 s[10:11], s[10:11], exec
.LBB743_122:
	s_or_b64 exec, exec, s[6:7]
	s_mov_b64 s[6:7], 0
	s_and_b64 vcc, exec, s[4:5]
	v_lshlrev_b32_e32 v115, 3, v0
	s_cbranch_vccz .LBB743_128
.LBB743_123:
	v_add_co_u32_e32 v2, vcc, v76, v115
	v_addc_co_u32_e32 v3, vcc, 0, v77, vcc
	v_add_co_u32_e32 v20, vcc, 0x1000, v2
	v_addc_co_u32_e32 v21, vcc, 0, v3, vcc
	flat_load_dwordx2 v[4:5], v[2:3]
	flat_load_dwordx2 v[6:7], v[2:3] offset:512
	flat_load_dwordx2 v[8:9], v[2:3] offset:1024
	;; [unrolled: 1-line block ×7, first 2 shown]
	v_add_co_u32_e32 v2, vcc, 0x2000, v2
	v_addc_co_u32_e32 v3, vcc, 0, v3, vcc
	flat_load_dwordx2 v[22:23], v[20:21]
	flat_load_dwordx2 v[24:25], v[20:21] offset:512
	flat_load_dwordx2 v[26:27], v[20:21] offset:1024
	;; [unrolled: 1-line block ×7, first 2 shown]
	s_nop 0
	flat_load_dwordx2 v[20:21], v[2:3]
	flat_load_dwordx2 v[38:39], v[2:3] offset:512
	flat_load_dwordx2 v[40:41], v[2:3] offset:1024
	v_add_co_u32_e32 v2, vcc, 0x2000, v76
	v_addc_co_u32_e32 v3, vcc, 0, v77, vcc
	s_movk_i32 s4, 0x90
	v_mad_u32_u24 v1, v0, s4, v115
	s_movk_i32 s4, 0xff70
	s_movk_i32 s7, 0x1000
	;; [unrolled: 1-line block ×3, first 2 shown]
	v_cmp_ne_u32_e32 vcc, 63, v0
	s_waitcnt vmcnt(0) lgkmcnt(0)
	ds_write2st64_b64 v115, v[4:5], v[6:7] offset1:1
	ds_write2st64_b64 v115, v[8:9], v[10:11] offset0:2 offset1:3
	ds_write2st64_b64 v115, v[12:13], v[14:15] offset0:4 offset1:5
	;; [unrolled: 1-line block ×8, first 2 shown]
	ds_write_b64 v115, v[40:41] offset:9216
	s_waitcnt lgkmcnt(0)
	; wave barrier
	s_waitcnt lgkmcnt(0)
	flat_load_dwordx2 v[76:77], v[2:3] offset:1536
	v_mad_i32_i24 v2, v0, s4, v1
	ds_read2_b64 v[68:71], v1 offset1:1
	ds_read2_b64 v[46:49], v1 offset0:2 offset1:3
	ds_read2_b64 v[38:41], v1 offset0:4 offset1:5
	;; [unrolled: 1-line block ×8, first 2 shown]
	ds_read_b64 v[74:75], v1 offset:144
	s_waitcnt lgkmcnt(0)
	ds_write_b64 v2, v[68:69] offset:10240
	s_waitcnt lgkmcnt(0)
	; wave barrier
	s_waitcnt lgkmcnt(0)
	s_and_saveexec_b64 s[4:5], vcc
	s_cbranch_execz .LBB743_125
; %bb.124:
	s_waitcnt vmcnt(0)
	ds_read_b64 v[76:77], v115 offset:10248
.LBB743_125:
	s_or_b64 exec, exec, s[4:5]
	v_add_co_u32_e32 v2, vcc, v82, v115
	v_addc_co_u32_e32 v3, vcc, 0, v83, vcc
	v_add_co_u32_e32 v52, vcc, s7, v2
	v_addc_co_u32_e32 v53, vcc, 0, v3, vcc
	s_waitcnt lgkmcnt(0)
	; wave barrier
	s_waitcnt lgkmcnt(0)
	flat_load_dwordx2 v[4:5], v[2:3]
	flat_load_dwordx2 v[10:11], v[2:3] offset:512
	flat_load_dwordx2 v[12:13], v[2:3] offset:1024
	;; [unrolled: 1-line block ×7, first 2 shown]
	v_add_co_u32_e32 v2, vcc, s6, v2
	v_addc_co_u32_e32 v3, vcc, 0, v3, vcc
	flat_load_dwordx2 v[54:55], v[52:53]
	flat_load_dwordx2 v[56:57], v[52:53] offset:512
	flat_load_dwordx2 v[58:59], v[52:53] offset:1024
	;; [unrolled: 1-line block ×7, first 2 shown]
	s_nop 0
	flat_load_dwordx2 v[52:53], v[2:3]
	flat_load_dwordx2 v[78:79], v[2:3] offset:512
	flat_load_dwordx2 v[80:81], v[2:3] offset:1024
	v_cmp_ne_u64_e32 vcc, 0, v[70:71]
	v_cmp_eq_u64_e64 s[4:5], 0, v[70:71]
	v_pk_mov_b32 v[70:71], s[64:65], s[64:65] op_sel:[0,1]
	s_waitcnt vmcnt(0) lgkmcnt(0)
	ds_write2st64_b64 v115, v[4:5], v[10:11] offset1:1
	ds_write2st64_b64 v115, v[12:13], v[26:27] offset0:2 offset1:3
	ds_write2st64_b64 v115, v[28:29], v[42:43] offset0:4 offset1:5
	;; [unrolled: 1-line block ×8, first 2 shown]
	ds_write_b64 v115, v[80:81] offset:9216
	s_waitcnt lgkmcnt(0)
	; wave barrier
	s_waitcnt lgkmcnt(0)
	ds_read2_b64 v[66:69], v1 offset0:1 offset1:2
	ds_read2_b64 v[62:65], v1 offset0:3 offset1:4
	;; [unrolled: 1-line block ×9, first 2 shown]
	s_and_saveexec_b64 s[6:7], s[4:5]
	s_cbranch_execz .LBB743_127
; %bb.126:
	ds_read_b64 v[70:71], v1
.LBB743_127:
	s_or_b64 exec, exec, s[6:7]
	v_cmp_ne_u64_e64 s[6:7], 0, v[38:39]
	v_cmp_ne_u64_e64 s[8:9], 0, v[40:41]
	;; [unrolled: 1-line block ×3, first 2 shown]
	v_mov_b32_e32 v6, s65
	v_mov_b32_e32 v7, s64
	v_cndmask_b32_e64 v1, 0, 1, vcc
	v_cmp_ne_u64_e32 vcc, 0, v[46:47]
	v_cmp_ne_u64_e64 s[4:5], 0, v[48:49]
	v_cndmask_b32_e64 v102, 0, 1, s[8:9]
	v_cmp_ne_u64_e64 s[10:11], 0, v[34:35]
	v_cmp_ne_u64_e64 s[12:13], 0, v[36:37]
	;; [unrolled: 1-line block ×12, first 2 shown]
	s_waitcnt lgkmcnt(7)
	v_cndmask_b32_e64 v49, v63, v6, s[6:7]
	v_cndmask_b32_e64 v48, v62, v7, s[6:7]
	;; [unrolled: 1-line block ×4, first 2 shown]
	v_cmp_ne_u64_e64 s[8:9], 0, v[76:77]
	v_cndmask_b32_e64 v98, 0, 1, vcc
	v_cndmask_b32_e64 v99, 0, 1, s[4:5]
	v_cndmask_b32_e64 v101, 0, 1, s[6:7]
	;; [unrolled: 1-line block ×15, first 2 shown]
	v_cndmask_b32_e32 v39, v67, v6, vcc
	v_cndmask_b32_e32 v38, v66, v7, vcc
	v_cndmask_b32_e64 v47, v69, v6, s[4:5]
	v_cndmask_b32_e64 v46, v68, v7, s[4:5]
	s_waitcnt lgkmcnt(6)
	v_cndmask_b32_e64 v59, v59, v6, s[10:11]
	v_cndmask_b32_e64 v58, v58, v7, s[10:11]
	v_cndmask_b32_e64 v61, v61, v6, s[12:13]
	v_cndmask_b32_e64 v60, v60, v7, s[12:13]
	s_waitcnt lgkmcnt(5)
	v_cndmask_b32_e64 v55, v55, v6, s[14:15]
	v_cndmask_b32_e64 v54, v54, v7, s[14:15]
	;; [unrolled: 5-line block ×7, first 2 shown]
	v_cndmask_b32_e64 v35, v5, v6, s[8:9]
	v_cndmask_b32_e64 v34, v4, v7, s[8:9]
	s_mov_b64 s[10:11], -1
                                        ; implicit-def: $sgpr68
                                        ; implicit-def: $sgpr6_sgpr7
.LBB743_128:
	v_pk_mov_b32 v[76:77], s[6:7], s[6:7] op_sel:[0,1]
	v_mov_b32_e32 v116, s68
	s_and_saveexec_b64 s[4:5], s[10:11]
; %bb.129:
	v_cndmask_b32_e64 v116, 0, 1, s[8:9]
	v_pk_mov_b32 v[76:77], v[34:35], v[34:35] op_sel:[0,1]
; %bb.130:
	s_or_b64 exec, exec, s[4:5]
	v_or_b32_e32 v2, v116, v100
	s_cmp_lg_u32 s51, 0
	v_or_b32_e32 v118, v2, v114
	v_mbcnt_lo_u32_b32 v117, -1, 0
	s_waitcnt lgkmcnt(0)
	; wave barrier
	s_waitcnt lgkmcnt(0)
	s_cbranch_scc0 .LBB743_189
; %bb.131:
	v_mov_b32_e32 v2, 0
	v_cmp_eq_u16_sdwa s[38:39], v98, v2 src0_sel:BYTE_0 src1_sel:DWORD
	v_cndmask_b32_e64 v4, 0, v70, s[38:39]
	v_cndmask_b32_e64 v3, 0, v71, s[38:39]
	v_add_co_u32_e32 v4, vcc, v4, v38
	v_cmp_eq_u16_sdwa s[36:37], v99, v2 src0_sel:BYTE_0 src1_sel:DWORD
	v_addc_co_u32_e32 v3, vcc, v3, v39, vcc
	v_cndmask_b32_e64 v4, 0, v4, s[36:37]
	v_cndmask_b32_e64 v3, 0, v3, s[36:37]
	v_add_co_u32_e32 v4, vcc, v4, v46
	v_cmp_eq_u16_sdwa s[34:35], v101, v2 src0_sel:BYTE_0 src1_sel:DWORD
	v_addc_co_u32_e32 v3, vcc, v3, v47, vcc
	;; [unrolled: 5-line block ×16, first 2 shown]
	v_cndmask_b32_e64 v4, 0, v4, s[4:5]
	v_cndmask_b32_e64 v3, 0, v3, s[4:5]
	v_add_co_u32_e32 v4, vcc, v4, v40
	v_addc_co_u32_e32 v3, vcc, v3, v41, vcc
	v_cmp_eq_u16_sdwa vcc, v116, v2 src0_sel:BYTE_0 src1_sel:DWORD
	v_cndmask_b32_e32 v2, 0, v4, vcc
	v_or_b32_e32 v4, v118, v113
	v_or_b32_e32 v4, v4, v112
	;; [unrolled: 1-line block ×15, first 2 shown]
	v_cndmask_b32_e32 v3, 0, v3, vcc
	v_add_co_u32_e32 v2, vcc, v2, v76
	v_or_b32_e32 v4, v4, v1
	v_mbcnt_hi_u32_b32 v5, -1, v117
	v_addc_co_u32_e32 v3, vcc, v3, v77, vcc
	v_and_b32_e32 v4, 1, v4
	v_and_b32_e32 v7, 15, v5
	v_cmp_eq_u32_e32 vcc, 1, v4
	v_mov_b32_dpp v9, v2 row_shr:1 row_mask:0xf bank_mask:0xf
	v_mov_b32_dpp v10, v3 row_shr:1 row_mask:0xf bank_mask:0xf
	v_mov_b32_dpp v8, v4 row_shr:1 row_mask:0xf bank_mask:0xf
	v_cmp_ne_u32_e64 s[40:41], 0, v7
	v_mov_b32_e32 v6, v4
	s_and_saveexec_b64 s[42:43], s[40:41]
; %bb.132:
	v_cndmask_b32_e64 v9, v9, 0, vcc
	v_cndmask_b32_e64 v6, v10, 0, vcc
	v_add_co_u32_e32 v2, vcc, v9, v2
	v_addc_co_u32_e32 v3, vcc, v6, v3, vcc
	v_and_b32_e32 v6, 1, v8
	v_or_b32_e32 v4, v6, v4
	v_and_b32_e32 v6, 0xffff, v4
; %bb.133:
	s_or_b64 exec, exec, s[42:43]
	v_mov_b32_dpp v9, v2 row_shr:2 row_mask:0xf bank_mask:0xf
	v_mov_b32_dpp v10, v3 row_shr:2 row_mask:0xf bank_mask:0xf
	v_mov_b32_dpp v8, v6 row_shr:2 row_mask:0xf bank_mask:0xf
	v_cmp_lt_u32_e32 vcc, 1, v7
	s_and_saveexec_b64 s[42:43], vcc
	s_cbranch_execz .LBB743_135
; %bb.134:
	v_cmp_eq_u16_e32 vcc, 0, v4
	v_cndmask_b32_e32 v9, 0, v9, vcc
	v_cndmask_b32_e32 v6, 0, v10, vcc
	v_add_co_u32_e32 v2, vcc, v9, v2
	v_addc_co_u32_e32 v3, vcc, v6, v3, vcc
	v_and_b32_e32 v4, 1, v4
	v_cmp_eq_u32_e32 vcc, 1, v4
	v_and_b32_e32 v4, 1, v8
	v_cmp_eq_u32_e64 s[40:41], 1, v4
	s_or_b64 s[40:41], vcc, s[40:41]
	v_cndmask_b32_e64 v4, 0, 1, s[40:41]
	v_cndmask_b32_e64 v6, 0, 1, s[40:41]
.LBB743_135:
	s_or_b64 exec, exec, s[42:43]
	v_mov_b32_dpp v9, v2 row_shr:4 row_mask:0xf bank_mask:0xf
	v_mov_b32_dpp v10, v3 row_shr:4 row_mask:0xf bank_mask:0xf
	v_mov_b32_dpp v8, v6 row_shr:4 row_mask:0xf bank_mask:0xf
	v_cmp_lt_u32_e32 vcc, 3, v7
	s_and_saveexec_b64 s[42:43], vcc
	s_cbranch_execz .LBB743_137
; %bb.136:
	v_cmp_eq_u16_e32 vcc, 0, v4
	v_cndmask_b32_e32 v9, 0, v9, vcc
	v_cndmask_b32_e32 v6, 0, v10, vcc
	v_add_co_u32_e32 v2, vcc, v9, v2
	v_addc_co_u32_e32 v3, vcc, v6, v3, vcc
	v_and_b32_e32 v4, 1, v4
	v_cmp_eq_u32_e32 vcc, 1, v4
	v_and_b32_e32 v4, 1, v8
	v_cmp_eq_u32_e64 s[40:41], 1, v4
	s_or_b64 s[40:41], vcc, s[40:41]
	v_cndmask_b32_e64 v4, 0, 1, s[40:41]
	v_cndmask_b32_e64 v6, 0, 1, s[40:41]
.LBB743_137:
	;; [unrolled: 21-line block ×3, first 2 shown]
	s_or_b64 exec, exec, s[42:43]
	v_and_b32_e32 v10, 16, v5
	v_mov_b32_dpp v8, v2 row_bcast:15 row_mask:0xf bank_mask:0xf
	v_mov_b32_dpp v9, v3 row_bcast:15 row_mask:0xf bank_mask:0xf
	;; [unrolled: 1-line block ×3, first 2 shown]
	v_cmp_ne_u32_e32 vcc, 0, v10
	s_and_saveexec_b64 s[42:43], vcc
	s_cbranch_execz .LBB743_141
; %bb.140:
	v_cmp_eq_u16_e32 vcc, 0, v4
	v_cndmask_b32_e32 v8, 0, v8, vcc
	v_cndmask_b32_e32 v6, 0, v9, vcc
	v_add_co_u32_e32 v2, vcc, v8, v2
	v_addc_co_u32_e32 v3, vcc, v6, v3, vcc
	v_and_b32_e32 v4, 1, v4
	v_cmp_eq_u32_e32 vcc, 1, v4
	v_and_b32_e32 v4, 1, v7
	v_cmp_eq_u32_e64 s[40:41], 1, v4
	s_or_b64 s[40:41], vcc, s[40:41]
	v_cndmask_b32_e64 v4, 0, 1, s[40:41]
	v_cndmask_b32_e64 v6, 0, 1, s[40:41]
.LBB743_141:
	s_or_b64 exec, exec, s[42:43]
	v_mov_b32_dpp v7, v2 row_bcast:31 row_mask:0xf bank_mask:0xf
	v_mov_b32_dpp v8, v3 row_bcast:31 row_mask:0xf bank_mask:0xf
	;; [unrolled: 1-line block ×3, first 2 shown]
	v_cmp_lt_u32_e32 vcc, 31, v5
	s_and_saveexec_b64 s[42:43], vcc
; %bb.142:
	v_cmp_eq_u16_e32 vcc, 0, v4
	v_cndmask_b32_e32 v7, 0, v7, vcc
	v_cndmask_b32_e32 v8, 0, v8, vcc
	v_add_co_u32_e32 v2, vcc, v7, v2
	v_addc_co_u32_e32 v3, vcc, v8, v3, vcc
	v_and_b32_e32 v4, 1, v4
	v_cmp_eq_u32_e32 vcc, 1, v4
	v_and_b32_e32 v4, 1, v6
	v_cmp_eq_u32_e64 s[40:41], 1, v4
	s_or_b64 s[40:41], vcc, s[40:41]
	v_cndmask_b32_e64 v4, 0, 1, s[40:41]
; %bb.143:
	s_or_b64 exec, exec, s[42:43]
	v_cmp_eq_u32_e32 vcc, 63, v0
	s_and_saveexec_b64 s[40:41], vcc
	s_cbranch_execz .LBB743_145
; %bb.144:
	v_mov_b32_e32 v6, 0
	ds_write_b64 v6, v[2:3]
	ds_write_b8 v6, v4 offset:8
.LBB743_145:
	s_or_b64 exec, exec, s[40:41]
	v_add_u32_e32 v6, -1, v5
	v_and_b32_e32 v7, 64, v5
	v_cmp_lt_i32_e32 vcc, v6, v7
	v_cndmask_b32_e32 v6, v6, v5, vcc
	v_lshlrev_b32_e32 v6, 2, v6
	ds_bpermute_b32 v12, v6, v2
	v_and_b32_e32 v2, 0xffff, v4
	ds_bpermute_b32 v13, v6, v3
	ds_bpermute_b32 v14, v6, v2
	v_cmp_gt_u32_e32 vcc, 64, v0
	s_waitcnt lgkmcnt(0)
	; wave barrier
	s_waitcnt lgkmcnt(0)
	s_and_saveexec_b64 s[52:53], vcc
	s_cbranch_execz .LBB743_188
; %bb.146:
	v_mov_b32_e32 v7, 0
	ds_read_b64 v[2:3], v7
	ds_read_u8 v15, v7 offset:8
	s_mov_b32 s57, 0
	v_cmp_eq_u32_e64 s[40:41], 0, v5
	s_and_saveexec_b64 s[42:43], s[40:41]
	s_cbranch_execz .LBB743_148
; %bb.147:
	s_add_i32 s56, s51, 64
	s_lshl_b64 s[60:61], s[56:57], 4
	s_add_u32 s60, s44, s60
	s_addc_u32 s61, s45, s61
	v_mov_b32_e32 v4, s56
	v_mov_b32_e32 v6, 1
	s_waitcnt lgkmcnt(1)
	global_store_dwordx2 v7, v[2:3], s[60:61]
	s_waitcnt lgkmcnt(0)
	global_store_byte v7, v15, s[60:61] offset:8
	s_waitcnt vmcnt(0)
	buffer_wbinvl1_vol
	global_store_byte v4, v6, s[48:49]
.LBB743_148:
	s_or_b64 exec, exec, s[42:43]
	v_xad_u32 v4, v5, -1, s51
	v_add_u32_e32 v6, 64, v4
	global_load_ubyte v16, v6, s[48:49] glc
	s_waitcnt vmcnt(0)
	v_cmp_eq_u16_e32 vcc, 0, v16
	s_and_saveexec_b64 s[42:43], vcc
	s_cbranch_execz .LBB743_152
; %bb.149:
	v_mov_b32_e32 v9, s49
	v_add_co_u32_e32 v8, vcc, s48, v6
	v_addc_co_u32_e32 v9, vcc, 0, v9, vcc
	s_mov_b64 s[56:57], 0
.LBB743_150:                            ; =>This Inner Loop Header: Depth=1
	global_load_ubyte v16, v[8:9], off glc
	s_waitcnt vmcnt(0)
	v_cmp_ne_u16_e32 vcc, 0, v16
	s_or_b64 s[56:57], vcc, s[56:57]
	s_andn2_b64 exec, exec, s[56:57]
	s_cbranch_execnz .LBB743_150
; %bb.151:
	s_or_b64 exec, exec, s[56:57]
.LBB743_152:
	s_or_b64 exec, exec, s[42:43]
	v_mov_b32_e32 v8, s47
	v_mov_b32_e32 v9, s45
	v_cmp_eq_u16_e32 vcc, 1, v16
	v_cndmask_b32_e32 v8, v8, v9, vcc
	v_mov_b32_e32 v9, s46
	v_mov_b32_e32 v10, s44
	v_cndmask_b32_e32 v9, v9, v10, vcc
	v_lshlrev_b64 v[6:7], 4, v[6:7]
	v_add_co_u32_e32 v6, vcc, v9, v6
	v_addc_co_u32_e32 v7, vcc, v8, v7, vcc
	s_waitcnt lgkmcnt(0)
	buffer_wbinvl1_vol
	global_load_dwordx2 v[10:11], v[6:7], off
	global_load_ubyte v31, v[6:7], off offset:8
	v_cmp_eq_u16_e32 vcc, 2, v16
	v_lshlrev_b64 v[6:7], v5, -1
	v_and_b32_e32 v17, 63, v5
	v_and_b32_e32 v8, vcc_hi, v7
	v_and_b32_e32 v22, vcc_lo, v6
	v_cmp_ne_u32_e32 vcc, 63, v17
	v_addc_co_u32_e32 v9, vcc, 0, v5, vcc
	v_lshlrev_b32_e32 v18, 2, v9
	v_or_b32_e32 v8, 0x80000000, v8
	v_ffbl_b32_e32 v8, v8
	v_add_u32_e32 v8, 32, v8
	v_ffbl_b32_e32 v22, v22
	v_min_u32_e32 v8, v22, v8
	v_cmp_lt_u32_e32 vcc, v17, v8
	s_waitcnt vmcnt(1)
	ds_bpermute_b32 v20, v18, v10
	s_waitcnt vmcnt(0)
	v_and_b32_e32 v9, 1, v31
	ds_bpermute_b32 v21, v18, v11
	ds_bpermute_b32 v19, v18, v9
	s_and_saveexec_b64 s[42:43], vcc
	s_cbranch_execz .LBB743_154
; %bb.153:
	v_mov_b32_e32 v9, 0
	v_cmp_eq_u16_sdwa vcc, v31, v9 src0_sel:BYTE_0 src1_sel:DWORD
	s_waitcnt lgkmcnt(2)
	v_cndmask_b32_e32 v20, 0, v20, vcc
	s_waitcnt lgkmcnt(1)
	v_cndmask_b32_e32 v9, 0, v21, vcc
	v_add_co_u32_e32 v10, vcc, v20, v10
	v_addc_co_u32_e32 v11, vcc, v9, v11, vcc
	s_waitcnt lgkmcnt(0)
	v_and_b32_e32 v9, 1, v19
	v_or_b32_e32 v31, v9, v31
	v_and_b32_e32 v9, 0xff, v31
.LBB743_154:
	s_or_b64 exec, exec, s[42:43]
	v_cmp_gt_u32_e32 vcc, 62, v17
	s_waitcnt lgkmcnt(0)
	v_cndmask_b32_e64 v19, 0, 1, vcc
	v_lshlrev_b32_e32 v19, 1, v19
	v_add_lshl_u32 v19, v19, v5, 2
	ds_bpermute_b32 v22, v19, v10
	ds_bpermute_b32 v23, v19, v11
	ds_bpermute_b32 v21, v19, v9
	v_add_u32_e32 v20, 2, v17
	v_cmp_le_u32_e32 vcc, v20, v8
	s_and_saveexec_b64 s[56:57], vcc
	s_cbranch_execz .LBB743_156
; %bb.155:
	v_mov_b32_e32 v9, 0
	v_cmp_eq_u16_sdwa vcc, v31, v9 src0_sel:BYTE_0 src1_sel:DWORD
	s_waitcnt lgkmcnt(2)
	v_cndmask_b32_e32 v22, 0, v22, vcc
	s_waitcnt lgkmcnt(1)
	v_cndmask_b32_e32 v9, 0, v23, vcc
	v_add_co_u32_e32 v10, vcc, v22, v10
	v_addc_co_u32_e32 v11, vcc, v9, v11, vcc
	v_and_b32_e32 v9, 1, v31
	v_cmp_eq_u32_e32 vcc, 1, v9
	s_waitcnt lgkmcnt(0)
	v_and_b32_e32 v9, 1, v21
	v_cmp_eq_u32_e64 s[42:43], 1, v9
	s_or_b64 s[42:43], vcc, s[42:43]
	v_cndmask_b32_e64 v31, 0, 1, s[42:43]
	v_cndmask_b32_e64 v9, 0, 1, s[42:43]
.LBB743_156:
	s_or_b64 exec, exec, s[56:57]
	v_cmp_gt_u32_e32 vcc, 60, v17
	s_waitcnt lgkmcnt(0)
	v_cndmask_b32_e64 v21, 0, 1, vcc
	v_lshlrev_b32_e32 v21, 2, v21
	v_add_lshl_u32 v21, v21, v5, 2
	ds_bpermute_b32 v24, v21, v10
	ds_bpermute_b32 v25, v21, v11
	ds_bpermute_b32 v23, v21, v9
	v_add_u32_e32 v22, 4, v17
	v_cmp_le_u32_e32 vcc, v22, v8
	s_and_saveexec_b64 s[56:57], vcc
	s_cbranch_execz .LBB743_158
; %bb.157:
	v_mov_b32_e32 v9, 0
	v_cmp_eq_u16_sdwa vcc, v31, v9 src0_sel:BYTE_0 src1_sel:DWORD
	s_waitcnt lgkmcnt(2)
	v_cndmask_b32_e32 v24, 0, v24, vcc
	s_waitcnt lgkmcnt(1)
	v_cndmask_b32_e32 v9, 0, v25, vcc
	v_add_co_u32_e32 v10, vcc, v24, v10
	v_addc_co_u32_e32 v11, vcc, v9, v11, vcc
	v_and_b32_e32 v9, 1, v31
	v_cmp_eq_u32_e32 vcc, 1, v9
	s_waitcnt lgkmcnt(0)
	v_and_b32_e32 v9, 1, v23
	v_cmp_eq_u32_e64 s[42:43], 1, v9
	s_or_b64 s[42:43], vcc, s[42:43]
	v_cndmask_b32_e64 v31, 0, 1, s[42:43]
	v_cndmask_b32_e64 v9, 0, 1, s[42:43]
.LBB743_158:
	;; [unrolled: 31-line block ×4, first 2 shown]
	s_or_b64 exec, exec, s[56:57]
	v_cmp_gt_u32_e32 vcc, 32, v17
	s_waitcnt lgkmcnt(0)
	v_cndmask_b32_e64 v27, 0, 1, vcc
	v_lshlrev_b32_e32 v27, 5, v27
	v_add_lshl_u32 v28, v27, v5, 2
	ds_bpermute_b32 v27, v28, v10
	ds_bpermute_b32 v30, v28, v11
	;; [unrolled: 1-line block ×3, first 2 shown]
	v_add_u32_e32 v29, 32, v17
	v_cmp_le_u32_e32 vcc, v29, v8
	s_and_saveexec_b64 s[56:57], vcc
	s_cbranch_execz .LBB743_164
; %bb.163:
	v_mov_b32_e32 v8, 0
	v_cmp_eq_u16_sdwa vcc, v31, v8 src0_sel:BYTE_0 src1_sel:DWORD
	s_waitcnt lgkmcnt(2)
	v_cndmask_b32_e32 v9, 0, v27, vcc
	s_waitcnt lgkmcnt(1)
	v_cndmask_b32_e32 v8, 0, v30, vcc
	v_add_co_u32_e32 v10, vcc, v9, v10
	v_addc_co_u32_e32 v11, vcc, v8, v11, vcc
	v_and_b32_e32 v8, 1, v31
	s_waitcnt lgkmcnt(0)
	v_and_b32_e32 v5, 1, v5
	v_cmp_eq_u32_e32 vcc, 1, v8
	v_cmp_eq_u32_e64 s[42:43], 1, v5
	s_or_b64 s[42:43], vcc, s[42:43]
	v_cndmask_b32_e64 v31, 0, 1, s[42:43]
.LBB743_164:
	s_or_b64 exec, exec, s[56:57]
	s_waitcnt lgkmcnt(0)
	v_mov_b32_e32 v5, 0
	v_mov_b32_e32 v30, 2
	s_branch .LBB743_166
.LBB743_165:                            ;   in Loop: Header=BB743_166 Depth=1
	s_or_b64 exec, exec, s[60:61]
	v_cmp_eq_u16_sdwa vcc, v27, v5 src0_sel:BYTE_0 src1_sel:DWORD
	v_cndmask_b32_e32 v10, 0, v10, vcc
	v_cndmask_b32_e32 v11, 0, v11, vcc
	v_add_co_u32_e32 v10, vcc, v10, v8
	v_addc_co_u32_e32 v11, vcc, v11, v9, vcc
	v_and_b32_e32 v31, 1, v27
	v_cmp_eq_u32_e32 vcc, 1, v31
	s_or_b64 s[42:43], vcc, s[56:57]
	v_subrev_u32_e32 v4, 64, v4
	v_cndmask_b32_e64 v31, 0, 1, s[42:43]
.LBB743_166:                            ; =>This Loop Header: Depth=1
                                        ;     Child Loop BB743_169 Depth 2
	v_cmp_ne_u16_sdwa s[42:43], v16, v30 src0_sel:BYTE_0 src1_sel:DWORD
	v_cndmask_b32_e64 v8, 0, 1, s[42:43]
	;;#ASMSTART
	;;#ASMEND
	v_cmp_ne_u32_e32 vcc, 0, v8
	v_mov_b32_e32 v27, v31
	s_cmp_lg_u64 vcc, exec
	v_pk_mov_b32 v[8:9], v[10:11], v[10:11] op_sel:[0,1]
	s_cbranch_scc1 .LBB743_183
; %bb.167:                              ;   in Loop: Header=BB743_166 Depth=1
	global_load_ubyte v16, v4, s[48:49] glc
	s_waitcnt vmcnt(0)
	v_cmp_eq_u16_e32 vcc, 0, v16
	s_and_saveexec_b64 s[42:43], vcc
	s_cbranch_execz .LBB743_171
; %bb.168:                              ;   in Loop: Header=BB743_166 Depth=1
	v_mov_b32_e32 v11, s49
	v_add_co_u32_e32 v10, vcc, s48, v4
	v_addc_co_u32_e32 v11, vcc, 0, v11, vcc
	s_mov_b64 s[56:57], 0
.LBB743_169:                            ;   Parent Loop BB743_166 Depth=1
                                        ; =>  This Inner Loop Header: Depth=2
	global_load_ubyte v16, v[10:11], off glc
	s_waitcnt vmcnt(0)
	v_cmp_ne_u16_e32 vcc, 0, v16
	s_or_b64 s[56:57], vcc, s[56:57]
	s_andn2_b64 exec, exec, s[56:57]
	s_cbranch_execnz .LBB743_169
; %bb.170:                              ;   in Loop: Header=BB743_166 Depth=1
	s_or_b64 exec, exec, s[56:57]
.LBB743_171:                            ;   in Loop: Header=BB743_166 Depth=1
	s_or_b64 exec, exec, s[42:43]
	v_mov_b32_e32 v10, s47
	v_mov_b32_e32 v11, s45
	v_cmp_eq_u16_e32 vcc, 1, v16
	v_cndmask_b32_e32 v31, v10, v11, vcc
	v_mov_b32_e32 v10, s46
	v_mov_b32_e32 v11, s44
	v_cndmask_b32_e32 v32, v10, v11, vcc
	v_lshlrev_b64 v[10:11], 4, v[4:5]
	v_add_co_u32_e32 v32, vcc, v32, v10
	s_waitcnt lgkmcnt(0)
	v_addc_co_u32_e32 v33, vcc, v31, v11, vcc
	buffer_wbinvl1_vol
	global_load_dwordx2 v[10:11], v[32:33], off
	global_load_ubyte v31, v[32:33], off offset:8
	v_cmp_eq_u16_e32 vcc, 2, v16
	v_and_b32_e32 v32, vcc_hi, v7
	v_or_b32_e32 v32, 0x80000000, v32
	v_and_b32_e32 v37, vcc_lo, v6
	v_ffbl_b32_e32 v32, v32
	v_add_u32_e32 v32, 32, v32
	v_ffbl_b32_e32 v37, v37
	v_min_u32_e32 v32, v37, v32
	v_cmp_lt_u32_e32 vcc, v17, v32
	s_waitcnt vmcnt(1)
	ds_bpermute_b32 v35, v18, v10
	s_waitcnt vmcnt(0)
	v_and_b32_e32 v33, 1, v31
	ds_bpermute_b32 v36, v18, v11
	ds_bpermute_b32 v34, v18, v33
	s_and_saveexec_b64 s[42:43], vcc
	s_cbranch_execz .LBB743_173
; %bb.172:                              ;   in Loop: Header=BB743_166 Depth=1
	v_cmp_eq_u16_sdwa vcc, v31, v5 src0_sel:BYTE_0 src1_sel:DWORD
	s_waitcnt lgkmcnt(2)
	v_cndmask_b32_e32 v35, 0, v35, vcc
	s_waitcnt lgkmcnt(1)
	v_cndmask_b32_e32 v33, 0, v36, vcc
	v_add_co_u32_e32 v10, vcc, v35, v10
	v_addc_co_u32_e32 v11, vcc, v33, v11, vcc
	s_waitcnt lgkmcnt(0)
	v_and_b32_e32 v33, 1, v34
	v_or_b32_e32 v31, v33, v31
	v_and_b32_e32 v33, 0xff, v31
.LBB743_173:                            ;   in Loop: Header=BB743_166 Depth=1
	s_or_b64 exec, exec, s[42:43]
	s_waitcnt lgkmcnt(2)
	ds_bpermute_b32 v35, v19, v10
	s_waitcnt lgkmcnt(2)
	ds_bpermute_b32 v36, v19, v11
	;; [unrolled: 2-line block ×3, first 2 shown]
	v_and_b32_e32 v37, 1, v31
	v_cmp_le_u32_e32 vcc, v20, v32
	v_cmp_eq_u32_e64 s[56:57], 1, v37
	s_and_saveexec_b64 s[42:43], vcc
	s_cbranch_execz .LBB743_175
; %bb.174:                              ;   in Loop: Header=BB743_166 Depth=1
	v_cmp_eq_u16_sdwa vcc, v31, v5 src0_sel:BYTE_0 src1_sel:DWORD
	s_waitcnt lgkmcnt(2)
	v_cndmask_b32_e32 v33, 0, v35, vcc
	s_waitcnt lgkmcnt(1)
	v_cndmask_b32_e32 v31, 0, v36, vcc
	v_add_co_u32_e32 v10, vcc, v33, v10
	v_addc_co_u32_e32 v11, vcc, v31, v11, vcc
	s_waitcnt lgkmcnt(0)
	v_and_b32_e32 v31, 1, v34
	v_cmp_eq_u32_e32 vcc, 1, v31
	s_or_b64 s[60:61], s[56:57], vcc
	v_cndmask_b32_e64 v31, 0, 1, s[60:61]
	v_cndmask_b32_e64 v33, 0, 1, s[60:61]
	s_andn2_b64 s[56:57], s[56:57], exec
	s_and_b64 s[60:61], s[60:61], exec
	s_or_b64 s[56:57], s[56:57], s[60:61]
.LBB743_175:                            ;   in Loop: Header=BB743_166 Depth=1
	s_or_b64 exec, exec, s[42:43]
	s_waitcnt lgkmcnt(2)
	ds_bpermute_b32 v35, v21, v10
	s_waitcnt lgkmcnt(2)
	ds_bpermute_b32 v36, v21, v11
	s_waitcnt lgkmcnt(2)
	ds_bpermute_b32 v34, v21, v33
	v_cmp_le_u32_e32 vcc, v22, v32
	s_and_saveexec_b64 s[60:61], vcc
	s_cbranch_execz .LBB743_177
; %bb.176:                              ;   in Loop: Header=BB743_166 Depth=1
	v_cmp_eq_u16_sdwa vcc, v31, v5 src0_sel:BYTE_0 src1_sel:DWORD
	s_waitcnt lgkmcnt(2)
	v_cndmask_b32_e32 v35, 0, v35, vcc
	s_waitcnt lgkmcnt(1)
	v_cndmask_b32_e32 v33, 0, v36, vcc
	v_add_co_u32_e32 v10, vcc, v35, v10
	v_addc_co_u32_e32 v11, vcc, v33, v11, vcc
	v_and_b32_e32 v31, 1, v31
	v_cmp_eq_u32_e32 vcc, 1, v31
	s_waitcnt lgkmcnt(0)
	v_and_b32_e32 v31, 1, v34
	v_cmp_eq_u32_e64 s[42:43], 1, v31
	s_or_b64 s[42:43], vcc, s[42:43]
	v_cndmask_b32_e64 v31, 0, 1, s[42:43]
	v_cndmask_b32_e64 v33, 0, 1, s[42:43]
	s_andn2_b64 s[56:57], s[56:57], exec
	s_and_b64 s[42:43], s[42:43], exec
	s_or_b64 s[56:57], s[56:57], s[42:43]
.LBB743_177:                            ;   in Loop: Header=BB743_166 Depth=1
	s_or_b64 exec, exec, s[60:61]
	s_waitcnt lgkmcnt(2)
	ds_bpermute_b32 v35, v23, v10
	s_waitcnt lgkmcnt(2)
	ds_bpermute_b32 v36, v23, v11
	s_waitcnt lgkmcnt(2)
	ds_bpermute_b32 v34, v23, v33
	v_cmp_le_u32_e32 vcc, v24, v32
	s_and_saveexec_b64 s[60:61], vcc
	s_cbranch_execz .LBB743_179
; %bb.178:                              ;   in Loop: Header=BB743_166 Depth=1
	v_cmp_eq_u16_sdwa vcc, v31, v5 src0_sel:BYTE_0 src1_sel:DWORD
	s_waitcnt lgkmcnt(2)
	v_cndmask_b32_e32 v35, 0, v35, vcc
	s_waitcnt lgkmcnt(1)
	v_cndmask_b32_e32 v33, 0, v36, vcc
	v_add_co_u32_e32 v10, vcc, v35, v10
	v_addc_co_u32_e32 v11, vcc, v33, v11, vcc
	v_and_b32_e32 v31, 1, v31
	v_cmp_eq_u32_e32 vcc, 1, v31
	s_waitcnt lgkmcnt(0)
	v_and_b32_e32 v31, 1, v34
	v_cmp_eq_u32_e64 s[42:43], 1, v31
	s_or_b64 s[42:43], vcc, s[42:43]
	v_cndmask_b32_e64 v31, 0, 1, s[42:43]
	v_cndmask_b32_e64 v33, 0, 1, s[42:43]
	s_andn2_b64 s[56:57], s[56:57], exec
	s_and_b64 s[42:43], s[42:43], exec
	s_or_b64 s[56:57], s[56:57], s[42:43]
.LBB743_179:                            ;   in Loop: Header=BB743_166 Depth=1
	;; [unrolled: 30-line block ×3, first 2 shown]
	s_or_b64 exec, exec, s[60:61]
	s_waitcnt lgkmcnt(0)
	ds_bpermute_b32 v34, v28, v10
	ds_bpermute_b32 v35, v28, v11
	;; [unrolled: 1-line block ×3, first 2 shown]
	v_cmp_le_u32_e32 vcc, v29, v32
	s_and_saveexec_b64 s[60:61], vcc
	s_cbranch_execz .LBB743_165
; %bb.182:                              ;   in Loop: Header=BB743_166 Depth=1
	v_cmp_eq_u16_sdwa vcc, v31, v5 src0_sel:BYTE_0 src1_sel:DWORD
	s_waitcnt lgkmcnt(2)
	v_cndmask_b32_e32 v34, 0, v34, vcc
	s_waitcnt lgkmcnt(1)
	v_cndmask_b32_e32 v32, 0, v35, vcc
	v_add_co_u32_e32 v10, vcc, v34, v10
	v_addc_co_u32_e32 v11, vcc, v32, v11, vcc
	v_and_b32_e32 v31, 1, v31
	v_cmp_eq_u32_e32 vcc, 1, v31
	s_waitcnt lgkmcnt(0)
	v_and_b32_e32 v31, 1, v33
	v_cmp_eq_u32_e64 s[42:43], 1, v31
	s_or_b64 s[42:43], vcc, s[42:43]
	s_andn2_b64 s[56:57], s[56:57], exec
	s_and_b64 s[42:43], s[42:43], exec
	s_or_b64 s[56:57], s[56:57], s[42:43]
	s_branch .LBB743_165
.LBB743_183:                            ;   in Loop: Header=BB743_166 Depth=1
                                        ; implicit-def: $vgpr31
                                        ; implicit-def: $vgpr10_vgpr11
                                        ; implicit-def: $vgpr16
	s_cbranch_execz .LBB743_166
; %bb.184:
	s_and_saveexec_b64 s[42:43], s[40:41]
	s_cbranch_execz .LBB743_186
; %bb.185:
	v_mov_b32_e32 v4, 0
	s_mov_b32 s41, 0
	v_cmp_eq_u16_sdwa vcc, v15, v4 src0_sel:BYTE_0 src1_sel:DWORD
	s_add_i32 s40, s51, 64
	v_cndmask_b32_e32 v6, 0, v8, vcc
	s_lshl_b64 s[44:45], s[40:41], 4
	v_cndmask_b32_e32 v5, 0, v9, vcc
	v_add_co_u32_e32 v2, vcc, v6, v2
	s_add_u32 s44, s46, s44
	v_addc_co_u32_e32 v3, vcc, v5, v3, vcc
	v_or_b32_e32 v5, v15, v27
	s_addc_u32 s45, s47, s45
	v_and_b32_e32 v5, 1, v5
	global_store_dwordx2 v4, v[2:3], s[44:45]
	global_store_byte v4, v5, s[44:45] offset:8
	v_mov_b32_e32 v2, s40
	v_mov_b32_e32 v3, 2
	s_waitcnt vmcnt(0) lgkmcnt(0)
	buffer_wbinvl1_vol
	global_store_byte v2, v3, s[48:49]
.LBB743_186:
	s_or_b64 exec, exec, s[42:43]
	s_and_b64 exec, exec, s[0:1]
	s_cbranch_execz .LBB743_188
; %bb.187:
	v_mov_b32_e32 v2, 0
	ds_write_b64 v2, v[8:9]
	ds_write_b8 v2, v27 offset:8
.LBB743_188:
	s_or_b64 exec, exec, s[52:53]
	v_mov_b32_e32 v4, 0
	s_waitcnt lgkmcnt(0)
	; wave barrier
	s_waitcnt lgkmcnt(0)
	ds_read_b64 v[2:3], v4
	v_cmp_eq_u32_sdwa vcc, v14, v4 src0_sel:BYTE_0 src1_sel:DWORD
	s_waitcnt lgkmcnt(0)
	v_cndmask_b32_e32 v6, 0, v2, vcc
	v_cndmask_b32_e32 v5, 0, v3, vcc
	v_add_co_u32_e32 v6, vcc, v12, v6
	v_addc_co_u32_e32 v5, vcc, v13, v5, vcc
	v_cndmask_b32_e64 v78, v6, v2, s[0:1]
	v_cmp_eq_u16_sdwa vcc, v1, v4 src0_sel:BYTE_0 src1_sel:DWORD
	v_cndmask_b32_e64 v79, v5, v3, s[0:1]
	v_cndmask_b32_e32 v3, 0, v78, vcc
	v_cndmask_b32_e32 v2, 0, v79, vcc
	v_add_co_u32_e32 v4, vcc, v3, v70
	v_addc_co_u32_e32 v5, vcc, v2, v71, vcc
	v_cndmask_b32_e64 v3, 0, v4, s[38:39]
	v_cndmask_b32_e64 v2, 0, v5, s[38:39]
	v_add_co_u32_e32 v6, vcc, v3, v38
	v_addc_co_u32_e32 v7, vcc, v2, v39, vcc
	v_cndmask_b32_e64 v3, 0, v6, s[36:37]
	v_cndmask_b32_e64 v2, 0, v7, s[36:37]
	;; [unrolled: 4-line block ×17, first 2 shown]
	s_branch .LBB743_209
.LBB743_189:
                                        ; implicit-def: $vgpr78_vgpr79
                                        ; implicit-def: $vgpr96_vgpr97
                                        ; implicit-def: $vgpr94_vgpr95
                                        ; implicit-def: $vgpr92_vgpr93
                                        ; implicit-def: $vgpr90_vgpr91
                                        ; implicit-def: $vgpr88_vgpr89
                                        ; implicit-def: $vgpr86_vgpr87
                                        ; implicit-def: $vgpr84_vgpr85
                                        ; implicit-def: $vgpr82_vgpr83
                                        ; implicit-def: $vgpr80_vgpr81
                                        ; implicit-def: $vgpr34_vgpr35_vgpr36_vgpr37
                                        ; implicit-def: $vgpr30_vgpr31_vgpr32_vgpr33
                                        ; implicit-def: $vgpr26_vgpr27_vgpr28_vgpr29
                                        ; implicit-def: $vgpr22_vgpr23_vgpr24_vgpr25
                                        ; implicit-def: $vgpr18_vgpr19_vgpr20_vgpr21
                                        ; implicit-def: $vgpr14_vgpr15_vgpr16_vgpr17
                                        ; implicit-def: $vgpr10_vgpr11_vgpr12_vgpr13
                                        ; implicit-def: $vgpr6_vgpr7_vgpr8_vgpr9
                                        ; implicit-def: $vgpr2_vgpr3_vgpr4_vgpr5
	s_cbranch_execz .LBB743_209
; %bb.190:
	s_cmp_lg_u64 s[66:67], 0
	s_cselect_b32 s5, s63, 0
	s_cselect_b32 s4, s62, 0
	s_cmp_eq_u64 s[4:5], 0
	v_pk_mov_b32 v[2:3], s[64:65], s[64:65] op_sel:[0,1]
	s_cbranch_scc1 .LBB743_192
; %bb.191:
	v_mov_b32_e32 v2, 0
	global_load_dwordx2 v[2:3], v2, s[4:5]
.LBB743_192:
	v_mov_b32_e32 v4, 0
	v_cmp_eq_u16_sdwa s[36:37], v98, v4 src0_sel:BYTE_0 src1_sel:DWORD
	v_cndmask_b32_e64 v6, 0, v70, s[36:37]
	v_cndmask_b32_e64 v5, 0, v71, s[36:37]
	v_add_co_u32_e32 v6, vcc, v6, v38
	v_cmp_eq_u16_sdwa s[34:35], v99, v4 src0_sel:BYTE_0 src1_sel:DWORD
	v_addc_co_u32_e32 v5, vcc, v5, v39, vcc
	v_cndmask_b32_e64 v6, 0, v6, s[34:35]
	v_cndmask_b32_e64 v5, 0, v5, s[34:35]
	v_add_co_u32_e32 v6, vcc, v6, v46
	v_cmp_eq_u16_sdwa s[30:31], v101, v4 src0_sel:BYTE_0 src1_sel:DWORD
	v_addc_co_u32_e32 v5, vcc, v5, v47, vcc
	;; [unrolled: 5-line block ×15, first 2 shown]
	v_cndmask_b32_e64 v6, 0, v6, s[4:5]
	v_cndmask_b32_e64 v5, 0, v5, s[4:5]
	v_add_co_u32_e32 v6, vcc, v6, v74
	v_addc_co_u32_e32 v5, vcc, v5, v75, vcc
	v_cmp_eq_u16_sdwa vcc, v100, v4 src0_sel:BYTE_0 src1_sel:DWORD
	v_cndmask_b32_e32 v6, 0, v6, vcc
	v_cndmask_b32_e32 v5, 0, v5, vcc
	v_add_co_u32_e64 v6, s[38:39], v6, v40
	v_addc_co_u32_e64 v5, s[38:39], v5, v41, s[38:39]
	v_cmp_eq_u16_sdwa s[38:39], v116, v4 src0_sel:BYTE_0 src1_sel:DWORD
	v_cndmask_b32_e64 v4, 0, v6, s[38:39]
	v_or_b32_e32 v6, v118, v113
	v_or_b32_e32 v6, v6, v112
	;; [unrolled: 1-line block ×16, first 2 shown]
	v_cndmask_b32_e64 v5, 0, v5, s[38:39]
	v_add_co_u32_e64 v4, s[38:39], v4, v76
	v_and_b32_e32 v7, 1, v6
	v_mbcnt_hi_u32_b32 v6, -1, v117
	v_addc_co_u32_e64 v5, s[38:39], v5, v77, s[38:39]
	v_and_b32_e32 v9, 15, v6
	v_cmp_eq_u32_e64 s[38:39], 1, v7
	v_mov_b32_dpp v11, v4 row_shr:1 row_mask:0xf bank_mask:0xf
	v_mov_b32_dpp v12, v5 row_shr:1 row_mask:0xf bank_mask:0xf
	;; [unrolled: 1-line block ×3, first 2 shown]
	v_cmp_ne_u32_e64 s[40:41], 0, v9
	v_mov_b32_e32 v8, v7
	s_and_saveexec_b64 s[42:43], s[40:41]
; %bb.193:
	v_cndmask_b32_e64 v11, v11, 0, s[38:39]
	v_cndmask_b32_e64 v8, v12, 0, s[38:39]
	v_add_co_u32_e64 v4, s[38:39], v11, v4
	v_addc_co_u32_e64 v5, s[38:39], v8, v5, s[38:39]
	v_and_b32_e32 v8, 1, v10
	v_or_b32_e32 v7, v8, v7
	v_and_b32_e32 v8, 0xffff, v7
; %bb.194:
	s_or_b64 exec, exec, s[42:43]
	v_mov_b32_dpp v11, v4 row_shr:2 row_mask:0xf bank_mask:0xf
	v_mov_b32_dpp v12, v5 row_shr:2 row_mask:0xf bank_mask:0xf
	v_mov_b32_dpp v10, v8 row_shr:2 row_mask:0xf bank_mask:0xf
	v_cmp_lt_u32_e64 s[38:39], 1, v9
	s_and_saveexec_b64 s[42:43], s[38:39]
	s_cbranch_execz .LBB743_196
; %bb.195:
	v_cmp_eq_u16_e64 s[38:39], 0, v7
	v_cndmask_b32_e64 v11, 0, v11, s[38:39]
	v_cndmask_b32_e64 v8, 0, v12, s[38:39]
	v_add_co_u32_e64 v4, s[38:39], v11, v4
	v_addc_co_u32_e64 v5, s[38:39], v8, v5, s[38:39]
	v_and_b32_e32 v7, 1, v7
	v_cmp_eq_u32_e64 s[38:39], 1, v7
	v_and_b32_e32 v7, 1, v10
	v_cmp_eq_u32_e64 s[40:41], 1, v7
	s_or_b64 s[38:39], s[38:39], s[40:41]
	v_cndmask_b32_e64 v7, 0, 1, s[38:39]
	v_cndmask_b32_e64 v8, 0, 1, s[38:39]
.LBB743_196:
	s_or_b64 exec, exec, s[42:43]
	v_mov_b32_dpp v11, v4 row_shr:4 row_mask:0xf bank_mask:0xf
	v_mov_b32_dpp v12, v5 row_shr:4 row_mask:0xf bank_mask:0xf
	v_mov_b32_dpp v10, v8 row_shr:4 row_mask:0xf bank_mask:0xf
	v_cmp_lt_u32_e64 s[38:39], 3, v9
	s_and_saveexec_b64 s[42:43], s[38:39]
	s_cbranch_execz .LBB743_198
; %bb.197:
	v_cmp_eq_u16_e64 s[38:39], 0, v7
	v_cndmask_b32_e64 v11, 0, v11, s[38:39]
	v_cndmask_b32_e64 v8, 0, v12, s[38:39]
	v_add_co_u32_e64 v4, s[38:39], v11, v4
	v_addc_co_u32_e64 v5, s[38:39], v8, v5, s[38:39]
	v_and_b32_e32 v7, 1, v7
	v_cmp_eq_u32_e64 s[38:39], 1, v7
	v_and_b32_e32 v7, 1, v10
	v_cmp_eq_u32_e64 s[40:41], 1, v7
	s_or_b64 s[38:39], s[38:39], s[40:41]
	v_cndmask_b32_e64 v7, 0, 1, s[38:39]
	v_cndmask_b32_e64 v8, 0, 1, s[38:39]
.LBB743_198:
	;; [unrolled: 21-line block ×3, first 2 shown]
	s_or_b64 exec, exec, s[42:43]
	v_and_b32_e32 v12, 16, v6
	v_mov_b32_dpp v10, v4 row_bcast:15 row_mask:0xf bank_mask:0xf
	v_mov_b32_dpp v11, v5 row_bcast:15 row_mask:0xf bank_mask:0xf
	;; [unrolled: 1-line block ×3, first 2 shown]
	v_cmp_ne_u32_e64 s[38:39], 0, v12
	s_and_saveexec_b64 s[42:43], s[38:39]
	s_cbranch_execz .LBB743_202
; %bb.201:
	v_cmp_eq_u16_e64 s[38:39], 0, v7
	v_cndmask_b32_e64 v10, 0, v10, s[38:39]
	v_cndmask_b32_e64 v8, 0, v11, s[38:39]
	v_add_co_u32_e64 v4, s[38:39], v10, v4
	v_addc_co_u32_e64 v5, s[38:39], v8, v5, s[38:39]
	v_and_b32_e32 v7, 1, v7
	v_cmp_eq_u32_e64 s[38:39], 1, v7
	v_and_b32_e32 v7, 1, v9
	v_cmp_eq_u32_e64 s[40:41], 1, v7
	s_or_b64 s[38:39], s[38:39], s[40:41]
	v_cndmask_b32_e64 v7, 0, 1, s[38:39]
	v_cndmask_b32_e64 v8, 0, 1, s[38:39]
.LBB743_202:
	s_or_b64 exec, exec, s[42:43]
	v_mov_b32_dpp v9, v4 row_bcast:31 row_mask:0xf bank_mask:0xf
	v_mov_b32_dpp v10, v5 row_bcast:31 row_mask:0xf bank_mask:0xf
	;; [unrolled: 1-line block ×3, first 2 shown]
	v_cmp_lt_u32_e64 s[38:39], 31, v6
	s_and_saveexec_b64 s[42:43], s[38:39]
; %bb.203:
	v_cmp_eq_u16_e64 s[38:39], 0, v7
	v_cndmask_b32_e64 v9, 0, v9, s[38:39]
	v_cndmask_b32_e64 v10, 0, v10, s[38:39]
	v_add_co_u32_e64 v4, s[38:39], v9, v4
	v_addc_co_u32_e64 v5, s[38:39], v10, v5, s[38:39]
	v_and_b32_e32 v7, 1, v7
	v_cmp_eq_u32_e64 s[38:39], 1, v7
	v_and_b32_e32 v7, 1, v8
	v_cmp_eq_u32_e64 s[40:41], 1, v7
	s_or_b64 s[38:39], s[38:39], s[40:41]
	v_cndmask_b32_e64 v7, 0, 1, s[38:39]
; %bb.204:
	s_or_b64 exec, exec, s[42:43]
	v_cmp_eq_u32_e64 s[38:39], 63, v0
	s_and_saveexec_b64 s[40:41], s[38:39]
	s_cbranch_execz .LBB743_206
; %bb.205:
	v_mov_b32_e32 v8, 0
	ds_write_b64 v8, v[4:5]
	ds_write_b8 v8, v7 offset:8
.LBB743_206:
	s_or_b64 exec, exec, s[40:41]
	v_cmp_eq_u16_e64 s[38:39], 0, v7
	s_waitcnt vmcnt(0)
	v_cndmask_b32_e64 v8, 0, v2, s[38:39]
	v_cndmask_b32_e64 v7, 0, v3, s[38:39]
	v_add_co_u32_e64 v4, s[38:39], v8, v4
	v_addc_co_u32_e64 v5, s[38:39], v7, v5, s[38:39]
	v_add_u32_e32 v7, -1, v6
	v_and_b32_e32 v8, 64, v6
	v_cmp_lt_i32_e64 s[38:39], v7, v8
	v_cndmask_b32_e64 v7, v7, v6, s[38:39]
	v_lshlrev_b32_e32 v7, 2, v7
	ds_bpermute_b32 v5, v7, v5
	ds_bpermute_b32 v4, v7, v4
	v_cmp_eq_u32_e64 s[38:39], 0, v6
	s_or_b64 s[38:39], s[0:1], s[38:39]
	v_mov_b32_e32 v8, 0
	s_waitcnt lgkmcnt(1)
	v_cndmask_b32_e64 v79, v5, v3, s[38:39]
	s_waitcnt lgkmcnt(0)
	v_cndmask_b32_e64 v78, v4, v2, s[38:39]
	v_cmp_eq_u16_sdwa s[38:39], v1, v8 src0_sel:BYTE_0 src1_sel:DWORD
	v_cndmask_b32_e64 v4, 0, v78, s[38:39]
	v_cndmask_b32_e64 v1, 0, v79, s[38:39]
	v_add_co_u32_e64 v4, s[38:39], v4, v70
	v_addc_co_u32_e64 v5, s[38:39], v1, v71, s[38:39]
	v_cndmask_b32_e64 v6, 0, v4, s[36:37]
	v_cndmask_b32_e64 v1, 0, v5, s[36:37]
	v_add_co_u32_e64 v6, s[36:37], v6, v38
	v_addc_co_u32_e64 v7, s[36:37], v1, v39, s[36:37]
	;; [unrolled: 4-line block ×17, first 2 shown]
	v_cndmask_b32_e32 v97, 0, v95, vcc
	v_cndmask_b32_e32 v96, 0, v94, vcc
	s_waitcnt lgkmcnt(0)
	; wave barrier
	s_and_saveexec_b64 s[4:5], s[0:1]
	s_cbranch_execz .LBB743_208
; %bb.207:
	ds_read_u8 v1, v8 offset:8
	ds_read_b64 v[12:13], v8
	v_pk_mov_b32 v[78:79], v[2:3], v[2:3] op_sel:[0,1]
	s_waitcnt lgkmcnt(1)
	v_cmp_eq_u16_e32 vcc, 0, v1
	v_cndmask_b32_e32 v16, 0, v2, vcc
	v_cndmask_b32_e32 v9, 0, v3, vcc
	s_waitcnt lgkmcnt(0)
	v_add_co_u32_e32 v12, vcc, v16, v12
	v_addc_co_u32_e32 v13, vcc, v9, v13, vcc
	global_store_dwordx2 v8, v[12:13], s[46:47] offset:1024
	global_store_byte v8, v1, s[46:47] offset:1032
	v_mov_b32_e32 v1, 2
	s_waitcnt vmcnt(0)
	buffer_wbinvl1_vol
	global_store_byte v8, v1, s[48:49] offset:64
.LBB743_208:
	s_or_b64 exec, exec, s[4:5]
.LBB743_209:
	s_add_u32 s0, s58, s54
	v_add_co_u32_e32 v2, vcc, v96, v40
	s_addc_u32 s1, s59, s55
	v_addc_co_u32_e32 v3, vcc, v97, v41, vcc
	v_mov_b32_e32 v1, s1
	v_add_co_u32_e32 v12, vcc, s0, v72
	v_addc_co_u32_e32 v13, vcc, v1, v73, vcc
	s_and_b64 vcc, exec, s[2:3]
	s_cbranch_vccz .LBB743_247
; %bb.210:
	s_movk_i32 s0, 0x98
	v_mul_i32_i24_e32 v17, 0xffffff70, v0
	v_mul_u32_u24_e32 v16, 0x98, v0
	v_mad_u32_u24 v8, v0, s0, v17
	s_waitcnt lgkmcnt(0)
	; wave barrier
	ds_write2_b64 v16, v[78:79], v[4:5] offset1:1
	ds_write2_b64 v16, v[6:7], v[80:81] offset0:2 offset1:3
	ds_write2_b64 v16, v[10:11], v[82:83] offset0:4 offset1:5
	;; [unrolled: 1-line block ×8, first 2 shown]
	ds_write_b64 v16, v[2:3] offset:144
	s_waitcnt lgkmcnt(0)
	; wave barrier
	s_waitcnt lgkmcnt(0)
	ds_read2st64_b64 v[68:71], v8 offset0:1 offset1:2
	ds_read2st64_b64 v[64:67], v8 offset0:3 offset1:4
	;; [unrolled: 1-line block ×9, first 2 shown]
	v_add_co_u32_e32 v8, vcc, v12, v115
	s_add_i32 s33, s33, s50
	v_addc_co_u32_e32 v9, vcc, 0, v13, vcc
	v_mov_b32_e32 v1, 0
	v_cmp_gt_u32_e32 vcc, s33, v0
	s_and_saveexec_b64 s[0:1], vcc
	s_cbranch_execz .LBB743_212
; %bb.211:
	v_add_u32_e32 v16, v16, v17
	ds_read_b64 v[16:17], v16
	s_waitcnt lgkmcnt(0)
	flat_store_dwordx2 v[8:9], v[16:17]
.LBB743_212:
	s_or_b64 exec, exec, s[0:1]
	v_or_b32_e32 v16, 64, v0
	v_cmp_gt_u32_e32 vcc, s33, v16
	s_and_saveexec_b64 s[0:1], vcc
	s_cbranch_execz .LBB743_214
; %bb.213:
	s_waitcnt lgkmcnt(0)
	flat_store_dwordx2 v[8:9], v[68:69] offset:512
.LBB743_214:
	s_or_b64 exec, exec, s[0:1]
	v_or_b32_e32 v16, 0x80, v0
	v_cmp_gt_u32_e32 vcc, s33, v16
	s_and_saveexec_b64 s[0:1], vcc
	s_cbranch_execz .LBB743_216
; %bb.215:
	s_waitcnt lgkmcnt(0)
	flat_store_dwordx2 v[8:9], v[70:71] offset:1024
.LBB743_216:
	;; [unrolled: 9-line block ×7, first 2 shown]
	s_or_b64 exec, exec, s[0:1]
	v_or_b32_e32 v16, 0x200, v0
	v_cmp_gt_u32_e32 vcc, s33, v16
	s_and_saveexec_b64 s[0:1], vcc
	s_cbranch_execz .LBB743_228
; %bb.227:
	v_add_co_u32_e32 v16, vcc, 0x1000, v8
	v_addc_co_u32_e32 v17, vcc, 0, v9, vcc
	s_waitcnt lgkmcnt(0)
	flat_store_dwordx2 v[16:17], v[58:59]
.LBB743_228:
	s_or_b64 exec, exec, s[0:1]
	v_or_b32_e32 v16, 0x240, v0
	v_cmp_gt_u32_e32 vcc, s33, v16
	s_and_saveexec_b64 s[0:1], vcc
	s_cbranch_execz .LBB743_230
; %bb.229:
	v_add_co_u32_e32 v16, vcc, 0x1000, v8
	v_addc_co_u32_e32 v17, vcc, 0, v9, vcc
	s_waitcnt lgkmcnt(0)
	flat_store_dwordx2 v[16:17], v[52:53] offset:512
.LBB743_230:
	s_or_b64 exec, exec, s[0:1]
	v_or_b32_e32 v16, 0x280, v0
	v_cmp_gt_u32_e32 vcc, s33, v16
	s_and_saveexec_b64 s[0:1], vcc
	s_cbranch_execz .LBB743_232
; %bb.231:
	v_add_co_u32_e32 v16, vcc, 0x1000, v8
	v_addc_co_u32_e32 v17, vcc, 0, v9, vcc
	s_waitcnt lgkmcnt(0)
	flat_store_dwordx2 v[16:17], v[54:55] offset:1024
.LBB743_232:
	;; [unrolled: 11-line block ×7, first 2 shown]
	s_or_b64 exec, exec, s[0:1]
	v_or_b32_e32 v16, 0x400, v0
	v_cmp_gt_u32_e32 vcc, s33, v16
	s_and_saveexec_b64 s[0:1], vcc
	s_cbranch_execz .LBB743_244
; %bb.243:
	v_add_co_u32_e32 v16, vcc, 0x2000, v8
	v_addc_co_u32_e32 v17, vcc, 0, v9, vcc
	s_waitcnt lgkmcnt(0)
	flat_store_dwordx2 v[16:17], v[42:43]
.LBB743_244:
	s_or_b64 exec, exec, s[0:1]
	v_or_b32_e32 v16, 0x440, v0
	v_cmp_gt_u32_e32 vcc, s33, v16
	s_and_saveexec_b64 s[0:1], vcc
	s_cbranch_execz .LBB743_246
; %bb.245:
	v_add_co_u32_e32 v8, vcc, 0x2000, v8
	v_addc_co_u32_e32 v9, vcc, 0, v9, vcc
	s_waitcnt lgkmcnt(0)
	flat_store_dwordx2 v[8:9], v[36:37] offset:512
.LBB743_246:
	s_or_b64 exec, exec, s[0:1]
	v_or_b32_e32 v8, 0x480, v0
	v_cmp_gt_u32_e64 s[0:1], s33, v8
	s_branch .LBB743_249
.LBB743_247:
	s_mov_b64 s[0:1], 0
                                        ; implicit-def: $vgpr38_vgpr39
	s_cbranch_execz .LBB743_249
; %bb.248:
	v_mul_u32_u24_e32 v1, 0x98, v0
	s_waitcnt lgkmcnt(0)
	; wave barrier
	s_waitcnt lgkmcnt(0)
	s_movk_i32 s2, 0x98
	ds_write2_b64 v1, v[78:79], v[4:5] offset1:1
	ds_write2_b64 v1, v[6:7], v[80:81] offset0:2 offset1:3
	ds_write2_b64 v1, v[10:11], v[82:83] offset0:4 offset1:5
	ds_write2_b64 v1, v[14:15], v[84:85] offset0:6 offset1:7
	ds_write2_b64 v1, v[18:19], v[86:87] offset0:8 offset1:9
	ds_write2_b64 v1, v[22:23], v[88:89] offset0:10 offset1:11
	ds_write2_b64 v1, v[26:27], v[90:91] offset0:12 offset1:13
	ds_write2_b64 v1, v[30:31], v[92:93] offset0:14 offset1:15
	ds_write2_b64 v1, v[34:35], v[94:95] offset0:16 offset1:17
	ds_write_b64 v1, v[2:3] offset:144
	v_mul_i32_i24_e32 v2, 0xffffff70, v0
	v_mad_u32_u24 v10, v0, s2, v2
	s_waitcnt lgkmcnt(0)
	; wave barrier
	s_waitcnt lgkmcnt(0)
	ds_read2st64_b64 v[2:5], v10 offset1:1
	ds_read2st64_b64 v[6:9], v10 offset0:2 offset1:3
	ds_read2st64_b64 v[14:17], v10 offset0:4 offset1:5
	;; [unrolled: 1-line block ×8, first 2 shown]
	ds_read_b64 v[38:39], v10 offset:9216
	v_add_co_u32_e32 v10, vcc, v12, v115
	v_addc_co_u32_e32 v11, vcc, 0, v13, vcc
	s_movk_i32 s2, 0x1000
	s_waitcnt lgkmcnt(0)
	flat_store_dwordx2 v[10:11], v[2:3]
	flat_store_dwordx2 v[10:11], v[4:5] offset:512
	flat_store_dwordx2 v[10:11], v[6:7] offset:1024
	;; [unrolled: 1-line block ×7, first 2 shown]
	v_add_co_u32_e32 v2, vcc, s2, v10
	v_addc_co_u32_e32 v3, vcc, 0, v11, vcc
	flat_store_dwordx2 v[2:3], v[22:23]
	flat_store_dwordx2 v[2:3], v[24:25] offset:512
	flat_store_dwordx2 v[2:3], v[26:27] offset:1024
	;; [unrolled: 1-line block ×7, first 2 shown]
	v_add_co_u32_e32 v2, vcc, 0x2000, v10
	v_mov_b32_e32 v1, 0
	v_addc_co_u32_e32 v3, vcc, 0, v11, vcc
	s_or_b64 s[0:1], s[0:1], exec
	flat_store_dwordx2 v[2:3], v[40:41]
	flat_store_dwordx2 v[2:3], v[42:43] offset:512
.LBB743_249:
	s_and_saveexec_b64 s[2:3], s[0:1]
	s_cbranch_execz .LBB743_251
; %bb.250:
	v_lshlrev_b64 v[0:1], 3, v[0:1]
	v_add_co_u32_e32 v0, vcc, v12, v0
	v_addc_co_u32_e32 v1, vcc, v13, v1, vcc
	v_add_co_u32_e32 v0, vcc, 0x2000, v0
	v_addc_co_u32_e32 v1, vcc, 0, v1, vcc
	s_waitcnt lgkmcnt(0)
	flat_store_dwordx2 v[0:1], v[38:39] offset:1024
	s_endpgm
.LBB743_251:
	s_endpgm
	.section	.rodata,"a",@progbits
	.p2align	6, 0x0
	.amdhsa_kernel _ZN7rocprim17ROCPRIM_400000_NS6detail17trampoline_kernelINS0_14default_configENS1_27scan_by_key_config_selectorIxxEEZZNS1_16scan_by_key_implILNS1_25lookback_scan_determinismE0ELb1ES3_N6thrust23THRUST_200600_302600_NS6detail15normal_iteratorINS9_10device_ptrIxEEEESE_SE_xNS9_4plusIxEE19head_flag_predicatexEE10hipError_tPvRmT2_T3_T4_T5_mT6_T7_P12ihipStream_tbENKUlT_T0_E_clISt17integral_constantIbLb0EESX_IbLb1EEEEDaST_SU_EUlST_E_NS1_11comp_targetILNS1_3genE4ELNS1_11target_archE910ELNS1_3gpuE8ELNS1_3repE0EEENS1_30default_config_static_selectorELNS0_4arch9wavefront6targetE1EEEvT1_
		.amdhsa_group_segment_fixed_size 10752
		.amdhsa_private_segment_fixed_size 0
		.amdhsa_kernarg_size 136
		.amdhsa_user_sgpr_count 6
		.amdhsa_user_sgpr_private_segment_buffer 1
		.amdhsa_user_sgpr_dispatch_ptr 0
		.amdhsa_user_sgpr_queue_ptr 0
		.amdhsa_user_sgpr_kernarg_segment_ptr 1
		.amdhsa_user_sgpr_dispatch_id 0
		.amdhsa_user_sgpr_flat_scratch_init 0
		.amdhsa_user_sgpr_kernarg_preload_length 0
		.amdhsa_user_sgpr_kernarg_preload_offset 0
		.amdhsa_user_sgpr_private_segment_size 0
		.amdhsa_uses_dynamic_stack 0
		.amdhsa_system_sgpr_private_segment_wavefront_offset 0
		.amdhsa_system_sgpr_workgroup_id_x 1
		.amdhsa_system_sgpr_workgroup_id_y 0
		.amdhsa_system_sgpr_workgroup_id_z 0
		.amdhsa_system_sgpr_workgroup_info 0
		.amdhsa_system_vgpr_workitem_id 0
		.amdhsa_next_free_vgpr 119
		.amdhsa_next_free_sgpr 69
		.amdhsa_accum_offset 120
		.amdhsa_reserve_vcc 1
		.amdhsa_reserve_flat_scratch 0
		.amdhsa_float_round_mode_32 0
		.amdhsa_float_round_mode_16_64 0
		.amdhsa_float_denorm_mode_32 3
		.amdhsa_float_denorm_mode_16_64 3
		.amdhsa_dx10_clamp 1
		.amdhsa_ieee_mode 1
		.amdhsa_fp16_overflow 0
		.amdhsa_tg_split 0
		.amdhsa_exception_fp_ieee_invalid_op 0
		.amdhsa_exception_fp_denorm_src 0
		.amdhsa_exception_fp_ieee_div_zero 0
		.amdhsa_exception_fp_ieee_overflow 0
		.amdhsa_exception_fp_ieee_underflow 0
		.amdhsa_exception_fp_ieee_inexact 0
		.amdhsa_exception_int_div_zero 0
	.end_amdhsa_kernel
	.section	.text._ZN7rocprim17ROCPRIM_400000_NS6detail17trampoline_kernelINS0_14default_configENS1_27scan_by_key_config_selectorIxxEEZZNS1_16scan_by_key_implILNS1_25lookback_scan_determinismE0ELb1ES3_N6thrust23THRUST_200600_302600_NS6detail15normal_iteratorINS9_10device_ptrIxEEEESE_SE_xNS9_4plusIxEE19head_flag_predicatexEE10hipError_tPvRmT2_T3_T4_T5_mT6_T7_P12ihipStream_tbENKUlT_T0_E_clISt17integral_constantIbLb0EESX_IbLb1EEEEDaST_SU_EUlST_E_NS1_11comp_targetILNS1_3genE4ELNS1_11target_archE910ELNS1_3gpuE8ELNS1_3repE0EEENS1_30default_config_static_selectorELNS0_4arch9wavefront6targetE1EEEvT1_,"axG",@progbits,_ZN7rocprim17ROCPRIM_400000_NS6detail17trampoline_kernelINS0_14default_configENS1_27scan_by_key_config_selectorIxxEEZZNS1_16scan_by_key_implILNS1_25lookback_scan_determinismE0ELb1ES3_N6thrust23THRUST_200600_302600_NS6detail15normal_iteratorINS9_10device_ptrIxEEEESE_SE_xNS9_4plusIxEE19head_flag_predicatexEE10hipError_tPvRmT2_T3_T4_T5_mT6_T7_P12ihipStream_tbENKUlT_T0_E_clISt17integral_constantIbLb0EESX_IbLb1EEEEDaST_SU_EUlST_E_NS1_11comp_targetILNS1_3genE4ELNS1_11target_archE910ELNS1_3gpuE8ELNS1_3repE0EEENS1_30default_config_static_selectorELNS0_4arch9wavefront6targetE1EEEvT1_,comdat
.Lfunc_end743:
	.size	_ZN7rocprim17ROCPRIM_400000_NS6detail17trampoline_kernelINS0_14default_configENS1_27scan_by_key_config_selectorIxxEEZZNS1_16scan_by_key_implILNS1_25lookback_scan_determinismE0ELb1ES3_N6thrust23THRUST_200600_302600_NS6detail15normal_iteratorINS9_10device_ptrIxEEEESE_SE_xNS9_4plusIxEE19head_flag_predicatexEE10hipError_tPvRmT2_T3_T4_T5_mT6_T7_P12ihipStream_tbENKUlT_T0_E_clISt17integral_constantIbLb0EESX_IbLb1EEEEDaST_SU_EUlST_E_NS1_11comp_targetILNS1_3genE4ELNS1_11target_archE910ELNS1_3gpuE8ELNS1_3repE0EEENS1_30default_config_static_selectorELNS0_4arch9wavefront6targetE1EEEvT1_, .Lfunc_end743-_ZN7rocprim17ROCPRIM_400000_NS6detail17trampoline_kernelINS0_14default_configENS1_27scan_by_key_config_selectorIxxEEZZNS1_16scan_by_key_implILNS1_25lookback_scan_determinismE0ELb1ES3_N6thrust23THRUST_200600_302600_NS6detail15normal_iteratorINS9_10device_ptrIxEEEESE_SE_xNS9_4plusIxEE19head_flag_predicatexEE10hipError_tPvRmT2_T3_T4_T5_mT6_T7_P12ihipStream_tbENKUlT_T0_E_clISt17integral_constantIbLb0EESX_IbLb1EEEEDaST_SU_EUlST_E_NS1_11comp_targetILNS1_3genE4ELNS1_11target_archE910ELNS1_3gpuE8ELNS1_3repE0EEENS1_30default_config_static_selectorELNS0_4arch9wavefront6targetE1EEEvT1_
                                        ; -- End function
	.section	.AMDGPU.csdata,"",@progbits
; Kernel info:
; codeLenInByte = 15516
; NumSgprs: 73
; NumVgprs: 119
; NumAgprs: 0
; TotalNumVgprs: 119
; ScratchSize: 0
; MemoryBound: 0
; FloatMode: 240
; IeeeMode: 1
; LDSByteSize: 10752 bytes/workgroup (compile time only)
; SGPRBlocks: 9
; VGPRBlocks: 14
; NumSGPRsForWavesPerEU: 73
; NumVGPRsForWavesPerEU: 119
; AccumOffset: 120
; Occupancy: 2
; WaveLimiterHint : 1
; COMPUTE_PGM_RSRC2:SCRATCH_EN: 0
; COMPUTE_PGM_RSRC2:USER_SGPR: 6
; COMPUTE_PGM_RSRC2:TRAP_HANDLER: 0
; COMPUTE_PGM_RSRC2:TGID_X_EN: 1
; COMPUTE_PGM_RSRC2:TGID_Y_EN: 0
; COMPUTE_PGM_RSRC2:TGID_Z_EN: 0
; COMPUTE_PGM_RSRC2:TIDIG_COMP_CNT: 0
; COMPUTE_PGM_RSRC3_GFX90A:ACCUM_OFFSET: 29
; COMPUTE_PGM_RSRC3_GFX90A:TG_SPLIT: 0
	.section	.text._ZN7rocprim17ROCPRIM_400000_NS6detail17trampoline_kernelINS0_14default_configENS1_27scan_by_key_config_selectorIxxEEZZNS1_16scan_by_key_implILNS1_25lookback_scan_determinismE0ELb1ES3_N6thrust23THRUST_200600_302600_NS6detail15normal_iteratorINS9_10device_ptrIxEEEESE_SE_xNS9_4plusIxEE19head_flag_predicatexEE10hipError_tPvRmT2_T3_T4_T5_mT6_T7_P12ihipStream_tbENKUlT_T0_E_clISt17integral_constantIbLb0EESX_IbLb1EEEEDaST_SU_EUlST_E_NS1_11comp_targetILNS1_3genE3ELNS1_11target_archE908ELNS1_3gpuE7ELNS1_3repE0EEENS1_30default_config_static_selectorELNS0_4arch9wavefront6targetE1EEEvT1_,"axG",@progbits,_ZN7rocprim17ROCPRIM_400000_NS6detail17trampoline_kernelINS0_14default_configENS1_27scan_by_key_config_selectorIxxEEZZNS1_16scan_by_key_implILNS1_25lookback_scan_determinismE0ELb1ES3_N6thrust23THRUST_200600_302600_NS6detail15normal_iteratorINS9_10device_ptrIxEEEESE_SE_xNS9_4plusIxEE19head_flag_predicatexEE10hipError_tPvRmT2_T3_T4_T5_mT6_T7_P12ihipStream_tbENKUlT_T0_E_clISt17integral_constantIbLb0EESX_IbLb1EEEEDaST_SU_EUlST_E_NS1_11comp_targetILNS1_3genE3ELNS1_11target_archE908ELNS1_3gpuE7ELNS1_3repE0EEENS1_30default_config_static_selectorELNS0_4arch9wavefront6targetE1EEEvT1_,comdat
	.protected	_ZN7rocprim17ROCPRIM_400000_NS6detail17trampoline_kernelINS0_14default_configENS1_27scan_by_key_config_selectorIxxEEZZNS1_16scan_by_key_implILNS1_25lookback_scan_determinismE0ELb1ES3_N6thrust23THRUST_200600_302600_NS6detail15normal_iteratorINS9_10device_ptrIxEEEESE_SE_xNS9_4plusIxEE19head_flag_predicatexEE10hipError_tPvRmT2_T3_T4_T5_mT6_T7_P12ihipStream_tbENKUlT_T0_E_clISt17integral_constantIbLb0EESX_IbLb1EEEEDaST_SU_EUlST_E_NS1_11comp_targetILNS1_3genE3ELNS1_11target_archE908ELNS1_3gpuE7ELNS1_3repE0EEENS1_30default_config_static_selectorELNS0_4arch9wavefront6targetE1EEEvT1_ ; -- Begin function _ZN7rocprim17ROCPRIM_400000_NS6detail17trampoline_kernelINS0_14default_configENS1_27scan_by_key_config_selectorIxxEEZZNS1_16scan_by_key_implILNS1_25lookback_scan_determinismE0ELb1ES3_N6thrust23THRUST_200600_302600_NS6detail15normal_iteratorINS9_10device_ptrIxEEEESE_SE_xNS9_4plusIxEE19head_flag_predicatexEE10hipError_tPvRmT2_T3_T4_T5_mT6_T7_P12ihipStream_tbENKUlT_T0_E_clISt17integral_constantIbLb0EESX_IbLb1EEEEDaST_SU_EUlST_E_NS1_11comp_targetILNS1_3genE3ELNS1_11target_archE908ELNS1_3gpuE7ELNS1_3repE0EEENS1_30default_config_static_selectorELNS0_4arch9wavefront6targetE1EEEvT1_
	.globl	_ZN7rocprim17ROCPRIM_400000_NS6detail17trampoline_kernelINS0_14default_configENS1_27scan_by_key_config_selectorIxxEEZZNS1_16scan_by_key_implILNS1_25lookback_scan_determinismE0ELb1ES3_N6thrust23THRUST_200600_302600_NS6detail15normal_iteratorINS9_10device_ptrIxEEEESE_SE_xNS9_4plusIxEE19head_flag_predicatexEE10hipError_tPvRmT2_T3_T4_T5_mT6_T7_P12ihipStream_tbENKUlT_T0_E_clISt17integral_constantIbLb0EESX_IbLb1EEEEDaST_SU_EUlST_E_NS1_11comp_targetILNS1_3genE3ELNS1_11target_archE908ELNS1_3gpuE7ELNS1_3repE0EEENS1_30default_config_static_selectorELNS0_4arch9wavefront6targetE1EEEvT1_
	.p2align	8
	.type	_ZN7rocprim17ROCPRIM_400000_NS6detail17trampoline_kernelINS0_14default_configENS1_27scan_by_key_config_selectorIxxEEZZNS1_16scan_by_key_implILNS1_25lookback_scan_determinismE0ELb1ES3_N6thrust23THRUST_200600_302600_NS6detail15normal_iteratorINS9_10device_ptrIxEEEESE_SE_xNS9_4plusIxEE19head_flag_predicatexEE10hipError_tPvRmT2_T3_T4_T5_mT6_T7_P12ihipStream_tbENKUlT_T0_E_clISt17integral_constantIbLb0EESX_IbLb1EEEEDaST_SU_EUlST_E_NS1_11comp_targetILNS1_3genE3ELNS1_11target_archE908ELNS1_3gpuE7ELNS1_3repE0EEENS1_30default_config_static_selectorELNS0_4arch9wavefront6targetE1EEEvT1_,@function
_ZN7rocprim17ROCPRIM_400000_NS6detail17trampoline_kernelINS0_14default_configENS1_27scan_by_key_config_selectorIxxEEZZNS1_16scan_by_key_implILNS1_25lookback_scan_determinismE0ELb1ES3_N6thrust23THRUST_200600_302600_NS6detail15normal_iteratorINS9_10device_ptrIxEEEESE_SE_xNS9_4plusIxEE19head_flag_predicatexEE10hipError_tPvRmT2_T3_T4_T5_mT6_T7_P12ihipStream_tbENKUlT_T0_E_clISt17integral_constantIbLb0EESX_IbLb1EEEEDaST_SU_EUlST_E_NS1_11comp_targetILNS1_3genE3ELNS1_11target_archE908ELNS1_3gpuE7ELNS1_3repE0EEENS1_30default_config_static_selectorELNS0_4arch9wavefront6targetE1EEEvT1_: ; @_ZN7rocprim17ROCPRIM_400000_NS6detail17trampoline_kernelINS0_14default_configENS1_27scan_by_key_config_selectorIxxEEZZNS1_16scan_by_key_implILNS1_25lookback_scan_determinismE0ELb1ES3_N6thrust23THRUST_200600_302600_NS6detail15normal_iteratorINS9_10device_ptrIxEEEESE_SE_xNS9_4plusIxEE19head_flag_predicatexEE10hipError_tPvRmT2_T3_T4_T5_mT6_T7_P12ihipStream_tbENKUlT_T0_E_clISt17integral_constantIbLb0EESX_IbLb1EEEEDaST_SU_EUlST_E_NS1_11comp_targetILNS1_3genE3ELNS1_11target_archE908ELNS1_3gpuE7ELNS1_3repE0EEENS1_30default_config_static_selectorELNS0_4arch9wavefront6targetE1EEEvT1_
; %bb.0:
	.section	.rodata,"a",@progbits
	.p2align	6, 0x0
	.amdhsa_kernel _ZN7rocprim17ROCPRIM_400000_NS6detail17trampoline_kernelINS0_14default_configENS1_27scan_by_key_config_selectorIxxEEZZNS1_16scan_by_key_implILNS1_25lookback_scan_determinismE0ELb1ES3_N6thrust23THRUST_200600_302600_NS6detail15normal_iteratorINS9_10device_ptrIxEEEESE_SE_xNS9_4plusIxEE19head_flag_predicatexEE10hipError_tPvRmT2_T3_T4_T5_mT6_T7_P12ihipStream_tbENKUlT_T0_E_clISt17integral_constantIbLb0EESX_IbLb1EEEEDaST_SU_EUlST_E_NS1_11comp_targetILNS1_3genE3ELNS1_11target_archE908ELNS1_3gpuE7ELNS1_3repE0EEENS1_30default_config_static_selectorELNS0_4arch9wavefront6targetE1EEEvT1_
		.amdhsa_group_segment_fixed_size 0
		.amdhsa_private_segment_fixed_size 0
		.amdhsa_kernarg_size 136
		.amdhsa_user_sgpr_count 6
		.amdhsa_user_sgpr_private_segment_buffer 1
		.amdhsa_user_sgpr_dispatch_ptr 0
		.amdhsa_user_sgpr_queue_ptr 0
		.amdhsa_user_sgpr_kernarg_segment_ptr 1
		.amdhsa_user_sgpr_dispatch_id 0
		.amdhsa_user_sgpr_flat_scratch_init 0
		.amdhsa_user_sgpr_kernarg_preload_length 0
		.amdhsa_user_sgpr_kernarg_preload_offset 0
		.amdhsa_user_sgpr_private_segment_size 0
		.amdhsa_uses_dynamic_stack 0
		.amdhsa_system_sgpr_private_segment_wavefront_offset 0
		.amdhsa_system_sgpr_workgroup_id_x 1
		.amdhsa_system_sgpr_workgroup_id_y 0
		.amdhsa_system_sgpr_workgroup_id_z 0
		.amdhsa_system_sgpr_workgroup_info 0
		.amdhsa_system_vgpr_workitem_id 0
		.amdhsa_next_free_vgpr 1
		.amdhsa_next_free_sgpr 0
		.amdhsa_accum_offset 4
		.amdhsa_reserve_vcc 0
		.amdhsa_reserve_flat_scratch 0
		.amdhsa_float_round_mode_32 0
		.amdhsa_float_round_mode_16_64 0
		.amdhsa_float_denorm_mode_32 3
		.amdhsa_float_denorm_mode_16_64 3
		.amdhsa_dx10_clamp 1
		.amdhsa_ieee_mode 1
		.amdhsa_fp16_overflow 0
		.amdhsa_tg_split 0
		.amdhsa_exception_fp_ieee_invalid_op 0
		.amdhsa_exception_fp_denorm_src 0
		.amdhsa_exception_fp_ieee_div_zero 0
		.amdhsa_exception_fp_ieee_overflow 0
		.amdhsa_exception_fp_ieee_underflow 0
		.amdhsa_exception_fp_ieee_inexact 0
		.amdhsa_exception_int_div_zero 0
	.end_amdhsa_kernel
	.section	.text._ZN7rocprim17ROCPRIM_400000_NS6detail17trampoline_kernelINS0_14default_configENS1_27scan_by_key_config_selectorIxxEEZZNS1_16scan_by_key_implILNS1_25lookback_scan_determinismE0ELb1ES3_N6thrust23THRUST_200600_302600_NS6detail15normal_iteratorINS9_10device_ptrIxEEEESE_SE_xNS9_4plusIxEE19head_flag_predicatexEE10hipError_tPvRmT2_T3_T4_T5_mT6_T7_P12ihipStream_tbENKUlT_T0_E_clISt17integral_constantIbLb0EESX_IbLb1EEEEDaST_SU_EUlST_E_NS1_11comp_targetILNS1_3genE3ELNS1_11target_archE908ELNS1_3gpuE7ELNS1_3repE0EEENS1_30default_config_static_selectorELNS0_4arch9wavefront6targetE1EEEvT1_,"axG",@progbits,_ZN7rocprim17ROCPRIM_400000_NS6detail17trampoline_kernelINS0_14default_configENS1_27scan_by_key_config_selectorIxxEEZZNS1_16scan_by_key_implILNS1_25lookback_scan_determinismE0ELb1ES3_N6thrust23THRUST_200600_302600_NS6detail15normal_iteratorINS9_10device_ptrIxEEEESE_SE_xNS9_4plusIxEE19head_flag_predicatexEE10hipError_tPvRmT2_T3_T4_T5_mT6_T7_P12ihipStream_tbENKUlT_T0_E_clISt17integral_constantIbLb0EESX_IbLb1EEEEDaST_SU_EUlST_E_NS1_11comp_targetILNS1_3genE3ELNS1_11target_archE908ELNS1_3gpuE7ELNS1_3repE0EEENS1_30default_config_static_selectorELNS0_4arch9wavefront6targetE1EEEvT1_,comdat
.Lfunc_end744:
	.size	_ZN7rocprim17ROCPRIM_400000_NS6detail17trampoline_kernelINS0_14default_configENS1_27scan_by_key_config_selectorIxxEEZZNS1_16scan_by_key_implILNS1_25lookback_scan_determinismE0ELb1ES3_N6thrust23THRUST_200600_302600_NS6detail15normal_iteratorINS9_10device_ptrIxEEEESE_SE_xNS9_4plusIxEE19head_flag_predicatexEE10hipError_tPvRmT2_T3_T4_T5_mT6_T7_P12ihipStream_tbENKUlT_T0_E_clISt17integral_constantIbLb0EESX_IbLb1EEEEDaST_SU_EUlST_E_NS1_11comp_targetILNS1_3genE3ELNS1_11target_archE908ELNS1_3gpuE7ELNS1_3repE0EEENS1_30default_config_static_selectorELNS0_4arch9wavefront6targetE1EEEvT1_, .Lfunc_end744-_ZN7rocprim17ROCPRIM_400000_NS6detail17trampoline_kernelINS0_14default_configENS1_27scan_by_key_config_selectorIxxEEZZNS1_16scan_by_key_implILNS1_25lookback_scan_determinismE0ELb1ES3_N6thrust23THRUST_200600_302600_NS6detail15normal_iteratorINS9_10device_ptrIxEEEESE_SE_xNS9_4plusIxEE19head_flag_predicatexEE10hipError_tPvRmT2_T3_T4_T5_mT6_T7_P12ihipStream_tbENKUlT_T0_E_clISt17integral_constantIbLb0EESX_IbLb1EEEEDaST_SU_EUlST_E_NS1_11comp_targetILNS1_3genE3ELNS1_11target_archE908ELNS1_3gpuE7ELNS1_3repE0EEENS1_30default_config_static_selectorELNS0_4arch9wavefront6targetE1EEEvT1_
                                        ; -- End function
	.section	.AMDGPU.csdata,"",@progbits
; Kernel info:
; codeLenInByte = 0
; NumSgprs: 4
; NumVgprs: 0
; NumAgprs: 0
; TotalNumVgprs: 0
; ScratchSize: 0
; MemoryBound: 0
; FloatMode: 240
; IeeeMode: 1
; LDSByteSize: 0 bytes/workgroup (compile time only)
; SGPRBlocks: 0
; VGPRBlocks: 0
; NumSGPRsForWavesPerEU: 4
; NumVGPRsForWavesPerEU: 1
; AccumOffset: 4
; Occupancy: 8
; WaveLimiterHint : 0
; COMPUTE_PGM_RSRC2:SCRATCH_EN: 0
; COMPUTE_PGM_RSRC2:USER_SGPR: 6
; COMPUTE_PGM_RSRC2:TRAP_HANDLER: 0
; COMPUTE_PGM_RSRC2:TGID_X_EN: 1
; COMPUTE_PGM_RSRC2:TGID_Y_EN: 0
; COMPUTE_PGM_RSRC2:TGID_Z_EN: 0
; COMPUTE_PGM_RSRC2:TIDIG_COMP_CNT: 0
; COMPUTE_PGM_RSRC3_GFX90A:ACCUM_OFFSET: 0
; COMPUTE_PGM_RSRC3_GFX90A:TG_SPLIT: 0
	.section	.text._ZN7rocprim17ROCPRIM_400000_NS6detail17trampoline_kernelINS0_14default_configENS1_27scan_by_key_config_selectorIxxEEZZNS1_16scan_by_key_implILNS1_25lookback_scan_determinismE0ELb1ES3_N6thrust23THRUST_200600_302600_NS6detail15normal_iteratorINS9_10device_ptrIxEEEESE_SE_xNS9_4plusIxEE19head_flag_predicatexEE10hipError_tPvRmT2_T3_T4_T5_mT6_T7_P12ihipStream_tbENKUlT_T0_E_clISt17integral_constantIbLb0EESX_IbLb1EEEEDaST_SU_EUlST_E_NS1_11comp_targetILNS1_3genE2ELNS1_11target_archE906ELNS1_3gpuE6ELNS1_3repE0EEENS1_30default_config_static_selectorELNS0_4arch9wavefront6targetE1EEEvT1_,"axG",@progbits,_ZN7rocprim17ROCPRIM_400000_NS6detail17trampoline_kernelINS0_14default_configENS1_27scan_by_key_config_selectorIxxEEZZNS1_16scan_by_key_implILNS1_25lookback_scan_determinismE0ELb1ES3_N6thrust23THRUST_200600_302600_NS6detail15normal_iteratorINS9_10device_ptrIxEEEESE_SE_xNS9_4plusIxEE19head_flag_predicatexEE10hipError_tPvRmT2_T3_T4_T5_mT6_T7_P12ihipStream_tbENKUlT_T0_E_clISt17integral_constantIbLb0EESX_IbLb1EEEEDaST_SU_EUlST_E_NS1_11comp_targetILNS1_3genE2ELNS1_11target_archE906ELNS1_3gpuE6ELNS1_3repE0EEENS1_30default_config_static_selectorELNS0_4arch9wavefront6targetE1EEEvT1_,comdat
	.protected	_ZN7rocprim17ROCPRIM_400000_NS6detail17trampoline_kernelINS0_14default_configENS1_27scan_by_key_config_selectorIxxEEZZNS1_16scan_by_key_implILNS1_25lookback_scan_determinismE0ELb1ES3_N6thrust23THRUST_200600_302600_NS6detail15normal_iteratorINS9_10device_ptrIxEEEESE_SE_xNS9_4plusIxEE19head_flag_predicatexEE10hipError_tPvRmT2_T3_T4_T5_mT6_T7_P12ihipStream_tbENKUlT_T0_E_clISt17integral_constantIbLb0EESX_IbLb1EEEEDaST_SU_EUlST_E_NS1_11comp_targetILNS1_3genE2ELNS1_11target_archE906ELNS1_3gpuE6ELNS1_3repE0EEENS1_30default_config_static_selectorELNS0_4arch9wavefront6targetE1EEEvT1_ ; -- Begin function _ZN7rocprim17ROCPRIM_400000_NS6detail17trampoline_kernelINS0_14default_configENS1_27scan_by_key_config_selectorIxxEEZZNS1_16scan_by_key_implILNS1_25lookback_scan_determinismE0ELb1ES3_N6thrust23THRUST_200600_302600_NS6detail15normal_iteratorINS9_10device_ptrIxEEEESE_SE_xNS9_4plusIxEE19head_flag_predicatexEE10hipError_tPvRmT2_T3_T4_T5_mT6_T7_P12ihipStream_tbENKUlT_T0_E_clISt17integral_constantIbLb0EESX_IbLb1EEEEDaST_SU_EUlST_E_NS1_11comp_targetILNS1_3genE2ELNS1_11target_archE906ELNS1_3gpuE6ELNS1_3repE0EEENS1_30default_config_static_selectorELNS0_4arch9wavefront6targetE1EEEvT1_
	.globl	_ZN7rocprim17ROCPRIM_400000_NS6detail17trampoline_kernelINS0_14default_configENS1_27scan_by_key_config_selectorIxxEEZZNS1_16scan_by_key_implILNS1_25lookback_scan_determinismE0ELb1ES3_N6thrust23THRUST_200600_302600_NS6detail15normal_iteratorINS9_10device_ptrIxEEEESE_SE_xNS9_4plusIxEE19head_flag_predicatexEE10hipError_tPvRmT2_T3_T4_T5_mT6_T7_P12ihipStream_tbENKUlT_T0_E_clISt17integral_constantIbLb0EESX_IbLb1EEEEDaST_SU_EUlST_E_NS1_11comp_targetILNS1_3genE2ELNS1_11target_archE906ELNS1_3gpuE6ELNS1_3repE0EEENS1_30default_config_static_selectorELNS0_4arch9wavefront6targetE1EEEvT1_
	.p2align	8
	.type	_ZN7rocprim17ROCPRIM_400000_NS6detail17trampoline_kernelINS0_14default_configENS1_27scan_by_key_config_selectorIxxEEZZNS1_16scan_by_key_implILNS1_25lookback_scan_determinismE0ELb1ES3_N6thrust23THRUST_200600_302600_NS6detail15normal_iteratorINS9_10device_ptrIxEEEESE_SE_xNS9_4plusIxEE19head_flag_predicatexEE10hipError_tPvRmT2_T3_T4_T5_mT6_T7_P12ihipStream_tbENKUlT_T0_E_clISt17integral_constantIbLb0EESX_IbLb1EEEEDaST_SU_EUlST_E_NS1_11comp_targetILNS1_3genE2ELNS1_11target_archE906ELNS1_3gpuE6ELNS1_3repE0EEENS1_30default_config_static_selectorELNS0_4arch9wavefront6targetE1EEEvT1_,@function
_ZN7rocprim17ROCPRIM_400000_NS6detail17trampoline_kernelINS0_14default_configENS1_27scan_by_key_config_selectorIxxEEZZNS1_16scan_by_key_implILNS1_25lookback_scan_determinismE0ELb1ES3_N6thrust23THRUST_200600_302600_NS6detail15normal_iteratorINS9_10device_ptrIxEEEESE_SE_xNS9_4plusIxEE19head_flag_predicatexEE10hipError_tPvRmT2_T3_T4_T5_mT6_T7_P12ihipStream_tbENKUlT_T0_E_clISt17integral_constantIbLb0EESX_IbLb1EEEEDaST_SU_EUlST_E_NS1_11comp_targetILNS1_3genE2ELNS1_11target_archE906ELNS1_3gpuE6ELNS1_3repE0EEENS1_30default_config_static_selectorELNS0_4arch9wavefront6targetE1EEEvT1_: ; @_ZN7rocprim17ROCPRIM_400000_NS6detail17trampoline_kernelINS0_14default_configENS1_27scan_by_key_config_selectorIxxEEZZNS1_16scan_by_key_implILNS1_25lookback_scan_determinismE0ELb1ES3_N6thrust23THRUST_200600_302600_NS6detail15normal_iteratorINS9_10device_ptrIxEEEESE_SE_xNS9_4plusIxEE19head_flag_predicatexEE10hipError_tPvRmT2_T3_T4_T5_mT6_T7_P12ihipStream_tbENKUlT_T0_E_clISt17integral_constantIbLb0EESX_IbLb1EEEEDaST_SU_EUlST_E_NS1_11comp_targetILNS1_3genE2ELNS1_11target_archE906ELNS1_3gpuE6ELNS1_3repE0EEENS1_30default_config_static_selectorELNS0_4arch9wavefront6targetE1EEEvT1_
; %bb.0:
	.section	.rodata,"a",@progbits
	.p2align	6, 0x0
	.amdhsa_kernel _ZN7rocprim17ROCPRIM_400000_NS6detail17trampoline_kernelINS0_14default_configENS1_27scan_by_key_config_selectorIxxEEZZNS1_16scan_by_key_implILNS1_25lookback_scan_determinismE0ELb1ES3_N6thrust23THRUST_200600_302600_NS6detail15normal_iteratorINS9_10device_ptrIxEEEESE_SE_xNS9_4plusIxEE19head_flag_predicatexEE10hipError_tPvRmT2_T3_T4_T5_mT6_T7_P12ihipStream_tbENKUlT_T0_E_clISt17integral_constantIbLb0EESX_IbLb1EEEEDaST_SU_EUlST_E_NS1_11comp_targetILNS1_3genE2ELNS1_11target_archE906ELNS1_3gpuE6ELNS1_3repE0EEENS1_30default_config_static_selectorELNS0_4arch9wavefront6targetE1EEEvT1_
		.amdhsa_group_segment_fixed_size 0
		.amdhsa_private_segment_fixed_size 0
		.amdhsa_kernarg_size 136
		.amdhsa_user_sgpr_count 6
		.amdhsa_user_sgpr_private_segment_buffer 1
		.amdhsa_user_sgpr_dispatch_ptr 0
		.amdhsa_user_sgpr_queue_ptr 0
		.amdhsa_user_sgpr_kernarg_segment_ptr 1
		.amdhsa_user_sgpr_dispatch_id 0
		.amdhsa_user_sgpr_flat_scratch_init 0
		.amdhsa_user_sgpr_kernarg_preload_length 0
		.amdhsa_user_sgpr_kernarg_preload_offset 0
		.amdhsa_user_sgpr_private_segment_size 0
		.amdhsa_uses_dynamic_stack 0
		.amdhsa_system_sgpr_private_segment_wavefront_offset 0
		.amdhsa_system_sgpr_workgroup_id_x 1
		.amdhsa_system_sgpr_workgroup_id_y 0
		.amdhsa_system_sgpr_workgroup_id_z 0
		.amdhsa_system_sgpr_workgroup_info 0
		.amdhsa_system_vgpr_workitem_id 0
		.amdhsa_next_free_vgpr 1
		.amdhsa_next_free_sgpr 0
		.amdhsa_accum_offset 4
		.amdhsa_reserve_vcc 0
		.amdhsa_reserve_flat_scratch 0
		.amdhsa_float_round_mode_32 0
		.amdhsa_float_round_mode_16_64 0
		.amdhsa_float_denorm_mode_32 3
		.amdhsa_float_denorm_mode_16_64 3
		.amdhsa_dx10_clamp 1
		.amdhsa_ieee_mode 1
		.amdhsa_fp16_overflow 0
		.amdhsa_tg_split 0
		.amdhsa_exception_fp_ieee_invalid_op 0
		.amdhsa_exception_fp_denorm_src 0
		.amdhsa_exception_fp_ieee_div_zero 0
		.amdhsa_exception_fp_ieee_overflow 0
		.amdhsa_exception_fp_ieee_underflow 0
		.amdhsa_exception_fp_ieee_inexact 0
		.amdhsa_exception_int_div_zero 0
	.end_amdhsa_kernel
	.section	.text._ZN7rocprim17ROCPRIM_400000_NS6detail17trampoline_kernelINS0_14default_configENS1_27scan_by_key_config_selectorIxxEEZZNS1_16scan_by_key_implILNS1_25lookback_scan_determinismE0ELb1ES3_N6thrust23THRUST_200600_302600_NS6detail15normal_iteratorINS9_10device_ptrIxEEEESE_SE_xNS9_4plusIxEE19head_flag_predicatexEE10hipError_tPvRmT2_T3_T4_T5_mT6_T7_P12ihipStream_tbENKUlT_T0_E_clISt17integral_constantIbLb0EESX_IbLb1EEEEDaST_SU_EUlST_E_NS1_11comp_targetILNS1_3genE2ELNS1_11target_archE906ELNS1_3gpuE6ELNS1_3repE0EEENS1_30default_config_static_selectorELNS0_4arch9wavefront6targetE1EEEvT1_,"axG",@progbits,_ZN7rocprim17ROCPRIM_400000_NS6detail17trampoline_kernelINS0_14default_configENS1_27scan_by_key_config_selectorIxxEEZZNS1_16scan_by_key_implILNS1_25lookback_scan_determinismE0ELb1ES3_N6thrust23THRUST_200600_302600_NS6detail15normal_iteratorINS9_10device_ptrIxEEEESE_SE_xNS9_4plusIxEE19head_flag_predicatexEE10hipError_tPvRmT2_T3_T4_T5_mT6_T7_P12ihipStream_tbENKUlT_T0_E_clISt17integral_constantIbLb0EESX_IbLb1EEEEDaST_SU_EUlST_E_NS1_11comp_targetILNS1_3genE2ELNS1_11target_archE906ELNS1_3gpuE6ELNS1_3repE0EEENS1_30default_config_static_selectorELNS0_4arch9wavefront6targetE1EEEvT1_,comdat
.Lfunc_end745:
	.size	_ZN7rocprim17ROCPRIM_400000_NS6detail17trampoline_kernelINS0_14default_configENS1_27scan_by_key_config_selectorIxxEEZZNS1_16scan_by_key_implILNS1_25lookback_scan_determinismE0ELb1ES3_N6thrust23THRUST_200600_302600_NS6detail15normal_iteratorINS9_10device_ptrIxEEEESE_SE_xNS9_4plusIxEE19head_flag_predicatexEE10hipError_tPvRmT2_T3_T4_T5_mT6_T7_P12ihipStream_tbENKUlT_T0_E_clISt17integral_constantIbLb0EESX_IbLb1EEEEDaST_SU_EUlST_E_NS1_11comp_targetILNS1_3genE2ELNS1_11target_archE906ELNS1_3gpuE6ELNS1_3repE0EEENS1_30default_config_static_selectorELNS0_4arch9wavefront6targetE1EEEvT1_, .Lfunc_end745-_ZN7rocprim17ROCPRIM_400000_NS6detail17trampoline_kernelINS0_14default_configENS1_27scan_by_key_config_selectorIxxEEZZNS1_16scan_by_key_implILNS1_25lookback_scan_determinismE0ELb1ES3_N6thrust23THRUST_200600_302600_NS6detail15normal_iteratorINS9_10device_ptrIxEEEESE_SE_xNS9_4plusIxEE19head_flag_predicatexEE10hipError_tPvRmT2_T3_T4_T5_mT6_T7_P12ihipStream_tbENKUlT_T0_E_clISt17integral_constantIbLb0EESX_IbLb1EEEEDaST_SU_EUlST_E_NS1_11comp_targetILNS1_3genE2ELNS1_11target_archE906ELNS1_3gpuE6ELNS1_3repE0EEENS1_30default_config_static_selectorELNS0_4arch9wavefront6targetE1EEEvT1_
                                        ; -- End function
	.section	.AMDGPU.csdata,"",@progbits
; Kernel info:
; codeLenInByte = 0
; NumSgprs: 4
; NumVgprs: 0
; NumAgprs: 0
; TotalNumVgprs: 0
; ScratchSize: 0
; MemoryBound: 0
; FloatMode: 240
; IeeeMode: 1
; LDSByteSize: 0 bytes/workgroup (compile time only)
; SGPRBlocks: 0
; VGPRBlocks: 0
; NumSGPRsForWavesPerEU: 4
; NumVGPRsForWavesPerEU: 1
; AccumOffset: 4
; Occupancy: 8
; WaveLimiterHint : 0
; COMPUTE_PGM_RSRC2:SCRATCH_EN: 0
; COMPUTE_PGM_RSRC2:USER_SGPR: 6
; COMPUTE_PGM_RSRC2:TRAP_HANDLER: 0
; COMPUTE_PGM_RSRC2:TGID_X_EN: 1
; COMPUTE_PGM_RSRC2:TGID_Y_EN: 0
; COMPUTE_PGM_RSRC2:TGID_Z_EN: 0
; COMPUTE_PGM_RSRC2:TIDIG_COMP_CNT: 0
; COMPUTE_PGM_RSRC3_GFX90A:ACCUM_OFFSET: 0
; COMPUTE_PGM_RSRC3_GFX90A:TG_SPLIT: 0
	.section	.text._ZN7rocprim17ROCPRIM_400000_NS6detail17trampoline_kernelINS0_14default_configENS1_27scan_by_key_config_selectorIxxEEZZNS1_16scan_by_key_implILNS1_25lookback_scan_determinismE0ELb1ES3_N6thrust23THRUST_200600_302600_NS6detail15normal_iteratorINS9_10device_ptrIxEEEESE_SE_xNS9_4plusIxEE19head_flag_predicatexEE10hipError_tPvRmT2_T3_T4_T5_mT6_T7_P12ihipStream_tbENKUlT_T0_E_clISt17integral_constantIbLb0EESX_IbLb1EEEEDaST_SU_EUlST_E_NS1_11comp_targetILNS1_3genE10ELNS1_11target_archE1200ELNS1_3gpuE4ELNS1_3repE0EEENS1_30default_config_static_selectorELNS0_4arch9wavefront6targetE1EEEvT1_,"axG",@progbits,_ZN7rocprim17ROCPRIM_400000_NS6detail17trampoline_kernelINS0_14default_configENS1_27scan_by_key_config_selectorIxxEEZZNS1_16scan_by_key_implILNS1_25lookback_scan_determinismE0ELb1ES3_N6thrust23THRUST_200600_302600_NS6detail15normal_iteratorINS9_10device_ptrIxEEEESE_SE_xNS9_4plusIxEE19head_flag_predicatexEE10hipError_tPvRmT2_T3_T4_T5_mT6_T7_P12ihipStream_tbENKUlT_T0_E_clISt17integral_constantIbLb0EESX_IbLb1EEEEDaST_SU_EUlST_E_NS1_11comp_targetILNS1_3genE10ELNS1_11target_archE1200ELNS1_3gpuE4ELNS1_3repE0EEENS1_30default_config_static_selectorELNS0_4arch9wavefront6targetE1EEEvT1_,comdat
	.protected	_ZN7rocprim17ROCPRIM_400000_NS6detail17trampoline_kernelINS0_14default_configENS1_27scan_by_key_config_selectorIxxEEZZNS1_16scan_by_key_implILNS1_25lookback_scan_determinismE0ELb1ES3_N6thrust23THRUST_200600_302600_NS6detail15normal_iteratorINS9_10device_ptrIxEEEESE_SE_xNS9_4plusIxEE19head_flag_predicatexEE10hipError_tPvRmT2_T3_T4_T5_mT6_T7_P12ihipStream_tbENKUlT_T0_E_clISt17integral_constantIbLb0EESX_IbLb1EEEEDaST_SU_EUlST_E_NS1_11comp_targetILNS1_3genE10ELNS1_11target_archE1200ELNS1_3gpuE4ELNS1_3repE0EEENS1_30default_config_static_selectorELNS0_4arch9wavefront6targetE1EEEvT1_ ; -- Begin function _ZN7rocprim17ROCPRIM_400000_NS6detail17trampoline_kernelINS0_14default_configENS1_27scan_by_key_config_selectorIxxEEZZNS1_16scan_by_key_implILNS1_25lookback_scan_determinismE0ELb1ES3_N6thrust23THRUST_200600_302600_NS6detail15normal_iteratorINS9_10device_ptrIxEEEESE_SE_xNS9_4plusIxEE19head_flag_predicatexEE10hipError_tPvRmT2_T3_T4_T5_mT6_T7_P12ihipStream_tbENKUlT_T0_E_clISt17integral_constantIbLb0EESX_IbLb1EEEEDaST_SU_EUlST_E_NS1_11comp_targetILNS1_3genE10ELNS1_11target_archE1200ELNS1_3gpuE4ELNS1_3repE0EEENS1_30default_config_static_selectorELNS0_4arch9wavefront6targetE1EEEvT1_
	.globl	_ZN7rocprim17ROCPRIM_400000_NS6detail17trampoline_kernelINS0_14default_configENS1_27scan_by_key_config_selectorIxxEEZZNS1_16scan_by_key_implILNS1_25lookback_scan_determinismE0ELb1ES3_N6thrust23THRUST_200600_302600_NS6detail15normal_iteratorINS9_10device_ptrIxEEEESE_SE_xNS9_4plusIxEE19head_flag_predicatexEE10hipError_tPvRmT2_T3_T4_T5_mT6_T7_P12ihipStream_tbENKUlT_T0_E_clISt17integral_constantIbLb0EESX_IbLb1EEEEDaST_SU_EUlST_E_NS1_11comp_targetILNS1_3genE10ELNS1_11target_archE1200ELNS1_3gpuE4ELNS1_3repE0EEENS1_30default_config_static_selectorELNS0_4arch9wavefront6targetE1EEEvT1_
	.p2align	8
	.type	_ZN7rocprim17ROCPRIM_400000_NS6detail17trampoline_kernelINS0_14default_configENS1_27scan_by_key_config_selectorIxxEEZZNS1_16scan_by_key_implILNS1_25lookback_scan_determinismE0ELb1ES3_N6thrust23THRUST_200600_302600_NS6detail15normal_iteratorINS9_10device_ptrIxEEEESE_SE_xNS9_4plusIxEE19head_flag_predicatexEE10hipError_tPvRmT2_T3_T4_T5_mT6_T7_P12ihipStream_tbENKUlT_T0_E_clISt17integral_constantIbLb0EESX_IbLb1EEEEDaST_SU_EUlST_E_NS1_11comp_targetILNS1_3genE10ELNS1_11target_archE1200ELNS1_3gpuE4ELNS1_3repE0EEENS1_30default_config_static_selectorELNS0_4arch9wavefront6targetE1EEEvT1_,@function
_ZN7rocprim17ROCPRIM_400000_NS6detail17trampoline_kernelINS0_14default_configENS1_27scan_by_key_config_selectorIxxEEZZNS1_16scan_by_key_implILNS1_25lookback_scan_determinismE0ELb1ES3_N6thrust23THRUST_200600_302600_NS6detail15normal_iteratorINS9_10device_ptrIxEEEESE_SE_xNS9_4plusIxEE19head_flag_predicatexEE10hipError_tPvRmT2_T3_T4_T5_mT6_T7_P12ihipStream_tbENKUlT_T0_E_clISt17integral_constantIbLb0EESX_IbLb1EEEEDaST_SU_EUlST_E_NS1_11comp_targetILNS1_3genE10ELNS1_11target_archE1200ELNS1_3gpuE4ELNS1_3repE0EEENS1_30default_config_static_selectorELNS0_4arch9wavefront6targetE1EEEvT1_: ; @_ZN7rocprim17ROCPRIM_400000_NS6detail17trampoline_kernelINS0_14default_configENS1_27scan_by_key_config_selectorIxxEEZZNS1_16scan_by_key_implILNS1_25lookback_scan_determinismE0ELb1ES3_N6thrust23THRUST_200600_302600_NS6detail15normal_iteratorINS9_10device_ptrIxEEEESE_SE_xNS9_4plusIxEE19head_flag_predicatexEE10hipError_tPvRmT2_T3_T4_T5_mT6_T7_P12ihipStream_tbENKUlT_T0_E_clISt17integral_constantIbLb0EESX_IbLb1EEEEDaST_SU_EUlST_E_NS1_11comp_targetILNS1_3genE10ELNS1_11target_archE1200ELNS1_3gpuE4ELNS1_3repE0EEENS1_30default_config_static_selectorELNS0_4arch9wavefront6targetE1EEEvT1_
; %bb.0:
	.section	.rodata,"a",@progbits
	.p2align	6, 0x0
	.amdhsa_kernel _ZN7rocprim17ROCPRIM_400000_NS6detail17trampoline_kernelINS0_14default_configENS1_27scan_by_key_config_selectorIxxEEZZNS1_16scan_by_key_implILNS1_25lookback_scan_determinismE0ELb1ES3_N6thrust23THRUST_200600_302600_NS6detail15normal_iteratorINS9_10device_ptrIxEEEESE_SE_xNS9_4plusIxEE19head_flag_predicatexEE10hipError_tPvRmT2_T3_T4_T5_mT6_T7_P12ihipStream_tbENKUlT_T0_E_clISt17integral_constantIbLb0EESX_IbLb1EEEEDaST_SU_EUlST_E_NS1_11comp_targetILNS1_3genE10ELNS1_11target_archE1200ELNS1_3gpuE4ELNS1_3repE0EEENS1_30default_config_static_selectorELNS0_4arch9wavefront6targetE1EEEvT1_
		.amdhsa_group_segment_fixed_size 0
		.amdhsa_private_segment_fixed_size 0
		.amdhsa_kernarg_size 136
		.amdhsa_user_sgpr_count 6
		.amdhsa_user_sgpr_private_segment_buffer 1
		.amdhsa_user_sgpr_dispatch_ptr 0
		.amdhsa_user_sgpr_queue_ptr 0
		.amdhsa_user_sgpr_kernarg_segment_ptr 1
		.amdhsa_user_sgpr_dispatch_id 0
		.amdhsa_user_sgpr_flat_scratch_init 0
		.amdhsa_user_sgpr_kernarg_preload_length 0
		.amdhsa_user_sgpr_kernarg_preload_offset 0
		.amdhsa_user_sgpr_private_segment_size 0
		.amdhsa_uses_dynamic_stack 0
		.amdhsa_system_sgpr_private_segment_wavefront_offset 0
		.amdhsa_system_sgpr_workgroup_id_x 1
		.amdhsa_system_sgpr_workgroup_id_y 0
		.amdhsa_system_sgpr_workgroup_id_z 0
		.amdhsa_system_sgpr_workgroup_info 0
		.amdhsa_system_vgpr_workitem_id 0
		.amdhsa_next_free_vgpr 1
		.amdhsa_next_free_sgpr 0
		.amdhsa_accum_offset 4
		.amdhsa_reserve_vcc 0
		.amdhsa_reserve_flat_scratch 0
		.amdhsa_float_round_mode_32 0
		.amdhsa_float_round_mode_16_64 0
		.amdhsa_float_denorm_mode_32 3
		.amdhsa_float_denorm_mode_16_64 3
		.amdhsa_dx10_clamp 1
		.amdhsa_ieee_mode 1
		.amdhsa_fp16_overflow 0
		.amdhsa_tg_split 0
		.amdhsa_exception_fp_ieee_invalid_op 0
		.amdhsa_exception_fp_denorm_src 0
		.amdhsa_exception_fp_ieee_div_zero 0
		.amdhsa_exception_fp_ieee_overflow 0
		.amdhsa_exception_fp_ieee_underflow 0
		.amdhsa_exception_fp_ieee_inexact 0
		.amdhsa_exception_int_div_zero 0
	.end_amdhsa_kernel
	.section	.text._ZN7rocprim17ROCPRIM_400000_NS6detail17trampoline_kernelINS0_14default_configENS1_27scan_by_key_config_selectorIxxEEZZNS1_16scan_by_key_implILNS1_25lookback_scan_determinismE0ELb1ES3_N6thrust23THRUST_200600_302600_NS6detail15normal_iteratorINS9_10device_ptrIxEEEESE_SE_xNS9_4plusIxEE19head_flag_predicatexEE10hipError_tPvRmT2_T3_T4_T5_mT6_T7_P12ihipStream_tbENKUlT_T0_E_clISt17integral_constantIbLb0EESX_IbLb1EEEEDaST_SU_EUlST_E_NS1_11comp_targetILNS1_3genE10ELNS1_11target_archE1200ELNS1_3gpuE4ELNS1_3repE0EEENS1_30default_config_static_selectorELNS0_4arch9wavefront6targetE1EEEvT1_,"axG",@progbits,_ZN7rocprim17ROCPRIM_400000_NS6detail17trampoline_kernelINS0_14default_configENS1_27scan_by_key_config_selectorIxxEEZZNS1_16scan_by_key_implILNS1_25lookback_scan_determinismE0ELb1ES3_N6thrust23THRUST_200600_302600_NS6detail15normal_iteratorINS9_10device_ptrIxEEEESE_SE_xNS9_4plusIxEE19head_flag_predicatexEE10hipError_tPvRmT2_T3_T4_T5_mT6_T7_P12ihipStream_tbENKUlT_T0_E_clISt17integral_constantIbLb0EESX_IbLb1EEEEDaST_SU_EUlST_E_NS1_11comp_targetILNS1_3genE10ELNS1_11target_archE1200ELNS1_3gpuE4ELNS1_3repE0EEENS1_30default_config_static_selectorELNS0_4arch9wavefront6targetE1EEEvT1_,comdat
.Lfunc_end746:
	.size	_ZN7rocprim17ROCPRIM_400000_NS6detail17trampoline_kernelINS0_14default_configENS1_27scan_by_key_config_selectorIxxEEZZNS1_16scan_by_key_implILNS1_25lookback_scan_determinismE0ELb1ES3_N6thrust23THRUST_200600_302600_NS6detail15normal_iteratorINS9_10device_ptrIxEEEESE_SE_xNS9_4plusIxEE19head_flag_predicatexEE10hipError_tPvRmT2_T3_T4_T5_mT6_T7_P12ihipStream_tbENKUlT_T0_E_clISt17integral_constantIbLb0EESX_IbLb1EEEEDaST_SU_EUlST_E_NS1_11comp_targetILNS1_3genE10ELNS1_11target_archE1200ELNS1_3gpuE4ELNS1_3repE0EEENS1_30default_config_static_selectorELNS0_4arch9wavefront6targetE1EEEvT1_, .Lfunc_end746-_ZN7rocprim17ROCPRIM_400000_NS6detail17trampoline_kernelINS0_14default_configENS1_27scan_by_key_config_selectorIxxEEZZNS1_16scan_by_key_implILNS1_25lookback_scan_determinismE0ELb1ES3_N6thrust23THRUST_200600_302600_NS6detail15normal_iteratorINS9_10device_ptrIxEEEESE_SE_xNS9_4plusIxEE19head_flag_predicatexEE10hipError_tPvRmT2_T3_T4_T5_mT6_T7_P12ihipStream_tbENKUlT_T0_E_clISt17integral_constantIbLb0EESX_IbLb1EEEEDaST_SU_EUlST_E_NS1_11comp_targetILNS1_3genE10ELNS1_11target_archE1200ELNS1_3gpuE4ELNS1_3repE0EEENS1_30default_config_static_selectorELNS0_4arch9wavefront6targetE1EEEvT1_
                                        ; -- End function
	.section	.AMDGPU.csdata,"",@progbits
; Kernel info:
; codeLenInByte = 0
; NumSgprs: 4
; NumVgprs: 0
; NumAgprs: 0
; TotalNumVgprs: 0
; ScratchSize: 0
; MemoryBound: 0
; FloatMode: 240
; IeeeMode: 1
; LDSByteSize: 0 bytes/workgroup (compile time only)
; SGPRBlocks: 0
; VGPRBlocks: 0
; NumSGPRsForWavesPerEU: 4
; NumVGPRsForWavesPerEU: 1
; AccumOffset: 4
; Occupancy: 8
; WaveLimiterHint : 0
; COMPUTE_PGM_RSRC2:SCRATCH_EN: 0
; COMPUTE_PGM_RSRC2:USER_SGPR: 6
; COMPUTE_PGM_RSRC2:TRAP_HANDLER: 0
; COMPUTE_PGM_RSRC2:TGID_X_EN: 1
; COMPUTE_PGM_RSRC2:TGID_Y_EN: 0
; COMPUTE_PGM_RSRC2:TGID_Z_EN: 0
; COMPUTE_PGM_RSRC2:TIDIG_COMP_CNT: 0
; COMPUTE_PGM_RSRC3_GFX90A:ACCUM_OFFSET: 0
; COMPUTE_PGM_RSRC3_GFX90A:TG_SPLIT: 0
	.section	.text._ZN7rocprim17ROCPRIM_400000_NS6detail17trampoline_kernelINS0_14default_configENS1_27scan_by_key_config_selectorIxxEEZZNS1_16scan_by_key_implILNS1_25lookback_scan_determinismE0ELb1ES3_N6thrust23THRUST_200600_302600_NS6detail15normal_iteratorINS9_10device_ptrIxEEEESE_SE_xNS9_4plusIxEE19head_flag_predicatexEE10hipError_tPvRmT2_T3_T4_T5_mT6_T7_P12ihipStream_tbENKUlT_T0_E_clISt17integral_constantIbLb0EESX_IbLb1EEEEDaST_SU_EUlST_E_NS1_11comp_targetILNS1_3genE9ELNS1_11target_archE1100ELNS1_3gpuE3ELNS1_3repE0EEENS1_30default_config_static_selectorELNS0_4arch9wavefront6targetE1EEEvT1_,"axG",@progbits,_ZN7rocprim17ROCPRIM_400000_NS6detail17trampoline_kernelINS0_14default_configENS1_27scan_by_key_config_selectorIxxEEZZNS1_16scan_by_key_implILNS1_25lookback_scan_determinismE0ELb1ES3_N6thrust23THRUST_200600_302600_NS6detail15normal_iteratorINS9_10device_ptrIxEEEESE_SE_xNS9_4plusIxEE19head_flag_predicatexEE10hipError_tPvRmT2_T3_T4_T5_mT6_T7_P12ihipStream_tbENKUlT_T0_E_clISt17integral_constantIbLb0EESX_IbLb1EEEEDaST_SU_EUlST_E_NS1_11comp_targetILNS1_3genE9ELNS1_11target_archE1100ELNS1_3gpuE3ELNS1_3repE0EEENS1_30default_config_static_selectorELNS0_4arch9wavefront6targetE1EEEvT1_,comdat
	.protected	_ZN7rocprim17ROCPRIM_400000_NS6detail17trampoline_kernelINS0_14default_configENS1_27scan_by_key_config_selectorIxxEEZZNS1_16scan_by_key_implILNS1_25lookback_scan_determinismE0ELb1ES3_N6thrust23THRUST_200600_302600_NS6detail15normal_iteratorINS9_10device_ptrIxEEEESE_SE_xNS9_4plusIxEE19head_flag_predicatexEE10hipError_tPvRmT2_T3_T4_T5_mT6_T7_P12ihipStream_tbENKUlT_T0_E_clISt17integral_constantIbLb0EESX_IbLb1EEEEDaST_SU_EUlST_E_NS1_11comp_targetILNS1_3genE9ELNS1_11target_archE1100ELNS1_3gpuE3ELNS1_3repE0EEENS1_30default_config_static_selectorELNS0_4arch9wavefront6targetE1EEEvT1_ ; -- Begin function _ZN7rocprim17ROCPRIM_400000_NS6detail17trampoline_kernelINS0_14default_configENS1_27scan_by_key_config_selectorIxxEEZZNS1_16scan_by_key_implILNS1_25lookback_scan_determinismE0ELb1ES3_N6thrust23THRUST_200600_302600_NS6detail15normal_iteratorINS9_10device_ptrIxEEEESE_SE_xNS9_4plusIxEE19head_flag_predicatexEE10hipError_tPvRmT2_T3_T4_T5_mT6_T7_P12ihipStream_tbENKUlT_T0_E_clISt17integral_constantIbLb0EESX_IbLb1EEEEDaST_SU_EUlST_E_NS1_11comp_targetILNS1_3genE9ELNS1_11target_archE1100ELNS1_3gpuE3ELNS1_3repE0EEENS1_30default_config_static_selectorELNS0_4arch9wavefront6targetE1EEEvT1_
	.globl	_ZN7rocprim17ROCPRIM_400000_NS6detail17trampoline_kernelINS0_14default_configENS1_27scan_by_key_config_selectorIxxEEZZNS1_16scan_by_key_implILNS1_25lookback_scan_determinismE0ELb1ES3_N6thrust23THRUST_200600_302600_NS6detail15normal_iteratorINS9_10device_ptrIxEEEESE_SE_xNS9_4plusIxEE19head_flag_predicatexEE10hipError_tPvRmT2_T3_T4_T5_mT6_T7_P12ihipStream_tbENKUlT_T0_E_clISt17integral_constantIbLb0EESX_IbLb1EEEEDaST_SU_EUlST_E_NS1_11comp_targetILNS1_3genE9ELNS1_11target_archE1100ELNS1_3gpuE3ELNS1_3repE0EEENS1_30default_config_static_selectorELNS0_4arch9wavefront6targetE1EEEvT1_
	.p2align	8
	.type	_ZN7rocprim17ROCPRIM_400000_NS6detail17trampoline_kernelINS0_14default_configENS1_27scan_by_key_config_selectorIxxEEZZNS1_16scan_by_key_implILNS1_25lookback_scan_determinismE0ELb1ES3_N6thrust23THRUST_200600_302600_NS6detail15normal_iteratorINS9_10device_ptrIxEEEESE_SE_xNS9_4plusIxEE19head_flag_predicatexEE10hipError_tPvRmT2_T3_T4_T5_mT6_T7_P12ihipStream_tbENKUlT_T0_E_clISt17integral_constantIbLb0EESX_IbLb1EEEEDaST_SU_EUlST_E_NS1_11comp_targetILNS1_3genE9ELNS1_11target_archE1100ELNS1_3gpuE3ELNS1_3repE0EEENS1_30default_config_static_selectorELNS0_4arch9wavefront6targetE1EEEvT1_,@function
_ZN7rocprim17ROCPRIM_400000_NS6detail17trampoline_kernelINS0_14default_configENS1_27scan_by_key_config_selectorIxxEEZZNS1_16scan_by_key_implILNS1_25lookback_scan_determinismE0ELb1ES3_N6thrust23THRUST_200600_302600_NS6detail15normal_iteratorINS9_10device_ptrIxEEEESE_SE_xNS9_4plusIxEE19head_flag_predicatexEE10hipError_tPvRmT2_T3_T4_T5_mT6_T7_P12ihipStream_tbENKUlT_T0_E_clISt17integral_constantIbLb0EESX_IbLb1EEEEDaST_SU_EUlST_E_NS1_11comp_targetILNS1_3genE9ELNS1_11target_archE1100ELNS1_3gpuE3ELNS1_3repE0EEENS1_30default_config_static_selectorELNS0_4arch9wavefront6targetE1EEEvT1_: ; @_ZN7rocprim17ROCPRIM_400000_NS6detail17trampoline_kernelINS0_14default_configENS1_27scan_by_key_config_selectorIxxEEZZNS1_16scan_by_key_implILNS1_25lookback_scan_determinismE0ELb1ES3_N6thrust23THRUST_200600_302600_NS6detail15normal_iteratorINS9_10device_ptrIxEEEESE_SE_xNS9_4plusIxEE19head_flag_predicatexEE10hipError_tPvRmT2_T3_T4_T5_mT6_T7_P12ihipStream_tbENKUlT_T0_E_clISt17integral_constantIbLb0EESX_IbLb1EEEEDaST_SU_EUlST_E_NS1_11comp_targetILNS1_3genE9ELNS1_11target_archE1100ELNS1_3gpuE3ELNS1_3repE0EEENS1_30default_config_static_selectorELNS0_4arch9wavefront6targetE1EEEvT1_
; %bb.0:
	.section	.rodata,"a",@progbits
	.p2align	6, 0x0
	.amdhsa_kernel _ZN7rocprim17ROCPRIM_400000_NS6detail17trampoline_kernelINS0_14default_configENS1_27scan_by_key_config_selectorIxxEEZZNS1_16scan_by_key_implILNS1_25lookback_scan_determinismE0ELb1ES3_N6thrust23THRUST_200600_302600_NS6detail15normal_iteratorINS9_10device_ptrIxEEEESE_SE_xNS9_4plusIxEE19head_flag_predicatexEE10hipError_tPvRmT2_T3_T4_T5_mT6_T7_P12ihipStream_tbENKUlT_T0_E_clISt17integral_constantIbLb0EESX_IbLb1EEEEDaST_SU_EUlST_E_NS1_11comp_targetILNS1_3genE9ELNS1_11target_archE1100ELNS1_3gpuE3ELNS1_3repE0EEENS1_30default_config_static_selectorELNS0_4arch9wavefront6targetE1EEEvT1_
		.amdhsa_group_segment_fixed_size 0
		.amdhsa_private_segment_fixed_size 0
		.amdhsa_kernarg_size 136
		.amdhsa_user_sgpr_count 6
		.amdhsa_user_sgpr_private_segment_buffer 1
		.amdhsa_user_sgpr_dispatch_ptr 0
		.amdhsa_user_sgpr_queue_ptr 0
		.amdhsa_user_sgpr_kernarg_segment_ptr 1
		.amdhsa_user_sgpr_dispatch_id 0
		.amdhsa_user_sgpr_flat_scratch_init 0
		.amdhsa_user_sgpr_kernarg_preload_length 0
		.amdhsa_user_sgpr_kernarg_preload_offset 0
		.amdhsa_user_sgpr_private_segment_size 0
		.amdhsa_uses_dynamic_stack 0
		.amdhsa_system_sgpr_private_segment_wavefront_offset 0
		.amdhsa_system_sgpr_workgroup_id_x 1
		.amdhsa_system_sgpr_workgroup_id_y 0
		.amdhsa_system_sgpr_workgroup_id_z 0
		.amdhsa_system_sgpr_workgroup_info 0
		.amdhsa_system_vgpr_workitem_id 0
		.amdhsa_next_free_vgpr 1
		.amdhsa_next_free_sgpr 0
		.amdhsa_accum_offset 4
		.amdhsa_reserve_vcc 0
		.amdhsa_reserve_flat_scratch 0
		.amdhsa_float_round_mode_32 0
		.amdhsa_float_round_mode_16_64 0
		.amdhsa_float_denorm_mode_32 3
		.amdhsa_float_denorm_mode_16_64 3
		.amdhsa_dx10_clamp 1
		.amdhsa_ieee_mode 1
		.amdhsa_fp16_overflow 0
		.amdhsa_tg_split 0
		.amdhsa_exception_fp_ieee_invalid_op 0
		.amdhsa_exception_fp_denorm_src 0
		.amdhsa_exception_fp_ieee_div_zero 0
		.amdhsa_exception_fp_ieee_overflow 0
		.amdhsa_exception_fp_ieee_underflow 0
		.amdhsa_exception_fp_ieee_inexact 0
		.amdhsa_exception_int_div_zero 0
	.end_amdhsa_kernel
	.section	.text._ZN7rocprim17ROCPRIM_400000_NS6detail17trampoline_kernelINS0_14default_configENS1_27scan_by_key_config_selectorIxxEEZZNS1_16scan_by_key_implILNS1_25lookback_scan_determinismE0ELb1ES3_N6thrust23THRUST_200600_302600_NS6detail15normal_iteratorINS9_10device_ptrIxEEEESE_SE_xNS9_4plusIxEE19head_flag_predicatexEE10hipError_tPvRmT2_T3_T4_T5_mT6_T7_P12ihipStream_tbENKUlT_T0_E_clISt17integral_constantIbLb0EESX_IbLb1EEEEDaST_SU_EUlST_E_NS1_11comp_targetILNS1_3genE9ELNS1_11target_archE1100ELNS1_3gpuE3ELNS1_3repE0EEENS1_30default_config_static_selectorELNS0_4arch9wavefront6targetE1EEEvT1_,"axG",@progbits,_ZN7rocprim17ROCPRIM_400000_NS6detail17trampoline_kernelINS0_14default_configENS1_27scan_by_key_config_selectorIxxEEZZNS1_16scan_by_key_implILNS1_25lookback_scan_determinismE0ELb1ES3_N6thrust23THRUST_200600_302600_NS6detail15normal_iteratorINS9_10device_ptrIxEEEESE_SE_xNS9_4plusIxEE19head_flag_predicatexEE10hipError_tPvRmT2_T3_T4_T5_mT6_T7_P12ihipStream_tbENKUlT_T0_E_clISt17integral_constantIbLb0EESX_IbLb1EEEEDaST_SU_EUlST_E_NS1_11comp_targetILNS1_3genE9ELNS1_11target_archE1100ELNS1_3gpuE3ELNS1_3repE0EEENS1_30default_config_static_selectorELNS0_4arch9wavefront6targetE1EEEvT1_,comdat
.Lfunc_end747:
	.size	_ZN7rocprim17ROCPRIM_400000_NS6detail17trampoline_kernelINS0_14default_configENS1_27scan_by_key_config_selectorIxxEEZZNS1_16scan_by_key_implILNS1_25lookback_scan_determinismE0ELb1ES3_N6thrust23THRUST_200600_302600_NS6detail15normal_iteratorINS9_10device_ptrIxEEEESE_SE_xNS9_4plusIxEE19head_flag_predicatexEE10hipError_tPvRmT2_T3_T4_T5_mT6_T7_P12ihipStream_tbENKUlT_T0_E_clISt17integral_constantIbLb0EESX_IbLb1EEEEDaST_SU_EUlST_E_NS1_11comp_targetILNS1_3genE9ELNS1_11target_archE1100ELNS1_3gpuE3ELNS1_3repE0EEENS1_30default_config_static_selectorELNS0_4arch9wavefront6targetE1EEEvT1_, .Lfunc_end747-_ZN7rocprim17ROCPRIM_400000_NS6detail17trampoline_kernelINS0_14default_configENS1_27scan_by_key_config_selectorIxxEEZZNS1_16scan_by_key_implILNS1_25lookback_scan_determinismE0ELb1ES3_N6thrust23THRUST_200600_302600_NS6detail15normal_iteratorINS9_10device_ptrIxEEEESE_SE_xNS9_4plusIxEE19head_flag_predicatexEE10hipError_tPvRmT2_T3_T4_T5_mT6_T7_P12ihipStream_tbENKUlT_T0_E_clISt17integral_constantIbLb0EESX_IbLb1EEEEDaST_SU_EUlST_E_NS1_11comp_targetILNS1_3genE9ELNS1_11target_archE1100ELNS1_3gpuE3ELNS1_3repE0EEENS1_30default_config_static_selectorELNS0_4arch9wavefront6targetE1EEEvT1_
                                        ; -- End function
	.section	.AMDGPU.csdata,"",@progbits
; Kernel info:
; codeLenInByte = 0
; NumSgprs: 4
; NumVgprs: 0
; NumAgprs: 0
; TotalNumVgprs: 0
; ScratchSize: 0
; MemoryBound: 0
; FloatMode: 240
; IeeeMode: 1
; LDSByteSize: 0 bytes/workgroup (compile time only)
; SGPRBlocks: 0
; VGPRBlocks: 0
; NumSGPRsForWavesPerEU: 4
; NumVGPRsForWavesPerEU: 1
; AccumOffset: 4
; Occupancy: 8
; WaveLimiterHint : 0
; COMPUTE_PGM_RSRC2:SCRATCH_EN: 0
; COMPUTE_PGM_RSRC2:USER_SGPR: 6
; COMPUTE_PGM_RSRC2:TRAP_HANDLER: 0
; COMPUTE_PGM_RSRC2:TGID_X_EN: 1
; COMPUTE_PGM_RSRC2:TGID_Y_EN: 0
; COMPUTE_PGM_RSRC2:TGID_Z_EN: 0
; COMPUTE_PGM_RSRC2:TIDIG_COMP_CNT: 0
; COMPUTE_PGM_RSRC3_GFX90A:ACCUM_OFFSET: 0
; COMPUTE_PGM_RSRC3_GFX90A:TG_SPLIT: 0
	.section	.text._ZN7rocprim17ROCPRIM_400000_NS6detail17trampoline_kernelINS0_14default_configENS1_27scan_by_key_config_selectorIxxEEZZNS1_16scan_by_key_implILNS1_25lookback_scan_determinismE0ELb1ES3_N6thrust23THRUST_200600_302600_NS6detail15normal_iteratorINS9_10device_ptrIxEEEESE_SE_xNS9_4plusIxEE19head_flag_predicatexEE10hipError_tPvRmT2_T3_T4_T5_mT6_T7_P12ihipStream_tbENKUlT_T0_E_clISt17integral_constantIbLb0EESX_IbLb1EEEEDaST_SU_EUlST_E_NS1_11comp_targetILNS1_3genE8ELNS1_11target_archE1030ELNS1_3gpuE2ELNS1_3repE0EEENS1_30default_config_static_selectorELNS0_4arch9wavefront6targetE1EEEvT1_,"axG",@progbits,_ZN7rocprim17ROCPRIM_400000_NS6detail17trampoline_kernelINS0_14default_configENS1_27scan_by_key_config_selectorIxxEEZZNS1_16scan_by_key_implILNS1_25lookback_scan_determinismE0ELb1ES3_N6thrust23THRUST_200600_302600_NS6detail15normal_iteratorINS9_10device_ptrIxEEEESE_SE_xNS9_4plusIxEE19head_flag_predicatexEE10hipError_tPvRmT2_T3_T4_T5_mT6_T7_P12ihipStream_tbENKUlT_T0_E_clISt17integral_constantIbLb0EESX_IbLb1EEEEDaST_SU_EUlST_E_NS1_11comp_targetILNS1_3genE8ELNS1_11target_archE1030ELNS1_3gpuE2ELNS1_3repE0EEENS1_30default_config_static_selectorELNS0_4arch9wavefront6targetE1EEEvT1_,comdat
	.protected	_ZN7rocprim17ROCPRIM_400000_NS6detail17trampoline_kernelINS0_14default_configENS1_27scan_by_key_config_selectorIxxEEZZNS1_16scan_by_key_implILNS1_25lookback_scan_determinismE0ELb1ES3_N6thrust23THRUST_200600_302600_NS6detail15normal_iteratorINS9_10device_ptrIxEEEESE_SE_xNS9_4plusIxEE19head_flag_predicatexEE10hipError_tPvRmT2_T3_T4_T5_mT6_T7_P12ihipStream_tbENKUlT_T0_E_clISt17integral_constantIbLb0EESX_IbLb1EEEEDaST_SU_EUlST_E_NS1_11comp_targetILNS1_3genE8ELNS1_11target_archE1030ELNS1_3gpuE2ELNS1_3repE0EEENS1_30default_config_static_selectorELNS0_4arch9wavefront6targetE1EEEvT1_ ; -- Begin function _ZN7rocprim17ROCPRIM_400000_NS6detail17trampoline_kernelINS0_14default_configENS1_27scan_by_key_config_selectorIxxEEZZNS1_16scan_by_key_implILNS1_25lookback_scan_determinismE0ELb1ES3_N6thrust23THRUST_200600_302600_NS6detail15normal_iteratorINS9_10device_ptrIxEEEESE_SE_xNS9_4plusIxEE19head_flag_predicatexEE10hipError_tPvRmT2_T3_T4_T5_mT6_T7_P12ihipStream_tbENKUlT_T0_E_clISt17integral_constantIbLb0EESX_IbLb1EEEEDaST_SU_EUlST_E_NS1_11comp_targetILNS1_3genE8ELNS1_11target_archE1030ELNS1_3gpuE2ELNS1_3repE0EEENS1_30default_config_static_selectorELNS0_4arch9wavefront6targetE1EEEvT1_
	.globl	_ZN7rocprim17ROCPRIM_400000_NS6detail17trampoline_kernelINS0_14default_configENS1_27scan_by_key_config_selectorIxxEEZZNS1_16scan_by_key_implILNS1_25lookback_scan_determinismE0ELb1ES3_N6thrust23THRUST_200600_302600_NS6detail15normal_iteratorINS9_10device_ptrIxEEEESE_SE_xNS9_4plusIxEE19head_flag_predicatexEE10hipError_tPvRmT2_T3_T4_T5_mT6_T7_P12ihipStream_tbENKUlT_T0_E_clISt17integral_constantIbLb0EESX_IbLb1EEEEDaST_SU_EUlST_E_NS1_11comp_targetILNS1_3genE8ELNS1_11target_archE1030ELNS1_3gpuE2ELNS1_3repE0EEENS1_30default_config_static_selectorELNS0_4arch9wavefront6targetE1EEEvT1_
	.p2align	8
	.type	_ZN7rocprim17ROCPRIM_400000_NS6detail17trampoline_kernelINS0_14default_configENS1_27scan_by_key_config_selectorIxxEEZZNS1_16scan_by_key_implILNS1_25lookback_scan_determinismE0ELb1ES3_N6thrust23THRUST_200600_302600_NS6detail15normal_iteratorINS9_10device_ptrIxEEEESE_SE_xNS9_4plusIxEE19head_flag_predicatexEE10hipError_tPvRmT2_T3_T4_T5_mT6_T7_P12ihipStream_tbENKUlT_T0_E_clISt17integral_constantIbLb0EESX_IbLb1EEEEDaST_SU_EUlST_E_NS1_11comp_targetILNS1_3genE8ELNS1_11target_archE1030ELNS1_3gpuE2ELNS1_3repE0EEENS1_30default_config_static_selectorELNS0_4arch9wavefront6targetE1EEEvT1_,@function
_ZN7rocprim17ROCPRIM_400000_NS6detail17trampoline_kernelINS0_14default_configENS1_27scan_by_key_config_selectorIxxEEZZNS1_16scan_by_key_implILNS1_25lookback_scan_determinismE0ELb1ES3_N6thrust23THRUST_200600_302600_NS6detail15normal_iteratorINS9_10device_ptrIxEEEESE_SE_xNS9_4plusIxEE19head_flag_predicatexEE10hipError_tPvRmT2_T3_T4_T5_mT6_T7_P12ihipStream_tbENKUlT_T0_E_clISt17integral_constantIbLb0EESX_IbLb1EEEEDaST_SU_EUlST_E_NS1_11comp_targetILNS1_3genE8ELNS1_11target_archE1030ELNS1_3gpuE2ELNS1_3repE0EEENS1_30default_config_static_selectorELNS0_4arch9wavefront6targetE1EEEvT1_: ; @_ZN7rocprim17ROCPRIM_400000_NS6detail17trampoline_kernelINS0_14default_configENS1_27scan_by_key_config_selectorIxxEEZZNS1_16scan_by_key_implILNS1_25lookback_scan_determinismE0ELb1ES3_N6thrust23THRUST_200600_302600_NS6detail15normal_iteratorINS9_10device_ptrIxEEEESE_SE_xNS9_4plusIxEE19head_flag_predicatexEE10hipError_tPvRmT2_T3_T4_T5_mT6_T7_P12ihipStream_tbENKUlT_T0_E_clISt17integral_constantIbLb0EESX_IbLb1EEEEDaST_SU_EUlST_E_NS1_11comp_targetILNS1_3genE8ELNS1_11target_archE1030ELNS1_3gpuE2ELNS1_3repE0EEENS1_30default_config_static_selectorELNS0_4arch9wavefront6targetE1EEEvT1_
; %bb.0:
	.section	.rodata,"a",@progbits
	.p2align	6, 0x0
	.amdhsa_kernel _ZN7rocprim17ROCPRIM_400000_NS6detail17trampoline_kernelINS0_14default_configENS1_27scan_by_key_config_selectorIxxEEZZNS1_16scan_by_key_implILNS1_25lookback_scan_determinismE0ELb1ES3_N6thrust23THRUST_200600_302600_NS6detail15normal_iteratorINS9_10device_ptrIxEEEESE_SE_xNS9_4plusIxEE19head_flag_predicatexEE10hipError_tPvRmT2_T3_T4_T5_mT6_T7_P12ihipStream_tbENKUlT_T0_E_clISt17integral_constantIbLb0EESX_IbLb1EEEEDaST_SU_EUlST_E_NS1_11comp_targetILNS1_3genE8ELNS1_11target_archE1030ELNS1_3gpuE2ELNS1_3repE0EEENS1_30default_config_static_selectorELNS0_4arch9wavefront6targetE1EEEvT1_
		.amdhsa_group_segment_fixed_size 0
		.amdhsa_private_segment_fixed_size 0
		.amdhsa_kernarg_size 136
		.amdhsa_user_sgpr_count 6
		.amdhsa_user_sgpr_private_segment_buffer 1
		.amdhsa_user_sgpr_dispatch_ptr 0
		.amdhsa_user_sgpr_queue_ptr 0
		.amdhsa_user_sgpr_kernarg_segment_ptr 1
		.amdhsa_user_sgpr_dispatch_id 0
		.amdhsa_user_sgpr_flat_scratch_init 0
		.amdhsa_user_sgpr_kernarg_preload_length 0
		.amdhsa_user_sgpr_kernarg_preload_offset 0
		.amdhsa_user_sgpr_private_segment_size 0
		.amdhsa_uses_dynamic_stack 0
		.amdhsa_system_sgpr_private_segment_wavefront_offset 0
		.amdhsa_system_sgpr_workgroup_id_x 1
		.amdhsa_system_sgpr_workgroup_id_y 0
		.amdhsa_system_sgpr_workgroup_id_z 0
		.amdhsa_system_sgpr_workgroup_info 0
		.amdhsa_system_vgpr_workitem_id 0
		.amdhsa_next_free_vgpr 1
		.amdhsa_next_free_sgpr 0
		.amdhsa_accum_offset 4
		.amdhsa_reserve_vcc 0
		.amdhsa_reserve_flat_scratch 0
		.amdhsa_float_round_mode_32 0
		.amdhsa_float_round_mode_16_64 0
		.amdhsa_float_denorm_mode_32 3
		.amdhsa_float_denorm_mode_16_64 3
		.amdhsa_dx10_clamp 1
		.amdhsa_ieee_mode 1
		.amdhsa_fp16_overflow 0
		.amdhsa_tg_split 0
		.amdhsa_exception_fp_ieee_invalid_op 0
		.amdhsa_exception_fp_denorm_src 0
		.amdhsa_exception_fp_ieee_div_zero 0
		.amdhsa_exception_fp_ieee_overflow 0
		.amdhsa_exception_fp_ieee_underflow 0
		.amdhsa_exception_fp_ieee_inexact 0
		.amdhsa_exception_int_div_zero 0
	.end_amdhsa_kernel
	.section	.text._ZN7rocprim17ROCPRIM_400000_NS6detail17trampoline_kernelINS0_14default_configENS1_27scan_by_key_config_selectorIxxEEZZNS1_16scan_by_key_implILNS1_25lookback_scan_determinismE0ELb1ES3_N6thrust23THRUST_200600_302600_NS6detail15normal_iteratorINS9_10device_ptrIxEEEESE_SE_xNS9_4plusIxEE19head_flag_predicatexEE10hipError_tPvRmT2_T3_T4_T5_mT6_T7_P12ihipStream_tbENKUlT_T0_E_clISt17integral_constantIbLb0EESX_IbLb1EEEEDaST_SU_EUlST_E_NS1_11comp_targetILNS1_3genE8ELNS1_11target_archE1030ELNS1_3gpuE2ELNS1_3repE0EEENS1_30default_config_static_selectorELNS0_4arch9wavefront6targetE1EEEvT1_,"axG",@progbits,_ZN7rocprim17ROCPRIM_400000_NS6detail17trampoline_kernelINS0_14default_configENS1_27scan_by_key_config_selectorIxxEEZZNS1_16scan_by_key_implILNS1_25lookback_scan_determinismE0ELb1ES3_N6thrust23THRUST_200600_302600_NS6detail15normal_iteratorINS9_10device_ptrIxEEEESE_SE_xNS9_4plusIxEE19head_flag_predicatexEE10hipError_tPvRmT2_T3_T4_T5_mT6_T7_P12ihipStream_tbENKUlT_T0_E_clISt17integral_constantIbLb0EESX_IbLb1EEEEDaST_SU_EUlST_E_NS1_11comp_targetILNS1_3genE8ELNS1_11target_archE1030ELNS1_3gpuE2ELNS1_3repE0EEENS1_30default_config_static_selectorELNS0_4arch9wavefront6targetE1EEEvT1_,comdat
.Lfunc_end748:
	.size	_ZN7rocprim17ROCPRIM_400000_NS6detail17trampoline_kernelINS0_14default_configENS1_27scan_by_key_config_selectorIxxEEZZNS1_16scan_by_key_implILNS1_25lookback_scan_determinismE0ELb1ES3_N6thrust23THRUST_200600_302600_NS6detail15normal_iteratorINS9_10device_ptrIxEEEESE_SE_xNS9_4plusIxEE19head_flag_predicatexEE10hipError_tPvRmT2_T3_T4_T5_mT6_T7_P12ihipStream_tbENKUlT_T0_E_clISt17integral_constantIbLb0EESX_IbLb1EEEEDaST_SU_EUlST_E_NS1_11comp_targetILNS1_3genE8ELNS1_11target_archE1030ELNS1_3gpuE2ELNS1_3repE0EEENS1_30default_config_static_selectorELNS0_4arch9wavefront6targetE1EEEvT1_, .Lfunc_end748-_ZN7rocprim17ROCPRIM_400000_NS6detail17trampoline_kernelINS0_14default_configENS1_27scan_by_key_config_selectorIxxEEZZNS1_16scan_by_key_implILNS1_25lookback_scan_determinismE0ELb1ES3_N6thrust23THRUST_200600_302600_NS6detail15normal_iteratorINS9_10device_ptrIxEEEESE_SE_xNS9_4plusIxEE19head_flag_predicatexEE10hipError_tPvRmT2_T3_T4_T5_mT6_T7_P12ihipStream_tbENKUlT_T0_E_clISt17integral_constantIbLb0EESX_IbLb1EEEEDaST_SU_EUlST_E_NS1_11comp_targetILNS1_3genE8ELNS1_11target_archE1030ELNS1_3gpuE2ELNS1_3repE0EEENS1_30default_config_static_selectorELNS0_4arch9wavefront6targetE1EEEvT1_
                                        ; -- End function
	.section	.AMDGPU.csdata,"",@progbits
; Kernel info:
; codeLenInByte = 0
; NumSgprs: 4
; NumVgprs: 0
; NumAgprs: 0
; TotalNumVgprs: 0
; ScratchSize: 0
; MemoryBound: 0
; FloatMode: 240
; IeeeMode: 1
; LDSByteSize: 0 bytes/workgroup (compile time only)
; SGPRBlocks: 0
; VGPRBlocks: 0
; NumSGPRsForWavesPerEU: 4
; NumVGPRsForWavesPerEU: 1
; AccumOffset: 4
; Occupancy: 8
; WaveLimiterHint : 0
; COMPUTE_PGM_RSRC2:SCRATCH_EN: 0
; COMPUTE_PGM_RSRC2:USER_SGPR: 6
; COMPUTE_PGM_RSRC2:TRAP_HANDLER: 0
; COMPUTE_PGM_RSRC2:TGID_X_EN: 1
; COMPUTE_PGM_RSRC2:TGID_Y_EN: 0
; COMPUTE_PGM_RSRC2:TGID_Z_EN: 0
; COMPUTE_PGM_RSRC2:TIDIG_COMP_CNT: 0
; COMPUTE_PGM_RSRC3_GFX90A:ACCUM_OFFSET: 0
; COMPUTE_PGM_RSRC3_GFX90A:TG_SPLIT: 0
	.section	.text._ZN7rocprim17ROCPRIM_400000_NS6detail17trampoline_kernelINS0_14default_configENS1_27scan_by_key_config_selectorIiiEEZZNS1_16scan_by_key_implILNS1_25lookback_scan_determinismE0ELb0ES3_N6thrust23THRUST_200600_302600_NS6detail15normal_iteratorINS9_10device_ptrIiEEEESE_SE_iNS9_4plusIiEE19head_flag_predicateiEE10hipError_tPvRmT2_T3_T4_T5_mT6_T7_P12ihipStream_tbENKUlT_T0_E_clISt17integral_constantIbLb0EESY_EEDaST_SU_EUlST_E_NS1_11comp_targetILNS1_3genE0ELNS1_11target_archE4294967295ELNS1_3gpuE0ELNS1_3repE0EEENS1_30default_config_static_selectorELNS0_4arch9wavefront6targetE1EEEvT1_,"axG",@progbits,_ZN7rocprim17ROCPRIM_400000_NS6detail17trampoline_kernelINS0_14default_configENS1_27scan_by_key_config_selectorIiiEEZZNS1_16scan_by_key_implILNS1_25lookback_scan_determinismE0ELb0ES3_N6thrust23THRUST_200600_302600_NS6detail15normal_iteratorINS9_10device_ptrIiEEEESE_SE_iNS9_4plusIiEE19head_flag_predicateiEE10hipError_tPvRmT2_T3_T4_T5_mT6_T7_P12ihipStream_tbENKUlT_T0_E_clISt17integral_constantIbLb0EESY_EEDaST_SU_EUlST_E_NS1_11comp_targetILNS1_3genE0ELNS1_11target_archE4294967295ELNS1_3gpuE0ELNS1_3repE0EEENS1_30default_config_static_selectorELNS0_4arch9wavefront6targetE1EEEvT1_,comdat
	.protected	_ZN7rocprim17ROCPRIM_400000_NS6detail17trampoline_kernelINS0_14default_configENS1_27scan_by_key_config_selectorIiiEEZZNS1_16scan_by_key_implILNS1_25lookback_scan_determinismE0ELb0ES3_N6thrust23THRUST_200600_302600_NS6detail15normal_iteratorINS9_10device_ptrIiEEEESE_SE_iNS9_4plusIiEE19head_flag_predicateiEE10hipError_tPvRmT2_T3_T4_T5_mT6_T7_P12ihipStream_tbENKUlT_T0_E_clISt17integral_constantIbLb0EESY_EEDaST_SU_EUlST_E_NS1_11comp_targetILNS1_3genE0ELNS1_11target_archE4294967295ELNS1_3gpuE0ELNS1_3repE0EEENS1_30default_config_static_selectorELNS0_4arch9wavefront6targetE1EEEvT1_ ; -- Begin function _ZN7rocprim17ROCPRIM_400000_NS6detail17trampoline_kernelINS0_14default_configENS1_27scan_by_key_config_selectorIiiEEZZNS1_16scan_by_key_implILNS1_25lookback_scan_determinismE0ELb0ES3_N6thrust23THRUST_200600_302600_NS6detail15normal_iteratorINS9_10device_ptrIiEEEESE_SE_iNS9_4plusIiEE19head_flag_predicateiEE10hipError_tPvRmT2_T3_T4_T5_mT6_T7_P12ihipStream_tbENKUlT_T0_E_clISt17integral_constantIbLb0EESY_EEDaST_SU_EUlST_E_NS1_11comp_targetILNS1_3genE0ELNS1_11target_archE4294967295ELNS1_3gpuE0ELNS1_3repE0EEENS1_30default_config_static_selectorELNS0_4arch9wavefront6targetE1EEEvT1_
	.globl	_ZN7rocprim17ROCPRIM_400000_NS6detail17trampoline_kernelINS0_14default_configENS1_27scan_by_key_config_selectorIiiEEZZNS1_16scan_by_key_implILNS1_25lookback_scan_determinismE0ELb0ES3_N6thrust23THRUST_200600_302600_NS6detail15normal_iteratorINS9_10device_ptrIiEEEESE_SE_iNS9_4plusIiEE19head_flag_predicateiEE10hipError_tPvRmT2_T3_T4_T5_mT6_T7_P12ihipStream_tbENKUlT_T0_E_clISt17integral_constantIbLb0EESY_EEDaST_SU_EUlST_E_NS1_11comp_targetILNS1_3genE0ELNS1_11target_archE4294967295ELNS1_3gpuE0ELNS1_3repE0EEENS1_30default_config_static_selectorELNS0_4arch9wavefront6targetE1EEEvT1_
	.p2align	8
	.type	_ZN7rocprim17ROCPRIM_400000_NS6detail17trampoline_kernelINS0_14default_configENS1_27scan_by_key_config_selectorIiiEEZZNS1_16scan_by_key_implILNS1_25lookback_scan_determinismE0ELb0ES3_N6thrust23THRUST_200600_302600_NS6detail15normal_iteratorINS9_10device_ptrIiEEEESE_SE_iNS9_4plusIiEE19head_flag_predicateiEE10hipError_tPvRmT2_T3_T4_T5_mT6_T7_P12ihipStream_tbENKUlT_T0_E_clISt17integral_constantIbLb0EESY_EEDaST_SU_EUlST_E_NS1_11comp_targetILNS1_3genE0ELNS1_11target_archE4294967295ELNS1_3gpuE0ELNS1_3repE0EEENS1_30default_config_static_selectorELNS0_4arch9wavefront6targetE1EEEvT1_,@function
_ZN7rocprim17ROCPRIM_400000_NS6detail17trampoline_kernelINS0_14default_configENS1_27scan_by_key_config_selectorIiiEEZZNS1_16scan_by_key_implILNS1_25lookback_scan_determinismE0ELb0ES3_N6thrust23THRUST_200600_302600_NS6detail15normal_iteratorINS9_10device_ptrIiEEEESE_SE_iNS9_4plusIiEE19head_flag_predicateiEE10hipError_tPvRmT2_T3_T4_T5_mT6_T7_P12ihipStream_tbENKUlT_T0_E_clISt17integral_constantIbLb0EESY_EEDaST_SU_EUlST_E_NS1_11comp_targetILNS1_3genE0ELNS1_11target_archE4294967295ELNS1_3gpuE0ELNS1_3repE0EEENS1_30default_config_static_selectorELNS0_4arch9wavefront6targetE1EEEvT1_: ; @_ZN7rocprim17ROCPRIM_400000_NS6detail17trampoline_kernelINS0_14default_configENS1_27scan_by_key_config_selectorIiiEEZZNS1_16scan_by_key_implILNS1_25lookback_scan_determinismE0ELb0ES3_N6thrust23THRUST_200600_302600_NS6detail15normal_iteratorINS9_10device_ptrIiEEEESE_SE_iNS9_4plusIiEE19head_flag_predicateiEE10hipError_tPvRmT2_T3_T4_T5_mT6_T7_P12ihipStream_tbENKUlT_T0_E_clISt17integral_constantIbLb0EESY_EEDaST_SU_EUlST_E_NS1_11comp_targetILNS1_3genE0ELNS1_11target_archE4294967295ELNS1_3gpuE0ELNS1_3repE0EEENS1_30default_config_static_selectorELNS0_4arch9wavefront6targetE1EEEvT1_
; %bb.0:
	.section	.rodata,"a",@progbits
	.p2align	6, 0x0
	.amdhsa_kernel _ZN7rocprim17ROCPRIM_400000_NS6detail17trampoline_kernelINS0_14default_configENS1_27scan_by_key_config_selectorIiiEEZZNS1_16scan_by_key_implILNS1_25lookback_scan_determinismE0ELb0ES3_N6thrust23THRUST_200600_302600_NS6detail15normal_iteratorINS9_10device_ptrIiEEEESE_SE_iNS9_4plusIiEE19head_flag_predicateiEE10hipError_tPvRmT2_T3_T4_T5_mT6_T7_P12ihipStream_tbENKUlT_T0_E_clISt17integral_constantIbLb0EESY_EEDaST_SU_EUlST_E_NS1_11comp_targetILNS1_3genE0ELNS1_11target_archE4294967295ELNS1_3gpuE0ELNS1_3repE0EEENS1_30default_config_static_selectorELNS0_4arch9wavefront6targetE1EEEvT1_
		.amdhsa_group_segment_fixed_size 0
		.amdhsa_private_segment_fixed_size 0
		.amdhsa_kernarg_size 112
		.amdhsa_user_sgpr_count 6
		.amdhsa_user_sgpr_private_segment_buffer 1
		.amdhsa_user_sgpr_dispatch_ptr 0
		.amdhsa_user_sgpr_queue_ptr 0
		.amdhsa_user_sgpr_kernarg_segment_ptr 1
		.amdhsa_user_sgpr_dispatch_id 0
		.amdhsa_user_sgpr_flat_scratch_init 0
		.amdhsa_user_sgpr_kernarg_preload_length 0
		.amdhsa_user_sgpr_kernarg_preload_offset 0
		.amdhsa_user_sgpr_private_segment_size 0
		.amdhsa_uses_dynamic_stack 0
		.amdhsa_system_sgpr_private_segment_wavefront_offset 0
		.amdhsa_system_sgpr_workgroup_id_x 1
		.amdhsa_system_sgpr_workgroup_id_y 0
		.amdhsa_system_sgpr_workgroup_id_z 0
		.amdhsa_system_sgpr_workgroup_info 0
		.amdhsa_system_vgpr_workitem_id 0
		.amdhsa_next_free_vgpr 1
		.amdhsa_next_free_sgpr 0
		.amdhsa_accum_offset 4
		.amdhsa_reserve_vcc 0
		.amdhsa_reserve_flat_scratch 0
		.amdhsa_float_round_mode_32 0
		.amdhsa_float_round_mode_16_64 0
		.amdhsa_float_denorm_mode_32 3
		.amdhsa_float_denorm_mode_16_64 3
		.amdhsa_dx10_clamp 1
		.amdhsa_ieee_mode 1
		.amdhsa_fp16_overflow 0
		.amdhsa_tg_split 0
		.amdhsa_exception_fp_ieee_invalid_op 0
		.amdhsa_exception_fp_denorm_src 0
		.amdhsa_exception_fp_ieee_div_zero 0
		.amdhsa_exception_fp_ieee_overflow 0
		.amdhsa_exception_fp_ieee_underflow 0
		.amdhsa_exception_fp_ieee_inexact 0
		.amdhsa_exception_int_div_zero 0
	.end_amdhsa_kernel
	.section	.text._ZN7rocprim17ROCPRIM_400000_NS6detail17trampoline_kernelINS0_14default_configENS1_27scan_by_key_config_selectorIiiEEZZNS1_16scan_by_key_implILNS1_25lookback_scan_determinismE0ELb0ES3_N6thrust23THRUST_200600_302600_NS6detail15normal_iteratorINS9_10device_ptrIiEEEESE_SE_iNS9_4plusIiEE19head_flag_predicateiEE10hipError_tPvRmT2_T3_T4_T5_mT6_T7_P12ihipStream_tbENKUlT_T0_E_clISt17integral_constantIbLb0EESY_EEDaST_SU_EUlST_E_NS1_11comp_targetILNS1_3genE0ELNS1_11target_archE4294967295ELNS1_3gpuE0ELNS1_3repE0EEENS1_30default_config_static_selectorELNS0_4arch9wavefront6targetE1EEEvT1_,"axG",@progbits,_ZN7rocprim17ROCPRIM_400000_NS6detail17trampoline_kernelINS0_14default_configENS1_27scan_by_key_config_selectorIiiEEZZNS1_16scan_by_key_implILNS1_25lookback_scan_determinismE0ELb0ES3_N6thrust23THRUST_200600_302600_NS6detail15normal_iteratorINS9_10device_ptrIiEEEESE_SE_iNS9_4plusIiEE19head_flag_predicateiEE10hipError_tPvRmT2_T3_T4_T5_mT6_T7_P12ihipStream_tbENKUlT_T0_E_clISt17integral_constantIbLb0EESY_EEDaST_SU_EUlST_E_NS1_11comp_targetILNS1_3genE0ELNS1_11target_archE4294967295ELNS1_3gpuE0ELNS1_3repE0EEENS1_30default_config_static_selectorELNS0_4arch9wavefront6targetE1EEEvT1_,comdat
.Lfunc_end749:
	.size	_ZN7rocprim17ROCPRIM_400000_NS6detail17trampoline_kernelINS0_14default_configENS1_27scan_by_key_config_selectorIiiEEZZNS1_16scan_by_key_implILNS1_25lookback_scan_determinismE0ELb0ES3_N6thrust23THRUST_200600_302600_NS6detail15normal_iteratorINS9_10device_ptrIiEEEESE_SE_iNS9_4plusIiEE19head_flag_predicateiEE10hipError_tPvRmT2_T3_T4_T5_mT6_T7_P12ihipStream_tbENKUlT_T0_E_clISt17integral_constantIbLb0EESY_EEDaST_SU_EUlST_E_NS1_11comp_targetILNS1_3genE0ELNS1_11target_archE4294967295ELNS1_3gpuE0ELNS1_3repE0EEENS1_30default_config_static_selectorELNS0_4arch9wavefront6targetE1EEEvT1_, .Lfunc_end749-_ZN7rocprim17ROCPRIM_400000_NS6detail17trampoline_kernelINS0_14default_configENS1_27scan_by_key_config_selectorIiiEEZZNS1_16scan_by_key_implILNS1_25lookback_scan_determinismE0ELb0ES3_N6thrust23THRUST_200600_302600_NS6detail15normal_iteratorINS9_10device_ptrIiEEEESE_SE_iNS9_4plusIiEE19head_flag_predicateiEE10hipError_tPvRmT2_T3_T4_T5_mT6_T7_P12ihipStream_tbENKUlT_T0_E_clISt17integral_constantIbLb0EESY_EEDaST_SU_EUlST_E_NS1_11comp_targetILNS1_3genE0ELNS1_11target_archE4294967295ELNS1_3gpuE0ELNS1_3repE0EEENS1_30default_config_static_selectorELNS0_4arch9wavefront6targetE1EEEvT1_
                                        ; -- End function
	.section	.AMDGPU.csdata,"",@progbits
; Kernel info:
; codeLenInByte = 0
; NumSgprs: 4
; NumVgprs: 0
; NumAgprs: 0
; TotalNumVgprs: 0
; ScratchSize: 0
; MemoryBound: 0
; FloatMode: 240
; IeeeMode: 1
; LDSByteSize: 0 bytes/workgroup (compile time only)
; SGPRBlocks: 0
; VGPRBlocks: 0
; NumSGPRsForWavesPerEU: 4
; NumVGPRsForWavesPerEU: 1
; AccumOffset: 4
; Occupancy: 8
; WaveLimiterHint : 0
; COMPUTE_PGM_RSRC2:SCRATCH_EN: 0
; COMPUTE_PGM_RSRC2:USER_SGPR: 6
; COMPUTE_PGM_RSRC2:TRAP_HANDLER: 0
; COMPUTE_PGM_RSRC2:TGID_X_EN: 1
; COMPUTE_PGM_RSRC2:TGID_Y_EN: 0
; COMPUTE_PGM_RSRC2:TGID_Z_EN: 0
; COMPUTE_PGM_RSRC2:TIDIG_COMP_CNT: 0
; COMPUTE_PGM_RSRC3_GFX90A:ACCUM_OFFSET: 0
; COMPUTE_PGM_RSRC3_GFX90A:TG_SPLIT: 0
	.section	.text._ZN7rocprim17ROCPRIM_400000_NS6detail17trampoline_kernelINS0_14default_configENS1_27scan_by_key_config_selectorIiiEEZZNS1_16scan_by_key_implILNS1_25lookback_scan_determinismE0ELb0ES3_N6thrust23THRUST_200600_302600_NS6detail15normal_iteratorINS9_10device_ptrIiEEEESE_SE_iNS9_4plusIiEE19head_flag_predicateiEE10hipError_tPvRmT2_T3_T4_T5_mT6_T7_P12ihipStream_tbENKUlT_T0_E_clISt17integral_constantIbLb0EESY_EEDaST_SU_EUlST_E_NS1_11comp_targetILNS1_3genE10ELNS1_11target_archE1201ELNS1_3gpuE5ELNS1_3repE0EEENS1_30default_config_static_selectorELNS0_4arch9wavefront6targetE1EEEvT1_,"axG",@progbits,_ZN7rocprim17ROCPRIM_400000_NS6detail17trampoline_kernelINS0_14default_configENS1_27scan_by_key_config_selectorIiiEEZZNS1_16scan_by_key_implILNS1_25lookback_scan_determinismE0ELb0ES3_N6thrust23THRUST_200600_302600_NS6detail15normal_iteratorINS9_10device_ptrIiEEEESE_SE_iNS9_4plusIiEE19head_flag_predicateiEE10hipError_tPvRmT2_T3_T4_T5_mT6_T7_P12ihipStream_tbENKUlT_T0_E_clISt17integral_constantIbLb0EESY_EEDaST_SU_EUlST_E_NS1_11comp_targetILNS1_3genE10ELNS1_11target_archE1201ELNS1_3gpuE5ELNS1_3repE0EEENS1_30default_config_static_selectorELNS0_4arch9wavefront6targetE1EEEvT1_,comdat
	.protected	_ZN7rocprim17ROCPRIM_400000_NS6detail17trampoline_kernelINS0_14default_configENS1_27scan_by_key_config_selectorIiiEEZZNS1_16scan_by_key_implILNS1_25lookback_scan_determinismE0ELb0ES3_N6thrust23THRUST_200600_302600_NS6detail15normal_iteratorINS9_10device_ptrIiEEEESE_SE_iNS9_4plusIiEE19head_flag_predicateiEE10hipError_tPvRmT2_T3_T4_T5_mT6_T7_P12ihipStream_tbENKUlT_T0_E_clISt17integral_constantIbLb0EESY_EEDaST_SU_EUlST_E_NS1_11comp_targetILNS1_3genE10ELNS1_11target_archE1201ELNS1_3gpuE5ELNS1_3repE0EEENS1_30default_config_static_selectorELNS0_4arch9wavefront6targetE1EEEvT1_ ; -- Begin function _ZN7rocprim17ROCPRIM_400000_NS6detail17trampoline_kernelINS0_14default_configENS1_27scan_by_key_config_selectorIiiEEZZNS1_16scan_by_key_implILNS1_25lookback_scan_determinismE0ELb0ES3_N6thrust23THRUST_200600_302600_NS6detail15normal_iteratorINS9_10device_ptrIiEEEESE_SE_iNS9_4plusIiEE19head_flag_predicateiEE10hipError_tPvRmT2_T3_T4_T5_mT6_T7_P12ihipStream_tbENKUlT_T0_E_clISt17integral_constantIbLb0EESY_EEDaST_SU_EUlST_E_NS1_11comp_targetILNS1_3genE10ELNS1_11target_archE1201ELNS1_3gpuE5ELNS1_3repE0EEENS1_30default_config_static_selectorELNS0_4arch9wavefront6targetE1EEEvT1_
	.globl	_ZN7rocprim17ROCPRIM_400000_NS6detail17trampoline_kernelINS0_14default_configENS1_27scan_by_key_config_selectorIiiEEZZNS1_16scan_by_key_implILNS1_25lookback_scan_determinismE0ELb0ES3_N6thrust23THRUST_200600_302600_NS6detail15normal_iteratorINS9_10device_ptrIiEEEESE_SE_iNS9_4plusIiEE19head_flag_predicateiEE10hipError_tPvRmT2_T3_T4_T5_mT6_T7_P12ihipStream_tbENKUlT_T0_E_clISt17integral_constantIbLb0EESY_EEDaST_SU_EUlST_E_NS1_11comp_targetILNS1_3genE10ELNS1_11target_archE1201ELNS1_3gpuE5ELNS1_3repE0EEENS1_30default_config_static_selectorELNS0_4arch9wavefront6targetE1EEEvT1_
	.p2align	8
	.type	_ZN7rocprim17ROCPRIM_400000_NS6detail17trampoline_kernelINS0_14default_configENS1_27scan_by_key_config_selectorIiiEEZZNS1_16scan_by_key_implILNS1_25lookback_scan_determinismE0ELb0ES3_N6thrust23THRUST_200600_302600_NS6detail15normal_iteratorINS9_10device_ptrIiEEEESE_SE_iNS9_4plusIiEE19head_flag_predicateiEE10hipError_tPvRmT2_T3_T4_T5_mT6_T7_P12ihipStream_tbENKUlT_T0_E_clISt17integral_constantIbLb0EESY_EEDaST_SU_EUlST_E_NS1_11comp_targetILNS1_3genE10ELNS1_11target_archE1201ELNS1_3gpuE5ELNS1_3repE0EEENS1_30default_config_static_selectorELNS0_4arch9wavefront6targetE1EEEvT1_,@function
_ZN7rocprim17ROCPRIM_400000_NS6detail17trampoline_kernelINS0_14default_configENS1_27scan_by_key_config_selectorIiiEEZZNS1_16scan_by_key_implILNS1_25lookback_scan_determinismE0ELb0ES3_N6thrust23THRUST_200600_302600_NS6detail15normal_iteratorINS9_10device_ptrIiEEEESE_SE_iNS9_4plusIiEE19head_flag_predicateiEE10hipError_tPvRmT2_T3_T4_T5_mT6_T7_P12ihipStream_tbENKUlT_T0_E_clISt17integral_constantIbLb0EESY_EEDaST_SU_EUlST_E_NS1_11comp_targetILNS1_3genE10ELNS1_11target_archE1201ELNS1_3gpuE5ELNS1_3repE0EEENS1_30default_config_static_selectorELNS0_4arch9wavefront6targetE1EEEvT1_: ; @_ZN7rocprim17ROCPRIM_400000_NS6detail17trampoline_kernelINS0_14default_configENS1_27scan_by_key_config_selectorIiiEEZZNS1_16scan_by_key_implILNS1_25lookback_scan_determinismE0ELb0ES3_N6thrust23THRUST_200600_302600_NS6detail15normal_iteratorINS9_10device_ptrIiEEEESE_SE_iNS9_4plusIiEE19head_flag_predicateiEE10hipError_tPvRmT2_T3_T4_T5_mT6_T7_P12ihipStream_tbENKUlT_T0_E_clISt17integral_constantIbLb0EESY_EEDaST_SU_EUlST_E_NS1_11comp_targetILNS1_3genE10ELNS1_11target_archE1201ELNS1_3gpuE5ELNS1_3repE0EEENS1_30default_config_static_selectorELNS0_4arch9wavefront6targetE1EEEvT1_
; %bb.0:
	.section	.rodata,"a",@progbits
	.p2align	6, 0x0
	.amdhsa_kernel _ZN7rocprim17ROCPRIM_400000_NS6detail17trampoline_kernelINS0_14default_configENS1_27scan_by_key_config_selectorIiiEEZZNS1_16scan_by_key_implILNS1_25lookback_scan_determinismE0ELb0ES3_N6thrust23THRUST_200600_302600_NS6detail15normal_iteratorINS9_10device_ptrIiEEEESE_SE_iNS9_4plusIiEE19head_flag_predicateiEE10hipError_tPvRmT2_T3_T4_T5_mT6_T7_P12ihipStream_tbENKUlT_T0_E_clISt17integral_constantIbLb0EESY_EEDaST_SU_EUlST_E_NS1_11comp_targetILNS1_3genE10ELNS1_11target_archE1201ELNS1_3gpuE5ELNS1_3repE0EEENS1_30default_config_static_selectorELNS0_4arch9wavefront6targetE1EEEvT1_
		.amdhsa_group_segment_fixed_size 0
		.amdhsa_private_segment_fixed_size 0
		.amdhsa_kernarg_size 112
		.amdhsa_user_sgpr_count 6
		.amdhsa_user_sgpr_private_segment_buffer 1
		.amdhsa_user_sgpr_dispatch_ptr 0
		.amdhsa_user_sgpr_queue_ptr 0
		.amdhsa_user_sgpr_kernarg_segment_ptr 1
		.amdhsa_user_sgpr_dispatch_id 0
		.amdhsa_user_sgpr_flat_scratch_init 0
		.amdhsa_user_sgpr_kernarg_preload_length 0
		.amdhsa_user_sgpr_kernarg_preload_offset 0
		.amdhsa_user_sgpr_private_segment_size 0
		.amdhsa_uses_dynamic_stack 0
		.amdhsa_system_sgpr_private_segment_wavefront_offset 0
		.amdhsa_system_sgpr_workgroup_id_x 1
		.amdhsa_system_sgpr_workgroup_id_y 0
		.amdhsa_system_sgpr_workgroup_id_z 0
		.amdhsa_system_sgpr_workgroup_info 0
		.amdhsa_system_vgpr_workitem_id 0
		.amdhsa_next_free_vgpr 1
		.amdhsa_next_free_sgpr 0
		.amdhsa_accum_offset 4
		.amdhsa_reserve_vcc 0
		.amdhsa_reserve_flat_scratch 0
		.amdhsa_float_round_mode_32 0
		.amdhsa_float_round_mode_16_64 0
		.amdhsa_float_denorm_mode_32 3
		.amdhsa_float_denorm_mode_16_64 3
		.amdhsa_dx10_clamp 1
		.amdhsa_ieee_mode 1
		.amdhsa_fp16_overflow 0
		.amdhsa_tg_split 0
		.amdhsa_exception_fp_ieee_invalid_op 0
		.amdhsa_exception_fp_denorm_src 0
		.amdhsa_exception_fp_ieee_div_zero 0
		.amdhsa_exception_fp_ieee_overflow 0
		.amdhsa_exception_fp_ieee_underflow 0
		.amdhsa_exception_fp_ieee_inexact 0
		.amdhsa_exception_int_div_zero 0
	.end_amdhsa_kernel
	.section	.text._ZN7rocprim17ROCPRIM_400000_NS6detail17trampoline_kernelINS0_14default_configENS1_27scan_by_key_config_selectorIiiEEZZNS1_16scan_by_key_implILNS1_25lookback_scan_determinismE0ELb0ES3_N6thrust23THRUST_200600_302600_NS6detail15normal_iteratorINS9_10device_ptrIiEEEESE_SE_iNS9_4plusIiEE19head_flag_predicateiEE10hipError_tPvRmT2_T3_T4_T5_mT6_T7_P12ihipStream_tbENKUlT_T0_E_clISt17integral_constantIbLb0EESY_EEDaST_SU_EUlST_E_NS1_11comp_targetILNS1_3genE10ELNS1_11target_archE1201ELNS1_3gpuE5ELNS1_3repE0EEENS1_30default_config_static_selectorELNS0_4arch9wavefront6targetE1EEEvT1_,"axG",@progbits,_ZN7rocprim17ROCPRIM_400000_NS6detail17trampoline_kernelINS0_14default_configENS1_27scan_by_key_config_selectorIiiEEZZNS1_16scan_by_key_implILNS1_25lookback_scan_determinismE0ELb0ES3_N6thrust23THRUST_200600_302600_NS6detail15normal_iteratorINS9_10device_ptrIiEEEESE_SE_iNS9_4plusIiEE19head_flag_predicateiEE10hipError_tPvRmT2_T3_T4_T5_mT6_T7_P12ihipStream_tbENKUlT_T0_E_clISt17integral_constantIbLb0EESY_EEDaST_SU_EUlST_E_NS1_11comp_targetILNS1_3genE10ELNS1_11target_archE1201ELNS1_3gpuE5ELNS1_3repE0EEENS1_30default_config_static_selectorELNS0_4arch9wavefront6targetE1EEEvT1_,comdat
.Lfunc_end750:
	.size	_ZN7rocprim17ROCPRIM_400000_NS6detail17trampoline_kernelINS0_14default_configENS1_27scan_by_key_config_selectorIiiEEZZNS1_16scan_by_key_implILNS1_25lookback_scan_determinismE0ELb0ES3_N6thrust23THRUST_200600_302600_NS6detail15normal_iteratorINS9_10device_ptrIiEEEESE_SE_iNS9_4plusIiEE19head_flag_predicateiEE10hipError_tPvRmT2_T3_T4_T5_mT6_T7_P12ihipStream_tbENKUlT_T0_E_clISt17integral_constantIbLb0EESY_EEDaST_SU_EUlST_E_NS1_11comp_targetILNS1_3genE10ELNS1_11target_archE1201ELNS1_3gpuE5ELNS1_3repE0EEENS1_30default_config_static_selectorELNS0_4arch9wavefront6targetE1EEEvT1_, .Lfunc_end750-_ZN7rocprim17ROCPRIM_400000_NS6detail17trampoline_kernelINS0_14default_configENS1_27scan_by_key_config_selectorIiiEEZZNS1_16scan_by_key_implILNS1_25lookback_scan_determinismE0ELb0ES3_N6thrust23THRUST_200600_302600_NS6detail15normal_iteratorINS9_10device_ptrIiEEEESE_SE_iNS9_4plusIiEE19head_flag_predicateiEE10hipError_tPvRmT2_T3_T4_T5_mT6_T7_P12ihipStream_tbENKUlT_T0_E_clISt17integral_constantIbLb0EESY_EEDaST_SU_EUlST_E_NS1_11comp_targetILNS1_3genE10ELNS1_11target_archE1201ELNS1_3gpuE5ELNS1_3repE0EEENS1_30default_config_static_selectorELNS0_4arch9wavefront6targetE1EEEvT1_
                                        ; -- End function
	.section	.AMDGPU.csdata,"",@progbits
; Kernel info:
; codeLenInByte = 0
; NumSgprs: 4
; NumVgprs: 0
; NumAgprs: 0
; TotalNumVgprs: 0
; ScratchSize: 0
; MemoryBound: 0
; FloatMode: 240
; IeeeMode: 1
; LDSByteSize: 0 bytes/workgroup (compile time only)
; SGPRBlocks: 0
; VGPRBlocks: 0
; NumSGPRsForWavesPerEU: 4
; NumVGPRsForWavesPerEU: 1
; AccumOffset: 4
; Occupancy: 8
; WaveLimiterHint : 0
; COMPUTE_PGM_RSRC2:SCRATCH_EN: 0
; COMPUTE_PGM_RSRC2:USER_SGPR: 6
; COMPUTE_PGM_RSRC2:TRAP_HANDLER: 0
; COMPUTE_PGM_RSRC2:TGID_X_EN: 1
; COMPUTE_PGM_RSRC2:TGID_Y_EN: 0
; COMPUTE_PGM_RSRC2:TGID_Z_EN: 0
; COMPUTE_PGM_RSRC2:TIDIG_COMP_CNT: 0
; COMPUTE_PGM_RSRC3_GFX90A:ACCUM_OFFSET: 0
; COMPUTE_PGM_RSRC3_GFX90A:TG_SPLIT: 0
	.section	.text._ZN7rocprim17ROCPRIM_400000_NS6detail17trampoline_kernelINS0_14default_configENS1_27scan_by_key_config_selectorIiiEEZZNS1_16scan_by_key_implILNS1_25lookback_scan_determinismE0ELb0ES3_N6thrust23THRUST_200600_302600_NS6detail15normal_iteratorINS9_10device_ptrIiEEEESE_SE_iNS9_4plusIiEE19head_flag_predicateiEE10hipError_tPvRmT2_T3_T4_T5_mT6_T7_P12ihipStream_tbENKUlT_T0_E_clISt17integral_constantIbLb0EESY_EEDaST_SU_EUlST_E_NS1_11comp_targetILNS1_3genE5ELNS1_11target_archE942ELNS1_3gpuE9ELNS1_3repE0EEENS1_30default_config_static_selectorELNS0_4arch9wavefront6targetE1EEEvT1_,"axG",@progbits,_ZN7rocprim17ROCPRIM_400000_NS6detail17trampoline_kernelINS0_14default_configENS1_27scan_by_key_config_selectorIiiEEZZNS1_16scan_by_key_implILNS1_25lookback_scan_determinismE0ELb0ES3_N6thrust23THRUST_200600_302600_NS6detail15normal_iteratorINS9_10device_ptrIiEEEESE_SE_iNS9_4plusIiEE19head_flag_predicateiEE10hipError_tPvRmT2_T3_T4_T5_mT6_T7_P12ihipStream_tbENKUlT_T0_E_clISt17integral_constantIbLb0EESY_EEDaST_SU_EUlST_E_NS1_11comp_targetILNS1_3genE5ELNS1_11target_archE942ELNS1_3gpuE9ELNS1_3repE0EEENS1_30default_config_static_selectorELNS0_4arch9wavefront6targetE1EEEvT1_,comdat
	.protected	_ZN7rocprim17ROCPRIM_400000_NS6detail17trampoline_kernelINS0_14default_configENS1_27scan_by_key_config_selectorIiiEEZZNS1_16scan_by_key_implILNS1_25lookback_scan_determinismE0ELb0ES3_N6thrust23THRUST_200600_302600_NS6detail15normal_iteratorINS9_10device_ptrIiEEEESE_SE_iNS9_4plusIiEE19head_flag_predicateiEE10hipError_tPvRmT2_T3_T4_T5_mT6_T7_P12ihipStream_tbENKUlT_T0_E_clISt17integral_constantIbLb0EESY_EEDaST_SU_EUlST_E_NS1_11comp_targetILNS1_3genE5ELNS1_11target_archE942ELNS1_3gpuE9ELNS1_3repE0EEENS1_30default_config_static_selectorELNS0_4arch9wavefront6targetE1EEEvT1_ ; -- Begin function _ZN7rocprim17ROCPRIM_400000_NS6detail17trampoline_kernelINS0_14default_configENS1_27scan_by_key_config_selectorIiiEEZZNS1_16scan_by_key_implILNS1_25lookback_scan_determinismE0ELb0ES3_N6thrust23THRUST_200600_302600_NS6detail15normal_iteratorINS9_10device_ptrIiEEEESE_SE_iNS9_4plusIiEE19head_flag_predicateiEE10hipError_tPvRmT2_T3_T4_T5_mT6_T7_P12ihipStream_tbENKUlT_T0_E_clISt17integral_constantIbLb0EESY_EEDaST_SU_EUlST_E_NS1_11comp_targetILNS1_3genE5ELNS1_11target_archE942ELNS1_3gpuE9ELNS1_3repE0EEENS1_30default_config_static_selectorELNS0_4arch9wavefront6targetE1EEEvT1_
	.globl	_ZN7rocprim17ROCPRIM_400000_NS6detail17trampoline_kernelINS0_14default_configENS1_27scan_by_key_config_selectorIiiEEZZNS1_16scan_by_key_implILNS1_25lookback_scan_determinismE0ELb0ES3_N6thrust23THRUST_200600_302600_NS6detail15normal_iteratorINS9_10device_ptrIiEEEESE_SE_iNS9_4plusIiEE19head_flag_predicateiEE10hipError_tPvRmT2_T3_T4_T5_mT6_T7_P12ihipStream_tbENKUlT_T0_E_clISt17integral_constantIbLb0EESY_EEDaST_SU_EUlST_E_NS1_11comp_targetILNS1_3genE5ELNS1_11target_archE942ELNS1_3gpuE9ELNS1_3repE0EEENS1_30default_config_static_selectorELNS0_4arch9wavefront6targetE1EEEvT1_
	.p2align	8
	.type	_ZN7rocprim17ROCPRIM_400000_NS6detail17trampoline_kernelINS0_14default_configENS1_27scan_by_key_config_selectorIiiEEZZNS1_16scan_by_key_implILNS1_25lookback_scan_determinismE0ELb0ES3_N6thrust23THRUST_200600_302600_NS6detail15normal_iteratorINS9_10device_ptrIiEEEESE_SE_iNS9_4plusIiEE19head_flag_predicateiEE10hipError_tPvRmT2_T3_T4_T5_mT6_T7_P12ihipStream_tbENKUlT_T0_E_clISt17integral_constantIbLb0EESY_EEDaST_SU_EUlST_E_NS1_11comp_targetILNS1_3genE5ELNS1_11target_archE942ELNS1_3gpuE9ELNS1_3repE0EEENS1_30default_config_static_selectorELNS0_4arch9wavefront6targetE1EEEvT1_,@function
_ZN7rocprim17ROCPRIM_400000_NS6detail17trampoline_kernelINS0_14default_configENS1_27scan_by_key_config_selectorIiiEEZZNS1_16scan_by_key_implILNS1_25lookback_scan_determinismE0ELb0ES3_N6thrust23THRUST_200600_302600_NS6detail15normal_iteratorINS9_10device_ptrIiEEEESE_SE_iNS9_4plusIiEE19head_flag_predicateiEE10hipError_tPvRmT2_T3_T4_T5_mT6_T7_P12ihipStream_tbENKUlT_T0_E_clISt17integral_constantIbLb0EESY_EEDaST_SU_EUlST_E_NS1_11comp_targetILNS1_3genE5ELNS1_11target_archE942ELNS1_3gpuE9ELNS1_3repE0EEENS1_30default_config_static_selectorELNS0_4arch9wavefront6targetE1EEEvT1_: ; @_ZN7rocprim17ROCPRIM_400000_NS6detail17trampoline_kernelINS0_14default_configENS1_27scan_by_key_config_selectorIiiEEZZNS1_16scan_by_key_implILNS1_25lookback_scan_determinismE0ELb0ES3_N6thrust23THRUST_200600_302600_NS6detail15normal_iteratorINS9_10device_ptrIiEEEESE_SE_iNS9_4plusIiEE19head_flag_predicateiEE10hipError_tPvRmT2_T3_T4_T5_mT6_T7_P12ihipStream_tbENKUlT_T0_E_clISt17integral_constantIbLb0EESY_EEDaST_SU_EUlST_E_NS1_11comp_targetILNS1_3genE5ELNS1_11target_archE942ELNS1_3gpuE9ELNS1_3repE0EEENS1_30default_config_static_selectorELNS0_4arch9wavefront6targetE1EEEvT1_
; %bb.0:
	.section	.rodata,"a",@progbits
	.p2align	6, 0x0
	.amdhsa_kernel _ZN7rocprim17ROCPRIM_400000_NS6detail17trampoline_kernelINS0_14default_configENS1_27scan_by_key_config_selectorIiiEEZZNS1_16scan_by_key_implILNS1_25lookback_scan_determinismE0ELb0ES3_N6thrust23THRUST_200600_302600_NS6detail15normal_iteratorINS9_10device_ptrIiEEEESE_SE_iNS9_4plusIiEE19head_flag_predicateiEE10hipError_tPvRmT2_T3_T4_T5_mT6_T7_P12ihipStream_tbENKUlT_T0_E_clISt17integral_constantIbLb0EESY_EEDaST_SU_EUlST_E_NS1_11comp_targetILNS1_3genE5ELNS1_11target_archE942ELNS1_3gpuE9ELNS1_3repE0EEENS1_30default_config_static_selectorELNS0_4arch9wavefront6targetE1EEEvT1_
		.amdhsa_group_segment_fixed_size 0
		.amdhsa_private_segment_fixed_size 0
		.amdhsa_kernarg_size 112
		.amdhsa_user_sgpr_count 6
		.amdhsa_user_sgpr_private_segment_buffer 1
		.amdhsa_user_sgpr_dispatch_ptr 0
		.amdhsa_user_sgpr_queue_ptr 0
		.amdhsa_user_sgpr_kernarg_segment_ptr 1
		.amdhsa_user_sgpr_dispatch_id 0
		.amdhsa_user_sgpr_flat_scratch_init 0
		.amdhsa_user_sgpr_kernarg_preload_length 0
		.amdhsa_user_sgpr_kernarg_preload_offset 0
		.amdhsa_user_sgpr_private_segment_size 0
		.amdhsa_uses_dynamic_stack 0
		.amdhsa_system_sgpr_private_segment_wavefront_offset 0
		.amdhsa_system_sgpr_workgroup_id_x 1
		.amdhsa_system_sgpr_workgroup_id_y 0
		.amdhsa_system_sgpr_workgroup_id_z 0
		.amdhsa_system_sgpr_workgroup_info 0
		.amdhsa_system_vgpr_workitem_id 0
		.amdhsa_next_free_vgpr 1
		.amdhsa_next_free_sgpr 0
		.amdhsa_accum_offset 4
		.amdhsa_reserve_vcc 0
		.amdhsa_reserve_flat_scratch 0
		.amdhsa_float_round_mode_32 0
		.amdhsa_float_round_mode_16_64 0
		.amdhsa_float_denorm_mode_32 3
		.amdhsa_float_denorm_mode_16_64 3
		.amdhsa_dx10_clamp 1
		.amdhsa_ieee_mode 1
		.amdhsa_fp16_overflow 0
		.amdhsa_tg_split 0
		.amdhsa_exception_fp_ieee_invalid_op 0
		.amdhsa_exception_fp_denorm_src 0
		.amdhsa_exception_fp_ieee_div_zero 0
		.amdhsa_exception_fp_ieee_overflow 0
		.amdhsa_exception_fp_ieee_underflow 0
		.amdhsa_exception_fp_ieee_inexact 0
		.amdhsa_exception_int_div_zero 0
	.end_amdhsa_kernel
	.section	.text._ZN7rocprim17ROCPRIM_400000_NS6detail17trampoline_kernelINS0_14default_configENS1_27scan_by_key_config_selectorIiiEEZZNS1_16scan_by_key_implILNS1_25lookback_scan_determinismE0ELb0ES3_N6thrust23THRUST_200600_302600_NS6detail15normal_iteratorINS9_10device_ptrIiEEEESE_SE_iNS9_4plusIiEE19head_flag_predicateiEE10hipError_tPvRmT2_T3_T4_T5_mT6_T7_P12ihipStream_tbENKUlT_T0_E_clISt17integral_constantIbLb0EESY_EEDaST_SU_EUlST_E_NS1_11comp_targetILNS1_3genE5ELNS1_11target_archE942ELNS1_3gpuE9ELNS1_3repE0EEENS1_30default_config_static_selectorELNS0_4arch9wavefront6targetE1EEEvT1_,"axG",@progbits,_ZN7rocprim17ROCPRIM_400000_NS6detail17trampoline_kernelINS0_14default_configENS1_27scan_by_key_config_selectorIiiEEZZNS1_16scan_by_key_implILNS1_25lookback_scan_determinismE0ELb0ES3_N6thrust23THRUST_200600_302600_NS6detail15normal_iteratorINS9_10device_ptrIiEEEESE_SE_iNS9_4plusIiEE19head_flag_predicateiEE10hipError_tPvRmT2_T3_T4_T5_mT6_T7_P12ihipStream_tbENKUlT_T0_E_clISt17integral_constantIbLb0EESY_EEDaST_SU_EUlST_E_NS1_11comp_targetILNS1_3genE5ELNS1_11target_archE942ELNS1_3gpuE9ELNS1_3repE0EEENS1_30default_config_static_selectorELNS0_4arch9wavefront6targetE1EEEvT1_,comdat
.Lfunc_end751:
	.size	_ZN7rocprim17ROCPRIM_400000_NS6detail17trampoline_kernelINS0_14default_configENS1_27scan_by_key_config_selectorIiiEEZZNS1_16scan_by_key_implILNS1_25lookback_scan_determinismE0ELb0ES3_N6thrust23THRUST_200600_302600_NS6detail15normal_iteratorINS9_10device_ptrIiEEEESE_SE_iNS9_4plusIiEE19head_flag_predicateiEE10hipError_tPvRmT2_T3_T4_T5_mT6_T7_P12ihipStream_tbENKUlT_T0_E_clISt17integral_constantIbLb0EESY_EEDaST_SU_EUlST_E_NS1_11comp_targetILNS1_3genE5ELNS1_11target_archE942ELNS1_3gpuE9ELNS1_3repE0EEENS1_30default_config_static_selectorELNS0_4arch9wavefront6targetE1EEEvT1_, .Lfunc_end751-_ZN7rocprim17ROCPRIM_400000_NS6detail17trampoline_kernelINS0_14default_configENS1_27scan_by_key_config_selectorIiiEEZZNS1_16scan_by_key_implILNS1_25lookback_scan_determinismE0ELb0ES3_N6thrust23THRUST_200600_302600_NS6detail15normal_iteratorINS9_10device_ptrIiEEEESE_SE_iNS9_4plusIiEE19head_flag_predicateiEE10hipError_tPvRmT2_T3_T4_T5_mT6_T7_P12ihipStream_tbENKUlT_T0_E_clISt17integral_constantIbLb0EESY_EEDaST_SU_EUlST_E_NS1_11comp_targetILNS1_3genE5ELNS1_11target_archE942ELNS1_3gpuE9ELNS1_3repE0EEENS1_30default_config_static_selectorELNS0_4arch9wavefront6targetE1EEEvT1_
                                        ; -- End function
	.section	.AMDGPU.csdata,"",@progbits
; Kernel info:
; codeLenInByte = 0
; NumSgprs: 4
; NumVgprs: 0
; NumAgprs: 0
; TotalNumVgprs: 0
; ScratchSize: 0
; MemoryBound: 0
; FloatMode: 240
; IeeeMode: 1
; LDSByteSize: 0 bytes/workgroup (compile time only)
; SGPRBlocks: 0
; VGPRBlocks: 0
; NumSGPRsForWavesPerEU: 4
; NumVGPRsForWavesPerEU: 1
; AccumOffset: 4
; Occupancy: 8
; WaveLimiterHint : 0
; COMPUTE_PGM_RSRC2:SCRATCH_EN: 0
; COMPUTE_PGM_RSRC2:USER_SGPR: 6
; COMPUTE_PGM_RSRC2:TRAP_HANDLER: 0
; COMPUTE_PGM_RSRC2:TGID_X_EN: 1
; COMPUTE_PGM_RSRC2:TGID_Y_EN: 0
; COMPUTE_PGM_RSRC2:TGID_Z_EN: 0
; COMPUTE_PGM_RSRC2:TIDIG_COMP_CNT: 0
; COMPUTE_PGM_RSRC3_GFX90A:ACCUM_OFFSET: 0
; COMPUTE_PGM_RSRC3_GFX90A:TG_SPLIT: 0
	.section	.text._ZN7rocprim17ROCPRIM_400000_NS6detail17trampoline_kernelINS0_14default_configENS1_27scan_by_key_config_selectorIiiEEZZNS1_16scan_by_key_implILNS1_25lookback_scan_determinismE0ELb0ES3_N6thrust23THRUST_200600_302600_NS6detail15normal_iteratorINS9_10device_ptrIiEEEESE_SE_iNS9_4plusIiEE19head_flag_predicateiEE10hipError_tPvRmT2_T3_T4_T5_mT6_T7_P12ihipStream_tbENKUlT_T0_E_clISt17integral_constantIbLb0EESY_EEDaST_SU_EUlST_E_NS1_11comp_targetILNS1_3genE4ELNS1_11target_archE910ELNS1_3gpuE8ELNS1_3repE0EEENS1_30default_config_static_selectorELNS0_4arch9wavefront6targetE1EEEvT1_,"axG",@progbits,_ZN7rocprim17ROCPRIM_400000_NS6detail17trampoline_kernelINS0_14default_configENS1_27scan_by_key_config_selectorIiiEEZZNS1_16scan_by_key_implILNS1_25lookback_scan_determinismE0ELb0ES3_N6thrust23THRUST_200600_302600_NS6detail15normal_iteratorINS9_10device_ptrIiEEEESE_SE_iNS9_4plusIiEE19head_flag_predicateiEE10hipError_tPvRmT2_T3_T4_T5_mT6_T7_P12ihipStream_tbENKUlT_T0_E_clISt17integral_constantIbLb0EESY_EEDaST_SU_EUlST_E_NS1_11comp_targetILNS1_3genE4ELNS1_11target_archE910ELNS1_3gpuE8ELNS1_3repE0EEENS1_30default_config_static_selectorELNS0_4arch9wavefront6targetE1EEEvT1_,comdat
	.protected	_ZN7rocprim17ROCPRIM_400000_NS6detail17trampoline_kernelINS0_14default_configENS1_27scan_by_key_config_selectorIiiEEZZNS1_16scan_by_key_implILNS1_25lookback_scan_determinismE0ELb0ES3_N6thrust23THRUST_200600_302600_NS6detail15normal_iteratorINS9_10device_ptrIiEEEESE_SE_iNS9_4plusIiEE19head_flag_predicateiEE10hipError_tPvRmT2_T3_T4_T5_mT6_T7_P12ihipStream_tbENKUlT_T0_E_clISt17integral_constantIbLb0EESY_EEDaST_SU_EUlST_E_NS1_11comp_targetILNS1_3genE4ELNS1_11target_archE910ELNS1_3gpuE8ELNS1_3repE0EEENS1_30default_config_static_selectorELNS0_4arch9wavefront6targetE1EEEvT1_ ; -- Begin function _ZN7rocprim17ROCPRIM_400000_NS6detail17trampoline_kernelINS0_14default_configENS1_27scan_by_key_config_selectorIiiEEZZNS1_16scan_by_key_implILNS1_25lookback_scan_determinismE0ELb0ES3_N6thrust23THRUST_200600_302600_NS6detail15normal_iteratorINS9_10device_ptrIiEEEESE_SE_iNS9_4plusIiEE19head_flag_predicateiEE10hipError_tPvRmT2_T3_T4_T5_mT6_T7_P12ihipStream_tbENKUlT_T0_E_clISt17integral_constantIbLb0EESY_EEDaST_SU_EUlST_E_NS1_11comp_targetILNS1_3genE4ELNS1_11target_archE910ELNS1_3gpuE8ELNS1_3repE0EEENS1_30default_config_static_selectorELNS0_4arch9wavefront6targetE1EEEvT1_
	.globl	_ZN7rocprim17ROCPRIM_400000_NS6detail17trampoline_kernelINS0_14default_configENS1_27scan_by_key_config_selectorIiiEEZZNS1_16scan_by_key_implILNS1_25lookback_scan_determinismE0ELb0ES3_N6thrust23THRUST_200600_302600_NS6detail15normal_iteratorINS9_10device_ptrIiEEEESE_SE_iNS9_4plusIiEE19head_flag_predicateiEE10hipError_tPvRmT2_T3_T4_T5_mT6_T7_P12ihipStream_tbENKUlT_T0_E_clISt17integral_constantIbLb0EESY_EEDaST_SU_EUlST_E_NS1_11comp_targetILNS1_3genE4ELNS1_11target_archE910ELNS1_3gpuE8ELNS1_3repE0EEENS1_30default_config_static_selectorELNS0_4arch9wavefront6targetE1EEEvT1_
	.p2align	8
	.type	_ZN7rocprim17ROCPRIM_400000_NS6detail17trampoline_kernelINS0_14default_configENS1_27scan_by_key_config_selectorIiiEEZZNS1_16scan_by_key_implILNS1_25lookback_scan_determinismE0ELb0ES3_N6thrust23THRUST_200600_302600_NS6detail15normal_iteratorINS9_10device_ptrIiEEEESE_SE_iNS9_4plusIiEE19head_flag_predicateiEE10hipError_tPvRmT2_T3_T4_T5_mT6_T7_P12ihipStream_tbENKUlT_T0_E_clISt17integral_constantIbLb0EESY_EEDaST_SU_EUlST_E_NS1_11comp_targetILNS1_3genE4ELNS1_11target_archE910ELNS1_3gpuE8ELNS1_3repE0EEENS1_30default_config_static_selectorELNS0_4arch9wavefront6targetE1EEEvT1_,@function
_ZN7rocprim17ROCPRIM_400000_NS6detail17trampoline_kernelINS0_14default_configENS1_27scan_by_key_config_selectorIiiEEZZNS1_16scan_by_key_implILNS1_25lookback_scan_determinismE0ELb0ES3_N6thrust23THRUST_200600_302600_NS6detail15normal_iteratorINS9_10device_ptrIiEEEESE_SE_iNS9_4plusIiEE19head_flag_predicateiEE10hipError_tPvRmT2_T3_T4_T5_mT6_T7_P12ihipStream_tbENKUlT_T0_E_clISt17integral_constantIbLb0EESY_EEDaST_SU_EUlST_E_NS1_11comp_targetILNS1_3genE4ELNS1_11target_archE910ELNS1_3gpuE8ELNS1_3repE0EEENS1_30default_config_static_selectorELNS0_4arch9wavefront6targetE1EEEvT1_: ; @_ZN7rocprim17ROCPRIM_400000_NS6detail17trampoline_kernelINS0_14default_configENS1_27scan_by_key_config_selectorIiiEEZZNS1_16scan_by_key_implILNS1_25lookback_scan_determinismE0ELb0ES3_N6thrust23THRUST_200600_302600_NS6detail15normal_iteratorINS9_10device_ptrIiEEEESE_SE_iNS9_4plusIiEE19head_flag_predicateiEE10hipError_tPvRmT2_T3_T4_T5_mT6_T7_P12ihipStream_tbENKUlT_T0_E_clISt17integral_constantIbLb0EESY_EEDaST_SU_EUlST_E_NS1_11comp_targetILNS1_3genE4ELNS1_11target_archE910ELNS1_3gpuE8ELNS1_3repE0EEENS1_30default_config_static_selectorELNS0_4arch9wavefront6targetE1EEEvT1_
; %bb.0:
	s_load_dwordx8 s[36:43], s[4:5], 0x0
	s_load_dwordx4 s[44:47], s[4:5], 0x28
	s_load_dwordx2 s[52:53], s[4:5], 0x38
	s_load_dword s0, s[4:5], 0x40
	s_load_dwordx4 s[48:51], s[4:5], 0x48
	s_waitcnt lgkmcnt(0)
	s_lshl_b64 s[38:39], s[38:39], 2
	s_add_u32 s2, s36, s38
	s_addc_u32 s3, s37, s39
	s_add_u32 s4, s40, s38
	s_mul_i32 s1, s53, s0
	s_mul_hi_u32 s7, s52, s0
	s_addc_u32 s5, s41, s39
	s_add_i32 s8, s7, s1
	s_mul_i32 s9, s52, s0
	s_mul_i32 s0, s6, 0xe00
	s_mov_b32 s1, 0
	s_lshl_b64 s[36:37], s[0:1], 2
	s_add_u32 s34, s2, s36
	s_addc_u32 s35, s3, s37
	s_add_u32 s7, s4, s36
	s_addc_u32 s47, s5, s37
	;; [unrolled: 2-line block ×3, first 2 shown]
	s_add_u32 s4, s48, -1
	s_addc_u32 s5, s49, -1
	v_pk_mov_b32 v[2:3], s[4:5], s[4:5] op_sel:[0,1]
	v_cmp_ge_u64_e64 s[0:1], s[0:1], v[2:3]
	s_mov_b64 s[2:3], -1
	s_and_b64 vcc, exec, s[0:1]
	s_mul_i32 s33, s4, 0xfffff200
	s_barrier
	s_cbranch_vccz .LBB752_72
; %bb.1:
	v_pk_mov_b32 v[2:3], s[34:35], s[34:35] op_sel:[0,1]
	flat_load_dword v1, v[2:3]
	s_add_i32 s48, s33, s46
	v_cmp_gt_u32_e32 vcc, s48, v0
	s_waitcnt vmcnt(0) lgkmcnt(0)
	v_mov_b32_e32 v13, v1
	s_and_saveexec_b64 s[4:5], vcc
	s_cbranch_execz .LBB752_3
; %bb.2:
	v_lshlrev_b32_e32 v2, 2, v0
	v_mov_b32_e32 v3, s35
	v_add_co_u32_e64 v2, s[2:3], s34, v2
	v_addc_co_u32_e64 v3, s[2:3], 0, v3, s[2:3]
	flat_load_dword v13, v[2:3]
.LBB752_3:
	s_or_b64 exec, exec, s[4:5]
	v_or_b32_e32 v2, 0x100, v0
	v_cmp_gt_u32_e64 s[2:3], s48, v2
	v_mov_b32_e32 v14, v1
	s_and_saveexec_b64 s[8:9], s[2:3]
	s_cbranch_execz .LBB752_5
; %bb.4:
	v_lshlrev_b32_e32 v2, 2, v0
	v_mov_b32_e32 v3, s35
	v_add_co_u32_e64 v2, s[4:5], s34, v2
	v_addc_co_u32_e64 v3, s[4:5], 0, v3, s[4:5]
	flat_load_dword v14, v[2:3] offset:1024
.LBB752_5:
	s_or_b64 exec, exec, s[8:9]
	v_or_b32_e32 v2, 0x200, v0
	v_cmp_gt_u32_e64 s[4:5], s48, v2
	v_mov_b32_e32 v15, v1
	s_and_saveexec_b64 s[10:11], s[4:5]
	s_cbranch_execz .LBB752_7
; %bb.6:
	v_lshlrev_b32_e32 v2, 2, v0
	v_mov_b32_e32 v3, s35
	v_add_co_u32_e64 v2, s[8:9], s34, v2
	v_addc_co_u32_e64 v3, s[8:9], 0, v3, s[8:9]
	flat_load_dword v15, v[2:3] offset:2048
.LBB752_7:
	;; [unrolled: 13-line block ×3, first 2 shown]
	s_or_b64 exec, exec, s[10:11]
	v_or_b32_e32 v2, 0x400, v0
	v_cmp_gt_u32_e64 s[8:9], s48, v2
	v_lshlrev_b32_e32 v2, 2, v2
	v_mov_b32_e32 v17, v1
	s_and_saveexec_b64 s[12:13], s[8:9]
	s_cbranch_execz .LBB752_11
; %bb.10:
	v_mov_b32_e32 v3, s35
	v_add_co_u32_e64 v4, s[10:11], s34, v2
	v_addc_co_u32_e64 v5, s[10:11], 0, v3, s[10:11]
	flat_load_dword v17, v[4:5]
.LBB752_11:
	s_or_b64 exec, exec, s[12:13]
	v_or_b32_e32 v3, 0x500, v0
	v_cmp_gt_u32_e64 s[10:11], s48, v3
	v_lshlrev_b32_e32 v3, 2, v3
	v_mov_b32_e32 v18, v1
	s_and_saveexec_b64 s[14:15], s[10:11]
	s_cbranch_execz .LBB752_13
; %bb.12:
	v_mov_b32_e32 v5, s35
	v_add_co_u32_e64 v4, s[12:13], s34, v3
	v_addc_co_u32_e64 v5, s[12:13], 0, v5, s[12:13]
	flat_load_dword v18, v[4:5]
.LBB752_13:
	;; [unrolled: 13-line block ×9, first 2 shown]
	s_or_b64 exec, exec, s[30:31]
	v_or_b32_e32 v11, 0xd00, v0
	v_cmp_gt_u32_e64 s[26:27], s48, v11
	v_lshlrev_b32_e32 v11, 2, v11
	s_and_saveexec_b64 s[40:41], s[26:27]
	s_cbranch_execz .LBB752_29
; %bb.28:
	v_mov_b32_e32 v1, s35
	v_add_co_u32_e64 v26, s[30:31], s34, v11
	v_addc_co_u32_e64 v27, s[30:31], 0, v1, s[30:31]
	flat_load_dword v1, v[26:27]
.LBB752_29:
	s_or_b64 exec, exec, s[40:41]
	v_lshlrev_b32_e32 v12, 2, v0
	s_waitcnt vmcnt(0) lgkmcnt(0)
	ds_write2st64_b32 v12, v13, v14 offset1:4
	ds_write2st64_b32 v12, v15, v16 offset0:8 offset1:12
	ds_write2st64_b32 v12, v17, v18 offset0:16 offset1:20
	;; [unrolled: 1-line block ×6, first 2 shown]
	v_mad_u32_u24 v1, v0, 52, v12
	s_waitcnt lgkmcnt(0)
	s_barrier
	ds_read2_b64 v[26:29], v1 offset0:4 offset1:5
	ds_read_b64 v[42:43], v1 offset:48
	ds_read2_b64 v[34:37], v1 offset1:1
	ds_read2_b64 v[30:33], v1 offset0:2 offset1:3
	s_movk_i32 s30, 0xffcc
	v_mad_i32_i24 v13, v0, s30, v1
	s_waitcnt lgkmcnt(2)
	ds_write_b32 v13, v43 offset:14336
	s_waitcnt lgkmcnt(0)
	s_barrier
	s_barrier
	s_waitcnt lgkmcnt(0)
                                        ; implicit-def: $vgpr13
	s_and_saveexec_b64 s[30:31], vcc
	s_cbranch_execz .LBB752_105
; %bb.30:
	v_mov_b32_e32 v13, s47
	v_add_co_u32_e32 v14, vcc, s7, v12
	v_addc_co_u32_e32 v15, vcc, 0, v13, vcc
	flat_load_dword v13, v[14:15]
	s_or_b64 exec, exec, s[30:31]
                                        ; implicit-def: $vgpr14
	s_and_saveexec_b64 s[30:31], s[2:3]
	s_cbranch_execnz .LBB752_106
.LBB752_31:
	s_or_b64 exec, exec, s[30:31]
                                        ; implicit-def: $vgpr15
	s_and_saveexec_b64 s[2:3], s[4:5]
	s_cbranch_execz .LBB752_107
.LBB752_32:
	v_mov_b32_e32 v15, s47
	v_add_co_u32_e32 v16, vcc, s7, v12
	v_addc_co_u32_e32 v17, vcc, 0, v15, vcc
	flat_load_dword v15, v[16:17] offset:2048
	s_or_b64 exec, exec, s[2:3]
                                        ; implicit-def: $vgpr16
	s_and_saveexec_b64 s[2:3], s[28:29]
	s_cbranch_execnz .LBB752_108
.LBB752_33:
	s_or_b64 exec, exec, s[2:3]
                                        ; implicit-def: $vgpr17
	s_and_saveexec_b64 s[2:3], s[8:9]
	s_cbranch_execz .LBB752_109
.LBB752_34:
	v_mov_b32_e32 v17, s47
	v_add_co_u32_e32 v18, vcc, s7, v2
	v_addc_co_u32_e32 v19, vcc, 0, v17, vcc
	flat_load_dword v17, v[18:19]
	s_or_b64 exec, exec, s[2:3]
                                        ; implicit-def: $vgpr2
	s_and_saveexec_b64 s[2:3], s[10:11]
	s_cbranch_execnz .LBB752_110
.LBB752_35:
	s_or_b64 exec, exec, s[2:3]
                                        ; implicit-def: $vgpr3
	s_and_saveexec_b64 s[2:3], s[12:13]
	s_cbranch_execz .LBB752_111
.LBB752_36:
	v_mov_b32_e32 v3, s47
	v_add_co_u32_e32 v18, vcc, s7, v4
	v_addc_co_u32_e32 v19, vcc, 0, v3, vcc
	flat_load_dword v3, v[18:19]
	s_or_b64 exec, exec, s[2:3]
                                        ; implicit-def: $vgpr4
	s_and_saveexec_b64 s[2:3], s[14:15]
	s_cbranch_execnz .LBB752_112
.LBB752_37:
	s_or_b64 exec, exec, s[2:3]
                                        ; implicit-def: $vgpr5
	s_and_saveexec_b64 s[2:3], s[16:17]
	s_cbranch_execz .LBB752_113
.LBB752_38:
	v_mov_b32_e32 v5, s47
	v_add_co_u32_e32 v18, vcc, s7, v6
	v_addc_co_u32_e32 v19, vcc, 0, v5, vcc
	flat_load_dword v5, v[18:19]
	s_or_b64 exec, exec, s[2:3]
                                        ; implicit-def: $vgpr6
	s_and_saveexec_b64 s[2:3], s[18:19]
	s_cbranch_execnz .LBB752_114
.LBB752_39:
	s_or_b64 exec, exec, s[2:3]
                                        ; implicit-def: $vgpr7
	s_and_saveexec_b64 s[2:3], s[20:21]
	s_cbranch_execz .LBB752_115
.LBB752_40:
	v_mov_b32_e32 v7, s47
	v_add_co_u32_e32 v18, vcc, s7, v8
	v_addc_co_u32_e32 v19, vcc, 0, v7, vcc
	flat_load_dword v7, v[18:19]
	s_or_b64 exec, exec, s[2:3]
                                        ; implicit-def: $vgpr8
	s_and_saveexec_b64 s[2:3], s[22:23]
	s_cbranch_execnz .LBB752_116
.LBB752_41:
	s_or_b64 exec, exec, s[2:3]
                                        ; implicit-def: $vgpr9
	s_and_saveexec_b64 s[2:3], s[24:25]
	s_cbranch_execz .LBB752_43
.LBB752_42:
	v_mov_b32_e32 v9, s47
	v_add_co_u32_e32 v18, vcc, s7, v10
	v_addc_co_u32_e32 v19, vcc, 0, v9, vcc
	flat_load_dword v9, v[18:19]
.LBB752_43:
	s_or_b64 exec, exec, s[2:3]
	v_mul_u32_u24_e32 v44, 14, v0
                                        ; implicit-def: $vgpr10
	s_and_saveexec_b64 s[2:3], s[26:27]
	s_cbranch_execz .LBB752_45
; %bb.44:
	v_mov_b32_e32 v18, s47
	v_add_co_u32_e32 v10, vcc, s7, v11
	v_addc_co_u32_e32 v11, vcc, 0, v18, vcc
	flat_load_dword v10, v[10:11]
.LBB752_45:
	s_or_b64 exec, exec, s[2:3]
	s_mov_b32 s8, 0
	s_mov_b32 s9, s8
	s_waitcnt vmcnt(0) lgkmcnt(0)
	ds_write2st64_b32 v12, v13, v14 offset1:4
	ds_write2st64_b32 v12, v15, v16 offset0:8 offset1:12
	ds_write2st64_b32 v12, v17, v2 offset0:16 offset1:20
	;; [unrolled: 1-line block ×6, first 2 shown]
	s_mov_b32 s10, s8
	s_mov_b32 s11, s8
	;; [unrolled: 1-line block ×6, first 2 shown]
	v_pk_mov_b32 v[2:3], s[8:9], s[8:9] op_sel:[0,1]
	v_pk_mov_b32 v[8:9], s[14:15], s[14:15] op_sel:[0,1]
	;; [unrolled: 1-line block ×6, first 2 shown]
	v_cmp_gt_u32_e32 vcc, s48, v44
	s_mov_b64 s[2:3], 0
	v_pk_mov_b32 v[38:39], 0, 0
	s_mov_b64 s[16:17], 0
	v_pk_mov_b32 v[14:15], v[6:7], v[6:7] op_sel:[0,1]
	v_pk_mov_b32 v[12:13], v[4:5], v[4:5] op_sel:[0,1]
	;; [unrolled: 1-line block ×6, first 2 shown]
	s_waitcnt lgkmcnt(0)
	s_barrier
	s_waitcnt lgkmcnt(0)
                                        ; implicit-def: $vgpr45
	s_and_saveexec_b64 s[4:5], vcc
	s_cbranch_execz .LBB752_71
; %bb.46:
	v_or_b32_e32 v2, 1, v44
	ds_read_b32 v38, v1
	v_cmp_ne_u32_e32 vcc, 0, v34
	v_cndmask_b32_e64 v39, 0, 1, vcc
	v_cmp_gt_u32_e32 vcc, s48, v2
	v_pk_mov_b32 v[2:3], s[8:9], s[8:9] op_sel:[0,1]
	v_pk_mov_b32 v[8:9], s[14:15], s[14:15] op_sel:[0,1]
	;; [unrolled: 1-line block ×6, first 2 shown]
	s_mov_b64 s[18:19], 0
	v_pk_mov_b32 v[14:15], v[6:7], v[6:7] op_sel:[0,1]
	v_pk_mov_b32 v[12:13], v[4:5], v[4:5] op_sel:[0,1]
	;; [unrolled: 1-line block ×6, first 2 shown]
                                        ; implicit-def: $vgpr45
	s_and_saveexec_b64 s[16:17], vcc
	s_cbranch_execz .LBB752_70
; %bb.47:
	ds_read2_b32 v[40:41], v1 offset0:1 offset1:2
	s_mov_b32 s14, s8
	s_mov_b32 s15, s8
	;; [unrolled: 1-line block ×7, first 2 shown]
	v_pk_mov_b32 v[16:17], s[14:15], s[14:15] op_sel:[0,1]
	v_add_u32_e32 v2, 2, v44
	v_cmp_ne_u32_e32 vcc, 0, v35
	v_mov_b32_e32 v6, 0
	v_pk_mov_b32 v[14:15], s[12:13], s[12:13] op_sel:[0,1]
	v_pk_mov_b32 v[12:13], s[10:11], s[10:11] op_sel:[0,1]
	;; [unrolled: 1-line block ×4, first 2 shown]
	v_cndmask_b32_e64 v3, 0, 1, vcc
	v_cmp_gt_u32_e32 vcc, s48, v2
	s_waitcnt lgkmcnt(0)
	v_mov_b32_e32 v2, v40
	v_mov_b32_e32 v4, v6
	;; [unrolled: 1-line block ×6, first 2 shown]
	s_mov_b64 s[20:21], 0
	v_pk_mov_b32 v[22:23], v[14:15], v[14:15] op_sel:[0,1]
	v_pk_mov_b32 v[20:21], v[12:13], v[12:13] op_sel:[0,1]
	;; [unrolled: 1-line block ×3, first 2 shown]
                                        ; implicit-def: $vgpr45
	s_and_saveexec_b64 s[18:19], vcc
	s_cbranch_execz .LBB752_69
; %bb.48:
	v_pk_mov_b32 v[16:17], s[14:15], s[14:15] op_sel:[0,1]
	v_add_u32_e32 v2, 3, v44
	v_cmp_ne_u32_e32 vcc, 0, v36
	v_pk_mov_b32 v[14:15], s[12:13], s[12:13] op_sel:[0,1]
	v_pk_mov_b32 v[12:13], s[10:11], s[10:11] op_sel:[0,1]
	;; [unrolled: 1-line block ×4, first 2 shown]
	v_cndmask_b32_e64 v5, 0, 1, vcc
	v_cmp_gt_u32_e32 vcc, s48, v2
	v_mov_b32_e32 v2, v40
	v_mov_b32_e32 v4, v41
	;; [unrolled: 1-line block ×5, first 2 shown]
	s_mov_b64 s[22:23], 0
	v_pk_mov_b32 v[22:23], v[14:15], v[14:15] op_sel:[0,1]
	v_pk_mov_b32 v[20:21], v[12:13], v[12:13] op_sel:[0,1]
	;; [unrolled: 1-line block ×3, first 2 shown]
                                        ; implicit-def: $vgpr45
	s_and_saveexec_b64 s[20:21], vcc
	s_cbranch_execz .LBB752_68
; %bb.49:
	ds_read2_b32 v[34:35], v1 offset0:3 offset1:4
	s_mov_b32 s14, s8
	s_mov_b32 s15, s8
	;; [unrolled: 1-line block ×7, first 2 shown]
	v_pk_mov_b32 v[16:17], s[14:15], s[14:15] op_sel:[0,1]
	v_add_u32_e32 v6, 4, v44
	v_cmp_ne_u32_e32 vcc, 0, v37
	v_pk_mov_b32 v[14:15], s[12:13], s[12:13] op_sel:[0,1]
	v_pk_mov_b32 v[12:13], s[10:11], s[10:11] op_sel:[0,1]
	;; [unrolled: 1-line block ×4, first 2 shown]
	v_cndmask_b32_e64 v7, 0, 1, vcc
	v_cmp_gt_u32_e32 vcc, s48, v6
	s_waitcnt lgkmcnt(0)
	v_mov_b32_e32 v6, v34
	v_mov_b32_e32 v8, s8
	;; [unrolled: 1-line block ×3, first 2 shown]
	s_mov_b64 s[24:25], 0
	v_pk_mov_b32 v[22:23], v[14:15], v[14:15] op_sel:[0,1]
	v_pk_mov_b32 v[20:21], v[12:13], v[12:13] op_sel:[0,1]
	;; [unrolled: 1-line block ×3, first 2 shown]
                                        ; implicit-def: $vgpr45
	s_and_saveexec_b64 s[22:23], vcc
	s_cbranch_execz .LBB752_67
; %bb.50:
	v_pk_mov_b32 v[16:17], s[14:15], s[14:15] op_sel:[0,1]
	v_add_u32_e32 v8, 5, v44
	v_cmp_ne_u32_e32 vcc, 0, v30
	v_pk_mov_b32 v[14:15], s[12:13], s[12:13] op_sel:[0,1]
	v_pk_mov_b32 v[12:13], s[10:11], s[10:11] op_sel:[0,1]
	;; [unrolled: 1-line block ×4, first 2 shown]
	v_cndmask_b32_e64 v9, 0, 1, vcc
	v_cmp_gt_u32_e32 vcc, s48, v8
	v_mov_b32_e32 v8, v35
	s_mov_b64 s[26:27], 0
	v_pk_mov_b32 v[22:23], v[14:15], v[14:15] op_sel:[0,1]
	v_pk_mov_b32 v[20:21], v[12:13], v[12:13] op_sel:[0,1]
	;; [unrolled: 1-line block ×3, first 2 shown]
                                        ; implicit-def: $vgpr45
	s_and_saveexec_b64 s[24:25], vcc
	s_cbranch_execz .LBB752_66
; %bb.51:
	ds_read2_b32 v[34:35], v1 offset0:5 offset1:6
	s_mov_b32 s14, s8
	s_mov_b32 s15, s8
	v_add_u32_e32 v10, 6, v44
	v_cmp_ne_u32_e32 vcc, 0, v31
	v_mov_b32_e32 v14, 0
	s_mov_b32 s9, s8
	s_mov_b32 s10, s8
	;; [unrolled: 1-line block ×5, first 2 shown]
	v_pk_mov_b32 v[24:25], s[14:15], s[14:15] op_sel:[0,1]
	v_cndmask_b32_e64 v11, 0, 1, vcc
	v_cmp_gt_u32_e32 vcc, s48, v10
	s_waitcnt lgkmcnt(0)
	v_mov_b32_e32 v10, v34
	v_mov_b32_e32 v12, v14
	;; [unrolled: 1-line block ×6, first 2 shown]
	s_mov_b64 s[28:29], 0
	v_pk_mov_b32 v[22:23], s[12:13], s[12:13] op_sel:[0,1]
	v_pk_mov_b32 v[20:21], s[10:11], s[10:11] op_sel:[0,1]
	;; [unrolled: 1-line block ×3, first 2 shown]
                                        ; implicit-def: $vgpr45
	s_and_saveexec_b64 s[26:27], vcc
	s_cbranch_execz .LBB752_65
; %bb.52:
	v_add_u32_e32 v10, 7, v44
	v_cmp_ne_u32_e32 vcc, 0, v32
	v_pk_mov_b32 v[24:25], s[14:15], s[14:15] op_sel:[0,1]
	v_cndmask_b32_e64 v13, 0, 1, vcc
	v_cmp_gt_u32_e32 vcc, s48, v10
	v_mov_b32_e32 v10, v34
	v_mov_b32_e32 v12, v35
	;; [unrolled: 1-line block ×5, first 2 shown]
	s_mov_b64 s[30:31], 0
	v_pk_mov_b32 v[22:23], s[12:13], s[12:13] op_sel:[0,1]
	v_pk_mov_b32 v[20:21], s[10:11], s[10:11] op_sel:[0,1]
	;; [unrolled: 1-line block ×3, first 2 shown]
                                        ; implicit-def: $vgpr45
	s_and_saveexec_b64 s[28:29], vcc
	s_cbranch_execz .LBB752_64
; %bb.53:
	ds_read2_b32 v[30:31], v1 offset0:7 offset1:8
	s_mov_b32 s14, s8
	s_mov_b32 s15, s8
	v_add_u32_e32 v14, 8, v44
	v_cmp_ne_u32_e32 vcc, 0, v33
	s_mov_b32 s9, s8
	s_mov_b32 s10, s8
	;; [unrolled: 1-line block ×5, first 2 shown]
	v_pk_mov_b32 v[24:25], s[14:15], s[14:15] op_sel:[0,1]
	v_cndmask_b32_e64 v15, 0, 1, vcc
	v_cmp_gt_u32_e32 vcc, s48, v14
	s_waitcnt lgkmcnt(0)
	v_mov_b32_e32 v14, v30
	v_mov_b32_e32 v16, s8
	v_mov_b32_e32 v17, s8
	s_mov_b64 s[40:41], 0
	v_pk_mov_b32 v[22:23], s[12:13], s[12:13] op_sel:[0,1]
	v_pk_mov_b32 v[20:21], s[10:11], s[10:11] op_sel:[0,1]
	;; [unrolled: 1-line block ×3, first 2 shown]
                                        ; implicit-def: $vgpr45
	s_and_saveexec_b64 s[30:31], vcc
	s_cbranch_execz .LBB752_63
; %bb.54:
	v_add_u32_e32 v16, 9, v44
	v_cmp_ne_u32_e32 vcc, 0, v26
	v_pk_mov_b32 v[24:25], s[14:15], s[14:15] op_sel:[0,1]
	v_cndmask_b32_e64 v17, 0, 1, vcc
	v_cmp_gt_u32_e32 vcc, s48, v16
	v_mov_b32_e32 v16, v31
	v_pk_mov_b32 v[22:23], s[12:13], s[12:13] op_sel:[0,1]
	v_pk_mov_b32 v[20:21], s[10:11], s[10:11] op_sel:[0,1]
	v_pk_mov_b32 v[18:19], s[8:9], s[8:9] op_sel:[0,1]
                                        ; implicit-def: $vgpr45
	s_and_saveexec_b64 s[8:9], vcc
	s_cbranch_execz .LBB752_62
; %bb.55:
	ds_read2_b32 v[30:31], v1 offset0:9 offset1:10
	v_add_u32_e32 v18, 10, v44
	v_cmp_ne_u32_e32 vcc, 0, v27
	v_mov_b32_e32 v22, 0
	v_cndmask_b32_e64 v19, 0, 1, vcc
	v_cmp_gt_u32_e32 vcc, s48, v18
	s_waitcnt lgkmcnt(0)
	v_mov_b32_e32 v18, v30
	v_mov_b32_e32 v20, v22
	;; [unrolled: 1-line block ×6, first 2 shown]
	s_mov_b64 s[12:13], 0
                                        ; implicit-def: $vgpr45
	s_and_saveexec_b64 s[10:11], vcc
	s_cbranch_execz .LBB752_61
; %bb.56:
	v_add_u32_e32 v18, 11, v44
	v_cmp_ne_u32_e32 vcc, 0, v28
	v_cndmask_b32_e64 v21, 0, 1, vcc
	v_cmp_gt_u32_e32 vcc, s48, v18
	v_mov_b32_e32 v18, v30
	v_mov_b32_e32 v20, v31
	;; [unrolled: 1-line block ×5, first 2 shown]
	s_mov_b64 s[14:15], 0
                                        ; implicit-def: $vgpr45
	s_and_saveexec_b64 s[12:13], vcc
	s_cbranch_execz .LBB752_60
; %bb.57:
	ds_read2_b32 v[26:27], v1 offset0:11 offset1:12
	s_mov_b32 s14, 0
	v_add_u32_e32 v22, 12, v44
	v_cmp_ne_u32_e32 vcc, 0, v29
	v_cndmask_b32_e64 v23, 0, 1, vcc
	v_cmp_gt_u32_e32 vcc, s48, v22
	s_waitcnt lgkmcnt(0)
	v_mov_b32_e32 v22, v26
	v_mov_b32_e32 v24, s14
	;; [unrolled: 1-line block ×3, first 2 shown]
	s_mov_b64 s[14:15], 0
                                        ; implicit-def: $vgpr45
	s_and_saveexec_b64 s[40:41], vcc
	s_xor_b64 s[40:41], exec, s[40:41]
	s_cbranch_execz .LBB752_59
; %bb.58:
	ds_read_b32 v45, v1 offset:52
	v_add_u32_e32 v1, 13, v44
	v_cmp_ne_u32_e32 vcc, 0, v42
	v_cndmask_b32_e64 v25, 0, 1, vcc
	v_cmp_gt_u32_e32 vcc, s48, v1
	v_mov_b32_e32 v24, v27
	s_and_b64 s[14:15], vcc, exec
.LBB752_59:
	s_or_b64 exec, exec, s[40:41]
	s_and_b64 s[14:15], s[14:15], exec
.LBB752_60:
	s_or_b64 exec, exec, s[12:13]
	s_and_b64 s[12:13], s[14:15], exec
.LBB752_61:
	s_or_b64 exec, exec, s[10:11]
	s_and_b64 s[40:41], s[12:13], exec
.LBB752_62:
	s_or_b64 exec, exec, s[8:9]
	s_and_b64 s[40:41], s[40:41], exec
.LBB752_63:
	s_or_b64 exec, exec, s[30:31]
	s_and_b64 s[30:31], s[40:41], exec
.LBB752_64:
	s_or_b64 exec, exec, s[28:29]
	s_and_b64 s[28:29], s[30:31], exec
.LBB752_65:
	s_or_b64 exec, exec, s[26:27]
	s_and_b64 s[26:27], s[28:29], exec
.LBB752_66:
	s_or_b64 exec, exec, s[24:25]
	s_and_b64 s[24:25], s[26:27], exec
.LBB752_67:
	s_or_b64 exec, exec, s[22:23]
	s_and_b64 s[22:23], s[24:25], exec
.LBB752_68:
	s_or_b64 exec, exec, s[20:21]
	s_and_b64 s[20:21], s[22:23], exec
.LBB752_69:
	s_or_b64 exec, exec, s[18:19]
	s_and_b64 s[18:19], s[20:21], exec
.LBB752_70:
	s_or_b64 exec, exec, s[16:17]
	s_and_b64 s[16:17], s[18:19], exec
.LBB752_71:
	s_or_b64 exec, exec, s[4:5]
	s_and_b64 vcc, exec, s[2:3]
	v_lshlrev_b32_e32 v50, 2, v0
	s_cbranch_vccnz .LBB752_73
	s_branch .LBB752_74
.LBB752_72:
	s_mov_b64 s[16:17], 0
                                        ; implicit-def: $vgpr2_vgpr3_vgpr4_vgpr5_vgpr6_vgpr7_vgpr8_vgpr9
                                        ; implicit-def: $vgpr10_vgpr11_vgpr12_vgpr13_vgpr14_vgpr15_vgpr16_vgpr17
                                        ; implicit-def: $vgpr18_vgpr19_vgpr20_vgpr21_vgpr22_vgpr23_vgpr24_vgpr25
                                        ; implicit-def: $vgpr43
                                        ; implicit-def: $vgpr45
                                        ; implicit-def: $vgpr38_vgpr39
	s_and_b64 vcc, exec, s[2:3]
	v_lshlrev_b32_e32 v50, 2, v0
	s_cbranch_vccz .LBB752_74
.LBB752_73:
	v_mov_b32_e32 v1, s35
	v_add_co_u32_e32 v2, vcc, s34, v50
	v_addc_co_u32_e32 v3, vcc, 0, v1, vcc
	v_add_co_u32_e32 v4, vcc, 0x1000, v2
	v_addc_co_u32_e32 v5, vcc, 0, v3, vcc
	flat_load_dword v1, v[2:3]
	flat_load_dword v10, v[2:3] offset:1024
	flat_load_dword v11, v[2:3] offset:2048
	;; [unrolled: 1-line block ×3, first 2 shown]
	flat_load_dword v13, v[4:5]
	flat_load_dword v14, v[4:5] offset:1024
	flat_load_dword v15, v[4:5] offset:2048
	;; [unrolled: 1-line block ×3, first 2 shown]
	v_add_co_u32_e32 v4, vcc, 0x2000, v2
	v_addc_co_u32_e32 v5, vcc, 0, v3, vcc
	v_add_co_u32_e32 v2, vcc, 0x3000, v2
	v_addc_co_u32_e32 v3, vcc, 0, v3, vcc
	flat_load_dword v17, v[4:5]
	flat_load_dword v18, v[4:5] offset:1024
	flat_load_dword v19, v[4:5] offset:2048
	flat_load_dword v20, v[4:5] offset:3072
	flat_load_dword v21, v[2:3]
	flat_load_dword v22, v[2:3] offset:1024
	v_mov_b32_e32 v3, s47
	v_add_co_u32_e32 v2, vcc, s7, v50
	s_movk_i32 s2, 0x1000
	v_addc_co_u32_e32 v3, vcc, 0, v3, vcc
	v_add_co_u32_e32 v4, vcc, s2, v2
	s_movk_i32 s3, 0x2000
	v_addc_co_u32_e32 v5, vcc, 0, v3, vcc
	v_add_co_u32_e32 v6, vcc, s3, v2
	s_movk_i32 s4, 0x3000
	v_mad_u32_u24 v36, v0, 52, v50
	s_movk_i32 s5, 0xffcc
	v_addc_co_u32_e32 v7, vcc, 0, v3, vcc
	v_mad_i32_i24 v26, v0, s5, v36
	v_add_co_u32_e32 v8, vcc, s4, v2
	v_addc_co_u32_e32 v9, vcc, 0, v3, vcc
	s_or_b64 s[16:17], s[16:17], exec
                                        ; implicit-def: $sgpr2_sgpr3
	s_waitcnt vmcnt(0) lgkmcnt(0)
	ds_write2st64_b32 v50, v1, v10 offset1:4
	ds_write2st64_b32 v50, v11, v12 offset0:8 offset1:12
	ds_write2st64_b32 v50, v13, v14 offset0:16 offset1:20
	;; [unrolled: 1-line block ×6, first 2 shown]
	s_waitcnt lgkmcnt(0)
	s_barrier
	ds_read2_b32 v[42:43], v36 offset1:13
	ds_read2_b32 v[18:19], v36 offset0:9 offset1:10
	ds_read2_b32 v[20:21], v36 offset0:11 offset1:12
	;; [unrolled: 1-line block ×6, first 2 shown]
	s_waitcnt lgkmcnt(6)
	ds_write_b32 v26, v43 offset:14336
	s_waitcnt lgkmcnt(0)
	s_barrier
	s_barrier
	flat_load_dword v1, v[2:3]
	flat_load_dword v14, v[2:3] offset:1024
	flat_load_dword v16, v[2:3] offset:2048
	flat_load_dword v26, v[2:3] offset:3072
	flat_load_dword v27, v[4:5]
	flat_load_dword v28, v[4:5] offset:1024
	flat_load_dword v29, v[4:5] offset:2048
	flat_load_dword v30, v[4:5] offset:3072
	;; [unrolled: 4-line block ×3, first 2 shown]
	flat_load_dword v35, v[8:9]
	flat_load_dword v37, v[8:9] offset:1024
	v_cmp_ne_u32_e32 vcc, 0, v42
	v_cndmask_b32_e64 v39, 0, 1, vcc
	v_cmp_ne_u32_e32 vcc, 0, v11
	v_cndmask_b32_e64 v17, 0, 1, vcc
	;; [unrolled: 2-line block ×13, first 2 shown]
	s_waitcnt vmcnt(0) lgkmcnt(0)
	ds_write2st64_b32 v50, v1, v14 offset1:4
	ds_write2st64_b32 v50, v16, v26 offset0:8 offset1:12
	ds_write2st64_b32 v50, v27, v28 offset0:16 offset1:20
	;; [unrolled: 1-line block ×6, first 2 shown]
	s_waitcnt lgkmcnt(0)
	s_barrier
	ds_read2_b32 v[26:27], v36 offset0:7 offset1:8
	ds_read2_b32 v[28:29], v36 offset0:5 offset1:6
	ds_read2_b32 v[30:31], v36 offset0:3 offset1:4
	ds_read2_b32 v[32:33], v36 offset0:1 offset1:2
	ds_read2_b32 v[44:45], v36 offset1:13
	ds_read2_b32 v[34:35], v36 offset0:11 offset1:12
	ds_read2_b32 v[36:37], v36 offset0:9 offset1:10
	s_waitcnt lgkmcnt(5)
	v_mov_b32_e32 v10, v28
	s_waitcnt lgkmcnt(4)
	v_mov_b32_e32 v6, v30
	;; [unrolled: 2-line block ×4, first 2 shown]
	v_mov_b32_e32 v4, v33
	v_mov_b32_e32 v8, v31
	;; [unrolled: 1-line block ×5, first 2 shown]
	s_waitcnt lgkmcnt(0)
	v_mov_b32_e32 v18, v36
	v_mov_b32_e32 v20, v37
	v_mov_b32_e32 v22, v34
	v_mov_b32_e32 v24, v35
.LBB752_74:
	v_pk_mov_b32 v[40:41], s[2:3], s[2:3] op_sel:[0,1]
	s_and_saveexec_b64 s[2:3], s[16:17]
	s_cbranch_execz .LBB752_76
; %bb.75:
	v_cmp_ne_u32_e32 vcc, 0, v43
	v_cndmask_b32_e64 v41, 0, 1, vcc
	s_waitcnt lgkmcnt(0)
	v_mov_b32_e32 v40, v45
.LBB752_76:
	s_or_b64 exec, exec, s[2:3]
	s_mov_b32 s26, 0
	s_cmp_lg_u32 s6, 0
	v_mbcnt_lo_u32_b32 v52, -1, 0
	v_lshrrev_b32_e32 v1, 6, v0
	v_or_b32_e32 v51, 63, v0
	s_waitcnt lgkmcnt(0)
	s_barrier
	s_cbranch_scc0 .LBB752_117
; %bb.77:
	s_mov_b32 s27, 1
	v_cmp_gt_u64_e64 s[2:3], s[26:27], v[2:3]
	v_cndmask_b32_e64 v27, 0, v38, s[2:3]
	v_add_u32_e32 v27, v27, v2
	v_cmp_gt_u64_e64 s[4:5], s[26:27], v[4:5]
	v_cndmask_b32_e64 v27, 0, v27, s[4:5]
	v_add_u32_e32 v27, v27, v4
	;; [unrolled: 3-line block ×13, first 2 shown]
	v_or3_b32 v27, v41, v25, v23
	v_or3_b32 v27, v27, v21, v19
	v_or3_b32 v27, v27, v17, v15
	v_or3_b32 v27, v27, v13, v11
	v_or3_b32 v27, v27, v9, v7
	v_or3_b32 v27, v27, v5, v3
	v_mov_b32_e32 v26, 0
	v_and_b32_e32 v27, 1, v27
	v_cmp_eq_u64_e32 vcc, 0, v[26:27]
	v_cndmask_b32_e32 v26, 1, v39, vcc
	v_mbcnt_hi_u32_b32 v46, -1, v52
	v_mov_b32_dpp v29, v28 row_shr:1 row_mask:0xf bank_mask:0xf
	v_mov_b32_dpp v30, v26 row_shr:1 row_mask:0xf bank_mask:0xf
	v_cmp_eq_u32_e32 vcc, 0, v26
	v_and_b32_e32 v31, 1, v26
	v_and_b32_e32 v27, 15, v46
	v_cndmask_b32_e32 v29, 0, v29, vcc
	v_and_b32_e32 v30, 1, v30
	v_cmp_eq_u32_e32 vcc, 1, v31
	v_cndmask_b32_e64 v30, v30, 1, vcc
	v_cmp_eq_u32_e32 vcc, 0, v27
	v_cndmask_b32_e32 v26, v30, v26, vcc
	v_and_b32_e32 v31, 1, v26
	v_cmp_eq_u32_e64 s[28:29], 1, v31
	v_mov_b32_dpp v30, v26 row_shr:2 row_mask:0xf bank_mask:0xf
	v_and_b32_e32 v30, 1, v30
	v_cndmask_b32_e64 v30, v30, 1, s[28:29]
	v_cmp_lt_u32_e64 s[28:29], 1, v27
	v_cndmask_b32_e64 v29, v29, 0, vcc
	v_cmp_eq_u32_e32 vcc, 0, v26
	v_cndmask_b32_e64 v26, v26, v30, s[28:29]
	v_add_u32_e32 v28, v29, v28
	v_and_b32_e32 v31, 1, v26
	v_mov_b32_dpp v30, v26 row_shr:4 row_mask:0xf bank_mask:0xf
	v_mov_b32_dpp v29, v28 row_shr:2 row_mask:0xf bank_mask:0xf
	s_and_b64 vcc, s[28:29], vcc
	v_and_b32_e32 v30, 1, v30
	v_cmp_eq_u32_e64 s[28:29], 1, v31
	v_cndmask_b32_e32 v29, 0, v29, vcc
	v_cndmask_b32_e64 v30, v30, 1, s[28:29]
	v_cmp_lt_u32_e64 s[28:29], 3, v27
	v_add_u32_e32 v28, v29, v28
	v_cmp_eq_u32_e32 vcc, 0, v26
	v_cndmask_b32_e64 v26, v26, v30, s[28:29]
	v_mov_b32_dpp v29, v28 row_shr:4 row_mask:0xf bank_mask:0xf
	s_and_b64 vcc, s[28:29], vcc
	v_mov_b32_dpp v30, v26 row_shr:8 row_mask:0xf bank_mask:0xf
	v_and_b32_e32 v31, 1, v26
	v_cndmask_b32_e32 v29, 0, v29, vcc
	v_and_b32_e32 v30, 1, v30
	v_cmp_eq_u32_e64 s[28:29], 1, v31
	v_add_u32_e32 v28, v29, v28
	v_cmp_eq_u32_e32 vcc, 0, v26
	v_cndmask_b32_e64 v30, v30, 1, s[28:29]
	v_cmp_lt_u32_e64 s[28:29], 7, v27
	v_mov_b32_dpp v29, v28 row_shr:8 row_mask:0xf bank_mask:0xf
	s_and_b64 vcc, s[28:29], vcc
	v_cndmask_b32_e32 v27, 0, v29, vcc
	v_cndmask_b32_e64 v26, v26, v30, s[28:29]
	v_add_u32_e32 v27, v27, v28
	v_cmp_eq_u32_e32 vcc, 0, v26
	v_mov_b32_dpp v29, v26 row_bcast:15 row_mask:0xf bank_mask:0xf
	v_mov_b32_dpp v28, v27 row_bcast:15 row_mask:0xf bank_mask:0xf
	v_and_b32_e32 v32, 1, v26
	v_and_b32_e32 v31, 16, v46
	v_cndmask_b32_e32 v28, 0, v28, vcc
	v_and_b32_e32 v29, 1, v29
	v_cmp_eq_u32_e32 vcc, 1, v32
	v_bfe_i32 v30, v46, 4, 1
	v_cndmask_b32_e64 v29, v29, 1, vcc
	v_cmp_eq_u32_e32 vcc, 0, v31
	v_and_b32_e32 v28, v30, v28
	v_cndmask_b32_e32 v26, v29, v26, vcc
	v_add_u32_e32 v27, v28, v27
	v_and_b32_e32 v30, 1, v26
	v_mov_b32_dpp v28, v26 row_bcast:31 row_mask:0xf bank_mask:0xf
	v_and_b32_e32 v28, 1, v28
	v_cmp_eq_u32_e64 s[28:29], 1, v30
	v_cmp_eq_u32_e32 vcc, 0, v26
	v_cndmask_b32_e64 v28, v28, 1, s[28:29]
	v_cmp_lt_u32_e64 s[28:29], 31, v46
	v_mov_b32_dpp v29, v27 row_bcast:31 row_mask:0xf bank_mask:0xf
	s_and_b64 vcc, s[28:29], vcc
	v_cndmask_b32_e64 v28, v26, v28, s[28:29]
	v_cndmask_b32_e32 v26, 0, v29, vcc
	v_add_u32_e32 v29, v26, v27
	v_cmp_eq_u32_e32 vcc, v51, v0
	s_and_saveexec_b64 s[28:29], vcc
	s_cbranch_execz .LBB752_79
; %bb.78:
	v_lshlrev_b32_e32 v26, 3, v1
	ds_write_b32 v26, v29
	ds_write_b8 v26, v28 offset:4
.LBB752_79:
	s_or_b64 exec, exec, s[28:29]
	v_cmp_gt_u32_e32 vcc, 4, v0
	s_waitcnt lgkmcnt(0)
	s_barrier
	s_and_saveexec_b64 s[28:29], vcc
	s_cbranch_execz .LBB752_83
; %bb.80:
	v_lshlrev_b32_e32 v30, 3, v0
	ds_read_b64 v[26:27], v30
	v_and_b32_e32 v31, 3, v46
	v_cmp_ne_u32_e32 vcc, 0, v31
	s_waitcnt lgkmcnt(0)
	v_mov_b32_dpp v32, v26 row_shr:1 row_mask:0xf bank_mask:0xf
	v_mov_b32_dpp v34, v27 row_shr:1 row_mask:0xf bank_mask:0xf
	v_mov_b32_e32 v33, v27
	s_and_saveexec_b64 s[34:35], vcc
	s_cbranch_execz .LBB752_82
; %bb.81:
	v_and_b32_e32 v33, 1, v27
	v_and_b32_e32 v34, 1, v34
	v_cmp_eq_u32_e32 vcc, 1, v33
	v_mov_b32_e32 v33, 0
	v_cndmask_b32_e64 v34, v34, 1, vcc
	v_cmp_eq_u16_sdwa vcc, v27, v33 src0_sel:BYTE_0 src1_sel:DWORD
	v_cndmask_b32_e32 v32, 0, v32, vcc
	v_add_u32_e32 v26, v32, v26
	v_and_b32_e32 v32, 0xffff, v34
	s_movk_i32 s7, 0xff00
	v_and_or_b32 v33, v27, s7, v32
	v_mov_b32_e32 v27, v34
.LBB752_82:
	s_or_b64 exec, exec, s[34:35]
	v_mov_b32_dpp v33, v33 row_shr:2 row_mask:0xf bank_mask:0xf
	v_and_b32_e32 v34, 1, v27
	v_and_b32_e32 v33, 1, v33
	v_cmp_eq_u32_e32 vcc, 1, v34
	v_mov_b32_e32 v34, 0
	v_cndmask_b32_e64 v33, v33, 1, vcc
	v_cmp_eq_u16_sdwa s[34:35], v27, v34 src0_sel:BYTE_0 src1_sel:DWORD
	v_cmp_lt_u32_e32 vcc, 1, v31
	v_mov_b32_dpp v32, v26 row_shr:2 row_mask:0xf bank_mask:0xf
	v_cndmask_b32_e32 v27, v27, v33, vcc
	s_and_b64 vcc, vcc, s[34:35]
	v_cndmask_b32_e32 v31, 0, v32, vcc
	v_add_u32_e32 v26, v31, v26
	ds_write_b32 v30, v26
	ds_write_b8 v30, v27 offset:4
.LBB752_83:
	s_or_b64 exec, exec, s[28:29]
	v_cmp_gt_u32_e32 vcc, 64, v0
	v_cmp_lt_u32_e64 s[28:29], 63, v0
	v_mov_b32_e32 v42, 0
	v_mov_b32_e32 v43, 0
	s_waitcnt lgkmcnt(0)
	s_barrier
	s_and_saveexec_b64 s[34:35], s[28:29]
	s_cbranch_execz .LBB752_85
; %bb.84:
	v_lshl_add_u32 v26, v1, 3, -8
	ds_read_b32 v42, v26
	ds_read_u8 v43, v26 offset:4
	v_and_b32_e32 v27, 1, v28
	v_cmp_eq_u32_e64 s[28:29], 0, v28
	s_waitcnt lgkmcnt(1)
	v_cndmask_b32_e64 v26, 0, v42, s[28:29]
	v_cmp_eq_u32_e64 s[28:29], 1, v27
	v_add_u32_e32 v29, v26, v29
	s_waitcnt lgkmcnt(0)
	v_cndmask_b32_e64 v28, v43, 1, s[28:29]
.LBB752_85:
	s_or_b64 exec, exec, s[34:35]
	v_add_u32_e32 v26, -1, v46
	v_and_b32_e32 v27, 64, v46
	v_cmp_lt_i32_e64 s[28:29], v26, v27
	v_cndmask_b32_e64 v26, v26, v46, s[28:29]
	v_lshlrev_b32_e32 v26, 2, v26
	ds_bpermute_b32 v44, v26, v29
	ds_bpermute_b32 v45, v26, v28
	v_cmp_eq_u32_e64 s[28:29], 0, v46
	s_and_saveexec_b64 s[40:41], vcc
	s_cbranch_execz .LBB752_104
; %bb.86:
	v_mov_b32_e32 v29, 0
	ds_read_b64 v[26:27], v29 offset:24
	s_waitcnt lgkmcnt(0)
	v_readfirstlane_b32 s7, v27
	s_and_saveexec_b64 s[34:35], s[28:29]
	s_cbranch_execz .LBB752_88
; %bb.87:
	s_add_i32 s48, s6, 64
	s_mov_b32 s49, 0
	s_lshl_b64 s[54:55], s[48:49], 4
	s_add_u32 s54, s44, s54
	s_addc_u32 s55, s45, s55
	s_and_b32 s57, s7, 0xff000000
	s_mov_b32 s56, s49
	s_and_b32 s59, s7, 0xff0000
	s_mov_b32 s58, s49
	s_or_b64 s[56:57], s[58:59], s[56:57]
	s_and_b32 s59, s7, 0xff00
	s_or_b64 s[56:57], s[56:57], s[58:59]
	s_and_b32 s59, s7, 0xff
	s_or_b64 s[48:49], s[56:57], s[58:59]
	v_mov_b32_e32 v27, s49
	v_mov_b32_e32 v28, 1
	v_pk_mov_b32 v[30:31], s[54:55], s[54:55] op_sel:[0,1]
	;;#ASMSTART
	global_store_dwordx4 v[30:31], v[26:29] off	
s_waitcnt vmcnt(0)
	;;#ASMEND
.LBB752_88:
	s_or_b64 exec, exec, s[34:35]
	v_xad_u32 v34, v46, -1, s6
	v_add_u32_e32 v28, 64, v34
	v_lshlrev_b64 v[30:31], 4, v[28:29]
	v_mov_b32_e32 v27, s45
	v_add_co_u32_e32 v36, vcc, s44, v30
	v_addc_co_u32_e32 v37, vcc, v27, v31, vcc
	;;#ASMSTART
	global_load_dwordx4 v[30:33], v[36:37] off glc	
s_waitcnt vmcnt(0)
	;;#ASMEND
	v_and_b32_e32 v27, 0xff0000, v30
	v_or_b32_sdwa v27, v30, v27 dst_sel:DWORD dst_unused:UNUSED_PAD src0_sel:WORD_0 src1_sel:DWORD
	v_and_b32_e32 v28, 0xff000000, v30
	v_and_b32_e32 v30, 0xff, v31
	v_or3_b32 v31, 0, 0, v30
	v_or3_b32 v30, v27, v28, 0
	v_cmp_eq_u16_sdwa s[48:49], v32, v29 src0_sel:BYTE_0 src1_sel:DWORD
	s_and_saveexec_b64 s[34:35], s[48:49]
	s_cbranch_execz .LBB752_92
; %bb.89:
	s_mov_b64 s[48:49], 0
	v_mov_b32_e32 v27, 0
.LBB752_90:                             ; =>This Inner Loop Header: Depth=1
	;;#ASMSTART
	global_load_dwordx4 v[30:33], v[36:37] off glc	
s_waitcnt vmcnt(0)
	;;#ASMEND
	v_cmp_ne_u16_sdwa s[54:55], v32, v27 src0_sel:BYTE_0 src1_sel:DWORD
	s_or_b64 s[48:49], s[54:55], s[48:49]
	s_andn2_b64 exec, exec, s[48:49]
	s_cbranch_execnz .LBB752_90
; %bb.91:
	s_or_b64 exec, exec, s[48:49]
	v_and_b32_e32 v31, 0xff, v31
.LBB752_92:
	s_or_b64 exec, exec, s[34:35]
	v_mov_b32_e32 v27, 2
	v_cmp_eq_u16_sdwa s[34:35], v32, v27 src0_sel:BYTE_0 src1_sel:DWORD
	v_lshlrev_b64 v[28:29], v46, -1
	v_and_b32_e32 v33, s35, v29
	v_or_b32_e32 v33, 0x80000000, v33
	v_and_b32_e32 v35, s34, v28
	v_ffbl_b32_e32 v33, v33
	v_and_b32_e32 v47, 63, v46
	v_add_u32_e32 v33, 32, v33
	v_ffbl_b32_e32 v35, v35
	v_cmp_ne_u32_e32 vcc, 63, v47
	v_min_u32_e32 v33, v35, v33
	v_addc_co_u32_e32 v35, vcc, 0, v46, vcc
	v_lshlrev_b32_e32 v48, 2, v35
	ds_bpermute_b32 v35, v48, v31
	ds_bpermute_b32 v36, v48, v30
	s_mov_b32 s48, 0
	v_and_b32_e32 v37, 1, v31
	s_mov_b32 s49, 1
	s_waitcnt lgkmcnt(1)
	v_and_b32_e32 v35, 1, v35
	v_cmp_eq_u32_e32 vcc, 1, v37
	v_cndmask_b32_e64 v35, v35, 1, vcc
	v_cmp_gt_u64_e32 vcc, s[48:49], v[30:31]
	v_cmp_lt_u32_e64 s[34:35], v47, v33
	s_and_b64 vcc, s[34:35], vcc
	v_and_b32_e32 v37, 0xffff, v35
	v_cndmask_b32_e64 v54, v31, v35, s[34:35]
	s_waitcnt lgkmcnt(0)
	v_cndmask_b32_e32 v35, 0, v36, vcc
	v_cmp_gt_u32_e32 vcc, 62, v47
	v_cndmask_b32_e64 v36, 0, 1, vcc
	v_lshlrev_b32_e32 v36, 1, v36
	v_cndmask_b32_e64 v31, v31, v37, s[34:35]
	v_add_lshl_u32 v49, v36, v46, 2
	ds_bpermute_b32 v36, v49, v31
	v_add_u32_e32 v30, v35, v30
	ds_bpermute_b32 v37, v49, v30
	v_and_b32_e32 v35, 1, v54
	v_cmp_eq_u32_e32 vcc, 1, v35
	s_waitcnt lgkmcnt(1)
	v_and_b32_e32 v36, 1, v36
	v_mov_b32_e32 v35, 0
	v_add_u32_e32 v53, 2, v47
	v_cndmask_b32_e64 v36, v36, 1, vcc
	v_cmp_eq_u16_sdwa vcc, v54, v35 src0_sel:BYTE_0 src1_sel:DWORD
	v_and_b32_e32 v55, 0xffff, v36
	s_waitcnt lgkmcnt(0)
	v_cndmask_b32_e32 v37, 0, v37, vcc
	v_cmp_gt_u32_e32 vcc, v53, v33
	v_cndmask_b32_e32 v36, v36, v54, vcc
	v_cndmask_b32_e64 v37, v37, 0, vcc
	v_cndmask_b32_e32 v31, v55, v31, vcc
	v_cmp_gt_u32_e32 vcc, 60, v47
	v_cndmask_b32_e64 v54, 0, 1, vcc
	v_lshlrev_b32_e32 v54, 2, v54
	v_add_lshl_u32 v54, v54, v46, 2
	ds_bpermute_b32 v56, v54, v31
	v_add_u32_e32 v30, v37, v30
	ds_bpermute_b32 v37, v54, v30
	v_and_b32_e32 v57, 1, v36
	v_cmp_eq_u32_e32 vcc, 1, v57
	s_waitcnt lgkmcnt(1)
	v_and_b32_e32 v56, 1, v56
	v_add_u32_e32 v55, 4, v47
	v_cndmask_b32_e64 v56, v56, 1, vcc
	v_cmp_eq_u16_sdwa vcc, v36, v35 src0_sel:BYTE_0 src1_sel:DWORD
	v_and_b32_e32 v57, 0xffff, v56
	s_waitcnt lgkmcnt(0)
	v_cndmask_b32_e32 v37, 0, v37, vcc
	v_cmp_gt_u32_e32 vcc, v55, v33
	v_cndmask_b32_e32 v36, v56, v36, vcc
	v_cndmask_b32_e64 v37, v37, 0, vcc
	v_cndmask_b32_e32 v31, v57, v31, vcc
	v_cmp_gt_u32_e32 vcc, 56, v47
	v_cndmask_b32_e64 v56, 0, 1, vcc
	v_lshlrev_b32_e32 v56, 3, v56
	v_add_lshl_u32 v56, v56, v46, 2
	ds_bpermute_b32 v58, v56, v31
	v_add_u32_e32 v30, v37, v30
	ds_bpermute_b32 v37, v56, v30
	v_and_b32_e32 v59, 1, v36
	v_cmp_eq_u32_e32 vcc, 1, v59
	s_waitcnt lgkmcnt(1)
	v_and_b32_e32 v58, 1, v58
	v_add_u32_e32 v57, 8, v47
	v_cndmask_b32_e64 v58, v58, 1, vcc
	v_cmp_eq_u16_sdwa vcc, v36, v35 src0_sel:BYTE_0 src1_sel:DWORD
	v_and_b32_e32 v59, 0xffff, v58
	s_waitcnt lgkmcnt(0)
	v_cndmask_b32_e32 v37, 0, v37, vcc
	v_cmp_gt_u32_e32 vcc, v57, v33
	v_cndmask_b32_e32 v36, v58, v36, vcc
	v_cndmask_b32_e64 v37, v37, 0, vcc
	v_cndmask_b32_e32 v31, v59, v31, vcc
	v_cmp_gt_u32_e32 vcc, 48, v47
	v_cndmask_b32_e64 v58, 0, 1, vcc
	v_lshlrev_b32_e32 v58, 4, v58
	v_add_lshl_u32 v58, v58, v46, 2
	ds_bpermute_b32 v60, v58, v31
	v_add_u32_e32 v30, v37, v30
	ds_bpermute_b32 v37, v58, v30
	v_and_b32_e32 v61, 1, v36
	v_cmp_eq_u32_e32 vcc, 1, v61
	s_waitcnt lgkmcnt(1)
	v_and_b32_e32 v60, 1, v60
	v_add_u32_e32 v59, 16, v47
	v_cndmask_b32_e64 v60, v60, 1, vcc
	v_cmp_eq_u16_sdwa vcc, v36, v35 src0_sel:BYTE_0 src1_sel:DWORD
	v_and_b32_e32 v61, 0xffff, v60
	s_waitcnt lgkmcnt(0)
	v_cndmask_b32_e32 v37, 0, v37, vcc
	v_cmp_gt_u32_e32 vcc, v59, v33
	v_cndmask_b32_e32 v36, v60, v36, vcc
	v_cndmask_b32_e64 v37, v37, 0, vcc
	v_cndmask_b32_e32 v31, v61, v31, vcc
	v_cmp_gt_u32_e32 vcc, 32, v47
	v_cndmask_b32_e64 v60, 0, 1, vcc
	v_lshlrev_b32_e32 v60, 5, v60
	v_add_lshl_u32 v61, v60, v46, 2
	ds_bpermute_b32 v31, v61, v31
	v_add_u32_e32 v30, v37, v30
	ds_bpermute_b32 v37, v61, v30
	v_and_b32_e32 v46, 1, v36
	v_cmp_eq_u32_e32 vcc, 1, v46
	s_waitcnt lgkmcnt(1)
	v_and_b32_e32 v31, 1, v31
	v_add_u32_e32 v62, 32, v47
	v_cndmask_b32_e64 v31, v31, 1, vcc
	v_cmp_eq_u16_sdwa vcc, v36, v35 src0_sel:BYTE_0 src1_sel:DWORD
	s_waitcnt lgkmcnt(0)
	v_cndmask_b32_e32 v37, 0, v37, vcc
	v_cmp_gt_u32_e32 vcc, v62, v33
	v_cndmask_b32_e64 v33, v37, 0, vcc
	v_cndmask_b32_e32 v31, v31, v36, vcc
	v_add_u32_e32 v30, v33, v30
	s_branch .LBB752_94
.LBB752_93:                             ;   in Loop: Header=BB752_94 Depth=1
	s_or_b64 exec, exec, s[34:35]
	v_cmp_eq_u16_sdwa s[34:35], v32, v27 src0_sel:BYTE_0 src1_sel:DWORD
	v_and_b32_e32 v33, s35, v29
	ds_bpermute_b32 v37, v48, v31
	v_or_b32_e32 v33, 0x80000000, v33
	v_and_b32_e32 v36, s34, v28
	v_ffbl_b32_e32 v33, v33
	v_add_u32_e32 v33, 32, v33
	v_ffbl_b32_e32 v36, v36
	v_min_u32_e32 v33, v36, v33
	ds_bpermute_b32 v36, v48, v30
	v_and_b32_e32 v63, 1, v31
	s_waitcnt lgkmcnt(1)
	v_and_b32_e32 v37, 1, v37
	v_cmp_eq_u32_e32 vcc, 1, v63
	v_cndmask_b32_e64 v37, v37, 1, vcc
	v_cmp_gt_u64_e32 vcc, s[48:49], v[30:31]
	v_and_b32_e32 v63, 0xffff, v37
	v_cmp_lt_u32_e64 s[34:35], v47, v33
	v_cndmask_b32_e64 v37, v31, v37, s[34:35]
	v_cndmask_b32_e64 v31, v31, v63, s[34:35]
	s_and_b64 vcc, s[34:35], vcc
	ds_bpermute_b32 v63, v49, v31
	s_waitcnt lgkmcnt(1)
	v_cndmask_b32_e32 v36, 0, v36, vcc
	v_add_u32_e32 v30, v36, v30
	ds_bpermute_b32 v36, v49, v30
	v_and_b32_e32 v64, 1, v37
	s_waitcnt lgkmcnt(1)
	v_and_b32_e32 v63, 1, v63
	v_cmp_eq_u32_e32 vcc, 1, v64
	v_cndmask_b32_e64 v63, v63, 1, vcc
	v_cmp_eq_u16_sdwa vcc, v37, v35 src0_sel:BYTE_0 src1_sel:DWORD
	v_and_b32_e32 v64, 0xffff, v63
	s_waitcnt lgkmcnt(0)
	v_cndmask_b32_e32 v36, 0, v36, vcc
	v_cmp_gt_u32_e32 vcc, v53, v33
	v_cndmask_b32_e32 v31, v64, v31, vcc
	v_cndmask_b32_e32 v37, v63, v37, vcc
	ds_bpermute_b32 v63, v54, v31
	v_cndmask_b32_e64 v36, v36, 0, vcc
	v_add_u32_e32 v30, v36, v30
	ds_bpermute_b32 v36, v54, v30
	v_and_b32_e32 v64, 1, v37
	s_waitcnt lgkmcnt(1)
	v_and_b32_e32 v63, 1, v63
	v_cmp_eq_u32_e32 vcc, 1, v64
	v_cndmask_b32_e64 v63, v63, 1, vcc
	v_cmp_eq_u16_sdwa vcc, v37, v35 src0_sel:BYTE_0 src1_sel:DWORD
	v_and_b32_e32 v64, 0xffff, v63
	s_waitcnt lgkmcnt(0)
	v_cndmask_b32_e32 v36, 0, v36, vcc
	v_cmp_gt_u32_e32 vcc, v55, v33
	v_cndmask_b32_e32 v31, v64, v31, vcc
	v_cndmask_b32_e32 v37, v63, v37, vcc
	ds_bpermute_b32 v63, v56, v31
	v_cndmask_b32_e64 v36, v36, 0, vcc
	;; [unrolled: 16-line block ×3, first 2 shown]
	v_add_u32_e32 v30, v36, v30
	ds_bpermute_b32 v36, v58, v30
	v_and_b32_e32 v64, 1, v37
	s_waitcnt lgkmcnt(1)
	v_and_b32_e32 v63, 1, v63
	v_cmp_eq_u32_e32 vcc, 1, v64
	v_cndmask_b32_e64 v63, v63, 1, vcc
	v_cmp_eq_u16_sdwa vcc, v37, v35 src0_sel:BYTE_0 src1_sel:DWORD
	v_and_b32_e32 v64, 0xffff, v63
	s_waitcnt lgkmcnt(0)
	v_cndmask_b32_e32 v36, 0, v36, vcc
	v_cmp_gt_u32_e32 vcc, v59, v33
	v_cndmask_b32_e64 v36, v36, 0, vcc
	v_cndmask_b32_e32 v31, v64, v31, vcc
	ds_bpermute_b32 v31, v61, v31
	v_add_u32_e32 v30, v36, v30
	ds_bpermute_b32 v36, v61, v30
	v_cndmask_b32_e32 v37, v63, v37, vcc
	v_and_b32_e32 v63, 1, v37
	v_cmp_eq_u32_e32 vcc, 1, v63
	s_waitcnt lgkmcnt(1)
	v_cndmask_b32_e64 v31, v31, 1, vcc
	v_cmp_eq_u16_sdwa vcc, v37, v35 src0_sel:BYTE_0 src1_sel:DWORD
	s_waitcnt lgkmcnt(0)
	v_cndmask_b32_e32 v36, 0, v36, vcc
	v_cmp_gt_u32_e32 vcc, v62, v33
	v_cndmask_b32_e64 v33, v36, 0, vcc
	v_cndmask_b32_e32 v31, v31, v37, vcc
	v_add_u32_e32 v30, v33, v30
	v_cmp_eq_u16_sdwa vcc, v46, v35 src0_sel:BYTE_0 src1_sel:DWORD
	v_and_b32_e32 v33, 1, v46
	v_cndmask_b32_e32 v30, 0, v30, vcc
	v_and_b32_e32 v31, 1, v31
	v_cmp_eq_u32_e32 vcc, 1, v33
	v_subrev_u32_e32 v34, 64, v34
	v_add_u32_e32 v30, v30, v60
	v_cndmask_b32_e64 v31, v31, 1, vcc
.LBB752_94:                             ; =>This Loop Header: Depth=1
                                        ;     Child Loop BB752_97 Depth 2
	v_cmp_ne_u16_sdwa s[34:35], v32, v27 src0_sel:BYTE_0 src1_sel:DWORD
	v_mov_b32_e32 v46, v31
	v_cndmask_b32_e64 v31, 0, 1, s[34:35]
	;;#ASMSTART
	;;#ASMEND
	v_cmp_ne_u32_e32 vcc, 0, v31
	s_cmp_lg_u64 vcc, exec
	v_mov_b32_e32 v60, v30
	s_cbranch_scc1 .LBB752_99
; %bb.95:                               ;   in Loop: Header=BB752_94 Depth=1
	v_lshlrev_b64 v[30:31], 4, v[34:35]
	v_mov_b32_e32 v32, s45
	v_add_co_u32_e32 v36, vcc, s44, v30
	v_addc_co_u32_e32 v37, vcc, v32, v31, vcc
	;;#ASMSTART
	global_load_dwordx4 v[30:33], v[36:37] off glc	
s_waitcnt vmcnt(0)
	;;#ASMEND
	v_and_b32_e32 v33, 0xff0000, v30
	v_or_b32_sdwa v33, v30, v33 dst_sel:DWORD dst_unused:UNUSED_PAD src0_sel:WORD_0 src1_sel:DWORD
	v_and_b32_e32 v30, 0xff000000, v30
	v_and_b32_e32 v31, 0xff, v31
	v_or3_b32 v31, 0, 0, v31
	v_or3_b32 v30, v33, v30, 0
	v_cmp_eq_u16_sdwa s[54:55], v32, v35 src0_sel:BYTE_0 src1_sel:DWORD
	s_and_saveexec_b64 s[34:35], s[54:55]
	s_cbranch_execz .LBB752_93
; %bb.96:                               ;   in Loop: Header=BB752_94 Depth=1
	s_mov_b64 s[54:55], 0
.LBB752_97:                             ;   Parent Loop BB752_94 Depth=1
                                        ; =>  This Inner Loop Header: Depth=2
	;;#ASMSTART
	global_load_dwordx4 v[30:33], v[36:37] off glc	
s_waitcnt vmcnt(0)
	;;#ASMEND
	v_cmp_ne_u16_sdwa s[56:57], v32, v35 src0_sel:BYTE_0 src1_sel:DWORD
	s_or_b64 s[54:55], s[56:57], s[54:55]
	s_andn2_b64 exec, exec, s[54:55]
	s_cbranch_execnz .LBB752_97
; %bb.98:                               ;   in Loop: Header=BB752_94 Depth=1
	s_or_b64 exec, exec, s[54:55]
	v_and_b32_e32 v31, 0xff, v31
	s_branch .LBB752_93
.LBB752_99:                             ;   in Loop: Header=BB752_94 Depth=1
                                        ; implicit-def: $vgpr31
                                        ; implicit-def: $vgpr30
                                        ; implicit-def: $vgpr32
	s_cbranch_execz .LBB752_94
; %bb.100:
	s_and_saveexec_b64 s[34:35], s[28:29]
	s_cbranch_execz .LBB752_102
; %bb.101:
	s_and_b32 s47, s7, 0xff
	s_cmp_eq_u32 s47, 0
	s_cselect_b64 vcc, -1, 0
	s_bitcmp1_b32 s7, 0
	s_mov_b32 s49, 0
	s_cselect_b64 s[54:55], -1, 0
	s_add_i32 s48, s6, 64
	s_lshl_b64 s[6:7], s[48:49], 4
	v_cndmask_b32_e32 v27, 0, v60, vcc
	s_add_u32 s6, s44, s6
	v_add_u32_e32 v26, v27, v26
	v_and_b32_e32 v27, 1, v46
	s_addc_u32 s7, s45, s7
	v_mov_b32_e32 v29, 0
	v_cndmask_b32_e64 v27, v27, 1, s[54:55]
	v_mov_b32_e32 v28, 2
	v_pk_mov_b32 v[30:31], s[6:7], s[6:7] op_sel:[0,1]
	;;#ASMSTART
	global_store_dwordx4 v[30:31], v[26:29] off	
s_waitcnt vmcnt(0)
	;;#ASMEND
.LBB752_102:
	s_or_b64 exec, exec, s[34:35]
	v_cmp_eq_u32_e32 vcc, 0, v0
	s_and_b64 exec, exec, vcc
	s_cbranch_execz .LBB752_104
; %bb.103:
	v_mov_b32_e32 v26, 0
	ds_write_b32 v26, v60 offset:24
	ds_write_b8 v26, v46 offset:28
.LBB752_104:
	s_or_b64 exec, exec, s[40:41]
	s_mov_b32 s6, 0
	v_mov_b32_e32 v28, 0
	s_mov_b32 s7, 1
	s_waitcnt lgkmcnt(0)
	v_cndmask_b32_e64 v26, v45, v43, s[28:29]
	v_cndmask_b32_e64 v27, v44, v42, s[28:29]
	s_barrier
	ds_read_b32 v29, v28 offset:24
	v_cmp_gt_u64_e32 vcc, s[6:7], v[38:39]
	v_and_b32_e32 v30, 1, v39
	v_cndmask_b32_e32 v27, 0, v27, vcc
	v_and_b32_e32 v26, 1, v26
	v_cmp_eq_u32_e32 vcc, 1, v30
	v_cndmask_b32_e64 v26, v26, 1, vcc
	v_cmp_eq_u32_e32 vcc, 0, v0
	v_cndmask_b32_e32 v26, v26, v39, vcc
	v_cndmask_b32_e64 v27, v27, 0, vcc
	v_cmp_eq_u16_sdwa vcc, v26, v28 src0_sel:BYTE_0 src1_sel:DWORD
	s_waitcnt lgkmcnt(0)
	v_cndmask_b32_e32 v26, 0, v29, vcc
	v_add3_u32 v26, v27, v38, v26
	v_cndmask_b32_e64 v27, 0, v26, s[2:3]
	v_add_u32_e32 v27, v27, v2
	v_cndmask_b32_e64 v28, 0, v27, s[4:5]
	v_add_u32_e32 v42, v28, v4
	;; [unrolled: 2-line block ×13, first 2 shown]
	s_branch .LBB752_133
.LBB752_105:
	s_or_b64 exec, exec, s[30:31]
                                        ; implicit-def: $vgpr14
	s_and_saveexec_b64 s[30:31], s[2:3]
	s_cbranch_execz .LBB752_31
.LBB752_106:
	v_mov_b32_e32 v15, s47
	v_add_co_u32_e32 v14, vcc, s7, v12
	v_addc_co_u32_e32 v15, vcc, 0, v15, vcc
	flat_load_dword v14, v[14:15] offset:1024
	s_or_b64 exec, exec, s[30:31]
                                        ; implicit-def: $vgpr15
	s_and_saveexec_b64 s[2:3], s[4:5]
	s_cbranch_execnz .LBB752_32
.LBB752_107:
	s_or_b64 exec, exec, s[2:3]
                                        ; implicit-def: $vgpr16
	s_and_saveexec_b64 s[2:3], s[28:29]
	s_cbranch_execz .LBB752_33
.LBB752_108:
	v_mov_b32_e32 v17, s47
	v_add_co_u32_e32 v16, vcc, s7, v12
	v_addc_co_u32_e32 v17, vcc, 0, v17, vcc
	flat_load_dword v16, v[16:17] offset:3072
	s_or_b64 exec, exec, s[2:3]
                                        ; implicit-def: $vgpr17
	s_and_saveexec_b64 s[2:3], s[8:9]
	s_cbranch_execnz .LBB752_34
.LBB752_109:
	s_or_b64 exec, exec, s[2:3]
                                        ; implicit-def: $vgpr2
	s_and_saveexec_b64 s[2:3], s[10:11]
	s_cbranch_execz .LBB752_35
.LBB752_110:
	v_mov_b32_e32 v18, s47
	v_add_co_u32_e32 v2, vcc, s7, v3
	v_addc_co_u32_e32 v3, vcc, 0, v18, vcc
	flat_load_dword v2, v[2:3]
	s_or_b64 exec, exec, s[2:3]
                                        ; implicit-def: $vgpr3
	s_and_saveexec_b64 s[2:3], s[12:13]
	s_cbranch_execnz .LBB752_36
.LBB752_111:
	s_or_b64 exec, exec, s[2:3]
                                        ; implicit-def: $vgpr4
	s_and_saveexec_b64 s[2:3], s[14:15]
	s_cbranch_execz .LBB752_37
.LBB752_112:
	v_mov_b32_e32 v18, s47
	v_add_co_u32_e32 v4, vcc, s7, v5
	v_addc_co_u32_e32 v5, vcc, 0, v18, vcc
	flat_load_dword v4, v[4:5]
	s_or_b64 exec, exec, s[2:3]
                                        ; implicit-def: $vgpr5
	s_and_saveexec_b64 s[2:3], s[16:17]
	s_cbranch_execnz .LBB752_38
.LBB752_113:
	s_or_b64 exec, exec, s[2:3]
                                        ; implicit-def: $vgpr6
	s_and_saveexec_b64 s[2:3], s[18:19]
	s_cbranch_execz .LBB752_39
.LBB752_114:
	v_mov_b32_e32 v18, s47
	v_add_co_u32_e32 v6, vcc, s7, v7
	v_addc_co_u32_e32 v7, vcc, 0, v18, vcc
	flat_load_dword v6, v[6:7]
	s_or_b64 exec, exec, s[2:3]
                                        ; implicit-def: $vgpr7
	s_and_saveexec_b64 s[2:3], s[20:21]
	s_cbranch_execnz .LBB752_40
.LBB752_115:
	s_or_b64 exec, exec, s[2:3]
                                        ; implicit-def: $vgpr8
	s_and_saveexec_b64 s[2:3], s[22:23]
	s_cbranch_execz .LBB752_41
.LBB752_116:
	v_mov_b32_e32 v18, s47
	v_add_co_u32_e32 v8, vcc, s7, v9
	v_addc_co_u32_e32 v9, vcc, 0, v18, vcc
	flat_load_dword v8, v[8:9]
	s_or_b64 exec, exec, s[2:3]
                                        ; implicit-def: $vgpr9
	s_and_saveexec_b64 s[2:3], s[24:25]
	s_cbranch_execz .LBB752_43
	s_branch .LBB752_42
.LBB752_117:
                                        ; implicit-def: $vgpr49
                                        ; implicit-def: $vgpr47
                                        ; implicit-def: $vgpr45
                                        ; implicit-def: $vgpr43
                                        ; implicit-def: $vgpr34_vgpr35_vgpr36_vgpr37
                                        ; implicit-def: $vgpr30_vgpr31_vgpr32_vgpr33
                                        ; implicit-def: $vgpr26_vgpr27_vgpr28_vgpr29
	s_cbranch_execz .LBB752_133
; %bb.118:
	s_cmp_lg_u64 s[52:53], 0
	s_cselect_b32 s5, s51, 0
	s_cselect_b32 s4, s50, 0
	s_cmp_lg_u64 s[4:5], 0
	s_cselect_b64 s[6:7], -1, 0
	v_cmp_eq_u32_e32 vcc, 0, v0
	s_mov_b32 s28, 0
	v_cmp_ne_u32_e64 s[2:3], 0, v0
	s_and_b64 s[8:9], vcc, s[6:7]
	s_and_saveexec_b64 s[6:7], s[8:9]
	s_cbranch_execz .LBB752_120
; %bb.119:
	v_mov_b32_e32 v26, 0
	global_load_dword v28, v26, s[4:5]
	global_load_ubyte v29, v26, s[4:5] offset:4
	s_mov_b32 s29, 1
	v_and_b32_e32 v27, 1, v39
	v_cmp_gt_u64_e64 s[4:5], s[28:29], v[38:39]
	s_waitcnt vmcnt(1)
	v_cndmask_b32_e64 v28, 0, v28, s[4:5]
	s_waitcnt vmcnt(0)
	v_and_b32_e32 v29, 1, v29
	v_cmp_eq_u64_e64 s[4:5], 0, v[26:27]
	v_add_u32_e32 v38, v28, v38
	v_cndmask_b32_e64 v39, 1, v29, s[4:5]
.LBB752_120:
	s_or_b64 exec, exec, s[6:7]
	s_mov_b32 s29, 1
	v_cmp_gt_u64_e64 s[4:5], s[28:29], v[2:3]
	v_cndmask_b32_e64 v26, 0, v38, s[4:5]
	v_add_u32_e32 v27, v26, v2
	v_cmp_gt_u64_e64 s[6:7], s[28:29], v[4:5]
	v_cndmask_b32_e64 v26, 0, v27, s[6:7]
	v_add_u32_e32 v42, v26, v4
	v_cmp_gt_u64_e64 s[8:9], s[28:29], v[6:7]
	v_cndmask_b32_e64 v26, 0, v42, s[8:9]
	v_add_u32_e32 v43, v26, v6
	v_cmp_gt_u64_e64 s[10:11], s[28:29], v[8:9]
	v_cndmask_b32_e64 v26, 0, v43, s[10:11]
	v_add_u32_e32 v30, v26, v8
	v_cmp_gt_u64_e64 s[12:13], s[28:29], v[10:11]
	v_cndmask_b32_e64 v26, 0, v30, s[12:13]
	v_add_u32_e32 v31, v26, v10
	v_cmp_gt_u64_e64 s[14:15], s[28:29], v[12:13]
	v_cndmask_b32_e64 v26, 0, v31, s[14:15]
	v_add_u32_e32 v44, v26, v12
	v_cmp_gt_u64_e64 s[16:17], s[28:29], v[14:15]
	v_cndmask_b32_e64 v26, 0, v44, s[16:17]
	v_add_u32_e32 v45, v26, v14
	v_cmp_gt_u64_e64 s[18:19], s[28:29], v[16:17]
	v_mov_b32_e32 v28, 0
	v_cndmask_b32_e64 v26, 0, v45, s[18:19]
	v_or3_b32 v7, v23, v15, v7
	v_add_u32_e32 v34, v26, v16
	v_cmp_gt_u64_e64 s[20:21], s[28:29], v[18:19]
	v_or3_b32 v9, v25, v17, v9
	v_and_b32_e32 v55, 1, v7
	v_mov_b32_e32 v54, v28
	v_cndmask_b32_e64 v26, 0, v34, s[20:21]
	v_or3_b32 v3, v19, v11, v3
	v_and_b32_e32 v37, 1, v9
	v_mov_b32_e32 v36, v28
	v_cmp_ne_u64_e64 s[34:35], 0, v[54:55]
	v_add_u32_e32 v35, v26, v18
	v_cmp_gt_u64_e64 s[22:23], s[28:29], v[20:21]
	v_or3_b32 v5, v21, v13, v5
	v_and_b32_e32 v29, 1, v3
	v_cndmask_b32_e64 v3, 0, 1, s[34:35]
	v_cmp_ne_u64_e64 s[34:35], 0, v[36:37]
	v_cndmask_b32_e64 v26, 0, v35, s[22:23]
	v_and_b32_e32 v33, 1, v5
	v_mov_b32_e32 v32, v28
	v_cndmask_b32_e64 v5, 0, 1, s[34:35]
	v_add_u32_e32 v46, v26, v20
	v_cmp_gt_u64_e64 s[24:25], s[28:29], v[22:23]
	v_lshlrev_b16_e32 v3, 2, v3
	v_lshlrev_b16_e32 v5, 3, v5
	v_cmp_ne_u64_e64 s[34:35], 0, v[32:33]
	v_cndmask_b32_e64 v26, 0, v46, s[24:25]
	v_or_b32_e32 v3, v5, v3
	v_cndmask_b32_e64 v5, 0, 1, s[34:35]
	v_cmp_ne_u64_e64 s[34:35], 0, v[28:29]
	v_add_u32_e32 v47, v26, v22
	v_cmp_gt_u64_e64 s[26:27], s[28:29], v[24:25]
	v_lshlrev_b16_e32 v5, 1, v5
	v_cndmask_b32_e64 v7, 0, 1, s[34:35]
	v_cndmask_b32_e64 v26, 0, v47, s[26:27]
	v_or_b32_e32 v5, v7, v5
	v_add_u32_e32 v48, v26, v24
	v_cmp_gt_u64_e64 s[28:29], s[28:29], v[40:41]
	v_and_b32_e32 v5, 3, v5
	v_cndmask_b32_e64 v26, 0, v48, s[28:29]
	v_or_b32_e32 v3, v5, v3
	v_add_u32_e32 v49, v26, v40
	v_and_b32_e32 v26, 1, v41
	v_and_b32_e32 v3, 15, v3
	v_cmp_eq_u32_e64 s[30:31], 1, v26
	v_cmp_ne_u16_e64 s[34:35], 0, v3
	s_or_b64 s[30:31], s[30:31], s[34:35]
	v_cndmask_b32_e64 v5, v39, 1, s[30:31]
	v_mbcnt_hi_u32_b32 v3, -1, v52
	v_mov_b32_dpp v9, v49 row_shr:1 row_mask:0xf bank_mask:0xf
	v_mov_b32_dpp v11, v5 row_shr:1 row_mask:0xf bank_mask:0xf
	v_cmp_eq_u32_e64 s[30:31], 0, v5
	v_and_b32_e32 v13, 1, v5
	v_and_b32_e32 v7, 15, v3
	v_cndmask_b32_e64 v9, 0, v9, s[30:31]
	v_and_b32_e32 v11, 1, v11
	v_cmp_eq_u32_e64 s[30:31], 1, v13
	v_cndmask_b32_e64 v11, v11, 1, s[30:31]
	v_cmp_eq_u32_e64 s[30:31], 0, v7
	v_cndmask_b32_e64 v5, v11, v5, s[30:31]
	v_and_b32_e32 v15, 1, v5
	v_cmp_eq_u32_e64 s[34:35], 1, v15
	v_mov_b32_dpp v13, v5 row_shr:2 row_mask:0xf bank_mask:0xf
	v_and_b32_e32 v13, 1, v13
	v_cndmask_b32_e64 v13, v13, 1, s[34:35]
	v_cmp_lt_u32_e64 s[34:35], 1, v7
	v_cndmask_b32_e64 v9, v9, 0, s[30:31]
	v_cmp_eq_u32_e64 s[30:31], 0, v5
	v_cndmask_b32_e64 v5, v5, v13, s[34:35]
	v_add_u32_e32 v9, v49, v9
	v_and_b32_e32 v15, 1, v5
	v_mov_b32_dpp v13, v5 row_shr:4 row_mask:0xf bank_mask:0xf
	v_mov_b32_dpp v11, v9 row_shr:2 row_mask:0xf bank_mask:0xf
	s_and_b64 s[30:31], s[34:35], s[30:31]
	v_and_b32_e32 v13, 1, v13
	v_cmp_eq_u32_e64 s[34:35], 1, v15
	v_cndmask_b32_e64 v11, 0, v11, s[30:31]
	v_cndmask_b32_e64 v13, v13, 1, s[34:35]
	v_cmp_lt_u32_e64 s[34:35], 3, v7
	v_add_u32_e32 v9, v9, v11
	v_cmp_eq_u32_e64 s[30:31], 0, v5
	v_cndmask_b32_e64 v5, v5, v13, s[34:35]
	v_mov_b32_dpp v11, v9 row_shr:4 row_mask:0xf bank_mask:0xf
	s_and_b64 s[30:31], s[34:35], s[30:31]
	v_mov_b32_dpp v13, v5 row_shr:8 row_mask:0xf bank_mask:0xf
	v_and_b32_e32 v15, 1, v5
	v_cndmask_b32_e64 v11, 0, v11, s[30:31]
	v_and_b32_e32 v13, 1, v13
	v_cmp_eq_u32_e64 s[34:35], 1, v15
	v_add_u32_e32 v9, v9, v11
	v_cmp_eq_u32_e64 s[30:31], 0, v5
	v_cndmask_b32_e64 v13, v13, 1, s[34:35]
	v_cmp_lt_u32_e64 s[34:35], 7, v7
	v_mov_b32_dpp v11, v9 row_shr:8 row_mask:0xf bank_mask:0xf
	s_and_b64 s[30:31], s[34:35], s[30:31]
	v_cndmask_b32_e64 v7, 0, v11, s[30:31]
	v_cndmask_b32_e64 v5, v5, v13, s[34:35]
	v_add_u32_e32 v7, v9, v7
	v_cmp_eq_u32_e64 s[30:31], 0, v5
	v_mov_b32_dpp v11, v5 row_bcast:15 row_mask:0xf bank_mask:0xf
	v_mov_b32_dpp v9, v7 row_bcast:15 row_mask:0xf bank_mask:0xf
	v_and_b32_e32 v17, 1, v5
	v_and_b32_e32 v15, 16, v3
	v_cndmask_b32_e64 v9, 0, v9, s[30:31]
	v_and_b32_e32 v11, 1, v11
	v_cmp_eq_u32_e64 s[30:31], 1, v17
	v_bfe_i32 v13, v3, 4, 1
	v_cndmask_b32_e64 v11, v11, 1, s[30:31]
	v_cmp_eq_u32_e64 s[30:31], 0, v15
	v_and_b32_e32 v9, v13, v9
	v_cndmask_b32_e64 v5, v11, v5, s[30:31]
	v_add_u32_e32 v9, v7, v9
	v_and_b32_e32 v13, 1, v5
	v_mov_b32_dpp v7, v5 row_bcast:31 row_mask:0xf bank_mask:0xf
	v_and_b32_e32 v7, 1, v7
	v_cmp_eq_u32_e64 s[34:35], 1, v13
	v_cmp_eq_u32_e64 s[30:31], 0, v5
	v_cndmask_b32_e64 v7, v7, 1, s[34:35]
	v_cmp_lt_u32_e64 s[34:35], 31, v3
	v_mov_b32_dpp v11, v9 row_bcast:31 row_mask:0xf bank_mask:0xf
	s_and_b64 s[30:31], s[34:35], s[30:31]
	v_cndmask_b32_e64 v7, v5, v7, s[34:35]
	v_cndmask_b32_e64 v5, 0, v11, s[30:31]
	v_add_u32_e32 v5, v9, v5
	v_cmp_eq_u32_e64 s[30:31], v51, v0
	s_and_saveexec_b64 s[34:35], s[30:31]
	s_cbranch_execz .LBB752_122
; %bb.121:
	v_lshlrev_b32_e32 v9, 3, v1
	ds_write_b32 v9, v5
	ds_write_b8 v9, v7 offset:4
.LBB752_122:
	s_or_b64 exec, exec, s[34:35]
	v_cmp_gt_u32_e64 s[30:31], 4, v0
	s_waitcnt lgkmcnt(0)
	s_barrier
	s_and_saveexec_b64 s[34:35], s[30:31]
	s_cbranch_execz .LBB752_126
; %bb.123:
	v_lshlrev_b32_e32 v9, 3, v0
	ds_read_b64 v[28:29], v9
	v_and_b32_e32 v11, 3, v3
	v_cmp_ne_u32_e64 s[30:31], 0, v11
	s_waitcnt lgkmcnt(0)
	v_mov_b32_dpp v13, v28 row_shr:1 row_mask:0xf bank_mask:0xf
	v_mov_b32_dpp v17, v29 row_shr:1 row_mask:0xf bank_mask:0xf
	v_mov_b32_e32 v15, v29
	s_and_saveexec_b64 s[40:41], s[30:31]
	s_cbranch_execz .LBB752_125
; %bb.124:
	v_and_b32_e32 v15, 1, v29
	v_and_b32_e32 v17, 1, v17
	v_cmp_eq_u32_e64 s[30:31], 1, v15
	v_mov_b32_e32 v15, 0
	v_cndmask_b32_e64 v17, v17, 1, s[30:31]
	v_cmp_eq_u16_sdwa s[30:31], v29, v15 src0_sel:BYTE_0 src1_sel:DWORD
	v_cndmask_b32_e64 v13, 0, v13, s[30:31]
	v_add_u32_e32 v28, v13, v28
	v_and_b32_e32 v13, 0xffff, v17
	s_movk_i32 s30, 0xff00
	v_and_or_b32 v15, v29, s30, v13
	v_mov_b32_e32 v29, v17
.LBB752_125:
	s_or_b64 exec, exec, s[40:41]
	v_mov_b32_dpp v15, v15 row_shr:2 row_mask:0xf bank_mask:0xf
	v_and_b32_e32 v17, 1, v29
	v_and_b32_e32 v15, 1, v15
	v_cmp_eq_u32_e64 s[30:31], 1, v17
	v_mov_b32_e32 v17, 0
	v_cndmask_b32_e64 v15, v15, 1, s[30:31]
	v_cmp_eq_u16_sdwa s[40:41], v29, v17 src0_sel:BYTE_0 src1_sel:DWORD
	v_cmp_lt_u32_e64 s[30:31], 1, v11
	v_mov_b32_dpp v13, v28 row_shr:2 row_mask:0xf bank_mask:0xf
	v_cndmask_b32_e64 v11, v29, v15, s[30:31]
	s_and_b64 s[30:31], s[30:31], s[40:41]
	v_cndmask_b32_e64 v13, 0, v13, s[30:31]
	v_add_u32_e32 v13, v13, v28
	ds_write_b32 v9, v13
	ds_write_b8 v9, v11 offset:4
.LBB752_126:
	s_or_b64 exec, exec, s[34:35]
	v_cmp_lt_u32_e64 s[30:31], 63, v0
	v_mov_b32_e32 v9, 0
	s_waitcnt lgkmcnt(0)
	s_barrier
	s_and_saveexec_b64 s[34:35], s[30:31]
	s_cbranch_execz .LBB752_128
; %bb.127:
	v_lshl_add_u32 v1, v1, 3, -8
	ds_read_b32 v9, v1
	v_cmp_eq_u32_e64 s[30:31], 0, v7
	s_waitcnt lgkmcnt(0)
	v_cndmask_b32_e64 v1, 0, v9, s[30:31]
	v_add_u32_e32 v5, v1, v5
.LBB752_128:
	s_or_b64 exec, exec, s[34:35]
	v_add_u32_e32 v1, -1, v3
	v_and_b32_e32 v7, 64, v3
	v_cmp_lt_i32_e64 s[30:31], v1, v7
	v_cndmask_b32_e64 v1, v1, v3, s[30:31]
	v_lshlrev_b32_e32 v1, 2, v1
	ds_bpermute_b32 v1, v1, v5
	s_and_saveexec_b64 s[30:31], s[2:3]
	s_cbranch_execz .LBB752_130
; %bb.129:
	v_and_b32_e32 v27, 0xff, v39
	v_mov_b32_e32 v26, 0
	v_cmp_eq_u32_e64 s[2:3], 0, v3
	s_waitcnt lgkmcnt(0)
	v_cndmask_b32_e64 v1, v1, v9, s[2:3]
	v_cmp_eq_u64_e64 s[2:3], 0, v[26:27]
	v_cndmask_b32_e64 v1, 0, v1, s[2:3]
	v_add_u32_e32 v38, v1, v38
	v_cndmask_b32_e64 v1, 0, v38, s[4:5]
	v_add_u32_e32 v27, v1, v2
	;; [unrolled: 2-line block ×14, first 2 shown]
	;;#ASMSTART
	;;#ASMEND
.LBB752_130:
	s_or_b64 exec, exec, s[30:31]
	s_and_saveexec_b64 s[2:3], vcc
	s_cbranch_execz .LBB752_132
; %bb.131:
	v_mov_b32_e32 v5, 0
	ds_read_b32 v2, v5 offset:24
	ds_read_u8 v3, v5 offset:28
	s_add_u32 s4, s44, 0x400
	s_addc_u32 s5, s45, 0
	v_mov_b32_e32 v4, 2
	v_pk_mov_b32 v[6:7], s[4:5], s[4:5] op_sel:[0,1]
	s_waitcnt lgkmcnt(0)
	;;#ASMSTART
	global_store_dwordx4 v[6:7], v[2:5] off	
s_waitcnt vmcnt(0)
	;;#ASMEND
.LBB752_132:
	s_or_b64 exec, exec, s[2:3]
	v_mov_b32_e32 v26, v38
.LBB752_133:
	s_add_u32 s2, s42, s38
	s_addc_u32 s3, s43, s39
	s_add_u32 s4, s2, s36
	s_waitcnt lgkmcnt(0)
	v_mul_u32_u24_e32 v1, 14, v0
	s_addc_u32 s5, s3, s37
	s_and_b64 vcc, exec, s[0:1]
	v_lshlrev_b32_e32 v2, 2, v1
	s_cbranch_vccz .LBB752_161
; %bb.134:
	s_movk_i32 s0, 0xffcc
	v_mad_i32_i24 v3, v0, s0, v2
	s_barrier
	ds_write2_b64 v2, v[26:27], v[42:43] offset1:1
	ds_write2_b64 v2, v[30:31], v[44:45] offset0:2 offset1:3
	ds_write2_b64 v2, v[34:35], v[46:47] offset0:4 offset1:5
	ds_write_b64 v2, v[48:49] offset:48
	s_waitcnt lgkmcnt(0)
	s_barrier
	ds_read2st64_b32 v[16:17], v3 offset0:4 offset1:8
	ds_read2st64_b32 v[14:15], v3 offset0:12 offset1:16
	;; [unrolled: 1-line block ×6, first 2 shown]
	ds_read_b32 v3, v3 offset:13312
	v_mov_b32_e32 v7, s5
	v_add_co_u32_e32 v6, vcc, s4, v50
	s_add_i32 s33, s33, s46
	v_addc_co_u32_e32 v7, vcc, 0, v7, vcc
	v_mov_b32_e32 v1, 0
	v_cmp_gt_u32_e32 vcc, s33, v0
	s_and_saveexec_b64 s[0:1], vcc
	s_cbranch_execz .LBB752_136
; %bb.135:
	v_mul_i32_i24_e32 v18, 0xffffffcc, v0
	v_add_u32_e32 v18, v2, v18
	ds_read_b32 v18, v18
	s_waitcnt lgkmcnt(0)
	flat_store_dword v[6:7], v18
.LBB752_136:
	s_or_b64 exec, exec, s[0:1]
	v_or_b32_e32 v18, 0x100, v0
	v_cmp_gt_u32_e32 vcc, s33, v18
	s_and_saveexec_b64 s[0:1], vcc
	s_cbranch_execz .LBB752_138
; %bb.137:
	s_waitcnt lgkmcnt(0)
	flat_store_dword v[6:7], v16 offset:1024
.LBB752_138:
	s_or_b64 exec, exec, s[0:1]
	s_waitcnt lgkmcnt(0)
	v_or_b32_e32 v16, 0x200, v0
	v_cmp_gt_u32_e32 vcc, s33, v16
	s_and_saveexec_b64 s[0:1], vcc
	s_cbranch_execz .LBB752_140
; %bb.139:
	flat_store_dword v[6:7], v17 offset:2048
.LBB752_140:
	s_or_b64 exec, exec, s[0:1]
	v_or_b32_e32 v16, 0x300, v0
	v_cmp_gt_u32_e32 vcc, s33, v16
	s_and_saveexec_b64 s[0:1], vcc
	s_cbranch_execz .LBB752_142
; %bb.141:
	flat_store_dword v[6:7], v14 offset:3072
.LBB752_142:
	s_or_b64 exec, exec, s[0:1]
	v_or_b32_e32 v14, 0x400, v0
	v_cmp_gt_u32_e32 vcc, s33, v14
	s_and_saveexec_b64 s[0:1], vcc
	s_cbranch_execz .LBB752_144
; %bb.143:
	v_add_co_u32_e32 v16, vcc, 0x1000, v6
	v_addc_co_u32_e32 v17, vcc, 0, v7, vcc
	flat_store_dword v[16:17], v15
.LBB752_144:
	s_or_b64 exec, exec, s[0:1]
	v_or_b32_e32 v14, 0x500, v0
	v_cmp_gt_u32_e32 vcc, s33, v14
	s_and_saveexec_b64 s[0:1], vcc
	s_cbranch_execz .LBB752_146
; %bb.145:
	v_add_co_u32_e32 v14, vcc, 0x1000, v6
	v_addc_co_u32_e32 v15, vcc, 0, v7, vcc
	flat_store_dword v[14:15], v12 offset:1024
.LBB752_146:
	s_or_b64 exec, exec, s[0:1]
	v_or_b32_e32 v12, 0x600, v0
	v_cmp_gt_u32_e32 vcc, s33, v12
	s_and_saveexec_b64 s[0:1], vcc
	s_cbranch_execz .LBB752_148
; %bb.147:
	v_add_co_u32_e32 v14, vcc, 0x1000, v6
	v_addc_co_u32_e32 v15, vcc, 0, v7, vcc
	flat_store_dword v[14:15], v13 offset:2048
.LBB752_148:
	;; [unrolled: 10-line block ×3, first 2 shown]
	s_or_b64 exec, exec, s[0:1]
	v_or_b32_e32 v10, 0x800, v0
	v_cmp_gt_u32_e32 vcc, s33, v10
	s_and_saveexec_b64 s[0:1], vcc
	s_cbranch_execz .LBB752_152
; %bb.151:
	v_add_co_u32_e32 v12, vcc, 0x2000, v6
	v_addc_co_u32_e32 v13, vcc, 0, v7, vcc
	flat_store_dword v[12:13], v11
.LBB752_152:
	s_or_b64 exec, exec, s[0:1]
	v_or_b32_e32 v10, 0x900, v0
	v_cmp_gt_u32_e32 vcc, s33, v10
	s_and_saveexec_b64 s[0:1], vcc
	s_cbranch_execz .LBB752_154
; %bb.153:
	v_add_co_u32_e32 v10, vcc, 0x2000, v6
	v_addc_co_u32_e32 v11, vcc, 0, v7, vcc
	flat_store_dword v[10:11], v8 offset:1024
.LBB752_154:
	s_or_b64 exec, exec, s[0:1]
	v_or_b32_e32 v8, 0xa00, v0
	v_cmp_gt_u32_e32 vcc, s33, v8
	s_and_saveexec_b64 s[0:1], vcc
	s_cbranch_execz .LBB752_156
; %bb.155:
	v_add_co_u32_e32 v10, vcc, 0x2000, v6
	v_addc_co_u32_e32 v11, vcc, 0, v7, vcc
	flat_store_dword v[10:11], v9 offset:2048
.LBB752_156:
	;; [unrolled: 10-line block ×3, first 2 shown]
	s_or_b64 exec, exec, s[0:1]
	v_or_b32_e32 v4, 0xc00, v0
	v_cmp_gt_u32_e32 vcc, s33, v4
	s_and_saveexec_b64 s[0:1], vcc
	s_cbranch_execz .LBB752_160
; %bb.159:
	v_add_co_u32_e32 v6, vcc, 0x3000, v6
	v_addc_co_u32_e32 v7, vcc, 0, v7, vcc
	flat_store_dword v[6:7], v5
.LBB752_160:
	s_or_b64 exec, exec, s[0:1]
	v_or_b32_e32 v4, 0xd00, v0
	v_cmp_gt_u32_e64 s[0:1], s33, v4
	s_branch .LBB752_163
.LBB752_161:
	s_mov_b64 s[0:1], 0
                                        ; implicit-def: $vgpr3
	s_cbranch_execz .LBB752_163
; %bb.162:
	s_movk_i32 s2, 0xffcc
	s_waitcnt lgkmcnt(0)
	s_barrier
	ds_write2_b64 v2, v[26:27], v[42:43] offset1:1
	ds_write2_b64 v2, v[30:31], v[44:45] offset0:2 offset1:3
	ds_write2_b64 v2, v[34:35], v[46:47] offset0:4 offset1:5
	ds_write_b64 v2, v[48:49] offset:48
	v_mad_i32_i24 v2, v0, s2, v2
	v_mov_b32_e32 v17, s5
	v_add_co_u32_e32 v16, vcc, s4, v50
	s_waitcnt lgkmcnt(0)
	s_barrier
	ds_read2st64_b32 v[4:5], v2 offset1:4
	ds_read2st64_b32 v[6:7], v2 offset0:8 offset1:12
	ds_read2st64_b32 v[8:9], v2 offset0:16 offset1:20
	;; [unrolled: 1-line block ×6, first 2 shown]
	v_addc_co_u32_e32 v17, vcc, 0, v17, vcc
	s_movk_i32 s2, 0x1000
	s_waitcnt lgkmcnt(0)
	flat_store_dword v[16:17], v4
	flat_store_dword v[16:17], v5 offset:1024
	flat_store_dword v[16:17], v6 offset:2048
	;; [unrolled: 1-line block ×3, first 2 shown]
	v_add_co_u32_e32 v4, vcc, s2, v16
	v_addc_co_u32_e32 v5, vcc, 0, v17, vcc
	flat_store_dword v[4:5], v8
	flat_store_dword v[4:5], v9 offset:1024
	flat_store_dword v[4:5], v10 offset:2048
	flat_store_dword v[4:5], v11 offset:3072
	v_add_co_u32_e32 v4, vcc, 0x2000, v16
	v_addc_co_u32_e32 v5, vcc, 0, v17, vcc
	flat_store_dword v[4:5], v12
	flat_store_dword v[4:5], v13 offset:1024
	flat_store_dword v[4:5], v14 offset:2048
	;; [unrolled: 1-line block ×3, first 2 shown]
	v_add_co_u32_e32 v4, vcc, 0x3000, v16
	v_mov_b32_e32 v1, 0
	v_addc_co_u32_e32 v5, vcc, 0, v17, vcc
	s_or_b64 s[0:1], s[0:1], exec
	flat_store_dword v[4:5], v2
.LBB752_163:
	s_and_saveexec_b64 s[2:3], s[0:1]
	s_cbranch_execz .LBB752_165
; %bb.164:
	v_lshlrev_b64 v[0:1], 2, v[0:1]
	v_mov_b32_e32 v2, s5
	v_add_co_u32_e32 v0, vcc, s4, v0
	v_addc_co_u32_e32 v1, vcc, v2, v1, vcc
	v_add_co_u32_e32 v0, vcc, 0x3000, v0
	v_addc_co_u32_e32 v1, vcc, 0, v1, vcc
	flat_store_dword v[0:1], v3 offset:1024
	s_endpgm
.LBB752_165:
	s_endpgm
	.section	.rodata,"a",@progbits
	.p2align	6, 0x0
	.amdhsa_kernel _ZN7rocprim17ROCPRIM_400000_NS6detail17trampoline_kernelINS0_14default_configENS1_27scan_by_key_config_selectorIiiEEZZNS1_16scan_by_key_implILNS1_25lookback_scan_determinismE0ELb0ES3_N6thrust23THRUST_200600_302600_NS6detail15normal_iteratorINS9_10device_ptrIiEEEESE_SE_iNS9_4plusIiEE19head_flag_predicateiEE10hipError_tPvRmT2_T3_T4_T5_mT6_T7_P12ihipStream_tbENKUlT_T0_E_clISt17integral_constantIbLb0EESY_EEDaST_SU_EUlST_E_NS1_11comp_targetILNS1_3genE4ELNS1_11target_archE910ELNS1_3gpuE8ELNS1_3repE0EEENS1_30default_config_static_selectorELNS0_4arch9wavefront6targetE1EEEvT1_
		.amdhsa_group_segment_fixed_size 16384
		.amdhsa_private_segment_fixed_size 0
		.amdhsa_kernarg_size 112
		.amdhsa_user_sgpr_count 6
		.amdhsa_user_sgpr_private_segment_buffer 1
		.amdhsa_user_sgpr_dispatch_ptr 0
		.amdhsa_user_sgpr_queue_ptr 0
		.amdhsa_user_sgpr_kernarg_segment_ptr 1
		.amdhsa_user_sgpr_dispatch_id 0
		.amdhsa_user_sgpr_flat_scratch_init 0
		.amdhsa_user_sgpr_kernarg_preload_length 0
		.amdhsa_user_sgpr_kernarg_preload_offset 0
		.amdhsa_user_sgpr_private_segment_size 0
		.amdhsa_uses_dynamic_stack 0
		.amdhsa_system_sgpr_private_segment_wavefront_offset 0
		.amdhsa_system_sgpr_workgroup_id_x 1
		.amdhsa_system_sgpr_workgroup_id_y 0
		.amdhsa_system_sgpr_workgroup_id_z 0
		.amdhsa_system_sgpr_workgroup_info 0
		.amdhsa_system_vgpr_workitem_id 0
		.amdhsa_next_free_vgpr 65
		.amdhsa_next_free_sgpr 60
		.amdhsa_accum_offset 68
		.amdhsa_reserve_vcc 1
		.amdhsa_reserve_flat_scratch 0
		.amdhsa_float_round_mode_32 0
		.amdhsa_float_round_mode_16_64 0
		.amdhsa_float_denorm_mode_32 3
		.amdhsa_float_denorm_mode_16_64 3
		.amdhsa_dx10_clamp 1
		.amdhsa_ieee_mode 1
		.amdhsa_fp16_overflow 0
		.amdhsa_tg_split 0
		.amdhsa_exception_fp_ieee_invalid_op 0
		.amdhsa_exception_fp_denorm_src 0
		.amdhsa_exception_fp_ieee_div_zero 0
		.amdhsa_exception_fp_ieee_overflow 0
		.amdhsa_exception_fp_ieee_underflow 0
		.amdhsa_exception_fp_ieee_inexact 0
		.amdhsa_exception_int_div_zero 0
	.end_amdhsa_kernel
	.section	.text._ZN7rocprim17ROCPRIM_400000_NS6detail17trampoline_kernelINS0_14default_configENS1_27scan_by_key_config_selectorIiiEEZZNS1_16scan_by_key_implILNS1_25lookback_scan_determinismE0ELb0ES3_N6thrust23THRUST_200600_302600_NS6detail15normal_iteratorINS9_10device_ptrIiEEEESE_SE_iNS9_4plusIiEE19head_flag_predicateiEE10hipError_tPvRmT2_T3_T4_T5_mT6_T7_P12ihipStream_tbENKUlT_T0_E_clISt17integral_constantIbLb0EESY_EEDaST_SU_EUlST_E_NS1_11comp_targetILNS1_3genE4ELNS1_11target_archE910ELNS1_3gpuE8ELNS1_3repE0EEENS1_30default_config_static_selectorELNS0_4arch9wavefront6targetE1EEEvT1_,"axG",@progbits,_ZN7rocprim17ROCPRIM_400000_NS6detail17trampoline_kernelINS0_14default_configENS1_27scan_by_key_config_selectorIiiEEZZNS1_16scan_by_key_implILNS1_25lookback_scan_determinismE0ELb0ES3_N6thrust23THRUST_200600_302600_NS6detail15normal_iteratorINS9_10device_ptrIiEEEESE_SE_iNS9_4plusIiEE19head_flag_predicateiEE10hipError_tPvRmT2_T3_T4_T5_mT6_T7_P12ihipStream_tbENKUlT_T0_E_clISt17integral_constantIbLb0EESY_EEDaST_SU_EUlST_E_NS1_11comp_targetILNS1_3genE4ELNS1_11target_archE910ELNS1_3gpuE8ELNS1_3repE0EEENS1_30default_config_static_selectorELNS0_4arch9wavefront6targetE1EEEvT1_,comdat
.Lfunc_end752:
	.size	_ZN7rocprim17ROCPRIM_400000_NS6detail17trampoline_kernelINS0_14default_configENS1_27scan_by_key_config_selectorIiiEEZZNS1_16scan_by_key_implILNS1_25lookback_scan_determinismE0ELb0ES3_N6thrust23THRUST_200600_302600_NS6detail15normal_iteratorINS9_10device_ptrIiEEEESE_SE_iNS9_4plusIiEE19head_flag_predicateiEE10hipError_tPvRmT2_T3_T4_T5_mT6_T7_P12ihipStream_tbENKUlT_T0_E_clISt17integral_constantIbLb0EESY_EEDaST_SU_EUlST_E_NS1_11comp_targetILNS1_3genE4ELNS1_11target_archE910ELNS1_3gpuE8ELNS1_3repE0EEENS1_30default_config_static_selectorELNS0_4arch9wavefront6targetE1EEEvT1_, .Lfunc_end752-_ZN7rocprim17ROCPRIM_400000_NS6detail17trampoline_kernelINS0_14default_configENS1_27scan_by_key_config_selectorIiiEEZZNS1_16scan_by_key_implILNS1_25lookback_scan_determinismE0ELb0ES3_N6thrust23THRUST_200600_302600_NS6detail15normal_iteratorINS9_10device_ptrIiEEEESE_SE_iNS9_4plusIiEE19head_flag_predicateiEE10hipError_tPvRmT2_T3_T4_T5_mT6_T7_P12ihipStream_tbENKUlT_T0_E_clISt17integral_constantIbLb0EESY_EEDaST_SU_EUlST_E_NS1_11comp_targetILNS1_3genE4ELNS1_11target_archE910ELNS1_3gpuE8ELNS1_3repE0EEENS1_30default_config_static_selectorELNS0_4arch9wavefront6targetE1EEEvT1_
                                        ; -- End function
	.section	.AMDGPU.csdata,"",@progbits
; Kernel info:
; codeLenInByte = 10736
; NumSgprs: 64
; NumVgprs: 65
; NumAgprs: 0
; TotalNumVgprs: 65
; ScratchSize: 0
; MemoryBound: 0
; FloatMode: 240
; IeeeMode: 1
; LDSByteSize: 16384 bytes/workgroup (compile time only)
; SGPRBlocks: 7
; VGPRBlocks: 8
; NumSGPRsForWavesPerEU: 64
; NumVGPRsForWavesPerEU: 65
; AccumOffset: 68
; Occupancy: 4
; WaveLimiterHint : 1
; COMPUTE_PGM_RSRC2:SCRATCH_EN: 0
; COMPUTE_PGM_RSRC2:USER_SGPR: 6
; COMPUTE_PGM_RSRC2:TRAP_HANDLER: 0
; COMPUTE_PGM_RSRC2:TGID_X_EN: 1
; COMPUTE_PGM_RSRC2:TGID_Y_EN: 0
; COMPUTE_PGM_RSRC2:TGID_Z_EN: 0
; COMPUTE_PGM_RSRC2:TIDIG_COMP_CNT: 0
; COMPUTE_PGM_RSRC3_GFX90A:ACCUM_OFFSET: 16
; COMPUTE_PGM_RSRC3_GFX90A:TG_SPLIT: 0
	.section	.text._ZN7rocprim17ROCPRIM_400000_NS6detail17trampoline_kernelINS0_14default_configENS1_27scan_by_key_config_selectorIiiEEZZNS1_16scan_by_key_implILNS1_25lookback_scan_determinismE0ELb0ES3_N6thrust23THRUST_200600_302600_NS6detail15normal_iteratorINS9_10device_ptrIiEEEESE_SE_iNS9_4plusIiEE19head_flag_predicateiEE10hipError_tPvRmT2_T3_T4_T5_mT6_T7_P12ihipStream_tbENKUlT_T0_E_clISt17integral_constantIbLb0EESY_EEDaST_SU_EUlST_E_NS1_11comp_targetILNS1_3genE3ELNS1_11target_archE908ELNS1_3gpuE7ELNS1_3repE0EEENS1_30default_config_static_selectorELNS0_4arch9wavefront6targetE1EEEvT1_,"axG",@progbits,_ZN7rocprim17ROCPRIM_400000_NS6detail17trampoline_kernelINS0_14default_configENS1_27scan_by_key_config_selectorIiiEEZZNS1_16scan_by_key_implILNS1_25lookback_scan_determinismE0ELb0ES3_N6thrust23THRUST_200600_302600_NS6detail15normal_iteratorINS9_10device_ptrIiEEEESE_SE_iNS9_4plusIiEE19head_flag_predicateiEE10hipError_tPvRmT2_T3_T4_T5_mT6_T7_P12ihipStream_tbENKUlT_T0_E_clISt17integral_constantIbLb0EESY_EEDaST_SU_EUlST_E_NS1_11comp_targetILNS1_3genE3ELNS1_11target_archE908ELNS1_3gpuE7ELNS1_3repE0EEENS1_30default_config_static_selectorELNS0_4arch9wavefront6targetE1EEEvT1_,comdat
	.protected	_ZN7rocprim17ROCPRIM_400000_NS6detail17trampoline_kernelINS0_14default_configENS1_27scan_by_key_config_selectorIiiEEZZNS1_16scan_by_key_implILNS1_25lookback_scan_determinismE0ELb0ES3_N6thrust23THRUST_200600_302600_NS6detail15normal_iteratorINS9_10device_ptrIiEEEESE_SE_iNS9_4plusIiEE19head_flag_predicateiEE10hipError_tPvRmT2_T3_T4_T5_mT6_T7_P12ihipStream_tbENKUlT_T0_E_clISt17integral_constantIbLb0EESY_EEDaST_SU_EUlST_E_NS1_11comp_targetILNS1_3genE3ELNS1_11target_archE908ELNS1_3gpuE7ELNS1_3repE0EEENS1_30default_config_static_selectorELNS0_4arch9wavefront6targetE1EEEvT1_ ; -- Begin function _ZN7rocprim17ROCPRIM_400000_NS6detail17trampoline_kernelINS0_14default_configENS1_27scan_by_key_config_selectorIiiEEZZNS1_16scan_by_key_implILNS1_25lookback_scan_determinismE0ELb0ES3_N6thrust23THRUST_200600_302600_NS6detail15normal_iteratorINS9_10device_ptrIiEEEESE_SE_iNS9_4plusIiEE19head_flag_predicateiEE10hipError_tPvRmT2_T3_T4_T5_mT6_T7_P12ihipStream_tbENKUlT_T0_E_clISt17integral_constantIbLb0EESY_EEDaST_SU_EUlST_E_NS1_11comp_targetILNS1_3genE3ELNS1_11target_archE908ELNS1_3gpuE7ELNS1_3repE0EEENS1_30default_config_static_selectorELNS0_4arch9wavefront6targetE1EEEvT1_
	.globl	_ZN7rocprim17ROCPRIM_400000_NS6detail17trampoline_kernelINS0_14default_configENS1_27scan_by_key_config_selectorIiiEEZZNS1_16scan_by_key_implILNS1_25lookback_scan_determinismE0ELb0ES3_N6thrust23THRUST_200600_302600_NS6detail15normal_iteratorINS9_10device_ptrIiEEEESE_SE_iNS9_4plusIiEE19head_flag_predicateiEE10hipError_tPvRmT2_T3_T4_T5_mT6_T7_P12ihipStream_tbENKUlT_T0_E_clISt17integral_constantIbLb0EESY_EEDaST_SU_EUlST_E_NS1_11comp_targetILNS1_3genE3ELNS1_11target_archE908ELNS1_3gpuE7ELNS1_3repE0EEENS1_30default_config_static_selectorELNS0_4arch9wavefront6targetE1EEEvT1_
	.p2align	8
	.type	_ZN7rocprim17ROCPRIM_400000_NS6detail17trampoline_kernelINS0_14default_configENS1_27scan_by_key_config_selectorIiiEEZZNS1_16scan_by_key_implILNS1_25lookback_scan_determinismE0ELb0ES3_N6thrust23THRUST_200600_302600_NS6detail15normal_iteratorINS9_10device_ptrIiEEEESE_SE_iNS9_4plusIiEE19head_flag_predicateiEE10hipError_tPvRmT2_T3_T4_T5_mT6_T7_P12ihipStream_tbENKUlT_T0_E_clISt17integral_constantIbLb0EESY_EEDaST_SU_EUlST_E_NS1_11comp_targetILNS1_3genE3ELNS1_11target_archE908ELNS1_3gpuE7ELNS1_3repE0EEENS1_30default_config_static_selectorELNS0_4arch9wavefront6targetE1EEEvT1_,@function
_ZN7rocprim17ROCPRIM_400000_NS6detail17trampoline_kernelINS0_14default_configENS1_27scan_by_key_config_selectorIiiEEZZNS1_16scan_by_key_implILNS1_25lookback_scan_determinismE0ELb0ES3_N6thrust23THRUST_200600_302600_NS6detail15normal_iteratorINS9_10device_ptrIiEEEESE_SE_iNS9_4plusIiEE19head_flag_predicateiEE10hipError_tPvRmT2_T3_T4_T5_mT6_T7_P12ihipStream_tbENKUlT_T0_E_clISt17integral_constantIbLb0EESY_EEDaST_SU_EUlST_E_NS1_11comp_targetILNS1_3genE3ELNS1_11target_archE908ELNS1_3gpuE7ELNS1_3repE0EEENS1_30default_config_static_selectorELNS0_4arch9wavefront6targetE1EEEvT1_: ; @_ZN7rocprim17ROCPRIM_400000_NS6detail17trampoline_kernelINS0_14default_configENS1_27scan_by_key_config_selectorIiiEEZZNS1_16scan_by_key_implILNS1_25lookback_scan_determinismE0ELb0ES3_N6thrust23THRUST_200600_302600_NS6detail15normal_iteratorINS9_10device_ptrIiEEEESE_SE_iNS9_4plusIiEE19head_flag_predicateiEE10hipError_tPvRmT2_T3_T4_T5_mT6_T7_P12ihipStream_tbENKUlT_T0_E_clISt17integral_constantIbLb0EESY_EEDaST_SU_EUlST_E_NS1_11comp_targetILNS1_3genE3ELNS1_11target_archE908ELNS1_3gpuE7ELNS1_3repE0EEENS1_30default_config_static_selectorELNS0_4arch9wavefront6targetE1EEEvT1_
; %bb.0:
	.section	.rodata,"a",@progbits
	.p2align	6, 0x0
	.amdhsa_kernel _ZN7rocprim17ROCPRIM_400000_NS6detail17trampoline_kernelINS0_14default_configENS1_27scan_by_key_config_selectorIiiEEZZNS1_16scan_by_key_implILNS1_25lookback_scan_determinismE0ELb0ES3_N6thrust23THRUST_200600_302600_NS6detail15normal_iteratorINS9_10device_ptrIiEEEESE_SE_iNS9_4plusIiEE19head_flag_predicateiEE10hipError_tPvRmT2_T3_T4_T5_mT6_T7_P12ihipStream_tbENKUlT_T0_E_clISt17integral_constantIbLb0EESY_EEDaST_SU_EUlST_E_NS1_11comp_targetILNS1_3genE3ELNS1_11target_archE908ELNS1_3gpuE7ELNS1_3repE0EEENS1_30default_config_static_selectorELNS0_4arch9wavefront6targetE1EEEvT1_
		.amdhsa_group_segment_fixed_size 0
		.amdhsa_private_segment_fixed_size 0
		.amdhsa_kernarg_size 112
		.amdhsa_user_sgpr_count 6
		.amdhsa_user_sgpr_private_segment_buffer 1
		.amdhsa_user_sgpr_dispatch_ptr 0
		.amdhsa_user_sgpr_queue_ptr 0
		.amdhsa_user_sgpr_kernarg_segment_ptr 1
		.amdhsa_user_sgpr_dispatch_id 0
		.amdhsa_user_sgpr_flat_scratch_init 0
		.amdhsa_user_sgpr_kernarg_preload_length 0
		.amdhsa_user_sgpr_kernarg_preload_offset 0
		.amdhsa_user_sgpr_private_segment_size 0
		.amdhsa_uses_dynamic_stack 0
		.amdhsa_system_sgpr_private_segment_wavefront_offset 0
		.amdhsa_system_sgpr_workgroup_id_x 1
		.amdhsa_system_sgpr_workgroup_id_y 0
		.amdhsa_system_sgpr_workgroup_id_z 0
		.amdhsa_system_sgpr_workgroup_info 0
		.amdhsa_system_vgpr_workitem_id 0
		.amdhsa_next_free_vgpr 1
		.amdhsa_next_free_sgpr 0
		.amdhsa_accum_offset 4
		.amdhsa_reserve_vcc 0
		.amdhsa_reserve_flat_scratch 0
		.amdhsa_float_round_mode_32 0
		.amdhsa_float_round_mode_16_64 0
		.amdhsa_float_denorm_mode_32 3
		.amdhsa_float_denorm_mode_16_64 3
		.amdhsa_dx10_clamp 1
		.amdhsa_ieee_mode 1
		.amdhsa_fp16_overflow 0
		.amdhsa_tg_split 0
		.amdhsa_exception_fp_ieee_invalid_op 0
		.amdhsa_exception_fp_denorm_src 0
		.amdhsa_exception_fp_ieee_div_zero 0
		.amdhsa_exception_fp_ieee_overflow 0
		.amdhsa_exception_fp_ieee_underflow 0
		.amdhsa_exception_fp_ieee_inexact 0
		.amdhsa_exception_int_div_zero 0
	.end_amdhsa_kernel
	.section	.text._ZN7rocprim17ROCPRIM_400000_NS6detail17trampoline_kernelINS0_14default_configENS1_27scan_by_key_config_selectorIiiEEZZNS1_16scan_by_key_implILNS1_25lookback_scan_determinismE0ELb0ES3_N6thrust23THRUST_200600_302600_NS6detail15normal_iteratorINS9_10device_ptrIiEEEESE_SE_iNS9_4plusIiEE19head_flag_predicateiEE10hipError_tPvRmT2_T3_T4_T5_mT6_T7_P12ihipStream_tbENKUlT_T0_E_clISt17integral_constantIbLb0EESY_EEDaST_SU_EUlST_E_NS1_11comp_targetILNS1_3genE3ELNS1_11target_archE908ELNS1_3gpuE7ELNS1_3repE0EEENS1_30default_config_static_selectorELNS0_4arch9wavefront6targetE1EEEvT1_,"axG",@progbits,_ZN7rocprim17ROCPRIM_400000_NS6detail17trampoline_kernelINS0_14default_configENS1_27scan_by_key_config_selectorIiiEEZZNS1_16scan_by_key_implILNS1_25lookback_scan_determinismE0ELb0ES3_N6thrust23THRUST_200600_302600_NS6detail15normal_iteratorINS9_10device_ptrIiEEEESE_SE_iNS9_4plusIiEE19head_flag_predicateiEE10hipError_tPvRmT2_T3_T4_T5_mT6_T7_P12ihipStream_tbENKUlT_T0_E_clISt17integral_constantIbLb0EESY_EEDaST_SU_EUlST_E_NS1_11comp_targetILNS1_3genE3ELNS1_11target_archE908ELNS1_3gpuE7ELNS1_3repE0EEENS1_30default_config_static_selectorELNS0_4arch9wavefront6targetE1EEEvT1_,comdat
.Lfunc_end753:
	.size	_ZN7rocprim17ROCPRIM_400000_NS6detail17trampoline_kernelINS0_14default_configENS1_27scan_by_key_config_selectorIiiEEZZNS1_16scan_by_key_implILNS1_25lookback_scan_determinismE0ELb0ES3_N6thrust23THRUST_200600_302600_NS6detail15normal_iteratorINS9_10device_ptrIiEEEESE_SE_iNS9_4plusIiEE19head_flag_predicateiEE10hipError_tPvRmT2_T3_T4_T5_mT6_T7_P12ihipStream_tbENKUlT_T0_E_clISt17integral_constantIbLb0EESY_EEDaST_SU_EUlST_E_NS1_11comp_targetILNS1_3genE3ELNS1_11target_archE908ELNS1_3gpuE7ELNS1_3repE0EEENS1_30default_config_static_selectorELNS0_4arch9wavefront6targetE1EEEvT1_, .Lfunc_end753-_ZN7rocprim17ROCPRIM_400000_NS6detail17trampoline_kernelINS0_14default_configENS1_27scan_by_key_config_selectorIiiEEZZNS1_16scan_by_key_implILNS1_25lookback_scan_determinismE0ELb0ES3_N6thrust23THRUST_200600_302600_NS6detail15normal_iteratorINS9_10device_ptrIiEEEESE_SE_iNS9_4plusIiEE19head_flag_predicateiEE10hipError_tPvRmT2_T3_T4_T5_mT6_T7_P12ihipStream_tbENKUlT_T0_E_clISt17integral_constantIbLb0EESY_EEDaST_SU_EUlST_E_NS1_11comp_targetILNS1_3genE3ELNS1_11target_archE908ELNS1_3gpuE7ELNS1_3repE0EEENS1_30default_config_static_selectorELNS0_4arch9wavefront6targetE1EEEvT1_
                                        ; -- End function
	.section	.AMDGPU.csdata,"",@progbits
; Kernel info:
; codeLenInByte = 0
; NumSgprs: 4
; NumVgprs: 0
; NumAgprs: 0
; TotalNumVgprs: 0
; ScratchSize: 0
; MemoryBound: 0
; FloatMode: 240
; IeeeMode: 1
; LDSByteSize: 0 bytes/workgroup (compile time only)
; SGPRBlocks: 0
; VGPRBlocks: 0
; NumSGPRsForWavesPerEU: 4
; NumVGPRsForWavesPerEU: 1
; AccumOffset: 4
; Occupancy: 8
; WaveLimiterHint : 0
; COMPUTE_PGM_RSRC2:SCRATCH_EN: 0
; COMPUTE_PGM_RSRC2:USER_SGPR: 6
; COMPUTE_PGM_RSRC2:TRAP_HANDLER: 0
; COMPUTE_PGM_RSRC2:TGID_X_EN: 1
; COMPUTE_PGM_RSRC2:TGID_Y_EN: 0
; COMPUTE_PGM_RSRC2:TGID_Z_EN: 0
; COMPUTE_PGM_RSRC2:TIDIG_COMP_CNT: 0
; COMPUTE_PGM_RSRC3_GFX90A:ACCUM_OFFSET: 0
; COMPUTE_PGM_RSRC3_GFX90A:TG_SPLIT: 0
	.section	.text._ZN7rocprim17ROCPRIM_400000_NS6detail17trampoline_kernelINS0_14default_configENS1_27scan_by_key_config_selectorIiiEEZZNS1_16scan_by_key_implILNS1_25lookback_scan_determinismE0ELb0ES3_N6thrust23THRUST_200600_302600_NS6detail15normal_iteratorINS9_10device_ptrIiEEEESE_SE_iNS9_4plusIiEE19head_flag_predicateiEE10hipError_tPvRmT2_T3_T4_T5_mT6_T7_P12ihipStream_tbENKUlT_T0_E_clISt17integral_constantIbLb0EESY_EEDaST_SU_EUlST_E_NS1_11comp_targetILNS1_3genE2ELNS1_11target_archE906ELNS1_3gpuE6ELNS1_3repE0EEENS1_30default_config_static_selectorELNS0_4arch9wavefront6targetE1EEEvT1_,"axG",@progbits,_ZN7rocprim17ROCPRIM_400000_NS6detail17trampoline_kernelINS0_14default_configENS1_27scan_by_key_config_selectorIiiEEZZNS1_16scan_by_key_implILNS1_25lookback_scan_determinismE0ELb0ES3_N6thrust23THRUST_200600_302600_NS6detail15normal_iteratorINS9_10device_ptrIiEEEESE_SE_iNS9_4plusIiEE19head_flag_predicateiEE10hipError_tPvRmT2_T3_T4_T5_mT6_T7_P12ihipStream_tbENKUlT_T0_E_clISt17integral_constantIbLb0EESY_EEDaST_SU_EUlST_E_NS1_11comp_targetILNS1_3genE2ELNS1_11target_archE906ELNS1_3gpuE6ELNS1_3repE0EEENS1_30default_config_static_selectorELNS0_4arch9wavefront6targetE1EEEvT1_,comdat
	.protected	_ZN7rocprim17ROCPRIM_400000_NS6detail17trampoline_kernelINS0_14default_configENS1_27scan_by_key_config_selectorIiiEEZZNS1_16scan_by_key_implILNS1_25lookback_scan_determinismE0ELb0ES3_N6thrust23THRUST_200600_302600_NS6detail15normal_iteratorINS9_10device_ptrIiEEEESE_SE_iNS9_4plusIiEE19head_flag_predicateiEE10hipError_tPvRmT2_T3_T4_T5_mT6_T7_P12ihipStream_tbENKUlT_T0_E_clISt17integral_constantIbLb0EESY_EEDaST_SU_EUlST_E_NS1_11comp_targetILNS1_3genE2ELNS1_11target_archE906ELNS1_3gpuE6ELNS1_3repE0EEENS1_30default_config_static_selectorELNS0_4arch9wavefront6targetE1EEEvT1_ ; -- Begin function _ZN7rocprim17ROCPRIM_400000_NS6detail17trampoline_kernelINS0_14default_configENS1_27scan_by_key_config_selectorIiiEEZZNS1_16scan_by_key_implILNS1_25lookback_scan_determinismE0ELb0ES3_N6thrust23THRUST_200600_302600_NS6detail15normal_iteratorINS9_10device_ptrIiEEEESE_SE_iNS9_4plusIiEE19head_flag_predicateiEE10hipError_tPvRmT2_T3_T4_T5_mT6_T7_P12ihipStream_tbENKUlT_T0_E_clISt17integral_constantIbLb0EESY_EEDaST_SU_EUlST_E_NS1_11comp_targetILNS1_3genE2ELNS1_11target_archE906ELNS1_3gpuE6ELNS1_3repE0EEENS1_30default_config_static_selectorELNS0_4arch9wavefront6targetE1EEEvT1_
	.globl	_ZN7rocprim17ROCPRIM_400000_NS6detail17trampoline_kernelINS0_14default_configENS1_27scan_by_key_config_selectorIiiEEZZNS1_16scan_by_key_implILNS1_25lookback_scan_determinismE0ELb0ES3_N6thrust23THRUST_200600_302600_NS6detail15normal_iteratorINS9_10device_ptrIiEEEESE_SE_iNS9_4plusIiEE19head_flag_predicateiEE10hipError_tPvRmT2_T3_T4_T5_mT6_T7_P12ihipStream_tbENKUlT_T0_E_clISt17integral_constantIbLb0EESY_EEDaST_SU_EUlST_E_NS1_11comp_targetILNS1_3genE2ELNS1_11target_archE906ELNS1_3gpuE6ELNS1_3repE0EEENS1_30default_config_static_selectorELNS0_4arch9wavefront6targetE1EEEvT1_
	.p2align	8
	.type	_ZN7rocprim17ROCPRIM_400000_NS6detail17trampoline_kernelINS0_14default_configENS1_27scan_by_key_config_selectorIiiEEZZNS1_16scan_by_key_implILNS1_25lookback_scan_determinismE0ELb0ES3_N6thrust23THRUST_200600_302600_NS6detail15normal_iteratorINS9_10device_ptrIiEEEESE_SE_iNS9_4plusIiEE19head_flag_predicateiEE10hipError_tPvRmT2_T3_T4_T5_mT6_T7_P12ihipStream_tbENKUlT_T0_E_clISt17integral_constantIbLb0EESY_EEDaST_SU_EUlST_E_NS1_11comp_targetILNS1_3genE2ELNS1_11target_archE906ELNS1_3gpuE6ELNS1_3repE0EEENS1_30default_config_static_selectorELNS0_4arch9wavefront6targetE1EEEvT1_,@function
_ZN7rocprim17ROCPRIM_400000_NS6detail17trampoline_kernelINS0_14default_configENS1_27scan_by_key_config_selectorIiiEEZZNS1_16scan_by_key_implILNS1_25lookback_scan_determinismE0ELb0ES3_N6thrust23THRUST_200600_302600_NS6detail15normal_iteratorINS9_10device_ptrIiEEEESE_SE_iNS9_4plusIiEE19head_flag_predicateiEE10hipError_tPvRmT2_T3_T4_T5_mT6_T7_P12ihipStream_tbENKUlT_T0_E_clISt17integral_constantIbLb0EESY_EEDaST_SU_EUlST_E_NS1_11comp_targetILNS1_3genE2ELNS1_11target_archE906ELNS1_3gpuE6ELNS1_3repE0EEENS1_30default_config_static_selectorELNS0_4arch9wavefront6targetE1EEEvT1_: ; @_ZN7rocprim17ROCPRIM_400000_NS6detail17trampoline_kernelINS0_14default_configENS1_27scan_by_key_config_selectorIiiEEZZNS1_16scan_by_key_implILNS1_25lookback_scan_determinismE0ELb0ES3_N6thrust23THRUST_200600_302600_NS6detail15normal_iteratorINS9_10device_ptrIiEEEESE_SE_iNS9_4plusIiEE19head_flag_predicateiEE10hipError_tPvRmT2_T3_T4_T5_mT6_T7_P12ihipStream_tbENKUlT_T0_E_clISt17integral_constantIbLb0EESY_EEDaST_SU_EUlST_E_NS1_11comp_targetILNS1_3genE2ELNS1_11target_archE906ELNS1_3gpuE6ELNS1_3repE0EEENS1_30default_config_static_selectorELNS0_4arch9wavefront6targetE1EEEvT1_
; %bb.0:
	.section	.rodata,"a",@progbits
	.p2align	6, 0x0
	.amdhsa_kernel _ZN7rocprim17ROCPRIM_400000_NS6detail17trampoline_kernelINS0_14default_configENS1_27scan_by_key_config_selectorIiiEEZZNS1_16scan_by_key_implILNS1_25lookback_scan_determinismE0ELb0ES3_N6thrust23THRUST_200600_302600_NS6detail15normal_iteratorINS9_10device_ptrIiEEEESE_SE_iNS9_4plusIiEE19head_flag_predicateiEE10hipError_tPvRmT2_T3_T4_T5_mT6_T7_P12ihipStream_tbENKUlT_T0_E_clISt17integral_constantIbLb0EESY_EEDaST_SU_EUlST_E_NS1_11comp_targetILNS1_3genE2ELNS1_11target_archE906ELNS1_3gpuE6ELNS1_3repE0EEENS1_30default_config_static_selectorELNS0_4arch9wavefront6targetE1EEEvT1_
		.amdhsa_group_segment_fixed_size 0
		.amdhsa_private_segment_fixed_size 0
		.amdhsa_kernarg_size 112
		.amdhsa_user_sgpr_count 6
		.amdhsa_user_sgpr_private_segment_buffer 1
		.amdhsa_user_sgpr_dispatch_ptr 0
		.amdhsa_user_sgpr_queue_ptr 0
		.amdhsa_user_sgpr_kernarg_segment_ptr 1
		.amdhsa_user_sgpr_dispatch_id 0
		.amdhsa_user_sgpr_flat_scratch_init 0
		.amdhsa_user_sgpr_kernarg_preload_length 0
		.amdhsa_user_sgpr_kernarg_preload_offset 0
		.amdhsa_user_sgpr_private_segment_size 0
		.amdhsa_uses_dynamic_stack 0
		.amdhsa_system_sgpr_private_segment_wavefront_offset 0
		.amdhsa_system_sgpr_workgroup_id_x 1
		.amdhsa_system_sgpr_workgroup_id_y 0
		.amdhsa_system_sgpr_workgroup_id_z 0
		.amdhsa_system_sgpr_workgroup_info 0
		.amdhsa_system_vgpr_workitem_id 0
		.amdhsa_next_free_vgpr 1
		.amdhsa_next_free_sgpr 0
		.amdhsa_accum_offset 4
		.amdhsa_reserve_vcc 0
		.amdhsa_reserve_flat_scratch 0
		.amdhsa_float_round_mode_32 0
		.amdhsa_float_round_mode_16_64 0
		.amdhsa_float_denorm_mode_32 3
		.amdhsa_float_denorm_mode_16_64 3
		.amdhsa_dx10_clamp 1
		.amdhsa_ieee_mode 1
		.amdhsa_fp16_overflow 0
		.amdhsa_tg_split 0
		.amdhsa_exception_fp_ieee_invalid_op 0
		.amdhsa_exception_fp_denorm_src 0
		.amdhsa_exception_fp_ieee_div_zero 0
		.amdhsa_exception_fp_ieee_overflow 0
		.amdhsa_exception_fp_ieee_underflow 0
		.amdhsa_exception_fp_ieee_inexact 0
		.amdhsa_exception_int_div_zero 0
	.end_amdhsa_kernel
	.section	.text._ZN7rocprim17ROCPRIM_400000_NS6detail17trampoline_kernelINS0_14default_configENS1_27scan_by_key_config_selectorIiiEEZZNS1_16scan_by_key_implILNS1_25lookback_scan_determinismE0ELb0ES3_N6thrust23THRUST_200600_302600_NS6detail15normal_iteratorINS9_10device_ptrIiEEEESE_SE_iNS9_4plusIiEE19head_flag_predicateiEE10hipError_tPvRmT2_T3_T4_T5_mT6_T7_P12ihipStream_tbENKUlT_T0_E_clISt17integral_constantIbLb0EESY_EEDaST_SU_EUlST_E_NS1_11comp_targetILNS1_3genE2ELNS1_11target_archE906ELNS1_3gpuE6ELNS1_3repE0EEENS1_30default_config_static_selectorELNS0_4arch9wavefront6targetE1EEEvT1_,"axG",@progbits,_ZN7rocprim17ROCPRIM_400000_NS6detail17trampoline_kernelINS0_14default_configENS1_27scan_by_key_config_selectorIiiEEZZNS1_16scan_by_key_implILNS1_25lookback_scan_determinismE0ELb0ES3_N6thrust23THRUST_200600_302600_NS6detail15normal_iteratorINS9_10device_ptrIiEEEESE_SE_iNS9_4plusIiEE19head_flag_predicateiEE10hipError_tPvRmT2_T3_T4_T5_mT6_T7_P12ihipStream_tbENKUlT_T0_E_clISt17integral_constantIbLb0EESY_EEDaST_SU_EUlST_E_NS1_11comp_targetILNS1_3genE2ELNS1_11target_archE906ELNS1_3gpuE6ELNS1_3repE0EEENS1_30default_config_static_selectorELNS0_4arch9wavefront6targetE1EEEvT1_,comdat
.Lfunc_end754:
	.size	_ZN7rocprim17ROCPRIM_400000_NS6detail17trampoline_kernelINS0_14default_configENS1_27scan_by_key_config_selectorIiiEEZZNS1_16scan_by_key_implILNS1_25lookback_scan_determinismE0ELb0ES3_N6thrust23THRUST_200600_302600_NS6detail15normal_iteratorINS9_10device_ptrIiEEEESE_SE_iNS9_4plusIiEE19head_flag_predicateiEE10hipError_tPvRmT2_T3_T4_T5_mT6_T7_P12ihipStream_tbENKUlT_T0_E_clISt17integral_constantIbLb0EESY_EEDaST_SU_EUlST_E_NS1_11comp_targetILNS1_3genE2ELNS1_11target_archE906ELNS1_3gpuE6ELNS1_3repE0EEENS1_30default_config_static_selectorELNS0_4arch9wavefront6targetE1EEEvT1_, .Lfunc_end754-_ZN7rocprim17ROCPRIM_400000_NS6detail17trampoline_kernelINS0_14default_configENS1_27scan_by_key_config_selectorIiiEEZZNS1_16scan_by_key_implILNS1_25lookback_scan_determinismE0ELb0ES3_N6thrust23THRUST_200600_302600_NS6detail15normal_iteratorINS9_10device_ptrIiEEEESE_SE_iNS9_4plusIiEE19head_flag_predicateiEE10hipError_tPvRmT2_T3_T4_T5_mT6_T7_P12ihipStream_tbENKUlT_T0_E_clISt17integral_constantIbLb0EESY_EEDaST_SU_EUlST_E_NS1_11comp_targetILNS1_3genE2ELNS1_11target_archE906ELNS1_3gpuE6ELNS1_3repE0EEENS1_30default_config_static_selectorELNS0_4arch9wavefront6targetE1EEEvT1_
                                        ; -- End function
	.section	.AMDGPU.csdata,"",@progbits
; Kernel info:
; codeLenInByte = 0
; NumSgprs: 4
; NumVgprs: 0
; NumAgprs: 0
; TotalNumVgprs: 0
; ScratchSize: 0
; MemoryBound: 0
; FloatMode: 240
; IeeeMode: 1
; LDSByteSize: 0 bytes/workgroup (compile time only)
; SGPRBlocks: 0
; VGPRBlocks: 0
; NumSGPRsForWavesPerEU: 4
; NumVGPRsForWavesPerEU: 1
; AccumOffset: 4
; Occupancy: 8
; WaveLimiterHint : 0
; COMPUTE_PGM_RSRC2:SCRATCH_EN: 0
; COMPUTE_PGM_RSRC2:USER_SGPR: 6
; COMPUTE_PGM_RSRC2:TRAP_HANDLER: 0
; COMPUTE_PGM_RSRC2:TGID_X_EN: 1
; COMPUTE_PGM_RSRC2:TGID_Y_EN: 0
; COMPUTE_PGM_RSRC2:TGID_Z_EN: 0
; COMPUTE_PGM_RSRC2:TIDIG_COMP_CNT: 0
; COMPUTE_PGM_RSRC3_GFX90A:ACCUM_OFFSET: 0
; COMPUTE_PGM_RSRC3_GFX90A:TG_SPLIT: 0
	.section	.text._ZN7rocprim17ROCPRIM_400000_NS6detail17trampoline_kernelINS0_14default_configENS1_27scan_by_key_config_selectorIiiEEZZNS1_16scan_by_key_implILNS1_25lookback_scan_determinismE0ELb0ES3_N6thrust23THRUST_200600_302600_NS6detail15normal_iteratorINS9_10device_ptrIiEEEESE_SE_iNS9_4plusIiEE19head_flag_predicateiEE10hipError_tPvRmT2_T3_T4_T5_mT6_T7_P12ihipStream_tbENKUlT_T0_E_clISt17integral_constantIbLb0EESY_EEDaST_SU_EUlST_E_NS1_11comp_targetILNS1_3genE10ELNS1_11target_archE1200ELNS1_3gpuE4ELNS1_3repE0EEENS1_30default_config_static_selectorELNS0_4arch9wavefront6targetE1EEEvT1_,"axG",@progbits,_ZN7rocprim17ROCPRIM_400000_NS6detail17trampoline_kernelINS0_14default_configENS1_27scan_by_key_config_selectorIiiEEZZNS1_16scan_by_key_implILNS1_25lookback_scan_determinismE0ELb0ES3_N6thrust23THRUST_200600_302600_NS6detail15normal_iteratorINS9_10device_ptrIiEEEESE_SE_iNS9_4plusIiEE19head_flag_predicateiEE10hipError_tPvRmT2_T3_T4_T5_mT6_T7_P12ihipStream_tbENKUlT_T0_E_clISt17integral_constantIbLb0EESY_EEDaST_SU_EUlST_E_NS1_11comp_targetILNS1_3genE10ELNS1_11target_archE1200ELNS1_3gpuE4ELNS1_3repE0EEENS1_30default_config_static_selectorELNS0_4arch9wavefront6targetE1EEEvT1_,comdat
	.protected	_ZN7rocprim17ROCPRIM_400000_NS6detail17trampoline_kernelINS0_14default_configENS1_27scan_by_key_config_selectorIiiEEZZNS1_16scan_by_key_implILNS1_25lookback_scan_determinismE0ELb0ES3_N6thrust23THRUST_200600_302600_NS6detail15normal_iteratorINS9_10device_ptrIiEEEESE_SE_iNS9_4plusIiEE19head_flag_predicateiEE10hipError_tPvRmT2_T3_T4_T5_mT6_T7_P12ihipStream_tbENKUlT_T0_E_clISt17integral_constantIbLb0EESY_EEDaST_SU_EUlST_E_NS1_11comp_targetILNS1_3genE10ELNS1_11target_archE1200ELNS1_3gpuE4ELNS1_3repE0EEENS1_30default_config_static_selectorELNS0_4arch9wavefront6targetE1EEEvT1_ ; -- Begin function _ZN7rocprim17ROCPRIM_400000_NS6detail17trampoline_kernelINS0_14default_configENS1_27scan_by_key_config_selectorIiiEEZZNS1_16scan_by_key_implILNS1_25lookback_scan_determinismE0ELb0ES3_N6thrust23THRUST_200600_302600_NS6detail15normal_iteratorINS9_10device_ptrIiEEEESE_SE_iNS9_4plusIiEE19head_flag_predicateiEE10hipError_tPvRmT2_T3_T4_T5_mT6_T7_P12ihipStream_tbENKUlT_T0_E_clISt17integral_constantIbLb0EESY_EEDaST_SU_EUlST_E_NS1_11comp_targetILNS1_3genE10ELNS1_11target_archE1200ELNS1_3gpuE4ELNS1_3repE0EEENS1_30default_config_static_selectorELNS0_4arch9wavefront6targetE1EEEvT1_
	.globl	_ZN7rocprim17ROCPRIM_400000_NS6detail17trampoline_kernelINS0_14default_configENS1_27scan_by_key_config_selectorIiiEEZZNS1_16scan_by_key_implILNS1_25lookback_scan_determinismE0ELb0ES3_N6thrust23THRUST_200600_302600_NS6detail15normal_iteratorINS9_10device_ptrIiEEEESE_SE_iNS9_4plusIiEE19head_flag_predicateiEE10hipError_tPvRmT2_T3_T4_T5_mT6_T7_P12ihipStream_tbENKUlT_T0_E_clISt17integral_constantIbLb0EESY_EEDaST_SU_EUlST_E_NS1_11comp_targetILNS1_3genE10ELNS1_11target_archE1200ELNS1_3gpuE4ELNS1_3repE0EEENS1_30default_config_static_selectorELNS0_4arch9wavefront6targetE1EEEvT1_
	.p2align	8
	.type	_ZN7rocprim17ROCPRIM_400000_NS6detail17trampoline_kernelINS0_14default_configENS1_27scan_by_key_config_selectorIiiEEZZNS1_16scan_by_key_implILNS1_25lookback_scan_determinismE0ELb0ES3_N6thrust23THRUST_200600_302600_NS6detail15normal_iteratorINS9_10device_ptrIiEEEESE_SE_iNS9_4plusIiEE19head_flag_predicateiEE10hipError_tPvRmT2_T3_T4_T5_mT6_T7_P12ihipStream_tbENKUlT_T0_E_clISt17integral_constantIbLb0EESY_EEDaST_SU_EUlST_E_NS1_11comp_targetILNS1_3genE10ELNS1_11target_archE1200ELNS1_3gpuE4ELNS1_3repE0EEENS1_30default_config_static_selectorELNS0_4arch9wavefront6targetE1EEEvT1_,@function
_ZN7rocprim17ROCPRIM_400000_NS6detail17trampoline_kernelINS0_14default_configENS1_27scan_by_key_config_selectorIiiEEZZNS1_16scan_by_key_implILNS1_25lookback_scan_determinismE0ELb0ES3_N6thrust23THRUST_200600_302600_NS6detail15normal_iteratorINS9_10device_ptrIiEEEESE_SE_iNS9_4plusIiEE19head_flag_predicateiEE10hipError_tPvRmT2_T3_T4_T5_mT6_T7_P12ihipStream_tbENKUlT_T0_E_clISt17integral_constantIbLb0EESY_EEDaST_SU_EUlST_E_NS1_11comp_targetILNS1_3genE10ELNS1_11target_archE1200ELNS1_3gpuE4ELNS1_3repE0EEENS1_30default_config_static_selectorELNS0_4arch9wavefront6targetE1EEEvT1_: ; @_ZN7rocprim17ROCPRIM_400000_NS6detail17trampoline_kernelINS0_14default_configENS1_27scan_by_key_config_selectorIiiEEZZNS1_16scan_by_key_implILNS1_25lookback_scan_determinismE0ELb0ES3_N6thrust23THRUST_200600_302600_NS6detail15normal_iteratorINS9_10device_ptrIiEEEESE_SE_iNS9_4plusIiEE19head_flag_predicateiEE10hipError_tPvRmT2_T3_T4_T5_mT6_T7_P12ihipStream_tbENKUlT_T0_E_clISt17integral_constantIbLb0EESY_EEDaST_SU_EUlST_E_NS1_11comp_targetILNS1_3genE10ELNS1_11target_archE1200ELNS1_3gpuE4ELNS1_3repE0EEENS1_30default_config_static_selectorELNS0_4arch9wavefront6targetE1EEEvT1_
; %bb.0:
	.section	.rodata,"a",@progbits
	.p2align	6, 0x0
	.amdhsa_kernel _ZN7rocprim17ROCPRIM_400000_NS6detail17trampoline_kernelINS0_14default_configENS1_27scan_by_key_config_selectorIiiEEZZNS1_16scan_by_key_implILNS1_25lookback_scan_determinismE0ELb0ES3_N6thrust23THRUST_200600_302600_NS6detail15normal_iteratorINS9_10device_ptrIiEEEESE_SE_iNS9_4plusIiEE19head_flag_predicateiEE10hipError_tPvRmT2_T3_T4_T5_mT6_T7_P12ihipStream_tbENKUlT_T0_E_clISt17integral_constantIbLb0EESY_EEDaST_SU_EUlST_E_NS1_11comp_targetILNS1_3genE10ELNS1_11target_archE1200ELNS1_3gpuE4ELNS1_3repE0EEENS1_30default_config_static_selectorELNS0_4arch9wavefront6targetE1EEEvT1_
		.amdhsa_group_segment_fixed_size 0
		.amdhsa_private_segment_fixed_size 0
		.amdhsa_kernarg_size 112
		.amdhsa_user_sgpr_count 6
		.amdhsa_user_sgpr_private_segment_buffer 1
		.amdhsa_user_sgpr_dispatch_ptr 0
		.amdhsa_user_sgpr_queue_ptr 0
		.amdhsa_user_sgpr_kernarg_segment_ptr 1
		.amdhsa_user_sgpr_dispatch_id 0
		.amdhsa_user_sgpr_flat_scratch_init 0
		.amdhsa_user_sgpr_kernarg_preload_length 0
		.amdhsa_user_sgpr_kernarg_preload_offset 0
		.amdhsa_user_sgpr_private_segment_size 0
		.amdhsa_uses_dynamic_stack 0
		.amdhsa_system_sgpr_private_segment_wavefront_offset 0
		.amdhsa_system_sgpr_workgroup_id_x 1
		.amdhsa_system_sgpr_workgroup_id_y 0
		.amdhsa_system_sgpr_workgroup_id_z 0
		.amdhsa_system_sgpr_workgroup_info 0
		.amdhsa_system_vgpr_workitem_id 0
		.amdhsa_next_free_vgpr 1
		.amdhsa_next_free_sgpr 0
		.amdhsa_accum_offset 4
		.amdhsa_reserve_vcc 0
		.amdhsa_reserve_flat_scratch 0
		.amdhsa_float_round_mode_32 0
		.amdhsa_float_round_mode_16_64 0
		.amdhsa_float_denorm_mode_32 3
		.amdhsa_float_denorm_mode_16_64 3
		.amdhsa_dx10_clamp 1
		.amdhsa_ieee_mode 1
		.amdhsa_fp16_overflow 0
		.amdhsa_tg_split 0
		.amdhsa_exception_fp_ieee_invalid_op 0
		.amdhsa_exception_fp_denorm_src 0
		.amdhsa_exception_fp_ieee_div_zero 0
		.amdhsa_exception_fp_ieee_overflow 0
		.amdhsa_exception_fp_ieee_underflow 0
		.amdhsa_exception_fp_ieee_inexact 0
		.amdhsa_exception_int_div_zero 0
	.end_amdhsa_kernel
	.section	.text._ZN7rocprim17ROCPRIM_400000_NS6detail17trampoline_kernelINS0_14default_configENS1_27scan_by_key_config_selectorIiiEEZZNS1_16scan_by_key_implILNS1_25lookback_scan_determinismE0ELb0ES3_N6thrust23THRUST_200600_302600_NS6detail15normal_iteratorINS9_10device_ptrIiEEEESE_SE_iNS9_4plusIiEE19head_flag_predicateiEE10hipError_tPvRmT2_T3_T4_T5_mT6_T7_P12ihipStream_tbENKUlT_T0_E_clISt17integral_constantIbLb0EESY_EEDaST_SU_EUlST_E_NS1_11comp_targetILNS1_3genE10ELNS1_11target_archE1200ELNS1_3gpuE4ELNS1_3repE0EEENS1_30default_config_static_selectorELNS0_4arch9wavefront6targetE1EEEvT1_,"axG",@progbits,_ZN7rocprim17ROCPRIM_400000_NS6detail17trampoline_kernelINS0_14default_configENS1_27scan_by_key_config_selectorIiiEEZZNS1_16scan_by_key_implILNS1_25lookback_scan_determinismE0ELb0ES3_N6thrust23THRUST_200600_302600_NS6detail15normal_iteratorINS9_10device_ptrIiEEEESE_SE_iNS9_4plusIiEE19head_flag_predicateiEE10hipError_tPvRmT2_T3_T4_T5_mT6_T7_P12ihipStream_tbENKUlT_T0_E_clISt17integral_constantIbLb0EESY_EEDaST_SU_EUlST_E_NS1_11comp_targetILNS1_3genE10ELNS1_11target_archE1200ELNS1_3gpuE4ELNS1_3repE0EEENS1_30default_config_static_selectorELNS0_4arch9wavefront6targetE1EEEvT1_,comdat
.Lfunc_end755:
	.size	_ZN7rocprim17ROCPRIM_400000_NS6detail17trampoline_kernelINS0_14default_configENS1_27scan_by_key_config_selectorIiiEEZZNS1_16scan_by_key_implILNS1_25lookback_scan_determinismE0ELb0ES3_N6thrust23THRUST_200600_302600_NS6detail15normal_iteratorINS9_10device_ptrIiEEEESE_SE_iNS9_4plusIiEE19head_flag_predicateiEE10hipError_tPvRmT2_T3_T4_T5_mT6_T7_P12ihipStream_tbENKUlT_T0_E_clISt17integral_constantIbLb0EESY_EEDaST_SU_EUlST_E_NS1_11comp_targetILNS1_3genE10ELNS1_11target_archE1200ELNS1_3gpuE4ELNS1_3repE0EEENS1_30default_config_static_selectorELNS0_4arch9wavefront6targetE1EEEvT1_, .Lfunc_end755-_ZN7rocprim17ROCPRIM_400000_NS6detail17trampoline_kernelINS0_14default_configENS1_27scan_by_key_config_selectorIiiEEZZNS1_16scan_by_key_implILNS1_25lookback_scan_determinismE0ELb0ES3_N6thrust23THRUST_200600_302600_NS6detail15normal_iteratorINS9_10device_ptrIiEEEESE_SE_iNS9_4plusIiEE19head_flag_predicateiEE10hipError_tPvRmT2_T3_T4_T5_mT6_T7_P12ihipStream_tbENKUlT_T0_E_clISt17integral_constantIbLb0EESY_EEDaST_SU_EUlST_E_NS1_11comp_targetILNS1_3genE10ELNS1_11target_archE1200ELNS1_3gpuE4ELNS1_3repE0EEENS1_30default_config_static_selectorELNS0_4arch9wavefront6targetE1EEEvT1_
                                        ; -- End function
	.section	.AMDGPU.csdata,"",@progbits
; Kernel info:
; codeLenInByte = 0
; NumSgprs: 4
; NumVgprs: 0
; NumAgprs: 0
; TotalNumVgprs: 0
; ScratchSize: 0
; MemoryBound: 0
; FloatMode: 240
; IeeeMode: 1
; LDSByteSize: 0 bytes/workgroup (compile time only)
; SGPRBlocks: 0
; VGPRBlocks: 0
; NumSGPRsForWavesPerEU: 4
; NumVGPRsForWavesPerEU: 1
; AccumOffset: 4
; Occupancy: 8
; WaveLimiterHint : 0
; COMPUTE_PGM_RSRC2:SCRATCH_EN: 0
; COMPUTE_PGM_RSRC2:USER_SGPR: 6
; COMPUTE_PGM_RSRC2:TRAP_HANDLER: 0
; COMPUTE_PGM_RSRC2:TGID_X_EN: 1
; COMPUTE_PGM_RSRC2:TGID_Y_EN: 0
; COMPUTE_PGM_RSRC2:TGID_Z_EN: 0
; COMPUTE_PGM_RSRC2:TIDIG_COMP_CNT: 0
; COMPUTE_PGM_RSRC3_GFX90A:ACCUM_OFFSET: 0
; COMPUTE_PGM_RSRC3_GFX90A:TG_SPLIT: 0
	.section	.text._ZN7rocprim17ROCPRIM_400000_NS6detail17trampoline_kernelINS0_14default_configENS1_27scan_by_key_config_selectorIiiEEZZNS1_16scan_by_key_implILNS1_25lookback_scan_determinismE0ELb0ES3_N6thrust23THRUST_200600_302600_NS6detail15normal_iteratorINS9_10device_ptrIiEEEESE_SE_iNS9_4plusIiEE19head_flag_predicateiEE10hipError_tPvRmT2_T3_T4_T5_mT6_T7_P12ihipStream_tbENKUlT_T0_E_clISt17integral_constantIbLb0EESY_EEDaST_SU_EUlST_E_NS1_11comp_targetILNS1_3genE9ELNS1_11target_archE1100ELNS1_3gpuE3ELNS1_3repE0EEENS1_30default_config_static_selectorELNS0_4arch9wavefront6targetE1EEEvT1_,"axG",@progbits,_ZN7rocprim17ROCPRIM_400000_NS6detail17trampoline_kernelINS0_14default_configENS1_27scan_by_key_config_selectorIiiEEZZNS1_16scan_by_key_implILNS1_25lookback_scan_determinismE0ELb0ES3_N6thrust23THRUST_200600_302600_NS6detail15normal_iteratorINS9_10device_ptrIiEEEESE_SE_iNS9_4plusIiEE19head_flag_predicateiEE10hipError_tPvRmT2_T3_T4_T5_mT6_T7_P12ihipStream_tbENKUlT_T0_E_clISt17integral_constantIbLb0EESY_EEDaST_SU_EUlST_E_NS1_11comp_targetILNS1_3genE9ELNS1_11target_archE1100ELNS1_3gpuE3ELNS1_3repE0EEENS1_30default_config_static_selectorELNS0_4arch9wavefront6targetE1EEEvT1_,comdat
	.protected	_ZN7rocprim17ROCPRIM_400000_NS6detail17trampoline_kernelINS0_14default_configENS1_27scan_by_key_config_selectorIiiEEZZNS1_16scan_by_key_implILNS1_25lookback_scan_determinismE0ELb0ES3_N6thrust23THRUST_200600_302600_NS6detail15normal_iteratorINS9_10device_ptrIiEEEESE_SE_iNS9_4plusIiEE19head_flag_predicateiEE10hipError_tPvRmT2_T3_T4_T5_mT6_T7_P12ihipStream_tbENKUlT_T0_E_clISt17integral_constantIbLb0EESY_EEDaST_SU_EUlST_E_NS1_11comp_targetILNS1_3genE9ELNS1_11target_archE1100ELNS1_3gpuE3ELNS1_3repE0EEENS1_30default_config_static_selectorELNS0_4arch9wavefront6targetE1EEEvT1_ ; -- Begin function _ZN7rocprim17ROCPRIM_400000_NS6detail17trampoline_kernelINS0_14default_configENS1_27scan_by_key_config_selectorIiiEEZZNS1_16scan_by_key_implILNS1_25lookback_scan_determinismE0ELb0ES3_N6thrust23THRUST_200600_302600_NS6detail15normal_iteratorINS9_10device_ptrIiEEEESE_SE_iNS9_4plusIiEE19head_flag_predicateiEE10hipError_tPvRmT2_T3_T4_T5_mT6_T7_P12ihipStream_tbENKUlT_T0_E_clISt17integral_constantIbLb0EESY_EEDaST_SU_EUlST_E_NS1_11comp_targetILNS1_3genE9ELNS1_11target_archE1100ELNS1_3gpuE3ELNS1_3repE0EEENS1_30default_config_static_selectorELNS0_4arch9wavefront6targetE1EEEvT1_
	.globl	_ZN7rocprim17ROCPRIM_400000_NS6detail17trampoline_kernelINS0_14default_configENS1_27scan_by_key_config_selectorIiiEEZZNS1_16scan_by_key_implILNS1_25lookback_scan_determinismE0ELb0ES3_N6thrust23THRUST_200600_302600_NS6detail15normal_iteratorINS9_10device_ptrIiEEEESE_SE_iNS9_4plusIiEE19head_flag_predicateiEE10hipError_tPvRmT2_T3_T4_T5_mT6_T7_P12ihipStream_tbENKUlT_T0_E_clISt17integral_constantIbLb0EESY_EEDaST_SU_EUlST_E_NS1_11comp_targetILNS1_3genE9ELNS1_11target_archE1100ELNS1_3gpuE3ELNS1_3repE0EEENS1_30default_config_static_selectorELNS0_4arch9wavefront6targetE1EEEvT1_
	.p2align	8
	.type	_ZN7rocprim17ROCPRIM_400000_NS6detail17trampoline_kernelINS0_14default_configENS1_27scan_by_key_config_selectorIiiEEZZNS1_16scan_by_key_implILNS1_25lookback_scan_determinismE0ELb0ES3_N6thrust23THRUST_200600_302600_NS6detail15normal_iteratorINS9_10device_ptrIiEEEESE_SE_iNS9_4plusIiEE19head_flag_predicateiEE10hipError_tPvRmT2_T3_T4_T5_mT6_T7_P12ihipStream_tbENKUlT_T0_E_clISt17integral_constantIbLb0EESY_EEDaST_SU_EUlST_E_NS1_11comp_targetILNS1_3genE9ELNS1_11target_archE1100ELNS1_3gpuE3ELNS1_3repE0EEENS1_30default_config_static_selectorELNS0_4arch9wavefront6targetE1EEEvT1_,@function
_ZN7rocprim17ROCPRIM_400000_NS6detail17trampoline_kernelINS0_14default_configENS1_27scan_by_key_config_selectorIiiEEZZNS1_16scan_by_key_implILNS1_25lookback_scan_determinismE0ELb0ES3_N6thrust23THRUST_200600_302600_NS6detail15normal_iteratorINS9_10device_ptrIiEEEESE_SE_iNS9_4plusIiEE19head_flag_predicateiEE10hipError_tPvRmT2_T3_T4_T5_mT6_T7_P12ihipStream_tbENKUlT_T0_E_clISt17integral_constantIbLb0EESY_EEDaST_SU_EUlST_E_NS1_11comp_targetILNS1_3genE9ELNS1_11target_archE1100ELNS1_3gpuE3ELNS1_3repE0EEENS1_30default_config_static_selectorELNS0_4arch9wavefront6targetE1EEEvT1_: ; @_ZN7rocprim17ROCPRIM_400000_NS6detail17trampoline_kernelINS0_14default_configENS1_27scan_by_key_config_selectorIiiEEZZNS1_16scan_by_key_implILNS1_25lookback_scan_determinismE0ELb0ES3_N6thrust23THRUST_200600_302600_NS6detail15normal_iteratorINS9_10device_ptrIiEEEESE_SE_iNS9_4plusIiEE19head_flag_predicateiEE10hipError_tPvRmT2_T3_T4_T5_mT6_T7_P12ihipStream_tbENKUlT_T0_E_clISt17integral_constantIbLb0EESY_EEDaST_SU_EUlST_E_NS1_11comp_targetILNS1_3genE9ELNS1_11target_archE1100ELNS1_3gpuE3ELNS1_3repE0EEENS1_30default_config_static_selectorELNS0_4arch9wavefront6targetE1EEEvT1_
; %bb.0:
	.section	.rodata,"a",@progbits
	.p2align	6, 0x0
	.amdhsa_kernel _ZN7rocprim17ROCPRIM_400000_NS6detail17trampoline_kernelINS0_14default_configENS1_27scan_by_key_config_selectorIiiEEZZNS1_16scan_by_key_implILNS1_25lookback_scan_determinismE0ELb0ES3_N6thrust23THRUST_200600_302600_NS6detail15normal_iteratorINS9_10device_ptrIiEEEESE_SE_iNS9_4plusIiEE19head_flag_predicateiEE10hipError_tPvRmT2_T3_T4_T5_mT6_T7_P12ihipStream_tbENKUlT_T0_E_clISt17integral_constantIbLb0EESY_EEDaST_SU_EUlST_E_NS1_11comp_targetILNS1_3genE9ELNS1_11target_archE1100ELNS1_3gpuE3ELNS1_3repE0EEENS1_30default_config_static_selectorELNS0_4arch9wavefront6targetE1EEEvT1_
		.amdhsa_group_segment_fixed_size 0
		.amdhsa_private_segment_fixed_size 0
		.amdhsa_kernarg_size 112
		.amdhsa_user_sgpr_count 6
		.amdhsa_user_sgpr_private_segment_buffer 1
		.amdhsa_user_sgpr_dispatch_ptr 0
		.amdhsa_user_sgpr_queue_ptr 0
		.amdhsa_user_sgpr_kernarg_segment_ptr 1
		.amdhsa_user_sgpr_dispatch_id 0
		.amdhsa_user_sgpr_flat_scratch_init 0
		.amdhsa_user_sgpr_kernarg_preload_length 0
		.amdhsa_user_sgpr_kernarg_preload_offset 0
		.amdhsa_user_sgpr_private_segment_size 0
		.amdhsa_uses_dynamic_stack 0
		.amdhsa_system_sgpr_private_segment_wavefront_offset 0
		.amdhsa_system_sgpr_workgroup_id_x 1
		.amdhsa_system_sgpr_workgroup_id_y 0
		.amdhsa_system_sgpr_workgroup_id_z 0
		.amdhsa_system_sgpr_workgroup_info 0
		.amdhsa_system_vgpr_workitem_id 0
		.amdhsa_next_free_vgpr 1
		.amdhsa_next_free_sgpr 0
		.amdhsa_accum_offset 4
		.amdhsa_reserve_vcc 0
		.amdhsa_reserve_flat_scratch 0
		.amdhsa_float_round_mode_32 0
		.amdhsa_float_round_mode_16_64 0
		.amdhsa_float_denorm_mode_32 3
		.amdhsa_float_denorm_mode_16_64 3
		.amdhsa_dx10_clamp 1
		.amdhsa_ieee_mode 1
		.amdhsa_fp16_overflow 0
		.amdhsa_tg_split 0
		.amdhsa_exception_fp_ieee_invalid_op 0
		.amdhsa_exception_fp_denorm_src 0
		.amdhsa_exception_fp_ieee_div_zero 0
		.amdhsa_exception_fp_ieee_overflow 0
		.amdhsa_exception_fp_ieee_underflow 0
		.amdhsa_exception_fp_ieee_inexact 0
		.amdhsa_exception_int_div_zero 0
	.end_amdhsa_kernel
	.section	.text._ZN7rocprim17ROCPRIM_400000_NS6detail17trampoline_kernelINS0_14default_configENS1_27scan_by_key_config_selectorIiiEEZZNS1_16scan_by_key_implILNS1_25lookback_scan_determinismE0ELb0ES3_N6thrust23THRUST_200600_302600_NS6detail15normal_iteratorINS9_10device_ptrIiEEEESE_SE_iNS9_4plusIiEE19head_flag_predicateiEE10hipError_tPvRmT2_T3_T4_T5_mT6_T7_P12ihipStream_tbENKUlT_T0_E_clISt17integral_constantIbLb0EESY_EEDaST_SU_EUlST_E_NS1_11comp_targetILNS1_3genE9ELNS1_11target_archE1100ELNS1_3gpuE3ELNS1_3repE0EEENS1_30default_config_static_selectorELNS0_4arch9wavefront6targetE1EEEvT1_,"axG",@progbits,_ZN7rocprim17ROCPRIM_400000_NS6detail17trampoline_kernelINS0_14default_configENS1_27scan_by_key_config_selectorIiiEEZZNS1_16scan_by_key_implILNS1_25lookback_scan_determinismE0ELb0ES3_N6thrust23THRUST_200600_302600_NS6detail15normal_iteratorINS9_10device_ptrIiEEEESE_SE_iNS9_4plusIiEE19head_flag_predicateiEE10hipError_tPvRmT2_T3_T4_T5_mT6_T7_P12ihipStream_tbENKUlT_T0_E_clISt17integral_constantIbLb0EESY_EEDaST_SU_EUlST_E_NS1_11comp_targetILNS1_3genE9ELNS1_11target_archE1100ELNS1_3gpuE3ELNS1_3repE0EEENS1_30default_config_static_selectorELNS0_4arch9wavefront6targetE1EEEvT1_,comdat
.Lfunc_end756:
	.size	_ZN7rocprim17ROCPRIM_400000_NS6detail17trampoline_kernelINS0_14default_configENS1_27scan_by_key_config_selectorIiiEEZZNS1_16scan_by_key_implILNS1_25lookback_scan_determinismE0ELb0ES3_N6thrust23THRUST_200600_302600_NS6detail15normal_iteratorINS9_10device_ptrIiEEEESE_SE_iNS9_4plusIiEE19head_flag_predicateiEE10hipError_tPvRmT2_T3_T4_T5_mT6_T7_P12ihipStream_tbENKUlT_T0_E_clISt17integral_constantIbLb0EESY_EEDaST_SU_EUlST_E_NS1_11comp_targetILNS1_3genE9ELNS1_11target_archE1100ELNS1_3gpuE3ELNS1_3repE0EEENS1_30default_config_static_selectorELNS0_4arch9wavefront6targetE1EEEvT1_, .Lfunc_end756-_ZN7rocprim17ROCPRIM_400000_NS6detail17trampoline_kernelINS0_14default_configENS1_27scan_by_key_config_selectorIiiEEZZNS1_16scan_by_key_implILNS1_25lookback_scan_determinismE0ELb0ES3_N6thrust23THRUST_200600_302600_NS6detail15normal_iteratorINS9_10device_ptrIiEEEESE_SE_iNS9_4plusIiEE19head_flag_predicateiEE10hipError_tPvRmT2_T3_T4_T5_mT6_T7_P12ihipStream_tbENKUlT_T0_E_clISt17integral_constantIbLb0EESY_EEDaST_SU_EUlST_E_NS1_11comp_targetILNS1_3genE9ELNS1_11target_archE1100ELNS1_3gpuE3ELNS1_3repE0EEENS1_30default_config_static_selectorELNS0_4arch9wavefront6targetE1EEEvT1_
                                        ; -- End function
	.section	.AMDGPU.csdata,"",@progbits
; Kernel info:
; codeLenInByte = 0
; NumSgprs: 4
; NumVgprs: 0
; NumAgprs: 0
; TotalNumVgprs: 0
; ScratchSize: 0
; MemoryBound: 0
; FloatMode: 240
; IeeeMode: 1
; LDSByteSize: 0 bytes/workgroup (compile time only)
; SGPRBlocks: 0
; VGPRBlocks: 0
; NumSGPRsForWavesPerEU: 4
; NumVGPRsForWavesPerEU: 1
; AccumOffset: 4
; Occupancy: 8
; WaveLimiterHint : 0
; COMPUTE_PGM_RSRC2:SCRATCH_EN: 0
; COMPUTE_PGM_RSRC2:USER_SGPR: 6
; COMPUTE_PGM_RSRC2:TRAP_HANDLER: 0
; COMPUTE_PGM_RSRC2:TGID_X_EN: 1
; COMPUTE_PGM_RSRC2:TGID_Y_EN: 0
; COMPUTE_PGM_RSRC2:TGID_Z_EN: 0
; COMPUTE_PGM_RSRC2:TIDIG_COMP_CNT: 0
; COMPUTE_PGM_RSRC3_GFX90A:ACCUM_OFFSET: 0
; COMPUTE_PGM_RSRC3_GFX90A:TG_SPLIT: 0
	.section	.text._ZN7rocprim17ROCPRIM_400000_NS6detail17trampoline_kernelINS0_14default_configENS1_27scan_by_key_config_selectorIiiEEZZNS1_16scan_by_key_implILNS1_25lookback_scan_determinismE0ELb0ES3_N6thrust23THRUST_200600_302600_NS6detail15normal_iteratorINS9_10device_ptrIiEEEESE_SE_iNS9_4plusIiEE19head_flag_predicateiEE10hipError_tPvRmT2_T3_T4_T5_mT6_T7_P12ihipStream_tbENKUlT_T0_E_clISt17integral_constantIbLb0EESY_EEDaST_SU_EUlST_E_NS1_11comp_targetILNS1_3genE8ELNS1_11target_archE1030ELNS1_3gpuE2ELNS1_3repE0EEENS1_30default_config_static_selectorELNS0_4arch9wavefront6targetE1EEEvT1_,"axG",@progbits,_ZN7rocprim17ROCPRIM_400000_NS6detail17trampoline_kernelINS0_14default_configENS1_27scan_by_key_config_selectorIiiEEZZNS1_16scan_by_key_implILNS1_25lookback_scan_determinismE0ELb0ES3_N6thrust23THRUST_200600_302600_NS6detail15normal_iteratorINS9_10device_ptrIiEEEESE_SE_iNS9_4plusIiEE19head_flag_predicateiEE10hipError_tPvRmT2_T3_T4_T5_mT6_T7_P12ihipStream_tbENKUlT_T0_E_clISt17integral_constantIbLb0EESY_EEDaST_SU_EUlST_E_NS1_11comp_targetILNS1_3genE8ELNS1_11target_archE1030ELNS1_3gpuE2ELNS1_3repE0EEENS1_30default_config_static_selectorELNS0_4arch9wavefront6targetE1EEEvT1_,comdat
	.protected	_ZN7rocprim17ROCPRIM_400000_NS6detail17trampoline_kernelINS0_14default_configENS1_27scan_by_key_config_selectorIiiEEZZNS1_16scan_by_key_implILNS1_25lookback_scan_determinismE0ELb0ES3_N6thrust23THRUST_200600_302600_NS6detail15normal_iteratorINS9_10device_ptrIiEEEESE_SE_iNS9_4plusIiEE19head_flag_predicateiEE10hipError_tPvRmT2_T3_T4_T5_mT6_T7_P12ihipStream_tbENKUlT_T0_E_clISt17integral_constantIbLb0EESY_EEDaST_SU_EUlST_E_NS1_11comp_targetILNS1_3genE8ELNS1_11target_archE1030ELNS1_3gpuE2ELNS1_3repE0EEENS1_30default_config_static_selectorELNS0_4arch9wavefront6targetE1EEEvT1_ ; -- Begin function _ZN7rocprim17ROCPRIM_400000_NS6detail17trampoline_kernelINS0_14default_configENS1_27scan_by_key_config_selectorIiiEEZZNS1_16scan_by_key_implILNS1_25lookback_scan_determinismE0ELb0ES3_N6thrust23THRUST_200600_302600_NS6detail15normal_iteratorINS9_10device_ptrIiEEEESE_SE_iNS9_4plusIiEE19head_flag_predicateiEE10hipError_tPvRmT2_T3_T4_T5_mT6_T7_P12ihipStream_tbENKUlT_T0_E_clISt17integral_constantIbLb0EESY_EEDaST_SU_EUlST_E_NS1_11comp_targetILNS1_3genE8ELNS1_11target_archE1030ELNS1_3gpuE2ELNS1_3repE0EEENS1_30default_config_static_selectorELNS0_4arch9wavefront6targetE1EEEvT1_
	.globl	_ZN7rocprim17ROCPRIM_400000_NS6detail17trampoline_kernelINS0_14default_configENS1_27scan_by_key_config_selectorIiiEEZZNS1_16scan_by_key_implILNS1_25lookback_scan_determinismE0ELb0ES3_N6thrust23THRUST_200600_302600_NS6detail15normal_iteratorINS9_10device_ptrIiEEEESE_SE_iNS9_4plusIiEE19head_flag_predicateiEE10hipError_tPvRmT2_T3_T4_T5_mT6_T7_P12ihipStream_tbENKUlT_T0_E_clISt17integral_constantIbLb0EESY_EEDaST_SU_EUlST_E_NS1_11comp_targetILNS1_3genE8ELNS1_11target_archE1030ELNS1_3gpuE2ELNS1_3repE0EEENS1_30default_config_static_selectorELNS0_4arch9wavefront6targetE1EEEvT1_
	.p2align	8
	.type	_ZN7rocprim17ROCPRIM_400000_NS6detail17trampoline_kernelINS0_14default_configENS1_27scan_by_key_config_selectorIiiEEZZNS1_16scan_by_key_implILNS1_25lookback_scan_determinismE0ELb0ES3_N6thrust23THRUST_200600_302600_NS6detail15normal_iteratorINS9_10device_ptrIiEEEESE_SE_iNS9_4plusIiEE19head_flag_predicateiEE10hipError_tPvRmT2_T3_T4_T5_mT6_T7_P12ihipStream_tbENKUlT_T0_E_clISt17integral_constantIbLb0EESY_EEDaST_SU_EUlST_E_NS1_11comp_targetILNS1_3genE8ELNS1_11target_archE1030ELNS1_3gpuE2ELNS1_3repE0EEENS1_30default_config_static_selectorELNS0_4arch9wavefront6targetE1EEEvT1_,@function
_ZN7rocprim17ROCPRIM_400000_NS6detail17trampoline_kernelINS0_14default_configENS1_27scan_by_key_config_selectorIiiEEZZNS1_16scan_by_key_implILNS1_25lookback_scan_determinismE0ELb0ES3_N6thrust23THRUST_200600_302600_NS6detail15normal_iteratorINS9_10device_ptrIiEEEESE_SE_iNS9_4plusIiEE19head_flag_predicateiEE10hipError_tPvRmT2_T3_T4_T5_mT6_T7_P12ihipStream_tbENKUlT_T0_E_clISt17integral_constantIbLb0EESY_EEDaST_SU_EUlST_E_NS1_11comp_targetILNS1_3genE8ELNS1_11target_archE1030ELNS1_3gpuE2ELNS1_3repE0EEENS1_30default_config_static_selectorELNS0_4arch9wavefront6targetE1EEEvT1_: ; @_ZN7rocprim17ROCPRIM_400000_NS6detail17trampoline_kernelINS0_14default_configENS1_27scan_by_key_config_selectorIiiEEZZNS1_16scan_by_key_implILNS1_25lookback_scan_determinismE0ELb0ES3_N6thrust23THRUST_200600_302600_NS6detail15normal_iteratorINS9_10device_ptrIiEEEESE_SE_iNS9_4plusIiEE19head_flag_predicateiEE10hipError_tPvRmT2_T3_T4_T5_mT6_T7_P12ihipStream_tbENKUlT_T0_E_clISt17integral_constantIbLb0EESY_EEDaST_SU_EUlST_E_NS1_11comp_targetILNS1_3genE8ELNS1_11target_archE1030ELNS1_3gpuE2ELNS1_3repE0EEENS1_30default_config_static_selectorELNS0_4arch9wavefront6targetE1EEEvT1_
; %bb.0:
	.section	.rodata,"a",@progbits
	.p2align	6, 0x0
	.amdhsa_kernel _ZN7rocprim17ROCPRIM_400000_NS6detail17trampoline_kernelINS0_14default_configENS1_27scan_by_key_config_selectorIiiEEZZNS1_16scan_by_key_implILNS1_25lookback_scan_determinismE0ELb0ES3_N6thrust23THRUST_200600_302600_NS6detail15normal_iteratorINS9_10device_ptrIiEEEESE_SE_iNS9_4plusIiEE19head_flag_predicateiEE10hipError_tPvRmT2_T3_T4_T5_mT6_T7_P12ihipStream_tbENKUlT_T0_E_clISt17integral_constantIbLb0EESY_EEDaST_SU_EUlST_E_NS1_11comp_targetILNS1_3genE8ELNS1_11target_archE1030ELNS1_3gpuE2ELNS1_3repE0EEENS1_30default_config_static_selectorELNS0_4arch9wavefront6targetE1EEEvT1_
		.amdhsa_group_segment_fixed_size 0
		.amdhsa_private_segment_fixed_size 0
		.amdhsa_kernarg_size 112
		.amdhsa_user_sgpr_count 6
		.amdhsa_user_sgpr_private_segment_buffer 1
		.amdhsa_user_sgpr_dispatch_ptr 0
		.amdhsa_user_sgpr_queue_ptr 0
		.amdhsa_user_sgpr_kernarg_segment_ptr 1
		.amdhsa_user_sgpr_dispatch_id 0
		.amdhsa_user_sgpr_flat_scratch_init 0
		.amdhsa_user_sgpr_kernarg_preload_length 0
		.amdhsa_user_sgpr_kernarg_preload_offset 0
		.amdhsa_user_sgpr_private_segment_size 0
		.amdhsa_uses_dynamic_stack 0
		.amdhsa_system_sgpr_private_segment_wavefront_offset 0
		.amdhsa_system_sgpr_workgroup_id_x 1
		.amdhsa_system_sgpr_workgroup_id_y 0
		.amdhsa_system_sgpr_workgroup_id_z 0
		.amdhsa_system_sgpr_workgroup_info 0
		.amdhsa_system_vgpr_workitem_id 0
		.amdhsa_next_free_vgpr 1
		.amdhsa_next_free_sgpr 0
		.amdhsa_accum_offset 4
		.amdhsa_reserve_vcc 0
		.amdhsa_reserve_flat_scratch 0
		.amdhsa_float_round_mode_32 0
		.amdhsa_float_round_mode_16_64 0
		.amdhsa_float_denorm_mode_32 3
		.amdhsa_float_denorm_mode_16_64 3
		.amdhsa_dx10_clamp 1
		.amdhsa_ieee_mode 1
		.amdhsa_fp16_overflow 0
		.amdhsa_tg_split 0
		.amdhsa_exception_fp_ieee_invalid_op 0
		.amdhsa_exception_fp_denorm_src 0
		.amdhsa_exception_fp_ieee_div_zero 0
		.amdhsa_exception_fp_ieee_overflow 0
		.amdhsa_exception_fp_ieee_underflow 0
		.amdhsa_exception_fp_ieee_inexact 0
		.amdhsa_exception_int_div_zero 0
	.end_amdhsa_kernel
	.section	.text._ZN7rocprim17ROCPRIM_400000_NS6detail17trampoline_kernelINS0_14default_configENS1_27scan_by_key_config_selectorIiiEEZZNS1_16scan_by_key_implILNS1_25lookback_scan_determinismE0ELb0ES3_N6thrust23THRUST_200600_302600_NS6detail15normal_iteratorINS9_10device_ptrIiEEEESE_SE_iNS9_4plusIiEE19head_flag_predicateiEE10hipError_tPvRmT2_T3_T4_T5_mT6_T7_P12ihipStream_tbENKUlT_T0_E_clISt17integral_constantIbLb0EESY_EEDaST_SU_EUlST_E_NS1_11comp_targetILNS1_3genE8ELNS1_11target_archE1030ELNS1_3gpuE2ELNS1_3repE0EEENS1_30default_config_static_selectorELNS0_4arch9wavefront6targetE1EEEvT1_,"axG",@progbits,_ZN7rocprim17ROCPRIM_400000_NS6detail17trampoline_kernelINS0_14default_configENS1_27scan_by_key_config_selectorIiiEEZZNS1_16scan_by_key_implILNS1_25lookback_scan_determinismE0ELb0ES3_N6thrust23THRUST_200600_302600_NS6detail15normal_iteratorINS9_10device_ptrIiEEEESE_SE_iNS9_4plusIiEE19head_flag_predicateiEE10hipError_tPvRmT2_T3_T4_T5_mT6_T7_P12ihipStream_tbENKUlT_T0_E_clISt17integral_constantIbLb0EESY_EEDaST_SU_EUlST_E_NS1_11comp_targetILNS1_3genE8ELNS1_11target_archE1030ELNS1_3gpuE2ELNS1_3repE0EEENS1_30default_config_static_selectorELNS0_4arch9wavefront6targetE1EEEvT1_,comdat
.Lfunc_end757:
	.size	_ZN7rocprim17ROCPRIM_400000_NS6detail17trampoline_kernelINS0_14default_configENS1_27scan_by_key_config_selectorIiiEEZZNS1_16scan_by_key_implILNS1_25lookback_scan_determinismE0ELb0ES3_N6thrust23THRUST_200600_302600_NS6detail15normal_iteratorINS9_10device_ptrIiEEEESE_SE_iNS9_4plusIiEE19head_flag_predicateiEE10hipError_tPvRmT2_T3_T4_T5_mT6_T7_P12ihipStream_tbENKUlT_T0_E_clISt17integral_constantIbLb0EESY_EEDaST_SU_EUlST_E_NS1_11comp_targetILNS1_3genE8ELNS1_11target_archE1030ELNS1_3gpuE2ELNS1_3repE0EEENS1_30default_config_static_selectorELNS0_4arch9wavefront6targetE1EEEvT1_, .Lfunc_end757-_ZN7rocprim17ROCPRIM_400000_NS6detail17trampoline_kernelINS0_14default_configENS1_27scan_by_key_config_selectorIiiEEZZNS1_16scan_by_key_implILNS1_25lookback_scan_determinismE0ELb0ES3_N6thrust23THRUST_200600_302600_NS6detail15normal_iteratorINS9_10device_ptrIiEEEESE_SE_iNS9_4plusIiEE19head_flag_predicateiEE10hipError_tPvRmT2_T3_T4_T5_mT6_T7_P12ihipStream_tbENKUlT_T0_E_clISt17integral_constantIbLb0EESY_EEDaST_SU_EUlST_E_NS1_11comp_targetILNS1_3genE8ELNS1_11target_archE1030ELNS1_3gpuE2ELNS1_3repE0EEENS1_30default_config_static_selectorELNS0_4arch9wavefront6targetE1EEEvT1_
                                        ; -- End function
	.section	.AMDGPU.csdata,"",@progbits
; Kernel info:
; codeLenInByte = 0
; NumSgprs: 4
; NumVgprs: 0
; NumAgprs: 0
; TotalNumVgprs: 0
; ScratchSize: 0
; MemoryBound: 0
; FloatMode: 240
; IeeeMode: 1
; LDSByteSize: 0 bytes/workgroup (compile time only)
; SGPRBlocks: 0
; VGPRBlocks: 0
; NumSGPRsForWavesPerEU: 4
; NumVGPRsForWavesPerEU: 1
; AccumOffset: 4
; Occupancy: 8
; WaveLimiterHint : 0
; COMPUTE_PGM_RSRC2:SCRATCH_EN: 0
; COMPUTE_PGM_RSRC2:USER_SGPR: 6
; COMPUTE_PGM_RSRC2:TRAP_HANDLER: 0
; COMPUTE_PGM_RSRC2:TGID_X_EN: 1
; COMPUTE_PGM_RSRC2:TGID_Y_EN: 0
; COMPUTE_PGM_RSRC2:TGID_Z_EN: 0
; COMPUTE_PGM_RSRC2:TIDIG_COMP_CNT: 0
; COMPUTE_PGM_RSRC3_GFX90A:ACCUM_OFFSET: 0
; COMPUTE_PGM_RSRC3_GFX90A:TG_SPLIT: 0
	.section	.text._ZN7rocprim17ROCPRIM_400000_NS6detail17trampoline_kernelINS0_14default_configENS1_27scan_by_key_config_selectorIiiEEZZNS1_16scan_by_key_implILNS1_25lookback_scan_determinismE0ELb0ES3_N6thrust23THRUST_200600_302600_NS6detail15normal_iteratorINS9_10device_ptrIiEEEESE_SE_iNS9_4plusIiEE19head_flag_predicateiEE10hipError_tPvRmT2_T3_T4_T5_mT6_T7_P12ihipStream_tbENKUlT_T0_E_clISt17integral_constantIbLb1EESY_EEDaST_SU_EUlST_E_NS1_11comp_targetILNS1_3genE0ELNS1_11target_archE4294967295ELNS1_3gpuE0ELNS1_3repE0EEENS1_30default_config_static_selectorELNS0_4arch9wavefront6targetE1EEEvT1_,"axG",@progbits,_ZN7rocprim17ROCPRIM_400000_NS6detail17trampoline_kernelINS0_14default_configENS1_27scan_by_key_config_selectorIiiEEZZNS1_16scan_by_key_implILNS1_25lookback_scan_determinismE0ELb0ES3_N6thrust23THRUST_200600_302600_NS6detail15normal_iteratorINS9_10device_ptrIiEEEESE_SE_iNS9_4plusIiEE19head_flag_predicateiEE10hipError_tPvRmT2_T3_T4_T5_mT6_T7_P12ihipStream_tbENKUlT_T0_E_clISt17integral_constantIbLb1EESY_EEDaST_SU_EUlST_E_NS1_11comp_targetILNS1_3genE0ELNS1_11target_archE4294967295ELNS1_3gpuE0ELNS1_3repE0EEENS1_30default_config_static_selectorELNS0_4arch9wavefront6targetE1EEEvT1_,comdat
	.protected	_ZN7rocprim17ROCPRIM_400000_NS6detail17trampoline_kernelINS0_14default_configENS1_27scan_by_key_config_selectorIiiEEZZNS1_16scan_by_key_implILNS1_25lookback_scan_determinismE0ELb0ES3_N6thrust23THRUST_200600_302600_NS6detail15normal_iteratorINS9_10device_ptrIiEEEESE_SE_iNS9_4plusIiEE19head_flag_predicateiEE10hipError_tPvRmT2_T3_T4_T5_mT6_T7_P12ihipStream_tbENKUlT_T0_E_clISt17integral_constantIbLb1EESY_EEDaST_SU_EUlST_E_NS1_11comp_targetILNS1_3genE0ELNS1_11target_archE4294967295ELNS1_3gpuE0ELNS1_3repE0EEENS1_30default_config_static_selectorELNS0_4arch9wavefront6targetE1EEEvT1_ ; -- Begin function _ZN7rocprim17ROCPRIM_400000_NS6detail17trampoline_kernelINS0_14default_configENS1_27scan_by_key_config_selectorIiiEEZZNS1_16scan_by_key_implILNS1_25lookback_scan_determinismE0ELb0ES3_N6thrust23THRUST_200600_302600_NS6detail15normal_iteratorINS9_10device_ptrIiEEEESE_SE_iNS9_4plusIiEE19head_flag_predicateiEE10hipError_tPvRmT2_T3_T4_T5_mT6_T7_P12ihipStream_tbENKUlT_T0_E_clISt17integral_constantIbLb1EESY_EEDaST_SU_EUlST_E_NS1_11comp_targetILNS1_3genE0ELNS1_11target_archE4294967295ELNS1_3gpuE0ELNS1_3repE0EEENS1_30default_config_static_selectorELNS0_4arch9wavefront6targetE1EEEvT1_
	.globl	_ZN7rocprim17ROCPRIM_400000_NS6detail17trampoline_kernelINS0_14default_configENS1_27scan_by_key_config_selectorIiiEEZZNS1_16scan_by_key_implILNS1_25lookback_scan_determinismE0ELb0ES3_N6thrust23THRUST_200600_302600_NS6detail15normal_iteratorINS9_10device_ptrIiEEEESE_SE_iNS9_4plusIiEE19head_flag_predicateiEE10hipError_tPvRmT2_T3_T4_T5_mT6_T7_P12ihipStream_tbENKUlT_T0_E_clISt17integral_constantIbLb1EESY_EEDaST_SU_EUlST_E_NS1_11comp_targetILNS1_3genE0ELNS1_11target_archE4294967295ELNS1_3gpuE0ELNS1_3repE0EEENS1_30default_config_static_selectorELNS0_4arch9wavefront6targetE1EEEvT1_
	.p2align	8
	.type	_ZN7rocprim17ROCPRIM_400000_NS6detail17trampoline_kernelINS0_14default_configENS1_27scan_by_key_config_selectorIiiEEZZNS1_16scan_by_key_implILNS1_25lookback_scan_determinismE0ELb0ES3_N6thrust23THRUST_200600_302600_NS6detail15normal_iteratorINS9_10device_ptrIiEEEESE_SE_iNS9_4plusIiEE19head_flag_predicateiEE10hipError_tPvRmT2_T3_T4_T5_mT6_T7_P12ihipStream_tbENKUlT_T0_E_clISt17integral_constantIbLb1EESY_EEDaST_SU_EUlST_E_NS1_11comp_targetILNS1_3genE0ELNS1_11target_archE4294967295ELNS1_3gpuE0ELNS1_3repE0EEENS1_30default_config_static_selectorELNS0_4arch9wavefront6targetE1EEEvT1_,@function
_ZN7rocprim17ROCPRIM_400000_NS6detail17trampoline_kernelINS0_14default_configENS1_27scan_by_key_config_selectorIiiEEZZNS1_16scan_by_key_implILNS1_25lookback_scan_determinismE0ELb0ES3_N6thrust23THRUST_200600_302600_NS6detail15normal_iteratorINS9_10device_ptrIiEEEESE_SE_iNS9_4plusIiEE19head_flag_predicateiEE10hipError_tPvRmT2_T3_T4_T5_mT6_T7_P12ihipStream_tbENKUlT_T0_E_clISt17integral_constantIbLb1EESY_EEDaST_SU_EUlST_E_NS1_11comp_targetILNS1_3genE0ELNS1_11target_archE4294967295ELNS1_3gpuE0ELNS1_3repE0EEENS1_30default_config_static_selectorELNS0_4arch9wavefront6targetE1EEEvT1_: ; @_ZN7rocprim17ROCPRIM_400000_NS6detail17trampoline_kernelINS0_14default_configENS1_27scan_by_key_config_selectorIiiEEZZNS1_16scan_by_key_implILNS1_25lookback_scan_determinismE0ELb0ES3_N6thrust23THRUST_200600_302600_NS6detail15normal_iteratorINS9_10device_ptrIiEEEESE_SE_iNS9_4plusIiEE19head_flag_predicateiEE10hipError_tPvRmT2_T3_T4_T5_mT6_T7_P12ihipStream_tbENKUlT_T0_E_clISt17integral_constantIbLb1EESY_EEDaST_SU_EUlST_E_NS1_11comp_targetILNS1_3genE0ELNS1_11target_archE4294967295ELNS1_3gpuE0ELNS1_3repE0EEENS1_30default_config_static_selectorELNS0_4arch9wavefront6targetE1EEEvT1_
; %bb.0:
	.section	.rodata,"a",@progbits
	.p2align	6, 0x0
	.amdhsa_kernel _ZN7rocprim17ROCPRIM_400000_NS6detail17trampoline_kernelINS0_14default_configENS1_27scan_by_key_config_selectorIiiEEZZNS1_16scan_by_key_implILNS1_25lookback_scan_determinismE0ELb0ES3_N6thrust23THRUST_200600_302600_NS6detail15normal_iteratorINS9_10device_ptrIiEEEESE_SE_iNS9_4plusIiEE19head_flag_predicateiEE10hipError_tPvRmT2_T3_T4_T5_mT6_T7_P12ihipStream_tbENKUlT_T0_E_clISt17integral_constantIbLb1EESY_EEDaST_SU_EUlST_E_NS1_11comp_targetILNS1_3genE0ELNS1_11target_archE4294967295ELNS1_3gpuE0ELNS1_3repE0EEENS1_30default_config_static_selectorELNS0_4arch9wavefront6targetE1EEEvT1_
		.amdhsa_group_segment_fixed_size 0
		.amdhsa_private_segment_fixed_size 0
		.amdhsa_kernarg_size 112
		.amdhsa_user_sgpr_count 6
		.amdhsa_user_sgpr_private_segment_buffer 1
		.amdhsa_user_sgpr_dispatch_ptr 0
		.amdhsa_user_sgpr_queue_ptr 0
		.amdhsa_user_sgpr_kernarg_segment_ptr 1
		.amdhsa_user_sgpr_dispatch_id 0
		.amdhsa_user_sgpr_flat_scratch_init 0
		.amdhsa_user_sgpr_kernarg_preload_length 0
		.amdhsa_user_sgpr_kernarg_preload_offset 0
		.amdhsa_user_sgpr_private_segment_size 0
		.amdhsa_uses_dynamic_stack 0
		.amdhsa_system_sgpr_private_segment_wavefront_offset 0
		.amdhsa_system_sgpr_workgroup_id_x 1
		.amdhsa_system_sgpr_workgroup_id_y 0
		.amdhsa_system_sgpr_workgroup_id_z 0
		.amdhsa_system_sgpr_workgroup_info 0
		.amdhsa_system_vgpr_workitem_id 0
		.amdhsa_next_free_vgpr 1
		.amdhsa_next_free_sgpr 0
		.amdhsa_accum_offset 4
		.amdhsa_reserve_vcc 0
		.amdhsa_reserve_flat_scratch 0
		.amdhsa_float_round_mode_32 0
		.amdhsa_float_round_mode_16_64 0
		.amdhsa_float_denorm_mode_32 3
		.amdhsa_float_denorm_mode_16_64 3
		.amdhsa_dx10_clamp 1
		.amdhsa_ieee_mode 1
		.amdhsa_fp16_overflow 0
		.amdhsa_tg_split 0
		.amdhsa_exception_fp_ieee_invalid_op 0
		.amdhsa_exception_fp_denorm_src 0
		.amdhsa_exception_fp_ieee_div_zero 0
		.amdhsa_exception_fp_ieee_overflow 0
		.amdhsa_exception_fp_ieee_underflow 0
		.amdhsa_exception_fp_ieee_inexact 0
		.amdhsa_exception_int_div_zero 0
	.end_amdhsa_kernel
	.section	.text._ZN7rocprim17ROCPRIM_400000_NS6detail17trampoline_kernelINS0_14default_configENS1_27scan_by_key_config_selectorIiiEEZZNS1_16scan_by_key_implILNS1_25lookback_scan_determinismE0ELb0ES3_N6thrust23THRUST_200600_302600_NS6detail15normal_iteratorINS9_10device_ptrIiEEEESE_SE_iNS9_4plusIiEE19head_flag_predicateiEE10hipError_tPvRmT2_T3_T4_T5_mT6_T7_P12ihipStream_tbENKUlT_T0_E_clISt17integral_constantIbLb1EESY_EEDaST_SU_EUlST_E_NS1_11comp_targetILNS1_3genE0ELNS1_11target_archE4294967295ELNS1_3gpuE0ELNS1_3repE0EEENS1_30default_config_static_selectorELNS0_4arch9wavefront6targetE1EEEvT1_,"axG",@progbits,_ZN7rocprim17ROCPRIM_400000_NS6detail17trampoline_kernelINS0_14default_configENS1_27scan_by_key_config_selectorIiiEEZZNS1_16scan_by_key_implILNS1_25lookback_scan_determinismE0ELb0ES3_N6thrust23THRUST_200600_302600_NS6detail15normal_iteratorINS9_10device_ptrIiEEEESE_SE_iNS9_4plusIiEE19head_flag_predicateiEE10hipError_tPvRmT2_T3_T4_T5_mT6_T7_P12ihipStream_tbENKUlT_T0_E_clISt17integral_constantIbLb1EESY_EEDaST_SU_EUlST_E_NS1_11comp_targetILNS1_3genE0ELNS1_11target_archE4294967295ELNS1_3gpuE0ELNS1_3repE0EEENS1_30default_config_static_selectorELNS0_4arch9wavefront6targetE1EEEvT1_,comdat
.Lfunc_end758:
	.size	_ZN7rocprim17ROCPRIM_400000_NS6detail17trampoline_kernelINS0_14default_configENS1_27scan_by_key_config_selectorIiiEEZZNS1_16scan_by_key_implILNS1_25lookback_scan_determinismE0ELb0ES3_N6thrust23THRUST_200600_302600_NS6detail15normal_iteratorINS9_10device_ptrIiEEEESE_SE_iNS9_4plusIiEE19head_flag_predicateiEE10hipError_tPvRmT2_T3_T4_T5_mT6_T7_P12ihipStream_tbENKUlT_T0_E_clISt17integral_constantIbLb1EESY_EEDaST_SU_EUlST_E_NS1_11comp_targetILNS1_3genE0ELNS1_11target_archE4294967295ELNS1_3gpuE0ELNS1_3repE0EEENS1_30default_config_static_selectorELNS0_4arch9wavefront6targetE1EEEvT1_, .Lfunc_end758-_ZN7rocprim17ROCPRIM_400000_NS6detail17trampoline_kernelINS0_14default_configENS1_27scan_by_key_config_selectorIiiEEZZNS1_16scan_by_key_implILNS1_25lookback_scan_determinismE0ELb0ES3_N6thrust23THRUST_200600_302600_NS6detail15normal_iteratorINS9_10device_ptrIiEEEESE_SE_iNS9_4plusIiEE19head_flag_predicateiEE10hipError_tPvRmT2_T3_T4_T5_mT6_T7_P12ihipStream_tbENKUlT_T0_E_clISt17integral_constantIbLb1EESY_EEDaST_SU_EUlST_E_NS1_11comp_targetILNS1_3genE0ELNS1_11target_archE4294967295ELNS1_3gpuE0ELNS1_3repE0EEENS1_30default_config_static_selectorELNS0_4arch9wavefront6targetE1EEEvT1_
                                        ; -- End function
	.section	.AMDGPU.csdata,"",@progbits
; Kernel info:
; codeLenInByte = 0
; NumSgprs: 4
; NumVgprs: 0
; NumAgprs: 0
; TotalNumVgprs: 0
; ScratchSize: 0
; MemoryBound: 0
; FloatMode: 240
; IeeeMode: 1
; LDSByteSize: 0 bytes/workgroup (compile time only)
; SGPRBlocks: 0
; VGPRBlocks: 0
; NumSGPRsForWavesPerEU: 4
; NumVGPRsForWavesPerEU: 1
; AccumOffset: 4
; Occupancy: 8
; WaveLimiterHint : 0
; COMPUTE_PGM_RSRC2:SCRATCH_EN: 0
; COMPUTE_PGM_RSRC2:USER_SGPR: 6
; COMPUTE_PGM_RSRC2:TRAP_HANDLER: 0
; COMPUTE_PGM_RSRC2:TGID_X_EN: 1
; COMPUTE_PGM_RSRC2:TGID_Y_EN: 0
; COMPUTE_PGM_RSRC2:TGID_Z_EN: 0
; COMPUTE_PGM_RSRC2:TIDIG_COMP_CNT: 0
; COMPUTE_PGM_RSRC3_GFX90A:ACCUM_OFFSET: 0
; COMPUTE_PGM_RSRC3_GFX90A:TG_SPLIT: 0
	.section	.text._ZN7rocprim17ROCPRIM_400000_NS6detail17trampoline_kernelINS0_14default_configENS1_27scan_by_key_config_selectorIiiEEZZNS1_16scan_by_key_implILNS1_25lookback_scan_determinismE0ELb0ES3_N6thrust23THRUST_200600_302600_NS6detail15normal_iteratorINS9_10device_ptrIiEEEESE_SE_iNS9_4plusIiEE19head_flag_predicateiEE10hipError_tPvRmT2_T3_T4_T5_mT6_T7_P12ihipStream_tbENKUlT_T0_E_clISt17integral_constantIbLb1EESY_EEDaST_SU_EUlST_E_NS1_11comp_targetILNS1_3genE10ELNS1_11target_archE1201ELNS1_3gpuE5ELNS1_3repE0EEENS1_30default_config_static_selectorELNS0_4arch9wavefront6targetE1EEEvT1_,"axG",@progbits,_ZN7rocprim17ROCPRIM_400000_NS6detail17trampoline_kernelINS0_14default_configENS1_27scan_by_key_config_selectorIiiEEZZNS1_16scan_by_key_implILNS1_25lookback_scan_determinismE0ELb0ES3_N6thrust23THRUST_200600_302600_NS6detail15normal_iteratorINS9_10device_ptrIiEEEESE_SE_iNS9_4plusIiEE19head_flag_predicateiEE10hipError_tPvRmT2_T3_T4_T5_mT6_T7_P12ihipStream_tbENKUlT_T0_E_clISt17integral_constantIbLb1EESY_EEDaST_SU_EUlST_E_NS1_11comp_targetILNS1_3genE10ELNS1_11target_archE1201ELNS1_3gpuE5ELNS1_3repE0EEENS1_30default_config_static_selectorELNS0_4arch9wavefront6targetE1EEEvT1_,comdat
	.protected	_ZN7rocprim17ROCPRIM_400000_NS6detail17trampoline_kernelINS0_14default_configENS1_27scan_by_key_config_selectorIiiEEZZNS1_16scan_by_key_implILNS1_25lookback_scan_determinismE0ELb0ES3_N6thrust23THRUST_200600_302600_NS6detail15normal_iteratorINS9_10device_ptrIiEEEESE_SE_iNS9_4plusIiEE19head_flag_predicateiEE10hipError_tPvRmT2_T3_T4_T5_mT6_T7_P12ihipStream_tbENKUlT_T0_E_clISt17integral_constantIbLb1EESY_EEDaST_SU_EUlST_E_NS1_11comp_targetILNS1_3genE10ELNS1_11target_archE1201ELNS1_3gpuE5ELNS1_3repE0EEENS1_30default_config_static_selectorELNS0_4arch9wavefront6targetE1EEEvT1_ ; -- Begin function _ZN7rocprim17ROCPRIM_400000_NS6detail17trampoline_kernelINS0_14default_configENS1_27scan_by_key_config_selectorIiiEEZZNS1_16scan_by_key_implILNS1_25lookback_scan_determinismE0ELb0ES3_N6thrust23THRUST_200600_302600_NS6detail15normal_iteratorINS9_10device_ptrIiEEEESE_SE_iNS9_4plusIiEE19head_flag_predicateiEE10hipError_tPvRmT2_T3_T4_T5_mT6_T7_P12ihipStream_tbENKUlT_T0_E_clISt17integral_constantIbLb1EESY_EEDaST_SU_EUlST_E_NS1_11comp_targetILNS1_3genE10ELNS1_11target_archE1201ELNS1_3gpuE5ELNS1_3repE0EEENS1_30default_config_static_selectorELNS0_4arch9wavefront6targetE1EEEvT1_
	.globl	_ZN7rocprim17ROCPRIM_400000_NS6detail17trampoline_kernelINS0_14default_configENS1_27scan_by_key_config_selectorIiiEEZZNS1_16scan_by_key_implILNS1_25lookback_scan_determinismE0ELb0ES3_N6thrust23THRUST_200600_302600_NS6detail15normal_iteratorINS9_10device_ptrIiEEEESE_SE_iNS9_4plusIiEE19head_flag_predicateiEE10hipError_tPvRmT2_T3_T4_T5_mT6_T7_P12ihipStream_tbENKUlT_T0_E_clISt17integral_constantIbLb1EESY_EEDaST_SU_EUlST_E_NS1_11comp_targetILNS1_3genE10ELNS1_11target_archE1201ELNS1_3gpuE5ELNS1_3repE0EEENS1_30default_config_static_selectorELNS0_4arch9wavefront6targetE1EEEvT1_
	.p2align	8
	.type	_ZN7rocprim17ROCPRIM_400000_NS6detail17trampoline_kernelINS0_14default_configENS1_27scan_by_key_config_selectorIiiEEZZNS1_16scan_by_key_implILNS1_25lookback_scan_determinismE0ELb0ES3_N6thrust23THRUST_200600_302600_NS6detail15normal_iteratorINS9_10device_ptrIiEEEESE_SE_iNS9_4plusIiEE19head_flag_predicateiEE10hipError_tPvRmT2_T3_T4_T5_mT6_T7_P12ihipStream_tbENKUlT_T0_E_clISt17integral_constantIbLb1EESY_EEDaST_SU_EUlST_E_NS1_11comp_targetILNS1_3genE10ELNS1_11target_archE1201ELNS1_3gpuE5ELNS1_3repE0EEENS1_30default_config_static_selectorELNS0_4arch9wavefront6targetE1EEEvT1_,@function
_ZN7rocprim17ROCPRIM_400000_NS6detail17trampoline_kernelINS0_14default_configENS1_27scan_by_key_config_selectorIiiEEZZNS1_16scan_by_key_implILNS1_25lookback_scan_determinismE0ELb0ES3_N6thrust23THRUST_200600_302600_NS6detail15normal_iteratorINS9_10device_ptrIiEEEESE_SE_iNS9_4plusIiEE19head_flag_predicateiEE10hipError_tPvRmT2_T3_T4_T5_mT6_T7_P12ihipStream_tbENKUlT_T0_E_clISt17integral_constantIbLb1EESY_EEDaST_SU_EUlST_E_NS1_11comp_targetILNS1_3genE10ELNS1_11target_archE1201ELNS1_3gpuE5ELNS1_3repE0EEENS1_30default_config_static_selectorELNS0_4arch9wavefront6targetE1EEEvT1_: ; @_ZN7rocprim17ROCPRIM_400000_NS6detail17trampoline_kernelINS0_14default_configENS1_27scan_by_key_config_selectorIiiEEZZNS1_16scan_by_key_implILNS1_25lookback_scan_determinismE0ELb0ES3_N6thrust23THRUST_200600_302600_NS6detail15normal_iteratorINS9_10device_ptrIiEEEESE_SE_iNS9_4plusIiEE19head_flag_predicateiEE10hipError_tPvRmT2_T3_T4_T5_mT6_T7_P12ihipStream_tbENKUlT_T0_E_clISt17integral_constantIbLb1EESY_EEDaST_SU_EUlST_E_NS1_11comp_targetILNS1_3genE10ELNS1_11target_archE1201ELNS1_3gpuE5ELNS1_3repE0EEENS1_30default_config_static_selectorELNS0_4arch9wavefront6targetE1EEEvT1_
; %bb.0:
	.section	.rodata,"a",@progbits
	.p2align	6, 0x0
	.amdhsa_kernel _ZN7rocprim17ROCPRIM_400000_NS6detail17trampoline_kernelINS0_14default_configENS1_27scan_by_key_config_selectorIiiEEZZNS1_16scan_by_key_implILNS1_25lookback_scan_determinismE0ELb0ES3_N6thrust23THRUST_200600_302600_NS6detail15normal_iteratorINS9_10device_ptrIiEEEESE_SE_iNS9_4plusIiEE19head_flag_predicateiEE10hipError_tPvRmT2_T3_T4_T5_mT6_T7_P12ihipStream_tbENKUlT_T0_E_clISt17integral_constantIbLb1EESY_EEDaST_SU_EUlST_E_NS1_11comp_targetILNS1_3genE10ELNS1_11target_archE1201ELNS1_3gpuE5ELNS1_3repE0EEENS1_30default_config_static_selectorELNS0_4arch9wavefront6targetE1EEEvT1_
		.amdhsa_group_segment_fixed_size 0
		.amdhsa_private_segment_fixed_size 0
		.amdhsa_kernarg_size 112
		.amdhsa_user_sgpr_count 6
		.amdhsa_user_sgpr_private_segment_buffer 1
		.amdhsa_user_sgpr_dispatch_ptr 0
		.amdhsa_user_sgpr_queue_ptr 0
		.amdhsa_user_sgpr_kernarg_segment_ptr 1
		.amdhsa_user_sgpr_dispatch_id 0
		.amdhsa_user_sgpr_flat_scratch_init 0
		.amdhsa_user_sgpr_kernarg_preload_length 0
		.amdhsa_user_sgpr_kernarg_preload_offset 0
		.amdhsa_user_sgpr_private_segment_size 0
		.amdhsa_uses_dynamic_stack 0
		.amdhsa_system_sgpr_private_segment_wavefront_offset 0
		.amdhsa_system_sgpr_workgroup_id_x 1
		.amdhsa_system_sgpr_workgroup_id_y 0
		.amdhsa_system_sgpr_workgroup_id_z 0
		.amdhsa_system_sgpr_workgroup_info 0
		.amdhsa_system_vgpr_workitem_id 0
		.amdhsa_next_free_vgpr 1
		.amdhsa_next_free_sgpr 0
		.amdhsa_accum_offset 4
		.amdhsa_reserve_vcc 0
		.amdhsa_reserve_flat_scratch 0
		.amdhsa_float_round_mode_32 0
		.amdhsa_float_round_mode_16_64 0
		.amdhsa_float_denorm_mode_32 3
		.amdhsa_float_denorm_mode_16_64 3
		.amdhsa_dx10_clamp 1
		.amdhsa_ieee_mode 1
		.amdhsa_fp16_overflow 0
		.amdhsa_tg_split 0
		.amdhsa_exception_fp_ieee_invalid_op 0
		.amdhsa_exception_fp_denorm_src 0
		.amdhsa_exception_fp_ieee_div_zero 0
		.amdhsa_exception_fp_ieee_overflow 0
		.amdhsa_exception_fp_ieee_underflow 0
		.amdhsa_exception_fp_ieee_inexact 0
		.amdhsa_exception_int_div_zero 0
	.end_amdhsa_kernel
	.section	.text._ZN7rocprim17ROCPRIM_400000_NS6detail17trampoline_kernelINS0_14default_configENS1_27scan_by_key_config_selectorIiiEEZZNS1_16scan_by_key_implILNS1_25lookback_scan_determinismE0ELb0ES3_N6thrust23THRUST_200600_302600_NS6detail15normal_iteratorINS9_10device_ptrIiEEEESE_SE_iNS9_4plusIiEE19head_flag_predicateiEE10hipError_tPvRmT2_T3_T4_T5_mT6_T7_P12ihipStream_tbENKUlT_T0_E_clISt17integral_constantIbLb1EESY_EEDaST_SU_EUlST_E_NS1_11comp_targetILNS1_3genE10ELNS1_11target_archE1201ELNS1_3gpuE5ELNS1_3repE0EEENS1_30default_config_static_selectorELNS0_4arch9wavefront6targetE1EEEvT1_,"axG",@progbits,_ZN7rocprim17ROCPRIM_400000_NS6detail17trampoline_kernelINS0_14default_configENS1_27scan_by_key_config_selectorIiiEEZZNS1_16scan_by_key_implILNS1_25lookback_scan_determinismE0ELb0ES3_N6thrust23THRUST_200600_302600_NS6detail15normal_iteratorINS9_10device_ptrIiEEEESE_SE_iNS9_4plusIiEE19head_flag_predicateiEE10hipError_tPvRmT2_T3_T4_T5_mT6_T7_P12ihipStream_tbENKUlT_T0_E_clISt17integral_constantIbLb1EESY_EEDaST_SU_EUlST_E_NS1_11comp_targetILNS1_3genE10ELNS1_11target_archE1201ELNS1_3gpuE5ELNS1_3repE0EEENS1_30default_config_static_selectorELNS0_4arch9wavefront6targetE1EEEvT1_,comdat
.Lfunc_end759:
	.size	_ZN7rocprim17ROCPRIM_400000_NS6detail17trampoline_kernelINS0_14default_configENS1_27scan_by_key_config_selectorIiiEEZZNS1_16scan_by_key_implILNS1_25lookback_scan_determinismE0ELb0ES3_N6thrust23THRUST_200600_302600_NS6detail15normal_iteratorINS9_10device_ptrIiEEEESE_SE_iNS9_4plusIiEE19head_flag_predicateiEE10hipError_tPvRmT2_T3_T4_T5_mT6_T7_P12ihipStream_tbENKUlT_T0_E_clISt17integral_constantIbLb1EESY_EEDaST_SU_EUlST_E_NS1_11comp_targetILNS1_3genE10ELNS1_11target_archE1201ELNS1_3gpuE5ELNS1_3repE0EEENS1_30default_config_static_selectorELNS0_4arch9wavefront6targetE1EEEvT1_, .Lfunc_end759-_ZN7rocprim17ROCPRIM_400000_NS6detail17trampoline_kernelINS0_14default_configENS1_27scan_by_key_config_selectorIiiEEZZNS1_16scan_by_key_implILNS1_25lookback_scan_determinismE0ELb0ES3_N6thrust23THRUST_200600_302600_NS6detail15normal_iteratorINS9_10device_ptrIiEEEESE_SE_iNS9_4plusIiEE19head_flag_predicateiEE10hipError_tPvRmT2_T3_T4_T5_mT6_T7_P12ihipStream_tbENKUlT_T0_E_clISt17integral_constantIbLb1EESY_EEDaST_SU_EUlST_E_NS1_11comp_targetILNS1_3genE10ELNS1_11target_archE1201ELNS1_3gpuE5ELNS1_3repE0EEENS1_30default_config_static_selectorELNS0_4arch9wavefront6targetE1EEEvT1_
                                        ; -- End function
	.section	.AMDGPU.csdata,"",@progbits
; Kernel info:
; codeLenInByte = 0
; NumSgprs: 4
; NumVgprs: 0
; NumAgprs: 0
; TotalNumVgprs: 0
; ScratchSize: 0
; MemoryBound: 0
; FloatMode: 240
; IeeeMode: 1
; LDSByteSize: 0 bytes/workgroup (compile time only)
; SGPRBlocks: 0
; VGPRBlocks: 0
; NumSGPRsForWavesPerEU: 4
; NumVGPRsForWavesPerEU: 1
; AccumOffset: 4
; Occupancy: 8
; WaveLimiterHint : 0
; COMPUTE_PGM_RSRC2:SCRATCH_EN: 0
; COMPUTE_PGM_RSRC2:USER_SGPR: 6
; COMPUTE_PGM_RSRC2:TRAP_HANDLER: 0
; COMPUTE_PGM_RSRC2:TGID_X_EN: 1
; COMPUTE_PGM_RSRC2:TGID_Y_EN: 0
; COMPUTE_PGM_RSRC2:TGID_Z_EN: 0
; COMPUTE_PGM_RSRC2:TIDIG_COMP_CNT: 0
; COMPUTE_PGM_RSRC3_GFX90A:ACCUM_OFFSET: 0
; COMPUTE_PGM_RSRC3_GFX90A:TG_SPLIT: 0
	.section	.text._ZN7rocprim17ROCPRIM_400000_NS6detail17trampoline_kernelINS0_14default_configENS1_27scan_by_key_config_selectorIiiEEZZNS1_16scan_by_key_implILNS1_25lookback_scan_determinismE0ELb0ES3_N6thrust23THRUST_200600_302600_NS6detail15normal_iteratorINS9_10device_ptrIiEEEESE_SE_iNS9_4plusIiEE19head_flag_predicateiEE10hipError_tPvRmT2_T3_T4_T5_mT6_T7_P12ihipStream_tbENKUlT_T0_E_clISt17integral_constantIbLb1EESY_EEDaST_SU_EUlST_E_NS1_11comp_targetILNS1_3genE5ELNS1_11target_archE942ELNS1_3gpuE9ELNS1_3repE0EEENS1_30default_config_static_selectorELNS0_4arch9wavefront6targetE1EEEvT1_,"axG",@progbits,_ZN7rocprim17ROCPRIM_400000_NS6detail17trampoline_kernelINS0_14default_configENS1_27scan_by_key_config_selectorIiiEEZZNS1_16scan_by_key_implILNS1_25lookback_scan_determinismE0ELb0ES3_N6thrust23THRUST_200600_302600_NS6detail15normal_iteratorINS9_10device_ptrIiEEEESE_SE_iNS9_4plusIiEE19head_flag_predicateiEE10hipError_tPvRmT2_T3_T4_T5_mT6_T7_P12ihipStream_tbENKUlT_T0_E_clISt17integral_constantIbLb1EESY_EEDaST_SU_EUlST_E_NS1_11comp_targetILNS1_3genE5ELNS1_11target_archE942ELNS1_3gpuE9ELNS1_3repE0EEENS1_30default_config_static_selectorELNS0_4arch9wavefront6targetE1EEEvT1_,comdat
	.protected	_ZN7rocprim17ROCPRIM_400000_NS6detail17trampoline_kernelINS0_14default_configENS1_27scan_by_key_config_selectorIiiEEZZNS1_16scan_by_key_implILNS1_25lookback_scan_determinismE0ELb0ES3_N6thrust23THRUST_200600_302600_NS6detail15normal_iteratorINS9_10device_ptrIiEEEESE_SE_iNS9_4plusIiEE19head_flag_predicateiEE10hipError_tPvRmT2_T3_T4_T5_mT6_T7_P12ihipStream_tbENKUlT_T0_E_clISt17integral_constantIbLb1EESY_EEDaST_SU_EUlST_E_NS1_11comp_targetILNS1_3genE5ELNS1_11target_archE942ELNS1_3gpuE9ELNS1_3repE0EEENS1_30default_config_static_selectorELNS0_4arch9wavefront6targetE1EEEvT1_ ; -- Begin function _ZN7rocprim17ROCPRIM_400000_NS6detail17trampoline_kernelINS0_14default_configENS1_27scan_by_key_config_selectorIiiEEZZNS1_16scan_by_key_implILNS1_25lookback_scan_determinismE0ELb0ES3_N6thrust23THRUST_200600_302600_NS6detail15normal_iteratorINS9_10device_ptrIiEEEESE_SE_iNS9_4plusIiEE19head_flag_predicateiEE10hipError_tPvRmT2_T3_T4_T5_mT6_T7_P12ihipStream_tbENKUlT_T0_E_clISt17integral_constantIbLb1EESY_EEDaST_SU_EUlST_E_NS1_11comp_targetILNS1_3genE5ELNS1_11target_archE942ELNS1_3gpuE9ELNS1_3repE0EEENS1_30default_config_static_selectorELNS0_4arch9wavefront6targetE1EEEvT1_
	.globl	_ZN7rocprim17ROCPRIM_400000_NS6detail17trampoline_kernelINS0_14default_configENS1_27scan_by_key_config_selectorIiiEEZZNS1_16scan_by_key_implILNS1_25lookback_scan_determinismE0ELb0ES3_N6thrust23THRUST_200600_302600_NS6detail15normal_iteratorINS9_10device_ptrIiEEEESE_SE_iNS9_4plusIiEE19head_flag_predicateiEE10hipError_tPvRmT2_T3_T4_T5_mT6_T7_P12ihipStream_tbENKUlT_T0_E_clISt17integral_constantIbLb1EESY_EEDaST_SU_EUlST_E_NS1_11comp_targetILNS1_3genE5ELNS1_11target_archE942ELNS1_3gpuE9ELNS1_3repE0EEENS1_30default_config_static_selectorELNS0_4arch9wavefront6targetE1EEEvT1_
	.p2align	8
	.type	_ZN7rocprim17ROCPRIM_400000_NS6detail17trampoline_kernelINS0_14default_configENS1_27scan_by_key_config_selectorIiiEEZZNS1_16scan_by_key_implILNS1_25lookback_scan_determinismE0ELb0ES3_N6thrust23THRUST_200600_302600_NS6detail15normal_iteratorINS9_10device_ptrIiEEEESE_SE_iNS9_4plusIiEE19head_flag_predicateiEE10hipError_tPvRmT2_T3_T4_T5_mT6_T7_P12ihipStream_tbENKUlT_T0_E_clISt17integral_constantIbLb1EESY_EEDaST_SU_EUlST_E_NS1_11comp_targetILNS1_3genE5ELNS1_11target_archE942ELNS1_3gpuE9ELNS1_3repE0EEENS1_30default_config_static_selectorELNS0_4arch9wavefront6targetE1EEEvT1_,@function
_ZN7rocprim17ROCPRIM_400000_NS6detail17trampoline_kernelINS0_14default_configENS1_27scan_by_key_config_selectorIiiEEZZNS1_16scan_by_key_implILNS1_25lookback_scan_determinismE0ELb0ES3_N6thrust23THRUST_200600_302600_NS6detail15normal_iteratorINS9_10device_ptrIiEEEESE_SE_iNS9_4plusIiEE19head_flag_predicateiEE10hipError_tPvRmT2_T3_T4_T5_mT6_T7_P12ihipStream_tbENKUlT_T0_E_clISt17integral_constantIbLb1EESY_EEDaST_SU_EUlST_E_NS1_11comp_targetILNS1_3genE5ELNS1_11target_archE942ELNS1_3gpuE9ELNS1_3repE0EEENS1_30default_config_static_selectorELNS0_4arch9wavefront6targetE1EEEvT1_: ; @_ZN7rocprim17ROCPRIM_400000_NS6detail17trampoline_kernelINS0_14default_configENS1_27scan_by_key_config_selectorIiiEEZZNS1_16scan_by_key_implILNS1_25lookback_scan_determinismE0ELb0ES3_N6thrust23THRUST_200600_302600_NS6detail15normal_iteratorINS9_10device_ptrIiEEEESE_SE_iNS9_4plusIiEE19head_flag_predicateiEE10hipError_tPvRmT2_T3_T4_T5_mT6_T7_P12ihipStream_tbENKUlT_T0_E_clISt17integral_constantIbLb1EESY_EEDaST_SU_EUlST_E_NS1_11comp_targetILNS1_3genE5ELNS1_11target_archE942ELNS1_3gpuE9ELNS1_3repE0EEENS1_30default_config_static_selectorELNS0_4arch9wavefront6targetE1EEEvT1_
; %bb.0:
	.section	.rodata,"a",@progbits
	.p2align	6, 0x0
	.amdhsa_kernel _ZN7rocprim17ROCPRIM_400000_NS6detail17trampoline_kernelINS0_14default_configENS1_27scan_by_key_config_selectorIiiEEZZNS1_16scan_by_key_implILNS1_25lookback_scan_determinismE0ELb0ES3_N6thrust23THRUST_200600_302600_NS6detail15normal_iteratorINS9_10device_ptrIiEEEESE_SE_iNS9_4plusIiEE19head_flag_predicateiEE10hipError_tPvRmT2_T3_T4_T5_mT6_T7_P12ihipStream_tbENKUlT_T0_E_clISt17integral_constantIbLb1EESY_EEDaST_SU_EUlST_E_NS1_11comp_targetILNS1_3genE5ELNS1_11target_archE942ELNS1_3gpuE9ELNS1_3repE0EEENS1_30default_config_static_selectorELNS0_4arch9wavefront6targetE1EEEvT1_
		.amdhsa_group_segment_fixed_size 0
		.amdhsa_private_segment_fixed_size 0
		.amdhsa_kernarg_size 112
		.amdhsa_user_sgpr_count 6
		.amdhsa_user_sgpr_private_segment_buffer 1
		.amdhsa_user_sgpr_dispatch_ptr 0
		.amdhsa_user_sgpr_queue_ptr 0
		.amdhsa_user_sgpr_kernarg_segment_ptr 1
		.amdhsa_user_sgpr_dispatch_id 0
		.amdhsa_user_sgpr_flat_scratch_init 0
		.amdhsa_user_sgpr_kernarg_preload_length 0
		.amdhsa_user_sgpr_kernarg_preload_offset 0
		.amdhsa_user_sgpr_private_segment_size 0
		.amdhsa_uses_dynamic_stack 0
		.amdhsa_system_sgpr_private_segment_wavefront_offset 0
		.amdhsa_system_sgpr_workgroup_id_x 1
		.amdhsa_system_sgpr_workgroup_id_y 0
		.amdhsa_system_sgpr_workgroup_id_z 0
		.amdhsa_system_sgpr_workgroup_info 0
		.amdhsa_system_vgpr_workitem_id 0
		.amdhsa_next_free_vgpr 1
		.amdhsa_next_free_sgpr 0
		.amdhsa_accum_offset 4
		.amdhsa_reserve_vcc 0
		.amdhsa_reserve_flat_scratch 0
		.amdhsa_float_round_mode_32 0
		.amdhsa_float_round_mode_16_64 0
		.amdhsa_float_denorm_mode_32 3
		.amdhsa_float_denorm_mode_16_64 3
		.amdhsa_dx10_clamp 1
		.amdhsa_ieee_mode 1
		.amdhsa_fp16_overflow 0
		.amdhsa_tg_split 0
		.amdhsa_exception_fp_ieee_invalid_op 0
		.amdhsa_exception_fp_denorm_src 0
		.amdhsa_exception_fp_ieee_div_zero 0
		.amdhsa_exception_fp_ieee_overflow 0
		.amdhsa_exception_fp_ieee_underflow 0
		.amdhsa_exception_fp_ieee_inexact 0
		.amdhsa_exception_int_div_zero 0
	.end_amdhsa_kernel
	.section	.text._ZN7rocprim17ROCPRIM_400000_NS6detail17trampoline_kernelINS0_14default_configENS1_27scan_by_key_config_selectorIiiEEZZNS1_16scan_by_key_implILNS1_25lookback_scan_determinismE0ELb0ES3_N6thrust23THRUST_200600_302600_NS6detail15normal_iteratorINS9_10device_ptrIiEEEESE_SE_iNS9_4plusIiEE19head_flag_predicateiEE10hipError_tPvRmT2_T3_T4_T5_mT6_T7_P12ihipStream_tbENKUlT_T0_E_clISt17integral_constantIbLb1EESY_EEDaST_SU_EUlST_E_NS1_11comp_targetILNS1_3genE5ELNS1_11target_archE942ELNS1_3gpuE9ELNS1_3repE0EEENS1_30default_config_static_selectorELNS0_4arch9wavefront6targetE1EEEvT1_,"axG",@progbits,_ZN7rocprim17ROCPRIM_400000_NS6detail17trampoline_kernelINS0_14default_configENS1_27scan_by_key_config_selectorIiiEEZZNS1_16scan_by_key_implILNS1_25lookback_scan_determinismE0ELb0ES3_N6thrust23THRUST_200600_302600_NS6detail15normal_iteratorINS9_10device_ptrIiEEEESE_SE_iNS9_4plusIiEE19head_flag_predicateiEE10hipError_tPvRmT2_T3_T4_T5_mT6_T7_P12ihipStream_tbENKUlT_T0_E_clISt17integral_constantIbLb1EESY_EEDaST_SU_EUlST_E_NS1_11comp_targetILNS1_3genE5ELNS1_11target_archE942ELNS1_3gpuE9ELNS1_3repE0EEENS1_30default_config_static_selectorELNS0_4arch9wavefront6targetE1EEEvT1_,comdat
.Lfunc_end760:
	.size	_ZN7rocprim17ROCPRIM_400000_NS6detail17trampoline_kernelINS0_14default_configENS1_27scan_by_key_config_selectorIiiEEZZNS1_16scan_by_key_implILNS1_25lookback_scan_determinismE0ELb0ES3_N6thrust23THRUST_200600_302600_NS6detail15normal_iteratorINS9_10device_ptrIiEEEESE_SE_iNS9_4plusIiEE19head_flag_predicateiEE10hipError_tPvRmT2_T3_T4_T5_mT6_T7_P12ihipStream_tbENKUlT_T0_E_clISt17integral_constantIbLb1EESY_EEDaST_SU_EUlST_E_NS1_11comp_targetILNS1_3genE5ELNS1_11target_archE942ELNS1_3gpuE9ELNS1_3repE0EEENS1_30default_config_static_selectorELNS0_4arch9wavefront6targetE1EEEvT1_, .Lfunc_end760-_ZN7rocprim17ROCPRIM_400000_NS6detail17trampoline_kernelINS0_14default_configENS1_27scan_by_key_config_selectorIiiEEZZNS1_16scan_by_key_implILNS1_25lookback_scan_determinismE0ELb0ES3_N6thrust23THRUST_200600_302600_NS6detail15normal_iteratorINS9_10device_ptrIiEEEESE_SE_iNS9_4plusIiEE19head_flag_predicateiEE10hipError_tPvRmT2_T3_T4_T5_mT6_T7_P12ihipStream_tbENKUlT_T0_E_clISt17integral_constantIbLb1EESY_EEDaST_SU_EUlST_E_NS1_11comp_targetILNS1_3genE5ELNS1_11target_archE942ELNS1_3gpuE9ELNS1_3repE0EEENS1_30default_config_static_selectorELNS0_4arch9wavefront6targetE1EEEvT1_
                                        ; -- End function
	.section	.AMDGPU.csdata,"",@progbits
; Kernel info:
; codeLenInByte = 0
; NumSgprs: 4
; NumVgprs: 0
; NumAgprs: 0
; TotalNumVgprs: 0
; ScratchSize: 0
; MemoryBound: 0
; FloatMode: 240
; IeeeMode: 1
; LDSByteSize: 0 bytes/workgroup (compile time only)
; SGPRBlocks: 0
; VGPRBlocks: 0
; NumSGPRsForWavesPerEU: 4
; NumVGPRsForWavesPerEU: 1
; AccumOffset: 4
; Occupancy: 8
; WaveLimiterHint : 0
; COMPUTE_PGM_RSRC2:SCRATCH_EN: 0
; COMPUTE_PGM_RSRC2:USER_SGPR: 6
; COMPUTE_PGM_RSRC2:TRAP_HANDLER: 0
; COMPUTE_PGM_RSRC2:TGID_X_EN: 1
; COMPUTE_PGM_RSRC2:TGID_Y_EN: 0
; COMPUTE_PGM_RSRC2:TGID_Z_EN: 0
; COMPUTE_PGM_RSRC2:TIDIG_COMP_CNT: 0
; COMPUTE_PGM_RSRC3_GFX90A:ACCUM_OFFSET: 0
; COMPUTE_PGM_RSRC3_GFX90A:TG_SPLIT: 0
	.section	.text._ZN7rocprim17ROCPRIM_400000_NS6detail17trampoline_kernelINS0_14default_configENS1_27scan_by_key_config_selectorIiiEEZZNS1_16scan_by_key_implILNS1_25lookback_scan_determinismE0ELb0ES3_N6thrust23THRUST_200600_302600_NS6detail15normal_iteratorINS9_10device_ptrIiEEEESE_SE_iNS9_4plusIiEE19head_flag_predicateiEE10hipError_tPvRmT2_T3_T4_T5_mT6_T7_P12ihipStream_tbENKUlT_T0_E_clISt17integral_constantIbLb1EESY_EEDaST_SU_EUlST_E_NS1_11comp_targetILNS1_3genE4ELNS1_11target_archE910ELNS1_3gpuE8ELNS1_3repE0EEENS1_30default_config_static_selectorELNS0_4arch9wavefront6targetE1EEEvT1_,"axG",@progbits,_ZN7rocprim17ROCPRIM_400000_NS6detail17trampoline_kernelINS0_14default_configENS1_27scan_by_key_config_selectorIiiEEZZNS1_16scan_by_key_implILNS1_25lookback_scan_determinismE0ELb0ES3_N6thrust23THRUST_200600_302600_NS6detail15normal_iteratorINS9_10device_ptrIiEEEESE_SE_iNS9_4plusIiEE19head_flag_predicateiEE10hipError_tPvRmT2_T3_T4_T5_mT6_T7_P12ihipStream_tbENKUlT_T0_E_clISt17integral_constantIbLb1EESY_EEDaST_SU_EUlST_E_NS1_11comp_targetILNS1_3genE4ELNS1_11target_archE910ELNS1_3gpuE8ELNS1_3repE0EEENS1_30default_config_static_selectorELNS0_4arch9wavefront6targetE1EEEvT1_,comdat
	.protected	_ZN7rocprim17ROCPRIM_400000_NS6detail17trampoline_kernelINS0_14default_configENS1_27scan_by_key_config_selectorIiiEEZZNS1_16scan_by_key_implILNS1_25lookback_scan_determinismE0ELb0ES3_N6thrust23THRUST_200600_302600_NS6detail15normal_iteratorINS9_10device_ptrIiEEEESE_SE_iNS9_4plusIiEE19head_flag_predicateiEE10hipError_tPvRmT2_T3_T4_T5_mT6_T7_P12ihipStream_tbENKUlT_T0_E_clISt17integral_constantIbLb1EESY_EEDaST_SU_EUlST_E_NS1_11comp_targetILNS1_3genE4ELNS1_11target_archE910ELNS1_3gpuE8ELNS1_3repE0EEENS1_30default_config_static_selectorELNS0_4arch9wavefront6targetE1EEEvT1_ ; -- Begin function _ZN7rocprim17ROCPRIM_400000_NS6detail17trampoline_kernelINS0_14default_configENS1_27scan_by_key_config_selectorIiiEEZZNS1_16scan_by_key_implILNS1_25lookback_scan_determinismE0ELb0ES3_N6thrust23THRUST_200600_302600_NS6detail15normal_iteratorINS9_10device_ptrIiEEEESE_SE_iNS9_4plusIiEE19head_flag_predicateiEE10hipError_tPvRmT2_T3_T4_T5_mT6_T7_P12ihipStream_tbENKUlT_T0_E_clISt17integral_constantIbLb1EESY_EEDaST_SU_EUlST_E_NS1_11comp_targetILNS1_3genE4ELNS1_11target_archE910ELNS1_3gpuE8ELNS1_3repE0EEENS1_30default_config_static_selectorELNS0_4arch9wavefront6targetE1EEEvT1_
	.globl	_ZN7rocprim17ROCPRIM_400000_NS6detail17trampoline_kernelINS0_14default_configENS1_27scan_by_key_config_selectorIiiEEZZNS1_16scan_by_key_implILNS1_25lookback_scan_determinismE0ELb0ES3_N6thrust23THRUST_200600_302600_NS6detail15normal_iteratorINS9_10device_ptrIiEEEESE_SE_iNS9_4plusIiEE19head_flag_predicateiEE10hipError_tPvRmT2_T3_T4_T5_mT6_T7_P12ihipStream_tbENKUlT_T0_E_clISt17integral_constantIbLb1EESY_EEDaST_SU_EUlST_E_NS1_11comp_targetILNS1_3genE4ELNS1_11target_archE910ELNS1_3gpuE8ELNS1_3repE0EEENS1_30default_config_static_selectorELNS0_4arch9wavefront6targetE1EEEvT1_
	.p2align	8
	.type	_ZN7rocprim17ROCPRIM_400000_NS6detail17trampoline_kernelINS0_14default_configENS1_27scan_by_key_config_selectorIiiEEZZNS1_16scan_by_key_implILNS1_25lookback_scan_determinismE0ELb0ES3_N6thrust23THRUST_200600_302600_NS6detail15normal_iteratorINS9_10device_ptrIiEEEESE_SE_iNS9_4plusIiEE19head_flag_predicateiEE10hipError_tPvRmT2_T3_T4_T5_mT6_T7_P12ihipStream_tbENKUlT_T0_E_clISt17integral_constantIbLb1EESY_EEDaST_SU_EUlST_E_NS1_11comp_targetILNS1_3genE4ELNS1_11target_archE910ELNS1_3gpuE8ELNS1_3repE0EEENS1_30default_config_static_selectorELNS0_4arch9wavefront6targetE1EEEvT1_,@function
_ZN7rocprim17ROCPRIM_400000_NS6detail17trampoline_kernelINS0_14default_configENS1_27scan_by_key_config_selectorIiiEEZZNS1_16scan_by_key_implILNS1_25lookback_scan_determinismE0ELb0ES3_N6thrust23THRUST_200600_302600_NS6detail15normal_iteratorINS9_10device_ptrIiEEEESE_SE_iNS9_4plusIiEE19head_flag_predicateiEE10hipError_tPvRmT2_T3_T4_T5_mT6_T7_P12ihipStream_tbENKUlT_T0_E_clISt17integral_constantIbLb1EESY_EEDaST_SU_EUlST_E_NS1_11comp_targetILNS1_3genE4ELNS1_11target_archE910ELNS1_3gpuE8ELNS1_3repE0EEENS1_30default_config_static_selectorELNS0_4arch9wavefront6targetE1EEEvT1_: ; @_ZN7rocprim17ROCPRIM_400000_NS6detail17trampoline_kernelINS0_14default_configENS1_27scan_by_key_config_selectorIiiEEZZNS1_16scan_by_key_implILNS1_25lookback_scan_determinismE0ELb0ES3_N6thrust23THRUST_200600_302600_NS6detail15normal_iteratorINS9_10device_ptrIiEEEESE_SE_iNS9_4plusIiEE19head_flag_predicateiEE10hipError_tPvRmT2_T3_T4_T5_mT6_T7_P12ihipStream_tbENKUlT_T0_E_clISt17integral_constantIbLb1EESY_EEDaST_SU_EUlST_E_NS1_11comp_targetILNS1_3genE4ELNS1_11target_archE910ELNS1_3gpuE8ELNS1_3repE0EEENS1_30default_config_static_selectorELNS0_4arch9wavefront6targetE1EEEvT1_
; %bb.0:
	s_load_dwordx4 s[48:51], s[4:5], 0x28
	s_load_dwordx2 s[56:57], s[4:5], 0x38
	v_cmp_ne_u32_e64 s[36:37], 0, v0
	v_cmp_eq_u32_e64 s[0:1], 0, v0
	s_and_saveexec_b64 s[2:3], s[0:1]
	s_cbranch_execz .LBB761_4
; %bb.1:
	s_mov_b64 s[8:9], exec
	v_mbcnt_lo_u32_b32 v1, s8, 0
	v_mbcnt_hi_u32_b32 v1, s9, v1
	v_cmp_eq_u32_e32 vcc, 0, v1
                                        ; implicit-def: $vgpr2
	s_and_saveexec_b64 s[6:7], vcc
	s_cbranch_execz .LBB761_3
; %bb.2:
	s_load_dwordx2 s[10:11], s[4:5], 0x68
	s_bcnt1_i32_b64 s8, s[8:9]
	v_mov_b32_e32 v2, 0
	v_mov_b32_e32 v3, s8
	s_waitcnt lgkmcnt(0)
	global_atomic_add v2, v2, v3, s[10:11] glc
.LBB761_3:
	s_or_b64 exec, exec, s[6:7]
	s_waitcnt vmcnt(0)
	v_readfirstlane_b32 s6, v2
	v_add_u32_e32 v1, s6, v1
	v_mov_b32_e32 v2, 0
	ds_write_b32 v2, v1
.LBB761_4:
	s_or_b64 exec, exec, s[2:3]
	s_load_dwordx8 s[40:47], s[4:5], 0x0
	s_load_dword s2, s[4:5], 0x40
	s_load_dwordx4 s[52:55], s[4:5], 0x48
	v_mov_b32_e32 v1, 0
	s_waitcnt lgkmcnt(0)
	s_barrier
	ds_read_b32 v1, v1
	s_lshl_b64 s[38:39], s[42:43], 2
	s_add_u32 s4, s40, s38
	s_addc_u32 s5, s41, s39
	s_add_u32 s6, s44, s38
	s_mul_i32 s3, s57, s2
	s_mul_hi_u32 s8, s56, s2
	s_waitcnt lgkmcnt(0)
	v_readfirstlane_b32 s51, v1
	s_addc_u32 s7, s45, s39
	s_add_i32 s8, s8, s3
	s_mul_i32 s9, s56, s2
	s_mov_b32 s3, 0
	s_mul_i32 s2, s51, 0xe00
	s_lshl_b64 s[40:41], s[2:3], 2
	s_add_u32 s34, s4, s40
	s_addc_u32 s35, s5, s41
	s_add_u32 s44, s6, s40
	s_addc_u32 s45, s7, s41
	v_mov_b32_e32 v3, s8
	v_add_co_u32_e32 v2, vcc, s9, v1
	s_add_u32 s4, s52, -1
	v_addc_co_u32_e32 v3, vcc, 0, v3, vcc
	s_addc_u32 s5, s53, -1
	v_cmp_le_u64_e64 s[2:3], s[4:5], v[2:3]
	s_mov_b64 s[12:13], -1
	s_and_b64 vcc, exec, s[2:3]
	s_mul_i32 s33, s4, 0xfffff200
	s_barrier
	s_barrier
	s_cbranch_vccz .LBB761_76
; %bb.5:
	v_pk_mov_b32 v[2:3], s[34:35], s[34:35] op_sel:[0,1]
	flat_load_dword v1, v[2:3]
	s_add_i32 s52, s33, s50
	v_cmp_gt_u32_e32 vcc, s52, v0
	s_waitcnt vmcnt(0) lgkmcnt(0)
	v_mov_b32_e32 v13, v1
	s_and_saveexec_b64 s[6:7], vcc
	s_cbranch_execz .LBB761_7
; %bb.6:
	v_lshlrev_b32_e32 v2, 2, v0
	v_mov_b32_e32 v3, s35
	v_add_co_u32_e64 v2, s[4:5], s34, v2
	v_addc_co_u32_e64 v3, s[4:5], 0, v3, s[4:5]
	flat_load_dword v13, v[2:3]
.LBB761_7:
	s_or_b64 exec, exec, s[6:7]
	v_or_b32_e32 v2, 0x100, v0
	v_cmp_gt_u32_e64 s[6:7], s52, v2
	v_mov_b32_e32 v14, v1
	s_and_saveexec_b64 s[8:9], s[6:7]
	s_cbranch_execz .LBB761_9
; %bb.8:
	v_lshlrev_b32_e32 v2, 2, v0
	v_mov_b32_e32 v3, s35
	v_add_co_u32_e64 v2, s[4:5], s34, v2
	v_addc_co_u32_e64 v3, s[4:5], 0, v3, s[4:5]
	flat_load_dword v14, v[2:3] offset:1024
.LBB761_9:
	s_or_b64 exec, exec, s[8:9]
	v_or_b32_e32 v2, 0x200, v0
	v_cmp_gt_u32_e64 s[8:9], s52, v2
	v_mov_b32_e32 v15, v1
	s_and_saveexec_b64 s[10:11], s[8:9]
	s_cbranch_execz .LBB761_11
; %bb.10:
	v_lshlrev_b32_e32 v2, 2, v0
	v_mov_b32_e32 v3, s35
	v_add_co_u32_e64 v2, s[4:5], s34, v2
	v_addc_co_u32_e64 v3, s[4:5], 0, v3, s[4:5]
	flat_load_dword v15, v[2:3] offset:2048
.LBB761_11:
	;; [unrolled: 13-line block ×3, first 2 shown]
	s_or_b64 exec, exec, s[12:13]
	v_or_b32_e32 v2, 0x400, v0
	v_cmp_gt_u32_e64 s[12:13], s52, v2
	v_mov_b32_e32 v17, v1
	s_and_saveexec_b64 s[14:15], s[12:13]
	s_cbranch_execz .LBB761_15
; %bb.14:
	v_lshlrev_b32_e32 v3, 2, v2
	v_mov_b32_e32 v5, s35
	v_add_co_u32_e64 v4, s[4:5], s34, v3
	v_addc_co_u32_e64 v5, s[4:5], 0, v5, s[4:5]
	flat_load_dword v17, v[4:5]
.LBB761_15:
	s_or_b64 exec, exec, s[14:15]
	v_or_b32_e32 v3, 0x500, v0
	v_cmp_gt_u32_e64 s[14:15], s52, v3
	v_mov_b32_e32 v18, v1
	s_and_saveexec_b64 s[16:17], s[14:15]
	s_cbranch_execz .LBB761_17
; %bb.16:
	v_lshlrev_b32_e32 v4, 2, v3
	v_mov_b32_e32 v5, s35
	v_add_co_u32_e64 v4, s[4:5], s34, v4
	v_addc_co_u32_e64 v5, s[4:5], 0, v5, s[4:5]
	flat_load_dword v18, v[4:5]
.LBB761_17:
	;; [unrolled: 13-line block ×9, first 2 shown]
	s_or_b64 exec, exec, s[30:31]
	v_or_b32_e32 v11, 0xd00, v0
	v_cmp_gt_u32_e64 s[30:31], s52, v11
	s_and_saveexec_b64 s[42:43], s[30:31]
	s_cbranch_execz .LBB761_33
; %bb.32:
	v_lshlrev_b32_e32 v1, 2, v11
	v_mov_b32_e32 v12, s35
	v_add_co_u32_e64 v26, s[4:5], s34, v1
	v_addc_co_u32_e64 v27, s[4:5], 0, v12, s[4:5]
	flat_load_dword v1, v[26:27]
.LBB761_33:
	s_or_b64 exec, exec, s[42:43]
	v_lshlrev_b32_e32 v12, 2, v0
	s_waitcnt vmcnt(0) lgkmcnt(0)
	ds_write2st64_b32 v12, v13, v14 offset1:4
	ds_write2st64_b32 v12, v15, v16 offset0:8 offset1:12
	ds_write2st64_b32 v12, v17, v18 offset0:16 offset1:20
	;; [unrolled: 1-line block ×6, first 2 shown]
	v_mad_u32_u24 v1, v0, 52, v12
	s_waitcnt lgkmcnt(0)
	s_barrier
	ds_read2_b64 v[26:29], v1 offset0:4 offset1:5
	ds_read_b64 v[42:43], v1 offset:48
	ds_read2_b64 v[34:37], v1 offset1:1
	ds_read2_b64 v[30:33], v1 offset0:2 offset1:3
	s_movk_i32 s4, 0xffcc
	v_mad_i32_i24 v13, v0, s4, v1
	s_waitcnt lgkmcnt(2)
	ds_write_b32 v13, v43 offset:14336
	s_waitcnt lgkmcnt(0)
	s_barrier
	s_barrier
	s_waitcnt lgkmcnt(0)
                                        ; implicit-def: $vgpr13
	s_and_saveexec_b64 s[4:5], vcc
	s_cbranch_execz .LBB761_113
; %bb.34:
	v_mov_b32_e32 v13, s45
	v_add_co_u32_e32 v14, vcc, s44, v12
	v_addc_co_u32_e32 v15, vcc, 0, v13, vcc
	flat_load_dword v13, v[14:15]
	s_or_b64 exec, exec, s[4:5]
                                        ; implicit-def: $vgpr14
	s_and_saveexec_b64 s[4:5], s[6:7]
	s_cbranch_execnz .LBB761_114
.LBB761_35:
	s_or_b64 exec, exec, s[4:5]
                                        ; implicit-def: $vgpr15
	s_and_saveexec_b64 s[4:5], s[8:9]
	s_cbranch_execz .LBB761_115
.LBB761_36:
	v_mov_b32_e32 v15, s45
	v_add_co_u32_e32 v16, vcc, s44, v12
	v_addc_co_u32_e32 v17, vcc, 0, v15, vcc
	flat_load_dword v15, v[16:17] offset:2048
	s_or_b64 exec, exec, s[4:5]
                                        ; implicit-def: $vgpr16
	s_and_saveexec_b64 s[4:5], s[10:11]
	s_cbranch_execnz .LBB761_116
.LBB761_37:
	s_or_b64 exec, exec, s[4:5]
                                        ; implicit-def: $vgpr17
	s_and_saveexec_b64 s[4:5], s[12:13]
	s_cbranch_execz .LBB761_117
.LBB761_38:
	v_lshlrev_b32_e32 v2, 2, v2
	v_mov_b32_e32 v17, s45
	v_add_co_u32_e32 v18, vcc, s44, v2
	v_addc_co_u32_e32 v19, vcc, 0, v17, vcc
	flat_load_dword v17, v[18:19]
	s_or_b64 exec, exec, s[4:5]
                                        ; implicit-def: $vgpr2
	s_and_saveexec_b64 s[4:5], s[14:15]
	s_cbranch_execnz .LBB761_118
.LBB761_39:
	s_or_b64 exec, exec, s[4:5]
                                        ; implicit-def: $vgpr3
	s_and_saveexec_b64 s[4:5], s[16:17]
	s_cbranch_execz .LBB761_119
.LBB761_40:
	v_lshlrev_b32_e32 v3, 2, v4
	v_mov_b32_e32 v4, s45
	v_add_co_u32_e32 v18, vcc, s44, v3
	v_addc_co_u32_e32 v19, vcc, 0, v4, vcc
	flat_load_dword v3, v[18:19]
	s_or_b64 exec, exec, s[4:5]
                                        ; implicit-def: $vgpr4
	s_and_saveexec_b64 s[4:5], s[18:19]
	s_cbranch_execnz .LBB761_120
.LBB761_41:
	s_or_b64 exec, exec, s[4:5]
                                        ; implicit-def: $vgpr5
	s_and_saveexec_b64 s[4:5], s[20:21]
	s_cbranch_execz .LBB761_121
.LBB761_42:
	v_lshlrev_b32_e32 v5, 2, v6
	v_mov_b32_e32 v6, s45
	v_add_co_u32_e32 v18, vcc, s44, v5
	v_addc_co_u32_e32 v19, vcc, 0, v6, vcc
	flat_load_dword v5, v[18:19]
	s_or_b64 exec, exec, s[4:5]
                                        ; implicit-def: $vgpr6
	s_and_saveexec_b64 s[4:5], s[22:23]
	s_cbranch_execnz .LBB761_122
.LBB761_43:
	s_or_b64 exec, exec, s[4:5]
                                        ; implicit-def: $vgpr7
	s_and_saveexec_b64 s[4:5], s[24:25]
	s_cbranch_execz .LBB761_123
.LBB761_44:
	v_lshlrev_b32_e32 v7, 2, v8
	v_mov_b32_e32 v8, s45
	v_add_co_u32_e32 v18, vcc, s44, v7
	v_addc_co_u32_e32 v19, vcc, 0, v8, vcc
	flat_load_dword v7, v[18:19]
	s_or_b64 exec, exec, s[4:5]
                                        ; implicit-def: $vgpr8
	s_and_saveexec_b64 s[4:5], s[26:27]
	s_cbranch_execnz .LBB761_124
.LBB761_45:
	s_or_b64 exec, exec, s[4:5]
                                        ; implicit-def: $vgpr9
	s_and_saveexec_b64 s[4:5], s[28:29]
	s_cbranch_execz .LBB761_47
.LBB761_46:
	v_lshlrev_b32_e32 v9, 2, v10
	v_mov_b32_e32 v10, s45
	v_add_co_u32_e32 v18, vcc, s44, v9
	v_addc_co_u32_e32 v19, vcc, 0, v10, vcc
	flat_load_dword v9, v[18:19]
.LBB761_47:
	s_or_b64 exec, exec, s[4:5]
	v_mul_u32_u24_e32 v44, 14, v0
                                        ; implicit-def: $vgpr10
	s_and_saveexec_b64 s[4:5], s[30:31]
	s_cbranch_execz .LBB761_49
; %bb.48:
	v_lshlrev_b32_e32 v10, 2, v11
	v_mov_b32_e32 v11, s45
	v_add_co_u32_e32 v10, vcc, s44, v10
	v_addc_co_u32_e32 v11, vcc, 0, v11, vcc
	flat_load_dword v10, v[10:11]
.LBB761_49:
	s_or_b64 exec, exec, s[4:5]
	s_mov_b32 s4, 0
	s_mov_b32 s5, s4
	s_waitcnt vmcnt(0) lgkmcnt(0)
	ds_write2st64_b32 v12, v13, v14 offset1:4
	ds_write2st64_b32 v12, v15, v16 offset0:8 offset1:12
	ds_write2st64_b32 v12, v17, v2 offset0:16 offset1:20
	;; [unrolled: 1-line block ×6, first 2 shown]
	s_mov_b32 s6, s4
	s_mov_b32 s7, s4
	;; [unrolled: 1-line block ×6, first 2 shown]
	v_pk_mov_b32 v[2:3], s[4:5], s[4:5] op_sel:[0,1]
	v_pk_mov_b32 v[8:9], s[10:11], s[10:11] op_sel:[0,1]
	v_pk_mov_b32 v[4:5], s[6:7], s[6:7] op_sel:[0,1]
	v_pk_mov_b32 v[6:7], s[8:9], s[8:9] op_sel:[0,1]
	v_pk_mov_b32 v[16:17], v[8:9], v[8:9] op_sel:[0,1]
	v_pk_mov_b32 v[24:25], v[8:9], v[8:9] op_sel:[0,1]
	v_cmp_gt_u32_e32 vcc, s52, v44
	s_mov_b64 s[12:13], 0
	v_pk_mov_b32 v[38:39], 0, 0
	s_mov_b64 s[16:17], 0
	v_pk_mov_b32 v[14:15], v[6:7], v[6:7] op_sel:[0,1]
	v_pk_mov_b32 v[12:13], v[4:5], v[4:5] op_sel:[0,1]
	;; [unrolled: 1-line block ×6, first 2 shown]
	s_waitcnt lgkmcnt(0)
	s_barrier
	s_waitcnt lgkmcnt(0)
                                        ; implicit-def: $vgpr45
	s_and_saveexec_b64 s[14:15], vcc
	s_cbranch_execz .LBB761_75
; %bb.50:
	v_or_b32_e32 v2, 1, v44
	ds_read_b32 v38, v1
	v_cmp_ne_u32_e32 vcc, 0, v34
	v_cndmask_b32_e64 v39, 0, 1, vcc
	v_cmp_gt_u32_e32 vcc, s52, v2
	v_pk_mov_b32 v[2:3], s[4:5], s[4:5] op_sel:[0,1]
	v_pk_mov_b32 v[8:9], s[10:11], s[10:11] op_sel:[0,1]
	v_pk_mov_b32 v[4:5], s[6:7], s[6:7] op_sel:[0,1]
	v_pk_mov_b32 v[6:7], s[8:9], s[8:9] op_sel:[0,1]
	v_pk_mov_b32 v[16:17], v[8:9], v[8:9] op_sel:[0,1]
	v_pk_mov_b32 v[24:25], v[8:9], v[8:9] op_sel:[0,1]
	s_mov_b64 s[18:19], 0
	v_pk_mov_b32 v[14:15], v[6:7], v[6:7] op_sel:[0,1]
	v_pk_mov_b32 v[12:13], v[4:5], v[4:5] op_sel:[0,1]
	;; [unrolled: 1-line block ×6, first 2 shown]
                                        ; implicit-def: $vgpr45
	s_and_saveexec_b64 s[16:17], vcc
	s_cbranch_execz .LBB761_74
; %bb.51:
	ds_read2_b32 v[40:41], v1 offset0:1 offset1:2
	s_mov_b32 s10, s4
	s_mov_b32 s11, s4
	;; [unrolled: 1-line block ×7, first 2 shown]
	v_pk_mov_b32 v[16:17], s[10:11], s[10:11] op_sel:[0,1]
	v_add_u32_e32 v2, 2, v44
	v_cmp_ne_u32_e32 vcc, 0, v35
	v_mov_b32_e32 v6, 0
	v_pk_mov_b32 v[14:15], s[8:9], s[8:9] op_sel:[0,1]
	v_pk_mov_b32 v[12:13], s[6:7], s[6:7] op_sel:[0,1]
	v_pk_mov_b32 v[10:11], s[4:5], s[4:5] op_sel:[0,1]
	v_pk_mov_b32 v[24:25], v[16:17], v[16:17] op_sel:[0,1]
	v_cndmask_b32_e64 v3, 0, 1, vcc
	v_cmp_gt_u32_e32 vcc, s52, v2
	s_waitcnt lgkmcnt(0)
	v_mov_b32_e32 v2, v40
	v_mov_b32_e32 v4, v6
	v_mov_b32_e32 v5, v6
	v_mov_b32_e32 v7, v6
	v_mov_b32_e32 v8, v6
	v_mov_b32_e32 v9, v6
	s_mov_b64 s[20:21], 0
	v_pk_mov_b32 v[22:23], v[14:15], v[14:15] op_sel:[0,1]
	v_pk_mov_b32 v[20:21], v[12:13], v[12:13] op_sel:[0,1]
	;; [unrolled: 1-line block ×3, first 2 shown]
                                        ; implicit-def: $vgpr45
	s_and_saveexec_b64 s[18:19], vcc
	s_cbranch_execz .LBB761_73
; %bb.52:
	v_pk_mov_b32 v[16:17], s[10:11], s[10:11] op_sel:[0,1]
	v_add_u32_e32 v2, 3, v44
	v_cmp_ne_u32_e32 vcc, 0, v36
	v_pk_mov_b32 v[14:15], s[8:9], s[8:9] op_sel:[0,1]
	v_pk_mov_b32 v[12:13], s[6:7], s[6:7] op_sel:[0,1]
	;; [unrolled: 1-line block ×4, first 2 shown]
	v_cndmask_b32_e64 v5, 0, 1, vcc
	v_cmp_gt_u32_e32 vcc, s52, v2
	v_mov_b32_e32 v2, v40
	v_mov_b32_e32 v4, v41
	;; [unrolled: 1-line block ×5, first 2 shown]
	s_mov_b64 s[22:23], 0
	v_pk_mov_b32 v[22:23], v[14:15], v[14:15] op_sel:[0,1]
	v_pk_mov_b32 v[20:21], v[12:13], v[12:13] op_sel:[0,1]
	;; [unrolled: 1-line block ×3, first 2 shown]
                                        ; implicit-def: $vgpr45
	s_and_saveexec_b64 s[20:21], vcc
	s_cbranch_execz .LBB761_72
; %bb.53:
	ds_read2_b32 v[34:35], v1 offset0:3 offset1:4
	s_mov_b32 s10, s4
	s_mov_b32 s11, s4
	s_mov_b32 s5, s4
	s_mov_b32 s6, s4
	s_mov_b32 s7, s4
	s_mov_b32 s8, s4
	s_mov_b32 s9, s4
	v_pk_mov_b32 v[16:17], s[10:11], s[10:11] op_sel:[0,1]
	v_add_u32_e32 v6, 4, v44
	v_cmp_ne_u32_e32 vcc, 0, v37
	v_pk_mov_b32 v[14:15], s[8:9], s[8:9] op_sel:[0,1]
	v_pk_mov_b32 v[12:13], s[6:7], s[6:7] op_sel:[0,1]
	;; [unrolled: 1-line block ×4, first 2 shown]
	v_cndmask_b32_e64 v7, 0, 1, vcc
	v_cmp_gt_u32_e32 vcc, s52, v6
	s_waitcnt lgkmcnt(0)
	v_mov_b32_e32 v6, v34
	v_mov_b32_e32 v8, s4
	;; [unrolled: 1-line block ×3, first 2 shown]
	s_mov_b64 s[24:25], 0
	v_pk_mov_b32 v[22:23], v[14:15], v[14:15] op_sel:[0,1]
	v_pk_mov_b32 v[20:21], v[12:13], v[12:13] op_sel:[0,1]
	;; [unrolled: 1-line block ×3, first 2 shown]
                                        ; implicit-def: $vgpr45
	s_and_saveexec_b64 s[22:23], vcc
	s_cbranch_execz .LBB761_71
; %bb.54:
	v_pk_mov_b32 v[16:17], s[10:11], s[10:11] op_sel:[0,1]
	v_add_u32_e32 v8, 5, v44
	v_cmp_ne_u32_e32 vcc, 0, v30
	v_pk_mov_b32 v[14:15], s[8:9], s[8:9] op_sel:[0,1]
	v_pk_mov_b32 v[12:13], s[6:7], s[6:7] op_sel:[0,1]
	v_pk_mov_b32 v[10:11], s[4:5], s[4:5] op_sel:[0,1]
	v_pk_mov_b32 v[24:25], v[16:17], v[16:17] op_sel:[0,1]
	v_cndmask_b32_e64 v9, 0, 1, vcc
	v_cmp_gt_u32_e32 vcc, s52, v8
	v_mov_b32_e32 v8, v35
	s_mov_b64 s[26:27], 0
	v_pk_mov_b32 v[22:23], v[14:15], v[14:15] op_sel:[0,1]
	v_pk_mov_b32 v[20:21], v[12:13], v[12:13] op_sel:[0,1]
	;; [unrolled: 1-line block ×3, first 2 shown]
                                        ; implicit-def: $vgpr45
	s_and_saveexec_b64 s[24:25], vcc
	s_cbranch_execz .LBB761_70
; %bb.55:
	ds_read2_b32 v[34:35], v1 offset0:5 offset1:6
	s_mov_b32 s10, s4
	s_mov_b32 s11, s4
	v_add_u32_e32 v10, 6, v44
	v_cmp_ne_u32_e32 vcc, 0, v31
	v_mov_b32_e32 v14, 0
	s_mov_b32 s5, s4
	s_mov_b32 s6, s4
	;; [unrolled: 1-line block ×5, first 2 shown]
	v_pk_mov_b32 v[24:25], s[10:11], s[10:11] op_sel:[0,1]
	v_cndmask_b32_e64 v11, 0, 1, vcc
	v_cmp_gt_u32_e32 vcc, s52, v10
	s_waitcnt lgkmcnt(0)
	v_mov_b32_e32 v10, v34
	v_mov_b32_e32 v12, v14
	;; [unrolled: 1-line block ×6, first 2 shown]
	s_mov_b64 s[28:29], 0
	v_pk_mov_b32 v[22:23], s[8:9], s[8:9] op_sel:[0,1]
	v_pk_mov_b32 v[20:21], s[6:7], s[6:7] op_sel:[0,1]
	;; [unrolled: 1-line block ×3, first 2 shown]
                                        ; implicit-def: $vgpr45
	s_and_saveexec_b64 s[26:27], vcc
	s_cbranch_execz .LBB761_69
; %bb.56:
	v_add_u32_e32 v10, 7, v44
	v_cmp_ne_u32_e32 vcc, 0, v32
	v_pk_mov_b32 v[24:25], s[10:11], s[10:11] op_sel:[0,1]
	v_cndmask_b32_e64 v13, 0, 1, vcc
	v_cmp_gt_u32_e32 vcc, s52, v10
	v_mov_b32_e32 v10, v34
	v_mov_b32_e32 v12, v35
	;; [unrolled: 1-line block ×5, first 2 shown]
	s_mov_b64 s[30:31], 0
	v_pk_mov_b32 v[22:23], s[8:9], s[8:9] op_sel:[0,1]
	v_pk_mov_b32 v[20:21], s[6:7], s[6:7] op_sel:[0,1]
	;; [unrolled: 1-line block ×3, first 2 shown]
                                        ; implicit-def: $vgpr45
	s_and_saveexec_b64 s[28:29], vcc
	s_cbranch_execz .LBB761_68
; %bb.57:
	ds_read2_b32 v[30:31], v1 offset0:7 offset1:8
	s_mov_b32 s10, s4
	s_mov_b32 s11, s4
	v_add_u32_e32 v14, 8, v44
	v_cmp_ne_u32_e32 vcc, 0, v33
	s_mov_b32 s5, s4
	s_mov_b32 s6, s4
	;; [unrolled: 1-line block ×5, first 2 shown]
	v_pk_mov_b32 v[24:25], s[10:11], s[10:11] op_sel:[0,1]
	v_cndmask_b32_e64 v15, 0, 1, vcc
	v_cmp_gt_u32_e32 vcc, s52, v14
	s_waitcnt lgkmcnt(0)
	v_mov_b32_e32 v14, v30
	v_mov_b32_e32 v16, s4
	;; [unrolled: 1-line block ×3, first 2 shown]
	s_mov_b64 s[42:43], 0
	v_pk_mov_b32 v[22:23], s[8:9], s[8:9] op_sel:[0,1]
	v_pk_mov_b32 v[20:21], s[6:7], s[6:7] op_sel:[0,1]
	v_pk_mov_b32 v[18:19], s[4:5], s[4:5] op_sel:[0,1]
                                        ; implicit-def: $vgpr45
	s_and_saveexec_b64 s[30:31], vcc
	s_cbranch_execz .LBB761_67
; %bb.58:
	v_add_u32_e32 v16, 9, v44
	v_cmp_ne_u32_e32 vcc, 0, v26
	v_pk_mov_b32 v[24:25], s[10:11], s[10:11] op_sel:[0,1]
	v_cndmask_b32_e64 v17, 0, 1, vcc
	v_cmp_gt_u32_e32 vcc, s52, v16
	v_mov_b32_e32 v16, v31
	v_pk_mov_b32 v[22:23], s[8:9], s[8:9] op_sel:[0,1]
	v_pk_mov_b32 v[20:21], s[6:7], s[6:7] op_sel:[0,1]
	;; [unrolled: 1-line block ×3, first 2 shown]
                                        ; implicit-def: $vgpr45
	s_and_saveexec_b64 s[4:5], vcc
	s_cbranch_execz .LBB761_66
; %bb.59:
	ds_read2_b32 v[30:31], v1 offset0:9 offset1:10
	v_add_u32_e32 v18, 10, v44
	v_cmp_ne_u32_e32 vcc, 0, v27
	v_mov_b32_e32 v22, 0
	v_cndmask_b32_e64 v19, 0, 1, vcc
	v_cmp_gt_u32_e32 vcc, s52, v18
	s_waitcnt lgkmcnt(0)
	v_mov_b32_e32 v18, v30
	v_mov_b32_e32 v20, v22
	v_mov_b32_e32 v21, v22
	v_mov_b32_e32 v23, v22
	v_mov_b32_e32 v24, v22
	v_mov_b32_e32 v25, v22
	s_mov_b64 s[8:9], 0
                                        ; implicit-def: $vgpr45
	s_and_saveexec_b64 s[6:7], vcc
	s_cbranch_execz .LBB761_65
; %bb.60:
	v_add_u32_e32 v18, 11, v44
	v_cmp_ne_u32_e32 vcc, 0, v28
	v_cndmask_b32_e64 v21, 0, 1, vcc
	v_cmp_gt_u32_e32 vcc, s52, v18
	v_mov_b32_e32 v18, v30
	v_mov_b32_e32 v20, v31
	;; [unrolled: 1-line block ×5, first 2 shown]
	s_mov_b64 s[10:11], 0
                                        ; implicit-def: $vgpr45
	s_and_saveexec_b64 s[8:9], vcc
	s_cbranch_execz .LBB761_64
; %bb.61:
	ds_read2_b32 v[26:27], v1 offset0:11 offset1:12
	s_mov_b32 s10, 0
	v_add_u32_e32 v22, 12, v44
	v_cmp_ne_u32_e32 vcc, 0, v29
	v_cndmask_b32_e64 v23, 0, 1, vcc
	v_cmp_gt_u32_e32 vcc, s52, v22
	s_waitcnt lgkmcnt(0)
	v_mov_b32_e32 v22, v26
	v_mov_b32_e32 v24, s10
	;; [unrolled: 1-line block ×3, first 2 shown]
	s_mov_b64 s[10:11], 0
                                        ; implicit-def: $vgpr45
	s_and_saveexec_b64 s[42:43], vcc
	s_xor_b64 s[42:43], exec, s[42:43]
	s_cbranch_execz .LBB761_63
; %bb.62:
	ds_read_b32 v45, v1 offset:52
	v_add_u32_e32 v1, 13, v44
	v_cmp_ne_u32_e32 vcc, 0, v42
	v_cndmask_b32_e64 v25, 0, 1, vcc
	v_cmp_gt_u32_e32 vcc, s52, v1
	v_mov_b32_e32 v24, v27
	s_and_b64 s[10:11], vcc, exec
.LBB761_63:
	s_or_b64 exec, exec, s[42:43]
	s_and_b64 s[10:11], s[10:11], exec
.LBB761_64:
	s_or_b64 exec, exec, s[8:9]
	s_and_b64 s[8:9], s[10:11], exec
.LBB761_65:
	s_or_b64 exec, exec, s[6:7]
	s_and_b64 s[42:43], s[8:9], exec
.LBB761_66:
	s_or_b64 exec, exec, s[4:5]
	s_and_b64 s[42:43], s[42:43], exec
.LBB761_67:
	s_or_b64 exec, exec, s[30:31]
	s_and_b64 s[30:31], s[42:43], exec
.LBB761_68:
	s_or_b64 exec, exec, s[28:29]
	s_and_b64 s[28:29], s[30:31], exec
.LBB761_69:
	s_or_b64 exec, exec, s[26:27]
	s_and_b64 s[26:27], s[28:29], exec
.LBB761_70:
	s_or_b64 exec, exec, s[24:25]
	s_and_b64 s[24:25], s[26:27], exec
.LBB761_71:
	s_or_b64 exec, exec, s[22:23]
	s_and_b64 s[22:23], s[24:25], exec
.LBB761_72:
	s_or_b64 exec, exec, s[20:21]
	s_and_b64 s[20:21], s[22:23], exec
.LBB761_73:
	s_or_b64 exec, exec, s[18:19]
	s_and_b64 s[18:19], s[20:21], exec
.LBB761_74:
	s_or_b64 exec, exec, s[16:17]
	s_and_b64 s[16:17], s[18:19], exec
.LBB761_75:
	s_or_b64 exec, exec, s[14:15]
	s_and_b64 vcc, exec, s[12:13]
	v_lshlrev_b32_e32 v50, 2, v0
	s_cbranch_vccnz .LBB761_77
	s_branch .LBB761_78
.LBB761_76:
	s_mov_b64 s[16:17], 0
                                        ; implicit-def: $vgpr2_vgpr3_vgpr4_vgpr5_vgpr6_vgpr7_vgpr8_vgpr9
                                        ; implicit-def: $vgpr10_vgpr11_vgpr12_vgpr13_vgpr14_vgpr15_vgpr16_vgpr17
                                        ; implicit-def: $vgpr18_vgpr19_vgpr20_vgpr21_vgpr22_vgpr23_vgpr24_vgpr25
                                        ; implicit-def: $vgpr43
                                        ; implicit-def: $vgpr45
                                        ; implicit-def: $vgpr38_vgpr39
	s_and_b64 vcc, exec, s[12:13]
	v_lshlrev_b32_e32 v50, 2, v0
	s_cbranch_vccz .LBB761_78
.LBB761_77:
	v_mov_b32_e32 v1, s35
	v_add_co_u32_e32 v2, vcc, s34, v50
	v_addc_co_u32_e32 v3, vcc, 0, v1, vcc
	v_add_co_u32_e32 v4, vcc, 0x1000, v2
	v_addc_co_u32_e32 v5, vcc, 0, v3, vcc
	flat_load_dword v1, v[2:3]
	flat_load_dword v10, v[2:3] offset:1024
	flat_load_dword v11, v[2:3] offset:2048
	;; [unrolled: 1-line block ×3, first 2 shown]
	flat_load_dword v13, v[4:5]
	flat_load_dword v14, v[4:5] offset:1024
	flat_load_dword v15, v[4:5] offset:2048
	;; [unrolled: 1-line block ×3, first 2 shown]
	v_add_co_u32_e32 v4, vcc, 0x2000, v2
	v_addc_co_u32_e32 v5, vcc, 0, v3, vcc
	v_add_co_u32_e32 v2, vcc, 0x3000, v2
	v_addc_co_u32_e32 v3, vcc, 0, v3, vcc
	flat_load_dword v17, v[4:5]
	flat_load_dword v18, v[4:5] offset:1024
	flat_load_dword v19, v[4:5] offset:2048
	;; [unrolled: 1-line block ×3, first 2 shown]
	flat_load_dword v21, v[2:3]
	flat_load_dword v22, v[2:3] offset:1024
	v_mov_b32_e32 v3, s45
	v_add_co_u32_e32 v2, vcc, s44, v50
	s_movk_i32 s4, 0x1000
	v_addc_co_u32_e32 v3, vcc, 0, v3, vcc
	v_add_co_u32_e32 v4, vcc, s4, v2
	s_movk_i32 s5, 0x2000
	v_addc_co_u32_e32 v5, vcc, 0, v3, vcc
	v_add_co_u32_e32 v6, vcc, s5, v2
	s_movk_i32 s6, 0x3000
	v_mad_u32_u24 v36, v0, 52, v50
	s_movk_i32 s7, 0xffcc
	v_addc_co_u32_e32 v7, vcc, 0, v3, vcc
	v_mad_i32_i24 v26, v0, s7, v36
	v_add_co_u32_e32 v8, vcc, s6, v2
	v_addc_co_u32_e32 v9, vcc, 0, v3, vcc
	s_or_b64 s[16:17], s[16:17], exec
                                        ; implicit-def: $sgpr12_sgpr13
	s_waitcnt vmcnt(0) lgkmcnt(0)
	ds_write2st64_b32 v50, v1, v10 offset1:4
	ds_write2st64_b32 v50, v11, v12 offset0:8 offset1:12
	ds_write2st64_b32 v50, v13, v14 offset0:16 offset1:20
	;; [unrolled: 1-line block ×6, first 2 shown]
	s_waitcnt lgkmcnt(0)
	s_barrier
	ds_read2_b32 v[42:43], v36 offset1:13
	ds_read2_b32 v[18:19], v36 offset0:9 offset1:10
	ds_read2_b32 v[20:21], v36 offset0:11 offset1:12
	;; [unrolled: 1-line block ×6, first 2 shown]
	s_waitcnt lgkmcnt(6)
	ds_write_b32 v26, v43 offset:14336
	s_waitcnt lgkmcnt(0)
	s_barrier
	s_barrier
	flat_load_dword v1, v[2:3]
	flat_load_dword v14, v[2:3] offset:1024
	flat_load_dword v16, v[2:3] offset:2048
	flat_load_dword v26, v[2:3] offset:3072
	flat_load_dword v27, v[4:5]
	flat_load_dword v28, v[4:5] offset:1024
	flat_load_dword v29, v[4:5] offset:2048
	flat_load_dword v30, v[4:5] offset:3072
	flat_load_dword v31, v[6:7]
	flat_load_dword v32, v[6:7] offset:1024
	flat_load_dword v33, v[6:7] offset:2048
	flat_load_dword v34, v[6:7] offset:3072
	flat_load_dword v35, v[8:9]
	flat_load_dword v37, v[8:9] offset:1024
	v_cmp_ne_u32_e32 vcc, 0, v42
	v_cndmask_b32_e64 v39, 0, 1, vcc
	v_cmp_ne_u32_e32 vcc, 0, v11
	v_cndmask_b32_e64 v17, 0, 1, vcc
	;; [unrolled: 2-line block ×13, first 2 shown]
	s_waitcnt vmcnt(0) lgkmcnt(0)
	ds_write2st64_b32 v50, v1, v14 offset1:4
	ds_write2st64_b32 v50, v16, v26 offset0:8 offset1:12
	ds_write2st64_b32 v50, v27, v28 offset0:16 offset1:20
	;; [unrolled: 1-line block ×6, first 2 shown]
	s_waitcnt lgkmcnt(0)
	s_barrier
	ds_read2_b32 v[26:27], v36 offset0:7 offset1:8
	ds_read2_b32 v[28:29], v36 offset0:5 offset1:6
	;; [unrolled: 1-line block ×4, first 2 shown]
	ds_read2_b32 v[44:45], v36 offset1:13
	ds_read2_b32 v[34:35], v36 offset0:11 offset1:12
	ds_read2_b32 v[36:37], v36 offset0:9 offset1:10
	s_waitcnt lgkmcnt(5)
	v_mov_b32_e32 v10, v28
	s_waitcnt lgkmcnt(4)
	v_mov_b32_e32 v6, v30
	;; [unrolled: 2-line block ×4, first 2 shown]
	v_mov_b32_e32 v4, v33
	v_mov_b32_e32 v8, v31
	v_mov_b32_e32 v12, v29
	v_mov_b32_e32 v14, v26
	v_mov_b32_e32 v16, v27
	s_waitcnt lgkmcnt(0)
	v_mov_b32_e32 v18, v36
	v_mov_b32_e32 v20, v37
	;; [unrolled: 1-line block ×4, first 2 shown]
.LBB761_78:
	v_pk_mov_b32 v[40:41], s[12:13], s[12:13] op_sel:[0,1]
	s_and_saveexec_b64 s[4:5], s[16:17]
	s_cbranch_execz .LBB761_80
; %bb.79:
	v_cmp_ne_u32_e32 vcc, 0, v43
	v_cndmask_b32_e64 v41, 0, 1, vcc
	s_waitcnt lgkmcnt(0)
	v_mov_b32_e32 v40, v45
.LBB761_80:
	s_or_b64 exec, exec, s[4:5]
	s_mov_b32 s4, 0
	s_cmp_lg_u32 s51, 0
	v_mbcnt_lo_u32_b32 v52, -1, 0
	v_lshrrev_b32_e32 v1, 6, v0
	v_or_b32_e32 v51, 63, v0
	s_waitcnt lgkmcnt(0)
	s_barrier
	s_cbranch_scc0 .LBB761_125
; %bb.81:
	s_mov_b32 s5, 1
	v_cmp_gt_u64_e64 s[6:7], s[4:5], v[2:3]
	v_cndmask_b32_e64 v27, 0, v38, s[6:7]
	v_add_u32_e32 v27, v27, v2
	v_cmp_gt_u64_e64 s[8:9], s[4:5], v[4:5]
	v_cndmask_b32_e64 v27, 0, v27, s[8:9]
	v_add_u32_e32 v27, v27, v4
	;; [unrolled: 3-line block ×13, first 2 shown]
	v_or3_b32 v27, v41, v25, v23
	v_or3_b32 v27, v27, v21, v19
	;; [unrolled: 1-line block ×6, first 2 shown]
	v_mov_b32_e32 v26, 0
	v_and_b32_e32 v27, 1, v27
	v_cmp_eq_u64_e32 vcc, 0, v[26:27]
	v_cndmask_b32_e32 v26, 1, v39, vcc
	v_mbcnt_hi_u32_b32 v46, -1, v52
	v_mov_b32_dpp v29, v28 row_shr:1 row_mask:0xf bank_mask:0xf
	v_mov_b32_dpp v30, v26 row_shr:1 row_mask:0xf bank_mask:0xf
	v_cmp_eq_u32_e32 vcc, 0, v26
	v_and_b32_e32 v31, 1, v26
	v_and_b32_e32 v27, 15, v46
	v_cndmask_b32_e32 v29, 0, v29, vcc
	v_and_b32_e32 v30, 1, v30
	v_cmp_eq_u32_e32 vcc, 1, v31
	v_cndmask_b32_e64 v30, v30, 1, vcc
	v_cmp_eq_u32_e32 vcc, 0, v27
	v_cndmask_b32_e32 v26, v30, v26, vcc
	v_and_b32_e32 v31, 1, v26
	v_cmp_eq_u32_e64 s[4:5], 1, v31
	v_mov_b32_dpp v30, v26 row_shr:2 row_mask:0xf bank_mask:0xf
	v_and_b32_e32 v30, 1, v30
	v_cndmask_b32_e64 v30, v30, 1, s[4:5]
	v_cmp_lt_u32_e64 s[4:5], 1, v27
	v_cndmask_b32_e64 v29, v29, 0, vcc
	v_cmp_eq_u32_e32 vcc, 0, v26
	v_cndmask_b32_e64 v26, v26, v30, s[4:5]
	v_add_u32_e32 v28, v29, v28
	v_and_b32_e32 v31, 1, v26
	v_mov_b32_dpp v30, v26 row_shr:4 row_mask:0xf bank_mask:0xf
	v_mov_b32_dpp v29, v28 row_shr:2 row_mask:0xf bank_mask:0xf
	s_and_b64 vcc, s[4:5], vcc
	v_and_b32_e32 v30, 1, v30
	v_cmp_eq_u32_e64 s[4:5], 1, v31
	v_cndmask_b32_e32 v29, 0, v29, vcc
	v_cndmask_b32_e64 v30, v30, 1, s[4:5]
	v_cmp_lt_u32_e64 s[4:5], 3, v27
	v_add_u32_e32 v28, v29, v28
	v_cmp_eq_u32_e32 vcc, 0, v26
	v_cndmask_b32_e64 v26, v26, v30, s[4:5]
	v_mov_b32_dpp v29, v28 row_shr:4 row_mask:0xf bank_mask:0xf
	s_and_b64 vcc, s[4:5], vcc
	v_mov_b32_dpp v30, v26 row_shr:8 row_mask:0xf bank_mask:0xf
	v_and_b32_e32 v31, 1, v26
	v_cndmask_b32_e32 v29, 0, v29, vcc
	v_and_b32_e32 v30, 1, v30
	v_cmp_eq_u32_e64 s[4:5], 1, v31
	v_add_u32_e32 v28, v29, v28
	v_cmp_eq_u32_e32 vcc, 0, v26
	v_cndmask_b32_e64 v30, v30, 1, s[4:5]
	v_cmp_lt_u32_e64 s[4:5], 7, v27
	v_mov_b32_dpp v29, v28 row_shr:8 row_mask:0xf bank_mask:0xf
	s_and_b64 vcc, s[4:5], vcc
	v_cndmask_b32_e32 v27, 0, v29, vcc
	v_cndmask_b32_e64 v26, v26, v30, s[4:5]
	v_add_u32_e32 v27, v27, v28
	v_cmp_eq_u32_e32 vcc, 0, v26
	v_mov_b32_dpp v29, v26 row_bcast:15 row_mask:0xf bank_mask:0xf
	v_mov_b32_dpp v28, v27 row_bcast:15 row_mask:0xf bank_mask:0xf
	v_and_b32_e32 v32, 1, v26
	v_and_b32_e32 v31, 16, v46
	v_cndmask_b32_e32 v28, 0, v28, vcc
	v_and_b32_e32 v29, 1, v29
	v_cmp_eq_u32_e32 vcc, 1, v32
	v_bfe_i32 v30, v46, 4, 1
	v_cndmask_b32_e64 v29, v29, 1, vcc
	v_cmp_eq_u32_e32 vcc, 0, v31
	v_and_b32_e32 v28, v30, v28
	v_cndmask_b32_e32 v26, v29, v26, vcc
	v_add_u32_e32 v27, v28, v27
	v_and_b32_e32 v30, 1, v26
	v_mov_b32_dpp v28, v26 row_bcast:31 row_mask:0xf bank_mask:0xf
	v_and_b32_e32 v28, 1, v28
	v_cmp_eq_u32_e64 s[4:5], 1, v30
	v_cmp_eq_u32_e32 vcc, 0, v26
	v_cndmask_b32_e64 v28, v28, 1, s[4:5]
	v_cmp_lt_u32_e64 s[4:5], 31, v46
	v_mov_b32_dpp v29, v27 row_bcast:31 row_mask:0xf bank_mask:0xf
	s_and_b64 vcc, s[4:5], vcc
	v_cndmask_b32_e64 v28, v26, v28, s[4:5]
	v_cndmask_b32_e32 v26, 0, v29, vcc
	v_add_u32_e32 v29, v26, v27
	v_cmp_eq_u32_e32 vcc, v51, v0
	s_and_saveexec_b64 s[4:5], vcc
	s_cbranch_execz .LBB761_83
; %bb.82:
	v_lshlrev_b32_e32 v26, 3, v1
	ds_write_b32 v26, v29
	ds_write_b8 v26, v28 offset:4
.LBB761_83:
	s_or_b64 exec, exec, s[4:5]
	v_cmp_gt_u32_e32 vcc, 4, v0
	s_waitcnt lgkmcnt(0)
	s_barrier
	s_and_saveexec_b64 s[4:5], vcc
	s_cbranch_execz .LBB761_87
; %bb.84:
	v_lshlrev_b32_e32 v30, 3, v0
	ds_read_b64 v[26:27], v30
	v_and_b32_e32 v31, 3, v46
	v_cmp_ne_u32_e32 vcc, 0, v31
	s_waitcnt lgkmcnt(0)
	v_mov_b32_dpp v32, v26 row_shr:1 row_mask:0xf bank_mask:0xf
	v_mov_b32_dpp v34, v27 row_shr:1 row_mask:0xf bank_mask:0xf
	v_mov_b32_e32 v33, v27
	s_and_saveexec_b64 s[34:35], vcc
	s_cbranch_execz .LBB761_86
; %bb.85:
	v_and_b32_e32 v33, 1, v27
	v_and_b32_e32 v34, 1, v34
	v_cmp_eq_u32_e32 vcc, 1, v33
	v_mov_b32_e32 v33, 0
	v_cndmask_b32_e64 v34, v34, 1, vcc
	v_cmp_eq_u16_sdwa vcc, v27, v33 src0_sel:BYTE_0 src1_sel:DWORD
	v_cndmask_b32_e32 v32, 0, v32, vcc
	v_add_u32_e32 v26, v32, v26
	v_and_b32_e32 v32, 0xffff, v34
	s_movk_i32 s42, 0xff00
	v_and_or_b32 v33, v27, s42, v32
	v_mov_b32_e32 v27, v34
.LBB761_86:
	s_or_b64 exec, exec, s[34:35]
	v_mov_b32_dpp v33, v33 row_shr:2 row_mask:0xf bank_mask:0xf
	v_and_b32_e32 v34, 1, v27
	v_and_b32_e32 v33, 1, v33
	v_cmp_eq_u32_e32 vcc, 1, v34
	v_mov_b32_e32 v34, 0
	v_cndmask_b32_e64 v33, v33, 1, vcc
	v_cmp_eq_u16_sdwa s[34:35], v27, v34 src0_sel:BYTE_0 src1_sel:DWORD
	v_cmp_lt_u32_e32 vcc, 1, v31
	v_mov_b32_dpp v32, v26 row_shr:2 row_mask:0xf bank_mask:0xf
	v_cndmask_b32_e32 v27, v27, v33, vcc
	s_and_b64 vcc, vcc, s[34:35]
	v_cndmask_b32_e32 v31, 0, v32, vcc
	v_add_u32_e32 v26, v31, v26
	ds_write_b32 v30, v26
	ds_write_b8 v30, v27 offset:4
.LBB761_87:
	s_or_b64 exec, exec, s[4:5]
	v_cmp_gt_u32_e32 vcc, 64, v0
	v_cmp_lt_u32_e64 s[4:5], 63, v0
	v_mov_b32_e32 v42, 0
	v_mov_b32_e32 v43, 0
	s_waitcnt lgkmcnt(0)
	s_barrier
	s_and_saveexec_b64 s[34:35], s[4:5]
	s_cbranch_execz .LBB761_89
; %bb.88:
	v_lshl_add_u32 v26, v1, 3, -8
	ds_read_b32 v42, v26
	ds_read_u8 v43, v26 offset:4
	v_and_b32_e32 v27, 1, v28
	v_cmp_eq_u32_e64 s[4:5], 0, v28
	s_waitcnt lgkmcnt(1)
	v_cndmask_b32_e64 v26, 0, v42, s[4:5]
	v_cmp_eq_u32_e64 s[4:5], 1, v27
	v_add_u32_e32 v29, v26, v29
	s_waitcnt lgkmcnt(0)
	v_cndmask_b32_e64 v28, v43, 1, s[4:5]
.LBB761_89:
	s_or_b64 exec, exec, s[34:35]
	v_add_u32_e32 v26, -1, v46
	v_and_b32_e32 v27, 64, v46
	v_cmp_lt_i32_e64 s[4:5], v26, v27
	v_cndmask_b32_e64 v26, v26, v46, s[4:5]
	v_lshlrev_b32_e32 v26, 2, v26
	ds_bpermute_b32 v44, v26, v29
	ds_bpermute_b32 v45, v26, v28
	v_cmp_eq_u32_e64 s[34:35], 0, v46
	s_and_saveexec_b64 s[42:43], vcc
	s_cbranch_execz .LBB761_112
; %bb.90:
	v_mov_b32_e32 v29, 0
	ds_read_b64 v[26:27], v29 offset:24
	s_waitcnt lgkmcnt(0)
	v_readfirstlane_b32 s58, v27
	s_and_saveexec_b64 s[4:5], s[34:35]
	s_cbranch_execz .LBB761_92
; %bb.91:
	s_add_i32 s44, s51, 64
	s_mov_b32 s45, 0
	s_lshl_b64 s[52:53], s[44:45], 4
	s_add_u32 s52, s48, s52
	s_addc_u32 s53, s49, s53
	s_and_b32 s61, s58, 0xff000000
	s_mov_b32 s60, s45
	s_and_b32 s63, s58, 0xff0000
	s_mov_b32 s62, s45
	s_or_b64 s[60:61], s[62:63], s[60:61]
	s_and_b32 s63, s58, 0xff00
	s_or_b64 s[60:61], s[60:61], s[62:63]
	s_and_b32 s63, s58, 0xff
	s_or_b64 s[44:45], s[60:61], s[62:63]
	v_mov_b32_e32 v27, s45
	v_mov_b32_e32 v28, 1
	v_pk_mov_b32 v[30:31], s[52:53], s[52:53] op_sel:[0,1]
	;;#ASMSTART
	global_store_dwordx4 v[30:31], v[26:29] off	
s_waitcnt vmcnt(0)
	;;#ASMEND
.LBB761_92:
	s_or_b64 exec, exec, s[4:5]
	v_xad_u32 v34, v46, -1, s51
	v_add_u32_e32 v28, 64, v34
	v_lshlrev_b64 v[30:31], 4, v[28:29]
	v_mov_b32_e32 v27, s49
	v_add_co_u32_e32 v36, vcc, s48, v30
	v_addc_co_u32_e32 v37, vcc, v27, v31, vcc
	;;#ASMSTART
	global_load_dwordx4 v[30:33], v[36:37] off glc	
s_waitcnt vmcnt(0)
	;;#ASMEND
	v_and_b32_e32 v27, 0xff0000, v30
	v_or_b32_sdwa v27, v30, v27 dst_sel:DWORD dst_unused:UNUSED_PAD src0_sel:WORD_0 src1_sel:DWORD
	v_and_b32_e32 v28, 0xff000000, v30
	v_and_b32_e32 v30, 0xff, v31
	v_or3_b32 v31, 0, 0, v30
	v_or3_b32 v30, v27, v28, 0
	v_cmp_eq_u16_sdwa s[44:45], v32, v29 src0_sel:BYTE_0 src1_sel:DWORD
	s_and_saveexec_b64 s[4:5], s[44:45]
	s_cbranch_execz .LBB761_98
; %bb.93:
	s_mov_b32 s52, 1
	s_mov_b64 s[44:45], 0
	v_mov_b32_e32 v27, 0
.LBB761_94:                             ; =>This Loop Header: Depth=1
                                        ;     Child Loop BB761_95 Depth 2
	s_max_u32 s53, s52, 1
.LBB761_95:                             ;   Parent Loop BB761_94 Depth=1
                                        ; =>  This Inner Loop Header: Depth=2
	s_add_i32 s53, s53, -1
	s_cmp_eq_u32 s53, 0
	s_sleep 1
	s_cbranch_scc0 .LBB761_95
; %bb.96:                               ;   in Loop: Header=BB761_94 Depth=1
	s_cmp_lt_u32 s52, 32
	s_cselect_b64 s[60:61], -1, 0
	s_cmp_lg_u64 s[60:61], 0
	s_addc_u32 s52, s52, 0
	;;#ASMSTART
	global_load_dwordx4 v[30:33], v[36:37] off glc	
s_waitcnt vmcnt(0)
	;;#ASMEND
	v_cmp_ne_u16_sdwa s[60:61], v32, v27 src0_sel:BYTE_0 src1_sel:DWORD
	s_or_b64 s[44:45], s[60:61], s[44:45]
	s_andn2_b64 exec, exec, s[44:45]
	s_cbranch_execnz .LBB761_94
; %bb.97:
	s_or_b64 exec, exec, s[44:45]
	v_and_b32_e32 v31, 0xff, v31
.LBB761_98:
	s_or_b64 exec, exec, s[4:5]
	v_mov_b32_e32 v27, 2
	v_cmp_eq_u16_sdwa s[4:5], v32, v27 src0_sel:BYTE_0 src1_sel:DWORD
	v_lshlrev_b64 v[28:29], v46, -1
	v_and_b32_e32 v33, s5, v29
	v_or_b32_e32 v33, 0x80000000, v33
	v_and_b32_e32 v35, s4, v28
	v_ffbl_b32_e32 v33, v33
	v_and_b32_e32 v47, 63, v46
	v_add_u32_e32 v33, 32, v33
	v_ffbl_b32_e32 v35, v35
	v_cmp_ne_u32_e32 vcc, 63, v47
	v_min_u32_e32 v33, v35, v33
	v_addc_co_u32_e32 v35, vcc, 0, v46, vcc
	v_lshlrev_b32_e32 v48, 2, v35
	ds_bpermute_b32 v35, v48, v31
	ds_bpermute_b32 v36, v48, v30
	s_mov_b32 s44, 0
	v_and_b32_e32 v37, 1, v31
	s_mov_b32 s45, 1
	s_waitcnt lgkmcnt(1)
	v_and_b32_e32 v35, 1, v35
	v_cmp_eq_u32_e32 vcc, 1, v37
	v_cndmask_b32_e64 v35, v35, 1, vcc
	v_cmp_gt_u64_e32 vcc, s[44:45], v[30:31]
	v_cmp_lt_u32_e64 s[4:5], v47, v33
	s_and_b64 vcc, s[4:5], vcc
	v_and_b32_e32 v37, 0xffff, v35
	v_cndmask_b32_e64 v54, v31, v35, s[4:5]
	s_waitcnt lgkmcnt(0)
	v_cndmask_b32_e32 v35, 0, v36, vcc
	v_cmp_gt_u32_e32 vcc, 62, v47
	v_cndmask_b32_e64 v36, 0, 1, vcc
	v_lshlrev_b32_e32 v36, 1, v36
	v_cndmask_b32_e64 v31, v31, v37, s[4:5]
	v_add_lshl_u32 v49, v36, v46, 2
	ds_bpermute_b32 v36, v49, v31
	v_add_u32_e32 v30, v35, v30
	ds_bpermute_b32 v37, v49, v30
	v_and_b32_e32 v35, 1, v54
	v_cmp_eq_u32_e32 vcc, 1, v35
	s_waitcnt lgkmcnt(1)
	v_and_b32_e32 v36, 1, v36
	v_mov_b32_e32 v35, 0
	v_add_u32_e32 v53, 2, v47
	v_cndmask_b32_e64 v36, v36, 1, vcc
	v_cmp_eq_u16_sdwa vcc, v54, v35 src0_sel:BYTE_0 src1_sel:DWORD
	v_and_b32_e32 v55, 0xffff, v36
	s_waitcnt lgkmcnt(0)
	v_cndmask_b32_e32 v37, 0, v37, vcc
	v_cmp_gt_u32_e32 vcc, v53, v33
	v_cndmask_b32_e32 v36, v36, v54, vcc
	v_cndmask_b32_e64 v37, v37, 0, vcc
	v_cndmask_b32_e32 v31, v55, v31, vcc
	v_cmp_gt_u32_e32 vcc, 60, v47
	v_cndmask_b32_e64 v54, 0, 1, vcc
	v_lshlrev_b32_e32 v54, 2, v54
	v_add_lshl_u32 v54, v54, v46, 2
	ds_bpermute_b32 v56, v54, v31
	v_add_u32_e32 v30, v37, v30
	ds_bpermute_b32 v37, v54, v30
	v_and_b32_e32 v57, 1, v36
	v_cmp_eq_u32_e32 vcc, 1, v57
	s_waitcnt lgkmcnt(1)
	v_and_b32_e32 v56, 1, v56
	v_add_u32_e32 v55, 4, v47
	v_cndmask_b32_e64 v56, v56, 1, vcc
	v_cmp_eq_u16_sdwa vcc, v36, v35 src0_sel:BYTE_0 src1_sel:DWORD
	v_and_b32_e32 v57, 0xffff, v56
	s_waitcnt lgkmcnt(0)
	v_cndmask_b32_e32 v37, 0, v37, vcc
	v_cmp_gt_u32_e32 vcc, v55, v33
	v_cndmask_b32_e32 v36, v56, v36, vcc
	v_cndmask_b32_e64 v37, v37, 0, vcc
	v_cndmask_b32_e32 v31, v57, v31, vcc
	v_cmp_gt_u32_e32 vcc, 56, v47
	v_cndmask_b32_e64 v56, 0, 1, vcc
	v_lshlrev_b32_e32 v56, 3, v56
	v_add_lshl_u32 v56, v56, v46, 2
	ds_bpermute_b32 v58, v56, v31
	v_add_u32_e32 v30, v37, v30
	ds_bpermute_b32 v37, v56, v30
	v_and_b32_e32 v59, 1, v36
	v_cmp_eq_u32_e32 vcc, 1, v59
	s_waitcnt lgkmcnt(1)
	v_and_b32_e32 v58, 1, v58
	;; [unrolled: 21-line block ×4, first 2 shown]
	v_add_u32_e32 v62, 32, v47
	v_cndmask_b32_e64 v31, v31, 1, vcc
	v_cmp_eq_u16_sdwa vcc, v36, v35 src0_sel:BYTE_0 src1_sel:DWORD
	s_waitcnt lgkmcnt(0)
	v_cndmask_b32_e32 v37, 0, v37, vcc
	v_cmp_gt_u32_e32 vcc, v62, v33
	v_cndmask_b32_e64 v33, v37, 0, vcc
	v_cndmask_b32_e32 v31, v31, v36, vcc
	v_add_u32_e32 v30, v33, v30
	s_branch .LBB761_100
.LBB761_99:                             ;   in Loop: Header=BB761_100 Depth=1
	s_or_b64 exec, exec, s[4:5]
	v_cmp_eq_u16_sdwa s[4:5], v32, v27 src0_sel:BYTE_0 src1_sel:DWORD
	v_and_b32_e32 v33, s5, v29
	ds_bpermute_b32 v37, v48, v31
	v_or_b32_e32 v33, 0x80000000, v33
	v_and_b32_e32 v36, s4, v28
	v_ffbl_b32_e32 v33, v33
	v_add_u32_e32 v33, 32, v33
	v_ffbl_b32_e32 v36, v36
	v_min_u32_e32 v33, v36, v33
	ds_bpermute_b32 v36, v48, v30
	v_and_b32_e32 v63, 1, v31
	s_waitcnt lgkmcnt(1)
	v_and_b32_e32 v37, 1, v37
	v_cmp_eq_u32_e32 vcc, 1, v63
	v_cndmask_b32_e64 v37, v37, 1, vcc
	v_cmp_gt_u64_e32 vcc, s[44:45], v[30:31]
	v_and_b32_e32 v63, 0xffff, v37
	v_cmp_lt_u32_e64 s[4:5], v47, v33
	v_cndmask_b32_e64 v37, v31, v37, s[4:5]
	v_cndmask_b32_e64 v31, v31, v63, s[4:5]
	s_and_b64 vcc, s[4:5], vcc
	ds_bpermute_b32 v63, v49, v31
	s_waitcnt lgkmcnt(1)
	v_cndmask_b32_e32 v36, 0, v36, vcc
	v_add_u32_e32 v30, v36, v30
	ds_bpermute_b32 v36, v49, v30
	v_and_b32_e32 v64, 1, v37
	s_waitcnt lgkmcnt(1)
	v_and_b32_e32 v63, 1, v63
	v_cmp_eq_u32_e32 vcc, 1, v64
	v_cndmask_b32_e64 v63, v63, 1, vcc
	v_cmp_eq_u16_sdwa vcc, v37, v35 src0_sel:BYTE_0 src1_sel:DWORD
	v_and_b32_e32 v64, 0xffff, v63
	s_waitcnt lgkmcnt(0)
	v_cndmask_b32_e32 v36, 0, v36, vcc
	v_cmp_gt_u32_e32 vcc, v53, v33
	v_cndmask_b32_e32 v31, v64, v31, vcc
	v_cndmask_b32_e32 v37, v63, v37, vcc
	ds_bpermute_b32 v63, v54, v31
	v_cndmask_b32_e64 v36, v36, 0, vcc
	v_add_u32_e32 v30, v36, v30
	ds_bpermute_b32 v36, v54, v30
	v_and_b32_e32 v64, 1, v37
	s_waitcnt lgkmcnt(1)
	v_and_b32_e32 v63, 1, v63
	v_cmp_eq_u32_e32 vcc, 1, v64
	v_cndmask_b32_e64 v63, v63, 1, vcc
	v_cmp_eq_u16_sdwa vcc, v37, v35 src0_sel:BYTE_0 src1_sel:DWORD
	v_and_b32_e32 v64, 0xffff, v63
	s_waitcnt lgkmcnt(0)
	v_cndmask_b32_e32 v36, 0, v36, vcc
	v_cmp_gt_u32_e32 vcc, v55, v33
	v_cndmask_b32_e32 v31, v64, v31, vcc
	v_cndmask_b32_e32 v37, v63, v37, vcc
	ds_bpermute_b32 v63, v56, v31
	v_cndmask_b32_e64 v36, v36, 0, vcc
	;; [unrolled: 16-line block ×3, first 2 shown]
	v_add_u32_e32 v30, v36, v30
	ds_bpermute_b32 v36, v58, v30
	v_and_b32_e32 v64, 1, v37
	s_waitcnt lgkmcnt(1)
	v_and_b32_e32 v63, 1, v63
	v_cmp_eq_u32_e32 vcc, 1, v64
	v_cndmask_b32_e64 v63, v63, 1, vcc
	v_cmp_eq_u16_sdwa vcc, v37, v35 src0_sel:BYTE_0 src1_sel:DWORD
	v_and_b32_e32 v64, 0xffff, v63
	s_waitcnt lgkmcnt(0)
	v_cndmask_b32_e32 v36, 0, v36, vcc
	v_cmp_gt_u32_e32 vcc, v59, v33
	v_cndmask_b32_e64 v36, v36, 0, vcc
	v_cndmask_b32_e32 v31, v64, v31, vcc
	ds_bpermute_b32 v31, v61, v31
	v_add_u32_e32 v30, v36, v30
	ds_bpermute_b32 v36, v61, v30
	v_cndmask_b32_e32 v37, v63, v37, vcc
	v_and_b32_e32 v63, 1, v37
	v_cmp_eq_u32_e32 vcc, 1, v63
	s_waitcnt lgkmcnt(1)
	v_cndmask_b32_e64 v31, v31, 1, vcc
	v_cmp_eq_u16_sdwa vcc, v37, v35 src0_sel:BYTE_0 src1_sel:DWORD
	s_waitcnt lgkmcnt(0)
	v_cndmask_b32_e32 v36, 0, v36, vcc
	v_cmp_gt_u32_e32 vcc, v62, v33
	v_cndmask_b32_e64 v33, v36, 0, vcc
	v_cndmask_b32_e32 v31, v31, v37, vcc
	v_add_u32_e32 v30, v33, v30
	v_cmp_eq_u16_sdwa vcc, v46, v35 src0_sel:BYTE_0 src1_sel:DWORD
	v_and_b32_e32 v33, 1, v46
	v_cndmask_b32_e32 v30, 0, v30, vcc
	v_and_b32_e32 v31, 1, v31
	v_cmp_eq_u32_e32 vcc, 1, v33
	v_subrev_u32_e32 v34, 64, v34
	v_add_u32_e32 v30, v30, v60
	v_cndmask_b32_e64 v31, v31, 1, vcc
.LBB761_100:                            ; =>This Loop Header: Depth=1
                                        ;     Child Loop BB761_103 Depth 2
                                        ;       Child Loop BB761_104 Depth 3
	v_cmp_ne_u16_sdwa s[4:5], v32, v27 src0_sel:BYTE_0 src1_sel:DWORD
	v_mov_b32_e32 v46, v31
	v_cndmask_b32_e64 v31, 0, 1, s[4:5]
	;;#ASMSTART
	;;#ASMEND
	v_cmp_ne_u32_e32 vcc, 0, v31
	s_cmp_lg_u64 vcc, exec
	v_mov_b32_e32 v60, v30
	s_cbranch_scc1 .LBB761_107
; %bb.101:                              ;   in Loop: Header=BB761_100 Depth=1
	v_lshlrev_b64 v[30:31], 4, v[34:35]
	v_mov_b32_e32 v32, s49
	v_add_co_u32_e32 v36, vcc, s48, v30
	v_addc_co_u32_e32 v37, vcc, v32, v31, vcc
	;;#ASMSTART
	global_load_dwordx4 v[30:33], v[36:37] off glc	
s_waitcnt vmcnt(0)
	;;#ASMEND
	v_and_b32_e32 v33, 0xff0000, v30
	v_or_b32_sdwa v33, v30, v33 dst_sel:DWORD dst_unused:UNUSED_PAD src0_sel:WORD_0 src1_sel:DWORD
	v_and_b32_e32 v30, 0xff000000, v30
	v_and_b32_e32 v31, 0xff, v31
	v_or3_b32 v31, 0, 0, v31
	v_or3_b32 v30, v33, v30, 0
	v_cmp_eq_u16_sdwa s[52:53], v32, v35 src0_sel:BYTE_0 src1_sel:DWORD
	s_and_saveexec_b64 s[4:5], s[52:53]
	s_cbranch_execz .LBB761_99
; %bb.102:                              ;   in Loop: Header=BB761_100 Depth=1
	s_mov_b32 s59, 1
	s_mov_b64 s[52:53], 0
.LBB761_103:                            ;   Parent Loop BB761_100 Depth=1
                                        ; =>  This Loop Header: Depth=2
                                        ;       Child Loop BB761_104 Depth 3
	s_max_u32 s60, s59, 1
.LBB761_104:                            ;   Parent Loop BB761_100 Depth=1
                                        ;     Parent Loop BB761_103 Depth=2
                                        ; =>    This Inner Loop Header: Depth=3
	s_add_i32 s60, s60, -1
	s_cmp_eq_u32 s60, 0
	s_sleep 1
	s_cbranch_scc0 .LBB761_104
; %bb.105:                              ;   in Loop: Header=BB761_103 Depth=2
	s_cmp_lt_u32 s59, 32
	s_cselect_b64 s[60:61], -1, 0
	s_cmp_lg_u64 s[60:61], 0
	s_addc_u32 s59, s59, 0
	;;#ASMSTART
	global_load_dwordx4 v[30:33], v[36:37] off glc	
s_waitcnt vmcnt(0)
	;;#ASMEND
	v_cmp_ne_u16_sdwa s[60:61], v32, v35 src0_sel:BYTE_0 src1_sel:DWORD
	s_or_b64 s[52:53], s[60:61], s[52:53]
	s_andn2_b64 exec, exec, s[52:53]
	s_cbranch_execnz .LBB761_103
; %bb.106:                              ;   in Loop: Header=BB761_100 Depth=1
	s_or_b64 exec, exec, s[52:53]
	v_and_b32_e32 v31, 0xff, v31
	s_branch .LBB761_99
.LBB761_107:                            ;   in Loop: Header=BB761_100 Depth=1
                                        ; implicit-def: $vgpr31
                                        ; implicit-def: $vgpr30
                                        ; implicit-def: $vgpr32
	s_cbranch_execz .LBB761_100
; %bb.108:
	s_and_saveexec_b64 s[4:5], s[34:35]
	s_cbranch_execz .LBB761_110
; %bb.109:
	s_and_b32 s44, s58, 0xff
	s_cmp_eq_u32 s44, 0
	s_cselect_b64 vcc, -1, 0
	s_bitcmp1_b32 s58, 0
	s_mov_b32 s45, 0
	s_cselect_b64 s[52:53], -1, 0
	s_add_i32 s44, s51, 64
	s_lshl_b64 s[44:45], s[44:45], 4
	v_cndmask_b32_e32 v27, 0, v60, vcc
	s_add_u32 s44, s48, s44
	v_add_u32_e32 v26, v27, v26
	v_and_b32_e32 v27, 1, v46
	s_addc_u32 s45, s49, s45
	v_mov_b32_e32 v29, 0
	v_cndmask_b32_e64 v27, v27, 1, s[52:53]
	v_mov_b32_e32 v28, 2
	v_pk_mov_b32 v[30:31], s[44:45], s[44:45] op_sel:[0,1]
	;;#ASMSTART
	global_store_dwordx4 v[30:31], v[26:29] off	
s_waitcnt vmcnt(0)
	;;#ASMEND
.LBB761_110:
	s_or_b64 exec, exec, s[4:5]
	s_and_b64 exec, exec, s[0:1]
	s_cbranch_execz .LBB761_112
; %bb.111:
	v_mov_b32_e32 v26, 0
	ds_write_b32 v26, v60 offset:24
	ds_write_b8 v26, v46 offset:28
.LBB761_112:
	s_or_b64 exec, exec, s[42:43]
	s_mov_b32 s4, 0
	v_mov_b32_e32 v28, 0
	s_mov_b32 s5, 1
	s_waitcnt lgkmcnt(0)
	v_cndmask_b32_e64 v26, v45, v43, s[34:35]
	v_cndmask_b32_e64 v27, v44, v42, s[34:35]
	s_barrier
	ds_read_b32 v29, v28 offset:24
	v_cmp_gt_u64_e32 vcc, s[4:5], v[38:39]
	v_and_b32_e32 v30, 1, v39
	v_cndmask_b32_e32 v27, 0, v27, vcc
	v_and_b32_e32 v26, 1, v26
	v_cmp_eq_u32_e32 vcc, 1, v30
	v_cndmask_b32_e64 v26, v26, 1, vcc
	v_cndmask_b32_e64 v26, v26, v39, s[0:1]
	v_cmp_eq_u16_sdwa vcc, v26, v28 src0_sel:BYTE_0 src1_sel:DWORD
	v_cndmask_b32_e64 v27, v27, 0, s[0:1]
	s_waitcnt lgkmcnt(0)
	v_cndmask_b32_e32 v26, 0, v29, vcc
	v_add3_u32 v26, v27, v38, v26
	v_cndmask_b32_e64 v27, 0, v26, s[6:7]
	v_add_u32_e32 v27, v27, v2
	v_cndmask_b32_e64 v28, 0, v27, s[8:9]
	v_add_u32_e32 v42, v28, v4
	;; [unrolled: 2-line block ×13, first 2 shown]
	s_branch .LBB761_141
.LBB761_113:
	s_or_b64 exec, exec, s[4:5]
                                        ; implicit-def: $vgpr14
	s_and_saveexec_b64 s[4:5], s[6:7]
	s_cbranch_execz .LBB761_35
.LBB761_114:
	v_mov_b32_e32 v15, s45
	v_add_co_u32_e32 v14, vcc, s44, v12
	v_addc_co_u32_e32 v15, vcc, 0, v15, vcc
	flat_load_dword v14, v[14:15] offset:1024
	s_or_b64 exec, exec, s[4:5]
                                        ; implicit-def: $vgpr15
	s_and_saveexec_b64 s[4:5], s[8:9]
	s_cbranch_execnz .LBB761_36
.LBB761_115:
	s_or_b64 exec, exec, s[4:5]
                                        ; implicit-def: $vgpr16
	s_and_saveexec_b64 s[4:5], s[10:11]
	s_cbranch_execz .LBB761_37
.LBB761_116:
	v_mov_b32_e32 v17, s45
	v_add_co_u32_e32 v16, vcc, s44, v12
	v_addc_co_u32_e32 v17, vcc, 0, v17, vcc
	flat_load_dword v16, v[16:17] offset:3072
	s_or_b64 exec, exec, s[4:5]
                                        ; implicit-def: $vgpr17
	s_and_saveexec_b64 s[4:5], s[12:13]
	s_cbranch_execnz .LBB761_38
.LBB761_117:
	s_or_b64 exec, exec, s[4:5]
                                        ; implicit-def: $vgpr2
	s_and_saveexec_b64 s[4:5], s[14:15]
	s_cbranch_execz .LBB761_39
.LBB761_118:
	v_lshlrev_b32_e32 v2, 2, v3
	v_mov_b32_e32 v3, s45
	v_add_co_u32_e32 v2, vcc, s44, v2
	v_addc_co_u32_e32 v3, vcc, 0, v3, vcc
	flat_load_dword v2, v[2:3]
	s_or_b64 exec, exec, s[4:5]
                                        ; implicit-def: $vgpr3
	s_and_saveexec_b64 s[4:5], s[16:17]
	s_cbranch_execnz .LBB761_40
.LBB761_119:
	s_or_b64 exec, exec, s[4:5]
                                        ; implicit-def: $vgpr4
	s_and_saveexec_b64 s[4:5], s[18:19]
	s_cbranch_execz .LBB761_41
.LBB761_120:
	v_lshlrev_b32_e32 v4, 2, v5
	v_mov_b32_e32 v5, s45
	v_add_co_u32_e32 v4, vcc, s44, v4
	v_addc_co_u32_e32 v5, vcc, 0, v5, vcc
	flat_load_dword v4, v[4:5]
	s_or_b64 exec, exec, s[4:5]
                                        ; implicit-def: $vgpr5
	s_and_saveexec_b64 s[4:5], s[20:21]
	s_cbranch_execnz .LBB761_42
.LBB761_121:
	s_or_b64 exec, exec, s[4:5]
                                        ; implicit-def: $vgpr6
	s_and_saveexec_b64 s[4:5], s[22:23]
	s_cbranch_execz .LBB761_43
.LBB761_122:
	v_lshlrev_b32_e32 v6, 2, v7
	v_mov_b32_e32 v7, s45
	v_add_co_u32_e32 v6, vcc, s44, v6
	v_addc_co_u32_e32 v7, vcc, 0, v7, vcc
	flat_load_dword v6, v[6:7]
	s_or_b64 exec, exec, s[4:5]
                                        ; implicit-def: $vgpr7
	s_and_saveexec_b64 s[4:5], s[24:25]
	s_cbranch_execnz .LBB761_44
.LBB761_123:
	s_or_b64 exec, exec, s[4:5]
                                        ; implicit-def: $vgpr8
	s_and_saveexec_b64 s[4:5], s[26:27]
	s_cbranch_execz .LBB761_45
.LBB761_124:
	v_lshlrev_b32_e32 v8, 2, v9
	v_mov_b32_e32 v9, s45
	v_add_co_u32_e32 v8, vcc, s44, v8
	v_addc_co_u32_e32 v9, vcc, 0, v9, vcc
	flat_load_dword v8, v[8:9]
	s_or_b64 exec, exec, s[4:5]
                                        ; implicit-def: $vgpr9
	s_and_saveexec_b64 s[4:5], s[28:29]
	s_cbranch_execz .LBB761_47
	s_branch .LBB761_46
.LBB761_125:
                                        ; implicit-def: $vgpr49
                                        ; implicit-def: $vgpr47
                                        ; implicit-def: $vgpr45
                                        ; implicit-def: $vgpr43
                                        ; implicit-def: $vgpr34_vgpr35_vgpr36_vgpr37
                                        ; implicit-def: $vgpr30_vgpr31_vgpr32_vgpr33
                                        ; implicit-def: $vgpr26_vgpr27_vgpr28_vgpr29
	s_cbranch_execz .LBB761_141
; %bb.126:
	s_cmp_lg_u64 s[56:57], 0
	s_cselect_b32 s9, s55, 0
	s_cselect_b32 s8, s54, 0
	s_cmp_lg_u64 s[8:9], 0
	s_cselect_b64 s[6:7], -1, 0
	s_mov_b32 s4, 0
	s_and_b64 s[10:11], s[0:1], s[6:7]
	s_and_saveexec_b64 s[6:7], s[10:11]
	s_cbranch_execz .LBB761_128
; %bb.127:
	v_mov_b32_e32 v26, 0
	global_load_dword v28, v26, s[8:9]
	global_load_ubyte v29, v26, s[8:9] offset:4
	s_mov_b32 s5, 1
	v_and_b32_e32 v27, 1, v39
	v_cmp_gt_u64_e32 vcc, s[4:5], v[38:39]
	s_waitcnt vmcnt(1)
	v_cndmask_b32_e32 v28, 0, v28, vcc
	s_waitcnt vmcnt(0)
	v_and_b32_e32 v29, 1, v29
	v_cmp_eq_u64_e32 vcc, 0, v[26:27]
	v_add_u32_e32 v38, v28, v38
	v_cndmask_b32_e32 v39, 1, v29, vcc
.LBB761_128:
	s_or_b64 exec, exec, s[6:7]
	s_mov_b32 s5, 1
	v_cmp_gt_u64_e32 vcc, s[4:5], v[2:3]
	v_cndmask_b32_e32 v26, 0, v38, vcc
	v_add_u32_e32 v27, v26, v2
	v_cmp_gt_u64_e64 s[6:7], s[4:5], v[4:5]
	v_cndmask_b32_e64 v26, 0, v27, s[6:7]
	v_add_u32_e32 v42, v26, v4
	v_cmp_gt_u64_e64 s[8:9], s[4:5], v[6:7]
	v_cndmask_b32_e64 v26, 0, v42, s[8:9]
	;; [unrolled: 3-line block ×6, first 2 shown]
	v_add_u32_e32 v45, v26, v14
	v_cmp_gt_u64_e64 s[18:19], s[4:5], v[16:17]
	v_mov_b32_e32 v28, 0
	v_cndmask_b32_e64 v26, 0, v45, s[18:19]
	v_or3_b32 v7, v23, v15, v7
	v_add_u32_e32 v34, v26, v16
	v_cmp_gt_u64_e64 s[20:21], s[4:5], v[18:19]
	v_or3_b32 v9, v25, v17, v9
	v_and_b32_e32 v55, 1, v7
	v_mov_b32_e32 v54, v28
	v_cndmask_b32_e64 v26, 0, v34, s[20:21]
	v_or3_b32 v3, v19, v11, v3
	v_and_b32_e32 v37, 1, v9
	v_mov_b32_e32 v36, v28
	v_cmp_ne_u64_e64 s[30:31], 0, v[54:55]
	v_add_u32_e32 v35, v26, v18
	v_cmp_gt_u64_e64 s[22:23], s[4:5], v[20:21]
	v_or3_b32 v5, v21, v13, v5
	v_and_b32_e32 v29, 1, v3
	v_cndmask_b32_e64 v3, 0, 1, s[30:31]
	v_cmp_ne_u64_e64 s[30:31], 0, v[36:37]
	v_cndmask_b32_e64 v26, 0, v35, s[22:23]
	v_and_b32_e32 v33, 1, v5
	v_mov_b32_e32 v32, v28
	v_cndmask_b32_e64 v5, 0, 1, s[30:31]
	v_add_u32_e32 v46, v26, v20
	v_cmp_gt_u64_e64 s[24:25], s[4:5], v[22:23]
	v_lshlrev_b16_e32 v3, 2, v3
	v_lshlrev_b16_e32 v5, 3, v5
	v_cmp_ne_u64_e64 s[30:31], 0, v[32:33]
	v_cndmask_b32_e64 v26, 0, v46, s[24:25]
	v_or_b32_e32 v3, v5, v3
	v_cndmask_b32_e64 v5, 0, 1, s[30:31]
	v_cmp_ne_u64_e64 s[30:31], 0, v[28:29]
	v_add_u32_e32 v47, v26, v22
	v_cmp_gt_u64_e64 s[26:27], s[4:5], v[24:25]
	v_lshlrev_b16_e32 v5, 1, v5
	v_cndmask_b32_e64 v7, 0, 1, s[30:31]
	v_cndmask_b32_e64 v26, 0, v47, s[26:27]
	v_or_b32_e32 v5, v7, v5
	v_add_u32_e32 v48, v26, v24
	v_cmp_gt_u64_e64 s[28:29], s[4:5], v[40:41]
	v_and_b32_e32 v5, 3, v5
	v_cndmask_b32_e64 v26, 0, v48, s[28:29]
	v_or_b32_e32 v3, v5, v3
	v_add_u32_e32 v49, v26, v40
	v_and_b32_e32 v26, 1, v41
	v_and_b32_e32 v3, 15, v3
	v_cmp_eq_u32_e64 s[4:5], 1, v26
	v_cmp_ne_u16_e64 s[30:31], 0, v3
	s_or_b64 s[4:5], s[4:5], s[30:31]
	v_cndmask_b32_e64 v5, v39, 1, s[4:5]
	v_mbcnt_hi_u32_b32 v3, -1, v52
	v_mov_b32_dpp v9, v49 row_shr:1 row_mask:0xf bank_mask:0xf
	v_mov_b32_dpp v11, v5 row_shr:1 row_mask:0xf bank_mask:0xf
	v_cmp_eq_u32_e64 s[4:5], 0, v5
	v_and_b32_e32 v13, 1, v5
	v_and_b32_e32 v7, 15, v3
	v_cndmask_b32_e64 v9, 0, v9, s[4:5]
	v_and_b32_e32 v11, 1, v11
	v_cmp_eq_u32_e64 s[4:5], 1, v13
	v_cndmask_b32_e64 v11, v11, 1, s[4:5]
	v_cmp_eq_u32_e64 s[4:5], 0, v7
	v_cndmask_b32_e64 v5, v11, v5, s[4:5]
	v_and_b32_e32 v15, 1, v5
	v_cmp_eq_u32_e64 s[30:31], 1, v15
	v_mov_b32_dpp v13, v5 row_shr:2 row_mask:0xf bank_mask:0xf
	v_and_b32_e32 v13, 1, v13
	v_cndmask_b32_e64 v13, v13, 1, s[30:31]
	v_cmp_lt_u32_e64 s[30:31], 1, v7
	v_cndmask_b32_e64 v9, v9, 0, s[4:5]
	v_cmp_eq_u32_e64 s[4:5], 0, v5
	v_cndmask_b32_e64 v5, v5, v13, s[30:31]
	v_add_u32_e32 v9, v49, v9
	v_and_b32_e32 v15, 1, v5
	v_mov_b32_dpp v13, v5 row_shr:4 row_mask:0xf bank_mask:0xf
	v_mov_b32_dpp v11, v9 row_shr:2 row_mask:0xf bank_mask:0xf
	s_and_b64 s[4:5], s[30:31], s[4:5]
	v_and_b32_e32 v13, 1, v13
	v_cmp_eq_u32_e64 s[30:31], 1, v15
	v_cndmask_b32_e64 v11, 0, v11, s[4:5]
	v_cndmask_b32_e64 v13, v13, 1, s[30:31]
	v_cmp_lt_u32_e64 s[30:31], 3, v7
	v_add_u32_e32 v9, v9, v11
	v_cmp_eq_u32_e64 s[4:5], 0, v5
	v_cndmask_b32_e64 v5, v5, v13, s[30:31]
	v_mov_b32_dpp v11, v9 row_shr:4 row_mask:0xf bank_mask:0xf
	s_and_b64 s[4:5], s[30:31], s[4:5]
	v_mov_b32_dpp v13, v5 row_shr:8 row_mask:0xf bank_mask:0xf
	v_and_b32_e32 v15, 1, v5
	v_cndmask_b32_e64 v11, 0, v11, s[4:5]
	v_and_b32_e32 v13, 1, v13
	v_cmp_eq_u32_e64 s[30:31], 1, v15
	v_add_u32_e32 v9, v9, v11
	v_cmp_eq_u32_e64 s[4:5], 0, v5
	v_cndmask_b32_e64 v13, v13, 1, s[30:31]
	v_cmp_lt_u32_e64 s[30:31], 7, v7
	v_mov_b32_dpp v11, v9 row_shr:8 row_mask:0xf bank_mask:0xf
	s_and_b64 s[4:5], s[30:31], s[4:5]
	v_cndmask_b32_e64 v7, 0, v11, s[4:5]
	v_cndmask_b32_e64 v5, v5, v13, s[30:31]
	v_add_u32_e32 v7, v9, v7
	v_cmp_eq_u32_e64 s[4:5], 0, v5
	v_mov_b32_dpp v11, v5 row_bcast:15 row_mask:0xf bank_mask:0xf
	v_mov_b32_dpp v9, v7 row_bcast:15 row_mask:0xf bank_mask:0xf
	v_and_b32_e32 v17, 1, v5
	v_and_b32_e32 v15, 16, v3
	v_cndmask_b32_e64 v9, 0, v9, s[4:5]
	v_and_b32_e32 v11, 1, v11
	v_cmp_eq_u32_e64 s[4:5], 1, v17
	v_bfe_i32 v13, v3, 4, 1
	v_cndmask_b32_e64 v11, v11, 1, s[4:5]
	v_cmp_eq_u32_e64 s[4:5], 0, v15
	v_and_b32_e32 v9, v13, v9
	v_cndmask_b32_e64 v5, v11, v5, s[4:5]
	v_add_u32_e32 v9, v7, v9
	v_and_b32_e32 v13, 1, v5
	v_mov_b32_dpp v7, v5 row_bcast:31 row_mask:0xf bank_mask:0xf
	v_and_b32_e32 v7, 1, v7
	v_cmp_eq_u32_e64 s[30:31], 1, v13
	v_cmp_eq_u32_e64 s[4:5], 0, v5
	v_cndmask_b32_e64 v7, v7, 1, s[30:31]
	v_cmp_lt_u32_e64 s[30:31], 31, v3
	v_mov_b32_dpp v11, v9 row_bcast:31 row_mask:0xf bank_mask:0xf
	s_and_b64 s[4:5], s[30:31], s[4:5]
	v_cndmask_b32_e64 v7, v5, v7, s[30:31]
	v_cndmask_b32_e64 v5, 0, v11, s[4:5]
	v_add_u32_e32 v5, v9, v5
	v_cmp_eq_u32_e64 s[4:5], v51, v0
	s_and_saveexec_b64 s[30:31], s[4:5]
	s_cbranch_execz .LBB761_130
; %bb.129:
	v_lshlrev_b32_e32 v9, 3, v1
	ds_write_b32 v9, v5
	ds_write_b8 v9, v7 offset:4
.LBB761_130:
	s_or_b64 exec, exec, s[30:31]
	v_cmp_gt_u32_e64 s[4:5], 4, v0
	s_waitcnt lgkmcnt(0)
	s_barrier
	s_and_saveexec_b64 s[30:31], s[4:5]
	s_cbranch_execz .LBB761_134
; %bb.131:
	v_lshlrev_b32_e32 v9, 3, v0
	ds_read_b64 v[28:29], v9
	v_and_b32_e32 v11, 3, v3
	v_cmp_ne_u32_e64 s[4:5], 0, v11
	s_waitcnt lgkmcnt(0)
	v_mov_b32_dpp v13, v28 row_shr:1 row_mask:0xf bank_mask:0xf
	v_mov_b32_dpp v17, v29 row_shr:1 row_mask:0xf bank_mask:0xf
	v_mov_b32_e32 v15, v29
	s_and_saveexec_b64 s[34:35], s[4:5]
	s_cbranch_execz .LBB761_133
; %bb.132:
	v_and_b32_e32 v15, 1, v29
	v_and_b32_e32 v17, 1, v17
	v_cmp_eq_u32_e64 s[4:5], 1, v15
	v_mov_b32_e32 v15, 0
	v_cndmask_b32_e64 v17, v17, 1, s[4:5]
	v_cmp_eq_u16_sdwa s[4:5], v29, v15 src0_sel:BYTE_0 src1_sel:DWORD
	v_cndmask_b32_e64 v13, 0, v13, s[4:5]
	v_add_u32_e32 v28, v13, v28
	v_and_b32_e32 v13, 0xffff, v17
	s_movk_i32 s4, 0xff00
	v_and_or_b32 v15, v29, s4, v13
	v_mov_b32_e32 v29, v17
.LBB761_133:
	s_or_b64 exec, exec, s[34:35]
	v_mov_b32_dpp v15, v15 row_shr:2 row_mask:0xf bank_mask:0xf
	v_and_b32_e32 v17, 1, v29
	v_and_b32_e32 v15, 1, v15
	v_cmp_eq_u32_e64 s[4:5], 1, v17
	v_mov_b32_e32 v17, 0
	v_cndmask_b32_e64 v15, v15, 1, s[4:5]
	v_cmp_eq_u16_sdwa s[34:35], v29, v17 src0_sel:BYTE_0 src1_sel:DWORD
	v_cmp_lt_u32_e64 s[4:5], 1, v11
	v_mov_b32_dpp v13, v28 row_shr:2 row_mask:0xf bank_mask:0xf
	v_cndmask_b32_e64 v11, v29, v15, s[4:5]
	s_and_b64 s[4:5], s[4:5], s[34:35]
	v_cndmask_b32_e64 v13, 0, v13, s[4:5]
	v_add_u32_e32 v13, v13, v28
	ds_write_b32 v9, v13
	ds_write_b8 v9, v11 offset:4
.LBB761_134:
	s_or_b64 exec, exec, s[30:31]
	v_cmp_lt_u32_e64 s[4:5], 63, v0
	v_mov_b32_e32 v9, 0
	s_waitcnt lgkmcnt(0)
	s_barrier
	s_and_saveexec_b64 s[30:31], s[4:5]
	s_cbranch_execz .LBB761_136
; %bb.135:
	v_lshl_add_u32 v1, v1, 3, -8
	ds_read_b32 v9, v1
	v_cmp_eq_u32_e64 s[4:5], 0, v7
	s_waitcnt lgkmcnt(0)
	v_cndmask_b32_e64 v1, 0, v9, s[4:5]
	v_add_u32_e32 v5, v1, v5
.LBB761_136:
	s_or_b64 exec, exec, s[30:31]
	v_add_u32_e32 v1, -1, v3
	v_and_b32_e32 v7, 64, v3
	v_cmp_lt_i32_e64 s[4:5], v1, v7
	v_cndmask_b32_e64 v1, v1, v3, s[4:5]
	v_lshlrev_b32_e32 v1, 2, v1
	ds_bpermute_b32 v1, v1, v5
	s_and_saveexec_b64 s[30:31], s[36:37]
	s_cbranch_execz .LBB761_138
; %bb.137:
	v_and_b32_e32 v27, 0xff, v39
	v_mov_b32_e32 v26, 0
	v_cmp_eq_u32_e64 s[4:5], 0, v3
	s_waitcnt lgkmcnt(0)
	v_cndmask_b32_e64 v1, v1, v9, s[4:5]
	v_cmp_eq_u64_e64 s[4:5], 0, v[26:27]
	v_cndmask_b32_e64 v1, 0, v1, s[4:5]
	v_add_u32_e32 v38, v1, v38
	v_cndmask_b32_e32 v1, 0, v38, vcc
	v_add_u32_e32 v27, v1, v2
	v_cndmask_b32_e64 v1, 0, v27, s[6:7]
	v_add_u32_e32 v42, v1, v4
	v_cndmask_b32_e64 v1, 0, v42, s[8:9]
	v_add_u32_e32 v43, v1, v6
	v_cndmask_b32_e64 v1, 0, v43, s[10:11]
	v_add_u32_e32 v30, v1, v8
	v_cndmask_b32_e64 v1, 0, v30, s[12:13]
	v_add_u32_e32 v31, v1, v10
	v_cndmask_b32_e64 v1, 0, v31, s[14:15]
	v_add_u32_e32 v44, v1, v12
	v_cndmask_b32_e64 v1, 0, v44, s[16:17]
	v_add_u32_e32 v45, v1, v14
	v_cndmask_b32_e64 v1, 0, v45, s[18:19]
	v_add_u32_e32 v34, v1, v16
	v_cndmask_b32_e64 v1, 0, v34, s[20:21]
	v_add_u32_e32 v35, v1, v18
	v_cndmask_b32_e64 v1, 0, v35, s[22:23]
	v_add_u32_e32 v46, v1, v20
	v_cndmask_b32_e64 v1, 0, v46, s[24:25]
	v_add_u32_e32 v47, v1, v22
	v_cndmask_b32_e64 v1, 0, v47, s[26:27]
	v_add_u32_e32 v48, v1, v24
	v_cndmask_b32_e64 v1, 0, v48, s[28:29]
	v_add_u32_e32 v49, v1, v40
	;;#ASMSTART
	;;#ASMEND
.LBB761_138:
	s_or_b64 exec, exec, s[30:31]
	s_and_saveexec_b64 s[4:5], s[0:1]
	s_cbranch_execz .LBB761_140
; %bb.139:
	v_mov_b32_e32 v5, 0
	ds_read_b32 v2, v5 offset:24
	ds_read_u8 v3, v5 offset:28
	s_add_u32 s0, s48, 0x400
	s_addc_u32 s1, s49, 0
	v_mov_b32_e32 v4, 2
	v_pk_mov_b32 v[6:7], s[0:1], s[0:1] op_sel:[0,1]
	s_waitcnt lgkmcnt(0)
	;;#ASMSTART
	global_store_dwordx4 v[6:7], v[2:5] off	
s_waitcnt vmcnt(0)
	;;#ASMEND
.LBB761_140:
	s_or_b64 exec, exec, s[4:5]
	v_mov_b32_e32 v26, v38
.LBB761_141:
	s_add_u32 s0, s46, s38
	s_addc_u32 s1, s47, s39
	s_add_u32 s4, s0, s40
	s_waitcnt lgkmcnt(0)
	v_mul_u32_u24_e32 v1, 14, v0
	s_addc_u32 s5, s1, s41
	s_and_b64 vcc, exec, s[2:3]
	v_lshlrev_b32_e32 v2, 2, v1
	s_cbranch_vccz .LBB761_169
; %bb.142:
	s_movk_i32 s0, 0xffcc
	v_mad_i32_i24 v3, v0, s0, v2
	s_barrier
	ds_write2_b64 v2, v[26:27], v[42:43] offset1:1
	ds_write2_b64 v2, v[30:31], v[44:45] offset0:2 offset1:3
	ds_write2_b64 v2, v[34:35], v[46:47] offset0:4 offset1:5
	ds_write_b64 v2, v[48:49] offset:48
	s_waitcnt lgkmcnt(0)
	s_barrier
	ds_read2st64_b32 v[16:17], v3 offset0:4 offset1:8
	ds_read2st64_b32 v[14:15], v3 offset0:12 offset1:16
	;; [unrolled: 1-line block ×6, first 2 shown]
	ds_read_b32 v3, v3 offset:13312
	v_mov_b32_e32 v7, s5
	v_add_co_u32_e32 v6, vcc, s4, v50
	s_add_i32 s33, s33, s50
	v_addc_co_u32_e32 v7, vcc, 0, v7, vcc
	v_mov_b32_e32 v1, 0
	v_cmp_gt_u32_e32 vcc, s33, v0
	s_and_saveexec_b64 s[0:1], vcc
	s_cbranch_execz .LBB761_144
; %bb.143:
	v_mul_i32_i24_e32 v18, 0xffffffcc, v0
	v_add_u32_e32 v18, v2, v18
	ds_read_b32 v18, v18
	s_waitcnt lgkmcnt(0)
	flat_store_dword v[6:7], v18
.LBB761_144:
	s_or_b64 exec, exec, s[0:1]
	v_or_b32_e32 v18, 0x100, v0
	v_cmp_gt_u32_e32 vcc, s33, v18
	s_and_saveexec_b64 s[0:1], vcc
	s_cbranch_execz .LBB761_146
; %bb.145:
	s_waitcnt lgkmcnt(0)
	flat_store_dword v[6:7], v16 offset:1024
.LBB761_146:
	s_or_b64 exec, exec, s[0:1]
	s_waitcnt lgkmcnt(0)
	v_or_b32_e32 v16, 0x200, v0
	v_cmp_gt_u32_e32 vcc, s33, v16
	s_and_saveexec_b64 s[0:1], vcc
	s_cbranch_execz .LBB761_148
; %bb.147:
	flat_store_dword v[6:7], v17 offset:2048
.LBB761_148:
	s_or_b64 exec, exec, s[0:1]
	v_or_b32_e32 v16, 0x300, v0
	v_cmp_gt_u32_e32 vcc, s33, v16
	s_and_saveexec_b64 s[0:1], vcc
	s_cbranch_execz .LBB761_150
; %bb.149:
	flat_store_dword v[6:7], v14 offset:3072
.LBB761_150:
	s_or_b64 exec, exec, s[0:1]
	v_or_b32_e32 v14, 0x400, v0
	v_cmp_gt_u32_e32 vcc, s33, v14
	s_and_saveexec_b64 s[0:1], vcc
	s_cbranch_execz .LBB761_152
; %bb.151:
	v_add_co_u32_e32 v16, vcc, 0x1000, v6
	v_addc_co_u32_e32 v17, vcc, 0, v7, vcc
	flat_store_dword v[16:17], v15
.LBB761_152:
	s_or_b64 exec, exec, s[0:1]
	v_or_b32_e32 v14, 0x500, v0
	v_cmp_gt_u32_e32 vcc, s33, v14
	s_and_saveexec_b64 s[0:1], vcc
	s_cbranch_execz .LBB761_154
; %bb.153:
	v_add_co_u32_e32 v14, vcc, 0x1000, v6
	v_addc_co_u32_e32 v15, vcc, 0, v7, vcc
	flat_store_dword v[14:15], v12 offset:1024
.LBB761_154:
	s_or_b64 exec, exec, s[0:1]
	v_or_b32_e32 v12, 0x600, v0
	v_cmp_gt_u32_e32 vcc, s33, v12
	s_and_saveexec_b64 s[0:1], vcc
	s_cbranch_execz .LBB761_156
; %bb.155:
	v_add_co_u32_e32 v14, vcc, 0x1000, v6
	v_addc_co_u32_e32 v15, vcc, 0, v7, vcc
	flat_store_dword v[14:15], v13 offset:2048
.LBB761_156:
	;; [unrolled: 10-line block ×3, first 2 shown]
	s_or_b64 exec, exec, s[0:1]
	v_or_b32_e32 v10, 0x800, v0
	v_cmp_gt_u32_e32 vcc, s33, v10
	s_and_saveexec_b64 s[0:1], vcc
	s_cbranch_execz .LBB761_160
; %bb.159:
	v_add_co_u32_e32 v12, vcc, 0x2000, v6
	v_addc_co_u32_e32 v13, vcc, 0, v7, vcc
	flat_store_dword v[12:13], v11
.LBB761_160:
	s_or_b64 exec, exec, s[0:1]
	v_or_b32_e32 v10, 0x900, v0
	v_cmp_gt_u32_e32 vcc, s33, v10
	s_and_saveexec_b64 s[0:1], vcc
	s_cbranch_execz .LBB761_162
; %bb.161:
	v_add_co_u32_e32 v10, vcc, 0x2000, v6
	v_addc_co_u32_e32 v11, vcc, 0, v7, vcc
	flat_store_dword v[10:11], v8 offset:1024
.LBB761_162:
	s_or_b64 exec, exec, s[0:1]
	v_or_b32_e32 v8, 0xa00, v0
	v_cmp_gt_u32_e32 vcc, s33, v8
	s_and_saveexec_b64 s[0:1], vcc
	s_cbranch_execz .LBB761_164
; %bb.163:
	v_add_co_u32_e32 v10, vcc, 0x2000, v6
	v_addc_co_u32_e32 v11, vcc, 0, v7, vcc
	flat_store_dword v[10:11], v9 offset:2048
.LBB761_164:
	;; [unrolled: 10-line block ×3, first 2 shown]
	s_or_b64 exec, exec, s[0:1]
	v_or_b32_e32 v4, 0xc00, v0
	v_cmp_gt_u32_e32 vcc, s33, v4
	s_and_saveexec_b64 s[0:1], vcc
	s_cbranch_execz .LBB761_168
; %bb.167:
	v_add_co_u32_e32 v6, vcc, 0x3000, v6
	v_addc_co_u32_e32 v7, vcc, 0, v7, vcc
	flat_store_dword v[6:7], v5
.LBB761_168:
	s_or_b64 exec, exec, s[0:1]
	v_or_b32_e32 v4, 0xd00, v0
	v_cmp_gt_u32_e64 s[0:1], s33, v4
	s_branch .LBB761_171
.LBB761_169:
	s_mov_b64 s[0:1], 0
                                        ; implicit-def: $vgpr3
	s_cbranch_execz .LBB761_171
; %bb.170:
	s_movk_i32 s2, 0xffcc
	s_waitcnt lgkmcnt(0)
	s_barrier
	ds_write2_b64 v2, v[26:27], v[42:43] offset1:1
	ds_write2_b64 v2, v[30:31], v[44:45] offset0:2 offset1:3
	ds_write2_b64 v2, v[34:35], v[46:47] offset0:4 offset1:5
	ds_write_b64 v2, v[48:49] offset:48
	v_mad_i32_i24 v2, v0, s2, v2
	v_mov_b32_e32 v17, s5
	v_add_co_u32_e32 v16, vcc, s4, v50
	s_waitcnt lgkmcnt(0)
	s_barrier
	ds_read2st64_b32 v[4:5], v2 offset1:4
	ds_read2st64_b32 v[6:7], v2 offset0:8 offset1:12
	ds_read2st64_b32 v[8:9], v2 offset0:16 offset1:20
	;; [unrolled: 1-line block ×6, first 2 shown]
	v_addc_co_u32_e32 v17, vcc, 0, v17, vcc
	s_movk_i32 s2, 0x1000
	s_waitcnt lgkmcnt(0)
	flat_store_dword v[16:17], v4
	flat_store_dword v[16:17], v5 offset:1024
	flat_store_dword v[16:17], v6 offset:2048
	;; [unrolled: 1-line block ×3, first 2 shown]
	v_add_co_u32_e32 v4, vcc, s2, v16
	v_addc_co_u32_e32 v5, vcc, 0, v17, vcc
	flat_store_dword v[4:5], v8
	flat_store_dword v[4:5], v9 offset:1024
	flat_store_dword v[4:5], v10 offset:2048
	;; [unrolled: 1-line block ×3, first 2 shown]
	v_add_co_u32_e32 v4, vcc, 0x2000, v16
	v_addc_co_u32_e32 v5, vcc, 0, v17, vcc
	flat_store_dword v[4:5], v12
	flat_store_dword v[4:5], v13 offset:1024
	flat_store_dword v[4:5], v14 offset:2048
	;; [unrolled: 1-line block ×3, first 2 shown]
	v_add_co_u32_e32 v4, vcc, 0x3000, v16
	v_mov_b32_e32 v1, 0
	v_addc_co_u32_e32 v5, vcc, 0, v17, vcc
	s_or_b64 s[0:1], s[0:1], exec
	flat_store_dword v[4:5], v2
.LBB761_171:
	s_and_saveexec_b64 s[2:3], s[0:1]
	s_cbranch_execz .LBB761_173
; %bb.172:
	v_lshlrev_b64 v[0:1], 2, v[0:1]
	v_mov_b32_e32 v2, s5
	v_add_co_u32_e32 v0, vcc, s4, v0
	v_addc_co_u32_e32 v1, vcc, v2, v1, vcc
	v_add_co_u32_e32 v0, vcc, 0x3000, v0
	v_addc_co_u32_e32 v1, vcc, 0, v1, vcc
	flat_store_dword v[0:1], v3 offset:1024
	s_endpgm
.LBB761_173:
	s_endpgm
	.section	.rodata,"a",@progbits
	.p2align	6, 0x0
	.amdhsa_kernel _ZN7rocprim17ROCPRIM_400000_NS6detail17trampoline_kernelINS0_14default_configENS1_27scan_by_key_config_selectorIiiEEZZNS1_16scan_by_key_implILNS1_25lookback_scan_determinismE0ELb0ES3_N6thrust23THRUST_200600_302600_NS6detail15normal_iteratorINS9_10device_ptrIiEEEESE_SE_iNS9_4plusIiEE19head_flag_predicateiEE10hipError_tPvRmT2_T3_T4_T5_mT6_T7_P12ihipStream_tbENKUlT_T0_E_clISt17integral_constantIbLb1EESY_EEDaST_SU_EUlST_E_NS1_11comp_targetILNS1_3genE4ELNS1_11target_archE910ELNS1_3gpuE8ELNS1_3repE0EEENS1_30default_config_static_selectorELNS0_4arch9wavefront6targetE1EEEvT1_
		.amdhsa_group_segment_fixed_size 16384
		.amdhsa_private_segment_fixed_size 0
		.amdhsa_kernarg_size 112
		.amdhsa_user_sgpr_count 6
		.amdhsa_user_sgpr_private_segment_buffer 1
		.amdhsa_user_sgpr_dispatch_ptr 0
		.amdhsa_user_sgpr_queue_ptr 0
		.amdhsa_user_sgpr_kernarg_segment_ptr 1
		.amdhsa_user_sgpr_dispatch_id 0
		.amdhsa_user_sgpr_flat_scratch_init 0
		.amdhsa_user_sgpr_kernarg_preload_length 0
		.amdhsa_user_sgpr_kernarg_preload_offset 0
		.amdhsa_user_sgpr_private_segment_size 0
		.amdhsa_uses_dynamic_stack 0
		.amdhsa_system_sgpr_private_segment_wavefront_offset 0
		.amdhsa_system_sgpr_workgroup_id_x 1
		.amdhsa_system_sgpr_workgroup_id_y 0
		.amdhsa_system_sgpr_workgroup_id_z 0
		.amdhsa_system_sgpr_workgroup_info 0
		.amdhsa_system_vgpr_workitem_id 0
		.amdhsa_next_free_vgpr 65
		.amdhsa_next_free_sgpr 64
		.amdhsa_accum_offset 68
		.amdhsa_reserve_vcc 1
		.amdhsa_reserve_flat_scratch 0
		.amdhsa_float_round_mode_32 0
		.amdhsa_float_round_mode_16_64 0
		.amdhsa_float_denorm_mode_32 3
		.amdhsa_float_denorm_mode_16_64 3
		.amdhsa_dx10_clamp 1
		.amdhsa_ieee_mode 1
		.amdhsa_fp16_overflow 0
		.amdhsa_tg_split 0
		.amdhsa_exception_fp_ieee_invalid_op 0
		.amdhsa_exception_fp_denorm_src 0
		.amdhsa_exception_fp_ieee_div_zero 0
		.amdhsa_exception_fp_ieee_overflow 0
		.amdhsa_exception_fp_ieee_underflow 0
		.amdhsa_exception_fp_ieee_inexact 0
		.amdhsa_exception_int_div_zero 0
	.end_amdhsa_kernel
	.section	.text._ZN7rocprim17ROCPRIM_400000_NS6detail17trampoline_kernelINS0_14default_configENS1_27scan_by_key_config_selectorIiiEEZZNS1_16scan_by_key_implILNS1_25lookback_scan_determinismE0ELb0ES3_N6thrust23THRUST_200600_302600_NS6detail15normal_iteratorINS9_10device_ptrIiEEEESE_SE_iNS9_4plusIiEE19head_flag_predicateiEE10hipError_tPvRmT2_T3_T4_T5_mT6_T7_P12ihipStream_tbENKUlT_T0_E_clISt17integral_constantIbLb1EESY_EEDaST_SU_EUlST_E_NS1_11comp_targetILNS1_3genE4ELNS1_11target_archE910ELNS1_3gpuE8ELNS1_3repE0EEENS1_30default_config_static_selectorELNS0_4arch9wavefront6targetE1EEEvT1_,"axG",@progbits,_ZN7rocprim17ROCPRIM_400000_NS6detail17trampoline_kernelINS0_14default_configENS1_27scan_by_key_config_selectorIiiEEZZNS1_16scan_by_key_implILNS1_25lookback_scan_determinismE0ELb0ES3_N6thrust23THRUST_200600_302600_NS6detail15normal_iteratorINS9_10device_ptrIiEEEESE_SE_iNS9_4plusIiEE19head_flag_predicateiEE10hipError_tPvRmT2_T3_T4_T5_mT6_T7_P12ihipStream_tbENKUlT_T0_E_clISt17integral_constantIbLb1EESY_EEDaST_SU_EUlST_E_NS1_11comp_targetILNS1_3genE4ELNS1_11target_archE910ELNS1_3gpuE8ELNS1_3repE0EEENS1_30default_config_static_selectorELNS0_4arch9wavefront6targetE1EEEvT1_,comdat
.Lfunc_end761:
	.size	_ZN7rocprim17ROCPRIM_400000_NS6detail17trampoline_kernelINS0_14default_configENS1_27scan_by_key_config_selectorIiiEEZZNS1_16scan_by_key_implILNS1_25lookback_scan_determinismE0ELb0ES3_N6thrust23THRUST_200600_302600_NS6detail15normal_iteratorINS9_10device_ptrIiEEEESE_SE_iNS9_4plusIiEE19head_flag_predicateiEE10hipError_tPvRmT2_T3_T4_T5_mT6_T7_P12ihipStream_tbENKUlT_T0_E_clISt17integral_constantIbLb1EESY_EEDaST_SU_EUlST_E_NS1_11comp_targetILNS1_3genE4ELNS1_11target_archE910ELNS1_3gpuE8ELNS1_3repE0EEENS1_30default_config_static_selectorELNS0_4arch9wavefront6targetE1EEEvT1_, .Lfunc_end761-_ZN7rocprim17ROCPRIM_400000_NS6detail17trampoline_kernelINS0_14default_configENS1_27scan_by_key_config_selectorIiiEEZZNS1_16scan_by_key_implILNS1_25lookback_scan_determinismE0ELb0ES3_N6thrust23THRUST_200600_302600_NS6detail15normal_iteratorINS9_10device_ptrIiEEEESE_SE_iNS9_4plusIiEE19head_flag_predicateiEE10hipError_tPvRmT2_T3_T4_T5_mT6_T7_P12ihipStream_tbENKUlT_T0_E_clISt17integral_constantIbLb1EESY_EEDaST_SU_EUlST_E_NS1_11comp_targetILNS1_3genE4ELNS1_11target_archE910ELNS1_3gpuE8ELNS1_3repE0EEENS1_30default_config_static_selectorELNS0_4arch9wavefront6targetE1EEEvT1_
                                        ; -- End function
	.section	.AMDGPU.csdata,"",@progbits
; Kernel info:
; codeLenInByte = 10956
; NumSgprs: 68
; NumVgprs: 65
; NumAgprs: 0
; TotalNumVgprs: 65
; ScratchSize: 0
; MemoryBound: 0
; FloatMode: 240
; IeeeMode: 1
; LDSByteSize: 16384 bytes/workgroup (compile time only)
; SGPRBlocks: 8
; VGPRBlocks: 8
; NumSGPRsForWavesPerEU: 68
; NumVGPRsForWavesPerEU: 65
; AccumOffset: 68
; Occupancy: 4
; WaveLimiterHint : 1
; COMPUTE_PGM_RSRC2:SCRATCH_EN: 0
; COMPUTE_PGM_RSRC2:USER_SGPR: 6
; COMPUTE_PGM_RSRC2:TRAP_HANDLER: 0
; COMPUTE_PGM_RSRC2:TGID_X_EN: 1
; COMPUTE_PGM_RSRC2:TGID_Y_EN: 0
; COMPUTE_PGM_RSRC2:TGID_Z_EN: 0
; COMPUTE_PGM_RSRC2:TIDIG_COMP_CNT: 0
; COMPUTE_PGM_RSRC3_GFX90A:ACCUM_OFFSET: 16
; COMPUTE_PGM_RSRC3_GFX90A:TG_SPLIT: 0
	.section	.text._ZN7rocprim17ROCPRIM_400000_NS6detail17trampoline_kernelINS0_14default_configENS1_27scan_by_key_config_selectorIiiEEZZNS1_16scan_by_key_implILNS1_25lookback_scan_determinismE0ELb0ES3_N6thrust23THRUST_200600_302600_NS6detail15normal_iteratorINS9_10device_ptrIiEEEESE_SE_iNS9_4plusIiEE19head_flag_predicateiEE10hipError_tPvRmT2_T3_T4_T5_mT6_T7_P12ihipStream_tbENKUlT_T0_E_clISt17integral_constantIbLb1EESY_EEDaST_SU_EUlST_E_NS1_11comp_targetILNS1_3genE3ELNS1_11target_archE908ELNS1_3gpuE7ELNS1_3repE0EEENS1_30default_config_static_selectorELNS0_4arch9wavefront6targetE1EEEvT1_,"axG",@progbits,_ZN7rocprim17ROCPRIM_400000_NS6detail17trampoline_kernelINS0_14default_configENS1_27scan_by_key_config_selectorIiiEEZZNS1_16scan_by_key_implILNS1_25lookback_scan_determinismE0ELb0ES3_N6thrust23THRUST_200600_302600_NS6detail15normal_iteratorINS9_10device_ptrIiEEEESE_SE_iNS9_4plusIiEE19head_flag_predicateiEE10hipError_tPvRmT2_T3_T4_T5_mT6_T7_P12ihipStream_tbENKUlT_T0_E_clISt17integral_constantIbLb1EESY_EEDaST_SU_EUlST_E_NS1_11comp_targetILNS1_3genE3ELNS1_11target_archE908ELNS1_3gpuE7ELNS1_3repE0EEENS1_30default_config_static_selectorELNS0_4arch9wavefront6targetE1EEEvT1_,comdat
	.protected	_ZN7rocprim17ROCPRIM_400000_NS6detail17trampoline_kernelINS0_14default_configENS1_27scan_by_key_config_selectorIiiEEZZNS1_16scan_by_key_implILNS1_25lookback_scan_determinismE0ELb0ES3_N6thrust23THRUST_200600_302600_NS6detail15normal_iteratorINS9_10device_ptrIiEEEESE_SE_iNS9_4plusIiEE19head_flag_predicateiEE10hipError_tPvRmT2_T3_T4_T5_mT6_T7_P12ihipStream_tbENKUlT_T0_E_clISt17integral_constantIbLb1EESY_EEDaST_SU_EUlST_E_NS1_11comp_targetILNS1_3genE3ELNS1_11target_archE908ELNS1_3gpuE7ELNS1_3repE0EEENS1_30default_config_static_selectorELNS0_4arch9wavefront6targetE1EEEvT1_ ; -- Begin function _ZN7rocprim17ROCPRIM_400000_NS6detail17trampoline_kernelINS0_14default_configENS1_27scan_by_key_config_selectorIiiEEZZNS1_16scan_by_key_implILNS1_25lookback_scan_determinismE0ELb0ES3_N6thrust23THRUST_200600_302600_NS6detail15normal_iteratorINS9_10device_ptrIiEEEESE_SE_iNS9_4plusIiEE19head_flag_predicateiEE10hipError_tPvRmT2_T3_T4_T5_mT6_T7_P12ihipStream_tbENKUlT_T0_E_clISt17integral_constantIbLb1EESY_EEDaST_SU_EUlST_E_NS1_11comp_targetILNS1_3genE3ELNS1_11target_archE908ELNS1_3gpuE7ELNS1_3repE0EEENS1_30default_config_static_selectorELNS0_4arch9wavefront6targetE1EEEvT1_
	.globl	_ZN7rocprim17ROCPRIM_400000_NS6detail17trampoline_kernelINS0_14default_configENS1_27scan_by_key_config_selectorIiiEEZZNS1_16scan_by_key_implILNS1_25lookback_scan_determinismE0ELb0ES3_N6thrust23THRUST_200600_302600_NS6detail15normal_iteratorINS9_10device_ptrIiEEEESE_SE_iNS9_4plusIiEE19head_flag_predicateiEE10hipError_tPvRmT2_T3_T4_T5_mT6_T7_P12ihipStream_tbENKUlT_T0_E_clISt17integral_constantIbLb1EESY_EEDaST_SU_EUlST_E_NS1_11comp_targetILNS1_3genE3ELNS1_11target_archE908ELNS1_3gpuE7ELNS1_3repE0EEENS1_30default_config_static_selectorELNS0_4arch9wavefront6targetE1EEEvT1_
	.p2align	8
	.type	_ZN7rocprim17ROCPRIM_400000_NS6detail17trampoline_kernelINS0_14default_configENS1_27scan_by_key_config_selectorIiiEEZZNS1_16scan_by_key_implILNS1_25lookback_scan_determinismE0ELb0ES3_N6thrust23THRUST_200600_302600_NS6detail15normal_iteratorINS9_10device_ptrIiEEEESE_SE_iNS9_4plusIiEE19head_flag_predicateiEE10hipError_tPvRmT2_T3_T4_T5_mT6_T7_P12ihipStream_tbENKUlT_T0_E_clISt17integral_constantIbLb1EESY_EEDaST_SU_EUlST_E_NS1_11comp_targetILNS1_3genE3ELNS1_11target_archE908ELNS1_3gpuE7ELNS1_3repE0EEENS1_30default_config_static_selectorELNS0_4arch9wavefront6targetE1EEEvT1_,@function
_ZN7rocprim17ROCPRIM_400000_NS6detail17trampoline_kernelINS0_14default_configENS1_27scan_by_key_config_selectorIiiEEZZNS1_16scan_by_key_implILNS1_25lookback_scan_determinismE0ELb0ES3_N6thrust23THRUST_200600_302600_NS6detail15normal_iteratorINS9_10device_ptrIiEEEESE_SE_iNS9_4plusIiEE19head_flag_predicateiEE10hipError_tPvRmT2_T3_T4_T5_mT6_T7_P12ihipStream_tbENKUlT_T0_E_clISt17integral_constantIbLb1EESY_EEDaST_SU_EUlST_E_NS1_11comp_targetILNS1_3genE3ELNS1_11target_archE908ELNS1_3gpuE7ELNS1_3repE0EEENS1_30default_config_static_selectorELNS0_4arch9wavefront6targetE1EEEvT1_: ; @_ZN7rocprim17ROCPRIM_400000_NS6detail17trampoline_kernelINS0_14default_configENS1_27scan_by_key_config_selectorIiiEEZZNS1_16scan_by_key_implILNS1_25lookback_scan_determinismE0ELb0ES3_N6thrust23THRUST_200600_302600_NS6detail15normal_iteratorINS9_10device_ptrIiEEEESE_SE_iNS9_4plusIiEE19head_flag_predicateiEE10hipError_tPvRmT2_T3_T4_T5_mT6_T7_P12ihipStream_tbENKUlT_T0_E_clISt17integral_constantIbLb1EESY_EEDaST_SU_EUlST_E_NS1_11comp_targetILNS1_3genE3ELNS1_11target_archE908ELNS1_3gpuE7ELNS1_3repE0EEENS1_30default_config_static_selectorELNS0_4arch9wavefront6targetE1EEEvT1_
; %bb.0:
	.section	.rodata,"a",@progbits
	.p2align	6, 0x0
	.amdhsa_kernel _ZN7rocprim17ROCPRIM_400000_NS6detail17trampoline_kernelINS0_14default_configENS1_27scan_by_key_config_selectorIiiEEZZNS1_16scan_by_key_implILNS1_25lookback_scan_determinismE0ELb0ES3_N6thrust23THRUST_200600_302600_NS6detail15normal_iteratorINS9_10device_ptrIiEEEESE_SE_iNS9_4plusIiEE19head_flag_predicateiEE10hipError_tPvRmT2_T3_T4_T5_mT6_T7_P12ihipStream_tbENKUlT_T0_E_clISt17integral_constantIbLb1EESY_EEDaST_SU_EUlST_E_NS1_11comp_targetILNS1_3genE3ELNS1_11target_archE908ELNS1_3gpuE7ELNS1_3repE0EEENS1_30default_config_static_selectorELNS0_4arch9wavefront6targetE1EEEvT1_
		.amdhsa_group_segment_fixed_size 0
		.amdhsa_private_segment_fixed_size 0
		.amdhsa_kernarg_size 112
		.amdhsa_user_sgpr_count 6
		.amdhsa_user_sgpr_private_segment_buffer 1
		.amdhsa_user_sgpr_dispatch_ptr 0
		.amdhsa_user_sgpr_queue_ptr 0
		.amdhsa_user_sgpr_kernarg_segment_ptr 1
		.amdhsa_user_sgpr_dispatch_id 0
		.amdhsa_user_sgpr_flat_scratch_init 0
		.amdhsa_user_sgpr_kernarg_preload_length 0
		.amdhsa_user_sgpr_kernarg_preload_offset 0
		.amdhsa_user_sgpr_private_segment_size 0
		.amdhsa_uses_dynamic_stack 0
		.amdhsa_system_sgpr_private_segment_wavefront_offset 0
		.amdhsa_system_sgpr_workgroup_id_x 1
		.amdhsa_system_sgpr_workgroup_id_y 0
		.amdhsa_system_sgpr_workgroup_id_z 0
		.amdhsa_system_sgpr_workgroup_info 0
		.amdhsa_system_vgpr_workitem_id 0
		.amdhsa_next_free_vgpr 1
		.amdhsa_next_free_sgpr 0
		.amdhsa_accum_offset 4
		.amdhsa_reserve_vcc 0
		.amdhsa_reserve_flat_scratch 0
		.amdhsa_float_round_mode_32 0
		.amdhsa_float_round_mode_16_64 0
		.amdhsa_float_denorm_mode_32 3
		.amdhsa_float_denorm_mode_16_64 3
		.amdhsa_dx10_clamp 1
		.amdhsa_ieee_mode 1
		.amdhsa_fp16_overflow 0
		.amdhsa_tg_split 0
		.amdhsa_exception_fp_ieee_invalid_op 0
		.amdhsa_exception_fp_denorm_src 0
		.amdhsa_exception_fp_ieee_div_zero 0
		.amdhsa_exception_fp_ieee_overflow 0
		.amdhsa_exception_fp_ieee_underflow 0
		.amdhsa_exception_fp_ieee_inexact 0
		.amdhsa_exception_int_div_zero 0
	.end_amdhsa_kernel
	.section	.text._ZN7rocprim17ROCPRIM_400000_NS6detail17trampoline_kernelINS0_14default_configENS1_27scan_by_key_config_selectorIiiEEZZNS1_16scan_by_key_implILNS1_25lookback_scan_determinismE0ELb0ES3_N6thrust23THRUST_200600_302600_NS6detail15normal_iteratorINS9_10device_ptrIiEEEESE_SE_iNS9_4plusIiEE19head_flag_predicateiEE10hipError_tPvRmT2_T3_T4_T5_mT6_T7_P12ihipStream_tbENKUlT_T0_E_clISt17integral_constantIbLb1EESY_EEDaST_SU_EUlST_E_NS1_11comp_targetILNS1_3genE3ELNS1_11target_archE908ELNS1_3gpuE7ELNS1_3repE0EEENS1_30default_config_static_selectorELNS0_4arch9wavefront6targetE1EEEvT1_,"axG",@progbits,_ZN7rocprim17ROCPRIM_400000_NS6detail17trampoline_kernelINS0_14default_configENS1_27scan_by_key_config_selectorIiiEEZZNS1_16scan_by_key_implILNS1_25lookback_scan_determinismE0ELb0ES3_N6thrust23THRUST_200600_302600_NS6detail15normal_iteratorINS9_10device_ptrIiEEEESE_SE_iNS9_4plusIiEE19head_flag_predicateiEE10hipError_tPvRmT2_T3_T4_T5_mT6_T7_P12ihipStream_tbENKUlT_T0_E_clISt17integral_constantIbLb1EESY_EEDaST_SU_EUlST_E_NS1_11comp_targetILNS1_3genE3ELNS1_11target_archE908ELNS1_3gpuE7ELNS1_3repE0EEENS1_30default_config_static_selectorELNS0_4arch9wavefront6targetE1EEEvT1_,comdat
.Lfunc_end762:
	.size	_ZN7rocprim17ROCPRIM_400000_NS6detail17trampoline_kernelINS0_14default_configENS1_27scan_by_key_config_selectorIiiEEZZNS1_16scan_by_key_implILNS1_25lookback_scan_determinismE0ELb0ES3_N6thrust23THRUST_200600_302600_NS6detail15normal_iteratorINS9_10device_ptrIiEEEESE_SE_iNS9_4plusIiEE19head_flag_predicateiEE10hipError_tPvRmT2_T3_T4_T5_mT6_T7_P12ihipStream_tbENKUlT_T0_E_clISt17integral_constantIbLb1EESY_EEDaST_SU_EUlST_E_NS1_11comp_targetILNS1_3genE3ELNS1_11target_archE908ELNS1_3gpuE7ELNS1_3repE0EEENS1_30default_config_static_selectorELNS0_4arch9wavefront6targetE1EEEvT1_, .Lfunc_end762-_ZN7rocprim17ROCPRIM_400000_NS6detail17trampoline_kernelINS0_14default_configENS1_27scan_by_key_config_selectorIiiEEZZNS1_16scan_by_key_implILNS1_25lookback_scan_determinismE0ELb0ES3_N6thrust23THRUST_200600_302600_NS6detail15normal_iteratorINS9_10device_ptrIiEEEESE_SE_iNS9_4plusIiEE19head_flag_predicateiEE10hipError_tPvRmT2_T3_T4_T5_mT6_T7_P12ihipStream_tbENKUlT_T0_E_clISt17integral_constantIbLb1EESY_EEDaST_SU_EUlST_E_NS1_11comp_targetILNS1_3genE3ELNS1_11target_archE908ELNS1_3gpuE7ELNS1_3repE0EEENS1_30default_config_static_selectorELNS0_4arch9wavefront6targetE1EEEvT1_
                                        ; -- End function
	.section	.AMDGPU.csdata,"",@progbits
; Kernel info:
; codeLenInByte = 0
; NumSgprs: 4
; NumVgprs: 0
; NumAgprs: 0
; TotalNumVgprs: 0
; ScratchSize: 0
; MemoryBound: 0
; FloatMode: 240
; IeeeMode: 1
; LDSByteSize: 0 bytes/workgroup (compile time only)
; SGPRBlocks: 0
; VGPRBlocks: 0
; NumSGPRsForWavesPerEU: 4
; NumVGPRsForWavesPerEU: 1
; AccumOffset: 4
; Occupancy: 8
; WaveLimiterHint : 0
; COMPUTE_PGM_RSRC2:SCRATCH_EN: 0
; COMPUTE_PGM_RSRC2:USER_SGPR: 6
; COMPUTE_PGM_RSRC2:TRAP_HANDLER: 0
; COMPUTE_PGM_RSRC2:TGID_X_EN: 1
; COMPUTE_PGM_RSRC2:TGID_Y_EN: 0
; COMPUTE_PGM_RSRC2:TGID_Z_EN: 0
; COMPUTE_PGM_RSRC2:TIDIG_COMP_CNT: 0
; COMPUTE_PGM_RSRC3_GFX90A:ACCUM_OFFSET: 0
; COMPUTE_PGM_RSRC3_GFX90A:TG_SPLIT: 0
	.section	.text._ZN7rocprim17ROCPRIM_400000_NS6detail17trampoline_kernelINS0_14default_configENS1_27scan_by_key_config_selectorIiiEEZZNS1_16scan_by_key_implILNS1_25lookback_scan_determinismE0ELb0ES3_N6thrust23THRUST_200600_302600_NS6detail15normal_iteratorINS9_10device_ptrIiEEEESE_SE_iNS9_4plusIiEE19head_flag_predicateiEE10hipError_tPvRmT2_T3_T4_T5_mT6_T7_P12ihipStream_tbENKUlT_T0_E_clISt17integral_constantIbLb1EESY_EEDaST_SU_EUlST_E_NS1_11comp_targetILNS1_3genE2ELNS1_11target_archE906ELNS1_3gpuE6ELNS1_3repE0EEENS1_30default_config_static_selectorELNS0_4arch9wavefront6targetE1EEEvT1_,"axG",@progbits,_ZN7rocprim17ROCPRIM_400000_NS6detail17trampoline_kernelINS0_14default_configENS1_27scan_by_key_config_selectorIiiEEZZNS1_16scan_by_key_implILNS1_25lookback_scan_determinismE0ELb0ES3_N6thrust23THRUST_200600_302600_NS6detail15normal_iteratorINS9_10device_ptrIiEEEESE_SE_iNS9_4plusIiEE19head_flag_predicateiEE10hipError_tPvRmT2_T3_T4_T5_mT6_T7_P12ihipStream_tbENKUlT_T0_E_clISt17integral_constantIbLb1EESY_EEDaST_SU_EUlST_E_NS1_11comp_targetILNS1_3genE2ELNS1_11target_archE906ELNS1_3gpuE6ELNS1_3repE0EEENS1_30default_config_static_selectorELNS0_4arch9wavefront6targetE1EEEvT1_,comdat
	.protected	_ZN7rocprim17ROCPRIM_400000_NS6detail17trampoline_kernelINS0_14default_configENS1_27scan_by_key_config_selectorIiiEEZZNS1_16scan_by_key_implILNS1_25lookback_scan_determinismE0ELb0ES3_N6thrust23THRUST_200600_302600_NS6detail15normal_iteratorINS9_10device_ptrIiEEEESE_SE_iNS9_4plusIiEE19head_flag_predicateiEE10hipError_tPvRmT2_T3_T4_T5_mT6_T7_P12ihipStream_tbENKUlT_T0_E_clISt17integral_constantIbLb1EESY_EEDaST_SU_EUlST_E_NS1_11comp_targetILNS1_3genE2ELNS1_11target_archE906ELNS1_3gpuE6ELNS1_3repE0EEENS1_30default_config_static_selectorELNS0_4arch9wavefront6targetE1EEEvT1_ ; -- Begin function _ZN7rocprim17ROCPRIM_400000_NS6detail17trampoline_kernelINS0_14default_configENS1_27scan_by_key_config_selectorIiiEEZZNS1_16scan_by_key_implILNS1_25lookback_scan_determinismE0ELb0ES3_N6thrust23THRUST_200600_302600_NS6detail15normal_iteratorINS9_10device_ptrIiEEEESE_SE_iNS9_4plusIiEE19head_flag_predicateiEE10hipError_tPvRmT2_T3_T4_T5_mT6_T7_P12ihipStream_tbENKUlT_T0_E_clISt17integral_constantIbLb1EESY_EEDaST_SU_EUlST_E_NS1_11comp_targetILNS1_3genE2ELNS1_11target_archE906ELNS1_3gpuE6ELNS1_3repE0EEENS1_30default_config_static_selectorELNS0_4arch9wavefront6targetE1EEEvT1_
	.globl	_ZN7rocprim17ROCPRIM_400000_NS6detail17trampoline_kernelINS0_14default_configENS1_27scan_by_key_config_selectorIiiEEZZNS1_16scan_by_key_implILNS1_25lookback_scan_determinismE0ELb0ES3_N6thrust23THRUST_200600_302600_NS6detail15normal_iteratorINS9_10device_ptrIiEEEESE_SE_iNS9_4plusIiEE19head_flag_predicateiEE10hipError_tPvRmT2_T3_T4_T5_mT6_T7_P12ihipStream_tbENKUlT_T0_E_clISt17integral_constantIbLb1EESY_EEDaST_SU_EUlST_E_NS1_11comp_targetILNS1_3genE2ELNS1_11target_archE906ELNS1_3gpuE6ELNS1_3repE0EEENS1_30default_config_static_selectorELNS0_4arch9wavefront6targetE1EEEvT1_
	.p2align	8
	.type	_ZN7rocprim17ROCPRIM_400000_NS6detail17trampoline_kernelINS0_14default_configENS1_27scan_by_key_config_selectorIiiEEZZNS1_16scan_by_key_implILNS1_25lookback_scan_determinismE0ELb0ES3_N6thrust23THRUST_200600_302600_NS6detail15normal_iteratorINS9_10device_ptrIiEEEESE_SE_iNS9_4plusIiEE19head_flag_predicateiEE10hipError_tPvRmT2_T3_T4_T5_mT6_T7_P12ihipStream_tbENKUlT_T0_E_clISt17integral_constantIbLb1EESY_EEDaST_SU_EUlST_E_NS1_11comp_targetILNS1_3genE2ELNS1_11target_archE906ELNS1_3gpuE6ELNS1_3repE0EEENS1_30default_config_static_selectorELNS0_4arch9wavefront6targetE1EEEvT1_,@function
_ZN7rocprim17ROCPRIM_400000_NS6detail17trampoline_kernelINS0_14default_configENS1_27scan_by_key_config_selectorIiiEEZZNS1_16scan_by_key_implILNS1_25lookback_scan_determinismE0ELb0ES3_N6thrust23THRUST_200600_302600_NS6detail15normal_iteratorINS9_10device_ptrIiEEEESE_SE_iNS9_4plusIiEE19head_flag_predicateiEE10hipError_tPvRmT2_T3_T4_T5_mT6_T7_P12ihipStream_tbENKUlT_T0_E_clISt17integral_constantIbLb1EESY_EEDaST_SU_EUlST_E_NS1_11comp_targetILNS1_3genE2ELNS1_11target_archE906ELNS1_3gpuE6ELNS1_3repE0EEENS1_30default_config_static_selectorELNS0_4arch9wavefront6targetE1EEEvT1_: ; @_ZN7rocprim17ROCPRIM_400000_NS6detail17trampoline_kernelINS0_14default_configENS1_27scan_by_key_config_selectorIiiEEZZNS1_16scan_by_key_implILNS1_25lookback_scan_determinismE0ELb0ES3_N6thrust23THRUST_200600_302600_NS6detail15normal_iteratorINS9_10device_ptrIiEEEESE_SE_iNS9_4plusIiEE19head_flag_predicateiEE10hipError_tPvRmT2_T3_T4_T5_mT6_T7_P12ihipStream_tbENKUlT_T0_E_clISt17integral_constantIbLb1EESY_EEDaST_SU_EUlST_E_NS1_11comp_targetILNS1_3genE2ELNS1_11target_archE906ELNS1_3gpuE6ELNS1_3repE0EEENS1_30default_config_static_selectorELNS0_4arch9wavefront6targetE1EEEvT1_
; %bb.0:
	.section	.rodata,"a",@progbits
	.p2align	6, 0x0
	.amdhsa_kernel _ZN7rocprim17ROCPRIM_400000_NS6detail17trampoline_kernelINS0_14default_configENS1_27scan_by_key_config_selectorIiiEEZZNS1_16scan_by_key_implILNS1_25lookback_scan_determinismE0ELb0ES3_N6thrust23THRUST_200600_302600_NS6detail15normal_iteratorINS9_10device_ptrIiEEEESE_SE_iNS9_4plusIiEE19head_flag_predicateiEE10hipError_tPvRmT2_T3_T4_T5_mT6_T7_P12ihipStream_tbENKUlT_T0_E_clISt17integral_constantIbLb1EESY_EEDaST_SU_EUlST_E_NS1_11comp_targetILNS1_3genE2ELNS1_11target_archE906ELNS1_3gpuE6ELNS1_3repE0EEENS1_30default_config_static_selectorELNS0_4arch9wavefront6targetE1EEEvT1_
		.amdhsa_group_segment_fixed_size 0
		.amdhsa_private_segment_fixed_size 0
		.amdhsa_kernarg_size 112
		.amdhsa_user_sgpr_count 6
		.amdhsa_user_sgpr_private_segment_buffer 1
		.amdhsa_user_sgpr_dispatch_ptr 0
		.amdhsa_user_sgpr_queue_ptr 0
		.amdhsa_user_sgpr_kernarg_segment_ptr 1
		.amdhsa_user_sgpr_dispatch_id 0
		.amdhsa_user_sgpr_flat_scratch_init 0
		.amdhsa_user_sgpr_kernarg_preload_length 0
		.amdhsa_user_sgpr_kernarg_preload_offset 0
		.amdhsa_user_sgpr_private_segment_size 0
		.amdhsa_uses_dynamic_stack 0
		.amdhsa_system_sgpr_private_segment_wavefront_offset 0
		.amdhsa_system_sgpr_workgroup_id_x 1
		.amdhsa_system_sgpr_workgroup_id_y 0
		.amdhsa_system_sgpr_workgroup_id_z 0
		.amdhsa_system_sgpr_workgroup_info 0
		.amdhsa_system_vgpr_workitem_id 0
		.amdhsa_next_free_vgpr 1
		.amdhsa_next_free_sgpr 0
		.amdhsa_accum_offset 4
		.amdhsa_reserve_vcc 0
		.amdhsa_reserve_flat_scratch 0
		.amdhsa_float_round_mode_32 0
		.amdhsa_float_round_mode_16_64 0
		.amdhsa_float_denorm_mode_32 3
		.amdhsa_float_denorm_mode_16_64 3
		.amdhsa_dx10_clamp 1
		.amdhsa_ieee_mode 1
		.amdhsa_fp16_overflow 0
		.amdhsa_tg_split 0
		.amdhsa_exception_fp_ieee_invalid_op 0
		.amdhsa_exception_fp_denorm_src 0
		.amdhsa_exception_fp_ieee_div_zero 0
		.amdhsa_exception_fp_ieee_overflow 0
		.amdhsa_exception_fp_ieee_underflow 0
		.amdhsa_exception_fp_ieee_inexact 0
		.amdhsa_exception_int_div_zero 0
	.end_amdhsa_kernel
	.section	.text._ZN7rocprim17ROCPRIM_400000_NS6detail17trampoline_kernelINS0_14default_configENS1_27scan_by_key_config_selectorIiiEEZZNS1_16scan_by_key_implILNS1_25lookback_scan_determinismE0ELb0ES3_N6thrust23THRUST_200600_302600_NS6detail15normal_iteratorINS9_10device_ptrIiEEEESE_SE_iNS9_4plusIiEE19head_flag_predicateiEE10hipError_tPvRmT2_T3_T4_T5_mT6_T7_P12ihipStream_tbENKUlT_T0_E_clISt17integral_constantIbLb1EESY_EEDaST_SU_EUlST_E_NS1_11comp_targetILNS1_3genE2ELNS1_11target_archE906ELNS1_3gpuE6ELNS1_3repE0EEENS1_30default_config_static_selectorELNS0_4arch9wavefront6targetE1EEEvT1_,"axG",@progbits,_ZN7rocprim17ROCPRIM_400000_NS6detail17trampoline_kernelINS0_14default_configENS1_27scan_by_key_config_selectorIiiEEZZNS1_16scan_by_key_implILNS1_25lookback_scan_determinismE0ELb0ES3_N6thrust23THRUST_200600_302600_NS6detail15normal_iteratorINS9_10device_ptrIiEEEESE_SE_iNS9_4plusIiEE19head_flag_predicateiEE10hipError_tPvRmT2_T3_T4_T5_mT6_T7_P12ihipStream_tbENKUlT_T0_E_clISt17integral_constantIbLb1EESY_EEDaST_SU_EUlST_E_NS1_11comp_targetILNS1_3genE2ELNS1_11target_archE906ELNS1_3gpuE6ELNS1_3repE0EEENS1_30default_config_static_selectorELNS0_4arch9wavefront6targetE1EEEvT1_,comdat
.Lfunc_end763:
	.size	_ZN7rocprim17ROCPRIM_400000_NS6detail17trampoline_kernelINS0_14default_configENS1_27scan_by_key_config_selectorIiiEEZZNS1_16scan_by_key_implILNS1_25lookback_scan_determinismE0ELb0ES3_N6thrust23THRUST_200600_302600_NS6detail15normal_iteratorINS9_10device_ptrIiEEEESE_SE_iNS9_4plusIiEE19head_flag_predicateiEE10hipError_tPvRmT2_T3_T4_T5_mT6_T7_P12ihipStream_tbENKUlT_T0_E_clISt17integral_constantIbLb1EESY_EEDaST_SU_EUlST_E_NS1_11comp_targetILNS1_3genE2ELNS1_11target_archE906ELNS1_3gpuE6ELNS1_3repE0EEENS1_30default_config_static_selectorELNS0_4arch9wavefront6targetE1EEEvT1_, .Lfunc_end763-_ZN7rocprim17ROCPRIM_400000_NS6detail17trampoline_kernelINS0_14default_configENS1_27scan_by_key_config_selectorIiiEEZZNS1_16scan_by_key_implILNS1_25lookback_scan_determinismE0ELb0ES3_N6thrust23THRUST_200600_302600_NS6detail15normal_iteratorINS9_10device_ptrIiEEEESE_SE_iNS9_4plusIiEE19head_flag_predicateiEE10hipError_tPvRmT2_T3_T4_T5_mT6_T7_P12ihipStream_tbENKUlT_T0_E_clISt17integral_constantIbLb1EESY_EEDaST_SU_EUlST_E_NS1_11comp_targetILNS1_3genE2ELNS1_11target_archE906ELNS1_3gpuE6ELNS1_3repE0EEENS1_30default_config_static_selectorELNS0_4arch9wavefront6targetE1EEEvT1_
                                        ; -- End function
	.section	.AMDGPU.csdata,"",@progbits
; Kernel info:
; codeLenInByte = 0
; NumSgprs: 4
; NumVgprs: 0
; NumAgprs: 0
; TotalNumVgprs: 0
; ScratchSize: 0
; MemoryBound: 0
; FloatMode: 240
; IeeeMode: 1
; LDSByteSize: 0 bytes/workgroup (compile time only)
; SGPRBlocks: 0
; VGPRBlocks: 0
; NumSGPRsForWavesPerEU: 4
; NumVGPRsForWavesPerEU: 1
; AccumOffset: 4
; Occupancy: 8
; WaveLimiterHint : 0
; COMPUTE_PGM_RSRC2:SCRATCH_EN: 0
; COMPUTE_PGM_RSRC2:USER_SGPR: 6
; COMPUTE_PGM_RSRC2:TRAP_HANDLER: 0
; COMPUTE_PGM_RSRC2:TGID_X_EN: 1
; COMPUTE_PGM_RSRC2:TGID_Y_EN: 0
; COMPUTE_PGM_RSRC2:TGID_Z_EN: 0
; COMPUTE_PGM_RSRC2:TIDIG_COMP_CNT: 0
; COMPUTE_PGM_RSRC3_GFX90A:ACCUM_OFFSET: 0
; COMPUTE_PGM_RSRC3_GFX90A:TG_SPLIT: 0
	.section	.text._ZN7rocprim17ROCPRIM_400000_NS6detail17trampoline_kernelINS0_14default_configENS1_27scan_by_key_config_selectorIiiEEZZNS1_16scan_by_key_implILNS1_25lookback_scan_determinismE0ELb0ES3_N6thrust23THRUST_200600_302600_NS6detail15normal_iteratorINS9_10device_ptrIiEEEESE_SE_iNS9_4plusIiEE19head_flag_predicateiEE10hipError_tPvRmT2_T3_T4_T5_mT6_T7_P12ihipStream_tbENKUlT_T0_E_clISt17integral_constantIbLb1EESY_EEDaST_SU_EUlST_E_NS1_11comp_targetILNS1_3genE10ELNS1_11target_archE1200ELNS1_3gpuE4ELNS1_3repE0EEENS1_30default_config_static_selectorELNS0_4arch9wavefront6targetE1EEEvT1_,"axG",@progbits,_ZN7rocprim17ROCPRIM_400000_NS6detail17trampoline_kernelINS0_14default_configENS1_27scan_by_key_config_selectorIiiEEZZNS1_16scan_by_key_implILNS1_25lookback_scan_determinismE0ELb0ES3_N6thrust23THRUST_200600_302600_NS6detail15normal_iteratorINS9_10device_ptrIiEEEESE_SE_iNS9_4plusIiEE19head_flag_predicateiEE10hipError_tPvRmT2_T3_T4_T5_mT6_T7_P12ihipStream_tbENKUlT_T0_E_clISt17integral_constantIbLb1EESY_EEDaST_SU_EUlST_E_NS1_11comp_targetILNS1_3genE10ELNS1_11target_archE1200ELNS1_3gpuE4ELNS1_3repE0EEENS1_30default_config_static_selectorELNS0_4arch9wavefront6targetE1EEEvT1_,comdat
	.protected	_ZN7rocprim17ROCPRIM_400000_NS6detail17trampoline_kernelINS0_14default_configENS1_27scan_by_key_config_selectorIiiEEZZNS1_16scan_by_key_implILNS1_25lookback_scan_determinismE0ELb0ES3_N6thrust23THRUST_200600_302600_NS6detail15normal_iteratorINS9_10device_ptrIiEEEESE_SE_iNS9_4plusIiEE19head_flag_predicateiEE10hipError_tPvRmT2_T3_T4_T5_mT6_T7_P12ihipStream_tbENKUlT_T0_E_clISt17integral_constantIbLb1EESY_EEDaST_SU_EUlST_E_NS1_11comp_targetILNS1_3genE10ELNS1_11target_archE1200ELNS1_3gpuE4ELNS1_3repE0EEENS1_30default_config_static_selectorELNS0_4arch9wavefront6targetE1EEEvT1_ ; -- Begin function _ZN7rocprim17ROCPRIM_400000_NS6detail17trampoline_kernelINS0_14default_configENS1_27scan_by_key_config_selectorIiiEEZZNS1_16scan_by_key_implILNS1_25lookback_scan_determinismE0ELb0ES3_N6thrust23THRUST_200600_302600_NS6detail15normal_iteratorINS9_10device_ptrIiEEEESE_SE_iNS9_4plusIiEE19head_flag_predicateiEE10hipError_tPvRmT2_T3_T4_T5_mT6_T7_P12ihipStream_tbENKUlT_T0_E_clISt17integral_constantIbLb1EESY_EEDaST_SU_EUlST_E_NS1_11comp_targetILNS1_3genE10ELNS1_11target_archE1200ELNS1_3gpuE4ELNS1_3repE0EEENS1_30default_config_static_selectorELNS0_4arch9wavefront6targetE1EEEvT1_
	.globl	_ZN7rocprim17ROCPRIM_400000_NS6detail17trampoline_kernelINS0_14default_configENS1_27scan_by_key_config_selectorIiiEEZZNS1_16scan_by_key_implILNS1_25lookback_scan_determinismE0ELb0ES3_N6thrust23THRUST_200600_302600_NS6detail15normal_iteratorINS9_10device_ptrIiEEEESE_SE_iNS9_4plusIiEE19head_flag_predicateiEE10hipError_tPvRmT2_T3_T4_T5_mT6_T7_P12ihipStream_tbENKUlT_T0_E_clISt17integral_constantIbLb1EESY_EEDaST_SU_EUlST_E_NS1_11comp_targetILNS1_3genE10ELNS1_11target_archE1200ELNS1_3gpuE4ELNS1_3repE0EEENS1_30default_config_static_selectorELNS0_4arch9wavefront6targetE1EEEvT1_
	.p2align	8
	.type	_ZN7rocprim17ROCPRIM_400000_NS6detail17trampoline_kernelINS0_14default_configENS1_27scan_by_key_config_selectorIiiEEZZNS1_16scan_by_key_implILNS1_25lookback_scan_determinismE0ELb0ES3_N6thrust23THRUST_200600_302600_NS6detail15normal_iteratorINS9_10device_ptrIiEEEESE_SE_iNS9_4plusIiEE19head_flag_predicateiEE10hipError_tPvRmT2_T3_T4_T5_mT6_T7_P12ihipStream_tbENKUlT_T0_E_clISt17integral_constantIbLb1EESY_EEDaST_SU_EUlST_E_NS1_11comp_targetILNS1_3genE10ELNS1_11target_archE1200ELNS1_3gpuE4ELNS1_3repE0EEENS1_30default_config_static_selectorELNS0_4arch9wavefront6targetE1EEEvT1_,@function
_ZN7rocprim17ROCPRIM_400000_NS6detail17trampoline_kernelINS0_14default_configENS1_27scan_by_key_config_selectorIiiEEZZNS1_16scan_by_key_implILNS1_25lookback_scan_determinismE0ELb0ES3_N6thrust23THRUST_200600_302600_NS6detail15normal_iteratorINS9_10device_ptrIiEEEESE_SE_iNS9_4plusIiEE19head_flag_predicateiEE10hipError_tPvRmT2_T3_T4_T5_mT6_T7_P12ihipStream_tbENKUlT_T0_E_clISt17integral_constantIbLb1EESY_EEDaST_SU_EUlST_E_NS1_11comp_targetILNS1_3genE10ELNS1_11target_archE1200ELNS1_3gpuE4ELNS1_3repE0EEENS1_30default_config_static_selectorELNS0_4arch9wavefront6targetE1EEEvT1_: ; @_ZN7rocprim17ROCPRIM_400000_NS6detail17trampoline_kernelINS0_14default_configENS1_27scan_by_key_config_selectorIiiEEZZNS1_16scan_by_key_implILNS1_25lookback_scan_determinismE0ELb0ES3_N6thrust23THRUST_200600_302600_NS6detail15normal_iteratorINS9_10device_ptrIiEEEESE_SE_iNS9_4plusIiEE19head_flag_predicateiEE10hipError_tPvRmT2_T3_T4_T5_mT6_T7_P12ihipStream_tbENKUlT_T0_E_clISt17integral_constantIbLb1EESY_EEDaST_SU_EUlST_E_NS1_11comp_targetILNS1_3genE10ELNS1_11target_archE1200ELNS1_3gpuE4ELNS1_3repE0EEENS1_30default_config_static_selectorELNS0_4arch9wavefront6targetE1EEEvT1_
; %bb.0:
	.section	.rodata,"a",@progbits
	.p2align	6, 0x0
	.amdhsa_kernel _ZN7rocprim17ROCPRIM_400000_NS6detail17trampoline_kernelINS0_14default_configENS1_27scan_by_key_config_selectorIiiEEZZNS1_16scan_by_key_implILNS1_25lookback_scan_determinismE0ELb0ES3_N6thrust23THRUST_200600_302600_NS6detail15normal_iteratorINS9_10device_ptrIiEEEESE_SE_iNS9_4plusIiEE19head_flag_predicateiEE10hipError_tPvRmT2_T3_T4_T5_mT6_T7_P12ihipStream_tbENKUlT_T0_E_clISt17integral_constantIbLb1EESY_EEDaST_SU_EUlST_E_NS1_11comp_targetILNS1_3genE10ELNS1_11target_archE1200ELNS1_3gpuE4ELNS1_3repE0EEENS1_30default_config_static_selectorELNS0_4arch9wavefront6targetE1EEEvT1_
		.amdhsa_group_segment_fixed_size 0
		.amdhsa_private_segment_fixed_size 0
		.amdhsa_kernarg_size 112
		.amdhsa_user_sgpr_count 6
		.amdhsa_user_sgpr_private_segment_buffer 1
		.amdhsa_user_sgpr_dispatch_ptr 0
		.amdhsa_user_sgpr_queue_ptr 0
		.amdhsa_user_sgpr_kernarg_segment_ptr 1
		.amdhsa_user_sgpr_dispatch_id 0
		.amdhsa_user_sgpr_flat_scratch_init 0
		.amdhsa_user_sgpr_kernarg_preload_length 0
		.amdhsa_user_sgpr_kernarg_preload_offset 0
		.amdhsa_user_sgpr_private_segment_size 0
		.amdhsa_uses_dynamic_stack 0
		.amdhsa_system_sgpr_private_segment_wavefront_offset 0
		.amdhsa_system_sgpr_workgroup_id_x 1
		.amdhsa_system_sgpr_workgroup_id_y 0
		.amdhsa_system_sgpr_workgroup_id_z 0
		.amdhsa_system_sgpr_workgroup_info 0
		.amdhsa_system_vgpr_workitem_id 0
		.amdhsa_next_free_vgpr 1
		.amdhsa_next_free_sgpr 0
		.amdhsa_accum_offset 4
		.amdhsa_reserve_vcc 0
		.amdhsa_reserve_flat_scratch 0
		.amdhsa_float_round_mode_32 0
		.amdhsa_float_round_mode_16_64 0
		.amdhsa_float_denorm_mode_32 3
		.amdhsa_float_denorm_mode_16_64 3
		.amdhsa_dx10_clamp 1
		.amdhsa_ieee_mode 1
		.amdhsa_fp16_overflow 0
		.amdhsa_tg_split 0
		.amdhsa_exception_fp_ieee_invalid_op 0
		.amdhsa_exception_fp_denorm_src 0
		.amdhsa_exception_fp_ieee_div_zero 0
		.amdhsa_exception_fp_ieee_overflow 0
		.amdhsa_exception_fp_ieee_underflow 0
		.amdhsa_exception_fp_ieee_inexact 0
		.amdhsa_exception_int_div_zero 0
	.end_amdhsa_kernel
	.section	.text._ZN7rocprim17ROCPRIM_400000_NS6detail17trampoline_kernelINS0_14default_configENS1_27scan_by_key_config_selectorIiiEEZZNS1_16scan_by_key_implILNS1_25lookback_scan_determinismE0ELb0ES3_N6thrust23THRUST_200600_302600_NS6detail15normal_iteratorINS9_10device_ptrIiEEEESE_SE_iNS9_4plusIiEE19head_flag_predicateiEE10hipError_tPvRmT2_T3_T4_T5_mT6_T7_P12ihipStream_tbENKUlT_T0_E_clISt17integral_constantIbLb1EESY_EEDaST_SU_EUlST_E_NS1_11comp_targetILNS1_3genE10ELNS1_11target_archE1200ELNS1_3gpuE4ELNS1_3repE0EEENS1_30default_config_static_selectorELNS0_4arch9wavefront6targetE1EEEvT1_,"axG",@progbits,_ZN7rocprim17ROCPRIM_400000_NS6detail17trampoline_kernelINS0_14default_configENS1_27scan_by_key_config_selectorIiiEEZZNS1_16scan_by_key_implILNS1_25lookback_scan_determinismE0ELb0ES3_N6thrust23THRUST_200600_302600_NS6detail15normal_iteratorINS9_10device_ptrIiEEEESE_SE_iNS9_4plusIiEE19head_flag_predicateiEE10hipError_tPvRmT2_T3_T4_T5_mT6_T7_P12ihipStream_tbENKUlT_T0_E_clISt17integral_constantIbLb1EESY_EEDaST_SU_EUlST_E_NS1_11comp_targetILNS1_3genE10ELNS1_11target_archE1200ELNS1_3gpuE4ELNS1_3repE0EEENS1_30default_config_static_selectorELNS0_4arch9wavefront6targetE1EEEvT1_,comdat
.Lfunc_end764:
	.size	_ZN7rocprim17ROCPRIM_400000_NS6detail17trampoline_kernelINS0_14default_configENS1_27scan_by_key_config_selectorIiiEEZZNS1_16scan_by_key_implILNS1_25lookback_scan_determinismE0ELb0ES3_N6thrust23THRUST_200600_302600_NS6detail15normal_iteratorINS9_10device_ptrIiEEEESE_SE_iNS9_4plusIiEE19head_flag_predicateiEE10hipError_tPvRmT2_T3_T4_T5_mT6_T7_P12ihipStream_tbENKUlT_T0_E_clISt17integral_constantIbLb1EESY_EEDaST_SU_EUlST_E_NS1_11comp_targetILNS1_3genE10ELNS1_11target_archE1200ELNS1_3gpuE4ELNS1_3repE0EEENS1_30default_config_static_selectorELNS0_4arch9wavefront6targetE1EEEvT1_, .Lfunc_end764-_ZN7rocprim17ROCPRIM_400000_NS6detail17trampoline_kernelINS0_14default_configENS1_27scan_by_key_config_selectorIiiEEZZNS1_16scan_by_key_implILNS1_25lookback_scan_determinismE0ELb0ES3_N6thrust23THRUST_200600_302600_NS6detail15normal_iteratorINS9_10device_ptrIiEEEESE_SE_iNS9_4plusIiEE19head_flag_predicateiEE10hipError_tPvRmT2_T3_T4_T5_mT6_T7_P12ihipStream_tbENKUlT_T0_E_clISt17integral_constantIbLb1EESY_EEDaST_SU_EUlST_E_NS1_11comp_targetILNS1_3genE10ELNS1_11target_archE1200ELNS1_3gpuE4ELNS1_3repE0EEENS1_30default_config_static_selectorELNS0_4arch9wavefront6targetE1EEEvT1_
                                        ; -- End function
	.section	.AMDGPU.csdata,"",@progbits
; Kernel info:
; codeLenInByte = 0
; NumSgprs: 4
; NumVgprs: 0
; NumAgprs: 0
; TotalNumVgprs: 0
; ScratchSize: 0
; MemoryBound: 0
; FloatMode: 240
; IeeeMode: 1
; LDSByteSize: 0 bytes/workgroup (compile time only)
; SGPRBlocks: 0
; VGPRBlocks: 0
; NumSGPRsForWavesPerEU: 4
; NumVGPRsForWavesPerEU: 1
; AccumOffset: 4
; Occupancy: 8
; WaveLimiterHint : 0
; COMPUTE_PGM_RSRC2:SCRATCH_EN: 0
; COMPUTE_PGM_RSRC2:USER_SGPR: 6
; COMPUTE_PGM_RSRC2:TRAP_HANDLER: 0
; COMPUTE_PGM_RSRC2:TGID_X_EN: 1
; COMPUTE_PGM_RSRC2:TGID_Y_EN: 0
; COMPUTE_PGM_RSRC2:TGID_Z_EN: 0
; COMPUTE_PGM_RSRC2:TIDIG_COMP_CNT: 0
; COMPUTE_PGM_RSRC3_GFX90A:ACCUM_OFFSET: 0
; COMPUTE_PGM_RSRC3_GFX90A:TG_SPLIT: 0
	.section	.text._ZN7rocprim17ROCPRIM_400000_NS6detail17trampoline_kernelINS0_14default_configENS1_27scan_by_key_config_selectorIiiEEZZNS1_16scan_by_key_implILNS1_25lookback_scan_determinismE0ELb0ES3_N6thrust23THRUST_200600_302600_NS6detail15normal_iteratorINS9_10device_ptrIiEEEESE_SE_iNS9_4plusIiEE19head_flag_predicateiEE10hipError_tPvRmT2_T3_T4_T5_mT6_T7_P12ihipStream_tbENKUlT_T0_E_clISt17integral_constantIbLb1EESY_EEDaST_SU_EUlST_E_NS1_11comp_targetILNS1_3genE9ELNS1_11target_archE1100ELNS1_3gpuE3ELNS1_3repE0EEENS1_30default_config_static_selectorELNS0_4arch9wavefront6targetE1EEEvT1_,"axG",@progbits,_ZN7rocprim17ROCPRIM_400000_NS6detail17trampoline_kernelINS0_14default_configENS1_27scan_by_key_config_selectorIiiEEZZNS1_16scan_by_key_implILNS1_25lookback_scan_determinismE0ELb0ES3_N6thrust23THRUST_200600_302600_NS6detail15normal_iteratorINS9_10device_ptrIiEEEESE_SE_iNS9_4plusIiEE19head_flag_predicateiEE10hipError_tPvRmT2_T3_T4_T5_mT6_T7_P12ihipStream_tbENKUlT_T0_E_clISt17integral_constantIbLb1EESY_EEDaST_SU_EUlST_E_NS1_11comp_targetILNS1_3genE9ELNS1_11target_archE1100ELNS1_3gpuE3ELNS1_3repE0EEENS1_30default_config_static_selectorELNS0_4arch9wavefront6targetE1EEEvT1_,comdat
	.protected	_ZN7rocprim17ROCPRIM_400000_NS6detail17trampoline_kernelINS0_14default_configENS1_27scan_by_key_config_selectorIiiEEZZNS1_16scan_by_key_implILNS1_25lookback_scan_determinismE0ELb0ES3_N6thrust23THRUST_200600_302600_NS6detail15normal_iteratorINS9_10device_ptrIiEEEESE_SE_iNS9_4plusIiEE19head_flag_predicateiEE10hipError_tPvRmT2_T3_T4_T5_mT6_T7_P12ihipStream_tbENKUlT_T0_E_clISt17integral_constantIbLb1EESY_EEDaST_SU_EUlST_E_NS1_11comp_targetILNS1_3genE9ELNS1_11target_archE1100ELNS1_3gpuE3ELNS1_3repE0EEENS1_30default_config_static_selectorELNS0_4arch9wavefront6targetE1EEEvT1_ ; -- Begin function _ZN7rocprim17ROCPRIM_400000_NS6detail17trampoline_kernelINS0_14default_configENS1_27scan_by_key_config_selectorIiiEEZZNS1_16scan_by_key_implILNS1_25lookback_scan_determinismE0ELb0ES3_N6thrust23THRUST_200600_302600_NS6detail15normal_iteratorINS9_10device_ptrIiEEEESE_SE_iNS9_4plusIiEE19head_flag_predicateiEE10hipError_tPvRmT2_T3_T4_T5_mT6_T7_P12ihipStream_tbENKUlT_T0_E_clISt17integral_constantIbLb1EESY_EEDaST_SU_EUlST_E_NS1_11comp_targetILNS1_3genE9ELNS1_11target_archE1100ELNS1_3gpuE3ELNS1_3repE0EEENS1_30default_config_static_selectorELNS0_4arch9wavefront6targetE1EEEvT1_
	.globl	_ZN7rocprim17ROCPRIM_400000_NS6detail17trampoline_kernelINS0_14default_configENS1_27scan_by_key_config_selectorIiiEEZZNS1_16scan_by_key_implILNS1_25lookback_scan_determinismE0ELb0ES3_N6thrust23THRUST_200600_302600_NS6detail15normal_iteratorINS9_10device_ptrIiEEEESE_SE_iNS9_4plusIiEE19head_flag_predicateiEE10hipError_tPvRmT2_T3_T4_T5_mT6_T7_P12ihipStream_tbENKUlT_T0_E_clISt17integral_constantIbLb1EESY_EEDaST_SU_EUlST_E_NS1_11comp_targetILNS1_3genE9ELNS1_11target_archE1100ELNS1_3gpuE3ELNS1_3repE0EEENS1_30default_config_static_selectorELNS0_4arch9wavefront6targetE1EEEvT1_
	.p2align	8
	.type	_ZN7rocprim17ROCPRIM_400000_NS6detail17trampoline_kernelINS0_14default_configENS1_27scan_by_key_config_selectorIiiEEZZNS1_16scan_by_key_implILNS1_25lookback_scan_determinismE0ELb0ES3_N6thrust23THRUST_200600_302600_NS6detail15normal_iteratorINS9_10device_ptrIiEEEESE_SE_iNS9_4plusIiEE19head_flag_predicateiEE10hipError_tPvRmT2_T3_T4_T5_mT6_T7_P12ihipStream_tbENKUlT_T0_E_clISt17integral_constantIbLb1EESY_EEDaST_SU_EUlST_E_NS1_11comp_targetILNS1_3genE9ELNS1_11target_archE1100ELNS1_3gpuE3ELNS1_3repE0EEENS1_30default_config_static_selectorELNS0_4arch9wavefront6targetE1EEEvT1_,@function
_ZN7rocprim17ROCPRIM_400000_NS6detail17trampoline_kernelINS0_14default_configENS1_27scan_by_key_config_selectorIiiEEZZNS1_16scan_by_key_implILNS1_25lookback_scan_determinismE0ELb0ES3_N6thrust23THRUST_200600_302600_NS6detail15normal_iteratorINS9_10device_ptrIiEEEESE_SE_iNS9_4plusIiEE19head_flag_predicateiEE10hipError_tPvRmT2_T3_T4_T5_mT6_T7_P12ihipStream_tbENKUlT_T0_E_clISt17integral_constantIbLb1EESY_EEDaST_SU_EUlST_E_NS1_11comp_targetILNS1_3genE9ELNS1_11target_archE1100ELNS1_3gpuE3ELNS1_3repE0EEENS1_30default_config_static_selectorELNS0_4arch9wavefront6targetE1EEEvT1_: ; @_ZN7rocprim17ROCPRIM_400000_NS6detail17trampoline_kernelINS0_14default_configENS1_27scan_by_key_config_selectorIiiEEZZNS1_16scan_by_key_implILNS1_25lookback_scan_determinismE0ELb0ES3_N6thrust23THRUST_200600_302600_NS6detail15normal_iteratorINS9_10device_ptrIiEEEESE_SE_iNS9_4plusIiEE19head_flag_predicateiEE10hipError_tPvRmT2_T3_T4_T5_mT6_T7_P12ihipStream_tbENKUlT_T0_E_clISt17integral_constantIbLb1EESY_EEDaST_SU_EUlST_E_NS1_11comp_targetILNS1_3genE9ELNS1_11target_archE1100ELNS1_3gpuE3ELNS1_3repE0EEENS1_30default_config_static_selectorELNS0_4arch9wavefront6targetE1EEEvT1_
; %bb.0:
	.section	.rodata,"a",@progbits
	.p2align	6, 0x0
	.amdhsa_kernel _ZN7rocprim17ROCPRIM_400000_NS6detail17trampoline_kernelINS0_14default_configENS1_27scan_by_key_config_selectorIiiEEZZNS1_16scan_by_key_implILNS1_25lookback_scan_determinismE0ELb0ES3_N6thrust23THRUST_200600_302600_NS6detail15normal_iteratorINS9_10device_ptrIiEEEESE_SE_iNS9_4plusIiEE19head_flag_predicateiEE10hipError_tPvRmT2_T3_T4_T5_mT6_T7_P12ihipStream_tbENKUlT_T0_E_clISt17integral_constantIbLb1EESY_EEDaST_SU_EUlST_E_NS1_11comp_targetILNS1_3genE9ELNS1_11target_archE1100ELNS1_3gpuE3ELNS1_3repE0EEENS1_30default_config_static_selectorELNS0_4arch9wavefront6targetE1EEEvT1_
		.amdhsa_group_segment_fixed_size 0
		.amdhsa_private_segment_fixed_size 0
		.amdhsa_kernarg_size 112
		.amdhsa_user_sgpr_count 6
		.amdhsa_user_sgpr_private_segment_buffer 1
		.amdhsa_user_sgpr_dispatch_ptr 0
		.amdhsa_user_sgpr_queue_ptr 0
		.amdhsa_user_sgpr_kernarg_segment_ptr 1
		.amdhsa_user_sgpr_dispatch_id 0
		.amdhsa_user_sgpr_flat_scratch_init 0
		.amdhsa_user_sgpr_kernarg_preload_length 0
		.amdhsa_user_sgpr_kernarg_preload_offset 0
		.amdhsa_user_sgpr_private_segment_size 0
		.amdhsa_uses_dynamic_stack 0
		.amdhsa_system_sgpr_private_segment_wavefront_offset 0
		.amdhsa_system_sgpr_workgroup_id_x 1
		.amdhsa_system_sgpr_workgroup_id_y 0
		.amdhsa_system_sgpr_workgroup_id_z 0
		.amdhsa_system_sgpr_workgroup_info 0
		.amdhsa_system_vgpr_workitem_id 0
		.amdhsa_next_free_vgpr 1
		.amdhsa_next_free_sgpr 0
		.amdhsa_accum_offset 4
		.amdhsa_reserve_vcc 0
		.amdhsa_reserve_flat_scratch 0
		.amdhsa_float_round_mode_32 0
		.amdhsa_float_round_mode_16_64 0
		.amdhsa_float_denorm_mode_32 3
		.amdhsa_float_denorm_mode_16_64 3
		.amdhsa_dx10_clamp 1
		.amdhsa_ieee_mode 1
		.amdhsa_fp16_overflow 0
		.amdhsa_tg_split 0
		.amdhsa_exception_fp_ieee_invalid_op 0
		.amdhsa_exception_fp_denorm_src 0
		.amdhsa_exception_fp_ieee_div_zero 0
		.amdhsa_exception_fp_ieee_overflow 0
		.amdhsa_exception_fp_ieee_underflow 0
		.amdhsa_exception_fp_ieee_inexact 0
		.amdhsa_exception_int_div_zero 0
	.end_amdhsa_kernel
	.section	.text._ZN7rocprim17ROCPRIM_400000_NS6detail17trampoline_kernelINS0_14default_configENS1_27scan_by_key_config_selectorIiiEEZZNS1_16scan_by_key_implILNS1_25lookback_scan_determinismE0ELb0ES3_N6thrust23THRUST_200600_302600_NS6detail15normal_iteratorINS9_10device_ptrIiEEEESE_SE_iNS9_4plusIiEE19head_flag_predicateiEE10hipError_tPvRmT2_T3_T4_T5_mT6_T7_P12ihipStream_tbENKUlT_T0_E_clISt17integral_constantIbLb1EESY_EEDaST_SU_EUlST_E_NS1_11comp_targetILNS1_3genE9ELNS1_11target_archE1100ELNS1_3gpuE3ELNS1_3repE0EEENS1_30default_config_static_selectorELNS0_4arch9wavefront6targetE1EEEvT1_,"axG",@progbits,_ZN7rocprim17ROCPRIM_400000_NS6detail17trampoline_kernelINS0_14default_configENS1_27scan_by_key_config_selectorIiiEEZZNS1_16scan_by_key_implILNS1_25lookback_scan_determinismE0ELb0ES3_N6thrust23THRUST_200600_302600_NS6detail15normal_iteratorINS9_10device_ptrIiEEEESE_SE_iNS9_4plusIiEE19head_flag_predicateiEE10hipError_tPvRmT2_T3_T4_T5_mT6_T7_P12ihipStream_tbENKUlT_T0_E_clISt17integral_constantIbLb1EESY_EEDaST_SU_EUlST_E_NS1_11comp_targetILNS1_3genE9ELNS1_11target_archE1100ELNS1_3gpuE3ELNS1_3repE0EEENS1_30default_config_static_selectorELNS0_4arch9wavefront6targetE1EEEvT1_,comdat
.Lfunc_end765:
	.size	_ZN7rocprim17ROCPRIM_400000_NS6detail17trampoline_kernelINS0_14default_configENS1_27scan_by_key_config_selectorIiiEEZZNS1_16scan_by_key_implILNS1_25lookback_scan_determinismE0ELb0ES3_N6thrust23THRUST_200600_302600_NS6detail15normal_iteratorINS9_10device_ptrIiEEEESE_SE_iNS9_4plusIiEE19head_flag_predicateiEE10hipError_tPvRmT2_T3_T4_T5_mT6_T7_P12ihipStream_tbENKUlT_T0_E_clISt17integral_constantIbLb1EESY_EEDaST_SU_EUlST_E_NS1_11comp_targetILNS1_3genE9ELNS1_11target_archE1100ELNS1_3gpuE3ELNS1_3repE0EEENS1_30default_config_static_selectorELNS0_4arch9wavefront6targetE1EEEvT1_, .Lfunc_end765-_ZN7rocprim17ROCPRIM_400000_NS6detail17trampoline_kernelINS0_14default_configENS1_27scan_by_key_config_selectorIiiEEZZNS1_16scan_by_key_implILNS1_25lookback_scan_determinismE0ELb0ES3_N6thrust23THRUST_200600_302600_NS6detail15normal_iteratorINS9_10device_ptrIiEEEESE_SE_iNS9_4plusIiEE19head_flag_predicateiEE10hipError_tPvRmT2_T3_T4_T5_mT6_T7_P12ihipStream_tbENKUlT_T0_E_clISt17integral_constantIbLb1EESY_EEDaST_SU_EUlST_E_NS1_11comp_targetILNS1_3genE9ELNS1_11target_archE1100ELNS1_3gpuE3ELNS1_3repE0EEENS1_30default_config_static_selectorELNS0_4arch9wavefront6targetE1EEEvT1_
                                        ; -- End function
	.section	.AMDGPU.csdata,"",@progbits
; Kernel info:
; codeLenInByte = 0
; NumSgprs: 4
; NumVgprs: 0
; NumAgprs: 0
; TotalNumVgprs: 0
; ScratchSize: 0
; MemoryBound: 0
; FloatMode: 240
; IeeeMode: 1
; LDSByteSize: 0 bytes/workgroup (compile time only)
; SGPRBlocks: 0
; VGPRBlocks: 0
; NumSGPRsForWavesPerEU: 4
; NumVGPRsForWavesPerEU: 1
; AccumOffset: 4
; Occupancy: 8
; WaveLimiterHint : 0
; COMPUTE_PGM_RSRC2:SCRATCH_EN: 0
; COMPUTE_PGM_RSRC2:USER_SGPR: 6
; COMPUTE_PGM_RSRC2:TRAP_HANDLER: 0
; COMPUTE_PGM_RSRC2:TGID_X_EN: 1
; COMPUTE_PGM_RSRC2:TGID_Y_EN: 0
; COMPUTE_PGM_RSRC2:TGID_Z_EN: 0
; COMPUTE_PGM_RSRC2:TIDIG_COMP_CNT: 0
; COMPUTE_PGM_RSRC3_GFX90A:ACCUM_OFFSET: 0
; COMPUTE_PGM_RSRC3_GFX90A:TG_SPLIT: 0
	.section	.text._ZN7rocprim17ROCPRIM_400000_NS6detail17trampoline_kernelINS0_14default_configENS1_27scan_by_key_config_selectorIiiEEZZNS1_16scan_by_key_implILNS1_25lookback_scan_determinismE0ELb0ES3_N6thrust23THRUST_200600_302600_NS6detail15normal_iteratorINS9_10device_ptrIiEEEESE_SE_iNS9_4plusIiEE19head_flag_predicateiEE10hipError_tPvRmT2_T3_T4_T5_mT6_T7_P12ihipStream_tbENKUlT_T0_E_clISt17integral_constantIbLb1EESY_EEDaST_SU_EUlST_E_NS1_11comp_targetILNS1_3genE8ELNS1_11target_archE1030ELNS1_3gpuE2ELNS1_3repE0EEENS1_30default_config_static_selectorELNS0_4arch9wavefront6targetE1EEEvT1_,"axG",@progbits,_ZN7rocprim17ROCPRIM_400000_NS6detail17trampoline_kernelINS0_14default_configENS1_27scan_by_key_config_selectorIiiEEZZNS1_16scan_by_key_implILNS1_25lookback_scan_determinismE0ELb0ES3_N6thrust23THRUST_200600_302600_NS6detail15normal_iteratorINS9_10device_ptrIiEEEESE_SE_iNS9_4plusIiEE19head_flag_predicateiEE10hipError_tPvRmT2_T3_T4_T5_mT6_T7_P12ihipStream_tbENKUlT_T0_E_clISt17integral_constantIbLb1EESY_EEDaST_SU_EUlST_E_NS1_11comp_targetILNS1_3genE8ELNS1_11target_archE1030ELNS1_3gpuE2ELNS1_3repE0EEENS1_30default_config_static_selectorELNS0_4arch9wavefront6targetE1EEEvT1_,comdat
	.protected	_ZN7rocprim17ROCPRIM_400000_NS6detail17trampoline_kernelINS0_14default_configENS1_27scan_by_key_config_selectorIiiEEZZNS1_16scan_by_key_implILNS1_25lookback_scan_determinismE0ELb0ES3_N6thrust23THRUST_200600_302600_NS6detail15normal_iteratorINS9_10device_ptrIiEEEESE_SE_iNS9_4plusIiEE19head_flag_predicateiEE10hipError_tPvRmT2_T3_T4_T5_mT6_T7_P12ihipStream_tbENKUlT_T0_E_clISt17integral_constantIbLb1EESY_EEDaST_SU_EUlST_E_NS1_11comp_targetILNS1_3genE8ELNS1_11target_archE1030ELNS1_3gpuE2ELNS1_3repE0EEENS1_30default_config_static_selectorELNS0_4arch9wavefront6targetE1EEEvT1_ ; -- Begin function _ZN7rocprim17ROCPRIM_400000_NS6detail17trampoline_kernelINS0_14default_configENS1_27scan_by_key_config_selectorIiiEEZZNS1_16scan_by_key_implILNS1_25lookback_scan_determinismE0ELb0ES3_N6thrust23THRUST_200600_302600_NS6detail15normal_iteratorINS9_10device_ptrIiEEEESE_SE_iNS9_4plusIiEE19head_flag_predicateiEE10hipError_tPvRmT2_T3_T4_T5_mT6_T7_P12ihipStream_tbENKUlT_T0_E_clISt17integral_constantIbLb1EESY_EEDaST_SU_EUlST_E_NS1_11comp_targetILNS1_3genE8ELNS1_11target_archE1030ELNS1_3gpuE2ELNS1_3repE0EEENS1_30default_config_static_selectorELNS0_4arch9wavefront6targetE1EEEvT1_
	.globl	_ZN7rocprim17ROCPRIM_400000_NS6detail17trampoline_kernelINS0_14default_configENS1_27scan_by_key_config_selectorIiiEEZZNS1_16scan_by_key_implILNS1_25lookback_scan_determinismE0ELb0ES3_N6thrust23THRUST_200600_302600_NS6detail15normal_iteratorINS9_10device_ptrIiEEEESE_SE_iNS9_4plusIiEE19head_flag_predicateiEE10hipError_tPvRmT2_T3_T4_T5_mT6_T7_P12ihipStream_tbENKUlT_T0_E_clISt17integral_constantIbLb1EESY_EEDaST_SU_EUlST_E_NS1_11comp_targetILNS1_3genE8ELNS1_11target_archE1030ELNS1_3gpuE2ELNS1_3repE0EEENS1_30default_config_static_selectorELNS0_4arch9wavefront6targetE1EEEvT1_
	.p2align	8
	.type	_ZN7rocprim17ROCPRIM_400000_NS6detail17trampoline_kernelINS0_14default_configENS1_27scan_by_key_config_selectorIiiEEZZNS1_16scan_by_key_implILNS1_25lookback_scan_determinismE0ELb0ES3_N6thrust23THRUST_200600_302600_NS6detail15normal_iteratorINS9_10device_ptrIiEEEESE_SE_iNS9_4plusIiEE19head_flag_predicateiEE10hipError_tPvRmT2_T3_T4_T5_mT6_T7_P12ihipStream_tbENKUlT_T0_E_clISt17integral_constantIbLb1EESY_EEDaST_SU_EUlST_E_NS1_11comp_targetILNS1_3genE8ELNS1_11target_archE1030ELNS1_3gpuE2ELNS1_3repE0EEENS1_30default_config_static_selectorELNS0_4arch9wavefront6targetE1EEEvT1_,@function
_ZN7rocprim17ROCPRIM_400000_NS6detail17trampoline_kernelINS0_14default_configENS1_27scan_by_key_config_selectorIiiEEZZNS1_16scan_by_key_implILNS1_25lookback_scan_determinismE0ELb0ES3_N6thrust23THRUST_200600_302600_NS6detail15normal_iteratorINS9_10device_ptrIiEEEESE_SE_iNS9_4plusIiEE19head_flag_predicateiEE10hipError_tPvRmT2_T3_T4_T5_mT6_T7_P12ihipStream_tbENKUlT_T0_E_clISt17integral_constantIbLb1EESY_EEDaST_SU_EUlST_E_NS1_11comp_targetILNS1_3genE8ELNS1_11target_archE1030ELNS1_3gpuE2ELNS1_3repE0EEENS1_30default_config_static_selectorELNS0_4arch9wavefront6targetE1EEEvT1_: ; @_ZN7rocprim17ROCPRIM_400000_NS6detail17trampoline_kernelINS0_14default_configENS1_27scan_by_key_config_selectorIiiEEZZNS1_16scan_by_key_implILNS1_25lookback_scan_determinismE0ELb0ES3_N6thrust23THRUST_200600_302600_NS6detail15normal_iteratorINS9_10device_ptrIiEEEESE_SE_iNS9_4plusIiEE19head_flag_predicateiEE10hipError_tPvRmT2_T3_T4_T5_mT6_T7_P12ihipStream_tbENKUlT_T0_E_clISt17integral_constantIbLb1EESY_EEDaST_SU_EUlST_E_NS1_11comp_targetILNS1_3genE8ELNS1_11target_archE1030ELNS1_3gpuE2ELNS1_3repE0EEENS1_30default_config_static_selectorELNS0_4arch9wavefront6targetE1EEEvT1_
; %bb.0:
	.section	.rodata,"a",@progbits
	.p2align	6, 0x0
	.amdhsa_kernel _ZN7rocprim17ROCPRIM_400000_NS6detail17trampoline_kernelINS0_14default_configENS1_27scan_by_key_config_selectorIiiEEZZNS1_16scan_by_key_implILNS1_25lookback_scan_determinismE0ELb0ES3_N6thrust23THRUST_200600_302600_NS6detail15normal_iteratorINS9_10device_ptrIiEEEESE_SE_iNS9_4plusIiEE19head_flag_predicateiEE10hipError_tPvRmT2_T3_T4_T5_mT6_T7_P12ihipStream_tbENKUlT_T0_E_clISt17integral_constantIbLb1EESY_EEDaST_SU_EUlST_E_NS1_11comp_targetILNS1_3genE8ELNS1_11target_archE1030ELNS1_3gpuE2ELNS1_3repE0EEENS1_30default_config_static_selectorELNS0_4arch9wavefront6targetE1EEEvT1_
		.amdhsa_group_segment_fixed_size 0
		.amdhsa_private_segment_fixed_size 0
		.amdhsa_kernarg_size 112
		.amdhsa_user_sgpr_count 6
		.amdhsa_user_sgpr_private_segment_buffer 1
		.amdhsa_user_sgpr_dispatch_ptr 0
		.amdhsa_user_sgpr_queue_ptr 0
		.amdhsa_user_sgpr_kernarg_segment_ptr 1
		.amdhsa_user_sgpr_dispatch_id 0
		.amdhsa_user_sgpr_flat_scratch_init 0
		.amdhsa_user_sgpr_kernarg_preload_length 0
		.amdhsa_user_sgpr_kernarg_preload_offset 0
		.amdhsa_user_sgpr_private_segment_size 0
		.amdhsa_uses_dynamic_stack 0
		.amdhsa_system_sgpr_private_segment_wavefront_offset 0
		.amdhsa_system_sgpr_workgroup_id_x 1
		.amdhsa_system_sgpr_workgroup_id_y 0
		.amdhsa_system_sgpr_workgroup_id_z 0
		.amdhsa_system_sgpr_workgroup_info 0
		.amdhsa_system_vgpr_workitem_id 0
		.amdhsa_next_free_vgpr 1
		.amdhsa_next_free_sgpr 0
		.amdhsa_accum_offset 4
		.amdhsa_reserve_vcc 0
		.amdhsa_reserve_flat_scratch 0
		.amdhsa_float_round_mode_32 0
		.amdhsa_float_round_mode_16_64 0
		.amdhsa_float_denorm_mode_32 3
		.amdhsa_float_denorm_mode_16_64 3
		.amdhsa_dx10_clamp 1
		.amdhsa_ieee_mode 1
		.amdhsa_fp16_overflow 0
		.amdhsa_tg_split 0
		.amdhsa_exception_fp_ieee_invalid_op 0
		.amdhsa_exception_fp_denorm_src 0
		.amdhsa_exception_fp_ieee_div_zero 0
		.amdhsa_exception_fp_ieee_overflow 0
		.amdhsa_exception_fp_ieee_underflow 0
		.amdhsa_exception_fp_ieee_inexact 0
		.amdhsa_exception_int_div_zero 0
	.end_amdhsa_kernel
	.section	.text._ZN7rocprim17ROCPRIM_400000_NS6detail17trampoline_kernelINS0_14default_configENS1_27scan_by_key_config_selectorIiiEEZZNS1_16scan_by_key_implILNS1_25lookback_scan_determinismE0ELb0ES3_N6thrust23THRUST_200600_302600_NS6detail15normal_iteratorINS9_10device_ptrIiEEEESE_SE_iNS9_4plusIiEE19head_flag_predicateiEE10hipError_tPvRmT2_T3_T4_T5_mT6_T7_P12ihipStream_tbENKUlT_T0_E_clISt17integral_constantIbLb1EESY_EEDaST_SU_EUlST_E_NS1_11comp_targetILNS1_3genE8ELNS1_11target_archE1030ELNS1_3gpuE2ELNS1_3repE0EEENS1_30default_config_static_selectorELNS0_4arch9wavefront6targetE1EEEvT1_,"axG",@progbits,_ZN7rocprim17ROCPRIM_400000_NS6detail17trampoline_kernelINS0_14default_configENS1_27scan_by_key_config_selectorIiiEEZZNS1_16scan_by_key_implILNS1_25lookback_scan_determinismE0ELb0ES3_N6thrust23THRUST_200600_302600_NS6detail15normal_iteratorINS9_10device_ptrIiEEEESE_SE_iNS9_4plusIiEE19head_flag_predicateiEE10hipError_tPvRmT2_T3_T4_T5_mT6_T7_P12ihipStream_tbENKUlT_T0_E_clISt17integral_constantIbLb1EESY_EEDaST_SU_EUlST_E_NS1_11comp_targetILNS1_3genE8ELNS1_11target_archE1030ELNS1_3gpuE2ELNS1_3repE0EEENS1_30default_config_static_selectorELNS0_4arch9wavefront6targetE1EEEvT1_,comdat
.Lfunc_end766:
	.size	_ZN7rocprim17ROCPRIM_400000_NS6detail17trampoline_kernelINS0_14default_configENS1_27scan_by_key_config_selectorIiiEEZZNS1_16scan_by_key_implILNS1_25lookback_scan_determinismE0ELb0ES3_N6thrust23THRUST_200600_302600_NS6detail15normal_iteratorINS9_10device_ptrIiEEEESE_SE_iNS9_4plusIiEE19head_flag_predicateiEE10hipError_tPvRmT2_T3_T4_T5_mT6_T7_P12ihipStream_tbENKUlT_T0_E_clISt17integral_constantIbLb1EESY_EEDaST_SU_EUlST_E_NS1_11comp_targetILNS1_3genE8ELNS1_11target_archE1030ELNS1_3gpuE2ELNS1_3repE0EEENS1_30default_config_static_selectorELNS0_4arch9wavefront6targetE1EEEvT1_, .Lfunc_end766-_ZN7rocprim17ROCPRIM_400000_NS6detail17trampoline_kernelINS0_14default_configENS1_27scan_by_key_config_selectorIiiEEZZNS1_16scan_by_key_implILNS1_25lookback_scan_determinismE0ELb0ES3_N6thrust23THRUST_200600_302600_NS6detail15normal_iteratorINS9_10device_ptrIiEEEESE_SE_iNS9_4plusIiEE19head_flag_predicateiEE10hipError_tPvRmT2_T3_T4_T5_mT6_T7_P12ihipStream_tbENKUlT_T0_E_clISt17integral_constantIbLb1EESY_EEDaST_SU_EUlST_E_NS1_11comp_targetILNS1_3genE8ELNS1_11target_archE1030ELNS1_3gpuE2ELNS1_3repE0EEENS1_30default_config_static_selectorELNS0_4arch9wavefront6targetE1EEEvT1_
                                        ; -- End function
	.section	.AMDGPU.csdata,"",@progbits
; Kernel info:
; codeLenInByte = 0
; NumSgprs: 4
; NumVgprs: 0
; NumAgprs: 0
; TotalNumVgprs: 0
; ScratchSize: 0
; MemoryBound: 0
; FloatMode: 240
; IeeeMode: 1
; LDSByteSize: 0 bytes/workgroup (compile time only)
; SGPRBlocks: 0
; VGPRBlocks: 0
; NumSGPRsForWavesPerEU: 4
; NumVGPRsForWavesPerEU: 1
; AccumOffset: 4
; Occupancy: 8
; WaveLimiterHint : 0
; COMPUTE_PGM_RSRC2:SCRATCH_EN: 0
; COMPUTE_PGM_RSRC2:USER_SGPR: 6
; COMPUTE_PGM_RSRC2:TRAP_HANDLER: 0
; COMPUTE_PGM_RSRC2:TGID_X_EN: 1
; COMPUTE_PGM_RSRC2:TGID_Y_EN: 0
; COMPUTE_PGM_RSRC2:TGID_Z_EN: 0
; COMPUTE_PGM_RSRC2:TIDIG_COMP_CNT: 0
; COMPUTE_PGM_RSRC3_GFX90A:ACCUM_OFFSET: 0
; COMPUTE_PGM_RSRC3_GFX90A:TG_SPLIT: 0
	.section	.text._ZN7rocprim17ROCPRIM_400000_NS6detail17trampoline_kernelINS0_14default_configENS1_27scan_by_key_config_selectorIiiEEZZNS1_16scan_by_key_implILNS1_25lookback_scan_determinismE0ELb0ES3_N6thrust23THRUST_200600_302600_NS6detail15normal_iteratorINS9_10device_ptrIiEEEESE_SE_iNS9_4plusIiEE19head_flag_predicateiEE10hipError_tPvRmT2_T3_T4_T5_mT6_T7_P12ihipStream_tbENKUlT_T0_E_clISt17integral_constantIbLb1EESX_IbLb0EEEEDaST_SU_EUlST_E_NS1_11comp_targetILNS1_3genE0ELNS1_11target_archE4294967295ELNS1_3gpuE0ELNS1_3repE0EEENS1_30default_config_static_selectorELNS0_4arch9wavefront6targetE1EEEvT1_,"axG",@progbits,_ZN7rocprim17ROCPRIM_400000_NS6detail17trampoline_kernelINS0_14default_configENS1_27scan_by_key_config_selectorIiiEEZZNS1_16scan_by_key_implILNS1_25lookback_scan_determinismE0ELb0ES3_N6thrust23THRUST_200600_302600_NS6detail15normal_iteratorINS9_10device_ptrIiEEEESE_SE_iNS9_4plusIiEE19head_flag_predicateiEE10hipError_tPvRmT2_T3_T4_T5_mT6_T7_P12ihipStream_tbENKUlT_T0_E_clISt17integral_constantIbLb1EESX_IbLb0EEEEDaST_SU_EUlST_E_NS1_11comp_targetILNS1_3genE0ELNS1_11target_archE4294967295ELNS1_3gpuE0ELNS1_3repE0EEENS1_30default_config_static_selectorELNS0_4arch9wavefront6targetE1EEEvT1_,comdat
	.protected	_ZN7rocprim17ROCPRIM_400000_NS6detail17trampoline_kernelINS0_14default_configENS1_27scan_by_key_config_selectorIiiEEZZNS1_16scan_by_key_implILNS1_25lookback_scan_determinismE0ELb0ES3_N6thrust23THRUST_200600_302600_NS6detail15normal_iteratorINS9_10device_ptrIiEEEESE_SE_iNS9_4plusIiEE19head_flag_predicateiEE10hipError_tPvRmT2_T3_T4_T5_mT6_T7_P12ihipStream_tbENKUlT_T0_E_clISt17integral_constantIbLb1EESX_IbLb0EEEEDaST_SU_EUlST_E_NS1_11comp_targetILNS1_3genE0ELNS1_11target_archE4294967295ELNS1_3gpuE0ELNS1_3repE0EEENS1_30default_config_static_selectorELNS0_4arch9wavefront6targetE1EEEvT1_ ; -- Begin function _ZN7rocprim17ROCPRIM_400000_NS6detail17trampoline_kernelINS0_14default_configENS1_27scan_by_key_config_selectorIiiEEZZNS1_16scan_by_key_implILNS1_25lookback_scan_determinismE0ELb0ES3_N6thrust23THRUST_200600_302600_NS6detail15normal_iteratorINS9_10device_ptrIiEEEESE_SE_iNS9_4plusIiEE19head_flag_predicateiEE10hipError_tPvRmT2_T3_T4_T5_mT6_T7_P12ihipStream_tbENKUlT_T0_E_clISt17integral_constantIbLb1EESX_IbLb0EEEEDaST_SU_EUlST_E_NS1_11comp_targetILNS1_3genE0ELNS1_11target_archE4294967295ELNS1_3gpuE0ELNS1_3repE0EEENS1_30default_config_static_selectorELNS0_4arch9wavefront6targetE1EEEvT1_
	.globl	_ZN7rocprim17ROCPRIM_400000_NS6detail17trampoline_kernelINS0_14default_configENS1_27scan_by_key_config_selectorIiiEEZZNS1_16scan_by_key_implILNS1_25lookback_scan_determinismE0ELb0ES3_N6thrust23THRUST_200600_302600_NS6detail15normal_iteratorINS9_10device_ptrIiEEEESE_SE_iNS9_4plusIiEE19head_flag_predicateiEE10hipError_tPvRmT2_T3_T4_T5_mT6_T7_P12ihipStream_tbENKUlT_T0_E_clISt17integral_constantIbLb1EESX_IbLb0EEEEDaST_SU_EUlST_E_NS1_11comp_targetILNS1_3genE0ELNS1_11target_archE4294967295ELNS1_3gpuE0ELNS1_3repE0EEENS1_30default_config_static_selectorELNS0_4arch9wavefront6targetE1EEEvT1_
	.p2align	8
	.type	_ZN7rocprim17ROCPRIM_400000_NS6detail17trampoline_kernelINS0_14default_configENS1_27scan_by_key_config_selectorIiiEEZZNS1_16scan_by_key_implILNS1_25lookback_scan_determinismE0ELb0ES3_N6thrust23THRUST_200600_302600_NS6detail15normal_iteratorINS9_10device_ptrIiEEEESE_SE_iNS9_4plusIiEE19head_flag_predicateiEE10hipError_tPvRmT2_T3_T4_T5_mT6_T7_P12ihipStream_tbENKUlT_T0_E_clISt17integral_constantIbLb1EESX_IbLb0EEEEDaST_SU_EUlST_E_NS1_11comp_targetILNS1_3genE0ELNS1_11target_archE4294967295ELNS1_3gpuE0ELNS1_3repE0EEENS1_30default_config_static_selectorELNS0_4arch9wavefront6targetE1EEEvT1_,@function
_ZN7rocprim17ROCPRIM_400000_NS6detail17trampoline_kernelINS0_14default_configENS1_27scan_by_key_config_selectorIiiEEZZNS1_16scan_by_key_implILNS1_25lookback_scan_determinismE0ELb0ES3_N6thrust23THRUST_200600_302600_NS6detail15normal_iteratorINS9_10device_ptrIiEEEESE_SE_iNS9_4plusIiEE19head_flag_predicateiEE10hipError_tPvRmT2_T3_T4_T5_mT6_T7_P12ihipStream_tbENKUlT_T0_E_clISt17integral_constantIbLb1EESX_IbLb0EEEEDaST_SU_EUlST_E_NS1_11comp_targetILNS1_3genE0ELNS1_11target_archE4294967295ELNS1_3gpuE0ELNS1_3repE0EEENS1_30default_config_static_selectorELNS0_4arch9wavefront6targetE1EEEvT1_: ; @_ZN7rocprim17ROCPRIM_400000_NS6detail17trampoline_kernelINS0_14default_configENS1_27scan_by_key_config_selectorIiiEEZZNS1_16scan_by_key_implILNS1_25lookback_scan_determinismE0ELb0ES3_N6thrust23THRUST_200600_302600_NS6detail15normal_iteratorINS9_10device_ptrIiEEEESE_SE_iNS9_4plusIiEE19head_flag_predicateiEE10hipError_tPvRmT2_T3_T4_T5_mT6_T7_P12ihipStream_tbENKUlT_T0_E_clISt17integral_constantIbLb1EESX_IbLb0EEEEDaST_SU_EUlST_E_NS1_11comp_targetILNS1_3genE0ELNS1_11target_archE4294967295ELNS1_3gpuE0ELNS1_3repE0EEENS1_30default_config_static_selectorELNS0_4arch9wavefront6targetE1EEEvT1_
; %bb.0:
	.section	.rodata,"a",@progbits
	.p2align	6, 0x0
	.amdhsa_kernel _ZN7rocprim17ROCPRIM_400000_NS6detail17trampoline_kernelINS0_14default_configENS1_27scan_by_key_config_selectorIiiEEZZNS1_16scan_by_key_implILNS1_25lookback_scan_determinismE0ELb0ES3_N6thrust23THRUST_200600_302600_NS6detail15normal_iteratorINS9_10device_ptrIiEEEESE_SE_iNS9_4plusIiEE19head_flag_predicateiEE10hipError_tPvRmT2_T3_T4_T5_mT6_T7_P12ihipStream_tbENKUlT_T0_E_clISt17integral_constantIbLb1EESX_IbLb0EEEEDaST_SU_EUlST_E_NS1_11comp_targetILNS1_3genE0ELNS1_11target_archE4294967295ELNS1_3gpuE0ELNS1_3repE0EEENS1_30default_config_static_selectorELNS0_4arch9wavefront6targetE1EEEvT1_
		.amdhsa_group_segment_fixed_size 0
		.amdhsa_private_segment_fixed_size 0
		.amdhsa_kernarg_size 112
		.amdhsa_user_sgpr_count 6
		.amdhsa_user_sgpr_private_segment_buffer 1
		.amdhsa_user_sgpr_dispatch_ptr 0
		.amdhsa_user_sgpr_queue_ptr 0
		.amdhsa_user_sgpr_kernarg_segment_ptr 1
		.amdhsa_user_sgpr_dispatch_id 0
		.amdhsa_user_sgpr_flat_scratch_init 0
		.amdhsa_user_sgpr_kernarg_preload_length 0
		.amdhsa_user_sgpr_kernarg_preload_offset 0
		.amdhsa_user_sgpr_private_segment_size 0
		.amdhsa_uses_dynamic_stack 0
		.amdhsa_system_sgpr_private_segment_wavefront_offset 0
		.amdhsa_system_sgpr_workgroup_id_x 1
		.amdhsa_system_sgpr_workgroup_id_y 0
		.amdhsa_system_sgpr_workgroup_id_z 0
		.amdhsa_system_sgpr_workgroup_info 0
		.amdhsa_system_vgpr_workitem_id 0
		.amdhsa_next_free_vgpr 1
		.amdhsa_next_free_sgpr 0
		.amdhsa_accum_offset 4
		.amdhsa_reserve_vcc 0
		.amdhsa_reserve_flat_scratch 0
		.amdhsa_float_round_mode_32 0
		.amdhsa_float_round_mode_16_64 0
		.amdhsa_float_denorm_mode_32 3
		.amdhsa_float_denorm_mode_16_64 3
		.amdhsa_dx10_clamp 1
		.amdhsa_ieee_mode 1
		.amdhsa_fp16_overflow 0
		.amdhsa_tg_split 0
		.amdhsa_exception_fp_ieee_invalid_op 0
		.amdhsa_exception_fp_denorm_src 0
		.amdhsa_exception_fp_ieee_div_zero 0
		.amdhsa_exception_fp_ieee_overflow 0
		.amdhsa_exception_fp_ieee_underflow 0
		.amdhsa_exception_fp_ieee_inexact 0
		.amdhsa_exception_int_div_zero 0
	.end_amdhsa_kernel
	.section	.text._ZN7rocprim17ROCPRIM_400000_NS6detail17trampoline_kernelINS0_14default_configENS1_27scan_by_key_config_selectorIiiEEZZNS1_16scan_by_key_implILNS1_25lookback_scan_determinismE0ELb0ES3_N6thrust23THRUST_200600_302600_NS6detail15normal_iteratorINS9_10device_ptrIiEEEESE_SE_iNS9_4plusIiEE19head_flag_predicateiEE10hipError_tPvRmT2_T3_T4_T5_mT6_T7_P12ihipStream_tbENKUlT_T0_E_clISt17integral_constantIbLb1EESX_IbLb0EEEEDaST_SU_EUlST_E_NS1_11comp_targetILNS1_3genE0ELNS1_11target_archE4294967295ELNS1_3gpuE0ELNS1_3repE0EEENS1_30default_config_static_selectorELNS0_4arch9wavefront6targetE1EEEvT1_,"axG",@progbits,_ZN7rocprim17ROCPRIM_400000_NS6detail17trampoline_kernelINS0_14default_configENS1_27scan_by_key_config_selectorIiiEEZZNS1_16scan_by_key_implILNS1_25lookback_scan_determinismE0ELb0ES3_N6thrust23THRUST_200600_302600_NS6detail15normal_iteratorINS9_10device_ptrIiEEEESE_SE_iNS9_4plusIiEE19head_flag_predicateiEE10hipError_tPvRmT2_T3_T4_T5_mT6_T7_P12ihipStream_tbENKUlT_T0_E_clISt17integral_constantIbLb1EESX_IbLb0EEEEDaST_SU_EUlST_E_NS1_11comp_targetILNS1_3genE0ELNS1_11target_archE4294967295ELNS1_3gpuE0ELNS1_3repE0EEENS1_30default_config_static_selectorELNS0_4arch9wavefront6targetE1EEEvT1_,comdat
.Lfunc_end767:
	.size	_ZN7rocprim17ROCPRIM_400000_NS6detail17trampoline_kernelINS0_14default_configENS1_27scan_by_key_config_selectorIiiEEZZNS1_16scan_by_key_implILNS1_25lookback_scan_determinismE0ELb0ES3_N6thrust23THRUST_200600_302600_NS6detail15normal_iteratorINS9_10device_ptrIiEEEESE_SE_iNS9_4plusIiEE19head_flag_predicateiEE10hipError_tPvRmT2_T3_T4_T5_mT6_T7_P12ihipStream_tbENKUlT_T0_E_clISt17integral_constantIbLb1EESX_IbLb0EEEEDaST_SU_EUlST_E_NS1_11comp_targetILNS1_3genE0ELNS1_11target_archE4294967295ELNS1_3gpuE0ELNS1_3repE0EEENS1_30default_config_static_selectorELNS0_4arch9wavefront6targetE1EEEvT1_, .Lfunc_end767-_ZN7rocprim17ROCPRIM_400000_NS6detail17trampoline_kernelINS0_14default_configENS1_27scan_by_key_config_selectorIiiEEZZNS1_16scan_by_key_implILNS1_25lookback_scan_determinismE0ELb0ES3_N6thrust23THRUST_200600_302600_NS6detail15normal_iteratorINS9_10device_ptrIiEEEESE_SE_iNS9_4plusIiEE19head_flag_predicateiEE10hipError_tPvRmT2_T3_T4_T5_mT6_T7_P12ihipStream_tbENKUlT_T0_E_clISt17integral_constantIbLb1EESX_IbLb0EEEEDaST_SU_EUlST_E_NS1_11comp_targetILNS1_3genE0ELNS1_11target_archE4294967295ELNS1_3gpuE0ELNS1_3repE0EEENS1_30default_config_static_selectorELNS0_4arch9wavefront6targetE1EEEvT1_
                                        ; -- End function
	.section	.AMDGPU.csdata,"",@progbits
; Kernel info:
; codeLenInByte = 0
; NumSgprs: 4
; NumVgprs: 0
; NumAgprs: 0
; TotalNumVgprs: 0
; ScratchSize: 0
; MemoryBound: 0
; FloatMode: 240
; IeeeMode: 1
; LDSByteSize: 0 bytes/workgroup (compile time only)
; SGPRBlocks: 0
; VGPRBlocks: 0
; NumSGPRsForWavesPerEU: 4
; NumVGPRsForWavesPerEU: 1
; AccumOffset: 4
; Occupancy: 8
; WaveLimiterHint : 0
; COMPUTE_PGM_RSRC2:SCRATCH_EN: 0
; COMPUTE_PGM_RSRC2:USER_SGPR: 6
; COMPUTE_PGM_RSRC2:TRAP_HANDLER: 0
; COMPUTE_PGM_RSRC2:TGID_X_EN: 1
; COMPUTE_PGM_RSRC2:TGID_Y_EN: 0
; COMPUTE_PGM_RSRC2:TGID_Z_EN: 0
; COMPUTE_PGM_RSRC2:TIDIG_COMP_CNT: 0
; COMPUTE_PGM_RSRC3_GFX90A:ACCUM_OFFSET: 0
; COMPUTE_PGM_RSRC3_GFX90A:TG_SPLIT: 0
	.section	.text._ZN7rocprim17ROCPRIM_400000_NS6detail17trampoline_kernelINS0_14default_configENS1_27scan_by_key_config_selectorIiiEEZZNS1_16scan_by_key_implILNS1_25lookback_scan_determinismE0ELb0ES3_N6thrust23THRUST_200600_302600_NS6detail15normal_iteratorINS9_10device_ptrIiEEEESE_SE_iNS9_4plusIiEE19head_flag_predicateiEE10hipError_tPvRmT2_T3_T4_T5_mT6_T7_P12ihipStream_tbENKUlT_T0_E_clISt17integral_constantIbLb1EESX_IbLb0EEEEDaST_SU_EUlST_E_NS1_11comp_targetILNS1_3genE10ELNS1_11target_archE1201ELNS1_3gpuE5ELNS1_3repE0EEENS1_30default_config_static_selectorELNS0_4arch9wavefront6targetE1EEEvT1_,"axG",@progbits,_ZN7rocprim17ROCPRIM_400000_NS6detail17trampoline_kernelINS0_14default_configENS1_27scan_by_key_config_selectorIiiEEZZNS1_16scan_by_key_implILNS1_25lookback_scan_determinismE0ELb0ES3_N6thrust23THRUST_200600_302600_NS6detail15normal_iteratorINS9_10device_ptrIiEEEESE_SE_iNS9_4plusIiEE19head_flag_predicateiEE10hipError_tPvRmT2_T3_T4_T5_mT6_T7_P12ihipStream_tbENKUlT_T0_E_clISt17integral_constantIbLb1EESX_IbLb0EEEEDaST_SU_EUlST_E_NS1_11comp_targetILNS1_3genE10ELNS1_11target_archE1201ELNS1_3gpuE5ELNS1_3repE0EEENS1_30default_config_static_selectorELNS0_4arch9wavefront6targetE1EEEvT1_,comdat
	.protected	_ZN7rocprim17ROCPRIM_400000_NS6detail17trampoline_kernelINS0_14default_configENS1_27scan_by_key_config_selectorIiiEEZZNS1_16scan_by_key_implILNS1_25lookback_scan_determinismE0ELb0ES3_N6thrust23THRUST_200600_302600_NS6detail15normal_iteratorINS9_10device_ptrIiEEEESE_SE_iNS9_4plusIiEE19head_flag_predicateiEE10hipError_tPvRmT2_T3_T4_T5_mT6_T7_P12ihipStream_tbENKUlT_T0_E_clISt17integral_constantIbLb1EESX_IbLb0EEEEDaST_SU_EUlST_E_NS1_11comp_targetILNS1_3genE10ELNS1_11target_archE1201ELNS1_3gpuE5ELNS1_3repE0EEENS1_30default_config_static_selectorELNS0_4arch9wavefront6targetE1EEEvT1_ ; -- Begin function _ZN7rocprim17ROCPRIM_400000_NS6detail17trampoline_kernelINS0_14default_configENS1_27scan_by_key_config_selectorIiiEEZZNS1_16scan_by_key_implILNS1_25lookback_scan_determinismE0ELb0ES3_N6thrust23THRUST_200600_302600_NS6detail15normal_iteratorINS9_10device_ptrIiEEEESE_SE_iNS9_4plusIiEE19head_flag_predicateiEE10hipError_tPvRmT2_T3_T4_T5_mT6_T7_P12ihipStream_tbENKUlT_T0_E_clISt17integral_constantIbLb1EESX_IbLb0EEEEDaST_SU_EUlST_E_NS1_11comp_targetILNS1_3genE10ELNS1_11target_archE1201ELNS1_3gpuE5ELNS1_3repE0EEENS1_30default_config_static_selectorELNS0_4arch9wavefront6targetE1EEEvT1_
	.globl	_ZN7rocprim17ROCPRIM_400000_NS6detail17trampoline_kernelINS0_14default_configENS1_27scan_by_key_config_selectorIiiEEZZNS1_16scan_by_key_implILNS1_25lookback_scan_determinismE0ELb0ES3_N6thrust23THRUST_200600_302600_NS6detail15normal_iteratorINS9_10device_ptrIiEEEESE_SE_iNS9_4plusIiEE19head_flag_predicateiEE10hipError_tPvRmT2_T3_T4_T5_mT6_T7_P12ihipStream_tbENKUlT_T0_E_clISt17integral_constantIbLb1EESX_IbLb0EEEEDaST_SU_EUlST_E_NS1_11comp_targetILNS1_3genE10ELNS1_11target_archE1201ELNS1_3gpuE5ELNS1_3repE0EEENS1_30default_config_static_selectorELNS0_4arch9wavefront6targetE1EEEvT1_
	.p2align	8
	.type	_ZN7rocprim17ROCPRIM_400000_NS6detail17trampoline_kernelINS0_14default_configENS1_27scan_by_key_config_selectorIiiEEZZNS1_16scan_by_key_implILNS1_25lookback_scan_determinismE0ELb0ES3_N6thrust23THRUST_200600_302600_NS6detail15normal_iteratorINS9_10device_ptrIiEEEESE_SE_iNS9_4plusIiEE19head_flag_predicateiEE10hipError_tPvRmT2_T3_T4_T5_mT6_T7_P12ihipStream_tbENKUlT_T0_E_clISt17integral_constantIbLb1EESX_IbLb0EEEEDaST_SU_EUlST_E_NS1_11comp_targetILNS1_3genE10ELNS1_11target_archE1201ELNS1_3gpuE5ELNS1_3repE0EEENS1_30default_config_static_selectorELNS0_4arch9wavefront6targetE1EEEvT1_,@function
_ZN7rocprim17ROCPRIM_400000_NS6detail17trampoline_kernelINS0_14default_configENS1_27scan_by_key_config_selectorIiiEEZZNS1_16scan_by_key_implILNS1_25lookback_scan_determinismE0ELb0ES3_N6thrust23THRUST_200600_302600_NS6detail15normal_iteratorINS9_10device_ptrIiEEEESE_SE_iNS9_4plusIiEE19head_flag_predicateiEE10hipError_tPvRmT2_T3_T4_T5_mT6_T7_P12ihipStream_tbENKUlT_T0_E_clISt17integral_constantIbLb1EESX_IbLb0EEEEDaST_SU_EUlST_E_NS1_11comp_targetILNS1_3genE10ELNS1_11target_archE1201ELNS1_3gpuE5ELNS1_3repE0EEENS1_30default_config_static_selectorELNS0_4arch9wavefront6targetE1EEEvT1_: ; @_ZN7rocprim17ROCPRIM_400000_NS6detail17trampoline_kernelINS0_14default_configENS1_27scan_by_key_config_selectorIiiEEZZNS1_16scan_by_key_implILNS1_25lookback_scan_determinismE0ELb0ES3_N6thrust23THRUST_200600_302600_NS6detail15normal_iteratorINS9_10device_ptrIiEEEESE_SE_iNS9_4plusIiEE19head_flag_predicateiEE10hipError_tPvRmT2_T3_T4_T5_mT6_T7_P12ihipStream_tbENKUlT_T0_E_clISt17integral_constantIbLb1EESX_IbLb0EEEEDaST_SU_EUlST_E_NS1_11comp_targetILNS1_3genE10ELNS1_11target_archE1201ELNS1_3gpuE5ELNS1_3repE0EEENS1_30default_config_static_selectorELNS0_4arch9wavefront6targetE1EEEvT1_
; %bb.0:
	.section	.rodata,"a",@progbits
	.p2align	6, 0x0
	.amdhsa_kernel _ZN7rocprim17ROCPRIM_400000_NS6detail17trampoline_kernelINS0_14default_configENS1_27scan_by_key_config_selectorIiiEEZZNS1_16scan_by_key_implILNS1_25lookback_scan_determinismE0ELb0ES3_N6thrust23THRUST_200600_302600_NS6detail15normal_iteratorINS9_10device_ptrIiEEEESE_SE_iNS9_4plusIiEE19head_flag_predicateiEE10hipError_tPvRmT2_T3_T4_T5_mT6_T7_P12ihipStream_tbENKUlT_T0_E_clISt17integral_constantIbLb1EESX_IbLb0EEEEDaST_SU_EUlST_E_NS1_11comp_targetILNS1_3genE10ELNS1_11target_archE1201ELNS1_3gpuE5ELNS1_3repE0EEENS1_30default_config_static_selectorELNS0_4arch9wavefront6targetE1EEEvT1_
		.amdhsa_group_segment_fixed_size 0
		.amdhsa_private_segment_fixed_size 0
		.amdhsa_kernarg_size 112
		.amdhsa_user_sgpr_count 6
		.amdhsa_user_sgpr_private_segment_buffer 1
		.amdhsa_user_sgpr_dispatch_ptr 0
		.amdhsa_user_sgpr_queue_ptr 0
		.amdhsa_user_sgpr_kernarg_segment_ptr 1
		.amdhsa_user_sgpr_dispatch_id 0
		.amdhsa_user_sgpr_flat_scratch_init 0
		.amdhsa_user_sgpr_kernarg_preload_length 0
		.amdhsa_user_sgpr_kernarg_preload_offset 0
		.amdhsa_user_sgpr_private_segment_size 0
		.amdhsa_uses_dynamic_stack 0
		.amdhsa_system_sgpr_private_segment_wavefront_offset 0
		.amdhsa_system_sgpr_workgroup_id_x 1
		.amdhsa_system_sgpr_workgroup_id_y 0
		.amdhsa_system_sgpr_workgroup_id_z 0
		.amdhsa_system_sgpr_workgroup_info 0
		.amdhsa_system_vgpr_workitem_id 0
		.amdhsa_next_free_vgpr 1
		.amdhsa_next_free_sgpr 0
		.amdhsa_accum_offset 4
		.amdhsa_reserve_vcc 0
		.amdhsa_reserve_flat_scratch 0
		.amdhsa_float_round_mode_32 0
		.amdhsa_float_round_mode_16_64 0
		.amdhsa_float_denorm_mode_32 3
		.amdhsa_float_denorm_mode_16_64 3
		.amdhsa_dx10_clamp 1
		.amdhsa_ieee_mode 1
		.amdhsa_fp16_overflow 0
		.amdhsa_tg_split 0
		.amdhsa_exception_fp_ieee_invalid_op 0
		.amdhsa_exception_fp_denorm_src 0
		.amdhsa_exception_fp_ieee_div_zero 0
		.amdhsa_exception_fp_ieee_overflow 0
		.amdhsa_exception_fp_ieee_underflow 0
		.amdhsa_exception_fp_ieee_inexact 0
		.amdhsa_exception_int_div_zero 0
	.end_amdhsa_kernel
	.section	.text._ZN7rocprim17ROCPRIM_400000_NS6detail17trampoline_kernelINS0_14default_configENS1_27scan_by_key_config_selectorIiiEEZZNS1_16scan_by_key_implILNS1_25lookback_scan_determinismE0ELb0ES3_N6thrust23THRUST_200600_302600_NS6detail15normal_iteratorINS9_10device_ptrIiEEEESE_SE_iNS9_4plusIiEE19head_flag_predicateiEE10hipError_tPvRmT2_T3_T4_T5_mT6_T7_P12ihipStream_tbENKUlT_T0_E_clISt17integral_constantIbLb1EESX_IbLb0EEEEDaST_SU_EUlST_E_NS1_11comp_targetILNS1_3genE10ELNS1_11target_archE1201ELNS1_3gpuE5ELNS1_3repE0EEENS1_30default_config_static_selectorELNS0_4arch9wavefront6targetE1EEEvT1_,"axG",@progbits,_ZN7rocprim17ROCPRIM_400000_NS6detail17trampoline_kernelINS0_14default_configENS1_27scan_by_key_config_selectorIiiEEZZNS1_16scan_by_key_implILNS1_25lookback_scan_determinismE0ELb0ES3_N6thrust23THRUST_200600_302600_NS6detail15normal_iteratorINS9_10device_ptrIiEEEESE_SE_iNS9_4plusIiEE19head_flag_predicateiEE10hipError_tPvRmT2_T3_T4_T5_mT6_T7_P12ihipStream_tbENKUlT_T0_E_clISt17integral_constantIbLb1EESX_IbLb0EEEEDaST_SU_EUlST_E_NS1_11comp_targetILNS1_3genE10ELNS1_11target_archE1201ELNS1_3gpuE5ELNS1_3repE0EEENS1_30default_config_static_selectorELNS0_4arch9wavefront6targetE1EEEvT1_,comdat
.Lfunc_end768:
	.size	_ZN7rocprim17ROCPRIM_400000_NS6detail17trampoline_kernelINS0_14default_configENS1_27scan_by_key_config_selectorIiiEEZZNS1_16scan_by_key_implILNS1_25lookback_scan_determinismE0ELb0ES3_N6thrust23THRUST_200600_302600_NS6detail15normal_iteratorINS9_10device_ptrIiEEEESE_SE_iNS9_4plusIiEE19head_flag_predicateiEE10hipError_tPvRmT2_T3_T4_T5_mT6_T7_P12ihipStream_tbENKUlT_T0_E_clISt17integral_constantIbLb1EESX_IbLb0EEEEDaST_SU_EUlST_E_NS1_11comp_targetILNS1_3genE10ELNS1_11target_archE1201ELNS1_3gpuE5ELNS1_3repE0EEENS1_30default_config_static_selectorELNS0_4arch9wavefront6targetE1EEEvT1_, .Lfunc_end768-_ZN7rocprim17ROCPRIM_400000_NS6detail17trampoline_kernelINS0_14default_configENS1_27scan_by_key_config_selectorIiiEEZZNS1_16scan_by_key_implILNS1_25lookback_scan_determinismE0ELb0ES3_N6thrust23THRUST_200600_302600_NS6detail15normal_iteratorINS9_10device_ptrIiEEEESE_SE_iNS9_4plusIiEE19head_flag_predicateiEE10hipError_tPvRmT2_T3_T4_T5_mT6_T7_P12ihipStream_tbENKUlT_T0_E_clISt17integral_constantIbLb1EESX_IbLb0EEEEDaST_SU_EUlST_E_NS1_11comp_targetILNS1_3genE10ELNS1_11target_archE1201ELNS1_3gpuE5ELNS1_3repE0EEENS1_30default_config_static_selectorELNS0_4arch9wavefront6targetE1EEEvT1_
                                        ; -- End function
	.section	.AMDGPU.csdata,"",@progbits
; Kernel info:
; codeLenInByte = 0
; NumSgprs: 4
; NumVgprs: 0
; NumAgprs: 0
; TotalNumVgprs: 0
; ScratchSize: 0
; MemoryBound: 0
; FloatMode: 240
; IeeeMode: 1
; LDSByteSize: 0 bytes/workgroup (compile time only)
; SGPRBlocks: 0
; VGPRBlocks: 0
; NumSGPRsForWavesPerEU: 4
; NumVGPRsForWavesPerEU: 1
; AccumOffset: 4
; Occupancy: 8
; WaveLimiterHint : 0
; COMPUTE_PGM_RSRC2:SCRATCH_EN: 0
; COMPUTE_PGM_RSRC2:USER_SGPR: 6
; COMPUTE_PGM_RSRC2:TRAP_HANDLER: 0
; COMPUTE_PGM_RSRC2:TGID_X_EN: 1
; COMPUTE_PGM_RSRC2:TGID_Y_EN: 0
; COMPUTE_PGM_RSRC2:TGID_Z_EN: 0
; COMPUTE_PGM_RSRC2:TIDIG_COMP_CNT: 0
; COMPUTE_PGM_RSRC3_GFX90A:ACCUM_OFFSET: 0
; COMPUTE_PGM_RSRC3_GFX90A:TG_SPLIT: 0
	.section	.text._ZN7rocprim17ROCPRIM_400000_NS6detail17trampoline_kernelINS0_14default_configENS1_27scan_by_key_config_selectorIiiEEZZNS1_16scan_by_key_implILNS1_25lookback_scan_determinismE0ELb0ES3_N6thrust23THRUST_200600_302600_NS6detail15normal_iteratorINS9_10device_ptrIiEEEESE_SE_iNS9_4plusIiEE19head_flag_predicateiEE10hipError_tPvRmT2_T3_T4_T5_mT6_T7_P12ihipStream_tbENKUlT_T0_E_clISt17integral_constantIbLb1EESX_IbLb0EEEEDaST_SU_EUlST_E_NS1_11comp_targetILNS1_3genE5ELNS1_11target_archE942ELNS1_3gpuE9ELNS1_3repE0EEENS1_30default_config_static_selectorELNS0_4arch9wavefront6targetE1EEEvT1_,"axG",@progbits,_ZN7rocprim17ROCPRIM_400000_NS6detail17trampoline_kernelINS0_14default_configENS1_27scan_by_key_config_selectorIiiEEZZNS1_16scan_by_key_implILNS1_25lookback_scan_determinismE0ELb0ES3_N6thrust23THRUST_200600_302600_NS6detail15normal_iteratorINS9_10device_ptrIiEEEESE_SE_iNS9_4plusIiEE19head_flag_predicateiEE10hipError_tPvRmT2_T3_T4_T5_mT6_T7_P12ihipStream_tbENKUlT_T0_E_clISt17integral_constantIbLb1EESX_IbLb0EEEEDaST_SU_EUlST_E_NS1_11comp_targetILNS1_3genE5ELNS1_11target_archE942ELNS1_3gpuE9ELNS1_3repE0EEENS1_30default_config_static_selectorELNS0_4arch9wavefront6targetE1EEEvT1_,comdat
	.protected	_ZN7rocprim17ROCPRIM_400000_NS6detail17trampoline_kernelINS0_14default_configENS1_27scan_by_key_config_selectorIiiEEZZNS1_16scan_by_key_implILNS1_25lookback_scan_determinismE0ELb0ES3_N6thrust23THRUST_200600_302600_NS6detail15normal_iteratorINS9_10device_ptrIiEEEESE_SE_iNS9_4plusIiEE19head_flag_predicateiEE10hipError_tPvRmT2_T3_T4_T5_mT6_T7_P12ihipStream_tbENKUlT_T0_E_clISt17integral_constantIbLb1EESX_IbLb0EEEEDaST_SU_EUlST_E_NS1_11comp_targetILNS1_3genE5ELNS1_11target_archE942ELNS1_3gpuE9ELNS1_3repE0EEENS1_30default_config_static_selectorELNS0_4arch9wavefront6targetE1EEEvT1_ ; -- Begin function _ZN7rocprim17ROCPRIM_400000_NS6detail17trampoline_kernelINS0_14default_configENS1_27scan_by_key_config_selectorIiiEEZZNS1_16scan_by_key_implILNS1_25lookback_scan_determinismE0ELb0ES3_N6thrust23THRUST_200600_302600_NS6detail15normal_iteratorINS9_10device_ptrIiEEEESE_SE_iNS9_4plusIiEE19head_flag_predicateiEE10hipError_tPvRmT2_T3_T4_T5_mT6_T7_P12ihipStream_tbENKUlT_T0_E_clISt17integral_constantIbLb1EESX_IbLb0EEEEDaST_SU_EUlST_E_NS1_11comp_targetILNS1_3genE5ELNS1_11target_archE942ELNS1_3gpuE9ELNS1_3repE0EEENS1_30default_config_static_selectorELNS0_4arch9wavefront6targetE1EEEvT1_
	.globl	_ZN7rocprim17ROCPRIM_400000_NS6detail17trampoline_kernelINS0_14default_configENS1_27scan_by_key_config_selectorIiiEEZZNS1_16scan_by_key_implILNS1_25lookback_scan_determinismE0ELb0ES3_N6thrust23THRUST_200600_302600_NS6detail15normal_iteratorINS9_10device_ptrIiEEEESE_SE_iNS9_4plusIiEE19head_flag_predicateiEE10hipError_tPvRmT2_T3_T4_T5_mT6_T7_P12ihipStream_tbENKUlT_T0_E_clISt17integral_constantIbLb1EESX_IbLb0EEEEDaST_SU_EUlST_E_NS1_11comp_targetILNS1_3genE5ELNS1_11target_archE942ELNS1_3gpuE9ELNS1_3repE0EEENS1_30default_config_static_selectorELNS0_4arch9wavefront6targetE1EEEvT1_
	.p2align	8
	.type	_ZN7rocprim17ROCPRIM_400000_NS6detail17trampoline_kernelINS0_14default_configENS1_27scan_by_key_config_selectorIiiEEZZNS1_16scan_by_key_implILNS1_25lookback_scan_determinismE0ELb0ES3_N6thrust23THRUST_200600_302600_NS6detail15normal_iteratorINS9_10device_ptrIiEEEESE_SE_iNS9_4plusIiEE19head_flag_predicateiEE10hipError_tPvRmT2_T3_T4_T5_mT6_T7_P12ihipStream_tbENKUlT_T0_E_clISt17integral_constantIbLb1EESX_IbLb0EEEEDaST_SU_EUlST_E_NS1_11comp_targetILNS1_3genE5ELNS1_11target_archE942ELNS1_3gpuE9ELNS1_3repE0EEENS1_30default_config_static_selectorELNS0_4arch9wavefront6targetE1EEEvT1_,@function
_ZN7rocprim17ROCPRIM_400000_NS6detail17trampoline_kernelINS0_14default_configENS1_27scan_by_key_config_selectorIiiEEZZNS1_16scan_by_key_implILNS1_25lookback_scan_determinismE0ELb0ES3_N6thrust23THRUST_200600_302600_NS6detail15normal_iteratorINS9_10device_ptrIiEEEESE_SE_iNS9_4plusIiEE19head_flag_predicateiEE10hipError_tPvRmT2_T3_T4_T5_mT6_T7_P12ihipStream_tbENKUlT_T0_E_clISt17integral_constantIbLb1EESX_IbLb0EEEEDaST_SU_EUlST_E_NS1_11comp_targetILNS1_3genE5ELNS1_11target_archE942ELNS1_3gpuE9ELNS1_3repE0EEENS1_30default_config_static_selectorELNS0_4arch9wavefront6targetE1EEEvT1_: ; @_ZN7rocprim17ROCPRIM_400000_NS6detail17trampoline_kernelINS0_14default_configENS1_27scan_by_key_config_selectorIiiEEZZNS1_16scan_by_key_implILNS1_25lookback_scan_determinismE0ELb0ES3_N6thrust23THRUST_200600_302600_NS6detail15normal_iteratorINS9_10device_ptrIiEEEESE_SE_iNS9_4plusIiEE19head_flag_predicateiEE10hipError_tPvRmT2_T3_T4_T5_mT6_T7_P12ihipStream_tbENKUlT_T0_E_clISt17integral_constantIbLb1EESX_IbLb0EEEEDaST_SU_EUlST_E_NS1_11comp_targetILNS1_3genE5ELNS1_11target_archE942ELNS1_3gpuE9ELNS1_3repE0EEENS1_30default_config_static_selectorELNS0_4arch9wavefront6targetE1EEEvT1_
; %bb.0:
	.section	.rodata,"a",@progbits
	.p2align	6, 0x0
	.amdhsa_kernel _ZN7rocprim17ROCPRIM_400000_NS6detail17trampoline_kernelINS0_14default_configENS1_27scan_by_key_config_selectorIiiEEZZNS1_16scan_by_key_implILNS1_25lookback_scan_determinismE0ELb0ES3_N6thrust23THRUST_200600_302600_NS6detail15normal_iteratorINS9_10device_ptrIiEEEESE_SE_iNS9_4plusIiEE19head_flag_predicateiEE10hipError_tPvRmT2_T3_T4_T5_mT6_T7_P12ihipStream_tbENKUlT_T0_E_clISt17integral_constantIbLb1EESX_IbLb0EEEEDaST_SU_EUlST_E_NS1_11comp_targetILNS1_3genE5ELNS1_11target_archE942ELNS1_3gpuE9ELNS1_3repE0EEENS1_30default_config_static_selectorELNS0_4arch9wavefront6targetE1EEEvT1_
		.amdhsa_group_segment_fixed_size 0
		.amdhsa_private_segment_fixed_size 0
		.amdhsa_kernarg_size 112
		.amdhsa_user_sgpr_count 6
		.amdhsa_user_sgpr_private_segment_buffer 1
		.amdhsa_user_sgpr_dispatch_ptr 0
		.amdhsa_user_sgpr_queue_ptr 0
		.amdhsa_user_sgpr_kernarg_segment_ptr 1
		.amdhsa_user_sgpr_dispatch_id 0
		.amdhsa_user_sgpr_flat_scratch_init 0
		.amdhsa_user_sgpr_kernarg_preload_length 0
		.amdhsa_user_sgpr_kernarg_preload_offset 0
		.amdhsa_user_sgpr_private_segment_size 0
		.amdhsa_uses_dynamic_stack 0
		.amdhsa_system_sgpr_private_segment_wavefront_offset 0
		.amdhsa_system_sgpr_workgroup_id_x 1
		.amdhsa_system_sgpr_workgroup_id_y 0
		.amdhsa_system_sgpr_workgroup_id_z 0
		.amdhsa_system_sgpr_workgroup_info 0
		.amdhsa_system_vgpr_workitem_id 0
		.amdhsa_next_free_vgpr 1
		.amdhsa_next_free_sgpr 0
		.amdhsa_accum_offset 4
		.amdhsa_reserve_vcc 0
		.amdhsa_reserve_flat_scratch 0
		.amdhsa_float_round_mode_32 0
		.amdhsa_float_round_mode_16_64 0
		.amdhsa_float_denorm_mode_32 3
		.amdhsa_float_denorm_mode_16_64 3
		.amdhsa_dx10_clamp 1
		.amdhsa_ieee_mode 1
		.amdhsa_fp16_overflow 0
		.amdhsa_tg_split 0
		.amdhsa_exception_fp_ieee_invalid_op 0
		.amdhsa_exception_fp_denorm_src 0
		.amdhsa_exception_fp_ieee_div_zero 0
		.amdhsa_exception_fp_ieee_overflow 0
		.amdhsa_exception_fp_ieee_underflow 0
		.amdhsa_exception_fp_ieee_inexact 0
		.amdhsa_exception_int_div_zero 0
	.end_amdhsa_kernel
	.section	.text._ZN7rocprim17ROCPRIM_400000_NS6detail17trampoline_kernelINS0_14default_configENS1_27scan_by_key_config_selectorIiiEEZZNS1_16scan_by_key_implILNS1_25lookback_scan_determinismE0ELb0ES3_N6thrust23THRUST_200600_302600_NS6detail15normal_iteratorINS9_10device_ptrIiEEEESE_SE_iNS9_4plusIiEE19head_flag_predicateiEE10hipError_tPvRmT2_T3_T4_T5_mT6_T7_P12ihipStream_tbENKUlT_T0_E_clISt17integral_constantIbLb1EESX_IbLb0EEEEDaST_SU_EUlST_E_NS1_11comp_targetILNS1_3genE5ELNS1_11target_archE942ELNS1_3gpuE9ELNS1_3repE0EEENS1_30default_config_static_selectorELNS0_4arch9wavefront6targetE1EEEvT1_,"axG",@progbits,_ZN7rocprim17ROCPRIM_400000_NS6detail17trampoline_kernelINS0_14default_configENS1_27scan_by_key_config_selectorIiiEEZZNS1_16scan_by_key_implILNS1_25lookback_scan_determinismE0ELb0ES3_N6thrust23THRUST_200600_302600_NS6detail15normal_iteratorINS9_10device_ptrIiEEEESE_SE_iNS9_4plusIiEE19head_flag_predicateiEE10hipError_tPvRmT2_T3_T4_T5_mT6_T7_P12ihipStream_tbENKUlT_T0_E_clISt17integral_constantIbLb1EESX_IbLb0EEEEDaST_SU_EUlST_E_NS1_11comp_targetILNS1_3genE5ELNS1_11target_archE942ELNS1_3gpuE9ELNS1_3repE0EEENS1_30default_config_static_selectorELNS0_4arch9wavefront6targetE1EEEvT1_,comdat
.Lfunc_end769:
	.size	_ZN7rocprim17ROCPRIM_400000_NS6detail17trampoline_kernelINS0_14default_configENS1_27scan_by_key_config_selectorIiiEEZZNS1_16scan_by_key_implILNS1_25lookback_scan_determinismE0ELb0ES3_N6thrust23THRUST_200600_302600_NS6detail15normal_iteratorINS9_10device_ptrIiEEEESE_SE_iNS9_4plusIiEE19head_flag_predicateiEE10hipError_tPvRmT2_T3_T4_T5_mT6_T7_P12ihipStream_tbENKUlT_T0_E_clISt17integral_constantIbLb1EESX_IbLb0EEEEDaST_SU_EUlST_E_NS1_11comp_targetILNS1_3genE5ELNS1_11target_archE942ELNS1_3gpuE9ELNS1_3repE0EEENS1_30default_config_static_selectorELNS0_4arch9wavefront6targetE1EEEvT1_, .Lfunc_end769-_ZN7rocprim17ROCPRIM_400000_NS6detail17trampoline_kernelINS0_14default_configENS1_27scan_by_key_config_selectorIiiEEZZNS1_16scan_by_key_implILNS1_25lookback_scan_determinismE0ELb0ES3_N6thrust23THRUST_200600_302600_NS6detail15normal_iteratorINS9_10device_ptrIiEEEESE_SE_iNS9_4plusIiEE19head_flag_predicateiEE10hipError_tPvRmT2_T3_T4_T5_mT6_T7_P12ihipStream_tbENKUlT_T0_E_clISt17integral_constantIbLb1EESX_IbLb0EEEEDaST_SU_EUlST_E_NS1_11comp_targetILNS1_3genE5ELNS1_11target_archE942ELNS1_3gpuE9ELNS1_3repE0EEENS1_30default_config_static_selectorELNS0_4arch9wavefront6targetE1EEEvT1_
                                        ; -- End function
	.section	.AMDGPU.csdata,"",@progbits
; Kernel info:
; codeLenInByte = 0
; NumSgprs: 4
; NumVgprs: 0
; NumAgprs: 0
; TotalNumVgprs: 0
; ScratchSize: 0
; MemoryBound: 0
; FloatMode: 240
; IeeeMode: 1
; LDSByteSize: 0 bytes/workgroup (compile time only)
; SGPRBlocks: 0
; VGPRBlocks: 0
; NumSGPRsForWavesPerEU: 4
; NumVGPRsForWavesPerEU: 1
; AccumOffset: 4
; Occupancy: 8
; WaveLimiterHint : 0
; COMPUTE_PGM_RSRC2:SCRATCH_EN: 0
; COMPUTE_PGM_RSRC2:USER_SGPR: 6
; COMPUTE_PGM_RSRC2:TRAP_HANDLER: 0
; COMPUTE_PGM_RSRC2:TGID_X_EN: 1
; COMPUTE_PGM_RSRC2:TGID_Y_EN: 0
; COMPUTE_PGM_RSRC2:TGID_Z_EN: 0
; COMPUTE_PGM_RSRC2:TIDIG_COMP_CNT: 0
; COMPUTE_PGM_RSRC3_GFX90A:ACCUM_OFFSET: 0
; COMPUTE_PGM_RSRC3_GFX90A:TG_SPLIT: 0
	.section	.text._ZN7rocprim17ROCPRIM_400000_NS6detail17trampoline_kernelINS0_14default_configENS1_27scan_by_key_config_selectorIiiEEZZNS1_16scan_by_key_implILNS1_25lookback_scan_determinismE0ELb0ES3_N6thrust23THRUST_200600_302600_NS6detail15normal_iteratorINS9_10device_ptrIiEEEESE_SE_iNS9_4plusIiEE19head_flag_predicateiEE10hipError_tPvRmT2_T3_T4_T5_mT6_T7_P12ihipStream_tbENKUlT_T0_E_clISt17integral_constantIbLb1EESX_IbLb0EEEEDaST_SU_EUlST_E_NS1_11comp_targetILNS1_3genE4ELNS1_11target_archE910ELNS1_3gpuE8ELNS1_3repE0EEENS1_30default_config_static_selectorELNS0_4arch9wavefront6targetE1EEEvT1_,"axG",@progbits,_ZN7rocprim17ROCPRIM_400000_NS6detail17trampoline_kernelINS0_14default_configENS1_27scan_by_key_config_selectorIiiEEZZNS1_16scan_by_key_implILNS1_25lookback_scan_determinismE0ELb0ES3_N6thrust23THRUST_200600_302600_NS6detail15normal_iteratorINS9_10device_ptrIiEEEESE_SE_iNS9_4plusIiEE19head_flag_predicateiEE10hipError_tPvRmT2_T3_T4_T5_mT6_T7_P12ihipStream_tbENKUlT_T0_E_clISt17integral_constantIbLb1EESX_IbLb0EEEEDaST_SU_EUlST_E_NS1_11comp_targetILNS1_3genE4ELNS1_11target_archE910ELNS1_3gpuE8ELNS1_3repE0EEENS1_30default_config_static_selectorELNS0_4arch9wavefront6targetE1EEEvT1_,comdat
	.protected	_ZN7rocprim17ROCPRIM_400000_NS6detail17trampoline_kernelINS0_14default_configENS1_27scan_by_key_config_selectorIiiEEZZNS1_16scan_by_key_implILNS1_25lookback_scan_determinismE0ELb0ES3_N6thrust23THRUST_200600_302600_NS6detail15normal_iteratorINS9_10device_ptrIiEEEESE_SE_iNS9_4plusIiEE19head_flag_predicateiEE10hipError_tPvRmT2_T3_T4_T5_mT6_T7_P12ihipStream_tbENKUlT_T0_E_clISt17integral_constantIbLb1EESX_IbLb0EEEEDaST_SU_EUlST_E_NS1_11comp_targetILNS1_3genE4ELNS1_11target_archE910ELNS1_3gpuE8ELNS1_3repE0EEENS1_30default_config_static_selectorELNS0_4arch9wavefront6targetE1EEEvT1_ ; -- Begin function _ZN7rocprim17ROCPRIM_400000_NS6detail17trampoline_kernelINS0_14default_configENS1_27scan_by_key_config_selectorIiiEEZZNS1_16scan_by_key_implILNS1_25lookback_scan_determinismE0ELb0ES3_N6thrust23THRUST_200600_302600_NS6detail15normal_iteratorINS9_10device_ptrIiEEEESE_SE_iNS9_4plusIiEE19head_flag_predicateiEE10hipError_tPvRmT2_T3_T4_T5_mT6_T7_P12ihipStream_tbENKUlT_T0_E_clISt17integral_constantIbLb1EESX_IbLb0EEEEDaST_SU_EUlST_E_NS1_11comp_targetILNS1_3genE4ELNS1_11target_archE910ELNS1_3gpuE8ELNS1_3repE0EEENS1_30default_config_static_selectorELNS0_4arch9wavefront6targetE1EEEvT1_
	.globl	_ZN7rocprim17ROCPRIM_400000_NS6detail17trampoline_kernelINS0_14default_configENS1_27scan_by_key_config_selectorIiiEEZZNS1_16scan_by_key_implILNS1_25lookback_scan_determinismE0ELb0ES3_N6thrust23THRUST_200600_302600_NS6detail15normal_iteratorINS9_10device_ptrIiEEEESE_SE_iNS9_4plusIiEE19head_flag_predicateiEE10hipError_tPvRmT2_T3_T4_T5_mT6_T7_P12ihipStream_tbENKUlT_T0_E_clISt17integral_constantIbLb1EESX_IbLb0EEEEDaST_SU_EUlST_E_NS1_11comp_targetILNS1_3genE4ELNS1_11target_archE910ELNS1_3gpuE8ELNS1_3repE0EEENS1_30default_config_static_selectorELNS0_4arch9wavefront6targetE1EEEvT1_
	.p2align	8
	.type	_ZN7rocprim17ROCPRIM_400000_NS6detail17trampoline_kernelINS0_14default_configENS1_27scan_by_key_config_selectorIiiEEZZNS1_16scan_by_key_implILNS1_25lookback_scan_determinismE0ELb0ES3_N6thrust23THRUST_200600_302600_NS6detail15normal_iteratorINS9_10device_ptrIiEEEESE_SE_iNS9_4plusIiEE19head_flag_predicateiEE10hipError_tPvRmT2_T3_T4_T5_mT6_T7_P12ihipStream_tbENKUlT_T0_E_clISt17integral_constantIbLb1EESX_IbLb0EEEEDaST_SU_EUlST_E_NS1_11comp_targetILNS1_3genE4ELNS1_11target_archE910ELNS1_3gpuE8ELNS1_3repE0EEENS1_30default_config_static_selectorELNS0_4arch9wavefront6targetE1EEEvT1_,@function
_ZN7rocprim17ROCPRIM_400000_NS6detail17trampoline_kernelINS0_14default_configENS1_27scan_by_key_config_selectorIiiEEZZNS1_16scan_by_key_implILNS1_25lookback_scan_determinismE0ELb0ES3_N6thrust23THRUST_200600_302600_NS6detail15normal_iteratorINS9_10device_ptrIiEEEESE_SE_iNS9_4plusIiEE19head_flag_predicateiEE10hipError_tPvRmT2_T3_T4_T5_mT6_T7_P12ihipStream_tbENKUlT_T0_E_clISt17integral_constantIbLb1EESX_IbLb0EEEEDaST_SU_EUlST_E_NS1_11comp_targetILNS1_3genE4ELNS1_11target_archE910ELNS1_3gpuE8ELNS1_3repE0EEENS1_30default_config_static_selectorELNS0_4arch9wavefront6targetE1EEEvT1_: ; @_ZN7rocprim17ROCPRIM_400000_NS6detail17trampoline_kernelINS0_14default_configENS1_27scan_by_key_config_selectorIiiEEZZNS1_16scan_by_key_implILNS1_25lookback_scan_determinismE0ELb0ES3_N6thrust23THRUST_200600_302600_NS6detail15normal_iteratorINS9_10device_ptrIiEEEESE_SE_iNS9_4plusIiEE19head_flag_predicateiEE10hipError_tPvRmT2_T3_T4_T5_mT6_T7_P12ihipStream_tbENKUlT_T0_E_clISt17integral_constantIbLb1EESX_IbLb0EEEEDaST_SU_EUlST_E_NS1_11comp_targetILNS1_3genE4ELNS1_11target_archE910ELNS1_3gpuE8ELNS1_3repE0EEENS1_30default_config_static_selectorELNS0_4arch9wavefront6targetE1EEEvT1_
; %bb.0:
	s_load_dwordx8 s[36:43], s[4:5], 0x0
	s_load_dwordx4 s[44:47], s[4:5], 0x28
	s_load_dwordx2 s[52:53], s[4:5], 0x38
	s_load_dword s0, s[4:5], 0x40
	s_load_dwordx4 s[48:51], s[4:5], 0x48
	s_waitcnt lgkmcnt(0)
	s_lshl_b64 s[38:39], s[38:39], 2
	s_add_u32 s2, s36, s38
	s_addc_u32 s3, s37, s39
	s_add_u32 s4, s40, s38
	s_mul_i32 s1, s53, s0
	s_mul_hi_u32 s7, s52, s0
	s_addc_u32 s5, s41, s39
	s_add_i32 s8, s7, s1
	s_mul_i32 s9, s52, s0
	s_mul_i32 s0, s6, 0xe00
	s_mov_b32 s1, 0
	s_lshl_b64 s[36:37], s[0:1], 2
	s_add_u32 s34, s2, s36
	s_addc_u32 s35, s3, s37
	s_add_u32 s7, s4, s36
	s_addc_u32 s47, s5, s37
	;; [unrolled: 2-line block ×3, first 2 shown]
	s_add_u32 s4, s48, -1
	s_addc_u32 s5, s49, -1
	v_pk_mov_b32 v[2:3], s[4:5], s[4:5] op_sel:[0,1]
	v_cmp_ge_u64_e64 s[0:1], s[0:1], v[2:3]
	s_mov_b64 s[2:3], -1
	s_and_b64 vcc, exec, s[0:1]
	s_mul_i32 s33, s4, 0xfffff200
	s_barrier
	s_cbranch_vccz .LBB770_72
; %bb.1:
	v_pk_mov_b32 v[2:3], s[34:35], s[34:35] op_sel:[0,1]
	flat_load_dword v1, v[2:3]
	s_add_i32 s48, s33, s46
	v_cmp_gt_u32_e32 vcc, s48, v0
	s_waitcnt vmcnt(0) lgkmcnt(0)
	v_mov_b32_e32 v13, v1
	s_and_saveexec_b64 s[4:5], vcc
	s_cbranch_execz .LBB770_3
; %bb.2:
	v_lshlrev_b32_e32 v2, 2, v0
	v_mov_b32_e32 v3, s35
	v_add_co_u32_e64 v2, s[2:3], s34, v2
	v_addc_co_u32_e64 v3, s[2:3], 0, v3, s[2:3]
	flat_load_dword v13, v[2:3]
.LBB770_3:
	s_or_b64 exec, exec, s[4:5]
	v_or_b32_e32 v2, 0x100, v0
	v_cmp_gt_u32_e64 s[2:3], s48, v2
	v_mov_b32_e32 v14, v1
	s_and_saveexec_b64 s[8:9], s[2:3]
	s_cbranch_execz .LBB770_5
; %bb.4:
	v_lshlrev_b32_e32 v2, 2, v0
	v_mov_b32_e32 v3, s35
	v_add_co_u32_e64 v2, s[4:5], s34, v2
	v_addc_co_u32_e64 v3, s[4:5], 0, v3, s[4:5]
	flat_load_dword v14, v[2:3] offset:1024
.LBB770_5:
	s_or_b64 exec, exec, s[8:9]
	v_or_b32_e32 v2, 0x200, v0
	v_cmp_gt_u32_e64 s[4:5], s48, v2
	v_mov_b32_e32 v15, v1
	s_and_saveexec_b64 s[10:11], s[4:5]
	s_cbranch_execz .LBB770_7
; %bb.6:
	v_lshlrev_b32_e32 v2, 2, v0
	v_mov_b32_e32 v3, s35
	v_add_co_u32_e64 v2, s[8:9], s34, v2
	v_addc_co_u32_e64 v3, s[8:9], 0, v3, s[8:9]
	flat_load_dword v15, v[2:3] offset:2048
.LBB770_7:
	;; [unrolled: 13-line block ×3, first 2 shown]
	s_or_b64 exec, exec, s[10:11]
	v_or_b32_e32 v2, 0x400, v0
	v_cmp_gt_u32_e64 s[8:9], s48, v2
	v_mov_b32_e32 v17, v1
	s_and_saveexec_b64 s[12:13], s[8:9]
	s_cbranch_execz .LBB770_11
; %bb.10:
	v_lshlrev_b32_e32 v3, 2, v2
	v_mov_b32_e32 v5, s35
	v_add_co_u32_e64 v4, s[10:11], s34, v3
	v_addc_co_u32_e64 v5, s[10:11], 0, v5, s[10:11]
	flat_load_dword v17, v[4:5]
.LBB770_11:
	s_or_b64 exec, exec, s[12:13]
	v_or_b32_e32 v3, 0x500, v0
	v_cmp_gt_u32_e64 s[10:11], s48, v3
	v_mov_b32_e32 v18, v1
	s_and_saveexec_b64 s[14:15], s[10:11]
	s_cbranch_execz .LBB770_13
; %bb.12:
	v_lshlrev_b32_e32 v4, 2, v3
	v_mov_b32_e32 v5, s35
	v_add_co_u32_e64 v4, s[12:13], s34, v4
	v_addc_co_u32_e64 v5, s[12:13], 0, v5, s[12:13]
	flat_load_dword v18, v[4:5]
.LBB770_13:
	;; [unrolled: 13-line block ×9, first 2 shown]
	s_or_b64 exec, exec, s[30:31]
	v_or_b32_e32 v11, 0xd00, v0
	v_cmp_gt_u32_e64 s[26:27], s48, v11
	s_and_saveexec_b64 s[40:41], s[26:27]
	s_cbranch_execz .LBB770_29
; %bb.28:
	v_lshlrev_b32_e32 v1, 2, v11
	v_mov_b32_e32 v12, s35
	v_add_co_u32_e64 v26, s[30:31], s34, v1
	v_addc_co_u32_e64 v27, s[30:31], 0, v12, s[30:31]
	flat_load_dword v1, v[26:27]
.LBB770_29:
	s_or_b64 exec, exec, s[40:41]
	v_lshlrev_b32_e32 v12, 2, v0
	s_waitcnt vmcnt(0) lgkmcnt(0)
	ds_write2st64_b32 v12, v13, v14 offset1:4
	ds_write2st64_b32 v12, v15, v16 offset0:8 offset1:12
	ds_write2st64_b32 v12, v17, v18 offset0:16 offset1:20
	;; [unrolled: 1-line block ×6, first 2 shown]
	v_mad_u32_u24 v1, v0, 52, v12
	s_waitcnt lgkmcnt(0)
	s_barrier
	ds_read2_b64 v[26:29], v1 offset0:4 offset1:5
	ds_read_b64 v[42:43], v1 offset:48
	ds_read2_b64 v[34:37], v1 offset1:1
	ds_read2_b64 v[30:33], v1 offset0:2 offset1:3
	s_movk_i32 s30, 0xffcc
	v_mad_i32_i24 v13, v0, s30, v1
	s_waitcnt lgkmcnt(2)
	ds_write_b32 v13, v43 offset:14336
	s_waitcnt lgkmcnt(0)
	s_barrier
	s_barrier
	s_waitcnt lgkmcnt(0)
                                        ; implicit-def: $vgpr13
	s_and_saveexec_b64 s[30:31], vcc
	s_cbranch_execz .LBB770_109
; %bb.30:
	v_mov_b32_e32 v13, s47
	v_add_co_u32_e32 v14, vcc, s7, v12
	v_addc_co_u32_e32 v15, vcc, 0, v13, vcc
	flat_load_dword v13, v[14:15]
	s_or_b64 exec, exec, s[30:31]
                                        ; implicit-def: $vgpr14
	s_and_saveexec_b64 s[30:31], s[2:3]
	s_cbranch_execnz .LBB770_110
.LBB770_31:
	s_or_b64 exec, exec, s[30:31]
                                        ; implicit-def: $vgpr15
	s_and_saveexec_b64 s[2:3], s[4:5]
	s_cbranch_execz .LBB770_111
.LBB770_32:
	v_mov_b32_e32 v15, s47
	v_add_co_u32_e32 v16, vcc, s7, v12
	v_addc_co_u32_e32 v17, vcc, 0, v15, vcc
	flat_load_dword v15, v[16:17] offset:2048
	s_or_b64 exec, exec, s[2:3]
                                        ; implicit-def: $vgpr16
	s_and_saveexec_b64 s[2:3], s[28:29]
	s_cbranch_execnz .LBB770_112
.LBB770_33:
	s_or_b64 exec, exec, s[2:3]
                                        ; implicit-def: $vgpr17
	s_and_saveexec_b64 s[2:3], s[8:9]
	s_cbranch_execz .LBB770_113
.LBB770_34:
	v_lshlrev_b32_e32 v2, 2, v2
	v_mov_b32_e32 v17, s47
	v_add_co_u32_e32 v18, vcc, s7, v2
	v_addc_co_u32_e32 v19, vcc, 0, v17, vcc
	flat_load_dword v17, v[18:19]
	s_or_b64 exec, exec, s[2:3]
                                        ; implicit-def: $vgpr2
	s_and_saveexec_b64 s[2:3], s[10:11]
	s_cbranch_execnz .LBB770_114
.LBB770_35:
	s_or_b64 exec, exec, s[2:3]
                                        ; implicit-def: $vgpr3
	s_and_saveexec_b64 s[2:3], s[12:13]
	s_cbranch_execz .LBB770_115
.LBB770_36:
	v_lshlrev_b32_e32 v3, 2, v4
	v_mov_b32_e32 v4, s47
	v_add_co_u32_e32 v18, vcc, s7, v3
	v_addc_co_u32_e32 v19, vcc, 0, v4, vcc
	flat_load_dword v3, v[18:19]
	s_or_b64 exec, exec, s[2:3]
                                        ; implicit-def: $vgpr4
	s_and_saveexec_b64 s[2:3], s[14:15]
	s_cbranch_execnz .LBB770_116
.LBB770_37:
	s_or_b64 exec, exec, s[2:3]
                                        ; implicit-def: $vgpr5
	s_and_saveexec_b64 s[2:3], s[16:17]
	s_cbranch_execz .LBB770_117
.LBB770_38:
	v_lshlrev_b32_e32 v5, 2, v6
	v_mov_b32_e32 v6, s47
	v_add_co_u32_e32 v18, vcc, s7, v5
	v_addc_co_u32_e32 v19, vcc, 0, v6, vcc
	flat_load_dword v5, v[18:19]
	s_or_b64 exec, exec, s[2:3]
                                        ; implicit-def: $vgpr6
	s_and_saveexec_b64 s[2:3], s[18:19]
	s_cbranch_execnz .LBB770_118
.LBB770_39:
	s_or_b64 exec, exec, s[2:3]
                                        ; implicit-def: $vgpr7
	s_and_saveexec_b64 s[2:3], s[20:21]
	s_cbranch_execz .LBB770_119
.LBB770_40:
	v_lshlrev_b32_e32 v7, 2, v8
	v_mov_b32_e32 v8, s47
	v_add_co_u32_e32 v18, vcc, s7, v7
	v_addc_co_u32_e32 v19, vcc, 0, v8, vcc
	flat_load_dword v7, v[18:19]
	s_or_b64 exec, exec, s[2:3]
                                        ; implicit-def: $vgpr8
	s_and_saveexec_b64 s[2:3], s[22:23]
	s_cbranch_execnz .LBB770_120
.LBB770_41:
	s_or_b64 exec, exec, s[2:3]
                                        ; implicit-def: $vgpr9
	s_and_saveexec_b64 s[2:3], s[24:25]
	s_cbranch_execz .LBB770_43
.LBB770_42:
	v_lshlrev_b32_e32 v9, 2, v10
	v_mov_b32_e32 v10, s47
	v_add_co_u32_e32 v18, vcc, s7, v9
	v_addc_co_u32_e32 v19, vcc, 0, v10, vcc
	flat_load_dword v9, v[18:19]
.LBB770_43:
	s_or_b64 exec, exec, s[2:3]
	v_mul_u32_u24_e32 v44, 14, v0
                                        ; implicit-def: $vgpr10
	s_and_saveexec_b64 s[2:3], s[26:27]
	s_cbranch_execz .LBB770_45
; %bb.44:
	v_lshlrev_b32_e32 v10, 2, v11
	v_mov_b32_e32 v11, s47
	v_add_co_u32_e32 v10, vcc, s7, v10
	v_addc_co_u32_e32 v11, vcc, 0, v11, vcc
	flat_load_dword v10, v[10:11]
.LBB770_45:
	s_or_b64 exec, exec, s[2:3]
	s_mov_b32 s8, 0
	s_mov_b32 s9, s8
	s_waitcnt vmcnt(0) lgkmcnt(0)
	ds_write2st64_b32 v12, v13, v14 offset1:4
	ds_write2st64_b32 v12, v15, v16 offset0:8 offset1:12
	ds_write2st64_b32 v12, v17, v2 offset0:16 offset1:20
	;; [unrolled: 1-line block ×6, first 2 shown]
	s_mov_b32 s10, s8
	s_mov_b32 s11, s8
	s_mov_b32 s12, s8
	s_mov_b32 s13, s8
	s_mov_b32 s14, s8
	s_mov_b32 s15, s8
	v_pk_mov_b32 v[2:3], s[8:9], s[8:9] op_sel:[0,1]
	v_pk_mov_b32 v[8:9], s[14:15], s[14:15] op_sel:[0,1]
	;; [unrolled: 1-line block ×6, first 2 shown]
	v_cmp_gt_u32_e32 vcc, s48, v44
	s_mov_b64 s[2:3], 0
	v_pk_mov_b32 v[38:39], 0, 0
	s_mov_b64 s[16:17], 0
	v_pk_mov_b32 v[14:15], v[6:7], v[6:7] op_sel:[0,1]
	v_pk_mov_b32 v[12:13], v[4:5], v[4:5] op_sel:[0,1]
	;; [unrolled: 1-line block ×6, first 2 shown]
	s_waitcnt lgkmcnt(0)
	s_barrier
	s_waitcnt lgkmcnt(0)
                                        ; implicit-def: $vgpr45
	s_and_saveexec_b64 s[4:5], vcc
	s_cbranch_execz .LBB770_71
; %bb.46:
	v_or_b32_e32 v2, 1, v44
	ds_read_b32 v38, v1
	v_cmp_ne_u32_e32 vcc, 0, v34
	v_cndmask_b32_e64 v39, 0, 1, vcc
	v_cmp_gt_u32_e32 vcc, s48, v2
	v_pk_mov_b32 v[2:3], s[8:9], s[8:9] op_sel:[0,1]
	v_pk_mov_b32 v[8:9], s[14:15], s[14:15] op_sel:[0,1]
	;; [unrolled: 1-line block ×6, first 2 shown]
	s_mov_b64 s[18:19], 0
	v_pk_mov_b32 v[14:15], v[6:7], v[6:7] op_sel:[0,1]
	v_pk_mov_b32 v[12:13], v[4:5], v[4:5] op_sel:[0,1]
	;; [unrolled: 1-line block ×6, first 2 shown]
                                        ; implicit-def: $vgpr45
	s_and_saveexec_b64 s[16:17], vcc
	s_cbranch_execz .LBB770_70
; %bb.47:
	ds_read2_b32 v[40:41], v1 offset0:1 offset1:2
	s_mov_b32 s14, s8
	s_mov_b32 s15, s8
	;; [unrolled: 1-line block ×7, first 2 shown]
	v_pk_mov_b32 v[16:17], s[14:15], s[14:15] op_sel:[0,1]
	v_add_u32_e32 v2, 2, v44
	v_cmp_ne_u32_e32 vcc, 0, v35
	v_mov_b32_e32 v6, 0
	v_pk_mov_b32 v[14:15], s[12:13], s[12:13] op_sel:[0,1]
	v_pk_mov_b32 v[12:13], s[10:11], s[10:11] op_sel:[0,1]
	v_pk_mov_b32 v[10:11], s[8:9], s[8:9] op_sel:[0,1]
	v_pk_mov_b32 v[24:25], v[16:17], v[16:17] op_sel:[0,1]
	v_cndmask_b32_e64 v3, 0, 1, vcc
	v_cmp_gt_u32_e32 vcc, s48, v2
	s_waitcnt lgkmcnt(0)
	v_mov_b32_e32 v2, v40
	v_mov_b32_e32 v4, v6
	;; [unrolled: 1-line block ×6, first 2 shown]
	s_mov_b64 s[20:21], 0
	v_pk_mov_b32 v[22:23], v[14:15], v[14:15] op_sel:[0,1]
	v_pk_mov_b32 v[20:21], v[12:13], v[12:13] op_sel:[0,1]
	;; [unrolled: 1-line block ×3, first 2 shown]
                                        ; implicit-def: $vgpr45
	s_and_saveexec_b64 s[18:19], vcc
	s_cbranch_execz .LBB770_69
; %bb.48:
	v_pk_mov_b32 v[16:17], s[14:15], s[14:15] op_sel:[0,1]
	v_add_u32_e32 v2, 3, v44
	v_cmp_ne_u32_e32 vcc, 0, v36
	v_pk_mov_b32 v[14:15], s[12:13], s[12:13] op_sel:[0,1]
	v_pk_mov_b32 v[12:13], s[10:11], s[10:11] op_sel:[0,1]
	;; [unrolled: 1-line block ×4, first 2 shown]
	v_cndmask_b32_e64 v5, 0, 1, vcc
	v_cmp_gt_u32_e32 vcc, s48, v2
	v_mov_b32_e32 v2, v40
	v_mov_b32_e32 v4, v41
	;; [unrolled: 1-line block ×5, first 2 shown]
	s_mov_b64 s[22:23], 0
	v_pk_mov_b32 v[22:23], v[14:15], v[14:15] op_sel:[0,1]
	v_pk_mov_b32 v[20:21], v[12:13], v[12:13] op_sel:[0,1]
	;; [unrolled: 1-line block ×3, first 2 shown]
                                        ; implicit-def: $vgpr45
	s_and_saveexec_b64 s[20:21], vcc
	s_cbranch_execz .LBB770_68
; %bb.49:
	ds_read2_b32 v[34:35], v1 offset0:3 offset1:4
	s_mov_b32 s14, s8
	s_mov_b32 s15, s8
	;; [unrolled: 1-line block ×7, first 2 shown]
	v_pk_mov_b32 v[16:17], s[14:15], s[14:15] op_sel:[0,1]
	v_add_u32_e32 v6, 4, v44
	v_cmp_ne_u32_e32 vcc, 0, v37
	v_pk_mov_b32 v[14:15], s[12:13], s[12:13] op_sel:[0,1]
	v_pk_mov_b32 v[12:13], s[10:11], s[10:11] op_sel:[0,1]
	;; [unrolled: 1-line block ×4, first 2 shown]
	v_cndmask_b32_e64 v7, 0, 1, vcc
	v_cmp_gt_u32_e32 vcc, s48, v6
	s_waitcnt lgkmcnt(0)
	v_mov_b32_e32 v6, v34
	v_mov_b32_e32 v8, s8
	;; [unrolled: 1-line block ×3, first 2 shown]
	s_mov_b64 s[24:25], 0
	v_pk_mov_b32 v[22:23], v[14:15], v[14:15] op_sel:[0,1]
	v_pk_mov_b32 v[20:21], v[12:13], v[12:13] op_sel:[0,1]
	;; [unrolled: 1-line block ×3, first 2 shown]
                                        ; implicit-def: $vgpr45
	s_and_saveexec_b64 s[22:23], vcc
	s_cbranch_execz .LBB770_67
; %bb.50:
	v_pk_mov_b32 v[16:17], s[14:15], s[14:15] op_sel:[0,1]
	v_add_u32_e32 v8, 5, v44
	v_cmp_ne_u32_e32 vcc, 0, v30
	v_pk_mov_b32 v[14:15], s[12:13], s[12:13] op_sel:[0,1]
	v_pk_mov_b32 v[12:13], s[10:11], s[10:11] op_sel:[0,1]
	;; [unrolled: 1-line block ×4, first 2 shown]
	v_cndmask_b32_e64 v9, 0, 1, vcc
	v_cmp_gt_u32_e32 vcc, s48, v8
	v_mov_b32_e32 v8, v35
	s_mov_b64 s[26:27], 0
	v_pk_mov_b32 v[22:23], v[14:15], v[14:15] op_sel:[0,1]
	v_pk_mov_b32 v[20:21], v[12:13], v[12:13] op_sel:[0,1]
	;; [unrolled: 1-line block ×3, first 2 shown]
                                        ; implicit-def: $vgpr45
	s_and_saveexec_b64 s[24:25], vcc
	s_cbranch_execz .LBB770_66
; %bb.51:
	ds_read2_b32 v[34:35], v1 offset0:5 offset1:6
	s_mov_b32 s14, s8
	s_mov_b32 s15, s8
	v_add_u32_e32 v10, 6, v44
	v_cmp_ne_u32_e32 vcc, 0, v31
	v_mov_b32_e32 v14, 0
	s_mov_b32 s9, s8
	s_mov_b32 s10, s8
	;; [unrolled: 1-line block ×5, first 2 shown]
	v_pk_mov_b32 v[24:25], s[14:15], s[14:15] op_sel:[0,1]
	v_cndmask_b32_e64 v11, 0, 1, vcc
	v_cmp_gt_u32_e32 vcc, s48, v10
	s_waitcnt lgkmcnt(0)
	v_mov_b32_e32 v10, v34
	v_mov_b32_e32 v12, v14
	;; [unrolled: 1-line block ×6, first 2 shown]
	s_mov_b64 s[28:29], 0
	v_pk_mov_b32 v[22:23], s[12:13], s[12:13] op_sel:[0,1]
	v_pk_mov_b32 v[20:21], s[10:11], s[10:11] op_sel:[0,1]
	;; [unrolled: 1-line block ×3, first 2 shown]
                                        ; implicit-def: $vgpr45
	s_and_saveexec_b64 s[26:27], vcc
	s_cbranch_execz .LBB770_65
; %bb.52:
	v_add_u32_e32 v10, 7, v44
	v_cmp_ne_u32_e32 vcc, 0, v32
	v_pk_mov_b32 v[24:25], s[14:15], s[14:15] op_sel:[0,1]
	v_cndmask_b32_e64 v13, 0, 1, vcc
	v_cmp_gt_u32_e32 vcc, s48, v10
	v_mov_b32_e32 v10, v34
	v_mov_b32_e32 v12, v35
	;; [unrolled: 1-line block ×5, first 2 shown]
	s_mov_b64 s[30:31], 0
	v_pk_mov_b32 v[22:23], s[12:13], s[12:13] op_sel:[0,1]
	v_pk_mov_b32 v[20:21], s[10:11], s[10:11] op_sel:[0,1]
	;; [unrolled: 1-line block ×3, first 2 shown]
                                        ; implicit-def: $vgpr45
	s_and_saveexec_b64 s[28:29], vcc
	s_cbranch_execz .LBB770_64
; %bb.53:
	ds_read2_b32 v[30:31], v1 offset0:7 offset1:8
	s_mov_b32 s14, s8
	s_mov_b32 s15, s8
	v_add_u32_e32 v14, 8, v44
	v_cmp_ne_u32_e32 vcc, 0, v33
	s_mov_b32 s9, s8
	s_mov_b32 s10, s8
	;; [unrolled: 1-line block ×5, first 2 shown]
	v_pk_mov_b32 v[24:25], s[14:15], s[14:15] op_sel:[0,1]
	v_cndmask_b32_e64 v15, 0, 1, vcc
	v_cmp_gt_u32_e32 vcc, s48, v14
	s_waitcnt lgkmcnt(0)
	v_mov_b32_e32 v14, v30
	v_mov_b32_e32 v16, s8
	;; [unrolled: 1-line block ×3, first 2 shown]
	s_mov_b64 s[40:41], 0
	v_pk_mov_b32 v[22:23], s[12:13], s[12:13] op_sel:[0,1]
	v_pk_mov_b32 v[20:21], s[10:11], s[10:11] op_sel:[0,1]
	;; [unrolled: 1-line block ×3, first 2 shown]
                                        ; implicit-def: $vgpr45
	s_and_saveexec_b64 s[30:31], vcc
	s_cbranch_execz .LBB770_63
; %bb.54:
	v_add_u32_e32 v16, 9, v44
	v_cmp_ne_u32_e32 vcc, 0, v26
	v_pk_mov_b32 v[24:25], s[14:15], s[14:15] op_sel:[0,1]
	v_cndmask_b32_e64 v17, 0, 1, vcc
	v_cmp_gt_u32_e32 vcc, s48, v16
	v_mov_b32_e32 v16, v31
	v_pk_mov_b32 v[22:23], s[12:13], s[12:13] op_sel:[0,1]
	v_pk_mov_b32 v[20:21], s[10:11], s[10:11] op_sel:[0,1]
	;; [unrolled: 1-line block ×3, first 2 shown]
                                        ; implicit-def: $vgpr45
	s_and_saveexec_b64 s[8:9], vcc
	s_cbranch_execz .LBB770_62
; %bb.55:
	ds_read2_b32 v[30:31], v1 offset0:9 offset1:10
	v_add_u32_e32 v18, 10, v44
	v_cmp_ne_u32_e32 vcc, 0, v27
	v_mov_b32_e32 v22, 0
	v_cndmask_b32_e64 v19, 0, 1, vcc
	v_cmp_gt_u32_e32 vcc, s48, v18
	s_waitcnt lgkmcnt(0)
	v_mov_b32_e32 v18, v30
	v_mov_b32_e32 v20, v22
	;; [unrolled: 1-line block ×6, first 2 shown]
	s_mov_b64 s[12:13], 0
                                        ; implicit-def: $vgpr45
	s_and_saveexec_b64 s[10:11], vcc
	s_cbranch_execz .LBB770_61
; %bb.56:
	v_add_u32_e32 v18, 11, v44
	v_cmp_ne_u32_e32 vcc, 0, v28
	v_cndmask_b32_e64 v21, 0, 1, vcc
	v_cmp_gt_u32_e32 vcc, s48, v18
	v_mov_b32_e32 v18, v30
	v_mov_b32_e32 v20, v31
	v_mov_b32_e32 v23, v22
	v_mov_b32_e32 v24, v22
	v_mov_b32_e32 v25, v22
	s_mov_b64 s[14:15], 0
                                        ; implicit-def: $vgpr45
	s_and_saveexec_b64 s[12:13], vcc
	s_cbranch_execz .LBB770_60
; %bb.57:
	ds_read2_b32 v[26:27], v1 offset0:11 offset1:12
	s_mov_b32 s14, 0
	v_add_u32_e32 v22, 12, v44
	v_cmp_ne_u32_e32 vcc, 0, v29
	v_cndmask_b32_e64 v23, 0, 1, vcc
	v_cmp_gt_u32_e32 vcc, s48, v22
	s_waitcnt lgkmcnt(0)
	v_mov_b32_e32 v22, v26
	v_mov_b32_e32 v24, s14
	;; [unrolled: 1-line block ×3, first 2 shown]
	s_mov_b64 s[14:15], 0
                                        ; implicit-def: $vgpr45
	s_and_saveexec_b64 s[40:41], vcc
	s_xor_b64 s[40:41], exec, s[40:41]
	s_cbranch_execz .LBB770_59
; %bb.58:
	ds_read_b32 v45, v1 offset:52
	v_add_u32_e32 v1, 13, v44
	v_cmp_ne_u32_e32 vcc, 0, v42
	v_cndmask_b32_e64 v25, 0, 1, vcc
	v_cmp_gt_u32_e32 vcc, s48, v1
	v_mov_b32_e32 v24, v27
	s_and_b64 s[14:15], vcc, exec
.LBB770_59:
	s_or_b64 exec, exec, s[40:41]
	s_and_b64 s[14:15], s[14:15], exec
.LBB770_60:
	s_or_b64 exec, exec, s[12:13]
	s_and_b64 s[12:13], s[14:15], exec
.LBB770_61:
	s_or_b64 exec, exec, s[10:11]
	s_and_b64 s[40:41], s[12:13], exec
.LBB770_62:
	s_or_b64 exec, exec, s[8:9]
	s_and_b64 s[40:41], s[40:41], exec
.LBB770_63:
	s_or_b64 exec, exec, s[30:31]
	s_and_b64 s[30:31], s[40:41], exec
.LBB770_64:
	s_or_b64 exec, exec, s[28:29]
	s_and_b64 s[28:29], s[30:31], exec
.LBB770_65:
	s_or_b64 exec, exec, s[26:27]
	s_and_b64 s[26:27], s[28:29], exec
.LBB770_66:
	s_or_b64 exec, exec, s[24:25]
	s_and_b64 s[24:25], s[26:27], exec
.LBB770_67:
	s_or_b64 exec, exec, s[22:23]
	s_and_b64 s[22:23], s[24:25], exec
.LBB770_68:
	s_or_b64 exec, exec, s[20:21]
	s_and_b64 s[20:21], s[22:23], exec
.LBB770_69:
	s_or_b64 exec, exec, s[18:19]
	s_and_b64 s[18:19], s[20:21], exec
.LBB770_70:
	s_or_b64 exec, exec, s[16:17]
	s_and_b64 s[16:17], s[18:19], exec
.LBB770_71:
	s_or_b64 exec, exec, s[4:5]
	s_and_b64 vcc, exec, s[2:3]
	v_lshlrev_b32_e32 v50, 2, v0
	s_cbranch_vccnz .LBB770_73
	s_branch .LBB770_74
.LBB770_72:
	s_mov_b64 s[16:17], 0
                                        ; implicit-def: $vgpr2_vgpr3_vgpr4_vgpr5_vgpr6_vgpr7_vgpr8_vgpr9
                                        ; implicit-def: $vgpr10_vgpr11_vgpr12_vgpr13_vgpr14_vgpr15_vgpr16_vgpr17
                                        ; implicit-def: $vgpr18_vgpr19_vgpr20_vgpr21_vgpr22_vgpr23_vgpr24_vgpr25
                                        ; implicit-def: $vgpr43
                                        ; implicit-def: $vgpr45
                                        ; implicit-def: $vgpr38_vgpr39
	s_and_b64 vcc, exec, s[2:3]
	v_lshlrev_b32_e32 v50, 2, v0
	s_cbranch_vccz .LBB770_74
.LBB770_73:
	v_mov_b32_e32 v1, s35
	v_add_co_u32_e32 v2, vcc, s34, v50
	v_addc_co_u32_e32 v3, vcc, 0, v1, vcc
	v_add_co_u32_e32 v4, vcc, 0x1000, v2
	v_addc_co_u32_e32 v5, vcc, 0, v3, vcc
	flat_load_dword v1, v[2:3]
	flat_load_dword v10, v[2:3] offset:1024
	flat_load_dword v11, v[2:3] offset:2048
	;; [unrolled: 1-line block ×3, first 2 shown]
	flat_load_dword v13, v[4:5]
	flat_load_dword v14, v[4:5] offset:1024
	flat_load_dword v15, v[4:5] offset:2048
	;; [unrolled: 1-line block ×3, first 2 shown]
	v_add_co_u32_e32 v4, vcc, 0x2000, v2
	v_addc_co_u32_e32 v5, vcc, 0, v3, vcc
	v_add_co_u32_e32 v2, vcc, 0x3000, v2
	v_addc_co_u32_e32 v3, vcc, 0, v3, vcc
	flat_load_dword v17, v[4:5]
	flat_load_dword v18, v[4:5] offset:1024
	flat_load_dword v19, v[4:5] offset:2048
	flat_load_dword v20, v[4:5] offset:3072
	flat_load_dword v21, v[2:3]
	flat_load_dword v22, v[2:3] offset:1024
	v_mov_b32_e32 v3, s47
	v_add_co_u32_e32 v2, vcc, s7, v50
	s_movk_i32 s2, 0x1000
	v_addc_co_u32_e32 v3, vcc, 0, v3, vcc
	v_add_co_u32_e32 v4, vcc, s2, v2
	s_movk_i32 s3, 0x2000
	v_addc_co_u32_e32 v5, vcc, 0, v3, vcc
	v_add_co_u32_e32 v6, vcc, s3, v2
	s_movk_i32 s4, 0x3000
	v_mad_u32_u24 v36, v0, 52, v50
	s_movk_i32 s5, 0xffcc
	v_addc_co_u32_e32 v7, vcc, 0, v3, vcc
	v_mad_i32_i24 v26, v0, s5, v36
	v_add_co_u32_e32 v8, vcc, s4, v2
	v_addc_co_u32_e32 v9, vcc, 0, v3, vcc
	s_or_b64 s[16:17], s[16:17], exec
                                        ; implicit-def: $sgpr2_sgpr3
	s_waitcnt vmcnt(0) lgkmcnt(0)
	ds_write2st64_b32 v50, v1, v10 offset1:4
	ds_write2st64_b32 v50, v11, v12 offset0:8 offset1:12
	ds_write2st64_b32 v50, v13, v14 offset0:16 offset1:20
	;; [unrolled: 1-line block ×6, first 2 shown]
	s_waitcnt lgkmcnt(0)
	s_barrier
	ds_read2_b32 v[42:43], v36 offset1:13
	ds_read2_b32 v[18:19], v36 offset0:9 offset1:10
	ds_read2_b32 v[20:21], v36 offset0:11 offset1:12
	;; [unrolled: 1-line block ×6, first 2 shown]
	s_waitcnt lgkmcnt(6)
	ds_write_b32 v26, v43 offset:14336
	s_waitcnt lgkmcnt(0)
	s_barrier
	s_barrier
	flat_load_dword v1, v[2:3]
	flat_load_dword v14, v[2:3] offset:1024
	flat_load_dword v16, v[2:3] offset:2048
	flat_load_dword v26, v[2:3] offset:3072
	flat_load_dword v27, v[4:5]
	flat_load_dword v28, v[4:5] offset:1024
	flat_load_dword v29, v[4:5] offset:2048
	flat_load_dword v30, v[4:5] offset:3072
	;; [unrolled: 4-line block ×3, first 2 shown]
	flat_load_dword v35, v[8:9]
	flat_load_dword v37, v[8:9] offset:1024
	v_cmp_ne_u32_e32 vcc, 0, v42
	v_cndmask_b32_e64 v39, 0, 1, vcc
	v_cmp_ne_u32_e32 vcc, 0, v11
	v_cndmask_b32_e64 v17, 0, 1, vcc
	;; [unrolled: 2-line block ×13, first 2 shown]
	s_waitcnt vmcnt(0) lgkmcnt(0)
	ds_write2st64_b32 v50, v1, v14 offset1:4
	ds_write2st64_b32 v50, v16, v26 offset0:8 offset1:12
	ds_write2st64_b32 v50, v27, v28 offset0:16 offset1:20
	;; [unrolled: 1-line block ×6, first 2 shown]
	s_waitcnt lgkmcnt(0)
	s_barrier
	ds_read2_b32 v[26:27], v36 offset0:7 offset1:8
	ds_read2_b32 v[28:29], v36 offset0:5 offset1:6
	;; [unrolled: 1-line block ×4, first 2 shown]
	ds_read2_b32 v[44:45], v36 offset1:13
	ds_read2_b32 v[34:35], v36 offset0:11 offset1:12
	ds_read2_b32 v[36:37], v36 offset0:9 offset1:10
	s_waitcnt lgkmcnt(5)
	v_mov_b32_e32 v10, v28
	s_waitcnt lgkmcnt(4)
	v_mov_b32_e32 v6, v30
	;; [unrolled: 2-line block ×4, first 2 shown]
	v_mov_b32_e32 v4, v33
	v_mov_b32_e32 v8, v31
	;; [unrolled: 1-line block ×5, first 2 shown]
	s_waitcnt lgkmcnt(0)
	v_mov_b32_e32 v18, v36
	v_mov_b32_e32 v20, v37
	;; [unrolled: 1-line block ×4, first 2 shown]
.LBB770_74:
	v_pk_mov_b32 v[40:41], s[2:3], s[2:3] op_sel:[0,1]
	s_and_saveexec_b64 s[2:3], s[16:17]
	s_cbranch_execz .LBB770_76
; %bb.75:
	v_cmp_ne_u32_e32 vcc, 0, v43
	v_cndmask_b32_e64 v41, 0, 1, vcc
	s_waitcnt lgkmcnt(0)
	v_mov_b32_e32 v40, v45
.LBB770_76:
	s_or_b64 exec, exec, s[2:3]
	s_mov_b32 s26, 0
	s_cmp_lg_u32 s6, 0
	v_mbcnt_lo_u32_b32 v52, -1, 0
	v_lshrrev_b32_e32 v1, 6, v0
	v_or_b32_e32 v51, 63, v0
	s_waitcnt lgkmcnt(0)
	s_barrier
	s_cbranch_scc0 .LBB770_121
; %bb.77:
	s_mov_b32 s27, 1
	v_cmp_gt_u64_e64 s[2:3], s[26:27], v[2:3]
	v_cndmask_b32_e64 v27, 0, v38, s[2:3]
	v_add_u32_e32 v27, v27, v2
	v_cmp_gt_u64_e64 s[4:5], s[26:27], v[4:5]
	v_cndmask_b32_e64 v27, 0, v27, s[4:5]
	v_add_u32_e32 v27, v27, v4
	;; [unrolled: 3-line block ×13, first 2 shown]
	v_or3_b32 v27, v41, v25, v23
	v_or3_b32 v27, v27, v21, v19
	v_or3_b32 v27, v27, v17, v15
	v_or3_b32 v27, v27, v13, v11
	v_or3_b32 v27, v27, v9, v7
	v_or3_b32 v27, v27, v5, v3
	v_mov_b32_e32 v26, 0
	v_and_b32_e32 v27, 1, v27
	v_cmp_eq_u64_e32 vcc, 0, v[26:27]
	v_cndmask_b32_e32 v26, 1, v39, vcc
	v_mbcnt_hi_u32_b32 v46, -1, v52
	v_mov_b32_dpp v29, v28 row_shr:1 row_mask:0xf bank_mask:0xf
	v_mov_b32_dpp v30, v26 row_shr:1 row_mask:0xf bank_mask:0xf
	v_cmp_eq_u32_e32 vcc, 0, v26
	v_and_b32_e32 v31, 1, v26
	v_and_b32_e32 v27, 15, v46
	v_cndmask_b32_e32 v29, 0, v29, vcc
	v_and_b32_e32 v30, 1, v30
	v_cmp_eq_u32_e32 vcc, 1, v31
	v_cndmask_b32_e64 v30, v30, 1, vcc
	v_cmp_eq_u32_e32 vcc, 0, v27
	v_cndmask_b32_e32 v26, v30, v26, vcc
	v_and_b32_e32 v31, 1, v26
	v_cmp_eq_u32_e64 s[28:29], 1, v31
	v_mov_b32_dpp v30, v26 row_shr:2 row_mask:0xf bank_mask:0xf
	v_and_b32_e32 v30, 1, v30
	v_cndmask_b32_e64 v30, v30, 1, s[28:29]
	v_cmp_lt_u32_e64 s[28:29], 1, v27
	v_cndmask_b32_e64 v29, v29, 0, vcc
	v_cmp_eq_u32_e32 vcc, 0, v26
	v_cndmask_b32_e64 v26, v26, v30, s[28:29]
	v_add_u32_e32 v28, v29, v28
	v_and_b32_e32 v31, 1, v26
	v_mov_b32_dpp v30, v26 row_shr:4 row_mask:0xf bank_mask:0xf
	v_mov_b32_dpp v29, v28 row_shr:2 row_mask:0xf bank_mask:0xf
	s_and_b64 vcc, s[28:29], vcc
	v_and_b32_e32 v30, 1, v30
	v_cmp_eq_u32_e64 s[28:29], 1, v31
	v_cndmask_b32_e32 v29, 0, v29, vcc
	v_cndmask_b32_e64 v30, v30, 1, s[28:29]
	v_cmp_lt_u32_e64 s[28:29], 3, v27
	v_add_u32_e32 v28, v29, v28
	v_cmp_eq_u32_e32 vcc, 0, v26
	v_cndmask_b32_e64 v26, v26, v30, s[28:29]
	v_mov_b32_dpp v29, v28 row_shr:4 row_mask:0xf bank_mask:0xf
	s_and_b64 vcc, s[28:29], vcc
	v_mov_b32_dpp v30, v26 row_shr:8 row_mask:0xf bank_mask:0xf
	v_and_b32_e32 v31, 1, v26
	v_cndmask_b32_e32 v29, 0, v29, vcc
	v_and_b32_e32 v30, 1, v30
	v_cmp_eq_u32_e64 s[28:29], 1, v31
	v_add_u32_e32 v28, v29, v28
	v_cmp_eq_u32_e32 vcc, 0, v26
	v_cndmask_b32_e64 v30, v30, 1, s[28:29]
	v_cmp_lt_u32_e64 s[28:29], 7, v27
	v_mov_b32_dpp v29, v28 row_shr:8 row_mask:0xf bank_mask:0xf
	s_and_b64 vcc, s[28:29], vcc
	v_cndmask_b32_e32 v27, 0, v29, vcc
	v_cndmask_b32_e64 v26, v26, v30, s[28:29]
	v_add_u32_e32 v27, v27, v28
	v_cmp_eq_u32_e32 vcc, 0, v26
	v_mov_b32_dpp v29, v26 row_bcast:15 row_mask:0xf bank_mask:0xf
	v_mov_b32_dpp v28, v27 row_bcast:15 row_mask:0xf bank_mask:0xf
	v_and_b32_e32 v32, 1, v26
	v_and_b32_e32 v31, 16, v46
	v_cndmask_b32_e32 v28, 0, v28, vcc
	v_and_b32_e32 v29, 1, v29
	v_cmp_eq_u32_e32 vcc, 1, v32
	v_bfe_i32 v30, v46, 4, 1
	v_cndmask_b32_e64 v29, v29, 1, vcc
	v_cmp_eq_u32_e32 vcc, 0, v31
	v_and_b32_e32 v28, v30, v28
	v_cndmask_b32_e32 v26, v29, v26, vcc
	v_add_u32_e32 v27, v28, v27
	v_and_b32_e32 v30, 1, v26
	v_mov_b32_dpp v28, v26 row_bcast:31 row_mask:0xf bank_mask:0xf
	v_and_b32_e32 v28, 1, v28
	v_cmp_eq_u32_e64 s[28:29], 1, v30
	v_cmp_eq_u32_e32 vcc, 0, v26
	v_cndmask_b32_e64 v28, v28, 1, s[28:29]
	v_cmp_lt_u32_e64 s[28:29], 31, v46
	v_mov_b32_dpp v29, v27 row_bcast:31 row_mask:0xf bank_mask:0xf
	s_and_b64 vcc, s[28:29], vcc
	v_cndmask_b32_e64 v28, v26, v28, s[28:29]
	v_cndmask_b32_e32 v26, 0, v29, vcc
	v_add_u32_e32 v29, v26, v27
	v_cmp_eq_u32_e32 vcc, v51, v0
	s_and_saveexec_b64 s[28:29], vcc
	s_cbranch_execz .LBB770_79
; %bb.78:
	v_lshlrev_b32_e32 v26, 3, v1
	ds_write_b32 v26, v29
	ds_write_b8 v26, v28 offset:4
.LBB770_79:
	s_or_b64 exec, exec, s[28:29]
	v_cmp_gt_u32_e32 vcc, 4, v0
	s_waitcnt lgkmcnt(0)
	s_barrier
	s_and_saveexec_b64 s[28:29], vcc
	s_cbranch_execz .LBB770_83
; %bb.80:
	v_lshlrev_b32_e32 v30, 3, v0
	ds_read_b64 v[26:27], v30
	v_and_b32_e32 v31, 3, v46
	v_cmp_ne_u32_e32 vcc, 0, v31
	s_waitcnt lgkmcnt(0)
	v_mov_b32_dpp v32, v26 row_shr:1 row_mask:0xf bank_mask:0xf
	v_mov_b32_dpp v34, v27 row_shr:1 row_mask:0xf bank_mask:0xf
	v_mov_b32_e32 v33, v27
	s_and_saveexec_b64 s[34:35], vcc
	s_cbranch_execz .LBB770_82
; %bb.81:
	v_and_b32_e32 v33, 1, v27
	v_and_b32_e32 v34, 1, v34
	v_cmp_eq_u32_e32 vcc, 1, v33
	v_mov_b32_e32 v33, 0
	v_cndmask_b32_e64 v34, v34, 1, vcc
	v_cmp_eq_u16_sdwa vcc, v27, v33 src0_sel:BYTE_0 src1_sel:DWORD
	v_cndmask_b32_e32 v32, 0, v32, vcc
	v_add_u32_e32 v26, v32, v26
	v_and_b32_e32 v32, 0xffff, v34
	s_movk_i32 s7, 0xff00
	v_and_or_b32 v33, v27, s7, v32
	v_mov_b32_e32 v27, v34
.LBB770_82:
	s_or_b64 exec, exec, s[34:35]
	v_mov_b32_dpp v33, v33 row_shr:2 row_mask:0xf bank_mask:0xf
	v_and_b32_e32 v34, 1, v27
	v_and_b32_e32 v33, 1, v33
	v_cmp_eq_u32_e32 vcc, 1, v34
	v_mov_b32_e32 v34, 0
	v_cndmask_b32_e64 v33, v33, 1, vcc
	v_cmp_eq_u16_sdwa s[34:35], v27, v34 src0_sel:BYTE_0 src1_sel:DWORD
	v_cmp_lt_u32_e32 vcc, 1, v31
	v_mov_b32_dpp v32, v26 row_shr:2 row_mask:0xf bank_mask:0xf
	v_cndmask_b32_e32 v27, v27, v33, vcc
	s_and_b64 vcc, vcc, s[34:35]
	v_cndmask_b32_e32 v31, 0, v32, vcc
	v_add_u32_e32 v26, v31, v26
	ds_write_b32 v30, v26
	ds_write_b8 v30, v27 offset:4
.LBB770_83:
	s_or_b64 exec, exec, s[28:29]
	v_cmp_gt_u32_e32 vcc, 64, v0
	v_cmp_lt_u32_e64 s[28:29], 63, v0
	v_mov_b32_e32 v42, 0
	v_mov_b32_e32 v43, 0
	s_waitcnt lgkmcnt(0)
	s_barrier
	s_and_saveexec_b64 s[34:35], s[28:29]
	s_cbranch_execz .LBB770_85
; %bb.84:
	v_lshl_add_u32 v26, v1, 3, -8
	ds_read_b32 v42, v26
	ds_read_u8 v43, v26 offset:4
	v_and_b32_e32 v27, 1, v28
	v_cmp_eq_u32_e64 s[28:29], 0, v28
	s_waitcnt lgkmcnt(1)
	v_cndmask_b32_e64 v26, 0, v42, s[28:29]
	v_cmp_eq_u32_e64 s[28:29], 1, v27
	v_add_u32_e32 v29, v26, v29
	s_waitcnt lgkmcnt(0)
	v_cndmask_b32_e64 v28, v43, 1, s[28:29]
.LBB770_85:
	s_or_b64 exec, exec, s[34:35]
	v_add_u32_e32 v26, -1, v46
	v_and_b32_e32 v27, 64, v46
	v_cmp_lt_i32_e64 s[28:29], v26, v27
	v_cndmask_b32_e64 v26, v26, v46, s[28:29]
	v_lshlrev_b32_e32 v26, 2, v26
	ds_bpermute_b32 v44, v26, v29
	ds_bpermute_b32 v45, v26, v28
	v_cmp_eq_u32_e64 s[28:29], 0, v46
	s_and_saveexec_b64 s[40:41], vcc
	s_cbranch_execz .LBB770_108
; %bb.86:
	v_mov_b32_e32 v29, 0
	ds_read_b64 v[26:27], v29 offset:24
	s_waitcnt lgkmcnt(0)
	v_readfirstlane_b32 s7, v27
	s_and_saveexec_b64 s[34:35], s[28:29]
	s_cbranch_execz .LBB770_88
; %bb.87:
	s_add_i32 s48, s6, 64
	s_mov_b32 s49, 0
	s_lshl_b64 s[54:55], s[48:49], 4
	s_add_u32 s54, s44, s54
	s_addc_u32 s55, s45, s55
	s_and_b32 s57, s7, 0xff000000
	s_mov_b32 s56, s49
	s_and_b32 s59, s7, 0xff0000
	s_mov_b32 s58, s49
	s_or_b64 s[56:57], s[58:59], s[56:57]
	s_and_b32 s59, s7, 0xff00
	s_or_b64 s[56:57], s[56:57], s[58:59]
	s_and_b32 s59, s7, 0xff
	s_or_b64 s[48:49], s[56:57], s[58:59]
	v_mov_b32_e32 v27, s49
	v_mov_b32_e32 v28, 1
	v_pk_mov_b32 v[30:31], s[54:55], s[54:55] op_sel:[0,1]
	;;#ASMSTART
	global_store_dwordx4 v[30:31], v[26:29] off	
s_waitcnt vmcnt(0)
	;;#ASMEND
.LBB770_88:
	s_or_b64 exec, exec, s[34:35]
	v_xad_u32 v34, v46, -1, s6
	v_add_u32_e32 v28, 64, v34
	v_lshlrev_b64 v[30:31], 4, v[28:29]
	v_mov_b32_e32 v27, s45
	v_add_co_u32_e32 v36, vcc, s44, v30
	v_addc_co_u32_e32 v37, vcc, v27, v31, vcc
	;;#ASMSTART
	global_load_dwordx4 v[30:33], v[36:37] off glc	
s_waitcnt vmcnt(0)
	;;#ASMEND
	v_and_b32_e32 v27, 0xff0000, v30
	v_or_b32_sdwa v27, v30, v27 dst_sel:DWORD dst_unused:UNUSED_PAD src0_sel:WORD_0 src1_sel:DWORD
	v_and_b32_e32 v28, 0xff000000, v30
	v_and_b32_e32 v30, 0xff, v31
	v_or3_b32 v31, 0, 0, v30
	v_or3_b32 v30, v27, v28, 0
	v_cmp_eq_u16_sdwa s[48:49], v32, v29 src0_sel:BYTE_0 src1_sel:DWORD
	s_and_saveexec_b64 s[34:35], s[48:49]
	s_cbranch_execz .LBB770_94
; %bb.89:
	s_mov_b32 s47, 1
	s_mov_b64 s[48:49], 0
	v_mov_b32_e32 v27, 0
.LBB770_90:                             ; =>This Loop Header: Depth=1
                                        ;     Child Loop BB770_91 Depth 2
	s_max_u32 s54, s47, 1
.LBB770_91:                             ;   Parent Loop BB770_90 Depth=1
                                        ; =>  This Inner Loop Header: Depth=2
	s_add_i32 s54, s54, -1
	s_cmp_eq_u32 s54, 0
	s_sleep 1
	s_cbranch_scc0 .LBB770_91
; %bb.92:                               ;   in Loop: Header=BB770_90 Depth=1
	s_cmp_lt_u32 s47, 32
	s_cselect_b64 s[54:55], -1, 0
	s_cmp_lg_u64 s[54:55], 0
	s_addc_u32 s47, s47, 0
	;;#ASMSTART
	global_load_dwordx4 v[30:33], v[36:37] off glc	
s_waitcnt vmcnt(0)
	;;#ASMEND
	v_cmp_ne_u16_sdwa s[54:55], v32, v27 src0_sel:BYTE_0 src1_sel:DWORD
	s_or_b64 s[48:49], s[54:55], s[48:49]
	s_andn2_b64 exec, exec, s[48:49]
	s_cbranch_execnz .LBB770_90
; %bb.93:
	s_or_b64 exec, exec, s[48:49]
	v_and_b32_e32 v31, 0xff, v31
.LBB770_94:
	s_or_b64 exec, exec, s[34:35]
	v_mov_b32_e32 v27, 2
	v_cmp_eq_u16_sdwa s[34:35], v32, v27 src0_sel:BYTE_0 src1_sel:DWORD
	v_lshlrev_b64 v[28:29], v46, -1
	v_and_b32_e32 v33, s35, v29
	v_or_b32_e32 v33, 0x80000000, v33
	v_and_b32_e32 v35, s34, v28
	v_ffbl_b32_e32 v33, v33
	v_and_b32_e32 v47, 63, v46
	v_add_u32_e32 v33, 32, v33
	v_ffbl_b32_e32 v35, v35
	v_cmp_ne_u32_e32 vcc, 63, v47
	v_min_u32_e32 v33, v35, v33
	v_addc_co_u32_e32 v35, vcc, 0, v46, vcc
	v_lshlrev_b32_e32 v48, 2, v35
	ds_bpermute_b32 v35, v48, v31
	ds_bpermute_b32 v36, v48, v30
	s_mov_b32 s48, 0
	v_and_b32_e32 v37, 1, v31
	s_mov_b32 s49, 1
	s_waitcnt lgkmcnt(1)
	v_and_b32_e32 v35, 1, v35
	v_cmp_eq_u32_e32 vcc, 1, v37
	v_cndmask_b32_e64 v35, v35, 1, vcc
	v_cmp_gt_u64_e32 vcc, s[48:49], v[30:31]
	v_cmp_lt_u32_e64 s[34:35], v47, v33
	s_and_b64 vcc, s[34:35], vcc
	v_and_b32_e32 v37, 0xffff, v35
	v_cndmask_b32_e64 v54, v31, v35, s[34:35]
	s_waitcnt lgkmcnt(0)
	v_cndmask_b32_e32 v35, 0, v36, vcc
	v_cmp_gt_u32_e32 vcc, 62, v47
	v_cndmask_b32_e64 v36, 0, 1, vcc
	v_lshlrev_b32_e32 v36, 1, v36
	v_cndmask_b32_e64 v31, v31, v37, s[34:35]
	v_add_lshl_u32 v49, v36, v46, 2
	ds_bpermute_b32 v36, v49, v31
	v_add_u32_e32 v30, v35, v30
	ds_bpermute_b32 v37, v49, v30
	v_and_b32_e32 v35, 1, v54
	v_cmp_eq_u32_e32 vcc, 1, v35
	s_waitcnt lgkmcnt(1)
	v_and_b32_e32 v36, 1, v36
	v_mov_b32_e32 v35, 0
	v_add_u32_e32 v53, 2, v47
	v_cndmask_b32_e64 v36, v36, 1, vcc
	v_cmp_eq_u16_sdwa vcc, v54, v35 src0_sel:BYTE_0 src1_sel:DWORD
	v_and_b32_e32 v55, 0xffff, v36
	s_waitcnt lgkmcnt(0)
	v_cndmask_b32_e32 v37, 0, v37, vcc
	v_cmp_gt_u32_e32 vcc, v53, v33
	v_cndmask_b32_e32 v36, v36, v54, vcc
	v_cndmask_b32_e64 v37, v37, 0, vcc
	v_cndmask_b32_e32 v31, v55, v31, vcc
	v_cmp_gt_u32_e32 vcc, 60, v47
	v_cndmask_b32_e64 v54, 0, 1, vcc
	v_lshlrev_b32_e32 v54, 2, v54
	v_add_lshl_u32 v54, v54, v46, 2
	ds_bpermute_b32 v56, v54, v31
	v_add_u32_e32 v30, v37, v30
	ds_bpermute_b32 v37, v54, v30
	v_and_b32_e32 v57, 1, v36
	v_cmp_eq_u32_e32 vcc, 1, v57
	s_waitcnt lgkmcnt(1)
	v_and_b32_e32 v56, 1, v56
	v_add_u32_e32 v55, 4, v47
	v_cndmask_b32_e64 v56, v56, 1, vcc
	v_cmp_eq_u16_sdwa vcc, v36, v35 src0_sel:BYTE_0 src1_sel:DWORD
	v_and_b32_e32 v57, 0xffff, v56
	s_waitcnt lgkmcnt(0)
	v_cndmask_b32_e32 v37, 0, v37, vcc
	v_cmp_gt_u32_e32 vcc, v55, v33
	v_cndmask_b32_e32 v36, v56, v36, vcc
	v_cndmask_b32_e64 v37, v37, 0, vcc
	v_cndmask_b32_e32 v31, v57, v31, vcc
	v_cmp_gt_u32_e32 vcc, 56, v47
	v_cndmask_b32_e64 v56, 0, 1, vcc
	v_lshlrev_b32_e32 v56, 3, v56
	v_add_lshl_u32 v56, v56, v46, 2
	ds_bpermute_b32 v58, v56, v31
	v_add_u32_e32 v30, v37, v30
	ds_bpermute_b32 v37, v56, v30
	v_and_b32_e32 v59, 1, v36
	v_cmp_eq_u32_e32 vcc, 1, v59
	s_waitcnt lgkmcnt(1)
	v_and_b32_e32 v58, 1, v58
	;; [unrolled: 21-line block ×4, first 2 shown]
	v_add_u32_e32 v62, 32, v47
	v_cndmask_b32_e64 v31, v31, 1, vcc
	v_cmp_eq_u16_sdwa vcc, v36, v35 src0_sel:BYTE_0 src1_sel:DWORD
	s_waitcnt lgkmcnt(0)
	v_cndmask_b32_e32 v37, 0, v37, vcc
	v_cmp_gt_u32_e32 vcc, v62, v33
	v_cndmask_b32_e64 v33, v37, 0, vcc
	v_cndmask_b32_e32 v31, v31, v36, vcc
	v_add_u32_e32 v30, v33, v30
	s_branch .LBB770_96
.LBB770_95:                             ;   in Loop: Header=BB770_96 Depth=1
	s_or_b64 exec, exec, s[34:35]
	v_cmp_eq_u16_sdwa s[34:35], v32, v27 src0_sel:BYTE_0 src1_sel:DWORD
	v_and_b32_e32 v33, s35, v29
	ds_bpermute_b32 v37, v48, v31
	v_or_b32_e32 v33, 0x80000000, v33
	v_and_b32_e32 v36, s34, v28
	v_ffbl_b32_e32 v33, v33
	v_add_u32_e32 v33, 32, v33
	v_ffbl_b32_e32 v36, v36
	v_min_u32_e32 v33, v36, v33
	ds_bpermute_b32 v36, v48, v30
	v_and_b32_e32 v63, 1, v31
	s_waitcnt lgkmcnt(1)
	v_and_b32_e32 v37, 1, v37
	v_cmp_eq_u32_e32 vcc, 1, v63
	v_cndmask_b32_e64 v37, v37, 1, vcc
	v_cmp_gt_u64_e32 vcc, s[48:49], v[30:31]
	v_and_b32_e32 v63, 0xffff, v37
	v_cmp_lt_u32_e64 s[34:35], v47, v33
	v_cndmask_b32_e64 v37, v31, v37, s[34:35]
	v_cndmask_b32_e64 v31, v31, v63, s[34:35]
	s_and_b64 vcc, s[34:35], vcc
	ds_bpermute_b32 v63, v49, v31
	s_waitcnt lgkmcnt(1)
	v_cndmask_b32_e32 v36, 0, v36, vcc
	v_add_u32_e32 v30, v36, v30
	ds_bpermute_b32 v36, v49, v30
	v_and_b32_e32 v64, 1, v37
	s_waitcnt lgkmcnt(1)
	v_and_b32_e32 v63, 1, v63
	v_cmp_eq_u32_e32 vcc, 1, v64
	v_cndmask_b32_e64 v63, v63, 1, vcc
	v_cmp_eq_u16_sdwa vcc, v37, v35 src0_sel:BYTE_0 src1_sel:DWORD
	v_and_b32_e32 v64, 0xffff, v63
	s_waitcnt lgkmcnt(0)
	v_cndmask_b32_e32 v36, 0, v36, vcc
	v_cmp_gt_u32_e32 vcc, v53, v33
	v_cndmask_b32_e32 v31, v64, v31, vcc
	v_cndmask_b32_e32 v37, v63, v37, vcc
	ds_bpermute_b32 v63, v54, v31
	v_cndmask_b32_e64 v36, v36, 0, vcc
	v_add_u32_e32 v30, v36, v30
	ds_bpermute_b32 v36, v54, v30
	v_and_b32_e32 v64, 1, v37
	s_waitcnt lgkmcnt(1)
	v_and_b32_e32 v63, 1, v63
	v_cmp_eq_u32_e32 vcc, 1, v64
	v_cndmask_b32_e64 v63, v63, 1, vcc
	v_cmp_eq_u16_sdwa vcc, v37, v35 src0_sel:BYTE_0 src1_sel:DWORD
	v_and_b32_e32 v64, 0xffff, v63
	s_waitcnt lgkmcnt(0)
	v_cndmask_b32_e32 v36, 0, v36, vcc
	v_cmp_gt_u32_e32 vcc, v55, v33
	v_cndmask_b32_e32 v31, v64, v31, vcc
	v_cndmask_b32_e32 v37, v63, v37, vcc
	ds_bpermute_b32 v63, v56, v31
	v_cndmask_b32_e64 v36, v36, 0, vcc
	;; [unrolled: 16-line block ×3, first 2 shown]
	v_add_u32_e32 v30, v36, v30
	ds_bpermute_b32 v36, v58, v30
	v_and_b32_e32 v64, 1, v37
	s_waitcnt lgkmcnt(1)
	v_and_b32_e32 v63, 1, v63
	v_cmp_eq_u32_e32 vcc, 1, v64
	v_cndmask_b32_e64 v63, v63, 1, vcc
	v_cmp_eq_u16_sdwa vcc, v37, v35 src0_sel:BYTE_0 src1_sel:DWORD
	v_and_b32_e32 v64, 0xffff, v63
	s_waitcnt lgkmcnt(0)
	v_cndmask_b32_e32 v36, 0, v36, vcc
	v_cmp_gt_u32_e32 vcc, v59, v33
	v_cndmask_b32_e64 v36, v36, 0, vcc
	v_cndmask_b32_e32 v31, v64, v31, vcc
	ds_bpermute_b32 v31, v61, v31
	v_add_u32_e32 v30, v36, v30
	ds_bpermute_b32 v36, v61, v30
	v_cndmask_b32_e32 v37, v63, v37, vcc
	v_and_b32_e32 v63, 1, v37
	v_cmp_eq_u32_e32 vcc, 1, v63
	s_waitcnt lgkmcnt(1)
	v_cndmask_b32_e64 v31, v31, 1, vcc
	v_cmp_eq_u16_sdwa vcc, v37, v35 src0_sel:BYTE_0 src1_sel:DWORD
	s_waitcnt lgkmcnt(0)
	v_cndmask_b32_e32 v36, 0, v36, vcc
	v_cmp_gt_u32_e32 vcc, v62, v33
	v_cndmask_b32_e64 v33, v36, 0, vcc
	v_cndmask_b32_e32 v31, v31, v37, vcc
	v_add_u32_e32 v30, v33, v30
	v_cmp_eq_u16_sdwa vcc, v46, v35 src0_sel:BYTE_0 src1_sel:DWORD
	v_and_b32_e32 v33, 1, v46
	v_cndmask_b32_e32 v30, 0, v30, vcc
	v_and_b32_e32 v31, 1, v31
	v_cmp_eq_u32_e32 vcc, 1, v33
	v_subrev_u32_e32 v34, 64, v34
	v_add_u32_e32 v30, v30, v60
	v_cndmask_b32_e64 v31, v31, 1, vcc
.LBB770_96:                             ; =>This Loop Header: Depth=1
                                        ;     Child Loop BB770_99 Depth 2
                                        ;       Child Loop BB770_100 Depth 3
	v_cmp_ne_u16_sdwa s[34:35], v32, v27 src0_sel:BYTE_0 src1_sel:DWORD
	v_mov_b32_e32 v46, v31
	v_cndmask_b32_e64 v31, 0, 1, s[34:35]
	;;#ASMSTART
	;;#ASMEND
	v_cmp_ne_u32_e32 vcc, 0, v31
	s_cmp_lg_u64 vcc, exec
	v_mov_b32_e32 v60, v30
	s_cbranch_scc1 .LBB770_103
; %bb.97:                               ;   in Loop: Header=BB770_96 Depth=1
	v_lshlrev_b64 v[30:31], 4, v[34:35]
	v_mov_b32_e32 v32, s45
	v_add_co_u32_e32 v36, vcc, s44, v30
	v_addc_co_u32_e32 v37, vcc, v32, v31, vcc
	;;#ASMSTART
	global_load_dwordx4 v[30:33], v[36:37] off glc	
s_waitcnt vmcnt(0)
	;;#ASMEND
	v_and_b32_e32 v33, 0xff0000, v30
	v_or_b32_sdwa v33, v30, v33 dst_sel:DWORD dst_unused:UNUSED_PAD src0_sel:WORD_0 src1_sel:DWORD
	v_and_b32_e32 v30, 0xff000000, v30
	v_and_b32_e32 v31, 0xff, v31
	v_or3_b32 v31, 0, 0, v31
	v_or3_b32 v30, v33, v30, 0
	v_cmp_eq_u16_sdwa s[54:55], v32, v35 src0_sel:BYTE_0 src1_sel:DWORD
	s_and_saveexec_b64 s[34:35], s[54:55]
	s_cbranch_execz .LBB770_95
; %bb.98:                               ;   in Loop: Header=BB770_96 Depth=1
	s_mov_b32 s47, 1
	s_mov_b64 s[54:55], 0
.LBB770_99:                             ;   Parent Loop BB770_96 Depth=1
                                        ; =>  This Loop Header: Depth=2
                                        ;       Child Loop BB770_100 Depth 3
	s_max_u32 s56, s47, 1
.LBB770_100:                            ;   Parent Loop BB770_96 Depth=1
                                        ;     Parent Loop BB770_99 Depth=2
                                        ; =>    This Inner Loop Header: Depth=3
	s_add_i32 s56, s56, -1
	s_cmp_eq_u32 s56, 0
	s_sleep 1
	s_cbranch_scc0 .LBB770_100
; %bb.101:                              ;   in Loop: Header=BB770_99 Depth=2
	s_cmp_lt_u32 s47, 32
	s_cselect_b64 s[56:57], -1, 0
	s_cmp_lg_u64 s[56:57], 0
	s_addc_u32 s47, s47, 0
	;;#ASMSTART
	global_load_dwordx4 v[30:33], v[36:37] off glc	
s_waitcnt vmcnt(0)
	;;#ASMEND
	v_cmp_ne_u16_sdwa s[56:57], v32, v35 src0_sel:BYTE_0 src1_sel:DWORD
	s_or_b64 s[54:55], s[56:57], s[54:55]
	s_andn2_b64 exec, exec, s[54:55]
	s_cbranch_execnz .LBB770_99
; %bb.102:                              ;   in Loop: Header=BB770_96 Depth=1
	s_or_b64 exec, exec, s[54:55]
	v_and_b32_e32 v31, 0xff, v31
	s_branch .LBB770_95
.LBB770_103:                            ;   in Loop: Header=BB770_96 Depth=1
                                        ; implicit-def: $vgpr31
                                        ; implicit-def: $vgpr30
                                        ; implicit-def: $vgpr32
	s_cbranch_execz .LBB770_96
; %bb.104:
	s_and_saveexec_b64 s[34:35], s[28:29]
	s_cbranch_execz .LBB770_106
; %bb.105:
	s_and_b32 s47, s7, 0xff
	s_cmp_eq_u32 s47, 0
	s_cselect_b64 vcc, -1, 0
	s_bitcmp1_b32 s7, 0
	s_mov_b32 s49, 0
	s_cselect_b64 s[54:55], -1, 0
	s_add_i32 s48, s6, 64
	s_lshl_b64 s[6:7], s[48:49], 4
	v_cndmask_b32_e32 v27, 0, v60, vcc
	s_add_u32 s6, s44, s6
	v_add_u32_e32 v26, v27, v26
	v_and_b32_e32 v27, 1, v46
	s_addc_u32 s7, s45, s7
	v_mov_b32_e32 v29, 0
	v_cndmask_b32_e64 v27, v27, 1, s[54:55]
	v_mov_b32_e32 v28, 2
	v_pk_mov_b32 v[30:31], s[6:7], s[6:7] op_sel:[0,1]
	;;#ASMSTART
	global_store_dwordx4 v[30:31], v[26:29] off	
s_waitcnt vmcnt(0)
	;;#ASMEND
.LBB770_106:
	s_or_b64 exec, exec, s[34:35]
	v_cmp_eq_u32_e32 vcc, 0, v0
	s_and_b64 exec, exec, vcc
	s_cbranch_execz .LBB770_108
; %bb.107:
	v_mov_b32_e32 v26, 0
	ds_write_b32 v26, v60 offset:24
	ds_write_b8 v26, v46 offset:28
.LBB770_108:
	s_or_b64 exec, exec, s[40:41]
	s_mov_b32 s6, 0
	v_mov_b32_e32 v28, 0
	s_mov_b32 s7, 1
	s_waitcnt lgkmcnt(0)
	v_cndmask_b32_e64 v26, v45, v43, s[28:29]
	v_cndmask_b32_e64 v27, v44, v42, s[28:29]
	s_barrier
	ds_read_b32 v29, v28 offset:24
	v_cmp_gt_u64_e32 vcc, s[6:7], v[38:39]
	v_and_b32_e32 v30, 1, v39
	v_cndmask_b32_e32 v27, 0, v27, vcc
	v_and_b32_e32 v26, 1, v26
	v_cmp_eq_u32_e32 vcc, 1, v30
	v_cndmask_b32_e64 v26, v26, 1, vcc
	v_cmp_eq_u32_e32 vcc, 0, v0
	v_cndmask_b32_e32 v26, v26, v39, vcc
	v_cndmask_b32_e64 v27, v27, 0, vcc
	v_cmp_eq_u16_sdwa vcc, v26, v28 src0_sel:BYTE_0 src1_sel:DWORD
	s_waitcnt lgkmcnt(0)
	v_cndmask_b32_e32 v26, 0, v29, vcc
	v_add3_u32 v26, v27, v38, v26
	v_cndmask_b32_e64 v27, 0, v26, s[2:3]
	v_add_u32_e32 v27, v27, v2
	v_cndmask_b32_e64 v28, 0, v27, s[4:5]
	v_add_u32_e32 v42, v28, v4
	v_cndmask_b32_e64 v28, 0, v42, s[30:31]
	v_add_u32_e32 v43, v28, v6
	v_cndmask_b32_e64 v28, 0, v43, s[8:9]
	v_add_u32_e32 v30, v28, v8
	v_cndmask_b32_e64 v28, 0, v30, s[10:11]
	v_add_u32_e32 v31, v28, v10
	v_cndmask_b32_e64 v28, 0, v31, s[12:13]
	v_add_u32_e32 v44, v28, v12
	v_cndmask_b32_e64 v28, 0, v44, s[14:15]
	v_add_u32_e32 v45, v28, v14
	v_cndmask_b32_e64 v28, 0, v45, s[16:17]
	v_add_u32_e32 v34, v28, v16
	v_cndmask_b32_e64 v28, 0, v34, s[18:19]
	v_add_u32_e32 v35, v28, v18
	v_cndmask_b32_e64 v28, 0, v35, s[20:21]
	v_add_u32_e32 v46, v28, v20
	v_cndmask_b32_e64 v28, 0, v46, s[22:23]
	v_add_u32_e32 v47, v28, v22
	v_cndmask_b32_e64 v28, 0, v47, s[24:25]
	v_add_u32_e32 v48, v28, v24
	v_cndmask_b32_e64 v28, 0, v48, s[26:27]
	v_add_u32_e32 v49, v28, v40
	s_branch .LBB770_137
.LBB770_109:
	s_or_b64 exec, exec, s[30:31]
                                        ; implicit-def: $vgpr14
	s_and_saveexec_b64 s[30:31], s[2:3]
	s_cbranch_execz .LBB770_31
.LBB770_110:
	v_mov_b32_e32 v15, s47
	v_add_co_u32_e32 v14, vcc, s7, v12
	v_addc_co_u32_e32 v15, vcc, 0, v15, vcc
	flat_load_dword v14, v[14:15] offset:1024
	s_or_b64 exec, exec, s[30:31]
                                        ; implicit-def: $vgpr15
	s_and_saveexec_b64 s[2:3], s[4:5]
	s_cbranch_execnz .LBB770_32
.LBB770_111:
	s_or_b64 exec, exec, s[2:3]
                                        ; implicit-def: $vgpr16
	s_and_saveexec_b64 s[2:3], s[28:29]
	s_cbranch_execz .LBB770_33
.LBB770_112:
	v_mov_b32_e32 v17, s47
	v_add_co_u32_e32 v16, vcc, s7, v12
	v_addc_co_u32_e32 v17, vcc, 0, v17, vcc
	flat_load_dword v16, v[16:17] offset:3072
	s_or_b64 exec, exec, s[2:3]
                                        ; implicit-def: $vgpr17
	s_and_saveexec_b64 s[2:3], s[8:9]
	s_cbranch_execnz .LBB770_34
.LBB770_113:
	s_or_b64 exec, exec, s[2:3]
                                        ; implicit-def: $vgpr2
	s_and_saveexec_b64 s[2:3], s[10:11]
	s_cbranch_execz .LBB770_35
.LBB770_114:
	v_lshlrev_b32_e32 v2, 2, v3
	v_mov_b32_e32 v3, s47
	v_add_co_u32_e32 v2, vcc, s7, v2
	v_addc_co_u32_e32 v3, vcc, 0, v3, vcc
	flat_load_dword v2, v[2:3]
	s_or_b64 exec, exec, s[2:3]
                                        ; implicit-def: $vgpr3
	s_and_saveexec_b64 s[2:3], s[12:13]
	s_cbranch_execnz .LBB770_36
.LBB770_115:
	s_or_b64 exec, exec, s[2:3]
                                        ; implicit-def: $vgpr4
	s_and_saveexec_b64 s[2:3], s[14:15]
	s_cbranch_execz .LBB770_37
.LBB770_116:
	v_lshlrev_b32_e32 v4, 2, v5
	v_mov_b32_e32 v5, s47
	v_add_co_u32_e32 v4, vcc, s7, v4
	v_addc_co_u32_e32 v5, vcc, 0, v5, vcc
	flat_load_dword v4, v[4:5]
	s_or_b64 exec, exec, s[2:3]
                                        ; implicit-def: $vgpr5
	s_and_saveexec_b64 s[2:3], s[16:17]
	s_cbranch_execnz .LBB770_38
.LBB770_117:
	s_or_b64 exec, exec, s[2:3]
                                        ; implicit-def: $vgpr6
	s_and_saveexec_b64 s[2:3], s[18:19]
	s_cbranch_execz .LBB770_39
.LBB770_118:
	v_lshlrev_b32_e32 v6, 2, v7
	v_mov_b32_e32 v7, s47
	v_add_co_u32_e32 v6, vcc, s7, v6
	v_addc_co_u32_e32 v7, vcc, 0, v7, vcc
	flat_load_dword v6, v[6:7]
	s_or_b64 exec, exec, s[2:3]
                                        ; implicit-def: $vgpr7
	s_and_saveexec_b64 s[2:3], s[20:21]
	s_cbranch_execnz .LBB770_40
.LBB770_119:
	s_or_b64 exec, exec, s[2:3]
                                        ; implicit-def: $vgpr8
	s_and_saveexec_b64 s[2:3], s[22:23]
	s_cbranch_execz .LBB770_41
.LBB770_120:
	v_lshlrev_b32_e32 v8, 2, v9
	v_mov_b32_e32 v9, s47
	v_add_co_u32_e32 v8, vcc, s7, v8
	v_addc_co_u32_e32 v9, vcc, 0, v9, vcc
	flat_load_dword v8, v[8:9]
	s_or_b64 exec, exec, s[2:3]
                                        ; implicit-def: $vgpr9
	s_and_saveexec_b64 s[2:3], s[24:25]
	s_cbranch_execz .LBB770_43
	s_branch .LBB770_42
.LBB770_121:
                                        ; implicit-def: $vgpr49
                                        ; implicit-def: $vgpr47
                                        ; implicit-def: $vgpr45
                                        ; implicit-def: $vgpr43
                                        ; implicit-def: $vgpr34_vgpr35_vgpr36_vgpr37
                                        ; implicit-def: $vgpr30_vgpr31_vgpr32_vgpr33
                                        ; implicit-def: $vgpr26_vgpr27_vgpr28_vgpr29
	s_cbranch_execz .LBB770_137
; %bb.122:
	s_cmp_lg_u64 s[52:53], 0
	s_cselect_b32 s5, s51, 0
	s_cselect_b32 s4, s50, 0
	s_cmp_lg_u64 s[4:5], 0
	s_cselect_b64 s[6:7], -1, 0
	v_cmp_eq_u32_e32 vcc, 0, v0
	s_mov_b32 s28, 0
	v_cmp_ne_u32_e64 s[2:3], 0, v0
	s_and_b64 s[8:9], vcc, s[6:7]
	s_and_saveexec_b64 s[6:7], s[8:9]
	s_cbranch_execz .LBB770_124
; %bb.123:
	v_mov_b32_e32 v26, 0
	global_load_dword v28, v26, s[4:5]
	global_load_ubyte v29, v26, s[4:5] offset:4
	s_mov_b32 s29, 1
	v_and_b32_e32 v27, 1, v39
	v_cmp_gt_u64_e64 s[4:5], s[28:29], v[38:39]
	s_waitcnt vmcnt(1)
	v_cndmask_b32_e64 v28, 0, v28, s[4:5]
	s_waitcnt vmcnt(0)
	v_and_b32_e32 v29, 1, v29
	v_cmp_eq_u64_e64 s[4:5], 0, v[26:27]
	v_add_u32_e32 v38, v28, v38
	v_cndmask_b32_e64 v39, 1, v29, s[4:5]
.LBB770_124:
	s_or_b64 exec, exec, s[6:7]
	s_mov_b32 s29, 1
	v_cmp_gt_u64_e64 s[4:5], s[28:29], v[2:3]
	v_cndmask_b32_e64 v26, 0, v38, s[4:5]
	v_add_u32_e32 v27, v26, v2
	v_cmp_gt_u64_e64 s[6:7], s[28:29], v[4:5]
	v_cndmask_b32_e64 v26, 0, v27, s[6:7]
	v_add_u32_e32 v42, v26, v4
	;; [unrolled: 3-line block ×7, first 2 shown]
	v_cmp_gt_u64_e64 s[18:19], s[28:29], v[16:17]
	v_mov_b32_e32 v28, 0
	v_cndmask_b32_e64 v26, 0, v45, s[18:19]
	v_or3_b32 v7, v23, v15, v7
	v_add_u32_e32 v34, v26, v16
	v_cmp_gt_u64_e64 s[20:21], s[28:29], v[18:19]
	v_or3_b32 v9, v25, v17, v9
	v_and_b32_e32 v55, 1, v7
	v_mov_b32_e32 v54, v28
	v_cndmask_b32_e64 v26, 0, v34, s[20:21]
	v_or3_b32 v3, v19, v11, v3
	v_and_b32_e32 v37, 1, v9
	v_mov_b32_e32 v36, v28
	v_cmp_ne_u64_e64 s[34:35], 0, v[54:55]
	v_add_u32_e32 v35, v26, v18
	v_cmp_gt_u64_e64 s[22:23], s[28:29], v[20:21]
	v_or3_b32 v5, v21, v13, v5
	v_and_b32_e32 v29, 1, v3
	v_cndmask_b32_e64 v3, 0, 1, s[34:35]
	v_cmp_ne_u64_e64 s[34:35], 0, v[36:37]
	v_cndmask_b32_e64 v26, 0, v35, s[22:23]
	v_and_b32_e32 v33, 1, v5
	v_mov_b32_e32 v32, v28
	v_cndmask_b32_e64 v5, 0, 1, s[34:35]
	v_add_u32_e32 v46, v26, v20
	v_cmp_gt_u64_e64 s[24:25], s[28:29], v[22:23]
	v_lshlrev_b16_e32 v3, 2, v3
	v_lshlrev_b16_e32 v5, 3, v5
	v_cmp_ne_u64_e64 s[34:35], 0, v[32:33]
	v_cndmask_b32_e64 v26, 0, v46, s[24:25]
	v_or_b32_e32 v3, v5, v3
	v_cndmask_b32_e64 v5, 0, 1, s[34:35]
	v_cmp_ne_u64_e64 s[34:35], 0, v[28:29]
	v_add_u32_e32 v47, v26, v22
	v_cmp_gt_u64_e64 s[26:27], s[28:29], v[24:25]
	v_lshlrev_b16_e32 v5, 1, v5
	v_cndmask_b32_e64 v7, 0, 1, s[34:35]
	v_cndmask_b32_e64 v26, 0, v47, s[26:27]
	v_or_b32_e32 v5, v7, v5
	v_add_u32_e32 v48, v26, v24
	v_cmp_gt_u64_e64 s[28:29], s[28:29], v[40:41]
	v_and_b32_e32 v5, 3, v5
	v_cndmask_b32_e64 v26, 0, v48, s[28:29]
	v_or_b32_e32 v3, v5, v3
	v_add_u32_e32 v49, v26, v40
	v_and_b32_e32 v26, 1, v41
	v_and_b32_e32 v3, 15, v3
	v_cmp_eq_u32_e64 s[30:31], 1, v26
	v_cmp_ne_u16_e64 s[34:35], 0, v3
	s_or_b64 s[30:31], s[30:31], s[34:35]
	v_cndmask_b32_e64 v5, v39, 1, s[30:31]
	v_mbcnt_hi_u32_b32 v3, -1, v52
	v_mov_b32_dpp v9, v49 row_shr:1 row_mask:0xf bank_mask:0xf
	v_mov_b32_dpp v11, v5 row_shr:1 row_mask:0xf bank_mask:0xf
	v_cmp_eq_u32_e64 s[30:31], 0, v5
	v_and_b32_e32 v13, 1, v5
	v_and_b32_e32 v7, 15, v3
	v_cndmask_b32_e64 v9, 0, v9, s[30:31]
	v_and_b32_e32 v11, 1, v11
	v_cmp_eq_u32_e64 s[30:31], 1, v13
	v_cndmask_b32_e64 v11, v11, 1, s[30:31]
	v_cmp_eq_u32_e64 s[30:31], 0, v7
	v_cndmask_b32_e64 v5, v11, v5, s[30:31]
	v_and_b32_e32 v15, 1, v5
	v_cmp_eq_u32_e64 s[34:35], 1, v15
	v_mov_b32_dpp v13, v5 row_shr:2 row_mask:0xf bank_mask:0xf
	v_and_b32_e32 v13, 1, v13
	v_cndmask_b32_e64 v13, v13, 1, s[34:35]
	v_cmp_lt_u32_e64 s[34:35], 1, v7
	v_cndmask_b32_e64 v9, v9, 0, s[30:31]
	v_cmp_eq_u32_e64 s[30:31], 0, v5
	v_cndmask_b32_e64 v5, v5, v13, s[34:35]
	v_add_u32_e32 v9, v49, v9
	v_and_b32_e32 v15, 1, v5
	v_mov_b32_dpp v13, v5 row_shr:4 row_mask:0xf bank_mask:0xf
	v_mov_b32_dpp v11, v9 row_shr:2 row_mask:0xf bank_mask:0xf
	s_and_b64 s[30:31], s[34:35], s[30:31]
	v_and_b32_e32 v13, 1, v13
	v_cmp_eq_u32_e64 s[34:35], 1, v15
	v_cndmask_b32_e64 v11, 0, v11, s[30:31]
	v_cndmask_b32_e64 v13, v13, 1, s[34:35]
	v_cmp_lt_u32_e64 s[34:35], 3, v7
	v_add_u32_e32 v9, v9, v11
	v_cmp_eq_u32_e64 s[30:31], 0, v5
	v_cndmask_b32_e64 v5, v5, v13, s[34:35]
	v_mov_b32_dpp v11, v9 row_shr:4 row_mask:0xf bank_mask:0xf
	s_and_b64 s[30:31], s[34:35], s[30:31]
	v_mov_b32_dpp v13, v5 row_shr:8 row_mask:0xf bank_mask:0xf
	v_and_b32_e32 v15, 1, v5
	v_cndmask_b32_e64 v11, 0, v11, s[30:31]
	v_and_b32_e32 v13, 1, v13
	v_cmp_eq_u32_e64 s[34:35], 1, v15
	v_add_u32_e32 v9, v9, v11
	v_cmp_eq_u32_e64 s[30:31], 0, v5
	v_cndmask_b32_e64 v13, v13, 1, s[34:35]
	v_cmp_lt_u32_e64 s[34:35], 7, v7
	v_mov_b32_dpp v11, v9 row_shr:8 row_mask:0xf bank_mask:0xf
	s_and_b64 s[30:31], s[34:35], s[30:31]
	v_cndmask_b32_e64 v7, 0, v11, s[30:31]
	v_cndmask_b32_e64 v5, v5, v13, s[34:35]
	v_add_u32_e32 v7, v9, v7
	v_cmp_eq_u32_e64 s[30:31], 0, v5
	v_mov_b32_dpp v11, v5 row_bcast:15 row_mask:0xf bank_mask:0xf
	v_mov_b32_dpp v9, v7 row_bcast:15 row_mask:0xf bank_mask:0xf
	v_and_b32_e32 v17, 1, v5
	v_and_b32_e32 v15, 16, v3
	v_cndmask_b32_e64 v9, 0, v9, s[30:31]
	v_and_b32_e32 v11, 1, v11
	v_cmp_eq_u32_e64 s[30:31], 1, v17
	v_bfe_i32 v13, v3, 4, 1
	v_cndmask_b32_e64 v11, v11, 1, s[30:31]
	v_cmp_eq_u32_e64 s[30:31], 0, v15
	v_and_b32_e32 v9, v13, v9
	v_cndmask_b32_e64 v5, v11, v5, s[30:31]
	v_add_u32_e32 v9, v7, v9
	v_and_b32_e32 v13, 1, v5
	v_mov_b32_dpp v7, v5 row_bcast:31 row_mask:0xf bank_mask:0xf
	v_and_b32_e32 v7, 1, v7
	v_cmp_eq_u32_e64 s[34:35], 1, v13
	v_cmp_eq_u32_e64 s[30:31], 0, v5
	v_cndmask_b32_e64 v7, v7, 1, s[34:35]
	v_cmp_lt_u32_e64 s[34:35], 31, v3
	v_mov_b32_dpp v11, v9 row_bcast:31 row_mask:0xf bank_mask:0xf
	s_and_b64 s[30:31], s[34:35], s[30:31]
	v_cndmask_b32_e64 v7, v5, v7, s[34:35]
	v_cndmask_b32_e64 v5, 0, v11, s[30:31]
	v_add_u32_e32 v5, v9, v5
	v_cmp_eq_u32_e64 s[30:31], v51, v0
	s_and_saveexec_b64 s[34:35], s[30:31]
	s_cbranch_execz .LBB770_126
; %bb.125:
	v_lshlrev_b32_e32 v9, 3, v1
	ds_write_b32 v9, v5
	ds_write_b8 v9, v7 offset:4
.LBB770_126:
	s_or_b64 exec, exec, s[34:35]
	v_cmp_gt_u32_e64 s[30:31], 4, v0
	s_waitcnt lgkmcnt(0)
	s_barrier
	s_and_saveexec_b64 s[34:35], s[30:31]
	s_cbranch_execz .LBB770_130
; %bb.127:
	v_lshlrev_b32_e32 v9, 3, v0
	ds_read_b64 v[28:29], v9
	v_and_b32_e32 v11, 3, v3
	v_cmp_ne_u32_e64 s[30:31], 0, v11
	s_waitcnt lgkmcnt(0)
	v_mov_b32_dpp v13, v28 row_shr:1 row_mask:0xf bank_mask:0xf
	v_mov_b32_dpp v17, v29 row_shr:1 row_mask:0xf bank_mask:0xf
	v_mov_b32_e32 v15, v29
	s_and_saveexec_b64 s[40:41], s[30:31]
	s_cbranch_execz .LBB770_129
; %bb.128:
	v_and_b32_e32 v15, 1, v29
	v_and_b32_e32 v17, 1, v17
	v_cmp_eq_u32_e64 s[30:31], 1, v15
	v_mov_b32_e32 v15, 0
	v_cndmask_b32_e64 v17, v17, 1, s[30:31]
	v_cmp_eq_u16_sdwa s[30:31], v29, v15 src0_sel:BYTE_0 src1_sel:DWORD
	v_cndmask_b32_e64 v13, 0, v13, s[30:31]
	v_add_u32_e32 v28, v13, v28
	v_and_b32_e32 v13, 0xffff, v17
	s_movk_i32 s30, 0xff00
	v_and_or_b32 v15, v29, s30, v13
	v_mov_b32_e32 v29, v17
.LBB770_129:
	s_or_b64 exec, exec, s[40:41]
	v_mov_b32_dpp v15, v15 row_shr:2 row_mask:0xf bank_mask:0xf
	v_and_b32_e32 v17, 1, v29
	v_and_b32_e32 v15, 1, v15
	v_cmp_eq_u32_e64 s[30:31], 1, v17
	v_mov_b32_e32 v17, 0
	v_cndmask_b32_e64 v15, v15, 1, s[30:31]
	v_cmp_eq_u16_sdwa s[40:41], v29, v17 src0_sel:BYTE_0 src1_sel:DWORD
	v_cmp_lt_u32_e64 s[30:31], 1, v11
	v_mov_b32_dpp v13, v28 row_shr:2 row_mask:0xf bank_mask:0xf
	v_cndmask_b32_e64 v11, v29, v15, s[30:31]
	s_and_b64 s[30:31], s[30:31], s[40:41]
	v_cndmask_b32_e64 v13, 0, v13, s[30:31]
	v_add_u32_e32 v13, v13, v28
	ds_write_b32 v9, v13
	ds_write_b8 v9, v11 offset:4
.LBB770_130:
	s_or_b64 exec, exec, s[34:35]
	v_cmp_lt_u32_e64 s[30:31], 63, v0
	v_mov_b32_e32 v9, 0
	s_waitcnt lgkmcnt(0)
	s_barrier
	s_and_saveexec_b64 s[34:35], s[30:31]
	s_cbranch_execz .LBB770_132
; %bb.131:
	v_lshl_add_u32 v1, v1, 3, -8
	ds_read_b32 v9, v1
	v_cmp_eq_u32_e64 s[30:31], 0, v7
	s_waitcnt lgkmcnt(0)
	v_cndmask_b32_e64 v1, 0, v9, s[30:31]
	v_add_u32_e32 v5, v1, v5
.LBB770_132:
	s_or_b64 exec, exec, s[34:35]
	v_add_u32_e32 v1, -1, v3
	v_and_b32_e32 v7, 64, v3
	v_cmp_lt_i32_e64 s[30:31], v1, v7
	v_cndmask_b32_e64 v1, v1, v3, s[30:31]
	v_lshlrev_b32_e32 v1, 2, v1
	ds_bpermute_b32 v1, v1, v5
	s_and_saveexec_b64 s[30:31], s[2:3]
	s_cbranch_execz .LBB770_134
; %bb.133:
	v_and_b32_e32 v27, 0xff, v39
	v_mov_b32_e32 v26, 0
	v_cmp_eq_u32_e64 s[2:3], 0, v3
	s_waitcnt lgkmcnt(0)
	v_cndmask_b32_e64 v1, v1, v9, s[2:3]
	v_cmp_eq_u64_e64 s[2:3], 0, v[26:27]
	v_cndmask_b32_e64 v1, 0, v1, s[2:3]
	v_add_u32_e32 v38, v1, v38
	v_cndmask_b32_e64 v1, 0, v38, s[4:5]
	v_add_u32_e32 v27, v1, v2
	;; [unrolled: 2-line block ×14, first 2 shown]
	;;#ASMSTART
	;;#ASMEND
.LBB770_134:
	s_or_b64 exec, exec, s[30:31]
	s_and_saveexec_b64 s[2:3], vcc
	s_cbranch_execz .LBB770_136
; %bb.135:
	v_mov_b32_e32 v5, 0
	ds_read_b32 v2, v5 offset:24
	ds_read_u8 v3, v5 offset:28
	s_add_u32 s4, s44, 0x400
	s_addc_u32 s5, s45, 0
	v_mov_b32_e32 v4, 2
	v_pk_mov_b32 v[6:7], s[4:5], s[4:5] op_sel:[0,1]
	s_waitcnt lgkmcnt(0)
	;;#ASMSTART
	global_store_dwordx4 v[6:7], v[2:5] off	
s_waitcnt vmcnt(0)
	;;#ASMEND
.LBB770_136:
	s_or_b64 exec, exec, s[2:3]
	v_mov_b32_e32 v26, v38
.LBB770_137:
	s_add_u32 s2, s42, s38
	s_addc_u32 s3, s43, s39
	s_add_u32 s4, s2, s36
	s_waitcnt lgkmcnt(0)
	v_mul_u32_u24_e32 v1, 14, v0
	s_addc_u32 s5, s3, s37
	s_and_b64 vcc, exec, s[0:1]
	v_lshlrev_b32_e32 v2, 2, v1
	s_cbranch_vccz .LBB770_165
; %bb.138:
	s_movk_i32 s0, 0xffcc
	v_mad_i32_i24 v3, v0, s0, v2
	s_barrier
	ds_write2_b64 v2, v[26:27], v[42:43] offset1:1
	ds_write2_b64 v2, v[30:31], v[44:45] offset0:2 offset1:3
	ds_write2_b64 v2, v[34:35], v[46:47] offset0:4 offset1:5
	ds_write_b64 v2, v[48:49] offset:48
	s_waitcnt lgkmcnt(0)
	s_barrier
	ds_read2st64_b32 v[16:17], v3 offset0:4 offset1:8
	ds_read2st64_b32 v[14:15], v3 offset0:12 offset1:16
	;; [unrolled: 1-line block ×6, first 2 shown]
	ds_read_b32 v3, v3 offset:13312
	v_mov_b32_e32 v7, s5
	v_add_co_u32_e32 v6, vcc, s4, v50
	s_add_i32 s33, s33, s46
	v_addc_co_u32_e32 v7, vcc, 0, v7, vcc
	v_mov_b32_e32 v1, 0
	v_cmp_gt_u32_e32 vcc, s33, v0
	s_and_saveexec_b64 s[0:1], vcc
	s_cbranch_execz .LBB770_140
; %bb.139:
	v_mul_i32_i24_e32 v18, 0xffffffcc, v0
	v_add_u32_e32 v18, v2, v18
	ds_read_b32 v18, v18
	s_waitcnt lgkmcnt(0)
	flat_store_dword v[6:7], v18
.LBB770_140:
	s_or_b64 exec, exec, s[0:1]
	v_or_b32_e32 v18, 0x100, v0
	v_cmp_gt_u32_e32 vcc, s33, v18
	s_and_saveexec_b64 s[0:1], vcc
	s_cbranch_execz .LBB770_142
; %bb.141:
	s_waitcnt lgkmcnt(0)
	flat_store_dword v[6:7], v16 offset:1024
.LBB770_142:
	s_or_b64 exec, exec, s[0:1]
	s_waitcnt lgkmcnt(0)
	v_or_b32_e32 v16, 0x200, v0
	v_cmp_gt_u32_e32 vcc, s33, v16
	s_and_saveexec_b64 s[0:1], vcc
	s_cbranch_execz .LBB770_144
; %bb.143:
	flat_store_dword v[6:7], v17 offset:2048
.LBB770_144:
	s_or_b64 exec, exec, s[0:1]
	v_or_b32_e32 v16, 0x300, v0
	v_cmp_gt_u32_e32 vcc, s33, v16
	s_and_saveexec_b64 s[0:1], vcc
	s_cbranch_execz .LBB770_146
; %bb.145:
	flat_store_dword v[6:7], v14 offset:3072
.LBB770_146:
	s_or_b64 exec, exec, s[0:1]
	v_or_b32_e32 v14, 0x400, v0
	v_cmp_gt_u32_e32 vcc, s33, v14
	s_and_saveexec_b64 s[0:1], vcc
	s_cbranch_execz .LBB770_148
; %bb.147:
	v_add_co_u32_e32 v16, vcc, 0x1000, v6
	v_addc_co_u32_e32 v17, vcc, 0, v7, vcc
	flat_store_dword v[16:17], v15
.LBB770_148:
	s_or_b64 exec, exec, s[0:1]
	v_or_b32_e32 v14, 0x500, v0
	v_cmp_gt_u32_e32 vcc, s33, v14
	s_and_saveexec_b64 s[0:1], vcc
	s_cbranch_execz .LBB770_150
; %bb.149:
	v_add_co_u32_e32 v14, vcc, 0x1000, v6
	v_addc_co_u32_e32 v15, vcc, 0, v7, vcc
	flat_store_dword v[14:15], v12 offset:1024
.LBB770_150:
	s_or_b64 exec, exec, s[0:1]
	v_or_b32_e32 v12, 0x600, v0
	v_cmp_gt_u32_e32 vcc, s33, v12
	s_and_saveexec_b64 s[0:1], vcc
	s_cbranch_execz .LBB770_152
; %bb.151:
	v_add_co_u32_e32 v14, vcc, 0x1000, v6
	v_addc_co_u32_e32 v15, vcc, 0, v7, vcc
	flat_store_dword v[14:15], v13 offset:2048
.LBB770_152:
	;; [unrolled: 10-line block ×3, first 2 shown]
	s_or_b64 exec, exec, s[0:1]
	v_or_b32_e32 v10, 0x800, v0
	v_cmp_gt_u32_e32 vcc, s33, v10
	s_and_saveexec_b64 s[0:1], vcc
	s_cbranch_execz .LBB770_156
; %bb.155:
	v_add_co_u32_e32 v12, vcc, 0x2000, v6
	v_addc_co_u32_e32 v13, vcc, 0, v7, vcc
	flat_store_dword v[12:13], v11
.LBB770_156:
	s_or_b64 exec, exec, s[0:1]
	v_or_b32_e32 v10, 0x900, v0
	v_cmp_gt_u32_e32 vcc, s33, v10
	s_and_saveexec_b64 s[0:1], vcc
	s_cbranch_execz .LBB770_158
; %bb.157:
	v_add_co_u32_e32 v10, vcc, 0x2000, v6
	v_addc_co_u32_e32 v11, vcc, 0, v7, vcc
	flat_store_dword v[10:11], v8 offset:1024
.LBB770_158:
	s_or_b64 exec, exec, s[0:1]
	v_or_b32_e32 v8, 0xa00, v0
	v_cmp_gt_u32_e32 vcc, s33, v8
	s_and_saveexec_b64 s[0:1], vcc
	s_cbranch_execz .LBB770_160
; %bb.159:
	v_add_co_u32_e32 v10, vcc, 0x2000, v6
	v_addc_co_u32_e32 v11, vcc, 0, v7, vcc
	flat_store_dword v[10:11], v9 offset:2048
.LBB770_160:
	s_or_b64 exec, exec, s[0:1]
	v_or_b32_e32 v8, 0xb00, v0
	v_cmp_gt_u32_e32 vcc, s33, v8
	s_and_saveexec_b64 s[0:1], vcc
	s_cbranch_execz .LBB770_162
; %bb.161:
	v_add_co_u32_e32 v8, vcc, 0x2000, v6
	v_addc_co_u32_e32 v9, vcc, 0, v7, vcc
	flat_store_dword v[8:9], v4 offset:3072
.LBB770_162:
	s_or_b64 exec, exec, s[0:1]
	v_or_b32_e32 v4, 0xc00, v0
	v_cmp_gt_u32_e32 vcc, s33, v4
	s_and_saveexec_b64 s[0:1], vcc
	s_cbranch_execz .LBB770_164
; %bb.163:
	v_add_co_u32_e32 v6, vcc, 0x3000, v6
	v_addc_co_u32_e32 v7, vcc, 0, v7, vcc
	flat_store_dword v[6:7], v5
.LBB770_164:
	s_or_b64 exec, exec, s[0:1]
	v_or_b32_e32 v4, 0xd00, v0
	v_cmp_gt_u32_e64 s[0:1], s33, v4
	s_branch .LBB770_167
.LBB770_165:
	s_mov_b64 s[0:1], 0
                                        ; implicit-def: $vgpr3
	s_cbranch_execz .LBB770_167
; %bb.166:
	s_movk_i32 s2, 0xffcc
	s_waitcnt lgkmcnt(0)
	s_barrier
	ds_write2_b64 v2, v[26:27], v[42:43] offset1:1
	ds_write2_b64 v2, v[30:31], v[44:45] offset0:2 offset1:3
	ds_write2_b64 v2, v[34:35], v[46:47] offset0:4 offset1:5
	ds_write_b64 v2, v[48:49] offset:48
	v_mad_i32_i24 v2, v0, s2, v2
	v_mov_b32_e32 v17, s5
	v_add_co_u32_e32 v16, vcc, s4, v50
	s_waitcnt lgkmcnt(0)
	s_barrier
	ds_read2st64_b32 v[4:5], v2 offset1:4
	ds_read2st64_b32 v[6:7], v2 offset0:8 offset1:12
	ds_read2st64_b32 v[8:9], v2 offset0:16 offset1:20
	;; [unrolled: 1-line block ×6, first 2 shown]
	v_addc_co_u32_e32 v17, vcc, 0, v17, vcc
	s_movk_i32 s2, 0x1000
	s_waitcnt lgkmcnt(0)
	flat_store_dword v[16:17], v4
	flat_store_dword v[16:17], v5 offset:1024
	flat_store_dword v[16:17], v6 offset:2048
	;; [unrolled: 1-line block ×3, first 2 shown]
	v_add_co_u32_e32 v4, vcc, s2, v16
	v_addc_co_u32_e32 v5, vcc, 0, v17, vcc
	flat_store_dword v[4:5], v8
	flat_store_dword v[4:5], v9 offset:1024
	flat_store_dword v[4:5], v10 offset:2048
	;; [unrolled: 1-line block ×3, first 2 shown]
	v_add_co_u32_e32 v4, vcc, 0x2000, v16
	v_addc_co_u32_e32 v5, vcc, 0, v17, vcc
	flat_store_dword v[4:5], v12
	flat_store_dword v[4:5], v13 offset:1024
	flat_store_dword v[4:5], v14 offset:2048
	flat_store_dword v[4:5], v15 offset:3072
	v_add_co_u32_e32 v4, vcc, 0x3000, v16
	v_mov_b32_e32 v1, 0
	v_addc_co_u32_e32 v5, vcc, 0, v17, vcc
	s_or_b64 s[0:1], s[0:1], exec
	flat_store_dword v[4:5], v2
.LBB770_167:
	s_and_saveexec_b64 s[2:3], s[0:1]
	s_cbranch_execz .LBB770_169
; %bb.168:
	v_lshlrev_b64 v[0:1], 2, v[0:1]
	v_mov_b32_e32 v2, s5
	v_add_co_u32_e32 v0, vcc, s4, v0
	v_addc_co_u32_e32 v1, vcc, v2, v1, vcc
	v_add_co_u32_e32 v0, vcc, 0x3000, v0
	v_addc_co_u32_e32 v1, vcc, 0, v1, vcc
	flat_store_dword v[0:1], v3 offset:1024
	s_endpgm
.LBB770_169:
	s_endpgm
	.section	.rodata,"a",@progbits
	.p2align	6, 0x0
	.amdhsa_kernel _ZN7rocprim17ROCPRIM_400000_NS6detail17trampoline_kernelINS0_14default_configENS1_27scan_by_key_config_selectorIiiEEZZNS1_16scan_by_key_implILNS1_25lookback_scan_determinismE0ELb0ES3_N6thrust23THRUST_200600_302600_NS6detail15normal_iteratorINS9_10device_ptrIiEEEESE_SE_iNS9_4plusIiEE19head_flag_predicateiEE10hipError_tPvRmT2_T3_T4_T5_mT6_T7_P12ihipStream_tbENKUlT_T0_E_clISt17integral_constantIbLb1EESX_IbLb0EEEEDaST_SU_EUlST_E_NS1_11comp_targetILNS1_3genE4ELNS1_11target_archE910ELNS1_3gpuE8ELNS1_3repE0EEENS1_30default_config_static_selectorELNS0_4arch9wavefront6targetE1EEEvT1_
		.amdhsa_group_segment_fixed_size 16384
		.amdhsa_private_segment_fixed_size 0
		.amdhsa_kernarg_size 112
		.amdhsa_user_sgpr_count 6
		.amdhsa_user_sgpr_private_segment_buffer 1
		.amdhsa_user_sgpr_dispatch_ptr 0
		.amdhsa_user_sgpr_queue_ptr 0
		.amdhsa_user_sgpr_kernarg_segment_ptr 1
		.amdhsa_user_sgpr_dispatch_id 0
		.amdhsa_user_sgpr_flat_scratch_init 0
		.amdhsa_user_sgpr_kernarg_preload_length 0
		.amdhsa_user_sgpr_kernarg_preload_offset 0
		.amdhsa_user_sgpr_private_segment_size 0
		.amdhsa_uses_dynamic_stack 0
		.amdhsa_system_sgpr_private_segment_wavefront_offset 0
		.amdhsa_system_sgpr_workgroup_id_x 1
		.amdhsa_system_sgpr_workgroup_id_y 0
		.amdhsa_system_sgpr_workgroup_id_z 0
		.amdhsa_system_sgpr_workgroup_info 0
		.amdhsa_system_vgpr_workitem_id 0
		.amdhsa_next_free_vgpr 65
		.amdhsa_next_free_sgpr 60
		.amdhsa_accum_offset 68
		.amdhsa_reserve_vcc 1
		.amdhsa_reserve_flat_scratch 0
		.amdhsa_float_round_mode_32 0
		.amdhsa_float_round_mode_16_64 0
		.amdhsa_float_denorm_mode_32 3
		.amdhsa_float_denorm_mode_16_64 3
		.amdhsa_dx10_clamp 1
		.amdhsa_ieee_mode 1
		.amdhsa_fp16_overflow 0
		.amdhsa_tg_split 0
		.amdhsa_exception_fp_ieee_invalid_op 0
		.amdhsa_exception_fp_denorm_src 0
		.amdhsa_exception_fp_ieee_div_zero 0
		.amdhsa_exception_fp_ieee_overflow 0
		.amdhsa_exception_fp_ieee_underflow 0
		.amdhsa_exception_fp_ieee_inexact 0
		.amdhsa_exception_int_div_zero 0
	.end_amdhsa_kernel
	.section	.text._ZN7rocprim17ROCPRIM_400000_NS6detail17trampoline_kernelINS0_14default_configENS1_27scan_by_key_config_selectorIiiEEZZNS1_16scan_by_key_implILNS1_25lookback_scan_determinismE0ELb0ES3_N6thrust23THRUST_200600_302600_NS6detail15normal_iteratorINS9_10device_ptrIiEEEESE_SE_iNS9_4plusIiEE19head_flag_predicateiEE10hipError_tPvRmT2_T3_T4_T5_mT6_T7_P12ihipStream_tbENKUlT_T0_E_clISt17integral_constantIbLb1EESX_IbLb0EEEEDaST_SU_EUlST_E_NS1_11comp_targetILNS1_3genE4ELNS1_11target_archE910ELNS1_3gpuE8ELNS1_3repE0EEENS1_30default_config_static_selectorELNS0_4arch9wavefront6targetE1EEEvT1_,"axG",@progbits,_ZN7rocprim17ROCPRIM_400000_NS6detail17trampoline_kernelINS0_14default_configENS1_27scan_by_key_config_selectorIiiEEZZNS1_16scan_by_key_implILNS1_25lookback_scan_determinismE0ELb0ES3_N6thrust23THRUST_200600_302600_NS6detail15normal_iteratorINS9_10device_ptrIiEEEESE_SE_iNS9_4plusIiEE19head_flag_predicateiEE10hipError_tPvRmT2_T3_T4_T5_mT6_T7_P12ihipStream_tbENKUlT_T0_E_clISt17integral_constantIbLb1EESX_IbLb0EEEEDaST_SU_EUlST_E_NS1_11comp_targetILNS1_3genE4ELNS1_11target_archE910ELNS1_3gpuE8ELNS1_3repE0EEENS1_30default_config_static_selectorELNS0_4arch9wavefront6targetE1EEEvT1_,comdat
.Lfunc_end770:
	.size	_ZN7rocprim17ROCPRIM_400000_NS6detail17trampoline_kernelINS0_14default_configENS1_27scan_by_key_config_selectorIiiEEZZNS1_16scan_by_key_implILNS1_25lookback_scan_determinismE0ELb0ES3_N6thrust23THRUST_200600_302600_NS6detail15normal_iteratorINS9_10device_ptrIiEEEESE_SE_iNS9_4plusIiEE19head_flag_predicateiEE10hipError_tPvRmT2_T3_T4_T5_mT6_T7_P12ihipStream_tbENKUlT_T0_E_clISt17integral_constantIbLb1EESX_IbLb0EEEEDaST_SU_EUlST_E_NS1_11comp_targetILNS1_3genE4ELNS1_11target_archE910ELNS1_3gpuE8ELNS1_3repE0EEENS1_30default_config_static_selectorELNS0_4arch9wavefront6targetE1EEEvT1_, .Lfunc_end770-_ZN7rocprim17ROCPRIM_400000_NS6detail17trampoline_kernelINS0_14default_configENS1_27scan_by_key_config_selectorIiiEEZZNS1_16scan_by_key_implILNS1_25lookback_scan_determinismE0ELb0ES3_N6thrust23THRUST_200600_302600_NS6detail15normal_iteratorINS9_10device_ptrIiEEEESE_SE_iNS9_4plusIiEE19head_flag_predicateiEE10hipError_tPvRmT2_T3_T4_T5_mT6_T7_P12ihipStream_tbENKUlT_T0_E_clISt17integral_constantIbLb1EESX_IbLb0EEEEDaST_SU_EUlST_E_NS1_11comp_targetILNS1_3genE4ELNS1_11target_archE910ELNS1_3gpuE8ELNS1_3repE0EEENS1_30default_config_static_selectorELNS0_4arch9wavefront6targetE1EEEvT1_
                                        ; -- End function
	.section	.AMDGPU.csdata,"",@progbits
; Kernel info:
; codeLenInByte = 10856
; NumSgprs: 64
; NumVgprs: 65
; NumAgprs: 0
; TotalNumVgprs: 65
; ScratchSize: 0
; MemoryBound: 0
; FloatMode: 240
; IeeeMode: 1
; LDSByteSize: 16384 bytes/workgroup (compile time only)
; SGPRBlocks: 7
; VGPRBlocks: 8
; NumSGPRsForWavesPerEU: 64
; NumVGPRsForWavesPerEU: 65
; AccumOffset: 68
; Occupancy: 4
; WaveLimiterHint : 1
; COMPUTE_PGM_RSRC2:SCRATCH_EN: 0
; COMPUTE_PGM_RSRC2:USER_SGPR: 6
; COMPUTE_PGM_RSRC2:TRAP_HANDLER: 0
; COMPUTE_PGM_RSRC2:TGID_X_EN: 1
; COMPUTE_PGM_RSRC2:TGID_Y_EN: 0
; COMPUTE_PGM_RSRC2:TGID_Z_EN: 0
; COMPUTE_PGM_RSRC2:TIDIG_COMP_CNT: 0
; COMPUTE_PGM_RSRC3_GFX90A:ACCUM_OFFSET: 16
; COMPUTE_PGM_RSRC3_GFX90A:TG_SPLIT: 0
	.section	.text._ZN7rocprim17ROCPRIM_400000_NS6detail17trampoline_kernelINS0_14default_configENS1_27scan_by_key_config_selectorIiiEEZZNS1_16scan_by_key_implILNS1_25lookback_scan_determinismE0ELb0ES3_N6thrust23THRUST_200600_302600_NS6detail15normal_iteratorINS9_10device_ptrIiEEEESE_SE_iNS9_4plusIiEE19head_flag_predicateiEE10hipError_tPvRmT2_T3_T4_T5_mT6_T7_P12ihipStream_tbENKUlT_T0_E_clISt17integral_constantIbLb1EESX_IbLb0EEEEDaST_SU_EUlST_E_NS1_11comp_targetILNS1_3genE3ELNS1_11target_archE908ELNS1_3gpuE7ELNS1_3repE0EEENS1_30default_config_static_selectorELNS0_4arch9wavefront6targetE1EEEvT1_,"axG",@progbits,_ZN7rocprim17ROCPRIM_400000_NS6detail17trampoline_kernelINS0_14default_configENS1_27scan_by_key_config_selectorIiiEEZZNS1_16scan_by_key_implILNS1_25lookback_scan_determinismE0ELb0ES3_N6thrust23THRUST_200600_302600_NS6detail15normal_iteratorINS9_10device_ptrIiEEEESE_SE_iNS9_4plusIiEE19head_flag_predicateiEE10hipError_tPvRmT2_T3_T4_T5_mT6_T7_P12ihipStream_tbENKUlT_T0_E_clISt17integral_constantIbLb1EESX_IbLb0EEEEDaST_SU_EUlST_E_NS1_11comp_targetILNS1_3genE3ELNS1_11target_archE908ELNS1_3gpuE7ELNS1_3repE0EEENS1_30default_config_static_selectorELNS0_4arch9wavefront6targetE1EEEvT1_,comdat
	.protected	_ZN7rocprim17ROCPRIM_400000_NS6detail17trampoline_kernelINS0_14default_configENS1_27scan_by_key_config_selectorIiiEEZZNS1_16scan_by_key_implILNS1_25lookback_scan_determinismE0ELb0ES3_N6thrust23THRUST_200600_302600_NS6detail15normal_iteratorINS9_10device_ptrIiEEEESE_SE_iNS9_4plusIiEE19head_flag_predicateiEE10hipError_tPvRmT2_T3_T4_T5_mT6_T7_P12ihipStream_tbENKUlT_T0_E_clISt17integral_constantIbLb1EESX_IbLb0EEEEDaST_SU_EUlST_E_NS1_11comp_targetILNS1_3genE3ELNS1_11target_archE908ELNS1_3gpuE7ELNS1_3repE0EEENS1_30default_config_static_selectorELNS0_4arch9wavefront6targetE1EEEvT1_ ; -- Begin function _ZN7rocprim17ROCPRIM_400000_NS6detail17trampoline_kernelINS0_14default_configENS1_27scan_by_key_config_selectorIiiEEZZNS1_16scan_by_key_implILNS1_25lookback_scan_determinismE0ELb0ES3_N6thrust23THRUST_200600_302600_NS6detail15normal_iteratorINS9_10device_ptrIiEEEESE_SE_iNS9_4plusIiEE19head_flag_predicateiEE10hipError_tPvRmT2_T3_T4_T5_mT6_T7_P12ihipStream_tbENKUlT_T0_E_clISt17integral_constantIbLb1EESX_IbLb0EEEEDaST_SU_EUlST_E_NS1_11comp_targetILNS1_3genE3ELNS1_11target_archE908ELNS1_3gpuE7ELNS1_3repE0EEENS1_30default_config_static_selectorELNS0_4arch9wavefront6targetE1EEEvT1_
	.globl	_ZN7rocprim17ROCPRIM_400000_NS6detail17trampoline_kernelINS0_14default_configENS1_27scan_by_key_config_selectorIiiEEZZNS1_16scan_by_key_implILNS1_25lookback_scan_determinismE0ELb0ES3_N6thrust23THRUST_200600_302600_NS6detail15normal_iteratorINS9_10device_ptrIiEEEESE_SE_iNS9_4plusIiEE19head_flag_predicateiEE10hipError_tPvRmT2_T3_T4_T5_mT6_T7_P12ihipStream_tbENKUlT_T0_E_clISt17integral_constantIbLb1EESX_IbLb0EEEEDaST_SU_EUlST_E_NS1_11comp_targetILNS1_3genE3ELNS1_11target_archE908ELNS1_3gpuE7ELNS1_3repE0EEENS1_30default_config_static_selectorELNS0_4arch9wavefront6targetE1EEEvT1_
	.p2align	8
	.type	_ZN7rocprim17ROCPRIM_400000_NS6detail17trampoline_kernelINS0_14default_configENS1_27scan_by_key_config_selectorIiiEEZZNS1_16scan_by_key_implILNS1_25lookback_scan_determinismE0ELb0ES3_N6thrust23THRUST_200600_302600_NS6detail15normal_iteratorINS9_10device_ptrIiEEEESE_SE_iNS9_4plusIiEE19head_flag_predicateiEE10hipError_tPvRmT2_T3_T4_T5_mT6_T7_P12ihipStream_tbENKUlT_T0_E_clISt17integral_constantIbLb1EESX_IbLb0EEEEDaST_SU_EUlST_E_NS1_11comp_targetILNS1_3genE3ELNS1_11target_archE908ELNS1_3gpuE7ELNS1_3repE0EEENS1_30default_config_static_selectorELNS0_4arch9wavefront6targetE1EEEvT1_,@function
_ZN7rocprim17ROCPRIM_400000_NS6detail17trampoline_kernelINS0_14default_configENS1_27scan_by_key_config_selectorIiiEEZZNS1_16scan_by_key_implILNS1_25lookback_scan_determinismE0ELb0ES3_N6thrust23THRUST_200600_302600_NS6detail15normal_iteratorINS9_10device_ptrIiEEEESE_SE_iNS9_4plusIiEE19head_flag_predicateiEE10hipError_tPvRmT2_T3_T4_T5_mT6_T7_P12ihipStream_tbENKUlT_T0_E_clISt17integral_constantIbLb1EESX_IbLb0EEEEDaST_SU_EUlST_E_NS1_11comp_targetILNS1_3genE3ELNS1_11target_archE908ELNS1_3gpuE7ELNS1_3repE0EEENS1_30default_config_static_selectorELNS0_4arch9wavefront6targetE1EEEvT1_: ; @_ZN7rocprim17ROCPRIM_400000_NS6detail17trampoline_kernelINS0_14default_configENS1_27scan_by_key_config_selectorIiiEEZZNS1_16scan_by_key_implILNS1_25lookback_scan_determinismE0ELb0ES3_N6thrust23THRUST_200600_302600_NS6detail15normal_iteratorINS9_10device_ptrIiEEEESE_SE_iNS9_4plusIiEE19head_flag_predicateiEE10hipError_tPvRmT2_T3_T4_T5_mT6_T7_P12ihipStream_tbENKUlT_T0_E_clISt17integral_constantIbLb1EESX_IbLb0EEEEDaST_SU_EUlST_E_NS1_11comp_targetILNS1_3genE3ELNS1_11target_archE908ELNS1_3gpuE7ELNS1_3repE0EEENS1_30default_config_static_selectorELNS0_4arch9wavefront6targetE1EEEvT1_
; %bb.0:
	.section	.rodata,"a",@progbits
	.p2align	6, 0x0
	.amdhsa_kernel _ZN7rocprim17ROCPRIM_400000_NS6detail17trampoline_kernelINS0_14default_configENS1_27scan_by_key_config_selectorIiiEEZZNS1_16scan_by_key_implILNS1_25lookback_scan_determinismE0ELb0ES3_N6thrust23THRUST_200600_302600_NS6detail15normal_iteratorINS9_10device_ptrIiEEEESE_SE_iNS9_4plusIiEE19head_flag_predicateiEE10hipError_tPvRmT2_T3_T4_T5_mT6_T7_P12ihipStream_tbENKUlT_T0_E_clISt17integral_constantIbLb1EESX_IbLb0EEEEDaST_SU_EUlST_E_NS1_11comp_targetILNS1_3genE3ELNS1_11target_archE908ELNS1_3gpuE7ELNS1_3repE0EEENS1_30default_config_static_selectorELNS0_4arch9wavefront6targetE1EEEvT1_
		.amdhsa_group_segment_fixed_size 0
		.amdhsa_private_segment_fixed_size 0
		.amdhsa_kernarg_size 112
		.amdhsa_user_sgpr_count 6
		.amdhsa_user_sgpr_private_segment_buffer 1
		.amdhsa_user_sgpr_dispatch_ptr 0
		.amdhsa_user_sgpr_queue_ptr 0
		.amdhsa_user_sgpr_kernarg_segment_ptr 1
		.amdhsa_user_sgpr_dispatch_id 0
		.amdhsa_user_sgpr_flat_scratch_init 0
		.amdhsa_user_sgpr_kernarg_preload_length 0
		.amdhsa_user_sgpr_kernarg_preload_offset 0
		.amdhsa_user_sgpr_private_segment_size 0
		.amdhsa_uses_dynamic_stack 0
		.amdhsa_system_sgpr_private_segment_wavefront_offset 0
		.amdhsa_system_sgpr_workgroup_id_x 1
		.amdhsa_system_sgpr_workgroup_id_y 0
		.amdhsa_system_sgpr_workgroup_id_z 0
		.amdhsa_system_sgpr_workgroup_info 0
		.amdhsa_system_vgpr_workitem_id 0
		.amdhsa_next_free_vgpr 1
		.amdhsa_next_free_sgpr 0
		.amdhsa_accum_offset 4
		.amdhsa_reserve_vcc 0
		.amdhsa_reserve_flat_scratch 0
		.amdhsa_float_round_mode_32 0
		.amdhsa_float_round_mode_16_64 0
		.amdhsa_float_denorm_mode_32 3
		.amdhsa_float_denorm_mode_16_64 3
		.amdhsa_dx10_clamp 1
		.amdhsa_ieee_mode 1
		.amdhsa_fp16_overflow 0
		.amdhsa_tg_split 0
		.amdhsa_exception_fp_ieee_invalid_op 0
		.amdhsa_exception_fp_denorm_src 0
		.amdhsa_exception_fp_ieee_div_zero 0
		.amdhsa_exception_fp_ieee_overflow 0
		.amdhsa_exception_fp_ieee_underflow 0
		.amdhsa_exception_fp_ieee_inexact 0
		.amdhsa_exception_int_div_zero 0
	.end_amdhsa_kernel
	.section	.text._ZN7rocprim17ROCPRIM_400000_NS6detail17trampoline_kernelINS0_14default_configENS1_27scan_by_key_config_selectorIiiEEZZNS1_16scan_by_key_implILNS1_25lookback_scan_determinismE0ELb0ES3_N6thrust23THRUST_200600_302600_NS6detail15normal_iteratorINS9_10device_ptrIiEEEESE_SE_iNS9_4plusIiEE19head_flag_predicateiEE10hipError_tPvRmT2_T3_T4_T5_mT6_T7_P12ihipStream_tbENKUlT_T0_E_clISt17integral_constantIbLb1EESX_IbLb0EEEEDaST_SU_EUlST_E_NS1_11comp_targetILNS1_3genE3ELNS1_11target_archE908ELNS1_3gpuE7ELNS1_3repE0EEENS1_30default_config_static_selectorELNS0_4arch9wavefront6targetE1EEEvT1_,"axG",@progbits,_ZN7rocprim17ROCPRIM_400000_NS6detail17trampoline_kernelINS0_14default_configENS1_27scan_by_key_config_selectorIiiEEZZNS1_16scan_by_key_implILNS1_25lookback_scan_determinismE0ELb0ES3_N6thrust23THRUST_200600_302600_NS6detail15normal_iteratorINS9_10device_ptrIiEEEESE_SE_iNS9_4plusIiEE19head_flag_predicateiEE10hipError_tPvRmT2_T3_T4_T5_mT6_T7_P12ihipStream_tbENKUlT_T0_E_clISt17integral_constantIbLb1EESX_IbLb0EEEEDaST_SU_EUlST_E_NS1_11comp_targetILNS1_3genE3ELNS1_11target_archE908ELNS1_3gpuE7ELNS1_3repE0EEENS1_30default_config_static_selectorELNS0_4arch9wavefront6targetE1EEEvT1_,comdat
.Lfunc_end771:
	.size	_ZN7rocprim17ROCPRIM_400000_NS6detail17trampoline_kernelINS0_14default_configENS1_27scan_by_key_config_selectorIiiEEZZNS1_16scan_by_key_implILNS1_25lookback_scan_determinismE0ELb0ES3_N6thrust23THRUST_200600_302600_NS6detail15normal_iteratorINS9_10device_ptrIiEEEESE_SE_iNS9_4plusIiEE19head_flag_predicateiEE10hipError_tPvRmT2_T3_T4_T5_mT6_T7_P12ihipStream_tbENKUlT_T0_E_clISt17integral_constantIbLb1EESX_IbLb0EEEEDaST_SU_EUlST_E_NS1_11comp_targetILNS1_3genE3ELNS1_11target_archE908ELNS1_3gpuE7ELNS1_3repE0EEENS1_30default_config_static_selectorELNS0_4arch9wavefront6targetE1EEEvT1_, .Lfunc_end771-_ZN7rocprim17ROCPRIM_400000_NS6detail17trampoline_kernelINS0_14default_configENS1_27scan_by_key_config_selectorIiiEEZZNS1_16scan_by_key_implILNS1_25lookback_scan_determinismE0ELb0ES3_N6thrust23THRUST_200600_302600_NS6detail15normal_iteratorINS9_10device_ptrIiEEEESE_SE_iNS9_4plusIiEE19head_flag_predicateiEE10hipError_tPvRmT2_T3_T4_T5_mT6_T7_P12ihipStream_tbENKUlT_T0_E_clISt17integral_constantIbLb1EESX_IbLb0EEEEDaST_SU_EUlST_E_NS1_11comp_targetILNS1_3genE3ELNS1_11target_archE908ELNS1_3gpuE7ELNS1_3repE0EEENS1_30default_config_static_selectorELNS0_4arch9wavefront6targetE1EEEvT1_
                                        ; -- End function
	.section	.AMDGPU.csdata,"",@progbits
; Kernel info:
; codeLenInByte = 0
; NumSgprs: 4
; NumVgprs: 0
; NumAgprs: 0
; TotalNumVgprs: 0
; ScratchSize: 0
; MemoryBound: 0
; FloatMode: 240
; IeeeMode: 1
; LDSByteSize: 0 bytes/workgroup (compile time only)
; SGPRBlocks: 0
; VGPRBlocks: 0
; NumSGPRsForWavesPerEU: 4
; NumVGPRsForWavesPerEU: 1
; AccumOffset: 4
; Occupancy: 8
; WaveLimiterHint : 0
; COMPUTE_PGM_RSRC2:SCRATCH_EN: 0
; COMPUTE_PGM_RSRC2:USER_SGPR: 6
; COMPUTE_PGM_RSRC2:TRAP_HANDLER: 0
; COMPUTE_PGM_RSRC2:TGID_X_EN: 1
; COMPUTE_PGM_RSRC2:TGID_Y_EN: 0
; COMPUTE_PGM_RSRC2:TGID_Z_EN: 0
; COMPUTE_PGM_RSRC2:TIDIG_COMP_CNT: 0
; COMPUTE_PGM_RSRC3_GFX90A:ACCUM_OFFSET: 0
; COMPUTE_PGM_RSRC3_GFX90A:TG_SPLIT: 0
	.section	.text._ZN7rocprim17ROCPRIM_400000_NS6detail17trampoline_kernelINS0_14default_configENS1_27scan_by_key_config_selectorIiiEEZZNS1_16scan_by_key_implILNS1_25lookback_scan_determinismE0ELb0ES3_N6thrust23THRUST_200600_302600_NS6detail15normal_iteratorINS9_10device_ptrIiEEEESE_SE_iNS9_4plusIiEE19head_flag_predicateiEE10hipError_tPvRmT2_T3_T4_T5_mT6_T7_P12ihipStream_tbENKUlT_T0_E_clISt17integral_constantIbLb1EESX_IbLb0EEEEDaST_SU_EUlST_E_NS1_11comp_targetILNS1_3genE2ELNS1_11target_archE906ELNS1_3gpuE6ELNS1_3repE0EEENS1_30default_config_static_selectorELNS0_4arch9wavefront6targetE1EEEvT1_,"axG",@progbits,_ZN7rocprim17ROCPRIM_400000_NS6detail17trampoline_kernelINS0_14default_configENS1_27scan_by_key_config_selectorIiiEEZZNS1_16scan_by_key_implILNS1_25lookback_scan_determinismE0ELb0ES3_N6thrust23THRUST_200600_302600_NS6detail15normal_iteratorINS9_10device_ptrIiEEEESE_SE_iNS9_4plusIiEE19head_flag_predicateiEE10hipError_tPvRmT2_T3_T4_T5_mT6_T7_P12ihipStream_tbENKUlT_T0_E_clISt17integral_constantIbLb1EESX_IbLb0EEEEDaST_SU_EUlST_E_NS1_11comp_targetILNS1_3genE2ELNS1_11target_archE906ELNS1_3gpuE6ELNS1_3repE0EEENS1_30default_config_static_selectorELNS0_4arch9wavefront6targetE1EEEvT1_,comdat
	.protected	_ZN7rocprim17ROCPRIM_400000_NS6detail17trampoline_kernelINS0_14default_configENS1_27scan_by_key_config_selectorIiiEEZZNS1_16scan_by_key_implILNS1_25lookback_scan_determinismE0ELb0ES3_N6thrust23THRUST_200600_302600_NS6detail15normal_iteratorINS9_10device_ptrIiEEEESE_SE_iNS9_4plusIiEE19head_flag_predicateiEE10hipError_tPvRmT2_T3_T4_T5_mT6_T7_P12ihipStream_tbENKUlT_T0_E_clISt17integral_constantIbLb1EESX_IbLb0EEEEDaST_SU_EUlST_E_NS1_11comp_targetILNS1_3genE2ELNS1_11target_archE906ELNS1_3gpuE6ELNS1_3repE0EEENS1_30default_config_static_selectorELNS0_4arch9wavefront6targetE1EEEvT1_ ; -- Begin function _ZN7rocprim17ROCPRIM_400000_NS6detail17trampoline_kernelINS0_14default_configENS1_27scan_by_key_config_selectorIiiEEZZNS1_16scan_by_key_implILNS1_25lookback_scan_determinismE0ELb0ES3_N6thrust23THRUST_200600_302600_NS6detail15normal_iteratorINS9_10device_ptrIiEEEESE_SE_iNS9_4plusIiEE19head_flag_predicateiEE10hipError_tPvRmT2_T3_T4_T5_mT6_T7_P12ihipStream_tbENKUlT_T0_E_clISt17integral_constantIbLb1EESX_IbLb0EEEEDaST_SU_EUlST_E_NS1_11comp_targetILNS1_3genE2ELNS1_11target_archE906ELNS1_3gpuE6ELNS1_3repE0EEENS1_30default_config_static_selectorELNS0_4arch9wavefront6targetE1EEEvT1_
	.globl	_ZN7rocprim17ROCPRIM_400000_NS6detail17trampoline_kernelINS0_14default_configENS1_27scan_by_key_config_selectorIiiEEZZNS1_16scan_by_key_implILNS1_25lookback_scan_determinismE0ELb0ES3_N6thrust23THRUST_200600_302600_NS6detail15normal_iteratorINS9_10device_ptrIiEEEESE_SE_iNS9_4plusIiEE19head_flag_predicateiEE10hipError_tPvRmT2_T3_T4_T5_mT6_T7_P12ihipStream_tbENKUlT_T0_E_clISt17integral_constantIbLb1EESX_IbLb0EEEEDaST_SU_EUlST_E_NS1_11comp_targetILNS1_3genE2ELNS1_11target_archE906ELNS1_3gpuE6ELNS1_3repE0EEENS1_30default_config_static_selectorELNS0_4arch9wavefront6targetE1EEEvT1_
	.p2align	8
	.type	_ZN7rocprim17ROCPRIM_400000_NS6detail17trampoline_kernelINS0_14default_configENS1_27scan_by_key_config_selectorIiiEEZZNS1_16scan_by_key_implILNS1_25lookback_scan_determinismE0ELb0ES3_N6thrust23THRUST_200600_302600_NS6detail15normal_iteratorINS9_10device_ptrIiEEEESE_SE_iNS9_4plusIiEE19head_flag_predicateiEE10hipError_tPvRmT2_T3_T4_T5_mT6_T7_P12ihipStream_tbENKUlT_T0_E_clISt17integral_constantIbLb1EESX_IbLb0EEEEDaST_SU_EUlST_E_NS1_11comp_targetILNS1_3genE2ELNS1_11target_archE906ELNS1_3gpuE6ELNS1_3repE0EEENS1_30default_config_static_selectorELNS0_4arch9wavefront6targetE1EEEvT1_,@function
_ZN7rocprim17ROCPRIM_400000_NS6detail17trampoline_kernelINS0_14default_configENS1_27scan_by_key_config_selectorIiiEEZZNS1_16scan_by_key_implILNS1_25lookback_scan_determinismE0ELb0ES3_N6thrust23THRUST_200600_302600_NS6detail15normal_iteratorINS9_10device_ptrIiEEEESE_SE_iNS9_4plusIiEE19head_flag_predicateiEE10hipError_tPvRmT2_T3_T4_T5_mT6_T7_P12ihipStream_tbENKUlT_T0_E_clISt17integral_constantIbLb1EESX_IbLb0EEEEDaST_SU_EUlST_E_NS1_11comp_targetILNS1_3genE2ELNS1_11target_archE906ELNS1_3gpuE6ELNS1_3repE0EEENS1_30default_config_static_selectorELNS0_4arch9wavefront6targetE1EEEvT1_: ; @_ZN7rocprim17ROCPRIM_400000_NS6detail17trampoline_kernelINS0_14default_configENS1_27scan_by_key_config_selectorIiiEEZZNS1_16scan_by_key_implILNS1_25lookback_scan_determinismE0ELb0ES3_N6thrust23THRUST_200600_302600_NS6detail15normal_iteratorINS9_10device_ptrIiEEEESE_SE_iNS9_4plusIiEE19head_flag_predicateiEE10hipError_tPvRmT2_T3_T4_T5_mT6_T7_P12ihipStream_tbENKUlT_T0_E_clISt17integral_constantIbLb1EESX_IbLb0EEEEDaST_SU_EUlST_E_NS1_11comp_targetILNS1_3genE2ELNS1_11target_archE906ELNS1_3gpuE6ELNS1_3repE0EEENS1_30default_config_static_selectorELNS0_4arch9wavefront6targetE1EEEvT1_
; %bb.0:
	.section	.rodata,"a",@progbits
	.p2align	6, 0x0
	.amdhsa_kernel _ZN7rocprim17ROCPRIM_400000_NS6detail17trampoline_kernelINS0_14default_configENS1_27scan_by_key_config_selectorIiiEEZZNS1_16scan_by_key_implILNS1_25lookback_scan_determinismE0ELb0ES3_N6thrust23THRUST_200600_302600_NS6detail15normal_iteratorINS9_10device_ptrIiEEEESE_SE_iNS9_4plusIiEE19head_flag_predicateiEE10hipError_tPvRmT2_T3_T4_T5_mT6_T7_P12ihipStream_tbENKUlT_T0_E_clISt17integral_constantIbLb1EESX_IbLb0EEEEDaST_SU_EUlST_E_NS1_11comp_targetILNS1_3genE2ELNS1_11target_archE906ELNS1_3gpuE6ELNS1_3repE0EEENS1_30default_config_static_selectorELNS0_4arch9wavefront6targetE1EEEvT1_
		.amdhsa_group_segment_fixed_size 0
		.amdhsa_private_segment_fixed_size 0
		.amdhsa_kernarg_size 112
		.amdhsa_user_sgpr_count 6
		.amdhsa_user_sgpr_private_segment_buffer 1
		.amdhsa_user_sgpr_dispatch_ptr 0
		.amdhsa_user_sgpr_queue_ptr 0
		.amdhsa_user_sgpr_kernarg_segment_ptr 1
		.amdhsa_user_sgpr_dispatch_id 0
		.amdhsa_user_sgpr_flat_scratch_init 0
		.amdhsa_user_sgpr_kernarg_preload_length 0
		.amdhsa_user_sgpr_kernarg_preload_offset 0
		.amdhsa_user_sgpr_private_segment_size 0
		.amdhsa_uses_dynamic_stack 0
		.amdhsa_system_sgpr_private_segment_wavefront_offset 0
		.amdhsa_system_sgpr_workgroup_id_x 1
		.amdhsa_system_sgpr_workgroup_id_y 0
		.amdhsa_system_sgpr_workgroup_id_z 0
		.amdhsa_system_sgpr_workgroup_info 0
		.amdhsa_system_vgpr_workitem_id 0
		.amdhsa_next_free_vgpr 1
		.amdhsa_next_free_sgpr 0
		.amdhsa_accum_offset 4
		.amdhsa_reserve_vcc 0
		.amdhsa_reserve_flat_scratch 0
		.amdhsa_float_round_mode_32 0
		.amdhsa_float_round_mode_16_64 0
		.amdhsa_float_denorm_mode_32 3
		.amdhsa_float_denorm_mode_16_64 3
		.amdhsa_dx10_clamp 1
		.amdhsa_ieee_mode 1
		.amdhsa_fp16_overflow 0
		.amdhsa_tg_split 0
		.amdhsa_exception_fp_ieee_invalid_op 0
		.amdhsa_exception_fp_denorm_src 0
		.amdhsa_exception_fp_ieee_div_zero 0
		.amdhsa_exception_fp_ieee_overflow 0
		.amdhsa_exception_fp_ieee_underflow 0
		.amdhsa_exception_fp_ieee_inexact 0
		.amdhsa_exception_int_div_zero 0
	.end_amdhsa_kernel
	.section	.text._ZN7rocprim17ROCPRIM_400000_NS6detail17trampoline_kernelINS0_14default_configENS1_27scan_by_key_config_selectorIiiEEZZNS1_16scan_by_key_implILNS1_25lookback_scan_determinismE0ELb0ES3_N6thrust23THRUST_200600_302600_NS6detail15normal_iteratorINS9_10device_ptrIiEEEESE_SE_iNS9_4plusIiEE19head_flag_predicateiEE10hipError_tPvRmT2_T3_T4_T5_mT6_T7_P12ihipStream_tbENKUlT_T0_E_clISt17integral_constantIbLb1EESX_IbLb0EEEEDaST_SU_EUlST_E_NS1_11comp_targetILNS1_3genE2ELNS1_11target_archE906ELNS1_3gpuE6ELNS1_3repE0EEENS1_30default_config_static_selectorELNS0_4arch9wavefront6targetE1EEEvT1_,"axG",@progbits,_ZN7rocprim17ROCPRIM_400000_NS6detail17trampoline_kernelINS0_14default_configENS1_27scan_by_key_config_selectorIiiEEZZNS1_16scan_by_key_implILNS1_25lookback_scan_determinismE0ELb0ES3_N6thrust23THRUST_200600_302600_NS6detail15normal_iteratorINS9_10device_ptrIiEEEESE_SE_iNS9_4plusIiEE19head_flag_predicateiEE10hipError_tPvRmT2_T3_T4_T5_mT6_T7_P12ihipStream_tbENKUlT_T0_E_clISt17integral_constantIbLb1EESX_IbLb0EEEEDaST_SU_EUlST_E_NS1_11comp_targetILNS1_3genE2ELNS1_11target_archE906ELNS1_3gpuE6ELNS1_3repE0EEENS1_30default_config_static_selectorELNS0_4arch9wavefront6targetE1EEEvT1_,comdat
.Lfunc_end772:
	.size	_ZN7rocprim17ROCPRIM_400000_NS6detail17trampoline_kernelINS0_14default_configENS1_27scan_by_key_config_selectorIiiEEZZNS1_16scan_by_key_implILNS1_25lookback_scan_determinismE0ELb0ES3_N6thrust23THRUST_200600_302600_NS6detail15normal_iteratorINS9_10device_ptrIiEEEESE_SE_iNS9_4plusIiEE19head_flag_predicateiEE10hipError_tPvRmT2_T3_T4_T5_mT6_T7_P12ihipStream_tbENKUlT_T0_E_clISt17integral_constantIbLb1EESX_IbLb0EEEEDaST_SU_EUlST_E_NS1_11comp_targetILNS1_3genE2ELNS1_11target_archE906ELNS1_3gpuE6ELNS1_3repE0EEENS1_30default_config_static_selectorELNS0_4arch9wavefront6targetE1EEEvT1_, .Lfunc_end772-_ZN7rocprim17ROCPRIM_400000_NS6detail17trampoline_kernelINS0_14default_configENS1_27scan_by_key_config_selectorIiiEEZZNS1_16scan_by_key_implILNS1_25lookback_scan_determinismE0ELb0ES3_N6thrust23THRUST_200600_302600_NS6detail15normal_iteratorINS9_10device_ptrIiEEEESE_SE_iNS9_4plusIiEE19head_flag_predicateiEE10hipError_tPvRmT2_T3_T4_T5_mT6_T7_P12ihipStream_tbENKUlT_T0_E_clISt17integral_constantIbLb1EESX_IbLb0EEEEDaST_SU_EUlST_E_NS1_11comp_targetILNS1_3genE2ELNS1_11target_archE906ELNS1_3gpuE6ELNS1_3repE0EEENS1_30default_config_static_selectorELNS0_4arch9wavefront6targetE1EEEvT1_
                                        ; -- End function
	.section	.AMDGPU.csdata,"",@progbits
; Kernel info:
; codeLenInByte = 0
; NumSgprs: 4
; NumVgprs: 0
; NumAgprs: 0
; TotalNumVgprs: 0
; ScratchSize: 0
; MemoryBound: 0
; FloatMode: 240
; IeeeMode: 1
; LDSByteSize: 0 bytes/workgroup (compile time only)
; SGPRBlocks: 0
; VGPRBlocks: 0
; NumSGPRsForWavesPerEU: 4
; NumVGPRsForWavesPerEU: 1
; AccumOffset: 4
; Occupancy: 8
; WaveLimiterHint : 0
; COMPUTE_PGM_RSRC2:SCRATCH_EN: 0
; COMPUTE_PGM_RSRC2:USER_SGPR: 6
; COMPUTE_PGM_RSRC2:TRAP_HANDLER: 0
; COMPUTE_PGM_RSRC2:TGID_X_EN: 1
; COMPUTE_PGM_RSRC2:TGID_Y_EN: 0
; COMPUTE_PGM_RSRC2:TGID_Z_EN: 0
; COMPUTE_PGM_RSRC2:TIDIG_COMP_CNT: 0
; COMPUTE_PGM_RSRC3_GFX90A:ACCUM_OFFSET: 0
; COMPUTE_PGM_RSRC3_GFX90A:TG_SPLIT: 0
	.section	.text._ZN7rocprim17ROCPRIM_400000_NS6detail17trampoline_kernelINS0_14default_configENS1_27scan_by_key_config_selectorIiiEEZZNS1_16scan_by_key_implILNS1_25lookback_scan_determinismE0ELb0ES3_N6thrust23THRUST_200600_302600_NS6detail15normal_iteratorINS9_10device_ptrIiEEEESE_SE_iNS9_4plusIiEE19head_flag_predicateiEE10hipError_tPvRmT2_T3_T4_T5_mT6_T7_P12ihipStream_tbENKUlT_T0_E_clISt17integral_constantIbLb1EESX_IbLb0EEEEDaST_SU_EUlST_E_NS1_11comp_targetILNS1_3genE10ELNS1_11target_archE1200ELNS1_3gpuE4ELNS1_3repE0EEENS1_30default_config_static_selectorELNS0_4arch9wavefront6targetE1EEEvT1_,"axG",@progbits,_ZN7rocprim17ROCPRIM_400000_NS6detail17trampoline_kernelINS0_14default_configENS1_27scan_by_key_config_selectorIiiEEZZNS1_16scan_by_key_implILNS1_25lookback_scan_determinismE0ELb0ES3_N6thrust23THRUST_200600_302600_NS6detail15normal_iteratorINS9_10device_ptrIiEEEESE_SE_iNS9_4plusIiEE19head_flag_predicateiEE10hipError_tPvRmT2_T3_T4_T5_mT6_T7_P12ihipStream_tbENKUlT_T0_E_clISt17integral_constantIbLb1EESX_IbLb0EEEEDaST_SU_EUlST_E_NS1_11comp_targetILNS1_3genE10ELNS1_11target_archE1200ELNS1_3gpuE4ELNS1_3repE0EEENS1_30default_config_static_selectorELNS0_4arch9wavefront6targetE1EEEvT1_,comdat
	.protected	_ZN7rocprim17ROCPRIM_400000_NS6detail17trampoline_kernelINS0_14default_configENS1_27scan_by_key_config_selectorIiiEEZZNS1_16scan_by_key_implILNS1_25lookback_scan_determinismE0ELb0ES3_N6thrust23THRUST_200600_302600_NS6detail15normal_iteratorINS9_10device_ptrIiEEEESE_SE_iNS9_4plusIiEE19head_flag_predicateiEE10hipError_tPvRmT2_T3_T4_T5_mT6_T7_P12ihipStream_tbENKUlT_T0_E_clISt17integral_constantIbLb1EESX_IbLb0EEEEDaST_SU_EUlST_E_NS1_11comp_targetILNS1_3genE10ELNS1_11target_archE1200ELNS1_3gpuE4ELNS1_3repE0EEENS1_30default_config_static_selectorELNS0_4arch9wavefront6targetE1EEEvT1_ ; -- Begin function _ZN7rocprim17ROCPRIM_400000_NS6detail17trampoline_kernelINS0_14default_configENS1_27scan_by_key_config_selectorIiiEEZZNS1_16scan_by_key_implILNS1_25lookback_scan_determinismE0ELb0ES3_N6thrust23THRUST_200600_302600_NS6detail15normal_iteratorINS9_10device_ptrIiEEEESE_SE_iNS9_4plusIiEE19head_flag_predicateiEE10hipError_tPvRmT2_T3_T4_T5_mT6_T7_P12ihipStream_tbENKUlT_T0_E_clISt17integral_constantIbLb1EESX_IbLb0EEEEDaST_SU_EUlST_E_NS1_11comp_targetILNS1_3genE10ELNS1_11target_archE1200ELNS1_3gpuE4ELNS1_3repE0EEENS1_30default_config_static_selectorELNS0_4arch9wavefront6targetE1EEEvT1_
	.globl	_ZN7rocprim17ROCPRIM_400000_NS6detail17trampoline_kernelINS0_14default_configENS1_27scan_by_key_config_selectorIiiEEZZNS1_16scan_by_key_implILNS1_25lookback_scan_determinismE0ELb0ES3_N6thrust23THRUST_200600_302600_NS6detail15normal_iteratorINS9_10device_ptrIiEEEESE_SE_iNS9_4plusIiEE19head_flag_predicateiEE10hipError_tPvRmT2_T3_T4_T5_mT6_T7_P12ihipStream_tbENKUlT_T0_E_clISt17integral_constantIbLb1EESX_IbLb0EEEEDaST_SU_EUlST_E_NS1_11comp_targetILNS1_3genE10ELNS1_11target_archE1200ELNS1_3gpuE4ELNS1_3repE0EEENS1_30default_config_static_selectorELNS0_4arch9wavefront6targetE1EEEvT1_
	.p2align	8
	.type	_ZN7rocprim17ROCPRIM_400000_NS6detail17trampoline_kernelINS0_14default_configENS1_27scan_by_key_config_selectorIiiEEZZNS1_16scan_by_key_implILNS1_25lookback_scan_determinismE0ELb0ES3_N6thrust23THRUST_200600_302600_NS6detail15normal_iteratorINS9_10device_ptrIiEEEESE_SE_iNS9_4plusIiEE19head_flag_predicateiEE10hipError_tPvRmT2_T3_T4_T5_mT6_T7_P12ihipStream_tbENKUlT_T0_E_clISt17integral_constantIbLb1EESX_IbLb0EEEEDaST_SU_EUlST_E_NS1_11comp_targetILNS1_3genE10ELNS1_11target_archE1200ELNS1_3gpuE4ELNS1_3repE0EEENS1_30default_config_static_selectorELNS0_4arch9wavefront6targetE1EEEvT1_,@function
_ZN7rocprim17ROCPRIM_400000_NS6detail17trampoline_kernelINS0_14default_configENS1_27scan_by_key_config_selectorIiiEEZZNS1_16scan_by_key_implILNS1_25lookback_scan_determinismE0ELb0ES3_N6thrust23THRUST_200600_302600_NS6detail15normal_iteratorINS9_10device_ptrIiEEEESE_SE_iNS9_4plusIiEE19head_flag_predicateiEE10hipError_tPvRmT2_T3_T4_T5_mT6_T7_P12ihipStream_tbENKUlT_T0_E_clISt17integral_constantIbLb1EESX_IbLb0EEEEDaST_SU_EUlST_E_NS1_11comp_targetILNS1_3genE10ELNS1_11target_archE1200ELNS1_3gpuE4ELNS1_3repE0EEENS1_30default_config_static_selectorELNS0_4arch9wavefront6targetE1EEEvT1_: ; @_ZN7rocprim17ROCPRIM_400000_NS6detail17trampoline_kernelINS0_14default_configENS1_27scan_by_key_config_selectorIiiEEZZNS1_16scan_by_key_implILNS1_25lookback_scan_determinismE0ELb0ES3_N6thrust23THRUST_200600_302600_NS6detail15normal_iteratorINS9_10device_ptrIiEEEESE_SE_iNS9_4plusIiEE19head_flag_predicateiEE10hipError_tPvRmT2_T3_T4_T5_mT6_T7_P12ihipStream_tbENKUlT_T0_E_clISt17integral_constantIbLb1EESX_IbLb0EEEEDaST_SU_EUlST_E_NS1_11comp_targetILNS1_3genE10ELNS1_11target_archE1200ELNS1_3gpuE4ELNS1_3repE0EEENS1_30default_config_static_selectorELNS0_4arch9wavefront6targetE1EEEvT1_
; %bb.0:
	.section	.rodata,"a",@progbits
	.p2align	6, 0x0
	.amdhsa_kernel _ZN7rocprim17ROCPRIM_400000_NS6detail17trampoline_kernelINS0_14default_configENS1_27scan_by_key_config_selectorIiiEEZZNS1_16scan_by_key_implILNS1_25lookback_scan_determinismE0ELb0ES3_N6thrust23THRUST_200600_302600_NS6detail15normal_iteratorINS9_10device_ptrIiEEEESE_SE_iNS9_4plusIiEE19head_flag_predicateiEE10hipError_tPvRmT2_T3_T4_T5_mT6_T7_P12ihipStream_tbENKUlT_T0_E_clISt17integral_constantIbLb1EESX_IbLb0EEEEDaST_SU_EUlST_E_NS1_11comp_targetILNS1_3genE10ELNS1_11target_archE1200ELNS1_3gpuE4ELNS1_3repE0EEENS1_30default_config_static_selectorELNS0_4arch9wavefront6targetE1EEEvT1_
		.amdhsa_group_segment_fixed_size 0
		.amdhsa_private_segment_fixed_size 0
		.amdhsa_kernarg_size 112
		.amdhsa_user_sgpr_count 6
		.amdhsa_user_sgpr_private_segment_buffer 1
		.amdhsa_user_sgpr_dispatch_ptr 0
		.amdhsa_user_sgpr_queue_ptr 0
		.amdhsa_user_sgpr_kernarg_segment_ptr 1
		.amdhsa_user_sgpr_dispatch_id 0
		.amdhsa_user_sgpr_flat_scratch_init 0
		.amdhsa_user_sgpr_kernarg_preload_length 0
		.amdhsa_user_sgpr_kernarg_preload_offset 0
		.amdhsa_user_sgpr_private_segment_size 0
		.amdhsa_uses_dynamic_stack 0
		.amdhsa_system_sgpr_private_segment_wavefront_offset 0
		.amdhsa_system_sgpr_workgroup_id_x 1
		.amdhsa_system_sgpr_workgroup_id_y 0
		.amdhsa_system_sgpr_workgroup_id_z 0
		.amdhsa_system_sgpr_workgroup_info 0
		.amdhsa_system_vgpr_workitem_id 0
		.amdhsa_next_free_vgpr 1
		.amdhsa_next_free_sgpr 0
		.amdhsa_accum_offset 4
		.amdhsa_reserve_vcc 0
		.amdhsa_reserve_flat_scratch 0
		.amdhsa_float_round_mode_32 0
		.amdhsa_float_round_mode_16_64 0
		.amdhsa_float_denorm_mode_32 3
		.amdhsa_float_denorm_mode_16_64 3
		.amdhsa_dx10_clamp 1
		.amdhsa_ieee_mode 1
		.amdhsa_fp16_overflow 0
		.amdhsa_tg_split 0
		.amdhsa_exception_fp_ieee_invalid_op 0
		.amdhsa_exception_fp_denorm_src 0
		.amdhsa_exception_fp_ieee_div_zero 0
		.amdhsa_exception_fp_ieee_overflow 0
		.amdhsa_exception_fp_ieee_underflow 0
		.amdhsa_exception_fp_ieee_inexact 0
		.amdhsa_exception_int_div_zero 0
	.end_amdhsa_kernel
	.section	.text._ZN7rocprim17ROCPRIM_400000_NS6detail17trampoline_kernelINS0_14default_configENS1_27scan_by_key_config_selectorIiiEEZZNS1_16scan_by_key_implILNS1_25lookback_scan_determinismE0ELb0ES3_N6thrust23THRUST_200600_302600_NS6detail15normal_iteratorINS9_10device_ptrIiEEEESE_SE_iNS9_4plusIiEE19head_flag_predicateiEE10hipError_tPvRmT2_T3_T4_T5_mT6_T7_P12ihipStream_tbENKUlT_T0_E_clISt17integral_constantIbLb1EESX_IbLb0EEEEDaST_SU_EUlST_E_NS1_11comp_targetILNS1_3genE10ELNS1_11target_archE1200ELNS1_3gpuE4ELNS1_3repE0EEENS1_30default_config_static_selectorELNS0_4arch9wavefront6targetE1EEEvT1_,"axG",@progbits,_ZN7rocprim17ROCPRIM_400000_NS6detail17trampoline_kernelINS0_14default_configENS1_27scan_by_key_config_selectorIiiEEZZNS1_16scan_by_key_implILNS1_25lookback_scan_determinismE0ELb0ES3_N6thrust23THRUST_200600_302600_NS6detail15normal_iteratorINS9_10device_ptrIiEEEESE_SE_iNS9_4plusIiEE19head_flag_predicateiEE10hipError_tPvRmT2_T3_T4_T5_mT6_T7_P12ihipStream_tbENKUlT_T0_E_clISt17integral_constantIbLb1EESX_IbLb0EEEEDaST_SU_EUlST_E_NS1_11comp_targetILNS1_3genE10ELNS1_11target_archE1200ELNS1_3gpuE4ELNS1_3repE0EEENS1_30default_config_static_selectorELNS0_4arch9wavefront6targetE1EEEvT1_,comdat
.Lfunc_end773:
	.size	_ZN7rocprim17ROCPRIM_400000_NS6detail17trampoline_kernelINS0_14default_configENS1_27scan_by_key_config_selectorIiiEEZZNS1_16scan_by_key_implILNS1_25lookback_scan_determinismE0ELb0ES3_N6thrust23THRUST_200600_302600_NS6detail15normal_iteratorINS9_10device_ptrIiEEEESE_SE_iNS9_4plusIiEE19head_flag_predicateiEE10hipError_tPvRmT2_T3_T4_T5_mT6_T7_P12ihipStream_tbENKUlT_T0_E_clISt17integral_constantIbLb1EESX_IbLb0EEEEDaST_SU_EUlST_E_NS1_11comp_targetILNS1_3genE10ELNS1_11target_archE1200ELNS1_3gpuE4ELNS1_3repE0EEENS1_30default_config_static_selectorELNS0_4arch9wavefront6targetE1EEEvT1_, .Lfunc_end773-_ZN7rocprim17ROCPRIM_400000_NS6detail17trampoline_kernelINS0_14default_configENS1_27scan_by_key_config_selectorIiiEEZZNS1_16scan_by_key_implILNS1_25lookback_scan_determinismE0ELb0ES3_N6thrust23THRUST_200600_302600_NS6detail15normal_iteratorINS9_10device_ptrIiEEEESE_SE_iNS9_4plusIiEE19head_flag_predicateiEE10hipError_tPvRmT2_T3_T4_T5_mT6_T7_P12ihipStream_tbENKUlT_T0_E_clISt17integral_constantIbLb1EESX_IbLb0EEEEDaST_SU_EUlST_E_NS1_11comp_targetILNS1_3genE10ELNS1_11target_archE1200ELNS1_3gpuE4ELNS1_3repE0EEENS1_30default_config_static_selectorELNS0_4arch9wavefront6targetE1EEEvT1_
                                        ; -- End function
	.section	.AMDGPU.csdata,"",@progbits
; Kernel info:
; codeLenInByte = 0
; NumSgprs: 4
; NumVgprs: 0
; NumAgprs: 0
; TotalNumVgprs: 0
; ScratchSize: 0
; MemoryBound: 0
; FloatMode: 240
; IeeeMode: 1
; LDSByteSize: 0 bytes/workgroup (compile time only)
; SGPRBlocks: 0
; VGPRBlocks: 0
; NumSGPRsForWavesPerEU: 4
; NumVGPRsForWavesPerEU: 1
; AccumOffset: 4
; Occupancy: 8
; WaveLimiterHint : 0
; COMPUTE_PGM_RSRC2:SCRATCH_EN: 0
; COMPUTE_PGM_RSRC2:USER_SGPR: 6
; COMPUTE_PGM_RSRC2:TRAP_HANDLER: 0
; COMPUTE_PGM_RSRC2:TGID_X_EN: 1
; COMPUTE_PGM_RSRC2:TGID_Y_EN: 0
; COMPUTE_PGM_RSRC2:TGID_Z_EN: 0
; COMPUTE_PGM_RSRC2:TIDIG_COMP_CNT: 0
; COMPUTE_PGM_RSRC3_GFX90A:ACCUM_OFFSET: 0
; COMPUTE_PGM_RSRC3_GFX90A:TG_SPLIT: 0
	.section	.text._ZN7rocprim17ROCPRIM_400000_NS6detail17trampoline_kernelINS0_14default_configENS1_27scan_by_key_config_selectorIiiEEZZNS1_16scan_by_key_implILNS1_25lookback_scan_determinismE0ELb0ES3_N6thrust23THRUST_200600_302600_NS6detail15normal_iteratorINS9_10device_ptrIiEEEESE_SE_iNS9_4plusIiEE19head_flag_predicateiEE10hipError_tPvRmT2_T3_T4_T5_mT6_T7_P12ihipStream_tbENKUlT_T0_E_clISt17integral_constantIbLb1EESX_IbLb0EEEEDaST_SU_EUlST_E_NS1_11comp_targetILNS1_3genE9ELNS1_11target_archE1100ELNS1_3gpuE3ELNS1_3repE0EEENS1_30default_config_static_selectorELNS0_4arch9wavefront6targetE1EEEvT1_,"axG",@progbits,_ZN7rocprim17ROCPRIM_400000_NS6detail17trampoline_kernelINS0_14default_configENS1_27scan_by_key_config_selectorIiiEEZZNS1_16scan_by_key_implILNS1_25lookback_scan_determinismE0ELb0ES3_N6thrust23THRUST_200600_302600_NS6detail15normal_iteratorINS9_10device_ptrIiEEEESE_SE_iNS9_4plusIiEE19head_flag_predicateiEE10hipError_tPvRmT2_T3_T4_T5_mT6_T7_P12ihipStream_tbENKUlT_T0_E_clISt17integral_constantIbLb1EESX_IbLb0EEEEDaST_SU_EUlST_E_NS1_11comp_targetILNS1_3genE9ELNS1_11target_archE1100ELNS1_3gpuE3ELNS1_3repE0EEENS1_30default_config_static_selectorELNS0_4arch9wavefront6targetE1EEEvT1_,comdat
	.protected	_ZN7rocprim17ROCPRIM_400000_NS6detail17trampoline_kernelINS0_14default_configENS1_27scan_by_key_config_selectorIiiEEZZNS1_16scan_by_key_implILNS1_25lookback_scan_determinismE0ELb0ES3_N6thrust23THRUST_200600_302600_NS6detail15normal_iteratorINS9_10device_ptrIiEEEESE_SE_iNS9_4plusIiEE19head_flag_predicateiEE10hipError_tPvRmT2_T3_T4_T5_mT6_T7_P12ihipStream_tbENKUlT_T0_E_clISt17integral_constantIbLb1EESX_IbLb0EEEEDaST_SU_EUlST_E_NS1_11comp_targetILNS1_3genE9ELNS1_11target_archE1100ELNS1_3gpuE3ELNS1_3repE0EEENS1_30default_config_static_selectorELNS0_4arch9wavefront6targetE1EEEvT1_ ; -- Begin function _ZN7rocprim17ROCPRIM_400000_NS6detail17trampoline_kernelINS0_14default_configENS1_27scan_by_key_config_selectorIiiEEZZNS1_16scan_by_key_implILNS1_25lookback_scan_determinismE0ELb0ES3_N6thrust23THRUST_200600_302600_NS6detail15normal_iteratorINS9_10device_ptrIiEEEESE_SE_iNS9_4plusIiEE19head_flag_predicateiEE10hipError_tPvRmT2_T3_T4_T5_mT6_T7_P12ihipStream_tbENKUlT_T0_E_clISt17integral_constantIbLb1EESX_IbLb0EEEEDaST_SU_EUlST_E_NS1_11comp_targetILNS1_3genE9ELNS1_11target_archE1100ELNS1_3gpuE3ELNS1_3repE0EEENS1_30default_config_static_selectorELNS0_4arch9wavefront6targetE1EEEvT1_
	.globl	_ZN7rocprim17ROCPRIM_400000_NS6detail17trampoline_kernelINS0_14default_configENS1_27scan_by_key_config_selectorIiiEEZZNS1_16scan_by_key_implILNS1_25lookback_scan_determinismE0ELb0ES3_N6thrust23THRUST_200600_302600_NS6detail15normal_iteratorINS9_10device_ptrIiEEEESE_SE_iNS9_4plusIiEE19head_flag_predicateiEE10hipError_tPvRmT2_T3_T4_T5_mT6_T7_P12ihipStream_tbENKUlT_T0_E_clISt17integral_constantIbLb1EESX_IbLb0EEEEDaST_SU_EUlST_E_NS1_11comp_targetILNS1_3genE9ELNS1_11target_archE1100ELNS1_3gpuE3ELNS1_3repE0EEENS1_30default_config_static_selectorELNS0_4arch9wavefront6targetE1EEEvT1_
	.p2align	8
	.type	_ZN7rocprim17ROCPRIM_400000_NS6detail17trampoline_kernelINS0_14default_configENS1_27scan_by_key_config_selectorIiiEEZZNS1_16scan_by_key_implILNS1_25lookback_scan_determinismE0ELb0ES3_N6thrust23THRUST_200600_302600_NS6detail15normal_iteratorINS9_10device_ptrIiEEEESE_SE_iNS9_4plusIiEE19head_flag_predicateiEE10hipError_tPvRmT2_T3_T4_T5_mT6_T7_P12ihipStream_tbENKUlT_T0_E_clISt17integral_constantIbLb1EESX_IbLb0EEEEDaST_SU_EUlST_E_NS1_11comp_targetILNS1_3genE9ELNS1_11target_archE1100ELNS1_3gpuE3ELNS1_3repE0EEENS1_30default_config_static_selectorELNS0_4arch9wavefront6targetE1EEEvT1_,@function
_ZN7rocprim17ROCPRIM_400000_NS6detail17trampoline_kernelINS0_14default_configENS1_27scan_by_key_config_selectorIiiEEZZNS1_16scan_by_key_implILNS1_25lookback_scan_determinismE0ELb0ES3_N6thrust23THRUST_200600_302600_NS6detail15normal_iteratorINS9_10device_ptrIiEEEESE_SE_iNS9_4plusIiEE19head_flag_predicateiEE10hipError_tPvRmT2_T3_T4_T5_mT6_T7_P12ihipStream_tbENKUlT_T0_E_clISt17integral_constantIbLb1EESX_IbLb0EEEEDaST_SU_EUlST_E_NS1_11comp_targetILNS1_3genE9ELNS1_11target_archE1100ELNS1_3gpuE3ELNS1_3repE0EEENS1_30default_config_static_selectorELNS0_4arch9wavefront6targetE1EEEvT1_: ; @_ZN7rocprim17ROCPRIM_400000_NS6detail17trampoline_kernelINS0_14default_configENS1_27scan_by_key_config_selectorIiiEEZZNS1_16scan_by_key_implILNS1_25lookback_scan_determinismE0ELb0ES3_N6thrust23THRUST_200600_302600_NS6detail15normal_iteratorINS9_10device_ptrIiEEEESE_SE_iNS9_4plusIiEE19head_flag_predicateiEE10hipError_tPvRmT2_T3_T4_T5_mT6_T7_P12ihipStream_tbENKUlT_T0_E_clISt17integral_constantIbLb1EESX_IbLb0EEEEDaST_SU_EUlST_E_NS1_11comp_targetILNS1_3genE9ELNS1_11target_archE1100ELNS1_3gpuE3ELNS1_3repE0EEENS1_30default_config_static_selectorELNS0_4arch9wavefront6targetE1EEEvT1_
; %bb.0:
	.section	.rodata,"a",@progbits
	.p2align	6, 0x0
	.amdhsa_kernel _ZN7rocprim17ROCPRIM_400000_NS6detail17trampoline_kernelINS0_14default_configENS1_27scan_by_key_config_selectorIiiEEZZNS1_16scan_by_key_implILNS1_25lookback_scan_determinismE0ELb0ES3_N6thrust23THRUST_200600_302600_NS6detail15normal_iteratorINS9_10device_ptrIiEEEESE_SE_iNS9_4plusIiEE19head_flag_predicateiEE10hipError_tPvRmT2_T3_T4_T5_mT6_T7_P12ihipStream_tbENKUlT_T0_E_clISt17integral_constantIbLb1EESX_IbLb0EEEEDaST_SU_EUlST_E_NS1_11comp_targetILNS1_3genE9ELNS1_11target_archE1100ELNS1_3gpuE3ELNS1_3repE0EEENS1_30default_config_static_selectorELNS0_4arch9wavefront6targetE1EEEvT1_
		.amdhsa_group_segment_fixed_size 0
		.amdhsa_private_segment_fixed_size 0
		.amdhsa_kernarg_size 112
		.amdhsa_user_sgpr_count 6
		.amdhsa_user_sgpr_private_segment_buffer 1
		.amdhsa_user_sgpr_dispatch_ptr 0
		.amdhsa_user_sgpr_queue_ptr 0
		.amdhsa_user_sgpr_kernarg_segment_ptr 1
		.amdhsa_user_sgpr_dispatch_id 0
		.amdhsa_user_sgpr_flat_scratch_init 0
		.amdhsa_user_sgpr_kernarg_preload_length 0
		.amdhsa_user_sgpr_kernarg_preload_offset 0
		.amdhsa_user_sgpr_private_segment_size 0
		.amdhsa_uses_dynamic_stack 0
		.amdhsa_system_sgpr_private_segment_wavefront_offset 0
		.amdhsa_system_sgpr_workgroup_id_x 1
		.amdhsa_system_sgpr_workgroup_id_y 0
		.amdhsa_system_sgpr_workgroup_id_z 0
		.amdhsa_system_sgpr_workgroup_info 0
		.amdhsa_system_vgpr_workitem_id 0
		.amdhsa_next_free_vgpr 1
		.amdhsa_next_free_sgpr 0
		.amdhsa_accum_offset 4
		.amdhsa_reserve_vcc 0
		.amdhsa_reserve_flat_scratch 0
		.amdhsa_float_round_mode_32 0
		.amdhsa_float_round_mode_16_64 0
		.amdhsa_float_denorm_mode_32 3
		.amdhsa_float_denorm_mode_16_64 3
		.amdhsa_dx10_clamp 1
		.amdhsa_ieee_mode 1
		.amdhsa_fp16_overflow 0
		.amdhsa_tg_split 0
		.amdhsa_exception_fp_ieee_invalid_op 0
		.amdhsa_exception_fp_denorm_src 0
		.amdhsa_exception_fp_ieee_div_zero 0
		.amdhsa_exception_fp_ieee_overflow 0
		.amdhsa_exception_fp_ieee_underflow 0
		.amdhsa_exception_fp_ieee_inexact 0
		.amdhsa_exception_int_div_zero 0
	.end_amdhsa_kernel
	.section	.text._ZN7rocprim17ROCPRIM_400000_NS6detail17trampoline_kernelINS0_14default_configENS1_27scan_by_key_config_selectorIiiEEZZNS1_16scan_by_key_implILNS1_25lookback_scan_determinismE0ELb0ES3_N6thrust23THRUST_200600_302600_NS6detail15normal_iteratorINS9_10device_ptrIiEEEESE_SE_iNS9_4plusIiEE19head_flag_predicateiEE10hipError_tPvRmT2_T3_T4_T5_mT6_T7_P12ihipStream_tbENKUlT_T0_E_clISt17integral_constantIbLb1EESX_IbLb0EEEEDaST_SU_EUlST_E_NS1_11comp_targetILNS1_3genE9ELNS1_11target_archE1100ELNS1_3gpuE3ELNS1_3repE0EEENS1_30default_config_static_selectorELNS0_4arch9wavefront6targetE1EEEvT1_,"axG",@progbits,_ZN7rocprim17ROCPRIM_400000_NS6detail17trampoline_kernelINS0_14default_configENS1_27scan_by_key_config_selectorIiiEEZZNS1_16scan_by_key_implILNS1_25lookback_scan_determinismE0ELb0ES3_N6thrust23THRUST_200600_302600_NS6detail15normal_iteratorINS9_10device_ptrIiEEEESE_SE_iNS9_4plusIiEE19head_flag_predicateiEE10hipError_tPvRmT2_T3_T4_T5_mT6_T7_P12ihipStream_tbENKUlT_T0_E_clISt17integral_constantIbLb1EESX_IbLb0EEEEDaST_SU_EUlST_E_NS1_11comp_targetILNS1_3genE9ELNS1_11target_archE1100ELNS1_3gpuE3ELNS1_3repE0EEENS1_30default_config_static_selectorELNS0_4arch9wavefront6targetE1EEEvT1_,comdat
.Lfunc_end774:
	.size	_ZN7rocprim17ROCPRIM_400000_NS6detail17trampoline_kernelINS0_14default_configENS1_27scan_by_key_config_selectorIiiEEZZNS1_16scan_by_key_implILNS1_25lookback_scan_determinismE0ELb0ES3_N6thrust23THRUST_200600_302600_NS6detail15normal_iteratorINS9_10device_ptrIiEEEESE_SE_iNS9_4plusIiEE19head_flag_predicateiEE10hipError_tPvRmT2_T3_T4_T5_mT6_T7_P12ihipStream_tbENKUlT_T0_E_clISt17integral_constantIbLb1EESX_IbLb0EEEEDaST_SU_EUlST_E_NS1_11comp_targetILNS1_3genE9ELNS1_11target_archE1100ELNS1_3gpuE3ELNS1_3repE0EEENS1_30default_config_static_selectorELNS0_4arch9wavefront6targetE1EEEvT1_, .Lfunc_end774-_ZN7rocprim17ROCPRIM_400000_NS6detail17trampoline_kernelINS0_14default_configENS1_27scan_by_key_config_selectorIiiEEZZNS1_16scan_by_key_implILNS1_25lookback_scan_determinismE0ELb0ES3_N6thrust23THRUST_200600_302600_NS6detail15normal_iteratorINS9_10device_ptrIiEEEESE_SE_iNS9_4plusIiEE19head_flag_predicateiEE10hipError_tPvRmT2_T3_T4_T5_mT6_T7_P12ihipStream_tbENKUlT_T0_E_clISt17integral_constantIbLb1EESX_IbLb0EEEEDaST_SU_EUlST_E_NS1_11comp_targetILNS1_3genE9ELNS1_11target_archE1100ELNS1_3gpuE3ELNS1_3repE0EEENS1_30default_config_static_selectorELNS0_4arch9wavefront6targetE1EEEvT1_
                                        ; -- End function
	.section	.AMDGPU.csdata,"",@progbits
; Kernel info:
; codeLenInByte = 0
; NumSgprs: 4
; NumVgprs: 0
; NumAgprs: 0
; TotalNumVgprs: 0
; ScratchSize: 0
; MemoryBound: 0
; FloatMode: 240
; IeeeMode: 1
; LDSByteSize: 0 bytes/workgroup (compile time only)
; SGPRBlocks: 0
; VGPRBlocks: 0
; NumSGPRsForWavesPerEU: 4
; NumVGPRsForWavesPerEU: 1
; AccumOffset: 4
; Occupancy: 8
; WaveLimiterHint : 0
; COMPUTE_PGM_RSRC2:SCRATCH_EN: 0
; COMPUTE_PGM_RSRC2:USER_SGPR: 6
; COMPUTE_PGM_RSRC2:TRAP_HANDLER: 0
; COMPUTE_PGM_RSRC2:TGID_X_EN: 1
; COMPUTE_PGM_RSRC2:TGID_Y_EN: 0
; COMPUTE_PGM_RSRC2:TGID_Z_EN: 0
; COMPUTE_PGM_RSRC2:TIDIG_COMP_CNT: 0
; COMPUTE_PGM_RSRC3_GFX90A:ACCUM_OFFSET: 0
; COMPUTE_PGM_RSRC3_GFX90A:TG_SPLIT: 0
	.section	.text._ZN7rocprim17ROCPRIM_400000_NS6detail17trampoline_kernelINS0_14default_configENS1_27scan_by_key_config_selectorIiiEEZZNS1_16scan_by_key_implILNS1_25lookback_scan_determinismE0ELb0ES3_N6thrust23THRUST_200600_302600_NS6detail15normal_iteratorINS9_10device_ptrIiEEEESE_SE_iNS9_4plusIiEE19head_flag_predicateiEE10hipError_tPvRmT2_T3_T4_T5_mT6_T7_P12ihipStream_tbENKUlT_T0_E_clISt17integral_constantIbLb1EESX_IbLb0EEEEDaST_SU_EUlST_E_NS1_11comp_targetILNS1_3genE8ELNS1_11target_archE1030ELNS1_3gpuE2ELNS1_3repE0EEENS1_30default_config_static_selectorELNS0_4arch9wavefront6targetE1EEEvT1_,"axG",@progbits,_ZN7rocprim17ROCPRIM_400000_NS6detail17trampoline_kernelINS0_14default_configENS1_27scan_by_key_config_selectorIiiEEZZNS1_16scan_by_key_implILNS1_25lookback_scan_determinismE0ELb0ES3_N6thrust23THRUST_200600_302600_NS6detail15normal_iteratorINS9_10device_ptrIiEEEESE_SE_iNS9_4plusIiEE19head_flag_predicateiEE10hipError_tPvRmT2_T3_T4_T5_mT6_T7_P12ihipStream_tbENKUlT_T0_E_clISt17integral_constantIbLb1EESX_IbLb0EEEEDaST_SU_EUlST_E_NS1_11comp_targetILNS1_3genE8ELNS1_11target_archE1030ELNS1_3gpuE2ELNS1_3repE0EEENS1_30default_config_static_selectorELNS0_4arch9wavefront6targetE1EEEvT1_,comdat
	.protected	_ZN7rocprim17ROCPRIM_400000_NS6detail17trampoline_kernelINS0_14default_configENS1_27scan_by_key_config_selectorIiiEEZZNS1_16scan_by_key_implILNS1_25lookback_scan_determinismE0ELb0ES3_N6thrust23THRUST_200600_302600_NS6detail15normal_iteratorINS9_10device_ptrIiEEEESE_SE_iNS9_4plusIiEE19head_flag_predicateiEE10hipError_tPvRmT2_T3_T4_T5_mT6_T7_P12ihipStream_tbENKUlT_T0_E_clISt17integral_constantIbLb1EESX_IbLb0EEEEDaST_SU_EUlST_E_NS1_11comp_targetILNS1_3genE8ELNS1_11target_archE1030ELNS1_3gpuE2ELNS1_3repE0EEENS1_30default_config_static_selectorELNS0_4arch9wavefront6targetE1EEEvT1_ ; -- Begin function _ZN7rocprim17ROCPRIM_400000_NS6detail17trampoline_kernelINS0_14default_configENS1_27scan_by_key_config_selectorIiiEEZZNS1_16scan_by_key_implILNS1_25lookback_scan_determinismE0ELb0ES3_N6thrust23THRUST_200600_302600_NS6detail15normal_iteratorINS9_10device_ptrIiEEEESE_SE_iNS9_4plusIiEE19head_flag_predicateiEE10hipError_tPvRmT2_T3_T4_T5_mT6_T7_P12ihipStream_tbENKUlT_T0_E_clISt17integral_constantIbLb1EESX_IbLb0EEEEDaST_SU_EUlST_E_NS1_11comp_targetILNS1_3genE8ELNS1_11target_archE1030ELNS1_3gpuE2ELNS1_3repE0EEENS1_30default_config_static_selectorELNS0_4arch9wavefront6targetE1EEEvT1_
	.globl	_ZN7rocprim17ROCPRIM_400000_NS6detail17trampoline_kernelINS0_14default_configENS1_27scan_by_key_config_selectorIiiEEZZNS1_16scan_by_key_implILNS1_25lookback_scan_determinismE0ELb0ES3_N6thrust23THRUST_200600_302600_NS6detail15normal_iteratorINS9_10device_ptrIiEEEESE_SE_iNS9_4plusIiEE19head_flag_predicateiEE10hipError_tPvRmT2_T3_T4_T5_mT6_T7_P12ihipStream_tbENKUlT_T0_E_clISt17integral_constantIbLb1EESX_IbLb0EEEEDaST_SU_EUlST_E_NS1_11comp_targetILNS1_3genE8ELNS1_11target_archE1030ELNS1_3gpuE2ELNS1_3repE0EEENS1_30default_config_static_selectorELNS0_4arch9wavefront6targetE1EEEvT1_
	.p2align	8
	.type	_ZN7rocprim17ROCPRIM_400000_NS6detail17trampoline_kernelINS0_14default_configENS1_27scan_by_key_config_selectorIiiEEZZNS1_16scan_by_key_implILNS1_25lookback_scan_determinismE0ELb0ES3_N6thrust23THRUST_200600_302600_NS6detail15normal_iteratorINS9_10device_ptrIiEEEESE_SE_iNS9_4plusIiEE19head_flag_predicateiEE10hipError_tPvRmT2_T3_T4_T5_mT6_T7_P12ihipStream_tbENKUlT_T0_E_clISt17integral_constantIbLb1EESX_IbLb0EEEEDaST_SU_EUlST_E_NS1_11comp_targetILNS1_3genE8ELNS1_11target_archE1030ELNS1_3gpuE2ELNS1_3repE0EEENS1_30default_config_static_selectorELNS0_4arch9wavefront6targetE1EEEvT1_,@function
_ZN7rocprim17ROCPRIM_400000_NS6detail17trampoline_kernelINS0_14default_configENS1_27scan_by_key_config_selectorIiiEEZZNS1_16scan_by_key_implILNS1_25lookback_scan_determinismE0ELb0ES3_N6thrust23THRUST_200600_302600_NS6detail15normal_iteratorINS9_10device_ptrIiEEEESE_SE_iNS9_4plusIiEE19head_flag_predicateiEE10hipError_tPvRmT2_T3_T4_T5_mT6_T7_P12ihipStream_tbENKUlT_T0_E_clISt17integral_constantIbLb1EESX_IbLb0EEEEDaST_SU_EUlST_E_NS1_11comp_targetILNS1_3genE8ELNS1_11target_archE1030ELNS1_3gpuE2ELNS1_3repE0EEENS1_30default_config_static_selectorELNS0_4arch9wavefront6targetE1EEEvT1_: ; @_ZN7rocprim17ROCPRIM_400000_NS6detail17trampoline_kernelINS0_14default_configENS1_27scan_by_key_config_selectorIiiEEZZNS1_16scan_by_key_implILNS1_25lookback_scan_determinismE0ELb0ES3_N6thrust23THRUST_200600_302600_NS6detail15normal_iteratorINS9_10device_ptrIiEEEESE_SE_iNS9_4plusIiEE19head_flag_predicateiEE10hipError_tPvRmT2_T3_T4_T5_mT6_T7_P12ihipStream_tbENKUlT_T0_E_clISt17integral_constantIbLb1EESX_IbLb0EEEEDaST_SU_EUlST_E_NS1_11comp_targetILNS1_3genE8ELNS1_11target_archE1030ELNS1_3gpuE2ELNS1_3repE0EEENS1_30default_config_static_selectorELNS0_4arch9wavefront6targetE1EEEvT1_
; %bb.0:
	.section	.rodata,"a",@progbits
	.p2align	6, 0x0
	.amdhsa_kernel _ZN7rocprim17ROCPRIM_400000_NS6detail17trampoline_kernelINS0_14default_configENS1_27scan_by_key_config_selectorIiiEEZZNS1_16scan_by_key_implILNS1_25lookback_scan_determinismE0ELb0ES3_N6thrust23THRUST_200600_302600_NS6detail15normal_iteratorINS9_10device_ptrIiEEEESE_SE_iNS9_4plusIiEE19head_flag_predicateiEE10hipError_tPvRmT2_T3_T4_T5_mT6_T7_P12ihipStream_tbENKUlT_T0_E_clISt17integral_constantIbLb1EESX_IbLb0EEEEDaST_SU_EUlST_E_NS1_11comp_targetILNS1_3genE8ELNS1_11target_archE1030ELNS1_3gpuE2ELNS1_3repE0EEENS1_30default_config_static_selectorELNS0_4arch9wavefront6targetE1EEEvT1_
		.amdhsa_group_segment_fixed_size 0
		.amdhsa_private_segment_fixed_size 0
		.amdhsa_kernarg_size 112
		.amdhsa_user_sgpr_count 6
		.amdhsa_user_sgpr_private_segment_buffer 1
		.amdhsa_user_sgpr_dispatch_ptr 0
		.amdhsa_user_sgpr_queue_ptr 0
		.amdhsa_user_sgpr_kernarg_segment_ptr 1
		.amdhsa_user_sgpr_dispatch_id 0
		.amdhsa_user_sgpr_flat_scratch_init 0
		.amdhsa_user_sgpr_kernarg_preload_length 0
		.amdhsa_user_sgpr_kernarg_preload_offset 0
		.amdhsa_user_sgpr_private_segment_size 0
		.amdhsa_uses_dynamic_stack 0
		.amdhsa_system_sgpr_private_segment_wavefront_offset 0
		.amdhsa_system_sgpr_workgroup_id_x 1
		.amdhsa_system_sgpr_workgroup_id_y 0
		.amdhsa_system_sgpr_workgroup_id_z 0
		.amdhsa_system_sgpr_workgroup_info 0
		.amdhsa_system_vgpr_workitem_id 0
		.amdhsa_next_free_vgpr 1
		.amdhsa_next_free_sgpr 0
		.amdhsa_accum_offset 4
		.amdhsa_reserve_vcc 0
		.amdhsa_reserve_flat_scratch 0
		.amdhsa_float_round_mode_32 0
		.amdhsa_float_round_mode_16_64 0
		.amdhsa_float_denorm_mode_32 3
		.amdhsa_float_denorm_mode_16_64 3
		.amdhsa_dx10_clamp 1
		.amdhsa_ieee_mode 1
		.amdhsa_fp16_overflow 0
		.amdhsa_tg_split 0
		.amdhsa_exception_fp_ieee_invalid_op 0
		.amdhsa_exception_fp_denorm_src 0
		.amdhsa_exception_fp_ieee_div_zero 0
		.amdhsa_exception_fp_ieee_overflow 0
		.amdhsa_exception_fp_ieee_underflow 0
		.amdhsa_exception_fp_ieee_inexact 0
		.amdhsa_exception_int_div_zero 0
	.end_amdhsa_kernel
	.section	.text._ZN7rocprim17ROCPRIM_400000_NS6detail17trampoline_kernelINS0_14default_configENS1_27scan_by_key_config_selectorIiiEEZZNS1_16scan_by_key_implILNS1_25lookback_scan_determinismE0ELb0ES3_N6thrust23THRUST_200600_302600_NS6detail15normal_iteratorINS9_10device_ptrIiEEEESE_SE_iNS9_4plusIiEE19head_flag_predicateiEE10hipError_tPvRmT2_T3_T4_T5_mT6_T7_P12ihipStream_tbENKUlT_T0_E_clISt17integral_constantIbLb1EESX_IbLb0EEEEDaST_SU_EUlST_E_NS1_11comp_targetILNS1_3genE8ELNS1_11target_archE1030ELNS1_3gpuE2ELNS1_3repE0EEENS1_30default_config_static_selectorELNS0_4arch9wavefront6targetE1EEEvT1_,"axG",@progbits,_ZN7rocprim17ROCPRIM_400000_NS6detail17trampoline_kernelINS0_14default_configENS1_27scan_by_key_config_selectorIiiEEZZNS1_16scan_by_key_implILNS1_25lookback_scan_determinismE0ELb0ES3_N6thrust23THRUST_200600_302600_NS6detail15normal_iteratorINS9_10device_ptrIiEEEESE_SE_iNS9_4plusIiEE19head_flag_predicateiEE10hipError_tPvRmT2_T3_T4_T5_mT6_T7_P12ihipStream_tbENKUlT_T0_E_clISt17integral_constantIbLb1EESX_IbLb0EEEEDaST_SU_EUlST_E_NS1_11comp_targetILNS1_3genE8ELNS1_11target_archE1030ELNS1_3gpuE2ELNS1_3repE0EEENS1_30default_config_static_selectorELNS0_4arch9wavefront6targetE1EEEvT1_,comdat
.Lfunc_end775:
	.size	_ZN7rocprim17ROCPRIM_400000_NS6detail17trampoline_kernelINS0_14default_configENS1_27scan_by_key_config_selectorIiiEEZZNS1_16scan_by_key_implILNS1_25lookback_scan_determinismE0ELb0ES3_N6thrust23THRUST_200600_302600_NS6detail15normal_iteratorINS9_10device_ptrIiEEEESE_SE_iNS9_4plusIiEE19head_flag_predicateiEE10hipError_tPvRmT2_T3_T4_T5_mT6_T7_P12ihipStream_tbENKUlT_T0_E_clISt17integral_constantIbLb1EESX_IbLb0EEEEDaST_SU_EUlST_E_NS1_11comp_targetILNS1_3genE8ELNS1_11target_archE1030ELNS1_3gpuE2ELNS1_3repE0EEENS1_30default_config_static_selectorELNS0_4arch9wavefront6targetE1EEEvT1_, .Lfunc_end775-_ZN7rocprim17ROCPRIM_400000_NS6detail17trampoline_kernelINS0_14default_configENS1_27scan_by_key_config_selectorIiiEEZZNS1_16scan_by_key_implILNS1_25lookback_scan_determinismE0ELb0ES3_N6thrust23THRUST_200600_302600_NS6detail15normal_iteratorINS9_10device_ptrIiEEEESE_SE_iNS9_4plusIiEE19head_flag_predicateiEE10hipError_tPvRmT2_T3_T4_T5_mT6_T7_P12ihipStream_tbENKUlT_T0_E_clISt17integral_constantIbLb1EESX_IbLb0EEEEDaST_SU_EUlST_E_NS1_11comp_targetILNS1_3genE8ELNS1_11target_archE1030ELNS1_3gpuE2ELNS1_3repE0EEENS1_30default_config_static_selectorELNS0_4arch9wavefront6targetE1EEEvT1_
                                        ; -- End function
	.section	.AMDGPU.csdata,"",@progbits
; Kernel info:
; codeLenInByte = 0
; NumSgprs: 4
; NumVgprs: 0
; NumAgprs: 0
; TotalNumVgprs: 0
; ScratchSize: 0
; MemoryBound: 0
; FloatMode: 240
; IeeeMode: 1
; LDSByteSize: 0 bytes/workgroup (compile time only)
; SGPRBlocks: 0
; VGPRBlocks: 0
; NumSGPRsForWavesPerEU: 4
; NumVGPRsForWavesPerEU: 1
; AccumOffset: 4
; Occupancy: 8
; WaveLimiterHint : 0
; COMPUTE_PGM_RSRC2:SCRATCH_EN: 0
; COMPUTE_PGM_RSRC2:USER_SGPR: 6
; COMPUTE_PGM_RSRC2:TRAP_HANDLER: 0
; COMPUTE_PGM_RSRC2:TGID_X_EN: 1
; COMPUTE_PGM_RSRC2:TGID_Y_EN: 0
; COMPUTE_PGM_RSRC2:TGID_Z_EN: 0
; COMPUTE_PGM_RSRC2:TIDIG_COMP_CNT: 0
; COMPUTE_PGM_RSRC3_GFX90A:ACCUM_OFFSET: 0
; COMPUTE_PGM_RSRC3_GFX90A:TG_SPLIT: 0
	.section	.text._ZN7rocprim17ROCPRIM_400000_NS6detail17trampoline_kernelINS0_14default_configENS1_27scan_by_key_config_selectorIiiEEZZNS1_16scan_by_key_implILNS1_25lookback_scan_determinismE0ELb0ES3_N6thrust23THRUST_200600_302600_NS6detail15normal_iteratorINS9_10device_ptrIiEEEESE_SE_iNS9_4plusIiEE19head_flag_predicateiEE10hipError_tPvRmT2_T3_T4_T5_mT6_T7_P12ihipStream_tbENKUlT_T0_E_clISt17integral_constantIbLb0EESX_IbLb1EEEEDaST_SU_EUlST_E_NS1_11comp_targetILNS1_3genE0ELNS1_11target_archE4294967295ELNS1_3gpuE0ELNS1_3repE0EEENS1_30default_config_static_selectorELNS0_4arch9wavefront6targetE1EEEvT1_,"axG",@progbits,_ZN7rocprim17ROCPRIM_400000_NS6detail17trampoline_kernelINS0_14default_configENS1_27scan_by_key_config_selectorIiiEEZZNS1_16scan_by_key_implILNS1_25lookback_scan_determinismE0ELb0ES3_N6thrust23THRUST_200600_302600_NS6detail15normal_iteratorINS9_10device_ptrIiEEEESE_SE_iNS9_4plusIiEE19head_flag_predicateiEE10hipError_tPvRmT2_T3_T4_T5_mT6_T7_P12ihipStream_tbENKUlT_T0_E_clISt17integral_constantIbLb0EESX_IbLb1EEEEDaST_SU_EUlST_E_NS1_11comp_targetILNS1_3genE0ELNS1_11target_archE4294967295ELNS1_3gpuE0ELNS1_3repE0EEENS1_30default_config_static_selectorELNS0_4arch9wavefront6targetE1EEEvT1_,comdat
	.protected	_ZN7rocprim17ROCPRIM_400000_NS6detail17trampoline_kernelINS0_14default_configENS1_27scan_by_key_config_selectorIiiEEZZNS1_16scan_by_key_implILNS1_25lookback_scan_determinismE0ELb0ES3_N6thrust23THRUST_200600_302600_NS6detail15normal_iteratorINS9_10device_ptrIiEEEESE_SE_iNS9_4plusIiEE19head_flag_predicateiEE10hipError_tPvRmT2_T3_T4_T5_mT6_T7_P12ihipStream_tbENKUlT_T0_E_clISt17integral_constantIbLb0EESX_IbLb1EEEEDaST_SU_EUlST_E_NS1_11comp_targetILNS1_3genE0ELNS1_11target_archE4294967295ELNS1_3gpuE0ELNS1_3repE0EEENS1_30default_config_static_selectorELNS0_4arch9wavefront6targetE1EEEvT1_ ; -- Begin function _ZN7rocprim17ROCPRIM_400000_NS6detail17trampoline_kernelINS0_14default_configENS1_27scan_by_key_config_selectorIiiEEZZNS1_16scan_by_key_implILNS1_25lookback_scan_determinismE0ELb0ES3_N6thrust23THRUST_200600_302600_NS6detail15normal_iteratorINS9_10device_ptrIiEEEESE_SE_iNS9_4plusIiEE19head_flag_predicateiEE10hipError_tPvRmT2_T3_T4_T5_mT6_T7_P12ihipStream_tbENKUlT_T0_E_clISt17integral_constantIbLb0EESX_IbLb1EEEEDaST_SU_EUlST_E_NS1_11comp_targetILNS1_3genE0ELNS1_11target_archE4294967295ELNS1_3gpuE0ELNS1_3repE0EEENS1_30default_config_static_selectorELNS0_4arch9wavefront6targetE1EEEvT1_
	.globl	_ZN7rocprim17ROCPRIM_400000_NS6detail17trampoline_kernelINS0_14default_configENS1_27scan_by_key_config_selectorIiiEEZZNS1_16scan_by_key_implILNS1_25lookback_scan_determinismE0ELb0ES3_N6thrust23THRUST_200600_302600_NS6detail15normal_iteratorINS9_10device_ptrIiEEEESE_SE_iNS9_4plusIiEE19head_flag_predicateiEE10hipError_tPvRmT2_T3_T4_T5_mT6_T7_P12ihipStream_tbENKUlT_T0_E_clISt17integral_constantIbLb0EESX_IbLb1EEEEDaST_SU_EUlST_E_NS1_11comp_targetILNS1_3genE0ELNS1_11target_archE4294967295ELNS1_3gpuE0ELNS1_3repE0EEENS1_30default_config_static_selectorELNS0_4arch9wavefront6targetE1EEEvT1_
	.p2align	8
	.type	_ZN7rocprim17ROCPRIM_400000_NS6detail17trampoline_kernelINS0_14default_configENS1_27scan_by_key_config_selectorIiiEEZZNS1_16scan_by_key_implILNS1_25lookback_scan_determinismE0ELb0ES3_N6thrust23THRUST_200600_302600_NS6detail15normal_iteratorINS9_10device_ptrIiEEEESE_SE_iNS9_4plusIiEE19head_flag_predicateiEE10hipError_tPvRmT2_T3_T4_T5_mT6_T7_P12ihipStream_tbENKUlT_T0_E_clISt17integral_constantIbLb0EESX_IbLb1EEEEDaST_SU_EUlST_E_NS1_11comp_targetILNS1_3genE0ELNS1_11target_archE4294967295ELNS1_3gpuE0ELNS1_3repE0EEENS1_30default_config_static_selectorELNS0_4arch9wavefront6targetE1EEEvT1_,@function
_ZN7rocprim17ROCPRIM_400000_NS6detail17trampoline_kernelINS0_14default_configENS1_27scan_by_key_config_selectorIiiEEZZNS1_16scan_by_key_implILNS1_25lookback_scan_determinismE0ELb0ES3_N6thrust23THRUST_200600_302600_NS6detail15normal_iteratorINS9_10device_ptrIiEEEESE_SE_iNS9_4plusIiEE19head_flag_predicateiEE10hipError_tPvRmT2_T3_T4_T5_mT6_T7_P12ihipStream_tbENKUlT_T0_E_clISt17integral_constantIbLb0EESX_IbLb1EEEEDaST_SU_EUlST_E_NS1_11comp_targetILNS1_3genE0ELNS1_11target_archE4294967295ELNS1_3gpuE0ELNS1_3repE0EEENS1_30default_config_static_selectorELNS0_4arch9wavefront6targetE1EEEvT1_: ; @_ZN7rocprim17ROCPRIM_400000_NS6detail17trampoline_kernelINS0_14default_configENS1_27scan_by_key_config_selectorIiiEEZZNS1_16scan_by_key_implILNS1_25lookback_scan_determinismE0ELb0ES3_N6thrust23THRUST_200600_302600_NS6detail15normal_iteratorINS9_10device_ptrIiEEEESE_SE_iNS9_4plusIiEE19head_flag_predicateiEE10hipError_tPvRmT2_T3_T4_T5_mT6_T7_P12ihipStream_tbENKUlT_T0_E_clISt17integral_constantIbLb0EESX_IbLb1EEEEDaST_SU_EUlST_E_NS1_11comp_targetILNS1_3genE0ELNS1_11target_archE4294967295ELNS1_3gpuE0ELNS1_3repE0EEENS1_30default_config_static_selectorELNS0_4arch9wavefront6targetE1EEEvT1_
; %bb.0:
	.section	.rodata,"a",@progbits
	.p2align	6, 0x0
	.amdhsa_kernel _ZN7rocprim17ROCPRIM_400000_NS6detail17trampoline_kernelINS0_14default_configENS1_27scan_by_key_config_selectorIiiEEZZNS1_16scan_by_key_implILNS1_25lookback_scan_determinismE0ELb0ES3_N6thrust23THRUST_200600_302600_NS6detail15normal_iteratorINS9_10device_ptrIiEEEESE_SE_iNS9_4plusIiEE19head_flag_predicateiEE10hipError_tPvRmT2_T3_T4_T5_mT6_T7_P12ihipStream_tbENKUlT_T0_E_clISt17integral_constantIbLb0EESX_IbLb1EEEEDaST_SU_EUlST_E_NS1_11comp_targetILNS1_3genE0ELNS1_11target_archE4294967295ELNS1_3gpuE0ELNS1_3repE0EEENS1_30default_config_static_selectorELNS0_4arch9wavefront6targetE1EEEvT1_
		.amdhsa_group_segment_fixed_size 0
		.amdhsa_private_segment_fixed_size 0
		.amdhsa_kernarg_size 112
		.amdhsa_user_sgpr_count 6
		.amdhsa_user_sgpr_private_segment_buffer 1
		.amdhsa_user_sgpr_dispatch_ptr 0
		.amdhsa_user_sgpr_queue_ptr 0
		.amdhsa_user_sgpr_kernarg_segment_ptr 1
		.amdhsa_user_sgpr_dispatch_id 0
		.amdhsa_user_sgpr_flat_scratch_init 0
		.amdhsa_user_sgpr_kernarg_preload_length 0
		.amdhsa_user_sgpr_kernarg_preload_offset 0
		.amdhsa_user_sgpr_private_segment_size 0
		.amdhsa_uses_dynamic_stack 0
		.amdhsa_system_sgpr_private_segment_wavefront_offset 0
		.amdhsa_system_sgpr_workgroup_id_x 1
		.amdhsa_system_sgpr_workgroup_id_y 0
		.amdhsa_system_sgpr_workgroup_id_z 0
		.amdhsa_system_sgpr_workgroup_info 0
		.amdhsa_system_vgpr_workitem_id 0
		.amdhsa_next_free_vgpr 1
		.amdhsa_next_free_sgpr 0
		.amdhsa_accum_offset 4
		.amdhsa_reserve_vcc 0
		.amdhsa_reserve_flat_scratch 0
		.amdhsa_float_round_mode_32 0
		.amdhsa_float_round_mode_16_64 0
		.amdhsa_float_denorm_mode_32 3
		.amdhsa_float_denorm_mode_16_64 3
		.amdhsa_dx10_clamp 1
		.amdhsa_ieee_mode 1
		.amdhsa_fp16_overflow 0
		.amdhsa_tg_split 0
		.amdhsa_exception_fp_ieee_invalid_op 0
		.amdhsa_exception_fp_denorm_src 0
		.amdhsa_exception_fp_ieee_div_zero 0
		.amdhsa_exception_fp_ieee_overflow 0
		.amdhsa_exception_fp_ieee_underflow 0
		.amdhsa_exception_fp_ieee_inexact 0
		.amdhsa_exception_int_div_zero 0
	.end_amdhsa_kernel
	.section	.text._ZN7rocprim17ROCPRIM_400000_NS6detail17trampoline_kernelINS0_14default_configENS1_27scan_by_key_config_selectorIiiEEZZNS1_16scan_by_key_implILNS1_25lookback_scan_determinismE0ELb0ES3_N6thrust23THRUST_200600_302600_NS6detail15normal_iteratorINS9_10device_ptrIiEEEESE_SE_iNS9_4plusIiEE19head_flag_predicateiEE10hipError_tPvRmT2_T3_T4_T5_mT6_T7_P12ihipStream_tbENKUlT_T0_E_clISt17integral_constantIbLb0EESX_IbLb1EEEEDaST_SU_EUlST_E_NS1_11comp_targetILNS1_3genE0ELNS1_11target_archE4294967295ELNS1_3gpuE0ELNS1_3repE0EEENS1_30default_config_static_selectorELNS0_4arch9wavefront6targetE1EEEvT1_,"axG",@progbits,_ZN7rocprim17ROCPRIM_400000_NS6detail17trampoline_kernelINS0_14default_configENS1_27scan_by_key_config_selectorIiiEEZZNS1_16scan_by_key_implILNS1_25lookback_scan_determinismE0ELb0ES3_N6thrust23THRUST_200600_302600_NS6detail15normal_iteratorINS9_10device_ptrIiEEEESE_SE_iNS9_4plusIiEE19head_flag_predicateiEE10hipError_tPvRmT2_T3_T4_T5_mT6_T7_P12ihipStream_tbENKUlT_T0_E_clISt17integral_constantIbLb0EESX_IbLb1EEEEDaST_SU_EUlST_E_NS1_11comp_targetILNS1_3genE0ELNS1_11target_archE4294967295ELNS1_3gpuE0ELNS1_3repE0EEENS1_30default_config_static_selectorELNS0_4arch9wavefront6targetE1EEEvT1_,comdat
.Lfunc_end776:
	.size	_ZN7rocprim17ROCPRIM_400000_NS6detail17trampoline_kernelINS0_14default_configENS1_27scan_by_key_config_selectorIiiEEZZNS1_16scan_by_key_implILNS1_25lookback_scan_determinismE0ELb0ES3_N6thrust23THRUST_200600_302600_NS6detail15normal_iteratorINS9_10device_ptrIiEEEESE_SE_iNS9_4plusIiEE19head_flag_predicateiEE10hipError_tPvRmT2_T3_T4_T5_mT6_T7_P12ihipStream_tbENKUlT_T0_E_clISt17integral_constantIbLb0EESX_IbLb1EEEEDaST_SU_EUlST_E_NS1_11comp_targetILNS1_3genE0ELNS1_11target_archE4294967295ELNS1_3gpuE0ELNS1_3repE0EEENS1_30default_config_static_selectorELNS0_4arch9wavefront6targetE1EEEvT1_, .Lfunc_end776-_ZN7rocprim17ROCPRIM_400000_NS6detail17trampoline_kernelINS0_14default_configENS1_27scan_by_key_config_selectorIiiEEZZNS1_16scan_by_key_implILNS1_25lookback_scan_determinismE0ELb0ES3_N6thrust23THRUST_200600_302600_NS6detail15normal_iteratorINS9_10device_ptrIiEEEESE_SE_iNS9_4plusIiEE19head_flag_predicateiEE10hipError_tPvRmT2_T3_T4_T5_mT6_T7_P12ihipStream_tbENKUlT_T0_E_clISt17integral_constantIbLb0EESX_IbLb1EEEEDaST_SU_EUlST_E_NS1_11comp_targetILNS1_3genE0ELNS1_11target_archE4294967295ELNS1_3gpuE0ELNS1_3repE0EEENS1_30default_config_static_selectorELNS0_4arch9wavefront6targetE1EEEvT1_
                                        ; -- End function
	.section	.AMDGPU.csdata,"",@progbits
; Kernel info:
; codeLenInByte = 0
; NumSgprs: 4
; NumVgprs: 0
; NumAgprs: 0
; TotalNumVgprs: 0
; ScratchSize: 0
; MemoryBound: 0
; FloatMode: 240
; IeeeMode: 1
; LDSByteSize: 0 bytes/workgroup (compile time only)
; SGPRBlocks: 0
; VGPRBlocks: 0
; NumSGPRsForWavesPerEU: 4
; NumVGPRsForWavesPerEU: 1
; AccumOffset: 4
; Occupancy: 8
; WaveLimiterHint : 0
; COMPUTE_PGM_RSRC2:SCRATCH_EN: 0
; COMPUTE_PGM_RSRC2:USER_SGPR: 6
; COMPUTE_PGM_RSRC2:TRAP_HANDLER: 0
; COMPUTE_PGM_RSRC2:TGID_X_EN: 1
; COMPUTE_PGM_RSRC2:TGID_Y_EN: 0
; COMPUTE_PGM_RSRC2:TGID_Z_EN: 0
; COMPUTE_PGM_RSRC2:TIDIG_COMP_CNT: 0
; COMPUTE_PGM_RSRC3_GFX90A:ACCUM_OFFSET: 0
; COMPUTE_PGM_RSRC3_GFX90A:TG_SPLIT: 0
	.section	.text._ZN7rocprim17ROCPRIM_400000_NS6detail17trampoline_kernelINS0_14default_configENS1_27scan_by_key_config_selectorIiiEEZZNS1_16scan_by_key_implILNS1_25lookback_scan_determinismE0ELb0ES3_N6thrust23THRUST_200600_302600_NS6detail15normal_iteratorINS9_10device_ptrIiEEEESE_SE_iNS9_4plusIiEE19head_flag_predicateiEE10hipError_tPvRmT2_T3_T4_T5_mT6_T7_P12ihipStream_tbENKUlT_T0_E_clISt17integral_constantIbLb0EESX_IbLb1EEEEDaST_SU_EUlST_E_NS1_11comp_targetILNS1_3genE10ELNS1_11target_archE1201ELNS1_3gpuE5ELNS1_3repE0EEENS1_30default_config_static_selectorELNS0_4arch9wavefront6targetE1EEEvT1_,"axG",@progbits,_ZN7rocprim17ROCPRIM_400000_NS6detail17trampoline_kernelINS0_14default_configENS1_27scan_by_key_config_selectorIiiEEZZNS1_16scan_by_key_implILNS1_25lookback_scan_determinismE0ELb0ES3_N6thrust23THRUST_200600_302600_NS6detail15normal_iteratorINS9_10device_ptrIiEEEESE_SE_iNS9_4plusIiEE19head_flag_predicateiEE10hipError_tPvRmT2_T3_T4_T5_mT6_T7_P12ihipStream_tbENKUlT_T0_E_clISt17integral_constantIbLb0EESX_IbLb1EEEEDaST_SU_EUlST_E_NS1_11comp_targetILNS1_3genE10ELNS1_11target_archE1201ELNS1_3gpuE5ELNS1_3repE0EEENS1_30default_config_static_selectorELNS0_4arch9wavefront6targetE1EEEvT1_,comdat
	.protected	_ZN7rocprim17ROCPRIM_400000_NS6detail17trampoline_kernelINS0_14default_configENS1_27scan_by_key_config_selectorIiiEEZZNS1_16scan_by_key_implILNS1_25lookback_scan_determinismE0ELb0ES3_N6thrust23THRUST_200600_302600_NS6detail15normal_iteratorINS9_10device_ptrIiEEEESE_SE_iNS9_4plusIiEE19head_flag_predicateiEE10hipError_tPvRmT2_T3_T4_T5_mT6_T7_P12ihipStream_tbENKUlT_T0_E_clISt17integral_constantIbLb0EESX_IbLb1EEEEDaST_SU_EUlST_E_NS1_11comp_targetILNS1_3genE10ELNS1_11target_archE1201ELNS1_3gpuE5ELNS1_3repE0EEENS1_30default_config_static_selectorELNS0_4arch9wavefront6targetE1EEEvT1_ ; -- Begin function _ZN7rocprim17ROCPRIM_400000_NS6detail17trampoline_kernelINS0_14default_configENS1_27scan_by_key_config_selectorIiiEEZZNS1_16scan_by_key_implILNS1_25lookback_scan_determinismE0ELb0ES3_N6thrust23THRUST_200600_302600_NS6detail15normal_iteratorINS9_10device_ptrIiEEEESE_SE_iNS9_4plusIiEE19head_flag_predicateiEE10hipError_tPvRmT2_T3_T4_T5_mT6_T7_P12ihipStream_tbENKUlT_T0_E_clISt17integral_constantIbLb0EESX_IbLb1EEEEDaST_SU_EUlST_E_NS1_11comp_targetILNS1_3genE10ELNS1_11target_archE1201ELNS1_3gpuE5ELNS1_3repE0EEENS1_30default_config_static_selectorELNS0_4arch9wavefront6targetE1EEEvT1_
	.globl	_ZN7rocprim17ROCPRIM_400000_NS6detail17trampoline_kernelINS0_14default_configENS1_27scan_by_key_config_selectorIiiEEZZNS1_16scan_by_key_implILNS1_25lookback_scan_determinismE0ELb0ES3_N6thrust23THRUST_200600_302600_NS6detail15normal_iteratorINS9_10device_ptrIiEEEESE_SE_iNS9_4plusIiEE19head_flag_predicateiEE10hipError_tPvRmT2_T3_T4_T5_mT6_T7_P12ihipStream_tbENKUlT_T0_E_clISt17integral_constantIbLb0EESX_IbLb1EEEEDaST_SU_EUlST_E_NS1_11comp_targetILNS1_3genE10ELNS1_11target_archE1201ELNS1_3gpuE5ELNS1_3repE0EEENS1_30default_config_static_selectorELNS0_4arch9wavefront6targetE1EEEvT1_
	.p2align	8
	.type	_ZN7rocprim17ROCPRIM_400000_NS6detail17trampoline_kernelINS0_14default_configENS1_27scan_by_key_config_selectorIiiEEZZNS1_16scan_by_key_implILNS1_25lookback_scan_determinismE0ELb0ES3_N6thrust23THRUST_200600_302600_NS6detail15normal_iteratorINS9_10device_ptrIiEEEESE_SE_iNS9_4plusIiEE19head_flag_predicateiEE10hipError_tPvRmT2_T3_T4_T5_mT6_T7_P12ihipStream_tbENKUlT_T0_E_clISt17integral_constantIbLb0EESX_IbLb1EEEEDaST_SU_EUlST_E_NS1_11comp_targetILNS1_3genE10ELNS1_11target_archE1201ELNS1_3gpuE5ELNS1_3repE0EEENS1_30default_config_static_selectorELNS0_4arch9wavefront6targetE1EEEvT1_,@function
_ZN7rocprim17ROCPRIM_400000_NS6detail17trampoline_kernelINS0_14default_configENS1_27scan_by_key_config_selectorIiiEEZZNS1_16scan_by_key_implILNS1_25lookback_scan_determinismE0ELb0ES3_N6thrust23THRUST_200600_302600_NS6detail15normal_iteratorINS9_10device_ptrIiEEEESE_SE_iNS9_4plusIiEE19head_flag_predicateiEE10hipError_tPvRmT2_T3_T4_T5_mT6_T7_P12ihipStream_tbENKUlT_T0_E_clISt17integral_constantIbLb0EESX_IbLb1EEEEDaST_SU_EUlST_E_NS1_11comp_targetILNS1_3genE10ELNS1_11target_archE1201ELNS1_3gpuE5ELNS1_3repE0EEENS1_30default_config_static_selectorELNS0_4arch9wavefront6targetE1EEEvT1_: ; @_ZN7rocprim17ROCPRIM_400000_NS6detail17trampoline_kernelINS0_14default_configENS1_27scan_by_key_config_selectorIiiEEZZNS1_16scan_by_key_implILNS1_25lookback_scan_determinismE0ELb0ES3_N6thrust23THRUST_200600_302600_NS6detail15normal_iteratorINS9_10device_ptrIiEEEESE_SE_iNS9_4plusIiEE19head_flag_predicateiEE10hipError_tPvRmT2_T3_T4_T5_mT6_T7_P12ihipStream_tbENKUlT_T0_E_clISt17integral_constantIbLb0EESX_IbLb1EEEEDaST_SU_EUlST_E_NS1_11comp_targetILNS1_3genE10ELNS1_11target_archE1201ELNS1_3gpuE5ELNS1_3repE0EEENS1_30default_config_static_selectorELNS0_4arch9wavefront6targetE1EEEvT1_
; %bb.0:
	.section	.rodata,"a",@progbits
	.p2align	6, 0x0
	.amdhsa_kernel _ZN7rocprim17ROCPRIM_400000_NS6detail17trampoline_kernelINS0_14default_configENS1_27scan_by_key_config_selectorIiiEEZZNS1_16scan_by_key_implILNS1_25lookback_scan_determinismE0ELb0ES3_N6thrust23THRUST_200600_302600_NS6detail15normal_iteratorINS9_10device_ptrIiEEEESE_SE_iNS9_4plusIiEE19head_flag_predicateiEE10hipError_tPvRmT2_T3_T4_T5_mT6_T7_P12ihipStream_tbENKUlT_T0_E_clISt17integral_constantIbLb0EESX_IbLb1EEEEDaST_SU_EUlST_E_NS1_11comp_targetILNS1_3genE10ELNS1_11target_archE1201ELNS1_3gpuE5ELNS1_3repE0EEENS1_30default_config_static_selectorELNS0_4arch9wavefront6targetE1EEEvT1_
		.amdhsa_group_segment_fixed_size 0
		.amdhsa_private_segment_fixed_size 0
		.amdhsa_kernarg_size 112
		.amdhsa_user_sgpr_count 6
		.amdhsa_user_sgpr_private_segment_buffer 1
		.amdhsa_user_sgpr_dispatch_ptr 0
		.amdhsa_user_sgpr_queue_ptr 0
		.amdhsa_user_sgpr_kernarg_segment_ptr 1
		.amdhsa_user_sgpr_dispatch_id 0
		.amdhsa_user_sgpr_flat_scratch_init 0
		.amdhsa_user_sgpr_kernarg_preload_length 0
		.amdhsa_user_sgpr_kernarg_preload_offset 0
		.amdhsa_user_sgpr_private_segment_size 0
		.amdhsa_uses_dynamic_stack 0
		.amdhsa_system_sgpr_private_segment_wavefront_offset 0
		.amdhsa_system_sgpr_workgroup_id_x 1
		.amdhsa_system_sgpr_workgroup_id_y 0
		.amdhsa_system_sgpr_workgroup_id_z 0
		.amdhsa_system_sgpr_workgroup_info 0
		.amdhsa_system_vgpr_workitem_id 0
		.amdhsa_next_free_vgpr 1
		.amdhsa_next_free_sgpr 0
		.amdhsa_accum_offset 4
		.amdhsa_reserve_vcc 0
		.amdhsa_reserve_flat_scratch 0
		.amdhsa_float_round_mode_32 0
		.amdhsa_float_round_mode_16_64 0
		.amdhsa_float_denorm_mode_32 3
		.amdhsa_float_denorm_mode_16_64 3
		.amdhsa_dx10_clamp 1
		.amdhsa_ieee_mode 1
		.amdhsa_fp16_overflow 0
		.amdhsa_tg_split 0
		.amdhsa_exception_fp_ieee_invalid_op 0
		.amdhsa_exception_fp_denorm_src 0
		.amdhsa_exception_fp_ieee_div_zero 0
		.amdhsa_exception_fp_ieee_overflow 0
		.amdhsa_exception_fp_ieee_underflow 0
		.amdhsa_exception_fp_ieee_inexact 0
		.amdhsa_exception_int_div_zero 0
	.end_amdhsa_kernel
	.section	.text._ZN7rocprim17ROCPRIM_400000_NS6detail17trampoline_kernelINS0_14default_configENS1_27scan_by_key_config_selectorIiiEEZZNS1_16scan_by_key_implILNS1_25lookback_scan_determinismE0ELb0ES3_N6thrust23THRUST_200600_302600_NS6detail15normal_iteratorINS9_10device_ptrIiEEEESE_SE_iNS9_4plusIiEE19head_flag_predicateiEE10hipError_tPvRmT2_T3_T4_T5_mT6_T7_P12ihipStream_tbENKUlT_T0_E_clISt17integral_constantIbLb0EESX_IbLb1EEEEDaST_SU_EUlST_E_NS1_11comp_targetILNS1_3genE10ELNS1_11target_archE1201ELNS1_3gpuE5ELNS1_3repE0EEENS1_30default_config_static_selectorELNS0_4arch9wavefront6targetE1EEEvT1_,"axG",@progbits,_ZN7rocprim17ROCPRIM_400000_NS6detail17trampoline_kernelINS0_14default_configENS1_27scan_by_key_config_selectorIiiEEZZNS1_16scan_by_key_implILNS1_25lookback_scan_determinismE0ELb0ES3_N6thrust23THRUST_200600_302600_NS6detail15normal_iteratorINS9_10device_ptrIiEEEESE_SE_iNS9_4plusIiEE19head_flag_predicateiEE10hipError_tPvRmT2_T3_T4_T5_mT6_T7_P12ihipStream_tbENKUlT_T0_E_clISt17integral_constantIbLb0EESX_IbLb1EEEEDaST_SU_EUlST_E_NS1_11comp_targetILNS1_3genE10ELNS1_11target_archE1201ELNS1_3gpuE5ELNS1_3repE0EEENS1_30default_config_static_selectorELNS0_4arch9wavefront6targetE1EEEvT1_,comdat
.Lfunc_end777:
	.size	_ZN7rocprim17ROCPRIM_400000_NS6detail17trampoline_kernelINS0_14default_configENS1_27scan_by_key_config_selectorIiiEEZZNS1_16scan_by_key_implILNS1_25lookback_scan_determinismE0ELb0ES3_N6thrust23THRUST_200600_302600_NS6detail15normal_iteratorINS9_10device_ptrIiEEEESE_SE_iNS9_4plusIiEE19head_flag_predicateiEE10hipError_tPvRmT2_T3_T4_T5_mT6_T7_P12ihipStream_tbENKUlT_T0_E_clISt17integral_constantIbLb0EESX_IbLb1EEEEDaST_SU_EUlST_E_NS1_11comp_targetILNS1_3genE10ELNS1_11target_archE1201ELNS1_3gpuE5ELNS1_3repE0EEENS1_30default_config_static_selectorELNS0_4arch9wavefront6targetE1EEEvT1_, .Lfunc_end777-_ZN7rocprim17ROCPRIM_400000_NS6detail17trampoline_kernelINS0_14default_configENS1_27scan_by_key_config_selectorIiiEEZZNS1_16scan_by_key_implILNS1_25lookback_scan_determinismE0ELb0ES3_N6thrust23THRUST_200600_302600_NS6detail15normal_iteratorINS9_10device_ptrIiEEEESE_SE_iNS9_4plusIiEE19head_flag_predicateiEE10hipError_tPvRmT2_T3_T4_T5_mT6_T7_P12ihipStream_tbENKUlT_T0_E_clISt17integral_constantIbLb0EESX_IbLb1EEEEDaST_SU_EUlST_E_NS1_11comp_targetILNS1_3genE10ELNS1_11target_archE1201ELNS1_3gpuE5ELNS1_3repE0EEENS1_30default_config_static_selectorELNS0_4arch9wavefront6targetE1EEEvT1_
                                        ; -- End function
	.section	.AMDGPU.csdata,"",@progbits
; Kernel info:
; codeLenInByte = 0
; NumSgprs: 4
; NumVgprs: 0
; NumAgprs: 0
; TotalNumVgprs: 0
; ScratchSize: 0
; MemoryBound: 0
; FloatMode: 240
; IeeeMode: 1
; LDSByteSize: 0 bytes/workgroup (compile time only)
; SGPRBlocks: 0
; VGPRBlocks: 0
; NumSGPRsForWavesPerEU: 4
; NumVGPRsForWavesPerEU: 1
; AccumOffset: 4
; Occupancy: 8
; WaveLimiterHint : 0
; COMPUTE_PGM_RSRC2:SCRATCH_EN: 0
; COMPUTE_PGM_RSRC2:USER_SGPR: 6
; COMPUTE_PGM_RSRC2:TRAP_HANDLER: 0
; COMPUTE_PGM_RSRC2:TGID_X_EN: 1
; COMPUTE_PGM_RSRC2:TGID_Y_EN: 0
; COMPUTE_PGM_RSRC2:TGID_Z_EN: 0
; COMPUTE_PGM_RSRC2:TIDIG_COMP_CNT: 0
; COMPUTE_PGM_RSRC3_GFX90A:ACCUM_OFFSET: 0
; COMPUTE_PGM_RSRC3_GFX90A:TG_SPLIT: 0
	.section	.text._ZN7rocprim17ROCPRIM_400000_NS6detail17trampoline_kernelINS0_14default_configENS1_27scan_by_key_config_selectorIiiEEZZNS1_16scan_by_key_implILNS1_25lookback_scan_determinismE0ELb0ES3_N6thrust23THRUST_200600_302600_NS6detail15normal_iteratorINS9_10device_ptrIiEEEESE_SE_iNS9_4plusIiEE19head_flag_predicateiEE10hipError_tPvRmT2_T3_T4_T5_mT6_T7_P12ihipStream_tbENKUlT_T0_E_clISt17integral_constantIbLb0EESX_IbLb1EEEEDaST_SU_EUlST_E_NS1_11comp_targetILNS1_3genE5ELNS1_11target_archE942ELNS1_3gpuE9ELNS1_3repE0EEENS1_30default_config_static_selectorELNS0_4arch9wavefront6targetE1EEEvT1_,"axG",@progbits,_ZN7rocprim17ROCPRIM_400000_NS6detail17trampoline_kernelINS0_14default_configENS1_27scan_by_key_config_selectorIiiEEZZNS1_16scan_by_key_implILNS1_25lookback_scan_determinismE0ELb0ES3_N6thrust23THRUST_200600_302600_NS6detail15normal_iteratorINS9_10device_ptrIiEEEESE_SE_iNS9_4plusIiEE19head_flag_predicateiEE10hipError_tPvRmT2_T3_T4_T5_mT6_T7_P12ihipStream_tbENKUlT_T0_E_clISt17integral_constantIbLb0EESX_IbLb1EEEEDaST_SU_EUlST_E_NS1_11comp_targetILNS1_3genE5ELNS1_11target_archE942ELNS1_3gpuE9ELNS1_3repE0EEENS1_30default_config_static_selectorELNS0_4arch9wavefront6targetE1EEEvT1_,comdat
	.protected	_ZN7rocprim17ROCPRIM_400000_NS6detail17trampoline_kernelINS0_14default_configENS1_27scan_by_key_config_selectorIiiEEZZNS1_16scan_by_key_implILNS1_25lookback_scan_determinismE0ELb0ES3_N6thrust23THRUST_200600_302600_NS6detail15normal_iteratorINS9_10device_ptrIiEEEESE_SE_iNS9_4plusIiEE19head_flag_predicateiEE10hipError_tPvRmT2_T3_T4_T5_mT6_T7_P12ihipStream_tbENKUlT_T0_E_clISt17integral_constantIbLb0EESX_IbLb1EEEEDaST_SU_EUlST_E_NS1_11comp_targetILNS1_3genE5ELNS1_11target_archE942ELNS1_3gpuE9ELNS1_3repE0EEENS1_30default_config_static_selectorELNS0_4arch9wavefront6targetE1EEEvT1_ ; -- Begin function _ZN7rocprim17ROCPRIM_400000_NS6detail17trampoline_kernelINS0_14default_configENS1_27scan_by_key_config_selectorIiiEEZZNS1_16scan_by_key_implILNS1_25lookback_scan_determinismE0ELb0ES3_N6thrust23THRUST_200600_302600_NS6detail15normal_iteratorINS9_10device_ptrIiEEEESE_SE_iNS9_4plusIiEE19head_flag_predicateiEE10hipError_tPvRmT2_T3_T4_T5_mT6_T7_P12ihipStream_tbENKUlT_T0_E_clISt17integral_constantIbLb0EESX_IbLb1EEEEDaST_SU_EUlST_E_NS1_11comp_targetILNS1_3genE5ELNS1_11target_archE942ELNS1_3gpuE9ELNS1_3repE0EEENS1_30default_config_static_selectorELNS0_4arch9wavefront6targetE1EEEvT1_
	.globl	_ZN7rocprim17ROCPRIM_400000_NS6detail17trampoline_kernelINS0_14default_configENS1_27scan_by_key_config_selectorIiiEEZZNS1_16scan_by_key_implILNS1_25lookback_scan_determinismE0ELb0ES3_N6thrust23THRUST_200600_302600_NS6detail15normal_iteratorINS9_10device_ptrIiEEEESE_SE_iNS9_4plusIiEE19head_flag_predicateiEE10hipError_tPvRmT2_T3_T4_T5_mT6_T7_P12ihipStream_tbENKUlT_T0_E_clISt17integral_constantIbLb0EESX_IbLb1EEEEDaST_SU_EUlST_E_NS1_11comp_targetILNS1_3genE5ELNS1_11target_archE942ELNS1_3gpuE9ELNS1_3repE0EEENS1_30default_config_static_selectorELNS0_4arch9wavefront6targetE1EEEvT1_
	.p2align	8
	.type	_ZN7rocprim17ROCPRIM_400000_NS6detail17trampoline_kernelINS0_14default_configENS1_27scan_by_key_config_selectorIiiEEZZNS1_16scan_by_key_implILNS1_25lookback_scan_determinismE0ELb0ES3_N6thrust23THRUST_200600_302600_NS6detail15normal_iteratorINS9_10device_ptrIiEEEESE_SE_iNS9_4plusIiEE19head_flag_predicateiEE10hipError_tPvRmT2_T3_T4_T5_mT6_T7_P12ihipStream_tbENKUlT_T0_E_clISt17integral_constantIbLb0EESX_IbLb1EEEEDaST_SU_EUlST_E_NS1_11comp_targetILNS1_3genE5ELNS1_11target_archE942ELNS1_3gpuE9ELNS1_3repE0EEENS1_30default_config_static_selectorELNS0_4arch9wavefront6targetE1EEEvT1_,@function
_ZN7rocprim17ROCPRIM_400000_NS6detail17trampoline_kernelINS0_14default_configENS1_27scan_by_key_config_selectorIiiEEZZNS1_16scan_by_key_implILNS1_25lookback_scan_determinismE0ELb0ES3_N6thrust23THRUST_200600_302600_NS6detail15normal_iteratorINS9_10device_ptrIiEEEESE_SE_iNS9_4plusIiEE19head_flag_predicateiEE10hipError_tPvRmT2_T3_T4_T5_mT6_T7_P12ihipStream_tbENKUlT_T0_E_clISt17integral_constantIbLb0EESX_IbLb1EEEEDaST_SU_EUlST_E_NS1_11comp_targetILNS1_3genE5ELNS1_11target_archE942ELNS1_3gpuE9ELNS1_3repE0EEENS1_30default_config_static_selectorELNS0_4arch9wavefront6targetE1EEEvT1_: ; @_ZN7rocprim17ROCPRIM_400000_NS6detail17trampoline_kernelINS0_14default_configENS1_27scan_by_key_config_selectorIiiEEZZNS1_16scan_by_key_implILNS1_25lookback_scan_determinismE0ELb0ES3_N6thrust23THRUST_200600_302600_NS6detail15normal_iteratorINS9_10device_ptrIiEEEESE_SE_iNS9_4plusIiEE19head_flag_predicateiEE10hipError_tPvRmT2_T3_T4_T5_mT6_T7_P12ihipStream_tbENKUlT_T0_E_clISt17integral_constantIbLb0EESX_IbLb1EEEEDaST_SU_EUlST_E_NS1_11comp_targetILNS1_3genE5ELNS1_11target_archE942ELNS1_3gpuE9ELNS1_3repE0EEENS1_30default_config_static_selectorELNS0_4arch9wavefront6targetE1EEEvT1_
; %bb.0:
	.section	.rodata,"a",@progbits
	.p2align	6, 0x0
	.amdhsa_kernel _ZN7rocprim17ROCPRIM_400000_NS6detail17trampoline_kernelINS0_14default_configENS1_27scan_by_key_config_selectorIiiEEZZNS1_16scan_by_key_implILNS1_25lookback_scan_determinismE0ELb0ES3_N6thrust23THRUST_200600_302600_NS6detail15normal_iteratorINS9_10device_ptrIiEEEESE_SE_iNS9_4plusIiEE19head_flag_predicateiEE10hipError_tPvRmT2_T3_T4_T5_mT6_T7_P12ihipStream_tbENKUlT_T0_E_clISt17integral_constantIbLb0EESX_IbLb1EEEEDaST_SU_EUlST_E_NS1_11comp_targetILNS1_3genE5ELNS1_11target_archE942ELNS1_3gpuE9ELNS1_3repE0EEENS1_30default_config_static_selectorELNS0_4arch9wavefront6targetE1EEEvT1_
		.amdhsa_group_segment_fixed_size 0
		.amdhsa_private_segment_fixed_size 0
		.amdhsa_kernarg_size 112
		.amdhsa_user_sgpr_count 6
		.amdhsa_user_sgpr_private_segment_buffer 1
		.amdhsa_user_sgpr_dispatch_ptr 0
		.amdhsa_user_sgpr_queue_ptr 0
		.amdhsa_user_sgpr_kernarg_segment_ptr 1
		.amdhsa_user_sgpr_dispatch_id 0
		.amdhsa_user_sgpr_flat_scratch_init 0
		.amdhsa_user_sgpr_kernarg_preload_length 0
		.amdhsa_user_sgpr_kernarg_preload_offset 0
		.amdhsa_user_sgpr_private_segment_size 0
		.amdhsa_uses_dynamic_stack 0
		.amdhsa_system_sgpr_private_segment_wavefront_offset 0
		.amdhsa_system_sgpr_workgroup_id_x 1
		.amdhsa_system_sgpr_workgroup_id_y 0
		.amdhsa_system_sgpr_workgroup_id_z 0
		.amdhsa_system_sgpr_workgroup_info 0
		.amdhsa_system_vgpr_workitem_id 0
		.amdhsa_next_free_vgpr 1
		.amdhsa_next_free_sgpr 0
		.amdhsa_accum_offset 4
		.amdhsa_reserve_vcc 0
		.amdhsa_reserve_flat_scratch 0
		.amdhsa_float_round_mode_32 0
		.amdhsa_float_round_mode_16_64 0
		.amdhsa_float_denorm_mode_32 3
		.amdhsa_float_denorm_mode_16_64 3
		.amdhsa_dx10_clamp 1
		.amdhsa_ieee_mode 1
		.amdhsa_fp16_overflow 0
		.amdhsa_tg_split 0
		.amdhsa_exception_fp_ieee_invalid_op 0
		.amdhsa_exception_fp_denorm_src 0
		.amdhsa_exception_fp_ieee_div_zero 0
		.amdhsa_exception_fp_ieee_overflow 0
		.amdhsa_exception_fp_ieee_underflow 0
		.amdhsa_exception_fp_ieee_inexact 0
		.amdhsa_exception_int_div_zero 0
	.end_amdhsa_kernel
	.section	.text._ZN7rocprim17ROCPRIM_400000_NS6detail17trampoline_kernelINS0_14default_configENS1_27scan_by_key_config_selectorIiiEEZZNS1_16scan_by_key_implILNS1_25lookback_scan_determinismE0ELb0ES3_N6thrust23THRUST_200600_302600_NS6detail15normal_iteratorINS9_10device_ptrIiEEEESE_SE_iNS9_4plusIiEE19head_flag_predicateiEE10hipError_tPvRmT2_T3_T4_T5_mT6_T7_P12ihipStream_tbENKUlT_T0_E_clISt17integral_constantIbLb0EESX_IbLb1EEEEDaST_SU_EUlST_E_NS1_11comp_targetILNS1_3genE5ELNS1_11target_archE942ELNS1_3gpuE9ELNS1_3repE0EEENS1_30default_config_static_selectorELNS0_4arch9wavefront6targetE1EEEvT1_,"axG",@progbits,_ZN7rocprim17ROCPRIM_400000_NS6detail17trampoline_kernelINS0_14default_configENS1_27scan_by_key_config_selectorIiiEEZZNS1_16scan_by_key_implILNS1_25lookback_scan_determinismE0ELb0ES3_N6thrust23THRUST_200600_302600_NS6detail15normal_iteratorINS9_10device_ptrIiEEEESE_SE_iNS9_4plusIiEE19head_flag_predicateiEE10hipError_tPvRmT2_T3_T4_T5_mT6_T7_P12ihipStream_tbENKUlT_T0_E_clISt17integral_constantIbLb0EESX_IbLb1EEEEDaST_SU_EUlST_E_NS1_11comp_targetILNS1_3genE5ELNS1_11target_archE942ELNS1_3gpuE9ELNS1_3repE0EEENS1_30default_config_static_selectorELNS0_4arch9wavefront6targetE1EEEvT1_,comdat
.Lfunc_end778:
	.size	_ZN7rocprim17ROCPRIM_400000_NS6detail17trampoline_kernelINS0_14default_configENS1_27scan_by_key_config_selectorIiiEEZZNS1_16scan_by_key_implILNS1_25lookback_scan_determinismE0ELb0ES3_N6thrust23THRUST_200600_302600_NS6detail15normal_iteratorINS9_10device_ptrIiEEEESE_SE_iNS9_4plusIiEE19head_flag_predicateiEE10hipError_tPvRmT2_T3_T4_T5_mT6_T7_P12ihipStream_tbENKUlT_T0_E_clISt17integral_constantIbLb0EESX_IbLb1EEEEDaST_SU_EUlST_E_NS1_11comp_targetILNS1_3genE5ELNS1_11target_archE942ELNS1_3gpuE9ELNS1_3repE0EEENS1_30default_config_static_selectorELNS0_4arch9wavefront6targetE1EEEvT1_, .Lfunc_end778-_ZN7rocprim17ROCPRIM_400000_NS6detail17trampoline_kernelINS0_14default_configENS1_27scan_by_key_config_selectorIiiEEZZNS1_16scan_by_key_implILNS1_25lookback_scan_determinismE0ELb0ES3_N6thrust23THRUST_200600_302600_NS6detail15normal_iteratorINS9_10device_ptrIiEEEESE_SE_iNS9_4plusIiEE19head_flag_predicateiEE10hipError_tPvRmT2_T3_T4_T5_mT6_T7_P12ihipStream_tbENKUlT_T0_E_clISt17integral_constantIbLb0EESX_IbLb1EEEEDaST_SU_EUlST_E_NS1_11comp_targetILNS1_3genE5ELNS1_11target_archE942ELNS1_3gpuE9ELNS1_3repE0EEENS1_30default_config_static_selectorELNS0_4arch9wavefront6targetE1EEEvT1_
                                        ; -- End function
	.section	.AMDGPU.csdata,"",@progbits
; Kernel info:
; codeLenInByte = 0
; NumSgprs: 4
; NumVgprs: 0
; NumAgprs: 0
; TotalNumVgprs: 0
; ScratchSize: 0
; MemoryBound: 0
; FloatMode: 240
; IeeeMode: 1
; LDSByteSize: 0 bytes/workgroup (compile time only)
; SGPRBlocks: 0
; VGPRBlocks: 0
; NumSGPRsForWavesPerEU: 4
; NumVGPRsForWavesPerEU: 1
; AccumOffset: 4
; Occupancy: 8
; WaveLimiterHint : 0
; COMPUTE_PGM_RSRC2:SCRATCH_EN: 0
; COMPUTE_PGM_RSRC2:USER_SGPR: 6
; COMPUTE_PGM_RSRC2:TRAP_HANDLER: 0
; COMPUTE_PGM_RSRC2:TGID_X_EN: 1
; COMPUTE_PGM_RSRC2:TGID_Y_EN: 0
; COMPUTE_PGM_RSRC2:TGID_Z_EN: 0
; COMPUTE_PGM_RSRC2:TIDIG_COMP_CNT: 0
; COMPUTE_PGM_RSRC3_GFX90A:ACCUM_OFFSET: 0
; COMPUTE_PGM_RSRC3_GFX90A:TG_SPLIT: 0
	.section	.text._ZN7rocprim17ROCPRIM_400000_NS6detail17trampoline_kernelINS0_14default_configENS1_27scan_by_key_config_selectorIiiEEZZNS1_16scan_by_key_implILNS1_25lookback_scan_determinismE0ELb0ES3_N6thrust23THRUST_200600_302600_NS6detail15normal_iteratorINS9_10device_ptrIiEEEESE_SE_iNS9_4plusIiEE19head_flag_predicateiEE10hipError_tPvRmT2_T3_T4_T5_mT6_T7_P12ihipStream_tbENKUlT_T0_E_clISt17integral_constantIbLb0EESX_IbLb1EEEEDaST_SU_EUlST_E_NS1_11comp_targetILNS1_3genE4ELNS1_11target_archE910ELNS1_3gpuE8ELNS1_3repE0EEENS1_30default_config_static_selectorELNS0_4arch9wavefront6targetE1EEEvT1_,"axG",@progbits,_ZN7rocprim17ROCPRIM_400000_NS6detail17trampoline_kernelINS0_14default_configENS1_27scan_by_key_config_selectorIiiEEZZNS1_16scan_by_key_implILNS1_25lookback_scan_determinismE0ELb0ES3_N6thrust23THRUST_200600_302600_NS6detail15normal_iteratorINS9_10device_ptrIiEEEESE_SE_iNS9_4plusIiEE19head_flag_predicateiEE10hipError_tPvRmT2_T3_T4_T5_mT6_T7_P12ihipStream_tbENKUlT_T0_E_clISt17integral_constantIbLb0EESX_IbLb1EEEEDaST_SU_EUlST_E_NS1_11comp_targetILNS1_3genE4ELNS1_11target_archE910ELNS1_3gpuE8ELNS1_3repE0EEENS1_30default_config_static_selectorELNS0_4arch9wavefront6targetE1EEEvT1_,comdat
	.protected	_ZN7rocprim17ROCPRIM_400000_NS6detail17trampoline_kernelINS0_14default_configENS1_27scan_by_key_config_selectorIiiEEZZNS1_16scan_by_key_implILNS1_25lookback_scan_determinismE0ELb0ES3_N6thrust23THRUST_200600_302600_NS6detail15normal_iteratorINS9_10device_ptrIiEEEESE_SE_iNS9_4plusIiEE19head_flag_predicateiEE10hipError_tPvRmT2_T3_T4_T5_mT6_T7_P12ihipStream_tbENKUlT_T0_E_clISt17integral_constantIbLb0EESX_IbLb1EEEEDaST_SU_EUlST_E_NS1_11comp_targetILNS1_3genE4ELNS1_11target_archE910ELNS1_3gpuE8ELNS1_3repE0EEENS1_30default_config_static_selectorELNS0_4arch9wavefront6targetE1EEEvT1_ ; -- Begin function _ZN7rocprim17ROCPRIM_400000_NS6detail17trampoline_kernelINS0_14default_configENS1_27scan_by_key_config_selectorIiiEEZZNS1_16scan_by_key_implILNS1_25lookback_scan_determinismE0ELb0ES3_N6thrust23THRUST_200600_302600_NS6detail15normal_iteratorINS9_10device_ptrIiEEEESE_SE_iNS9_4plusIiEE19head_flag_predicateiEE10hipError_tPvRmT2_T3_T4_T5_mT6_T7_P12ihipStream_tbENKUlT_T0_E_clISt17integral_constantIbLb0EESX_IbLb1EEEEDaST_SU_EUlST_E_NS1_11comp_targetILNS1_3genE4ELNS1_11target_archE910ELNS1_3gpuE8ELNS1_3repE0EEENS1_30default_config_static_selectorELNS0_4arch9wavefront6targetE1EEEvT1_
	.globl	_ZN7rocprim17ROCPRIM_400000_NS6detail17trampoline_kernelINS0_14default_configENS1_27scan_by_key_config_selectorIiiEEZZNS1_16scan_by_key_implILNS1_25lookback_scan_determinismE0ELb0ES3_N6thrust23THRUST_200600_302600_NS6detail15normal_iteratorINS9_10device_ptrIiEEEESE_SE_iNS9_4plusIiEE19head_flag_predicateiEE10hipError_tPvRmT2_T3_T4_T5_mT6_T7_P12ihipStream_tbENKUlT_T0_E_clISt17integral_constantIbLb0EESX_IbLb1EEEEDaST_SU_EUlST_E_NS1_11comp_targetILNS1_3genE4ELNS1_11target_archE910ELNS1_3gpuE8ELNS1_3repE0EEENS1_30default_config_static_selectorELNS0_4arch9wavefront6targetE1EEEvT1_
	.p2align	8
	.type	_ZN7rocprim17ROCPRIM_400000_NS6detail17trampoline_kernelINS0_14default_configENS1_27scan_by_key_config_selectorIiiEEZZNS1_16scan_by_key_implILNS1_25lookback_scan_determinismE0ELb0ES3_N6thrust23THRUST_200600_302600_NS6detail15normal_iteratorINS9_10device_ptrIiEEEESE_SE_iNS9_4plusIiEE19head_flag_predicateiEE10hipError_tPvRmT2_T3_T4_T5_mT6_T7_P12ihipStream_tbENKUlT_T0_E_clISt17integral_constantIbLb0EESX_IbLb1EEEEDaST_SU_EUlST_E_NS1_11comp_targetILNS1_3genE4ELNS1_11target_archE910ELNS1_3gpuE8ELNS1_3repE0EEENS1_30default_config_static_selectorELNS0_4arch9wavefront6targetE1EEEvT1_,@function
_ZN7rocprim17ROCPRIM_400000_NS6detail17trampoline_kernelINS0_14default_configENS1_27scan_by_key_config_selectorIiiEEZZNS1_16scan_by_key_implILNS1_25lookback_scan_determinismE0ELb0ES3_N6thrust23THRUST_200600_302600_NS6detail15normal_iteratorINS9_10device_ptrIiEEEESE_SE_iNS9_4plusIiEE19head_flag_predicateiEE10hipError_tPvRmT2_T3_T4_T5_mT6_T7_P12ihipStream_tbENKUlT_T0_E_clISt17integral_constantIbLb0EESX_IbLb1EEEEDaST_SU_EUlST_E_NS1_11comp_targetILNS1_3genE4ELNS1_11target_archE910ELNS1_3gpuE8ELNS1_3repE0EEENS1_30default_config_static_selectorELNS0_4arch9wavefront6targetE1EEEvT1_: ; @_ZN7rocprim17ROCPRIM_400000_NS6detail17trampoline_kernelINS0_14default_configENS1_27scan_by_key_config_selectorIiiEEZZNS1_16scan_by_key_implILNS1_25lookback_scan_determinismE0ELb0ES3_N6thrust23THRUST_200600_302600_NS6detail15normal_iteratorINS9_10device_ptrIiEEEESE_SE_iNS9_4plusIiEE19head_flag_predicateiEE10hipError_tPvRmT2_T3_T4_T5_mT6_T7_P12ihipStream_tbENKUlT_T0_E_clISt17integral_constantIbLb0EESX_IbLb1EEEEDaST_SU_EUlST_E_NS1_11comp_targetILNS1_3genE4ELNS1_11target_archE910ELNS1_3gpuE8ELNS1_3repE0EEENS1_30default_config_static_selectorELNS0_4arch9wavefront6targetE1EEEvT1_
; %bb.0:
	s_load_dwordx4 s[48:51], s[4:5], 0x28
	s_load_dwordx2 s[56:57], s[4:5], 0x38
	v_cmp_ne_u32_e64 s[36:37], 0, v0
	v_cmp_eq_u32_e64 s[0:1], 0, v0
	s_and_saveexec_b64 s[2:3], s[0:1]
	s_cbranch_execz .LBB779_4
; %bb.1:
	s_mov_b64 s[8:9], exec
	v_mbcnt_lo_u32_b32 v1, s8, 0
	v_mbcnt_hi_u32_b32 v1, s9, v1
	v_cmp_eq_u32_e32 vcc, 0, v1
                                        ; implicit-def: $vgpr2
	s_and_saveexec_b64 s[6:7], vcc
	s_cbranch_execz .LBB779_3
; %bb.2:
	s_load_dwordx2 s[10:11], s[4:5], 0x68
	s_bcnt1_i32_b64 s8, s[8:9]
	v_mov_b32_e32 v2, 0
	v_mov_b32_e32 v3, s8
	s_waitcnt lgkmcnt(0)
	global_atomic_add v2, v2, v3, s[10:11] glc
.LBB779_3:
	s_or_b64 exec, exec, s[6:7]
	s_waitcnt vmcnt(0)
	v_readfirstlane_b32 s6, v2
	v_add_u32_e32 v1, s6, v1
	v_mov_b32_e32 v2, 0
	ds_write_b32 v2, v1
.LBB779_4:
	s_or_b64 exec, exec, s[2:3]
	s_load_dwordx8 s[40:47], s[4:5], 0x0
	s_load_dword s2, s[4:5], 0x40
	s_load_dwordx4 s[52:55], s[4:5], 0x48
	v_mov_b32_e32 v1, 0
	s_waitcnt lgkmcnt(0)
	s_barrier
	ds_read_b32 v1, v1
	s_lshl_b64 s[38:39], s[42:43], 2
	s_add_u32 s4, s40, s38
	s_addc_u32 s5, s41, s39
	s_add_u32 s6, s44, s38
	s_mul_i32 s3, s57, s2
	s_mul_hi_u32 s8, s56, s2
	s_waitcnt lgkmcnt(0)
	v_readfirstlane_b32 s51, v1
	s_addc_u32 s7, s45, s39
	s_add_i32 s8, s8, s3
	s_mul_i32 s9, s56, s2
	s_mov_b32 s3, 0
	s_mul_i32 s2, s51, 0xe00
	s_lshl_b64 s[40:41], s[2:3], 2
	s_add_u32 s34, s4, s40
	s_addc_u32 s35, s5, s41
	s_add_u32 s44, s6, s40
	s_addc_u32 s45, s7, s41
	v_mov_b32_e32 v3, s8
	v_add_co_u32_e32 v2, vcc, s9, v1
	s_add_u32 s4, s52, -1
	v_addc_co_u32_e32 v3, vcc, 0, v3, vcc
	s_addc_u32 s5, s53, -1
	v_cmp_le_u64_e64 s[2:3], s[4:5], v[2:3]
	s_mov_b64 s[12:13], -1
	s_and_b64 vcc, exec, s[2:3]
	s_mul_i32 s33, s4, 0xfffff200
	s_barrier
	s_barrier
	s_cbranch_vccz .LBB779_76
; %bb.5:
	v_pk_mov_b32 v[2:3], s[34:35], s[34:35] op_sel:[0,1]
	flat_load_dword v1, v[2:3]
	s_add_i32 s52, s33, s50
	v_cmp_gt_u32_e32 vcc, s52, v0
	s_waitcnt vmcnt(0) lgkmcnt(0)
	v_mov_b32_e32 v13, v1
	s_and_saveexec_b64 s[6:7], vcc
	s_cbranch_execz .LBB779_7
; %bb.6:
	v_lshlrev_b32_e32 v2, 2, v0
	v_mov_b32_e32 v3, s35
	v_add_co_u32_e64 v2, s[4:5], s34, v2
	v_addc_co_u32_e64 v3, s[4:5], 0, v3, s[4:5]
	flat_load_dword v13, v[2:3]
.LBB779_7:
	s_or_b64 exec, exec, s[6:7]
	v_or_b32_e32 v2, 0x100, v0
	v_cmp_gt_u32_e64 s[6:7], s52, v2
	v_mov_b32_e32 v14, v1
	s_and_saveexec_b64 s[8:9], s[6:7]
	s_cbranch_execz .LBB779_9
; %bb.8:
	v_lshlrev_b32_e32 v2, 2, v0
	v_mov_b32_e32 v3, s35
	v_add_co_u32_e64 v2, s[4:5], s34, v2
	v_addc_co_u32_e64 v3, s[4:5], 0, v3, s[4:5]
	flat_load_dword v14, v[2:3] offset:1024
.LBB779_9:
	s_or_b64 exec, exec, s[8:9]
	v_or_b32_e32 v2, 0x200, v0
	v_cmp_gt_u32_e64 s[8:9], s52, v2
	v_mov_b32_e32 v15, v1
	s_and_saveexec_b64 s[10:11], s[8:9]
	s_cbranch_execz .LBB779_11
; %bb.10:
	v_lshlrev_b32_e32 v2, 2, v0
	v_mov_b32_e32 v3, s35
	v_add_co_u32_e64 v2, s[4:5], s34, v2
	v_addc_co_u32_e64 v3, s[4:5], 0, v3, s[4:5]
	flat_load_dword v15, v[2:3] offset:2048
.LBB779_11:
	s_or_b64 exec, exec, s[10:11]
	v_or_b32_e32 v2, 0x300, v0
	v_cmp_gt_u32_e64 s[10:11], s52, v2
	v_mov_b32_e32 v16, v1
	s_and_saveexec_b64 s[12:13], s[10:11]
	s_cbranch_execz .LBB779_13
; %bb.12:
	v_lshlrev_b32_e32 v2, 2, v0
	v_mov_b32_e32 v3, s35
	v_add_co_u32_e64 v2, s[4:5], s34, v2
	v_addc_co_u32_e64 v3, s[4:5], 0, v3, s[4:5]
	flat_load_dword v16, v[2:3] offset:3072
.LBB779_13:
	s_or_b64 exec, exec, s[12:13]
	v_or_b32_e32 v2, 0x400, v0
	v_cmp_gt_u32_e64 s[12:13], s52, v2
	v_lshlrev_b32_e32 v2, 2, v2
	v_mov_b32_e32 v17, v1
	s_and_saveexec_b64 s[14:15], s[12:13]
	s_cbranch_execz .LBB779_15
; %bb.14:
	v_mov_b32_e32 v3, s35
	v_add_co_u32_e64 v4, s[4:5], s34, v2
	v_addc_co_u32_e64 v5, s[4:5], 0, v3, s[4:5]
	flat_load_dword v17, v[4:5]
.LBB779_15:
	s_or_b64 exec, exec, s[14:15]
	v_or_b32_e32 v3, 0x500, v0
	v_cmp_gt_u32_e64 s[14:15], s52, v3
	v_lshlrev_b32_e32 v3, 2, v3
	v_mov_b32_e32 v18, v1
	s_and_saveexec_b64 s[16:17], s[14:15]
	s_cbranch_execz .LBB779_17
; %bb.16:
	v_mov_b32_e32 v5, s35
	v_add_co_u32_e64 v4, s[4:5], s34, v3
	v_addc_co_u32_e64 v5, s[4:5], 0, v5, s[4:5]
	flat_load_dword v18, v[4:5]
.LBB779_17:
	;; [unrolled: 13-line block ×9, first 2 shown]
	s_or_b64 exec, exec, s[30:31]
	v_or_b32_e32 v11, 0xd00, v0
	v_cmp_gt_u32_e64 s[30:31], s52, v11
	v_lshlrev_b32_e32 v11, 2, v11
	s_and_saveexec_b64 s[42:43], s[30:31]
	s_cbranch_execz .LBB779_33
; %bb.32:
	v_mov_b32_e32 v1, s35
	v_add_co_u32_e64 v26, s[4:5], s34, v11
	v_addc_co_u32_e64 v27, s[4:5], 0, v1, s[4:5]
	flat_load_dword v1, v[26:27]
.LBB779_33:
	s_or_b64 exec, exec, s[42:43]
	v_lshlrev_b32_e32 v12, 2, v0
	s_waitcnt vmcnt(0) lgkmcnt(0)
	ds_write2st64_b32 v12, v13, v14 offset1:4
	ds_write2st64_b32 v12, v15, v16 offset0:8 offset1:12
	ds_write2st64_b32 v12, v17, v18 offset0:16 offset1:20
	;; [unrolled: 1-line block ×6, first 2 shown]
	v_mad_u32_u24 v1, v0, 52, v12
	s_waitcnt lgkmcnt(0)
	s_barrier
	ds_read2_b64 v[26:29], v1 offset0:4 offset1:5
	ds_read_b64 v[42:43], v1 offset:48
	ds_read2_b64 v[34:37], v1 offset1:1
	ds_read2_b64 v[30:33], v1 offset0:2 offset1:3
	s_movk_i32 s4, 0xffcc
	v_mad_i32_i24 v13, v0, s4, v1
	s_waitcnt lgkmcnt(2)
	ds_write_b32 v13, v43 offset:14336
	s_waitcnt lgkmcnt(0)
	s_barrier
	s_barrier
	s_waitcnt lgkmcnt(0)
                                        ; implicit-def: $vgpr13
	s_and_saveexec_b64 s[4:5], vcc
	s_cbranch_execz .LBB779_109
; %bb.34:
	v_mov_b32_e32 v13, s45
	v_add_co_u32_e32 v14, vcc, s44, v12
	v_addc_co_u32_e32 v15, vcc, 0, v13, vcc
	flat_load_dword v13, v[14:15]
	s_or_b64 exec, exec, s[4:5]
                                        ; implicit-def: $vgpr14
	s_and_saveexec_b64 s[4:5], s[6:7]
	s_cbranch_execnz .LBB779_110
.LBB779_35:
	s_or_b64 exec, exec, s[4:5]
                                        ; implicit-def: $vgpr15
	s_and_saveexec_b64 s[4:5], s[8:9]
	s_cbranch_execz .LBB779_111
.LBB779_36:
	v_mov_b32_e32 v15, s45
	v_add_co_u32_e32 v16, vcc, s44, v12
	v_addc_co_u32_e32 v17, vcc, 0, v15, vcc
	flat_load_dword v15, v[16:17] offset:2048
	s_or_b64 exec, exec, s[4:5]
                                        ; implicit-def: $vgpr16
	s_and_saveexec_b64 s[4:5], s[10:11]
	s_cbranch_execnz .LBB779_112
.LBB779_37:
	s_or_b64 exec, exec, s[4:5]
                                        ; implicit-def: $vgpr17
	s_and_saveexec_b64 s[4:5], s[12:13]
	s_cbranch_execz .LBB779_113
.LBB779_38:
	v_mov_b32_e32 v17, s45
	v_add_co_u32_e32 v18, vcc, s44, v2
	v_addc_co_u32_e32 v19, vcc, 0, v17, vcc
	flat_load_dword v17, v[18:19]
	s_or_b64 exec, exec, s[4:5]
                                        ; implicit-def: $vgpr2
	s_and_saveexec_b64 s[4:5], s[14:15]
	s_cbranch_execnz .LBB779_114
.LBB779_39:
	s_or_b64 exec, exec, s[4:5]
                                        ; implicit-def: $vgpr3
	s_and_saveexec_b64 s[4:5], s[16:17]
	s_cbranch_execz .LBB779_115
.LBB779_40:
	v_mov_b32_e32 v3, s45
	v_add_co_u32_e32 v18, vcc, s44, v4
	v_addc_co_u32_e32 v19, vcc, 0, v3, vcc
	flat_load_dword v3, v[18:19]
	s_or_b64 exec, exec, s[4:5]
                                        ; implicit-def: $vgpr4
	s_and_saveexec_b64 s[4:5], s[18:19]
	s_cbranch_execnz .LBB779_116
.LBB779_41:
	s_or_b64 exec, exec, s[4:5]
                                        ; implicit-def: $vgpr5
	s_and_saveexec_b64 s[4:5], s[20:21]
	s_cbranch_execz .LBB779_117
.LBB779_42:
	v_mov_b32_e32 v5, s45
	v_add_co_u32_e32 v18, vcc, s44, v6
	v_addc_co_u32_e32 v19, vcc, 0, v5, vcc
	flat_load_dword v5, v[18:19]
	s_or_b64 exec, exec, s[4:5]
                                        ; implicit-def: $vgpr6
	s_and_saveexec_b64 s[4:5], s[22:23]
	s_cbranch_execnz .LBB779_118
.LBB779_43:
	s_or_b64 exec, exec, s[4:5]
                                        ; implicit-def: $vgpr7
	s_and_saveexec_b64 s[4:5], s[24:25]
	s_cbranch_execz .LBB779_119
.LBB779_44:
	v_mov_b32_e32 v7, s45
	v_add_co_u32_e32 v18, vcc, s44, v8
	v_addc_co_u32_e32 v19, vcc, 0, v7, vcc
	flat_load_dword v7, v[18:19]
	s_or_b64 exec, exec, s[4:5]
                                        ; implicit-def: $vgpr8
	s_and_saveexec_b64 s[4:5], s[26:27]
	s_cbranch_execnz .LBB779_120
.LBB779_45:
	s_or_b64 exec, exec, s[4:5]
                                        ; implicit-def: $vgpr9
	s_and_saveexec_b64 s[4:5], s[28:29]
	s_cbranch_execz .LBB779_47
.LBB779_46:
	v_mov_b32_e32 v9, s45
	v_add_co_u32_e32 v18, vcc, s44, v10
	v_addc_co_u32_e32 v19, vcc, 0, v9, vcc
	flat_load_dword v9, v[18:19]
.LBB779_47:
	s_or_b64 exec, exec, s[4:5]
	v_mul_u32_u24_e32 v44, 14, v0
                                        ; implicit-def: $vgpr10
	s_and_saveexec_b64 s[4:5], s[30:31]
	s_cbranch_execz .LBB779_49
; %bb.48:
	v_mov_b32_e32 v18, s45
	v_add_co_u32_e32 v10, vcc, s44, v11
	v_addc_co_u32_e32 v11, vcc, 0, v18, vcc
	flat_load_dword v10, v[10:11]
.LBB779_49:
	s_or_b64 exec, exec, s[4:5]
	s_mov_b32 s4, 0
	s_mov_b32 s5, s4
	s_waitcnt vmcnt(0) lgkmcnt(0)
	ds_write2st64_b32 v12, v13, v14 offset1:4
	ds_write2st64_b32 v12, v15, v16 offset0:8 offset1:12
	ds_write2st64_b32 v12, v17, v2 offset0:16 offset1:20
	ds_write2st64_b32 v12, v3, v4 offset0:24 offset1:28
	ds_write2st64_b32 v12, v5, v6 offset0:32 offset1:36
	ds_write2st64_b32 v12, v7, v8 offset0:40 offset1:44
	ds_write2st64_b32 v12, v9, v10 offset0:48 offset1:52
	s_mov_b32 s6, s4
	s_mov_b32 s7, s4
	;; [unrolled: 1-line block ×6, first 2 shown]
	v_pk_mov_b32 v[2:3], s[4:5], s[4:5] op_sel:[0,1]
	v_pk_mov_b32 v[8:9], s[10:11], s[10:11] op_sel:[0,1]
	;; [unrolled: 1-line block ×6, first 2 shown]
	v_cmp_gt_u32_e32 vcc, s52, v44
	s_mov_b64 s[12:13], 0
	v_pk_mov_b32 v[38:39], 0, 0
	s_mov_b64 s[16:17], 0
	v_pk_mov_b32 v[14:15], v[6:7], v[6:7] op_sel:[0,1]
	v_pk_mov_b32 v[12:13], v[4:5], v[4:5] op_sel:[0,1]
	;; [unrolled: 1-line block ×6, first 2 shown]
	s_waitcnt lgkmcnt(0)
	s_barrier
	s_waitcnt lgkmcnt(0)
                                        ; implicit-def: $vgpr45
	s_and_saveexec_b64 s[14:15], vcc
	s_cbranch_execz .LBB779_75
; %bb.50:
	v_or_b32_e32 v2, 1, v44
	ds_read_b32 v38, v1
	v_cmp_ne_u32_e32 vcc, 0, v34
	v_cndmask_b32_e64 v39, 0, 1, vcc
	v_cmp_gt_u32_e32 vcc, s52, v2
	v_pk_mov_b32 v[2:3], s[4:5], s[4:5] op_sel:[0,1]
	v_pk_mov_b32 v[8:9], s[10:11], s[10:11] op_sel:[0,1]
	;; [unrolled: 1-line block ×6, first 2 shown]
	s_mov_b64 s[18:19], 0
	v_pk_mov_b32 v[14:15], v[6:7], v[6:7] op_sel:[0,1]
	v_pk_mov_b32 v[12:13], v[4:5], v[4:5] op_sel:[0,1]
	;; [unrolled: 1-line block ×6, first 2 shown]
                                        ; implicit-def: $vgpr45
	s_and_saveexec_b64 s[16:17], vcc
	s_cbranch_execz .LBB779_74
; %bb.51:
	ds_read2_b32 v[40:41], v1 offset0:1 offset1:2
	s_mov_b32 s10, s4
	s_mov_b32 s11, s4
	;; [unrolled: 1-line block ×7, first 2 shown]
	v_pk_mov_b32 v[16:17], s[10:11], s[10:11] op_sel:[0,1]
	v_add_u32_e32 v2, 2, v44
	v_cmp_ne_u32_e32 vcc, 0, v35
	v_mov_b32_e32 v6, 0
	v_pk_mov_b32 v[14:15], s[8:9], s[8:9] op_sel:[0,1]
	v_pk_mov_b32 v[12:13], s[6:7], s[6:7] op_sel:[0,1]
	;; [unrolled: 1-line block ×4, first 2 shown]
	v_cndmask_b32_e64 v3, 0, 1, vcc
	v_cmp_gt_u32_e32 vcc, s52, v2
	s_waitcnt lgkmcnt(0)
	v_mov_b32_e32 v2, v40
	v_mov_b32_e32 v4, v6
	;; [unrolled: 1-line block ×6, first 2 shown]
	s_mov_b64 s[20:21], 0
	v_pk_mov_b32 v[22:23], v[14:15], v[14:15] op_sel:[0,1]
	v_pk_mov_b32 v[20:21], v[12:13], v[12:13] op_sel:[0,1]
	;; [unrolled: 1-line block ×3, first 2 shown]
                                        ; implicit-def: $vgpr45
	s_and_saveexec_b64 s[18:19], vcc
	s_cbranch_execz .LBB779_73
; %bb.52:
	v_pk_mov_b32 v[16:17], s[10:11], s[10:11] op_sel:[0,1]
	v_add_u32_e32 v2, 3, v44
	v_cmp_ne_u32_e32 vcc, 0, v36
	v_pk_mov_b32 v[14:15], s[8:9], s[8:9] op_sel:[0,1]
	v_pk_mov_b32 v[12:13], s[6:7], s[6:7] op_sel:[0,1]
	;; [unrolled: 1-line block ×4, first 2 shown]
	v_cndmask_b32_e64 v5, 0, 1, vcc
	v_cmp_gt_u32_e32 vcc, s52, v2
	v_mov_b32_e32 v2, v40
	v_mov_b32_e32 v4, v41
	;; [unrolled: 1-line block ×5, first 2 shown]
	s_mov_b64 s[22:23], 0
	v_pk_mov_b32 v[22:23], v[14:15], v[14:15] op_sel:[0,1]
	v_pk_mov_b32 v[20:21], v[12:13], v[12:13] op_sel:[0,1]
	;; [unrolled: 1-line block ×3, first 2 shown]
                                        ; implicit-def: $vgpr45
	s_and_saveexec_b64 s[20:21], vcc
	s_cbranch_execz .LBB779_72
; %bb.53:
	ds_read2_b32 v[34:35], v1 offset0:3 offset1:4
	s_mov_b32 s10, s4
	s_mov_b32 s11, s4
	;; [unrolled: 1-line block ×7, first 2 shown]
	v_pk_mov_b32 v[16:17], s[10:11], s[10:11] op_sel:[0,1]
	v_add_u32_e32 v6, 4, v44
	v_cmp_ne_u32_e32 vcc, 0, v37
	v_pk_mov_b32 v[14:15], s[8:9], s[8:9] op_sel:[0,1]
	v_pk_mov_b32 v[12:13], s[6:7], s[6:7] op_sel:[0,1]
	;; [unrolled: 1-line block ×4, first 2 shown]
	v_cndmask_b32_e64 v7, 0, 1, vcc
	v_cmp_gt_u32_e32 vcc, s52, v6
	s_waitcnt lgkmcnt(0)
	v_mov_b32_e32 v6, v34
	v_mov_b32_e32 v8, s4
	;; [unrolled: 1-line block ×3, first 2 shown]
	s_mov_b64 s[24:25], 0
	v_pk_mov_b32 v[22:23], v[14:15], v[14:15] op_sel:[0,1]
	v_pk_mov_b32 v[20:21], v[12:13], v[12:13] op_sel:[0,1]
	v_pk_mov_b32 v[18:19], v[10:11], v[10:11] op_sel:[0,1]
                                        ; implicit-def: $vgpr45
	s_and_saveexec_b64 s[22:23], vcc
	s_cbranch_execz .LBB779_71
; %bb.54:
	v_pk_mov_b32 v[16:17], s[10:11], s[10:11] op_sel:[0,1]
	v_add_u32_e32 v8, 5, v44
	v_cmp_ne_u32_e32 vcc, 0, v30
	v_pk_mov_b32 v[14:15], s[8:9], s[8:9] op_sel:[0,1]
	v_pk_mov_b32 v[12:13], s[6:7], s[6:7] op_sel:[0,1]
	;; [unrolled: 1-line block ×4, first 2 shown]
	v_cndmask_b32_e64 v9, 0, 1, vcc
	v_cmp_gt_u32_e32 vcc, s52, v8
	v_mov_b32_e32 v8, v35
	s_mov_b64 s[26:27], 0
	v_pk_mov_b32 v[22:23], v[14:15], v[14:15] op_sel:[0,1]
	v_pk_mov_b32 v[20:21], v[12:13], v[12:13] op_sel:[0,1]
	;; [unrolled: 1-line block ×3, first 2 shown]
                                        ; implicit-def: $vgpr45
	s_and_saveexec_b64 s[24:25], vcc
	s_cbranch_execz .LBB779_70
; %bb.55:
	ds_read2_b32 v[34:35], v1 offset0:5 offset1:6
	s_mov_b32 s10, s4
	s_mov_b32 s11, s4
	v_add_u32_e32 v10, 6, v44
	v_cmp_ne_u32_e32 vcc, 0, v31
	v_mov_b32_e32 v14, 0
	s_mov_b32 s5, s4
	s_mov_b32 s6, s4
	;; [unrolled: 1-line block ×5, first 2 shown]
	v_pk_mov_b32 v[24:25], s[10:11], s[10:11] op_sel:[0,1]
	v_cndmask_b32_e64 v11, 0, 1, vcc
	v_cmp_gt_u32_e32 vcc, s52, v10
	s_waitcnt lgkmcnt(0)
	v_mov_b32_e32 v10, v34
	v_mov_b32_e32 v12, v14
	;; [unrolled: 1-line block ×6, first 2 shown]
	s_mov_b64 s[28:29], 0
	v_pk_mov_b32 v[22:23], s[8:9], s[8:9] op_sel:[0,1]
	v_pk_mov_b32 v[20:21], s[6:7], s[6:7] op_sel:[0,1]
	;; [unrolled: 1-line block ×3, first 2 shown]
                                        ; implicit-def: $vgpr45
	s_and_saveexec_b64 s[26:27], vcc
	s_cbranch_execz .LBB779_69
; %bb.56:
	v_add_u32_e32 v10, 7, v44
	v_cmp_ne_u32_e32 vcc, 0, v32
	v_pk_mov_b32 v[24:25], s[10:11], s[10:11] op_sel:[0,1]
	v_cndmask_b32_e64 v13, 0, 1, vcc
	v_cmp_gt_u32_e32 vcc, s52, v10
	v_mov_b32_e32 v10, v34
	v_mov_b32_e32 v12, v35
	;; [unrolled: 1-line block ×5, first 2 shown]
	s_mov_b64 s[30:31], 0
	v_pk_mov_b32 v[22:23], s[8:9], s[8:9] op_sel:[0,1]
	v_pk_mov_b32 v[20:21], s[6:7], s[6:7] op_sel:[0,1]
	;; [unrolled: 1-line block ×3, first 2 shown]
                                        ; implicit-def: $vgpr45
	s_and_saveexec_b64 s[28:29], vcc
	s_cbranch_execz .LBB779_68
; %bb.57:
	ds_read2_b32 v[30:31], v1 offset0:7 offset1:8
	s_mov_b32 s10, s4
	s_mov_b32 s11, s4
	v_add_u32_e32 v14, 8, v44
	v_cmp_ne_u32_e32 vcc, 0, v33
	s_mov_b32 s5, s4
	s_mov_b32 s6, s4
	;; [unrolled: 1-line block ×5, first 2 shown]
	v_pk_mov_b32 v[24:25], s[10:11], s[10:11] op_sel:[0,1]
	v_cndmask_b32_e64 v15, 0, 1, vcc
	v_cmp_gt_u32_e32 vcc, s52, v14
	s_waitcnt lgkmcnt(0)
	v_mov_b32_e32 v14, v30
	v_mov_b32_e32 v16, s4
	;; [unrolled: 1-line block ×3, first 2 shown]
	s_mov_b64 s[42:43], 0
	v_pk_mov_b32 v[22:23], s[8:9], s[8:9] op_sel:[0,1]
	v_pk_mov_b32 v[20:21], s[6:7], s[6:7] op_sel:[0,1]
	;; [unrolled: 1-line block ×3, first 2 shown]
                                        ; implicit-def: $vgpr45
	s_and_saveexec_b64 s[30:31], vcc
	s_cbranch_execz .LBB779_67
; %bb.58:
	v_add_u32_e32 v16, 9, v44
	v_cmp_ne_u32_e32 vcc, 0, v26
	v_pk_mov_b32 v[24:25], s[10:11], s[10:11] op_sel:[0,1]
	v_cndmask_b32_e64 v17, 0, 1, vcc
	v_cmp_gt_u32_e32 vcc, s52, v16
	v_mov_b32_e32 v16, v31
	v_pk_mov_b32 v[22:23], s[8:9], s[8:9] op_sel:[0,1]
	v_pk_mov_b32 v[20:21], s[6:7], s[6:7] op_sel:[0,1]
	;; [unrolled: 1-line block ×3, first 2 shown]
                                        ; implicit-def: $vgpr45
	s_and_saveexec_b64 s[4:5], vcc
	s_cbranch_execz .LBB779_66
; %bb.59:
	ds_read2_b32 v[30:31], v1 offset0:9 offset1:10
	v_add_u32_e32 v18, 10, v44
	v_cmp_ne_u32_e32 vcc, 0, v27
	v_mov_b32_e32 v22, 0
	v_cndmask_b32_e64 v19, 0, 1, vcc
	v_cmp_gt_u32_e32 vcc, s52, v18
	s_waitcnt lgkmcnt(0)
	v_mov_b32_e32 v18, v30
	v_mov_b32_e32 v20, v22
	v_mov_b32_e32 v21, v22
	v_mov_b32_e32 v23, v22
	v_mov_b32_e32 v24, v22
	v_mov_b32_e32 v25, v22
	s_mov_b64 s[8:9], 0
                                        ; implicit-def: $vgpr45
	s_and_saveexec_b64 s[6:7], vcc
	s_cbranch_execz .LBB779_65
; %bb.60:
	v_add_u32_e32 v18, 11, v44
	v_cmp_ne_u32_e32 vcc, 0, v28
	v_cndmask_b32_e64 v21, 0, 1, vcc
	v_cmp_gt_u32_e32 vcc, s52, v18
	v_mov_b32_e32 v18, v30
	v_mov_b32_e32 v20, v31
	;; [unrolled: 1-line block ×5, first 2 shown]
	s_mov_b64 s[10:11], 0
                                        ; implicit-def: $vgpr45
	s_and_saveexec_b64 s[8:9], vcc
	s_cbranch_execz .LBB779_64
; %bb.61:
	ds_read2_b32 v[26:27], v1 offset0:11 offset1:12
	s_mov_b32 s10, 0
	v_add_u32_e32 v22, 12, v44
	v_cmp_ne_u32_e32 vcc, 0, v29
	v_cndmask_b32_e64 v23, 0, 1, vcc
	v_cmp_gt_u32_e32 vcc, s52, v22
	s_waitcnt lgkmcnt(0)
	v_mov_b32_e32 v22, v26
	v_mov_b32_e32 v24, s10
	;; [unrolled: 1-line block ×3, first 2 shown]
	s_mov_b64 s[10:11], 0
                                        ; implicit-def: $vgpr45
	s_and_saveexec_b64 s[42:43], vcc
	s_xor_b64 s[42:43], exec, s[42:43]
	s_cbranch_execz .LBB779_63
; %bb.62:
	ds_read_b32 v45, v1 offset:52
	v_add_u32_e32 v1, 13, v44
	v_cmp_ne_u32_e32 vcc, 0, v42
	v_cndmask_b32_e64 v25, 0, 1, vcc
	v_cmp_gt_u32_e32 vcc, s52, v1
	v_mov_b32_e32 v24, v27
	s_and_b64 s[10:11], vcc, exec
.LBB779_63:
	s_or_b64 exec, exec, s[42:43]
	s_and_b64 s[10:11], s[10:11], exec
.LBB779_64:
	s_or_b64 exec, exec, s[8:9]
	s_and_b64 s[8:9], s[10:11], exec
.LBB779_65:
	s_or_b64 exec, exec, s[6:7]
	s_and_b64 s[42:43], s[8:9], exec
.LBB779_66:
	s_or_b64 exec, exec, s[4:5]
	s_and_b64 s[42:43], s[42:43], exec
.LBB779_67:
	s_or_b64 exec, exec, s[30:31]
	s_and_b64 s[30:31], s[42:43], exec
.LBB779_68:
	s_or_b64 exec, exec, s[28:29]
	s_and_b64 s[28:29], s[30:31], exec
.LBB779_69:
	s_or_b64 exec, exec, s[26:27]
	s_and_b64 s[26:27], s[28:29], exec
.LBB779_70:
	s_or_b64 exec, exec, s[24:25]
	s_and_b64 s[24:25], s[26:27], exec
.LBB779_71:
	s_or_b64 exec, exec, s[22:23]
	s_and_b64 s[22:23], s[24:25], exec
.LBB779_72:
	s_or_b64 exec, exec, s[20:21]
	s_and_b64 s[20:21], s[22:23], exec
.LBB779_73:
	s_or_b64 exec, exec, s[18:19]
	s_and_b64 s[18:19], s[20:21], exec
.LBB779_74:
	s_or_b64 exec, exec, s[16:17]
	s_and_b64 s[16:17], s[18:19], exec
.LBB779_75:
	s_or_b64 exec, exec, s[14:15]
	s_and_b64 vcc, exec, s[12:13]
	v_lshlrev_b32_e32 v50, 2, v0
	s_cbranch_vccnz .LBB779_77
	s_branch .LBB779_78
.LBB779_76:
	s_mov_b64 s[16:17], 0
                                        ; implicit-def: $vgpr2_vgpr3_vgpr4_vgpr5_vgpr6_vgpr7_vgpr8_vgpr9
                                        ; implicit-def: $vgpr10_vgpr11_vgpr12_vgpr13_vgpr14_vgpr15_vgpr16_vgpr17
                                        ; implicit-def: $vgpr18_vgpr19_vgpr20_vgpr21_vgpr22_vgpr23_vgpr24_vgpr25
                                        ; implicit-def: $vgpr43
                                        ; implicit-def: $vgpr45
                                        ; implicit-def: $vgpr38_vgpr39
	s_and_b64 vcc, exec, s[12:13]
	v_lshlrev_b32_e32 v50, 2, v0
	s_cbranch_vccz .LBB779_78
.LBB779_77:
	v_mov_b32_e32 v1, s35
	v_add_co_u32_e32 v2, vcc, s34, v50
	v_addc_co_u32_e32 v3, vcc, 0, v1, vcc
	v_add_co_u32_e32 v4, vcc, 0x1000, v2
	v_addc_co_u32_e32 v5, vcc, 0, v3, vcc
	flat_load_dword v1, v[2:3]
	flat_load_dword v10, v[2:3] offset:1024
	flat_load_dword v11, v[2:3] offset:2048
	;; [unrolled: 1-line block ×3, first 2 shown]
	flat_load_dword v13, v[4:5]
	flat_load_dword v14, v[4:5] offset:1024
	flat_load_dword v15, v[4:5] offset:2048
	;; [unrolled: 1-line block ×3, first 2 shown]
	v_add_co_u32_e32 v4, vcc, 0x2000, v2
	v_addc_co_u32_e32 v5, vcc, 0, v3, vcc
	v_add_co_u32_e32 v2, vcc, 0x3000, v2
	v_addc_co_u32_e32 v3, vcc, 0, v3, vcc
	flat_load_dword v17, v[4:5]
	flat_load_dword v18, v[4:5] offset:1024
	flat_load_dword v19, v[4:5] offset:2048
	;; [unrolled: 1-line block ×3, first 2 shown]
	flat_load_dword v21, v[2:3]
	flat_load_dword v22, v[2:3] offset:1024
	v_mov_b32_e32 v3, s45
	v_add_co_u32_e32 v2, vcc, s44, v50
	s_movk_i32 s4, 0x1000
	v_addc_co_u32_e32 v3, vcc, 0, v3, vcc
	v_add_co_u32_e32 v4, vcc, s4, v2
	s_movk_i32 s5, 0x2000
	v_addc_co_u32_e32 v5, vcc, 0, v3, vcc
	v_add_co_u32_e32 v6, vcc, s5, v2
	s_movk_i32 s6, 0x3000
	v_mad_u32_u24 v36, v0, 52, v50
	s_movk_i32 s7, 0xffcc
	v_addc_co_u32_e32 v7, vcc, 0, v3, vcc
	v_mad_i32_i24 v26, v0, s7, v36
	v_add_co_u32_e32 v8, vcc, s6, v2
	v_addc_co_u32_e32 v9, vcc, 0, v3, vcc
	s_or_b64 s[16:17], s[16:17], exec
                                        ; implicit-def: $sgpr12_sgpr13
	s_waitcnt vmcnt(0) lgkmcnt(0)
	ds_write2st64_b32 v50, v1, v10 offset1:4
	ds_write2st64_b32 v50, v11, v12 offset0:8 offset1:12
	ds_write2st64_b32 v50, v13, v14 offset0:16 offset1:20
	;; [unrolled: 1-line block ×6, first 2 shown]
	s_waitcnt lgkmcnt(0)
	s_barrier
	ds_read2_b32 v[42:43], v36 offset1:13
	ds_read2_b32 v[18:19], v36 offset0:9 offset1:10
	ds_read2_b32 v[20:21], v36 offset0:11 offset1:12
	ds_read2_b32 v[10:11], v36 offset0:7 offset1:8
	ds_read2_b32 v[22:23], v36 offset0:1 offset1:2
	ds_read2_b32 v[12:13], v36 offset0:5 offset1:6
	ds_read2_b32 v[24:25], v36 offset0:3 offset1:4
	s_waitcnt lgkmcnt(6)
	ds_write_b32 v26, v43 offset:14336
	s_waitcnt lgkmcnt(0)
	s_barrier
	s_barrier
	flat_load_dword v1, v[2:3]
	flat_load_dword v14, v[2:3] offset:1024
	flat_load_dword v16, v[2:3] offset:2048
	flat_load_dword v26, v[2:3] offset:3072
	flat_load_dword v27, v[4:5]
	flat_load_dword v28, v[4:5] offset:1024
	flat_load_dword v29, v[4:5] offset:2048
	flat_load_dword v30, v[4:5] offset:3072
	;; [unrolled: 4-line block ×3, first 2 shown]
	flat_load_dword v35, v[8:9]
	flat_load_dword v37, v[8:9] offset:1024
	v_cmp_ne_u32_e32 vcc, 0, v42
	v_cndmask_b32_e64 v39, 0, 1, vcc
	v_cmp_ne_u32_e32 vcc, 0, v11
	v_cndmask_b32_e64 v17, 0, 1, vcc
	;; [unrolled: 2-line block ×13, first 2 shown]
	s_waitcnt vmcnt(0) lgkmcnt(0)
	ds_write2st64_b32 v50, v1, v14 offset1:4
	ds_write2st64_b32 v50, v16, v26 offset0:8 offset1:12
	ds_write2st64_b32 v50, v27, v28 offset0:16 offset1:20
	;; [unrolled: 1-line block ×6, first 2 shown]
	s_waitcnt lgkmcnt(0)
	s_barrier
	ds_read2_b32 v[26:27], v36 offset0:7 offset1:8
	ds_read2_b32 v[28:29], v36 offset0:5 offset1:6
	;; [unrolled: 1-line block ×4, first 2 shown]
	ds_read2_b32 v[44:45], v36 offset1:13
	ds_read2_b32 v[34:35], v36 offset0:11 offset1:12
	ds_read2_b32 v[36:37], v36 offset0:9 offset1:10
	s_waitcnt lgkmcnt(5)
	v_mov_b32_e32 v10, v28
	s_waitcnt lgkmcnt(4)
	v_mov_b32_e32 v6, v30
	;; [unrolled: 2-line block ×4, first 2 shown]
	v_mov_b32_e32 v4, v33
	v_mov_b32_e32 v8, v31
	;; [unrolled: 1-line block ×5, first 2 shown]
	s_waitcnt lgkmcnt(0)
	v_mov_b32_e32 v18, v36
	v_mov_b32_e32 v20, v37
	;; [unrolled: 1-line block ×4, first 2 shown]
.LBB779_78:
	v_pk_mov_b32 v[40:41], s[12:13], s[12:13] op_sel:[0,1]
	s_and_saveexec_b64 s[4:5], s[16:17]
	s_cbranch_execz .LBB779_80
; %bb.79:
	v_cmp_ne_u32_e32 vcc, 0, v43
	v_cndmask_b32_e64 v41, 0, 1, vcc
	s_waitcnt lgkmcnt(0)
	v_mov_b32_e32 v40, v45
.LBB779_80:
	s_or_b64 exec, exec, s[4:5]
	s_mov_b32 s4, 0
	s_cmp_lg_u32 s51, 0
	v_mbcnt_lo_u32_b32 v52, -1, 0
	v_lshrrev_b32_e32 v1, 6, v0
	v_or_b32_e32 v51, 63, v0
	s_waitcnt lgkmcnt(0)
	s_barrier
	s_cbranch_scc0 .LBB779_121
; %bb.81:
	s_mov_b32 s5, 1
	v_cmp_gt_u64_e64 s[6:7], s[4:5], v[2:3]
	v_cndmask_b32_e64 v27, 0, v38, s[6:7]
	v_add_u32_e32 v27, v27, v2
	v_cmp_gt_u64_e64 s[8:9], s[4:5], v[4:5]
	v_cndmask_b32_e64 v27, 0, v27, s[8:9]
	v_add_u32_e32 v27, v27, v4
	;; [unrolled: 3-line block ×13, first 2 shown]
	v_or3_b32 v27, v41, v25, v23
	v_or3_b32 v27, v27, v21, v19
	;; [unrolled: 1-line block ×6, first 2 shown]
	v_mov_b32_e32 v26, 0
	v_and_b32_e32 v27, 1, v27
	v_cmp_eq_u64_e32 vcc, 0, v[26:27]
	v_cndmask_b32_e32 v26, 1, v39, vcc
	v_mbcnt_hi_u32_b32 v46, -1, v52
	v_mov_b32_dpp v29, v28 row_shr:1 row_mask:0xf bank_mask:0xf
	v_mov_b32_dpp v30, v26 row_shr:1 row_mask:0xf bank_mask:0xf
	v_cmp_eq_u32_e32 vcc, 0, v26
	v_and_b32_e32 v31, 1, v26
	v_and_b32_e32 v27, 15, v46
	v_cndmask_b32_e32 v29, 0, v29, vcc
	v_and_b32_e32 v30, 1, v30
	v_cmp_eq_u32_e32 vcc, 1, v31
	v_cndmask_b32_e64 v30, v30, 1, vcc
	v_cmp_eq_u32_e32 vcc, 0, v27
	v_cndmask_b32_e32 v26, v30, v26, vcc
	v_and_b32_e32 v31, 1, v26
	v_cmp_eq_u32_e64 s[4:5], 1, v31
	v_mov_b32_dpp v30, v26 row_shr:2 row_mask:0xf bank_mask:0xf
	v_and_b32_e32 v30, 1, v30
	v_cndmask_b32_e64 v30, v30, 1, s[4:5]
	v_cmp_lt_u32_e64 s[4:5], 1, v27
	v_cndmask_b32_e64 v29, v29, 0, vcc
	v_cmp_eq_u32_e32 vcc, 0, v26
	v_cndmask_b32_e64 v26, v26, v30, s[4:5]
	v_add_u32_e32 v28, v29, v28
	v_and_b32_e32 v31, 1, v26
	v_mov_b32_dpp v30, v26 row_shr:4 row_mask:0xf bank_mask:0xf
	v_mov_b32_dpp v29, v28 row_shr:2 row_mask:0xf bank_mask:0xf
	s_and_b64 vcc, s[4:5], vcc
	v_and_b32_e32 v30, 1, v30
	v_cmp_eq_u32_e64 s[4:5], 1, v31
	v_cndmask_b32_e32 v29, 0, v29, vcc
	v_cndmask_b32_e64 v30, v30, 1, s[4:5]
	v_cmp_lt_u32_e64 s[4:5], 3, v27
	v_add_u32_e32 v28, v29, v28
	v_cmp_eq_u32_e32 vcc, 0, v26
	v_cndmask_b32_e64 v26, v26, v30, s[4:5]
	v_mov_b32_dpp v29, v28 row_shr:4 row_mask:0xf bank_mask:0xf
	s_and_b64 vcc, s[4:5], vcc
	v_mov_b32_dpp v30, v26 row_shr:8 row_mask:0xf bank_mask:0xf
	v_and_b32_e32 v31, 1, v26
	v_cndmask_b32_e32 v29, 0, v29, vcc
	v_and_b32_e32 v30, 1, v30
	v_cmp_eq_u32_e64 s[4:5], 1, v31
	v_add_u32_e32 v28, v29, v28
	v_cmp_eq_u32_e32 vcc, 0, v26
	v_cndmask_b32_e64 v30, v30, 1, s[4:5]
	v_cmp_lt_u32_e64 s[4:5], 7, v27
	v_mov_b32_dpp v29, v28 row_shr:8 row_mask:0xf bank_mask:0xf
	s_and_b64 vcc, s[4:5], vcc
	v_cndmask_b32_e32 v27, 0, v29, vcc
	v_cndmask_b32_e64 v26, v26, v30, s[4:5]
	v_add_u32_e32 v27, v27, v28
	v_cmp_eq_u32_e32 vcc, 0, v26
	v_mov_b32_dpp v29, v26 row_bcast:15 row_mask:0xf bank_mask:0xf
	v_mov_b32_dpp v28, v27 row_bcast:15 row_mask:0xf bank_mask:0xf
	v_and_b32_e32 v32, 1, v26
	v_and_b32_e32 v31, 16, v46
	v_cndmask_b32_e32 v28, 0, v28, vcc
	v_and_b32_e32 v29, 1, v29
	v_cmp_eq_u32_e32 vcc, 1, v32
	v_bfe_i32 v30, v46, 4, 1
	v_cndmask_b32_e64 v29, v29, 1, vcc
	v_cmp_eq_u32_e32 vcc, 0, v31
	v_and_b32_e32 v28, v30, v28
	v_cndmask_b32_e32 v26, v29, v26, vcc
	v_add_u32_e32 v27, v28, v27
	v_and_b32_e32 v30, 1, v26
	v_mov_b32_dpp v28, v26 row_bcast:31 row_mask:0xf bank_mask:0xf
	v_and_b32_e32 v28, 1, v28
	v_cmp_eq_u32_e64 s[4:5], 1, v30
	v_cmp_eq_u32_e32 vcc, 0, v26
	v_cndmask_b32_e64 v28, v28, 1, s[4:5]
	v_cmp_lt_u32_e64 s[4:5], 31, v46
	v_mov_b32_dpp v29, v27 row_bcast:31 row_mask:0xf bank_mask:0xf
	s_and_b64 vcc, s[4:5], vcc
	v_cndmask_b32_e64 v28, v26, v28, s[4:5]
	v_cndmask_b32_e32 v26, 0, v29, vcc
	v_add_u32_e32 v29, v26, v27
	v_cmp_eq_u32_e32 vcc, v51, v0
	s_and_saveexec_b64 s[4:5], vcc
	s_cbranch_execz .LBB779_83
; %bb.82:
	v_lshlrev_b32_e32 v26, 3, v1
	ds_write_b32 v26, v29
	ds_write_b8 v26, v28 offset:4
.LBB779_83:
	s_or_b64 exec, exec, s[4:5]
	v_cmp_gt_u32_e32 vcc, 4, v0
	s_waitcnt lgkmcnt(0)
	s_barrier
	s_and_saveexec_b64 s[4:5], vcc
	s_cbranch_execz .LBB779_87
; %bb.84:
	v_lshlrev_b32_e32 v30, 3, v0
	ds_read_b64 v[26:27], v30
	v_and_b32_e32 v31, 3, v46
	v_cmp_ne_u32_e32 vcc, 0, v31
	s_waitcnt lgkmcnt(0)
	v_mov_b32_dpp v32, v26 row_shr:1 row_mask:0xf bank_mask:0xf
	v_mov_b32_dpp v34, v27 row_shr:1 row_mask:0xf bank_mask:0xf
	v_mov_b32_e32 v33, v27
	s_and_saveexec_b64 s[34:35], vcc
	s_cbranch_execz .LBB779_86
; %bb.85:
	v_and_b32_e32 v33, 1, v27
	v_and_b32_e32 v34, 1, v34
	v_cmp_eq_u32_e32 vcc, 1, v33
	v_mov_b32_e32 v33, 0
	v_cndmask_b32_e64 v34, v34, 1, vcc
	v_cmp_eq_u16_sdwa vcc, v27, v33 src0_sel:BYTE_0 src1_sel:DWORD
	v_cndmask_b32_e32 v32, 0, v32, vcc
	v_add_u32_e32 v26, v32, v26
	v_and_b32_e32 v32, 0xffff, v34
	s_movk_i32 s42, 0xff00
	v_and_or_b32 v33, v27, s42, v32
	v_mov_b32_e32 v27, v34
.LBB779_86:
	s_or_b64 exec, exec, s[34:35]
	v_mov_b32_dpp v33, v33 row_shr:2 row_mask:0xf bank_mask:0xf
	v_and_b32_e32 v34, 1, v27
	v_and_b32_e32 v33, 1, v33
	v_cmp_eq_u32_e32 vcc, 1, v34
	v_mov_b32_e32 v34, 0
	v_cndmask_b32_e64 v33, v33, 1, vcc
	v_cmp_eq_u16_sdwa s[34:35], v27, v34 src0_sel:BYTE_0 src1_sel:DWORD
	v_cmp_lt_u32_e32 vcc, 1, v31
	v_mov_b32_dpp v32, v26 row_shr:2 row_mask:0xf bank_mask:0xf
	v_cndmask_b32_e32 v27, v27, v33, vcc
	s_and_b64 vcc, vcc, s[34:35]
	v_cndmask_b32_e32 v31, 0, v32, vcc
	v_add_u32_e32 v26, v31, v26
	ds_write_b32 v30, v26
	ds_write_b8 v30, v27 offset:4
.LBB779_87:
	s_or_b64 exec, exec, s[4:5]
	v_cmp_gt_u32_e32 vcc, 64, v0
	v_cmp_lt_u32_e64 s[4:5], 63, v0
	v_mov_b32_e32 v42, 0
	v_mov_b32_e32 v43, 0
	s_waitcnt lgkmcnt(0)
	s_barrier
	s_and_saveexec_b64 s[34:35], s[4:5]
	s_cbranch_execz .LBB779_89
; %bb.88:
	v_lshl_add_u32 v26, v1, 3, -8
	ds_read_b32 v42, v26
	ds_read_u8 v43, v26 offset:4
	v_and_b32_e32 v27, 1, v28
	v_cmp_eq_u32_e64 s[4:5], 0, v28
	s_waitcnt lgkmcnt(1)
	v_cndmask_b32_e64 v26, 0, v42, s[4:5]
	v_cmp_eq_u32_e64 s[4:5], 1, v27
	v_add_u32_e32 v29, v26, v29
	s_waitcnt lgkmcnt(0)
	v_cndmask_b32_e64 v28, v43, 1, s[4:5]
.LBB779_89:
	s_or_b64 exec, exec, s[34:35]
	v_add_u32_e32 v26, -1, v46
	v_and_b32_e32 v27, 64, v46
	v_cmp_lt_i32_e64 s[4:5], v26, v27
	v_cndmask_b32_e64 v26, v26, v46, s[4:5]
	v_lshlrev_b32_e32 v26, 2, v26
	ds_bpermute_b32 v44, v26, v29
	ds_bpermute_b32 v45, v26, v28
	v_cmp_eq_u32_e64 s[34:35], 0, v46
	s_and_saveexec_b64 s[42:43], vcc
	s_cbranch_execz .LBB779_108
; %bb.90:
	v_mov_b32_e32 v29, 0
	ds_read_b64 v[26:27], v29 offset:24
	s_waitcnt lgkmcnt(0)
	v_readfirstlane_b32 s58, v27
	s_and_saveexec_b64 s[4:5], s[34:35]
	s_cbranch_execz .LBB779_92
; %bb.91:
	s_add_i32 s44, s51, 64
	s_mov_b32 s45, 0
	s_lshl_b64 s[52:53], s[44:45], 4
	s_add_u32 s52, s48, s52
	s_addc_u32 s53, s49, s53
	s_and_b32 s61, s58, 0xff000000
	s_mov_b32 s60, s45
	s_and_b32 s63, s58, 0xff0000
	s_mov_b32 s62, s45
	s_or_b64 s[60:61], s[62:63], s[60:61]
	s_and_b32 s63, s58, 0xff00
	s_or_b64 s[60:61], s[60:61], s[62:63]
	s_and_b32 s63, s58, 0xff
	s_or_b64 s[44:45], s[60:61], s[62:63]
	v_mov_b32_e32 v27, s45
	v_mov_b32_e32 v28, 1
	v_pk_mov_b32 v[30:31], s[52:53], s[52:53] op_sel:[0,1]
	;;#ASMSTART
	global_store_dwordx4 v[30:31], v[26:29] off	
s_waitcnt vmcnt(0)
	;;#ASMEND
.LBB779_92:
	s_or_b64 exec, exec, s[4:5]
	v_xad_u32 v34, v46, -1, s51
	v_add_u32_e32 v28, 64, v34
	v_lshlrev_b64 v[30:31], 4, v[28:29]
	v_mov_b32_e32 v27, s49
	v_add_co_u32_e32 v36, vcc, s48, v30
	v_addc_co_u32_e32 v37, vcc, v27, v31, vcc
	;;#ASMSTART
	global_load_dwordx4 v[30:33], v[36:37] off glc	
s_waitcnt vmcnt(0)
	;;#ASMEND
	v_and_b32_e32 v27, 0xff0000, v30
	v_or_b32_sdwa v27, v30, v27 dst_sel:DWORD dst_unused:UNUSED_PAD src0_sel:WORD_0 src1_sel:DWORD
	v_and_b32_e32 v28, 0xff000000, v30
	v_and_b32_e32 v30, 0xff, v31
	v_or3_b32 v31, 0, 0, v30
	v_or3_b32 v30, v27, v28, 0
	v_cmp_eq_u16_sdwa s[44:45], v32, v29 src0_sel:BYTE_0 src1_sel:DWORD
	s_and_saveexec_b64 s[4:5], s[44:45]
	s_cbranch_execz .LBB779_96
; %bb.93:
	s_mov_b64 s[44:45], 0
	v_mov_b32_e32 v27, 0
.LBB779_94:                             ; =>This Inner Loop Header: Depth=1
	;;#ASMSTART
	global_load_dwordx4 v[30:33], v[36:37] off glc	
s_waitcnt vmcnt(0)
	;;#ASMEND
	v_cmp_ne_u16_sdwa s[52:53], v32, v27 src0_sel:BYTE_0 src1_sel:DWORD
	s_or_b64 s[44:45], s[52:53], s[44:45]
	s_andn2_b64 exec, exec, s[44:45]
	s_cbranch_execnz .LBB779_94
; %bb.95:
	s_or_b64 exec, exec, s[44:45]
	v_and_b32_e32 v31, 0xff, v31
.LBB779_96:
	s_or_b64 exec, exec, s[4:5]
	v_mov_b32_e32 v27, 2
	v_cmp_eq_u16_sdwa s[4:5], v32, v27 src0_sel:BYTE_0 src1_sel:DWORD
	v_lshlrev_b64 v[28:29], v46, -1
	v_and_b32_e32 v33, s5, v29
	v_or_b32_e32 v33, 0x80000000, v33
	v_and_b32_e32 v35, s4, v28
	v_ffbl_b32_e32 v33, v33
	v_and_b32_e32 v47, 63, v46
	v_add_u32_e32 v33, 32, v33
	v_ffbl_b32_e32 v35, v35
	v_cmp_ne_u32_e32 vcc, 63, v47
	v_min_u32_e32 v33, v35, v33
	v_addc_co_u32_e32 v35, vcc, 0, v46, vcc
	v_lshlrev_b32_e32 v48, 2, v35
	ds_bpermute_b32 v35, v48, v31
	ds_bpermute_b32 v36, v48, v30
	s_mov_b32 s44, 0
	v_and_b32_e32 v37, 1, v31
	s_mov_b32 s45, 1
	s_waitcnt lgkmcnt(1)
	v_and_b32_e32 v35, 1, v35
	v_cmp_eq_u32_e32 vcc, 1, v37
	v_cndmask_b32_e64 v35, v35, 1, vcc
	v_cmp_gt_u64_e32 vcc, s[44:45], v[30:31]
	v_cmp_lt_u32_e64 s[4:5], v47, v33
	s_and_b64 vcc, s[4:5], vcc
	v_and_b32_e32 v37, 0xffff, v35
	v_cndmask_b32_e64 v54, v31, v35, s[4:5]
	s_waitcnt lgkmcnt(0)
	v_cndmask_b32_e32 v35, 0, v36, vcc
	v_cmp_gt_u32_e32 vcc, 62, v47
	v_cndmask_b32_e64 v36, 0, 1, vcc
	v_lshlrev_b32_e32 v36, 1, v36
	v_cndmask_b32_e64 v31, v31, v37, s[4:5]
	v_add_lshl_u32 v49, v36, v46, 2
	ds_bpermute_b32 v36, v49, v31
	v_add_u32_e32 v30, v35, v30
	ds_bpermute_b32 v37, v49, v30
	v_and_b32_e32 v35, 1, v54
	v_cmp_eq_u32_e32 vcc, 1, v35
	s_waitcnt lgkmcnt(1)
	v_and_b32_e32 v36, 1, v36
	v_mov_b32_e32 v35, 0
	v_add_u32_e32 v53, 2, v47
	v_cndmask_b32_e64 v36, v36, 1, vcc
	v_cmp_eq_u16_sdwa vcc, v54, v35 src0_sel:BYTE_0 src1_sel:DWORD
	v_and_b32_e32 v55, 0xffff, v36
	s_waitcnt lgkmcnt(0)
	v_cndmask_b32_e32 v37, 0, v37, vcc
	v_cmp_gt_u32_e32 vcc, v53, v33
	v_cndmask_b32_e32 v36, v36, v54, vcc
	v_cndmask_b32_e64 v37, v37, 0, vcc
	v_cndmask_b32_e32 v31, v55, v31, vcc
	v_cmp_gt_u32_e32 vcc, 60, v47
	v_cndmask_b32_e64 v54, 0, 1, vcc
	v_lshlrev_b32_e32 v54, 2, v54
	v_add_lshl_u32 v54, v54, v46, 2
	ds_bpermute_b32 v56, v54, v31
	v_add_u32_e32 v30, v37, v30
	ds_bpermute_b32 v37, v54, v30
	v_and_b32_e32 v57, 1, v36
	v_cmp_eq_u32_e32 vcc, 1, v57
	s_waitcnt lgkmcnt(1)
	v_and_b32_e32 v56, 1, v56
	v_add_u32_e32 v55, 4, v47
	v_cndmask_b32_e64 v56, v56, 1, vcc
	v_cmp_eq_u16_sdwa vcc, v36, v35 src0_sel:BYTE_0 src1_sel:DWORD
	v_and_b32_e32 v57, 0xffff, v56
	s_waitcnt lgkmcnt(0)
	v_cndmask_b32_e32 v37, 0, v37, vcc
	v_cmp_gt_u32_e32 vcc, v55, v33
	v_cndmask_b32_e32 v36, v56, v36, vcc
	v_cndmask_b32_e64 v37, v37, 0, vcc
	v_cndmask_b32_e32 v31, v57, v31, vcc
	v_cmp_gt_u32_e32 vcc, 56, v47
	v_cndmask_b32_e64 v56, 0, 1, vcc
	v_lshlrev_b32_e32 v56, 3, v56
	v_add_lshl_u32 v56, v56, v46, 2
	ds_bpermute_b32 v58, v56, v31
	v_add_u32_e32 v30, v37, v30
	ds_bpermute_b32 v37, v56, v30
	v_and_b32_e32 v59, 1, v36
	v_cmp_eq_u32_e32 vcc, 1, v59
	s_waitcnt lgkmcnt(1)
	v_and_b32_e32 v58, 1, v58
	;; [unrolled: 21-line block ×4, first 2 shown]
	v_add_u32_e32 v62, 32, v47
	v_cndmask_b32_e64 v31, v31, 1, vcc
	v_cmp_eq_u16_sdwa vcc, v36, v35 src0_sel:BYTE_0 src1_sel:DWORD
	s_waitcnt lgkmcnt(0)
	v_cndmask_b32_e32 v37, 0, v37, vcc
	v_cmp_gt_u32_e32 vcc, v62, v33
	v_cndmask_b32_e64 v33, v37, 0, vcc
	v_cndmask_b32_e32 v31, v31, v36, vcc
	v_add_u32_e32 v30, v33, v30
	s_branch .LBB779_98
.LBB779_97:                             ;   in Loop: Header=BB779_98 Depth=1
	s_or_b64 exec, exec, s[4:5]
	v_cmp_eq_u16_sdwa s[4:5], v32, v27 src0_sel:BYTE_0 src1_sel:DWORD
	v_and_b32_e32 v33, s5, v29
	ds_bpermute_b32 v37, v48, v31
	v_or_b32_e32 v33, 0x80000000, v33
	v_and_b32_e32 v36, s4, v28
	v_ffbl_b32_e32 v33, v33
	v_add_u32_e32 v33, 32, v33
	v_ffbl_b32_e32 v36, v36
	v_min_u32_e32 v33, v36, v33
	ds_bpermute_b32 v36, v48, v30
	v_and_b32_e32 v63, 1, v31
	s_waitcnt lgkmcnt(1)
	v_and_b32_e32 v37, 1, v37
	v_cmp_eq_u32_e32 vcc, 1, v63
	v_cndmask_b32_e64 v37, v37, 1, vcc
	v_cmp_gt_u64_e32 vcc, s[44:45], v[30:31]
	v_and_b32_e32 v63, 0xffff, v37
	v_cmp_lt_u32_e64 s[4:5], v47, v33
	v_cndmask_b32_e64 v37, v31, v37, s[4:5]
	v_cndmask_b32_e64 v31, v31, v63, s[4:5]
	s_and_b64 vcc, s[4:5], vcc
	ds_bpermute_b32 v63, v49, v31
	s_waitcnt lgkmcnt(1)
	v_cndmask_b32_e32 v36, 0, v36, vcc
	v_add_u32_e32 v30, v36, v30
	ds_bpermute_b32 v36, v49, v30
	v_and_b32_e32 v64, 1, v37
	s_waitcnt lgkmcnt(1)
	v_and_b32_e32 v63, 1, v63
	v_cmp_eq_u32_e32 vcc, 1, v64
	v_cndmask_b32_e64 v63, v63, 1, vcc
	v_cmp_eq_u16_sdwa vcc, v37, v35 src0_sel:BYTE_0 src1_sel:DWORD
	v_and_b32_e32 v64, 0xffff, v63
	s_waitcnt lgkmcnt(0)
	v_cndmask_b32_e32 v36, 0, v36, vcc
	v_cmp_gt_u32_e32 vcc, v53, v33
	v_cndmask_b32_e32 v31, v64, v31, vcc
	v_cndmask_b32_e32 v37, v63, v37, vcc
	ds_bpermute_b32 v63, v54, v31
	v_cndmask_b32_e64 v36, v36, 0, vcc
	v_add_u32_e32 v30, v36, v30
	ds_bpermute_b32 v36, v54, v30
	v_and_b32_e32 v64, 1, v37
	s_waitcnt lgkmcnt(1)
	v_and_b32_e32 v63, 1, v63
	v_cmp_eq_u32_e32 vcc, 1, v64
	v_cndmask_b32_e64 v63, v63, 1, vcc
	v_cmp_eq_u16_sdwa vcc, v37, v35 src0_sel:BYTE_0 src1_sel:DWORD
	v_and_b32_e32 v64, 0xffff, v63
	s_waitcnt lgkmcnt(0)
	v_cndmask_b32_e32 v36, 0, v36, vcc
	v_cmp_gt_u32_e32 vcc, v55, v33
	v_cndmask_b32_e32 v31, v64, v31, vcc
	v_cndmask_b32_e32 v37, v63, v37, vcc
	ds_bpermute_b32 v63, v56, v31
	v_cndmask_b32_e64 v36, v36, 0, vcc
	;; [unrolled: 16-line block ×3, first 2 shown]
	v_add_u32_e32 v30, v36, v30
	ds_bpermute_b32 v36, v58, v30
	v_and_b32_e32 v64, 1, v37
	s_waitcnt lgkmcnt(1)
	v_and_b32_e32 v63, 1, v63
	v_cmp_eq_u32_e32 vcc, 1, v64
	v_cndmask_b32_e64 v63, v63, 1, vcc
	v_cmp_eq_u16_sdwa vcc, v37, v35 src0_sel:BYTE_0 src1_sel:DWORD
	v_and_b32_e32 v64, 0xffff, v63
	s_waitcnt lgkmcnt(0)
	v_cndmask_b32_e32 v36, 0, v36, vcc
	v_cmp_gt_u32_e32 vcc, v59, v33
	v_cndmask_b32_e64 v36, v36, 0, vcc
	v_cndmask_b32_e32 v31, v64, v31, vcc
	ds_bpermute_b32 v31, v61, v31
	v_add_u32_e32 v30, v36, v30
	ds_bpermute_b32 v36, v61, v30
	v_cndmask_b32_e32 v37, v63, v37, vcc
	v_and_b32_e32 v63, 1, v37
	v_cmp_eq_u32_e32 vcc, 1, v63
	s_waitcnt lgkmcnt(1)
	v_cndmask_b32_e64 v31, v31, 1, vcc
	v_cmp_eq_u16_sdwa vcc, v37, v35 src0_sel:BYTE_0 src1_sel:DWORD
	s_waitcnt lgkmcnt(0)
	v_cndmask_b32_e32 v36, 0, v36, vcc
	v_cmp_gt_u32_e32 vcc, v62, v33
	v_cndmask_b32_e64 v33, v36, 0, vcc
	v_cndmask_b32_e32 v31, v31, v37, vcc
	v_add_u32_e32 v30, v33, v30
	v_cmp_eq_u16_sdwa vcc, v46, v35 src0_sel:BYTE_0 src1_sel:DWORD
	v_and_b32_e32 v33, 1, v46
	v_cndmask_b32_e32 v30, 0, v30, vcc
	v_and_b32_e32 v31, 1, v31
	v_cmp_eq_u32_e32 vcc, 1, v33
	v_subrev_u32_e32 v34, 64, v34
	v_add_u32_e32 v30, v30, v60
	v_cndmask_b32_e64 v31, v31, 1, vcc
.LBB779_98:                             ; =>This Loop Header: Depth=1
                                        ;     Child Loop BB779_101 Depth 2
	v_cmp_ne_u16_sdwa s[4:5], v32, v27 src0_sel:BYTE_0 src1_sel:DWORD
	v_mov_b32_e32 v46, v31
	v_cndmask_b32_e64 v31, 0, 1, s[4:5]
	;;#ASMSTART
	;;#ASMEND
	v_cmp_ne_u32_e32 vcc, 0, v31
	s_cmp_lg_u64 vcc, exec
	v_mov_b32_e32 v60, v30
	s_cbranch_scc1 .LBB779_103
; %bb.99:                               ;   in Loop: Header=BB779_98 Depth=1
	v_lshlrev_b64 v[30:31], 4, v[34:35]
	v_mov_b32_e32 v32, s49
	v_add_co_u32_e32 v36, vcc, s48, v30
	v_addc_co_u32_e32 v37, vcc, v32, v31, vcc
	;;#ASMSTART
	global_load_dwordx4 v[30:33], v[36:37] off glc	
s_waitcnt vmcnt(0)
	;;#ASMEND
	v_and_b32_e32 v33, 0xff0000, v30
	v_or_b32_sdwa v33, v30, v33 dst_sel:DWORD dst_unused:UNUSED_PAD src0_sel:WORD_0 src1_sel:DWORD
	v_and_b32_e32 v30, 0xff000000, v30
	v_and_b32_e32 v31, 0xff, v31
	v_or3_b32 v31, 0, 0, v31
	v_or3_b32 v30, v33, v30, 0
	v_cmp_eq_u16_sdwa s[52:53], v32, v35 src0_sel:BYTE_0 src1_sel:DWORD
	s_and_saveexec_b64 s[4:5], s[52:53]
	s_cbranch_execz .LBB779_97
; %bb.100:                              ;   in Loop: Header=BB779_98 Depth=1
	s_mov_b64 s[52:53], 0
.LBB779_101:                            ;   Parent Loop BB779_98 Depth=1
                                        ; =>  This Inner Loop Header: Depth=2
	;;#ASMSTART
	global_load_dwordx4 v[30:33], v[36:37] off glc	
s_waitcnt vmcnt(0)
	;;#ASMEND
	v_cmp_ne_u16_sdwa s[60:61], v32, v35 src0_sel:BYTE_0 src1_sel:DWORD
	s_or_b64 s[52:53], s[60:61], s[52:53]
	s_andn2_b64 exec, exec, s[52:53]
	s_cbranch_execnz .LBB779_101
; %bb.102:                              ;   in Loop: Header=BB779_98 Depth=1
	s_or_b64 exec, exec, s[52:53]
	v_and_b32_e32 v31, 0xff, v31
	s_branch .LBB779_97
.LBB779_103:                            ;   in Loop: Header=BB779_98 Depth=1
                                        ; implicit-def: $vgpr31
                                        ; implicit-def: $vgpr30
                                        ; implicit-def: $vgpr32
	s_cbranch_execz .LBB779_98
; %bb.104:
	s_and_saveexec_b64 s[4:5], s[34:35]
	s_cbranch_execz .LBB779_106
; %bb.105:
	s_and_b32 s44, s58, 0xff
	s_cmp_eq_u32 s44, 0
	s_cselect_b64 vcc, -1, 0
	s_bitcmp1_b32 s58, 0
	s_mov_b32 s45, 0
	s_cselect_b64 s[52:53], -1, 0
	s_add_i32 s44, s51, 64
	s_lshl_b64 s[44:45], s[44:45], 4
	v_cndmask_b32_e32 v27, 0, v60, vcc
	s_add_u32 s44, s48, s44
	v_add_u32_e32 v26, v27, v26
	v_and_b32_e32 v27, 1, v46
	s_addc_u32 s45, s49, s45
	v_mov_b32_e32 v29, 0
	v_cndmask_b32_e64 v27, v27, 1, s[52:53]
	v_mov_b32_e32 v28, 2
	v_pk_mov_b32 v[30:31], s[44:45], s[44:45] op_sel:[0,1]
	;;#ASMSTART
	global_store_dwordx4 v[30:31], v[26:29] off	
s_waitcnt vmcnt(0)
	;;#ASMEND
.LBB779_106:
	s_or_b64 exec, exec, s[4:5]
	s_and_b64 exec, exec, s[0:1]
	s_cbranch_execz .LBB779_108
; %bb.107:
	v_mov_b32_e32 v26, 0
	ds_write_b32 v26, v60 offset:24
	ds_write_b8 v26, v46 offset:28
.LBB779_108:
	s_or_b64 exec, exec, s[42:43]
	s_mov_b32 s4, 0
	v_mov_b32_e32 v28, 0
	s_mov_b32 s5, 1
	s_waitcnt lgkmcnt(0)
	v_cndmask_b32_e64 v26, v45, v43, s[34:35]
	v_cndmask_b32_e64 v27, v44, v42, s[34:35]
	s_barrier
	ds_read_b32 v29, v28 offset:24
	v_cmp_gt_u64_e32 vcc, s[4:5], v[38:39]
	v_and_b32_e32 v30, 1, v39
	v_cndmask_b32_e32 v27, 0, v27, vcc
	v_and_b32_e32 v26, 1, v26
	v_cmp_eq_u32_e32 vcc, 1, v30
	v_cndmask_b32_e64 v26, v26, 1, vcc
	v_cndmask_b32_e64 v26, v26, v39, s[0:1]
	v_cmp_eq_u16_sdwa vcc, v26, v28 src0_sel:BYTE_0 src1_sel:DWORD
	v_cndmask_b32_e64 v27, v27, 0, s[0:1]
	s_waitcnt lgkmcnt(0)
	v_cndmask_b32_e32 v26, 0, v29, vcc
	v_add3_u32 v26, v27, v38, v26
	v_cndmask_b32_e64 v27, 0, v26, s[6:7]
	v_add_u32_e32 v27, v27, v2
	v_cndmask_b32_e64 v28, 0, v27, s[8:9]
	v_add_u32_e32 v42, v28, v4
	v_cndmask_b32_e64 v28, 0, v42, s[10:11]
	v_add_u32_e32 v43, v28, v6
	v_cndmask_b32_e64 v28, 0, v43, s[12:13]
	v_add_u32_e32 v30, v28, v8
	v_cndmask_b32_e64 v28, 0, v30, s[14:15]
	v_add_u32_e32 v31, v28, v10
	v_cndmask_b32_e64 v28, 0, v31, s[16:17]
	v_add_u32_e32 v44, v28, v12
	v_cndmask_b32_e64 v28, 0, v44, s[18:19]
	v_add_u32_e32 v45, v28, v14
	v_cndmask_b32_e64 v28, 0, v45, s[20:21]
	v_add_u32_e32 v34, v28, v16
	v_cndmask_b32_e64 v28, 0, v34, s[22:23]
	v_add_u32_e32 v35, v28, v18
	v_cndmask_b32_e64 v28, 0, v35, s[24:25]
	v_add_u32_e32 v46, v28, v20
	v_cndmask_b32_e64 v28, 0, v46, s[26:27]
	v_add_u32_e32 v47, v28, v22
	v_cndmask_b32_e64 v28, 0, v47, s[28:29]
	v_add_u32_e32 v48, v28, v24
	v_cndmask_b32_e64 v28, 0, v48, s[30:31]
	v_add_u32_e32 v49, v28, v40
	s_branch .LBB779_137
.LBB779_109:
	s_or_b64 exec, exec, s[4:5]
                                        ; implicit-def: $vgpr14
	s_and_saveexec_b64 s[4:5], s[6:7]
	s_cbranch_execz .LBB779_35
.LBB779_110:
	v_mov_b32_e32 v15, s45
	v_add_co_u32_e32 v14, vcc, s44, v12
	v_addc_co_u32_e32 v15, vcc, 0, v15, vcc
	flat_load_dword v14, v[14:15] offset:1024
	s_or_b64 exec, exec, s[4:5]
                                        ; implicit-def: $vgpr15
	s_and_saveexec_b64 s[4:5], s[8:9]
	s_cbranch_execnz .LBB779_36
.LBB779_111:
	s_or_b64 exec, exec, s[4:5]
                                        ; implicit-def: $vgpr16
	s_and_saveexec_b64 s[4:5], s[10:11]
	s_cbranch_execz .LBB779_37
.LBB779_112:
	v_mov_b32_e32 v17, s45
	v_add_co_u32_e32 v16, vcc, s44, v12
	v_addc_co_u32_e32 v17, vcc, 0, v17, vcc
	flat_load_dword v16, v[16:17] offset:3072
	s_or_b64 exec, exec, s[4:5]
                                        ; implicit-def: $vgpr17
	s_and_saveexec_b64 s[4:5], s[12:13]
	s_cbranch_execnz .LBB779_38
.LBB779_113:
	s_or_b64 exec, exec, s[4:5]
                                        ; implicit-def: $vgpr2
	s_and_saveexec_b64 s[4:5], s[14:15]
	s_cbranch_execz .LBB779_39
.LBB779_114:
	v_mov_b32_e32 v18, s45
	v_add_co_u32_e32 v2, vcc, s44, v3
	v_addc_co_u32_e32 v3, vcc, 0, v18, vcc
	flat_load_dword v2, v[2:3]
	s_or_b64 exec, exec, s[4:5]
                                        ; implicit-def: $vgpr3
	s_and_saveexec_b64 s[4:5], s[16:17]
	s_cbranch_execnz .LBB779_40
.LBB779_115:
	s_or_b64 exec, exec, s[4:5]
                                        ; implicit-def: $vgpr4
	s_and_saveexec_b64 s[4:5], s[18:19]
	s_cbranch_execz .LBB779_41
.LBB779_116:
	v_mov_b32_e32 v18, s45
	v_add_co_u32_e32 v4, vcc, s44, v5
	v_addc_co_u32_e32 v5, vcc, 0, v18, vcc
	flat_load_dword v4, v[4:5]
	s_or_b64 exec, exec, s[4:5]
                                        ; implicit-def: $vgpr5
	s_and_saveexec_b64 s[4:5], s[20:21]
	s_cbranch_execnz .LBB779_42
.LBB779_117:
	s_or_b64 exec, exec, s[4:5]
                                        ; implicit-def: $vgpr6
	s_and_saveexec_b64 s[4:5], s[22:23]
	s_cbranch_execz .LBB779_43
.LBB779_118:
	v_mov_b32_e32 v18, s45
	v_add_co_u32_e32 v6, vcc, s44, v7
	v_addc_co_u32_e32 v7, vcc, 0, v18, vcc
	flat_load_dword v6, v[6:7]
	s_or_b64 exec, exec, s[4:5]
                                        ; implicit-def: $vgpr7
	s_and_saveexec_b64 s[4:5], s[24:25]
	s_cbranch_execnz .LBB779_44
.LBB779_119:
	s_or_b64 exec, exec, s[4:5]
                                        ; implicit-def: $vgpr8
	s_and_saveexec_b64 s[4:5], s[26:27]
	s_cbranch_execz .LBB779_45
.LBB779_120:
	v_mov_b32_e32 v18, s45
	v_add_co_u32_e32 v8, vcc, s44, v9
	v_addc_co_u32_e32 v9, vcc, 0, v18, vcc
	flat_load_dword v8, v[8:9]
	s_or_b64 exec, exec, s[4:5]
                                        ; implicit-def: $vgpr9
	s_and_saveexec_b64 s[4:5], s[28:29]
	s_cbranch_execz .LBB779_47
	s_branch .LBB779_46
.LBB779_121:
                                        ; implicit-def: $vgpr49
                                        ; implicit-def: $vgpr47
                                        ; implicit-def: $vgpr45
                                        ; implicit-def: $vgpr43
                                        ; implicit-def: $vgpr34_vgpr35_vgpr36_vgpr37
                                        ; implicit-def: $vgpr30_vgpr31_vgpr32_vgpr33
                                        ; implicit-def: $vgpr26_vgpr27_vgpr28_vgpr29
	s_cbranch_execz .LBB779_137
; %bb.122:
	s_cmp_lg_u64 s[56:57], 0
	s_cselect_b32 s9, s55, 0
	s_cselect_b32 s8, s54, 0
	s_cmp_lg_u64 s[8:9], 0
	s_cselect_b64 s[6:7], -1, 0
	s_mov_b32 s4, 0
	s_and_b64 s[10:11], s[0:1], s[6:7]
	s_and_saveexec_b64 s[6:7], s[10:11]
	s_cbranch_execz .LBB779_124
; %bb.123:
	v_mov_b32_e32 v26, 0
	global_load_dword v28, v26, s[8:9]
	global_load_ubyte v29, v26, s[8:9] offset:4
	s_mov_b32 s5, 1
	v_and_b32_e32 v27, 1, v39
	v_cmp_gt_u64_e32 vcc, s[4:5], v[38:39]
	s_waitcnt vmcnt(1)
	v_cndmask_b32_e32 v28, 0, v28, vcc
	s_waitcnt vmcnt(0)
	v_and_b32_e32 v29, 1, v29
	v_cmp_eq_u64_e32 vcc, 0, v[26:27]
	v_add_u32_e32 v38, v28, v38
	v_cndmask_b32_e32 v39, 1, v29, vcc
.LBB779_124:
	s_or_b64 exec, exec, s[6:7]
	s_mov_b32 s5, 1
	v_cmp_gt_u64_e32 vcc, s[4:5], v[2:3]
	v_cndmask_b32_e32 v26, 0, v38, vcc
	v_add_u32_e32 v27, v26, v2
	v_cmp_gt_u64_e64 s[6:7], s[4:5], v[4:5]
	v_cndmask_b32_e64 v26, 0, v27, s[6:7]
	v_add_u32_e32 v42, v26, v4
	v_cmp_gt_u64_e64 s[8:9], s[4:5], v[6:7]
	v_cndmask_b32_e64 v26, 0, v42, s[8:9]
	;; [unrolled: 3-line block ×6, first 2 shown]
	v_add_u32_e32 v45, v26, v14
	v_cmp_gt_u64_e64 s[18:19], s[4:5], v[16:17]
	v_mov_b32_e32 v28, 0
	v_cndmask_b32_e64 v26, 0, v45, s[18:19]
	v_or3_b32 v7, v23, v15, v7
	v_add_u32_e32 v34, v26, v16
	v_cmp_gt_u64_e64 s[20:21], s[4:5], v[18:19]
	v_or3_b32 v9, v25, v17, v9
	v_and_b32_e32 v55, 1, v7
	v_mov_b32_e32 v54, v28
	v_cndmask_b32_e64 v26, 0, v34, s[20:21]
	v_or3_b32 v3, v19, v11, v3
	v_and_b32_e32 v37, 1, v9
	v_mov_b32_e32 v36, v28
	v_cmp_ne_u64_e64 s[30:31], 0, v[54:55]
	v_add_u32_e32 v35, v26, v18
	v_cmp_gt_u64_e64 s[22:23], s[4:5], v[20:21]
	v_or3_b32 v5, v21, v13, v5
	v_and_b32_e32 v29, 1, v3
	v_cndmask_b32_e64 v3, 0, 1, s[30:31]
	v_cmp_ne_u64_e64 s[30:31], 0, v[36:37]
	v_cndmask_b32_e64 v26, 0, v35, s[22:23]
	v_and_b32_e32 v33, 1, v5
	v_mov_b32_e32 v32, v28
	v_cndmask_b32_e64 v5, 0, 1, s[30:31]
	v_add_u32_e32 v46, v26, v20
	v_cmp_gt_u64_e64 s[24:25], s[4:5], v[22:23]
	v_lshlrev_b16_e32 v3, 2, v3
	v_lshlrev_b16_e32 v5, 3, v5
	v_cmp_ne_u64_e64 s[30:31], 0, v[32:33]
	v_cndmask_b32_e64 v26, 0, v46, s[24:25]
	v_or_b32_e32 v3, v5, v3
	v_cndmask_b32_e64 v5, 0, 1, s[30:31]
	v_cmp_ne_u64_e64 s[30:31], 0, v[28:29]
	v_add_u32_e32 v47, v26, v22
	v_cmp_gt_u64_e64 s[26:27], s[4:5], v[24:25]
	v_lshlrev_b16_e32 v5, 1, v5
	v_cndmask_b32_e64 v7, 0, 1, s[30:31]
	v_cndmask_b32_e64 v26, 0, v47, s[26:27]
	v_or_b32_e32 v5, v7, v5
	v_add_u32_e32 v48, v26, v24
	v_cmp_gt_u64_e64 s[28:29], s[4:5], v[40:41]
	v_and_b32_e32 v5, 3, v5
	v_cndmask_b32_e64 v26, 0, v48, s[28:29]
	v_or_b32_e32 v3, v5, v3
	v_add_u32_e32 v49, v26, v40
	v_and_b32_e32 v26, 1, v41
	v_and_b32_e32 v3, 15, v3
	v_cmp_eq_u32_e64 s[4:5], 1, v26
	v_cmp_ne_u16_e64 s[30:31], 0, v3
	s_or_b64 s[4:5], s[4:5], s[30:31]
	v_cndmask_b32_e64 v5, v39, 1, s[4:5]
	v_mbcnt_hi_u32_b32 v3, -1, v52
	v_mov_b32_dpp v9, v49 row_shr:1 row_mask:0xf bank_mask:0xf
	v_mov_b32_dpp v11, v5 row_shr:1 row_mask:0xf bank_mask:0xf
	v_cmp_eq_u32_e64 s[4:5], 0, v5
	v_and_b32_e32 v13, 1, v5
	v_and_b32_e32 v7, 15, v3
	v_cndmask_b32_e64 v9, 0, v9, s[4:5]
	v_and_b32_e32 v11, 1, v11
	v_cmp_eq_u32_e64 s[4:5], 1, v13
	v_cndmask_b32_e64 v11, v11, 1, s[4:5]
	v_cmp_eq_u32_e64 s[4:5], 0, v7
	v_cndmask_b32_e64 v5, v11, v5, s[4:5]
	v_and_b32_e32 v15, 1, v5
	v_cmp_eq_u32_e64 s[30:31], 1, v15
	v_mov_b32_dpp v13, v5 row_shr:2 row_mask:0xf bank_mask:0xf
	v_and_b32_e32 v13, 1, v13
	v_cndmask_b32_e64 v13, v13, 1, s[30:31]
	v_cmp_lt_u32_e64 s[30:31], 1, v7
	v_cndmask_b32_e64 v9, v9, 0, s[4:5]
	v_cmp_eq_u32_e64 s[4:5], 0, v5
	v_cndmask_b32_e64 v5, v5, v13, s[30:31]
	v_add_u32_e32 v9, v49, v9
	v_and_b32_e32 v15, 1, v5
	v_mov_b32_dpp v13, v5 row_shr:4 row_mask:0xf bank_mask:0xf
	v_mov_b32_dpp v11, v9 row_shr:2 row_mask:0xf bank_mask:0xf
	s_and_b64 s[4:5], s[30:31], s[4:5]
	v_and_b32_e32 v13, 1, v13
	v_cmp_eq_u32_e64 s[30:31], 1, v15
	v_cndmask_b32_e64 v11, 0, v11, s[4:5]
	v_cndmask_b32_e64 v13, v13, 1, s[30:31]
	v_cmp_lt_u32_e64 s[30:31], 3, v7
	v_add_u32_e32 v9, v9, v11
	v_cmp_eq_u32_e64 s[4:5], 0, v5
	v_cndmask_b32_e64 v5, v5, v13, s[30:31]
	v_mov_b32_dpp v11, v9 row_shr:4 row_mask:0xf bank_mask:0xf
	s_and_b64 s[4:5], s[30:31], s[4:5]
	v_mov_b32_dpp v13, v5 row_shr:8 row_mask:0xf bank_mask:0xf
	v_and_b32_e32 v15, 1, v5
	v_cndmask_b32_e64 v11, 0, v11, s[4:5]
	v_and_b32_e32 v13, 1, v13
	v_cmp_eq_u32_e64 s[30:31], 1, v15
	v_add_u32_e32 v9, v9, v11
	v_cmp_eq_u32_e64 s[4:5], 0, v5
	v_cndmask_b32_e64 v13, v13, 1, s[30:31]
	v_cmp_lt_u32_e64 s[30:31], 7, v7
	v_mov_b32_dpp v11, v9 row_shr:8 row_mask:0xf bank_mask:0xf
	s_and_b64 s[4:5], s[30:31], s[4:5]
	v_cndmask_b32_e64 v7, 0, v11, s[4:5]
	v_cndmask_b32_e64 v5, v5, v13, s[30:31]
	v_add_u32_e32 v7, v9, v7
	v_cmp_eq_u32_e64 s[4:5], 0, v5
	v_mov_b32_dpp v11, v5 row_bcast:15 row_mask:0xf bank_mask:0xf
	v_mov_b32_dpp v9, v7 row_bcast:15 row_mask:0xf bank_mask:0xf
	v_and_b32_e32 v17, 1, v5
	v_and_b32_e32 v15, 16, v3
	v_cndmask_b32_e64 v9, 0, v9, s[4:5]
	v_and_b32_e32 v11, 1, v11
	v_cmp_eq_u32_e64 s[4:5], 1, v17
	v_bfe_i32 v13, v3, 4, 1
	v_cndmask_b32_e64 v11, v11, 1, s[4:5]
	v_cmp_eq_u32_e64 s[4:5], 0, v15
	v_and_b32_e32 v9, v13, v9
	v_cndmask_b32_e64 v5, v11, v5, s[4:5]
	v_add_u32_e32 v9, v7, v9
	v_and_b32_e32 v13, 1, v5
	v_mov_b32_dpp v7, v5 row_bcast:31 row_mask:0xf bank_mask:0xf
	v_and_b32_e32 v7, 1, v7
	v_cmp_eq_u32_e64 s[30:31], 1, v13
	v_cmp_eq_u32_e64 s[4:5], 0, v5
	v_cndmask_b32_e64 v7, v7, 1, s[30:31]
	v_cmp_lt_u32_e64 s[30:31], 31, v3
	v_mov_b32_dpp v11, v9 row_bcast:31 row_mask:0xf bank_mask:0xf
	s_and_b64 s[4:5], s[30:31], s[4:5]
	v_cndmask_b32_e64 v7, v5, v7, s[30:31]
	v_cndmask_b32_e64 v5, 0, v11, s[4:5]
	v_add_u32_e32 v5, v9, v5
	v_cmp_eq_u32_e64 s[4:5], v51, v0
	s_and_saveexec_b64 s[30:31], s[4:5]
	s_cbranch_execz .LBB779_126
; %bb.125:
	v_lshlrev_b32_e32 v9, 3, v1
	ds_write_b32 v9, v5
	ds_write_b8 v9, v7 offset:4
.LBB779_126:
	s_or_b64 exec, exec, s[30:31]
	v_cmp_gt_u32_e64 s[4:5], 4, v0
	s_waitcnt lgkmcnt(0)
	s_barrier
	s_and_saveexec_b64 s[30:31], s[4:5]
	s_cbranch_execz .LBB779_130
; %bb.127:
	v_lshlrev_b32_e32 v9, 3, v0
	ds_read_b64 v[28:29], v9
	v_and_b32_e32 v11, 3, v3
	v_cmp_ne_u32_e64 s[4:5], 0, v11
	s_waitcnt lgkmcnt(0)
	v_mov_b32_dpp v13, v28 row_shr:1 row_mask:0xf bank_mask:0xf
	v_mov_b32_dpp v17, v29 row_shr:1 row_mask:0xf bank_mask:0xf
	v_mov_b32_e32 v15, v29
	s_and_saveexec_b64 s[34:35], s[4:5]
	s_cbranch_execz .LBB779_129
; %bb.128:
	v_and_b32_e32 v15, 1, v29
	v_and_b32_e32 v17, 1, v17
	v_cmp_eq_u32_e64 s[4:5], 1, v15
	v_mov_b32_e32 v15, 0
	v_cndmask_b32_e64 v17, v17, 1, s[4:5]
	v_cmp_eq_u16_sdwa s[4:5], v29, v15 src0_sel:BYTE_0 src1_sel:DWORD
	v_cndmask_b32_e64 v13, 0, v13, s[4:5]
	v_add_u32_e32 v28, v13, v28
	v_and_b32_e32 v13, 0xffff, v17
	s_movk_i32 s4, 0xff00
	v_and_or_b32 v15, v29, s4, v13
	v_mov_b32_e32 v29, v17
.LBB779_129:
	s_or_b64 exec, exec, s[34:35]
	v_mov_b32_dpp v15, v15 row_shr:2 row_mask:0xf bank_mask:0xf
	v_and_b32_e32 v17, 1, v29
	v_and_b32_e32 v15, 1, v15
	v_cmp_eq_u32_e64 s[4:5], 1, v17
	v_mov_b32_e32 v17, 0
	v_cndmask_b32_e64 v15, v15, 1, s[4:5]
	v_cmp_eq_u16_sdwa s[34:35], v29, v17 src0_sel:BYTE_0 src1_sel:DWORD
	v_cmp_lt_u32_e64 s[4:5], 1, v11
	v_mov_b32_dpp v13, v28 row_shr:2 row_mask:0xf bank_mask:0xf
	v_cndmask_b32_e64 v11, v29, v15, s[4:5]
	s_and_b64 s[4:5], s[4:5], s[34:35]
	v_cndmask_b32_e64 v13, 0, v13, s[4:5]
	v_add_u32_e32 v13, v13, v28
	ds_write_b32 v9, v13
	ds_write_b8 v9, v11 offset:4
.LBB779_130:
	s_or_b64 exec, exec, s[30:31]
	v_cmp_lt_u32_e64 s[4:5], 63, v0
	v_mov_b32_e32 v9, 0
	s_waitcnt lgkmcnt(0)
	s_barrier
	s_and_saveexec_b64 s[30:31], s[4:5]
	s_cbranch_execz .LBB779_132
; %bb.131:
	v_lshl_add_u32 v1, v1, 3, -8
	ds_read_b32 v9, v1
	v_cmp_eq_u32_e64 s[4:5], 0, v7
	s_waitcnt lgkmcnt(0)
	v_cndmask_b32_e64 v1, 0, v9, s[4:5]
	v_add_u32_e32 v5, v1, v5
.LBB779_132:
	s_or_b64 exec, exec, s[30:31]
	v_add_u32_e32 v1, -1, v3
	v_and_b32_e32 v7, 64, v3
	v_cmp_lt_i32_e64 s[4:5], v1, v7
	v_cndmask_b32_e64 v1, v1, v3, s[4:5]
	v_lshlrev_b32_e32 v1, 2, v1
	ds_bpermute_b32 v1, v1, v5
	s_and_saveexec_b64 s[30:31], s[36:37]
	s_cbranch_execz .LBB779_134
; %bb.133:
	v_and_b32_e32 v27, 0xff, v39
	v_mov_b32_e32 v26, 0
	v_cmp_eq_u32_e64 s[4:5], 0, v3
	s_waitcnt lgkmcnt(0)
	v_cndmask_b32_e64 v1, v1, v9, s[4:5]
	v_cmp_eq_u64_e64 s[4:5], 0, v[26:27]
	v_cndmask_b32_e64 v1, 0, v1, s[4:5]
	v_add_u32_e32 v38, v1, v38
	v_cndmask_b32_e32 v1, 0, v38, vcc
	v_add_u32_e32 v27, v1, v2
	v_cndmask_b32_e64 v1, 0, v27, s[6:7]
	v_add_u32_e32 v42, v1, v4
	v_cndmask_b32_e64 v1, 0, v42, s[8:9]
	v_add_u32_e32 v43, v1, v6
	v_cndmask_b32_e64 v1, 0, v43, s[10:11]
	v_add_u32_e32 v30, v1, v8
	v_cndmask_b32_e64 v1, 0, v30, s[12:13]
	v_add_u32_e32 v31, v1, v10
	v_cndmask_b32_e64 v1, 0, v31, s[14:15]
	v_add_u32_e32 v44, v1, v12
	v_cndmask_b32_e64 v1, 0, v44, s[16:17]
	v_add_u32_e32 v45, v1, v14
	v_cndmask_b32_e64 v1, 0, v45, s[18:19]
	v_add_u32_e32 v34, v1, v16
	v_cndmask_b32_e64 v1, 0, v34, s[20:21]
	v_add_u32_e32 v35, v1, v18
	v_cndmask_b32_e64 v1, 0, v35, s[22:23]
	v_add_u32_e32 v46, v1, v20
	v_cndmask_b32_e64 v1, 0, v46, s[24:25]
	v_add_u32_e32 v47, v1, v22
	v_cndmask_b32_e64 v1, 0, v47, s[26:27]
	v_add_u32_e32 v48, v1, v24
	v_cndmask_b32_e64 v1, 0, v48, s[28:29]
	v_add_u32_e32 v49, v1, v40
	;;#ASMSTART
	;;#ASMEND
.LBB779_134:
	s_or_b64 exec, exec, s[30:31]
	s_and_saveexec_b64 s[4:5], s[0:1]
	s_cbranch_execz .LBB779_136
; %bb.135:
	v_mov_b32_e32 v5, 0
	ds_read_b32 v2, v5 offset:24
	ds_read_u8 v3, v5 offset:28
	s_add_u32 s0, s48, 0x400
	s_addc_u32 s1, s49, 0
	v_mov_b32_e32 v4, 2
	v_pk_mov_b32 v[6:7], s[0:1], s[0:1] op_sel:[0,1]
	s_waitcnt lgkmcnt(0)
	;;#ASMSTART
	global_store_dwordx4 v[6:7], v[2:5] off	
s_waitcnt vmcnt(0)
	;;#ASMEND
.LBB779_136:
	s_or_b64 exec, exec, s[4:5]
	v_mov_b32_e32 v26, v38
.LBB779_137:
	s_add_u32 s0, s46, s38
	s_addc_u32 s1, s47, s39
	s_add_u32 s4, s0, s40
	s_waitcnt lgkmcnt(0)
	v_mul_u32_u24_e32 v1, 14, v0
	s_addc_u32 s5, s1, s41
	s_and_b64 vcc, exec, s[2:3]
	v_lshlrev_b32_e32 v2, 2, v1
	s_cbranch_vccz .LBB779_165
; %bb.138:
	s_movk_i32 s0, 0xffcc
	v_mad_i32_i24 v3, v0, s0, v2
	s_barrier
	ds_write2_b64 v2, v[26:27], v[42:43] offset1:1
	ds_write2_b64 v2, v[30:31], v[44:45] offset0:2 offset1:3
	ds_write2_b64 v2, v[34:35], v[46:47] offset0:4 offset1:5
	ds_write_b64 v2, v[48:49] offset:48
	s_waitcnt lgkmcnt(0)
	s_barrier
	ds_read2st64_b32 v[16:17], v3 offset0:4 offset1:8
	ds_read2st64_b32 v[14:15], v3 offset0:12 offset1:16
	;; [unrolled: 1-line block ×6, first 2 shown]
	ds_read_b32 v3, v3 offset:13312
	v_mov_b32_e32 v7, s5
	v_add_co_u32_e32 v6, vcc, s4, v50
	s_add_i32 s33, s33, s50
	v_addc_co_u32_e32 v7, vcc, 0, v7, vcc
	v_mov_b32_e32 v1, 0
	v_cmp_gt_u32_e32 vcc, s33, v0
	s_and_saveexec_b64 s[0:1], vcc
	s_cbranch_execz .LBB779_140
; %bb.139:
	v_mul_i32_i24_e32 v18, 0xffffffcc, v0
	v_add_u32_e32 v18, v2, v18
	ds_read_b32 v18, v18
	s_waitcnt lgkmcnt(0)
	flat_store_dword v[6:7], v18
.LBB779_140:
	s_or_b64 exec, exec, s[0:1]
	v_or_b32_e32 v18, 0x100, v0
	v_cmp_gt_u32_e32 vcc, s33, v18
	s_and_saveexec_b64 s[0:1], vcc
	s_cbranch_execz .LBB779_142
; %bb.141:
	s_waitcnt lgkmcnt(0)
	flat_store_dword v[6:7], v16 offset:1024
.LBB779_142:
	s_or_b64 exec, exec, s[0:1]
	s_waitcnt lgkmcnt(0)
	v_or_b32_e32 v16, 0x200, v0
	v_cmp_gt_u32_e32 vcc, s33, v16
	s_and_saveexec_b64 s[0:1], vcc
	s_cbranch_execz .LBB779_144
; %bb.143:
	flat_store_dword v[6:7], v17 offset:2048
.LBB779_144:
	s_or_b64 exec, exec, s[0:1]
	v_or_b32_e32 v16, 0x300, v0
	v_cmp_gt_u32_e32 vcc, s33, v16
	s_and_saveexec_b64 s[0:1], vcc
	s_cbranch_execz .LBB779_146
; %bb.145:
	flat_store_dword v[6:7], v14 offset:3072
.LBB779_146:
	s_or_b64 exec, exec, s[0:1]
	v_or_b32_e32 v14, 0x400, v0
	v_cmp_gt_u32_e32 vcc, s33, v14
	s_and_saveexec_b64 s[0:1], vcc
	s_cbranch_execz .LBB779_148
; %bb.147:
	v_add_co_u32_e32 v16, vcc, 0x1000, v6
	v_addc_co_u32_e32 v17, vcc, 0, v7, vcc
	flat_store_dword v[16:17], v15
.LBB779_148:
	s_or_b64 exec, exec, s[0:1]
	v_or_b32_e32 v14, 0x500, v0
	v_cmp_gt_u32_e32 vcc, s33, v14
	s_and_saveexec_b64 s[0:1], vcc
	s_cbranch_execz .LBB779_150
; %bb.149:
	v_add_co_u32_e32 v14, vcc, 0x1000, v6
	v_addc_co_u32_e32 v15, vcc, 0, v7, vcc
	flat_store_dword v[14:15], v12 offset:1024
.LBB779_150:
	s_or_b64 exec, exec, s[0:1]
	v_or_b32_e32 v12, 0x600, v0
	v_cmp_gt_u32_e32 vcc, s33, v12
	s_and_saveexec_b64 s[0:1], vcc
	s_cbranch_execz .LBB779_152
; %bb.151:
	v_add_co_u32_e32 v14, vcc, 0x1000, v6
	v_addc_co_u32_e32 v15, vcc, 0, v7, vcc
	flat_store_dword v[14:15], v13 offset:2048
.LBB779_152:
	;; [unrolled: 10-line block ×3, first 2 shown]
	s_or_b64 exec, exec, s[0:1]
	v_or_b32_e32 v10, 0x800, v0
	v_cmp_gt_u32_e32 vcc, s33, v10
	s_and_saveexec_b64 s[0:1], vcc
	s_cbranch_execz .LBB779_156
; %bb.155:
	v_add_co_u32_e32 v12, vcc, 0x2000, v6
	v_addc_co_u32_e32 v13, vcc, 0, v7, vcc
	flat_store_dword v[12:13], v11
.LBB779_156:
	s_or_b64 exec, exec, s[0:1]
	v_or_b32_e32 v10, 0x900, v0
	v_cmp_gt_u32_e32 vcc, s33, v10
	s_and_saveexec_b64 s[0:1], vcc
	s_cbranch_execz .LBB779_158
; %bb.157:
	v_add_co_u32_e32 v10, vcc, 0x2000, v6
	v_addc_co_u32_e32 v11, vcc, 0, v7, vcc
	flat_store_dword v[10:11], v8 offset:1024
.LBB779_158:
	s_or_b64 exec, exec, s[0:1]
	v_or_b32_e32 v8, 0xa00, v0
	v_cmp_gt_u32_e32 vcc, s33, v8
	s_and_saveexec_b64 s[0:1], vcc
	s_cbranch_execz .LBB779_160
; %bb.159:
	v_add_co_u32_e32 v10, vcc, 0x2000, v6
	v_addc_co_u32_e32 v11, vcc, 0, v7, vcc
	flat_store_dword v[10:11], v9 offset:2048
.LBB779_160:
	;; [unrolled: 10-line block ×3, first 2 shown]
	s_or_b64 exec, exec, s[0:1]
	v_or_b32_e32 v4, 0xc00, v0
	v_cmp_gt_u32_e32 vcc, s33, v4
	s_and_saveexec_b64 s[0:1], vcc
	s_cbranch_execz .LBB779_164
; %bb.163:
	v_add_co_u32_e32 v6, vcc, 0x3000, v6
	v_addc_co_u32_e32 v7, vcc, 0, v7, vcc
	flat_store_dword v[6:7], v5
.LBB779_164:
	s_or_b64 exec, exec, s[0:1]
	v_or_b32_e32 v4, 0xd00, v0
	v_cmp_gt_u32_e64 s[0:1], s33, v4
	s_branch .LBB779_167
.LBB779_165:
	s_mov_b64 s[0:1], 0
                                        ; implicit-def: $vgpr3
	s_cbranch_execz .LBB779_167
; %bb.166:
	s_movk_i32 s2, 0xffcc
	s_waitcnt lgkmcnt(0)
	s_barrier
	ds_write2_b64 v2, v[26:27], v[42:43] offset1:1
	ds_write2_b64 v2, v[30:31], v[44:45] offset0:2 offset1:3
	ds_write2_b64 v2, v[34:35], v[46:47] offset0:4 offset1:5
	ds_write_b64 v2, v[48:49] offset:48
	v_mad_i32_i24 v2, v0, s2, v2
	v_mov_b32_e32 v17, s5
	v_add_co_u32_e32 v16, vcc, s4, v50
	s_waitcnt lgkmcnt(0)
	s_barrier
	ds_read2st64_b32 v[4:5], v2 offset1:4
	ds_read2st64_b32 v[6:7], v2 offset0:8 offset1:12
	ds_read2st64_b32 v[8:9], v2 offset0:16 offset1:20
	;; [unrolled: 1-line block ×6, first 2 shown]
	v_addc_co_u32_e32 v17, vcc, 0, v17, vcc
	s_movk_i32 s2, 0x1000
	s_waitcnt lgkmcnt(0)
	flat_store_dword v[16:17], v4
	flat_store_dword v[16:17], v5 offset:1024
	flat_store_dword v[16:17], v6 offset:2048
	;; [unrolled: 1-line block ×3, first 2 shown]
	v_add_co_u32_e32 v4, vcc, s2, v16
	v_addc_co_u32_e32 v5, vcc, 0, v17, vcc
	flat_store_dword v[4:5], v8
	flat_store_dword v[4:5], v9 offset:1024
	flat_store_dword v[4:5], v10 offset:2048
	;; [unrolled: 1-line block ×3, first 2 shown]
	v_add_co_u32_e32 v4, vcc, 0x2000, v16
	v_addc_co_u32_e32 v5, vcc, 0, v17, vcc
	flat_store_dword v[4:5], v12
	flat_store_dword v[4:5], v13 offset:1024
	flat_store_dword v[4:5], v14 offset:2048
	;; [unrolled: 1-line block ×3, first 2 shown]
	v_add_co_u32_e32 v4, vcc, 0x3000, v16
	v_mov_b32_e32 v1, 0
	v_addc_co_u32_e32 v5, vcc, 0, v17, vcc
	s_or_b64 s[0:1], s[0:1], exec
	flat_store_dword v[4:5], v2
.LBB779_167:
	s_and_saveexec_b64 s[2:3], s[0:1]
	s_cbranch_execz .LBB779_169
; %bb.168:
	v_lshlrev_b64 v[0:1], 2, v[0:1]
	v_mov_b32_e32 v2, s5
	v_add_co_u32_e32 v0, vcc, s4, v0
	v_addc_co_u32_e32 v1, vcc, v2, v1, vcc
	v_add_co_u32_e32 v0, vcc, 0x3000, v0
	v_addc_co_u32_e32 v1, vcc, 0, v1, vcc
	flat_store_dword v[0:1], v3 offset:1024
	s_endpgm
.LBB779_169:
	s_endpgm
	.section	.rodata,"a",@progbits
	.p2align	6, 0x0
	.amdhsa_kernel _ZN7rocprim17ROCPRIM_400000_NS6detail17trampoline_kernelINS0_14default_configENS1_27scan_by_key_config_selectorIiiEEZZNS1_16scan_by_key_implILNS1_25lookback_scan_determinismE0ELb0ES3_N6thrust23THRUST_200600_302600_NS6detail15normal_iteratorINS9_10device_ptrIiEEEESE_SE_iNS9_4plusIiEE19head_flag_predicateiEE10hipError_tPvRmT2_T3_T4_T5_mT6_T7_P12ihipStream_tbENKUlT_T0_E_clISt17integral_constantIbLb0EESX_IbLb1EEEEDaST_SU_EUlST_E_NS1_11comp_targetILNS1_3genE4ELNS1_11target_archE910ELNS1_3gpuE8ELNS1_3repE0EEENS1_30default_config_static_selectorELNS0_4arch9wavefront6targetE1EEEvT1_
		.amdhsa_group_segment_fixed_size 16384
		.amdhsa_private_segment_fixed_size 0
		.amdhsa_kernarg_size 112
		.amdhsa_user_sgpr_count 6
		.amdhsa_user_sgpr_private_segment_buffer 1
		.amdhsa_user_sgpr_dispatch_ptr 0
		.amdhsa_user_sgpr_queue_ptr 0
		.amdhsa_user_sgpr_kernarg_segment_ptr 1
		.amdhsa_user_sgpr_dispatch_id 0
		.amdhsa_user_sgpr_flat_scratch_init 0
		.amdhsa_user_sgpr_kernarg_preload_length 0
		.amdhsa_user_sgpr_kernarg_preload_offset 0
		.amdhsa_user_sgpr_private_segment_size 0
		.amdhsa_uses_dynamic_stack 0
		.amdhsa_system_sgpr_private_segment_wavefront_offset 0
		.amdhsa_system_sgpr_workgroup_id_x 1
		.amdhsa_system_sgpr_workgroup_id_y 0
		.amdhsa_system_sgpr_workgroup_id_z 0
		.amdhsa_system_sgpr_workgroup_info 0
		.amdhsa_system_vgpr_workitem_id 0
		.amdhsa_next_free_vgpr 65
		.amdhsa_next_free_sgpr 64
		.amdhsa_accum_offset 68
		.amdhsa_reserve_vcc 1
		.amdhsa_reserve_flat_scratch 0
		.amdhsa_float_round_mode_32 0
		.amdhsa_float_round_mode_16_64 0
		.amdhsa_float_denorm_mode_32 3
		.amdhsa_float_denorm_mode_16_64 3
		.amdhsa_dx10_clamp 1
		.amdhsa_ieee_mode 1
		.amdhsa_fp16_overflow 0
		.amdhsa_tg_split 0
		.amdhsa_exception_fp_ieee_invalid_op 0
		.amdhsa_exception_fp_denorm_src 0
		.amdhsa_exception_fp_ieee_div_zero 0
		.amdhsa_exception_fp_ieee_overflow 0
		.amdhsa_exception_fp_ieee_underflow 0
		.amdhsa_exception_fp_ieee_inexact 0
		.amdhsa_exception_int_div_zero 0
	.end_amdhsa_kernel
	.section	.text._ZN7rocprim17ROCPRIM_400000_NS6detail17trampoline_kernelINS0_14default_configENS1_27scan_by_key_config_selectorIiiEEZZNS1_16scan_by_key_implILNS1_25lookback_scan_determinismE0ELb0ES3_N6thrust23THRUST_200600_302600_NS6detail15normal_iteratorINS9_10device_ptrIiEEEESE_SE_iNS9_4plusIiEE19head_flag_predicateiEE10hipError_tPvRmT2_T3_T4_T5_mT6_T7_P12ihipStream_tbENKUlT_T0_E_clISt17integral_constantIbLb0EESX_IbLb1EEEEDaST_SU_EUlST_E_NS1_11comp_targetILNS1_3genE4ELNS1_11target_archE910ELNS1_3gpuE8ELNS1_3repE0EEENS1_30default_config_static_selectorELNS0_4arch9wavefront6targetE1EEEvT1_,"axG",@progbits,_ZN7rocprim17ROCPRIM_400000_NS6detail17trampoline_kernelINS0_14default_configENS1_27scan_by_key_config_selectorIiiEEZZNS1_16scan_by_key_implILNS1_25lookback_scan_determinismE0ELb0ES3_N6thrust23THRUST_200600_302600_NS6detail15normal_iteratorINS9_10device_ptrIiEEEESE_SE_iNS9_4plusIiEE19head_flag_predicateiEE10hipError_tPvRmT2_T3_T4_T5_mT6_T7_P12ihipStream_tbENKUlT_T0_E_clISt17integral_constantIbLb0EESX_IbLb1EEEEDaST_SU_EUlST_E_NS1_11comp_targetILNS1_3genE4ELNS1_11target_archE910ELNS1_3gpuE8ELNS1_3repE0EEENS1_30default_config_static_selectorELNS0_4arch9wavefront6targetE1EEEvT1_,comdat
.Lfunc_end779:
	.size	_ZN7rocprim17ROCPRIM_400000_NS6detail17trampoline_kernelINS0_14default_configENS1_27scan_by_key_config_selectorIiiEEZZNS1_16scan_by_key_implILNS1_25lookback_scan_determinismE0ELb0ES3_N6thrust23THRUST_200600_302600_NS6detail15normal_iteratorINS9_10device_ptrIiEEEESE_SE_iNS9_4plusIiEE19head_flag_predicateiEE10hipError_tPvRmT2_T3_T4_T5_mT6_T7_P12ihipStream_tbENKUlT_T0_E_clISt17integral_constantIbLb0EESX_IbLb1EEEEDaST_SU_EUlST_E_NS1_11comp_targetILNS1_3genE4ELNS1_11target_archE910ELNS1_3gpuE8ELNS1_3repE0EEENS1_30default_config_static_selectorELNS0_4arch9wavefront6targetE1EEEvT1_, .Lfunc_end779-_ZN7rocprim17ROCPRIM_400000_NS6detail17trampoline_kernelINS0_14default_configENS1_27scan_by_key_config_selectorIiiEEZZNS1_16scan_by_key_implILNS1_25lookback_scan_determinismE0ELb0ES3_N6thrust23THRUST_200600_302600_NS6detail15normal_iteratorINS9_10device_ptrIiEEEESE_SE_iNS9_4plusIiEE19head_flag_predicateiEE10hipError_tPvRmT2_T3_T4_T5_mT6_T7_P12ihipStream_tbENKUlT_T0_E_clISt17integral_constantIbLb0EESX_IbLb1EEEEDaST_SU_EUlST_E_NS1_11comp_targetILNS1_3genE4ELNS1_11target_archE910ELNS1_3gpuE8ELNS1_3repE0EEENS1_30default_config_static_selectorELNS0_4arch9wavefront6targetE1EEEvT1_
                                        ; -- End function
	.section	.AMDGPU.csdata,"",@progbits
; Kernel info:
; codeLenInByte = 10836
; NumSgprs: 68
; NumVgprs: 65
; NumAgprs: 0
; TotalNumVgprs: 65
; ScratchSize: 0
; MemoryBound: 0
; FloatMode: 240
; IeeeMode: 1
; LDSByteSize: 16384 bytes/workgroup (compile time only)
; SGPRBlocks: 8
; VGPRBlocks: 8
; NumSGPRsForWavesPerEU: 68
; NumVGPRsForWavesPerEU: 65
; AccumOffset: 68
; Occupancy: 4
; WaveLimiterHint : 1
; COMPUTE_PGM_RSRC2:SCRATCH_EN: 0
; COMPUTE_PGM_RSRC2:USER_SGPR: 6
; COMPUTE_PGM_RSRC2:TRAP_HANDLER: 0
; COMPUTE_PGM_RSRC2:TGID_X_EN: 1
; COMPUTE_PGM_RSRC2:TGID_Y_EN: 0
; COMPUTE_PGM_RSRC2:TGID_Z_EN: 0
; COMPUTE_PGM_RSRC2:TIDIG_COMP_CNT: 0
; COMPUTE_PGM_RSRC3_GFX90A:ACCUM_OFFSET: 16
; COMPUTE_PGM_RSRC3_GFX90A:TG_SPLIT: 0
	.section	.text._ZN7rocprim17ROCPRIM_400000_NS6detail17trampoline_kernelINS0_14default_configENS1_27scan_by_key_config_selectorIiiEEZZNS1_16scan_by_key_implILNS1_25lookback_scan_determinismE0ELb0ES3_N6thrust23THRUST_200600_302600_NS6detail15normal_iteratorINS9_10device_ptrIiEEEESE_SE_iNS9_4plusIiEE19head_flag_predicateiEE10hipError_tPvRmT2_T3_T4_T5_mT6_T7_P12ihipStream_tbENKUlT_T0_E_clISt17integral_constantIbLb0EESX_IbLb1EEEEDaST_SU_EUlST_E_NS1_11comp_targetILNS1_3genE3ELNS1_11target_archE908ELNS1_3gpuE7ELNS1_3repE0EEENS1_30default_config_static_selectorELNS0_4arch9wavefront6targetE1EEEvT1_,"axG",@progbits,_ZN7rocprim17ROCPRIM_400000_NS6detail17trampoline_kernelINS0_14default_configENS1_27scan_by_key_config_selectorIiiEEZZNS1_16scan_by_key_implILNS1_25lookback_scan_determinismE0ELb0ES3_N6thrust23THRUST_200600_302600_NS6detail15normal_iteratorINS9_10device_ptrIiEEEESE_SE_iNS9_4plusIiEE19head_flag_predicateiEE10hipError_tPvRmT2_T3_T4_T5_mT6_T7_P12ihipStream_tbENKUlT_T0_E_clISt17integral_constantIbLb0EESX_IbLb1EEEEDaST_SU_EUlST_E_NS1_11comp_targetILNS1_3genE3ELNS1_11target_archE908ELNS1_3gpuE7ELNS1_3repE0EEENS1_30default_config_static_selectorELNS0_4arch9wavefront6targetE1EEEvT1_,comdat
	.protected	_ZN7rocprim17ROCPRIM_400000_NS6detail17trampoline_kernelINS0_14default_configENS1_27scan_by_key_config_selectorIiiEEZZNS1_16scan_by_key_implILNS1_25lookback_scan_determinismE0ELb0ES3_N6thrust23THRUST_200600_302600_NS6detail15normal_iteratorINS9_10device_ptrIiEEEESE_SE_iNS9_4plusIiEE19head_flag_predicateiEE10hipError_tPvRmT2_T3_T4_T5_mT6_T7_P12ihipStream_tbENKUlT_T0_E_clISt17integral_constantIbLb0EESX_IbLb1EEEEDaST_SU_EUlST_E_NS1_11comp_targetILNS1_3genE3ELNS1_11target_archE908ELNS1_3gpuE7ELNS1_3repE0EEENS1_30default_config_static_selectorELNS0_4arch9wavefront6targetE1EEEvT1_ ; -- Begin function _ZN7rocprim17ROCPRIM_400000_NS6detail17trampoline_kernelINS0_14default_configENS1_27scan_by_key_config_selectorIiiEEZZNS1_16scan_by_key_implILNS1_25lookback_scan_determinismE0ELb0ES3_N6thrust23THRUST_200600_302600_NS6detail15normal_iteratorINS9_10device_ptrIiEEEESE_SE_iNS9_4plusIiEE19head_flag_predicateiEE10hipError_tPvRmT2_T3_T4_T5_mT6_T7_P12ihipStream_tbENKUlT_T0_E_clISt17integral_constantIbLb0EESX_IbLb1EEEEDaST_SU_EUlST_E_NS1_11comp_targetILNS1_3genE3ELNS1_11target_archE908ELNS1_3gpuE7ELNS1_3repE0EEENS1_30default_config_static_selectorELNS0_4arch9wavefront6targetE1EEEvT1_
	.globl	_ZN7rocprim17ROCPRIM_400000_NS6detail17trampoline_kernelINS0_14default_configENS1_27scan_by_key_config_selectorIiiEEZZNS1_16scan_by_key_implILNS1_25lookback_scan_determinismE0ELb0ES3_N6thrust23THRUST_200600_302600_NS6detail15normal_iteratorINS9_10device_ptrIiEEEESE_SE_iNS9_4plusIiEE19head_flag_predicateiEE10hipError_tPvRmT2_T3_T4_T5_mT6_T7_P12ihipStream_tbENKUlT_T0_E_clISt17integral_constantIbLb0EESX_IbLb1EEEEDaST_SU_EUlST_E_NS1_11comp_targetILNS1_3genE3ELNS1_11target_archE908ELNS1_3gpuE7ELNS1_3repE0EEENS1_30default_config_static_selectorELNS0_4arch9wavefront6targetE1EEEvT1_
	.p2align	8
	.type	_ZN7rocprim17ROCPRIM_400000_NS6detail17trampoline_kernelINS0_14default_configENS1_27scan_by_key_config_selectorIiiEEZZNS1_16scan_by_key_implILNS1_25lookback_scan_determinismE0ELb0ES3_N6thrust23THRUST_200600_302600_NS6detail15normal_iteratorINS9_10device_ptrIiEEEESE_SE_iNS9_4plusIiEE19head_flag_predicateiEE10hipError_tPvRmT2_T3_T4_T5_mT6_T7_P12ihipStream_tbENKUlT_T0_E_clISt17integral_constantIbLb0EESX_IbLb1EEEEDaST_SU_EUlST_E_NS1_11comp_targetILNS1_3genE3ELNS1_11target_archE908ELNS1_3gpuE7ELNS1_3repE0EEENS1_30default_config_static_selectorELNS0_4arch9wavefront6targetE1EEEvT1_,@function
_ZN7rocprim17ROCPRIM_400000_NS6detail17trampoline_kernelINS0_14default_configENS1_27scan_by_key_config_selectorIiiEEZZNS1_16scan_by_key_implILNS1_25lookback_scan_determinismE0ELb0ES3_N6thrust23THRUST_200600_302600_NS6detail15normal_iteratorINS9_10device_ptrIiEEEESE_SE_iNS9_4plusIiEE19head_flag_predicateiEE10hipError_tPvRmT2_T3_T4_T5_mT6_T7_P12ihipStream_tbENKUlT_T0_E_clISt17integral_constantIbLb0EESX_IbLb1EEEEDaST_SU_EUlST_E_NS1_11comp_targetILNS1_3genE3ELNS1_11target_archE908ELNS1_3gpuE7ELNS1_3repE0EEENS1_30default_config_static_selectorELNS0_4arch9wavefront6targetE1EEEvT1_: ; @_ZN7rocprim17ROCPRIM_400000_NS6detail17trampoline_kernelINS0_14default_configENS1_27scan_by_key_config_selectorIiiEEZZNS1_16scan_by_key_implILNS1_25lookback_scan_determinismE0ELb0ES3_N6thrust23THRUST_200600_302600_NS6detail15normal_iteratorINS9_10device_ptrIiEEEESE_SE_iNS9_4plusIiEE19head_flag_predicateiEE10hipError_tPvRmT2_T3_T4_T5_mT6_T7_P12ihipStream_tbENKUlT_T0_E_clISt17integral_constantIbLb0EESX_IbLb1EEEEDaST_SU_EUlST_E_NS1_11comp_targetILNS1_3genE3ELNS1_11target_archE908ELNS1_3gpuE7ELNS1_3repE0EEENS1_30default_config_static_selectorELNS0_4arch9wavefront6targetE1EEEvT1_
; %bb.0:
	.section	.rodata,"a",@progbits
	.p2align	6, 0x0
	.amdhsa_kernel _ZN7rocprim17ROCPRIM_400000_NS6detail17trampoline_kernelINS0_14default_configENS1_27scan_by_key_config_selectorIiiEEZZNS1_16scan_by_key_implILNS1_25lookback_scan_determinismE0ELb0ES3_N6thrust23THRUST_200600_302600_NS6detail15normal_iteratorINS9_10device_ptrIiEEEESE_SE_iNS9_4plusIiEE19head_flag_predicateiEE10hipError_tPvRmT2_T3_T4_T5_mT6_T7_P12ihipStream_tbENKUlT_T0_E_clISt17integral_constantIbLb0EESX_IbLb1EEEEDaST_SU_EUlST_E_NS1_11comp_targetILNS1_3genE3ELNS1_11target_archE908ELNS1_3gpuE7ELNS1_3repE0EEENS1_30default_config_static_selectorELNS0_4arch9wavefront6targetE1EEEvT1_
		.amdhsa_group_segment_fixed_size 0
		.amdhsa_private_segment_fixed_size 0
		.amdhsa_kernarg_size 112
		.amdhsa_user_sgpr_count 6
		.amdhsa_user_sgpr_private_segment_buffer 1
		.amdhsa_user_sgpr_dispatch_ptr 0
		.amdhsa_user_sgpr_queue_ptr 0
		.amdhsa_user_sgpr_kernarg_segment_ptr 1
		.amdhsa_user_sgpr_dispatch_id 0
		.amdhsa_user_sgpr_flat_scratch_init 0
		.amdhsa_user_sgpr_kernarg_preload_length 0
		.amdhsa_user_sgpr_kernarg_preload_offset 0
		.amdhsa_user_sgpr_private_segment_size 0
		.amdhsa_uses_dynamic_stack 0
		.amdhsa_system_sgpr_private_segment_wavefront_offset 0
		.amdhsa_system_sgpr_workgroup_id_x 1
		.amdhsa_system_sgpr_workgroup_id_y 0
		.amdhsa_system_sgpr_workgroup_id_z 0
		.amdhsa_system_sgpr_workgroup_info 0
		.amdhsa_system_vgpr_workitem_id 0
		.amdhsa_next_free_vgpr 1
		.amdhsa_next_free_sgpr 0
		.amdhsa_accum_offset 4
		.amdhsa_reserve_vcc 0
		.amdhsa_reserve_flat_scratch 0
		.amdhsa_float_round_mode_32 0
		.amdhsa_float_round_mode_16_64 0
		.amdhsa_float_denorm_mode_32 3
		.amdhsa_float_denorm_mode_16_64 3
		.amdhsa_dx10_clamp 1
		.amdhsa_ieee_mode 1
		.amdhsa_fp16_overflow 0
		.amdhsa_tg_split 0
		.amdhsa_exception_fp_ieee_invalid_op 0
		.amdhsa_exception_fp_denorm_src 0
		.amdhsa_exception_fp_ieee_div_zero 0
		.amdhsa_exception_fp_ieee_overflow 0
		.amdhsa_exception_fp_ieee_underflow 0
		.amdhsa_exception_fp_ieee_inexact 0
		.amdhsa_exception_int_div_zero 0
	.end_amdhsa_kernel
	.section	.text._ZN7rocprim17ROCPRIM_400000_NS6detail17trampoline_kernelINS0_14default_configENS1_27scan_by_key_config_selectorIiiEEZZNS1_16scan_by_key_implILNS1_25lookback_scan_determinismE0ELb0ES3_N6thrust23THRUST_200600_302600_NS6detail15normal_iteratorINS9_10device_ptrIiEEEESE_SE_iNS9_4plusIiEE19head_flag_predicateiEE10hipError_tPvRmT2_T3_T4_T5_mT6_T7_P12ihipStream_tbENKUlT_T0_E_clISt17integral_constantIbLb0EESX_IbLb1EEEEDaST_SU_EUlST_E_NS1_11comp_targetILNS1_3genE3ELNS1_11target_archE908ELNS1_3gpuE7ELNS1_3repE0EEENS1_30default_config_static_selectorELNS0_4arch9wavefront6targetE1EEEvT1_,"axG",@progbits,_ZN7rocprim17ROCPRIM_400000_NS6detail17trampoline_kernelINS0_14default_configENS1_27scan_by_key_config_selectorIiiEEZZNS1_16scan_by_key_implILNS1_25lookback_scan_determinismE0ELb0ES3_N6thrust23THRUST_200600_302600_NS6detail15normal_iteratorINS9_10device_ptrIiEEEESE_SE_iNS9_4plusIiEE19head_flag_predicateiEE10hipError_tPvRmT2_T3_T4_T5_mT6_T7_P12ihipStream_tbENKUlT_T0_E_clISt17integral_constantIbLb0EESX_IbLb1EEEEDaST_SU_EUlST_E_NS1_11comp_targetILNS1_3genE3ELNS1_11target_archE908ELNS1_3gpuE7ELNS1_3repE0EEENS1_30default_config_static_selectorELNS0_4arch9wavefront6targetE1EEEvT1_,comdat
.Lfunc_end780:
	.size	_ZN7rocprim17ROCPRIM_400000_NS6detail17trampoline_kernelINS0_14default_configENS1_27scan_by_key_config_selectorIiiEEZZNS1_16scan_by_key_implILNS1_25lookback_scan_determinismE0ELb0ES3_N6thrust23THRUST_200600_302600_NS6detail15normal_iteratorINS9_10device_ptrIiEEEESE_SE_iNS9_4plusIiEE19head_flag_predicateiEE10hipError_tPvRmT2_T3_T4_T5_mT6_T7_P12ihipStream_tbENKUlT_T0_E_clISt17integral_constantIbLb0EESX_IbLb1EEEEDaST_SU_EUlST_E_NS1_11comp_targetILNS1_3genE3ELNS1_11target_archE908ELNS1_3gpuE7ELNS1_3repE0EEENS1_30default_config_static_selectorELNS0_4arch9wavefront6targetE1EEEvT1_, .Lfunc_end780-_ZN7rocprim17ROCPRIM_400000_NS6detail17trampoline_kernelINS0_14default_configENS1_27scan_by_key_config_selectorIiiEEZZNS1_16scan_by_key_implILNS1_25lookback_scan_determinismE0ELb0ES3_N6thrust23THRUST_200600_302600_NS6detail15normal_iteratorINS9_10device_ptrIiEEEESE_SE_iNS9_4plusIiEE19head_flag_predicateiEE10hipError_tPvRmT2_T3_T4_T5_mT6_T7_P12ihipStream_tbENKUlT_T0_E_clISt17integral_constantIbLb0EESX_IbLb1EEEEDaST_SU_EUlST_E_NS1_11comp_targetILNS1_3genE3ELNS1_11target_archE908ELNS1_3gpuE7ELNS1_3repE0EEENS1_30default_config_static_selectorELNS0_4arch9wavefront6targetE1EEEvT1_
                                        ; -- End function
	.section	.AMDGPU.csdata,"",@progbits
; Kernel info:
; codeLenInByte = 0
; NumSgprs: 4
; NumVgprs: 0
; NumAgprs: 0
; TotalNumVgprs: 0
; ScratchSize: 0
; MemoryBound: 0
; FloatMode: 240
; IeeeMode: 1
; LDSByteSize: 0 bytes/workgroup (compile time only)
; SGPRBlocks: 0
; VGPRBlocks: 0
; NumSGPRsForWavesPerEU: 4
; NumVGPRsForWavesPerEU: 1
; AccumOffset: 4
; Occupancy: 8
; WaveLimiterHint : 0
; COMPUTE_PGM_RSRC2:SCRATCH_EN: 0
; COMPUTE_PGM_RSRC2:USER_SGPR: 6
; COMPUTE_PGM_RSRC2:TRAP_HANDLER: 0
; COMPUTE_PGM_RSRC2:TGID_X_EN: 1
; COMPUTE_PGM_RSRC2:TGID_Y_EN: 0
; COMPUTE_PGM_RSRC2:TGID_Z_EN: 0
; COMPUTE_PGM_RSRC2:TIDIG_COMP_CNT: 0
; COMPUTE_PGM_RSRC3_GFX90A:ACCUM_OFFSET: 0
; COMPUTE_PGM_RSRC3_GFX90A:TG_SPLIT: 0
	.section	.text._ZN7rocprim17ROCPRIM_400000_NS6detail17trampoline_kernelINS0_14default_configENS1_27scan_by_key_config_selectorIiiEEZZNS1_16scan_by_key_implILNS1_25lookback_scan_determinismE0ELb0ES3_N6thrust23THRUST_200600_302600_NS6detail15normal_iteratorINS9_10device_ptrIiEEEESE_SE_iNS9_4plusIiEE19head_flag_predicateiEE10hipError_tPvRmT2_T3_T4_T5_mT6_T7_P12ihipStream_tbENKUlT_T0_E_clISt17integral_constantIbLb0EESX_IbLb1EEEEDaST_SU_EUlST_E_NS1_11comp_targetILNS1_3genE2ELNS1_11target_archE906ELNS1_3gpuE6ELNS1_3repE0EEENS1_30default_config_static_selectorELNS0_4arch9wavefront6targetE1EEEvT1_,"axG",@progbits,_ZN7rocprim17ROCPRIM_400000_NS6detail17trampoline_kernelINS0_14default_configENS1_27scan_by_key_config_selectorIiiEEZZNS1_16scan_by_key_implILNS1_25lookback_scan_determinismE0ELb0ES3_N6thrust23THRUST_200600_302600_NS6detail15normal_iteratorINS9_10device_ptrIiEEEESE_SE_iNS9_4plusIiEE19head_flag_predicateiEE10hipError_tPvRmT2_T3_T4_T5_mT6_T7_P12ihipStream_tbENKUlT_T0_E_clISt17integral_constantIbLb0EESX_IbLb1EEEEDaST_SU_EUlST_E_NS1_11comp_targetILNS1_3genE2ELNS1_11target_archE906ELNS1_3gpuE6ELNS1_3repE0EEENS1_30default_config_static_selectorELNS0_4arch9wavefront6targetE1EEEvT1_,comdat
	.protected	_ZN7rocprim17ROCPRIM_400000_NS6detail17trampoline_kernelINS0_14default_configENS1_27scan_by_key_config_selectorIiiEEZZNS1_16scan_by_key_implILNS1_25lookback_scan_determinismE0ELb0ES3_N6thrust23THRUST_200600_302600_NS6detail15normal_iteratorINS9_10device_ptrIiEEEESE_SE_iNS9_4plusIiEE19head_flag_predicateiEE10hipError_tPvRmT2_T3_T4_T5_mT6_T7_P12ihipStream_tbENKUlT_T0_E_clISt17integral_constantIbLb0EESX_IbLb1EEEEDaST_SU_EUlST_E_NS1_11comp_targetILNS1_3genE2ELNS1_11target_archE906ELNS1_3gpuE6ELNS1_3repE0EEENS1_30default_config_static_selectorELNS0_4arch9wavefront6targetE1EEEvT1_ ; -- Begin function _ZN7rocprim17ROCPRIM_400000_NS6detail17trampoline_kernelINS0_14default_configENS1_27scan_by_key_config_selectorIiiEEZZNS1_16scan_by_key_implILNS1_25lookback_scan_determinismE0ELb0ES3_N6thrust23THRUST_200600_302600_NS6detail15normal_iteratorINS9_10device_ptrIiEEEESE_SE_iNS9_4plusIiEE19head_flag_predicateiEE10hipError_tPvRmT2_T3_T4_T5_mT6_T7_P12ihipStream_tbENKUlT_T0_E_clISt17integral_constantIbLb0EESX_IbLb1EEEEDaST_SU_EUlST_E_NS1_11comp_targetILNS1_3genE2ELNS1_11target_archE906ELNS1_3gpuE6ELNS1_3repE0EEENS1_30default_config_static_selectorELNS0_4arch9wavefront6targetE1EEEvT1_
	.globl	_ZN7rocprim17ROCPRIM_400000_NS6detail17trampoline_kernelINS0_14default_configENS1_27scan_by_key_config_selectorIiiEEZZNS1_16scan_by_key_implILNS1_25lookback_scan_determinismE0ELb0ES3_N6thrust23THRUST_200600_302600_NS6detail15normal_iteratorINS9_10device_ptrIiEEEESE_SE_iNS9_4plusIiEE19head_flag_predicateiEE10hipError_tPvRmT2_T3_T4_T5_mT6_T7_P12ihipStream_tbENKUlT_T0_E_clISt17integral_constantIbLb0EESX_IbLb1EEEEDaST_SU_EUlST_E_NS1_11comp_targetILNS1_3genE2ELNS1_11target_archE906ELNS1_3gpuE6ELNS1_3repE0EEENS1_30default_config_static_selectorELNS0_4arch9wavefront6targetE1EEEvT1_
	.p2align	8
	.type	_ZN7rocprim17ROCPRIM_400000_NS6detail17trampoline_kernelINS0_14default_configENS1_27scan_by_key_config_selectorIiiEEZZNS1_16scan_by_key_implILNS1_25lookback_scan_determinismE0ELb0ES3_N6thrust23THRUST_200600_302600_NS6detail15normal_iteratorINS9_10device_ptrIiEEEESE_SE_iNS9_4plusIiEE19head_flag_predicateiEE10hipError_tPvRmT2_T3_T4_T5_mT6_T7_P12ihipStream_tbENKUlT_T0_E_clISt17integral_constantIbLb0EESX_IbLb1EEEEDaST_SU_EUlST_E_NS1_11comp_targetILNS1_3genE2ELNS1_11target_archE906ELNS1_3gpuE6ELNS1_3repE0EEENS1_30default_config_static_selectorELNS0_4arch9wavefront6targetE1EEEvT1_,@function
_ZN7rocprim17ROCPRIM_400000_NS6detail17trampoline_kernelINS0_14default_configENS1_27scan_by_key_config_selectorIiiEEZZNS1_16scan_by_key_implILNS1_25lookback_scan_determinismE0ELb0ES3_N6thrust23THRUST_200600_302600_NS6detail15normal_iteratorINS9_10device_ptrIiEEEESE_SE_iNS9_4plusIiEE19head_flag_predicateiEE10hipError_tPvRmT2_T3_T4_T5_mT6_T7_P12ihipStream_tbENKUlT_T0_E_clISt17integral_constantIbLb0EESX_IbLb1EEEEDaST_SU_EUlST_E_NS1_11comp_targetILNS1_3genE2ELNS1_11target_archE906ELNS1_3gpuE6ELNS1_3repE0EEENS1_30default_config_static_selectorELNS0_4arch9wavefront6targetE1EEEvT1_: ; @_ZN7rocprim17ROCPRIM_400000_NS6detail17trampoline_kernelINS0_14default_configENS1_27scan_by_key_config_selectorIiiEEZZNS1_16scan_by_key_implILNS1_25lookback_scan_determinismE0ELb0ES3_N6thrust23THRUST_200600_302600_NS6detail15normal_iteratorINS9_10device_ptrIiEEEESE_SE_iNS9_4plusIiEE19head_flag_predicateiEE10hipError_tPvRmT2_T3_T4_T5_mT6_T7_P12ihipStream_tbENKUlT_T0_E_clISt17integral_constantIbLb0EESX_IbLb1EEEEDaST_SU_EUlST_E_NS1_11comp_targetILNS1_3genE2ELNS1_11target_archE906ELNS1_3gpuE6ELNS1_3repE0EEENS1_30default_config_static_selectorELNS0_4arch9wavefront6targetE1EEEvT1_
; %bb.0:
	.section	.rodata,"a",@progbits
	.p2align	6, 0x0
	.amdhsa_kernel _ZN7rocprim17ROCPRIM_400000_NS6detail17trampoline_kernelINS0_14default_configENS1_27scan_by_key_config_selectorIiiEEZZNS1_16scan_by_key_implILNS1_25lookback_scan_determinismE0ELb0ES3_N6thrust23THRUST_200600_302600_NS6detail15normal_iteratorINS9_10device_ptrIiEEEESE_SE_iNS9_4plusIiEE19head_flag_predicateiEE10hipError_tPvRmT2_T3_T4_T5_mT6_T7_P12ihipStream_tbENKUlT_T0_E_clISt17integral_constantIbLb0EESX_IbLb1EEEEDaST_SU_EUlST_E_NS1_11comp_targetILNS1_3genE2ELNS1_11target_archE906ELNS1_3gpuE6ELNS1_3repE0EEENS1_30default_config_static_selectorELNS0_4arch9wavefront6targetE1EEEvT1_
		.amdhsa_group_segment_fixed_size 0
		.amdhsa_private_segment_fixed_size 0
		.amdhsa_kernarg_size 112
		.amdhsa_user_sgpr_count 6
		.amdhsa_user_sgpr_private_segment_buffer 1
		.amdhsa_user_sgpr_dispatch_ptr 0
		.amdhsa_user_sgpr_queue_ptr 0
		.amdhsa_user_sgpr_kernarg_segment_ptr 1
		.amdhsa_user_sgpr_dispatch_id 0
		.amdhsa_user_sgpr_flat_scratch_init 0
		.amdhsa_user_sgpr_kernarg_preload_length 0
		.amdhsa_user_sgpr_kernarg_preload_offset 0
		.amdhsa_user_sgpr_private_segment_size 0
		.amdhsa_uses_dynamic_stack 0
		.amdhsa_system_sgpr_private_segment_wavefront_offset 0
		.amdhsa_system_sgpr_workgroup_id_x 1
		.amdhsa_system_sgpr_workgroup_id_y 0
		.amdhsa_system_sgpr_workgroup_id_z 0
		.amdhsa_system_sgpr_workgroup_info 0
		.amdhsa_system_vgpr_workitem_id 0
		.amdhsa_next_free_vgpr 1
		.amdhsa_next_free_sgpr 0
		.amdhsa_accum_offset 4
		.amdhsa_reserve_vcc 0
		.amdhsa_reserve_flat_scratch 0
		.amdhsa_float_round_mode_32 0
		.amdhsa_float_round_mode_16_64 0
		.amdhsa_float_denorm_mode_32 3
		.amdhsa_float_denorm_mode_16_64 3
		.amdhsa_dx10_clamp 1
		.amdhsa_ieee_mode 1
		.amdhsa_fp16_overflow 0
		.amdhsa_tg_split 0
		.amdhsa_exception_fp_ieee_invalid_op 0
		.amdhsa_exception_fp_denorm_src 0
		.amdhsa_exception_fp_ieee_div_zero 0
		.amdhsa_exception_fp_ieee_overflow 0
		.amdhsa_exception_fp_ieee_underflow 0
		.amdhsa_exception_fp_ieee_inexact 0
		.amdhsa_exception_int_div_zero 0
	.end_amdhsa_kernel
	.section	.text._ZN7rocprim17ROCPRIM_400000_NS6detail17trampoline_kernelINS0_14default_configENS1_27scan_by_key_config_selectorIiiEEZZNS1_16scan_by_key_implILNS1_25lookback_scan_determinismE0ELb0ES3_N6thrust23THRUST_200600_302600_NS6detail15normal_iteratorINS9_10device_ptrIiEEEESE_SE_iNS9_4plusIiEE19head_flag_predicateiEE10hipError_tPvRmT2_T3_T4_T5_mT6_T7_P12ihipStream_tbENKUlT_T0_E_clISt17integral_constantIbLb0EESX_IbLb1EEEEDaST_SU_EUlST_E_NS1_11comp_targetILNS1_3genE2ELNS1_11target_archE906ELNS1_3gpuE6ELNS1_3repE0EEENS1_30default_config_static_selectorELNS0_4arch9wavefront6targetE1EEEvT1_,"axG",@progbits,_ZN7rocprim17ROCPRIM_400000_NS6detail17trampoline_kernelINS0_14default_configENS1_27scan_by_key_config_selectorIiiEEZZNS1_16scan_by_key_implILNS1_25lookback_scan_determinismE0ELb0ES3_N6thrust23THRUST_200600_302600_NS6detail15normal_iteratorINS9_10device_ptrIiEEEESE_SE_iNS9_4plusIiEE19head_flag_predicateiEE10hipError_tPvRmT2_T3_T4_T5_mT6_T7_P12ihipStream_tbENKUlT_T0_E_clISt17integral_constantIbLb0EESX_IbLb1EEEEDaST_SU_EUlST_E_NS1_11comp_targetILNS1_3genE2ELNS1_11target_archE906ELNS1_3gpuE6ELNS1_3repE0EEENS1_30default_config_static_selectorELNS0_4arch9wavefront6targetE1EEEvT1_,comdat
.Lfunc_end781:
	.size	_ZN7rocprim17ROCPRIM_400000_NS6detail17trampoline_kernelINS0_14default_configENS1_27scan_by_key_config_selectorIiiEEZZNS1_16scan_by_key_implILNS1_25lookback_scan_determinismE0ELb0ES3_N6thrust23THRUST_200600_302600_NS6detail15normal_iteratorINS9_10device_ptrIiEEEESE_SE_iNS9_4plusIiEE19head_flag_predicateiEE10hipError_tPvRmT2_T3_T4_T5_mT6_T7_P12ihipStream_tbENKUlT_T0_E_clISt17integral_constantIbLb0EESX_IbLb1EEEEDaST_SU_EUlST_E_NS1_11comp_targetILNS1_3genE2ELNS1_11target_archE906ELNS1_3gpuE6ELNS1_3repE0EEENS1_30default_config_static_selectorELNS0_4arch9wavefront6targetE1EEEvT1_, .Lfunc_end781-_ZN7rocprim17ROCPRIM_400000_NS6detail17trampoline_kernelINS0_14default_configENS1_27scan_by_key_config_selectorIiiEEZZNS1_16scan_by_key_implILNS1_25lookback_scan_determinismE0ELb0ES3_N6thrust23THRUST_200600_302600_NS6detail15normal_iteratorINS9_10device_ptrIiEEEESE_SE_iNS9_4plusIiEE19head_flag_predicateiEE10hipError_tPvRmT2_T3_T4_T5_mT6_T7_P12ihipStream_tbENKUlT_T0_E_clISt17integral_constantIbLb0EESX_IbLb1EEEEDaST_SU_EUlST_E_NS1_11comp_targetILNS1_3genE2ELNS1_11target_archE906ELNS1_3gpuE6ELNS1_3repE0EEENS1_30default_config_static_selectorELNS0_4arch9wavefront6targetE1EEEvT1_
                                        ; -- End function
	.section	.AMDGPU.csdata,"",@progbits
; Kernel info:
; codeLenInByte = 0
; NumSgprs: 4
; NumVgprs: 0
; NumAgprs: 0
; TotalNumVgprs: 0
; ScratchSize: 0
; MemoryBound: 0
; FloatMode: 240
; IeeeMode: 1
; LDSByteSize: 0 bytes/workgroup (compile time only)
; SGPRBlocks: 0
; VGPRBlocks: 0
; NumSGPRsForWavesPerEU: 4
; NumVGPRsForWavesPerEU: 1
; AccumOffset: 4
; Occupancy: 8
; WaveLimiterHint : 0
; COMPUTE_PGM_RSRC2:SCRATCH_EN: 0
; COMPUTE_PGM_RSRC2:USER_SGPR: 6
; COMPUTE_PGM_RSRC2:TRAP_HANDLER: 0
; COMPUTE_PGM_RSRC2:TGID_X_EN: 1
; COMPUTE_PGM_RSRC2:TGID_Y_EN: 0
; COMPUTE_PGM_RSRC2:TGID_Z_EN: 0
; COMPUTE_PGM_RSRC2:TIDIG_COMP_CNT: 0
; COMPUTE_PGM_RSRC3_GFX90A:ACCUM_OFFSET: 0
; COMPUTE_PGM_RSRC3_GFX90A:TG_SPLIT: 0
	.section	.text._ZN7rocprim17ROCPRIM_400000_NS6detail17trampoline_kernelINS0_14default_configENS1_27scan_by_key_config_selectorIiiEEZZNS1_16scan_by_key_implILNS1_25lookback_scan_determinismE0ELb0ES3_N6thrust23THRUST_200600_302600_NS6detail15normal_iteratorINS9_10device_ptrIiEEEESE_SE_iNS9_4plusIiEE19head_flag_predicateiEE10hipError_tPvRmT2_T3_T4_T5_mT6_T7_P12ihipStream_tbENKUlT_T0_E_clISt17integral_constantIbLb0EESX_IbLb1EEEEDaST_SU_EUlST_E_NS1_11comp_targetILNS1_3genE10ELNS1_11target_archE1200ELNS1_3gpuE4ELNS1_3repE0EEENS1_30default_config_static_selectorELNS0_4arch9wavefront6targetE1EEEvT1_,"axG",@progbits,_ZN7rocprim17ROCPRIM_400000_NS6detail17trampoline_kernelINS0_14default_configENS1_27scan_by_key_config_selectorIiiEEZZNS1_16scan_by_key_implILNS1_25lookback_scan_determinismE0ELb0ES3_N6thrust23THRUST_200600_302600_NS6detail15normal_iteratorINS9_10device_ptrIiEEEESE_SE_iNS9_4plusIiEE19head_flag_predicateiEE10hipError_tPvRmT2_T3_T4_T5_mT6_T7_P12ihipStream_tbENKUlT_T0_E_clISt17integral_constantIbLb0EESX_IbLb1EEEEDaST_SU_EUlST_E_NS1_11comp_targetILNS1_3genE10ELNS1_11target_archE1200ELNS1_3gpuE4ELNS1_3repE0EEENS1_30default_config_static_selectorELNS0_4arch9wavefront6targetE1EEEvT1_,comdat
	.protected	_ZN7rocprim17ROCPRIM_400000_NS6detail17trampoline_kernelINS0_14default_configENS1_27scan_by_key_config_selectorIiiEEZZNS1_16scan_by_key_implILNS1_25lookback_scan_determinismE0ELb0ES3_N6thrust23THRUST_200600_302600_NS6detail15normal_iteratorINS9_10device_ptrIiEEEESE_SE_iNS9_4plusIiEE19head_flag_predicateiEE10hipError_tPvRmT2_T3_T4_T5_mT6_T7_P12ihipStream_tbENKUlT_T0_E_clISt17integral_constantIbLb0EESX_IbLb1EEEEDaST_SU_EUlST_E_NS1_11comp_targetILNS1_3genE10ELNS1_11target_archE1200ELNS1_3gpuE4ELNS1_3repE0EEENS1_30default_config_static_selectorELNS0_4arch9wavefront6targetE1EEEvT1_ ; -- Begin function _ZN7rocprim17ROCPRIM_400000_NS6detail17trampoline_kernelINS0_14default_configENS1_27scan_by_key_config_selectorIiiEEZZNS1_16scan_by_key_implILNS1_25lookback_scan_determinismE0ELb0ES3_N6thrust23THRUST_200600_302600_NS6detail15normal_iteratorINS9_10device_ptrIiEEEESE_SE_iNS9_4plusIiEE19head_flag_predicateiEE10hipError_tPvRmT2_T3_T4_T5_mT6_T7_P12ihipStream_tbENKUlT_T0_E_clISt17integral_constantIbLb0EESX_IbLb1EEEEDaST_SU_EUlST_E_NS1_11comp_targetILNS1_3genE10ELNS1_11target_archE1200ELNS1_3gpuE4ELNS1_3repE0EEENS1_30default_config_static_selectorELNS0_4arch9wavefront6targetE1EEEvT1_
	.globl	_ZN7rocprim17ROCPRIM_400000_NS6detail17trampoline_kernelINS0_14default_configENS1_27scan_by_key_config_selectorIiiEEZZNS1_16scan_by_key_implILNS1_25lookback_scan_determinismE0ELb0ES3_N6thrust23THRUST_200600_302600_NS6detail15normal_iteratorINS9_10device_ptrIiEEEESE_SE_iNS9_4plusIiEE19head_flag_predicateiEE10hipError_tPvRmT2_T3_T4_T5_mT6_T7_P12ihipStream_tbENKUlT_T0_E_clISt17integral_constantIbLb0EESX_IbLb1EEEEDaST_SU_EUlST_E_NS1_11comp_targetILNS1_3genE10ELNS1_11target_archE1200ELNS1_3gpuE4ELNS1_3repE0EEENS1_30default_config_static_selectorELNS0_4arch9wavefront6targetE1EEEvT1_
	.p2align	8
	.type	_ZN7rocprim17ROCPRIM_400000_NS6detail17trampoline_kernelINS0_14default_configENS1_27scan_by_key_config_selectorIiiEEZZNS1_16scan_by_key_implILNS1_25lookback_scan_determinismE0ELb0ES3_N6thrust23THRUST_200600_302600_NS6detail15normal_iteratorINS9_10device_ptrIiEEEESE_SE_iNS9_4plusIiEE19head_flag_predicateiEE10hipError_tPvRmT2_T3_T4_T5_mT6_T7_P12ihipStream_tbENKUlT_T0_E_clISt17integral_constantIbLb0EESX_IbLb1EEEEDaST_SU_EUlST_E_NS1_11comp_targetILNS1_3genE10ELNS1_11target_archE1200ELNS1_3gpuE4ELNS1_3repE0EEENS1_30default_config_static_selectorELNS0_4arch9wavefront6targetE1EEEvT1_,@function
_ZN7rocprim17ROCPRIM_400000_NS6detail17trampoline_kernelINS0_14default_configENS1_27scan_by_key_config_selectorIiiEEZZNS1_16scan_by_key_implILNS1_25lookback_scan_determinismE0ELb0ES3_N6thrust23THRUST_200600_302600_NS6detail15normal_iteratorINS9_10device_ptrIiEEEESE_SE_iNS9_4plusIiEE19head_flag_predicateiEE10hipError_tPvRmT2_T3_T4_T5_mT6_T7_P12ihipStream_tbENKUlT_T0_E_clISt17integral_constantIbLb0EESX_IbLb1EEEEDaST_SU_EUlST_E_NS1_11comp_targetILNS1_3genE10ELNS1_11target_archE1200ELNS1_3gpuE4ELNS1_3repE0EEENS1_30default_config_static_selectorELNS0_4arch9wavefront6targetE1EEEvT1_: ; @_ZN7rocprim17ROCPRIM_400000_NS6detail17trampoline_kernelINS0_14default_configENS1_27scan_by_key_config_selectorIiiEEZZNS1_16scan_by_key_implILNS1_25lookback_scan_determinismE0ELb0ES3_N6thrust23THRUST_200600_302600_NS6detail15normal_iteratorINS9_10device_ptrIiEEEESE_SE_iNS9_4plusIiEE19head_flag_predicateiEE10hipError_tPvRmT2_T3_T4_T5_mT6_T7_P12ihipStream_tbENKUlT_T0_E_clISt17integral_constantIbLb0EESX_IbLb1EEEEDaST_SU_EUlST_E_NS1_11comp_targetILNS1_3genE10ELNS1_11target_archE1200ELNS1_3gpuE4ELNS1_3repE0EEENS1_30default_config_static_selectorELNS0_4arch9wavefront6targetE1EEEvT1_
; %bb.0:
	.section	.rodata,"a",@progbits
	.p2align	6, 0x0
	.amdhsa_kernel _ZN7rocprim17ROCPRIM_400000_NS6detail17trampoline_kernelINS0_14default_configENS1_27scan_by_key_config_selectorIiiEEZZNS1_16scan_by_key_implILNS1_25lookback_scan_determinismE0ELb0ES3_N6thrust23THRUST_200600_302600_NS6detail15normal_iteratorINS9_10device_ptrIiEEEESE_SE_iNS9_4plusIiEE19head_flag_predicateiEE10hipError_tPvRmT2_T3_T4_T5_mT6_T7_P12ihipStream_tbENKUlT_T0_E_clISt17integral_constantIbLb0EESX_IbLb1EEEEDaST_SU_EUlST_E_NS1_11comp_targetILNS1_3genE10ELNS1_11target_archE1200ELNS1_3gpuE4ELNS1_3repE0EEENS1_30default_config_static_selectorELNS0_4arch9wavefront6targetE1EEEvT1_
		.amdhsa_group_segment_fixed_size 0
		.amdhsa_private_segment_fixed_size 0
		.amdhsa_kernarg_size 112
		.amdhsa_user_sgpr_count 6
		.amdhsa_user_sgpr_private_segment_buffer 1
		.amdhsa_user_sgpr_dispatch_ptr 0
		.amdhsa_user_sgpr_queue_ptr 0
		.amdhsa_user_sgpr_kernarg_segment_ptr 1
		.amdhsa_user_sgpr_dispatch_id 0
		.amdhsa_user_sgpr_flat_scratch_init 0
		.amdhsa_user_sgpr_kernarg_preload_length 0
		.amdhsa_user_sgpr_kernarg_preload_offset 0
		.amdhsa_user_sgpr_private_segment_size 0
		.amdhsa_uses_dynamic_stack 0
		.amdhsa_system_sgpr_private_segment_wavefront_offset 0
		.amdhsa_system_sgpr_workgroup_id_x 1
		.amdhsa_system_sgpr_workgroup_id_y 0
		.amdhsa_system_sgpr_workgroup_id_z 0
		.amdhsa_system_sgpr_workgroup_info 0
		.amdhsa_system_vgpr_workitem_id 0
		.amdhsa_next_free_vgpr 1
		.amdhsa_next_free_sgpr 0
		.amdhsa_accum_offset 4
		.amdhsa_reserve_vcc 0
		.amdhsa_reserve_flat_scratch 0
		.amdhsa_float_round_mode_32 0
		.amdhsa_float_round_mode_16_64 0
		.amdhsa_float_denorm_mode_32 3
		.amdhsa_float_denorm_mode_16_64 3
		.amdhsa_dx10_clamp 1
		.amdhsa_ieee_mode 1
		.amdhsa_fp16_overflow 0
		.amdhsa_tg_split 0
		.amdhsa_exception_fp_ieee_invalid_op 0
		.amdhsa_exception_fp_denorm_src 0
		.amdhsa_exception_fp_ieee_div_zero 0
		.amdhsa_exception_fp_ieee_overflow 0
		.amdhsa_exception_fp_ieee_underflow 0
		.amdhsa_exception_fp_ieee_inexact 0
		.amdhsa_exception_int_div_zero 0
	.end_amdhsa_kernel
	.section	.text._ZN7rocprim17ROCPRIM_400000_NS6detail17trampoline_kernelINS0_14default_configENS1_27scan_by_key_config_selectorIiiEEZZNS1_16scan_by_key_implILNS1_25lookback_scan_determinismE0ELb0ES3_N6thrust23THRUST_200600_302600_NS6detail15normal_iteratorINS9_10device_ptrIiEEEESE_SE_iNS9_4plusIiEE19head_flag_predicateiEE10hipError_tPvRmT2_T3_T4_T5_mT6_T7_P12ihipStream_tbENKUlT_T0_E_clISt17integral_constantIbLb0EESX_IbLb1EEEEDaST_SU_EUlST_E_NS1_11comp_targetILNS1_3genE10ELNS1_11target_archE1200ELNS1_3gpuE4ELNS1_3repE0EEENS1_30default_config_static_selectorELNS0_4arch9wavefront6targetE1EEEvT1_,"axG",@progbits,_ZN7rocprim17ROCPRIM_400000_NS6detail17trampoline_kernelINS0_14default_configENS1_27scan_by_key_config_selectorIiiEEZZNS1_16scan_by_key_implILNS1_25lookback_scan_determinismE0ELb0ES3_N6thrust23THRUST_200600_302600_NS6detail15normal_iteratorINS9_10device_ptrIiEEEESE_SE_iNS9_4plusIiEE19head_flag_predicateiEE10hipError_tPvRmT2_T3_T4_T5_mT6_T7_P12ihipStream_tbENKUlT_T0_E_clISt17integral_constantIbLb0EESX_IbLb1EEEEDaST_SU_EUlST_E_NS1_11comp_targetILNS1_3genE10ELNS1_11target_archE1200ELNS1_3gpuE4ELNS1_3repE0EEENS1_30default_config_static_selectorELNS0_4arch9wavefront6targetE1EEEvT1_,comdat
.Lfunc_end782:
	.size	_ZN7rocprim17ROCPRIM_400000_NS6detail17trampoline_kernelINS0_14default_configENS1_27scan_by_key_config_selectorIiiEEZZNS1_16scan_by_key_implILNS1_25lookback_scan_determinismE0ELb0ES3_N6thrust23THRUST_200600_302600_NS6detail15normal_iteratorINS9_10device_ptrIiEEEESE_SE_iNS9_4plusIiEE19head_flag_predicateiEE10hipError_tPvRmT2_T3_T4_T5_mT6_T7_P12ihipStream_tbENKUlT_T0_E_clISt17integral_constantIbLb0EESX_IbLb1EEEEDaST_SU_EUlST_E_NS1_11comp_targetILNS1_3genE10ELNS1_11target_archE1200ELNS1_3gpuE4ELNS1_3repE0EEENS1_30default_config_static_selectorELNS0_4arch9wavefront6targetE1EEEvT1_, .Lfunc_end782-_ZN7rocprim17ROCPRIM_400000_NS6detail17trampoline_kernelINS0_14default_configENS1_27scan_by_key_config_selectorIiiEEZZNS1_16scan_by_key_implILNS1_25lookback_scan_determinismE0ELb0ES3_N6thrust23THRUST_200600_302600_NS6detail15normal_iteratorINS9_10device_ptrIiEEEESE_SE_iNS9_4plusIiEE19head_flag_predicateiEE10hipError_tPvRmT2_T3_T4_T5_mT6_T7_P12ihipStream_tbENKUlT_T0_E_clISt17integral_constantIbLb0EESX_IbLb1EEEEDaST_SU_EUlST_E_NS1_11comp_targetILNS1_3genE10ELNS1_11target_archE1200ELNS1_3gpuE4ELNS1_3repE0EEENS1_30default_config_static_selectorELNS0_4arch9wavefront6targetE1EEEvT1_
                                        ; -- End function
	.section	.AMDGPU.csdata,"",@progbits
; Kernel info:
; codeLenInByte = 0
; NumSgprs: 4
; NumVgprs: 0
; NumAgprs: 0
; TotalNumVgprs: 0
; ScratchSize: 0
; MemoryBound: 0
; FloatMode: 240
; IeeeMode: 1
; LDSByteSize: 0 bytes/workgroup (compile time only)
; SGPRBlocks: 0
; VGPRBlocks: 0
; NumSGPRsForWavesPerEU: 4
; NumVGPRsForWavesPerEU: 1
; AccumOffset: 4
; Occupancy: 8
; WaveLimiterHint : 0
; COMPUTE_PGM_RSRC2:SCRATCH_EN: 0
; COMPUTE_PGM_RSRC2:USER_SGPR: 6
; COMPUTE_PGM_RSRC2:TRAP_HANDLER: 0
; COMPUTE_PGM_RSRC2:TGID_X_EN: 1
; COMPUTE_PGM_RSRC2:TGID_Y_EN: 0
; COMPUTE_PGM_RSRC2:TGID_Z_EN: 0
; COMPUTE_PGM_RSRC2:TIDIG_COMP_CNT: 0
; COMPUTE_PGM_RSRC3_GFX90A:ACCUM_OFFSET: 0
; COMPUTE_PGM_RSRC3_GFX90A:TG_SPLIT: 0
	.section	.text._ZN7rocprim17ROCPRIM_400000_NS6detail17trampoline_kernelINS0_14default_configENS1_27scan_by_key_config_selectorIiiEEZZNS1_16scan_by_key_implILNS1_25lookback_scan_determinismE0ELb0ES3_N6thrust23THRUST_200600_302600_NS6detail15normal_iteratorINS9_10device_ptrIiEEEESE_SE_iNS9_4plusIiEE19head_flag_predicateiEE10hipError_tPvRmT2_T3_T4_T5_mT6_T7_P12ihipStream_tbENKUlT_T0_E_clISt17integral_constantIbLb0EESX_IbLb1EEEEDaST_SU_EUlST_E_NS1_11comp_targetILNS1_3genE9ELNS1_11target_archE1100ELNS1_3gpuE3ELNS1_3repE0EEENS1_30default_config_static_selectorELNS0_4arch9wavefront6targetE1EEEvT1_,"axG",@progbits,_ZN7rocprim17ROCPRIM_400000_NS6detail17trampoline_kernelINS0_14default_configENS1_27scan_by_key_config_selectorIiiEEZZNS1_16scan_by_key_implILNS1_25lookback_scan_determinismE0ELb0ES3_N6thrust23THRUST_200600_302600_NS6detail15normal_iteratorINS9_10device_ptrIiEEEESE_SE_iNS9_4plusIiEE19head_flag_predicateiEE10hipError_tPvRmT2_T3_T4_T5_mT6_T7_P12ihipStream_tbENKUlT_T0_E_clISt17integral_constantIbLb0EESX_IbLb1EEEEDaST_SU_EUlST_E_NS1_11comp_targetILNS1_3genE9ELNS1_11target_archE1100ELNS1_3gpuE3ELNS1_3repE0EEENS1_30default_config_static_selectorELNS0_4arch9wavefront6targetE1EEEvT1_,comdat
	.protected	_ZN7rocprim17ROCPRIM_400000_NS6detail17trampoline_kernelINS0_14default_configENS1_27scan_by_key_config_selectorIiiEEZZNS1_16scan_by_key_implILNS1_25lookback_scan_determinismE0ELb0ES3_N6thrust23THRUST_200600_302600_NS6detail15normal_iteratorINS9_10device_ptrIiEEEESE_SE_iNS9_4plusIiEE19head_flag_predicateiEE10hipError_tPvRmT2_T3_T4_T5_mT6_T7_P12ihipStream_tbENKUlT_T0_E_clISt17integral_constantIbLb0EESX_IbLb1EEEEDaST_SU_EUlST_E_NS1_11comp_targetILNS1_3genE9ELNS1_11target_archE1100ELNS1_3gpuE3ELNS1_3repE0EEENS1_30default_config_static_selectorELNS0_4arch9wavefront6targetE1EEEvT1_ ; -- Begin function _ZN7rocprim17ROCPRIM_400000_NS6detail17trampoline_kernelINS0_14default_configENS1_27scan_by_key_config_selectorIiiEEZZNS1_16scan_by_key_implILNS1_25lookback_scan_determinismE0ELb0ES3_N6thrust23THRUST_200600_302600_NS6detail15normal_iteratorINS9_10device_ptrIiEEEESE_SE_iNS9_4plusIiEE19head_flag_predicateiEE10hipError_tPvRmT2_T3_T4_T5_mT6_T7_P12ihipStream_tbENKUlT_T0_E_clISt17integral_constantIbLb0EESX_IbLb1EEEEDaST_SU_EUlST_E_NS1_11comp_targetILNS1_3genE9ELNS1_11target_archE1100ELNS1_3gpuE3ELNS1_3repE0EEENS1_30default_config_static_selectorELNS0_4arch9wavefront6targetE1EEEvT1_
	.globl	_ZN7rocprim17ROCPRIM_400000_NS6detail17trampoline_kernelINS0_14default_configENS1_27scan_by_key_config_selectorIiiEEZZNS1_16scan_by_key_implILNS1_25lookback_scan_determinismE0ELb0ES3_N6thrust23THRUST_200600_302600_NS6detail15normal_iteratorINS9_10device_ptrIiEEEESE_SE_iNS9_4plusIiEE19head_flag_predicateiEE10hipError_tPvRmT2_T3_T4_T5_mT6_T7_P12ihipStream_tbENKUlT_T0_E_clISt17integral_constantIbLb0EESX_IbLb1EEEEDaST_SU_EUlST_E_NS1_11comp_targetILNS1_3genE9ELNS1_11target_archE1100ELNS1_3gpuE3ELNS1_3repE0EEENS1_30default_config_static_selectorELNS0_4arch9wavefront6targetE1EEEvT1_
	.p2align	8
	.type	_ZN7rocprim17ROCPRIM_400000_NS6detail17trampoline_kernelINS0_14default_configENS1_27scan_by_key_config_selectorIiiEEZZNS1_16scan_by_key_implILNS1_25lookback_scan_determinismE0ELb0ES3_N6thrust23THRUST_200600_302600_NS6detail15normal_iteratorINS9_10device_ptrIiEEEESE_SE_iNS9_4plusIiEE19head_flag_predicateiEE10hipError_tPvRmT2_T3_T4_T5_mT6_T7_P12ihipStream_tbENKUlT_T0_E_clISt17integral_constantIbLb0EESX_IbLb1EEEEDaST_SU_EUlST_E_NS1_11comp_targetILNS1_3genE9ELNS1_11target_archE1100ELNS1_3gpuE3ELNS1_3repE0EEENS1_30default_config_static_selectorELNS0_4arch9wavefront6targetE1EEEvT1_,@function
_ZN7rocprim17ROCPRIM_400000_NS6detail17trampoline_kernelINS0_14default_configENS1_27scan_by_key_config_selectorIiiEEZZNS1_16scan_by_key_implILNS1_25lookback_scan_determinismE0ELb0ES3_N6thrust23THRUST_200600_302600_NS6detail15normal_iteratorINS9_10device_ptrIiEEEESE_SE_iNS9_4plusIiEE19head_flag_predicateiEE10hipError_tPvRmT2_T3_T4_T5_mT6_T7_P12ihipStream_tbENKUlT_T0_E_clISt17integral_constantIbLb0EESX_IbLb1EEEEDaST_SU_EUlST_E_NS1_11comp_targetILNS1_3genE9ELNS1_11target_archE1100ELNS1_3gpuE3ELNS1_3repE0EEENS1_30default_config_static_selectorELNS0_4arch9wavefront6targetE1EEEvT1_: ; @_ZN7rocprim17ROCPRIM_400000_NS6detail17trampoline_kernelINS0_14default_configENS1_27scan_by_key_config_selectorIiiEEZZNS1_16scan_by_key_implILNS1_25lookback_scan_determinismE0ELb0ES3_N6thrust23THRUST_200600_302600_NS6detail15normal_iteratorINS9_10device_ptrIiEEEESE_SE_iNS9_4plusIiEE19head_flag_predicateiEE10hipError_tPvRmT2_T3_T4_T5_mT6_T7_P12ihipStream_tbENKUlT_T0_E_clISt17integral_constantIbLb0EESX_IbLb1EEEEDaST_SU_EUlST_E_NS1_11comp_targetILNS1_3genE9ELNS1_11target_archE1100ELNS1_3gpuE3ELNS1_3repE0EEENS1_30default_config_static_selectorELNS0_4arch9wavefront6targetE1EEEvT1_
; %bb.0:
	.section	.rodata,"a",@progbits
	.p2align	6, 0x0
	.amdhsa_kernel _ZN7rocprim17ROCPRIM_400000_NS6detail17trampoline_kernelINS0_14default_configENS1_27scan_by_key_config_selectorIiiEEZZNS1_16scan_by_key_implILNS1_25lookback_scan_determinismE0ELb0ES3_N6thrust23THRUST_200600_302600_NS6detail15normal_iteratorINS9_10device_ptrIiEEEESE_SE_iNS9_4plusIiEE19head_flag_predicateiEE10hipError_tPvRmT2_T3_T4_T5_mT6_T7_P12ihipStream_tbENKUlT_T0_E_clISt17integral_constantIbLb0EESX_IbLb1EEEEDaST_SU_EUlST_E_NS1_11comp_targetILNS1_3genE9ELNS1_11target_archE1100ELNS1_3gpuE3ELNS1_3repE0EEENS1_30default_config_static_selectorELNS0_4arch9wavefront6targetE1EEEvT1_
		.amdhsa_group_segment_fixed_size 0
		.amdhsa_private_segment_fixed_size 0
		.amdhsa_kernarg_size 112
		.amdhsa_user_sgpr_count 6
		.amdhsa_user_sgpr_private_segment_buffer 1
		.amdhsa_user_sgpr_dispatch_ptr 0
		.amdhsa_user_sgpr_queue_ptr 0
		.amdhsa_user_sgpr_kernarg_segment_ptr 1
		.amdhsa_user_sgpr_dispatch_id 0
		.amdhsa_user_sgpr_flat_scratch_init 0
		.amdhsa_user_sgpr_kernarg_preload_length 0
		.amdhsa_user_sgpr_kernarg_preload_offset 0
		.amdhsa_user_sgpr_private_segment_size 0
		.amdhsa_uses_dynamic_stack 0
		.amdhsa_system_sgpr_private_segment_wavefront_offset 0
		.amdhsa_system_sgpr_workgroup_id_x 1
		.amdhsa_system_sgpr_workgroup_id_y 0
		.amdhsa_system_sgpr_workgroup_id_z 0
		.amdhsa_system_sgpr_workgroup_info 0
		.amdhsa_system_vgpr_workitem_id 0
		.amdhsa_next_free_vgpr 1
		.amdhsa_next_free_sgpr 0
		.amdhsa_accum_offset 4
		.amdhsa_reserve_vcc 0
		.amdhsa_reserve_flat_scratch 0
		.amdhsa_float_round_mode_32 0
		.amdhsa_float_round_mode_16_64 0
		.amdhsa_float_denorm_mode_32 3
		.amdhsa_float_denorm_mode_16_64 3
		.amdhsa_dx10_clamp 1
		.amdhsa_ieee_mode 1
		.amdhsa_fp16_overflow 0
		.amdhsa_tg_split 0
		.amdhsa_exception_fp_ieee_invalid_op 0
		.amdhsa_exception_fp_denorm_src 0
		.amdhsa_exception_fp_ieee_div_zero 0
		.amdhsa_exception_fp_ieee_overflow 0
		.amdhsa_exception_fp_ieee_underflow 0
		.amdhsa_exception_fp_ieee_inexact 0
		.amdhsa_exception_int_div_zero 0
	.end_amdhsa_kernel
	.section	.text._ZN7rocprim17ROCPRIM_400000_NS6detail17trampoline_kernelINS0_14default_configENS1_27scan_by_key_config_selectorIiiEEZZNS1_16scan_by_key_implILNS1_25lookback_scan_determinismE0ELb0ES3_N6thrust23THRUST_200600_302600_NS6detail15normal_iteratorINS9_10device_ptrIiEEEESE_SE_iNS9_4plusIiEE19head_flag_predicateiEE10hipError_tPvRmT2_T3_T4_T5_mT6_T7_P12ihipStream_tbENKUlT_T0_E_clISt17integral_constantIbLb0EESX_IbLb1EEEEDaST_SU_EUlST_E_NS1_11comp_targetILNS1_3genE9ELNS1_11target_archE1100ELNS1_3gpuE3ELNS1_3repE0EEENS1_30default_config_static_selectorELNS0_4arch9wavefront6targetE1EEEvT1_,"axG",@progbits,_ZN7rocprim17ROCPRIM_400000_NS6detail17trampoline_kernelINS0_14default_configENS1_27scan_by_key_config_selectorIiiEEZZNS1_16scan_by_key_implILNS1_25lookback_scan_determinismE0ELb0ES3_N6thrust23THRUST_200600_302600_NS6detail15normal_iteratorINS9_10device_ptrIiEEEESE_SE_iNS9_4plusIiEE19head_flag_predicateiEE10hipError_tPvRmT2_T3_T4_T5_mT6_T7_P12ihipStream_tbENKUlT_T0_E_clISt17integral_constantIbLb0EESX_IbLb1EEEEDaST_SU_EUlST_E_NS1_11comp_targetILNS1_3genE9ELNS1_11target_archE1100ELNS1_3gpuE3ELNS1_3repE0EEENS1_30default_config_static_selectorELNS0_4arch9wavefront6targetE1EEEvT1_,comdat
.Lfunc_end783:
	.size	_ZN7rocprim17ROCPRIM_400000_NS6detail17trampoline_kernelINS0_14default_configENS1_27scan_by_key_config_selectorIiiEEZZNS1_16scan_by_key_implILNS1_25lookback_scan_determinismE0ELb0ES3_N6thrust23THRUST_200600_302600_NS6detail15normal_iteratorINS9_10device_ptrIiEEEESE_SE_iNS9_4plusIiEE19head_flag_predicateiEE10hipError_tPvRmT2_T3_T4_T5_mT6_T7_P12ihipStream_tbENKUlT_T0_E_clISt17integral_constantIbLb0EESX_IbLb1EEEEDaST_SU_EUlST_E_NS1_11comp_targetILNS1_3genE9ELNS1_11target_archE1100ELNS1_3gpuE3ELNS1_3repE0EEENS1_30default_config_static_selectorELNS0_4arch9wavefront6targetE1EEEvT1_, .Lfunc_end783-_ZN7rocprim17ROCPRIM_400000_NS6detail17trampoline_kernelINS0_14default_configENS1_27scan_by_key_config_selectorIiiEEZZNS1_16scan_by_key_implILNS1_25lookback_scan_determinismE0ELb0ES3_N6thrust23THRUST_200600_302600_NS6detail15normal_iteratorINS9_10device_ptrIiEEEESE_SE_iNS9_4plusIiEE19head_flag_predicateiEE10hipError_tPvRmT2_T3_T4_T5_mT6_T7_P12ihipStream_tbENKUlT_T0_E_clISt17integral_constantIbLb0EESX_IbLb1EEEEDaST_SU_EUlST_E_NS1_11comp_targetILNS1_3genE9ELNS1_11target_archE1100ELNS1_3gpuE3ELNS1_3repE0EEENS1_30default_config_static_selectorELNS0_4arch9wavefront6targetE1EEEvT1_
                                        ; -- End function
	.section	.AMDGPU.csdata,"",@progbits
; Kernel info:
; codeLenInByte = 0
; NumSgprs: 4
; NumVgprs: 0
; NumAgprs: 0
; TotalNumVgprs: 0
; ScratchSize: 0
; MemoryBound: 0
; FloatMode: 240
; IeeeMode: 1
; LDSByteSize: 0 bytes/workgroup (compile time only)
; SGPRBlocks: 0
; VGPRBlocks: 0
; NumSGPRsForWavesPerEU: 4
; NumVGPRsForWavesPerEU: 1
; AccumOffset: 4
; Occupancy: 8
; WaveLimiterHint : 0
; COMPUTE_PGM_RSRC2:SCRATCH_EN: 0
; COMPUTE_PGM_RSRC2:USER_SGPR: 6
; COMPUTE_PGM_RSRC2:TRAP_HANDLER: 0
; COMPUTE_PGM_RSRC2:TGID_X_EN: 1
; COMPUTE_PGM_RSRC2:TGID_Y_EN: 0
; COMPUTE_PGM_RSRC2:TGID_Z_EN: 0
; COMPUTE_PGM_RSRC2:TIDIG_COMP_CNT: 0
; COMPUTE_PGM_RSRC3_GFX90A:ACCUM_OFFSET: 0
; COMPUTE_PGM_RSRC3_GFX90A:TG_SPLIT: 0
	.section	.text._ZN7rocprim17ROCPRIM_400000_NS6detail17trampoline_kernelINS0_14default_configENS1_27scan_by_key_config_selectorIiiEEZZNS1_16scan_by_key_implILNS1_25lookback_scan_determinismE0ELb0ES3_N6thrust23THRUST_200600_302600_NS6detail15normal_iteratorINS9_10device_ptrIiEEEESE_SE_iNS9_4plusIiEE19head_flag_predicateiEE10hipError_tPvRmT2_T3_T4_T5_mT6_T7_P12ihipStream_tbENKUlT_T0_E_clISt17integral_constantIbLb0EESX_IbLb1EEEEDaST_SU_EUlST_E_NS1_11comp_targetILNS1_3genE8ELNS1_11target_archE1030ELNS1_3gpuE2ELNS1_3repE0EEENS1_30default_config_static_selectorELNS0_4arch9wavefront6targetE1EEEvT1_,"axG",@progbits,_ZN7rocprim17ROCPRIM_400000_NS6detail17trampoline_kernelINS0_14default_configENS1_27scan_by_key_config_selectorIiiEEZZNS1_16scan_by_key_implILNS1_25lookback_scan_determinismE0ELb0ES3_N6thrust23THRUST_200600_302600_NS6detail15normal_iteratorINS9_10device_ptrIiEEEESE_SE_iNS9_4plusIiEE19head_flag_predicateiEE10hipError_tPvRmT2_T3_T4_T5_mT6_T7_P12ihipStream_tbENKUlT_T0_E_clISt17integral_constantIbLb0EESX_IbLb1EEEEDaST_SU_EUlST_E_NS1_11comp_targetILNS1_3genE8ELNS1_11target_archE1030ELNS1_3gpuE2ELNS1_3repE0EEENS1_30default_config_static_selectorELNS0_4arch9wavefront6targetE1EEEvT1_,comdat
	.protected	_ZN7rocprim17ROCPRIM_400000_NS6detail17trampoline_kernelINS0_14default_configENS1_27scan_by_key_config_selectorIiiEEZZNS1_16scan_by_key_implILNS1_25lookback_scan_determinismE0ELb0ES3_N6thrust23THRUST_200600_302600_NS6detail15normal_iteratorINS9_10device_ptrIiEEEESE_SE_iNS9_4plusIiEE19head_flag_predicateiEE10hipError_tPvRmT2_T3_T4_T5_mT6_T7_P12ihipStream_tbENKUlT_T0_E_clISt17integral_constantIbLb0EESX_IbLb1EEEEDaST_SU_EUlST_E_NS1_11comp_targetILNS1_3genE8ELNS1_11target_archE1030ELNS1_3gpuE2ELNS1_3repE0EEENS1_30default_config_static_selectorELNS0_4arch9wavefront6targetE1EEEvT1_ ; -- Begin function _ZN7rocprim17ROCPRIM_400000_NS6detail17trampoline_kernelINS0_14default_configENS1_27scan_by_key_config_selectorIiiEEZZNS1_16scan_by_key_implILNS1_25lookback_scan_determinismE0ELb0ES3_N6thrust23THRUST_200600_302600_NS6detail15normal_iteratorINS9_10device_ptrIiEEEESE_SE_iNS9_4plusIiEE19head_flag_predicateiEE10hipError_tPvRmT2_T3_T4_T5_mT6_T7_P12ihipStream_tbENKUlT_T0_E_clISt17integral_constantIbLb0EESX_IbLb1EEEEDaST_SU_EUlST_E_NS1_11comp_targetILNS1_3genE8ELNS1_11target_archE1030ELNS1_3gpuE2ELNS1_3repE0EEENS1_30default_config_static_selectorELNS0_4arch9wavefront6targetE1EEEvT1_
	.globl	_ZN7rocprim17ROCPRIM_400000_NS6detail17trampoline_kernelINS0_14default_configENS1_27scan_by_key_config_selectorIiiEEZZNS1_16scan_by_key_implILNS1_25lookback_scan_determinismE0ELb0ES3_N6thrust23THRUST_200600_302600_NS6detail15normal_iteratorINS9_10device_ptrIiEEEESE_SE_iNS9_4plusIiEE19head_flag_predicateiEE10hipError_tPvRmT2_T3_T4_T5_mT6_T7_P12ihipStream_tbENKUlT_T0_E_clISt17integral_constantIbLb0EESX_IbLb1EEEEDaST_SU_EUlST_E_NS1_11comp_targetILNS1_3genE8ELNS1_11target_archE1030ELNS1_3gpuE2ELNS1_3repE0EEENS1_30default_config_static_selectorELNS0_4arch9wavefront6targetE1EEEvT1_
	.p2align	8
	.type	_ZN7rocprim17ROCPRIM_400000_NS6detail17trampoline_kernelINS0_14default_configENS1_27scan_by_key_config_selectorIiiEEZZNS1_16scan_by_key_implILNS1_25lookback_scan_determinismE0ELb0ES3_N6thrust23THRUST_200600_302600_NS6detail15normal_iteratorINS9_10device_ptrIiEEEESE_SE_iNS9_4plusIiEE19head_flag_predicateiEE10hipError_tPvRmT2_T3_T4_T5_mT6_T7_P12ihipStream_tbENKUlT_T0_E_clISt17integral_constantIbLb0EESX_IbLb1EEEEDaST_SU_EUlST_E_NS1_11comp_targetILNS1_3genE8ELNS1_11target_archE1030ELNS1_3gpuE2ELNS1_3repE0EEENS1_30default_config_static_selectorELNS0_4arch9wavefront6targetE1EEEvT1_,@function
_ZN7rocprim17ROCPRIM_400000_NS6detail17trampoline_kernelINS0_14default_configENS1_27scan_by_key_config_selectorIiiEEZZNS1_16scan_by_key_implILNS1_25lookback_scan_determinismE0ELb0ES3_N6thrust23THRUST_200600_302600_NS6detail15normal_iteratorINS9_10device_ptrIiEEEESE_SE_iNS9_4plusIiEE19head_flag_predicateiEE10hipError_tPvRmT2_T3_T4_T5_mT6_T7_P12ihipStream_tbENKUlT_T0_E_clISt17integral_constantIbLb0EESX_IbLb1EEEEDaST_SU_EUlST_E_NS1_11comp_targetILNS1_3genE8ELNS1_11target_archE1030ELNS1_3gpuE2ELNS1_3repE0EEENS1_30default_config_static_selectorELNS0_4arch9wavefront6targetE1EEEvT1_: ; @_ZN7rocprim17ROCPRIM_400000_NS6detail17trampoline_kernelINS0_14default_configENS1_27scan_by_key_config_selectorIiiEEZZNS1_16scan_by_key_implILNS1_25lookback_scan_determinismE0ELb0ES3_N6thrust23THRUST_200600_302600_NS6detail15normal_iteratorINS9_10device_ptrIiEEEESE_SE_iNS9_4plusIiEE19head_flag_predicateiEE10hipError_tPvRmT2_T3_T4_T5_mT6_T7_P12ihipStream_tbENKUlT_T0_E_clISt17integral_constantIbLb0EESX_IbLb1EEEEDaST_SU_EUlST_E_NS1_11comp_targetILNS1_3genE8ELNS1_11target_archE1030ELNS1_3gpuE2ELNS1_3repE0EEENS1_30default_config_static_selectorELNS0_4arch9wavefront6targetE1EEEvT1_
; %bb.0:
	.section	.rodata,"a",@progbits
	.p2align	6, 0x0
	.amdhsa_kernel _ZN7rocprim17ROCPRIM_400000_NS6detail17trampoline_kernelINS0_14default_configENS1_27scan_by_key_config_selectorIiiEEZZNS1_16scan_by_key_implILNS1_25lookback_scan_determinismE0ELb0ES3_N6thrust23THRUST_200600_302600_NS6detail15normal_iteratorINS9_10device_ptrIiEEEESE_SE_iNS9_4plusIiEE19head_flag_predicateiEE10hipError_tPvRmT2_T3_T4_T5_mT6_T7_P12ihipStream_tbENKUlT_T0_E_clISt17integral_constantIbLb0EESX_IbLb1EEEEDaST_SU_EUlST_E_NS1_11comp_targetILNS1_3genE8ELNS1_11target_archE1030ELNS1_3gpuE2ELNS1_3repE0EEENS1_30default_config_static_selectorELNS0_4arch9wavefront6targetE1EEEvT1_
		.amdhsa_group_segment_fixed_size 0
		.amdhsa_private_segment_fixed_size 0
		.amdhsa_kernarg_size 112
		.amdhsa_user_sgpr_count 6
		.amdhsa_user_sgpr_private_segment_buffer 1
		.amdhsa_user_sgpr_dispatch_ptr 0
		.amdhsa_user_sgpr_queue_ptr 0
		.amdhsa_user_sgpr_kernarg_segment_ptr 1
		.amdhsa_user_sgpr_dispatch_id 0
		.amdhsa_user_sgpr_flat_scratch_init 0
		.amdhsa_user_sgpr_kernarg_preload_length 0
		.amdhsa_user_sgpr_kernarg_preload_offset 0
		.amdhsa_user_sgpr_private_segment_size 0
		.amdhsa_uses_dynamic_stack 0
		.amdhsa_system_sgpr_private_segment_wavefront_offset 0
		.amdhsa_system_sgpr_workgroup_id_x 1
		.amdhsa_system_sgpr_workgroup_id_y 0
		.amdhsa_system_sgpr_workgroup_id_z 0
		.amdhsa_system_sgpr_workgroup_info 0
		.amdhsa_system_vgpr_workitem_id 0
		.amdhsa_next_free_vgpr 1
		.amdhsa_next_free_sgpr 0
		.amdhsa_accum_offset 4
		.amdhsa_reserve_vcc 0
		.amdhsa_reserve_flat_scratch 0
		.amdhsa_float_round_mode_32 0
		.amdhsa_float_round_mode_16_64 0
		.amdhsa_float_denorm_mode_32 3
		.amdhsa_float_denorm_mode_16_64 3
		.amdhsa_dx10_clamp 1
		.amdhsa_ieee_mode 1
		.amdhsa_fp16_overflow 0
		.amdhsa_tg_split 0
		.amdhsa_exception_fp_ieee_invalid_op 0
		.amdhsa_exception_fp_denorm_src 0
		.amdhsa_exception_fp_ieee_div_zero 0
		.amdhsa_exception_fp_ieee_overflow 0
		.amdhsa_exception_fp_ieee_underflow 0
		.amdhsa_exception_fp_ieee_inexact 0
		.amdhsa_exception_int_div_zero 0
	.end_amdhsa_kernel
	.section	.text._ZN7rocprim17ROCPRIM_400000_NS6detail17trampoline_kernelINS0_14default_configENS1_27scan_by_key_config_selectorIiiEEZZNS1_16scan_by_key_implILNS1_25lookback_scan_determinismE0ELb0ES3_N6thrust23THRUST_200600_302600_NS6detail15normal_iteratorINS9_10device_ptrIiEEEESE_SE_iNS9_4plusIiEE19head_flag_predicateiEE10hipError_tPvRmT2_T3_T4_T5_mT6_T7_P12ihipStream_tbENKUlT_T0_E_clISt17integral_constantIbLb0EESX_IbLb1EEEEDaST_SU_EUlST_E_NS1_11comp_targetILNS1_3genE8ELNS1_11target_archE1030ELNS1_3gpuE2ELNS1_3repE0EEENS1_30default_config_static_selectorELNS0_4arch9wavefront6targetE1EEEvT1_,"axG",@progbits,_ZN7rocprim17ROCPRIM_400000_NS6detail17trampoline_kernelINS0_14default_configENS1_27scan_by_key_config_selectorIiiEEZZNS1_16scan_by_key_implILNS1_25lookback_scan_determinismE0ELb0ES3_N6thrust23THRUST_200600_302600_NS6detail15normal_iteratorINS9_10device_ptrIiEEEESE_SE_iNS9_4plusIiEE19head_flag_predicateiEE10hipError_tPvRmT2_T3_T4_T5_mT6_T7_P12ihipStream_tbENKUlT_T0_E_clISt17integral_constantIbLb0EESX_IbLb1EEEEDaST_SU_EUlST_E_NS1_11comp_targetILNS1_3genE8ELNS1_11target_archE1030ELNS1_3gpuE2ELNS1_3repE0EEENS1_30default_config_static_selectorELNS0_4arch9wavefront6targetE1EEEvT1_,comdat
.Lfunc_end784:
	.size	_ZN7rocprim17ROCPRIM_400000_NS6detail17trampoline_kernelINS0_14default_configENS1_27scan_by_key_config_selectorIiiEEZZNS1_16scan_by_key_implILNS1_25lookback_scan_determinismE0ELb0ES3_N6thrust23THRUST_200600_302600_NS6detail15normal_iteratorINS9_10device_ptrIiEEEESE_SE_iNS9_4plusIiEE19head_flag_predicateiEE10hipError_tPvRmT2_T3_T4_T5_mT6_T7_P12ihipStream_tbENKUlT_T0_E_clISt17integral_constantIbLb0EESX_IbLb1EEEEDaST_SU_EUlST_E_NS1_11comp_targetILNS1_3genE8ELNS1_11target_archE1030ELNS1_3gpuE2ELNS1_3repE0EEENS1_30default_config_static_selectorELNS0_4arch9wavefront6targetE1EEEvT1_, .Lfunc_end784-_ZN7rocprim17ROCPRIM_400000_NS6detail17trampoline_kernelINS0_14default_configENS1_27scan_by_key_config_selectorIiiEEZZNS1_16scan_by_key_implILNS1_25lookback_scan_determinismE0ELb0ES3_N6thrust23THRUST_200600_302600_NS6detail15normal_iteratorINS9_10device_ptrIiEEEESE_SE_iNS9_4plusIiEE19head_flag_predicateiEE10hipError_tPvRmT2_T3_T4_T5_mT6_T7_P12ihipStream_tbENKUlT_T0_E_clISt17integral_constantIbLb0EESX_IbLb1EEEEDaST_SU_EUlST_E_NS1_11comp_targetILNS1_3genE8ELNS1_11target_archE1030ELNS1_3gpuE2ELNS1_3repE0EEENS1_30default_config_static_selectorELNS0_4arch9wavefront6targetE1EEEvT1_
                                        ; -- End function
	.section	.AMDGPU.csdata,"",@progbits
; Kernel info:
; codeLenInByte = 0
; NumSgprs: 4
; NumVgprs: 0
; NumAgprs: 0
; TotalNumVgprs: 0
; ScratchSize: 0
; MemoryBound: 0
; FloatMode: 240
; IeeeMode: 1
; LDSByteSize: 0 bytes/workgroup (compile time only)
; SGPRBlocks: 0
; VGPRBlocks: 0
; NumSGPRsForWavesPerEU: 4
; NumVGPRsForWavesPerEU: 1
; AccumOffset: 4
; Occupancy: 8
; WaveLimiterHint : 0
; COMPUTE_PGM_RSRC2:SCRATCH_EN: 0
; COMPUTE_PGM_RSRC2:USER_SGPR: 6
; COMPUTE_PGM_RSRC2:TRAP_HANDLER: 0
; COMPUTE_PGM_RSRC2:TGID_X_EN: 1
; COMPUTE_PGM_RSRC2:TGID_Y_EN: 0
; COMPUTE_PGM_RSRC2:TGID_Z_EN: 0
; COMPUTE_PGM_RSRC2:TIDIG_COMP_CNT: 0
; COMPUTE_PGM_RSRC3_GFX90A:ACCUM_OFFSET: 0
; COMPUTE_PGM_RSRC3_GFX90A:TG_SPLIT: 0
	.section	.text._ZN7rocprim17ROCPRIM_400000_NS6detail17trampoline_kernelINS0_14default_configENS1_27scan_by_key_config_selectorIiiEEZZNS1_16scan_by_key_implILNS1_25lookback_scan_determinismE0ELb1ES3_N6thrust23THRUST_200600_302600_NS6detail15normal_iteratorINS9_10device_ptrIiEEEESE_SE_iNS9_4plusIiEE19head_flag_predicateiEE10hipError_tPvRmT2_T3_T4_T5_mT6_T7_P12ihipStream_tbENKUlT_T0_E_clISt17integral_constantIbLb0EESY_EEDaST_SU_EUlST_E_NS1_11comp_targetILNS1_3genE0ELNS1_11target_archE4294967295ELNS1_3gpuE0ELNS1_3repE0EEENS1_30default_config_static_selectorELNS0_4arch9wavefront6targetE1EEEvT1_,"axG",@progbits,_ZN7rocprim17ROCPRIM_400000_NS6detail17trampoline_kernelINS0_14default_configENS1_27scan_by_key_config_selectorIiiEEZZNS1_16scan_by_key_implILNS1_25lookback_scan_determinismE0ELb1ES3_N6thrust23THRUST_200600_302600_NS6detail15normal_iteratorINS9_10device_ptrIiEEEESE_SE_iNS9_4plusIiEE19head_flag_predicateiEE10hipError_tPvRmT2_T3_T4_T5_mT6_T7_P12ihipStream_tbENKUlT_T0_E_clISt17integral_constantIbLb0EESY_EEDaST_SU_EUlST_E_NS1_11comp_targetILNS1_3genE0ELNS1_11target_archE4294967295ELNS1_3gpuE0ELNS1_3repE0EEENS1_30default_config_static_selectorELNS0_4arch9wavefront6targetE1EEEvT1_,comdat
	.protected	_ZN7rocprim17ROCPRIM_400000_NS6detail17trampoline_kernelINS0_14default_configENS1_27scan_by_key_config_selectorIiiEEZZNS1_16scan_by_key_implILNS1_25lookback_scan_determinismE0ELb1ES3_N6thrust23THRUST_200600_302600_NS6detail15normal_iteratorINS9_10device_ptrIiEEEESE_SE_iNS9_4plusIiEE19head_flag_predicateiEE10hipError_tPvRmT2_T3_T4_T5_mT6_T7_P12ihipStream_tbENKUlT_T0_E_clISt17integral_constantIbLb0EESY_EEDaST_SU_EUlST_E_NS1_11comp_targetILNS1_3genE0ELNS1_11target_archE4294967295ELNS1_3gpuE0ELNS1_3repE0EEENS1_30default_config_static_selectorELNS0_4arch9wavefront6targetE1EEEvT1_ ; -- Begin function _ZN7rocprim17ROCPRIM_400000_NS6detail17trampoline_kernelINS0_14default_configENS1_27scan_by_key_config_selectorIiiEEZZNS1_16scan_by_key_implILNS1_25lookback_scan_determinismE0ELb1ES3_N6thrust23THRUST_200600_302600_NS6detail15normal_iteratorINS9_10device_ptrIiEEEESE_SE_iNS9_4plusIiEE19head_flag_predicateiEE10hipError_tPvRmT2_T3_T4_T5_mT6_T7_P12ihipStream_tbENKUlT_T0_E_clISt17integral_constantIbLb0EESY_EEDaST_SU_EUlST_E_NS1_11comp_targetILNS1_3genE0ELNS1_11target_archE4294967295ELNS1_3gpuE0ELNS1_3repE0EEENS1_30default_config_static_selectorELNS0_4arch9wavefront6targetE1EEEvT1_
	.globl	_ZN7rocprim17ROCPRIM_400000_NS6detail17trampoline_kernelINS0_14default_configENS1_27scan_by_key_config_selectorIiiEEZZNS1_16scan_by_key_implILNS1_25lookback_scan_determinismE0ELb1ES3_N6thrust23THRUST_200600_302600_NS6detail15normal_iteratorINS9_10device_ptrIiEEEESE_SE_iNS9_4plusIiEE19head_flag_predicateiEE10hipError_tPvRmT2_T3_T4_T5_mT6_T7_P12ihipStream_tbENKUlT_T0_E_clISt17integral_constantIbLb0EESY_EEDaST_SU_EUlST_E_NS1_11comp_targetILNS1_3genE0ELNS1_11target_archE4294967295ELNS1_3gpuE0ELNS1_3repE0EEENS1_30default_config_static_selectorELNS0_4arch9wavefront6targetE1EEEvT1_
	.p2align	8
	.type	_ZN7rocprim17ROCPRIM_400000_NS6detail17trampoline_kernelINS0_14default_configENS1_27scan_by_key_config_selectorIiiEEZZNS1_16scan_by_key_implILNS1_25lookback_scan_determinismE0ELb1ES3_N6thrust23THRUST_200600_302600_NS6detail15normal_iteratorINS9_10device_ptrIiEEEESE_SE_iNS9_4plusIiEE19head_flag_predicateiEE10hipError_tPvRmT2_T3_T4_T5_mT6_T7_P12ihipStream_tbENKUlT_T0_E_clISt17integral_constantIbLb0EESY_EEDaST_SU_EUlST_E_NS1_11comp_targetILNS1_3genE0ELNS1_11target_archE4294967295ELNS1_3gpuE0ELNS1_3repE0EEENS1_30default_config_static_selectorELNS0_4arch9wavefront6targetE1EEEvT1_,@function
_ZN7rocprim17ROCPRIM_400000_NS6detail17trampoline_kernelINS0_14default_configENS1_27scan_by_key_config_selectorIiiEEZZNS1_16scan_by_key_implILNS1_25lookback_scan_determinismE0ELb1ES3_N6thrust23THRUST_200600_302600_NS6detail15normal_iteratorINS9_10device_ptrIiEEEESE_SE_iNS9_4plusIiEE19head_flag_predicateiEE10hipError_tPvRmT2_T3_T4_T5_mT6_T7_P12ihipStream_tbENKUlT_T0_E_clISt17integral_constantIbLb0EESY_EEDaST_SU_EUlST_E_NS1_11comp_targetILNS1_3genE0ELNS1_11target_archE4294967295ELNS1_3gpuE0ELNS1_3repE0EEENS1_30default_config_static_selectorELNS0_4arch9wavefront6targetE1EEEvT1_: ; @_ZN7rocprim17ROCPRIM_400000_NS6detail17trampoline_kernelINS0_14default_configENS1_27scan_by_key_config_selectorIiiEEZZNS1_16scan_by_key_implILNS1_25lookback_scan_determinismE0ELb1ES3_N6thrust23THRUST_200600_302600_NS6detail15normal_iteratorINS9_10device_ptrIiEEEESE_SE_iNS9_4plusIiEE19head_flag_predicateiEE10hipError_tPvRmT2_T3_T4_T5_mT6_T7_P12ihipStream_tbENKUlT_T0_E_clISt17integral_constantIbLb0EESY_EEDaST_SU_EUlST_E_NS1_11comp_targetILNS1_3genE0ELNS1_11target_archE4294967295ELNS1_3gpuE0ELNS1_3repE0EEENS1_30default_config_static_selectorELNS0_4arch9wavefront6targetE1EEEvT1_
; %bb.0:
	.section	.rodata,"a",@progbits
	.p2align	6, 0x0
	.amdhsa_kernel _ZN7rocprim17ROCPRIM_400000_NS6detail17trampoline_kernelINS0_14default_configENS1_27scan_by_key_config_selectorIiiEEZZNS1_16scan_by_key_implILNS1_25lookback_scan_determinismE0ELb1ES3_N6thrust23THRUST_200600_302600_NS6detail15normal_iteratorINS9_10device_ptrIiEEEESE_SE_iNS9_4plusIiEE19head_flag_predicateiEE10hipError_tPvRmT2_T3_T4_T5_mT6_T7_P12ihipStream_tbENKUlT_T0_E_clISt17integral_constantIbLb0EESY_EEDaST_SU_EUlST_E_NS1_11comp_targetILNS1_3genE0ELNS1_11target_archE4294967295ELNS1_3gpuE0ELNS1_3repE0EEENS1_30default_config_static_selectorELNS0_4arch9wavefront6targetE1EEEvT1_
		.amdhsa_group_segment_fixed_size 0
		.amdhsa_private_segment_fixed_size 0
		.amdhsa_kernarg_size 112
		.amdhsa_user_sgpr_count 6
		.amdhsa_user_sgpr_private_segment_buffer 1
		.amdhsa_user_sgpr_dispatch_ptr 0
		.amdhsa_user_sgpr_queue_ptr 0
		.amdhsa_user_sgpr_kernarg_segment_ptr 1
		.amdhsa_user_sgpr_dispatch_id 0
		.amdhsa_user_sgpr_flat_scratch_init 0
		.amdhsa_user_sgpr_kernarg_preload_length 0
		.amdhsa_user_sgpr_kernarg_preload_offset 0
		.amdhsa_user_sgpr_private_segment_size 0
		.amdhsa_uses_dynamic_stack 0
		.amdhsa_system_sgpr_private_segment_wavefront_offset 0
		.amdhsa_system_sgpr_workgroup_id_x 1
		.amdhsa_system_sgpr_workgroup_id_y 0
		.amdhsa_system_sgpr_workgroup_id_z 0
		.amdhsa_system_sgpr_workgroup_info 0
		.amdhsa_system_vgpr_workitem_id 0
		.amdhsa_next_free_vgpr 1
		.amdhsa_next_free_sgpr 0
		.amdhsa_accum_offset 4
		.amdhsa_reserve_vcc 0
		.amdhsa_reserve_flat_scratch 0
		.amdhsa_float_round_mode_32 0
		.amdhsa_float_round_mode_16_64 0
		.amdhsa_float_denorm_mode_32 3
		.amdhsa_float_denorm_mode_16_64 3
		.amdhsa_dx10_clamp 1
		.amdhsa_ieee_mode 1
		.amdhsa_fp16_overflow 0
		.amdhsa_tg_split 0
		.amdhsa_exception_fp_ieee_invalid_op 0
		.amdhsa_exception_fp_denorm_src 0
		.amdhsa_exception_fp_ieee_div_zero 0
		.amdhsa_exception_fp_ieee_overflow 0
		.amdhsa_exception_fp_ieee_underflow 0
		.amdhsa_exception_fp_ieee_inexact 0
		.amdhsa_exception_int_div_zero 0
	.end_amdhsa_kernel
	.section	.text._ZN7rocprim17ROCPRIM_400000_NS6detail17trampoline_kernelINS0_14default_configENS1_27scan_by_key_config_selectorIiiEEZZNS1_16scan_by_key_implILNS1_25lookback_scan_determinismE0ELb1ES3_N6thrust23THRUST_200600_302600_NS6detail15normal_iteratorINS9_10device_ptrIiEEEESE_SE_iNS9_4plusIiEE19head_flag_predicateiEE10hipError_tPvRmT2_T3_T4_T5_mT6_T7_P12ihipStream_tbENKUlT_T0_E_clISt17integral_constantIbLb0EESY_EEDaST_SU_EUlST_E_NS1_11comp_targetILNS1_3genE0ELNS1_11target_archE4294967295ELNS1_3gpuE0ELNS1_3repE0EEENS1_30default_config_static_selectorELNS0_4arch9wavefront6targetE1EEEvT1_,"axG",@progbits,_ZN7rocprim17ROCPRIM_400000_NS6detail17trampoline_kernelINS0_14default_configENS1_27scan_by_key_config_selectorIiiEEZZNS1_16scan_by_key_implILNS1_25lookback_scan_determinismE0ELb1ES3_N6thrust23THRUST_200600_302600_NS6detail15normal_iteratorINS9_10device_ptrIiEEEESE_SE_iNS9_4plusIiEE19head_flag_predicateiEE10hipError_tPvRmT2_T3_T4_T5_mT6_T7_P12ihipStream_tbENKUlT_T0_E_clISt17integral_constantIbLb0EESY_EEDaST_SU_EUlST_E_NS1_11comp_targetILNS1_3genE0ELNS1_11target_archE4294967295ELNS1_3gpuE0ELNS1_3repE0EEENS1_30default_config_static_selectorELNS0_4arch9wavefront6targetE1EEEvT1_,comdat
.Lfunc_end785:
	.size	_ZN7rocprim17ROCPRIM_400000_NS6detail17trampoline_kernelINS0_14default_configENS1_27scan_by_key_config_selectorIiiEEZZNS1_16scan_by_key_implILNS1_25lookback_scan_determinismE0ELb1ES3_N6thrust23THRUST_200600_302600_NS6detail15normal_iteratorINS9_10device_ptrIiEEEESE_SE_iNS9_4plusIiEE19head_flag_predicateiEE10hipError_tPvRmT2_T3_T4_T5_mT6_T7_P12ihipStream_tbENKUlT_T0_E_clISt17integral_constantIbLb0EESY_EEDaST_SU_EUlST_E_NS1_11comp_targetILNS1_3genE0ELNS1_11target_archE4294967295ELNS1_3gpuE0ELNS1_3repE0EEENS1_30default_config_static_selectorELNS0_4arch9wavefront6targetE1EEEvT1_, .Lfunc_end785-_ZN7rocprim17ROCPRIM_400000_NS6detail17trampoline_kernelINS0_14default_configENS1_27scan_by_key_config_selectorIiiEEZZNS1_16scan_by_key_implILNS1_25lookback_scan_determinismE0ELb1ES3_N6thrust23THRUST_200600_302600_NS6detail15normal_iteratorINS9_10device_ptrIiEEEESE_SE_iNS9_4plusIiEE19head_flag_predicateiEE10hipError_tPvRmT2_T3_T4_T5_mT6_T7_P12ihipStream_tbENKUlT_T0_E_clISt17integral_constantIbLb0EESY_EEDaST_SU_EUlST_E_NS1_11comp_targetILNS1_3genE0ELNS1_11target_archE4294967295ELNS1_3gpuE0ELNS1_3repE0EEENS1_30default_config_static_selectorELNS0_4arch9wavefront6targetE1EEEvT1_
                                        ; -- End function
	.section	.AMDGPU.csdata,"",@progbits
; Kernel info:
; codeLenInByte = 0
; NumSgprs: 4
; NumVgprs: 0
; NumAgprs: 0
; TotalNumVgprs: 0
; ScratchSize: 0
; MemoryBound: 0
; FloatMode: 240
; IeeeMode: 1
; LDSByteSize: 0 bytes/workgroup (compile time only)
; SGPRBlocks: 0
; VGPRBlocks: 0
; NumSGPRsForWavesPerEU: 4
; NumVGPRsForWavesPerEU: 1
; AccumOffset: 4
; Occupancy: 8
; WaveLimiterHint : 0
; COMPUTE_PGM_RSRC2:SCRATCH_EN: 0
; COMPUTE_PGM_RSRC2:USER_SGPR: 6
; COMPUTE_PGM_RSRC2:TRAP_HANDLER: 0
; COMPUTE_PGM_RSRC2:TGID_X_EN: 1
; COMPUTE_PGM_RSRC2:TGID_Y_EN: 0
; COMPUTE_PGM_RSRC2:TGID_Z_EN: 0
; COMPUTE_PGM_RSRC2:TIDIG_COMP_CNT: 0
; COMPUTE_PGM_RSRC3_GFX90A:ACCUM_OFFSET: 0
; COMPUTE_PGM_RSRC3_GFX90A:TG_SPLIT: 0
	.section	.text._ZN7rocprim17ROCPRIM_400000_NS6detail17trampoline_kernelINS0_14default_configENS1_27scan_by_key_config_selectorIiiEEZZNS1_16scan_by_key_implILNS1_25lookback_scan_determinismE0ELb1ES3_N6thrust23THRUST_200600_302600_NS6detail15normal_iteratorINS9_10device_ptrIiEEEESE_SE_iNS9_4plusIiEE19head_flag_predicateiEE10hipError_tPvRmT2_T3_T4_T5_mT6_T7_P12ihipStream_tbENKUlT_T0_E_clISt17integral_constantIbLb0EESY_EEDaST_SU_EUlST_E_NS1_11comp_targetILNS1_3genE10ELNS1_11target_archE1201ELNS1_3gpuE5ELNS1_3repE0EEENS1_30default_config_static_selectorELNS0_4arch9wavefront6targetE1EEEvT1_,"axG",@progbits,_ZN7rocprim17ROCPRIM_400000_NS6detail17trampoline_kernelINS0_14default_configENS1_27scan_by_key_config_selectorIiiEEZZNS1_16scan_by_key_implILNS1_25lookback_scan_determinismE0ELb1ES3_N6thrust23THRUST_200600_302600_NS6detail15normal_iteratorINS9_10device_ptrIiEEEESE_SE_iNS9_4plusIiEE19head_flag_predicateiEE10hipError_tPvRmT2_T3_T4_T5_mT6_T7_P12ihipStream_tbENKUlT_T0_E_clISt17integral_constantIbLb0EESY_EEDaST_SU_EUlST_E_NS1_11comp_targetILNS1_3genE10ELNS1_11target_archE1201ELNS1_3gpuE5ELNS1_3repE0EEENS1_30default_config_static_selectorELNS0_4arch9wavefront6targetE1EEEvT1_,comdat
	.protected	_ZN7rocprim17ROCPRIM_400000_NS6detail17trampoline_kernelINS0_14default_configENS1_27scan_by_key_config_selectorIiiEEZZNS1_16scan_by_key_implILNS1_25lookback_scan_determinismE0ELb1ES3_N6thrust23THRUST_200600_302600_NS6detail15normal_iteratorINS9_10device_ptrIiEEEESE_SE_iNS9_4plusIiEE19head_flag_predicateiEE10hipError_tPvRmT2_T3_T4_T5_mT6_T7_P12ihipStream_tbENKUlT_T0_E_clISt17integral_constantIbLb0EESY_EEDaST_SU_EUlST_E_NS1_11comp_targetILNS1_3genE10ELNS1_11target_archE1201ELNS1_3gpuE5ELNS1_3repE0EEENS1_30default_config_static_selectorELNS0_4arch9wavefront6targetE1EEEvT1_ ; -- Begin function _ZN7rocprim17ROCPRIM_400000_NS6detail17trampoline_kernelINS0_14default_configENS1_27scan_by_key_config_selectorIiiEEZZNS1_16scan_by_key_implILNS1_25lookback_scan_determinismE0ELb1ES3_N6thrust23THRUST_200600_302600_NS6detail15normal_iteratorINS9_10device_ptrIiEEEESE_SE_iNS9_4plusIiEE19head_flag_predicateiEE10hipError_tPvRmT2_T3_T4_T5_mT6_T7_P12ihipStream_tbENKUlT_T0_E_clISt17integral_constantIbLb0EESY_EEDaST_SU_EUlST_E_NS1_11comp_targetILNS1_3genE10ELNS1_11target_archE1201ELNS1_3gpuE5ELNS1_3repE0EEENS1_30default_config_static_selectorELNS0_4arch9wavefront6targetE1EEEvT1_
	.globl	_ZN7rocprim17ROCPRIM_400000_NS6detail17trampoline_kernelINS0_14default_configENS1_27scan_by_key_config_selectorIiiEEZZNS1_16scan_by_key_implILNS1_25lookback_scan_determinismE0ELb1ES3_N6thrust23THRUST_200600_302600_NS6detail15normal_iteratorINS9_10device_ptrIiEEEESE_SE_iNS9_4plusIiEE19head_flag_predicateiEE10hipError_tPvRmT2_T3_T4_T5_mT6_T7_P12ihipStream_tbENKUlT_T0_E_clISt17integral_constantIbLb0EESY_EEDaST_SU_EUlST_E_NS1_11comp_targetILNS1_3genE10ELNS1_11target_archE1201ELNS1_3gpuE5ELNS1_3repE0EEENS1_30default_config_static_selectorELNS0_4arch9wavefront6targetE1EEEvT1_
	.p2align	8
	.type	_ZN7rocprim17ROCPRIM_400000_NS6detail17trampoline_kernelINS0_14default_configENS1_27scan_by_key_config_selectorIiiEEZZNS1_16scan_by_key_implILNS1_25lookback_scan_determinismE0ELb1ES3_N6thrust23THRUST_200600_302600_NS6detail15normal_iteratorINS9_10device_ptrIiEEEESE_SE_iNS9_4plusIiEE19head_flag_predicateiEE10hipError_tPvRmT2_T3_T4_T5_mT6_T7_P12ihipStream_tbENKUlT_T0_E_clISt17integral_constantIbLb0EESY_EEDaST_SU_EUlST_E_NS1_11comp_targetILNS1_3genE10ELNS1_11target_archE1201ELNS1_3gpuE5ELNS1_3repE0EEENS1_30default_config_static_selectorELNS0_4arch9wavefront6targetE1EEEvT1_,@function
_ZN7rocprim17ROCPRIM_400000_NS6detail17trampoline_kernelINS0_14default_configENS1_27scan_by_key_config_selectorIiiEEZZNS1_16scan_by_key_implILNS1_25lookback_scan_determinismE0ELb1ES3_N6thrust23THRUST_200600_302600_NS6detail15normal_iteratorINS9_10device_ptrIiEEEESE_SE_iNS9_4plusIiEE19head_flag_predicateiEE10hipError_tPvRmT2_T3_T4_T5_mT6_T7_P12ihipStream_tbENKUlT_T0_E_clISt17integral_constantIbLb0EESY_EEDaST_SU_EUlST_E_NS1_11comp_targetILNS1_3genE10ELNS1_11target_archE1201ELNS1_3gpuE5ELNS1_3repE0EEENS1_30default_config_static_selectorELNS0_4arch9wavefront6targetE1EEEvT1_: ; @_ZN7rocprim17ROCPRIM_400000_NS6detail17trampoline_kernelINS0_14default_configENS1_27scan_by_key_config_selectorIiiEEZZNS1_16scan_by_key_implILNS1_25lookback_scan_determinismE0ELb1ES3_N6thrust23THRUST_200600_302600_NS6detail15normal_iteratorINS9_10device_ptrIiEEEESE_SE_iNS9_4plusIiEE19head_flag_predicateiEE10hipError_tPvRmT2_T3_T4_T5_mT6_T7_P12ihipStream_tbENKUlT_T0_E_clISt17integral_constantIbLb0EESY_EEDaST_SU_EUlST_E_NS1_11comp_targetILNS1_3genE10ELNS1_11target_archE1201ELNS1_3gpuE5ELNS1_3repE0EEENS1_30default_config_static_selectorELNS0_4arch9wavefront6targetE1EEEvT1_
; %bb.0:
	.section	.rodata,"a",@progbits
	.p2align	6, 0x0
	.amdhsa_kernel _ZN7rocprim17ROCPRIM_400000_NS6detail17trampoline_kernelINS0_14default_configENS1_27scan_by_key_config_selectorIiiEEZZNS1_16scan_by_key_implILNS1_25lookback_scan_determinismE0ELb1ES3_N6thrust23THRUST_200600_302600_NS6detail15normal_iteratorINS9_10device_ptrIiEEEESE_SE_iNS9_4plusIiEE19head_flag_predicateiEE10hipError_tPvRmT2_T3_T4_T5_mT6_T7_P12ihipStream_tbENKUlT_T0_E_clISt17integral_constantIbLb0EESY_EEDaST_SU_EUlST_E_NS1_11comp_targetILNS1_3genE10ELNS1_11target_archE1201ELNS1_3gpuE5ELNS1_3repE0EEENS1_30default_config_static_selectorELNS0_4arch9wavefront6targetE1EEEvT1_
		.amdhsa_group_segment_fixed_size 0
		.amdhsa_private_segment_fixed_size 0
		.amdhsa_kernarg_size 112
		.amdhsa_user_sgpr_count 6
		.amdhsa_user_sgpr_private_segment_buffer 1
		.amdhsa_user_sgpr_dispatch_ptr 0
		.amdhsa_user_sgpr_queue_ptr 0
		.amdhsa_user_sgpr_kernarg_segment_ptr 1
		.amdhsa_user_sgpr_dispatch_id 0
		.amdhsa_user_sgpr_flat_scratch_init 0
		.amdhsa_user_sgpr_kernarg_preload_length 0
		.amdhsa_user_sgpr_kernarg_preload_offset 0
		.amdhsa_user_sgpr_private_segment_size 0
		.amdhsa_uses_dynamic_stack 0
		.amdhsa_system_sgpr_private_segment_wavefront_offset 0
		.amdhsa_system_sgpr_workgroup_id_x 1
		.amdhsa_system_sgpr_workgroup_id_y 0
		.amdhsa_system_sgpr_workgroup_id_z 0
		.amdhsa_system_sgpr_workgroup_info 0
		.amdhsa_system_vgpr_workitem_id 0
		.amdhsa_next_free_vgpr 1
		.amdhsa_next_free_sgpr 0
		.amdhsa_accum_offset 4
		.amdhsa_reserve_vcc 0
		.amdhsa_reserve_flat_scratch 0
		.amdhsa_float_round_mode_32 0
		.amdhsa_float_round_mode_16_64 0
		.amdhsa_float_denorm_mode_32 3
		.amdhsa_float_denorm_mode_16_64 3
		.amdhsa_dx10_clamp 1
		.amdhsa_ieee_mode 1
		.amdhsa_fp16_overflow 0
		.amdhsa_tg_split 0
		.amdhsa_exception_fp_ieee_invalid_op 0
		.amdhsa_exception_fp_denorm_src 0
		.amdhsa_exception_fp_ieee_div_zero 0
		.amdhsa_exception_fp_ieee_overflow 0
		.amdhsa_exception_fp_ieee_underflow 0
		.amdhsa_exception_fp_ieee_inexact 0
		.amdhsa_exception_int_div_zero 0
	.end_amdhsa_kernel
	.section	.text._ZN7rocprim17ROCPRIM_400000_NS6detail17trampoline_kernelINS0_14default_configENS1_27scan_by_key_config_selectorIiiEEZZNS1_16scan_by_key_implILNS1_25lookback_scan_determinismE0ELb1ES3_N6thrust23THRUST_200600_302600_NS6detail15normal_iteratorINS9_10device_ptrIiEEEESE_SE_iNS9_4plusIiEE19head_flag_predicateiEE10hipError_tPvRmT2_T3_T4_T5_mT6_T7_P12ihipStream_tbENKUlT_T0_E_clISt17integral_constantIbLb0EESY_EEDaST_SU_EUlST_E_NS1_11comp_targetILNS1_3genE10ELNS1_11target_archE1201ELNS1_3gpuE5ELNS1_3repE0EEENS1_30default_config_static_selectorELNS0_4arch9wavefront6targetE1EEEvT1_,"axG",@progbits,_ZN7rocprim17ROCPRIM_400000_NS6detail17trampoline_kernelINS0_14default_configENS1_27scan_by_key_config_selectorIiiEEZZNS1_16scan_by_key_implILNS1_25lookback_scan_determinismE0ELb1ES3_N6thrust23THRUST_200600_302600_NS6detail15normal_iteratorINS9_10device_ptrIiEEEESE_SE_iNS9_4plusIiEE19head_flag_predicateiEE10hipError_tPvRmT2_T3_T4_T5_mT6_T7_P12ihipStream_tbENKUlT_T0_E_clISt17integral_constantIbLb0EESY_EEDaST_SU_EUlST_E_NS1_11comp_targetILNS1_3genE10ELNS1_11target_archE1201ELNS1_3gpuE5ELNS1_3repE0EEENS1_30default_config_static_selectorELNS0_4arch9wavefront6targetE1EEEvT1_,comdat
.Lfunc_end786:
	.size	_ZN7rocprim17ROCPRIM_400000_NS6detail17trampoline_kernelINS0_14default_configENS1_27scan_by_key_config_selectorIiiEEZZNS1_16scan_by_key_implILNS1_25lookback_scan_determinismE0ELb1ES3_N6thrust23THRUST_200600_302600_NS6detail15normal_iteratorINS9_10device_ptrIiEEEESE_SE_iNS9_4plusIiEE19head_flag_predicateiEE10hipError_tPvRmT2_T3_T4_T5_mT6_T7_P12ihipStream_tbENKUlT_T0_E_clISt17integral_constantIbLb0EESY_EEDaST_SU_EUlST_E_NS1_11comp_targetILNS1_3genE10ELNS1_11target_archE1201ELNS1_3gpuE5ELNS1_3repE0EEENS1_30default_config_static_selectorELNS0_4arch9wavefront6targetE1EEEvT1_, .Lfunc_end786-_ZN7rocprim17ROCPRIM_400000_NS6detail17trampoline_kernelINS0_14default_configENS1_27scan_by_key_config_selectorIiiEEZZNS1_16scan_by_key_implILNS1_25lookback_scan_determinismE0ELb1ES3_N6thrust23THRUST_200600_302600_NS6detail15normal_iteratorINS9_10device_ptrIiEEEESE_SE_iNS9_4plusIiEE19head_flag_predicateiEE10hipError_tPvRmT2_T3_T4_T5_mT6_T7_P12ihipStream_tbENKUlT_T0_E_clISt17integral_constantIbLb0EESY_EEDaST_SU_EUlST_E_NS1_11comp_targetILNS1_3genE10ELNS1_11target_archE1201ELNS1_3gpuE5ELNS1_3repE0EEENS1_30default_config_static_selectorELNS0_4arch9wavefront6targetE1EEEvT1_
                                        ; -- End function
	.section	.AMDGPU.csdata,"",@progbits
; Kernel info:
; codeLenInByte = 0
; NumSgprs: 4
; NumVgprs: 0
; NumAgprs: 0
; TotalNumVgprs: 0
; ScratchSize: 0
; MemoryBound: 0
; FloatMode: 240
; IeeeMode: 1
; LDSByteSize: 0 bytes/workgroup (compile time only)
; SGPRBlocks: 0
; VGPRBlocks: 0
; NumSGPRsForWavesPerEU: 4
; NumVGPRsForWavesPerEU: 1
; AccumOffset: 4
; Occupancy: 8
; WaveLimiterHint : 0
; COMPUTE_PGM_RSRC2:SCRATCH_EN: 0
; COMPUTE_PGM_RSRC2:USER_SGPR: 6
; COMPUTE_PGM_RSRC2:TRAP_HANDLER: 0
; COMPUTE_PGM_RSRC2:TGID_X_EN: 1
; COMPUTE_PGM_RSRC2:TGID_Y_EN: 0
; COMPUTE_PGM_RSRC2:TGID_Z_EN: 0
; COMPUTE_PGM_RSRC2:TIDIG_COMP_CNT: 0
; COMPUTE_PGM_RSRC3_GFX90A:ACCUM_OFFSET: 0
; COMPUTE_PGM_RSRC3_GFX90A:TG_SPLIT: 0
	.section	.text._ZN7rocprim17ROCPRIM_400000_NS6detail17trampoline_kernelINS0_14default_configENS1_27scan_by_key_config_selectorIiiEEZZNS1_16scan_by_key_implILNS1_25lookback_scan_determinismE0ELb1ES3_N6thrust23THRUST_200600_302600_NS6detail15normal_iteratorINS9_10device_ptrIiEEEESE_SE_iNS9_4plusIiEE19head_flag_predicateiEE10hipError_tPvRmT2_T3_T4_T5_mT6_T7_P12ihipStream_tbENKUlT_T0_E_clISt17integral_constantIbLb0EESY_EEDaST_SU_EUlST_E_NS1_11comp_targetILNS1_3genE5ELNS1_11target_archE942ELNS1_3gpuE9ELNS1_3repE0EEENS1_30default_config_static_selectorELNS0_4arch9wavefront6targetE1EEEvT1_,"axG",@progbits,_ZN7rocprim17ROCPRIM_400000_NS6detail17trampoline_kernelINS0_14default_configENS1_27scan_by_key_config_selectorIiiEEZZNS1_16scan_by_key_implILNS1_25lookback_scan_determinismE0ELb1ES3_N6thrust23THRUST_200600_302600_NS6detail15normal_iteratorINS9_10device_ptrIiEEEESE_SE_iNS9_4plusIiEE19head_flag_predicateiEE10hipError_tPvRmT2_T3_T4_T5_mT6_T7_P12ihipStream_tbENKUlT_T0_E_clISt17integral_constantIbLb0EESY_EEDaST_SU_EUlST_E_NS1_11comp_targetILNS1_3genE5ELNS1_11target_archE942ELNS1_3gpuE9ELNS1_3repE0EEENS1_30default_config_static_selectorELNS0_4arch9wavefront6targetE1EEEvT1_,comdat
	.protected	_ZN7rocprim17ROCPRIM_400000_NS6detail17trampoline_kernelINS0_14default_configENS1_27scan_by_key_config_selectorIiiEEZZNS1_16scan_by_key_implILNS1_25lookback_scan_determinismE0ELb1ES3_N6thrust23THRUST_200600_302600_NS6detail15normal_iteratorINS9_10device_ptrIiEEEESE_SE_iNS9_4plusIiEE19head_flag_predicateiEE10hipError_tPvRmT2_T3_T4_T5_mT6_T7_P12ihipStream_tbENKUlT_T0_E_clISt17integral_constantIbLb0EESY_EEDaST_SU_EUlST_E_NS1_11comp_targetILNS1_3genE5ELNS1_11target_archE942ELNS1_3gpuE9ELNS1_3repE0EEENS1_30default_config_static_selectorELNS0_4arch9wavefront6targetE1EEEvT1_ ; -- Begin function _ZN7rocprim17ROCPRIM_400000_NS6detail17trampoline_kernelINS0_14default_configENS1_27scan_by_key_config_selectorIiiEEZZNS1_16scan_by_key_implILNS1_25lookback_scan_determinismE0ELb1ES3_N6thrust23THRUST_200600_302600_NS6detail15normal_iteratorINS9_10device_ptrIiEEEESE_SE_iNS9_4plusIiEE19head_flag_predicateiEE10hipError_tPvRmT2_T3_T4_T5_mT6_T7_P12ihipStream_tbENKUlT_T0_E_clISt17integral_constantIbLb0EESY_EEDaST_SU_EUlST_E_NS1_11comp_targetILNS1_3genE5ELNS1_11target_archE942ELNS1_3gpuE9ELNS1_3repE0EEENS1_30default_config_static_selectorELNS0_4arch9wavefront6targetE1EEEvT1_
	.globl	_ZN7rocprim17ROCPRIM_400000_NS6detail17trampoline_kernelINS0_14default_configENS1_27scan_by_key_config_selectorIiiEEZZNS1_16scan_by_key_implILNS1_25lookback_scan_determinismE0ELb1ES3_N6thrust23THRUST_200600_302600_NS6detail15normal_iteratorINS9_10device_ptrIiEEEESE_SE_iNS9_4plusIiEE19head_flag_predicateiEE10hipError_tPvRmT2_T3_T4_T5_mT6_T7_P12ihipStream_tbENKUlT_T0_E_clISt17integral_constantIbLb0EESY_EEDaST_SU_EUlST_E_NS1_11comp_targetILNS1_3genE5ELNS1_11target_archE942ELNS1_3gpuE9ELNS1_3repE0EEENS1_30default_config_static_selectorELNS0_4arch9wavefront6targetE1EEEvT1_
	.p2align	8
	.type	_ZN7rocprim17ROCPRIM_400000_NS6detail17trampoline_kernelINS0_14default_configENS1_27scan_by_key_config_selectorIiiEEZZNS1_16scan_by_key_implILNS1_25lookback_scan_determinismE0ELb1ES3_N6thrust23THRUST_200600_302600_NS6detail15normal_iteratorINS9_10device_ptrIiEEEESE_SE_iNS9_4plusIiEE19head_flag_predicateiEE10hipError_tPvRmT2_T3_T4_T5_mT6_T7_P12ihipStream_tbENKUlT_T0_E_clISt17integral_constantIbLb0EESY_EEDaST_SU_EUlST_E_NS1_11comp_targetILNS1_3genE5ELNS1_11target_archE942ELNS1_3gpuE9ELNS1_3repE0EEENS1_30default_config_static_selectorELNS0_4arch9wavefront6targetE1EEEvT1_,@function
_ZN7rocprim17ROCPRIM_400000_NS6detail17trampoline_kernelINS0_14default_configENS1_27scan_by_key_config_selectorIiiEEZZNS1_16scan_by_key_implILNS1_25lookback_scan_determinismE0ELb1ES3_N6thrust23THRUST_200600_302600_NS6detail15normal_iteratorINS9_10device_ptrIiEEEESE_SE_iNS9_4plusIiEE19head_flag_predicateiEE10hipError_tPvRmT2_T3_T4_T5_mT6_T7_P12ihipStream_tbENKUlT_T0_E_clISt17integral_constantIbLb0EESY_EEDaST_SU_EUlST_E_NS1_11comp_targetILNS1_3genE5ELNS1_11target_archE942ELNS1_3gpuE9ELNS1_3repE0EEENS1_30default_config_static_selectorELNS0_4arch9wavefront6targetE1EEEvT1_: ; @_ZN7rocprim17ROCPRIM_400000_NS6detail17trampoline_kernelINS0_14default_configENS1_27scan_by_key_config_selectorIiiEEZZNS1_16scan_by_key_implILNS1_25lookback_scan_determinismE0ELb1ES3_N6thrust23THRUST_200600_302600_NS6detail15normal_iteratorINS9_10device_ptrIiEEEESE_SE_iNS9_4plusIiEE19head_flag_predicateiEE10hipError_tPvRmT2_T3_T4_T5_mT6_T7_P12ihipStream_tbENKUlT_T0_E_clISt17integral_constantIbLb0EESY_EEDaST_SU_EUlST_E_NS1_11comp_targetILNS1_3genE5ELNS1_11target_archE942ELNS1_3gpuE9ELNS1_3repE0EEENS1_30default_config_static_selectorELNS0_4arch9wavefront6targetE1EEEvT1_
; %bb.0:
	.section	.rodata,"a",@progbits
	.p2align	6, 0x0
	.amdhsa_kernel _ZN7rocprim17ROCPRIM_400000_NS6detail17trampoline_kernelINS0_14default_configENS1_27scan_by_key_config_selectorIiiEEZZNS1_16scan_by_key_implILNS1_25lookback_scan_determinismE0ELb1ES3_N6thrust23THRUST_200600_302600_NS6detail15normal_iteratorINS9_10device_ptrIiEEEESE_SE_iNS9_4plusIiEE19head_flag_predicateiEE10hipError_tPvRmT2_T3_T4_T5_mT6_T7_P12ihipStream_tbENKUlT_T0_E_clISt17integral_constantIbLb0EESY_EEDaST_SU_EUlST_E_NS1_11comp_targetILNS1_3genE5ELNS1_11target_archE942ELNS1_3gpuE9ELNS1_3repE0EEENS1_30default_config_static_selectorELNS0_4arch9wavefront6targetE1EEEvT1_
		.amdhsa_group_segment_fixed_size 0
		.amdhsa_private_segment_fixed_size 0
		.amdhsa_kernarg_size 112
		.amdhsa_user_sgpr_count 6
		.amdhsa_user_sgpr_private_segment_buffer 1
		.amdhsa_user_sgpr_dispatch_ptr 0
		.amdhsa_user_sgpr_queue_ptr 0
		.amdhsa_user_sgpr_kernarg_segment_ptr 1
		.amdhsa_user_sgpr_dispatch_id 0
		.amdhsa_user_sgpr_flat_scratch_init 0
		.amdhsa_user_sgpr_kernarg_preload_length 0
		.amdhsa_user_sgpr_kernarg_preload_offset 0
		.amdhsa_user_sgpr_private_segment_size 0
		.amdhsa_uses_dynamic_stack 0
		.amdhsa_system_sgpr_private_segment_wavefront_offset 0
		.amdhsa_system_sgpr_workgroup_id_x 1
		.amdhsa_system_sgpr_workgroup_id_y 0
		.amdhsa_system_sgpr_workgroup_id_z 0
		.amdhsa_system_sgpr_workgroup_info 0
		.amdhsa_system_vgpr_workitem_id 0
		.amdhsa_next_free_vgpr 1
		.amdhsa_next_free_sgpr 0
		.amdhsa_accum_offset 4
		.amdhsa_reserve_vcc 0
		.amdhsa_reserve_flat_scratch 0
		.amdhsa_float_round_mode_32 0
		.amdhsa_float_round_mode_16_64 0
		.amdhsa_float_denorm_mode_32 3
		.amdhsa_float_denorm_mode_16_64 3
		.amdhsa_dx10_clamp 1
		.amdhsa_ieee_mode 1
		.amdhsa_fp16_overflow 0
		.amdhsa_tg_split 0
		.amdhsa_exception_fp_ieee_invalid_op 0
		.amdhsa_exception_fp_denorm_src 0
		.amdhsa_exception_fp_ieee_div_zero 0
		.amdhsa_exception_fp_ieee_overflow 0
		.amdhsa_exception_fp_ieee_underflow 0
		.amdhsa_exception_fp_ieee_inexact 0
		.amdhsa_exception_int_div_zero 0
	.end_amdhsa_kernel
	.section	.text._ZN7rocprim17ROCPRIM_400000_NS6detail17trampoline_kernelINS0_14default_configENS1_27scan_by_key_config_selectorIiiEEZZNS1_16scan_by_key_implILNS1_25lookback_scan_determinismE0ELb1ES3_N6thrust23THRUST_200600_302600_NS6detail15normal_iteratorINS9_10device_ptrIiEEEESE_SE_iNS9_4plusIiEE19head_flag_predicateiEE10hipError_tPvRmT2_T3_T4_T5_mT6_T7_P12ihipStream_tbENKUlT_T0_E_clISt17integral_constantIbLb0EESY_EEDaST_SU_EUlST_E_NS1_11comp_targetILNS1_3genE5ELNS1_11target_archE942ELNS1_3gpuE9ELNS1_3repE0EEENS1_30default_config_static_selectorELNS0_4arch9wavefront6targetE1EEEvT1_,"axG",@progbits,_ZN7rocprim17ROCPRIM_400000_NS6detail17trampoline_kernelINS0_14default_configENS1_27scan_by_key_config_selectorIiiEEZZNS1_16scan_by_key_implILNS1_25lookback_scan_determinismE0ELb1ES3_N6thrust23THRUST_200600_302600_NS6detail15normal_iteratorINS9_10device_ptrIiEEEESE_SE_iNS9_4plusIiEE19head_flag_predicateiEE10hipError_tPvRmT2_T3_T4_T5_mT6_T7_P12ihipStream_tbENKUlT_T0_E_clISt17integral_constantIbLb0EESY_EEDaST_SU_EUlST_E_NS1_11comp_targetILNS1_3genE5ELNS1_11target_archE942ELNS1_3gpuE9ELNS1_3repE0EEENS1_30default_config_static_selectorELNS0_4arch9wavefront6targetE1EEEvT1_,comdat
.Lfunc_end787:
	.size	_ZN7rocprim17ROCPRIM_400000_NS6detail17trampoline_kernelINS0_14default_configENS1_27scan_by_key_config_selectorIiiEEZZNS1_16scan_by_key_implILNS1_25lookback_scan_determinismE0ELb1ES3_N6thrust23THRUST_200600_302600_NS6detail15normal_iteratorINS9_10device_ptrIiEEEESE_SE_iNS9_4plusIiEE19head_flag_predicateiEE10hipError_tPvRmT2_T3_T4_T5_mT6_T7_P12ihipStream_tbENKUlT_T0_E_clISt17integral_constantIbLb0EESY_EEDaST_SU_EUlST_E_NS1_11comp_targetILNS1_3genE5ELNS1_11target_archE942ELNS1_3gpuE9ELNS1_3repE0EEENS1_30default_config_static_selectorELNS0_4arch9wavefront6targetE1EEEvT1_, .Lfunc_end787-_ZN7rocprim17ROCPRIM_400000_NS6detail17trampoline_kernelINS0_14default_configENS1_27scan_by_key_config_selectorIiiEEZZNS1_16scan_by_key_implILNS1_25lookback_scan_determinismE0ELb1ES3_N6thrust23THRUST_200600_302600_NS6detail15normal_iteratorINS9_10device_ptrIiEEEESE_SE_iNS9_4plusIiEE19head_flag_predicateiEE10hipError_tPvRmT2_T3_T4_T5_mT6_T7_P12ihipStream_tbENKUlT_T0_E_clISt17integral_constantIbLb0EESY_EEDaST_SU_EUlST_E_NS1_11comp_targetILNS1_3genE5ELNS1_11target_archE942ELNS1_3gpuE9ELNS1_3repE0EEENS1_30default_config_static_selectorELNS0_4arch9wavefront6targetE1EEEvT1_
                                        ; -- End function
	.section	.AMDGPU.csdata,"",@progbits
; Kernel info:
; codeLenInByte = 0
; NumSgprs: 4
; NumVgprs: 0
; NumAgprs: 0
; TotalNumVgprs: 0
; ScratchSize: 0
; MemoryBound: 0
; FloatMode: 240
; IeeeMode: 1
; LDSByteSize: 0 bytes/workgroup (compile time only)
; SGPRBlocks: 0
; VGPRBlocks: 0
; NumSGPRsForWavesPerEU: 4
; NumVGPRsForWavesPerEU: 1
; AccumOffset: 4
; Occupancy: 8
; WaveLimiterHint : 0
; COMPUTE_PGM_RSRC2:SCRATCH_EN: 0
; COMPUTE_PGM_RSRC2:USER_SGPR: 6
; COMPUTE_PGM_RSRC2:TRAP_HANDLER: 0
; COMPUTE_PGM_RSRC2:TGID_X_EN: 1
; COMPUTE_PGM_RSRC2:TGID_Y_EN: 0
; COMPUTE_PGM_RSRC2:TGID_Z_EN: 0
; COMPUTE_PGM_RSRC2:TIDIG_COMP_CNT: 0
; COMPUTE_PGM_RSRC3_GFX90A:ACCUM_OFFSET: 0
; COMPUTE_PGM_RSRC3_GFX90A:TG_SPLIT: 0
	.section	.text._ZN7rocprim17ROCPRIM_400000_NS6detail17trampoline_kernelINS0_14default_configENS1_27scan_by_key_config_selectorIiiEEZZNS1_16scan_by_key_implILNS1_25lookback_scan_determinismE0ELb1ES3_N6thrust23THRUST_200600_302600_NS6detail15normal_iteratorINS9_10device_ptrIiEEEESE_SE_iNS9_4plusIiEE19head_flag_predicateiEE10hipError_tPvRmT2_T3_T4_T5_mT6_T7_P12ihipStream_tbENKUlT_T0_E_clISt17integral_constantIbLb0EESY_EEDaST_SU_EUlST_E_NS1_11comp_targetILNS1_3genE4ELNS1_11target_archE910ELNS1_3gpuE8ELNS1_3repE0EEENS1_30default_config_static_selectorELNS0_4arch9wavefront6targetE1EEEvT1_,"axG",@progbits,_ZN7rocprim17ROCPRIM_400000_NS6detail17trampoline_kernelINS0_14default_configENS1_27scan_by_key_config_selectorIiiEEZZNS1_16scan_by_key_implILNS1_25lookback_scan_determinismE0ELb1ES3_N6thrust23THRUST_200600_302600_NS6detail15normal_iteratorINS9_10device_ptrIiEEEESE_SE_iNS9_4plusIiEE19head_flag_predicateiEE10hipError_tPvRmT2_T3_T4_T5_mT6_T7_P12ihipStream_tbENKUlT_T0_E_clISt17integral_constantIbLb0EESY_EEDaST_SU_EUlST_E_NS1_11comp_targetILNS1_3genE4ELNS1_11target_archE910ELNS1_3gpuE8ELNS1_3repE0EEENS1_30default_config_static_selectorELNS0_4arch9wavefront6targetE1EEEvT1_,comdat
	.protected	_ZN7rocprim17ROCPRIM_400000_NS6detail17trampoline_kernelINS0_14default_configENS1_27scan_by_key_config_selectorIiiEEZZNS1_16scan_by_key_implILNS1_25lookback_scan_determinismE0ELb1ES3_N6thrust23THRUST_200600_302600_NS6detail15normal_iteratorINS9_10device_ptrIiEEEESE_SE_iNS9_4plusIiEE19head_flag_predicateiEE10hipError_tPvRmT2_T3_T4_T5_mT6_T7_P12ihipStream_tbENKUlT_T0_E_clISt17integral_constantIbLb0EESY_EEDaST_SU_EUlST_E_NS1_11comp_targetILNS1_3genE4ELNS1_11target_archE910ELNS1_3gpuE8ELNS1_3repE0EEENS1_30default_config_static_selectorELNS0_4arch9wavefront6targetE1EEEvT1_ ; -- Begin function _ZN7rocprim17ROCPRIM_400000_NS6detail17trampoline_kernelINS0_14default_configENS1_27scan_by_key_config_selectorIiiEEZZNS1_16scan_by_key_implILNS1_25lookback_scan_determinismE0ELb1ES3_N6thrust23THRUST_200600_302600_NS6detail15normal_iteratorINS9_10device_ptrIiEEEESE_SE_iNS9_4plusIiEE19head_flag_predicateiEE10hipError_tPvRmT2_T3_T4_T5_mT6_T7_P12ihipStream_tbENKUlT_T0_E_clISt17integral_constantIbLb0EESY_EEDaST_SU_EUlST_E_NS1_11comp_targetILNS1_3genE4ELNS1_11target_archE910ELNS1_3gpuE8ELNS1_3repE0EEENS1_30default_config_static_selectorELNS0_4arch9wavefront6targetE1EEEvT1_
	.globl	_ZN7rocprim17ROCPRIM_400000_NS6detail17trampoline_kernelINS0_14default_configENS1_27scan_by_key_config_selectorIiiEEZZNS1_16scan_by_key_implILNS1_25lookback_scan_determinismE0ELb1ES3_N6thrust23THRUST_200600_302600_NS6detail15normal_iteratorINS9_10device_ptrIiEEEESE_SE_iNS9_4plusIiEE19head_flag_predicateiEE10hipError_tPvRmT2_T3_T4_T5_mT6_T7_P12ihipStream_tbENKUlT_T0_E_clISt17integral_constantIbLb0EESY_EEDaST_SU_EUlST_E_NS1_11comp_targetILNS1_3genE4ELNS1_11target_archE910ELNS1_3gpuE8ELNS1_3repE0EEENS1_30default_config_static_selectorELNS0_4arch9wavefront6targetE1EEEvT1_
	.p2align	8
	.type	_ZN7rocprim17ROCPRIM_400000_NS6detail17trampoline_kernelINS0_14default_configENS1_27scan_by_key_config_selectorIiiEEZZNS1_16scan_by_key_implILNS1_25lookback_scan_determinismE0ELb1ES3_N6thrust23THRUST_200600_302600_NS6detail15normal_iteratorINS9_10device_ptrIiEEEESE_SE_iNS9_4plusIiEE19head_flag_predicateiEE10hipError_tPvRmT2_T3_T4_T5_mT6_T7_P12ihipStream_tbENKUlT_T0_E_clISt17integral_constantIbLb0EESY_EEDaST_SU_EUlST_E_NS1_11comp_targetILNS1_3genE4ELNS1_11target_archE910ELNS1_3gpuE8ELNS1_3repE0EEENS1_30default_config_static_selectorELNS0_4arch9wavefront6targetE1EEEvT1_,@function
_ZN7rocprim17ROCPRIM_400000_NS6detail17trampoline_kernelINS0_14default_configENS1_27scan_by_key_config_selectorIiiEEZZNS1_16scan_by_key_implILNS1_25lookback_scan_determinismE0ELb1ES3_N6thrust23THRUST_200600_302600_NS6detail15normal_iteratorINS9_10device_ptrIiEEEESE_SE_iNS9_4plusIiEE19head_flag_predicateiEE10hipError_tPvRmT2_T3_T4_T5_mT6_T7_P12ihipStream_tbENKUlT_T0_E_clISt17integral_constantIbLb0EESY_EEDaST_SU_EUlST_E_NS1_11comp_targetILNS1_3genE4ELNS1_11target_archE910ELNS1_3gpuE8ELNS1_3repE0EEENS1_30default_config_static_selectorELNS0_4arch9wavefront6targetE1EEEvT1_: ; @_ZN7rocprim17ROCPRIM_400000_NS6detail17trampoline_kernelINS0_14default_configENS1_27scan_by_key_config_selectorIiiEEZZNS1_16scan_by_key_implILNS1_25lookback_scan_determinismE0ELb1ES3_N6thrust23THRUST_200600_302600_NS6detail15normal_iteratorINS9_10device_ptrIiEEEESE_SE_iNS9_4plusIiEE19head_flag_predicateiEE10hipError_tPvRmT2_T3_T4_T5_mT6_T7_P12ihipStream_tbENKUlT_T0_E_clISt17integral_constantIbLb0EESY_EEDaST_SU_EUlST_E_NS1_11comp_targetILNS1_3genE4ELNS1_11target_archE910ELNS1_3gpuE8ELNS1_3repE0EEENS1_30default_config_static_selectorELNS0_4arch9wavefront6targetE1EEEvT1_
; %bb.0:
	s_load_dwordx8 s[36:43], s[4:5], 0x0
	s_load_dword s56, s[4:5], 0x20
	s_load_dwordx4 s[44:47], s[4:5], 0x28
	s_load_dwordx2 s[52:53], s[4:5], 0x38
	s_load_dword s0, s[4:5], 0x40
	s_load_dwordx4 s[48:51], s[4:5], 0x48
	s_waitcnt lgkmcnt(0)
	s_lshl_b64 s[34:35], s[38:39], 2
	s_add_u32 s2, s36, s34
	s_addc_u32 s3, s37, s35
	s_add_u32 s4, s40, s34
	s_mul_i32 s1, s53, s0
	s_mul_hi_u32 s7, s52, s0
	s_addc_u32 s5, s41, s35
	s_add_i32 s8, s7, s1
	s_mul_i32 s9, s52, s0
	s_mul_i32 s0, s6, 0xe00
	s_mov_b32 s1, 0
	s_lshl_b64 s[36:37], s[0:1], 2
	s_add_u32 s38, s2, s36
	s_addc_u32 s39, s3, s37
	s_add_u32 s7, s4, s36
	s_addc_u32 s47, s5, s37
	;; [unrolled: 2-line block ×3, first 2 shown]
	s_add_u32 s4, s48, -1
	s_addc_u32 s5, s49, -1
	v_pk_mov_b32 v[2:3], s[4:5], s[4:5] op_sel:[0,1]
	v_cmp_ge_u64_e64 s[0:1], s[0:1], v[2:3]
	s_mov_b64 s[2:3], -1
	s_and_b64 vcc, exec, s[0:1]
	s_mul_i32 s33, s4, 0xfffff200
	s_barrier
	s_cbranch_vccz .LBB788_76
; %bb.1:
	v_pk_mov_b32 v[2:3], s[38:39], s[38:39] op_sel:[0,1]
	flat_load_dword v1, v[2:3]
	s_add_i32 s54, s33, s46
	v_cmp_gt_u32_e32 vcc, s54, v0
	s_waitcnt vmcnt(0) lgkmcnt(0)
	v_mov_b32_e32 v13, v1
	s_and_saveexec_b64 s[4:5], vcc
	s_cbranch_execz .LBB788_3
; %bb.2:
	v_lshlrev_b32_e32 v2, 2, v0
	v_mov_b32_e32 v3, s39
	v_add_co_u32_e64 v2, s[2:3], s38, v2
	v_addc_co_u32_e64 v3, s[2:3], 0, v3, s[2:3]
	flat_load_dword v13, v[2:3]
.LBB788_3:
	s_or_b64 exec, exec, s[4:5]
	v_or_b32_e32 v2, 0x100, v0
	v_cmp_gt_u32_e64 s[2:3], s54, v2
	v_mov_b32_e32 v14, v1
	s_and_saveexec_b64 s[8:9], s[2:3]
	s_cbranch_execz .LBB788_5
; %bb.4:
	v_lshlrev_b32_e32 v2, 2, v0
	v_mov_b32_e32 v3, s39
	v_add_co_u32_e64 v2, s[4:5], s38, v2
	v_addc_co_u32_e64 v3, s[4:5], 0, v3, s[4:5]
	flat_load_dword v14, v[2:3] offset:1024
.LBB788_5:
	s_or_b64 exec, exec, s[8:9]
	v_or_b32_e32 v2, 0x200, v0
	v_cmp_gt_u32_e64 s[4:5], s54, v2
	v_mov_b32_e32 v15, v1
	s_and_saveexec_b64 s[10:11], s[4:5]
	s_cbranch_execz .LBB788_7
; %bb.6:
	v_lshlrev_b32_e32 v2, 2, v0
	v_mov_b32_e32 v3, s39
	v_add_co_u32_e64 v2, s[8:9], s38, v2
	v_addc_co_u32_e64 v3, s[8:9], 0, v3, s[8:9]
	flat_load_dword v15, v[2:3] offset:2048
.LBB788_7:
	;; [unrolled: 13-line block ×3, first 2 shown]
	s_or_b64 exec, exec, s[10:11]
	v_or_b32_e32 v2, 0x400, v0
	v_cmp_gt_u32_e64 s[8:9], s54, v2
	v_lshlrev_b32_e32 v2, 2, v2
	v_mov_b32_e32 v17, v1
	s_and_saveexec_b64 s[12:13], s[8:9]
	s_cbranch_execz .LBB788_11
; %bb.10:
	v_mov_b32_e32 v3, s39
	v_add_co_u32_e64 v4, s[10:11], s38, v2
	v_addc_co_u32_e64 v5, s[10:11], 0, v3, s[10:11]
	flat_load_dword v17, v[4:5]
.LBB788_11:
	s_or_b64 exec, exec, s[12:13]
	v_or_b32_e32 v3, 0x500, v0
	v_cmp_gt_u32_e64 s[10:11], s54, v3
	v_lshlrev_b32_e32 v3, 2, v3
	v_mov_b32_e32 v18, v1
	s_and_saveexec_b64 s[14:15], s[10:11]
	s_cbranch_execz .LBB788_13
; %bb.12:
	v_mov_b32_e32 v5, s39
	v_add_co_u32_e64 v4, s[12:13], s38, v3
	v_addc_co_u32_e64 v5, s[12:13], 0, v5, s[12:13]
	flat_load_dword v18, v[4:5]
.LBB788_13:
	;; [unrolled: 13-line block ×9, first 2 shown]
	s_or_b64 exec, exec, s[30:31]
	v_or_b32_e32 v11, 0xd00, v0
	v_cmp_gt_u32_e64 s[26:27], s54, v11
	v_lshlrev_b32_e32 v11, 2, v11
	s_and_saveexec_b64 s[40:41], s[26:27]
	s_cbranch_execz .LBB788_29
; %bb.28:
	v_mov_b32_e32 v1, s39
	v_add_co_u32_e64 v26, s[30:31], s38, v11
	v_addc_co_u32_e64 v27, s[30:31], 0, v1, s[30:31]
	flat_load_dword v1, v[26:27]
.LBB788_29:
	s_or_b64 exec, exec, s[40:41]
	v_lshlrev_b32_e32 v12, 2, v0
	s_waitcnt vmcnt(0) lgkmcnt(0)
	ds_write2st64_b32 v12, v13, v14 offset1:4
	ds_write2st64_b32 v12, v15, v16 offset0:8 offset1:12
	ds_write2st64_b32 v12, v17, v18 offset0:16 offset1:20
	;; [unrolled: 1-line block ×6, first 2 shown]
	v_pk_mov_b32 v[14:15], s[38:39], s[38:39] op_sel:[0,1]
	s_waitcnt lgkmcnt(0)
	s_barrier
	flat_load_dword v1, v[14:15]
	v_mad_u32_u24 v42, v0, 52, v12
	s_movk_i32 s30, 0xffcc
	ds_read2_b64 v[34:37], v42 offset1:1
	ds_read2_b64 v[30:33], v42 offset0:2 offset1:3
	ds_read2_b64 v[26:29], v42 offset0:4 offset1:5
	ds_read_b64 v[40:41], v42 offset:48
	v_mad_i32_i24 v13, v0, s30, v42
	s_movk_i32 s30, 0xff
	v_cmp_ne_u32_e64 s[30:31], s30, v0
	s_waitcnt lgkmcnt(0)
	ds_write_b32 v13, v34 offset:15360
	s_waitcnt lgkmcnt(0)
	s_barrier
	s_and_saveexec_b64 s[40:41], s[30:31]
	s_cbranch_execz .LBB788_31
; %bb.30:
	s_waitcnt vmcnt(0)
	ds_read_b32 v1, v12 offset:15364
.LBB788_31:
	s_or_b64 exec, exec, s[40:41]
	s_waitcnt lgkmcnt(0)
	s_barrier
	s_waitcnt lgkmcnt(0)
                                        ; implicit-def: $vgpr13
	s_and_saveexec_b64 s[30:31], vcc
	s_cbranch_execz .LBB788_113
; %bb.32:
	v_mov_b32_e32 v13, s47
	v_add_co_u32_e32 v14, vcc, s7, v12
	v_addc_co_u32_e32 v15, vcc, 0, v13, vcc
	flat_load_dword v13, v[14:15]
	s_or_b64 exec, exec, s[30:31]
                                        ; implicit-def: $vgpr14
	s_and_saveexec_b64 s[30:31], s[2:3]
	s_cbranch_execnz .LBB788_114
.LBB788_33:
	s_or_b64 exec, exec, s[30:31]
                                        ; implicit-def: $vgpr15
	s_and_saveexec_b64 s[2:3], s[4:5]
	s_cbranch_execz .LBB788_115
.LBB788_34:
	v_mov_b32_e32 v15, s47
	v_add_co_u32_e32 v16, vcc, s7, v12
	v_addc_co_u32_e32 v17, vcc, 0, v15, vcc
	flat_load_dword v15, v[16:17] offset:2048
	s_or_b64 exec, exec, s[2:3]
                                        ; implicit-def: $vgpr16
	s_and_saveexec_b64 s[2:3], s[28:29]
	s_cbranch_execnz .LBB788_116
.LBB788_35:
	s_or_b64 exec, exec, s[2:3]
                                        ; implicit-def: $vgpr17
	s_and_saveexec_b64 s[2:3], s[8:9]
	s_cbranch_execz .LBB788_117
.LBB788_36:
	v_mov_b32_e32 v17, s47
	v_add_co_u32_e32 v18, vcc, s7, v2
	v_addc_co_u32_e32 v19, vcc, 0, v17, vcc
	flat_load_dword v17, v[18:19]
	s_or_b64 exec, exec, s[2:3]
                                        ; implicit-def: $vgpr2
	s_and_saveexec_b64 s[2:3], s[10:11]
	s_cbranch_execnz .LBB788_118
.LBB788_37:
	s_or_b64 exec, exec, s[2:3]
                                        ; implicit-def: $vgpr3
	s_and_saveexec_b64 s[2:3], s[12:13]
	s_cbranch_execz .LBB788_119
.LBB788_38:
	v_mov_b32_e32 v3, s47
	v_add_co_u32_e32 v18, vcc, s7, v4
	v_addc_co_u32_e32 v19, vcc, 0, v3, vcc
	flat_load_dword v3, v[18:19]
	s_or_b64 exec, exec, s[2:3]
                                        ; implicit-def: $vgpr4
	s_and_saveexec_b64 s[2:3], s[14:15]
	s_cbranch_execnz .LBB788_120
.LBB788_39:
	s_or_b64 exec, exec, s[2:3]
                                        ; implicit-def: $vgpr5
	s_and_saveexec_b64 s[2:3], s[16:17]
	s_cbranch_execz .LBB788_121
.LBB788_40:
	v_mov_b32_e32 v5, s47
	v_add_co_u32_e32 v18, vcc, s7, v6
	v_addc_co_u32_e32 v19, vcc, 0, v5, vcc
	flat_load_dword v5, v[18:19]
	s_or_b64 exec, exec, s[2:3]
                                        ; implicit-def: $vgpr6
	s_and_saveexec_b64 s[2:3], s[18:19]
	s_cbranch_execnz .LBB788_122
.LBB788_41:
	s_or_b64 exec, exec, s[2:3]
                                        ; implicit-def: $vgpr7
	s_and_saveexec_b64 s[2:3], s[20:21]
	s_cbranch_execz .LBB788_123
.LBB788_42:
	v_mov_b32_e32 v7, s47
	v_add_co_u32_e32 v18, vcc, s7, v8
	v_addc_co_u32_e32 v19, vcc, 0, v7, vcc
	flat_load_dword v7, v[18:19]
	s_or_b64 exec, exec, s[2:3]
                                        ; implicit-def: $vgpr8
	s_and_saveexec_b64 s[2:3], s[22:23]
	s_cbranch_execnz .LBB788_124
.LBB788_43:
	s_or_b64 exec, exec, s[2:3]
                                        ; implicit-def: $vgpr9
	s_and_saveexec_b64 s[2:3], s[24:25]
	s_cbranch_execz .LBB788_45
.LBB788_44:
	v_mov_b32_e32 v9, s47
	v_add_co_u32_e32 v18, vcc, s7, v10
	v_addc_co_u32_e32 v19, vcc, 0, v9, vcc
	flat_load_dword v9, v[18:19]
.LBB788_45:
	s_or_b64 exec, exec, s[2:3]
	v_mul_u32_u24_e32 v43, 14, v0
                                        ; implicit-def: $vgpr10
	s_and_saveexec_b64 s[2:3], s[26:27]
	s_cbranch_execz .LBB788_47
; %bb.46:
	v_mov_b32_e32 v18, s47
	v_add_co_u32_e32 v10, vcc, s7, v11
	v_addc_co_u32_e32 v11, vcc, 0, v18, vcc
	flat_load_dword v10, v[10:11]
.LBB788_47:
	s_or_b64 exec, exec, s[2:3]
	s_mov_b32 s8, 0
	s_mov_b32 s9, s8
	s_waitcnt vmcnt(0) lgkmcnt(0)
	ds_write2st64_b32 v12, v13, v14 offset1:4
	ds_write2st64_b32 v12, v15, v16 offset0:8 offset1:12
	ds_write2st64_b32 v12, v17, v2 offset0:16 offset1:20
	;; [unrolled: 1-line block ×6, first 2 shown]
	s_mov_b32 s10, s8
	s_mov_b32 s11, s8
	s_mov_b32 s12, s8
	s_mov_b32 s13, s8
	s_mov_b32 s14, s8
	s_mov_b32 s15, s8
	v_pk_mov_b32 v[2:3], s[8:9], s[8:9] op_sel:[0,1]
	v_pk_mov_b32 v[8:9], s[14:15], s[14:15] op_sel:[0,1]
	;; [unrolled: 1-line block ×6, first 2 shown]
	v_cmp_gt_u32_e32 vcc, s54, v43
	s_mov_b64 s[2:3], 0
	v_pk_mov_b32 v[38:39], 0, 0
	s_mov_b64 s[18:19], 0
	v_pk_mov_b32 v[14:15], v[6:7], v[6:7] op_sel:[0,1]
	v_pk_mov_b32 v[12:13], v[4:5], v[4:5] op_sel:[0,1]
	;; [unrolled: 1-line block ×6, first 2 shown]
	s_waitcnt lgkmcnt(0)
	s_barrier
	s_waitcnt lgkmcnt(0)
                                        ; implicit-def: $sgpr16_sgpr17
                                        ; implicit-def: $vgpr34
	s_and_saveexec_b64 s[4:5], vcc
	s_cbranch_execz .LBB788_75
; %bb.48:
	ds_read_b32 v2, v42
	v_mov_b32_e32 v4, s56
	v_cmp_eq_u32_e32 vcc, 0, v35
	v_or_b32_e32 v3, 1, v43
                                        ; implicit-def: $vgpr34
	s_waitcnt lgkmcnt(0)
	v_cndmask_b32_e32 v38, v4, v2, vcc
	v_cmp_ne_u32_e32 vcc, 0, v35
	v_cndmask_b32_e64 v39, 0, 1, vcc
	v_cmp_gt_u32_e32 vcc, s54, v3
	v_pk_mov_b32 v[2:3], s[8:9], s[8:9] op_sel:[0,1]
	v_pk_mov_b32 v[8:9], s[14:15], s[14:15] op_sel:[0,1]
	;; [unrolled: 1-line block ×12, first 2 shown]
                                        ; implicit-def: $sgpr8_sgpr9
	s_and_saveexec_b64 s[16:17], vcc
	s_cbranch_execz .LBB788_74
; %bb.49:
	ds_read2_b32 v[34:35], v42 offset0:1 offset1:2
	s_mov_b32 s8, 0
	v_mov_b32_e32 v3, s56
	v_cmp_eq_u32_e32 vcc, 0, v36
	s_mov_b32 s14, s8
	s_mov_b32 s15, s8
	v_add_u32_e32 v2, 2, v43
	s_waitcnt lgkmcnt(0)
	v_cndmask_b32_e32 v8, v3, v34, vcc
	v_cmp_ne_u32_e32 vcc, 0, v36
	s_mov_b32 s9, s8
	s_mov_b32 s10, s8
	;; [unrolled: 1-line block ×5, first 2 shown]
	v_pk_mov_b32 v[16:17], s[14:15], s[14:15] op_sel:[0,1]
	v_cndmask_b32_e64 v9, 0, 1, vcc
	v_cmp_gt_u32_e32 vcc, s54, v2
	v_mov_b32_e32 v2, 0
	v_pk_mov_b32 v[14:15], s[12:13], s[12:13] op_sel:[0,1]
	v_pk_mov_b32 v[12:13], s[10:11], s[10:11] op_sel:[0,1]
	;; [unrolled: 1-line block ×4, first 2 shown]
	v_mov_b32_e32 v3, v2
	v_mov_b32_e32 v4, v2
	;; [unrolled: 1-line block ×5, first 2 shown]
	s_mov_b64 s[20:21], 0
	v_pk_mov_b32 v[22:23], v[14:15], v[14:15] op_sel:[0,1]
	v_pk_mov_b32 v[20:21], v[12:13], v[12:13] op_sel:[0,1]
	;; [unrolled: 1-line block ×3, first 2 shown]
                                        ; implicit-def: $sgpr24_sgpr25
                                        ; implicit-def: $vgpr34
	s_and_saveexec_b64 s[18:19], vcc
	s_cbranch_execz .LBB788_73
; %bb.50:
	v_mov_b32_e32 v4, s56
	v_cmp_eq_u32_e32 vcc, 0, v37
	v_pk_mov_b32 v[16:17], s[14:15], s[14:15] op_sel:[0,1]
	v_add_u32_e32 v3, 3, v43
	v_cndmask_b32_e32 v6, v4, v35, vcc
	v_cmp_ne_u32_e32 vcc, 0, v37
	v_pk_mov_b32 v[14:15], s[12:13], s[12:13] op_sel:[0,1]
	v_pk_mov_b32 v[12:13], s[10:11], s[10:11] op_sel:[0,1]
	;; [unrolled: 1-line block ×4, first 2 shown]
	v_cndmask_b32_e64 v7, 0, 1, vcc
	v_cmp_gt_u32_e32 vcc, s54, v3
	v_mov_b32_e32 v3, v2
	v_mov_b32_e32 v4, v2
	;; [unrolled: 1-line block ×3, first 2 shown]
	s_mov_b64 s[22:23], 0
	v_pk_mov_b32 v[22:23], v[14:15], v[14:15] op_sel:[0,1]
	v_pk_mov_b32 v[20:21], v[12:13], v[12:13] op_sel:[0,1]
	;; [unrolled: 1-line block ×3, first 2 shown]
                                        ; implicit-def: $sgpr8_sgpr9
                                        ; implicit-def: $vgpr34
	s_and_saveexec_b64 s[20:21], vcc
	s_cbranch_execz .LBB788_72
; %bb.51:
	ds_read2_b32 v[34:35], v42 offset0:3 offset1:4
	s_mov_b32 s8, 0
	s_mov_b32 s14, s8
	;; [unrolled: 1-line block ×3, first 2 shown]
	v_mov_b32_e32 v3, s56
	v_cmp_eq_u32_e32 vcc, 0, v30
	s_mov_b32 s9, s8
	s_mov_b32 s10, s8
	;; [unrolled: 1-line block ×5, first 2 shown]
	v_pk_mov_b32 v[16:17], s[14:15], s[14:15] op_sel:[0,1]
	v_add_u32_e32 v2, 4, v43
	s_waitcnt lgkmcnt(0)
	v_cndmask_b32_e32 v4, v3, v34, vcc
	v_cmp_ne_u32_e32 vcc, 0, v30
	v_pk_mov_b32 v[14:15], s[12:13], s[12:13] op_sel:[0,1]
	v_pk_mov_b32 v[12:13], s[10:11], s[10:11] op_sel:[0,1]
	;; [unrolled: 1-line block ×4, first 2 shown]
	v_cndmask_b32_e64 v5, 0, 1, vcc
	v_cmp_gt_u32_e32 vcc, s54, v2
	v_mov_b32_e32 v2, s8
	v_mov_b32_e32 v3, s8
	s_mov_b64 s[24:25], 0
	v_pk_mov_b32 v[22:23], v[14:15], v[14:15] op_sel:[0,1]
	v_pk_mov_b32 v[20:21], v[12:13], v[12:13] op_sel:[0,1]
	;; [unrolled: 1-line block ×3, first 2 shown]
                                        ; implicit-def: $sgpr26_sgpr27
                                        ; implicit-def: $vgpr34
	s_and_saveexec_b64 s[22:23], vcc
	s_cbranch_execz .LBB788_71
; %bb.52:
	v_mov_b32_e32 v2, s56
	v_cmp_eq_u32_e32 vcc, 0, v31
	v_add_u32_e32 v10, 5, v43
	v_cndmask_b32_e32 v2, v2, v35, vcc
	v_cmp_ne_u32_e32 vcc, 0, v31
	v_cndmask_b32_e64 v3, 0, 1, vcc
	v_cmp_gt_u32_e32 vcc, s54, v10
	v_pk_mov_b32 v[16:17], s[14:15], s[14:15] op_sel:[0,1]
	v_pk_mov_b32 v[14:15], s[12:13], s[12:13] op_sel:[0,1]
	;; [unrolled: 1-line block ×5, first 2 shown]
	s_mov_b64 s[28:29], 0
	v_pk_mov_b32 v[22:23], v[14:15], v[14:15] op_sel:[0,1]
	v_pk_mov_b32 v[20:21], v[12:13], v[12:13] op_sel:[0,1]
	;; [unrolled: 1-line block ×3, first 2 shown]
                                        ; implicit-def: $sgpr8_sgpr9
                                        ; implicit-def: $vgpr34
	s_and_saveexec_b64 s[24:25], vcc
	s_cbranch_execz .LBB788_70
; %bb.53:
	ds_read2_b32 v[30:31], v42 offset0:5 offset1:6
	s_mov_b32 s8, 0
	v_mov_b32_e32 v11, s56
	v_cmp_eq_u32_e32 vcc, 0, v32
	v_add_u32_e32 v10, 6, v43
	s_waitcnt lgkmcnt(0)
	v_cndmask_b32_e32 v16, v11, v30, vcc
	v_cmp_ne_u32_e32 vcc, 0, v32
	s_mov_b32 s14, s8
	s_mov_b32 s15, s8
	v_cndmask_b32_e64 v17, 0, 1, vcc
	v_cmp_gt_u32_e32 vcc, s54, v10
	v_mov_b32_e32 v10, 0
	s_mov_b32 s9, s8
	s_mov_b32 s10, s8
	;; [unrolled: 1-line block ×5, first 2 shown]
	v_pk_mov_b32 v[24:25], s[14:15], s[14:15] op_sel:[0,1]
	v_mov_b32_e32 v11, v10
	v_mov_b32_e32 v12, v10
	;; [unrolled: 1-line block ×5, first 2 shown]
	v_pk_mov_b32 v[22:23], s[12:13], s[12:13] op_sel:[0,1]
	v_pk_mov_b32 v[20:21], s[10:11], s[10:11] op_sel:[0,1]
	;; [unrolled: 1-line block ×3, first 2 shown]
                                        ; implicit-def: $sgpr40_sgpr41
                                        ; implicit-def: $vgpr34
	s_and_saveexec_b64 s[26:27], vcc
	s_cbranch_execz .LBB788_69
; %bb.54:
	v_mov_b32_e32 v12, s56
	v_cmp_eq_u32_e32 vcc, 0, v33
	v_add_u32_e32 v11, 7, v43
	v_cndmask_b32_e32 v14, v12, v31, vcc
	v_cmp_ne_u32_e32 vcc, 0, v33
	v_pk_mov_b32 v[24:25], s[14:15], s[14:15] op_sel:[0,1]
	v_cndmask_b32_e64 v15, 0, 1, vcc
	v_cmp_gt_u32_e32 vcc, s54, v11
	v_mov_b32_e32 v11, v10
	v_mov_b32_e32 v12, v10
	;; [unrolled: 1-line block ×3, first 2 shown]
	s_mov_b64 s[30:31], 0
	v_pk_mov_b32 v[22:23], s[12:13], s[12:13] op_sel:[0,1]
	v_pk_mov_b32 v[20:21], s[10:11], s[10:11] op_sel:[0,1]
	v_pk_mov_b32 v[18:19], s[8:9], s[8:9] op_sel:[0,1]
                                        ; implicit-def: $sgpr8_sgpr9
                                        ; implicit-def: $vgpr34
	s_and_saveexec_b64 s[28:29], vcc
	s_cbranch_execz .LBB788_68
; %bb.55:
	ds_read2_b32 v[30:31], v42 offset0:7 offset1:8
	s_mov_b32 s8, 0
	v_mov_b32_e32 v11, s56
	v_cmp_eq_u32_e32 vcc, 0, v26
	s_mov_b32 s14, s8
	s_mov_b32 s15, s8
	v_add_u32_e32 v10, 8, v43
	s_waitcnt lgkmcnt(0)
	v_cndmask_b32_e32 v12, v11, v30, vcc
	v_cmp_ne_u32_e32 vcc, 0, v26
	s_mov_b32 s9, s8
	s_mov_b32 s10, s8
	s_mov_b32 s11, s8
	s_mov_b32 s12, s8
	s_mov_b32 s13, s8
	v_pk_mov_b32 v[24:25], s[14:15], s[14:15] op_sel:[0,1]
	v_cndmask_b32_e64 v13, 0, 1, vcc
	v_cmp_gt_u32_e32 vcc, s54, v10
	v_mov_b32_e32 v10, s8
	v_mov_b32_e32 v11, s8
	s_mov_b64 s[40:41], 0
	v_pk_mov_b32 v[22:23], s[12:13], s[12:13] op_sel:[0,1]
	v_pk_mov_b32 v[20:21], s[10:11], s[10:11] op_sel:[0,1]
	;; [unrolled: 1-line block ×3, first 2 shown]
                                        ; implicit-def: $sgpr48_sgpr49
                                        ; implicit-def: $vgpr34
	s_and_saveexec_b64 s[30:31], vcc
	s_cbranch_execz .LBB788_67
; %bb.56:
	v_mov_b32_e32 v10, s56
	v_cmp_eq_u32_e32 vcc, 0, v27
	v_add_u32_e32 v18, 9, v43
	v_cndmask_b32_e32 v10, v10, v31, vcc
	v_cmp_ne_u32_e32 vcc, 0, v27
	v_cndmask_b32_e64 v11, 0, 1, vcc
	v_cmp_gt_u32_e32 vcc, s54, v18
	v_pk_mov_b32 v[24:25], s[14:15], s[14:15] op_sel:[0,1]
	v_pk_mov_b32 v[22:23], s[12:13], s[12:13] op_sel:[0,1]
	;; [unrolled: 1-line block ×4, first 2 shown]
                                        ; implicit-def: $sgpr10_sgpr11
                                        ; implicit-def: $vgpr34
	s_and_saveexec_b64 s[8:9], vcc
	s_cbranch_execz .LBB788_66
; %bb.57:
	ds_read2_b32 v[26:27], v42 offset0:9 offset1:10
	v_mov_b32_e32 v18, s56
	v_cmp_eq_u32_e32 vcc, 0, v28
	v_add_u32_e32 v20, 10, v43
	v_mov_b32_e32 v22, 0
	s_waitcnt lgkmcnt(0)
	v_cndmask_b32_e32 v18, v18, v26, vcc
	v_cmp_ne_u32_e32 vcc, 0, v28
	v_cndmask_b32_e64 v19, 0, 1, vcc
	v_cmp_gt_u32_e32 vcc, s54, v20
	v_mov_b32_e32 v20, v22
	v_mov_b32_e32 v21, v22
	;; [unrolled: 1-line block ×5, first 2 shown]
	s_mov_b64 s[12:13], 0
                                        ; implicit-def: $sgpr40_sgpr41
                                        ; implicit-def: $vgpr34
	s_and_saveexec_b64 s[10:11], vcc
	s_cbranch_execz .LBB788_65
; %bb.58:
	v_mov_b32_e32 v20, s56
	v_cmp_eq_u32_e32 vcc, 0, v29
	v_add_u32_e32 v23, 11, v43
	v_cndmask_b32_e32 v20, v20, v27, vcc
	v_cmp_ne_u32_e32 vcc, 0, v29
	v_cndmask_b32_e64 v21, 0, 1, vcc
	v_cmp_gt_u32_e32 vcc, s54, v23
	v_mov_b32_e32 v23, v22
	v_mov_b32_e32 v24, v22
	;; [unrolled: 1-line block ×3, first 2 shown]
	s_mov_b64 s[14:15], 0
                                        ; implicit-def: $sgpr48_sgpr49
                                        ; implicit-def: $vgpr34
	s_and_saveexec_b64 s[12:13], vcc
	s_cbranch_execz .LBB788_64
; %bb.59:
	ds_read2_b32 v[26:27], v42 offset0:11 offset1:12
	v_mov_b32_e32 v22, s56
	v_cmp_eq_u32_e32 vcc, 0, v40
	v_add_u32_e32 v24, 12, v43
	s_mov_b32 s14, 0
	s_waitcnt lgkmcnt(0)
	v_cndmask_b32_e32 v22, v22, v26, vcc
	v_cmp_ne_u32_e32 vcc, 0, v40
	v_cndmask_b32_e64 v23, 0, 1, vcc
	v_cmp_gt_u32_e32 vcc, s54, v24
	v_mov_b32_e32 v24, s14
	v_mov_b32_e32 v25, s14
	s_mov_b64 s[40:41], 0
                                        ; implicit-def: $sgpr48_sgpr49
                                        ; implicit-def: $vgpr34
	s_and_saveexec_b64 s[14:15], vcc
	s_cbranch_execz .LBB788_63
; %bb.60:
	v_mov_b32_e32 v24, s56
	v_cmp_eq_u32_e32 vcc, 0, v41
	v_add_u32_e32 v26, 13, v43
	v_cndmask_b32_e32 v24, v24, v27, vcc
	v_cmp_ne_u32_e32 vcc, 0, v41
	v_cndmask_b32_e64 v25, 0, 1, vcc
	v_cmp_gt_u32_e32 vcc, s54, v26
                                        ; implicit-def: $sgpr48_sgpr49
                                        ; implicit-def: $vgpr34
	s_and_saveexec_b64 s[54:55], vcc
	s_xor_b64 s[54:55], exec, s[54:55]
	s_cbranch_execz .LBB788_62
; %bb.61:
	ds_read_b32 v26, v42 offset:52
	v_mov_b32_e32 v27, s56
	v_cmp_ne_u32_e32 vcc, 0, v1
	s_mov_b64 s[40:41], exec
	s_and_b64 s[48:49], vcc, exec
	s_waitcnt lgkmcnt(0)
	v_cndmask_b32_e32 v34, v26, v27, vcc
.LBB788_62:
	s_or_b64 exec, exec, s[54:55]
	s_and_b64 s[48:49], s[48:49], exec
	s_and_b64 s[40:41], s[40:41], exec
.LBB788_63:
	s_or_b64 exec, exec, s[14:15]
	s_and_b64 s[48:49], s[48:49], exec
	s_and_b64 s[14:15], s[40:41], exec
.LBB788_64:
	s_or_b64 exec, exec, s[12:13]
	s_and_b64 s[40:41], s[48:49], exec
	s_and_b64 s[12:13], s[14:15], exec
.LBB788_65:
	s_or_b64 exec, exec, s[10:11]
	s_and_b64 s[10:11], s[40:41], exec
	s_and_b64 s[40:41], s[12:13], exec
.LBB788_66:
	s_or_b64 exec, exec, s[8:9]
	s_and_b64 s[48:49], s[10:11], exec
	s_and_b64 s[40:41], s[40:41], exec
.LBB788_67:
	s_or_b64 exec, exec, s[30:31]
	s_and_b64 s[8:9], s[48:49], exec
	s_and_b64 s[30:31], s[40:41], exec
.LBB788_68:
	s_or_b64 exec, exec, s[28:29]
	s_and_b64 s[40:41], s[8:9], exec
	s_and_b64 s[28:29], s[30:31], exec
.LBB788_69:
	s_or_b64 exec, exec, s[26:27]
	s_and_b64 s[8:9], s[40:41], exec
	s_and_b64 s[28:29], s[28:29], exec
.LBB788_70:
	s_or_b64 exec, exec, s[24:25]
	s_and_b64 s[26:27], s[8:9], exec
	s_and_b64 s[24:25], s[28:29], exec
.LBB788_71:
	s_or_b64 exec, exec, s[22:23]
	s_and_b64 s[8:9], s[26:27], exec
	s_and_b64 s[22:23], s[24:25], exec
.LBB788_72:
	s_or_b64 exec, exec, s[20:21]
	s_and_b64 s[24:25], s[8:9], exec
	s_and_b64 s[20:21], s[22:23], exec
.LBB788_73:
	s_or_b64 exec, exec, s[18:19]
	s_and_b64 s[8:9], s[24:25], exec
	s_and_b64 s[18:19], s[20:21], exec
.LBB788_74:
	s_or_b64 exec, exec, s[16:17]
	s_and_b64 s[16:17], s[8:9], exec
	s_and_b64 s[18:19], s[18:19], exec
.LBB788_75:
	s_or_b64 exec, exec, s[4:5]
	s_and_b64 vcc, exec, s[2:3]
	v_lshlrev_b32_e32 v50, 2, v0
	s_cbranch_vccnz .LBB788_77
	s_branch .LBB788_82
.LBB788_76:
	s_mov_b64 s[18:19], 0
                                        ; implicit-def: $sgpr16_sgpr17
                                        ; implicit-def: $vgpr2_vgpr3_vgpr4_vgpr5_vgpr6_vgpr7_vgpr8_vgpr9
                                        ; implicit-def: $vgpr10_vgpr11_vgpr12_vgpr13_vgpr14_vgpr15_vgpr16_vgpr17
                                        ; implicit-def: $vgpr18_vgpr19_vgpr20_vgpr21_vgpr22_vgpr23_vgpr24_vgpr25
                                        ; implicit-def: $vgpr34
                                        ; implicit-def: $vgpr38_vgpr39
	s_and_b64 vcc, exec, s[2:3]
	v_lshlrev_b32_e32 v50, 2, v0
	s_cbranch_vccz .LBB788_82
.LBB788_77:
	v_mov_b32_e32 v1, s39
	v_add_co_u32_e32 v2, vcc, s38, v50
	v_addc_co_u32_e32 v3, vcc, 0, v1, vcc
	v_add_co_u32_e32 v4, vcc, 0x1000, v2
	v_addc_co_u32_e32 v5, vcc, 0, v3, vcc
	flat_load_dword v1, v[2:3]
	flat_load_dword v6, v[2:3] offset:1024
	flat_load_dword v7, v[2:3] offset:2048
	flat_load_dword v8, v[2:3] offset:3072
	flat_load_dword v9, v[4:5]
	flat_load_dword v10, v[4:5] offset:1024
	flat_load_dword v11, v[4:5] offset:2048
	;; [unrolled: 1-line block ×3, first 2 shown]
	v_add_co_u32_e32 v4, vcc, 0x2000, v2
	v_addc_co_u32_e32 v5, vcc, 0, v3, vcc
	v_add_co_u32_e32 v2, vcc, 0x3000, v2
	v_addc_co_u32_e32 v3, vcc, 0, v3, vcc
	flat_load_dword v13, v[4:5]
	flat_load_dword v14, v[4:5] offset:1024
	flat_load_dword v15, v[4:5] offset:2048
	;; [unrolled: 1-line block ×3, first 2 shown]
	flat_load_dword v17, v[2:3]
	flat_load_dword v18, v[2:3] offset:1024
	v_mov_b32_e32 v2, s38
	v_mov_b32_e32 v3, s39
	v_add_co_u32_e32 v2, vcc, 0x3000, v2
	v_addc_co_u32_e32 v3, vcc, 0, v3, vcc
	s_movk_i32 s4, 0xffcc
	s_movk_i32 s9, 0x1000
	s_mov_b32 s2, 0
	s_movk_i32 s8, 0x2000
	s_movk_i32 s3, 0x3000
	s_waitcnt vmcnt(0) lgkmcnt(0)
	ds_write2st64_b32 v50, v1, v6 offset1:4
	ds_write2st64_b32 v50, v7, v8 offset0:8 offset1:12
	ds_write2st64_b32 v50, v9, v10 offset0:16 offset1:20
	;; [unrolled: 1-line block ×6, first 2 shown]
	s_waitcnt lgkmcnt(0)
	s_barrier
	flat_load_dword v1, v[2:3] offset:2048
	v_mad_u32_u24 v8, v0, 52, v50
	ds_read_b64 v[2:3], v8
	ds_read2_b64 v[10:13], v8 offset0:1 offset1:2
	ds_read2_b64 v[18:21], v8 offset0:3 offset1:4
	ds_read2_b64 v[26:29], v8 offset0:5 offset1:6
	v_mad_i32_i24 v4, v0, s4, v8
	s_movk_i32 s4, 0xff
	v_cmp_ne_u32_e32 vcc, s4, v0
	s_waitcnt lgkmcnt(0)
	ds_write_b32 v4, v2 offset:15360
	s_waitcnt lgkmcnt(0)
	s_barrier
	s_and_saveexec_b64 s[4:5], vcc
	s_cbranch_execz .LBB788_79
; %bb.78:
	s_waitcnt vmcnt(0)
	ds_read_b32 v1, v50 offset:15364
.LBB788_79:
	s_or_b64 exec, exec, s[4:5]
	v_mov_b32_e32 v2, s47
	v_add_co_u32_e32 v4, vcc, s7, v50
	v_addc_co_u32_e32 v5, vcc, 0, v2, vcc
	v_add_co_u32_e32 v6, vcc, s9, v4
	v_addc_co_u32_e32 v7, vcc, 0, v5, vcc
	s_waitcnt lgkmcnt(0)
	s_barrier
	flat_load_dword v2, v[4:5]
	flat_load_dword v9, v[4:5] offset:1024
	flat_load_dword v14, v[4:5] offset:2048
	flat_load_dword v15, v[4:5] offset:3072
	flat_load_dword v16, v[6:7]
	flat_load_dword v17, v[6:7] offset:1024
	flat_load_dword v22, v[6:7] offset:2048
	flat_load_dword v23, v[6:7] offset:3072
	v_add_co_u32_e32 v6, vcc, s8, v4
	v_addc_co_u32_e32 v7, vcc, 0, v5, vcc
	v_add_co_u32_e32 v4, vcc, s3, v4
	v_addc_co_u32_e32 v5, vcc, 0, v5, vcc
	flat_load_dword v24, v[6:7]
	flat_load_dword v25, v[6:7] offset:1024
	flat_load_dword v30, v[6:7] offset:2048
	;; [unrolled: 1-line block ×3, first 2 shown]
	flat_load_dword v32, v[4:5]
	flat_load_dword v33, v[4:5] offset:1024
	s_mov_b32 s3, 1
	v_cmp_eq_u32_e32 vcc, 0, v3
	v_pk_mov_b32 v[38:39], s[2:3], s[2:3] op_sel:[0,1]
	s_waitcnt vmcnt(0) lgkmcnt(0)
	ds_write2st64_b32 v50, v2, v9 offset1:4
	ds_write2st64_b32 v50, v14, v15 offset0:8 offset1:12
	ds_write2st64_b32 v50, v16, v17 offset0:16 offset1:20
	;; [unrolled: 1-line block ×6, first 2 shown]
	s_waitcnt lgkmcnt(0)
	s_barrier
	ds_read2_b32 v[24:25], v8 offset0:7 offset1:8
	ds_read2_b32 v[14:15], v8 offset0:5 offset1:6
	ds_read2_b32 v[4:5], v8 offset0:3 offset1:4
	ds_read2_b32 v[6:7], v8 offset0:1 offset1:2
	ds_read_b32 v32, v8 offset:52
	ds_read2_b32 v[22:23], v8 offset0:11 offset1:12
	ds_read2_b32 v[30:31], v8 offset0:9 offset1:10
	v_mov_b32_e32 v2, s56
	s_and_saveexec_b64 s[2:3], vcc
	s_cbranch_execz .LBB788_81
; %bb.80:
	ds_read_b32 v2, v8
	v_pk_mov_b32 v[38:39], 0, 0
.LBB788_81:
	s_or_b64 exec, exec, s[2:3]
	v_mov_b32_e32 v33, s56
	v_cmp_eq_u32_e32 vcc, 0, v10
	s_waitcnt lgkmcnt(3)
	v_cndmask_b32_e32 v8, v33, v6, vcc
	v_cmp_eq_u32_e32 vcc, 0, v11
	v_cndmask_b32_e32 v6, v33, v7, vcc
	v_cmp_eq_u32_e32 vcc, 0, v12
	;; [unrolled: 2-line block ×3, first 2 shown]
	s_waitcnt lgkmcnt(0)
	v_or_b32_e32 v38, v38, v2
	v_cndmask_b32_e32 v2, v33, v5, vcc
	v_cmp_ne_u32_e32 vcc, 0, v10
	v_cndmask_b32_e64 v9, 0, 1, vcc
	v_cmp_ne_u32_e32 vcc, 0, v11
	v_cndmask_b32_e64 v7, 0, 1, vcc
	;; [unrolled: 2-line block ×4, first 2 shown]
	v_cmp_eq_u32_e32 vcc, 0, v18
	v_cndmask_b32_e32 v16, v33, v14, vcc
	v_cmp_eq_u32_e32 vcc, 0, v19
	v_cndmask_b32_e32 v14, v33, v15, vcc
	;; [unrolled: 2-line block ×4, first 2 shown]
	v_cmp_ne_u32_e32 vcc, 0, v18
	v_cndmask_b32_e64 v17, 0, 1, vcc
	v_cmp_ne_u32_e32 vcc, 0, v19
	v_cndmask_b32_e64 v15, 0, 1, vcc
	;; [unrolled: 2-line block ×4, first 2 shown]
	v_cmp_eq_u32_e32 vcc, 0, v29
	v_cndmask_b32_e32 v24, v33, v23, vcc
	v_cmp_eq_u32_e32 vcc, 0, v28
	v_cndmask_b32_e32 v22, v33, v22, vcc
	;; [unrolled: 2-line block ×4, first 2 shown]
	v_cmp_ne_u32_e32 vcc, 0, v29
	v_cndmask_b32_e64 v25, 0, 1, vcc
	v_cmp_ne_u32_e32 vcc, 0, v28
	v_cndmask_b32_e64 v23, 0, 1, vcc
	;; [unrolled: 2-line block ×3, first 2 shown]
	v_cmp_ne_u32_e32 vcc, 0, v26
	v_cmp_ne_u32_e64 s[16:17], 0, v1
	v_cndmask_b32_e64 v19, 0, 1, vcc
	v_cndmask_b32_e64 v34, v32, v33, s[16:17]
	s_mov_b64 s[18:19], -1
                                        ; implicit-def: $sgpr2_sgpr3
.LBB788_82:
	v_pk_mov_b32 v[40:41], s[2:3], s[2:3] op_sel:[0,1]
	s_and_saveexec_b64 s[2:3], s[18:19]
; %bb.83:
	v_cndmask_b32_e64 v35, 0, 1, s[16:17]
	v_pk_mov_b32 v[40:41], v[34:35], v[34:35] op_sel:[0,1]
; %bb.84:
	s_or_b64 exec, exec, s[2:3]
	s_mov_b32 s26, 0
	s_cmp_lg_u32 s6, 0
	v_mbcnt_lo_u32_b32 v52, -1, 0
	v_lshrrev_b32_e32 v1, 6, v0
	v_or_b32_e32 v51, 63, v0
	s_barrier
	s_cbranch_scc0 .LBB788_125
; %bb.85:
	s_mov_b32 s27, 1
	v_cmp_gt_u64_e64 s[2:3], s[26:27], v[8:9]
	v_cndmask_b32_e64 v27, 0, v38, s[2:3]
	v_add_u32_e32 v27, v27, v8
	v_cmp_gt_u64_e64 s[4:5], s[26:27], v[6:7]
	v_cndmask_b32_e64 v27, 0, v27, s[4:5]
	v_add_u32_e32 v27, v27, v6
	;; [unrolled: 3-line block ×12, first 2 shown]
	v_cmp_gt_u64_e32 vcc, s[26:27], v[40:41]
	v_cndmask_b32_e32 v27, 0, v27, vcc
	v_add_u32_e32 v28, v27, v40
	v_or3_b32 v27, v41, v25, v23
	v_or3_b32 v27, v27, v21, v19
	v_or3_b32 v27, v27, v11, v13
	v_or3_b32 v27, v27, v15, v17
	v_or3_b32 v27, v27, v3, v5
	v_or3_b32 v27, v27, v7, v9
	v_mov_b32_e32 v26, 0
	v_and_b32_e32 v27, 1, v27
	v_cmp_eq_u64_e32 vcc, 0, v[26:27]
	v_cndmask_b32_e32 v27, 1, v39, vcc
	v_and_b32_e32 v29, 0xff, v27
	v_mov_b32_dpp v31, v28 row_shr:1 row_mask:0xf bank_mask:0xf
	v_cmp_eq_u16_e32 vcc, 0, v29
	v_mov_b32_dpp v32, v29 row_shr:1 row_mask:0xf bank_mask:0xf
	v_and_b32_e32 v33, 1, v27
	v_mbcnt_hi_u32_b32 v46, -1, v52
	v_cndmask_b32_e32 v31, 0, v31, vcc
	v_and_b32_e32 v32, 1, v32
	v_cmp_eq_u32_e32 vcc, 1, v33
	v_and_b32_e32 v30, 15, v46
	v_cndmask_b32_e64 v32, v32, 1, vcc
	v_and_b32_e32 v33, 0xffff, v32
	v_cmp_eq_u32_e32 vcc, 0, v30
	v_cndmask_b32_e32 v27, v32, v27, vcc
	v_cndmask_b32_e32 v29, v33, v29, vcc
	v_and_b32_e32 v33, 1, v27
	v_cndmask_b32_e64 v31, v31, 0, vcc
	v_mov_b32_dpp v32, v29 row_shr:2 row_mask:0xf bank_mask:0xf
	v_and_b32_e32 v32, 1, v32
	v_cmp_eq_u32_e32 vcc, 1, v33
	v_cndmask_b32_e64 v32, v32, 1, vcc
	v_and_b32_e32 v33, 0xffff, v32
	v_cmp_lt_u32_e32 vcc, 1, v30
	v_add_u32_e32 v28, v31, v28
	v_cmp_eq_u16_sdwa s[26:27], v27, v26 src0_sel:BYTE_0 src1_sel:DWORD
	v_cndmask_b32_e32 v27, v27, v32, vcc
	v_cndmask_b32_e32 v29, v29, v33, vcc
	v_mov_b32_dpp v31, v28 row_shr:2 row_mask:0xf bank_mask:0xf
	s_and_b64 vcc, vcc, s[26:27]
	v_mov_b32_dpp v32, v29 row_shr:4 row_mask:0xf bank_mask:0xf
	v_and_b32_e32 v33, 1, v27
	v_cndmask_b32_e32 v31, 0, v31, vcc
	v_and_b32_e32 v32, 1, v32
	v_cmp_eq_u32_e32 vcc, 1, v33
	v_cndmask_b32_e64 v32, v32, 1, vcc
	v_and_b32_e32 v33, 0xffff, v32
	v_cmp_lt_u32_e32 vcc, 3, v30
	v_add_u32_e32 v28, v31, v28
	v_cmp_eq_u16_sdwa s[26:27], v27, v26 src0_sel:BYTE_0 src1_sel:DWORD
	v_cndmask_b32_e32 v27, v27, v32, vcc
	v_cndmask_b32_e32 v29, v29, v33, vcc
	v_mov_b32_dpp v31, v28 row_shr:4 row_mask:0xf bank_mask:0xf
	s_and_b64 vcc, vcc, s[26:27]
	v_mov_b32_dpp v32, v29 row_shr:8 row_mask:0xf bank_mask:0xf
	v_and_b32_e32 v33, 1, v27
	v_cndmask_b32_e32 v31, 0, v31, vcc
	v_and_b32_e32 v32, 1, v32
	v_cmp_eq_u32_e32 vcc, 1, v33
	v_cndmask_b32_e64 v32, v32, 1, vcc
	v_add_u32_e32 v28, v31, v28
	v_cmp_eq_u16_sdwa s[26:27], v27, v26 src0_sel:BYTE_0 src1_sel:DWORD
	v_and_b32_e32 v33, 0xffff, v32
	v_cmp_lt_u32_e32 vcc, 7, v30
	v_mov_b32_dpp v31, v28 row_shr:8 row_mask:0xf bank_mask:0xf
	v_cndmask_b32_e32 v27, v27, v32, vcc
	v_cndmask_b32_e32 v29, v29, v33, vcc
	s_and_b64 vcc, vcc, s[26:27]
	v_cndmask_b32_e32 v30, 0, v31, vcc
	v_add_u32_e32 v28, v30, v28
	v_mov_b32_dpp v31, v29 row_bcast:15 row_mask:0xf bank_mask:0xf
	v_cmp_eq_u16_sdwa vcc, v27, v26 src0_sel:BYTE_0 src1_sel:DWORD
	v_mov_b32_dpp v30, v28 row_bcast:15 row_mask:0xf bank_mask:0xf
	v_and_b32_e32 v34, 1, v27
	v_cndmask_b32_e32 v30, 0, v30, vcc
	v_and_b32_e32 v31, 1, v31
	v_cmp_eq_u32_e32 vcc, 1, v34
	v_and_b32_e32 v33, 16, v46
	v_cndmask_b32_e64 v31, v31, 1, vcc
	v_and_b32_e32 v34, 0xffff, v31
	v_cmp_eq_u32_e32 vcc, 0, v33
	v_cndmask_b32_e32 v27, v31, v27, vcc
	v_cndmask_b32_e32 v29, v34, v29, vcc
	v_bfe_i32 v32, v46, 4, 1
	v_cmp_eq_u16_sdwa s[26:27], v27, v26 src0_sel:BYTE_0 src1_sel:DWORD
	v_mov_b32_dpp v29, v29 row_bcast:31 row_mask:0xf bank_mask:0xf
	v_and_b32_e32 v26, 1, v27
	v_and_b32_e32 v30, v32, v30
	;; [unrolled: 1-line block ×3, first 2 shown]
	v_cmp_eq_u32_e32 vcc, 1, v26
	v_add_u32_e32 v28, v30, v28
	v_cndmask_b32_e64 v26, v29, 1, vcc
	v_cmp_lt_u32_e32 vcc, 31, v46
	v_mov_b32_dpp v30, v28 row_bcast:31 row_mask:0xf bank_mask:0xf
	v_cndmask_b32_e32 v29, v27, v26, vcc
	s_and_b64 vcc, vcc, s[26:27]
	v_cndmask_b32_e32 v26, 0, v30, vcc
	v_add_u32_e32 v28, v26, v28
	v_cmp_eq_u32_e32 vcc, v51, v0
	s_and_saveexec_b64 s[26:27], vcc
	s_cbranch_execz .LBB788_87
; %bb.86:
	v_lshlrev_b32_e32 v26, 3, v1
	ds_write_b32 v26, v28
	ds_write_b8 v26, v29 offset:4
.LBB788_87:
	s_or_b64 exec, exec, s[26:27]
	v_cmp_gt_u32_e32 vcc, 4, v0
	s_waitcnt lgkmcnt(0)
	s_barrier
	s_and_saveexec_b64 s[26:27], vcc
	s_cbranch_execz .LBB788_91
; %bb.88:
	v_lshlrev_b32_e32 v30, 3, v0
	ds_read_b64 v[26:27], v30
	v_and_b32_e32 v31, 3, v46
	v_cmp_ne_u32_e32 vcc, 0, v31
	s_waitcnt lgkmcnt(0)
	v_mov_b32_dpp v32, v26 row_shr:1 row_mask:0xf bank_mask:0xf
	v_mov_b32_dpp v34, v27 row_shr:1 row_mask:0xf bank_mask:0xf
	v_mov_b32_e32 v33, v27
	s_and_saveexec_b64 s[30:31], vcc
	s_cbranch_execz .LBB788_90
; %bb.89:
	v_and_b32_e32 v33, 1, v27
	v_and_b32_e32 v34, 1, v34
	v_cmp_eq_u32_e32 vcc, 1, v33
	v_mov_b32_e32 v33, 0
	v_cndmask_b32_e64 v34, v34, 1, vcc
	v_cmp_eq_u16_sdwa vcc, v27, v33 src0_sel:BYTE_0 src1_sel:DWORD
	v_cndmask_b32_e32 v32, 0, v32, vcc
	v_add_u32_e32 v26, v32, v26
	v_and_b32_e32 v32, 0xffff, v34
	s_movk_i32 s7, 0xff00
	v_and_or_b32 v33, v27, s7, v32
	v_mov_b32_e32 v27, v34
.LBB788_90:
	s_or_b64 exec, exec, s[30:31]
	v_mov_b32_dpp v33, v33 row_shr:2 row_mask:0xf bank_mask:0xf
	v_and_b32_e32 v34, 1, v27
	v_and_b32_e32 v33, 1, v33
	v_cmp_eq_u32_e32 vcc, 1, v34
	v_mov_b32_e32 v34, 0
	v_cndmask_b32_e64 v33, v33, 1, vcc
	v_cmp_eq_u16_sdwa s[30:31], v27, v34 src0_sel:BYTE_0 src1_sel:DWORD
	v_cmp_lt_u32_e32 vcc, 1, v31
	v_mov_b32_dpp v32, v26 row_shr:2 row_mask:0xf bank_mask:0xf
	v_cndmask_b32_e32 v27, v27, v33, vcc
	s_and_b64 vcc, vcc, s[30:31]
	v_cndmask_b32_e32 v31, 0, v32, vcc
	v_add_u32_e32 v26, v31, v26
	ds_write_b32 v30, v26
	ds_write_b8 v30, v27 offset:4
.LBB788_91:
	s_or_b64 exec, exec, s[26:27]
	v_cmp_gt_u32_e32 vcc, 64, v0
	v_cmp_lt_u32_e64 s[26:27], 63, v0
	v_mov_b32_e32 v42, 0
	v_mov_b32_e32 v43, 0
	s_waitcnt lgkmcnt(0)
	s_barrier
	s_and_saveexec_b64 s[30:31], s[26:27]
	s_cbranch_execz .LBB788_93
; %bb.92:
	v_lshl_add_u32 v26, v1, 3, -8
	ds_read_b32 v42, v26
	ds_read_u8 v43, v26 offset:4
	v_mov_b32_e32 v27, 0
	v_and_b32_e32 v30, 1, v29
	v_cmp_eq_u16_sdwa s[26:27], v29, v27 src0_sel:BYTE_0 src1_sel:DWORD
	s_waitcnt lgkmcnt(1)
	v_cndmask_b32_e64 v26, 0, v42, s[26:27]
	v_cmp_eq_u32_e64 s[26:27], 1, v30
	v_add_u32_e32 v28, v26, v28
	s_waitcnt lgkmcnt(0)
	v_cndmask_b32_e64 v29, v43, 1, s[26:27]
.LBB788_93:
	s_or_b64 exec, exec, s[30:31]
	v_and_b32_e32 v26, 0xff, v29
	v_add_u32_e32 v27, -1, v46
	v_and_b32_e32 v29, 64, v46
	v_cmp_lt_i32_e64 s[26:27], v27, v29
	v_cndmask_b32_e64 v27, v27, v46, s[26:27]
	v_lshlrev_b32_e32 v27, 2, v27
	ds_bpermute_b32 v44, v27, v28
	ds_bpermute_b32 v45, v27, v26
	v_cmp_eq_u32_e64 s[26:27], 0, v46
	s_and_saveexec_b64 s[38:39], vcc
	s_cbranch_execz .LBB788_112
; %bb.94:
	v_mov_b32_e32 v29, 0
	ds_read_b64 v[26:27], v29 offset:24
	s_waitcnt lgkmcnt(0)
	v_readfirstlane_b32 s7, v27
	s_and_saveexec_b64 s[30:31], s[26:27]
	s_cbranch_execz .LBB788_96
; %bb.95:
	s_add_i32 s40, s6, 64
	s_mov_b32 s41, 0
	s_lshl_b64 s[48:49], s[40:41], 4
	s_add_u32 s48, s44, s48
	s_addc_u32 s49, s45, s49
	s_and_b32 s55, s7, 0xff000000
	s_mov_b32 s54, s41
	s_and_b32 s59, s7, 0xff0000
	s_mov_b32 s58, s41
	s_or_b64 s[54:55], s[58:59], s[54:55]
	s_and_b32 s59, s7, 0xff00
	s_or_b64 s[54:55], s[54:55], s[58:59]
	s_and_b32 s59, s7, 0xff
	s_or_b64 s[40:41], s[54:55], s[58:59]
	v_mov_b32_e32 v27, s41
	v_mov_b32_e32 v28, 1
	v_pk_mov_b32 v[30:31], s[48:49], s[48:49] op_sel:[0,1]
	;;#ASMSTART
	global_store_dwordx4 v[30:31], v[26:29] off	
s_waitcnt vmcnt(0)
	;;#ASMEND
.LBB788_96:
	s_or_b64 exec, exec, s[30:31]
	v_xad_u32 v34, v46, -1, s6
	v_add_u32_e32 v28, 64, v34
	v_lshlrev_b64 v[30:31], 4, v[28:29]
	v_mov_b32_e32 v27, s45
	v_add_co_u32_e32 v36, vcc, s44, v30
	v_addc_co_u32_e32 v37, vcc, v27, v31, vcc
	;;#ASMSTART
	global_load_dwordx4 v[30:33], v[36:37] off glc	
s_waitcnt vmcnt(0)
	;;#ASMEND
	v_and_b32_e32 v27, 0xff0000, v30
	v_or_b32_sdwa v27, v30, v27 dst_sel:DWORD dst_unused:UNUSED_PAD src0_sel:WORD_0 src1_sel:DWORD
	v_and_b32_e32 v28, 0xff000000, v30
	v_and_b32_e32 v30, 0xff, v31
	v_or3_b32 v31, 0, 0, v30
	v_or3_b32 v30, v27, v28, 0
	v_cmp_eq_u16_sdwa s[40:41], v32, v29 src0_sel:BYTE_0 src1_sel:DWORD
	s_and_saveexec_b64 s[30:31], s[40:41]
	s_cbranch_execz .LBB788_100
; %bb.97:
	s_mov_b64 s[40:41], 0
	v_mov_b32_e32 v27, 0
.LBB788_98:                             ; =>This Inner Loop Header: Depth=1
	;;#ASMSTART
	global_load_dwordx4 v[30:33], v[36:37] off glc	
s_waitcnt vmcnt(0)
	;;#ASMEND
	v_cmp_ne_u16_sdwa s[48:49], v32, v27 src0_sel:BYTE_0 src1_sel:DWORD
	s_or_b64 s[40:41], s[48:49], s[40:41]
	s_andn2_b64 exec, exec, s[40:41]
	s_cbranch_execnz .LBB788_98
; %bb.99:
	s_or_b64 exec, exec, s[40:41]
	v_and_b32_e32 v31, 0xff, v31
.LBB788_100:
	s_or_b64 exec, exec, s[30:31]
	v_mov_b32_e32 v27, 2
	v_cmp_eq_u16_sdwa s[30:31], v32, v27 src0_sel:BYTE_0 src1_sel:DWORD
	v_lshlrev_b64 v[28:29], v46, -1
	v_and_b32_e32 v33, s31, v29
	v_or_b32_e32 v33, 0x80000000, v33
	v_and_b32_e32 v35, s30, v28
	v_ffbl_b32_e32 v33, v33
	v_and_b32_e32 v47, 63, v46
	v_add_u32_e32 v33, 32, v33
	v_ffbl_b32_e32 v35, v35
	v_cmp_ne_u32_e32 vcc, 63, v47
	v_min_u32_e32 v33, v35, v33
	v_addc_co_u32_e32 v35, vcc, 0, v46, vcc
	v_lshlrev_b32_e32 v48, 2, v35
	ds_bpermute_b32 v35, v48, v31
	ds_bpermute_b32 v36, v48, v30
	s_mov_b32 s40, 0
	v_and_b32_e32 v37, 1, v31
	s_mov_b32 s41, 1
	s_waitcnt lgkmcnt(1)
	v_and_b32_e32 v35, 1, v35
	v_cmp_eq_u32_e32 vcc, 1, v37
	v_cndmask_b32_e64 v35, v35, 1, vcc
	v_cmp_gt_u64_e32 vcc, s[40:41], v[30:31]
	v_cmp_lt_u32_e64 s[30:31], v47, v33
	s_and_b64 vcc, s[30:31], vcc
	v_and_b32_e32 v37, 0xffff, v35
	v_cndmask_b32_e64 v54, v31, v35, s[30:31]
	s_waitcnt lgkmcnt(0)
	v_cndmask_b32_e32 v35, 0, v36, vcc
	v_cmp_gt_u32_e32 vcc, 62, v47
	v_cndmask_b32_e64 v36, 0, 1, vcc
	v_lshlrev_b32_e32 v36, 1, v36
	v_cndmask_b32_e64 v31, v31, v37, s[30:31]
	v_add_lshl_u32 v49, v36, v46, 2
	ds_bpermute_b32 v36, v49, v31
	v_add_u32_e32 v30, v35, v30
	ds_bpermute_b32 v37, v49, v30
	v_and_b32_e32 v35, 1, v54
	v_cmp_eq_u32_e32 vcc, 1, v35
	s_waitcnt lgkmcnt(1)
	v_and_b32_e32 v36, 1, v36
	v_mov_b32_e32 v35, 0
	v_add_u32_e32 v53, 2, v47
	v_cndmask_b32_e64 v36, v36, 1, vcc
	v_cmp_eq_u16_sdwa vcc, v54, v35 src0_sel:BYTE_0 src1_sel:DWORD
	v_and_b32_e32 v55, 0xffff, v36
	s_waitcnt lgkmcnt(0)
	v_cndmask_b32_e32 v37, 0, v37, vcc
	v_cmp_gt_u32_e32 vcc, v53, v33
	v_cndmask_b32_e32 v36, v36, v54, vcc
	v_cndmask_b32_e64 v37, v37, 0, vcc
	v_cndmask_b32_e32 v31, v55, v31, vcc
	v_cmp_gt_u32_e32 vcc, 60, v47
	v_cndmask_b32_e64 v54, 0, 1, vcc
	v_lshlrev_b32_e32 v54, 2, v54
	v_add_lshl_u32 v54, v54, v46, 2
	ds_bpermute_b32 v56, v54, v31
	v_add_u32_e32 v30, v37, v30
	ds_bpermute_b32 v37, v54, v30
	v_and_b32_e32 v57, 1, v36
	v_cmp_eq_u32_e32 vcc, 1, v57
	s_waitcnt lgkmcnt(1)
	v_and_b32_e32 v56, 1, v56
	v_add_u32_e32 v55, 4, v47
	v_cndmask_b32_e64 v56, v56, 1, vcc
	v_cmp_eq_u16_sdwa vcc, v36, v35 src0_sel:BYTE_0 src1_sel:DWORD
	v_and_b32_e32 v57, 0xffff, v56
	s_waitcnt lgkmcnt(0)
	v_cndmask_b32_e32 v37, 0, v37, vcc
	v_cmp_gt_u32_e32 vcc, v55, v33
	v_cndmask_b32_e32 v36, v56, v36, vcc
	v_cndmask_b32_e64 v37, v37, 0, vcc
	v_cndmask_b32_e32 v31, v57, v31, vcc
	v_cmp_gt_u32_e32 vcc, 56, v47
	v_cndmask_b32_e64 v56, 0, 1, vcc
	v_lshlrev_b32_e32 v56, 3, v56
	v_add_lshl_u32 v56, v56, v46, 2
	ds_bpermute_b32 v58, v56, v31
	v_add_u32_e32 v30, v37, v30
	ds_bpermute_b32 v37, v56, v30
	v_and_b32_e32 v59, 1, v36
	v_cmp_eq_u32_e32 vcc, 1, v59
	s_waitcnt lgkmcnt(1)
	v_and_b32_e32 v58, 1, v58
	;; [unrolled: 21-line block ×4, first 2 shown]
	v_add_u32_e32 v62, 32, v47
	v_cndmask_b32_e64 v31, v31, 1, vcc
	v_cmp_eq_u16_sdwa vcc, v36, v35 src0_sel:BYTE_0 src1_sel:DWORD
	s_waitcnt lgkmcnt(0)
	v_cndmask_b32_e32 v37, 0, v37, vcc
	v_cmp_gt_u32_e32 vcc, v62, v33
	v_cndmask_b32_e64 v33, v37, 0, vcc
	v_cndmask_b32_e32 v31, v31, v36, vcc
	v_add_u32_e32 v30, v33, v30
	s_branch .LBB788_102
.LBB788_101:                            ;   in Loop: Header=BB788_102 Depth=1
	s_or_b64 exec, exec, s[30:31]
	v_cmp_eq_u16_sdwa s[30:31], v32, v27 src0_sel:BYTE_0 src1_sel:DWORD
	v_and_b32_e32 v33, s31, v29
	ds_bpermute_b32 v37, v48, v31
	v_or_b32_e32 v33, 0x80000000, v33
	v_and_b32_e32 v36, s30, v28
	v_ffbl_b32_e32 v33, v33
	v_add_u32_e32 v33, 32, v33
	v_ffbl_b32_e32 v36, v36
	v_min_u32_e32 v33, v36, v33
	ds_bpermute_b32 v36, v48, v30
	v_and_b32_e32 v63, 1, v31
	s_waitcnt lgkmcnt(1)
	v_and_b32_e32 v37, 1, v37
	v_cmp_eq_u32_e32 vcc, 1, v63
	v_cndmask_b32_e64 v37, v37, 1, vcc
	v_cmp_gt_u64_e32 vcc, s[40:41], v[30:31]
	v_and_b32_e32 v63, 0xffff, v37
	v_cmp_lt_u32_e64 s[30:31], v47, v33
	v_cndmask_b32_e64 v37, v31, v37, s[30:31]
	v_cndmask_b32_e64 v31, v31, v63, s[30:31]
	s_and_b64 vcc, s[30:31], vcc
	ds_bpermute_b32 v63, v49, v31
	s_waitcnt lgkmcnt(1)
	v_cndmask_b32_e32 v36, 0, v36, vcc
	v_add_u32_e32 v30, v36, v30
	ds_bpermute_b32 v36, v49, v30
	v_and_b32_e32 v64, 1, v37
	s_waitcnt lgkmcnt(1)
	v_and_b32_e32 v63, 1, v63
	v_cmp_eq_u32_e32 vcc, 1, v64
	v_cndmask_b32_e64 v63, v63, 1, vcc
	v_cmp_eq_u16_sdwa vcc, v37, v35 src0_sel:BYTE_0 src1_sel:DWORD
	v_and_b32_e32 v64, 0xffff, v63
	s_waitcnt lgkmcnt(0)
	v_cndmask_b32_e32 v36, 0, v36, vcc
	v_cmp_gt_u32_e32 vcc, v53, v33
	v_cndmask_b32_e32 v31, v64, v31, vcc
	v_cndmask_b32_e32 v37, v63, v37, vcc
	ds_bpermute_b32 v63, v54, v31
	v_cndmask_b32_e64 v36, v36, 0, vcc
	v_add_u32_e32 v30, v36, v30
	ds_bpermute_b32 v36, v54, v30
	v_and_b32_e32 v64, 1, v37
	s_waitcnt lgkmcnt(1)
	v_and_b32_e32 v63, 1, v63
	v_cmp_eq_u32_e32 vcc, 1, v64
	v_cndmask_b32_e64 v63, v63, 1, vcc
	v_cmp_eq_u16_sdwa vcc, v37, v35 src0_sel:BYTE_0 src1_sel:DWORD
	v_and_b32_e32 v64, 0xffff, v63
	s_waitcnt lgkmcnt(0)
	v_cndmask_b32_e32 v36, 0, v36, vcc
	v_cmp_gt_u32_e32 vcc, v55, v33
	v_cndmask_b32_e32 v31, v64, v31, vcc
	v_cndmask_b32_e32 v37, v63, v37, vcc
	ds_bpermute_b32 v63, v56, v31
	v_cndmask_b32_e64 v36, v36, 0, vcc
	;; [unrolled: 16-line block ×3, first 2 shown]
	v_add_u32_e32 v30, v36, v30
	ds_bpermute_b32 v36, v58, v30
	v_and_b32_e32 v64, 1, v37
	s_waitcnt lgkmcnt(1)
	v_and_b32_e32 v63, 1, v63
	v_cmp_eq_u32_e32 vcc, 1, v64
	v_cndmask_b32_e64 v63, v63, 1, vcc
	v_cmp_eq_u16_sdwa vcc, v37, v35 src0_sel:BYTE_0 src1_sel:DWORD
	v_and_b32_e32 v64, 0xffff, v63
	s_waitcnt lgkmcnt(0)
	v_cndmask_b32_e32 v36, 0, v36, vcc
	v_cmp_gt_u32_e32 vcc, v59, v33
	v_cndmask_b32_e64 v36, v36, 0, vcc
	v_cndmask_b32_e32 v31, v64, v31, vcc
	ds_bpermute_b32 v31, v61, v31
	v_add_u32_e32 v30, v36, v30
	ds_bpermute_b32 v36, v61, v30
	v_cndmask_b32_e32 v37, v63, v37, vcc
	v_and_b32_e32 v63, 1, v37
	v_cmp_eq_u32_e32 vcc, 1, v63
	s_waitcnt lgkmcnt(1)
	v_cndmask_b32_e64 v31, v31, 1, vcc
	v_cmp_eq_u16_sdwa vcc, v37, v35 src0_sel:BYTE_0 src1_sel:DWORD
	s_waitcnt lgkmcnt(0)
	v_cndmask_b32_e32 v36, 0, v36, vcc
	v_cmp_gt_u32_e32 vcc, v62, v33
	v_cndmask_b32_e64 v33, v36, 0, vcc
	v_cndmask_b32_e32 v31, v31, v37, vcc
	v_add_u32_e32 v30, v33, v30
	v_cmp_eq_u16_sdwa vcc, v46, v35 src0_sel:BYTE_0 src1_sel:DWORD
	v_and_b32_e32 v33, 1, v46
	v_cndmask_b32_e32 v30, 0, v30, vcc
	v_and_b32_e32 v31, 1, v31
	v_cmp_eq_u32_e32 vcc, 1, v33
	v_subrev_u32_e32 v34, 64, v34
	v_add_u32_e32 v30, v30, v60
	v_cndmask_b32_e64 v31, v31, 1, vcc
.LBB788_102:                            ; =>This Loop Header: Depth=1
                                        ;     Child Loop BB788_105 Depth 2
	v_cmp_ne_u16_sdwa s[30:31], v32, v27 src0_sel:BYTE_0 src1_sel:DWORD
	v_mov_b32_e32 v46, v31
	v_cndmask_b32_e64 v31, 0, 1, s[30:31]
	;;#ASMSTART
	;;#ASMEND
	v_cmp_ne_u32_e32 vcc, 0, v31
	s_cmp_lg_u64 vcc, exec
	v_mov_b32_e32 v60, v30
	s_cbranch_scc1 .LBB788_107
; %bb.103:                              ;   in Loop: Header=BB788_102 Depth=1
	v_lshlrev_b64 v[30:31], 4, v[34:35]
	v_mov_b32_e32 v32, s45
	v_add_co_u32_e32 v36, vcc, s44, v30
	v_addc_co_u32_e32 v37, vcc, v32, v31, vcc
	;;#ASMSTART
	global_load_dwordx4 v[30:33], v[36:37] off glc	
s_waitcnt vmcnt(0)
	;;#ASMEND
	v_and_b32_e32 v33, 0xff0000, v30
	v_or_b32_sdwa v33, v30, v33 dst_sel:DWORD dst_unused:UNUSED_PAD src0_sel:WORD_0 src1_sel:DWORD
	v_and_b32_e32 v30, 0xff000000, v30
	v_and_b32_e32 v31, 0xff, v31
	v_or3_b32 v31, 0, 0, v31
	v_or3_b32 v30, v33, v30, 0
	v_cmp_eq_u16_sdwa s[48:49], v32, v35 src0_sel:BYTE_0 src1_sel:DWORD
	s_and_saveexec_b64 s[30:31], s[48:49]
	s_cbranch_execz .LBB788_101
; %bb.104:                              ;   in Loop: Header=BB788_102 Depth=1
	s_mov_b64 s[48:49], 0
.LBB788_105:                            ;   Parent Loop BB788_102 Depth=1
                                        ; =>  This Inner Loop Header: Depth=2
	;;#ASMSTART
	global_load_dwordx4 v[30:33], v[36:37] off glc	
s_waitcnt vmcnt(0)
	;;#ASMEND
	v_cmp_ne_u16_sdwa s[54:55], v32, v35 src0_sel:BYTE_0 src1_sel:DWORD
	s_or_b64 s[48:49], s[54:55], s[48:49]
	s_andn2_b64 exec, exec, s[48:49]
	s_cbranch_execnz .LBB788_105
; %bb.106:                              ;   in Loop: Header=BB788_102 Depth=1
	s_or_b64 exec, exec, s[48:49]
	v_and_b32_e32 v31, 0xff, v31
	s_branch .LBB788_101
.LBB788_107:                            ;   in Loop: Header=BB788_102 Depth=1
                                        ; implicit-def: $vgpr31
                                        ; implicit-def: $vgpr30
                                        ; implicit-def: $vgpr32
	s_cbranch_execz .LBB788_102
; %bb.108:
	s_and_saveexec_b64 s[30:31], s[26:27]
	s_cbranch_execz .LBB788_110
; %bb.109:
	s_and_b32 s40, s7, 0xff
	s_cmp_eq_u32 s40, 0
	s_cselect_b64 vcc, -1, 0
	s_bitcmp1_b32 s7, 0
	s_mov_b32 s41, 0
	s_cselect_b64 s[48:49], -1, 0
	s_add_i32 s40, s6, 64
	s_lshl_b64 s[6:7], s[40:41], 4
	v_cndmask_b32_e32 v27, 0, v60, vcc
	s_add_u32 s6, s44, s6
	v_add_u32_e32 v26, v27, v26
	v_and_b32_e32 v27, 1, v46
	s_addc_u32 s7, s45, s7
	v_mov_b32_e32 v29, 0
	v_cndmask_b32_e64 v27, v27, 1, s[48:49]
	v_mov_b32_e32 v28, 2
	v_pk_mov_b32 v[30:31], s[6:7], s[6:7] op_sel:[0,1]
	;;#ASMSTART
	global_store_dwordx4 v[30:31], v[26:29] off	
s_waitcnt vmcnt(0)
	;;#ASMEND
.LBB788_110:
	s_or_b64 exec, exec, s[30:31]
	v_cmp_eq_u32_e32 vcc, 0, v0
	s_and_b64 exec, exec, vcc
	s_cbranch_execz .LBB788_112
; %bb.111:
	v_mov_b32_e32 v26, 0
	ds_write_b32 v26, v60 offset:24
	ds_write_b8 v26, v46 offset:28
.LBB788_112:
	s_or_b64 exec, exec, s[38:39]
	v_mov_b32_e32 v28, 0
	s_waitcnt lgkmcnt(0)
	s_barrier
	ds_read_b32 v26, v28 offset:24
	v_cndmask_b32_e64 v27, v45, v43, s[26:27]
	v_cmp_eq_u16_sdwa vcc, v27, v28 src0_sel:BYTE_0 src1_sel:DWORD
	v_cndmask_b32_e64 v29, v44, v42, s[26:27]
	s_waitcnt lgkmcnt(0)
	v_cndmask_b32_e32 v27, 0, v26, vcc
	v_add_u32_e32 v27, v27, v29
	v_cmp_eq_u32_e32 vcc, 0, v0
	v_and_b32_e32 v29, 0xff, v39
	v_cndmask_b32_e32 v26, v27, v26, vcc
	v_cmp_eq_u64_e32 vcc, 0, v[28:29]
	v_cndmask_b32_e32 v27, 0, v26, vcc
	v_add_u32_e32 v27, v27, v38
	v_cndmask_b32_e64 v28, 0, v27, s[2:3]
	v_add_u32_e32 v42, v28, v8
	v_cndmask_b32_e64 v28, 0, v42, s[4:5]
	;; [unrolled: 2-line block ×12, first 2 shown]
	v_add_u32_e32 v49, v28, v24
	s_branch .LBB788_139
.LBB788_113:
	s_or_b64 exec, exec, s[30:31]
                                        ; implicit-def: $vgpr14
	s_and_saveexec_b64 s[30:31], s[2:3]
	s_cbranch_execz .LBB788_33
.LBB788_114:
	v_mov_b32_e32 v15, s47
	v_add_co_u32_e32 v14, vcc, s7, v12
	v_addc_co_u32_e32 v15, vcc, 0, v15, vcc
	flat_load_dword v14, v[14:15] offset:1024
	s_or_b64 exec, exec, s[30:31]
                                        ; implicit-def: $vgpr15
	s_and_saveexec_b64 s[2:3], s[4:5]
	s_cbranch_execnz .LBB788_34
.LBB788_115:
	s_or_b64 exec, exec, s[2:3]
                                        ; implicit-def: $vgpr16
	s_and_saveexec_b64 s[2:3], s[28:29]
	s_cbranch_execz .LBB788_35
.LBB788_116:
	v_mov_b32_e32 v17, s47
	v_add_co_u32_e32 v16, vcc, s7, v12
	v_addc_co_u32_e32 v17, vcc, 0, v17, vcc
	flat_load_dword v16, v[16:17] offset:3072
	s_or_b64 exec, exec, s[2:3]
                                        ; implicit-def: $vgpr17
	s_and_saveexec_b64 s[2:3], s[8:9]
	s_cbranch_execnz .LBB788_36
.LBB788_117:
	s_or_b64 exec, exec, s[2:3]
                                        ; implicit-def: $vgpr2
	s_and_saveexec_b64 s[2:3], s[10:11]
	s_cbranch_execz .LBB788_37
.LBB788_118:
	v_mov_b32_e32 v18, s47
	v_add_co_u32_e32 v2, vcc, s7, v3
	v_addc_co_u32_e32 v3, vcc, 0, v18, vcc
	flat_load_dword v2, v[2:3]
	s_or_b64 exec, exec, s[2:3]
                                        ; implicit-def: $vgpr3
	s_and_saveexec_b64 s[2:3], s[12:13]
	s_cbranch_execnz .LBB788_38
.LBB788_119:
	s_or_b64 exec, exec, s[2:3]
                                        ; implicit-def: $vgpr4
	s_and_saveexec_b64 s[2:3], s[14:15]
	s_cbranch_execz .LBB788_39
.LBB788_120:
	v_mov_b32_e32 v18, s47
	v_add_co_u32_e32 v4, vcc, s7, v5
	v_addc_co_u32_e32 v5, vcc, 0, v18, vcc
	flat_load_dword v4, v[4:5]
	s_or_b64 exec, exec, s[2:3]
                                        ; implicit-def: $vgpr5
	s_and_saveexec_b64 s[2:3], s[16:17]
	s_cbranch_execnz .LBB788_40
.LBB788_121:
	s_or_b64 exec, exec, s[2:3]
                                        ; implicit-def: $vgpr6
	s_and_saveexec_b64 s[2:3], s[18:19]
	s_cbranch_execz .LBB788_41
.LBB788_122:
	v_mov_b32_e32 v18, s47
	v_add_co_u32_e32 v6, vcc, s7, v7
	v_addc_co_u32_e32 v7, vcc, 0, v18, vcc
	flat_load_dword v6, v[6:7]
	s_or_b64 exec, exec, s[2:3]
                                        ; implicit-def: $vgpr7
	s_and_saveexec_b64 s[2:3], s[20:21]
	s_cbranch_execnz .LBB788_42
.LBB788_123:
	s_or_b64 exec, exec, s[2:3]
                                        ; implicit-def: $vgpr8
	s_and_saveexec_b64 s[2:3], s[22:23]
	s_cbranch_execz .LBB788_43
.LBB788_124:
	v_mov_b32_e32 v18, s47
	v_add_co_u32_e32 v8, vcc, s7, v9
	v_addc_co_u32_e32 v9, vcc, 0, v18, vcc
	flat_load_dword v8, v[8:9]
	s_or_b64 exec, exec, s[2:3]
                                        ; implicit-def: $vgpr9
	s_and_saveexec_b64 s[2:3], s[24:25]
	s_cbranch_execz .LBB788_45
	s_branch .LBB788_44
.LBB788_125:
                                        ; implicit-def: $vgpr49
                                        ; implicit-def: $vgpr47
                                        ; implicit-def: $vgpr45
                                        ; implicit-def: $vgpr43
                                        ; implicit-def: $vgpr34_vgpr35_vgpr36_vgpr37
                                        ; implicit-def: $vgpr30_vgpr31_vgpr32_vgpr33
                                        ; implicit-def: $vgpr26_vgpr27_vgpr28_vgpr29
	s_cbranch_execz .LBB788_139
; %bb.126:
	s_cmp_lg_u64 s[52:53], 0
	s_cselect_b32 s3, s51, 0
	s_cselect_b32 s2, s50, 0
	s_mov_b32 s24, 0
	s_cmp_eq_u64 s[2:3], 0
	v_mov_b32_e32 v32, s56
	s_cbranch_scc1 .LBB788_128
; %bb.127:
	v_mov_b32_e32 v26, 0
	global_load_dword v32, v26, s[2:3]
.LBB788_128:
	s_mov_b32 s25, 1
	v_cmp_gt_u64_e32 vcc, s[24:25], v[8:9]
	v_cndmask_b32_e32 v27, 0, v38, vcc
	v_add_u32_e32 v27, v27, v8
	v_cmp_gt_u64_e64 s[2:3], s[24:25], v[6:7]
	v_cndmask_b32_e64 v27, 0, v27, s[2:3]
	v_add_u32_e32 v27, v27, v6
	v_cmp_gt_u64_e64 s[4:5], s[24:25], v[4:5]
	v_cndmask_b32_e64 v27, 0, v27, s[4:5]
	;; [unrolled: 3-line block ×11, first 2 shown]
	v_mov_b32_e32 v26, 0
	v_add_u32_e32 v27, v27, v24
	v_cmp_gt_u64_e64 s[24:25], s[24:25], v[40:41]
	v_or3_b32 v7, v23, v15, v7
	v_cndmask_b32_e64 v27, 0, v27, s[24:25]
	v_or3_b32 v9, v25, v17, v9
	v_and_b32_e32 v35, 1, v7
	v_mov_b32_e32 v34, v26
	v_add_u32_e32 v33, v27, v40
	v_and_b32_e32 v27, 1, v41
	v_or3_b32 v3, v19, v11, v3
	v_and_b32_e32 v31, 1, v9
	v_mov_b32_e32 v30, v26
	v_cmp_ne_u64_e64 s[26:27], 0, v[34:35]
	v_cmp_eq_u32_e64 s[24:25], 1, v27
	v_or3_b32 v5, v21, v13, v5
	v_and_b32_e32 v27, 1, v3
	v_cndmask_b32_e64 v3, 0, 1, s[26:27]
	v_cmp_ne_u64_e64 s[26:27], 0, v[30:31]
	v_and_b32_e32 v29, 1, v5
	v_mov_b32_e32 v28, v26
	v_cndmask_b32_e64 v5, 0, 1, s[26:27]
	v_lshlrev_b16_e32 v3, 2, v3
	v_lshlrev_b16_e32 v5, 3, v5
	v_cmp_ne_u64_e64 s[26:27], 0, v[28:29]
	v_or_b32_e32 v3, v5, v3
	v_cndmask_b32_e64 v5, 0, 1, s[26:27]
	v_cmp_ne_u64_e64 s[26:27], 0, v[26:27]
	v_lshlrev_b16_e32 v5, 1, v5
	v_cndmask_b32_e64 v7, 0, 1, s[26:27]
	v_or_b32_e32 v5, v7, v5
	v_and_b32_e32 v5, 3, v5
	v_or_b32_e32 v3, v5, v3
	v_and_b32_e32 v3, 15, v3
	v_cmp_ne_u16_e64 s[26:27], 0, v3
	s_or_b64 s[24:25], s[24:25], s[26:27]
	v_cndmask_b32_e64 v5, v39, 1, s[24:25]
	v_and_b32_e32 v7, 0xff, v5
	v_mov_b32_dpp v11, v33 row_shr:1 row_mask:0xf bank_mask:0xf
	v_cmp_eq_u16_e64 s[24:25], 0, v7
	v_mov_b32_dpp v13, v7 row_shr:1 row_mask:0xf bank_mask:0xf
	v_and_b32_e32 v15, 1, v5
	v_mbcnt_hi_u32_b32 v3, -1, v52
	v_cndmask_b32_e64 v11, 0, v11, s[24:25]
	v_and_b32_e32 v13, 1, v13
	v_cmp_eq_u32_e64 s[24:25], 1, v15
	v_and_b32_e32 v9, 15, v3
	v_cndmask_b32_e64 v13, v13, 1, s[24:25]
	v_and_b32_e32 v15, 0xffff, v13
	v_cmp_eq_u32_e64 s[24:25], 0, v9
	v_cndmask_b32_e64 v5, v13, v5, s[24:25]
	v_cndmask_b32_e64 v7, v15, v7, s[24:25]
	v_and_b32_e32 v17, 1, v5
	v_cndmask_b32_e64 v11, v11, 0, s[24:25]
	v_mov_b32_dpp v15, v7 row_shr:2 row_mask:0xf bank_mask:0xf
	v_and_b32_e32 v15, 1, v15
	v_cmp_eq_u32_e64 s[24:25], 1, v17
	v_cndmask_b32_e64 v15, v15, 1, s[24:25]
	v_and_b32_e32 v17, 0xffff, v15
	v_cmp_lt_u32_e64 s[24:25], 1, v9
	v_add_u32_e32 v11, v11, v33
	v_cmp_eq_u16_sdwa s[26:27], v5, v26 src0_sel:BYTE_0 src1_sel:DWORD
	v_cndmask_b32_e64 v5, v5, v15, s[24:25]
	v_cndmask_b32_e64 v7, v7, v17, s[24:25]
	v_mov_b32_dpp v13, v11 row_shr:2 row_mask:0xf bank_mask:0xf
	s_and_b64 s[24:25], s[24:25], s[26:27]
	v_mov_b32_dpp v15, v7 row_shr:4 row_mask:0xf bank_mask:0xf
	v_and_b32_e32 v17, 1, v5
	v_cndmask_b32_e64 v13, 0, v13, s[24:25]
	v_and_b32_e32 v15, 1, v15
	v_cmp_eq_u32_e64 s[24:25], 1, v17
	v_cndmask_b32_e64 v15, v15, 1, s[24:25]
	v_and_b32_e32 v17, 0xffff, v15
	v_cmp_lt_u32_e64 s[24:25], 3, v9
	v_add_u32_e32 v11, v13, v11
	v_cmp_eq_u16_sdwa s[26:27], v5, v26 src0_sel:BYTE_0 src1_sel:DWORD
	v_cndmask_b32_e64 v5, v5, v15, s[24:25]
	v_cndmask_b32_e64 v7, v7, v17, s[24:25]
	v_mov_b32_dpp v13, v11 row_shr:4 row_mask:0xf bank_mask:0xf
	s_and_b64 s[24:25], s[24:25], s[26:27]
	v_mov_b32_dpp v15, v7 row_shr:8 row_mask:0xf bank_mask:0xf
	v_and_b32_e32 v17, 1, v5
	v_cndmask_b32_e64 v13, 0, v13, s[24:25]
	v_and_b32_e32 v15, 1, v15
	v_cmp_eq_u32_e64 s[24:25], 1, v17
	v_cndmask_b32_e64 v15, v15, 1, s[24:25]
	v_add_u32_e32 v11, v13, v11
	v_cmp_eq_u16_sdwa s[26:27], v5, v26 src0_sel:BYTE_0 src1_sel:DWORD
	v_and_b32_e32 v17, 0xffff, v15
	v_cmp_lt_u32_e64 s[24:25], 7, v9
	v_mov_b32_dpp v13, v11 row_shr:8 row_mask:0xf bank_mask:0xf
	v_cndmask_b32_e64 v5, v5, v15, s[24:25]
	v_cndmask_b32_e64 v7, v7, v17, s[24:25]
	s_and_b64 s[24:25], s[24:25], s[26:27]
	v_cndmask_b32_e64 v9, 0, v13, s[24:25]
	v_add_u32_e32 v9, v9, v11
	v_mov_b32_dpp v13, v7 row_bcast:15 row_mask:0xf bank_mask:0xf
	v_cmp_eq_u16_sdwa s[24:25], v5, v26 src0_sel:BYTE_0 src1_sel:DWORD
	v_mov_b32_dpp v11, v9 row_bcast:15 row_mask:0xf bank_mask:0xf
	v_and_b32_e32 v19, 1, v5
	v_cndmask_b32_e64 v11, 0, v11, s[24:25]
	v_and_b32_e32 v13, 1, v13
	v_cmp_eq_u32_e64 s[24:25], 1, v19
	v_and_b32_e32 v17, 16, v3
	v_cndmask_b32_e64 v13, v13, 1, s[24:25]
	v_and_b32_e32 v19, 0xffff, v13
	v_cmp_eq_u32_e64 s[24:25], 0, v17
	v_cndmask_b32_e64 v5, v13, v5, s[24:25]
	v_cndmask_b32_e64 v7, v19, v7, s[24:25]
	v_bfe_i32 v15, v3, 4, 1
	v_and_b32_e32 v13, 1, v5
	v_mov_b32_dpp v7, v7 row_bcast:31 row_mask:0xf bank_mask:0xf
	v_and_b32_e32 v11, v15, v11
	v_and_b32_e32 v7, 1, v7
	v_cmp_eq_u32_e64 s[24:25], 1, v13
	v_add_u32_e32 v9, v11, v9
	v_cmp_eq_u16_sdwa s[26:27], v5, v26 src0_sel:BYTE_0 src1_sel:DWORD
	v_cndmask_b32_e64 v7, v7, 1, s[24:25]
	v_cmp_lt_u32_e64 s[24:25], 31, v3
	v_mov_b32_dpp v11, v9 row_bcast:31 row_mask:0xf bank_mask:0xf
	v_cndmask_b32_e64 v5, v5, v7, s[24:25]
	s_and_b64 s[24:25], s[24:25], s[26:27]
	v_cndmask_b32_e64 v7, 0, v11, s[24:25]
	v_add_u32_e32 v7, v7, v9
	v_cmp_eq_u32_e64 s[24:25], v51, v0
	s_and_saveexec_b64 s[26:27], s[24:25]
	s_cbranch_execz .LBB788_130
; %bb.129:
	v_lshlrev_b32_e32 v9, 3, v1
	ds_write_b32 v9, v7
	ds_write_b8 v9, v5 offset:4
.LBB788_130:
	s_or_b64 exec, exec, s[26:27]
	v_cmp_gt_u32_e64 s[24:25], 4, v0
	s_waitcnt lgkmcnt(0)
	s_barrier
	s_and_saveexec_b64 s[26:27], s[24:25]
	s_cbranch_execz .LBB788_134
; %bb.131:
	v_lshlrev_b32_e32 v9, 3, v0
	ds_read_b64 v[26:27], v9
	v_and_b32_e32 v11, 3, v3
	v_cmp_ne_u32_e64 s[24:25], 0, v11
	s_waitcnt lgkmcnt(0)
	v_mov_b32_dpp v13, v26 row_shr:1 row_mask:0xf bank_mask:0xf
	v_mov_b32_dpp v17, v27 row_shr:1 row_mask:0xf bank_mask:0xf
	v_mov_b32_e32 v15, v27
	s_and_saveexec_b64 s[28:29], s[24:25]
	s_cbranch_execz .LBB788_133
; %bb.132:
	v_and_b32_e32 v15, 1, v27
	v_and_b32_e32 v17, 1, v17
	v_cmp_eq_u32_e64 s[24:25], 1, v15
	v_mov_b32_e32 v15, 0
	v_cndmask_b32_e64 v17, v17, 1, s[24:25]
	v_cmp_eq_u16_sdwa s[24:25], v27, v15 src0_sel:BYTE_0 src1_sel:DWORD
	v_cndmask_b32_e64 v13, 0, v13, s[24:25]
	v_add_u32_e32 v26, v13, v26
	v_and_b32_e32 v13, 0xffff, v17
	s_movk_i32 s24, 0xff00
	v_and_or_b32 v15, v27, s24, v13
	v_mov_b32_e32 v27, v17
.LBB788_133:
	s_or_b64 exec, exec, s[28:29]
	v_mov_b32_dpp v15, v15 row_shr:2 row_mask:0xf bank_mask:0xf
	v_and_b32_e32 v17, 1, v27
	v_and_b32_e32 v15, 1, v15
	v_cmp_eq_u32_e64 s[24:25], 1, v17
	v_mov_b32_e32 v17, 0
	v_cndmask_b32_e64 v15, v15, 1, s[24:25]
	v_cmp_eq_u16_sdwa s[28:29], v27, v17 src0_sel:BYTE_0 src1_sel:DWORD
	v_cmp_lt_u32_e64 s[24:25], 1, v11
	v_mov_b32_dpp v13, v26 row_shr:2 row_mask:0xf bank_mask:0xf
	v_cndmask_b32_e64 v11, v27, v15, s[24:25]
	s_and_b64 s[24:25], s[24:25], s[28:29]
	v_cndmask_b32_e64 v13, 0, v13, s[24:25]
	v_add_u32_e32 v13, v13, v26
	ds_write_b32 v9, v13
	ds_write_b8 v9, v11 offset:4
.LBB788_134:
	s_or_b64 exec, exec, s[26:27]
	v_cmp_lt_u32_e64 s[24:25], 63, v0
	s_waitcnt vmcnt(0)
	v_mov_b32_e32 v9, v32
	s_waitcnt lgkmcnt(0)
	s_barrier
	s_and_saveexec_b64 s[26:27], s[24:25]
	s_cbranch_execz .LBB788_136
; %bb.135:
	v_lshl_add_u32 v1, v1, 3, -8
	ds_read_u8 v9, v1 offset:4
	ds_read_b32 v1, v1
	s_waitcnt lgkmcnt(1)
	v_cmp_eq_u16_e64 s[24:25], 0, v9
	v_cndmask_b32_e64 v9, 0, v32, s[24:25]
	s_waitcnt lgkmcnt(0)
	v_add_u32_e32 v9, v9, v1
.LBB788_136:
	s_or_b64 exec, exec, s[26:27]
	v_mov_b32_e32 v28, 0
	v_cmp_eq_u16_sdwa s[24:25], v5, v28 src0_sel:BYTE_0 src1_sel:DWORD
	v_cndmask_b32_e64 v1, 0, v9, s[24:25]
	v_add_u32_e32 v1, v1, v7
	v_add_u32_e32 v5, -1, v3
	v_and_b32_e32 v7, 64, v3
	v_cmp_lt_i32_e64 s[24:25], v5, v7
	v_cndmask_b32_e64 v5, v5, v3, s[24:25]
	v_lshlrev_b32_e32 v5, 2, v5
	ds_bpermute_b32 v1, v5, v1
	v_cmp_eq_u32_e64 s[24:25], 0, v3
	v_and_b32_e32 v29, 0xff, v39
	v_cmp_eq_u64_e64 s[26:27], 0, v[28:29]
	s_waitcnt lgkmcnt(0)
	v_cndmask_b32_e64 v26, v1, v9, s[24:25]
	v_cmp_eq_u32_e64 s[24:25], 0, v0
	v_cndmask_b32_e64 v1, v26, v32, s[24:25]
	v_cndmask_b32_e64 v1, 0, v1, s[26:27]
	v_add_u32_e32 v27, v1, v38
	v_cndmask_b32_e32 v1, 0, v27, vcc
	v_add_u32_e32 v42, v1, v8
	v_cndmask_b32_e64 v1, 0, v42, s[2:3]
	v_add_u32_e32 v43, v1, v6
	v_cndmask_b32_e64 v1, 0, v43, s[4:5]
	;; [unrolled: 2-line block ×11, first 2 shown]
	s_and_saveexec_b64 s[2:3], s[24:25]
	s_cbranch_execz .LBB788_138
; %bb.137:
	ds_read_u8 v3, v28 offset:28
	ds_read_b32 v2, v28 offset:24
	s_add_u32 s4, s44, 0x400
	s_addc_u32 s5, s45, 0
	v_mov_b32_e32 v5, v28
	s_waitcnt lgkmcnt(1)
	v_cmp_eq_u16_e32 vcc, 0, v3
	v_cndmask_b32_e32 v4, 0, v32, vcc
	s_waitcnt lgkmcnt(0)
	v_add_u32_e32 v2, v4, v2
	v_and_b32_e32 v3, 0xffff, v3
	v_mov_b32_e32 v4, 2
	v_pk_mov_b32 v[6:7], s[4:5], s[4:5] op_sel:[0,1]
	;;#ASMSTART
	global_store_dwordx4 v[6:7], v[2:5] off	
s_waitcnt vmcnt(0)
	;;#ASMEND
	v_mov_b32_e32 v26, v32
.LBB788_138:
	s_or_b64 exec, exec, s[2:3]
	v_add_u32_e32 v49, v1, v24
.LBB788_139:
	s_add_u32 s2, s42, s34
	s_addc_u32 s3, s43, s35
	s_add_u32 s4, s2, s36
	v_mul_u32_u24_e32 v1, 14, v0
	s_addc_u32 s5, s3, s37
	s_and_b64 vcc, exec, s[0:1]
	v_lshlrev_b32_e32 v2, 2, v1
	s_cbranch_vccz .LBB788_167
; %bb.140:
	s_movk_i32 s0, 0xffcc
	v_mad_i32_i24 v3, v0, s0, v2
	s_barrier
	ds_write2_b64 v2, v[26:27], v[42:43] offset1:1
	ds_write2_b64 v2, v[30:31], v[44:45] offset0:2 offset1:3
	ds_write2_b64 v2, v[34:35], v[46:47] offset0:4 offset1:5
	ds_write_b64 v2, v[48:49] offset:48
	s_waitcnt lgkmcnt(0)
	s_barrier
	ds_read2st64_b32 v[16:17], v3 offset0:4 offset1:8
	ds_read2st64_b32 v[14:15], v3 offset0:12 offset1:16
	;; [unrolled: 1-line block ×6, first 2 shown]
	ds_read_b32 v3, v3 offset:13312
	v_mov_b32_e32 v7, s5
	v_add_co_u32_e32 v6, vcc, s4, v50
	s_add_i32 s33, s33, s46
	v_addc_co_u32_e32 v7, vcc, 0, v7, vcc
	v_mov_b32_e32 v1, 0
	v_cmp_gt_u32_e32 vcc, s33, v0
	s_and_saveexec_b64 s[0:1], vcc
	s_cbranch_execz .LBB788_142
; %bb.141:
	v_mul_i32_i24_e32 v18, 0xffffffcc, v0
	v_add_u32_e32 v18, v2, v18
	ds_read_b32 v18, v18
	s_waitcnt lgkmcnt(0)
	flat_store_dword v[6:7], v18
.LBB788_142:
	s_or_b64 exec, exec, s[0:1]
	v_or_b32_e32 v18, 0x100, v0
	v_cmp_gt_u32_e32 vcc, s33, v18
	s_and_saveexec_b64 s[0:1], vcc
	s_cbranch_execz .LBB788_144
; %bb.143:
	s_waitcnt lgkmcnt(0)
	flat_store_dword v[6:7], v16 offset:1024
.LBB788_144:
	s_or_b64 exec, exec, s[0:1]
	s_waitcnt lgkmcnt(0)
	v_or_b32_e32 v16, 0x200, v0
	v_cmp_gt_u32_e32 vcc, s33, v16
	s_and_saveexec_b64 s[0:1], vcc
	s_cbranch_execz .LBB788_146
; %bb.145:
	flat_store_dword v[6:7], v17 offset:2048
.LBB788_146:
	s_or_b64 exec, exec, s[0:1]
	v_or_b32_e32 v16, 0x300, v0
	v_cmp_gt_u32_e32 vcc, s33, v16
	s_and_saveexec_b64 s[0:1], vcc
	s_cbranch_execz .LBB788_148
; %bb.147:
	flat_store_dword v[6:7], v14 offset:3072
.LBB788_148:
	s_or_b64 exec, exec, s[0:1]
	v_or_b32_e32 v14, 0x400, v0
	v_cmp_gt_u32_e32 vcc, s33, v14
	s_and_saveexec_b64 s[0:1], vcc
	s_cbranch_execz .LBB788_150
; %bb.149:
	v_add_co_u32_e32 v16, vcc, 0x1000, v6
	v_addc_co_u32_e32 v17, vcc, 0, v7, vcc
	flat_store_dword v[16:17], v15
.LBB788_150:
	s_or_b64 exec, exec, s[0:1]
	v_or_b32_e32 v14, 0x500, v0
	v_cmp_gt_u32_e32 vcc, s33, v14
	s_and_saveexec_b64 s[0:1], vcc
	s_cbranch_execz .LBB788_152
; %bb.151:
	v_add_co_u32_e32 v14, vcc, 0x1000, v6
	v_addc_co_u32_e32 v15, vcc, 0, v7, vcc
	flat_store_dword v[14:15], v12 offset:1024
.LBB788_152:
	s_or_b64 exec, exec, s[0:1]
	v_or_b32_e32 v12, 0x600, v0
	v_cmp_gt_u32_e32 vcc, s33, v12
	s_and_saveexec_b64 s[0:1], vcc
	s_cbranch_execz .LBB788_154
; %bb.153:
	v_add_co_u32_e32 v14, vcc, 0x1000, v6
	v_addc_co_u32_e32 v15, vcc, 0, v7, vcc
	flat_store_dword v[14:15], v13 offset:2048
.LBB788_154:
	;; [unrolled: 10-line block ×3, first 2 shown]
	s_or_b64 exec, exec, s[0:1]
	v_or_b32_e32 v10, 0x800, v0
	v_cmp_gt_u32_e32 vcc, s33, v10
	s_and_saveexec_b64 s[0:1], vcc
	s_cbranch_execz .LBB788_158
; %bb.157:
	v_add_co_u32_e32 v12, vcc, 0x2000, v6
	v_addc_co_u32_e32 v13, vcc, 0, v7, vcc
	flat_store_dword v[12:13], v11
.LBB788_158:
	s_or_b64 exec, exec, s[0:1]
	v_or_b32_e32 v10, 0x900, v0
	v_cmp_gt_u32_e32 vcc, s33, v10
	s_and_saveexec_b64 s[0:1], vcc
	s_cbranch_execz .LBB788_160
; %bb.159:
	v_add_co_u32_e32 v10, vcc, 0x2000, v6
	v_addc_co_u32_e32 v11, vcc, 0, v7, vcc
	flat_store_dword v[10:11], v8 offset:1024
.LBB788_160:
	s_or_b64 exec, exec, s[0:1]
	v_or_b32_e32 v8, 0xa00, v0
	v_cmp_gt_u32_e32 vcc, s33, v8
	s_and_saveexec_b64 s[0:1], vcc
	s_cbranch_execz .LBB788_162
; %bb.161:
	v_add_co_u32_e32 v10, vcc, 0x2000, v6
	v_addc_co_u32_e32 v11, vcc, 0, v7, vcc
	flat_store_dword v[10:11], v9 offset:2048
.LBB788_162:
	;; [unrolled: 10-line block ×3, first 2 shown]
	s_or_b64 exec, exec, s[0:1]
	v_or_b32_e32 v4, 0xc00, v0
	v_cmp_gt_u32_e32 vcc, s33, v4
	s_and_saveexec_b64 s[0:1], vcc
	s_cbranch_execz .LBB788_166
; %bb.165:
	v_add_co_u32_e32 v6, vcc, 0x3000, v6
	v_addc_co_u32_e32 v7, vcc, 0, v7, vcc
	flat_store_dword v[6:7], v5
.LBB788_166:
	s_or_b64 exec, exec, s[0:1]
	v_or_b32_e32 v4, 0xd00, v0
	v_cmp_gt_u32_e64 s[0:1], s33, v4
	s_branch .LBB788_169
.LBB788_167:
	s_mov_b64 s[0:1], 0
                                        ; implicit-def: $vgpr3
	s_cbranch_execz .LBB788_169
; %bb.168:
	s_movk_i32 s2, 0xffcc
	s_waitcnt lgkmcnt(0)
	s_barrier
	ds_write2_b64 v2, v[26:27], v[42:43] offset1:1
	ds_write2_b64 v2, v[30:31], v[44:45] offset0:2 offset1:3
	ds_write2_b64 v2, v[34:35], v[46:47] offset0:4 offset1:5
	ds_write_b64 v2, v[48:49] offset:48
	v_mad_i32_i24 v2, v0, s2, v2
	v_mov_b32_e32 v17, s5
	v_add_co_u32_e32 v16, vcc, s4, v50
	s_waitcnt lgkmcnt(0)
	s_barrier
	ds_read2st64_b32 v[4:5], v2 offset1:4
	ds_read2st64_b32 v[6:7], v2 offset0:8 offset1:12
	ds_read2st64_b32 v[8:9], v2 offset0:16 offset1:20
	;; [unrolled: 1-line block ×6, first 2 shown]
	v_addc_co_u32_e32 v17, vcc, 0, v17, vcc
	s_movk_i32 s2, 0x1000
	s_waitcnt lgkmcnt(0)
	flat_store_dword v[16:17], v4
	flat_store_dword v[16:17], v5 offset:1024
	flat_store_dword v[16:17], v6 offset:2048
	;; [unrolled: 1-line block ×3, first 2 shown]
	v_add_co_u32_e32 v4, vcc, s2, v16
	v_addc_co_u32_e32 v5, vcc, 0, v17, vcc
	flat_store_dword v[4:5], v8
	flat_store_dword v[4:5], v9 offset:1024
	flat_store_dword v[4:5], v10 offset:2048
	;; [unrolled: 1-line block ×3, first 2 shown]
	v_add_co_u32_e32 v4, vcc, 0x2000, v16
	v_addc_co_u32_e32 v5, vcc, 0, v17, vcc
	flat_store_dword v[4:5], v12
	flat_store_dword v[4:5], v13 offset:1024
	flat_store_dword v[4:5], v14 offset:2048
	;; [unrolled: 1-line block ×3, first 2 shown]
	v_add_co_u32_e32 v4, vcc, 0x3000, v16
	v_mov_b32_e32 v1, 0
	v_addc_co_u32_e32 v5, vcc, 0, v17, vcc
	s_or_b64 s[0:1], s[0:1], exec
	flat_store_dword v[4:5], v2
.LBB788_169:
	s_and_saveexec_b64 s[2:3], s[0:1]
	s_cbranch_execz .LBB788_171
; %bb.170:
	v_lshlrev_b64 v[0:1], 2, v[0:1]
	v_mov_b32_e32 v2, s5
	v_add_co_u32_e32 v0, vcc, s4, v0
	v_addc_co_u32_e32 v1, vcc, v2, v1, vcc
	v_add_co_u32_e32 v0, vcc, 0x3000, v0
	v_addc_co_u32_e32 v1, vcc, 0, v1, vcc
	flat_store_dword v[0:1], v3 offset:1024
	s_endpgm
.LBB788_171:
	s_endpgm
	.section	.rodata,"a",@progbits
	.p2align	6, 0x0
	.amdhsa_kernel _ZN7rocprim17ROCPRIM_400000_NS6detail17trampoline_kernelINS0_14default_configENS1_27scan_by_key_config_selectorIiiEEZZNS1_16scan_by_key_implILNS1_25lookback_scan_determinismE0ELb1ES3_N6thrust23THRUST_200600_302600_NS6detail15normal_iteratorINS9_10device_ptrIiEEEESE_SE_iNS9_4plusIiEE19head_flag_predicateiEE10hipError_tPvRmT2_T3_T4_T5_mT6_T7_P12ihipStream_tbENKUlT_T0_E_clISt17integral_constantIbLb0EESY_EEDaST_SU_EUlST_E_NS1_11comp_targetILNS1_3genE4ELNS1_11target_archE910ELNS1_3gpuE8ELNS1_3repE0EEENS1_30default_config_static_selectorELNS0_4arch9wavefront6targetE1EEEvT1_
		.amdhsa_group_segment_fixed_size 16384
		.amdhsa_private_segment_fixed_size 0
		.amdhsa_kernarg_size 112
		.amdhsa_user_sgpr_count 6
		.amdhsa_user_sgpr_private_segment_buffer 1
		.amdhsa_user_sgpr_dispatch_ptr 0
		.amdhsa_user_sgpr_queue_ptr 0
		.amdhsa_user_sgpr_kernarg_segment_ptr 1
		.amdhsa_user_sgpr_dispatch_id 0
		.amdhsa_user_sgpr_flat_scratch_init 0
		.amdhsa_user_sgpr_kernarg_preload_length 0
		.amdhsa_user_sgpr_kernarg_preload_offset 0
		.amdhsa_user_sgpr_private_segment_size 0
		.amdhsa_uses_dynamic_stack 0
		.amdhsa_system_sgpr_private_segment_wavefront_offset 0
		.amdhsa_system_sgpr_workgroup_id_x 1
		.amdhsa_system_sgpr_workgroup_id_y 0
		.amdhsa_system_sgpr_workgroup_id_z 0
		.amdhsa_system_sgpr_workgroup_info 0
		.amdhsa_system_vgpr_workitem_id 0
		.amdhsa_next_free_vgpr 65
		.amdhsa_next_free_sgpr 60
		.amdhsa_accum_offset 68
		.amdhsa_reserve_vcc 1
		.amdhsa_reserve_flat_scratch 0
		.amdhsa_float_round_mode_32 0
		.amdhsa_float_round_mode_16_64 0
		.amdhsa_float_denorm_mode_32 3
		.amdhsa_float_denorm_mode_16_64 3
		.amdhsa_dx10_clamp 1
		.amdhsa_ieee_mode 1
		.amdhsa_fp16_overflow 0
		.amdhsa_tg_split 0
		.amdhsa_exception_fp_ieee_invalid_op 0
		.amdhsa_exception_fp_denorm_src 0
		.amdhsa_exception_fp_ieee_div_zero 0
		.amdhsa_exception_fp_ieee_overflow 0
		.amdhsa_exception_fp_ieee_underflow 0
		.amdhsa_exception_fp_ieee_inexact 0
		.amdhsa_exception_int_div_zero 0
	.end_amdhsa_kernel
	.section	.text._ZN7rocprim17ROCPRIM_400000_NS6detail17trampoline_kernelINS0_14default_configENS1_27scan_by_key_config_selectorIiiEEZZNS1_16scan_by_key_implILNS1_25lookback_scan_determinismE0ELb1ES3_N6thrust23THRUST_200600_302600_NS6detail15normal_iteratorINS9_10device_ptrIiEEEESE_SE_iNS9_4plusIiEE19head_flag_predicateiEE10hipError_tPvRmT2_T3_T4_T5_mT6_T7_P12ihipStream_tbENKUlT_T0_E_clISt17integral_constantIbLb0EESY_EEDaST_SU_EUlST_E_NS1_11comp_targetILNS1_3genE4ELNS1_11target_archE910ELNS1_3gpuE8ELNS1_3repE0EEENS1_30default_config_static_selectorELNS0_4arch9wavefront6targetE1EEEvT1_,"axG",@progbits,_ZN7rocprim17ROCPRIM_400000_NS6detail17trampoline_kernelINS0_14default_configENS1_27scan_by_key_config_selectorIiiEEZZNS1_16scan_by_key_implILNS1_25lookback_scan_determinismE0ELb1ES3_N6thrust23THRUST_200600_302600_NS6detail15normal_iteratorINS9_10device_ptrIiEEEESE_SE_iNS9_4plusIiEE19head_flag_predicateiEE10hipError_tPvRmT2_T3_T4_T5_mT6_T7_P12ihipStream_tbENKUlT_T0_E_clISt17integral_constantIbLb0EESY_EEDaST_SU_EUlST_E_NS1_11comp_targetILNS1_3genE4ELNS1_11target_archE910ELNS1_3gpuE8ELNS1_3repE0EEENS1_30default_config_static_selectorELNS0_4arch9wavefront6targetE1EEEvT1_,comdat
.Lfunc_end788:
	.size	_ZN7rocprim17ROCPRIM_400000_NS6detail17trampoline_kernelINS0_14default_configENS1_27scan_by_key_config_selectorIiiEEZZNS1_16scan_by_key_implILNS1_25lookback_scan_determinismE0ELb1ES3_N6thrust23THRUST_200600_302600_NS6detail15normal_iteratorINS9_10device_ptrIiEEEESE_SE_iNS9_4plusIiEE19head_flag_predicateiEE10hipError_tPvRmT2_T3_T4_T5_mT6_T7_P12ihipStream_tbENKUlT_T0_E_clISt17integral_constantIbLb0EESY_EEDaST_SU_EUlST_E_NS1_11comp_targetILNS1_3genE4ELNS1_11target_archE910ELNS1_3gpuE8ELNS1_3repE0EEENS1_30default_config_static_selectorELNS0_4arch9wavefront6targetE1EEEvT1_, .Lfunc_end788-_ZN7rocprim17ROCPRIM_400000_NS6detail17trampoline_kernelINS0_14default_configENS1_27scan_by_key_config_selectorIiiEEZZNS1_16scan_by_key_implILNS1_25lookback_scan_determinismE0ELb1ES3_N6thrust23THRUST_200600_302600_NS6detail15normal_iteratorINS9_10device_ptrIiEEEESE_SE_iNS9_4plusIiEE19head_flag_predicateiEE10hipError_tPvRmT2_T3_T4_T5_mT6_T7_P12ihipStream_tbENKUlT_T0_E_clISt17integral_constantIbLb0EESY_EEDaST_SU_EUlST_E_NS1_11comp_targetILNS1_3genE4ELNS1_11target_archE910ELNS1_3gpuE8ELNS1_3repE0EEENS1_30default_config_static_selectorELNS0_4arch9wavefront6targetE1EEEvT1_
                                        ; -- End function
	.section	.AMDGPU.csdata,"",@progbits
; Kernel info:
; codeLenInByte = 11160
; NumSgprs: 64
; NumVgprs: 65
; NumAgprs: 0
; TotalNumVgprs: 65
; ScratchSize: 0
; MemoryBound: 0
; FloatMode: 240
; IeeeMode: 1
; LDSByteSize: 16384 bytes/workgroup (compile time only)
; SGPRBlocks: 7
; VGPRBlocks: 8
; NumSGPRsForWavesPerEU: 64
; NumVGPRsForWavesPerEU: 65
; AccumOffset: 68
; Occupancy: 4
; WaveLimiterHint : 1
; COMPUTE_PGM_RSRC2:SCRATCH_EN: 0
; COMPUTE_PGM_RSRC2:USER_SGPR: 6
; COMPUTE_PGM_RSRC2:TRAP_HANDLER: 0
; COMPUTE_PGM_RSRC2:TGID_X_EN: 1
; COMPUTE_PGM_RSRC2:TGID_Y_EN: 0
; COMPUTE_PGM_RSRC2:TGID_Z_EN: 0
; COMPUTE_PGM_RSRC2:TIDIG_COMP_CNT: 0
; COMPUTE_PGM_RSRC3_GFX90A:ACCUM_OFFSET: 16
; COMPUTE_PGM_RSRC3_GFX90A:TG_SPLIT: 0
	.section	.text._ZN7rocprim17ROCPRIM_400000_NS6detail17trampoline_kernelINS0_14default_configENS1_27scan_by_key_config_selectorIiiEEZZNS1_16scan_by_key_implILNS1_25lookback_scan_determinismE0ELb1ES3_N6thrust23THRUST_200600_302600_NS6detail15normal_iteratorINS9_10device_ptrIiEEEESE_SE_iNS9_4plusIiEE19head_flag_predicateiEE10hipError_tPvRmT2_T3_T4_T5_mT6_T7_P12ihipStream_tbENKUlT_T0_E_clISt17integral_constantIbLb0EESY_EEDaST_SU_EUlST_E_NS1_11comp_targetILNS1_3genE3ELNS1_11target_archE908ELNS1_3gpuE7ELNS1_3repE0EEENS1_30default_config_static_selectorELNS0_4arch9wavefront6targetE1EEEvT1_,"axG",@progbits,_ZN7rocprim17ROCPRIM_400000_NS6detail17trampoline_kernelINS0_14default_configENS1_27scan_by_key_config_selectorIiiEEZZNS1_16scan_by_key_implILNS1_25lookback_scan_determinismE0ELb1ES3_N6thrust23THRUST_200600_302600_NS6detail15normal_iteratorINS9_10device_ptrIiEEEESE_SE_iNS9_4plusIiEE19head_flag_predicateiEE10hipError_tPvRmT2_T3_T4_T5_mT6_T7_P12ihipStream_tbENKUlT_T0_E_clISt17integral_constantIbLb0EESY_EEDaST_SU_EUlST_E_NS1_11comp_targetILNS1_3genE3ELNS1_11target_archE908ELNS1_3gpuE7ELNS1_3repE0EEENS1_30default_config_static_selectorELNS0_4arch9wavefront6targetE1EEEvT1_,comdat
	.protected	_ZN7rocprim17ROCPRIM_400000_NS6detail17trampoline_kernelINS0_14default_configENS1_27scan_by_key_config_selectorIiiEEZZNS1_16scan_by_key_implILNS1_25lookback_scan_determinismE0ELb1ES3_N6thrust23THRUST_200600_302600_NS6detail15normal_iteratorINS9_10device_ptrIiEEEESE_SE_iNS9_4plusIiEE19head_flag_predicateiEE10hipError_tPvRmT2_T3_T4_T5_mT6_T7_P12ihipStream_tbENKUlT_T0_E_clISt17integral_constantIbLb0EESY_EEDaST_SU_EUlST_E_NS1_11comp_targetILNS1_3genE3ELNS1_11target_archE908ELNS1_3gpuE7ELNS1_3repE0EEENS1_30default_config_static_selectorELNS0_4arch9wavefront6targetE1EEEvT1_ ; -- Begin function _ZN7rocprim17ROCPRIM_400000_NS6detail17trampoline_kernelINS0_14default_configENS1_27scan_by_key_config_selectorIiiEEZZNS1_16scan_by_key_implILNS1_25lookback_scan_determinismE0ELb1ES3_N6thrust23THRUST_200600_302600_NS6detail15normal_iteratorINS9_10device_ptrIiEEEESE_SE_iNS9_4plusIiEE19head_flag_predicateiEE10hipError_tPvRmT2_T3_T4_T5_mT6_T7_P12ihipStream_tbENKUlT_T0_E_clISt17integral_constantIbLb0EESY_EEDaST_SU_EUlST_E_NS1_11comp_targetILNS1_3genE3ELNS1_11target_archE908ELNS1_3gpuE7ELNS1_3repE0EEENS1_30default_config_static_selectorELNS0_4arch9wavefront6targetE1EEEvT1_
	.globl	_ZN7rocprim17ROCPRIM_400000_NS6detail17trampoline_kernelINS0_14default_configENS1_27scan_by_key_config_selectorIiiEEZZNS1_16scan_by_key_implILNS1_25lookback_scan_determinismE0ELb1ES3_N6thrust23THRUST_200600_302600_NS6detail15normal_iteratorINS9_10device_ptrIiEEEESE_SE_iNS9_4plusIiEE19head_flag_predicateiEE10hipError_tPvRmT2_T3_T4_T5_mT6_T7_P12ihipStream_tbENKUlT_T0_E_clISt17integral_constantIbLb0EESY_EEDaST_SU_EUlST_E_NS1_11comp_targetILNS1_3genE3ELNS1_11target_archE908ELNS1_3gpuE7ELNS1_3repE0EEENS1_30default_config_static_selectorELNS0_4arch9wavefront6targetE1EEEvT1_
	.p2align	8
	.type	_ZN7rocprim17ROCPRIM_400000_NS6detail17trampoline_kernelINS0_14default_configENS1_27scan_by_key_config_selectorIiiEEZZNS1_16scan_by_key_implILNS1_25lookback_scan_determinismE0ELb1ES3_N6thrust23THRUST_200600_302600_NS6detail15normal_iteratorINS9_10device_ptrIiEEEESE_SE_iNS9_4plusIiEE19head_flag_predicateiEE10hipError_tPvRmT2_T3_T4_T5_mT6_T7_P12ihipStream_tbENKUlT_T0_E_clISt17integral_constantIbLb0EESY_EEDaST_SU_EUlST_E_NS1_11comp_targetILNS1_3genE3ELNS1_11target_archE908ELNS1_3gpuE7ELNS1_3repE0EEENS1_30default_config_static_selectorELNS0_4arch9wavefront6targetE1EEEvT1_,@function
_ZN7rocprim17ROCPRIM_400000_NS6detail17trampoline_kernelINS0_14default_configENS1_27scan_by_key_config_selectorIiiEEZZNS1_16scan_by_key_implILNS1_25lookback_scan_determinismE0ELb1ES3_N6thrust23THRUST_200600_302600_NS6detail15normal_iteratorINS9_10device_ptrIiEEEESE_SE_iNS9_4plusIiEE19head_flag_predicateiEE10hipError_tPvRmT2_T3_T4_T5_mT6_T7_P12ihipStream_tbENKUlT_T0_E_clISt17integral_constantIbLb0EESY_EEDaST_SU_EUlST_E_NS1_11comp_targetILNS1_3genE3ELNS1_11target_archE908ELNS1_3gpuE7ELNS1_3repE0EEENS1_30default_config_static_selectorELNS0_4arch9wavefront6targetE1EEEvT1_: ; @_ZN7rocprim17ROCPRIM_400000_NS6detail17trampoline_kernelINS0_14default_configENS1_27scan_by_key_config_selectorIiiEEZZNS1_16scan_by_key_implILNS1_25lookback_scan_determinismE0ELb1ES3_N6thrust23THRUST_200600_302600_NS6detail15normal_iteratorINS9_10device_ptrIiEEEESE_SE_iNS9_4plusIiEE19head_flag_predicateiEE10hipError_tPvRmT2_T3_T4_T5_mT6_T7_P12ihipStream_tbENKUlT_T0_E_clISt17integral_constantIbLb0EESY_EEDaST_SU_EUlST_E_NS1_11comp_targetILNS1_3genE3ELNS1_11target_archE908ELNS1_3gpuE7ELNS1_3repE0EEENS1_30default_config_static_selectorELNS0_4arch9wavefront6targetE1EEEvT1_
; %bb.0:
	.section	.rodata,"a",@progbits
	.p2align	6, 0x0
	.amdhsa_kernel _ZN7rocprim17ROCPRIM_400000_NS6detail17trampoline_kernelINS0_14default_configENS1_27scan_by_key_config_selectorIiiEEZZNS1_16scan_by_key_implILNS1_25lookback_scan_determinismE0ELb1ES3_N6thrust23THRUST_200600_302600_NS6detail15normal_iteratorINS9_10device_ptrIiEEEESE_SE_iNS9_4plusIiEE19head_flag_predicateiEE10hipError_tPvRmT2_T3_T4_T5_mT6_T7_P12ihipStream_tbENKUlT_T0_E_clISt17integral_constantIbLb0EESY_EEDaST_SU_EUlST_E_NS1_11comp_targetILNS1_3genE3ELNS1_11target_archE908ELNS1_3gpuE7ELNS1_3repE0EEENS1_30default_config_static_selectorELNS0_4arch9wavefront6targetE1EEEvT1_
		.amdhsa_group_segment_fixed_size 0
		.amdhsa_private_segment_fixed_size 0
		.amdhsa_kernarg_size 112
		.amdhsa_user_sgpr_count 6
		.amdhsa_user_sgpr_private_segment_buffer 1
		.amdhsa_user_sgpr_dispatch_ptr 0
		.amdhsa_user_sgpr_queue_ptr 0
		.amdhsa_user_sgpr_kernarg_segment_ptr 1
		.amdhsa_user_sgpr_dispatch_id 0
		.amdhsa_user_sgpr_flat_scratch_init 0
		.amdhsa_user_sgpr_kernarg_preload_length 0
		.amdhsa_user_sgpr_kernarg_preload_offset 0
		.amdhsa_user_sgpr_private_segment_size 0
		.amdhsa_uses_dynamic_stack 0
		.amdhsa_system_sgpr_private_segment_wavefront_offset 0
		.amdhsa_system_sgpr_workgroup_id_x 1
		.amdhsa_system_sgpr_workgroup_id_y 0
		.amdhsa_system_sgpr_workgroup_id_z 0
		.amdhsa_system_sgpr_workgroup_info 0
		.amdhsa_system_vgpr_workitem_id 0
		.amdhsa_next_free_vgpr 1
		.amdhsa_next_free_sgpr 0
		.amdhsa_accum_offset 4
		.amdhsa_reserve_vcc 0
		.amdhsa_reserve_flat_scratch 0
		.amdhsa_float_round_mode_32 0
		.amdhsa_float_round_mode_16_64 0
		.amdhsa_float_denorm_mode_32 3
		.amdhsa_float_denorm_mode_16_64 3
		.amdhsa_dx10_clamp 1
		.amdhsa_ieee_mode 1
		.amdhsa_fp16_overflow 0
		.amdhsa_tg_split 0
		.amdhsa_exception_fp_ieee_invalid_op 0
		.amdhsa_exception_fp_denorm_src 0
		.amdhsa_exception_fp_ieee_div_zero 0
		.amdhsa_exception_fp_ieee_overflow 0
		.amdhsa_exception_fp_ieee_underflow 0
		.amdhsa_exception_fp_ieee_inexact 0
		.amdhsa_exception_int_div_zero 0
	.end_amdhsa_kernel
	.section	.text._ZN7rocprim17ROCPRIM_400000_NS6detail17trampoline_kernelINS0_14default_configENS1_27scan_by_key_config_selectorIiiEEZZNS1_16scan_by_key_implILNS1_25lookback_scan_determinismE0ELb1ES3_N6thrust23THRUST_200600_302600_NS6detail15normal_iteratorINS9_10device_ptrIiEEEESE_SE_iNS9_4plusIiEE19head_flag_predicateiEE10hipError_tPvRmT2_T3_T4_T5_mT6_T7_P12ihipStream_tbENKUlT_T0_E_clISt17integral_constantIbLb0EESY_EEDaST_SU_EUlST_E_NS1_11comp_targetILNS1_3genE3ELNS1_11target_archE908ELNS1_3gpuE7ELNS1_3repE0EEENS1_30default_config_static_selectorELNS0_4arch9wavefront6targetE1EEEvT1_,"axG",@progbits,_ZN7rocprim17ROCPRIM_400000_NS6detail17trampoline_kernelINS0_14default_configENS1_27scan_by_key_config_selectorIiiEEZZNS1_16scan_by_key_implILNS1_25lookback_scan_determinismE0ELb1ES3_N6thrust23THRUST_200600_302600_NS6detail15normal_iteratorINS9_10device_ptrIiEEEESE_SE_iNS9_4plusIiEE19head_flag_predicateiEE10hipError_tPvRmT2_T3_T4_T5_mT6_T7_P12ihipStream_tbENKUlT_T0_E_clISt17integral_constantIbLb0EESY_EEDaST_SU_EUlST_E_NS1_11comp_targetILNS1_3genE3ELNS1_11target_archE908ELNS1_3gpuE7ELNS1_3repE0EEENS1_30default_config_static_selectorELNS0_4arch9wavefront6targetE1EEEvT1_,comdat
.Lfunc_end789:
	.size	_ZN7rocprim17ROCPRIM_400000_NS6detail17trampoline_kernelINS0_14default_configENS1_27scan_by_key_config_selectorIiiEEZZNS1_16scan_by_key_implILNS1_25lookback_scan_determinismE0ELb1ES3_N6thrust23THRUST_200600_302600_NS6detail15normal_iteratorINS9_10device_ptrIiEEEESE_SE_iNS9_4plusIiEE19head_flag_predicateiEE10hipError_tPvRmT2_T3_T4_T5_mT6_T7_P12ihipStream_tbENKUlT_T0_E_clISt17integral_constantIbLb0EESY_EEDaST_SU_EUlST_E_NS1_11comp_targetILNS1_3genE3ELNS1_11target_archE908ELNS1_3gpuE7ELNS1_3repE0EEENS1_30default_config_static_selectorELNS0_4arch9wavefront6targetE1EEEvT1_, .Lfunc_end789-_ZN7rocprim17ROCPRIM_400000_NS6detail17trampoline_kernelINS0_14default_configENS1_27scan_by_key_config_selectorIiiEEZZNS1_16scan_by_key_implILNS1_25lookback_scan_determinismE0ELb1ES3_N6thrust23THRUST_200600_302600_NS6detail15normal_iteratorINS9_10device_ptrIiEEEESE_SE_iNS9_4plusIiEE19head_flag_predicateiEE10hipError_tPvRmT2_T3_T4_T5_mT6_T7_P12ihipStream_tbENKUlT_T0_E_clISt17integral_constantIbLb0EESY_EEDaST_SU_EUlST_E_NS1_11comp_targetILNS1_3genE3ELNS1_11target_archE908ELNS1_3gpuE7ELNS1_3repE0EEENS1_30default_config_static_selectorELNS0_4arch9wavefront6targetE1EEEvT1_
                                        ; -- End function
	.section	.AMDGPU.csdata,"",@progbits
; Kernel info:
; codeLenInByte = 0
; NumSgprs: 4
; NumVgprs: 0
; NumAgprs: 0
; TotalNumVgprs: 0
; ScratchSize: 0
; MemoryBound: 0
; FloatMode: 240
; IeeeMode: 1
; LDSByteSize: 0 bytes/workgroup (compile time only)
; SGPRBlocks: 0
; VGPRBlocks: 0
; NumSGPRsForWavesPerEU: 4
; NumVGPRsForWavesPerEU: 1
; AccumOffset: 4
; Occupancy: 8
; WaveLimiterHint : 0
; COMPUTE_PGM_RSRC2:SCRATCH_EN: 0
; COMPUTE_PGM_RSRC2:USER_SGPR: 6
; COMPUTE_PGM_RSRC2:TRAP_HANDLER: 0
; COMPUTE_PGM_RSRC2:TGID_X_EN: 1
; COMPUTE_PGM_RSRC2:TGID_Y_EN: 0
; COMPUTE_PGM_RSRC2:TGID_Z_EN: 0
; COMPUTE_PGM_RSRC2:TIDIG_COMP_CNT: 0
; COMPUTE_PGM_RSRC3_GFX90A:ACCUM_OFFSET: 0
; COMPUTE_PGM_RSRC3_GFX90A:TG_SPLIT: 0
	.section	.text._ZN7rocprim17ROCPRIM_400000_NS6detail17trampoline_kernelINS0_14default_configENS1_27scan_by_key_config_selectorIiiEEZZNS1_16scan_by_key_implILNS1_25lookback_scan_determinismE0ELb1ES3_N6thrust23THRUST_200600_302600_NS6detail15normal_iteratorINS9_10device_ptrIiEEEESE_SE_iNS9_4plusIiEE19head_flag_predicateiEE10hipError_tPvRmT2_T3_T4_T5_mT6_T7_P12ihipStream_tbENKUlT_T0_E_clISt17integral_constantIbLb0EESY_EEDaST_SU_EUlST_E_NS1_11comp_targetILNS1_3genE2ELNS1_11target_archE906ELNS1_3gpuE6ELNS1_3repE0EEENS1_30default_config_static_selectorELNS0_4arch9wavefront6targetE1EEEvT1_,"axG",@progbits,_ZN7rocprim17ROCPRIM_400000_NS6detail17trampoline_kernelINS0_14default_configENS1_27scan_by_key_config_selectorIiiEEZZNS1_16scan_by_key_implILNS1_25lookback_scan_determinismE0ELb1ES3_N6thrust23THRUST_200600_302600_NS6detail15normal_iteratorINS9_10device_ptrIiEEEESE_SE_iNS9_4plusIiEE19head_flag_predicateiEE10hipError_tPvRmT2_T3_T4_T5_mT6_T7_P12ihipStream_tbENKUlT_T0_E_clISt17integral_constantIbLb0EESY_EEDaST_SU_EUlST_E_NS1_11comp_targetILNS1_3genE2ELNS1_11target_archE906ELNS1_3gpuE6ELNS1_3repE0EEENS1_30default_config_static_selectorELNS0_4arch9wavefront6targetE1EEEvT1_,comdat
	.protected	_ZN7rocprim17ROCPRIM_400000_NS6detail17trampoline_kernelINS0_14default_configENS1_27scan_by_key_config_selectorIiiEEZZNS1_16scan_by_key_implILNS1_25lookback_scan_determinismE0ELb1ES3_N6thrust23THRUST_200600_302600_NS6detail15normal_iteratorINS9_10device_ptrIiEEEESE_SE_iNS9_4plusIiEE19head_flag_predicateiEE10hipError_tPvRmT2_T3_T4_T5_mT6_T7_P12ihipStream_tbENKUlT_T0_E_clISt17integral_constantIbLb0EESY_EEDaST_SU_EUlST_E_NS1_11comp_targetILNS1_3genE2ELNS1_11target_archE906ELNS1_3gpuE6ELNS1_3repE0EEENS1_30default_config_static_selectorELNS0_4arch9wavefront6targetE1EEEvT1_ ; -- Begin function _ZN7rocprim17ROCPRIM_400000_NS6detail17trampoline_kernelINS0_14default_configENS1_27scan_by_key_config_selectorIiiEEZZNS1_16scan_by_key_implILNS1_25lookback_scan_determinismE0ELb1ES3_N6thrust23THRUST_200600_302600_NS6detail15normal_iteratorINS9_10device_ptrIiEEEESE_SE_iNS9_4plusIiEE19head_flag_predicateiEE10hipError_tPvRmT2_T3_T4_T5_mT6_T7_P12ihipStream_tbENKUlT_T0_E_clISt17integral_constantIbLb0EESY_EEDaST_SU_EUlST_E_NS1_11comp_targetILNS1_3genE2ELNS1_11target_archE906ELNS1_3gpuE6ELNS1_3repE0EEENS1_30default_config_static_selectorELNS0_4arch9wavefront6targetE1EEEvT1_
	.globl	_ZN7rocprim17ROCPRIM_400000_NS6detail17trampoline_kernelINS0_14default_configENS1_27scan_by_key_config_selectorIiiEEZZNS1_16scan_by_key_implILNS1_25lookback_scan_determinismE0ELb1ES3_N6thrust23THRUST_200600_302600_NS6detail15normal_iteratorINS9_10device_ptrIiEEEESE_SE_iNS9_4plusIiEE19head_flag_predicateiEE10hipError_tPvRmT2_T3_T4_T5_mT6_T7_P12ihipStream_tbENKUlT_T0_E_clISt17integral_constantIbLb0EESY_EEDaST_SU_EUlST_E_NS1_11comp_targetILNS1_3genE2ELNS1_11target_archE906ELNS1_3gpuE6ELNS1_3repE0EEENS1_30default_config_static_selectorELNS0_4arch9wavefront6targetE1EEEvT1_
	.p2align	8
	.type	_ZN7rocprim17ROCPRIM_400000_NS6detail17trampoline_kernelINS0_14default_configENS1_27scan_by_key_config_selectorIiiEEZZNS1_16scan_by_key_implILNS1_25lookback_scan_determinismE0ELb1ES3_N6thrust23THRUST_200600_302600_NS6detail15normal_iteratorINS9_10device_ptrIiEEEESE_SE_iNS9_4plusIiEE19head_flag_predicateiEE10hipError_tPvRmT2_T3_T4_T5_mT6_T7_P12ihipStream_tbENKUlT_T0_E_clISt17integral_constantIbLb0EESY_EEDaST_SU_EUlST_E_NS1_11comp_targetILNS1_3genE2ELNS1_11target_archE906ELNS1_3gpuE6ELNS1_3repE0EEENS1_30default_config_static_selectorELNS0_4arch9wavefront6targetE1EEEvT1_,@function
_ZN7rocprim17ROCPRIM_400000_NS6detail17trampoline_kernelINS0_14default_configENS1_27scan_by_key_config_selectorIiiEEZZNS1_16scan_by_key_implILNS1_25lookback_scan_determinismE0ELb1ES3_N6thrust23THRUST_200600_302600_NS6detail15normal_iteratorINS9_10device_ptrIiEEEESE_SE_iNS9_4plusIiEE19head_flag_predicateiEE10hipError_tPvRmT2_T3_T4_T5_mT6_T7_P12ihipStream_tbENKUlT_T0_E_clISt17integral_constantIbLb0EESY_EEDaST_SU_EUlST_E_NS1_11comp_targetILNS1_3genE2ELNS1_11target_archE906ELNS1_3gpuE6ELNS1_3repE0EEENS1_30default_config_static_selectorELNS0_4arch9wavefront6targetE1EEEvT1_: ; @_ZN7rocprim17ROCPRIM_400000_NS6detail17trampoline_kernelINS0_14default_configENS1_27scan_by_key_config_selectorIiiEEZZNS1_16scan_by_key_implILNS1_25lookback_scan_determinismE0ELb1ES3_N6thrust23THRUST_200600_302600_NS6detail15normal_iteratorINS9_10device_ptrIiEEEESE_SE_iNS9_4plusIiEE19head_flag_predicateiEE10hipError_tPvRmT2_T3_T4_T5_mT6_T7_P12ihipStream_tbENKUlT_T0_E_clISt17integral_constantIbLb0EESY_EEDaST_SU_EUlST_E_NS1_11comp_targetILNS1_3genE2ELNS1_11target_archE906ELNS1_3gpuE6ELNS1_3repE0EEENS1_30default_config_static_selectorELNS0_4arch9wavefront6targetE1EEEvT1_
; %bb.0:
	.section	.rodata,"a",@progbits
	.p2align	6, 0x0
	.amdhsa_kernel _ZN7rocprim17ROCPRIM_400000_NS6detail17trampoline_kernelINS0_14default_configENS1_27scan_by_key_config_selectorIiiEEZZNS1_16scan_by_key_implILNS1_25lookback_scan_determinismE0ELb1ES3_N6thrust23THRUST_200600_302600_NS6detail15normal_iteratorINS9_10device_ptrIiEEEESE_SE_iNS9_4plusIiEE19head_flag_predicateiEE10hipError_tPvRmT2_T3_T4_T5_mT6_T7_P12ihipStream_tbENKUlT_T0_E_clISt17integral_constantIbLb0EESY_EEDaST_SU_EUlST_E_NS1_11comp_targetILNS1_3genE2ELNS1_11target_archE906ELNS1_3gpuE6ELNS1_3repE0EEENS1_30default_config_static_selectorELNS0_4arch9wavefront6targetE1EEEvT1_
		.amdhsa_group_segment_fixed_size 0
		.amdhsa_private_segment_fixed_size 0
		.amdhsa_kernarg_size 112
		.amdhsa_user_sgpr_count 6
		.amdhsa_user_sgpr_private_segment_buffer 1
		.amdhsa_user_sgpr_dispatch_ptr 0
		.amdhsa_user_sgpr_queue_ptr 0
		.amdhsa_user_sgpr_kernarg_segment_ptr 1
		.amdhsa_user_sgpr_dispatch_id 0
		.amdhsa_user_sgpr_flat_scratch_init 0
		.amdhsa_user_sgpr_kernarg_preload_length 0
		.amdhsa_user_sgpr_kernarg_preload_offset 0
		.amdhsa_user_sgpr_private_segment_size 0
		.amdhsa_uses_dynamic_stack 0
		.amdhsa_system_sgpr_private_segment_wavefront_offset 0
		.amdhsa_system_sgpr_workgroup_id_x 1
		.amdhsa_system_sgpr_workgroup_id_y 0
		.amdhsa_system_sgpr_workgroup_id_z 0
		.amdhsa_system_sgpr_workgroup_info 0
		.amdhsa_system_vgpr_workitem_id 0
		.amdhsa_next_free_vgpr 1
		.amdhsa_next_free_sgpr 0
		.amdhsa_accum_offset 4
		.amdhsa_reserve_vcc 0
		.amdhsa_reserve_flat_scratch 0
		.amdhsa_float_round_mode_32 0
		.amdhsa_float_round_mode_16_64 0
		.amdhsa_float_denorm_mode_32 3
		.amdhsa_float_denorm_mode_16_64 3
		.amdhsa_dx10_clamp 1
		.amdhsa_ieee_mode 1
		.amdhsa_fp16_overflow 0
		.amdhsa_tg_split 0
		.amdhsa_exception_fp_ieee_invalid_op 0
		.amdhsa_exception_fp_denorm_src 0
		.amdhsa_exception_fp_ieee_div_zero 0
		.amdhsa_exception_fp_ieee_overflow 0
		.amdhsa_exception_fp_ieee_underflow 0
		.amdhsa_exception_fp_ieee_inexact 0
		.amdhsa_exception_int_div_zero 0
	.end_amdhsa_kernel
	.section	.text._ZN7rocprim17ROCPRIM_400000_NS6detail17trampoline_kernelINS0_14default_configENS1_27scan_by_key_config_selectorIiiEEZZNS1_16scan_by_key_implILNS1_25lookback_scan_determinismE0ELb1ES3_N6thrust23THRUST_200600_302600_NS6detail15normal_iteratorINS9_10device_ptrIiEEEESE_SE_iNS9_4plusIiEE19head_flag_predicateiEE10hipError_tPvRmT2_T3_T4_T5_mT6_T7_P12ihipStream_tbENKUlT_T0_E_clISt17integral_constantIbLb0EESY_EEDaST_SU_EUlST_E_NS1_11comp_targetILNS1_3genE2ELNS1_11target_archE906ELNS1_3gpuE6ELNS1_3repE0EEENS1_30default_config_static_selectorELNS0_4arch9wavefront6targetE1EEEvT1_,"axG",@progbits,_ZN7rocprim17ROCPRIM_400000_NS6detail17trampoline_kernelINS0_14default_configENS1_27scan_by_key_config_selectorIiiEEZZNS1_16scan_by_key_implILNS1_25lookback_scan_determinismE0ELb1ES3_N6thrust23THRUST_200600_302600_NS6detail15normal_iteratorINS9_10device_ptrIiEEEESE_SE_iNS9_4plusIiEE19head_flag_predicateiEE10hipError_tPvRmT2_T3_T4_T5_mT6_T7_P12ihipStream_tbENKUlT_T0_E_clISt17integral_constantIbLb0EESY_EEDaST_SU_EUlST_E_NS1_11comp_targetILNS1_3genE2ELNS1_11target_archE906ELNS1_3gpuE6ELNS1_3repE0EEENS1_30default_config_static_selectorELNS0_4arch9wavefront6targetE1EEEvT1_,comdat
.Lfunc_end790:
	.size	_ZN7rocprim17ROCPRIM_400000_NS6detail17trampoline_kernelINS0_14default_configENS1_27scan_by_key_config_selectorIiiEEZZNS1_16scan_by_key_implILNS1_25lookback_scan_determinismE0ELb1ES3_N6thrust23THRUST_200600_302600_NS6detail15normal_iteratorINS9_10device_ptrIiEEEESE_SE_iNS9_4plusIiEE19head_flag_predicateiEE10hipError_tPvRmT2_T3_T4_T5_mT6_T7_P12ihipStream_tbENKUlT_T0_E_clISt17integral_constantIbLb0EESY_EEDaST_SU_EUlST_E_NS1_11comp_targetILNS1_3genE2ELNS1_11target_archE906ELNS1_3gpuE6ELNS1_3repE0EEENS1_30default_config_static_selectorELNS0_4arch9wavefront6targetE1EEEvT1_, .Lfunc_end790-_ZN7rocprim17ROCPRIM_400000_NS6detail17trampoline_kernelINS0_14default_configENS1_27scan_by_key_config_selectorIiiEEZZNS1_16scan_by_key_implILNS1_25lookback_scan_determinismE0ELb1ES3_N6thrust23THRUST_200600_302600_NS6detail15normal_iteratorINS9_10device_ptrIiEEEESE_SE_iNS9_4plusIiEE19head_flag_predicateiEE10hipError_tPvRmT2_T3_T4_T5_mT6_T7_P12ihipStream_tbENKUlT_T0_E_clISt17integral_constantIbLb0EESY_EEDaST_SU_EUlST_E_NS1_11comp_targetILNS1_3genE2ELNS1_11target_archE906ELNS1_3gpuE6ELNS1_3repE0EEENS1_30default_config_static_selectorELNS0_4arch9wavefront6targetE1EEEvT1_
                                        ; -- End function
	.section	.AMDGPU.csdata,"",@progbits
; Kernel info:
; codeLenInByte = 0
; NumSgprs: 4
; NumVgprs: 0
; NumAgprs: 0
; TotalNumVgprs: 0
; ScratchSize: 0
; MemoryBound: 0
; FloatMode: 240
; IeeeMode: 1
; LDSByteSize: 0 bytes/workgroup (compile time only)
; SGPRBlocks: 0
; VGPRBlocks: 0
; NumSGPRsForWavesPerEU: 4
; NumVGPRsForWavesPerEU: 1
; AccumOffset: 4
; Occupancy: 8
; WaveLimiterHint : 0
; COMPUTE_PGM_RSRC2:SCRATCH_EN: 0
; COMPUTE_PGM_RSRC2:USER_SGPR: 6
; COMPUTE_PGM_RSRC2:TRAP_HANDLER: 0
; COMPUTE_PGM_RSRC2:TGID_X_EN: 1
; COMPUTE_PGM_RSRC2:TGID_Y_EN: 0
; COMPUTE_PGM_RSRC2:TGID_Z_EN: 0
; COMPUTE_PGM_RSRC2:TIDIG_COMP_CNT: 0
; COMPUTE_PGM_RSRC3_GFX90A:ACCUM_OFFSET: 0
; COMPUTE_PGM_RSRC3_GFX90A:TG_SPLIT: 0
	.section	.text._ZN7rocprim17ROCPRIM_400000_NS6detail17trampoline_kernelINS0_14default_configENS1_27scan_by_key_config_selectorIiiEEZZNS1_16scan_by_key_implILNS1_25lookback_scan_determinismE0ELb1ES3_N6thrust23THRUST_200600_302600_NS6detail15normal_iteratorINS9_10device_ptrIiEEEESE_SE_iNS9_4plusIiEE19head_flag_predicateiEE10hipError_tPvRmT2_T3_T4_T5_mT6_T7_P12ihipStream_tbENKUlT_T0_E_clISt17integral_constantIbLb0EESY_EEDaST_SU_EUlST_E_NS1_11comp_targetILNS1_3genE10ELNS1_11target_archE1200ELNS1_3gpuE4ELNS1_3repE0EEENS1_30default_config_static_selectorELNS0_4arch9wavefront6targetE1EEEvT1_,"axG",@progbits,_ZN7rocprim17ROCPRIM_400000_NS6detail17trampoline_kernelINS0_14default_configENS1_27scan_by_key_config_selectorIiiEEZZNS1_16scan_by_key_implILNS1_25lookback_scan_determinismE0ELb1ES3_N6thrust23THRUST_200600_302600_NS6detail15normal_iteratorINS9_10device_ptrIiEEEESE_SE_iNS9_4plusIiEE19head_flag_predicateiEE10hipError_tPvRmT2_T3_T4_T5_mT6_T7_P12ihipStream_tbENKUlT_T0_E_clISt17integral_constantIbLb0EESY_EEDaST_SU_EUlST_E_NS1_11comp_targetILNS1_3genE10ELNS1_11target_archE1200ELNS1_3gpuE4ELNS1_3repE0EEENS1_30default_config_static_selectorELNS0_4arch9wavefront6targetE1EEEvT1_,comdat
	.protected	_ZN7rocprim17ROCPRIM_400000_NS6detail17trampoline_kernelINS0_14default_configENS1_27scan_by_key_config_selectorIiiEEZZNS1_16scan_by_key_implILNS1_25lookback_scan_determinismE0ELb1ES3_N6thrust23THRUST_200600_302600_NS6detail15normal_iteratorINS9_10device_ptrIiEEEESE_SE_iNS9_4plusIiEE19head_flag_predicateiEE10hipError_tPvRmT2_T3_T4_T5_mT6_T7_P12ihipStream_tbENKUlT_T0_E_clISt17integral_constantIbLb0EESY_EEDaST_SU_EUlST_E_NS1_11comp_targetILNS1_3genE10ELNS1_11target_archE1200ELNS1_3gpuE4ELNS1_3repE0EEENS1_30default_config_static_selectorELNS0_4arch9wavefront6targetE1EEEvT1_ ; -- Begin function _ZN7rocprim17ROCPRIM_400000_NS6detail17trampoline_kernelINS0_14default_configENS1_27scan_by_key_config_selectorIiiEEZZNS1_16scan_by_key_implILNS1_25lookback_scan_determinismE0ELb1ES3_N6thrust23THRUST_200600_302600_NS6detail15normal_iteratorINS9_10device_ptrIiEEEESE_SE_iNS9_4plusIiEE19head_flag_predicateiEE10hipError_tPvRmT2_T3_T4_T5_mT6_T7_P12ihipStream_tbENKUlT_T0_E_clISt17integral_constantIbLb0EESY_EEDaST_SU_EUlST_E_NS1_11comp_targetILNS1_3genE10ELNS1_11target_archE1200ELNS1_3gpuE4ELNS1_3repE0EEENS1_30default_config_static_selectorELNS0_4arch9wavefront6targetE1EEEvT1_
	.globl	_ZN7rocprim17ROCPRIM_400000_NS6detail17trampoline_kernelINS0_14default_configENS1_27scan_by_key_config_selectorIiiEEZZNS1_16scan_by_key_implILNS1_25lookback_scan_determinismE0ELb1ES3_N6thrust23THRUST_200600_302600_NS6detail15normal_iteratorINS9_10device_ptrIiEEEESE_SE_iNS9_4plusIiEE19head_flag_predicateiEE10hipError_tPvRmT2_T3_T4_T5_mT6_T7_P12ihipStream_tbENKUlT_T0_E_clISt17integral_constantIbLb0EESY_EEDaST_SU_EUlST_E_NS1_11comp_targetILNS1_3genE10ELNS1_11target_archE1200ELNS1_3gpuE4ELNS1_3repE0EEENS1_30default_config_static_selectorELNS0_4arch9wavefront6targetE1EEEvT1_
	.p2align	8
	.type	_ZN7rocprim17ROCPRIM_400000_NS6detail17trampoline_kernelINS0_14default_configENS1_27scan_by_key_config_selectorIiiEEZZNS1_16scan_by_key_implILNS1_25lookback_scan_determinismE0ELb1ES3_N6thrust23THRUST_200600_302600_NS6detail15normal_iteratorINS9_10device_ptrIiEEEESE_SE_iNS9_4plusIiEE19head_flag_predicateiEE10hipError_tPvRmT2_T3_T4_T5_mT6_T7_P12ihipStream_tbENKUlT_T0_E_clISt17integral_constantIbLb0EESY_EEDaST_SU_EUlST_E_NS1_11comp_targetILNS1_3genE10ELNS1_11target_archE1200ELNS1_3gpuE4ELNS1_3repE0EEENS1_30default_config_static_selectorELNS0_4arch9wavefront6targetE1EEEvT1_,@function
_ZN7rocprim17ROCPRIM_400000_NS6detail17trampoline_kernelINS0_14default_configENS1_27scan_by_key_config_selectorIiiEEZZNS1_16scan_by_key_implILNS1_25lookback_scan_determinismE0ELb1ES3_N6thrust23THRUST_200600_302600_NS6detail15normal_iteratorINS9_10device_ptrIiEEEESE_SE_iNS9_4plusIiEE19head_flag_predicateiEE10hipError_tPvRmT2_T3_T4_T5_mT6_T7_P12ihipStream_tbENKUlT_T0_E_clISt17integral_constantIbLb0EESY_EEDaST_SU_EUlST_E_NS1_11comp_targetILNS1_3genE10ELNS1_11target_archE1200ELNS1_3gpuE4ELNS1_3repE0EEENS1_30default_config_static_selectorELNS0_4arch9wavefront6targetE1EEEvT1_: ; @_ZN7rocprim17ROCPRIM_400000_NS6detail17trampoline_kernelINS0_14default_configENS1_27scan_by_key_config_selectorIiiEEZZNS1_16scan_by_key_implILNS1_25lookback_scan_determinismE0ELb1ES3_N6thrust23THRUST_200600_302600_NS6detail15normal_iteratorINS9_10device_ptrIiEEEESE_SE_iNS9_4plusIiEE19head_flag_predicateiEE10hipError_tPvRmT2_T3_T4_T5_mT6_T7_P12ihipStream_tbENKUlT_T0_E_clISt17integral_constantIbLb0EESY_EEDaST_SU_EUlST_E_NS1_11comp_targetILNS1_3genE10ELNS1_11target_archE1200ELNS1_3gpuE4ELNS1_3repE0EEENS1_30default_config_static_selectorELNS0_4arch9wavefront6targetE1EEEvT1_
; %bb.0:
	.section	.rodata,"a",@progbits
	.p2align	6, 0x0
	.amdhsa_kernel _ZN7rocprim17ROCPRIM_400000_NS6detail17trampoline_kernelINS0_14default_configENS1_27scan_by_key_config_selectorIiiEEZZNS1_16scan_by_key_implILNS1_25lookback_scan_determinismE0ELb1ES3_N6thrust23THRUST_200600_302600_NS6detail15normal_iteratorINS9_10device_ptrIiEEEESE_SE_iNS9_4plusIiEE19head_flag_predicateiEE10hipError_tPvRmT2_T3_T4_T5_mT6_T7_P12ihipStream_tbENKUlT_T0_E_clISt17integral_constantIbLb0EESY_EEDaST_SU_EUlST_E_NS1_11comp_targetILNS1_3genE10ELNS1_11target_archE1200ELNS1_3gpuE4ELNS1_3repE0EEENS1_30default_config_static_selectorELNS0_4arch9wavefront6targetE1EEEvT1_
		.amdhsa_group_segment_fixed_size 0
		.amdhsa_private_segment_fixed_size 0
		.amdhsa_kernarg_size 112
		.amdhsa_user_sgpr_count 6
		.amdhsa_user_sgpr_private_segment_buffer 1
		.amdhsa_user_sgpr_dispatch_ptr 0
		.amdhsa_user_sgpr_queue_ptr 0
		.amdhsa_user_sgpr_kernarg_segment_ptr 1
		.amdhsa_user_sgpr_dispatch_id 0
		.amdhsa_user_sgpr_flat_scratch_init 0
		.amdhsa_user_sgpr_kernarg_preload_length 0
		.amdhsa_user_sgpr_kernarg_preload_offset 0
		.amdhsa_user_sgpr_private_segment_size 0
		.amdhsa_uses_dynamic_stack 0
		.amdhsa_system_sgpr_private_segment_wavefront_offset 0
		.amdhsa_system_sgpr_workgroup_id_x 1
		.amdhsa_system_sgpr_workgroup_id_y 0
		.amdhsa_system_sgpr_workgroup_id_z 0
		.amdhsa_system_sgpr_workgroup_info 0
		.amdhsa_system_vgpr_workitem_id 0
		.amdhsa_next_free_vgpr 1
		.amdhsa_next_free_sgpr 0
		.amdhsa_accum_offset 4
		.amdhsa_reserve_vcc 0
		.amdhsa_reserve_flat_scratch 0
		.amdhsa_float_round_mode_32 0
		.amdhsa_float_round_mode_16_64 0
		.amdhsa_float_denorm_mode_32 3
		.amdhsa_float_denorm_mode_16_64 3
		.amdhsa_dx10_clamp 1
		.amdhsa_ieee_mode 1
		.amdhsa_fp16_overflow 0
		.amdhsa_tg_split 0
		.amdhsa_exception_fp_ieee_invalid_op 0
		.amdhsa_exception_fp_denorm_src 0
		.amdhsa_exception_fp_ieee_div_zero 0
		.amdhsa_exception_fp_ieee_overflow 0
		.amdhsa_exception_fp_ieee_underflow 0
		.amdhsa_exception_fp_ieee_inexact 0
		.amdhsa_exception_int_div_zero 0
	.end_amdhsa_kernel
	.section	.text._ZN7rocprim17ROCPRIM_400000_NS6detail17trampoline_kernelINS0_14default_configENS1_27scan_by_key_config_selectorIiiEEZZNS1_16scan_by_key_implILNS1_25lookback_scan_determinismE0ELb1ES3_N6thrust23THRUST_200600_302600_NS6detail15normal_iteratorINS9_10device_ptrIiEEEESE_SE_iNS9_4plusIiEE19head_flag_predicateiEE10hipError_tPvRmT2_T3_T4_T5_mT6_T7_P12ihipStream_tbENKUlT_T0_E_clISt17integral_constantIbLb0EESY_EEDaST_SU_EUlST_E_NS1_11comp_targetILNS1_3genE10ELNS1_11target_archE1200ELNS1_3gpuE4ELNS1_3repE0EEENS1_30default_config_static_selectorELNS0_4arch9wavefront6targetE1EEEvT1_,"axG",@progbits,_ZN7rocprim17ROCPRIM_400000_NS6detail17trampoline_kernelINS0_14default_configENS1_27scan_by_key_config_selectorIiiEEZZNS1_16scan_by_key_implILNS1_25lookback_scan_determinismE0ELb1ES3_N6thrust23THRUST_200600_302600_NS6detail15normal_iteratorINS9_10device_ptrIiEEEESE_SE_iNS9_4plusIiEE19head_flag_predicateiEE10hipError_tPvRmT2_T3_T4_T5_mT6_T7_P12ihipStream_tbENKUlT_T0_E_clISt17integral_constantIbLb0EESY_EEDaST_SU_EUlST_E_NS1_11comp_targetILNS1_3genE10ELNS1_11target_archE1200ELNS1_3gpuE4ELNS1_3repE0EEENS1_30default_config_static_selectorELNS0_4arch9wavefront6targetE1EEEvT1_,comdat
.Lfunc_end791:
	.size	_ZN7rocprim17ROCPRIM_400000_NS6detail17trampoline_kernelINS0_14default_configENS1_27scan_by_key_config_selectorIiiEEZZNS1_16scan_by_key_implILNS1_25lookback_scan_determinismE0ELb1ES3_N6thrust23THRUST_200600_302600_NS6detail15normal_iteratorINS9_10device_ptrIiEEEESE_SE_iNS9_4plusIiEE19head_flag_predicateiEE10hipError_tPvRmT2_T3_T4_T5_mT6_T7_P12ihipStream_tbENKUlT_T0_E_clISt17integral_constantIbLb0EESY_EEDaST_SU_EUlST_E_NS1_11comp_targetILNS1_3genE10ELNS1_11target_archE1200ELNS1_3gpuE4ELNS1_3repE0EEENS1_30default_config_static_selectorELNS0_4arch9wavefront6targetE1EEEvT1_, .Lfunc_end791-_ZN7rocprim17ROCPRIM_400000_NS6detail17trampoline_kernelINS0_14default_configENS1_27scan_by_key_config_selectorIiiEEZZNS1_16scan_by_key_implILNS1_25lookback_scan_determinismE0ELb1ES3_N6thrust23THRUST_200600_302600_NS6detail15normal_iteratorINS9_10device_ptrIiEEEESE_SE_iNS9_4plusIiEE19head_flag_predicateiEE10hipError_tPvRmT2_T3_T4_T5_mT6_T7_P12ihipStream_tbENKUlT_T0_E_clISt17integral_constantIbLb0EESY_EEDaST_SU_EUlST_E_NS1_11comp_targetILNS1_3genE10ELNS1_11target_archE1200ELNS1_3gpuE4ELNS1_3repE0EEENS1_30default_config_static_selectorELNS0_4arch9wavefront6targetE1EEEvT1_
                                        ; -- End function
	.section	.AMDGPU.csdata,"",@progbits
; Kernel info:
; codeLenInByte = 0
; NumSgprs: 4
; NumVgprs: 0
; NumAgprs: 0
; TotalNumVgprs: 0
; ScratchSize: 0
; MemoryBound: 0
; FloatMode: 240
; IeeeMode: 1
; LDSByteSize: 0 bytes/workgroup (compile time only)
; SGPRBlocks: 0
; VGPRBlocks: 0
; NumSGPRsForWavesPerEU: 4
; NumVGPRsForWavesPerEU: 1
; AccumOffset: 4
; Occupancy: 8
; WaveLimiterHint : 0
; COMPUTE_PGM_RSRC2:SCRATCH_EN: 0
; COMPUTE_PGM_RSRC2:USER_SGPR: 6
; COMPUTE_PGM_RSRC2:TRAP_HANDLER: 0
; COMPUTE_PGM_RSRC2:TGID_X_EN: 1
; COMPUTE_PGM_RSRC2:TGID_Y_EN: 0
; COMPUTE_PGM_RSRC2:TGID_Z_EN: 0
; COMPUTE_PGM_RSRC2:TIDIG_COMP_CNT: 0
; COMPUTE_PGM_RSRC3_GFX90A:ACCUM_OFFSET: 0
; COMPUTE_PGM_RSRC3_GFX90A:TG_SPLIT: 0
	.section	.text._ZN7rocprim17ROCPRIM_400000_NS6detail17trampoline_kernelINS0_14default_configENS1_27scan_by_key_config_selectorIiiEEZZNS1_16scan_by_key_implILNS1_25lookback_scan_determinismE0ELb1ES3_N6thrust23THRUST_200600_302600_NS6detail15normal_iteratorINS9_10device_ptrIiEEEESE_SE_iNS9_4plusIiEE19head_flag_predicateiEE10hipError_tPvRmT2_T3_T4_T5_mT6_T7_P12ihipStream_tbENKUlT_T0_E_clISt17integral_constantIbLb0EESY_EEDaST_SU_EUlST_E_NS1_11comp_targetILNS1_3genE9ELNS1_11target_archE1100ELNS1_3gpuE3ELNS1_3repE0EEENS1_30default_config_static_selectorELNS0_4arch9wavefront6targetE1EEEvT1_,"axG",@progbits,_ZN7rocprim17ROCPRIM_400000_NS6detail17trampoline_kernelINS0_14default_configENS1_27scan_by_key_config_selectorIiiEEZZNS1_16scan_by_key_implILNS1_25lookback_scan_determinismE0ELb1ES3_N6thrust23THRUST_200600_302600_NS6detail15normal_iteratorINS9_10device_ptrIiEEEESE_SE_iNS9_4plusIiEE19head_flag_predicateiEE10hipError_tPvRmT2_T3_T4_T5_mT6_T7_P12ihipStream_tbENKUlT_T0_E_clISt17integral_constantIbLb0EESY_EEDaST_SU_EUlST_E_NS1_11comp_targetILNS1_3genE9ELNS1_11target_archE1100ELNS1_3gpuE3ELNS1_3repE0EEENS1_30default_config_static_selectorELNS0_4arch9wavefront6targetE1EEEvT1_,comdat
	.protected	_ZN7rocprim17ROCPRIM_400000_NS6detail17trampoline_kernelINS0_14default_configENS1_27scan_by_key_config_selectorIiiEEZZNS1_16scan_by_key_implILNS1_25lookback_scan_determinismE0ELb1ES3_N6thrust23THRUST_200600_302600_NS6detail15normal_iteratorINS9_10device_ptrIiEEEESE_SE_iNS9_4plusIiEE19head_flag_predicateiEE10hipError_tPvRmT2_T3_T4_T5_mT6_T7_P12ihipStream_tbENKUlT_T0_E_clISt17integral_constantIbLb0EESY_EEDaST_SU_EUlST_E_NS1_11comp_targetILNS1_3genE9ELNS1_11target_archE1100ELNS1_3gpuE3ELNS1_3repE0EEENS1_30default_config_static_selectorELNS0_4arch9wavefront6targetE1EEEvT1_ ; -- Begin function _ZN7rocprim17ROCPRIM_400000_NS6detail17trampoline_kernelINS0_14default_configENS1_27scan_by_key_config_selectorIiiEEZZNS1_16scan_by_key_implILNS1_25lookback_scan_determinismE0ELb1ES3_N6thrust23THRUST_200600_302600_NS6detail15normal_iteratorINS9_10device_ptrIiEEEESE_SE_iNS9_4plusIiEE19head_flag_predicateiEE10hipError_tPvRmT2_T3_T4_T5_mT6_T7_P12ihipStream_tbENKUlT_T0_E_clISt17integral_constantIbLb0EESY_EEDaST_SU_EUlST_E_NS1_11comp_targetILNS1_3genE9ELNS1_11target_archE1100ELNS1_3gpuE3ELNS1_3repE0EEENS1_30default_config_static_selectorELNS0_4arch9wavefront6targetE1EEEvT1_
	.globl	_ZN7rocprim17ROCPRIM_400000_NS6detail17trampoline_kernelINS0_14default_configENS1_27scan_by_key_config_selectorIiiEEZZNS1_16scan_by_key_implILNS1_25lookback_scan_determinismE0ELb1ES3_N6thrust23THRUST_200600_302600_NS6detail15normal_iteratorINS9_10device_ptrIiEEEESE_SE_iNS9_4plusIiEE19head_flag_predicateiEE10hipError_tPvRmT2_T3_T4_T5_mT6_T7_P12ihipStream_tbENKUlT_T0_E_clISt17integral_constantIbLb0EESY_EEDaST_SU_EUlST_E_NS1_11comp_targetILNS1_3genE9ELNS1_11target_archE1100ELNS1_3gpuE3ELNS1_3repE0EEENS1_30default_config_static_selectorELNS0_4arch9wavefront6targetE1EEEvT1_
	.p2align	8
	.type	_ZN7rocprim17ROCPRIM_400000_NS6detail17trampoline_kernelINS0_14default_configENS1_27scan_by_key_config_selectorIiiEEZZNS1_16scan_by_key_implILNS1_25lookback_scan_determinismE0ELb1ES3_N6thrust23THRUST_200600_302600_NS6detail15normal_iteratorINS9_10device_ptrIiEEEESE_SE_iNS9_4plusIiEE19head_flag_predicateiEE10hipError_tPvRmT2_T3_T4_T5_mT6_T7_P12ihipStream_tbENKUlT_T0_E_clISt17integral_constantIbLb0EESY_EEDaST_SU_EUlST_E_NS1_11comp_targetILNS1_3genE9ELNS1_11target_archE1100ELNS1_3gpuE3ELNS1_3repE0EEENS1_30default_config_static_selectorELNS0_4arch9wavefront6targetE1EEEvT1_,@function
_ZN7rocprim17ROCPRIM_400000_NS6detail17trampoline_kernelINS0_14default_configENS1_27scan_by_key_config_selectorIiiEEZZNS1_16scan_by_key_implILNS1_25lookback_scan_determinismE0ELb1ES3_N6thrust23THRUST_200600_302600_NS6detail15normal_iteratorINS9_10device_ptrIiEEEESE_SE_iNS9_4plusIiEE19head_flag_predicateiEE10hipError_tPvRmT2_T3_T4_T5_mT6_T7_P12ihipStream_tbENKUlT_T0_E_clISt17integral_constantIbLb0EESY_EEDaST_SU_EUlST_E_NS1_11comp_targetILNS1_3genE9ELNS1_11target_archE1100ELNS1_3gpuE3ELNS1_3repE0EEENS1_30default_config_static_selectorELNS0_4arch9wavefront6targetE1EEEvT1_: ; @_ZN7rocprim17ROCPRIM_400000_NS6detail17trampoline_kernelINS0_14default_configENS1_27scan_by_key_config_selectorIiiEEZZNS1_16scan_by_key_implILNS1_25lookback_scan_determinismE0ELb1ES3_N6thrust23THRUST_200600_302600_NS6detail15normal_iteratorINS9_10device_ptrIiEEEESE_SE_iNS9_4plusIiEE19head_flag_predicateiEE10hipError_tPvRmT2_T3_T4_T5_mT6_T7_P12ihipStream_tbENKUlT_T0_E_clISt17integral_constantIbLb0EESY_EEDaST_SU_EUlST_E_NS1_11comp_targetILNS1_3genE9ELNS1_11target_archE1100ELNS1_3gpuE3ELNS1_3repE0EEENS1_30default_config_static_selectorELNS0_4arch9wavefront6targetE1EEEvT1_
; %bb.0:
	.section	.rodata,"a",@progbits
	.p2align	6, 0x0
	.amdhsa_kernel _ZN7rocprim17ROCPRIM_400000_NS6detail17trampoline_kernelINS0_14default_configENS1_27scan_by_key_config_selectorIiiEEZZNS1_16scan_by_key_implILNS1_25lookback_scan_determinismE0ELb1ES3_N6thrust23THRUST_200600_302600_NS6detail15normal_iteratorINS9_10device_ptrIiEEEESE_SE_iNS9_4plusIiEE19head_flag_predicateiEE10hipError_tPvRmT2_T3_T4_T5_mT6_T7_P12ihipStream_tbENKUlT_T0_E_clISt17integral_constantIbLb0EESY_EEDaST_SU_EUlST_E_NS1_11comp_targetILNS1_3genE9ELNS1_11target_archE1100ELNS1_3gpuE3ELNS1_3repE0EEENS1_30default_config_static_selectorELNS0_4arch9wavefront6targetE1EEEvT1_
		.amdhsa_group_segment_fixed_size 0
		.amdhsa_private_segment_fixed_size 0
		.amdhsa_kernarg_size 112
		.amdhsa_user_sgpr_count 6
		.amdhsa_user_sgpr_private_segment_buffer 1
		.amdhsa_user_sgpr_dispatch_ptr 0
		.amdhsa_user_sgpr_queue_ptr 0
		.amdhsa_user_sgpr_kernarg_segment_ptr 1
		.amdhsa_user_sgpr_dispatch_id 0
		.amdhsa_user_sgpr_flat_scratch_init 0
		.amdhsa_user_sgpr_kernarg_preload_length 0
		.amdhsa_user_sgpr_kernarg_preload_offset 0
		.amdhsa_user_sgpr_private_segment_size 0
		.amdhsa_uses_dynamic_stack 0
		.amdhsa_system_sgpr_private_segment_wavefront_offset 0
		.amdhsa_system_sgpr_workgroup_id_x 1
		.amdhsa_system_sgpr_workgroup_id_y 0
		.amdhsa_system_sgpr_workgroup_id_z 0
		.amdhsa_system_sgpr_workgroup_info 0
		.amdhsa_system_vgpr_workitem_id 0
		.amdhsa_next_free_vgpr 1
		.amdhsa_next_free_sgpr 0
		.amdhsa_accum_offset 4
		.amdhsa_reserve_vcc 0
		.amdhsa_reserve_flat_scratch 0
		.amdhsa_float_round_mode_32 0
		.amdhsa_float_round_mode_16_64 0
		.amdhsa_float_denorm_mode_32 3
		.amdhsa_float_denorm_mode_16_64 3
		.amdhsa_dx10_clamp 1
		.amdhsa_ieee_mode 1
		.amdhsa_fp16_overflow 0
		.amdhsa_tg_split 0
		.amdhsa_exception_fp_ieee_invalid_op 0
		.amdhsa_exception_fp_denorm_src 0
		.amdhsa_exception_fp_ieee_div_zero 0
		.amdhsa_exception_fp_ieee_overflow 0
		.amdhsa_exception_fp_ieee_underflow 0
		.amdhsa_exception_fp_ieee_inexact 0
		.amdhsa_exception_int_div_zero 0
	.end_amdhsa_kernel
	.section	.text._ZN7rocprim17ROCPRIM_400000_NS6detail17trampoline_kernelINS0_14default_configENS1_27scan_by_key_config_selectorIiiEEZZNS1_16scan_by_key_implILNS1_25lookback_scan_determinismE0ELb1ES3_N6thrust23THRUST_200600_302600_NS6detail15normal_iteratorINS9_10device_ptrIiEEEESE_SE_iNS9_4plusIiEE19head_flag_predicateiEE10hipError_tPvRmT2_T3_T4_T5_mT6_T7_P12ihipStream_tbENKUlT_T0_E_clISt17integral_constantIbLb0EESY_EEDaST_SU_EUlST_E_NS1_11comp_targetILNS1_3genE9ELNS1_11target_archE1100ELNS1_3gpuE3ELNS1_3repE0EEENS1_30default_config_static_selectorELNS0_4arch9wavefront6targetE1EEEvT1_,"axG",@progbits,_ZN7rocprim17ROCPRIM_400000_NS6detail17trampoline_kernelINS0_14default_configENS1_27scan_by_key_config_selectorIiiEEZZNS1_16scan_by_key_implILNS1_25lookback_scan_determinismE0ELb1ES3_N6thrust23THRUST_200600_302600_NS6detail15normal_iteratorINS9_10device_ptrIiEEEESE_SE_iNS9_4plusIiEE19head_flag_predicateiEE10hipError_tPvRmT2_T3_T4_T5_mT6_T7_P12ihipStream_tbENKUlT_T0_E_clISt17integral_constantIbLb0EESY_EEDaST_SU_EUlST_E_NS1_11comp_targetILNS1_3genE9ELNS1_11target_archE1100ELNS1_3gpuE3ELNS1_3repE0EEENS1_30default_config_static_selectorELNS0_4arch9wavefront6targetE1EEEvT1_,comdat
.Lfunc_end792:
	.size	_ZN7rocprim17ROCPRIM_400000_NS6detail17trampoline_kernelINS0_14default_configENS1_27scan_by_key_config_selectorIiiEEZZNS1_16scan_by_key_implILNS1_25lookback_scan_determinismE0ELb1ES3_N6thrust23THRUST_200600_302600_NS6detail15normal_iteratorINS9_10device_ptrIiEEEESE_SE_iNS9_4plusIiEE19head_flag_predicateiEE10hipError_tPvRmT2_T3_T4_T5_mT6_T7_P12ihipStream_tbENKUlT_T0_E_clISt17integral_constantIbLb0EESY_EEDaST_SU_EUlST_E_NS1_11comp_targetILNS1_3genE9ELNS1_11target_archE1100ELNS1_3gpuE3ELNS1_3repE0EEENS1_30default_config_static_selectorELNS0_4arch9wavefront6targetE1EEEvT1_, .Lfunc_end792-_ZN7rocprim17ROCPRIM_400000_NS6detail17trampoline_kernelINS0_14default_configENS1_27scan_by_key_config_selectorIiiEEZZNS1_16scan_by_key_implILNS1_25lookback_scan_determinismE0ELb1ES3_N6thrust23THRUST_200600_302600_NS6detail15normal_iteratorINS9_10device_ptrIiEEEESE_SE_iNS9_4plusIiEE19head_flag_predicateiEE10hipError_tPvRmT2_T3_T4_T5_mT6_T7_P12ihipStream_tbENKUlT_T0_E_clISt17integral_constantIbLb0EESY_EEDaST_SU_EUlST_E_NS1_11comp_targetILNS1_3genE9ELNS1_11target_archE1100ELNS1_3gpuE3ELNS1_3repE0EEENS1_30default_config_static_selectorELNS0_4arch9wavefront6targetE1EEEvT1_
                                        ; -- End function
	.section	.AMDGPU.csdata,"",@progbits
; Kernel info:
; codeLenInByte = 0
; NumSgprs: 4
; NumVgprs: 0
; NumAgprs: 0
; TotalNumVgprs: 0
; ScratchSize: 0
; MemoryBound: 0
; FloatMode: 240
; IeeeMode: 1
; LDSByteSize: 0 bytes/workgroup (compile time only)
; SGPRBlocks: 0
; VGPRBlocks: 0
; NumSGPRsForWavesPerEU: 4
; NumVGPRsForWavesPerEU: 1
; AccumOffset: 4
; Occupancy: 8
; WaveLimiterHint : 0
; COMPUTE_PGM_RSRC2:SCRATCH_EN: 0
; COMPUTE_PGM_RSRC2:USER_SGPR: 6
; COMPUTE_PGM_RSRC2:TRAP_HANDLER: 0
; COMPUTE_PGM_RSRC2:TGID_X_EN: 1
; COMPUTE_PGM_RSRC2:TGID_Y_EN: 0
; COMPUTE_PGM_RSRC2:TGID_Z_EN: 0
; COMPUTE_PGM_RSRC2:TIDIG_COMP_CNT: 0
; COMPUTE_PGM_RSRC3_GFX90A:ACCUM_OFFSET: 0
; COMPUTE_PGM_RSRC3_GFX90A:TG_SPLIT: 0
	.section	.text._ZN7rocprim17ROCPRIM_400000_NS6detail17trampoline_kernelINS0_14default_configENS1_27scan_by_key_config_selectorIiiEEZZNS1_16scan_by_key_implILNS1_25lookback_scan_determinismE0ELb1ES3_N6thrust23THRUST_200600_302600_NS6detail15normal_iteratorINS9_10device_ptrIiEEEESE_SE_iNS9_4plusIiEE19head_flag_predicateiEE10hipError_tPvRmT2_T3_T4_T5_mT6_T7_P12ihipStream_tbENKUlT_T0_E_clISt17integral_constantIbLb0EESY_EEDaST_SU_EUlST_E_NS1_11comp_targetILNS1_3genE8ELNS1_11target_archE1030ELNS1_3gpuE2ELNS1_3repE0EEENS1_30default_config_static_selectorELNS0_4arch9wavefront6targetE1EEEvT1_,"axG",@progbits,_ZN7rocprim17ROCPRIM_400000_NS6detail17trampoline_kernelINS0_14default_configENS1_27scan_by_key_config_selectorIiiEEZZNS1_16scan_by_key_implILNS1_25lookback_scan_determinismE0ELb1ES3_N6thrust23THRUST_200600_302600_NS6detail15normal_iteratorINS9_10device_ptrIiEEEESE_SE_iNS9_4plusIiEE19head_flag_predicateiEE10hipError_tPvRmT2_T3_T4_T5_mT6_T7_P12ihipStream_tbENKUlT_T0_E_clISt17integral_constantIbLb0EESY_EEDaST_SU_EUlST_E_NS1_11comp_targetILNS1_3genE8ELNS1_11target_archE1030ELNS1_3gpuE2ELNS1_3repE0EEENS1_30default_config_static_selectorELNS0_4arch9wavefront6targetE1EEEvT1_,comdat
	.protected	_ZN7rocprim17ROCPRIM_400000_NS6detail17trampoline_kernelINS0_14default_configENS1_27scan_by_key_config_selectorIiiEEZZNS1_16scan_by_key_implILNS1_25lookback_scan_determinismE0ELb1ES3_N6thrust23THRUST_200600_302600_NS6detail15normal_iteratorINS9_10device_ptrIiEEEESE_SE_iNS9_4plusIiEE19head_flag_predicateiEE10hipError_tPvRmT2_T3_T4_T5_mT6_T7_P12ihipStream_tbENKUlT_T0_E_clISt17integral_constantIbLb0EESY_EEDaST_SU_EUlST_E_NS1_11comp_targetILNS1_3genE8ELNS1_11target_archE1030ELNS1_3gpuE2ELNS1_3repE0EEENS1_30default_config_static_selectorELNS0_4arch9wavefront6targetE1EEEvT1_ ; -- Begin function _ZN7rocprim17ROCPRIM_400000_NS6detail17trampoline_kernelINS0_14default_configENS1_27scan_by_key_config_selectorIiiEEZZNS1_16scan_by_key_implILNS1_25lookback_scan_determinismE0ELb1ES3_N6thrust23THRUST_200600_302600_NS6detail15normal_iteratorINS9_10device_ptrIiEEEESE_SE_iNS9_4plusIiEE19head_flag_predicateiEE10hipError_tPvRmT2_T3_T4_T5_mT6_T7_P12ihipStream_tbENKUlT_T0_E_clISt17integral_constantIbLb0EESY_EEDaST_SU_EUlST_E_NS1_11comp_targetILNS1_3genE8ELNS1_11target_archE1030ELNS1_3gpuE2ELNS1_3repE0EEENS1_30default_config_static_selectorELNS0_4arch9wavefront6targetE1EEEvT1_
	.globl	_ZN7rocprim17ROCPRIM_400000_NS6detail17trampoline_kernelINS0_14default_configENS1_27scan_by_key_config_selectorIiiEEZZNS1_16scan_by_key_implILNS1_25lookback_scan_determinismE0ELb1ES3_N6thrust23THRUST_200600_302600_NS6detail15normal_iteratorINS9_10device_ptrIiEEEESE_SE_iNS9_4plusIiEE19head_flag_predicateiEE10hipError_tPvRmT2_T3_T4_T5_mT6_T7_P12ihipStream_tbENKUlT_T0_E_clISt17integral_constantIbLb0EESY_EEDaST_SU_EUlST_E_NS1_11comp_targetILNS1_3genE8ELNS1_11target_archE1030ELNS1_3gpuE2ELNS1_3repE0EEENS1_30default_config_static_selectorELNS0_4arch9wavefront6targetE1EEEvT1_
	.p2align	8
	.type	_ZN7rocprim17ROCPRIM_400000_NS6detail17trampoline_kernelINS0_14default_configENS1_27scan_by_key_config_selectorIiiEEZZNS1_16scan_by_key_implILNS1_25lookback_scan_determinismE0ELb1ES3_N6thrust23THRUST_200600_302600_NS6detail15normal_iteratorINS9_10device_ptrIiEEEESE_SE_iNS9_4plusIiEE19head_flag_predicateiEE10hipError_tPvRmT2_T3_T4_T5_mT6_T7_P12ihipStream_tbENKUlT_T0_E_clISt17integral_constantIbLb0EESY_EEDaST_SU_EUlST_E_NS1_11comp_targetILNS1_3genE8ELNS1_11target_archE1030ELNS1_3gpuE2ELNS1_3repE0EEENS1_30default_config_static_selectorELNS0_4arch9wavefront6targetE1EEEvT1_,@function
_ZN7rocprim17ROCPRIM_400000_NS6detail17trampoline_kernelINS0_14default_configENS1_27scan_by_key_config_selectorIiiEEZZNS1_16scan_by_key_implILNS1_25lookback_scan_determinismE0ELb1ES3_N6thrust23THRUST_200600_302600_NS6detail15normal_iteratorINS9_10device_ptrIiEEEESE_SE_iNS9_4plusIiEE19head_flag_predicateiEE10hipError_tPvRmT2_T3_T4_T5_mT6_T7_P12ihipStream_tbENKUlT_T0_E_clISt17integral_constantIbLb0EESY_EEDaST_SU_EUlST_E_NS1_11comp_targetILNS1_3genE8ELNS1_11target_archE1030ELNS1_3gpuE2ELNS1_3repE0EEENS1_30default_config_static_selectorELNS0_4arch9wavefront6targetE1EEEvT1_: ; @_ZN7rocprim17ROCPRIM_400000_NS6detail17trampoline_kernelINS0_14default_configENS1_27scan_by_key_config_selectorIiiEEZZNS1_16scan_by_key_implILNS1_25lookback_scan_determinismE0ELb1ES3_N6thrust23THRUST_200600_302600_NS6detail15normal_iteratorINS9_10device_ptrIiEEEESE_SE_iNS9_4plusIiEE19head_flag_predicateiEE10hipError_tPvRmT2_T3_T4_T5_mT6_T7_P12ihipStream_tbENKUlT_T0_E_clISt17integral_constantIbLb0EESY_EEDaST_SU_EUlST_E_NS1_11comp_targetILNS1_3genE8ELNS1_11target_archE1030ELNS1_3gpuE2ELNS1_3repE0EEENS1_30default_config_static_selectorELNS0_4arch9wavefront6targetE1EEEvT1_
; %bb.0:
	.section	.rodata,"a",@progbits
	.p2align	6, 0x0
	.amdhsa_kernel _ZN7rocprim17ROCPRIM_400000_NS6detail17trampoline_kernelINS0_14default_configENS1_27scan_by_key_config_selectorIiiEEZZNS1_16scan_by_key_implILNS1_25lookback_scan_determinismE0ELb1ES3_N6thrust23THRUST_200600_302600_NS6detail15normal_iteratorINS9_10device_ptrIiEEEESE_SE_iNS9_4plusIiEE19head_flag_predicateiEE10hipError_tPvRmT2_T3_T4_T5_mT6_T7_P12ihipStream_tbENKUlT_T0_E_clISt17integral_constantIbLb0EESY_EEDaST_SU_EUlST_E_NS1_11comp_targetILNS1_3genE8ELNS1_11target_archE1030ELNS1_3gpuE2ELNS1_3repE0EEENS1_30default_config_static_selectorELNS0_4arch9wavefront6targetE1EEEvT1_
		.amdhsa_group_segment_fixed_size 0
		.amdhsa_private_segment_fixed_size 0
		.amdhsa_kernarg_size 112
		.amdhsa_user_sgpr_count 6
		.amdhsa_user_sgpr_private_segment_buffer 1
		.amdhsa_user_sgpr_dispatch_ptr 0
		.amdhsa_user_sgpr_queue_ptr 0
		.amdhsa_user_sgpr_kernarg_segment_ptr 1
		.amdhsa_user_sgpr_dispatch_id 0
		.amdhsa_user_sgpr_flat_scratch_init 0
		.amdhsa_user_sgpr_kernarg_preload_length 0
		.amdhsa_user_sgpr_kernarg_preload_offset 0
		.amdhsa_user_sgpr_private_segment_size 0
		.amdhsa_uses_dynamic_stack 0
		.amdhsa_system_sgpr_private_segment_wavefront_offset 0
		.amdhsa_system_sgpr_workgroup_id_x 1
		.amdhsa_system_sgpr_workgroup_id_y 0
		.amdhsa_system_sgpr_workgroup_id_z 0
		.amdhsa_system_sgpr_workgroup_info 0
		.amdhsa_system_vgpr_workitem_id 0
		.amdhsa_next_free_vgpr 1
		.amdhsa_next_free_sgpr 0
		.amdhsa_accum_offset 4
		.amdhsa_reserve_vcc 0
		.amdhsa_reserve_flat_scratch 0
		.amdhsa_float_round_mode_32 0
		.amdhsa_float_round_mode_16_64 0
		.amdhsa_float_denorm_mode_32 3
		.amdhsa_float_denorm_mode_16_64 3
		.amdhsa_dx10_clamp 1
		.amdhsa_ieee_mode 1
		.amdhsa_fp16_overflow 0
		.amdhsa_tg_split 0
		.amdhsa_exception_fp_ieee_invalid_op 0
		.amdhsa_exception_fp_denorm_src 0
		.amdhsa_exception_fp_ieee_div_zero 0
		.amdhsa_exception_fp_ieee_overflow 0
		.amdhsa_exception_fp_ieee_underflow 0
		.amdhsa_exception_fp_ieee_inexact 0
		.amdhsa_exception_int_div_zero 0
	.end_amdhsa_kernel
	.section	.text._ZN7rocprim17ROCPRIM_400000_NS6detail17trampoline_kernelINS0_14default_configENS1_27scan_by_key_config_selectorIiiEEZZNS1_16scan_by_key_implILNS1_25lookback_scan_determinismE0ELb1ES3_N6thrust23THRUST_200600_302600_NS6detail15normal_iteratorINS9_10device_ptrIiEEEESE_SE_iNS9_4plusIiEE19head_flag_predicateiEE10hipError_tPvRmT2_T3_T4_T5_mT6_T7_P12ihipStream_tbENKUlT_T0_E_clISt17integral_constantIbLb0EESY_EEDaST_SU_EUlST_E_NS1_11comp_targetILNS1_3genE8ELNS1_11target_archE1030ELNS1_3gpuE2ELNS1_3repE0EEENS1_30default_config_static_selectorELNS0_4arch9wavefront6targetE1EEEvT1_,"axG",@progbits,_ZN7rocprim17ROCPRIM_400000_NS6detail17trampoline_kernelINS0_14default_configENS1_27scan_by_key_config_selectorIiiEEZZNS1_16scan_by_key_implILNS1_25lookback_scan_determinismE0ELb1ES3_N6thrust23THRUST_200600_302600_NS6detail15normal_iteratorINS9_10device_ptrIiEEEESE_SE_iNS9_4plusIiEE19head_flag_predicateiEE10hipError_tPvRmT2_T3_T4_T5_mT6_T7_P12ihipStream_tbENKUlT_T0_E_clISt17integral_constantIbLb0EESY_EEDaST_SU_EUlST_E_NS1_11comp_targetILNS1_3genE8ELNS1_11target_archE1030ELNS1_3gpuE2ELNS1_3repE0EEENS1_30default_config_static_selectorELNS0_4arch9wavefront6targetE1EEEvT1_,comdat
.Lfunc_end793:
	.size	_ZN7rocprim17ROCPRIM_400000_NS6detail17trampoline_kernelINS0_14default_configENS1_27scan_by_key_config_selectorIiiEEZZNS1_16scan_by_key_implILNS1_25lookback_scan_determinismE0ELb1ES3_N6thrust23THRUST_200600_302600_NS6detail15normal_iteratorINS9_10device_ptrIiEEEESE_SE_iNS9_4plusIiEE19head_flag_predicateiEE10hipError_tPvRmT2_T3_T4_T5_mT6_T7_P12ihipStream_tbENKUlT_T0_E_clISt17integral_constantIbLb0EESY_EEDaST_SU_EUlST_E_NS1_11comp_targetILNS1_3genE8ELNS1_11target_archE1030ELNS1_3gpuE2ELNS1_3repE0EEENS1_30default_config_static_selectorELNS0_4arch9wavefront6targetE1EEEvT1_, .Lfunc_end793-_ZN7rocprim17ROCPRIM_400000_NS6detail17trampoline_kernelINS0_14default_configENS1_27scan_by_key_config_selectorIiiEEZZNS1_16scan_by_key_implILNS1_25lookback_scan_determinismE0ELb1ES3_N6thrust23THRUST_200600_302600_NS6detail15normal_iteratorINS9_10device_ptrIiEEEESE_SE_iNS9_4plusIiEE19head_flag_predicateiEE10hipError_tPvRmT2_T3_T4_T5_mT6_T7_P12ihipStream_tbENKUlT_T0_E_clISt17integral_constantIbLb0EESY_EEDaST_SU_EUlST_E_NS1_11comp_targetILNS1_3genE8ELNS1_11target_archE1030ELNS1_3gpuE2ELNS1_3repE0EEENS1_30default_config_static_selectorELNS0_4arch9wavefront6targetE1EEEvT1_
                                        ; -- End function
	.section	.AMDGPU.csdata,"",@progbits
; Kernel info:
; codeLenInByte = 0
; NumSgprs: 4
; NumVgprs: 0
; NumAgprs: 0
; TotalNumVgprs: 0
; ScratchSize: 0
; MemoryBound: 0
; FloatMode: 240
; IeeeMode: 1
; LDSByteSize: 0 bytes/workgroup (compile time only)
; SGPRBlocks: 0
; VGPRBlocks: 0
; NumSGPRsForWavesPerEU: 4
; NumVGPRsForWavesPerEU: 1
; AccumOffset: 4
; Occupancy: 8
; WaveLimiterHint : 0
; COMPUTE_PGM_RSRC2:SCRATCH_EN: 0
; COMPUTE_PGM_RSRC2:USER_SGPR: 6
; COMPUTE_PGM_RSRC2:TRAP_HANDLER: 0
; COMPUTE_PGM_RSRC2:TGID_X_EN: 1
; COMPUTE_PGM_RSRC2:TGID_Y_EN: 0
; COMPUTE_PGM_RSRC2:TGID_Z_EN: 0
; COMPUTE_PGM_RSRC2:TIDIG_COMP_CNT: 0
; COMPUTE_PGM_RSRC3_GFX90A:ACCUM_OFFSET: 0
; COMPUTE_PGM_RSRC3_GFX90A:TG_SPLIT: 0
	.section	.text._ZN7rocprim17ROCPRIM_400000_NS6detail17trampoline_kernelINS0_14default_configENS1_27scan_by_key_config_selectorIiiEEZZNS1_16scan_by_key_implILNS1_25lookback_scan_determinismE0ELb1ES3_N6thrust23THRUST_200600_302600_NS6detail15normal_iteratorINS9_10device_ptrIiEEEESE_SE_iNS9_4plusIiEE19head_flag_predicateiEE10hipError_tPvRmT2_T3_T4_T5_mT6_T7_P12ihipStream_tbENKUlT_T0_E_clISt17integral_constantIbLb1EESY_EEDaST_SU_EUlST_E_NS1_11comp_targetILNS1_3genE0ELNS1_11target_archE4294967295ELNS1_3gpuE0ELNS1_3repE0EEENS1_30default_config_static_selectorELNS0_4arch9wavefront6targetE1EEEvT1_,"axG",@progbits,_ZN7rocprim17ROCPRIM_400000_NS6detail17trampoline_kernelINS0_14default_configENS1_27scan_by_key_config_selectorIiiEEZZNS1_16scan_by_key_implILNS1_25lookback_scan_determinismE0ELb1ES3_N6thrust23THRUST_200600_302600_NS6detail15normal_iteratorINS9_10device_ptrIiEEEESE_SE_iNS9_4plusIiEE19head_flag_predicateiEE10hipError_tPvRmT2_T3_T4_T5_mT6_T7_P12ihipStream_tbENKUlT_T0_E_clISt17integral_constantIbLb1EESY_EEDaST_SU_EUlST_E_NS1_11comp_targetILNS1_3genE0ELNS1_11target_archE4294967295ELNS1_3gpuE0ELNS1_3repE0EEENS1_30default_config_static_selectorELNS0_4arch9wavefront6targetE1EEEvT1_,comdat
	.protected	_ZN7rocprim17ROCPRIM_400000_NS6detail17trampoline_kernelINS0_14default_configENS1_27scan_by_key_config_selectorIiiEEZZNS1_16scan_by_key_implILNS1_25lookback_scan_determinismE0ELb1ES3_N6thrust23THRUST_200600_302600_NS6detail15normal_iteratorINS9_10device_ptrIiEEEESE_SE_iNS9_4plusIiEE19head_flag_predicateiEE10hipError_tPvRmT2_T3_T4_T5_mT6_T7_P12ihipStream_tbENKUlT_T0_E_clISt17integral_constantIbLb1EESY_EEDaST_SU_EUlST_E_NS1_11comp_targetILNS1_3genE0ELNS1_11target_archE4294967295ELNS1_3gpuE0ELNS1_3repE0EEENS1_30default_config_static_selectorELNS0_4arch9wavefront6targetE1EEEvT1_ ; -- Begin function _ZN7rocprim17ROCPRIM_400000_NS6detail17trampoline_kernelINS0_14default_configENS1_27scan_by_key_config_selectorIiiEEZZNS1_16scan_by_key_implILNS1_25lookback_scan_determinismE0ELb1ES3_N6thrust23THRUST_200600_302600_NS6detail15normal_iteratorINS9_10device_ptrIiEEEESE_SE_iNS9_4plusIiEE19head_flag_predicateiEE10hipError_tPvRmT2_T3_T4_T5_mT6_T7_P12ihipStream_tbENKUlT_T0_E_clISt17integral_constantIbLb1EESY_EEDaST_SU_EUlST_E_NS1_11comp_targetILNS1_3genE0ELNS1_11target_archE4294967295ELNS1_3gpuE0ELNS1_3repE0EEENS1_30default_config_static_selectorELNS0_4arch9wavefront6targetE1EEEvT1_
	.globl	_ZN7rocprim17ROCPRIM_400000_NS6detail17trampoline_kernelINS0_14default_configENS1_27scan_by_key_config_selectorIiiEEZZNS1_16scan_by_key_implILNS1_25lookback_scan_determinismE0ELb1ES3_N6thrust23THRUST_200600_302600_NS6detail15normal_iteratorINS9_10device_ptrIiEEEESE_SE_iNS9_4plusIiEE19head_flag_predicateiEE10hipError_tPvRmT2_T3_T4_T5_mT6_T7_P12ihipStream_tbENKUlT_T0_E_clISt17integral_constantIbLb1EESY_EEDaST_SU_EUlST_E_NS1_11comp_targetILNS1_3genE0ELNS1_11target_archE4294967295ELNS1_3gpuE0ELNS1_3repE0EEENS1_30default_config_static_selectorELNS0_4arch9wavefront6targetE1EEEvT1_
	.p2align	8
	.type	_ZN7rocprim17ROCPRIM_400000_NS6detail17trampoline_kernelINS0_14default_configENS1_27scan_by_key_config_selectorIiiEEZZNS1_16scan_by_key_implILNS1_25lookback_scan_determinismE0ELb1ES3_N6thrust23THRUST_200600_302600_NS6detail15normal_iteratorINS9_10device_ptrIiEEEESE_SE_iNS9_4plusIiEE19head_flag_predicateiEE10hipError_tPvRmT2_T3_T4_T5_mT6_T7_P12ihipStream_tbENKUlT_T0_E_clISt17integral_constantIbLb1EESY_EEDaST_SU_EUlST_E_NS1_11comp_targetILNS1_3genE0ELNS1_11target_archE4294967295ELNS1_3gpuE0ELNS1_3repE0EEENS1_30default_config_static_selectorELNS0_4arch9wavefront6targetE1EEEvT1_,@function
_ZN7rocprim17ROCPRIM_400000_NS6detail17trampoline_kernelINS0_14default_configENS1_27scan_by_key_config_selectorIiiEEZZNS1_16scan_by_key_implILNS1_25lookback_scan_determinismE0ELb1ES3_N6thrust23THRUST_200600_302600_NS6detail15normal_iteratorINS9_10device_ptrIiEEEESE_SE_iNS9_4plusIiEE19head_flag_predicateiEE10hipError_tPvRmT2_T3_T4_T5_mT6_T7_P12ihipStream_tbENKUlT_T0_E_clISt17integral_constantIbLb1EESY_EEDaST_SU_EUlST_E_NS1_11comp_targetILNS1_3genE0ELNS1_11target_archE4294967295ELNS1_3gpuE0ELNS1_3repE0EEENS1_30default_config_static_selectorELNS0_4arch9wavefront6targetE1EEEvT1_: ; @_ZN7rocprim17ROCPRIM_400000_NS6detail17trampoline_kernelINS0_14default_configENS1_27scan_by_key_config_selectorIiiEEZZNS1_16scan_by_key_implILNS1_25lookback_scan_determinismE0ELb1ES3_N6thrust23THRUST_200600_302600_NS6detail15normal_iteratorINS9_10device_ptrIiEEEESE_SE_iNS9_4plusIiEE19head_flag_predicateiEE10hipError_tPvRmT2_T3_T4_T5_mT6_T7_P12ihipStream_tbENKUlT_T0_E_clISt17integral_constantIbLb1EESY_EEDaST_SU_EUlST_E_NS1_11comp_targetILNS1_3genE0ELNS1_11target_archE4294967295ELNS1_3gpuE0ELNS1_3repE0EEENS1_30default_config_static_selectorELNS0_4arch9wavefront6targetE1EEEvT1_
; %bb.0:
	.section	.rodata,"a",@progbits
	.p2align	6, 0x0
	.amdhsa_kernel _ZN7rocprim17ROCPRIM_400000_NS6detail17trampoline_kernelINS0_14default_configENS1_27scan_by_key_config_selectorIiiEEZZNS1_16scan_by_key_implILNS1_25lookback_scan_determinismE0ELb1ES3_N6thrust23THRUST_200600_302600_NS6detail15normal_iteratorINS9_10device_ptrIiEEEESE_SE_iNS9_4plusIiEE19head_flag_predicateiEE10hipError_tPvRmT2_T3_T4_T5_mT6_T7_P12ihipStream_tbENKUlT_T0_E_clISt17integral_constantIbLb1EESY_EEDaST_SU_EUlST_E_NS1_11comp_targetILNS1_3genE0ELNS1_11target_archE4294967295ELNS1_3gpuE0ELNS1_3repE0EEENS1_30default_config_static_selectorELNS0_4arch9wavefront6targetE1EEEvT1_
		.amdhsa_group_segment_fixed_size 0
		.amdhsa_private_segment_fixed_size 0
		.amdhsa_kernarg_size 112
		.amdhsa_user_sgpr_count 6
		.amdhsa_user_sgpr_private_segment_buffer 1
		.amdhsa_user_sgpr_dispatch_ptr 0
		.amdhsa_user_sgpr_queue_ptr 0
		.amdhsa_user_sgpr_kernarg_segment_ptr 1
		.amdhsa_user_sgpr_dispatch_id 0
		.amdhsa_user_sgpr_flat_scratch_init 0
		.amdhsa_user_sgpr_kernarg_preload_length 0
		.amdhsa_user_sgpr_kernarg_preload_offset 0
		.amdhsa_user_sgpr_private_segment_size 0
		.amdhsa_uses_dynamic_stack 0
		.amdhsa_system_sgpr_private_segment_wavefront_offset 0
		.amdhsa_system_sgpr_workgroup_id_x 1
		.amdhsa_system_sgpr_workgroup_id_y 0
		.amdhsa_system_sgpr_workgroup_id_z 0
		.amdhsa_system_sgpr_workgroup_info 0
		.amdhsa_system_vgpr_workitem_id 0
		.amdhsa_next_free_vgpr 1
		.amdhsa_next_free_sgpr 0
		.amdhsa_accum_offset 4
		.amdhsa_reserve_vcc 0
		.amdhsa_reserve_flat_scratch 0
		.amdhsa_float_round_mode_32 0
		.amdhsa_float_round_mode_16_64 0
		.amdhsa_float_denorm_mode_32 3
		.amdhsa_float_denorm_mode_16_64 3
		.amdhsa_dx10_clamp 1
		.amdhsa_ieee_mode 1
		.amdhsa_fp16_overflow 0
		.amdhsa_tg_split 0
		.amdhsa_exception_fp_ieee_invalid_op 0
		.amdhsa_exception_fp_denorm_src 0
		.amdhsa_exception_fp_ieee_div_zero 0
		.amdhsa_exception_fp_ieee_overflow 0
		.amdhsa_exception_fp_ieee_underflow 0
		.amdhsa_exception_fp_ieee_inexact 0
		.amdhsa_exception_int_div_zero 0
	.end_amdhsa_kernel
	.section	.text._ZN7rocprim17ROCPRIM_400000_NS6detail17trampoline_kernelINS0_14default_configENS1_27scan_by_key_config_selectorIiiEEZZNS1_16scan_by_key_implILNS1_25lookback_scan_determinismE0ELb1ES3_N6thrust23THRUST_200600_302600_NS6detail15normal_iteratorINS9_10device_ptrIiEEEESE_SE_iNS9_4plusIiEE19head_flag_predicateiEE10hipError_tPvRmT2_T3_T4_T5_mT6_T7_P12ihipStream_tbENKUlT_T0_E_clISt17integral_constantIbLb1EESY_EEDaST_SU_EUlST_E_NS1_11comp_targetILNS1_3genE0ELNS1_11target_archE4294967295ELNS1_3gpuE0ELNS1_3repE0EEENS1_30default_config_static_selectorELNS0_4arch9wavefront6targetE1EEEvT1_,"axG",@progbits,_ZN7rocprim17ROCPRIM_400000_NS6detail17trampoline_kernelINS0_14default_configENS1_27scan_by_key_config_selectorIiiEEZZNS1_16scan_by_key_implILNS1_25lookback_scan_determinismE0ELb1ES3_N6thrust23THRUST_200600_302600_NS6detail15normal_iteratorINS9_10device_ptrIiEEEESE_SE_iNS9_4plusIiEE19head_flag_predicateiEE10hipError_tPvRmT2_T3_T4_T5_mT6_T7_P12ihipStream_tbENKUlT_T0_E_clISt17integral_constantIbLb1EESY_EEDaST_SU_EUlST_E_NS1_11comp_targetILNS1_3genE0ELNS1_11target_archE4294967295ELNS1_3gpuE0ELNS1_3repE0EEENS1_30default_config_static_selectorELNS0_4arch9wavefront6targetE1EEEvT1_,comdat
.Lfunc_end794:
	.size	_ZN7rocprim17ROCPRIM_400000_NS6detail17trampoline_kernelINS0_14default_configENS1_27scan_by_key_config_selectorIiiEEZZNS1_16scan_by_key_implILNS1_25lookback_scan_determinismE0ELb1ES3_N6thrust23THRUST_200600_302600_NS6detail15normal_iteratorINS9_10device_ptrIiEEEESE_SE_iNS9_4plusIiEE19head_flag_predicateiEE10hipError_tPvRmT2_T3_T4_T5_mT6_T7_P12ihipStream_tbENKUlT_T0_E_clISt17integral_constantIbLb1EESY_EEDaST_SU_EUlST_E_NS1_11comp_targetILNS1_3genE0ELNS1_11target_archE4294967295ELNS1_3gpuE0ELNS1_3repE0EEENS1_30default_config_static_selectorELNS0_4arch9wavefront6targetE1EEEvT1_, .Lfunc_end794-_ZN7rocprim17ROCPRIM_400000_NS6detail17trampoline_kernelINS0_14default_configENS1_27scan_by_key_config_selectorIiiEEZZNS1_16scan_by_key_implILNS1_25lookback_scan_determinismE0ELb1ES3_N6thrust23THRUST_200600_302600_NS6detail15normal_iteratorINS9_10device_ptrIiEEEESE_SE_iNS9_4plusIiEE19head_flag_predicateiEE10hipError_tPvRmT2_T3_T4_T5_mT6_T7_P12ihipStream_tbENKUlT_T0_E_clISt17integral_constantIbLb1EESY_EEDaST_SU_EUlST_E_NS1_11comp_targetILNS1_3genE0ELNS1_11target_archE4294967295ELNS1_3gpuE0ELNS1_3repE0EEENS1_30default_config_static_selectorELNS0_4arch9wavefront6targetE1EEEvT1_
                                        ; -- End function
	.section	.AMDGPU.csdata,"",@progbits
; Kernel info:
; codeLenInByte = 0
; NumSgprs: 4
; NumVgprs: 0
; NumAgprs: 0
; TotalNumVgprs: 0
; ScratchSize: 0
; MemoryBound: 0
; FloatMode: 240
; IeeeMode: 1
; LDSByteSize: 0 bytes/workgroup (compile time only)
; SGPRBlocks: 0
; VGPRBlocks: 0
; NumSGPRsForWavesPerEU: 4
; NumVGPRsForWavesPerEU: 1
; AccumOffset: 4
; Occupancy: 8
; WaveLimiterHint : 0
; COMPUTE_PGM_RSRC2:SCRATCH_EN: 0
; COMPUTE_PGM_RSRC2:USER_SGPR: 6
; COMPUTE_PGM_RSRC2:TRAP_HANDLER: 0
; COMPUTE_PGM_RSRC2:TGID_X_EN: 1
; COMPUTE_PGM_RSRC2:TGID_Y_EN: 0
; COMPUTE_PGM_RSRC2:TGID_Z_EN: 0
; COMPUTE_PGM_RSRC2:TIDIG_COMP_CNT: 0
; COMPUTE_PGM_RSRC3_GFX90A:ACCUM_OFFSET: 0
; COMPUTE_PGM_RSRC3_GFX90A:TG_SPLIT: 0
	.section	.text._ZN7rocprim17ROCPRIM_400000_NS6detail17trampoline_kernelINS0_14default_configENS1_27scan_by_key_config_selectorIiiEEZZNS1_16scan_by_key_implILNS1_25lookback_scan_determinismE0ELb1ES3_N6thrust23THRUST_200600_302600_NS6detail15normal_iteratorINS9_10device_ptrIiEEEESE_SE_iNS9_4plusIiEE19head_flag_predicateiEE10hipError_tPvRmT2_T3_T4_T5_mT6_T7_P12ihipStream_tbENKUlT_T0_E_clISt17integral_constantIbLb1EESY_EEDaST_SU_EUlST_E_NS1_11comp_targetILNS1_3genE10ELNS1_11target_archE1201ELNS1_3gpuE5ELNS1_3repE0EEENS1_30default_config_static_selectorELNS0_4arch9wavefront6targetE1EEEvT1_,"axG",@progbits,_ZN7rocprim17ROCPRIM_400000_NS6detail17trampoline_kernelINS0_14default_configENS1_27scan_by_key_config_selectorIiiEEZZNS1_16scan_by_key_implILNS1_25lookback_scan_determinismE0ELb1ES3_N6thrust23THRUST_200600_302600_NS6detail15normal_iteratorINS9_10device_ptrIiEEEESE_SE_iNS9_4plusIiEE19head_flag_predicateiEE10hipError_tPvRmT2_T3_T4_T5_mT6_T7_P12ihipStream_tbENKUlT_T0_E_clISt17integral_constantIbLb1EESY_EEDaST_SU_EUlST_E_NS1_11comp_targetILNS1_3genE10ELNS1_11target_archE1201ELNS1_3gpuE5ELNS1_3repE0EEENS1_30default_config_static_selectorELNS0_4arch9wavefront6targetE1EEEvT1_,comdat
	.protected	_ZN7rocprim17ROCPRIM_400000_NS6detail17trampoline_kernelINS0_14default_configENS1_27scan_by_key_config_selectorIiiEEZZNS1_16scan_by_key_implILNS1_25lookback_scan_determinismE0ELb1ES3_N6thrust23THRUST_200600_302600_NS6detail15normal_iteratorINS9_10device_ptrIiEEEESE_SE_iNS9_4plusIiEE19head_flag_predicateiEE10hipError_tPvRmT2_T3_T4_T5_mT6_T7_P12ihipStream_tbENKUlT_T0_E_clISt17integral_constantIbLb1EESY_EEDaST_SU_EUlST_E_NS1_11comp_targetILNS1_3genE10ELNS1_11target_archE1201ELNS1_3gpuE5ELNS1_3repE0EEENS1_30default_config_static_selectorELNS0_4arch9wavefront6targetE1EEEvT1_ ; -- Begin function _ZN7rocprim17ROCPRIM_400000_NS6detail17trampoline_kernelINS0_14default_configENS1_27scan_by_key_config_selectorIiiEEZZNS1_16scan_by_key_implILNS1_25lookback_scan_determinismE0ELb1ES3_N6thrust23THRUST_200600_302600_NS6detail15normal_iteratorINS9_10device_ptrIiEEEESE_SE_iNS9_4plusIiEE19head_flag_predicateiEE10hipError_tPvRmT2_T3_T4_T5_mT6_T7_P12ihipStream_tbENKUlT_T0_E_clISt17integral_constantIbLb1EESY_EEDaST_SU_EUlST_E_NS1_11comp_targetILNS1_3genE10ELNS1_11target_archE1201ELNS1_3gpuE5ELNS1_3repE0EEENS1_30default_config_static_selectorELNS0_4arch9wavefront6targetE1EEEvT1_
	.globl	_ZN7rocprim17ROCPRIM_400000_NS6detail17trampoline_kernelINS0_14default_configENS1_27scan_by_key_config_selectorIiiEEZZNS1_16scan_by_key_implILNS1_25lookback_scan_determinismE0ELb1ES3_N6thrust23THRUST_200600_302600_NS6detail15normal_iteratorINS9_10device_ptrIiEEEESE_SE_iNS9_4plusIiEE19head_flag_predicateiEE10hipError_tPvRmT2_T3_T4_T5_mT6_T7_P12ihipStream_tbENKUlT_T0_E_clISt17integral_constantIbLb1EESY_EEDaST_SU_EUlST_E_NS1_11comp_targetILNS1_3genE10ELNS1_11target_archE1201ELNS1_3gpuE5ELNS1_3repE0EEENS1_30default_config_static_selectorELNS0_4arch9wavefront6targetE1EEEvT1_
	.p2align	8
	.type	_ZN7rocprim17ROCPRIM_400000_NS6detail17trampoline_kernelINS0_14default_configENS1_27scan_by_key_config_selectorIiiEEZZNS1_16scan_by_key_implILNS1_25lookback_scan_determinismE0ELb1ES3_N6thrust23THRUST_200600_302600_NS6detail15normal_iteratorINS9_10device_ptrIiEEEESE_SE_iNS9_4plusIiEE19head_flag_predicateiEE10hipError_tPvRmT2_T3_T4_T5_mT6_T7_P12ihipStream_tbENKUlT_T0_E_clISt17integral_constantIbLb1EESY_EEDaST_SU_EUlST_E_NS1_11comp_targetILNS1_3genE10ELNS1_11target_archE1201ELNS1_3gpuE5ELNS1_3repE0EEENS1_30default_config_static_selectorELNS0_4arch9wavefront6targetE1EEEvT1_,@function
_ZN7rocprim17ROCPRIM_400000_NS6detail17trampoline_kernelINS0_14default_configENS1_27scan_by_key_config_selectorIiiEEZZNS1_16scan_by_key_implILNS1_25lookback_scan_determinismE0ELb1ES3_N6thrust23THRUST_200600_302600_NS6detail15normal_iteratorINS9_10device_ptrIiEEEESE_SE_iNS9_4plusIiEE19head_flag_predicateiEE10hipError_tPvRmT2_T3_T4_T5_mT6_T7_P12ihipStream_tbENKUlT_T0_E_clISt17integral_constantIbLb1EESY_EEDaST_SU_EUlST_E_NS1_11comp_targetILNS1_3genE10ELNS1_11target_archE1201ELNS1_3gpuE5ELNS1_3repE0EEENS1_30default_config_static_selectorELNS0_4arch9wavefront6targetE1EEEvT1_: ; @_ZN7rocprim17ROCPRIM_400000_NS6detail17trampoline_kernelINS0_14default_configENS1_27scan_by_key_config_selectorIiiEEZZNS1_16scan_by_key_implILNS1_25lookback_scan_determinismE0ELb1ES3_N6thrust23THRUST_200600_302600_NS6detail15normal_iteratorINS9_10device_ptrIiEEEESE_SE_iNS9_4plusIiEE19head_flag_predicateiEE10hipError_tPvRmT2_T3_T4_T5_mT6_T7_P12ihipStream_tbENKUlT_T0_E_clISt17integral_constantIbLb1EESY_EEDaST_SU_EUlST_E_NS1_11comp_targetILNS1_3genE10ELNS1_11target_archE1201ELNS1_3gpuE5ELNS1_3repE0EEENS1_30default_config_static_selectorELNS0_4arch9wavefront6targetE1EEEvT1_
; %bb.0:
	.section	.rodata,"a",@progbits
	.p2align	6, 0x0
	.amdhsa_kernel _ZN7rocprim17ROCPRIM_400000_NS6detail17trampoline_kernelINS0_14default_configENS1_27scan_by_key_config_selectorIiiEEZZNS1_16scan_by_key_implILNS1_25lookback_scan_determinismE0ELb1ES3_N6thrust23THRUST_200600_302600_NS6detail15normal_iteratorINS9_10device_ptrIiEEEESE_SE_iNS9_4plusIiEE19head_flag_predicateiEE10hipError_tPvRmT2_T3_T4_T5_mT6_T7_P12ihipStream_tbENKUlT_T0_E_clISt17integral_constantIbLb1EESY_EEDaST_SU_EUlST_E_NS1_11comp_targetILNS1_3genE10ELNS1_11target_archE1201ELNS1_3gpuE5ELNS1_3repE0EEENS1_30default_config_static_selectorELNS0_4arch9wavefront6targetE1EEEvT1_
		.amdhsa_group_segment_fixed_size 0
		.amdhsa_private_segment_fixed_size 0
		.amdhsa_kernarg_size 112
		.amdhsa_user_sgpr_count 6
		.amdhsa_user_sgpr_private_segment_buffer 1
		.amdhsa_user_sgpr_dispatch_ptr 0
		.amdhsa_user_sgpr_queue_ptr 0
		.amdhsa_user_sgpr_kernarg_segment_ptr 1
		.amdhsa_user_sgpr_dispatch_id 0
		.amdhsa_user_sgpr_flat_scratch_init 0
		.amdhsa_user_sgpr_kernarg_preload_length 0
		.amdhsa_user_sgpr_kernarg_preload_offset 0
		.amdhsa_user_sgpr_private_segment_size 0
		.amdhsa_uses_dynamic_stack 0
		.amdhsa_system_sgpr_private_segment_wavefront_offset 0
		.amdhsa_system_sgpr_workgroup_id_x 1
		.amdhsa_system_sgpr_workgroup_id_y 0
		.amdhsa_system_sgpr_workgroup_id_z 0
		.amdhsa_system_sgpr_workgroup_info 0
		.amdhsa_system_vgpr_workitem_id 0
		.amdhsa_next_free_vgpr 1
		.amdhsa_next_free_sgpr 0
		.amdhsa_accum_offset 4
		.amdhsa_reserve_vcc 0
		.amdhsa_reserve_flat_scratch 0
		.amdhsa_float_round_mode_32 0
		.amdhsa_float_round_mode_16_64 0
		.amdhsa_float_denorm_mode_32 3
		.amdhsa_float_denorm_mode_16_64 3
		.amdhsa_dx10_clamp 1
		.amdhsa_ieee_mode 1
		.amdhsa_fp16_overflow 0
		.amdhsa_tg_split 0
		.amdhsa_exception_fp_ieee_invalid_op 0
		.amdhsa_exception_fp_denorm_src 0
		.amdhsa_exception_fp_ieee_div_zero 0
		.amdhsa_exception_fp_ieee_overflow 0
		.amdhsa_exception_fp_ieee_underflow 0
		.amdhsa_exception_fp_ieee_inexact 0
		.amdhsa_exception_int_div_zero 0
	.end_amdhsa_kernel
	.section	.text._ZN7rocprim17ROCPRIM_400000_NS6detail17trampoline_kernelINS0_14default_configENS1_27scan_by_key_config_selectorIiiEEZZNS1_16scan_by_key_implILNS1_25lookback_scan_determinismE0ELb1ES3_N6thrust23THRUST_200600_302600_NS6detail15normal_iteratorINS9_10device_ptrIiEEEESE_SE_iNS9_4plusIiEE19head_flag_predicateiEE10hipError_tPvRmT2_T3_T4_T5_mT6_T7_P12ihipStream_tbENKUlT_T0_E_clISt17integral_constantIbLb1EESY_EEDaST_SU_EUlST_E_NS1_11comp_targetILNS1_3genE10ELNS1_11target_archE1201ELNS1_3gpuE5ELNS1_3repE0EEENS1_30default_config_static_selectorELNS0_4arch9wavefront6targetE1EEEvT1_,"axG",@progbits,_ZN7rocprim17ROCPRIM_400000_NS6detail17trampoline_kernelINS0_14default_configENS1_27scan_by_key_config_selectorIiiEEZZNS1_16scan_by_key_implILNS1_25lookback_scan_determinismE0ELb1ES3_N6thrust23THRUST_200600_302600_NS6detail15normal_iteratorINS9_10device_ptrIiEEEESE_SE_iNS9_4plusIiEE19head_flag_predicateiEE10hipError_tPvRmT2_T3_T4_T5_mT6_T7_P12ihipStream_tbENKUlT_T0_E_clISt17integral_constantIbLb1EESY_EEDaST_SU_EUlST_E_NS1_11comp_targetILNS1_3genE10ELNS1_11target_archE1201ELNS1_3gpuE5ELNS1_3repE0EEENS1_30default_config_static_selectorELNS0_4arch9wavefront6targetE1EEEvT1_,comdat
.Lfunc_end795:
	.size	_ZN7rocprim17ROCPRIM_400000_NS6detail17trampoline_kernelINS0_14default_configENS1_27scan_by_key_config_selectorIiiEEZZNS1_16scan_by_key_implILNS1_25lookback_scan_determinismE0ELb1ES3_N6thrust23THRUST_200600_302600_NS6detail15normal_iteratorINS9_10device_ptrIiEEEESE_SE_iNS9_4plusIiEE19head_flag_predicateiEE10hipError_tPvRmT2_T3_T4_T5_mT6_T7_P12ihipStream_tbENKUlT_T0_E_clISt17integral_constantIbLb1EESY_EEDaST_SU_EUlST_E_NS1_11comp_targetILNS1_3genE10ELNS1_11target_archE1201ELNS1_3gpuE5ELNS1_3repE0EEENS1_30default_config_static_selectorELNS0_4arch9wavefront6targetE1EEEvT1_, .Lfunc_end795-_ZN7rocprim17ROCPRIM_400000_NS6detail17trampoline_kernelINS0_14default_configENS1_27scan_by_key_config_selectorIiiEEZZNS1_16scan_by_key_implILNS1_25lookback_scan_determinismE0ELb1ES3_N6thrust23THRUST_200600_302600_NS6detail15normal_iteratorINS9_10device_ptrIiEEEESE_SE_iNS9_4plusIiEE19head_flag_predicateiEE10hipError_tPvRmT2_T3_T4_T5_mT6_T7_P12ihipStream_tbENKUlT_T0_E_clISt17integral_constantIbLb1EESY_EEDaST_SU_EUlST_E_NS1_11comp_targetILNS1_3genE10ELNS1_11target_archE1201ELNS1_3gpuE5ELNS1_3repE0EEENS1_30default_config_static_selectorELNS0_4arch9wavefront6targetE1EEEvT1_
                                        ; -- End function
	.section	.AMDGPU.csdata,"",@progbits
; Kernel info:
; codeLenInByte = 0
; NumSgprs: 4
; NumVgprs: 0
; NumAgprs: 0
; TotalNumVgprs: 0
; ScratchSize: 0
; MemoryBound: 0
; FloatMode: 240
; IeeeMode: 1
; LDSByteSize: 0 bytes/workgroup (compile time only)
; SGPRBlocks: 0
; VGPRBlocks: 0
; NumSGPRsForWavesPerEU: 4
; NumVGPRsForWavesPerEU: 1
; AccumOffset: 4
; Occupancy: 8
; WaveLimiterHint : 0
; COMPUTE_PGM_RSRC2:SCRATCH_EN: 0
; COMPUTE_PGM_RSRC2:USER_SGPR: 6
; COMPUTE_PGM_RSRC2:TRAP_HANDLER: 0
; COMPUTE_PGM_RSRC2:TGID_X_EN: 1
; COMPUTE_PGM_RSRC2:TGID_Y_EN: 0
; COMPUTE_PGM_RSRC2:TGID_Z_EN: 0
; COMPUTE_PGM_RSRC2:TIDIG_COMP_CNT: 0
; COMPUTE_PGM_RSRC3_GFX90A:ACCUM_OFFSET: 0
; COMPUTE_PGM_RSRC3_GFX90A:TG_SPLIT: 0
	.section	.text._ZN7rocprim17ROCPRIM_400000_NS6detail17trampoline_kernelINS0_14default_configENS1_27scan_by_key_config_selectorIiiEEZZNS1_16scan_by_key_implILNS1_25lookback_scan_determinismE0ELb1ES3_N6thrust23THRUST_200600_302600_NS6detail15normal_iteratorINS9_10device_ptrIiEEEESE_SE_iNS9_4plusIiEE19head_flag_predicateiEE10hipError_tPvRmT2_T3_T4_T5_mT6_T7_P12ihipStream_tbENKUlT_T0_E_clISt17integral_constantIbLb1EESY_EEDaST_SU_EUlST_E_NS1_11comp_targetILNS1_3genE5ELNS1_11target_archE942ELNS1_3gpuE9ELNS1_3repE0EEENS1_30default_config_static_selectorELNS0_4arch9wavefront6targetE1EEEvT1_,"axG",@progbits,_ZN7rocprim17ROCPRIM_400000_NS6detail17trampoline_kernelINS0_14default_configENS1_27scan_by_key_config_selectorIiiEEZZNS1_16scan_by_key_implILNS1_25lookback_scan_determinismE0ELb1ES3_N6thrust23THRUST_200600_302600_NS6detail15normal_iteratorINS9_10device_ptrIiEEEESE_SE_iNS9_4plusIiEE19head_flag_predicateiEE10hipError_tPvRmT2_T3_T4_T5_mT6_T7_P12ihipStream_tbENKUlT_T0_E_clISt17integral_constantIbLb1EESY_EEDaST_SU_EUlST_E_NS1_11comp_targetILNS1_3genE5ELNS1_11target_archE942ELNS1_3gpuE9ELNS1_3repE0EEENS1_30default_config_static_selectorELNS0_4arch9wavefront6targetE1EEEvT1_,comdat
	.protected	_ZN7rocprim17ROCPRIM_400000_NS6detail17trampoline_kernelINS0_14default_configENS1_27scan_by_key_config_selectorIiiEEZZNS1_16scan_by_key_implILNS1_25lookback_scan_determinismE0ELb1ES3_N6thrust23THRUST_200600_302600_NS6detail15normal_iteratorINS9_10device_ptrIiEEEESE_SE_iNS9_4plusIiEE19head_flag_predicateiEE10hipError_tPvRmT2_T3_T4_T5_mT6_T7_P12ihipStream_tbENKUlT_T0_E_clISt17integral_constantIbLb1EESY_EEDaST_SU_EUlST_E_NS1_11comp_targetILNS1_3genE5ELNS1_11target_archE942ELNS1_3gpuE9ELNS1_3repE0EEENS1_30default_config_static_selectorELNS0_4arch9wavefront6targetE1EEEvT1_ ; -- Begin function _ZN7rocprim17ROCPRIM_400000_NS6detail17trampoline_kernelINS0_14default_configENS1_27scan_by_key_config_selectorIiiEEZZNS1_16scan_by_key_implILNS1_25lookback_scan_determinismE0ELb1ES3_N6thrust23THRUST_200600_302600_NS6detail15normal_iteratorINS9_10device_ptrIiEEEESE_SE_iNS9_4plusIiEE19head_flag_predicateiEE10hipError_tPvRmT2_T3_T4_T5_mT6_T7_P12ihipStream_tbENKUlT_T0_E_clISt17integral_constantIbLb1EESY_EEDaST_SU_EUlST_E_NS1_11comp_targetILNS1_3genE5ELNS1_11target_archE942ELNS1_3gpuE9ELNS1_3repE0EEENS1_30default_config_static_selectorELNS0_4arch9wavefront6targetE1EEEvT1_
	.globl	_ZN7rocprim17ROCPRIM_400000_NS6detail17trampoline_kernelINS0_14default_configENS1_27scan_by_key_config_selectorIiiEEZZNS1_16scan_by_key_implILNS1_25lookback_scan_determinismE0ELb1ES3_N6thrust23THRUST_200600_302600_NS6detail15normal_iteratorINS9_10device_ptrIiEEEESE_SE_iNS9_4plusIiEE19head_flag_predicateiEE10hipError_tPvRmT2_T3_T4_T5_mT6_T7_P12ihipStream_tbENKUlT_T0_E_clISt17integral_constantIbLb1EESY_EEDaST_SU_EUlST_E_NS1_11comp_targetILNS1_3genE5ELNS1_11target_archE942ELNS1_3gpuE9ELNS1_3repE0EEENS1_30default_config_static_selectorELNS0_4arch9wavefront6targetE1EEEvT1_
	.p2align	8
	.type	_ZN7rocprim17ROCPRIM_400000_NS6detail17trampoline_kernelINS0_14default_configENS1_27scan_by_key_config_selectorIiiEEZZNS1_16scan_by_key_implILNS1_25lookback_scan_determinismE0ELb1ES3_N6thrust23THRUST_200600_302600_NS6detail15normal_iteratorINS9_10device_ptrIiEEEESE_SE_iNS9_4plusIiEE19head_flag_predicateiEE10hipError_tPvRmT2_T3_T4_T5_mT6_T7_P12ihipStream_tbENKUlT_T0_E_clISt17integral_constantIbLb1EESY_EEDaST_SU_EUlST_E_NS1_11comp_targetILNS1_3genE5ELNS1_11target_archE942ELNS1_3gpuE9ELNS1_3repE0EEENS1_30default_config_static_selectorELNS0_4arch9wavefront6targetE1EEEvT1_,@function
_ZN7rocprim17ROCPRIM_400000_NS6detail17trampoline_kernelINS0_14default_configENS1_27scan_by_key_config_selectorIiiEEZZNS1_16scan_by_key_implILNS1_25lookback_scan_determinismE0ELb1ES3_N6thrust23THRUST_200600_302600_NS6detail15normal_iteratorINS9_10device_ptrIiEEEESE_SE_iNS9_4plusIiEE19head_flag_predicateiEE10hipError_tPvRmT2_T3_T4_T5_mT6_T7_P12ihipStream_tbENKUlT_T0_E_clISt17integral_constantIbLb1EESY_EEDaST_SU_EUlST_E_NS1_11comp_targetILNS1_3genE5ELNS1_11target_archE942ELNS1_3gpuE9ELNS1_3repE0EEENS1_30default_config_static_selectorELNS0_4arch9wavefront6targetE1EEEvT1_: ; @_ZN7rocprim17ROCPRIM_400000_NS6detail17trampoline_kernelINS0_14default_configENS1_27scan_by_key_config_selectorIiiEEZZNS1_16scan_by_key_implILNS1_25lookback_scan_determinismE0ELb1ES3_N6thrust23THRUST_200600_302600_NS6detail15normal_iteratorINS9_10device_ptrIiEEEESE_SE_iNS9_4plusIiEE19head_flag_predicateiEE10hipError_tPvRmT2_T3_T4_T5_mT6_T7_P12ihipStream_tbENKUlT_T0_E_clISt17integral_constantIbLb1EESY_EEDaST_SU_EUlST_E_NS1_11comp_targetILNS1_3genE5ELNS1_11target_archE942ELNS1_3gpuE9ELNS1_3repE0EEENS1_30default_config_static_selectorELNS0_4arch9wavefront6targetE1EEEvT1_
; %bb.0:
	.section	.rodata,"a",@progbits
	.p2align	6, 0x0
	.amdhsa_kernel _ZN7rocprim17ROCPRIM_400000_NS6detail17trampoline_kernelINS0_14default_configENS1_27scan_by_key_config_selectorIiiEEZZNS1_16scan_by_key_implILNS1_25lookback_scan_determinismE0ELb1ES3_N6thrust23THRUST_200600_302600_NS6detail15normal_iteratorINS9_10device_ptrIiEEEESE_SE_iNS9_4plusIiEE19head_flag_predicateiEE10hipError_tPvRmT2_T3_T4_T5_mT6_T7_P12ihipStream_tbENKUlT_T0_E_clISt17integral_constantIbLb1EESY_EEDaST_SU_EUlST_E_NS1_11comp_targetILNS1_3genE5ELNS1_11target_archE942ELNS1_3gpuE9ELNS1_3repE0EEENS1_30default_config_static_selectorELNS0_4arch9wavefront6targetE1EEEvT1_
		.amdhsa_group_segment_fixed_size 0
		.amdhsa_private_segment_fixed_size 0
		.amdhsa_kernarg_size 112
		.amdhsa_user_sgpr_count 6
		.amdhsa_user_sgpr_private_segment_buffer 1
		.amdhsa_user_sgpr_dispatch_ptr 0
		.amdhsa_user_sgpr_queue_ptr 0
		.amdhsa_user_sgpr_kernarg_segment_ptr 1
		.amdhsa_user_sgpr_dispatch_id 0
		.amdhsa_user_sgpr_flat_scratch_init 0
		.amdhsa_user_sgpr_kernarg_preload_length 0
		.amdhsa_user_sgpr_kernarg_preload_offset 0
		.amdhsa_user_sgpr_private_segment_size 0
		.amdhsa_uses_dynamic_stack 0
		.amdhsa_system_sgpr_private_segment_wavefront_offset 0
		.amdhsa_system_sgpr_workgroup_id_x 1
		.amdhsa_system_sgpr_workgroup_id_y 0
		.amdhsa_system_sgpr_workgroup_id_z 0
		.amdhsa_system_sgpr_workgroup_info 0
		.amdhsa_system_vgpr_workitem_id 0
		.amdhsa_next_free_vgpr 1
		.amdhsa_next_free_sgpr 0
		.amdhsa_accum_offset 4
		.amdhsa_reserve_vcc 0
		.amdhsa_reserve_flat_scratch 0
		.amdhsa_float_round_mode_32 0
		.amdhsa_float_round_mode_16_64 0
		.amdhsa_float_denorm_mode_32 3
		.amdhsa_float_denorm_mode_16_64 3
		.amdhsa_dx10_clamp 1
		.amdhsa_ieee_mode 1
		.amdhsa_fp16_overflow 0
		.amdhsa_tg_split 0
		.amdhsa_exception_fp_ieee_invalid_op 0
		.amdhsa_exception_fp_denorm_src 0
		.amdhsa_exception_fp_ieee_div_zero 0
		.amdhsa_exception_fp_ieee_overflow 0
		.amdhsa_exception_fp_ieee_underflow 0
		.amdhsa_exception_fp_ieee_inexact 0
		.amdhsa_exception_int_div_zero 0
	.end_amdhsa_kernel
	.section	.text._ZN7rocprim17ROCPRIM_400000_NS6detail17trampoline_kernelINS0_14default_configENS1_27scan_by_key_config_selectorIiiEEZZNS1_16scan_by_key_implILNS1_25lookback_scan_determinismE0ELb1ES3_N6thrust23THRUST_200600_302600_NS6detail15normal_iteratorINS9_10device_ptrIiEEEESE_SE_iNS9_4plusIiEE19head_flag_predicateiEE10hipError_tPvRmT2_T3_T4_T5_mT6_T7_P12ihipStream_tbENKUlT_T0_E_clISt17integral_constantIbLb1EESY_EEDaST_SU_EUlST_E_NS1_11comp_targetILNS1_3genE5ELNS1_11target_archE942ELNS1_3gpuE9ELNS1_3repE0EEENS1_30default_config_static_selectorELNS0_4arch9wavefront6targetE1EEEvT1_,"axG",@progbits,_ZN7rocprim17ROCPRIM_400000_NS6detail17trampoline_kernelINS0_14default_configENS1_27scan_by_key_config_selectorIiiEEZZNS1_16scan_by_key_implILNS1_25lookback_scan_determinismE0ELb1ES3_N6thrust23THRUST_200600_302600_NS6detail15normal_iteratorINS9_10device_ptrIiEEEESE_SE_iNS9_4plusIiEE19head_flag_predicateiEE10hipError_tPvRmT2_T3_T4_T5_mT6_T7_P12ihipStream_tbENKUlT_T0_E_clISt17integral_constantIbLb1EESY_EEDaST_SU_EUlST_E_NS1_11comp_targetILNS1_3genE5ELNS1_11target_archE942ELNS1_3gpuE9ELNS1_3repE0EEENS1_30default_config_static_selectorELNS0_4arch9wavefront6targetE1EEEvT1_,comdat
.Lfunc_end796:
	.size	_ZN7rocprim17ROCPRIM_400000_NS6detail17trampoline_kernelINS0_14default_configENS1_27scan_by_key_config_selectorIiiEEZZNS1_16scan_by_key_implILNS1_25lookback_scan_determinismE0ELb1ES3_N6thrust23THRUST_200600_302600_NS6detail15normal_iteratorINS9_10device_ptrIiEEEESE_SE_iNS9_4plusIiEE19head_flag_predicateiEE10hipError_tPvRmT2_T3_T4_T5_mT6_T7_P12ihipStream_tbENKUlT_T0_E_clISt17integral_constantIbLb1EESY_EEDaST_SU_EUlST_E_NS1_11comp_targetILNS1_3genE5ELNS1_11target_archE942ELNS1_3gpuE9ELNS1_3repE0EEENS1_30default_config_static_selectorELNS0_4arch9wavefront6targetE1EEEvT1_, .Lfunc_end796-_ZN7rocprim17ROCPRIM_400000_NS6detail17trampoline_kernelINS0_14default_configENS1_27scan_by_key_config_selectorIiiEEZZNS1_16scan_by_key_implILNS1_25lookback_scan_determinismE0ELb1ES3_N6thrust23THRUST_200600_302600_NS6detail15normal_iteratorINS9_10device_ptrIiEEEESE_SE_iNS9_4plusIiEE19head_flag_predicateiEE10hipError_tPvRmT2_T3_T4_T5_mT6_T7_P12ihipStream_tbENKUlT_T0_E_clISt17integral_constantIbLb1EESY_EEDaST_SU_EUlST_E_NS1_11comp_targetILNS1_3genE5ELNS1_11target_archE942ELNS1_3gpuE9ELNS1_3repE0EEENS1_30default_config_static_selectorELNS0_4arch9wavefront6targetE1EEEvT1_
                                        ; -- End function
	.section	.AMDGPU.csdata,"",@progbits
; Kernel info:
; codeLenInByte = 0
; NumSgprs: 4
; NumVgprs: 0
; NumAgprs: 0
; TotalNumVgprs: 0
; ScratchSize: 0
; MemoryBound: 0
; FloatMode: 240
; IeeeMode: 1
; LDSByteSize: 0 bytes/workgroup (compile time only)
; SGPRBlocks: 0
; VGPRBlocks: 0
; NumSGPRsForWavesPerEU: 4
; NumVGPRsForWavesPerEU: 1
; AccumOffset: 4
; Occupancy: 8
; WaveLimiterHint : 0
; COMPUTE_PGM_RSRC2:SCRATCH_EN: 0
; COMPUTE_PGM_RSRC2:USER_SGPR: 6
; COMPUTE_PGM_RSRC2:TRAP_HANDLER: 0
; COMPUTE_PGM_RSRC2:TGID_X_EN: 1
; COMPUTE_PGM_RSRC2:TGID_Y_EN: 0
; COMPUTE_PGM_RSRC2:TGID_Z_EN: 0
; COMPUTE_PGM_RSRC2:TIDIG_COMP_CNT: 0
; COMPUTE_PGM_RSRC3_GFX90A:ACCUM_OFFSET: 0
; COMPUTE_PGM_RSRC3_GFX90A:TG_SPLIT: 0
	.section	.text._ZN7rocprim17ROCPRIM_400000_NS6detail17trampoline_kernelINS0_14default_configENS1_27scan_by_key_config_selectorIiiEEZZNS1_16scan_by_key_implILNS1_25lookback_scan_determinismE0ELb1ES3_N6thrust23THRUST_200600_302600_NS6detail15normal_iteratorINS9_10device_ptrIiEEEESE_SE_iNS9_4plusIiEE19head_flag_predicateiEE10hipError_tPvRmT2_T3_T4_T5_mT6_T7_P12ihipStream_tbENKUlT_T0_E_clISt17integral_constantIbLb1EESY_EEDaST_SU_EUlST_E_NS1_11comp_targetILNS1_3genE4ELNS1_11target_archE910ELNS1_3gpuE8ELNS1_3repE0EEENS1_30default_config_static_selectorELNS0_4arch9wavefront6targetE1EEEvT1_,"axG",@progbits,_ZN7rocprim17ROCPRIM_400000_NS6detail17trampoline_kernelINS0_14default_configENS1_27scan_by_key_config_selectorIiiEEZZNS1_16scan_by_key_implILNS1_25lookback_scan_determinismE0ELb1ES3_N6thrust23THRUST_200600_302600_NS6detail15normal_iteratorINS9_10device_ptrIiEEEESE_SE_iNS9_4plusIiEE19head_flag_predicateiEE10hipError_tPvRmT2_T3_T4_T5_mT6_T7_P12ihipStream_tbENKUlT_T0_E_clISt17integral_constantIbLb1EESY_EEDaST_SU_EUlST_E_NS1_11comp_targetILNS1_3genE4ELNS1_11target_archE910ELNS1_3gpuE8ELNS1_3repE0EEENS1_30default_config_static_selectorELNS0_4arch9wavefront6targetE1EEEvT1_,comdat
	.protected	_ZN7rocprim17ROCPRIM_400000_NS6detail17trampoline_kernelINS0_14default_configENS1_27scan_by_key_config_selectorIiiEEZZNS1_16scan_by_key_implILNS1_25lookback_scan_determinismE0ELb1ES3_N6thrust23THRUST_200600_302600_NS6detail15normal_iteratorINS9_10device_ptrIiEEEESE_SE_iNS9_4plusIiEE19head_flag_predicateiEE10hipError_tPvRmT2_T3_T4_T5_mT6_T7_P12ihipStream_tbENKUlT_T0_E_clISt17integral_constantIbLb1EESY_EEDaST_SU_EUlST_E_NS1_11comp_targetILNS1_3genE4ELNS1_11target_archE910ELNS1_3gpuE8ELNS1_3repE0EEENS1_30default_config_static_selectorELNS0_4arch9wavefront6targetE1EEEvT1_ ; -- Begin function _ZN7rocprim17ROCPRIM_400000_NS6detail17trampoline_kernelINS0_14default_configENS1_27scan_by_key_config_selectorIiiEEZZNS1_16scan_by_key_implILNS1_25lookback_scan_determinismE0ELb1ES3_N6thrust23THRUST_200600_302600_NS6detail15normal_iteratorINS9_10device_ptrIiEEEESE_SE_iNS9_4plusIiEE19head_flag_predicateiEE10hipError_tPvRmT2_T3_T4_T5_mT6_T7_P12ihipStream_tbENKUlT_T0_E_clISt17integral_constantIbLb1EESY_EEDaST_SU_EUlST_E_NS1_11comp_targetILNS1_3genE4ELNS1_11target_archE910ELNS1_3gpuE8ELNS1_3repE0EEENS1_30default_config_static_selectorELNS0_4arch9wavefront6targetE1EEEvT1_
	.globl	_ZN7rocprim17ROCPRIM_400000_NS6detail17trampoline_kernelINS0_14default_configENS1_27scan_by_key_config_selectorIiiEEZZNS1_16scan_by_key_implILNS1_25lookback_scan_determinismE0ELb1ES3_N6thrust23THRUST_200600_302600_NS6detail15normal_iteratorINS9_10device_ptrIiEEEESE_SE_iNS9_4plusIiEE19head_flag_predicateiEE10hipError_tPvRmT2_T3_T4_T5_mT6_T7_P12ihipStream_tbENKUlT_T0_E_clISt17integral_constantIbLb1EESY_EEDaST_SU_EUlST_E_NS1_11comp_targetILNS1_3genE4ELNS1_11target_archE910ELNS1_3gpuE8ELNS1_3repE0EEENS1_30default_config_static_selectorELNS0_4arch9wavefront6targetE1EEEvT1_
	.p2align	8
	.type	_ZN7rocprim17ROCPRIM_400000_NS6detail17trampoline_kernelINS0_14default_configENS1_27scan_by_key_config_selectorIiiEEZZNS1_16scan_by_key_implILNS1_25lookback_scan_determinismE0ELb1ES3_N6thrust23THRUST_200600_302600_NS6detail15normal_iteratorINS9_10device_ptrIiEEEESE_SE_iNS9_4plusIiEE19head_flag_predicateiEE10hipError_tPvRmT2_T3_T4_T5_mT6_T7_P12ihipStream_tbENKUlT_T0_E_clISt17integral_constantIbLb1EESY_EEDaST_SU_EUlST_E_NS1_11comp_targetILNS1_3genE4ELNS1_11target_archE910ELNS1_3gpuE8ELNS1_3repE0EEENS1_30default_config_static_selectorELNS0_4arch9wavefront6targetE1EEEvT1_,@function
_ZN7rocprim17ROCPRIM_400000_NS6detail17trampoline_kernelINS0_14default_configENS1_27scan_by_key_config_selectorIiiEEZZNS1_16scan_by_key_implILNS1_25lookback_scan_determinismE0ELb1ES3_N6thrust23THRUST_200600_302600_NS6detail15normal_iteratorINS9_10device_ptrIiEEEESE_SE_iNS9_4plusIiEE19head_flag_predicateiEE10hipError_tPvRmT2_T3_T4_T5_mT6_T7_P12ihipStream_tbENKUlT_T0_E_clISt17integral_constantIbLb1EESY_EEDaST_SU_EUlST_E_NS1_11comp_targetILNS1_3genE4ELNS1_11target_archE910ELNS1_3gpuE8ELNS1_3repE0EEENS1_30default_config_static_selectorELNS0_4arch9wavefront6targetE1EEEvT1_: ; @_ZN7rocprim17ROCPRIM_400000_NS6detail17trampoline_kernelINS0_14default_configENS1_27scan_by_key_config_selectorIiiEEZZNS1_16scan_by_key_implILNS1_25lookback_scan_determinismE0ELb1ES3_N6thrust23THRUST_200600_302600_NS6detail15normal_iteratorINS9_10device_ptrIiEEEESE_SE_iNS9_4plusIiEE19head_flag_predicateiEE10hipError_tPvRmT2_T3_T4_T5_mT6_T7_P12ihipStream_tbENKUlT_T0_E_clISt17integral_constantIbLb1EESY_EEDaST_SU_EUlST_E_NS1_11comp_targetILNS1_3genE4ELNS1_11target_archE910ELNS1_3gpuE8ELNS1_3repE0EEENS1_30default_config_static_selectorELNS0_4arch9wavefront6targetE1EEEvT1_
; %bb.0:
	s_load_dword s54, s[4:5], 0x20
	s_load_dwordx4 s[44:47], s[4:5], 0x28
	s_load_dwordx2 s[52:53], s[4:5], 0x38
	v_cmp_eq_u32_e64 s[0:1], 0, v0
	s_and_saveexec_b64 s[2:3], s[0:1]
	s_cbranch_execz .LBB797_4
; %bb.1:
	s_mov_b64 s[8:9], exec
	v_mbcnt_lo_u32_b32 v1, s8, 0
	v_mbcnt_hi_u32_b32 v1, s9, v1
	v_cmp_eq_u32_e32 vcc, 0, v1
                                        ; implicit-def: $vgpr2
	s_and_saveexec_b64 s[6:7], vcc
	s_cbranch_execz .LBB797_3
; %bb.2:
	s_load_dwordx2 s[10:11], s[4:5], 0x68
	s_bcnt1_i32_b64 s8, s[8:9]
	v_mov_b32_e32 v2, 0
	v_mov_b32_e32 v3, s8
	s_waitcnt lgkmcnt(0)
	global_atomic_add v2, v2, v3, s[10:11] glc
.LBB797_3:
	s_or_b64 exec, exec, s[6:7]
	s_waitcnt vmcnt(0)
	v_readfirstlane_b32 s6, v2
	v_add_u32_e32 v1, s6, v1
	v_mov_b32_e32 v2, 0
	ds_write_b32 v2, v1
.LBB797_4:
	s_or_b64 exec, exec, s[2:3]
	s_load_dwordx8 s[36:43], s[4:5], 0x0
	s_load_dword s2, s[4:5], 0x40
	s_load_dwordx4 s[48:51], s[4:5], 0x48
	v_mov_b32_e32 v3, 0
	s_waitcnt lgkmcnt(0)
	s_lshl_b64 s[34:35], s[38:39], 2
	s_barrier
	ds_read_b32 v4, v3
	s_add_u32 s3, s36, s34
	s_addc_u32 s4, s37, s35
	s_add_u32 s5, s40, s34
	s_mul_i32 s7, s53, s2
	s_mul_hi_u32 s8, s52, s2
	s_addc_u32 s6, s41, s35
	s_add_i32 s7, s8, s7
	s_movk_i32 s8, 0xe00
	s_waitcnt lgkmcnt(0)
	v_mul_lo_u32 v2, v4, s8
	v_lshlrev_b64 v[38:39], 2, v[2:3]
	v_mov_b32_e32 v1, s4
	v_add_co_u32_e32 v42, vcc, s3, v38
	v_addc_co_u32_e32 v43, vcc, v1, v39, vcc
	v_mov_b32_e32 v2, s6
	v_add_co_u32_e32 v1, vcc, s5, v38
	s_mul_i32 s2, s52, s2
	v_addc_co_u32_e32 v46, vcc, v2, v39, vcc
	v_mov_b32_e32 v3, s7
	v_add_co_u32_e32 v2, vcc, s2, v4
	s_add_u32 s4, s48, -1
	v_addc_co_u32_e32 v3, vcc, 0, v3, vcc
	s_addc_u32 s5, s49, -1
	v_cmp_le_u64_e64 s[2:3], s[4:5], v[2:3]
	v_readfirstlane_b32 s47, v4
	s_mov_b64 s[12:13], -1
	s_and_b64 vcc, exec, s[2:3]
	s_mul_i32 s33, s4, 0xfffff200
	s_barrier
	s_barrier
	s_cbranch_vccz .LBB797_80
; %bb.5:
	flat_load_dword v13, v[42:43]
	s_add_i32 s40, s33, s46
	v_cmp_gt_u32_e32 vcc, s40, v0
	s_waitcnt vmcnt(0) lgkmcnt(0)
	v_mov_b32_e32 v14, v13
	s_and_saveexec_b64 s[6:7], vcc
	s_cbranch_execz .LBB797_7
; %bb.6:
	v_lshlrev_b32_e32 v2, 2, v0
	v_add_co_u32_e64 v2, s[4:5], v42, v2
	v_addc_co_u32_e64 v3, s[4:5], 0, v43, s[4:5]
	flat_load_dword v14, v[2:3]
.LBB797_7:
	s_or_b64 exec, exec, s[6:7]
	v_or_b32_e32 v2, 0x100, v0
	v_cmp_gt_u32_e64 s[4:5], s40, v2
	v_mov_b32_e32 v15, v13
	s_and_saveexec_b64 s[8:9], s[4:5]
	s_cbranch_execz .LBB797_9
; %bb.8:
	v_lshlrev_b32_e32 v2, 2, v0
	v_add_co_u32_e64 v2, s[6:7], v42, v2
	v_addc_co_u32_e64 v3, s[6:7], 0, v43, s[6:7]
	flat_load_dword v15, v[2:3] offset:1024
.LBB797_9:
	s_or_b64 exec, exec, s[8:9]
	v_or_b32_e32 v2, 0x200, v0
	v_cmp_gt_u32_e64 s[6:7], s40, v2
	v_mov_b32_e32 v16, v13
	s_and_saveexec_b64 s[10:11], s[6:7]
	s_cbranch_execz .LBB797_11
; %bb.10:
	v_lshlrev_b32_e32 v2, 2, v0
	v_add_co_u32_e64 v2, s[8:9], v42, v2
	v_addc_co_u32_e64 v3, s[8:9], 0, v43, s[8:9]
	flat_load_dword v16, v[2:3] offset:2048
.LBB797_11:
	s_or_b64 exec, exec, s[10:11]
	v_or_b32_e32 v2, 0x300, v0
	v_cmp_gt_u32_e64 s[8:9], s40, v2
	v_mov_b32_e32 v17, v13
	s_and_saveexec_b64 s[12:13], s[8:9]
	s_cbranch_execz .LBB797_13
; %bb.12:
	v_lshlrev_b32_e32 v2, 2, v0
	v_add_co_u32_e64 v2, s[10:11], v42, v2
	v_addc_co_u32_e64 v3, s[10:11], 0, v43, s[10:11]
	flat_load_dword v17, v[2:3] offset:3072
.LBB797_13:
	s_or_b64 exec, exec, s[12:13]
	v_or_b32_e32 v2, 0x400, v0
	v_cmp_gt_u32_e64 s[10:11], s40, v2
	v_mov_b32_e32 v18, v13
	s_and_saveexec_b64 s[14:15], s[10:11]
	s_cbranch_execz .LBB797_15
; %bb.14:
	v_lshlrev_b32_e32 v3, 2, v2
	v_add_co_u32_e64 v4, s[12:13], v42, v3
	v_addc_co_u32_e64 v5, s[12:13], 0, v43, s[12:13]
	flat_load_dword v18, v[4:5]
.LBB797_15:
	s_or_b64 exec, exec, s[14:15]
	v_or_b32_e32 v3, 0x500, v0
	v_cmp_gt_u32_e64 s[12:13], s40, v3
	v_mov_b32_e32 v19, v13
	s_and_saveexec_b64 s[16:17], s[12:13]
	s_cbranch_execz .LBB797_17
; %bb.16:
	v_lshlrev_b32_e32 v4, 2, v3
	v_add_co_u32_e64 v4, s[14:15], v42, v4
	v_addc_co_u32_e64 v5, s[14:15], 0, v43, s[14:15]
	flat_load_dword v19, v[4:5]
.LBB797_17:
	;; [unrolled: 12-line block ×9, first 2 shown]
	s_or_b64 exec, exec, s[30:31]
	v_or_b32_e32 v11, 0xd00, v0
	v_cmp_gt_u32_e64 s[28:29], s40, v11
	s_and_saveexec_b64 s[36:37], s[28:29]
	s_cbranch_execz .LBB797_33
; %bb.32:
	v_lshlrev_b32_e32 v12, 2, v11
	v_add_co_u32_e64 v12, s[30:31], v42, v12
	v_addc_co_u32_e64 v13, s[30:31], 0, v43, s[30:31]
	flat_load_dword v13, v[12:13]
.LBB797_33:
	s_or_b64 exec, exec, s[36:37]
	v_lshlrev_b32_e32 v12, 2, v0
	s_waitcnt vmcnt(0) lgkmcnt(0)
	ds_write2st64_b32 v12, v14, v15 offset1:4
	ds_write2st64_b32 v12, v16, v17 offset0:8 offset1:12
	ds_write2st64_b32 v12, v18, v19 offset0:16 offset1:20
	;; [unrolled: 1-line block ×6, first 2 shown]
	s_waitcnt lgkmcnt(0)
	s_barrier
	flat_load_dword v47, v[42:43]
	v_mad_u32_u24 v48, v0, 52, v12
	s_movk_i32 s30, 0xffcc
	ds_read2_b64 v[34:37], v48 offset1:1
	ds_read2_b64 v[30:33], v48 offset0:2 offset1:3
	ds_read2_b64 v[26:29], v48 offset0:4 offset1:5
	ds_read_b64 v[44:45], v48 offset:48
	v_mad_i32_i24 v13, v0, s30, v48
	s_movk_i32 s30, 0xff
	v_cmp_ne_u32_e64 s[30:31], s30, v0
	s_waitcnt lgkmcnt(0)
	ds_write_b32 v13, v34 offset:15360
	s_waitcnt lgkmcnt(0)
	s_barrier
	s_and_saveexec_b64 s[36:37], s[30:31]
	s_cbranch_execz .LBB797_35
; %bb.34:
	s_waitcnt vmcnt(0)
	ds_read_b32 v47, v12 offset:15364
.LBB797_35:
	s_or_b64 exec, exec, s[36:37]
	s_waitcnt lgkmcnt(0)
	s_barrier
	s_waitcnt lgkmcnt(0)
                                        ; implicit-def: $vgpr13
	s_and_saveexec_b64 s[30:31], vcc
	s_cbranch_execz .LBB797_121
; %bb.36:
	v_add_co_u32_e32 v14, vcc, v1, v12
	v_addc_co_u32_e32 v15, vcc, 0, v46, vcc
	flat_load_dword v13, v[14:15]
	s_or_b64 exec, exec, s[30:31]
                                        ; implicit-def: $vgpr14
	s_and_saveexec_b64 s[30:31], s[4:5]
	s_cbranch_execnz .LBB797_122
.LBB797_37:
	s_or_b64 exec, exec, s[30:31]
                                        ; implicit-def: $vgpr15
	s_and_saveexec_b64 s[4:5], s[6:7]
	s_cbranch_execz .LBB797_123
.LBB797_38:
	v_add_co_u32_e32 v16, vcc, v1, v12
	v_addc_co_u32_e32 v17, vcc, 0, v46, vcc
	flat_load_dword v15, v[16:17] offset:2048
	s_or_b64 exec, exec, s[4:5]
                                        ; implicit-def: $vgpr16
	s_and_saveexec_b64 s[4:5], s[8:9]
	s_cbranch_execnz .LBB797_124
.LBB797_39:
	s_or_b64 exec, exec, s[4:5]
                                        ; implicit-def: $vgpr17
	s_and_saveexec_b64 s[4:5], s[10:11]
	s_cbranch_execz .LBB797_125
.LBB797_40:
	v_lshlrev_b32_e32 v2, 2, v2
	v_add_co_u32_e32 v18, vcc, v1, v2
	v_addc_co_u32_e32 v19, vcc, 0, v46, vcc
	flat_load_dword v17, v[18:19]
	s_or_b64 exec, exec, s[4:5]
                                        ; implicit-def: $vgpr2
	s_and_saveexec_b64 s[4:5], s[12:13]
	s_cbranch_execnz .LBB797_126
.LBB797_41:
	s_or_b64 exec, exec, s[4:5]
                                        ; implicit-def: $vgpr3
	s_and_saveexec_b64 s[4:5], s[14:15]
	s_cbranch_execz .LBB797_127
.LBB797_42:
	v_lshlrev_b32_e32 v3, 2, v4
	v_add_co_u32_e32 v18, vcc, v1, v3
	v_addc_co_u32_e32 v19, vcc, 0, v46, vcc
	flat_load_dword v3, v[18:19]
	s_or_b64 exec, exec, s[4:5]
                                        ; implicit-def: $vgpr4
	s_and_saveexec_b64 s[4:5], s[16:17]
	s_cbranch_execnz .LBB797_128
.LBB797_43:
	s_or_b64 exec, exec, s[4:5]
                                        ; implicit-def: $vgpr5
	s_and_saveexec_b64 s[4:5], s[18:19]
	s_cbranch_execz .LBB797_129
.LBB797_44:
	v_lshlrev_b32_e32 v5, 2, v6
	v_add_co_u32_e32 v18, vcc, v1, v5
	v_addc_co_u32_e32 v19, vcc, 0, v46, vcc
	flat_load_dword v5, v[18:19]
	s_or_b64 exec, exec, s[4:5]
                                        ; implicit-def: $vgpr6
	s_and_saveexec_b64 s[4:5], s[20:21]
	s_cbranch_execnz .LBB797_130
.LBB797_45:
	s_or_b64 exec, exec, s[4:5]
                                        ; implicit-def: $vgpr7
	s_and_saveexec_b64 s[4:5], s[22:23]
	s_cbranch_execz .LBB797_131
.LBB797_46:
	v_lshlrev_b32_e32 v7, 2, v8
	v_add_co_u32_e32 v18, vcc, v1, v7
	v_addc_co_u32_e32 v19, vcc, 0, v46, vcc
	flat_load_dword v7, v[18:19]
	s_or_b64 exec, exec, s[4:5]
                                        ; implicit-def: $vgpr8
	s_and_saveexec_b64 s[4:5], s[24:25]
	s_cbranch_execnz .LBB797_132
.LBB797_47:
	s_or_b64 exec, exec, s[4:5]
                                        ; implicit-def: $vgpr9
	s_and_saveexec_b64 s[4:5], s[26:27]
	s_cbranch_execz .LBB797_49
.LBB797_48:
	v_lshlrev_b32_e32 v9, 2, v10
	v_add_co_u32_e32 v18, vcc, v1, v9
	v_addc_co_u32_e32 v19, vcc, 0, v46, vcc
	flat_load_dword v9, v[18:19]
.LBB797_49:
	s_or_b64 exec, exec, s[4:5]
	v_mul_u32_u24_e32 v49, 14, v0
                                        ; implicit-def: $vgpr10
	s_and_saveexec_b64 s[4:5], s[28:29]
	s_cbranch_execz .LBB797_51
; %bb.50:
	v_lshlrev_b32_e32 v10, 2, v11
	v_add_co_u32_e32 v10, vcc, v1, v10
	v_addc_co_u32_e32 v11, vcc, 0, v46, vcc
	flat_load_dword v10, v[10:11]
.LBB797_51:
	s_or_b64 exec, exec, s[4:5]
	s_mov_b32 s4, 0
	s_mov_b32 s5, s4
	s_waitcnt vmcnt(0) lgkmcnt(0)
	ds_write2st64_b32 v12, v13, v14 offset1:4
	ds_write2st64_b32 v12, v15, v16 offset0:8 offset1:12
	ds_write2st64_b32 v12, v17, v2 offset0:16 offset1:20
	;; [unrolled: 1-line block ×6, first 2 shown]
	s_mov_b32 s6, s4
	s_mov_b32 s7, s4
	;; [unrolled: 1-line block ×6, first 2 shown]
	v_pk_mov_b32 v[2:3], s[4:5], s[4:5] op_sel:[0,1]
	v_pk_mov_b32 v[8:9], s[10:11], s[10:11] op_sel:[0,1]
	;; [unrolled: 1-line block ×6, first 2 shown]
	v_cmp_gt_u32_e32 vcc, s40, v49
	s_mov_b64 s[12:13], 0
	v_pk_mov_b32 v[40:41], 0, 0
	s_mov_b64 s[18:19], 0
	v_pk_mov_b32 v[14:15], v[6:7], v[6:7] op_sel:[0,1]
	v_pk_mov_b32 v[12:13], v[4:5], v[4:5] op_sel:[0,1]
	;; [unrolled: 1-line block ×6, first 2 shown]
	s_waitcnt lgkmcnt(0)
	s_barrier
	s_waitcnt lgkmcnt(0)
                                        ; implicit-def: $sgpr16_sgpr17
                                        ; implicit-def: $vgpr34
	s_and_saveexec_b64 s[14:15], vcc
	s_cbranch_execz .LBB797_79
; %bb.52:
	ds_read_b32 v2, v48
	v_mov_b32_e32 v4, s54
	v_cmp_eq_u32_e32 vcc, 0, v35
	v_or_b32_e32 v3, 1, v49
                                        ; implicit-def: $vgpr34
	s_waitcnt lgkmcnt(0)
	v_cndmask_b32_e32 v40, v4, v2, vcc
	v_cmp_ne_u32_e32 vcc, 0, v35
	v_cndmask_b32_e64 v41, 0, 1, vcc
	v_cmp_gt_u32_e32 vcc, s40, v3
	v_pk_mov_b32 v[2:3], s[4:5], s[4:5] op_sel:[0,1]
	v_pk_mov_b32 v[8:9], s[10:11], s[10:11] op_sel:[0,1]
	;; [unrolled: 1-line block ×12, first 2 shown]
                                        ; implicit-def: $sgpr4_sgpr5
	s_and_saveexec_b64 s[16:17], vcc
	s_cbranch_execz .LBB797_78
; %bb.53:
	ds_read2_b32 v[34:35], v48 offset0:1 offset1:2
	s_mov_b32 s4, 0
	v_mov_b32_e32 v3, s54
	v_cmp_eq_u32_e32 vcc, 0, v36
	s_mov_b32 s10, s4
	s_mov_b32 s11, s4
	v_add_u32_e32 v2, 2, v49
	s_waitcnt lgkmcnt(0)
	v_cndmask_b32_e32 v8, v3, v34, vcc
	v_cmp_ne_u32_e32 vcc, 0, v36
	s_mov_b32 s5, s4
	s_mov_b32 s6, s4
	;; [unrolled: 1-line block ×5, first 2 shown]
	v_pk_mov_b32 v[16:17], s[10:11], s[10:11] op_sel:[0,1]
	v_cndmask_b32_e64 v9, 0, 1, vcc
	v_cmp_gt_u32_e32 vcc, s40, v2
	v_mov_b32_e32 v2, 0
	v_pk_mov_b32 v[14:15], s[8:9], s[8:9] op_sel:[0,1]
	v_pk_mov_b32 v[12:13], s[6:7], s[6:7] op_sel:[0,1]
	;; [unrolled: 1-line block ×4, first 2 shown]
	v_mov_b32_e32 v3, v2
	v_mov_b32_e32 v4, v2
	;; [unrolled: 1-line block ×5, first 2 shown]
	s_mov_b64 s[20:21], 0
	v_pk_mov_b32 v[22:23], v[14:15], v[14:15] op_sel:[0,1]
	v_pk_mov_b32 v[20:21], v[12:13], v[12:13] op_sel:[0,1]
	;; [unrolled: 1-line block ×3, first 2 shown]
                                        ; implicit-def: $sgpr24_sgpr25
                                        ; implicit-def: $vgpr34
	s_and_saveexec_b64 s[18:19], vcc
	s_cbranch_execz .LBB797_77
; %bb.54:
	v_mov_b32_e32 v4, s54
	v_cmp_eq_u32_e32 vcc, 0, v37
	v_pk_mov_b32 v[16:17], s[10:11], s[10:11] op_sel:[0,1]
	v_add_u32_e32 v3, 3, v49
	v_cndmask_b32_e32 v6, v4, v35, vcc
	v_cmp_ne_u32_e32 vcc, 0, v37
	v_pk_mov_b32 v[14:15], s[8:9], s[8:9] op_sel:[0,1]
	v_pk_mov_b32 v[12:13], s[6:7], s[6:7] op_sel:[0,1]
	;; [unrolled: 1-line block ×4, first 2 shown]
	v_cndmask_b32_e64 v7, 0, 1, vcc
	v_cmp_gt_u32_e32 vcc, s40, v3
	v_mov_b32_e32 v3, v2
	v_mov_b32_e32 v4, v2
	v_mov_b32_e32 v5, v2
	s_mov_b64 s[22:23], 0
	v_pk_mov_b32 v[22:23], v[14:15], v[14:15] op_sel:[0,1]
	v_pk_mov_b32 v[20:21], v[12:13], v[12:13] op_sel:[0,1]
	;; [unrolled: 1-line block ×3, first 2 shown]
                                        ; implicit-def: $sgpr4_sgpr5
                                        ; implicit-def: $vgpr34
	s_and_saveexec_b64 s[20:21], vcc
	s_cbranch_execz .LBB797_76
; %bb.55:
	ds_read2_b32 v[34:35], v48 offset0:3 offset1:4
	s_mov_b32 s4, 0
	s_mov_b32 s10, s4
	;; [unrolled: 1-line block ×3, first 2 shown]
	v_mov_b32_e32 v3, s54
	v_cmp_eq_u32_e32 vcc, 0, v30
	s_mov_b32 s5, s4
	s_mov_b32 s6, s4
	;; [unrolled: 1-line block ×5, first 2 shown]
	v_pk_mov_b32 v[16:17], s[10:11], s[10:11] op_sel:[0,1]
	v_add_u32_e32 v2, 4, v49
	s_waitcnt lgkmcnt(0)
	v_cndmask_b32_e32 v4, v3, v34, vcc
	v_cmp_ne_u32_e32 vcc, 0, v30
	v_pk_mov_b32 v[14:15], s[8:9], s[8:9] op_sel:[0,1]
	v_pk_mov_b32 v[12:13], s[6:7], s[6:7] op_sel:[0,1]
	;; [unrolled: 1-line block ×4, first 2 shown]
	v_cndmask_b32_e64 v5, 0, 1, vcc
	v_cmp_gt_u32_e32 vcc, s40, v2
	v_mov_b32_e32 v2, s4
	v_mov_b32_e32 v3, s4
	s_mov_b64 s[24:25], 0
	v_pk_mov_b32 v[22:23], v[14:15], v[14:15] op_sel:[0,1]
	v_pk_mov_b32 v[20:21], v[12:13], v[12:13] op_sel:[0,1]
	;; [unrolled: 1-line block ×3, first 2 shown]
                                        ; implicit-def: $sgpr26_sgpr27
                                        ; implicit-def: $vgpr34
	s_and_saveexec_b64 s[22:23], vcc
	s_cbranch_execz .LBB797_75
; %bb.56:
	v_mov_b32_e32 v2, s54
	v_cmp_eq_u32_e32 vcc, 0, v31
	v_add_u32_e32 v10, 5, v49
	v_cndmask_b32_e32 v2, v2, v35, vcc
	v_cmp_ne_u32_e32 vcc, 0, v31
	v_cndmask_b32_e64 v3, 0, 1, vcc
	v_cmp_gt_u32_e32 vcc, s40, v10
	v_pk_mov_b32 v[16:17], s[10:11], s[10:11] op_sel:[0,1]
	v_pk_mov_b32 v[14:15], s[8:9], s[8:9] op_sel:[0,1]
	;; [unrolled: 1-line block ×5, first 2 shown]
	s_mov_b64 s[28:29], 0
	v_pk_mov_b32 v[22:23], v[14:15], v[14:15] op_sel:[0,1]
	v_pk_mov_b32 v[20:21], v[12:13], v[12:13] op_sel:[0,1]
	;; [unrolled: 1-line block ×3, first 2 shown]
                                        ; implicit-def: $sgpr4_sgpr5
                                        ; implicit-def: $vgpr34
	s_and_saveexec_b64 s[24:25], vcc
	s_cbranch_execz .LBB797_74
; %bb.57:
	ds_read2_b32 v[30:31], v48 offset0:5 offset1:6
	s_mov_b32 s4, 0
	v_mov_b32_e32 v11, s54
	v_cmp_eq_u32_e32 vcc, 0, v32
	v_add_u32_e32 v10, 6, v49
	s_waitcnt lgkmcnt(0)
	v_cndmask_b32_e32 v16, v11, v30, vcc
	v_cmp_ne_u32_e32 vcc, 0, v32
	s_mov_b32 s10, s4
	s_mov_b32 s11, s4
	v_cndmask_b32_e64 v17, 0, 1, vcc
	v_cmp_gt_u32_e32 vcc, s40, v10
	v_mov_b32_e32 v10, 0
	s_mov_b32 s5, s4
	s_mov_b32 s6, s4
	;; [unrolled: 1-line block ×5, first 2 shown]
	v_pk_mov_b32 v[24:25], s[10:11], s[10:11] op_sel:[0,1]
	v_mov_b32_e32 v11, v10
	v_mov_b32_e32 v12, v10
	;; [unrolled: 1-line block ×5, first 2 shown]
	v_pk_mov_b32 v[22:23], s[8:9], s[8:9] op_sel:[0,1]
	v_pk_mov_b32 v[20:21], s[6:7], s[6:7] op_sel:[0,1]
	;; [unrolled: 1-line block ×3, first 2 shown]
                                        ; implicit-def: $sgpr36_sgpr37
                                        ; implicit-def: $vgpr34
	s_and_saveexec_b64 s[26:27], vcc
	s_cbranch_execz .LBB797_73
; %bb.58:
	v_mov_b32_e32 v12, s54
	v_cmp_eq_u32_e32 vcc, 0, v33
	v_add_u32_e32 v11, 7, v49
	v_cndmask_b32_e32 v14, v12, v31, vcc
	v_cmp_ne_u32_e32 vcc, 0, v33
	v_pk_mov_b32 v[24:25], s[10:11], s[10:11] op_sel:[0,1]
	v_cndmask_b32_e64 v15, 0, 1, vcc
	v_cmp_gt_u32_e32 vcc, s40, v11
	v_mov_b32_e32 v11, v10
	v_mov_b32_e32 v12, v10
	;; [unrolled: 1-line block ×3, first 2 shown]
	s_mov_b64 s[30:31], 0
	v_pk_mov_b32 v[22:23], s[8:9], s[8:9] op_sel:[0,1]
	v_pk_mov_b32 v[20:21], s[6:7], s[6:7] op_sel:[0,1]
	;; [unrolled: 1-line block ×3, first 2 shown]
                                        ; implicit-def: $sgpr4_sgpr5
                                        ; implicit-def: $vgpr34
	s_and_saveexec_b64 s[28:29], vcc
	s_cbranch_execz .LBB797_72
; %bb.59:
	ds_read2_b32 v[30:31], v48 offset0:7 offset1:8
	s_mov_b32 s4, 0
	v_mov_b32_e32 v11, s54
	v_cmp_eq_u32_e32 vcc, 0, v26
	s_mov_b32 s10, s4
	s_mov_b32 s11, s4
	v_add_u32_e32 v10, 8, v49
	s_waitcnt lgkmcnt(0)
	v_cndmask_b32_e32 v12, v11, v30, vcc
	v_cmp_ne_u32_e32 vcc, 0, v26
	s_mov_b32 s5, s4
	s_mov_b32 s6, s4
	s_mov_b32 s7, s4
	s_mov_b32 s8, s4
	s_mov_b32 s9, s4
	v_pk_mov_b32 v[24:25], s[10:11], s[10:11] op_sel:[0,1]
	v_cndmask_b32_e64 v13, 0, 1, vcc
	v_cmp_gt_u32_e32 vcc, s40, v10
	v_mov_b32_e32 v10, s4
	v_mov_b32_e32 v11, s4
	s_mov_b64 s[36:37], 0
	v_pk_mov_b32 v[22:23], s[8:9], s[8:9] op_sel:[0,1]
	v_pk_mov_b32 v[20:21], s[6:7], s[6:7] op_sel:[0,1]
	;; [unrolled: 1-line block ×3, first 2 shown]
                                        ; implicit-def: $sgpr38_sgpr39
                                        ; implicit-def: $vgpr34
	s_and_saveexec_b64 s[30:31], vcc
	s_cbranch_execz .LBB797_71
; %bb.60:
	v_mov_b32_e32 v10, s54
	v_cmp_eq_u32_e32 vcc, 0, v27
	v_add_u32_e32 v18, 9, v49
	v_cndmask_b32_e32 v10, v10, v31, vcc
	v_cmp_ne_u32_e32 vcc, 0, v27
	v_cndmask_b32_e64 v11, 0, 1, vcc
	v_cmp_gt_u32_e32 vcc, s40, v18
	v_pk_mov_b32 v[24:25], s[10:11], s[10:11] op_sel:[0,1]
	v_pk_mov_b32 v[22:23], s[8:9], s[8:9] op_sel:[0,1]
	;; [unrolled: 1-line block ×4, first 2 shown]
                                        ; implicit-def: $sgpr6_sgpr7
                                        ; implicit-def: $vgpr34
	s_and_saveexec_b64 s[4:5], vcc
	s_cbranch_execz .LBB797_70
; %bb.61:
	ds_read2_b32 v[26:27], v48 offset0:9 offset1:10
	v_mov_b32_e32 v18, s54
	v_cmp_eq_u32_e32 vcc, 0, v28
	v_add_u32_e32 v20, 10, v49
	v_mov_b32_e32 v22, 0
	s_waitcnt lgkmcnt(0)
	v_cndmask_b32_e32 v18, v18, v26, vcc
	v_cmp_ne_u32_e32 vcc, 0, v28
	v_cndmask_b32_e64 v19, 0, 1, vcc
	v_cmp_gt_u32_e32 vcc, s40, v20
	v_mov_b32_e32 v20, v22
	v_mov_b32_e32 v21, v22
	;; [unrolled: 1-line block ×5, first 2 shown]
	s_mov_b64 s[8:9], 0
                                        ; implicit-def: $sgpr36_sgpr37
                                        ; implicit-def: $vgpr34
	s_and_saveexec_b64 s[6:7], vcc
	s_cbranch_execz .LBB797_69
; %bb.62:
	v_mov_b32_e32 v20, s54
	v_cmp_eq_u32_e32 vcc, 0, v29
	v_add_u32_e32 v23, 11, v49
	v_cndmask_b32_e32 v20, v20, v27, vcc
	v_cmp_ne_u32_e32 vcc, 0, v29
	v_cndmask_b32_e64 v21, 0, 1, vcc
	v_cmp_gt_u32_e32 vcc, s40, v23
	v_mov_b32_e32 v23, v22
	v_mov_b32_e32 v24, v22
	;; [unrolled: 1-line block ×3, first 2 shown]
	s_mov_b64 s[10:11], 0
                                        ; implicit-def: $sgpr38_sgpr39
                                        ; implicit-def: $vgpr34
	s_and_saveexec_b64 s[8:9], vcc
	s_cbranch_execz .LBB797_68
; %bb.63:
	ds_read2_b32 v[26:27], v48 offset0:11 offset1:12
	v_mov_b32_e32 v22, s54
	v_cmp_eq_u32_e32 vcc, 0, v44
	v_add_u32_e32 v24, 12, v49
	s_mov_b32 s10, 0
	s_waitcnt lgkmcnt(0)
	v_cndmask_b32_e32 v22, v22, v26, vcc
	v_cmp_ne_u32_e32 vcc, 0, v44
	v_cndmask_b32_e64 v23, 0, 1, vcc
	v_cmp_gt_u32_e32 vcc, s40, v24
	v_mov_b32_e32 v24, s10
	v_mov_b32_e32 v25, s10
	s_mov_b64 s[36:37], 0
                                        ; implicit-def: $sgpr38_sgpr39
                                        ; implicit-def: $vgpr34
	s_and_saveexec_b64 s[10:11], vcc
	s_cbranch_execz .LBB797_67
; %bb.64:
	v_mov_b32_e32 v24, s54
	v_cmp_eq_u32_e32 vcc, 0, v45
	v_add_u32_e32 v26, 13, v49
	v_cndmask_b32_e32 v24, v24, v27, vcc
	v_cmp_ne_u32_e32 vcc, 0, v45
	v_cndmask_b32_e64 v25, 0, 1, vcc
	v_cmp_gt_u32_e32 vcc, s40, v26
                                        ; implicit-def: $sgpr38_sgpr39
                                        ; implicit-def: $vgpr34
	s_and_saveexec_b64 s[40:41], vcc
	s_xor_b64 s[40:41], exec, s[40:41]
	s_cbranch_execz .LBB797_66
; %bb.65:
	ds_read_b32 v26, v48 offset:52
	v_mov_b32_e32 v27, s54
	v_cmp_ne_u32_e32 vcc, 0, v47
	s_mov_b64 s[36:37], exec
	s_and_b64 s[38:39], vcc, exec
	s_waitcnt lgkmcnt(0)
	v_cndmask_b32_e32 v34, v26, v27, vcc
.LBB797_66:
	s_or_b64 exec, exec, s[40:41]
	s_and_b64 s[38:39], s[38:39], exec
	s_and_b64 s[36:37], s[36:37], exec
.LBB797_67:
	s_or_b64 exec, exec, s[10:11]
	s_and_b64 s[38:39], s[38:39], exec
	s_and_b64 s[10:11], s[36:37], exec
.LBB797_68:
	s_or_b64 exec, exec, s[8:9]
	s_and_b64 s[36:37], s[38:39], exec
	s_and_b64 s[8:9], s[10:11], exec
.LBB797_69:
	s_or_b64 exec, exec, s[6:7]
	s_and_b64 s[6:7], s[36:37], exec
	s_and_b64 s[36:37], s[8:9], exec
.LBB797_70:
	s_or_b64 exec, exec, s[4:5]
	s_and_b64 s[38:39], s[6:7], exec
	s_and_b64 s[36:37], s[36:37], exec
.LBB797_71:
	s_or_b64 exec, exec, s[30:31]
	s_and_b64 s[4:5], s[38:39], exec
	s_and_b64 s[30:31], s[36:37], exec
.LBB797_72:
	s_or_b64 exec, exec, s[28:29]
	s_and_b64 s[36:37], s[4:5], exec
	s_and_b64 s[28:29], s[30:31], exec
.LBB797_73:
	s_or_b64 exec, exec, s[26:27]
	s_and_b64 s[4:5], s[36:37], exec
	s_and_b64 s[28:29], s[28:29], exec
.LBB797_74:
	s_or_b64 exec, exec, s[24:25]
	s_and_b64 s[26:27], s[4:5], exec
	s_and_b64 s[24:25], s[28:29], exec
.LBB797_75:
	s_or_b64 exec, exec, s[22:23]
	s_and_b64 s[4:5], s[26:27], exec
	s_and_b64 s[22:23], s[24:25], exec
.LBB797_76:
	s_or_b64 exec, exec, s[20:21]
	s_and_b64 s[24:25], s[4:5], exec
	s_and_b64 s[20:21], s[22:23], exec
.LBB797_77:
	s_or_b64 exec, exec, s[18:19]
	s_and_b64 s[4:5], s[24:25], exec
	s_and_b64 s[18:19], s[20:21], exec
.LBB797_78:
	s_or_b64 exec, exec, s[16:17]
	s_and_b64 s[16:17], s[4:5], exec
	s_and_b64 s[18:19], s[18:19], exec
.LBB797_79:
	s_or_b64 exec, exec, s[14:15]
	s_and_b64 vcc, exec, s[12:13]
	v_lshlrev_b32_e32 v52, 2, v0
	s_cbranch_vccnz .LBB797_81
	s_branch .LBB797_86
.LBB797_80:
	s_mov_b64 s[18:19], 0
                                        ; implicit-def: $sgpr16_sgpr17
                                        ; implicit-def: $vgpr2_vgpr3_vgpr4_vgpr5_vgpr6_vgpr7_vgpr8_vgpr9
                                        ; implicit-def: $vgpr10_vgpr11_vgpr12_vgpr13_vgpr14_vgpr15_vgpr16_vgpr17
                                        ; implicit-def: $vgpr18_vgpr19_vgpr20_vgpr21_vgpr22_vgpr23_vgpr24_vgpr25
                                        ; implicit-def: $vgpr34
                                        ; implicit-def: $vgpr40_vgpr41
	s_and_b64 vcc, exec, s[12:13]
	v_lshlrev_b32_e32 v52, 2, v0
	s_cbranch_vccz .LBB797_86
.LBB797_81:
	v_add_co_u32_e32 v2, vcc, v42, v52
	v_addc_co_u32_e32 v3, vcc, 0, v43, vcc
	v_add_co_u32_e32 v4, vcc, 0x1000, v2
	v_addc_co_u32_e32 v5, vcc, 0, v3, vcc
	flat_load_dword v6, v[2:3]
	flat_load_dword v7, v[2:3] offset:1024
	flat_load_dword v8, v[2:3] offset:2048
	;; [unrolled: 1-line block ×3, first 2 shown]
	flat_load_dword v10, v[4:5]
	flat_load_dword v11, v[4:5] offset:1024
	flat_load_dword v12, v[4:5] offset:2048
	;; [unrolled: 1-line block ×3, first 2 shown]
	v_add_co_u32_e32 v4, vcc, 0x2000, v2
	v_addc_co_u32_e32 v5, vcc, 0, v3, vcc
	v_add_co_u32_e32 v2, vcc, 0x3000, v2
	v_addc_co_u32_e32 v3, vcc, 0, v3, vcc
	flat_load_dword v14, v[4:5]
	flat_load_dword v15, v[4:5] offset:1024
	flat_load_dword v16, v[4:5] offset:2048
	;; [unrolled: 1-line block ×3, first 2 shown]
	flat_load_dword v18, v[2:3]
	flat_load_dword v19, v[2:3] offset:1024
	v_add_co_u32_e32 v2, vcc, 0x3000, v42
	v_addc_co_u32_e32 v3, vcc, 0, v43, vcc
	s_movk_i32 s6, 0xffcc
	s_movk_i32 s9, 0x1000
	s_mov_b32 s4, 0
	s_movk_i32 s8, 0x2000
	s_movk_i32 s5, 0x3000
	s_waitcnt vmcnt(0) lgkmcnt(0)
	ds_write2st64_b32 v52, v6, v7 offset1:4
	ds_write2st64_b32 v52, v8, v9 offset0:8 offset1:12
	ds_write2st64_b32 v52, v10, v11 offset0:16 offset1:20
	;; [unrolled: 1-line block ×6, first 2 shown]
	s_waitcnt lgkmcnt(0)
	s_barrier
	flat_load_dword v32, v[2:3] offset:2048
	v_mad_u32_u24 v8, v0, 52, v52
	ds_read_b64 v[2:3], v8
	ds_read2_b64 v[10:13], v8 offset0:1 offset1:2
	ds_read2_b64 v[18:21], v8 offset0:3 offset1:4
	;; [unrolled: 1-line block ×3, first 2 shown]
	v_mad_i32_i24 v4, v0, s6, v8
	s_movk_i32 s6, 0xff
	v_cmp_ne_u32_e32 vcc, s6, v0
	s_waitcnt lgkmcnt(0)
	ds_write_b32 v4, v2 offset:15360
	s_waitcnt lgkmcnt(0)
	s_barrier
	s_and_saveexec_b64 s[6:7], vcc
	s_cbranch_execz .LBB797_83
; %bb.82:
	s_waitcnt vmcnt(0)
	ds_read_b32 v32, v52 offset:15364
.LBB797_83:
	s_or_b64 exec, exec, s[6:7]
	v_add_co_u32_e32 v4, vcc, v1, v52
	v_addc_co_u32_e32 v5, vcc, 0, v46, vcc
	v_add_co_u32_e32 v6, vcc, s9, v4
	v_addc_co_u32_e32 v7, vcc, 0, v5, vcc
	s_waitcnt lgkmcnt(0)
	s_barrier
	flat_load_dword v1, v[4:5]
	flat_load_dword v2, v[4:5] offset:1024
	flat_load_dword v9, v[4:5] offset:2048
	;; [unrolled: 1-line block ×3, first 2 shown]
	flat_load_dword v15, v[6:7]
	flat_load_dword v16, v[6:7] offset:1024
	flat_load_dword v17, v[6:7] offset:2048
	flat_load_dword v22, v[6:7] offset:3072
	v_add_co_u32_e32 v6, vcc, s8, v4
	v_addc_co_u32_e32 v7, vcc, 0, v5, vcc
	v_add_co_u32_e32 v4, vcc, s5, v4
	v_addc_co_u32_e32 v5, vcc, 0, v5, vcc
	flat_load_dword v23, v[6:7]
	flat_load_dword v24, v[6:7] offset:1024
	flat_load_dword v25, v[6:7] offset:2048
	;; [unrolled: 1-line block ×3, first 2 shown]
	flat_load_dword v31, v[4:5]
	flat_load_dword v33, v[4:5] offset:1024
	s_mov_b32 s5, 1
	v_cmp_eq_u32_e32 vcc, 0, v3
	v_pk_mov_b32 v[40:41], s[4:5], s[4:5] op_sel:[0,1]
	s_waitcnt vmcnt(0) lgkmcnt(0)
	ds_write2st64_b32 v52, v1, v2 offset1:4
	ds_write2st64_b32 v52, v9, v14 offset0:8 offset1:12
	ds_write2st64_b32 v52, v15, v16 offset0:16 offset1:20
	ds_write2st64_b32 v52, v17, v22 offset0:24 offset1:28
	ds_write2st64_b32 v52, v23, v24 offset0:32 offset1:36
	ds_write2st64_b32 v52, v25, v30 offset0:40 offset1:44
	ds_write2st64_b32 v52, v31, v33 offset0:48 offset1:52
	s_waitcnt lgkmcnt(0)
	s_barrier
	ds_read2_b32 v[24:25], v8 offset0:7 offset1:8
	ds_read2_b32 v[14:15], v8 offset0:5 offset1:6
	;; [unrolled: 1-line block ×4, first 2 shown]
	ds_read_b32 v1, v8 offset:52
	ds_read2_b32 v[22:23], v8 offset0:11 offset1:12
	ds_read2_b32 v[30:31], v8 offset0:9 offset1:10
	v_mov_b32_e32 v2, s54
	s_and_saveexec_b64 s[4:5], vcc
	s_cbranch_execz .LBB797_85
; %bb.84:
	ds_read_b32 v2, v8
	v_pk_mov_b32 v[40:41], 0, 0
.LBB797_85:
	s_or_b64 exec, exec, s[4:5]
	v_mov_b32_e32 v33, s54
	v_cmp_eq_u32_e32 vcc, 0, v10
	s_waitcnt lgkmcnt(3)
	v_cndmask_b32_e32 v8, v33, v6, vcc
	v_cmp_eq_u32_e32 vcc, 0, v11
	v_cndmask_b32_e32 v6, v33, v7, vcc
	v_cmp_eq_u32_e32 vcc, 0, v12
	;; [unrolled: 2-line block ×3, first 2 shown]
	s_waitcnt lgkmcnt(0)
	v_or_b32_e32 v40, v40, v2
	v_cndmask_b32_e32 v2, v33, v5, vcc
	v_cmp_ne_u32_e32 vcc, 0, v10
	v_cndmask_b32_e64 v9, 0, 1, vcc
	v_cmp_ne_u32_e32 vcc, 0, v11
	v_cndmask_b32_e64 v7, 0, 1, vcc
	;; [unrolled: 2-line block ×4, first 2 shown]
	v_cmp_eq_u32_e32 vcc, 0, v18
	v_cndmask_b32_e32 v16, v33, v14, vcc
	v_cmp_eq_u32_e32 vcc, 0, v19
	v_cndmask_b32_e32 v14, v33, v15, vcc
	;; [unrolled: 2-line block ×4, first 2 shown]
	v_cmp_ne_u32_e32 vcc, 0, v18
	v_cndmask_b32_e64 v17, 0, 1, vcc
	v_cmp_ne_u32_e32 vcc, 0, v19
	v_cndmask_b32_e64 v15, 0, 1, vcc
	;; [unrolled: 2-line block ×4, first 2 shown]
	v_cmp_eq_u32_e32 vcc, 0, v29
	v_cndmask_b32_e32 v24, v33, v23, vcc
	v_cmp_eq_u32_e32 vcc, 0, v28
	v_cndmask_b32_e32 v22, v33, v22, vcc
	;; [unrolled: 2-line block ×4, first 2 shown]
	v_cmp_ne_u32_e32 vcc, 0, v29
	v_cndmask_b32_e64 v25, 0, 1, vcc
	v_cmp_ne_u32_e32 vcc, 0, v28
	v_cndmask_b32_e64 v23, 0, 1, vcc
	v_cmp_ne_u32_e32 vcc, 0, v27
	v_cndmask_b32_e64 v21, 0, 1, vcc
	v_cmp_ne_u32_e32 vcc, 0, v26
	v_cmp_ne_u32_e64 s[16:17], 0, v32
	v_cndmask_b32_e64 v19, 0, 1, vcc
	v_cndmask_b32_e64 v34, v1, v33, s[16:17]
	s_mov_b64 s[18:19], -1
                                        ; implicit-def: $sgpr12_sgpr13
.LBB797_86:
	v_pk_mov_b32 v[42:43], s[12:13], s[12:13] op_sel:[0,1]
	s_and_saveexec_b64 s[4:5], s[18:19]
; %bb.87:
	v_cndmask_b32_e64 v35, 0, 1, s[16:17]
	v_pk_mov_b32 v[42:43], v[34:35], v[34:35] op_sel:[0,1]
; %bb.88:
	s_or_b64 exec, exec, s[4:5]
	s_mov_b32 s28, 0
	s_cmp_lg_u32 s47, 0
	v_mbcnt_lo_u32_b32 v54, -1, 0
	v_lshrrev_b32_e32 v1, 6, v0
	v_or_b32_e32 v53, 63, v0
	s_barrier
	s_cbranch_scc0 .LBB797_133
; %bb.89:
	s_mov_b32 s29, 1
	v_cmp_gt_u64_e64 s[4:5], s[28:29], v[8:9]
	v_cndmask_b32_e64 v27, 0, v40, s[4:5]
	v_add_u32_e32 v27, v27, v8
	v_cmp_gt_u64_e64 s[6:7], s[28:29], v[6:7]
	v_cndmask_b32_e64 v27, 0, v27, s[6:7]
	v_add_u32_e32 v27, v27, v6
	;; [unrolled: 3-line block ×12, first 2 shown]
	v_cmp_gt_u64_e32 vcc, s[28:29], v[42:43]
	v_cndmask_b32_e32 v27, 0, v27, vcc
	v_add_u32_e32 v28, v27, v42
	v_or3_b32 v27, v43, v25, v23
	v_or3_b32 v27, v27, v21, v19
	;; [unrolled: 1-line block ×6, first 2 shown]
	v_mov_b32_e32 v26, 0
	v_and_b32_e32 v27, 1, v27
	v_cmp_eq_u64_e32 vcc, 0, v[26:27]
	v_cndmask_b32_e32 v27, 1, v41, vcc
	v_and_b32_e32 v29, 0xff, v27
	v_mov_b32_dpp v31, v28 row_shr:1 row_mask:0xf bank_mask:0xf
	v_cmp_eq_u16_e32 vcc, 0, v29
	v_mov_b32_dpp v32, v29 row_shr:1 row_mask:0xf bank_mask:0xf
	v_and_b32_e32 v33, 1, v27
	v_mbcnt_hi_u32_b32 v48, -1, v54
	v_cndmask_b32_e32 v31, 0, v31, vcc
	v_and_b32_e32 v32, 1, v32
	v_cmp_eq_u32_e32 vcc, 1, v33
	v_and_b32_e32 v30, 15, v48
	v_cndmask_b32_e64 v32, v32, 1, vcc
	v_and_b32_e32 v33, 0xffff, v32
	v_cmp_eq_u32_e32 vcc, 0, v30
	v_cndmask_b32_e32 v27, v32, v27, vcc
	v_cndmask_b32_e32 v29, v33, v29, vcc
	v_and_b32_e32 v33, 1, v27
	v_cndmask_b32_e64 v31, v31, 0, vcc
	v_mov_b32_dpp v32, v29 row_shr:2 row_mask:0xf bank_mask:0xf
	v_and_b32_e32 v32, 1, v32
	v_cmp_eq_u32_e32 vcc, 1, v33
	v_cndmask_b32_e64 v32, v32, 1, vcc
	v_and_b32_e32 v33, 0xffff, v32
	v_cmp_lt_u32_e32 vcc, 1, v30
	v_add_u32_e32 v28, v31, v28
	v_cmp_eq_u16_sdwa s[28:29], v27, v26 src0_sel:BYTE_0 src1_sel:DWORD
	v_cndmask_b32_e32 v27, v27, v32, vcc
	v_cndmask_b32_e32 v29, v29, v33, vcc
	v_mov_b32_dpp v31, v28 row_shr:2 row_mask:0xf bank_mask:0xf
	s_and_b64 vcc, vcc, s[28:29]
	v_mov_b32_dpp v32, v29 row_shr:4 row_mask:0xf bank_mask:0xf
	v_and_b32_e32 v33, 1, v27
	v_cndmask_b32_e32 v31, 0, v31, vcc
	v_and_b32_e32 v32, 1, v32
	v_cmp_eq_u32_e32 vcc, 1, v33
	v_cndmask_b32_e64 v32, v32, 1, vcc
	v_and_b32_e32 v33, 0xffff, v32
	v_cmp_lt_u32_e32 vcc, 3, v30
	v_add_u32_e32 v28, v31, v28
	v_cmp_eq_u16_sdwa s[28:29], v27, v26 src0_sel:BYTE_0 src1_sel:DWORD
	v_cndmask_b32_e32 v27, v27, v32, vcc
	v_cndmask_b32_e32 v29, v29, v33, vcc
	v_mov_b32_dpp v31, v28 row_shr:4 row_mask:0xf bank_mask:0xf
	s_and_b64 vcc, vcc, s[28:29]
	v_mov_b32_dpp v32, v29 row_shr:8 row_mask:0xf bank_mask:0xf
	v_and_b32_e32 v33, 1, v27
	v_cndmask_b32_e32 v31, 0, v31, vcc
	v_and_b32_e32 v32, 1, v32
	v_cmp_eq_u32_e32 vcc, 1, v33
	v_cndmask_b32_e64 v32, v32, 1, vcc
	v_add_u32_e32 v28, v31, v28
	v_cmp_eq_u16_sdwa s[28:29], v27, v26 src0_sel:BYTE_0 src1_sel:DWORD
	v_and_b32_e32 v33, 0xffff, v32
	v_cmp_lt_u32_e32 vcc, 7, v30
	v_mov_b32_dpp v31, v28 row_shr:8 row_mask:0xf bank_mask:0xf
	v_cndmask_b32_e32 v27, v27, v32, vcc
	v_cndmask_b32_e32 v29, v29, v33, vcc
	s_and_b64 vcc, vcc, s[28:29]
	v_cndmask_b32_e32 v30, 0, v31, vcc
	v_add_u32_e32 v28, v30, v28
	v_mov_b32_dpp v31, v29 row_bcast:15 row_mask:0xf bank_mask:0xf
	v_cmp_eq_u16_sdwa vcc, v27, v26 src0_sel:BYTE_0 src1_sel:DWORD
	v_mov_b32_dpp v30, v28 row_bcast:15 row_mask:0xf bank_mask:0xf
	v_and_b32_e32 v34, 1, v27
	v_cndmask_b32_e32 v30, 0, v30, vcc
	v_and_b32_e32 v31, 1, v31
	v_cmp_eq_u32_e32 vcc, 1, v34
	v_and_b32_e32 v33, 16, v48
	v_cndmask_b32_e64 v31, v31, 1, vcc
	v_and_b32_e32 v34, 0xffff, v31
	v_cmp_eq_u32_e32 vcc, 0, v33
	v_cndmask_b32_e32 v27, v31, v27, vcc
	v_cndmask_b32_e32 v29, v34, v29, vcc
	v_bfe_i32 v32, v48, 4, 1
	v_cmp_eq_u16_sdwa s[28:29], v27, v26 src0_sel:BYTE_0 src1_sel:DWORD
	v_mov_b32_dpp v29, v29 row_bcast:31 row_mask:0xf bank_mask:0xf
	v_and_b32_e32 v26, 1, v27
	v_and_b32_e32 v30, v32, v30
	;; [unrolled: 1-line block ×3, first 2 shown]
	v_cmp_eq_u32_e32 vcc, 1, v26
	v_add_u32_e32 v28, v30, v28
	v_cndmask_b32_e64 v26, v29, 1, vcc
	v_cmp_lt_u32_e32 vcc, 31, v48
	v_mov_b32_dpp v30, v28 row_bcast:31 row_mask:0xf bank_mask:0xf
	v_cndmask_b32_e32 v29, v27, v26, vcc
	s_and_b64 vcc, vcc, s[28:29]
	v_cndmask_b32_e32 v26, 0, v30, vcc
	v_add_u32_e32 v28, v26, v28
	v_cmp_eq_u32_e32 vcc, v53, v0
	s_and_saveexec_b64 s[28:29], vcc
	s_cbranch_execz .LBB797_91
; %bb.90:
	v_lshlrev_b32_e32 v26, 3, v1
	ds_write_b32 v26, v28
	ds_write_b8 v26, v29 offset:4
.LBB797_91:
	s_or_b64 exec, exec, s[28:29]
	v_cmp_gt_u32_e32 vcc, 4, v0
	s_waitcnt lgkmcnt(0)
	s_barrier
	s_and_saveexec_b64 s[28:29], vcc
	s_cbranch_execz .LBB797_95
; %bb.92:
	v_lshlrev_b32_e32 v30, 3, v0
	ds_read_b64 v[26:27], v30
	v_and_b32_e32 v31, 3, v48
	v_cmp_ne_u32_e32 vcc, 0, v31
	s_waitcnt lgkmcnt(0)
	v_mov_b32_dpp v32, v26 row_shr:1 row_mask:0xf bank_mask:0xf
	v_mov_b32_dpp v34, v27 row_shr:1 row_mask:0xf bank_mask:0xf
	v_mov_b32_e32 v33, v27
	s_and_saveexec_b64 s[30:31], vcc
	s_cbranch_execz .LBB797_94
; %bb.93:
	v_and_b32_e32 v33, 1, v27
	v_and_b32_e32 v34, 1, v34
	v_cmp_eq_u32_e32 vcc, 1, v33
	v_mov_b32_e32 v33, 0
	v_cndmask_b32_e64 v34, v34, 1, vcc
	v_cmp_eq_u16_sdwa vcc, v27, v33 src0_sel:BYTE_0 src1_sel:DWORD
	v_cndmask_b32_e32 v32, 0, v32, vcc
	v_add_u32_e32 v26, v32, v26
	v_and_b32_e32 v32, 0xffff, v34
	s_movk_i32 s36, 0xff00
	v_and_or_b32 v33, v27, s36, v32
	v_mov_b32_e32 v27, v34
.LBB797_94:
	s_or_b64 exec, exec, s[30:31]
	v_mov_b32_dpp v33, v33 row_shr:2 row_mask:0xf bank_mask:0xf
	v_and_b32_e32 v34, 1, v27
	v_and_b32_e32 v33, 1, v33
	v_cmp_eq_u32_e32 vcc, 1, v34
	v_mov_b32_e32 v34, 0
	v_cndmask_b32_e64 v33, v33, 1, vcc
	v_cmp_eq_u16_sdwa s[30:31], v27, v34 src0_sel:BYTE_0 src1_sel:DWORD
	v_cmp_lt_u32_e32 vcc, 1, v31
	v_mov_b32_dpp v32, v26 row_shr:2 row_mask:0xf bank_mask:0xf
	v_cndmask_b32_e32 v27, v27, v33, vcc
	s_and_b64 vcc, vcc, s[30:31]
	v_cndmask_b32_e32 v31, 0, v32, vcc
	v_add_u32_e32 v26, v31, v26
	ds_write_b32 v30, v26
	ds_write_b8 v30, v27 offset:4
.LBB797_95:
	s_or_b64 exec, exec, s[28:29]
	v_cmp_gt_u32_e32 vcc, 64, v0
	v_cmp_lt_u32_e64 s[28:29], 63, v0
	v_mov_b32_e32 v44, 0
	v_mov_b32_e32 v45, 0
	s_waitcnt lgkmcnt(0)
	s_barrier
	s_and_saveexec_b64 s[30:31], s[28:29]
	s_cbranch_execz .LBB797_97
; %bb.96:
	v_lshl_add_u32 v26, v1, 3, -8
	ds_read_b32 v44, v26
	ds_read_u8 v45, v26 offset:4
	v_mov_b32_e32 v27, 0
	v_and_b32_e32 v30, 1, v29
	v_cmp_eq_u16_sdwa s[28:29], v29, v27 src0_sel:BYTE_0 src1_sel:DWORD
	s_waitcnt lgkmcnt(1)
	v_cndmask_b32_e64 v26, 0, v44, s[28:29]
	v_cmp_eq_u32_e64 s[28:29], 1, v30
	v_add_u32_e32 v28, v26, v28
	s_waitcnt lgkmcnt(0)
	v_cndmask_b32_e64 v29, v45, 1, s[28:29]
.LBB797_97:
	s_or_b64 exec, exec, s[30:31]
	v_and_b32_e32 v26, 0xff, v29
	v_add_u32_e32 v27, -1, v48
	v_and_b32_e32 v29, 64, v48
	v_cmp_lt_i32_e64 s[28:29], v27, v29
	v_cndmask_b32_e64 v27, v27, v48, s[28:29]
	v_lshlrev_b32_e32 v27, 2, v27
	ds_bpermute_b32 v46, v27, v28
	ds_bpermute_b32 v47, v27, v26
	v_cmp_eq_u32_e64 s[28:29], 0, v48
	s_and_saveexec_b64 s[36:37], vcc
	s_cbranch_execz .LBB797_120
; %bb.98:
	v_mov_b32_e32 v29, 0
	ds_read_b64 v[26:27], v29 offset:24
	s_waitcnt lgkmcnt(0)
	v_readfirstlane_b32 s48, v27
	s_and_saveexec_b64 s[30:31], s[28:29]
	s_cbranch_execz .LBB797_100
; %bb.99:
	s_add_i32 s38, s47, 64
	s_mov_b32 s39, 0
	s_lshl_b64 s[40:41], s[38:39], 4
	s_add_u32 s40, s44, s40
	s_addc_u32 s41, s45, s41
	s_and_b32 s57, s48, 0xff000000
	s_mov_b32 s56, s39
	s_and_b32 s59, s48, 0xff0000
	s_mov_b32 s58, s39
	s_or_b64 s[56:57], s[58:59], s[56:57]
	s_and_b32 s59, s48, 0xff00
	s_or_b64 s[56:57], s[56:57], s[58:59]
	s_and_b32 s59, s48, 0xff
	s_or_b64 s[38:39], s[56:57], s[58:59]
	v_mov_b32_e32 v27, s39
	v_mov_b32_e32 v28, 1
	v_pk_mov_b32 v[30:31], s[40:41], s[40:41] op_sel:[0,1]
	;;#ASMSTART
	global_store_dwordx4 v[30:31], v[26:29] off	
s_waitcnt vmcnt(0)
	;;#ASMEND
.LBB797_100:
	s_or_b64 exec, exec, s[30:31]
	v_xad_u32 v34, v48, -1, s47
	v_add_u32_e32 v28, 64, v34
	v_lshlrev_b64 v[30:31], 4, v[28:29]
	v_mov_b32_e32 v27, s45
	v_add_co_u32_e32 v36, vcc, s44, v30
	v_addc_co_u32_e32 v37, vcc, v27, v31, vcc
	;;#ASMSTART
	global_load_dwordx4 v[30:33], v[36:37] off glc	
s_waitcnt vmcnt(0)
	;;#ASMEND
	v_and_b32_e32 v27, 0xff0000, v30
	v_or_b32_sdwa v27, v30, v27 dst_sel:DWORD dst_unused:UNUSED_PAD src0_sel:WORD_0 src1_sel:DWORD
	v_and_b32_e32 v28, 0xff000000, v30
	v_and_b32_e32 v30, 0xff, v31
	v_or3_b32 v31, 0, 0, v30
	v_or3_b32 v30, v27, v28, 0
	v_cmp_eq_u16_sdwa s[38:39], v32, v29 src0_sel:BYTE_0 src1_sel:DWORD
	s_and_saveexec_b64 s[30:31], s[38:39]
	s_cbranch_execz .LBB797_106
; %bb.101:
	s_mov_b32 s40, 1
	s_mov_b64 s[38:39], 0
	v_mov_b32_e32 v27, 0
.LBB797_102:                            ; =>This Loop Header: Depth=1
                                        ;     Child Loop BB797_103 Depth 2
	s_max_u32 s41, s40, 1
.LBB797_103:                            ;   Parent Loop BB797_102 Depth=1
                                        ; =>  This Inner Loop Header: Depth=2
	s_add_i32 s41, s41, -1
	s_cmp_eq_u32 s41, 0
	s_sleep 1
	s_cbranch_scc0 .LBB797_103
; %bb.104:                              ;   in Loop: Header=BB797_102 Depth=1
	s_cmp_lt_u32 s40, 32
	s_cselect_b64 s[56:57], -1, 0
	s_cmp_lg_u64 s[56:57], 0
	s_addc_u32 s40, s40, 0
	;;#ASMSTART
	global_load_dwordx4 v[30:33], v[36:37] off glc	
s_waitcnt vmcnt(0)
	;;#ASMEND
	v_cmp_ne_u16_sdwa s[56:57], v32, v27 src0_sel:BYTE_0 src1_sel:DWORD
	s_or_b64 s[38:39], s[56:57], s[38:39]
	s_andn2_b64 exec, exec, s[38:39]
	s_cbranch_execnz .LBB797_102
; %bb.105:
	s_or_b64 exec, exec, s[38:39]
	v_and_b32_e32 v31, 0xff, v31
.LBB797_106:
	s_or_b64 exec, exec, s[30:31]
	v_mov_b32_e32 v27, 2
	v_cmp_eq_u16_sdwa s[30:31], v32, v27 src0_sel:BYTE_0 src1_sel:DWORD
	v_lshlrev_b64 v[28:29], v48, -1
	v_and_b32_e32 v33, s31, v29
	v_or_b32_e32 v33, 0x80000000, v33
	v_and_b32_e32 v35, s30, v28
	v_ffbl_b32_e32 v33, v33
	v_and_b32_e32 v49, 63, v48
	v_add_u32_e32 v33, 32, v33
	v_ffbl_b32_e32 v35, v35
	v_cmp_ne_u32_e32 vcc, 63, v49
	v_min_u32_e32 v33, v35, v33
	v_addc_co_u32_e32 v35, vcc, 0, v48, vcc
	v_lshlrev_b32_e32 v50, 2, v35
	ds_bpermute_b32 v35, v50, v31
	ds_bpermute_b32 v36, v50, v30
	s_mov_b32 s38, 0
	v_and_b32_e32 v37, 1, v31
	s_mov_b32 s39, 1
	s_waitcnt lgkmcnt(1)
	v_and_b32_e32 v35, 1, v35
	v_cmp_eq_u32_e32 vcc, 1, v37
	v_cndmask_b32_e64 v35, v35, 1, vcc
	v_cmp_gt_u64_e32 vcc, s[38:39], v[30:31]
	v_cmp_lt_u32_e64 s[30:31], v49, v33
	s_and_b64 vcc, s[30:31], vcc
	v_and_b32_e32 v37, 0xffff, v35
	v_cndmask_b32_e64 v56, v31, v35, s[30:31]
	s_waitcnt lgkmcnt(0)
	v_cndmask_b32_e32 v35, 0, v36, vcc
	v_cmp_gt_u32_e32 vcc, 62, v49
	v_cndmask_b32_e64 v36, 0, 1, vcc
	v_lshlrev_b32_e32 v36, 1, v36
	v_cndmask_b32_e64 v31, v31, v37, s[30:31]
	v_add_lshl_u32 v51, v36, v48, 2
	ds_bpermute_b32 v36, v51, v31
	v_add_u32_e32 v30, v35, v30
	ds_bpermute_b32 v37, v51, v30
	v_and_b32_e32 v35, 1, v56
	v_cmp_eq_u32_e32 vcc, 1, v35
	s_waitcnt lgkmcnt(1)
	v_and_b32_e32 v36, 1, v36
	v_mov_b32_e32 v35, 0
	v_add_u32_e32 v55, 2, v49
	v_cndmask_b32_e64 v36, v36, 1, vcc
	v_cmp_eq_u16_sdwa vcc, v56, v35 src0_sel:BYTE_0 src1_sel:DWORD
	v_and_b32_e32 v57, 0xffff, v36
	s_waitcnt lgkmcnt(0)
	v_cndmask_b32_e32 v37, 0, v37, vcc
	v_cmp_gt_u32_e32 vcc, v55, v33
	v_cndmask_b32_e32 v36, v36, v56, vcc
	v_cndmask_b32_e64 v37, v37, 0, vcc
	v_cndmask_b32_e32 v31, v57, v31, vcc
	v_cmp_gt_u32_e32 vcc, 60, v49
	v_cndmask_b32_e64 v56, 0, 1, vcc
	v_lshlrev_b32_e32 v56, 2, v56
	v_add_lshl_u32 v56, v56, v48, 2
	ds_bpermute_b32 v58, v56, v31
	v_add_u32_e32 v30, v37, v30
	ds_bpermute_b32 v37, v56, v30
	v_and_b32_e32 v59, 1, v36
	v_cmp_eq_u32_e32 vcc, 1, v59
	s_waitcnt lgkmcnt(1)
	v_and_b32_e32 v58, 1, v58
	v_add_u32_e32 v57, 4, v49
	v_cndmask_b32_e64 v58, v58, 1, vcc
	v_cmp_eq_u16_sdwa vcc, v36, v35 src0_sel:BYTE_0 src1_sel:DWORD
	v_and_b32_e32 v59, 0xffff, v58
	s_waitcnt lgkmcnt(0)
	v_cndmask_b32_e32 v37, 0, v37, vcc
	v_cmp_gt_u32_e32 vcc, v57, v33
	v_cndmask_b32_e32 v36, v58, v36, vcc
	v_cndmask_b32_e64 v37, v37, 0, vcc
	v_cndmask_b32_e32 v31, v59, v31, vcc
	v_cmp_gt_u32_e32 vcc, 56, v49
	v_cndmask_b32_e64 v58, 0, 1, vcc
	v_lshlrev_b32_e32 v58, 3, v58
	v_add_lshl_u32 v58, v58, v48, 2
	ds_bpermute_b32 v60, v58, v31
	v_add_u32_e32 v30, v37, v30
	ds_bpermute_b32 v37, v58, v30
	v_and_b32_e32 v61, 1, v36
	v_cmp_eq_u32_e32 vcc, 1, v61
	s_waitcnt lgkmcnt(1)
	v_and_b32_e32 v60, 1, v60
	;; [unrolled: 21-line block ×4, first 2 shown]
	v_add_u32_e32 v64, 32, v49
	v_cndmask_b32_e64 v31, v31, 1, vcc
	v_cmp_eq_u16_sdwa vcc, v36, v35 src0_sel:BYTE_0 src1_sel:DWORD
	s_waitcnt lgkmcnt(0)
	v_cndmask_b32_e32 v37, 0, v37, vcc
	v_cmp_gt_u32_e32 vcc, v64, v33
	v_cndmask_b32_e64 v33, v37, 0, vcc
	v_cndmask_b32_e32 v31, v31, v36, vcc
	v_add_u32_e32 v30, v33, v30
	s_branch .LBB797_108
.LBB797_107:                            ;   in Loop: Header=BB797_108 Depth=1
	s_or_b64 exec, exec, s[30:31]
	v_cmp_eq_u16_sdwa s[30:31], v32, v27 src0_sel:BYTE_0 src1_sel:DWORD
	v_and_b32_e32 v33, s31, v29
	ds_bpermute_b32 v37, v50, v31
	v_or_b32_e32 v33, 0x80000000, v33
	v_and_b32_e32 v36, s30, v28
	v_ffbl_b32_e32 v33, v33
	v_add_u32_e32 v33, 32, v33
	v_ffbl_b32_e32 v36, v36
	v_min_u32_e32 v33, v36, v33
	ds_bpermute_b32 v36, v50, v30
	v_and_b32_e32 v65, 1, v31
	s_waitcnt lgkmcnt(1)
	v_and_b32_e32 v37, 1, v37
	v_cmp_eq_u32_e32 vcc, 1, v65
	v_cndmask_b32_e64 v37, v37, 1, vcc
	v_cmp_gt_u64_e32 vcc, s[38:39], v[30:31]
	v_and_b32_e32 v65, 0xffff, v37
	v_cmp_lt_u32_e64 s[30:31], v49, v33
	v_cndmask_b32_e64 v37, v31, v37, s[30:31]
	v_cndmask_b32_e64 v31, v31, v65, s[30:31]
	s_and_b64 vcc, s[30:31], vcc
	ds_bpermute_b32 v65, v51, v31
	s_waitcnt lgkmcnt(1)
	v_cndmask_b32_e32 v36, 0, v36, vcc
	v_add_u32_e32 v30, v36, v30
	ds_bpermute_b32 v36, v51, v30
	v_and_b32_e32 v66, 1, v37
	s_waitcnt lgkmcnt(1)
	v_and_b32_e32 v65, 1, v65
	v_cmp_eq_u32_e32 vcc, 1, v66
	v_cndmask_b32_e64 v65, v65, 1, vcc
	v_cmp_eq_u16_sdwa vcc, v37, v35 src0_sel:BYTE_0 src1_sel:DWORD
	v_and_b32_e32 v66, 0xffff, v65
	s_waitcnt lgkmcnt(0)
	v_cndmask_b32_e32 v36, 0, v36, vcc
	v_cmp_gt_u32_e32 vcc, v55, v33
	v_cndmask_b32_e32 v31, v66, v31, vcc
	v_cndmask_b32_e32 v37, v65, v37, vcc
	ds_bpermute_b32 v65, v56, v31
	v_cndmask_b32_e64 v36, v36, 0, vcc
	v_add_u32_e32 v30, v36, v30
	ds_bpermute_b32 v36, v56, v30
	v_and_b32_e32 v66, 1, v37
	s_waitcnt lgkmcnt(1)
	v_and_b32_e32 v65, 1, v65
	v_cmp_eq_u32_e32 vcc, 1, v66
	v_cndmask_b32_e64 v65, v65, 1, vcc
	v_cmp_eq_u16_sdwa vcc, v37, v35 src0_sel:BYTE_0 src1_sel:DWORD
	v_and_b32_e32 v66, 0xffff, v65
	s_waitcnt lgkmcnt(0)
	v_cndmask_b32_e32 v36, 0, v36, vcc
	v_cmp_gt_u32_e32 vcc, v57, v33
	v_cndmask_b32_e32 v31, v66, v31, vcc
	v_cndmask_b32_e32 v37, v65, v37, vcc
	ds_bpermute_b32 v65, v58, v31
	v_cndmask_b32_e64 v36, v36, 0, vcc
	;; [unrolled: 16-line block ×3, first 2 shown]
	v_add_u32_e32 v30, v36, v30
	ds_bpermute_b32 v36, v60, v30
	v_and_b32_e32 v66, 1, v37
	s_waitcnt lgkmcnt(1)
	v_and_b32_e32 v65, 1, v65
	v_cmp_eq_u32_e32 vcc, 1, v66
	v_cndmask_b32_e64 v65, v65, 1, vcc
	v_cmp_eq_u16_sdwa vcc, v37, v35 src0_sel:BYTE_0 src1_sel:DWORD
	v_and_b32_e32 v66, 0xffff, v65
	s_waitcnt lgkmcnt(0)
	v_cndmask_b32_e32 v36, 0, v36, vcc
	v_cmp_gt_u32_e32 vcc, v61, v33
	v_cndmask_b32_e64 v36, v36, 0, vcc
	v_cndmask_b32_e32 v31, v66, v31, vcc
	ds_bpermute_b32 v31, v63, v31
	v_add_u32_e32 v30, v36, v30
	ds_bpermute_b32 v36, v63, v30
	v_cndmask_b32_e32 v37, v65, v37, vcc
	v_and_b32_e32 v65, 1, v37
	v_cmp_eq_u32_e32 vcc, 1, v65
	s_waitcnt lgkmcnt(1)
	v_cndmask_b32_e64 v31, v31, 1, vcc
	v_cmp_eq_u16_sdwa vcc, v37, v35 src0_sel:BYTE_0 src1_sel:DWORD
	s_waitcnt lgkmcnt(0)
	v_cndmask_b32_e32 v36, 0, v36, vcc
	v_cmp_gt_u32_e32 vcc, v64, v33
	v_cndmask_b32_e64 v33, v36, 0, vcc
	v_cndmask_b32_e32 v31, v31, v37, vcc
	v_add_u32_e32 v30, v33, v30
	v_cmp_eq_u16_sdwa vcc, v48, v35 src0_sel:BYTE_0 src1_sel:DWORD
	v_and_b32_e32 v33, 1, v48
	v_cndmask_b32_e32 v30, 0, v30, vcc
	v_and_b32_e32 v31, 1, v31
	v_cmp_eq_u32_e32 vcc, 1, v33
	v_subrev_u32_e32 v34, 64, v34
	v_add_u32_e32 v30, v30, v62
	v_cndmask_b32_e64 v31, v31, 1, vcc
.LBB797_108:                            ; =>This Loop Header: Depth=1
                                        ;     Child Loop BB797_111 Depth 2
                                        ;       Child Loop BB797_112 Depth 3
	v_cmp_ne_u16_sdwa s[30:31], v32, v27 src0_sel:BYTE_0 src1_sel:DWORD
	v_mov_b32_e32 v48, v31
	v_cndmask_b32_e64 v31, 0, 1, s[30:31]
	;;#ASMSTART
	;;#ASMEND
	v_cmp_ne_u32_e32 vcc, 0, v31
	s_cmp_lg_u64 vcc, exec
	v_mov_b32_e32 v62, v30
	s_cbranch_scc1 .LBB797_115
; %bb.109:                              ;   in Loop: Header=BB797_108 Depth=1
	v_lshlrev_b64 v[30:31], 4, v[34:35]
	v_mov_b32_e32 v32, s45
	v_add_co_u32_e32 v36, vcc, s44, v30
	v_addc_co_u32_e32 v37, vcc, v32, v31, vcc
	;;#ASMSTART
	global_load_dwordx4 v[30:33], v[36:37] off glc	
s_waitcnt vmcnt(0)
	;;#ASMEND
	v_and_b32_e32 v33, 0xff0000, v30
	v_or_b32_sdwa v33, v30, v33 dst_sel:DWORD dst_unused:UNUSED_PAD src0_sel:WORD_0 src1_sel:DWORD
	v_and_b32_e32 v30, 0xff000000, v30
	v_and_b32_e32 v31, 0xff, v31
	v_or3_b32 v31, 0, 0, v31
	v_or3_b32 v30, v33, v30, 0
	v_cmp_eq_u16_sdwa s[40:41], v32, v35 src0_sel:BYTE_0 src1_sel:DWORD
	s_and_saveexec_b64 s[30:31], s[40:41]
	s_cbranch_execz .LBB797_107
; %bb.110:                              ;   in Loop: Header=BB797_108 Depth=1
	s_mov_b32 s49, 1
	s_mov_b64 s[40:41], 0
.LBB797_111:                            ;   Parent Loop BB797_108 Depth=1
                                        ; =>  This Loop Header: Depth=2
                                        ;       Child Loop BB797_112 Depth 3
	s_max_u32 s55, s49, 1
.LBB797_112:                            ;   Parent Loop BB797_108 Depth=1
                                        ;     Parent Loop BB797_111 Depth=2
                                        ; =>    This Inner Loop Header: Depth=3
	s_add_i32 s55, s55, -1
	s_cmp_eq_u32 s55, 0
	s_sleep 1
	s_cbranch_scc0 .LBB797_112
; %bb.113:                              ;   in Loop: Header=BB797_111 Depth=2
	s_cmp_lt_u32 s49, 32
	s_cselect_b64 s[56:57], -1, 0
	s_cmp_lg_u64 s[56:57], 0
	s_addc_u32 s49, s49, 0
	;;#ASMSTART
	global_load_dwordx4 v[30:33], v[36:37] off glc	
s_waitcnt vmcnt(0)
	;;#ASMEND
	v_cmp_ne_u16_sdwa s[56:57], v32, v35 src0_sel:BYTE_0 src1_sel:DWORD
	s_or_b64 s[40:41], s[56:57], s[40:41]
	s_andn2_b64 exec, exec, s[40:41]
	s_cbranch_execnz .LBB797_111
; %bb.114:                              ;   in Loop: Header=BB797_108 Depth=1
	s_or_b64 exec, exec, s[40:41]
	v_and_b32_e32 v31, 0xff, v31
	s_branch .LBB797_107
.LBB797_115:                            ;   in Loop: Header=BB797_108 Depth=1
                                        ; implicit-def: $vgpr31
                                        ; implicit-def: $vgpr30
                                        ; implicit-def: $vgpr32
	s_cbranch_execz .LBB797_108
; %bb.116:
	s_and_saveexec_b64 s[30:31], s[28:29]
	s_cbranch_execz .LBB797_118
; %bb.117:
	s_and_b32 s38, s48, 0xff
	s_cmp_eq_u32 s38, 0
	s_cselect_b64 vcc, -1, 0
	s_bitcmp1_b32 s48, 0
	s_mov_b32 s39, 0
	s_cselect_b64 s[40:41], -1, 0
	s_add_i32 s38, s47, 64
	s_lshl_b64 s[38:39], s[38:39], 4
	v_cndmask_b32_e32 v27, 0, v62, vcc
	s_add_u32 s38, s44, s38
	v_add_u32_e32 v26, v27, v26
	v_and_b32_e32 v27, 1, v48
	s_addc_u32 s39, s45, s39
	v_mov_b32_e32 v29, 0
	v_cndmask_b32_e64 v27, v27, 1, s[40:41]
	v_mov_b32_e32 v28, 2
	v_pk_mov_b32 v[30:31], s[38:39], s[38:39] op_sel:[0,1]
	;;#ASMSTART
	global_store_dwordx4 v[30:31], v[26:29] off	
s_waitcnt vmcnt(0)
	;;#ASMEND
.LBB797_118:
	s_or_b64 exec, exec, s[30:31]
	s_and_b64 exec, exec, s[0:1]
	s_cbranch_execz .LBB797_120
; %bb.119:
	v_mov_b32_e32 v26, 0
	ds_write_b32 v26, v62 offset:24
	ds_write_b8 v26, v48 offset:28
.LBB797_120:
	s_or_b64 exec, exec, s[36:37]
	v_mov_b32_e32 v28, 0
	s_waitcnt lgkmcnt(0)
	s_barrier
	ds_read_b32 v26, v28 offset:24
	v_cndmask_b32_e64 v27, v47, v45, s[28:29]
	v_cmp_eq_u16_sdwa vcc, v27, v28 src0_sel:BYTE_0 src1_sel:DWORD
	v_cndmask_b32_e64 v29, v46, v44, s[28:29]
	s_waitcnt lgkmcnt(0)
	v_cndmask_b32_e32 v27, 0, v26, vcc
	v_add_u32_e32 v27, v27, v29
	v_and_b32_e32 v29, 0xff, v41
	v_cndmask_b32_e64 v26, v27, v26, s[0:1]
	v_cmp_eq_u64_e32 vcc, 0, v[28:29]
	v_cndmask_b32_e32 v27, 0, v26, vcc
	v_add_u32_e32 v27, v27, v40
	v_cndmask_b32_e64 v28, 0, v27, s[4:5]
	v_add_u32_e32 v44, v28, v8
	v_cndmask_b32_e64 v28, 0, v44, s[6:7]
	;; [unrolled: 2-line block ×12, first 2 shown]
	v_add_u32_e32 v51, v28, v24
	s_branch .LBB797_147
.LBB797_121:
	s_or_b64 exec, exec, s[30:31]
                                        ; implicit-def: $vgpr14
	s_and_saveexec_b64 s[30:31], s[4:5]
	s_cbranch_execz .LBB797_37
.LBB797_122:
	v_add_co_u32_e32 v14, vcc, v1, v12
	v_addc_co_u32_e32 v15, vcc, 0, v46, vcc
	flat_load_dword v14, v[14:15] offset:1024
	s_or_b64 exec, exec, s[30:31]
                                        ; implicit-def: $vgpr15
	s_and_saveexec_b64 s[4:5], s[6:7]
	s_cbranch_execnz .LBB797_38
.LBB797_123:
	s_or_b64 exec, exec, s[4:5]
                                        ; implicit-def: $vgpr16
	s_and_saveexec_b64 s[4:5], s[8:9]
	s_cbranch_execz .LBB797_39
.LBB797_124:
	v_add_co_u32_e32 v16, vcc, v1, v12
	v_addc_co_u32_e32 v17, vcc, 0, v46, vcc
	flat_load_dword v16, v[16:17] offset:3072
	s_or_b64 exec, exec, s[4:5]
                                        ; implicit-def: $vgpr17
	s_and_saveexec_b64 s[4:5], s[10:11]
	s_cbranch_execnz .LBB797_40
.LBB797_125:
	s_or_b64 exec, exec, s[4:5]
                                        ; implicit-def: $vgpr2
	s_and_saveexec_b64 s[4:5], s[12:13]
	s_cbranch_execz .LBB797_41
.LBB797_126:
	v_lshlrev_b32_e32 v2, 2, v3
	v_add_co_u32_e32 v2, vcc, v1, v2
	v_addc_co_u32_e32 v3, vcc, 0, v46, vcc
	flat_load_dword v2, v[2:3]
	s_or_b64 exec, exec, s[4:5]
                                        ; implicit-def: $vgpr3
	s_and_saveexec_b64 s[4:5], s[14:15]
	s_cbranch_execnz .LBB797_42
.LBB797_127:
	s_or_b64 exec, exec, s[4:5]
                                        ; implicit-def: $vgpr4
	s_and_saveexec_b64 s[4:5], s[16:17]
	s_cbranch_execz .LBB797_43
.LBB797_128:
	v_lshlrev_b32_e32 v4, 2, v5
	v_add_co_u32_e32 v4, vcc, v1, v4
	v_addc_co_u32_e32 v5, vcc, 0, v46, vcc
	flat_load_dword v4, v[4:5]
	s_or_b64 exec, exec, s[4:5]
                                        ; implicit-def: $vgpr5
	s_and_saveexec_b64 s[4:5], s[18:19]
	s_cbranch_execnz .LBB797_44
.LBB797_129:
	s_or_b64 exec, exec, s[4:5]
                                        ; implicit-def: $vgpr6
	s_and_saveexec_b64 s[4:5], s[20:21]
	s_cbranch_execz .LBB797_45
.LBB797_130:
	v_lshlrev_b32_e32 v6, 2, v7
	v_add_co_u32_e32 v6, vcc, v1, v6
	v_addc_co_u32_e32 v7, vcc, 0, v46, vcc
	flat_load_dword v6, v[6:7]
	s_or_b64 exec, exec, s[4:5]
                                        ; implicit-def: $vgpr7
	s_and_saveexec_b64 s[4:5], s[22:23]
	s_cbranch_execnz .LBB797_46
.LBB797_131:
	s_or_b64 exec, exec, s[4:5]
                                        ; implicit-def: $vgpr8
	s_and_saveexec_b64 s[4:5], s[24:25]
	s_cbranch_execz .LBB797_47
.LBB797_132:
	v_lshlrev_b32_e32 v8, 2, v9
	v_add_co_u32_e32 v8, vcc, v1, v8
	v_addc_co_u32_e32 v9, vcc, 0, v46, vcc
	flat_load_dword v8, v[8:9]
	s_or_b64 exec, exec, s[4:5]
                                        ; implicit-def: $vgpr9
	s_and_saveexec_b64 s[4:5], s[26:27]
	s_cbranch_execz .LBB797_49
	s_branch .LBB797_48
.LBB797_133:
                                        ; implicit-def: $vgpr51
                                        ; implicit-def: $vgpr49
                                        ; implicit-def: $vgpr47
                                        ; implicit-def: $vgpr45
                                        ; implicit-def: $vgpr34_vgpr35_vgpr36_vgpr37
                                        ; implicit-def: $vgpr30_vgpr31_vgpr32_vgpr33
                                        ; implicit-def: $vgpr26_vgpr27_vgpr28_vgpr29
	s_cbranch_execz .LBB797_147
; %bb.134:
	s_cmp_lg_u64 s[52:53], 0
	s_cselect_b32 s5, s51, 0
	s_cselect_b32 s4, s50, 0
	s_mov_b32 s26, 0
	s_cmp_eq_u64 s[4:5], 0
	v_mov_b32_e32 v32, s54
	s_cbranch_scc1 .LBB797_136
; %bb.135:
	v_mov_b32_e32 v26, 0
	global_load_dword v32, v26, s[4:5]
.LBB797_136:
	s_mov_b32 s27, 1
	v_cmp_gt_u64_e32 vcc, s[26:27], v[8:9]
	v_cndmask_b32_e32 v27, 0, v40, vcc
	v_add_u32_e32 v27, v27, v8
	v_cmp_gt_u64_e64 s[4:5], s[26:27], v[6:7]
	v_cndmask_b32_e64 v27, 0, v27, s[4:5]
	v_add_u32_e32 v27, v27, v6
	v_cmp_gt_u64_e64 s[6:7], s[26:27], v[4:5]
	v_cndmask_b32_e64 v27, 0, v27, s[6:7]
	;; [unrolled: 3-line block ×11, first 2 shown]
	v_mov_b32_e32 v26, 0
	v_add_u32_e32 v27, v27, v24
	v_cmp_gt_u64_e64 s[26:27], s[26:27], v[42:43]
	v_or3_b32 v7, v23, v15, v7
	v_cndmask_b32_e64 v27, 0, v27, s[26:27]
	v_or3_b32 v9, v25, v17, v9
	v_and_b32_e32 v35, 1, v7
	v_mov_b32_e32 v34, v26
	v_add_u32_e32 v33, v27, v42
	v_and_b32_e32 v27, 1, v43
	v_or3_b32 v3, v19, v11, v3
	v_and_b32_e32 v31, 1, v9
	v_mov_b32_e32 v30, v26
	v_cmp_ne_u64_e64 s[28:29], 0, v[34:35]
	v_cmp_eq_u32_e64 s[26:27], 1, v27
	v_or3_b32 v5, v21, v13, v5
	v_and_b32_e32 v27, 1, v3
	v_cndmask_b32_e64 v3, 0, 1, s[28:29]
	v_cmp_ne_u64_e64 s[28:29], 0, v[30:31]
	v_and_b32_e32 v29, 1, v5
	v_mov_b32_e32 v28, v26
	v_cndmask_b32_e64 v5, 0, 1, s[28:29]
	v_lshlrev_b16_e32 v3, 2, v3
	v_lshlrev_b16_e32 v5, 3, v5
	v_cmp_ne_u64_e64 s[28:29], 0, v[28:29]
	v_or_b32_e32 v3, v5, v3
	v_cndmask_b32_e64 v5, 0, 1, s[28:29]
	v_cmp_ne_u64_e64 s[28:29], 0, v[26:27]
	v_lshlrev_b16_e32 v5, 1, v5
	v_cndmask_b32_e64 v7, 0, 1, s[28:29]
	v_or_b32_e32 v5, v7, v5
	v_and_b32_e32 v5, 3, v5
	v_or_b32_e32 v3, v5, v3
	v_and_b32_e32 v3, 15, v3
	v_cmp_ne_u16_e64 s[28:29], 0, v3
	s_or_b64 s[26:27], s[26:27], s[28:29]
	v_cndmask_b32_e64 v5, v41, 1, s[26:27]
	v_and_b32_e32 v7, 0xff, v5
	v_mov_b32_dpp v11, v33 row_shr:1 row_mask:0xf bank_mask:0xf
	v_cmp_eq_u16_e64 s[26:27], 0, v7
	v_mov_b32_dpp v13, v7 row_shr:1 row_mask:0xf bank_mask:0xf
	v_and_b32_e32 v15, 1, v5
	v_mbcnt_hi_u32_b32 v3, -1, v54
	v_cndmask_b32_e64 v11, 0, v11, s[26:27]
	v_and_b32_e32 v13, 1, v13
	v_cmp_eq_u32_e64 s[26:27], 1, v15
	v_and_b32_e32 v9, 15, v3
	v_cndmask_b32_e64 v13, v13, 1, s[26:27]
	v_and_b32_e32 v15, 0xffff, v13
	v_cmp_eq_u32_e64 s[26:27], 0, v9
	v_cndmask_b32_e64 v5, v13, v5, s[26:27]
	v_cndmask_b32_e64 v7, v15, v7, s[26:27]
	v_and_b32_e32 v17, 1, v5
	v_cndmask_b32_e64 v11, v11, 0, s[26:27]
	v_mov_b32_dpp v15, v7 row_shr:2 row_mask:0xf bank_mask:0xf
	v_and_b32_e32 v15, 1, v15
	v_cmp_eq_u32_e64 s[26:27], 1, v17
	v_cndmask_b32_e64 v15, v15, 1, s[26:27]
	v_and_b32_e32 v17, 0xffff, v15
	v_cmp_lt_u32_e64 s[26:27], 1, v9
	v_add_u32_e32 v11, v11, v33
	v_cmp_eq_u16_sdwa s[28:29], v5, v26 src0_sel:BYTE_0 src1_sel:DWORD
	v_cndmask_b32_e64 v5, v5, v15, s[26:27]
	v_cndmask_b32_e64 v7, v7, v17, s[26:27]
	v_mov_b32_dpp v13, v11 row_shr:2 row_mask:0xf bank_mask:0xf
	s_and_b64 s[26:27], s[26:27], s[28:29]
	v_mov_b32_dpp v15, v7 row_shr:4 row_mask:0xf bank_mask:0xf
	v_and_b32_e32 v17, 1, v5
	v_cndmask_b32_e64 v13, 0, v13, s[26:27]
	v_and_b32_e32 v15, 1, v15
	v_cmp_eq_u32_e64 s[26:27], 1, v17
	v_cndmask_b32_e64 v15, v15, 1, s[26:27]
	v_and_b32_e32 v17, 0xffff, v15
	v_cmp_lt_u32_e64 s[26:27], 3, v9
	v_add_u32_e32 v11, v13, v11
	v_cmp_eq_u16_sdwa s[28:29], v5, v26 src0_sel:BYTE_0 src1_sel:DWORD
	v_cndmask_b32_e64 v5, v5, v15, s[26:27]
	v_cndmask_b32_e64 v7, v7, v17, s[26:27]
	v_mov_b32_dpp v13, v11 row_shr:4 row_mask:0xf bank_mask:0xf
	s_and_b64 s[26:27], s[26:27], s[28:29]
	v_mov_b32_dpp v15, v7 row_shr:8 row_mask:0xf bank_mask:0xf
	v_and_b32_e32 v17, 1, v5
	v_cndmask_b32_e64 v13, 0, v13, s[26:27]
	v_and_b32_e32 v15, 1, v15
	v_cmp_eq_u32_e64 s[26:27], 1, v17
	v_cndmask_b32_e64 v15, v15, 1, s[26:27]
	v_add_u32_e32 v11, v13, v11
	v_cmp_eq_u16_sdwa s[28:29], v5, v26 src0_sel:BYTE_0 src1_sel:DWORD
	v_and_b32_e32 v17, 0xffff, v15
	v_cmp_lt_u32_e64 s[26:27], 7, v9
	v_mov_b32_dpp v13, v11 row_shr:8 row_mask:0xf bank_mask:0xf
	v_cndmask_b32_e64 v5, v5, v15, s[26:27]
	v_cndmask_b32_e64 v7, v7, v17, s[26:27]
	s_and_b64 s[26:27], s[26:27], s[28:29]
	v_cndmask_b32_e64 v9, 0, v13, s[26:27]
	v_add_u32_e32 v9, v9, v11
	v_mov_b32_dpp v13, v7 row_bcast:15 row_mask:0xf bank_mask:0xf
	v_cmp_eq_u16_sdwa s[26:27], v5, v26 src0_sel:BYTE_0 src1_sel:DWORD
	v_mov_b32_dpp v11, v9 row_bcast:15 row_mask:0xf bank_mask:0xf
	v_and_b32_e32 v19, 1, v5
	v_cndmask_b32_e64 v11, 0, v11, s[26:27]
	v_and_b32_e32 v13, 1, v13
	v_cmp_eq_u32_e64 s[26:27], 1, v19
	v_and_b32_e32 v17, 16, v3
	v_cndmask_b32_e64 v13, v13, 1, s[26:27]
	v_and_b32_e32 v19, 0xffff, v13
	v_cmp_eq_u32_e64 s[26:27], 0, v17
	v_cndmask_b32_e64 v5, v13, v5, s[26:27]
	v_cndmask_b32_e64 v7, v19, v7, s[26:27]
	v_bfe_i32 v15, v3, 4, 1
	v_and_b32_e32 v13, 1, v5
	v_mov_b32_dpp v7, v7 row_bcast:31 row_mask:0xf bank_mask:0xf
	v_and_b32_e32 v11, v15, v11
	v_and_b32_e32 v7, 1, v7
	v_cmp_eq_u32_e64 s[26:27], 1, v13
	v_add_u32_e32 v9, v11, v9
	v_cmp_eq_u16_sdwa s[28:29], v5, v26 src0_sel:BYTE_0 src1_sel:DWORD
	v_cndmask_b32_e64 v7, v7, 1, s[26:27]
	v_cmp_lt_u32_e64 s[26:27], 31, v3
	v_mov_b32_dpp v11, v9 row_bcast:31 row_mask:0xf bank_mask:0xf
	v_cndmask_b32_e64 v5, v5, v7, s[26:27]
	s_and_b64 s[26:27], s[26:27], s[28:29]
	v_cndmask_b32_e64 v7, 0, v11, s[26:27]
	v_add_u32_e32 v7, v7, v9
	v_cmp_eq_u32_e64 s[26:27], v53, v0
	s_and_saveexec_b64 s[28:29], s[26:27]
	s_cbranch_execz .LBB797_138
; %bb.137:
	v_lshlrev_b32_e32 v9, 3, v1
	ds_write_b32 v9, v7
	ds_write_b8 v9, v5 offset:4
.LBB797_138:
	s_or_b64 exec, exec, s[28:29]
	v_cmp_gt_u32_e64 s[26:27], 4, v0
	s_waitcnt lgkmcnt(0)
	s_barrier
	s_and_saveexec_b64 s[28:29], s[26:27]
	s_cbranch_execz .LBB797_142
; %bb.139:
	v_lshlrev_b32_e32 v9, 3, v0
	ds_read_b64 v[26:27], v9
	v_and_b32_e32 v11, 3, v3
	v_cmp_ne_u32_e64 s[26:27], 0, v11
	s_waitcnt lgkmcnt(0)
	v_mov_b32_dpp v13, v26 row_shr:1 row_mask:0xf bank_mask:0xf
	v_mov_b32_dpp v17, v27 row_shr:1 row_mask:0xf bank_mask:0xf
	v_mov_b32_e32 v15, v27
	s_and_saveexec_b64 s[30:31], s[26:27]
	s_cbranch_execz .LBB797_141
; %bb.140:
	v_and_b32_e32 v15, 1, v27
	v_and_b32_e32 v17, 1, v17
	v_cmp_eq_u32_e64 s[26:27], 1, v15
	v_mov_b32_e32 v15, 0
	v_cndmask_b32_e64 v17, v17, 1, s[26:27]
	v_cmp_eq_u16_sdwa s[26:27], v27, v15 src0_sel:BYTE_0 src1_sel:DWORD
	v_cndmask_b32_e64 v13, 0, v13, s[26:27]
	v_add_u32_e32 v26, v13, v26
	v_and_b32_e32 v13, 0xffff, v17
	s_movk_i32 s26, 0xff00
	v_and_or_b32 v15, v27, s26, v13
	v_mov_b32_e32 v27, v17
.LBB797_141:
	s_or_b64 exec, exec, s[30:31]
	v_mov_b32_dpp v15, v15 row_shr:2 row_mask:0xf bank_mask:0xf
	v_and_b32_e32 v17, 1, v27
	v_and_b32_e32 v15, 1, v15
	v_cmp_eq_u32_e64 s[26:27], 1, v17
	v_mov_b32_e32 v17, 0
	v_cndmask_b32_e64 v15, v15, 1, s[26:27]
	v_cmp_eq_u16_sdwa s[30:31], v27, v17 src0_sel:BYTE_0 src1_sel:DWORD
	v_cmp_lt_u32_e64 s[26:27], 1, v11
	v_mov_b32_dpp v13, v26 row_shr:2 row_mask:0xf bank_mask:0xf
	v_cndmask_b32_e64 v11, v27, v15, s[26:27]
	s_and_b64 s[26:27], s[26:27], s[30:31]
	v_cndmask_b32_e64 v13, 0, v13, s[26:27]
	v_add_u32_e32 v13, v13, v26
	ds_write_b32 v9, v13
	ds_write_b8 v9, v11 offset:4
.LBB797_142:
	s_or_b64 exec, exec, s[28:29]
	v_cmp_lt_u32_e64 s[26:27], 63, v0
	s_waitcnt vmcnt(0)
	v_mov_b32_e32 v9, v32
	s_waitcnt lgkmcnt(0)
	s_barrier
	s_and_saveexec_b64 s[28:29], s[26:27]
	s_cbranch_execz .LBB797_144
; %bb.143:
	v_lshl_add_u32 v1, v1, 3, -8
	ds_read_u8 v9, v1 offset:4
	ds_read_b32 v1, v1
	s_waitcnt lgkmcnt(1)
	v_cmp_eq_u16_e64 s[26:27], 0, v9
	v_cndmask_b32_e64 v9, 0, v32, s[26:27]
	s_waitcnt lgkmcnt(0)
	v_add_u32_e32 v9, v9, v1
.LBB797_144:
	s_or_b64 exec, exec, s[28:29]
	v_mov_b32_e32 v28, 0
	v_cmp_eq_u16_sdwa s[26:27], v5, v28 src0_sel:BYTE_0 src1_sel:DWORD
	v_cndmask_b32_e64 v1, 0, v9, s[26:27]
	v_add_u32_e32 v1, v1, v7
	v_add_u32_e32 v5, -1, v3
	v_and_b32_e32 v7, 64, v3
	v_cmp_lt_i32_e64 s[26:27], v5, v7
	v_cndmask_b32_e64 v5, v5, v3, s[26:27]
	v_lshlrev_b32_e32 v5, 2, v5
	ds_bpermute_b32 v1, v5, v1
	v_cmp_eq_u32_e64 s[26:27], 0, v3
	v_and_b32_e32 v29, 0xff, v41
	s_waitcnt lgkmcnt(0)
	v_cndmask_b32_e64 v26, v1, v9, s[26:27]
	v_cndmask_b32_e64 v1, v26, v32, s[0:1]
	v_cmp_eq_u64_e64 s[26:27], 0, v[28:29]
	v_cndmask_b32_e64 v1, 0, v1, s[26:27]
	v_add_u32_e32 v27, v1, v40
	v_cndmask_b32_e32 v1, 0, v27, vcc
	v_add_u32_e32 v44, v1, v8
	v_cndmask_b32_e64 v1, 0, v44, s[4:5]
	v_add_u32_e32 v45, v1, v6
	v_cndmask_b32_e64 v1, 0, v45, s[6:7]
	;; [unrolled: 2-line block ×11, first 2 shown]
	s_and_saveexec_b64 s[4:5], s[0:1]
	s_cbranch_execz .LBB797_146
; %bb.145:
	ds_read_u8 v3, v28 offset:28
	ds_read_b32 v2, v28 offset:24
	s_add_u32 s0, s44, 0x400
	s_addc_u32 s1, s45, 0
	v_mov_b32_e32 v5, v28
	s_waitcnt lgkmcnt(1)
	v_cmp_eq_u16_e32 vcc, 0, v3
	v_cndmask_b32_e32 v4, 0, v32, vcc
	s_waitcnt lgkmcnt(0)
	v_add_u32_e32 v2, v4, v2
	v_and_b32_e32 v3, 0xffff, v3
	v_mov_b32_e32 v4, 2
	v_pk_mov_b32 v[6:7], s[0:1], s[0:1] op_sel:[0,1]
	;;#ASMSTART
	global_store_dwordx4 v[6:7], v[2:5] off	
s_waitcnt vmcnt(0)
	;;#ASMEND
	v_mov_b32_e32 v26, v32
.LBB797_146:
	s_or_b64 exec, exec, s[4:5]
	v_add_u32_e32 v51, v1, v24
.LBB797_147:
	s_add_u32 s0, s42, s34
	s_addc_u32 s1, s43, s35
	v_mov_b32_e32 v1, s1
	v_add_co_u32_e32 v18, vcc, s0, v38
	v_addc_co_u32_e32 v19, vcc, v1, v39, vcc
	v_mul_u32_u24_e32 v1, 14, v0
	s_and_b64 vcc, exec, s[2:3]
	v_lshlrev_b32_e32 v2, 2, v1
	s_cbranch_vccz .LBB797_175
; %bb.148:
	s_movk_i32 s0, 0xffcc
	v_mad_i32_i24 v3, v0, s0, v2
	s_barrier
	ds_write2_b64 v2, v[26:27], v[44:45] offset1:1
	ds_write2_b64 v2, v[30:31], v[46:47] offset0:2 offset1:3
	ds_write2_b64 v2, v[34:35], v[48:49] offset0:4 offset1:5
	ds_write_b64 v2, v[50:51] offset:48
	s_waitcnt lgkmcnt(0)
	s_barrier
	ds_read2st64_b32 v[16:17], v3 offset0:4 offset1:8
	ds_read2st64_b32 v[14:15], v3 offset0:12 offset1:16
	;; [unrolled: 1-line block ×6, first 2 shown]
	ds_read_b32 v3, v3 offset:13312
	v_add_co_u32_e32 v6, vcc, v18, v52
	s_add_i32 s33, s33, s46
	v_addc_co_u32_e32 v7, vcc, 0, v19, vcc
	v_mov_b32_e32 v1, 0
	v_cmp_gt_u32_e32 vcc, s33, v0
	s_and_saveexec_b64 s[0:1], vcc
	s_cbranch_execz .LBB797_150
; %bb.149:
	v_mul_i32_i24_e32 v20, 0xffffffcc, v0
	v_add_u32_e32 v20, v2, v20
	ds_read_b32 v20, v20
	s_waitcnt lgkmcnt(0)
	flat_store_dword v[6:7], v20
.LBB797_150:
	s_or_b64 exec, exec, s[0:1]
	v_or_b32_e32 v20, 0x100, v0
	v_cmp_gt_u32_e32 vcc, s33, v20
	s_and_saveexec_b64 s[0:1], vcc
	s_cbranch_execz .LBB797_152
; %bb.151:
	s_waitcnt lgkmcnt(0)
	flat_store_dword v[6:7], v16 offset:1024
.LBB797_152:
	s_or_b64 exec, exec, s[0:1]
	s_waitcnt lgkmcnt(0)
	v_or_b32_e32 v16, 0x200, v0
	v_cmp_gt_u32_e32 vcc, s33, v16
	s_and_saveexec_b64 s[0:1], vcc
	s_cbranch_execz .LBB797_154
; %bb.153:
	flat_store_dword v[6:7], v17 offset:2048
.LBB797_154:
	s_or_b64 exec, exec, s[0:1]
	v_or_b32_e32 v16, 0x300, v0
	v_cmp_gt_u32_e32 vcc, s33, v16
	s_and_saveexec_b64 s[0:1], vcc
	s_cbranch_execz .LBB797_156
; %bb.155:
	flat_store_dword v[6:7], v14 offset:3072
.LBB797_156:
	s_or_b64 exec, exec, s[0:1]
	v_or_b32_e32 v14, 0x400, v0
	v_cmp_gt_u32_e32 vcc, s33, v14
	s_and_saveexec_b64 s[0:1], vcc
	s_cbranch_execz .LBB797_158
; %bb.157:
	v_add_co_u32_e32 v16, vcc, 0x1000, v6
	v_addc_co_u32_e32 v17, vcc, 0, v7, vcc
	flat_store_dword v[16:17], v15
.LBB797_158:
	s_or_b64 exec, exec, s[0:1]
	v_or_b32_e32 v14, 0x500, v0
	v_cmp_gt_u32_e32 vcc, s33, v14
	s_and_saveexec_b64 s[0:1], vcc
	s_cbranch_execz .LBB797_160
; %bb.159:
	v_add_co_u32_e32 v14, vcc, 0x1000, v6
	v_addc_co_u32_e32 v15, vcc, 0, v7, vcc
	flat_store_dword v[14:15], v12 offset:1024
.LBB797_160:
	s_or_b64 exec, exec, s[0:1]
	v_or_b32_e32 v12, 0x600, v0
	v_cmp_gt_u32_e32 vcc, s33, v12
	s_and_saveexec_b64 s[0:1], vcc
	s_cbranch_execz .LBB797_162
; %bb.161:
	v_add_co_u32_e32 v14, vcc, 0x1000, v6
	v_addc_co_u32_e32 v15, vcc, 0, v7, vcc
	flat_store_dword v[14:15], v13 offset:2048
.LBB797_162:
	;; [unrolled: 10-line block ×3, first 2 shown]
	s_or_b64 exec, exec, s[0:1]
	v_or_b32_e32 v10, 0x800, v0
	v_cmp_gt_u32_e32 vcc, s33, v10
	s_and_saveexec_b64 s[0:1], vcc
	s_cbranch_execz .LBB797_166
; %bb.165:
	v_add_co_u32_e32 v12, vcc, 0x2000, v6
	v_addc_co_u32_e32 v13, vcc, 0, v7, vcc
	flat_store_dword v[12:13], v11
.LBB797_166:
	s_or_b64 exec, exec, s[0:1]
	v_or_b32_e32 v10, 0x900, v0
	v_cmp_gt_u32_e32 vcc, s33, v10
	s_and_saveexec_b64 s[0:1], vcc
	s_cbranch_execz .LBB797_168
; %bb.167:
	v_add_co_u32_e32 v10, vcc, 0x2000, v6
	v_addc_co_u32_e32 v11, vcc, 0, v7, vcc
	flat_store_dword v[10:11], v8 offset:1024
.LBB797_168:
	s_or_b64 exec, exec, s[0:1]
	v_or_b32_e32 v8, 0xa00, v0
	v_cmp_gt_u32_e32 vcc, s33, v8
	s_and_saveexec_b64 s[0:1], vcc
	s_cbranch_execz .LBB797_170
; %bb.169:
	v_add_co_u32_e32 v10, vcc, 0x2000, v6
	v_addc_co_u32_e32 v11, vcc, 0, v7, vcc
	flat_store_dword v[10:11], v9 offset:2048
.LBB797_170:
	;; [unrolled: 10-line block ×3, first 2 shown]
	s_or_b64 exec, exec, s[0:1]
	v_or_b32_e32 v4, 0xc00, v0
	v_cmp_gt_u32_e32 vcc, s33, v4
	s_and_saveexec_b64 s[0:1], vcc
	s_cbranch_execz .LBB797_174
; %bb.173:
	v_add_co_u32_e32 v6, vcc, 0x3000, v6
	v_addc_co_u32_e32 v7, vcc, 0, v7, vcc
	flat_store_dword v[6:7], v5
.LBB797_174:
	s_or_b64 exec, exec, s[0:1]
	v_or_b32_e32 v4, 0xd00, v0
	v_cmp_gt_u32_e64 s[0:1], s33, v4
	s_branch .LBB797_177
.LBB797_175:
	s_mov_b64 s[0:1], 0
                                        ; implicit-def: $vgpr3
	s_cbranch_execz .LBB797_177
; %bb.176:
	s_movk_i32 s2, 0xffcc
	s_waitcnt lgkmcnt(0)
	s_barrier
	ds_write2_b64 v2, v[26:27], v[44:45] offset1:1
	ds_write2_b64 v2, v[30:31], v[46:47] offset0:2 offset1:3
	ds_write2_b64 v2, v[34:35], v[48:49] offset0:4 offset1:5
	ds_write_b64 v2, v[50:51] offset:48
	v_mad_i32_i24 v2, v0, s2, v2
	v_add_co_u32_e32 v16, vcc, v18, v52
	s_waitcnt lgkmcnt(0)
	s_barrier
	ds_read2st64_b32 v[4:5], v2 offset1:4
	ds_read2st64_b32 v[6:7], v2 offset0:8 offset1:12
	ds_read2st64_b32 v[8:9], v2 offset0:16 offset1:20
	;; [unrolled: 1-line block ×6, first 2 shown]
	v_addc_co_u32_e32 v17, vcc, 0, v19, vcc
	s_movk_i32 s2, 0x1000
	s_waitcnt lgkmcnt(0)
	flat_store_dword v[16:17], v4
	flat_store_dword v[16:17], v5 offset:1024
	flat_store_dword v[16:17], v6 offset:2048
	;; [unrolled: 1-line block ×3, first 2 shown]
	v_add_co_u32_e32 v4, vcc, s2, v16
	v_addc_co_u32_e32 v5, vcc, 0, v17, vcc
	flat_store_dword v[4:5], v8
	flat_store_dword v[4:5], v9 offset:1024
	flat_store_dword v[4:5], v10 offset:2048
	;; [unrolled: 1-line block ×3, first 2 shown]
	v_add_co_u32_e32 v4, vcc, 0x2000, v16
	v_addc_co_u32_e32 v5, vcc, 0, v17, vcc
	flat_store_dword v[4:5], v12
	flat_store_dword v[4:5], v13 offset:1024
	flat_store_dword v[4:5], v14 offset:2048
	;; [unrolled: 1-line block ×3, first 2 shown]
	v_add_co_u32_e32 v4, vcc, 0x3000, v16
	v_mov_b32_e32 v1, 0
	v_addc_co_u32_e32 v5, vcc, 0, v17, vcc
	s_or_b64 s[0:1], s[0:1], exec
	flat_store_dword v[4:5], v2
.LBB797_177:
	s_and_saveexec_b64 s[2:3], s[0:1]
	s_cbranch_execz .LBB797_179
; %bb.178:
	v_lshlrev_b64 v[0:1], 2, v[0:1]
	v_add_co_u32_e32 v0, vcc, v18, v0
	v_addc_co_u32_e32 v1, vcc, v19, v1, vcc
	v_add_co_u32_e32 v0, vcc, 0x3000, v0
	v_addc_co_u32_e32 v1, vcc, 0, v1, vcc
	flat_store_dword v[0:1], v3 offset:1024
	s_endpgm
.LBB797_179:
	s_endpgm
	.section	.rodata,"a",@progbits
	.p2align	6, 0x0
	.amdhsa_kernel _ZN7rocprim17ROCPRIM_400000_NS6detail17trampoline_kernelINS0_14default_configENS1_27scan_by_key_config_selectorIiiEEZZNS1_16scan_by_key_implILNS1_25lookback_scan_determinismE0ELb1ES3_N6thrust23THRUST_200600_302600_NS6detail15normal_iteratorINS9_10device_ptrIiEEEESE_SE_iNS9_4plusIiEE19head_flag_predicateiEE10hipError_tPvRmT2_T3_T4_T5_mT6_T7_P12ihipStream_tbENKUlT_T0_E_clISt17integral_constantIbLb1EESY_EEDaST_SU_EUlST_E_NS1_11comp_targetILNS1_3genE4ELNS1_11target_archE910ELNS1_3gpuE8ELNS1_3repE0EEENS1_30default_config_static_selectorELNS0_4arch9wavefront6targetE1EEEvT1_
		.amdhsa_group_segment_fixed_size 16384
		.amdhsa_private_segment_fixed_size 0
		.amdhsa_kernarg_size 112
		.amdhsa_user_sgpr_count 6
		.amdhsa_user_sgpr_private_segment_buffer 1
		.amdhsa_user_sgpr_dispatch_ptr 0
		.amdhsa_user_sgpr_queue_ptr 0
		.amdhsa_user_sgpr_kernarg_segment_ptr 1
		.amdhsa_user_sgpr_dispatch_id 0
		.amdhsa_user_sgpr_flat_scratch_init 0
		.amdhsa_user_sgpr_kernarg_preload_length 0
		.amdhsa_user_sgpr_kernarg_preload_offset 0
		.amdhsa_user_sgpr_private_segment_size 0
		.amdhsa_uses_dynamic_stack 0
		.amdhsa_system_sgpr_private_segment_wavefront_offset 0
		.amdhsa_system_sgpr_workgroup_id_x 1
		.amdhsa_system_sgpr_workgroup_id_y 0
		.amdhsa_system_sgpr_workgroup_id_z 0
		.amdhsa_system_sgpr_workgroup_info 0
		.amdhsa_system_vgpr_workitem_id 0
		.amdhsa_next_free_vgpr 67
		.amdhsa_next_free_sgpr 60
		.amdhsa_accum_offset 68
		.amdhsa_reserve_vcc 1
		.amdhsa_reserve_flat_scratch 0
		.amdhsa_float_round_mode_32 0
		.amdhsa_float_round_mode_16_64 0
		.amdhsa_float_denorm_mode_32 3
		.amdhsa_float_denorm_mode_16_64 3
		.amdhsa_dx10_clamp 1
		.amdhsa_ieee_mode 1
		.amdhsa_fp16_overflow 0
		.amdhsa_tg_split 0
		.amdhsa_exception_fp_ieee_invalid_op 0
		.amdhsa_exception_fp_denorm_src 0
		.amdhsa_exception_fp_ieee_div_zero 0
		.amdhsa_exception_fp_ieee_overflow 0
		.amdhsa_exception_fp_ieee_underflow 0
		.amdhsa_exception_fp_ieee_inexact 0
		.amdhsa_exception_int_div_zero 0
	.end_amdhsa_kernel
	.section	.text._ZN7rocprim17ROCPRIM_400000_NS6detail17trampoline_kernelINS0_14default_configENS1_27scan_by_key_config_selectorIiiEEZZNS1_16scan_by_key_implILNS1_25lookback_scan_determinismE0ELb1ES3_N6thrust23THRUST_200600_302600_NS6detail15normal_iteratorINS9_10device_ptrIiEEEESE_SE_iNS9_4plusIiEE19head_flag_predicateiEE10hipError_tPvRmT2_T3_T4_T5_mT6_T7_P12ihipStream_tbENKUlT_T0_E_clISt17integral_constantIbLb1EESY_EEDaST_SU_EUlST_E_NS1_11comp_targetILNS1_3genE4ELNS1_11target_archE910ELNS1_3gpuE8ELNS1_3repE0EEENS1_30default_config_static_selectorELNS0_4arch9wavefront6targetE1EEEvT1_,"axG",@progbits,_ZN7rocprim17ROCPRIM_400000_NS6detail17trampoline_kernelINS0_14default_configENS1_27scan_by_key_config_selectorIiiEEZZNS1_16scan_by_key_implILNS1_25lookback_scan_determinismE0ELb1ES3_N6thrust23THRUST_200600_302600_NS6detail15normal_iteratorINS9_10device_ptrIiEEEESE_SE_iNS9_4plusIiEE19head_flag_predicateiEE10hipError_tPvRmT2_T3_T4_T5_mT6_T7_P12ihipStream_tbENKUlT_T0_E_clISt17integral_constantIbLb1EESY_EEDaST_SU_EUlST_E_NS1_11comp_targetILNS1_3genE4ELNS1_11target_archE910ELNS1_3gpuE8ELNS1_3repE0EEENS1_30default_config_static_selectorELNS0_4arch9wavefront6targetE1EEEvT1_,comdat
.Lfunc_end797:
	.size	_ZN7rocprim17ROCPRIM_400000_NS6detail17trampoline_kernelINS0_14default_configENS1_27scan_by_key_config_selectorIiiEEZZNS1_16scan_by_key_implILNS1_25lookback_scan_determinismE0ELb1ES3_N6thrust23THRUST_200600_302600_NS6detail15normal_iteratorINS9_10device_ptrIiEEEESE_SE_iNS9_4plusIiEE19head_flag_predicateiEE10hipError_tPvRmT2_T3_T4_T5_mT6_T7_P12ihipStream_tbENKUlT_T0_E_clISt17integral_constantIbLb1EESY_EEDaST_SU_EUlST_E_NS1_11comp_targetILNS1_3genE4ELNS1_11target_archE910ELNS1_3gpuE8ELNS1_3repE0EEENS1_30default_config_static_selectorELNS0_4arch9wavefront6targetE1EEEvT1_, .Lfunc_end797-_ZN7rocprim17ROCPRIM_400000_NS6detail17trampoline_kernelINS0_14default_configENS1_27scan_by_key_config_selectorIiiEEZZNS1_16scan_by_key_implILNS1_25lookback_scan_determinismE0ELb1ES3_N6thrust23THRUST_200600_302600_NS6detail15normal_iteratorINS9_10device_ptrIiEEEESE_SE_iNS9_4plusIiEE19head_flag_predicateiEE10hipError_tPvRmT2_T3_T4_T5_mT6_T7_P12ihipStream_tbENKUlT_T0_E_clISt17integral_constantIbLb1EESY_EEDaST_SU_EUlST_E_NS1_11comp_targetILNS1_3genE4ELNS1_11target_archE910ELNS1_3gpuE8ELNS1_3repE0EEENS1_30default_config_static_selectorELNS0_4arch9wavefront6targetE1EEEvT1_
                                        ; -- End function
	.section	.AMDGPU.csdata,"",@progbits
; Kernel info:
; codeLenInByte = 11264
; NumSgprs: 64
; NumVgprs: 67
; NumAgprs: 0
; TotalNumVgprs: 67
; ScratchSize: 0
; MemoryBound: 0
; FloatMode: 240
; IeeeMode: 1
; LDSByteSize: 16384 bytes/workgroup (compile time only)
; SGPRBlocks: 7
; VGPRBlocks: 8
; NumSGPRsForWavesPerEU: 64
; NumVGPRsForWavesPerEU: 67
; AccumOffset: 68
; Occupancy: 4
; WaveLimiterHint : 1
; COMPUTE_PGM_RSRC2:SCRATCH_EN: 0
; COMPUTE_PGM_RSRC2:USER_SGPR: 6
; COMPUTE_PGM_RSRC2:TRAP_HANDLER: 0
; COMPUTE_PGM_RSRC2:TGID_X_EN: 1
; COMPUTE_PGM_RSRC2:TGID_Y_EN: 0
; COMPUTE_PGM_RSRC2:TGID_Z_EN: 0
; COMPUTE_PGM_RSRC2:TIDIG_COMP_CNT: 0
; COMPUTE_PGM_RSRC3_GFX90A:ACCUM_OFFSET: 16
; COMPUTE_PGM_RSRC3_GFX90A:TG_SPLIT: 0
	.section	.text._ZN7rocprim17ROCPRIM_400000_NS6detail17trampoline_kernelINS0_14default_configENS1_27scan_by_key_config_selectorIiiEEZZNS1_16scan_by_key_implILNS1_25lookback_scan_determinismE0ELb1ES3_N6thrust23THRUST_200600_302600_NS6detail15normal_iteratorINS9_10device_ptrIiEEEESE_SE_iNS9_4plusIiEE19head_flag_predicateiEE10hipError_tPvRmT2_T3_T4_T5_mT6_T7_P12ihipStream_tbENKUlT_T0_E_clISt17integral_constantIbLb1EESY_EEDaST_SU_EUlST_E_NS1_11comp_targetILNS1_3genE3ELNS1_11target_archE908ELNS1_3gpuE7ELNS1_3repE0EEENS1_30default_config_static_selectorELNS0_4arch9wavefront6targetE1EEEvT1_,"axG",@progbits,_ZN7rocprim17ROCPRIM_400000_NS6detail17trampoline_kernelINS0_14default_configENS1_27scan_by_key_config_selectorIiiEEZZNS1_16scan_by_key_implILNS1_25lookback_scan_determinismE0ELb1ES3_N6thrust23THRUST_200600_302600_NS6detail15normal_iteratorINS9_10device_ptrIiEEEESE_SE_iNS9_4plusIiEE19head_flag_predicateiEE10hipError_tPvRmT2_T3_T4_T5_mT6_T7_P12ihipStream_tbENKUlT_T0_E_clISt17integral_constantIbLb1EESY_EEDaST_SU_EUlST_E_NS1_11comp_targetILNS1_3genE3ELNS1_11target_archE908ELNS1_3gpuE7ELNS1_3repE0EEENS1_30default_config_static_selectorELNS0_4arch9wavefront6targetE1EEEvT1_,comdat
	.protected	_ZN7rocprim17ROCPRIM_400000_NS6detail17trampoline_kernelINS0_14default_configENS1_27scan_by_key_config_selectorIiiEEZZNS1_16scan_by_key_implILNS1_25lookback_scan_determinismE0ELb1ES3_N6thrust23THRUST_200600_302600_NS6detail15normal_iteratorINS9_10device_ptrIiEEEESE_SE_iNS9_4plusIiEE19head_flag_predicateiEE10hipError_tPvRmT2_T3_T4_T5_mT6_T7_P12ihipStream_tbENKUlT_T0_E_clISt17integral_constantIbLb1EESY_EEDaST_SU_EUlST_E_NS1_11comp_targetILNS1_3genE3ELNS1_11target_archE908ELNS1_3gpuE7ELNS1_3repE0EEENS1_30default_config_static_selectorELNS0_4arch9wavefront6targetE1EEEvT1_ ; -- Begin function _ZN7rocprim17ROCPRIM_400000_NS6detail17trampoline_kernelINS0_14default_configENS1_27scan_by_key_config_selectorIiiEEZZNS1_16scan_by_key_implILNS1_25lookback_scan_determinismE0ELb1ES3_N6thrust23THRUST_200600_302600_NS6detail15normal_iteratorINS9_10device_ptrIiEEEESE_SE_iNS9_4plusIiEE19head_flag_predicateiEE10hipError_tPvRmT2_T3_T4_T5_mT6_T7_P12ihipStream_tbENKUlT_T0_E_clISt17integral_constantIbLb1EESY_EEDaST_SU_EUlST_E_NS1_11comp_targetILNS1_3genE3ELNS1_11target_archE908ELNS1_3gpuE7ELNS1_3repE0EEENS1_30default_config_static_selectorELNS0_4arch9wavefront6targetE1EEEvT1_
	.globl	_ZN7rocprim17ROCPRIM_400000_NS6detail17trampoline_kernelINS0_14default_configENS1_27scan_by_key_config_selectorIiiEEZZNS1_16scan_by_key_implILNS1_25lookback_scan_determinismE0ELb1ES3_N6thrust23THRUST_200600_302600_NS6detail15normal_iteratorINS9_10device_ptrIiEEEESE_SE_iNS9_4plusIiEE19head_flag_predicateiEE10hipError_tPvRmT2_T3_T4_T5_mT6_T7_P12ihipStream_tbENKUlT_T0_E_clISt17integral_constantIbLb1EESY_EEDaST_SU_EUlST_E_NS1_11comp_targetILNS1_3genE3ELNS1_11target_archE908ELNS1_3gpuE7ELNS1_3repE0EEENS1_30default_config_static_selectorELNS0_4arch9wavefront6targetE1EEEvT1_
	.p2align	8
	.type	_ZN7rocprim17ROCPRIM_400000_NS6detail17trampoline_kernelINS0_14default_configENS1_27scan_by_key_config_selectorIiiEEZZNS1_16scan_by_key_implILNS1_25lookback_scan_determinismE0ELb1ES3_N6thrust23THRUST_200600_302600_NS6detail15normal_iteratorINS9_10device_ptrIiEEEESE_SE_iNS9_4plusIiEE19head_flag_predicateiEE10hipError_tPvRmT2_T3_T4_T5_mT6_T7_P12ihipStream_tbENKUlT_T0_E_clISt17integral_constantIbLb1EESY_EEDaST_SU_EUlST_E_NS1_11comp_targetILNS1_3genE3ELNS1_11target_archE908ELNS1_3gpuE7ELNS1_3repE0EEENS1_30default_config_static_selectorELNS0_4arch9wavefront6targetE1EEEvT1_,@function
_ZN7rocprim17ROCPRIM_400000_NS6detail17trampoline_kernelINS0_14default_configENS1_27scan_by_key_config_selectorIiiEEZZNS1_16scan_by_key_implILNS1_25lookback_scan_determinismE0ELb1ES3_N6thrust23THRUST_200600_302600_NS6detail15normal_iteratorINS9_10device_ptrIiEEEESE_SE_iNS9_4plusIiEE19head_flag_predicateiEE10hipError_tPvRmT2_T3_T4_T5_mT6_T7_P12ihipStream_tbENKUlT_T0_E_clISt17integral_constantIbLb1EESY_EEDaST_SU_EUlST_E_NS1_11comp_targetILNS1_3genE3ELNS1_11target_archE908ELNS1_3gpuE7ELNS1_3repE0EEENS1_30default_config_static_selectorELNS0_4arch9wavefront6targetE1EEEvT1_: ; @_ZN7rocprim17ROCPRIM_400000_NS6detail17trampoline_kernelINS0_14default_configENS1_27scan_by_key_config_selectorIiiEEZZNS1_16scan_by_key_implILNS1_25lookback_scan_determinismE0ELb1ES3_N6thrust23THRUST_200600_302600_NS6detail15normal_iteratorINS9_10device_ptrIiEEEESE_SE_iNS9_4plusIiEE19head_flag_predicateiEE10hipError_tPvRmT2_T3_T4_T5_mT6_T7_P12ihipStream_tbENKUlT_T0_E_clISt17integral_constantIbLb1EESY_EEDaST_SU_EUlST_E_NS1_11comp_targetILNS1_3genE3ELNS1_11target_archE908ELNS1_3gpuE7ELNS1_3repE0EEENS1_30default_config_static_selectorELNS0_4arch9wavefront6targetE1EEEvT1_
; %bb.0:
	.section	.rodata,"a",@progbits
	.p2align	6, 0x0
	.amdhsa_kernel _ZN7rocprim17ROCPRIM_400000_NS6detail17trampoline_kernelINS0_14default_configENS1_27scan_by_key_config_selectorIiiEEZZNS1_16scan_by_key_implILNS1_25lookback_scan_determinismE0ELb1ES3_N6thrust23THRUST_200600_302600_NS6detail15normal_iteratorINS9_10device_ptrIiEEEESE_SE_iNS9_4plusIiEE19head_flag_predicateiEE10hipError_tPvRmT2_T3_T4_T5_mT6_T7_P12ihipStream_tbENKUlT_T0_E_clISt17integral_constantIbLb1EESY_EEDaST_SU_EUlST_E_NS1_11comp_targetILNS1_3genE3ELNS1_11target_archE908ELNS1_3gpuE7ELNS1_3repE0EEENS1_30default_config_static_selectorELNS0_4arch9wavefront6targetE1EEEvT1_
		.amdhsa_group_segment_fixed_size 0
		.amdhsa_private_segment_fixed_size 0
		.amdhsa_kernarg_size 112
		.amdhsa_user_sgpr_count 6
		.amdhsa_user_sgpr_private_segment_buffer 1
		.amdhsa_user_sgpr_dispatch_ptr 0
		.amdhsa_user_sgpr_queue_ptr 0
		.amdhsa_user_sgpr_kernarg_segment_ptr 1
		.amdhsa_user_sgpr_dispatch_id 0
		.amdhsa_user_sgpr_flat_scratch_init 0
		.amdhsa_user_sgpr_kernarg_preload_length 0
		.amdhsa_user_sgpr_kernarg_preload_offset 0
		.amdhsa_user_sgpr_private_segment_size 0
		.amdhsa_uses_dynamic_stack 0
		.amdhsa_system_sgpr_private_segment_wavefront_offset 0
		.amdhsa_system_sgpr_workgroup_id_x 1
		.amdhsa_system_sgpr_workgroup_id_y 0
		.amdhsa_system_sgpr_workgroup_id_z 0
		.amdhsa_system_sgpr_workgroup_info 0
		.amdhsa_system_vgpr_workitem_id 0
		.amdhsa_next_free_vgpr 1
		.amdhsa_next_free_sgpr 0
		.amdhsa_accum_offset 4
		.amdhsa_reserve_vcc 0
		.amdhsa_reserve_flat_scratch 0
		.amdhsa_float_round_mode_32 0
		.amdhsa_float_round_mode_16_64 0
		.amdhsa_float_denorm_mode_32 3
		.amdhsa_float_denorm_mode_16_64 3
		.amdhsa_dx10_clamp 1
		.amdhsa_ieee_mode 1
		.amdhsa_fp16_overflow 0
		.amdhsa_tg_split 0
		.amdhsa_exception_fp_ieee_invalid_op 0
		.amdhsa_exception_fp_denorm_src 0
		.amdhsa_exception_fp_ieee_div_zero 0
		.amdhsa_exception_fp_ieee_overflow 0
		.amdhsa_exception_fp_ieee_underflow 0
		.amdhsa_exception_fp_ieee_inexact 0
		.amdhsa_exception_int_div_zero 0
	.end_amdhsa_kernel
	.section	.text._ZN7rocprim17ROCPRIM_400000_NS6detail17trampoline_kernelINS0_14default_configENS1_27scan_by_key_config_selectorIiiEEZZNS1_16scan_by_key_implILNS1_25lookback_scan_determinismE0ELb1ES3_N6thrust23THRUST_200600_302600_NS6detail15normal_iteratorINS9_10device_ptrIiEEEESE_SE_iNS9_4plusIiEE19head_flag_predicateiEE10hipError_tPvRmT2_T3_T4_T5_mT6_T7_P12ihipStream_tbENKUlT_T0_E_clISt17integral_constantIbLb1EESY_EEDaST_SU_EUlST_E_NS1_11comp_targetILNS1_3genE3ELNS1_11target_archE908ELNS1_3gpuE7ELNS1_3repE0EEENS1_30default_config_static_selectorELNS0_4arch9wavefront6targetE1EEEvT1_,"axG",@progbits,_ZN7rocprim17ROCPRIM_400000_NS6detail17trampoline_kernelINS0_14default_configENS1_27scan_by_key_config_selectorIiiEEZZNS1_16scan_by_key_implILNS1_25lookback_scan_determinismE0ELb1ES3_N6thrust23THRUST_200600_302600_NS6detail15normal_iteratorINS9_10device_ptrIiEEEESE_SE_iNS9_4plusIiEE19head_flag_predicateiEE10hipError_tPvRmT2_T3_T4_T5_mT6_T7_P12ihipStream_tbENKUlT_T0_E_clISt17integral_constantIbLb1EESY_EEDaST_SU_EUlST_E_NS1_11comp_targetILNS1_3genE3ELNS1_11target_archE908ELNS1_3gpuE7ELNS1_3repE0EEENS1_30default_config_static_selectorELNS0_4arch9wavefront6targetE1EEEvT1_,comdat
.Lfunc_end798:
	.size	_ZN7rocprim17ROCPRIM_400000_NS6detail17trampoline_kernelINS0_14default_configENS1_27scan_by_key_config_selectorIiiEEZZNS1_16scan_by_key_implILNS1_25lookback_scan_determinismE0ELb1ES3_N6thrust23THRUST_200600_302600_NS6detail15normal_iteratorINS9_10device_ptrIiEEEESE_SE_iNS9_4plusIiEE19head_flag_predicateiEE10hipError_tPvRmT2_T3_T4_T5_mT6_T7_P12ihipStream_tbENKUlT_T0_E_clISt17integral_constantIbLb1EESY_EEDaST_SU_EUlST_E_NS1_11comp_targetILNS1_3genE3ELNS1_11target_archE908ELNS1_3gpuE7ELNS1_3repE0EEENS1_30default_config_static_selectorELNS0_4arch9wavefront6targetE1EEEvT1_, .Lfunc_end798-_ZN7rocprim17ROCPRIM_400000_NS6detail17trampoline_kernelINS0_14default_configENS1_27scan_by_key_config_selectorIiiEEZZNS1_16scan_by_key_implILNS1_25lookback_scan_determinismE0ELb1ES3_N6thrust23THRUST_200600_302600_NS6detail15normal_iteratorINS9_10device_ptrIiEEEESE_SE_iNS9_4plusIiEE19head_flag_predicateiEE10hipError_tPvRmT2_T3_T4_T5_mT6_T7_P12ihipStream_tbENKUlT_T0_E_clISt17integral_constantIbLb1EESY_EEDaST_SU_EUlST_E_NS1_11comp_targetILNS1_3genE3ELNS1_11target_archE908ELNS1_3gpuE7ELNS1_3repE0EEENS1_30default_config_static_selectorELNS0_4arch9wavefront6targetE1EEEvT1_
                                        ; -- End function
	.section	.AMDGPU.csdata,"",@progbits
; Kernel info:
; codeLenInByte = 0
; NumSgprs: 4
; NumVgprs: 0
; NumAgprs: 0
; TotalNumVgprs: 0
; ScratchSize: 0
; MemoryBound: 0
; FloatMode: 240
; IeeeMode: 1
; LDSByteSize: 0 bytes/workgroup (compile time only)
; SGPRBlocks: 0
; VGPRBlocks: 0
; NumSGPRsForWavesPerEU: 4
; NumVGPRsForWavesPerEU: 1
; AccumOffset: 4
; Occupancy: 8
; WaveLimiterHint : 0
; COMPUTE_PGM_RSRC2:SCRATCH_EN: 0
; COMPUTE_PGM_RSRC2:USER_SGPR: 6
; COMPUTE_PGM_RSRC2:TRAP_HANDLER: 0
; COMPUTE_PGM_RSRC2:TGID_X_EN: 1
; COMPUTE_PGM_RSRC2:TGID_Y_EN: 0
; COMPUTE_PGM_RSRC2:TGID_Z_EN: 0
; COMPUTE_PGM_RSRC2:TIDIG_COMP_CNT: 0
; COMPUTE_PGM_RSRC3_GFX90A:ACCUM_OFFSET: 0
; COMPUTE_PGM_RSRC3_GFX90A:TG_SPLIT: 0
	.section	.text._ZN7rocprim17ROCPRIM_400000_NS6detail17trampoline_kernelINS0_14default_configENS1_27scan_by_key_config_selectorIiiEEZZNS1_16scan_by_key_implILNS1_25lookback_scan_determinismE0ELb1ES3_N6thrust23THRUST_200600_302600_NS6detail15normal_iteratorINS9_10device_ptrIiEEEESE_SE_iNS9_4plusIiEE19head_flag_predicateiEE10hipError_tPvRmT2_T3_T4_T5_mT6_T7_P12ihipStream_tbENKUlT_T0_E_clISt17integral_constantIbLb1EESY_EEDaST_SU_EUlST_E_NS1_11comp_targetILNS1_3genE2ELNS1_11target_archE906ELNS1_3gpuE6ELNS1_3repE0EEENS1_30default_config_static_selectorELNS0_4arch9wavefront6targetE1EEEvT1_,"axG",@progbits,_ZN7rocprim17ROCPRIM_400000_NS6detail17trampoline_kernelINS0_14default_configENS1_27scan_by_key_config_selectorIiiEEZZNS1_16scan_by_key_implILNS1_25lookback_scan_determinismE0ELb1ES3_N6thrust23THRUST_200600_302600_NS6detail15normal_iteratorINS9_10device_ptrIiEEEESE_SE_iNS9_4plusIiEE19head_flag_predicateiEE10hipError_tPvRmT2_T3_T4_T5_mT6_T7_P12ihipStream_tbENKUlT_T0_E_clISt17integral_constantIbLb1EESY_EEDaST_SU_EUlST_E_NS1_11comp_targetILNS1_3genE2ELNS1_11target_archE906ELNS1_3gpuE6ELNS1_3repE0EEENS1_30default_config_static_selectorELNS0_4arch9wavefront6targetE1EEEvT1_,comdat
	.protected	_ZN7rocprim17ROCPRIM_400000_NS6detail17trampoline_kernelINS0_14default_configENS1_27scan_by_key_config_selectorIiiEEZZNS1_16scan_by_key_implILNS1_25lookback_scan_determinismE0ELb1ES3_N6thrust23THRUST_200600_302600_NS6detail15normal_iteratorINS9_10device_ptrIiEEEESE_SE_iNS9_4plusIiEE19head_flag_predicateiEE10hipError_tPvRmT2_T3_T4_T5_mT6_T7_P12ihipStream_tbENKUlT_T0_E_clISt17integral_constantIbLb1EESY_EEDaST_SU_EUlST_E_NS1_11comp_targetILNS1_3genE2ELNS1_11target_archE906ELNS1_3gpuE6ELNS1_3repE0EEENS1_30default_config_static_selectorELNS0_4arch9wavefront6targetE1EEEvT1_ ; -- Begin function _ZN7rocprim17ROCPRIM_400000_NS6detail17trampoline_kernelINS0_14default_configENS1_27scan_by_key_config_selectorIiiEEZZNS1_16scan_by_key_implILNS1_25lookback_scan_determinismE0ELb1ES3_N6thrust23THRUST_200600_302600_NS6detail15normal_iteratorINS9_10device_ptrIiEEEESE_SE_iNS9_4plusIiEE19head_flag_predicateiEE10hipError_tPvRmT2_T3_T4_T5_mT6_T7_P12ihipStream_tbENKUlT_T0_E_clISt17integral_constantIbLb1EESY_EEDaST_SU_EUlST_E_NS1_11comp_targetILNS1_3genE2ELNS1_11target_archE906ELNS1_3gpuE6ELNS1_3repE0EEENS1_30default_config_static_selectorELNS0_4arch9wavefront6targetE1EEEvT1_
	.globl	_ZN7rocprim17ROCPRIM_400000_NS6detail17trampoline_kernelINS0_14default_configENS1_27scan_by_key_config_selectorIiiEEZZNS1_16scan_by_key_implILNS1_25lookback_scan_determinismE0ELb1ES3_N6thrust23THRUST_200600_302600_NS6detail15normal_iteratorINS9_10device_ptrIiEEEESE_SE_iNS9_4plusIiEE19head_flag_predicateiEE10hipError_tPvRmT2_T3_T4_T5_mT6_T7_P12ihipStream_tbENKUlT_T0_E_clISt17integral_constantIbLb1EESY_EEDaST_SU_EUlST_E_NS1_11comp_targetILNS1_3genE2ELNS1_11target_archE906ELNS1_3gpuE6ELNS1_3repE0EEENS1_30default_config_static_selectorELNS0_4arch9wavefront6targetE1EEEvT1_
	.p2align	8
	.type	_ZN7rocprim17ROCPRIM_400000_NS6detail17trampoline_kernelINS0_14default_configENS1_27scan_by_key_config_selectorIiiEEZZNS1_16scan_by_key_implILNS1_25lookback_scan_determinismE0ELb1ES3_N6thrust23THRUST_200600_302600_NS6detail15normal_iteratorINS9_10device_ptrIiEEEESE_SE_iNS9_4plusIiEE19head_flag_predicateiEE10hipError_tPvRmT2_T3_T4_T5_mT6_T7_P12ihipStream_tbENKUlT_T0_E_clISt17integral_constantIbLb1EESY_EEDaST_SU_EUlST_E_NS1_11comp_targetILNS1_3genE2ELNS1_11target_archE906ELNS1_3gpuE6ELNS1_3repE0EEENS1_30default_config_static_selectorELNS0_4arch9wavefront6targetE1EEEvT1_,@function
_ZN7rocprim17ROCPRIM_400000_NS6detail17trampoline_kernelINS0_14default_configENS1_27scan_by_key_config_selectorIiiEEZZNS1_16scan_by_key_implILNS1_25lookback_scan_determinismE0ELb1ES3_N6thrust23THRUST_200600_302600_NS6detail15normal_iteratorINS9_10device_ptrIiEEEESE_SE_iNS9_4plusIiEE19head_flag_predicateiEE10hipError_tPvRmT2_T3_T4_T5_mT6_T7_P12ihipStream_tbENKUlT_T0_E_clISt17integral_constantIbLb1EESY_EEDaST_SU_EUlST_E_NS1_11comp_targetILNS1_3genE2ELNS1_11target_archE906ELNS1_3gpuE6ELNS1_3repE0EEENS1_30default_config_static_selectorELNS0_4arch9wavefront6targetE1EEEvT1_: ; @_ZN7rocprim17ROCPRIM_400000_NS6detail17trampoline_kernelINS0_14default_configENS1_27scan_by_key_config_selectorIiiEEZZNS1_16scan_by_key_implILNS1_25lookback_scan_determinismE0ELb1ES3_N6thrust23THRUST_200600_302600_NS6detail15normal_iteratorINS9_10device_ptrIiEEEESE_SE_iNS9_4plusIiEE19head_flag_predicateiEE10hipError_tPvRmT2_T3_T4_T5_mT6_T7_P12ihipStream_tbENKUlT_T0_E_clISt17integral_constantIbLb1EESY_EEDaST_SU_EUlST_E_NS1_11comp_targetILNS1_3genE2ELNS1_11target_archE906ELNS1_3gpuE6ELNS1_3repE0EEENS1_30default_config_static_selectorELNS0_4arch9wavefront6targetE1EEEvT1_
; %bb.0:
	.section	.rodata,"a",@progbits
	.p2align	6, 0x0
	.amdhsa_kernel _ZN7rocprim17ROCPRIM_400000_NS6detail17trampoline_kernelINS0_14default_configENS1_27scan_by_key_config_selectorIiiEEZZNS1_16scan_by_key_implILNS1_25lookback_scan_determinismE0ELb1ES3_N6thrust23THRUST_200600_302600_NS6detail15normal_iteratorINS9_10device_ptrIiEEEESE_SE_iNS9_4plusIiEE19head_flag_predicateiEE10hipError_tPvRmT2_T3_T4_T5_mT6_T7_P12ihipStream_tbENKUlT_T0_E_clISt17integral_constantIbLb1EESY_EEDaST_SU_EUlST_E_NS1_11comp_targetILNS1_3genE2ELNS1_11target_archE906ELNS1_3gpuE6ELNS1_3repE0EEENS1_30default_config_static_selectorELNS0_4arch9wavefront6targetE1EEEvT1_
		.amdhsa_group_segment_fixed_size 0
		.amdhsa_private_segment_fixed_size 0
		.amdhsa_kernarg_size 112
		.amdhsa_user_sgpr_count 6
		.amdhsa_user_sgpr_private_segment_buffer 1
		.amdhsa_user_sgpr_dispatch_ptr 0
		.amdhsa_user_sgpr_queue_ptr 0
		.amdhsa_user_sgpr_kernarg_segment_ptr 1
		.amdhsa_user_sgpr_dispatch_id 0
		.amdhsa_user_sgpr_flat_scratch_init 0
		.amdhsa_user_sgpr_kernarg_preload_length 0
		.amdhsa_user_sgpr_kernarg_preload_offset 0
		.amdhsa_user_sgpr_private_segment_size 0
		.amdhsa_uses_dynamic_stack 0
		.amdhsa_system_sgpr_private_segment_wavefront_offset 0
		.amdhsa_system_sgpr_workgroup_id_x 1
		.amdhsa_system_sgpr_workgroup_id_y 0
		.amdhsa_system_sgpr_workgroup_id_z 0
		.amdhsa_system_sgpr_workgroup_info 0
		.amdhsa_system_vgpr_workitem_id 0
		.amdhsa_next_free_vgpr 1
		.amdhsa_next_free_sgpr 0
		.amdhsa_accum_offset 4
		.amdhsa_reserve_vcc 0
		.amdhsa_reserve_flat_scratch 0
		.amdhsa_float_round_mode_32 0
		.amdhsa_float_round_mode_16_64 0
		.amdhsa_float_denorm_mode_32 3
		.amdhsa_float_denorm_mode_16_64 3
		.amdhsa_dx10_clamp 1
		.amdhsa_ieee_mode 1
		.amdhsa_fp16_overflow 0
		.amdhsa_tg_split 0
		.amdhsa_exception_fp_ieee_invalid_op 0
		.amdhsa_exception_fp_denorm_src 0
		.amdhsa_exception_fp_ieee_div_zero 0
		.amdhsa_exception_fp_ieee_overflow 0
		.amdhsa_exception_fp_ieee_underflow 0
		.amdhsa_exception_fp_ieee_inexact 0
		.amdhsa_exception_int_div_zero 0
	.end_amdhsa_kernel
	.section	.text._ZN7rocprim17ROCPRIM_400000_NS6detail17trampoline_kernelINS0_14default_configENS1_27scan_by_key_config_selectorIiiEEZZNS1_16scan_by_key_implILNS1_25lookback_scan_determinismE0ELb1ES3_N6thrust23THRUST_200600_302600_NS6detail15normal_iteratorINS9_10device_ptrIiEEEESE_SE_iNS9_4plusIiEE19head_flag_predicateiEE10hipError_tPvRmT2_T3_T4_T5_mT6_T7_P12ihipStream_tbENKUlT_T0_E_clISt17integral_constantIbLb1EESY_EEDaST_SU_EUlST_E_NS1_11comp_targetILNS1_3genE2ELNS1_11target_archE906ELNS1_3gpuE6ELNS1_3repE0EEENS1_30default_config_static_selectorELNS0_4arch9wavefront6targetE1EEEvT1_,"axG",@progbits,_ZN7rocprim17ROCPRIM_400000_NS6detail17trampoline_kernelINS0_14default_configENS1_27scan_by_key_config_selectorIiiEEZZNS1_16scan_by_key_implILNS1_25lookback_scan_determinismE0ELb1ES3_N6thrust23THRUST_200600_302600_NS6detail15normal_iteratorINS9_10device_ptrIiEEEESE_SE_iNS9_4plusIiEE19head_flag_predicateiEE10hipError_tPvRmT2_T3_T4_T5_mT6_T7_P12ihipStream_tbENKUlT_T0_E_clISt17integral_constantIbLb1EESY_EEDaST_SU_EUlST_E_NS1_11comp_targetILNS1_3genE2ELNS1_11target_archE906ELNS1_3gpuE6ELNS1_3repE0EEENS1_30default_config_static_selectorELNS0_4arch9wavefront6targetE1EEEvT1_,comdat
.Lfunc_end799:
	.size	_ZN7rocprim17ROCPRIM_400000_NS6detail17trampoline_kernelINS0_14default_configENS1_27scan_by_key_config_selectorIiiEEZZNS1_16scan_by_key_implILNS1_25lookback_scan_determinismE0ELb1ES3_N6thrust23THRUST_200600_302600_NS6detail15normal_iteratorINS9_10device_ptrIiEEEESE_SE_iNS9_4plusIiEE19head_flag_predicateiEE10hipError_tPvRmT2_T3_T4_T5_mT6_T7_P12ihipStream_tbENKUlT_T0_E_clISt17integral_constantIbLb1EESY_EEDaST_SU_EUlST_E_NS1_11comp_targetILNS1_3genE2ELNS1_11target_archE906ELNS1_3gpuE6ELNS1_3repE0EEENS1_30default_config_static_selectorELNS0_4arch9wavefront6targetE1EEEvT1_, .Lfunc_end799-_ZN7rocprim17ROCPRIM_400000_NS6detail17trampoline_kernelINS0_14default_configENS1_27scan_by_key_config_selectorIiiEEZZNS1_16scan_by_key_implILNS1_25lookback_scan_determinismE0ELb1ES3_N6thrust23THRUST_200600_302600_NS6detail15normal_iteratorINS9_10device_ptrIiEEEESE_SE_iNS9_4plusIiEE19head_flag_predicateiEE10hipError_tPvRmT2_T3_T4_T5_mT6_T7_P12ihipStream_tbENKUlT_T0_E_clISt17integral_constantIbLb1EESY_EEDaST_SU_EUlST_E_NS1_11comp_targetILNS1_3genE2ELNS1_11target_archE906ELNS1_3gpuE6ELNS1_3repE0EEENS1_30default_config_static_selectorELNS0_4arch9wavefront6targetE1EEEvT1_
                                        ; -- End function
	.section	.AMDGPU.csdata,"",@progbits
; Kernel info:
; codeLenInByte = 0
; NumSgprs: 4
; NumVgprs: 0
; NumAgprs: 0
; TotalNumVgprs: 0
; ScratchSize: 0
; MemoryBound: 0
; FloatMode: 240
; IeeeMode: 1
; LDSByteSize: 0 bytes/workgroup (compile time only)
; SGPRBlocks: 0
; VGPRBlocks: 0
; NumSGPRsForWavesPerEU: 4
; NumVGPRsForWavesPerEU: 1
; AccumOffset: 4
; Occupancy: 8
; WaveLimiterHint : 0
; COMPUTE_PGM_RSRC2:SCRATCH_EN: 0
; COMPUTE_PGM_RSRC2:USER_SGPR: 6
; COMPUTE_PGM_RSRC2:TRAP_HANDLER: 0
; COMPUTE_PGM_RSRC2:TGID_X_EN: 1
; COMPUTE_PGM_RSRC2:TGID_Y_EN: 0
; COMPUTE_PGM_RSRC2:TGID_Z_EN: 0
; COMPUTE_PGM_RSRC2:TIDIG_COMP_CNT: 0
; COMPUTE_PGM_RSRC3_GFX90A:ACCUM_OFFSET: 0
; COMPUTE_PGM_RSRC3_GFX90A:TG_SPLIT: 0
	.section	.text._ZN7rocprim17ROCPRIM_400000_NS6detail17trampoline_kernelINS0_14default_configENS1_27scan_by_key_config_selectorIiiEEZZNS1_16scan_by_key_implILNS1_25lookback_scan_determinismE0ELb1ES3_N6thrust23THRUST_200600_302600_NS6detail15normal_iteratorINS9_10device_ptrIiEEEESE_SE_iNS9_4plusIiEE19head_flag_predicateiEE10hipError_tPvRmT2_T3_T4_T5_mT6_T7_P12ihipStream_tbENKUlT_T0_E_clISt17integral_constantIbLb1EESY_EEDaST_SU_EUlST_E_NS1_11comp_targetILNS1_3genE10ELNS1_11target_archE1200ELNS1_3gpuE4ELNS1_3repE0EEENS1_30default_config_static_selectorELNS0_4arch9wavefront6targetE1EEEvT1_,"axG",@progbits,_ZN7rocprim17ROCPRIM_400000_NS6detail17trampoline_kernelINS0_14default_configENS1_27scan_by_key_config_selectorIiiEEZZNS1_16scan_by_key_implILNS1_25lookback_scan_determinismE0ELb1ES3_N6thrust23THRUST_200600_302600_NS6detail15normal_iteratorINS9_10device_ptrIiEEEESE_SE_iNS9_4plusIiEE19head_flag_predicateiEE10hipError_tPvRmT2_T3_T4_T5_mT6_T7_P12ihipStream_tbENKUlT_T0_E_clISt17integral_constantIbLb1EESY_EEDaST_SU_EUlST_E_NS1_11comp_targetILNS1_3genE10ELNS1_11target_archE1200ELNS1_3gpuE4ELNS1_3repE0EEENS1_30default_config_static_selectorELNS0_4arch9wavefront6targetE1EEEvT1_,comdat
	.protected	_ZN7rocprim17ROCPRIM_400000_NS6detail17trampoline_kernelINS0_14default_configENS1_27scan_by_key_config_selectorIiiEEZZNS1_16scan_by_key_implILNS1_25lookback_scan_determinismE0ELb1ES3_N6thrust23THRUST_200600_302600_NS6detail15normal_iteratorINS9_10device_ptrIiEEEESE_SE_iNS9_4plusIiEE19head_flag_predicateiEE10hipError_tPvRmT2_T3_T4_T5_mT6_T7_P12ihipStream_tbENKUlT_T0_E_clISt17integral_constantIbLb1EESY_EEDaST_SU_EUlST_E_NS1_11comp_targetILNS1_3genE10ELNS1_11target_archE1200ELNS1_3gpuE4ELNS1_3repE0EEENS1_30default_config_static_selectorELNS0_4arch9wavefront6targetE1EEEvT1_ ; -- Begin function _ZN7rocprim17ROCPRIM_400000_NS6detail17trampoline_kernelINS0_14default_configENS1_27scan_by_key_config_selectorIiiEEZZNS1_16scan_by_key_implILNS1_25lookback_scan_determinismE0ELb1ES3_N6thrust23THRUST_200600_302600_NS6detail15normal_iteratorINS9_10device_ptrIiEEEESE_SE_iNS9_4plusIiEE19head_flag_predicateiEE10hipError_tPvRmT2_T3_T4_T5_mT6_T7_P12ihipStream_tbENKUlT_T0_E_clISt17integral_constantIbLb1EESY_EEDaST_SU_EUlST_E_NS1_11comp_targetILNS1_3genE10ELNS1_11target_archE1200ELNS1_3gpuE4ELNS1_3repE0EEENS1_30default_config_static_selectorELNS0_4arch9wavefront6targetE1EEEvT1_
	.globl	_ZN7rocprim17ROCPRIM_400000_NS6detail17trampoline_kernelINS0_14default_configENS1_27scan_by_key_config_selectorIiiEEZZNS1_16scan_by_key_implILNS1_25lookback_scan_determinismE0ELb1ES3_N6thrust23THRUST_200600_302600_NS6detail15normal_iteratorINS9_10device_ptrIiEEEESE_SE_iNS9_4plusIiEE19head_flag_predicateiEE10hipError_tPvRmT2_T3_T4_T5_mT6_T7_P12ihipStream_tbENKUlT_T0_E_clISt17integral_constantIbLb1EESY_EEDaST_SU_EUlST_E_NS1_11comp_targetILNS1_3genE10ELNS1_11target_archE1200ELNS1_3gpuE4ELNS1_3repE0EEENS1_30default_config_static_selectorELNS0_4arch9wavefront6targetE1EEEvT1_
	.p2align	8
	.type	_ZN7rocprim17ROCPRIM_400000_NS6detail17trampoline_kernelINS0_14default_configENS1_27scan_by_key_config_selectorIiiEEZZNS1_16scan_by_key_implILNS1_25lookback_scan_determinismE0ELb1ES3_N6thrust23THRUST_200600_302600_NS6detail15normal_iteratorINS9_10device_ptrIiEEEESE_SE_iNS9_4plusIiEE19head_flag_predicateiEE10hipError_tPvRmT2_T3_T4_T5_mT6_T7_P12ihipStream_tbENKUlT_T0_E_clISt17integral_constantIbLb1EESY_EEDaST_SU_EUlST_E_NS1_11comp_targetILNS1_3genE10ELNS1_11target_archE1200ELNS1_3gpuE4ELNS1_3repE0EEENS1_30default_config_static_selectorELNS0_4arch9wavefront6targetE1EEEvT1_,@function
_ZN7rocprim17ROCPRIM_400000_NS6detail17trampoline_kernelINS0_14default_configENS1_27scan_by_key_config_selectorIiiEEZZNS1_16scan_by_key_implILNS1_25lookback_scan_determinismE0ELb1ES3_N6thrust23THRUST_200600_302600_NS6detail15normal_iteratorINS9_10device_ptrIiEEEESE_SE_iNS9_4plusIiEE19head_flag_predicateiEE10hipError_tPvRmT2_T3_T4_T5_mT6_T7_P12ihipStream_tbENKUlT_T0_E_clISt17integral_constantIbLb1EESY_EEDaST_SU_EUlST_E_NS1_11comp_targetILNS1_3genE10ELNS1_11target_archE1200ELNS1_3gpuE4ELNS1_3repE0EEENS1_30default_config_static_selectorELNS0_4arch9wavefront6targetE1EEEvT1_: ; @_ZN7rocprim17ROCPRIM_400000_NS6detail17trampoline_kernelINS0_14default_configENS1_27scan_by_key_config_selectorIiiEEZZNS1_16scan_by_key_implILNS1_25lookback_scan_determinismE0ELb1ES3_N6thrust23THRUST_200600_302600_NS6detail15normal_iteratorINS9_10device_ptrIiEEEESE_SE_iNS9_4plusIiEE19head_flag_predicateiEE10hipError_tPvRmT2_T3_T4_T5_mT6_T7_P12ihipStream_tbENKUlT_T0_E_clISt17integral_constantIbLb1EESY_EEDaST_SU_EUlST_E_NS1_11comp_targetILNS1_3genE10ELNS1_11target_archE1200ELNS1_3gpuE4ELNS1_3repE0EEENS1_30default_config_static_selectorELNS0_4arch9wavefront6targetE1EEEvT1_
; %bb.0:
	.section	.rodata,"a",@progbits
	.p2align	6, 0x0
	.amdhsa_kernel _ZN7rocprim17ROCPRIM_400000_NS6detail17trampoline_kernelINS0_14default_configENS1_27scan_by_key_config_selectorIiiEEZZNS1_16scan_by_key_implILNS1_25lookback_scan_determinismE0ELb1ES3_N6thrust23THRUST_200600_302600_NS6detail15normal_iteratorINS9_10device_ptrIiEEEESE_SE_iNS9_4plusIiEE19head_flag_predicateiEE10hipError_tPvRmT2_T3_T4_T5_mT6_T7_P12ihipStream_tbENKUlT_T0_E_clISt17integral_constantIbLb1EESY_EEDaST_SU_EUlST_E_NS1_11comp_targetILNS1_3genE10ELNS1_11target_archE1200ELNS1_3gpuE4ELNS1_3repE0EEENS1_30default_config_static_selectorELNS0_4arch9wavefront6targetE1EEEvT1_
		.amdhsa_group_segment_fixed_size 0
		.amdhsa_private_segment_fixed_size 0
		.amdhsa_kernarg_size 112
		.amdhsa_user_sgpr_count 6
		.amdhsa_user_sgpr_private_segment_buffer 1
		.amdhsa_user_sgpr_dispatch_ptr 0
		.amdhsa_user_sgpr_queue_ptr 0
		.amdhsa_user_sgpr_kernarg_segment_ptr 1
		.amdhsa_user_sgpr_dispatch_id 0
		.amdhsa_user_sgpr_flat_scratch_init 0
		.amdhsa_user_sgpr_kernarg_preload_length 0
		.amdhsa_user_sgpr_kernarg_preload_offset 0
		.amdhsa_user_sgpr_private_segment_size 0
		.amdhsa_uses_dynamic_stack 0
		.amdhsa_system_sgpr_private_segment_wavefront_offset 0
		.amdhsa_system_sgpr_workgroup_id_x 1
		.amdhsa_system_sgpr_workgroup_id_y 0
		.amdhsa_system_sgpr_workgroup_id_z 0
		.amdhsa_system_sgpr_workgroup_info 0
		.amdhsa_system_vgpr_workitem_id 0
		.amdhsa_next_free_vgpr 1
		.amdhsa_next_free_sgpr 0
		.amdhsa_accum_offset 4
		.amdhsa_reserve_vcc 0
		.amdhsa_reserve_flat_scratch 0
		.amdhsa_float_round_mode_32 0
		.amdhsa_float_round_mode_16_64 0
		.amdhsa_float_denorm_mode_32 3
		.amdhsa_float_denorm_mode_16_64 3
		.amdhsa_dx10_clamp 1
		.amdhsa_ieee_mode 1
		.amdhsa_fp16_overflow 0
		.amdhsa_tg_split 0
		.amdhsa_exception_fp_ieee_invalid_op 0
		.amdhsa_exception_fp_denorm_src 0
		.amdhsa_exception_fp_ieee_div_zero 0
		.amdhsa_exception_fp_ieee_overflow 0
		.amdhsa_exception_fp_ieee_underflow 0
		.amdhsa_exception_fp_ieee_inexact 0
		.amdhsa_exception_int_div_zero 0
	.end_amdhsa_kernel
	.section	.text._ZN7rocprim17ROCPRIM_400000_NS6detail17trampoline_kernelINS0_14default_configENS1_27scan_by_key_config_selectorIiiEEZZNS1_16scan_by_key_implILNS1_25lookback_scan_determinismE0ELb1ES3_N6thrust23THRUST_200600_302600_NS6detail15normal_iteratorINS9_10device_ptrIiEEEESE_SE_iNS9_4plusIiEE19head_flag_predicateiEE10hipError_tPvRmT2_T3_T4_T5_mT6_T7_P12ihipStream_tbENKUlT_T0_E_clISt17integral_constantIbLb1EESY_EEDaST_SU_EUlST_E_NS1_11comp_targetILNS1_3genE10ELNS1_11target_archE1200ELNS1_3gpuE4ELNS1_3repE0EEENS1_30default_config_static_selectorELNS0_4arch9wavefront6targetE1EEEvT1_,"axG",@progbits,_ZN7rocprim17ROCPRIM_400000_NS6detail17trampoline_kernelINS0_14default_configENS1_27scan_by_key_config_selectorIiiEEZZNS1_16scan_by_key_implILNS1_25lookback_scan_determinismE0ELb1ES3_N6thrust23THRUST_200600_302600_NS6detail15normal_iteratorINS9_10device_ptrIiEEEESE_SE_iNS9_4plusIiEE19head_flag_predicateiEE10hipError_tPvRmT2_T3_T4_T5_mT6_T7_P12ihipStream_tbENKUlT_T0_E_clISt17integral_constantIbLb1EESY_EEDaST_SU_EUlST_E_NS1_11comp_targetILNS1_3genE10ELNS1_11target_archE1200ELNS1_3gpuE4ELNS1_3repE0EEENS1_30default_config_static_selectorELNS0_4arch9wavefront6targetE1EEEvT1_,comdat
.Lfunc_end800:
	.size	_ZN7rocprim17ROCPRIM_400000_NS6detail17trampoline_kernelINS0_14default_configENS1_27scan_by_key_config_selectorIiiEEZZNS1_16scan_by_key_implILNS1_25lookback_scan_determinismE0ELb1ES3_N6thrust23THRUST_200600_302600_NS6detail15normal_iteratorINS9_10device_ptrIiEEEESE_SE_iNS9_4plusIiEE19head_flag_predicateiEE10hipError_tPvRmT2_T3_T4_T5_mT6_T7_P12ihipStream_tbENKUlT_T0_E_clISt17integral_constantIbLb1EESY_EEDaST_SU_EUlST_E_NS1_11comp_targetILNS1_3genE10ELNS1_11target_archE1200ELNS1_3gpuE4ELNS1_3repE0EEENS1_30default_config_static_selectorELNS0_4arch9wavefront6targetE1EEEvT1_, .Lfunc_end800-_ZN7rocprim17ROCPRIM_400000_NS6detail17trampoline_kernelINS0_14default_configENS1_27scan_by_key_config_selectorIiiEEZZNS1_16scan_by_key_implILNS1_25lookback_scan_determinismE0ELb1ES3_N6thrust23THRUST_200600_302600_NS6detail15normal_iteratorINS9_10device_ptrIiEEEESE_SE_iNS9_4plusIiEE19head_flag_predicateiEE10hipError_tPvRmT2_T3_T4_T5_mT6_T7_P12ihipStream_tbENKUlT_T0_E_clISt17integral_constantIbLb1EESY_EEDaST_SU_EUlST_E_NS1_11comp_targetILNS1_3genE10ELNS1_11target_archE1200ELNS1_3gpuE4ELNS1_3repE0EEENS1_30default_config_static_selectorELNS0_4arch9wavefront6targetE1EEEvT1_
                                        ; -- End function
	.section	.AMDGPU.csdata,"",@progbits
; Kernel info:
; codeLenInByte = 0
; NumSgprs: 4
; NumVgprs: 0
; NumAgprs: 0
; TotalNumVgprs: 0
; ScratchSize: 0
; MemoryBound: 0
; FloatMode: 240
; IeeeMode: 1
; LDSByteSize: 0 bytes/workgroup (compile time only)
; SGPRBlocks: 0
; VGPRBlocks: 0
; NumSGPRsForWavesPerEU: 4
; NumVGPRsForWavesPerEU: 1
; AccumOffset: 4
; Occupancy: 8
; WaveLimiterHint : 0
; COMPUTE_PGM_RSRC2:SCRATCH_EN: 0
; COMPUTE_PGM_RSRC2:USER_SGPR: 6
; COMPUTE_PGM_RSRC2:TRAP_HANDLER: 0
; COMPUTE_PGM_RSRC2:TGID_X_EN: 1
; COMPUTE_PGM_RSRC2:TGID_Y_EN: 0
; COMPUTE_PGM_RSRC2:TGID_Z_EN: 0
; COMPUTE_PGM_RSRC2:TIDIG_COMP_CNT: 0
; COMPUTE_PGM_RSRC3_GFX90A:ACCUM_OFFSET: 0
; COMPUTE_PGM_RSRC3_GFX90A:TG_SPLIT: 0
	.section	.text._ZN7rocprim17ROCPRIM_400000_NS6detail17trampoline_kernelINS0_14default_configENS1_27scan_by_key_config_selectorIiiEEZZNS1_16scan_by_key_implILNS1_25lookback_scan_determinismE0ELb1ES3_N6thrust23THRUST_200600_302600_NS6detail15normal_iteratorINS9_10device_ptrIiEEEESE_SE_iNS9_4plusIiEE19head_flag_predicateiEE10hipError_tPvRmT2_T3_T4_T5_mT6_T7_P12ihipStream_tbENKUlT_T0_E_clISt17integral_constantIbLb1EESY_EEDaST_SU_EUlST_E_NS1_11comp_targetILNS1_3genE9ELNS1_11target_archE1100ELNS1_3gpuE3ELNS1_3repE0EEENS1_30default_config_static_selectorELNS0_4arch9wavefront6targetE1EEEvT1_,"axG",@progbits,_ZN7rocprim17ROCPRIM_400000_NS6detail17trampoline_kernelINS0_14default_configENS1_27scan_by_key_config_selectorIiiEEZZNS1_16scan_by_key_implILNS1_25lookback_scan_determinismE0ELb1ES3_N6thrust23THRUST_200600_302600_NS6detail15normal_iteratorINS9_10device_ptrIiEEEESE_SE_iNS9_4plusIiEE19head_flag_predicateiEE10hipError_tPvRmT2_T3_T4_T5_mT6_T7_P12ihipStream_tbENKUlT_T0_E_clISt17integral_constantIbLb1EESY_EEDaST_SU_EUlST_E_NS1_11comp_targetILNS1_3genE9ELNS1_11target_archE1100ELNS1_3gpuE3ELNS1_3repE0EEENS1_30default_config_static_selectorELNS0_4arch9wavefront6targetE1EEEvT1_,comdat
	.protected	_ZN7rocprim17ROCPRIM_400000_NS6detail17trampoline_kernelINS0_14default_configENS1_27scan_by_key_config_selectorIiiEEZZNS1_16scan_by_key_implILNS1_25lookback_scan_determinismE0ELb1ES3_N6thrust23THRUST_200600_302600_NS6detail15normal_iteratorINS9_10device_ptrIiEEEESE_SE_iNS9_4plusIiEE19head_flag_predicateiEE10hipError_tPvRmT2_T3_T4_T5_mT6_T7_P12ihipStream_tbENKUlT_T0_E_clISt17integral_constantIbLb1EESY_EEDaST_SU_EUlST_E_NS1_11comp_targetILNS1_3genE9ELNS1_11target_archE1100ELNS1_3gpuE3ELNS1_3repE0EEENS1_30default_config_static_selectorELNS0_4arch9wavefront6targetE1EEEvT1_ ; -- Begin function _ZN7rocprim17ROCPRIM_400000_NS6detail17trampoline_kernelINS0_14default_configENS1_27scan_by_key_config_selectorIiiEEZZNS1_16scan_by_key_implILNS1_25lookback_scan_determinismE0ELb1ES3_N6thrust23THRUST_200600_302600_NS6detail15normal_iteratorINS9_10device_ptrIiEEEESE_SE_iNS9_4plusIiEE19head_flag_predicateiEE10hipError_tPvRmT2_T3_T4_T5_mT6_T7_P12ihipStream_tbENKUlT_T0_E_clISt17integral_constantIbLb1EESY_EEDaST_SU_EUlST_E_NS1_11comp_targetILNS1_3genE9ELNS1_11target_archE1100ELNS1_3gpuE3ELNS1_3repE0EEENS1_30default_config_static_selectorELNS0_4arch9wavefront6targetE1EEEvT1_
	.globl	_ZN7rocprim17ROCPRIM_400000_NS6detail17trampoline_kernelINS0_14default_configENS1_27scan_by_key_config_selectorIiiEEZZNS1_16scan_by_key_implILNS1_25lookback_scan_determinismE0ELb1ES3_N6thrust23THRUST_200600_302600_NS6detail15normal_iteratorINS9_10device_ptrIiEEEESE_SE_iNS9_4plusIiEE19head_flag_predicateiEE10hipError_tPvRmT2_T3_T4_T5_mT6_T7_P12ihipStream_tbENKUlT_T0_E_clISt17integral_constantIbLb1EESY_EEDaST_SU_EUlST_E_NS1_11comp_targetILNS1_3genE9ELNS1_11target_archE1100ELNS1_3gpuE3ELNS1_3repE0EEENS1_30default_config_static_selectorELNS0_4arch9wavefront6targetE1EEEvT1_
	.p2align	8
	.type	_ZN7rocprim17ROCPRIM_400000_NS6detail17trampoline_kernelINS0_14default_configENS1_27scan_by_key_config_selectorIiiEEZZNS1_16scan_by_key_implILNS1_25lookback_scan_determinismE0ELb1ES3_N6thrust23THRUST_200600_302600_NS6detail15normal_iteratorINS9_10device_ptrIiEEEESE_SE_iNS9_4plusIiEE19head_flag_predicateiEE10hipError_tPvRmT2_T3_T4_T5_mT6_T7_P12ihipStream_tbENKUlT_T0_E_clISt17integral_constantIbLb1EESY_EEDaST_SU_EUlST_E_NS1_11comp_targetILNS1_3genE9ELNS1_11target_archE1100ELNS1_3gpuE3ELNS1_3repE0EEENS1_30default_config_static_selectorELNS0_4arch9wavefront6targetE1EEEvT1_,@function
_ZN7rocprim17ROCPRIM_400000_NS6detail17trampoline_kernelINS0_14default_configENS1_27scan_by_key_config_selectorIiiEEZZNS1_16scan_by_key_implILNS1_25lookback_scan_determinismE0ELb1ES3_N6thrust23THRUST_200600_302600_NS6detail15normal_iteratorINS9_10device_ptrIiEEEESE_SE_iNS9_4plusIiEE19head_flag_predicateiEE10hipError_tPvRmT2_T3_T4_T5_mT6_T7_P12ihipStream_tbENKUlT_T0_E_clISt17integral_constantIbLb1EESY_EEDaST_SU_EUlST_E_NS1_11comp_targetILNS1_3genE9ELNS1_11target_archE1100ELNS1_3gpuE3ELNS1_3repE0EEENS1_30default_config_static_selectorELNS0_4arch9wavefront6targetE1EEEvT1_: ; @_ZN7rocprim17ROCPRIM_400000_NS6detail17trampoline_kernelINS0_14default_configENS1_27scan_by_key_config_selectorIiiEEZZNS1_16scan_by_key_implILNS1_25lookback_scan_determinismE0ELb1ES3_N6thrust23THRUST_200600_302600_NS6detail15normal_iteratorINS9_10device_ptrIiEEEESE_SE_iNS9_4plusIiEE19head_flag_predicateiEE10hipError_tPvRmT2_T3_T4_T5_mT6_T7_P12ihipStream_tbENKUlT_T0_E_clISt17integral_constantIbLb1EESY_EEDaST_SU_EUlST_E_NS1_11comp_targetILNS1_3genE9ELNS1_11target_archE1100ELNS1_3gpuE3ELNS1_3repE0EEENS1_30default_config_static_selectorELNS0_4arch9wavefront6targetE1EEEvT1_
; %bb.0:
	.section	.rodata,"a",@progbits
	.p2align	6, 0x0
	.amdhsa_kernel _ZN7rocprim17ROCPRIM_400000_NS6detail17trampoline_kernelINS0_14default_configENS1_27scan_by_key_config_selectorIiiEEZZNS1_16scan_by_key_implILNS1_25lookback_scan_determinismE0ELb1ES3_N6thrust23THRUST_200600_302600_NS6detail15normal_iteratorINS9_10device_ptrIiEEEESE_SE_iNS9_4plusIiEE19head_flag_predicateiEE10hipError_tPvRmT2_T3_T4_T5_mT6_T7_P12ihipStream_tbENKUlT_T0_E_clISt17integral_constantIbLb1EESY_EEDaST_SU_EUlST_E_NS1_11comp_targetILNS1_3genE9ELNS1_11target_archE1100ELNS1_3gpuE3ELNS1_3repE0EEENS1_30default_config_static_selectorELNS0_4arch9wavefront6targetE1EEEvT1_
		.amdhsa_group_segment_fixed_size 0
		.amdhsa_private_segment_fixed_size 0
		.amdhsa_kernarg_size 112
		.amdhsa_user_sgpr_count 6
		.amdhsa_user_sgpr_private_segment_buffer 1
		.amdhsa_user_sgpr_dispatch_ptr 0
		.amdhsa_user_sgpr_queue_ptr 0
		.amdhsa_user_sgpr_kernarg_segment_ptr 1
		.amdhsa_user_sgpr_dispatch_id 0
		.amdhsa_user_sgpr_flat_scratch_init 0
		.amdhsa_user_sgpr_kernarg_preload_length 0
		.amdhsa_user_sgpr_kernarg_preload_offset 0
		.amdhsa_user_sgpr_private_segment_size 0
		.amdhsa_uses_dynamic_stack 0
		.amdhsa_system_sgpr_private_segment_wavefront_offset 0
		.amdhsa_system_sgpr_workgroup_id_x 1
		.amdhsa_system_sgpr_workgroup_id_y 0
		.amdhsa_system_sgpr_workgroup_id_z 0
		.amdhsa_system_sgpr_workgroup_info 0
		.amdhsa_system_vgpr_workitem_id 0
		.amdhsa_next_free_vgpr 1
		.amdhsa_next_free_sgpr 0
		.amdhsa_accum_offset 4
		.amdhsa_reserve_vcc 0
		.amdhsa_reserve_flat_scratch 0
		.amdhsa_float_round_mode_32 0
		.amdhsa_float_round_mode_16_64 0
		.amdhsa_float_denorm_mode_32 3
		.amdhsa_float_denorm_mode_16_64 3
		.amdhsa_dx10_clamp 1
		.amdhsa_ieee_mode 1
		.amdhsa_fp16_overflow 0
		.amdhsa_tg_split 0
		.amdhsa_exception_fp_ieee_invalid_op 0
		.amdhsa_exception_fp_denorm_src 0
		.amdhsa_exception_fp_ieee_div_zero 0
		.amdhsa_exception_fp_ieee_overflow 0
		.amdhsa_exception_fp_ieee_underflow 0
		.amdhsa_exception_fp_ieee_inexact 0
		.amdhsa_exception_int_div_zero 0
	.end_amdhsa_kernel
	.section	.text._ZN7rocprim17ROCPRIM_400000_NS6detail17trampoline_kernelINS0_14default_configENS1_27scan_by_key_config_selectorIiiEEZZNS1_16scan_by_key_implILNS1_25lookback_scan_determinismE0ELb1ES3_N6thrust23THRUST_200600_302600_NS6detail15normal_iteratorINS9_10device_ptrIiEEEESE_SE_iNS9_4plusIiEE19head_flag_predicateiEE10hipError_tPvRmT2_T3_T4_T5_mT6_T7_P12ihipStream_tbENKUlT_T0_E_clISt17integral_constantIbLb1EESY_EEDaST_SU_EUlST_E_NS1_11comp_targetILNS1_3genE9ELNS1_11target_archE1100ELNS1_3gpuE3ELNS1_3repE0EEENS1_30default_config_static_selectorELNS0_4arch9wavefront6targetE1EEEvT1_,"axG",@progbits,_ZN7rocprim17ROCPRIM_400000_NS6detail17trampoline_kernelINS0_14default_configENS1_27scan_by_key_config_selectorIiiEEZZNS1_16scan_by_key_implILNS1_25lookback_scan_determinismE0ELb1ES3_N6thrust23THRUST_200600_302600_NS6detail15normal_iteratorINS9_10device_ptrIiEEEESE_SE_iNS9_4plusIiEE19head_flag_predicateiEE10hipError_tPvRmT2_T3_T4_T5_mT6_T7_P12ihipStream_tbENKUlT_T0_E_clISt17integral_constantIbLb1EESY_EEDaST_SU_EUlST_E_NS1_11comp_targetILNS1_3genE9ELNS1_11target_archE1100ELNS1_3gpuE3ELNS1_3repE0EEENS1_30default_config_static_selectorELNS0_4arch9wavefront6targetE1EEEvT1_,comdat
.Lfunc_end801:
	.size	_ZN7rocprim17ROCPRIM_400000_NS6detail17trampoline_kernelINS0_14default_configENS1_27scan_by_key_config_selectorIiiEEZZNS1_16scan_by_key_implILNS1_25lookback_scan_determinismE0ELb1ES3_N6thrust23THRUST_200600_302600_NS6detail15normal_iteratorINS9_10device_ptrIiEEEESE_SE_iNS9_4plusIiEE19head_flag_predicateiEE10hipError_tPvRmT2_T3_T4_T5_mT6_T7_P12ihipStream_tbENKUlT_T0_E_clISt17integral_constantIbLb1EESY_EEDaST_SU_EUlST_E_NS1_11comp_targetILNS1_3genE9ELNS1_11target_archE1100ELNS1_3gpuE3ELNS1_3repE0EEENS1_30default_config_static_selectorELNS0_4arch9wavefront6targetE1EEEvT1_, .Lfunc_end801-_ZN7rocprim17ROCPRIM_400000_NS6detail17trampoline_kernelINS0_14default_configENS1_27scan_by_key_config_selectorIiiEEZZNS1_16scan_by_key_implILNS1_25lookback_scan_determinismE0ELb1ES3_N6thrust23THRUST_200600_302600_NS6detail15normal_iteratorINS9_10device_ptrIiEEEESE_SE_iNS9_4plusIiEE19head_flag_predicateiEE10hipError_tPvRmT2_T3_T4_T5_mT6_T7_P12ihipStream_tbENKUlT_T0_E_clISt17integral_constantIbLb1EESY_EEDaST_SU_EUlST_E_NS1_11comp_targetILNS1_3genE9ELNS1_11target_archE1100ELNS1_3gpuE3ELNS1_3repE0EEENS1_30default_config_static_selectorELNS0_4arch9wavefront6targetE1EEEvT1_
                                        ; -- End function
	.section	.AMDGPU.csdata,"",@progbits
; Kernel info:
; codeLenInByte = 0
; NumSgprs: 4
; NumVgprs: 0
; NumAgprs: 0
; TotalNumVgprs: 0
; ScratchSize: 0
; MemoryBound: 0
; FloatMode: 240
; IeeeMode: 1
; LDSByteSize: 0 bytes/workgroup (compile time only)
; SGPRBlocks: 0
; VGPRBlocks: 0
; NumSGPRsForWavesPerEU: 4
; NumVGPRsForWavesPerEU: 1
; AccumOffset: 4
; Occupancy: 8
; WaveLimiterHint : 0
; COMPUTE_PGM_RSRC2:SCRATCH_EN: 0
; COMPUTE_PGM_RSRC2:USER_SGPR: 6
; COMPUTE_PGM_RSRC2:TRAP_HANDLER: 0
; COMPUTE_PGM_RSRC2:TGID_X_EN: 1
; COMPUTE_PGM_RSRC2:TGID_Y_EN: 0
; COMPUTE_PGM_RSRC2:TGID_Z_EN: 0
; COMPUTE_PGM_RSRC2:TIDIG_COMP_CNT: 0
; COMPUTE_PGM_RSRC3_GFX90A:ACCUM_OFFSET: 0
; COMPUTE_PGM_RSRC3_GFX90A:TG_SPLIT: 0
	.section	.text._ZN7rocprim17ROCPRIM_400000_NS6detail17trampoline_kernelINS0_14default_configENS1_27scan_by_key_config_selectorIiiEEZZNS1_16scan_by_key_implILNS1_25lookback_scan_determinismE0ELb1ES3_N6thrust23THRUST_200600_302600_NS6detail15normal_iteratorINS9_10device_ptrIiEEEESE_SE_iNS9_4plusIiEE19head_flag_predicateiEE10hipError_tPvRmT2_T3_T4_T5_mT6_T7_P12ihipStream_tbENKUlT_T0_E_clISt17integral_constantIbLb1EESY_EEDaST_SU_EUlST_E_NS1_11comp_targetILNS1_3genE8ELNS1_11target_archE1030ELNS1_3gpuE2ELNS1_3repE0EEENS1_30default_config_static_selectorELNS0_4arch9wavefront6targetE1EEEvT1_,"axG",@progbits,_ZN7rocprim17ROCPRIM_400000_NS6detail17trampoline_kernelINS0_14default_configENS1_27scan_by_key_config_selectorIiiEEZZNS1_16scan_by_key_implILNS1_25lookback_scan_determinismE0ELb1ES3_N6thrust23THRUST_200600_302600_NS6detail15normal_iteratorINS9_10device_ptrIiEEEESE_SE_iNS9_4plusIiEE19head_flag_predicateiEE10hipError_tPvRmT2_T3_T4_T5_mT6_T7_P12ihipStream_tbENKUlT_T0_E_clISt17integral_constantIbLb1EESY_EEDaST_SU_EUlST_E_NS1_11comp_targetILNS1_3genE8ELNS1_11target_archE1030ELNS1_3gpuE2ELNS1_3repE0EEENS1_30default_config_static_selectorELNS0_4arch9wavefront6targetE1EEEvT1_,comdat
	.protected	_ZN7rocprim17ROCPRIM_400000_NS6detail17trampoline_kernelINS0_14default_configENS1_27scan_by_key_config_selectorIiiEEZZNS1_16scan_by_key_implILNS1_25lookback_scan_determinismE0ELb1ES3_N6thrust23THRUST_200600_302600_NS6detail15normal_iteratorINS9_10device_ptrIiEEEESE_SE_iNS9_4plusIiEE19head_flag_predicateiEE10hipError_tPvRmT2_T3_T4_T5_mT6_T7_P12ihipStream_tbENKUlT_T0_E_clISt17integral_constantIbLb1EESY_EEDaST_SU_EUlST_E_NS1_11comp_targetILNS1_3genE8ELNS1_11target_archE1030ELNS1_3gpuE2ELNS1_3repE0EEENS1_30default_config_static_selectorELNS0_4arch9wavefront6targetE1EEEvT1_ ; -- Begin function _ZN7rocprim17ROCPRIM_400000_NS6detail17trampoline_kernelINS0_14default_configENS1_27scan_by_key_config_selectorIiiEEZZNS1_16scan_by_key_implILNS1_25lookback_scan_determinismE0ELb1ES3_N6thrust23THRUST_200600_302600_NS6detail15normal_iteratorINS9_10device_ptrIiEEEESE_SE_iNS9_4plusIiEE19head_flag_predicateiEE10hipError_tPvRmT2_T3_T4_T5_mT6_T7_P12ihipStream_tbENKUlT_T0_E_clISt17integral_constantIbLb1EESY_EEDaST_SU_EUlST_E_NS1_11comp_targetILNS1_3genE8ELNS1_11target_archE1030ELNS1_3gpuE2ELNS1_3repE0EEENS1_30default_config_static_selectorELNS0_4arch9wavefront6targetE1EEEvT1_
	.globl	_ZN7rocprim17ROCPRIM_400000_NS6detail17trampoline_kernelINS0_14default_configENS1_27scan_by_key_config_selectorIiiEEZZNS1_16scan_by_key_implILNS1_25lookback_scan_determinismE0ELb1ES3_N6thrust23THRUST_200600_302600_NS6detail15normal_iteratorINS9_10device_ptrIiEEEESE_SE_iNS9_4plusIiEE19head_flag_predicateiEE10hipError_tPvRmT2_T3_T4_T5_mT6_T7_P12ihipStream_tbENKUlT_T0_E_clISt17integral_constantIbLb1EESY_EEDaST_SU_EUlST_E_NS1_11comp_targetILNS1_3genE8ELNS1_11target_archE1030ELNS1_3gpuE2ELNS1_3repE0EEENS1_30default_config_static_selectorELNS0_4arch9wavefront6targetE1EEEvT1_
	.p2align	8
	.type	_ZN7rocprim17ROCPRIM_400000_NS6detail17trampoline_kernelINS0_14default_configENS1_27scan_by_key_config_selectorIiiEEZZNS1_16scan_by_key_implILNS1_25lookback_scan_determinismE0ELb1ES3_N6thrust23THRUST_200600_302600_NS6detail15normal_iteratorINS9_10device_ptrIiEEEESE_SE_iNS9_4plusIiEE19head_flag_predicateiEE10hipError_tPvRmT2_T3_T4_T5_mT6_T7_P12ihipStream_tbENKUlT_T0_E_clISt17integral_constantIbLb1EESY_EEDaST_SU_EUlST_E_NS1_11comp_targetILNS1_3genE8ELNS1_11target_archE1030ELNS1_3gpuE2ELNS1_3repE0EEENS1_30default_config_static_selectorELNS0_4arch9wavefront6targetE1EEEvT1_,@function
_ZN7rocprim17ROCPRIM_400000_NS6detail17trampoline_kernelINS0_14default_configENS1_27scan_by_key_config_selectorIiiEEZZNS1_16scan_by_key_implILNS1_25lookback_scan_determinismE0ELb1ES3_N6thrust23THRUST_200600_302600_NS6detail15normal_iteratorINS9_10device_ptrIiEEEESE_SE_iNS9_4plusIiEE19head_flag_predicateiEE10hipError_tPvRmT2_T3_T4_T5_mT6_T7_P12ihipStream_tbENKUlT_T0_E_clISt17integral_constantIbLb1EESY_EEDaST_SU_EUlST_E_NS1_11comp_targetILNS1_3genE8ELNS1_11target_archE1030ELNS1_3gpuE2ELNS1_3repE0EEENS1_30default_config_static_selectorELNS0_4arch9wavefront6targetE1EEEvT1_: ; @_ZN7rocprim17ROCPRIM_400000_NS6detail17trampoline_kernelINS0_14default_configENS1_27scan_by_key_config_selectorIiiEEZZNS1_16scan_by_key_implILNS1_25lookback_scan_determinismE0ELb1ES3_N6thrust23THRUST_200600_302600_NS6detail15normal_iteratorINS9_10device_ptrIiEEEESE_SE_iNS9_4plusIiEE19head_flag_predicateiEE10hipError_tPvRmT2_T3_T4_T5_mT6_T7_P12ihipStream_tbENKUlT_T0_E_clISt17integral_constantIbLb1EESY_EEDaST_SU_EUlST_E_NS1_11comp_targetILNS1_3genE8ELNS1_11target_archE1030ELNS1_3gpuE2ELNS1_3repE0EEENS1_30default_config_static_selectorELNS0_4arch9wavefront6targetE1EEEvT1_
; %bb.0:
	.section	.rodata,"a",@progbits
	.p2align	6, 0x0
	.amdhsa_kernel _ZN7rocprim17ROCPRIM_400000_NS6detail17trampoline_kernelINS0_14default_configENS1_27scan_by_key_config_selectorIiiEEZZNS1_16scan_by_key_implILNS1_25lookback_scan_determinismE0ELb1ES3_N6thrust23THRUST_200600_302600_NS6detail15normal_iteratorINS9_10device_ptrIiEEEESE_SE_iNS9_4plusIiEE19head_flag_predicateiEE10hipError_tPvRmT2_T3_T4_T5_mT6_T7_P12ihipStream_tbENKUlT_T0_E_clISt17integral_constantIbLb1EESY_EEDaST_SU_EUlST_E_NS1_11comp_targetILNS1_3genE8ELNS1_11target_archE1030ELNS1_3gpuE2ELNS1_3repE0EEENS1_30default_config_static_selectorELNS0_4arch9wavefront6targetE1EEEvT1_
		.amdhsa_group_segment_fixed_size 0
		.amdhsa_private_segment_fixed_size 0
		.amdhsa_kernarg_size 112
		.amdhsa_user_sgpr_count 6
		.amdhsa_user_sgpr_private_segment_buffer 1
		.amdhsa_user_sgpr_dispatch_ptr 0
		.amdhsa_user_sgpr_queue_ptr 0
		.amdhsa_user_sgpr_kernarg_segment_ptr 1
		.amdhsa_user_sgpr_dispatch_id 0
		.amdhsa_user_sgpr_flat_scratch_init 0
		.amdhsa_user_sgpr_kernarg_preload_length 0
		.amdhsa_user_sgpr_kernarg_preload_offset 0
		.amdhsa_user_sgpr_private_segment_size 0
		.amdhsa_uses_dynamic_stack 0
		.amdhsa_system_sgpr_private_segment_wavefront_offset 0
		.amdhsa_system_sgpr_workgroup_id_x 1
		.amdhsa_system_sgpr_workgroup_id_y 0
		.amdhsa_system_sgpr_workgroup_id_z 0
		.amdhsa_system_sgpr_workgroup_info 0
		.amdhsa_system_vgpr_workitem_id 0
		.amdhsa_next_free_vgpr 1
		.amdhsa_next_free_sgpr 0
		.amdhsa_accum_offset 4
		.amdhsa_reserve_vcc 0
		.amdhsa_reserve_flat_scratch 0
		.amdhsa_float_round_mode_32 0
		.amdhsa_float_round_mode_16_64 0
		.amdhsa_float_denorm_mode_32 3
		.amdhsa_float_denorm_mode_16_64 3
		.amdhsa_dx10_clamp 1
		.amdhsa_ieee_mode 1
		.amdhsa_fp16_overflow 0
		.amdhsa_tg_split 0
		.amdhsa_exception_fp_ieee_invalid_op 0
		.amdhsa_exception_fp_denorm_src 0
		.amdhsa_exception_fp_ieee_div_zero 0
		.amdhsa_exception_fp_ieee_overflow 0
		.amdhsa_exception_fp_ieee_underflow 0
		.amdhsa_exception_fp_ieee_inexact 0
		.amdhsa_exception_int_div_zero 0
	.end_amdhsa_kernel
	.section	.text._ZN7rocprim17ROCPRIM_400000_NS6detail17trampoline_kernelINS0_14default_configENS1_27scan_by_key_config_selectorIiiEEZZNS1_16scan_by_key_implILNS1_25lookback_scan_determinismE0ELb1ES3_N6thrust23THRUST_200600_302600_NS6detail15normal_iteratorINS9_10device_ptrIiEEEESE_SE_iNS9_4plusIiEE19head_flag_predicateiEE10hipError_tPvRmT2_T3_T4_T5_mT6_T7_P12ihipStream_tbENKUlT_T0_E_clISt17integral_constantIbLb1EESY_EEDaST_SU_EUlST_E_NS1_11comp_targetILNS1_3genE8ELNS1_11target_archE1030ELNS1_3gpuE2ELNS1_3repE0EEENS1_30default_config_static_selectorELNS0_4arch9wavefront6targetE1EEEvT1_,"axG",@progbits,_ZN7rocprim17ROCPRIM_400000_NS6detail17trampoline_kernelINS0_14default_configENS1_27scan_by_key_config_selectorIiiEEZZNS1_16scan_by_key_implILNS1_25lookback_scan_determinismE0ELb1ES3_N6thrust23THRUST_200600_302600_NS6detail15normal_iteratorINS9_10device_ptrIiEEEESE_SE_iNS9_4plusIiEE19head_flag_predicateiEE10hipError_tPvRmT2_T3_T4_T5_mT6_T7_P12ihipStream_tbENKUlT_T0_E_clISt17integral_constantIbLb1EESY_EEDaST_SU_EUlST_E_NS1_11comp_targetILNS1_3genE8ELNS1_11target_archE1030ELNS1_3gpuE2ELNS1_3repE0EEENS1_30default_config_static_selectorELNS0_4arch9wavefront6targetE1EEEvT1_,comdat
.Lfunc_end802:
	.size	_ZN7rocprim17ROCPRIM_400000_NS6detail17trampoline_kernelINS0_14default_configENS1_27scan_by_key_config_selectorIiiEEZZNS1_16scan_by_key_implILNS1_25lookback_scan_determinismE0ELb1ES3_N6thrust23THRUST_200600_302600_NS6detail15normal_iteratorINS9_10device_ptrIiEEEESE_SE_iNS9_4plusIiEE19head_flag_predicateiEE10hipError_tPvRmT2_T3_T4_T5_mT6_T7_P12ihipStream_tbENKUlT_T0_E_clISt17integral_constantIbLb1EESY_EEDaST_SU_EUlST_E_NS1_11comp_targetILNS1_3genE8ELNS1_11target_archE1030ELNS1_3gpuE2ELNS1_3repE0EEENS1_30default_config_static_selectorELNS0_4arch9wavefront6targetE1EEEvT1_, .Lfunc_end802-_ZN7rocprim17ROCPRIM_400000_NS6detail17trampoline_kernelINS0_14default_configENS1_27scan_by_key_config_selectorIiiEEZZNS1_16scan_by_key_implILNS1_25lookback_scan_determinismE0ELb1ES3_N6thrust23THRUST_200600_302600_NS6detail15normal_iteratorINS9_10device_ptrIiEEEESE_SE_iNS9_4plusIiEE19head_flag_predicateiEE10hipError_tPvRmT2_T3_T4_T5_mT6_T7_P12ihipStream_tbENKUlT_T0_E_clISt17integral_constantIbLb1EESY_EEDaST_SU_EUlST_E_NS1_11comp_targetILNS1_3genE8ELNS1_11target_archE1030ELNS1_3gpuE2ELNS1_3repE0EEENS1_30default_config_static_selectorELNS0_4arch9wavefront6targetE1EEEvT1_
                                        ; -- End function
	.section	.AMDGPU.csdata,"",@progbits
; Kernel info:
; codeLenInByte = 0
; NumSgprs: 4
; NumVgprs: 0
; NumAgprs: 0
; TotalNumVgprs: 0
; ScratchSize: 0
; MemoryBound: 0
; FloatMode: 240
; IeeeMode: 1
; LDSByteSize: 0 bytes/workgroup (compile time only)
; SGPRBlocks: 0
; VGPRBlocks: 0
; NumSGPRsForWavesPerEU: 4
; NumVGPRsForWavesPerEU: 1
; AccumOffset: 4
; Occupancy: 8
; WaveLimiterHint : 0
; COMPUTE_PGM_RSRC2:SCRATCH_EN: 0
; COMPUTE_PGM_RSRC2:USER_SGPR: 6
; COMPUTE_PGM_RSRC2:TRAP_HANDLER: 0
; COMPUTE_PGM_RSRC2:TGID_X_EN: 1
; COMPUTE_PGM_RSRC2:TGID_Y_EN: 0
; COMPUTE_PGM_RSRC2:TGID_Z_EN: 0
; COMPUTE_PGM_RSRC2:TIDIG_COMP_CNT: 0
; COMPUTE_PGM_RSRC3_GFX90A:ACCUM_OFFSET: 0
; COMPUTE_PGM_RSRC3_GFX90A:TG_SPLIT: 0
	.section	.text._ZN7rocprim17ROCPRIM_400000_NS6detail17trampoline_kernelINS0_14default_configENS1_27scan_by_key_config_selectorIiiEEZZNS1_16scan_by_key_implILNS1_25lookback_scan_determinismE0ELb1ES3_N6thrust23THRUST_200600_302600_NS6detail15normal_iteratorINS9_10device_ptrIiEEEESE_SE_iNS9_4plusIiEE19head_flag_predicateiEE10hipError_tPvRmT2_T3_T4_T5_mT6_T7_P12ihipStream_tbENKUlT_T0_E_clISt17integral_constantIbLb1EESX_IbLb0EEEEDaST_SU_EUlST_E_NS1_11comp_targetILNS1_3genE0ELNS1_11target_archE4294967295ELNS1_3gpuE0ELNS1_3repE0EEENS1_30default_config_static_selectorELNS0_4arch9wavefront6targetE1EEEvT1_,"axG",@progbits,_ZN7rocprim17ROCPRIM_400000_NS6detail17trampoline_kernelINS0_14default_configENS1_27scan_by_key_config_selectorIiiEEZZNS1_16scan_by_key_implILNS1_25lookback_scan_determinismE0ELb1ES3_N6thrust23THRUST_200600_302600_NS6detail15normal_iteratorINS9_10device_ptrIiEEEESE_SE_iNS9_4plusIiEE19head_flag_predicateiEE10hipError_tPvRmT2_T3_T4_T5_mT6_T7_P12ihipStream_tbENKUlT_T0_E_clISt17integral_constantIbLb1EESX_IbLb0EEEEDaST_SU_EUlST_E_NS1_11comp_targetILNS1_3genE0ELNS1_11target_archE4294967295ELNS1_3gpuE0ELNS1_3repE0EEENS1_30default_config_static_selectorELNS0_4arch9wavefront6targetE1EEEvT1_,comdat
	.protected	_ZN7rocprim17ROCPRIM_400000_NS6detail17trampoline_kernelINS0_14default_configENS1_27scan_by_key_config_selectorIiiEEZZNS1_16scan_by_key_implILNS1_25lookback_scan_determinismE0ELb1ES3_N6thrust23THRUST_200600_302600_NS6detail15normal_iteratorINS9_10device_ptrIiEEEESE_SE_iNS9_4plusIiEE19head_flag_predicateiEE10hipError_tPvRmT2_T3_T4_T5_mT6_T7_P12ihipStream_tbENKUlT_T0_E_clISt17integral_constantIbLb1EESX_IbLb0EEEEDaST_SU_EUlST_E_NS1_11comp_targetILNS1_3genE0ELNS1_11target_archE4294967295ELNS1_3gpuE0ELNS1_3repE0EEENS1_30default_config_static_selectorELNS0_4arch9wavefront6targetE1EEEvT1_ ; -- Begin function _ZN7rocprim17ROCPRIM_400000_NS6detail17trampoline_kernelINS0_14default_configENS1_27scan_by_key_config_selectorIiiEEZZNS1_16scan_by_key_implILNS1_25lookback_scan_determinismE0ELb1ES3_N6thrust23THRUST_200600_302600_NS6detail15normal_iteratorINS9_10device_ptrIiEEEESE_SE_iNS9_4plusIiEE19head_flag_predicateiEE10hipError_tPvRmT2_T3_T4_T5_mT6_T7_P12ihipStream_tbENKUlT_T0_E_clISt17integral_constantIbLb1EESX_IbLb0EEEEDaST_SU_EUlST_E_NS1_11comp_targetILNS1_3genE0ELNS1_11target_archE4294967295ELNS1_3gpuE0ELNS1_3repE0EEENS1_30default_config_static_selectorELNS0_4arch9wavefront6targetE1EEEvT1_
	.globl	_ZN7rocprim17ROCPRIM_400000_NS6detail17trampoline_kernelINS0_14default_configENS1_27scan_by_key_config_selectorIiiEEZZNS1_16scan_by_key_implILNS1_25lookback_scan_determinismE0ELb1ES3_N6thrust23THRUST_200600_302600_NS6detail15normal_iteratorINS9_10device_ptrIiEEEESE_SE_iNS9_4plusIiEE19head_flag_predicateiEE10hipError_tPvRmT2_T3_T4_T5_mT6_T7_P12ihipStream_tbENKUlT_T0_E_clISt17integral_constantIbLb1EESX_IbLb0EEEEDaST_SU_EUlST_E_NS1_11comp_targetILNS1_3genE0ELNS1_11target_archE4294967295ELNS1_3gpuE0ELNS1_3repE0EEENS1_30default_config_static_selectorELNS0_4arch9wavefront6targetE1EEEvT1_
	.p2align	8
	.type	_ZN7rocprim17ROCPRIM_400000_NS6detail17trampoline_kernelINS0_14default_configENS1_27scan_by_key_config_selectorIiiEEZZNS1_16scan_by_key_implILNS1_25lookback_scan_determinismE0ELb1ES3_N6thrust23THRUST_200600_302600_NS6detail15normal_iteratorINS9_10device_ptrIiEEEESE_SE_iNS9_4plusIiEE19head_flag_predicateiEE10hipError_tPvRmT2_T3_T4_T5_mT6_T7_P12ihipStream_tbENKUlT_T0_E_clISt17integral_constantIbLb1EESX_IbLb0EEEEDaST_SU_EUlST_E_NS1_11comp_targetILNS1_3genE0ELNS1_11target_archE4294967295ELNS1_3gpuE0ELNS1_3repE0EEENS1_30default_config_static_selectorELNS0_4arch9wavefront6targetE1EEEvT1_,@function
_ZN7rocprim17ROCPRIM_400000_NS6detail17trampoline_kernelINS0_14default_configENS1_27scan_by_key_config_selectorIiiEEZZNS1_16scan_by_key_implILNS1_25lookback_scan_determinismE0ELb1ES3_N6thrust23THRUST_200600_302600_NS6detail15normal_iteratorINS9_10device_ptrIiEEEESE_SE_iNS9_4plusIiEE19head_flag_predicateiEE10hipError_tPvRmT2_T3_T4_T5_mT6_T7_P12ihipStream_tbENKUlT_T0_E_clISt17integral_constantIbLb1EESX_IbLb0EEEEDaST_SU_EUlST_E_NS1_11comp_targetILNS1_3genE0ELNS1_11target_archE4294967295ELNS1_3gpuE0ELNS1_3repE0EEENS1_30default_config_static_selectorELNS0_4arch9wavefront6targetE1EEEvT1_: ; @_ZN7rocprim17ROCPRIM_400000_NS6detail17trampoline_kernelINS0_14default_configENS1_27scan_by_key_config_selectorIiiEEZZNS1_16scan_by_key_implILNS1_25lookback_scan_determinismE0ELb1ES3_N6thrust23THRUST_200600_302600_NS6detail15normal_iteratorINS9_10device_ptrIiEEEESE_SE_iNS9_4plusIiEE19head_flag_predicateiEE10hipError_tPvRmT2_T3_T4_T5_mT6_T7_P12ihipStream_tbENKUlT_T0_E_clISt17integral_constantIbLb1EESX_IbLb0EEEEDaST_SU_EUlST_E_NS1_11comp_targetILNS1_3genE0ELNS1_11target_archE4294967295ELNS1_3gpuE0ELNS1_3repE0EEENS1_30default_config_static_selectorELNS0_4arch9wavefront6targetE1EEEvT1_
; %bb.0:
	.section	.rodata,"a",@progbits
	.p2align	6, 0x0
	.amdhsa_kernel _ZN7rocprim17ROCPRIM_400000_NS6detail17trampoline_kernelINS0_14default_configENS1_27scan_by_key_config_selectorIiiEEZZNS1_16scan_by_key_implILNS1_25lookback_scan_determinismE0ELb1ES3_N6thrust23THRUST_200600_302600_NS6detail15normal_iteratorINS9_10device_ptrIiEEEESE_SE_iNS9_4plusIiEE19head_flag_predicateiEE10hipError_tPvRmT2_T3_T4_T5_mT6_T7_P12ihipStream_tbENKUlT_T0_E_clISt17integral_constantIbLb1EESX_IbLb0EEEEDaST_SU_EUlST_E_NS1_11comp_targetILNS1_3genE0ELNS1_11target_archE4294967295ELNS1_3gpuE0ELNS1_3repE0EEENS1_30default_config_static_selectorELNS0_4arch9wavefront6targetE1EEEvT1_
		.amdhsa_group_segment_fixed_size 0
		.amdhsa_private_segment_fixed_size 0
		.amdhsa_kernarg_size 112
		.amdhsa_user_sgpr_count 6
		.amdhsa_user_sgpr_private_segment_buffer 1
		.amdhsa_user_sgpr_dispatch_ptr 0
		.amdhsa_user_sgpr_queue_ptr 0
		.amdhsa_user_sgpr_kernarg_segment_ptr 1
		.amdhsa_user_sgpr_dispatch_id 0
		.amdhsa_user_sgpr_flat_scratch_init 0
		.amdhsa_user_sgpr_kernarg_preload_length 0
		.amdhsa_user_sgpr_kernarg_preload_offset 0
		.amdhsa_user_sgpr_private_segment_size 0
		.amdhsa_uses_dynamic_stack 0
		.amdhsa_system_sgpr_private_segment_wavefront_offset 0
		.amdhsa_system_sgpr_workgroup_id_x 1
		.amdhsa_system_sgpr_workgroup_id_y 0
		.amdhsa_system_sgpr_workgroup_id_z 0
		.amdhsa_system_sgpr_workgroup_info 0
		.amdhsa_system_vgpr_workitem_id 0
		.amdhsa_next_free_vgpr 1
		.amdhsa_next_free_sgpr 0
		.amdhsa_accum_offset 4
		.amdhsa_reserve_vcc 0
		.amdhsa_reserve_flat_scratch 0
		.amdhsa_float_round_mode_32 0
		.amdhsa_float_round_mode_16_64 0
		.amdhsa_float_denorm_mode_32 3
		.amdhsa_float_denorm_mode_16_64 3
		.amdhsa_dx10_clamp 1
		.amdhsa_ieee_mode 1
		.amdhsa_fp16_overflow 0
		.amdhsa_tg_split 0
		.amdhsa_exception_fp_ieee_invalid_op 0
		.amdhsa_exception_fp_denorm_src 0
		.amdhsa_exception_fp_ieee_div_zero 0
		.amdhsa_exception_fp_ieee_overflow 0
		.amdhsa_exception_fp_ieee_underflow 0
		.amdhsa_exception_fp_ieee_inexact 0
		.amdhsa_exception_int_div_zero 0
	.end_amdhsa_kernel
	.section	.text._ZN7rocprim17ROCPRIM_400000_NS6detail17trampoline_kernelINS0_14default_configENS1_27scan_by_key_config_selectorIiiEEZZNS1_16scan_by_key_implILNS1_25lookback_scan_determinismE0ELb1ES3_N6thrust23THRUST_200600_302600_NS6detail15normal_iteratorINS9_10device_ptrIiEEEESE_SE_iNS9_4plusIiEE19head_flag_predicateiEE10hipError_tPvRmT2_T3_T4_T5_mT6_T7_P12ihipStream_tbENKUlT_T0_E_clISt17integral_constantIbLb1EESX_IbLb0EEEEDaST_SU_EUlST_E_NS1_11comp_targetILNS1_3genE0ELNS1_11target_archE4294967295ELNS1_3gpuE0ELNS1_3repE0EEENS1_30default_config_static_selectorELNS0_4arch9wavefront6targetE1EEEvT1_,"axG",@progbits,_ZN7rocprim17ROCPRIM_400000_NS6detail17trampoline_kernelINS0_14default_configENS1_27scan_by_key_config_selectorIiiEEZZNS1_16scan_by_key_implILNS1_25lookback_scan_determinismE0ELb1ES3_N6thrust23THRUST_200600_302600_NS6detail15normal_iteratorINS9_10device_ptrIiEEEESE_SE_iNS9_4plusIiEE19head_flag_predicateiEE10hipError_tPvRmT2_T3_T4_T5_mT6_T7_P12ihipStream_tbENKUlT_T0_E_clISt17integral_constantIbLb1EESX_IbLb0EEEEDaST_SU_EUlST_E_NS1_11comp_targetILNS1_3genE0ELNS1_11target_archE4294967295ELNS1_3gpuE0ELNS1_3repE0EEENS1_30default_config_static_selectorELNS0_4arch9wavefront6targetE1EEEvT1_,comdat
.Lfunc_end803:
	.size	_ZN7rocprim17ROCPRIM_400000_NS6detail17trampoline_kernelINS0_14default_configENS1_27scan_by_key_config_selectorIiiEEZZNS1_16scan_by_key_implILNS1_25lookback_scan_determinismE0ELb1ES3_N6thrust23THRUST_200600_302600_NS6detail15normal_iteratorINS9_10device_ptrIiEEEESE_SE_iNS9_4plusIiEE19head_flag_predicateiEE10hipError_tPvRmT2_T3_T4_T5_mT6_T7_P12ihipStream_tbENKUlT_T0_E_clISt17integral_constantIbLb1EESX_IbLb0EEEEDaST_SU_EUlST_E_NS1_11comp_targetILNS1_3genE0ELNS1_11target_archE4294967295ELNS1_3gpuE0ELNS1_3repE0EEENS1_30default_config_static_selectorELNS0_4arch9wavefront6targetE1EEEvT1_, .Lfunc_end803-_ZN7rocprim17ROCPRIM_400000_NS6detail17trampoline_kernelINS0_14default_configENS1_27scan_by_key_config_selectorIiiEEZZNS1_16scan_by_key_implILNS1_25lookback_scan_determinismE0ELb1ES3_N6thrust23THRUST_200600_302600_NS6detail15normal_iteratorINS9_10device_ptrIiEEEESE_SE_iNS9_4plusIiEE19head_flag_predicateiEE10hipError_tPvRmT2_T3_T4_T5_mT6_T7_P12ihipStream_tbENKUlT_T0_E_clISt17integral_constantIbLb1EESX_IbLb0EEEEDaST_SU_EUlST_E_NS1_11comp_targetILNS1_3genE0ELNS1_11target_archE4294967295ELNS1_3gpuE0ELNS1_3repE0EEENS1_30default_config_static_selectorELNS0_4arch9wavefront6targetE1EEEvT1_
                                        ; -- End function
	.section	.AMDGPU.csdata,"",@progbits
; Kernel info:
; codeLenInByte = 0
; NumSgprs: 4
; NumVgprs: 0
; NumAgprs: 0
; TotalNumVgprs: 0
; ScratchSize: 0
; MemoryBound: 0
; FloatMode: 240
; IeeeMode: 1
; LDSByteSize: 0 bytes/workgroup (compile time only)
; SGPRBlocks: 0
; VGPRBlocks: 0
; NumSGPRsForWavesPerEU: 4
; NumVGPRsForWavesPerEU: 1
; AccumOffset: 4
; Occupancy: 8
; WaveLimiterHint : 0
; COMPUTE_PGM_RSRC2:SCRATCH_EN: 0
; COMPUTE_PGM_RSRC2:USER_SGPR: 6
; COMPUTE_PGM_RSRC2:TRAP_HANDLER: 0
; COMPUTE_PGM_RSRC2:TGID_X_EN: 1
; COMPUTE_PGM_RSRC2:TGID_Y_EN: 0
; COMPUTE_PGM_RSRC2:TGID_Z_EN: 0
; COMPUTE_PGM_RSRC2:TIDIG_COMP_CNT: 0
; COMPUTE_PGM_RSRC3_GFX90A:ACCUM_OFFSET: 0
; COMPUTE_PGM_RSRC3_GFX90A:TG_SPLIT: 0
	.section	.text._ZN7rocprim17ROCPRIM_400000_NS6detail17trampoline_kernelINS0_14default_configENS1_27scan_by_key_config_selectorIiiEEZZNS1_16scan_by_key_implILNS1_25lookback_scan_determinismE0ELb1ES3_N6thrust23THRUST_200600_302600_NS6detail15normal_iteratorINS9_10device_ptrIiEEEESE_SE_iNS9_4plusIiEE19head_flag_predicateiEE10hipError_tPvRmT2_T3_T4_T5_mT6_T7_P12ihipStream_tbENKUlT_T0_E_clISt17integral_constantIbLb1EESX_IbLb0EEEEDaST_SU_EUlST_E_NS1_11comp_targetILNS1_3genE10ELNS1_11target_archE1201ELNS1_3gpuE5ELNS1_3repE0EEENS1_30default_config_static_selectorELNS0_4arch9wavefront6targetE1EEEvT1_,"axG",@progbits,_ZN7rocprim17ROCPRIM_400000_NS6detail17trampoline_kernelINS0_14default_configENS1_27scan_by_key_config_selectorIiiEEZZNS1_16scan_by_key_implILNS1_25lookback_scan_determinismE0ELb1ES3_N6thrust23THRUST_200600_302600_NS6detail15normal_iteratorINS9_10device_ptrIiEEEESE_SE_iNS9_4plusIiEE19head_flag_predicateiEE10hipError_tPvRmT2_T3_T4_T5_mT6_T7_P12ihipStream_tbENKUlT_T0_E_clISt17integral_constantIbLb1EESX_IbLb0EEEEDaST_SU_EUlST_E_NS1_11comp_targetILNS1_3genE10ELNS1_11target_archE1201ELNS1_3gpuE5ELNS1_3repE0EEENS1_30default_config_static_selectorELNS0_4arch9wavefront6targetE1EEEvT1_,comdat
	.protected	_ZN7rocprim17ROCPRIM_400000_NS6detail17trampoline_kernelINS0_14default_configENS1_27scan_by_key_config_selectorIiiEEZZNS1_16scan_by_key_implILNS1_25lookback_scan_determinismE0ELb1ES3_N6thrust23THRUST_200600_302600_NS6detail15normal_iteratorINS9_10device_ptrIiEEEESE_SE_iNS9_4plusIiEE19head_flag_predicateiEE10hipError_tPvRmT2_T3_T4_T5_mT6_T7_P12ihipStream_tbENKUlT_T0_E_clISt17integral_constantIbLb1EESX_IbLb0EEEEDaST_SU_EUlST_E_NS1_11comp_targetILNS1_3genE10ELNS1_11target_archE1201ELNS1_3gpuE5ELNS1_3repE0EEENS1_30default_config_static_selectorELNS0_4arch9wavefront6targetE1EEEvT1_ ; -- Begin function _ZN7rocprim17ROCPRIM_400000_NS6detail17trampoline_kernelINS0_14default_configENS1_27scan_by_key_config_selectorIiiEEZZNS1_16scan_by_key_implILNS1_25lookback_scan_determinismE0ELb1ES3_N6thrust23THRUST_200600_302600_NS6detail15normal_iteratorINS9_10device_ptrIiEEEESE_SE_iNS9_4plusIiEE19head_flag_predicateiEE10hipError_tPvRmT2_T3_T4_T5_mT6_T7_P12ihipStream_tbENKUlT_T0_E_clISt17integral_constantIbLb1EESX_IbLb0EEEEDaST_SU_EUlST_E_NS1_11comp_targetILNS1_3genE10ELNS1_11target_archE1201ELNS1_3gpuE5ELNS1_3repE0EEENS1_30default_config_static_selectorELNS0_4arch9wavefront6targetE1EEEvT1_
	.globl	_ZN7rocprim17ROCPRIM_400000_NS6detail17trampoline_kernelINS0_14default_configENS1_27scan_by_key_config_selectorIiiEEZZNS1_16scan_by_key_implILNS1_25lookback_scan_determinismE0ELb1ES3_N6thrust23THRUST_200600_302600_NS6detail15normal_iteratorINS9_10device_ptrIiEEEESE_SE_iNS9_4plusIiEE19head_flag_predicateiEE10hipError_tPvRmT2_T3_T4_T5_mT6_T7_P12ihipStream_tbENKUlT_T0_E_clISt17integral_constantIbLb1EESX_IbLb0EEEEDaST_SU_EUlST_E_NS1_11comp_targetILNS1_3genE10ELNS1_11target_archE1201ELNS1_3gpuE5ELNS1_3repE0EEENS1_30default_config_static_selectorELNS0_4arch9wavefront6targetE1EEEvT1_
	.p2align	8
	.type	_ZN7rocprim17ROCPRIM_400000_NS6detail17trampoline_kernelINS0_14default_configENS1_27scan_by_key_config_selectorIiiEEZZNS1_16scan_by_key_implILNS1_25lookback_scan_determinismE0ELb1ES3_N6thrust23THRUST_200600_302600_NS6detail15normal_iteratorINS9_10device_ptrIiEEEESE_SE_iNS9_4plusIiEE19head_flag_predicateiEE10hipError_tPvRmT2_T3_T4_T5_mT6_T7_P12ihipStream_tbENKUlT_T0_E_clISt17integral_constantIbLb1EESX_IbLb0EEEEDaST_SU_EUlST_E_NS1_11comp_targetILNS1_3genE10ELNS1_11target_archE1201ELNS1_3gpuE5ELNS1_3repE0EEENS1_30default_config_static_selectorELNS0_4arch9wavefront6targetE1EEEvT1_,@function
_ZN7rocprim17ROCPRIM_400000_NS6detail17trampoline_kernelINS0_14default_configENS1_27scan_by_key_config_selectorIiiEEZZNS1_16scan_by_key_implILNS1_25lookback_scan_determinismE0ELb1ES3_N6thrust23THRUST_200600_302600_NS6detail15normal_iteratorINS9_10device_ptrIiEEEESE_SE_iNS9_4plusIiEE19head_flag_predicateiEE10hipError_tPvRmT2_T3_T4_T5_mT6_T7_P12ihipStream_tbENKUlT_T0_E_clISt17integral_constantIbLb1EESX_IbLb0EEEEDaST_SU_EUlST_E_NS1_11comp_targetILNS1_3genE10ELNS1_11target_archE1201ELNS1_3gpuE5ELNS1_3repE0EEENS1_30default_config_static_selectorELNS0_4arch9wavefront6targetE1EEEvT1_: ; @_ZN7rocprim17ROCPRIM_400000_NS6detail17trampoline_kernelINS0_14default_configENS1_27scan_by_key_config_selectorIiiEEZZNS1_16scan_by_key_implILNS1_25lookback_scan_determinismE0ELb1ES3_N6thrust23THRUST_200600_302600_NS6detail15normal_iteratorINS9_10device_ptrIiEEEESE_SE_iNS9_4plusIiEE19head_flag_predicateiEE10hipError_tPvRmT2_T3_T4_T5_mT6_T7_P12ihipStream_tbENKUlT_T0_E_clISt17integral_constantIbLb1EESX_IbLb0EEEEDaST_SU_EUlST_E_NS1_11comp_targetILNS1_3genE10ELNS1_11target_archE1201ELNS1_3gpuE5ELNS1_3repE0EEENS1_30default_config_static_selectorELNS0_4arch9wavefront6targetE1EEEvT1_
; %bb.0:
	.section	.rodata,"a",@progbits
	.p2align	6, 0x0
	.amdhsa_kernel _ZN7rocprim17ROCPRIM_400000_NS6detail17trampoline_kernelINS0_14default_configENS1_27scan_by_key_config_selectorIiiEEZZNS1_16scan_by_key_implILNS1_25lookback_scan_determinismE0ELb1ES3_N6thrust23THRUST_200600_302600_NS6detail15normal_iteratorINS9_10device_ptrIiEEEESE_SE_iNS9_4plusIiEE19head_flag_predicateiEE10hipError_tPvRmT2_T3_T4_T5_mT6_T7_P12ihipStream_tbENKUlT_T0_E_clISt17integral_constantIbLb1EESX_IbLb0EEEEDaST_SU_EUlST_E_NS1_11comp_targetILNS1_3genE10ELNS1_11target_archE1201ELNS1_3gpuE5ELNS1_3repE0EEENS1_30default_config_static_selectorELNS0_4arch9wavefront6targetE1EEEvT1_
		.amdhsa_group_segment_fixed_size 0
		.amdhsa_private_segment_fixed_size 0
		.amdhsa_kernarg_size 112
		.amdhsa_user_sgpr_count 6
		.amdhsa_user_sgpr_private_segment_buffer 1
		.amdhsa_user_sgpr_dispatch_ptr 0
		.amdhsa_user_sgpr_queue_ptr 0
		.amdhsa_user_sgpr_kernarg_segment_ptr 1
		.amdhsa_user_sgpr_dispatch_id 0
		.amdhsa_user_sgpr_flat_scratch_init 0
		.amdhsa_user_sgpr_kernarg_preload_length 0
		.amdhsa_user_sgpr_kernarg_preload_offset 0
		.amdhsa_user_sgpr_private_segment_size 0
		.amdhsa_uses_dynamic_stack 0
		.amdhsa_system_sgpr_private_segment_wavefront_offset 0
		.amdhsa_system_sgpr_workgroup_id_x 1
		.amdhsa_system_sgpr_workgroup_id_y 0
		.amdhsa_system_sgpr_workgroup_id_z 0
		.amdhsa_system_sgpr_workgroup_info 0
		.amdhsa_system_vgpr_workitem_id 0
		.amdhsa_next_free_vgpr 1
		.amdhsa_next_free_sgpr 0
		.amdhsa_accum_offset 4
		.amdhsa_reserve_vcc 0
		.amdhsa_reserve_flat_scratch 0
		.amdhsa_float_round_mode_32 0
		.amdhsa_float_round_mode_16_64 0
		.amdhsa_float_denorm_mode_32 3
		.amdhsa_float_denorm_mode_16_64 3
		.amdhsa_dx10_clamp 1
		.amdhsa_ieee_mode 1
		.amdhsa_fp16_overflow 0
		.amdhsa_tg_split 0
		.amdhsa_exception_fp_ieee_invalid_op 0
		.amdhsa_exception_fp_denorm_src 0
		.amdhsa_exception_fp_ieee_div_zero 0
		.amdhsa_exception_fp_ieee_overflow 0
		.amdhsa_exception_fp_ieee_underflow 0
		.amdhsa_exception_fp_ieee_inexact 0
		.amdhsa_exception_int_div_zero 0
	.end_amdhsa_kernel
	.section	.text._ZN7rocprim17ROCPRIM_400000_NS6detail17trampoline_kernelINS0_14default_configENS1_27scan_by_key_config_selectorIiiEEZZNS1_16scan_by_key_implILNS1_25lookback_scan_determinismE0ELb1ES3_N6thrust23THRUST_200600_302600_NS6detail15normal_iteratorINS9_10device_ptrIiEEEESE_SE_iNS9_4plusIiEE19head_flag_predicateiEE10hipError_tPvRmT2_T3_T4_T5_mT6_T7_P12ihipStream_tbENKUlT_T0_E_clISt17integral_constantIbLb1EESX_IbLb0EEEEDaST_SU_EUlST_E_NS1_11comp_targetILNS1_3genE10ELNS1_11target_archE1201ELNS1_3gpuE5ELNS1_3repE0EEENS1_30default_config_static_selectorELNS0_4arch9wavefront6targetE1EEEvT1_,"axG",@progbits,_ZN7rocprim17ROCPRIM_400000_NS6detail17trampoline_kernelINS0_14default_configENS1_27scan_by_key_config_selectorIiiEEZZNS1_16scan_by_key_implILNS1_25lookback_scan_determinismE0ELb1ES3_N6thrust23THRUST_200600_302600_NS6detail15normal_iteratorINS9_10device_ptrIiEEEESE_SE_iNS9_4plusIiEE19head_flag_predicateiEE10hipError_tPvRmT2_T3_T4_T5_mT6_T7_P12ihipStream_tbENKUlT_T0_E_clISt17integral_constantIbLb1EESX_IbLb0EEEEDaST_SU_EUlST_E_NS1_11comp_targetILNS1_3genE10ELNS1_11target_archE1201ELNS1_3gpuE5ELNS1_3repE0EEENS1_30default_config_static_selectorELNS0_4arch9wavefront6targetE1EEEvT1_,comdat
.Lfunc_end804:
	.size	_ZN7rocprim17ROCPRIM_400000_NS6detail17trampoline_kernelINS0_14default_configENS1_27scan_by_key_config_selectorIiiEEZZNS1_16scan_by_key_implILNS1_25lookback_scan_determinismE0ELb1ES3_N6thrust23THRUST_200600_302600_NS6detail15normal_iteratorINS9_10device_ptrIiEEEESE_SE_iNS9_4plusIiEE19head_flag_predicateiEE10hipError_tPvRmT2_T3_T4_T5_mT6_T7_P12ihipStream_tbENKUlT_T0_E_clISt17integral_constantIbLb1EESX_IbLb0EEEEDaST_SU_EUlST_E_NS1_11comp_targetILNS1_3genE10ELNS1_11target_archE1201ELNS1_3gpuE5ELNS1_3repE0EEENS1_30default_config_static_selectorELNS0_4arch9wavefront6targetE1EEEvT1_, .Lfunc_end804-_ZN7rocprim17ROCPRIM_400000_NS6detail17trampoline_kernelINS0_14default_configENS1_27scan_by_key_config_selectorIiiEEZZNS1_16scan_by_key_implILNS1_25lookback_scan_determinismE0ELb1ES3_N6thrust23THRUST_200600_302600_NS6detail15normal_iteratorINS9_10device_ptrIiEEEESE_SE_iNS9_4plusIiEE19head_flag_predicateiEE10hipError_tPvRmT2_T3_T4_T5_mT6_T7_P12ihipStream_tbENKUlT_T0_E_clISt17integral_constantIbLb1EESX_IbLb0EEEEDaST_SU_EUlST_E_NS1_11comp_targetILNS1_3genE10ELNS1_11target_archE1201ELNS1_3gpuE5ELNS1_3repE0EEENS1_30default_config_static_selectorELNS0_4arch9wavefront6targetE1EEEvT1_
                                        ; -- End function
	.section	.AMDGPU.csdata,"",@progbits
; Kernel info:
; codeLenInByte = 0
; NumSgprs: 4
; NumVgprs: 0
; NumAgprs: 0
; TotalNumVgprs: 0
; ScratchSize: 0
; MemoryBound: 0
; FloatMode: 240
; IeeeMode: 1
; LDSByteSize: 0 bytes/workgroup (compile time only)
; SGPRBlocks: 0
; VGPRBlocks: 0
; NumSGPRsForWavesPerEU: 4
; NumVGPRsForWavesPerEU: 1
; AccumOffset: 4
; Occupancy: 8
; WaveLimiterHint : 0
; COMPUTE_PGM_RSRC2:SCRATCH_EN: 0
; COMPUTE_PGM_RSRC2:USER_SGPR: 6
; COMPUTE_PGM_RSRC2:TRAP_HANDLER: 0
; COMPUTE_PGM_RSRC2:TGID_X_EN: 1
; COMPUTE_PGM_RSRC2:TGID_Y_EN: 0
; COMPUTE_PGM_RSRC2:TGID_Z_EN: 0
; COMPUTE_PGM_RSRC2:TIDIG_COMP_CNT: 0
; COMPUTE_PGM_RSRC3_GFX90A:ACCUM_OFFSET: 0
; COMPUTE_PGM_RSRC3_GFX90A:TG_SPLIT: 0
	.section	.text._ZN7rocprim17ROCPRIM_400000_NS6detail17trampoline_kernelINS0_14default_configENS1_27scan_by_key_config_selectorIiiEEZZNS1_16scan_by_key_implILNS1_25lookback_scan_determinismE0ELb1ES3_N6thrust23THRUST_200600_302600_NS6detail15normal_iteratorINS9_10device_ptrIiEEEESE_SE_iNS9_4plusIiEE19head_flag_predicateiEE10hipError_tPvRmT2_T3_T4_T5_mT6_T7_P12ihipStream_tbENKUlT_T0_E_clISt17integral_constantIbLb1EESX_IbLb0EEEEDaST_SU_EUlST_E_NS1_11comp_targetILNS1_3genE5ELNS1_11target_archE942ELNS1_3gpuE9ELNS1_3repE0EEENS1_30default_config_static_selectorELNS0_4arch9wavefront6targetE1EEEvT1_,"axG",@progbits,_ZN7rocprim17ROCPRIM_400000_NS6detail17trampoline_kernelINS0_14default_configENS1_27scan_by_key_config_selectorIiiEEZZNS1_16scan_by_key_implILNS1_25lookback_scan_determinismE0ELb1ES3_N6thrust23THRUST_200600_302600_NS6detail15normal_iteratorINS9_10device_ptrIiEEEESE_SE_iNS9_4plusIiEE19head_flag_predicateiEE10hipError_tPvRmT2_T3_T4_T5_mT6_T7_P12ihipStream_tbENKUlT_T0_E_clISt17integral_constantIbLb1EESX_IbLb0EEEEDaST_SU_EUlST_E_NS1_11comp_targetILNS1_3genE5ELNS1_11target_archE942ELNS1_3gpuE9ELNS1_3repE0EEENS1_30default_config_static_selectorELNS0_4arch9wavefront6targetE1EEEvT1_,comdat
	.protected	_ZN7rocprim17ROCPRIM_400000_NS6detail17trampoline_kernelINS0_14default_configENS1_27scan_by_key_config_selectorIiiEEZZNS1_16scan_by_key_implILNS1_25lookback_scan_determinismE0ELb1ES3_N6thrust23THRUST_200600_302600_NS6detail15normal_iteratorINS9_10device_ptrIiEEEESE_SE_iNS9_4plusIiEE19head_flag_predicateiEE10hipError_tPvRmT2_T3_T4_T5_mT6_T7_P12ihipStream_tbENKUlT_T0_E_clISt17integral_constantIbLb1EESX_IbLb0EEEEDaST_SU_EUlST_E_NS1_11comp_targetILNS1_3genE5ELNS1_11target_archE942ELNS1_3gpuE9ELNS1_3repE0EEENS1_30default_config_static_selectorELNS0_4arch9wavefront6targetE1EEEvT1_ ; -- Begin function _ZN7rocprim17ROCPRIM_400000_NS6detail17trampoline_kernelINS0_14default_configENS1_27scan_by_key_config_selectorIiiEEZZNS1_16scan_by_key_implILNS1_25lookback_scan_determinismE0ELb1ES3_N6thrust23THRUST_200600_302600_NS6detail15normal_iteratorINS9_10device_ptrIiEEEESE_SE_iNS9_4plusIiEE19head_flag_predicateiEE10hipError_tPvRmT2_T3_T4_T5_mT6_T7_P12ihipStream_tbENKUlT_T0_E_clISt17integral_constantIbLb1EESX_IbLb0EEEEDaST_SU_EUlST_E_NS1_11comp_targetILNS1_3genE5ELNS1_11target_archE942ELNS1_3gpuE9ELNS1_3repE0EEENS1_30default_config_static_selectorELNS0_4arch9wavefront6targetE1EEEvT1_
	.globl	_ZN7rocprim17ROCPRIM_400000_NS6detail17trampoline_kernelINS0_14default_configENS1_27scan_by_key_config_selectorIiiEEZZNS1_16scan_by_key_implILNS1_25lookback_scan_determinismE0ELb1ES3_N6thrust23THRUST_200600_302600_NS6detail15normal_iteratorINS9_10device_ptrIiEEEESE_SE_iNS9_4plusIiEE19head_flag_predicateiEE10hipError_tPvRmT2_T3_T4_T5_mT6_T7_P12ihipStream_tbENKUlT_T0_E_clISt17integral_constantIbLb1EESX_IbLb0EEEEDaST_SU_EUlST_E_NS1_11comp_targetILNS1_3genE5ELNS1_11target_archE942ELNS1_3gpuE9ELNS1_3repE0EEENS1_30default_config_static_selectorELNS0_4arch9wavefront6targetE1EEEvT1_
	.p2align	8
	.type	_ZN7rocprim17ROCPRIM_400000_NS6detail17trampoline_kernelINS0_14default_configENS1_27scan_by_key_config_selectorIiiEEZZNS1_16scan_by_key_implILNS1_25lookback_scan_determinismE0ELb1ES3_N6thrust23THRUST_200600_302600_NS6detail15normal_iteratorINS9_10device_ptrIiEEEESE_SE_iNS9_4plusIiEE19head_flag_predicateiEE10hipError_tPvRmT2_T3_T4_T5_mT6_T7_P12ihipStream_tbENKUlT_T0_E_clISt17integral_constantIbLb1EESX_IbLb0EEEEDaST_SU_EUlST_E_NS1_11comp_targetILNS1_3genE5ELNS1_11target_archE942ELNS1_3gpuE9ELNS1_3repE0EEENS1_30default_config_static_selectorELNS0_4arch9wavefront6targetE1EEEvT1_,@function
_ZN7rocprim17ROCPRIM_400000_NS6detail17trampoline_kernelINS0_14default_configENS1_27scan_by_key_config_selectorIiiEEZZNS1_16scan_by_key_implILNS1_25lookback_scan_determinismE0ELb1ES3_N6thrust23THRUST_200600_302600_NS6detail15normal_iteratorINS9_10device_ptrIiEEEESE_SE_iNS9_4plusIiEE19head_flag_predicateiEE10hipError_tPvRmT2_T3_T4_T5_mT6_T7_P12ihipStream_tbENKUlT_T0_E_clISt17integral_constantIbLb1EESX_IbLb0EEEEDaST_SU_EUlST_E_NS1_11comp_targetILNS1_3genE5ELNS1_11target_archE942ELNS1_3gpuE9ELNS1_3repE0EEENS1_30default_config_static_selectorELNS0_4arch9wavefront6targetE1EEEvT1_: ; @_ZN7rocprim17ROCPRIM_400000_NS6detail17trampoline_kernelINS0_14default_configENS1_27scan_by_key_config_selectorIiiEEZZNS1_16scan_by_key_implILNS1_25lookback_scan_determinismE0ELb1ES3_N6thrust23THRUST_200600_302600_NS6detail15normal_iteratorINS9_10device_ptrIiEEEESE_SE_iNS9_4plusIiEE19head_flag_predicateiEE10hipError_tPvRmT2_T3_T4_T5_mT6_T7_P12ihipStream_tbENKUlT_T0_E_clISt17integral_constantIbLb1EESX_IbLb0EEEEDaST_SU_EUlST_E_NS1_11comp_targetILNS1_3genE5ELNS1_11target_archE942ELNS1_3gpuE9ELNS1_3repE0EEENS1_30default_config_static_selectorELNS0_4arch9wavefront6targetE1EEEvT1_
; %bb.0:
	.section	.rodata,"a",@progbits
	.p2align	6, 0x0
	.amdhsa_kernel _ZN7rocprim17ROCPRIM_400000_NS6detail17trampoline_kernelINS0_14default_configENS1_27scan_by_key_config_selectorIiiEEZZNS1_16scan_by_key_implILNS1_25lookback_scan_determinismE0ELb1ES3_N6thrust23THRUST_200600_302600_NS6detail15normal_iteratorINS9_10device_ptrIiEEEESE_SE_iNS9_4plusIiEE19head_flag_predicateiEE10hipError_tPvRmT2_T3_T4_T5_mT6_T7_P12ihipStream_tbENKUlT_T0_E_clISt17integral_constantIbLb1EESX_IbLb0EEEEDaST_SU_EUlST_E_NS1_11comp_targetILNS1_3genE5ELNS1_11target_archE942ELNS1_3gpuE9ELNS1_3repE0EEENS1_30default_config_static_selectorELNS0_4arch9wavefront6targetE1EEEvT1_
		.amdhsa_group_segment_fixed_size 0
		.amdhsa_private_segment_fixed_size 0
		.amdhsa_kernarg_size 112
		.amdhsa_user_sgpr_count 6
		.amdhsa_user_sgpr_private_segment_buffer 1
		.amdhsa_user_sgpr_dispatch_ptr 0
		.amdhsa_user_sgpr_queue_ptr 0
		.amdhsa_user_sgpr_kernarg_segment_ptr 1
		.amdhsa_user_sgpr_dispatch_id 0
		.amdhsa_user_sgpr_flat_scratch_init 0
		.amdhsa_user_sgpr_kernarg_preload_length 0
		.amdhsa_user_sgpr_kernarg_preload_offset 0
		.amdhsa_user_sgpr_private_segment_size 0
		.amdhsa_uses_dynamic_stack 0
		.amdhsa_system_sgpr_private_segment_wavefront_offset 0
		.amdhsa_system_sgpr_workgroup_id_x 1
		.amdhsa_system_sgpr_workgroup_id_y 0
		.amdhsa_system_sgpr_workgroup_id_z 0
		.amdhsa_system_sgpr_workgroup_info 0
		.amdhsa_system_vgpr_workitem_id 0
		.amdhsa_next_free_vgpr 1
		.amdhsa_next_free_sgpr 0
		.amdhsa_accum_offset 4
		.amdhsa_reserve_vcc 0
		.amdhsa_reserve_flat_scratch 0
		.amdhsa_float_round_mode_32 0
		.amdhsa_float_round_mode_16_64 0
		.amdhsa_float_denorm_mode_32 3
		.amdhsa_float_denorm_mode_16_64 3
		.amdhsa_dx10_clamp 1
		.amdhsa_ieee_mode 1
		.amdhsa_fp16_overflow 0
		.amdhsa_tg_split 0
		.amdhsa_exception_fp_ieee_invalid_op 0
		.amdhsa_exception_fp_denorm_src 0
		.amdhsa_exception_fp_ieee_div_zero 0
		.amdhsa_exception_fp_ieee_overflow 0
		.amdhsa_exception_fp_ieee_underflow 0
		.amdhsa_exception_fp_ieee_inexact 0
		.amdhsa_exception_int_div_zero 0
	.end_amdhsa_kernel
	.section	.text._ZN7rocprim17ROCPRIM_400000_NS6detail17trampoline_kernelINS0_14default_configENS1_27scan_by_key_config_selectorIiiEEZZNS1_16scan_by_key_implILNS1_25lookback_scan_determinismE0ELb1ES3_N6thrust23THRUST_200600_302600_NS6detail15normal_iteratorINS9_10device_ptrIiEEEESE_SE_iNS9_4plusIiEE19head_flag_predicateiEE10hipError_tPvRmT2_T3_T4_T5_mT6_T7_P12ihipStream_tbENKUlT_T0_E_clISt17integral_constantIbLb1EESX_IbLb0EEEEDaST_SU_EUlST_E_NS1_11comp_targetILNS1_3genE5ELNS1_11target_archE942ELNS1_3gpuE9ELNS1_3repE0EEENS1_30default_config_static_selectorELNS0_4arch9wavefront6targetE1EEEvT1_,"axG",@progbits,_ZN7rocprim17ROCPRIM_400000_NS6detail17trampoline_kernelINS0_14default_configENS1_27scan_by_key_config_selectorIiiEEZZNS1_16scan_by_key_implILNS1_25lookback_scan_determinismE0ELb1ES3_N6thrust23THRUST_200600_302600_NS6detail15normal_iteratorINS9_10device_ptrIiEEEESE_SE_iNS9_4plusIiEE19head_flag_predicateiEE10hipError_tPvRmT2_T3_T4_T5_mT6_T7_P12ihipStream_tbENKUlT_T0_E_clISt17integral_constantIbLb1EESX_IbLb0EEEEDaST_SU_EUlST_E_NS1_11comp_targetILNS1_3genE5ELNS1_11target_archE942ELNS1_3gpuE9ELNS1_3repE0EEENS1_30default_config_static_selectorELNS0_4arch9wavefront6targetE1EEEvT1_,comdat
.Lfunc_end805:
	.size	_ZN7rocprim17ROCPRIM_400000_NS6detail17trampoline_kernelINS0_14default_configENS1_27scan_by_key_config_selectorIiiEEZZNS1_16scan_by_key_implILNS1_25lookback_scan_determinismE0ELb1ES3_N6thrust23THRUST_200600_302600_NS6detail15normal_iteratorINS9_10device_ptrIiEEEESE_SE_iNS9_4plusIiEE19head_flag_predicateiEE10hipError_tPvRmT2_T3_T4_T5_mT6_T7_P12ihipStream_tbENKUlT_T0_E_clISt17integral_constantIbLb1EESX_IbLb0EEEEDaST_SU_EUlST_E_NS1_11comp_targetILNS1_3genE5ELNS1_11target_archE942ELNS1_3gpuE9ELNS1_3repE0EEENS1_30default_config_static_selectorELNS0_4arch9wavefront6targetE1EEEvT1_, .Lfunc_end805-_ZN7rocprim17ROCPRIM_400000_NS6detail17trampoline_kernelINS0_14default_configENS1_27scan_by_key_config_selectorIiiEEZZNS1_16scan_by_key_implILNS1_25lookback_scan_determinismE0ELb1ES3_N6thrust23THRUST_200600_302600_NS6detail15normal_iteratorINS9_10device_ptrIiEEEESE_SE_iNS9_4plusIiEE19head_flag_predicateiEE10hipError_tPvRmT2_T3_T4_T5_mT6_T7_P12ihipStream_tbENKUlT_T0_E_clISt17integral_constantIbLb1EESX_IbLb0EEEEDaST_SU_EUlST_E_NS1_11comp_targetILNS1_3genE5ELNS1_11target_archE942ELNS1_3gpuE9ELNS1_3repE0EEENS1_30default_config_static_selectorELNS0_4arch9wavefront6targetE1EEEvT1_
                                        ; -- End function
	.section	.AMDGPU.csdata,"",@progbits
; Kernel info:
; codeLenInByte = 0
; NumSgprs: 4
; NumVgprs: 0
; NumAgprs: 0
; TotalNumVgprs: 0
; ScratchSize: 0
; MemoryBound: 0
; FloatMode: 240
; IeeeMode: 1
; LDSByteSize: 0 bytes/workgroup (compile time only)
; SGPRBlocks: 0
; VGPRBlocks: 0
; NumSGPRsForWavesPerEU: 4
; NumVGPRsForWavesPerEU: 1
; AccumOffset: 4
; Occupancy: 8
; WaveLimiterHint : 0
; COMPUTE_PGM_RSRC2:SCRATCH_EN: 0
; COMPUTE_PGM_RSRC2:USER_SGPR: 6
; COMPUTE_PGM_RSRC2:TRAP_HANDLER: 0
; COMPUTE_PGM_RSRC2:TGID_X_EN: 1
; COMPUTE_PGM_RSRC2:TGID_Y_EN: 0
; COMPUTE_PGM_RSRC2:TGID_Z_EN: 0
; COMPUTE_PGM_RSRC2:TIDIG_COMP_CNT: 0
; COMPUTE_PGM_RSRC3_GFX90A:ACCUM_OFFSET: 0
; COMPUTE_PGM_RSRC3_GFX90A:TG_SPLIT: 0
	.section	.text._ZN7rocprim17ROCPRIM_400000_NS6detail17trampoline_kernelINS0_14default_configENS1_27scan_by_key_config_selectorIiiEEZZNS1_16scan_by_key_implILNS1_25lookback_scan_determinismE0ELb1ES3_N6thrust23THRUST_200600_302600_NS6detail15normal_iteratorINS9_10device_ptrIiEEEESE_SE_iNS9_4plusIiEE19head_flag_predicateiEE10hipError_tPvRmT2_T3_T4_T5_mT6_T7_P12ihipStream_tbENKUlT_T0_E_clISt17integral_constantIbLb1EESX_IbLb0EEEEDaST_SU_EUlST_E_NS1_11comp_targetILNS1_3genE4ELNS1_11target_archE910ELNS1_3gpuE8ELNS1_3repE0EEENS1_30default_config_static_selectorELNS0_4arch9wavefront6targetE1EEEvT1_,"axG",@progbits,_ZN7rocprim17ROCPRIM_400000_NS6detail17trampoline_kernelINS0_14default_configENS1_27scan_by_key_config_selectorIiiEEZZNS1_16scan_by_key_implILNS1_25lookback_scan_determinismE0ELb1ES3_N6thrust23THRUST_200600_302600_NS6detail15normal_iteratorINS9_10device_ptrIiEEEESE_SE_iNS9_4plusIiEE19head_flag_predicateiEE10hipError_tPvRmT2_T3_T4_T5_mT6_T7_P12ihipStream_tbENKUlT_T0_E_clISt17integral_constantIbLb1EESX_IbLb0EEEEDaST_SU_EUlST_E_NS1_11comp_targetILNS1_3genE4ELNS1_11target_archE910ELNS1_3gpuE8ELNS1_3repE0EEENS1_30default_config_static_selectorELNS0_4arch9wavefront6targetE1EEEvT1_,comdat
	.protected	_ZN7rocprim17ROCPRIM_400000_NS6detail17trampoline_kernelINS0_14default_configENS1_27scan_by_key_config_selectorIiiEEZZNS1_16scan_by_key_implILNS1_25lookback_scan_determinismE0ELb1ES3_N6thrust23THRUST_200600_302600_NS6detail15normal_iteratorINS9_10device_ptrIiEEEESE_SE_iNS9_4plusIiEE19head_flag_predicateiEE10hipError_tPvRmT2_T3_T4_T5_mT6_T7_P12ihipStream_tbENKUlT_T0_E_clISt17integral_constantIbLb1EESX_IbLb0EEEEDaST_SU_EUlST_E_NS1_11comp_targetILNS1_3genE4ELNS1_11target_archE910ELNS1_3gpuE8ELNS1_3repE0EEENS1_30default_config_static_selectorELNS0_4arch9wavefront6targetE1EEEvT1_ ; -- Begin function _ZN7rocprim17ROCPRIM_400000_NS6detail17trampoline_kernelINS0_14default_configENS1_27scan_by_key_config_selectorIiiEEZZNS1_16scan_by_key_implILNS1_25lookback_scan_determinismE0ELb1ES3_N6thrust23THRUST_200600_302600_NS6detail15normal_iteratorINS9_10device_ptrIiEEEESE_SE_iNS9_4plusIiEE19head_flag_predicateiEE10hipError_tPvRmT2_T3_T4_T5_mT6_T7_P12ihipStream_tbENKUlT_T0_E_clISt17integral_constantIbLb1EESX_IbLb0EEEEDaST_SU_EUlST_E_NS1_11comp_targetILNS1_3genE4ELNS1_11target_archE910ELNS1_3gpuE8ELNS1_3repE0EEENS1_30default_config_static_selectorELNS0_4arch9wavefront6targetE1EEEvT1_
	.globl	_ZN7rocprim17ROCPRIM_400000_NS6detail17trampoline_kernelINS0_14default_configENS1_27scan_by_key_config_selectorIiiEEZZNS1_16scan_by_key_implILNS1_25lookback_scan_determinismE0ELb1ES3_N6thrust23THRUST_200600_302600_NS6detail15normal_iteratorINS9_10device_ptrIiEEEESE_SE_iNS9_4plusIiEE19head_flag_predicateiEE10hipError_tPvRmT2_T3_T4_T5_mT6_T7_P12ihipStream_tbENKUlT_T0_E_clISt17integral_constantIbLb1EESX_IbLb0EEEEDaST_SU_EUlST_E_NS1_11comp_targetILNS1_3genE4ELNS1_11target_archE910ELNS1_3gpuE8ELNS1_3repE0EEENS1_30default_config_static_selectorELNS0_4arch9wavefront6targetE1EEEvT1_
	.p2align	8
	.type	_ZN7rocprim17ROCPRIM_400000_NS6detail17trampoline_kernelINS0_14default_configENS1_27scan_by_key_config_selectorIiiEEZZNS1_16scan_by_key_implILNS1_25lookback_scan_determinismE0ELb1ES3_N6thrust23THRUST_200600_302600_NS6detail15normal_iteratorINS9_10device_ptrIiEEEESE_SE_iNS9_4plusIiEE19head_flag_predicateiEE10hipError_tPvRmT2_T3_T4_T5_mT6_T7_P12ihipStream_tbENKUlT_T0_E_clISt17integral_constantIbLb1EESX_IbLb0EEEEDaST_SU_EUlST_E_NS1_11comp_targetILNS1_3genE4ELNS1_11target_archE910ELNS1_3gpuE8ELNS1_3repE0EEENS1_30default_config_static_selectorELNS0_4arch9wavefront6targetE1EEEvT1_,@function
_ZN7rocprim17ROCPRIM_400000_NS6detail17trampoline_kernelINS0_14default_configENS1_27scan_by_key_config_selectorIiiEEZZNS1_16scan_by_key_implILNS1_25lookback_scan_determinismE0ELb1ES3_N6thrust23THRUST_200600_302600_NS6detail15normal_iteratorINS9_10device_ptrIiEEEESE_SE_iNS9_4plusIiEE19head_flag_predicateiEE10hipError_tPvRmT2_T3_T4_T5_mT6_T7_P12ihipStream_tbENKUlT_T0_E_clISt17integral_constantIbLb1EESX_IbLb0EEEEDaST_SU_EUlST_E_NS1_11comp_targetILNS1_3genE4ELNS1_11target_archE910ELNS1_3gpuE8ELNS1_3repE0EEENS1_30default_config_static_selectorELNS0_4arch9wavefront6targetE1EEEvT1_: ; @_ZN7rocprim17ROCPRIM_400000_NS6detail17trampoline_kernelINS0_14default_configENS1_27scan_by_key_config_selectorIiiEEZZNS1_16scan_by_key_implILNS1_25lookback_scan_determinismE0ELb1ES3_N6thrust23THRUST_200600_302600_NS6detail15normal_iteratorINS9_10device_ptrIiEEEESE_SE_iNS9_4plusIiEE19head_flag_predicateiEE10hipError_tPvRmT2_T3_T4_T5_mT6_T7_P12ihipStream_tbENKUlT_T0_E_clISt17integral_constantIbLb1EESX_IbLb0EEEEDaST_SU_EUlST_E_NS1_11comp_targetILNS1_3genE4ELNS1_11target_archE910ELNS1_3gpuE8ELNS1_3repE0EEENS1_30default_config_static_selectorELNS0_4arch9wavefront6targetE1EEEvT1_
; %bb.0:
	s_load_dwordx8 s[36:43], s[4:5], 0x0
	s_load_dword s56, s[4:5], 0x20
	s_load_dwordx4 s[44:47], s[4:5], 0x28
	s_load_dwordx2 s[52:53], s[4:5], 0x38
	s_load_dword s0, s[4:5], 0x40
	s_load_dwordx4 s[48:51], s[4:5], 0x48
	s_waitcnt lgkmcnt(0)
	s_lshl_b64 s[34:35], s[38:39], 2
	s_add_u32 s2, s36, s34
	s_addc_u32 s3, s37, s35
	s_add_u32 s4, s40, s34
	s_mul_i32 s1, s53, s0
	s_mul_hi_u32 s7, s52, s0
	s_addc_u32 s5, s41, s35
	s_add_i32 s8, s7, s1
	s_mul_i32 s9, s52, s0
	s_mul_i32 s0, s6, 0xe00
	s_mov_b32 s1, 0
	s_lshl_b64 s[36:37], s[0:1], 2
	s_add_u32 s38, s2, s36
	s_addc_u32 s39, s3, s37
	s_add_u32 s7, s4, s36
	s_addc_u32 s47, s5, s37
	;; [unrolled: 2-line block ×3, first 2 shown]
	s_add_u32 s4, s48, -1
	s_addc_u32 s5, s49, -1
	v_pk_mov_b32 v[2:3], s[4:5], s[4:5] op_sel:[0,1]
	v_cmp_ge_u64_e64 s[0:1], s[0:1], v[2:3]
	s_mov_b64 s[2:3], -1
	s_and_b64 vcc, exec, s[0:1]
	s_mul_i32 s33, s4, 0xfffff200
	s_barrier
	s_cbranch_vccz .LBB806_76
; %bb.1:
	v_pk_mov_b32 v[2:3], s[38:39], s[38:39] op_sel:[0,1]
	flat_load_dword v1, v[2:3]
	s_add_i32 s54, s33, s46
	v_cmp_gt_u32_e32 vcc, s54, v0
	s_waitcnt vmcnt(0) lgkmcnt(0)
	v_mov_b32_e32 v13, v1
	s_and_saveexec_b64 s[4:5], vcc
	s_cbranch_execz .LBB806_3
; %bb.2:
	v_lshlrev_b32_e32 v2, 2, v0
	v_mov_b32_e32 v3, s39
	v_add_co_u32_e64 v2, s[2:3], s38, v2
	v_addc_co_u32_e64 v3, s[2:3], 0, v3, s[2:3]
	flat_load_dword v13, v[2:3]
.LBB806_3:
	s_or_b64 exec, exec, s[4:5]
	v_or_b32_e32 v2, 0x100, v0
	v_cmp_gt_u32_e64 s[2:3], s54, v2
	v_mov_b32_e32 v14, v1
	s_and_saveexec_b64 s[8:9], s[2:3]
	s_cbranch_execz .LBB806_5
; %bb.4:
	v_lshlrev_b32_e32 v2, 2, v0
	v_mov_b32_e32 v3, s39
	v_add_co_u32_e64 v2, s[4:5], s38, v2
	v_addc_co_u32_e64 v3, s[4:5], 0, v3, s[4:5]
	flat_load_dword v14, v[2:3] offset:1024
.LBB806_5:
	s_or_b64 exec, exec, s[8:9]
	v_or_b32_e32 v2, 0x200, v0
	v_cmp_gt_u32_e64 s[4:5], s54, v2
	v_mov_b32_e32 v15, v1
	s_and_saveexec_b64 s[10:11], s[4:5]
	s_cbranch_execz .LBB806_7
; %bb.6:
	v_lshlrev_b32_e32 v2, 2, v0
	v_mov_b32_e32 v3, s39
	v_add_co_u32_e64 v2, s[8:9], s38, v2
	v_addc_co_u32_e64 v3, s[8:9], 0, v3, s[8:9]
	flat_load_dword v15, v[2:3] offset:2048
.LBB806_7:
	;; [unrolled: 13-line block ×3, first 2 shown]
	s_or_b64 exec, exec, s[10:11]
	v_or_b32_e32 v2, 0x400, v0
	v_cmp_gt_u32_e64 s[8:9], s54, v2
	v_mov_b32_e32 v17, v1
	s_and_saveexec_b64 s[12:13], s[8:9]
	s_cbranch_execz .LBB806_11
; %bb.10:
	v_lshlrev_b32_e32 v3, 2, v2
	v_mov_b32_e32 v5, s39
	v_add_co_u32_e64 v4, s[10:11], s38, v3
	v_addc_co_u32_e64 v5, s[10:11], 0, v5, s[10:11]
	flat_load_dword v17, v[4:5]
.LBB806_11:
	s_or_b64 exec, exec, s[12:13]
	v_or_b32_e32 v3, 0x500, v0
	v_cmp_gt_u32_e64 s[10:11], s54, v3
	v_mov_b32_e32 v18, v1
	s_and_saveexec_b64 s[14:15], s[10:11]
	s_cbranch_execz .LBB806_13
; %bb.12:
	v_lshlrev_b32_e32 v4, 2, v3
	v_mov_b32_e32 v5, s39
	v_add_co_u32_e64 v4, s[12:13], s38, v4
	v_addc_co_u32_e64 v5, s[12:13], 0, v5, s[12:13]
	flat_load_dword v18, v[4:5]
.LBB806_13:
	;; [unrolled: 13-line block ×9, first 2 shown]
	s_or_b64 exec, exec, s[30:31]
	v_or_b32_e32 v11, 0xd00, v0
	v_cmp_gt_u32_e64 s[26:27], s54, v11
	s_and_saveexec_b64 s[40:41], s[26:27]
	s_cbranch_execz .LBB806_29
; %bb.28:
	v_lshlrev_b32_e32 v1, 2, v11
	v_mov_b32_e32 v12, s39
	v_add_co_u32_e64 v26, s[30:31], s38, v1
	v_addc_co_u32_e64 v27, s[30:31], 0, v12, s[30:31]
	flat_load_dword v1, v[26:27]
.LBB806_29:
	s_or_b64 exec, exec, s[40:41]
	v_lshlrev_b32_e32 v12, 2, v0
	s_waitcnt vmcnt(0) lgkmcnt(0)
	ds_write2st64_b32 v12, v13, v14 offset1:4
	ds_write2st64_b32 v12, v15, v16 offset0:8 offset1:12
	ds_write2st64_b32 v12, v17, v18 offset0:16 offset1:20
	;; [unrolled: 1-line block ×6, first 2 shown]
	v_pk_mov_b32 v[14:15], s[38:39], s[38:39] op_sel:[0,1]
	s_waitcnt lgkmcnt(0)
	s_barrier
	flat_load_dword v1, v[14:15]
	v_mad_u32_u24 v42, v0, 52, v12
	s_movk_i32 s30, 0xffcc
	ds_read2_b64 v[34:37], v42 offset1:1
	ds_read2_b64 v[30:33], v42 offset0:2 offset1:3
	ds_read2_b64 v[26:29], v42 offset0:4 offset1:5
	ds_read_b64 v[40:41], v42 offset:48
	v_mad_i32_i24 v13, v0, s30, v42
	s_movk_i32 s30, 0xff
	v_cmp_ne_u32_e64 s[30:31], s30, v0
	s_waitcnt lgkmcnt(0)
	ds_write_b32 v13, v34 offset:15360
	s_waitcnt lgkmcnt(0)
	s_barrier
	s_and_saveexec_b64 s[40:41], s[30:31]
	s_cbranch_execz .LBB806_31
; %bb.30:
	s_waitcnt vmcnt(0)
	ds_read_b32 v1, v12 offset:15364
.LBB806_31:
	s_or_b64 exec, exec, s[40:41]
	s_waitcnt lgkmcnt(0)
	s_barrier
	s_waitcnt lgkmcnt(0)
                                        ; implicit-def: $vgpr13
	s_and_saveexec_b64 s[30:31], vcc
	s_cbranch_execz .LBB806_117
; %bb.32:
	v_mov_b32_e32 v13, s47
	v_add_co_u32_e32 v14, vcc, s7, v12
	v_addc_co_u32_e32 v15, vcc, 0, v13, vcc
	flat_load_dword v13, v[14:15]
	s_or_b64 exec, exec, s[30:31]
                                        ; implicit-def: $vgpr14
	s_and_saveexec_b64 s[30:31], s[2:3]
	s_cbranch_execnz .LBB806_118
.LBB806_33:
	s_or_b64 exec, exec, s[30:31]
                                        ; implicit-def: $vgpr15
	s_and_saveexec_b64 s[2:3], s[4:5]
	s_cbranch_execz .LBB806_119
.LBB806_34:
	v_mov_b32_e32 v15, s47
	v_add_co_u32_e32 v16, vcc, s7, v12
	v_addc_co_u32_e32 v17, vcc, 0, v15, vcc
	flat_load_dword v15, v[16:17] offset:2048
	s_or_b64 exec, exec, s[2:3]
                                        ; implicit-def: $vgpr16
	s_and_saveexec_b64 s[2:3], s[28:29]
	s_cbranch_execnz .LBB806_120
.LBB806_35:
	s_or_b64 exec, exec, s[2:3]
                                        ; implicit-def: $vgpr17
	s_and_saveexec_b64 s[2:3], s[8:9]
	s_cbranch_execz .LBB806_121
.LBB806_36:
	v_lshlrev_b32_e32 v2, 2, v2
	v_mov_b32_e32 v17, s47
	v_add_co_u32_e32 v18, vcc, s7, v2
	v_addc_co_u32_e32 v19, vcc, 0, v17, vcc
	flat_load_dword v17, v[18:19]
	s_or_b64 exec, exec, s[2:3]
                                        ; implicit-def: $vgpr2
	s_and_saveexec_b64 s[2:3], s[10:11]
	s_cbranch_execnz .LBB806_122
.LBB806_37:
	s_or_b64 exec, exec, s[2:3]
                                        ; implicit-def: $vgpr3
	s_and_saveexec_b64 s[2:3], s[12:13]
	s_cbranch_execz .LBB806_123
.LBB806_38:
	v_lshlrev_b32_e32 v3, 2, v4
	v_mov_b32_e32 v4, s47
	v_add_co_u32_e32 v18, vcc, s7, v3
	v_addc_co_u32_e32 v19, vcc, 0, v4, vcc
	flat_load_dword v3, v[18:19]
	s_or_b64 exec, exec, s[2:3]
                                        ; implicit-def: $vgpr4
	s_and_saveexec_b64 s[2:3], s[14:15]
	s_cbranch_execnz .LBB806_124
.LBB806_39:
	s_or_b64 exec, exec, s[2:3]
                                        ; implicit-def: $vgpr5
	s_and_saveexec_b64 s[2:3], s[16:17]
	s_cbranch_execz .LBB806_125
.LBB806_40:
	v_lshlrev_b32_e32 v5, 2, v6
	v_mov_b32_e32 v6, s47
	v_add_co_u32_e32 v18, vcc, s7, v5
	v_addc_co_u32_e32 v19, vcc, 0, v6, vcc
	flat_load_dword v5, v[18:19]
	s_or_b64 exec, exec, s[2:3]
                                        ; implicit-def: $vgpr6
	s_and_saveexec_b64 s[2:3], s[18:19]
	s_cbranch_execnz .LBB806_126
.LBB806_41:
	s_or_b64 exec, exec, s[2:3]
                                        ; implicit-def: $vgpr7
	s_and_saveexec_b64 s[2:3], s[20:21]
	s_cbranch_execz .LBB806_127
.LBB806_42:
	v_lshlrev_b32_e32 v7, 2, v8
	v_mov_b32_e32 v8, s47
	v_add_co_u32_e32 v18, vcc, s7, v7
	v_addc_co_u32_e32 v19, vcc, 0, v8, vcc
	flat_load_dword v7, v[18:19]
	s_or_b64 exec, exec, s[2:3]
                                        ; implicit-def: $vgpr8
	s_and_saveexec_b64 s[2:3], s[22:23]
	s_cbranch_execnz .LBB806_128
.LBB806_43:
	s_or_b64 exec, exec, s[2:3]
                                        ; implicit-def: $vgpr9
	s_and_saveexec_b64 s[2:3], s[24:25]
	s_cbranch_execz .LBB806_45
.LBB806_44:
	v_lshlrev_b32_e32 v9, 2, v10
	v_mov_b32_e32 v10, s47
	v_add_co_u32_e32 v18, vcc, s7, v9
	v_addc_co_u32_e32 v19, vcc, 0, v10, vcc
	flat_load_dword v9, v[18:19]
.LBB806_45:
	s_or_b64 exec, exec, s[2:3]
	v_mul_u32_u24_e32 v43, 14, v0
                                        ; implicit-def: $vgpr10
	s_and_saveexec_b64 s[2:3], s[26:27]
	s_cbranch_execz .LBB806_47
; %bb.46:
	v_lshlrev_b32_e32 v10, 2, v11
	v_mov_b32_e32 v11, s47
	v_add_co_u32_e32 v10, vcc, s7, v10
	v_addc_co_u32_e32 v11, vcc, 0, v11, vcc
	flat_load_dword v10, v[10:11]
.LBB806_47:
	s_or_b64 exec, exec, s[2:3]
	s_mov_b32 s8, 0
	s_mov_b32 s9, s8
	s_waitcnt vmcnt(0) lgkmcnt(0)
	ds_write2st64_b32 v12, v13, v14 offset1:4
	ds_write2st64_b32 v12, v15, v16 offset0:8 offset1:12
	ds_write2st64_b32 v12, v17, v2 offset0:16 offset1:20
	;; [unrolled: 1-line block ×6, first 2 shown]
	s_mov_b32 s10, s8
	s_mov_b32 s11, s8
	;; [unrolled: 1-line block ×6, first 2 shown]
	v_pk_mov_b32 v[2:3], s[8:9], s[8:9] op_sel:[0,1]
	v_pk_mov_b32 v[8:9], s[14:15], s[14:15] op_sel:[0,1]
	;; [unrolled: 1-line block ×6, first 2 shown]
	v_cmp_gt_u32_e32 vcc, s54, v43
	s_mov_b64 s[2:3], 0
	v_pk_mov_b32 v[38:39], 0, 0
	s_mov_b64 s[18:19], 0
	v_pk_mov_b32 v[14:15], v[6:7], v[6:7] op_sel:[0,1]
	v_pk_mov_b32 v[12:13], v[4:5], v[4:5] op_sel:[0,1]
	;; [unrolled: 1-line block ×6, first 2 shown]
	s_waitcnt lgkmcnt(0)
	s_barrier
	s_waitcnt lgkmcnt(0)
                                        ; implicit-def: $sgpr16_sgpr17
                                        ; implicit-def: $vgpr34
	s_and_saveexec_b64 s[4:5], vcc
	s_cbranch_execz .LBB806_75
; %bb.48:
	ds_read_b32 v2, v42
	v_mov_b32_e32 v4, s56
	v_cmp_eq_u32_e32 vcc, 0, v35
	v_or_b32_e32 v3, 1, v43
                                        ; implicit-def: $vgpr34
	s_waitcnt lgkmcnt(0)
	v_cndmask_b32_e32 v38, v4, v2, vcc
	v_cmp_ne_u32_e32 vcc, 0, v35
	v_cndmask_b32_e64 v39, 0, 1, vcc
	v_cmp_gt_u32_e32 vcc, s54, v3
	v_pk_mov_b32 v[2:3], s[8:9], s[8:9] op_sel:[0,1]
	v_pk_mov_b32 v[8:9], s[14:15], s[14:15] op_sel:[0,1]
	;; [unrolled: 1-line block ×12, first 2 shown]
                                        ; implicit-def: $sgpr8_sgpr9
	s_and_saveexec_b64 s[16:17], vcc
	s_cbranch_execz .LBB806_74
; %bb.49:
	ds_read2_b32 v[34:35], v42 offset0:1 offset1:2
	s_mov_b32 s8, 0
	v_mov_b32_e32 v3, s56
	v_cmp_eq_u32_e32 vcc, 0, v36
	s_mov_b32 s14, s8
	s_mov_b32 s15, s8
	v_add_u32_e32 v2, 2, v43
	s_waitcnt lgkmcnt(0)
	v_cndmask_b32_e32 v8, v3, v34, vcc
	v_cmp_ne_u32_e32 vcc, 0, v36
	s_mov_b32 s9, s8
	s_mov_b32 s10, s8
	;; [unrolled: 1-line block ×5, first 2 shown]
	v_pk_mov_b32 v[16:17], s[14:15], s[14:15] op_sel:[0,1]
	v_cndmask_b32_e64 v9, 0, 1, vcc
	v_cmp_gt_u32_e32 vcc, s54, v2
	v_mov_b32_e32 v2, 0
	v_pk_mov_b32 v[14:15], s[12:13], s[12:13] op_sel:[0,1]
	v_pk_mov_b32 v[12:13], s[10:11], s[10:11] op_sel:[0,1]
	;; [unrolled: 1-line block ×4, first 2 shown]
	v_mov_b32_e32 v3, v2
	v_mov_b32_e32 v4, v2
	;; [unrolled: 1-line block ×5, first 2 shown]
	s_mov_b64 s[20:21], 0
	v_pk_mov_b32 v[22:23], v[14:15], v[14:15] op_sel:[0,1]
	v_pk_mov_b32 v[20:21], v[12:13], v[12:13] op_sel:[0,1]
	v_pk_mov_b32 v[18:19], v[10:11], v[10:11] op_sel:[0,1]
                                        ; implicit-def: $sgpr24_sgpr25
                                        ; implicit-def: $vgpr34
	s_and_saveexec_b64 s[18:19], vcc
	s_cbranch_execz .LBB806_73
; %bb.50:
	v_mov_b32_e32 v4, s56
	v_cmp_eq_u32_e32 vcc, 0, v37
	v_pk_mov_b32 v[16:17], s[14:15], s[14:15] op_sel:[0,1]
	v_add_u32_e32 v3, 3, v43
	v_cndmask_b32_e32 v6, v4, v35, vcc
	v_cmp_ne_u32_e32 vcc, 0, v37
	v_pk_mov_b32 v[14:15], s[12:13], s[12:13] op_sel:[0,1]
	v_pk_mov_b32 v[12:13], s[10:11], s[10:11] op_sel:[0,1]
	;; [unrolled: 1-line block ×4, first 2 shown]
	v_cndmask_b32_e64 v7, 0, 1, vcc
	v_cmp_gt_u32_e32 vcc, s54, v3
	v_mov_b32_e32 v3, v2
	v_mov_b32_e32 v4, v2
	;; [unrolled: 1-line block ×3, first 2 shown]
	s_mov_b64 s[22:23], 0
	v_pk_mov_b32 v[22:23], v[14:15], v[14:15] op_sel:[0,1]
	v_pk_mov_b32 v[20:21], v[12:13], v[12:13] op_sel:[0,1]
	;; [unrolled: 1-line block ×3, first 2 shown]
                                        ; implicit-def: $sgpr8_sgpr9
                                        ; implicit-def: $vgpr34
	s_and_saveexec_b64 s[20:21], vcc
	s_cbranch_execz .LBB806_72
; %bb.51:
	ds_read2_b32 v[34:35], v42 offset0:3 offset1:4
	s_mov_b32 s8, 0
	s_mov_b32 s14, s8
	;; [unrolled: 1-line block ×3, first 2 shown]
	v_mov_b32_e32 v3, s56
	v_cmp_eq_u32_e32 vcc, 0, v30
	s_mov_b32 s9, s8
	s_mov_b32 s10, s8
	;; [unrolled: 1-line block ×5, first 2 shown]
	v_pk_mov_b32 v[16:17], s[14:15], s[14:15] op_sel:[0,1]
	v_add_u32_e32 v2, 4, v43
	s_waitcnt lgkmcnt(0)
	v_cndmask_b32_e32 v4, v3, v34, vcc
	v_cmp_ne_u32_e32 vcc, 0, v30
	v_pk_mov_b32 v[14:15], s[12:13], s[12:13] op_sel:[0,1]
	v_pk_mov_b32 v[12:13], s[10:11], s[10:11] op_sel:[0,1]
	;; [unrolled: 1-line block ×4, first 2 shown]
	v_cndmask_b32_e64 v5, 0, 1, vcc
	v_cmp_gt_u32_e32 vcc, s54, v2
	v_mov_b32_e32 v2, s8
	v_mov_b32_e32 v3, s8
	s_mov_b64 s[24:25], 0
	v_pk_mov_b32 v[22:23], v[14:15], v[14:15] op_sel:[0,1]
	v_pk_mov_b32 v[20:21], v[12:13], v[12:13] op_sel:[0,1]
	;; [unrolled: 1-line block ×3, first 2 shown]
                                        ; implicit-def: $sgpr26_sgpr27
                                        ; implicit-def: $vgpr34
	s_and_saveexec_b64 s[22:23], vcc
	s_cbranch_execz .LBB806_71
; %bb.52:
	v_mov_b32_e32 v2, s56
	v_cmp_eq_u32_e32 vcc, 0, v31
	v_add_u32_e32 v10, 5, v43
	v_cndmask_b32_e32 v2, v2, v35, vcc
	v_cmp_ne_u32_e32 vcc, 0, v31
	v_cndmask_b32_e64 v3, 0, 1, vcc
	v_cmp_gt_u32_e32 vcc, s54, v10
	v_pk_mov_b32 v[16:17], s[14:15], s[14:15] op_sel:[0,1]
	v_pk_mov_b32 v[14:15], s[12:13], s[12:13] op_sel:[0,1]
	v_pk_mov_b32 v[12:13], s[10:11], s[10:11] op_sel:[0,1]
	v_pk_mov_b32 v[10:11], s[8:9], s[8:9] op_sel:[0,1]
	v_pk_mov_b32 v[24:25], v[16:17], v[16:17] op_sel:[0,1]
	s_mov_b64 s[28:29], 0
	v_pk_mov_b32 v[22:23], v[14:15], v[14:15] op_sel:[0,1]
	v_pk_mov_b32 v[20:21], v[12:13], v[12:13] op_sel:[0,1]
	v_pk_mov_b32 v[18:19], v[10:11], v[10:11] op_sel:[0,1]
                                        ; implicit-def: $sgpr8_sgpr9
                                        ; implicit-def: $vgpr34
	s_and_saveexec_b64 s[24:25], vcc
	s_cbranch_execz .LBB806_70
; %bb.53:
	ds_read2_b32 v[30:31], v42 offset0:5 offset1:6
	s_mov_b32 s8, 0
	v_mov_b32_e32 v11, s56
	v_cmp_eq_u32_e32 vcc, 0, v32
	v_add_u32_e32 v10, 6, v43
	s_waitcnt lgkmcnt(0)
	v_cndmask_b32_e32 v16, v11, v30, vcc
	v_cmp_ne_u32_e32 vcc, 0, v32
	s_mov_b32 s14, s8
	s_mov_b32 s15, s8
	v_cndmask_b32_e64 v17, 0, 1, vcc
	v_cmp_gt_u32_e32 vcc, s54, v10
	v_mov_b32_e32 v10, 0
	s_mov_b32 s9, s8
	s_mov_b32 s10, s8
	;; [unrolled: 1-line block ×5, first 2 shown]
	v_pk_mov_b32 v[24:25], s[14:15], s[14:15] op_sel:[0,1]
	v_mov_b32_e32 v11, v10
	v_mov_b32_e32 v12, v10
	;; [unrolled: 1-line block ×5, first 2 shown]
	v_pk_mov_b32 v[22:23], s[12:13], s[12:13] op_sel:[0,1]
	v_pk_mov_b32 v[20:21], s[10:11], s[10:11] op_sel:[0,1]
	;; [unrolled: 1-line block ×3, first 2 shown]
                                        ; implicit-def: $sgpr40_sgpr41
                                        ; implicit-def: $vgpr34
	s_and_saveexec_b64 s[26:27], vcc
	s_cbranch_execz .LBB806_69
; %bb.54:
	v_mov_b32_e32 v12, s56
	v_cmp_eq_u32_e32 vcc, 0, v33
	v_add_u32_e32 v11, 7, v43
	v_cndmask_b32_e32 v14, v12, v31, vcc
	v_cmp_ne_u32_e32 vcc, 0, v33
	v_pk_mov_b32 v[24:25], s[14:15], s[14:15] op_sel:[0,1]
	v_cndmask_b32_e64 v15, 0, 1, vcc
	v_cmp_gt_u32_e32 vcc, s54, v11
	v_mov_b32_e32 v11, v10
	v_mov_b32_e32 v12, v10
	;; [unrolled: 1-line block ×3, first 2 shown]
	s_mov_b64 s[30:31], 0
	v_pk_mov_b32 v[22:23], s[12:13], s[12:13] op_sel:[0,1]
	v_pk_mov_b32 v[20:21], s[10:11], s[10:11] op_sel:[0,1]
	;; [unrolled: 1-line block ×3, first 2 shown]
                                        ; implicit-def: $sgpr8_sgpr9
                                        ; implicit-def: $vgpr34
	s_and_saveexec_b64 s[28:29], vcc
	s_cbranch_execz .LBB806_68
; %bb.55:
	ds_read2_b32 v[30:31], v42 offset0:7 offset1:8
	s_mov_b32 s8, 0
	v_mov_b32_e32 v11, s56
	v_cmp_eq_u32_e32 vcc, 0, v26
	s_mov_b32 s14, s8
	s_mov_b32 s15, s8
	v_add_u32_e32 v10, 8, v43
	s_waitcnt lgkmcnt(0)
	v_cndmask_b32_e32 v12, v11, v30, vcc
	v_cmp_ne_u32_e32 vcc, 0, v26
	s_mov_b32 s9, s8
	s_mov_b32 s10, s8
	s_mov_b32 s11, s8
	s_mov_b32 s12, s8
	s_mov_b32 s13, s8
	v_pk_mov_b32 v[24:25], s[14:15], s[14:15] op_sel:[0,1]
	v_cndmask_b32_e64 v13, 0, 1, vcc
	v_cmp_gt_u32_e32 vcc, s54, v10
	v_mov_b32_e32 v10, s8
	v_mov_b32_e32 v11, s8
	s_mov_b64 s[40:41], 0
	v_pk_mov_b32 v[22:23], s[12:13], s[12:13] op_sel:[0,1]
	v_pk_mov_b32 v[20:21], s[10:11], s[10:11] op_sel:[0,1]
	;; [unrolled: 1-line block ×3, first 2 shown]
                                        ; implicit-def: $sgpr48_sgpr49
                                        ; implicit-def: $vgpr34
	s_and_saveexec_b64 s[30:31], vcc
	s_cbranch_execz .LBB806_67
; %bb.56:
	v_mov_b32_e32 v10, s56
	v_cmp_eq_u32_e32 vcc, 0, v27
	v_add_u32_e32 v18, 9, v43
	v_cndmask_b32_e32 v10, v10, v31, vcc
	v_cmp_ne_u32_e32 vcc, 0, v27
	v_cndmask_b32_e64 v11, 0, 1, vcc
	v_cmp_gt_u32_e32 vcc, s54, v18
	v_pk_mov_b32 v[24:25], s[14:15], s[14:15] op_sel:[0,1]
	v_pk_mov_b32 v[22:23], s[12:13], s[12:13] op_sel:[0,1]
	;; [unrolled: 1-line block ×4, first 2 shown]
                                        ; implicit-def: $sgpr10_sgpr11
                                        ; implicit-def: $vgpr34
	s_and_saveexec_b64 s[8:9], vcc
	s_cbranch_execz .LBB806_66
; %bb.57:
	ds_read2_b32 v[26:27], v42 offset0:9 offset1:10
	v_mov_b32_e32 v18, s56
	v_cmp_eq_u32_e32 vcc, 0, v28
	v_add_u32_e32 v20, 10, v43
	v_mov_b32_e32 v22, 0
	s_waitcnt lgkmcnt(0)
	v_cndmask_b32_e32 v18, v18, v26, vcc
	v_cmp_ne_u32_e32 vcc, 0, v28
	v_cndmask_b32_e64 v19, 0, 1, vcc
	v_cmp_gt_u32_e32 vcc, s54, v20
	v_mov_b32_e32 v20, v22
	v_mov_b32_e32 v21, v22
	;; [unrolled: 1-line block ×5, first 2 shown]
	s_mov_b64 s[12:13], 0
                                        ; implicit-def: $sgpr40_sgpr41
                                        ; implicit-def: $vgpr34
	s_and_saveexec_b64 s[10:11], vcc
	s_cbranch_execz .LBB806_65
; %bb.58:
	v_mov_b32_e32 v20, s56
	v_cmp_eq_u32_e32 vcc, 0, v29
	v_add_u32_e32 v23, 11, v43
	v_cndmask_b32_e32 v20, v20, v27, vcc
	v_cmp_ne_u32_e32 vcc, 0, v29
	v_cndmask_b32_e64 v21, 0, 1, vcc
	v_cmp_gt_u32_e32 vcc, s54, v23
	v_mov_b32_e32 v23, v22
	v_mov_b32_e32 v24, v22
	;; [unrolled: 1-line block ×3, first 2 shown]
	s_mov_b64 s[14:15], 0
                                        ; implicit-def: $sgpr48_sgpr49
                                        ; implicit-def: $vgpr34
	s_and_saveexec_b64 s[12:13], vcc
	s_cbranch_execz .LBB806_64
; %bb.59:
	ds_read2_b32 v[26:27], v42 offset0:11 offset1:12
	v_mov_b32_e32 v22, s56
	v_cmp_eq_u32_e32 vcc, 0, v40
	v_add_u32_e32 v24, 12, v43
	s_mov_b32 s14, 0
	s_waitcnt lgkmcnt(0)
	v_cndmask_b32_e32 v22, v22, v26, vcc
	v_cmp_ne_u32_e32 vcc, 0, v40
	v_cndmask_b32_e64 v23, 0, 1, vcc
	v_cmp_gt_u32_e32 vcc, s54, v24
	v_mov_b32_e32 v24, s14
	v_mov_b32_e32 v25, s14
	s_mov_b64 s[40:41], 0
                                        ; implicit-def: $sgpr48_sgpr49
                                        ; implicit-def: $vgpr34
	s_and_saveexec_b64 s[14:15], vcc
	s_cbranch_execz .LBB806_63
; %bb.60:
	v_mov_b32_e32 v24, s56
	v_cmp_eq_u32_e32 vcc, 0, v41
	v_add_u32_e32 v26, 13, v43
	v_cndmask_b32_e32 v24, v24, v27, vcc
	v_cmp_ne_u32_e32 vcc, 0, v41
	v_cndmask_b32_e64 v25, 0, 1, vcc
	v_cmp_gt_u32_e32 vcc, s54, v26
                                        ; implicit-def: $sgpr48_sgpr49
                                        ; implicit-def: $vgpr34
	s_and_saveexec_b64 s[54:55], vcc
	s_xor_b64 s[54:55], exec, s[54:55]
	s_cbranch_execz .LBB806_62
; %bb.61:
	ds_read_b32 v26, v42 offset:52
	v_mov_b32_e32 v27, s56
	v_cmp_ne_u32_e32 vcc, 0, v1
	s_mov_b64 s[40:41], exec
	s_and_b64 s[48:49], vcc, exec
	s_waitcnt lgkmcnt(0)
	v_cndmask_b32_e32 v34, v26, v27, vcc
.LBB806_62:
	s_or_b64 exec, exec, s[54:55]
	s_and_b64 s[48:49], s[48:49], exec
	s_and_b64 s[40:41], s[40:41], exec
.LBB806_63:
	s_or_b64 exec, exec, s[14:15]
	s_and_b64 s[48:49], s[48:49], exec
	s_and_b64 s[14:15], s[40:41], exec
.LBB806_64:
	s_or_b64 exec, exec, s[12:13]
	s_and_b64 s[40:41], s[48:49], exec
	s_and_b64 s[12:13], s[14:15], exec
.LBB806_65:
	s_or_b64 exec, exec, s[10:11]
	s_and_b64 s[10:11], s[40:41], exec
	s_and_b64 s[40:41], s[12:13], exec
.LBB806_66:
	s_or_b64 exec, exec, s[8:9]
	s_and_b64 s[48:49], s[10:11], exec
	s_and_b64 s[40:41], s[40:41], exec
.LBB806_67:
	s_or_b64 exec, exec, s[30:31]
	s_and_b64 s[8:9], s[48:49], exec
	s_and_b64 s[30:31], s[40:41], exec
.LBB806_68:
	s_or_b64 exec, exec, s[28:29]
	s_and_b64 s[40:41], s[8:9], exec
	s_and_b64 s[28:29], s[30:31], exec
.LBB806_69:
	s_or_b64 exec, exec, s[26:27]
	s_and_b64 s[8:9], s[40:41], exec
	s_and_b64 s[28:29], s[28:29], exec
.LBB806_70:
	s_or_b64 exec, exec, s[24:25]
	s_and_b64 s[26:27], s[8:9], exec
	s_and_b64 s[24:25], s[28:29], exec
.LBB806_71:
	s_or_b64 exec, exec, s[22:23]
	s_and_b64 s[8:9], s[26:27], exec
	s_and_b64 s[22:23], s[24:25], exec
.LBB806_72:
	s_or_b64 exec, exec, s[20:21]
	s_and_b64 s[24:25], s[8:9], exec
	s_and_b64 s[20:21], s[22:23], exec
.LBB806_73:
	s_or_b64 exec, exec, s[18:19]
	s_and_b64 s[8:9], s[24:25], exec
	s_and_b64 s[18:19], s[20:21], exec
.LBB806_74:
	s_or_b64 exec, exec, s[16:17]
	s_and_b64 s[16:17], s[8:9], exec
	s_and_b64 s[18:19], s[18:19], exec
.LBB806_75:
	s_or_b64 exec, exec, s[4:5]
	s_and_b64 vcc, exec, s[2:3]
	v_lshlrev_b32_e32 v50, 2, v0
	s_cbranch_vccnz .LBB806_77
	s_branch .LBB806_82
.LBB806_76:
	s_mov_b64 s[18:19], 0
                                        ; implicit-def: $sgpr16_sgpr17
                                        ; implicit-def: $vgpr2_vgpr3_vgpr4_vgpr5_vgpr6_vgpr7_vgpr8_vgpr9
                                        ; implicit-def: $vgpr10_vgpr11_vgpr12_vgpr13_vgpr14_vgpr15_vgpr16_vgpr17
                                        ; implicit-def: $vgpr18_vgpr19_vgpr20_vgpr21_vgpr22_vgpr23_vgpr24_vgpr25
                                        ; implicit-def: $vgpr34
                                        ; implicit-def: $vgpr38_vgpr39
	s_and_b64 vcc, exec, s[2:3]
	v_lshlrev_b32_e32 v50, 2, v0
	s_cbranch_vccz .LBB806_82
.LBB806_77:
	v_mov_b32_e32 v1, s39
	v_add_co_u32_e32 v2, vcc, s38, v50
	v_addc_co_u32_e32 v3, vcc, 0, v1, vcc
	v_add_co_u32_e32 v4, vcc, 0x1000, v2
	v_addc_co_u32_e32 v5, vcc, 0, v3, vcc
	flat_load_dword v1, v[2:3]
	flat_load_dword v6, v[2:3] offset:1024
	flat_load_dword v7, v[2:3] offset:2048
	flat_load_dword v8, v[2:3] offset:3072
	flat_load_dword v9, v[4:5]
	flat_load_dword v10, v[4:5] offset:1024
	flat_load_dword v11, v[4:5] offset:2048
	;; [unrolled: 1-line block ×3, first 2 shown]
	v_add_co_u32_e32 v4, vcc, 0x2000, v2
	v_addc_co_u32_e32 v5, vcc, 0, v3, vcc
	v_add_co_u32_e32 v2, vcc, 0x3000, v2
	v_addc_co_u32_e32 v3, vcc, 0, v3, vcc
	flat_load_dword v13, v[4:5]
	flat_load_dword v14, v[4:5] offset:1024
	flat_load_dword v15, v[4:5] offset:2048
	;; [unrolled: 1-line block ×3, first 2 shown]
	flat_load_dword v17, v[2:3]
	flat_load_dword v18, v[2:3] offset:1024
	v_mov_b32_e32 v2, s38
	v_mov_b32_e32 v3, s39
	v_add_co_u32_e32 v2, vcc, 0x3000, v2
	v_addc_co_u32_e32 v3, vcc, 0, v3, vcc
	s_movk_i32 s4, 0xffcc
	s_movk_i32 s9, 0x1000
	s_mov_b32 s2, 0
	s_movk_i32 s8, 0x2000
	s_movk_i32 s3, 0x3000
	s_waitcnt vmcnt(0) lgkmcnt(0)
	ds_write2st64_b32 v50, v1, v6 offset1:4
	ds_write2st64_b32 v50, v7, v8 offset0:8 offset1:12
	ds_write2st64_b32 v50, v9, v10 offset0:16 offset1:20
	;; [unrolled: 1-line block ×6, first 2 shown]
	s_waitcnt lgkmcnt(0)
	s_barrier
	flat_load_dword v1, v[2:3] offset:2048
	v_mad_u32_u24 v8, v0, 52, v50
	ds_read_b64 v[2:3], v8
	ds_read2_b64 v[10:13], v8 offset0:1 offset1:2
	ds_read2_b64 v[18:21], v8 offset0:3 offset1:4
	;; [unrolled: 1-line block ×3, first 2 shown]
	v_mad_i32_i24 v4, v0, s4, v8
	s_movk_i32 s4, 0xff
	v_cmp_ne_u32_e32 vcc, s4, v0
	s_waitcnt lgkmcnt(0)
	ds_write_b32 v4, v2 offset:15360
	s_waitcnt lgkmcnt(0)
	s_barrier
	s_and_saveexec_b64 s[4:5], vcc
	s_cbranch_execz .LBB806_79
; %bb.78:
	s_waitcnt vmcnt(0)
	ds_read_b32 v1, v50 offset:15364
.LBB806_79:
	s_or_b64 exec, exec, s[4:5]
	v_mov_b32_e32 v2, s47
	v_add_co_u32_e32 v4, vcc, s7, v50
	v_addc_co_u32_e32 v5, vcc, 0, v2, vcc
	v_add_co_u32_e32 v6, vcc, s9, v4
	v_addc_co_u32_e32 v7, vcc, 0, v5, vcc
	s_waitcnt lgkmcnt(0)
	s_barrier
	flat_load_dword v2, v[4:5]
	flat_load_dword v9, v[4:5] offset:1024
	flat_load_dword v14, v[4:5] offset:2048
	;; [unrolled: 1-line block ×3, first 2 shown]
	flat_load_dword v16, v[6:7]
	flat_load_dword v17, v[6:7] offset:1024
	flat_load_dword v22, v[6:7] offset:2048
	;; [unrolled: 1-line block ×3, first 2 shown]
	v_add_co_u32_e32 v6, vcc, s8, v4
	v_addc_co_u32_e32 v7, vcc, 0, v5, vcc
	v_add_co_u32_e32 v4, vcc, s3, v4
	v_addc_co_u32_e32 v5, vcc, 0, v5, vcc
	flat_load_dword v24, v[6:7]
	flat_load_dword v25, v[6:7] offset:1024
	flat_load_dword v30, v[6:7] offset:2048
	;; [unrolled: 1-line block ×3, first 2 shown]
	flat_load_dword v32, v[4:5]
	flat_load_dword v33, v[4:5] offset:1024
	s_mov_b32 s3, 1
	v_cmp_eq_u32_e32 vcc, 0, v3
	v_pk_mov_b32 v[38:39], s[2:3], s[2:3] op_sel:[0,1]
	s_waitcnt vmcnt(0) lgkmcnt(0)
	ds_write2st64_b32 v50, v2, v9 offset1:4
	ds_write2st64_b32 v50, v14, v15 offset0:8 offset1:12
	ds_write2st64_b32 v50, v16, v17 offset0:16 offset1:20
	;; [unrolled: 1-line block ×6, first 2 shown]
	s_waitcnt lgkmcnt(0)
	s_barrier
	ds_read2_b32 v[24:25], v8 offset0:7 offset1:8
	ds_read2_b32 v[14:15], v8 offset0:5 offset1:6
	;; [unrolled: 1-line block ×4, first 2 shown]
	ds_read_b32 v32, v8 offset:52
	ds_read2_b32 v[22:23], v8 offset0:11 offset1:12
	ds_read2_b32 v[30:31], v8 offset0:9 offset1:10
	v_mov_b32_e32 v2, s56
	s_and_saveexec_b64 s[2:3], vcc
	s_cbranch_execz .LBB806_81
; %bb.80:
	ds_read_b32 v2, v8
	v_pk_mov_b32 v[38:39], 0, 0
.LBB806_81:
	s_or_b64 exec, exec, s[2:3]
	v_mov_b32_e32 v33, s56
	v_cmp_eq_u32_e32 vcc, 0, v10
	s_waitcnt lgkmcnt(3)
	v_cndmask_b32_e32 v8, v33, v6, vcc
	v_cmp_eq_u32_e32 vcc, 0, v11
	v_cndmask_b32_e32 v6, v33, v7, vcc
	v_cmp_eq_u32_e32 vcc, 0, v12
	;; [unrolled: 2-line block ×3, first 2 shown]
	s_waitcnt lgkmcnt(0)
	v_or_b32_e32 v38, v38, v2
	v_cndmask_b32_e32 v2, v33, v5, vcc
	v_cmp_ne_u32_e32 vcc, 0, v10
	v_cndmask_b32_e64 v9, 0, 1, vcc
	v_cmp_ne_u32_e32 vcc, 0, v11
	v_cndmask_b32_e64 v7, 0, 1, vcc
	;; [unrolled: 2-line block ×4, first 2 shown]
	v_cmp_eq_u32_e32 vcc, 0, v18
	v_cndmask_b32_e32 v16, v33, v14, vcc
	v_cmp_eq_u32_e32 vcc, 0, v19
	v_cndmask_b32_e32 v14, v33, v15, vcc
	v_cmp_eq_u32_e32 vcc, 0, v20
	v_cndmask_b32_e32 v12, v33, v24, vcc
	v_cmp_eq_u32_e32 vcc, 0, v21
	v_cndmask_b32_e32 v10, v33, v25, vcc
	v_cmp_ne_u32_e32 vcc, 0, v18
	v_cndmask_b32_e64 v17, 0, 1, vcc
	v_cmp_ne_u32_e32 vcc, 0, v19
	v_cndmask_b32_e64 v15, 0, 1, vcc
	;; [unrolled: 2-line block ×4, first 2 shown]
	v_cmp_eq_u32_e32 vcc, 0, v29
	v_cndmask_b32_e32 v24, v33, v23, vcc
	v_cmp_eq_u32_e32 vcc, 0, v28
	v_cndmask_b32_e32 v22, v33, v22, vcc
	v_cmp_eq_u32_e32 vcc, 0, v27
	v_cndmask_b32_e32 v20, v33, v31, vcc
	v_cmp_eq_u32_e32 vcc, 0, v26
	v_cndmask_b32_e32 v18, v33, v30, vcc
	v_cmp_ne_u32_e32 vcc, 0, v29
	v_cndmask_b32_e64 v25, 0, 1, vcc
	v_cmp_ne_u32_e32 vcc, 0, v28
	v_cndmask_b32_e64 v23, 0, 1, vcc
	;; [unrolled: 2-line block ×3, first 2 shown]
	v_cmp_ne_u32_e32 vcc, 0, v26
	v_cmp_ne_u32_e64 s[16:17], 0, v1
	v_cndmask_b32_e64 v19, 0, 1, vcc
	v_cndmask_b32_e64 v34, v32, v33, s[16:17]
	s_mov_b64 s[18:19], -1
                                        ; implicit-def: $sgpr2_sgpr3
.LBB806_82:
	v_pk_mov_b32 v[40:41], s[2:3], s[2:3] op_sel:[0,1]
	s_and_saveexec_b64 s[2:3], s[18:19]
; %bb.83:
	v_cndmask_b32_e64 v35, 0, 1, s[16:17]
	v_pk_mov_b32 v[40:41], v[34:35], v[34:35] op_sel:[0,1]
; %bb.84:
	s_or_b64 exec, exec, s[2:3]
	s_mov_b32 s26, 0
	s_cmp_lg_u32 s6, 0
	v_mbcnt_lo_u32_b32 v52, -1, 0
	v_lshrrev_b32_e32 v1, 6, v0
	v_or_b32_e32 v51, 63, v0
	s_barrier
	s_cbranch_scc0 .LBB806_129
; %bb.85:
	s_mov_b32 s27, 1
	v_cmp_gt_u64_e64 s[2:3], s[26:27], v[8:9]
	v_cndmask_b32_e64 v27, 0, v38, s[2:3]
	v_add_u32_e32 v27, v27, v8
	v_cmp_gt_u64_e64 s[4:5], s[26:27], v[6:7]
	v_cndmask_b32_e64 v27, 0, v27, s[4:5]
	v_add_u32_e32 v27, v27, v6
	;; [unrolled: 3-line block ×12, first 2 shown]
	v_cmp_gt_u64_e32 vcc, s[26:27], v[40:41]
	v_cndmask_b32_e32 v27, 0, v27, vcc
	v_add_u32_e32 v28, v27, v40
	v_or3_b32 v27, v41, v25, v23
	v_or3_b32 v27, v27, v21, v19
	;; [unrolled: 1-line block ×6, first 2 shown]
	v_mov_b32_e32 v26, 0
	v_and_b32_e32 v27, 1, v27
	v_cmp_eq_u64_e32 vcc, 0, v[26:27]
	v_cndmask_b32_e32 v27, 1, v39, vcc
	v_and_b32_e32 v29, 0xff, v27
	v_mov_b32_dpp v31, v28 row_shr:1 row_mask:0xf bank_mask:0xf
	v_cmp_eq_u16_e32 vcc, 0, v29
	v_mov_b32_dpp v32, v29 row_shr:1 row_mask:0xf bank_mask:0xf
	v_and_b32_e32 v33, 1, v27
	v_mbcnt_hi_u32_b32 v46, -1, v52
	v_cndmask_b32_e32 v31, 0, v31, vcc
	v_and_b32_e32 v32, 1, v32
	v_cmp_eq_u32_e32 vcc, 1, v33
	v_and_b32_e32 v30, 15, v46
	v_cndmask_b32_e64 v32, v32, 1, vcc
	v_and_b32_e32 v33, 0xffff, v32
	v_cmp_eq_u32_e32 vcc, 0, v30
	v_cndmask_b32_e32 v27, v32, v27, vcc
	v_cndmask_b32_e32 v29, v33, v29, vcc
	v_and_b32_e32 v33, 1, v27
	v_cndmask_b32_e64 v31, v31, 0, vcc
	v_mov_b32_dpp v32, v29 row_shr:2 row_mask:0xf bank_mask:0xf
	v_and_b32_e32 v32, 1, v32
	v_cmp_eq_u32_e32 vcc, 1, v33
	v_cndmask_b32_e64 v32, v32, 1, vcc
	v_and_b32_e32 v33, 0xffff, v32
	v_cmp_lt_u32_e32 vcc, 1, v30
	v_add_u32_e32 v28, v31, v28
	v_cmp_eq_u16_sdwa s[26:27], v27, v26 src0_sel:BYTE_0 src1_sel:DWORD
	v_cndmask_b32_e32 v27, v27, v32, vcc
	v_cndmask_b32_e32 v29, v29, v33, vcc
	v_mov_b32_dpp v31, v28 row_shr:2 row_mask:0xf bank_mask:0xf
	s_and_b64 vcc, vcc, s[26:27]
	v_mov_b32_dpp v32, v29 row_shr:4 row_mask:0xf bank_mask:0xf
	v_and_b32_e32 v33, 1, v27
	v_cndmask_b32_e32 v31, 0, v31, vcc
	v_and_b32_e32 v32, 1, v32
	v_cmp_eq_u32_e32 vcc, 1, v33
	v_cndmask_b32_e64 v32, v32, 1, vcc
	v_and_b32_e32 v33, 0xffff, v32
	v_cmp_lt_u32_e32 vcc, 3, v30
	v_add_u32_e32 v28, v31, v28
	v_cmp_eq_u16_sdwa s[26:27], v27, v26 src0_sel:BYTE_0 src1_sel:DWORD
	v_cndmask_b32_e32 v27, v27, v32, vcc
	v_cndmask_b32_e32 v29, v29, v33, vcc
	v_mov_b32_dpp v31, v28 row_shr:4 row_mask:0xf bank_mask:0xf
	s_and_b64 vcc, vcc, s[26:27]
	v_mov_b32_dpp v32, v29 row_shr:8 row_mask:0xf bank_mask:0xf
	v_and_b32_e32 v33, 1, v27
	v_cndmask_b32_e32 v31, 0, v31, vcc
	v_and_b32_e32 v32, 1, v32
	v_cmp_eq_u32_e32 vcc, 1, v33
	v_cndmask_b32_e64 v32, v32, 1, vcc
	v_add_u32_e32 v28, v31, v28
	v_cmp_eq_u16_sdwa s[26:27], v27, v26 src0_sel:BYTE_0 src1_sel:DWORD
	v_and_b32_e32 v33, 0xffff, v32
	v_cmp_lt_u32_e32 vcc, 7, v30
	v_mov_b32_dpp v31, v28 row_shr:8 row_mask:0xf bank_mask:0xf
	v_cndmask_b32_e32 v27, v27, v32, vcc
	v_cndmask_b32_e32 v29, v29, v33, vcc
	s_and_b64 vcc, vcc, s[26:27]
	v_cndmask_b32_e32 v30, 0, v31, vcc
	v_add_u32_e32 v28, v30, v28
	v_mov_b32_dpp v31, v29 row_bcast:15 row_mask:0xf bank_mask:0xf
	v_cmp_eq_u16_sdwa vcc, v27, v26 src0_sel:BYTE_0 src1_sel:DWORD
	v_mov_b32_dpp v30, v28 row_bcast:15 row_mask:0xf bank_mask:0xf
	v_and_b32_e32 v34, 1, v27
	v_cndmask_b32_e32 v30, 0, v30, vcc
	v_and_b32_e32 v31, 1, v31
	v_cmp_eq_u32_e32 vcc, 1, v34
	v_and_b32_e32 v33, 16, v46
	v_cndmask_b32_e64 v31, v31, 1, vcc
	v_and_b32_e32 v34, 0xffff, v31
	v_cmp_eq_u32_e32 vcc, 0, v33
	v_cndmask_b32_e32 v27, v31, v27, vcc
	v_cndmask_b32_e32 v29, v34, v29, vcc
	v_bfe_i32 v32, v46, 4, 1
	v_cmp_eq_u16_sdwa s[26:27], v27, v26 src0_sel:BYTE_0 src1_sel:DWORD
	v_mov_b32_dpp v29, v29 row_bcast:31 row_mask:0xf bank_mask:0xf
	v_and_b32_e32 v26, 1, v27
	v_and_b32_e32 v30, v32, v30
	;; [unrolled: 1-line block ×3, first 2 shown]
	v_cmp_eq_u32_e32 vcc, 1, v26
	v_add_u32_e32 v28, v30, v28
	v_cndmask_b32_e64 v26, v29, 1, vcc
	v_cmp_lt_u32_e32 vcc, 31, v46
	v_mov_b32_dpp v30, v28 row_bcast:31 row_mask:0xf bank_mask:0xf
	v_cndmask_b32_e32 v29, v27, v26, vcc
	s_and_b64 vcc, vcc, s[26:27]
	v_cndmask_b32_e32 v26, 0, v30, vcc
	v_add_u32_e32 v28, v26, v28
	v_cmp_eq_u32_e32 vcc, v51, v0
	s_and_saveexec_b64 s[26:27], vcc
	s_cbranch_execz .LBB806_87
; %bb.86:
	v_lshlrev_b32_e32 v26, 3, v1
	ds_write_b32 v26, v28
	ds_write_b8 v26, v29 offset:4
.LBB806_87:
	s_or_b64 exec, exec, s[26:27]
	v_cmp_gt_u32_e32 vcc, 4, v0
	s_waitcnt lgkmcnt(0)
	s_barrier
	s_and_saveexec_b64 s[26:27], vcc
	s_cbranch_execz .LBB806_91
; %bb.88:
	v_lshlrev_b32_e32 v30, 3, v0
	ds_read_b64 v[26:27], v30
	v_and_b32_e32 v31, 3, v46
	v_cmp_ne_u32_e32 vcc, 0, v31
	s_waitcnt lgkmcnt(0)
	v_mov_b32_dpp v32, v26 row_shr:1 row_mask:0xf bank_mask:0xf
	v_mov_b32_dpp v34, v27 row_shr:1 row_mask:0xf bank_mask:0xf
	v_mov_b32_e32 v33, v27
	s_and_saveexec_b64 s[30:31], vcc
	s_cbranch_execz .LBB806_90
; %bb.89:
	v_and_b32_e32 v33, 1, v27
	v_and_b32_e32 v34, 1, v34
	v_cmp_eq_u32_e32 vcc, 1, v33
	v_mov_b32_e32 v33, 0
	v_cndmask_b32_e64 v34, v34, 1, vcc
	v_cmp_eq_u16_sdwa vcc, v27, v33 src0_sel:BYTE_0 src1_sel:DWORD
	v_cndmask_b32_e32 v32, 0, v32, vcc
	v_add_u32_e32 v26, v32, v26
	v_and_b32_e32 v32, 0xffff, v34
	s_movk_i32 s7, 0xff00
	v_and_or_b32 v33, v27, s7, v32
	v_mov_b32_e32 v27, v34
.LBB806_90:
	s_or_b64 exec, exec, s[30:31]
	v_mov_b32_dpp v33, v33 row_shr:2 row_mask:0xf bank_mask:0xf
	v_and_b32_e32 v34, 1, v27
	v_and_b32_e32 v33, 1, v33
	v_cmp_eq_u32_e32 vcc, 1, v34
	v_mov_b32_e32 v34, 0
	v_cndmask_b32_e64 v33, v33, 1, vcc
	v_cmp_eq_u16_sdwa s[30:31], v27, v34 src0_sel:BYTE_0 src1_sel:DWORD
	v_cmp_lt_u32_e32 vcc, 1, v31
	v_mov_b32_dpp v32, v26 row_shr:2 row_mask:0xf bank_mask:0xf
	v_cndmask_b32_e32 v27, v27, v33, vcc
	s_and_b64 vcc, vcc, s[30:31]
	v_cndmask_b32_e32 v31, 0, v32, vcc
	v_add_u32_e32 v26, v31, v26
	ds_write_b32 v30, v26
	ds_write_b8 v30, v27 offset:4
.LBB806_91:
	s_or_b64 exec, exec, s[26:27]
	v_cmp_gt_u32_e32 vcc, 64, v0
	v_cmp_lt_u32_e64 s[26:27], 63, v0
	v_mov_b32_e32 v42, 0
	v_mov_b32_e32 v43, 0
	s_waitcnt lgkmcnt(0)
	s_barrier
	s_and_saveexec_b64 s[30:31], s[26:27]
	s_cbranch_execz .LBB806_93
; %bb.92:
	v_lshl_add_u32 v26, v1, 3, -8
	ds_read_b32 v42, v26
	ds_read_u8 v43, v26 offset:4
	v_mov_b32_e32 v27, 0
	v_and_b32_e32 v30, 1, v29
	v_cmp_eq_u16_sdwa s[26:27], v29, v27 src0_sel:BYTE_0 src1_sel:DWORD
	s_waitcnt lgkmcnt(1)
	v_cndmask_b32_e64 v26, 0, v42, s[26:27]
	v_cmp_eq_u32_e64 s[26:27], 1, v30
	v_add_u32_e32 v28, v26, v28
	s_waitcnt lgkmcnt(0)
	v_cndmask_b32_e64 v29, v43, 1, s[26:27]
.LBB806_93:
	s_or_b64 exec, exec, s[30:31]
	v_and_b32_e32 v26, 0xff, v29
	v_add_u32_e32 v27, -1, v46
	v_and_b32_e32 v29, 64, v46
	v_cmp_lt_i32_e64 s[26:27], v27, v29
	v_cndmask_b32_e64 v27, v27, v46, s[26:27]
	v_lshlrev_b32_e32 v27, 2, v27
	ds_bpermute_b32 v44, v27, v28
	ds_bpermute_b32 v45, v27, v26
	v_cmp_eq_u32_e64 s[26:27], 0, v46
	s_and_saveexec_b64 s[38:39], vcc
	s_cbranch_execz .LBB806_116
; %bb.94:
	v_mov_b32_e32 v29, 0
	ds_read_b64 v[26:27], v29 offset:24
	s_waitcnt lgkmcnt(0)
	v_readfirstlane_b32 s7, v27
	s_and_saveexec_b64 s[30:31], s[26:27]
	s_cbranch_execz .LBB806_96
; %bb.95:
	s_add_i32 s40, s6, 64
	s_mov_b32 s41, 0
	s_lshl_b64 s[48:49], s[40:41], 4
	s_add_u32 s48, s44, s48
	s_addc_u32 s49, s45, s49
	s_and_b32 s55, s7, 0xff000000
	s_mov_b32 s54, s41
	s_and_b32 s59, s7, 0xff0000
	s_mov_b32 s58, s41
	s_or_b64 s[54:55], s[58:59], s[54:55]
	s_and_b32 s59, s7, 0xff00
	s_or_b64 s[54:55], s[54:55], s[58:59]
	s_and_b32 s59, s7, 0xff
	s_or_b64 s[40:41], s[54:55], s[58:59]
	v_mov_b32_e32 v27, s41
	v_mov_b32_e32 v28, 1
	v_pk_mov_b32 v[30:31], s[48:49], s[48:49] op_sel:[0,1]
	;;#ASMSTART
	global_store_dwordx4 v[30:31], v[26:29] off	
s_waitcnt vmcnt(0)
	;;#ASMEND
.LBB806_96:
	s_or_b64 exec, exec, s[30:31]
	v_xad_u32 v34, v46, -1, s6
	v_add_u32_e32 v28, 64, v34
	v_lshlrev_b64 v[30:31], 4, v[28:29]
	v_mov_b32_e32 v27, s45
	v_add_co_u32_e32 v36, vcc, s44, v30
	v_addc_co_u32_e32 v37, vcc, v27, v31, vcc
	;;#ASMSTART
	global_load_dwordx4 v[30:33], v[36:37] off glc	
s_waitcnt vmcnt(0)
	;;#ASMEND
	v_and_b32_e32 v27, 0xff0000, v30
	v_or_b32_sdwa v27, v30, v27 dst_sel:DWORD dst_unused:UNUSED_PAD src0_sel:WORD_0 src1_sel:DWORD
	v_and_b32_e32 v28, 0xff000000, v30
	v_and_b32_e32 v30, 0xff, v31
	v_or3_b32 v31, 0, 0, v30
	v_or3_b32 v30, v27, v28, 0
	v_cmp_eq_u16_sdwa s[40:41], v32, v29 src0_sel:BYTE_0 src1_sel:DWORD
	s_and_saveexec_b64 s[30:31], s[40:41]
	s_cbranch_execz .LBB806_102
; %bb.97:
	s_mov_b32 s47, 1
	s_mov_b64 s[40:41], 0
	v_mov_b32_e32 v27, 0
.LBB806_98:                             ; =>This Loop Header: Depth=1
                                        ;     Child Loop BB806_99 Depth 2
	s_max_u32 s48, s47, 1
.LBB806_99:                             ;   Parent Loop BB806_98 Depth=1
                                        ; =>  This Inner Loop Header: Depth=2
	s_add_i32 s48, s48, -1
	s_cmp_eq_u32 s48, 0
	s_sleep 1
	s_cbranch_scc0 .LBB806_99
; %bb.100:                              ;   in Loop: Header=BB806_98 Depth=1
	s_cmp_lt_u32 s47, 32
	s_cselect_b64 s[48:49], -1, 0
	s_cmp_lg_u64 s[48:49], 0
	s_addc_u32 s47, s47, 0
	;;#ASMSTART
	global_load_dwordx4 v[30:33], v[36:37] off glc	
s_waitcnt vmcnt(0)
	;;#ASMEND
	v_cmp_ne_u16_sdwa s[48:49], v32, v27 src0_sel:BYTE_0 src1_sel:DWORD
	s_or_b64 s[40:41], s[48:49], s[40:41]
	s_andn2_b64 exec, exec, s[40:41]
	s_cbranch_execnz .LBB806_98
; %bb.101:
	s_or_b64 exec, exec, s[40:41]
	v_and_b32_e32 v31, 0xff, v31
.LBB806_102:
	s_or_b64 exec, exec, s[30:31]
	v_mov_b32_e32 v27, 2
	v_cmp_eq_u16_sdwa s[30:31], v32, v27 src0_sel:BYTE_0 src1_sel:DWORD
	v_lshlrev_b64 v[28:29], v46, -1
	v_and_b32_e32 v33, s31, v29
	v_or_b32_e32 v33, 0x80000000, v33
	v_and_b32_e32 v35, s30, v28
	v_ffbl_b32_e32 v33, v33
	v_and_b32_e32 v47, 63, v46
	v_add_u32_e32 v33, 32, v33
	v_ffbl_b32_e32 v35, v35
	v_cmp_ne_u32_e32 vcc, 63, v47
	v_min_u32_e32 v33, v35, v33
	v_addc_co_u32_e32 v35, vcc, 0, v46, vcc
	v_lshlrev_b32_e32 v48, 2, v35
	ds_bpermute_b32 v35, v48, v31
	ds_bpermute_b32 v36, v48, v30
	s_mov_b32 s40, 0
	v_and_b32_e32 v37, 1, v31
	s_mov_b32 s41, 1
	s_waitcnt lgkmcnt(1)
	v_and_b32_e32 v35, 1, v35
	v_cmp_eq_u32_e32 vcc, 1, v37
	v_cndmask_b32_e64 v35, v35, 1, vcc
	v_cmp_gt_u64_e32 vcc, s[40:41], v[30:31]
	v_cmp_lt_u32_e64 s[30:31], v47, v33
	s_and_b64 vcc, s[30:31], vcc
	v_and_b32_e32 v37, 0xffff, v35
	v_cndmask_b32_e64 v54, v31, v35, s[30:31]
	s_waitcnt lgkmcnt(0)
	v_cndmask_b32_e32 v35, 0, v36, vcc
	v_cmp_gt_u32_e32 vcc, 62, v47
	v_cndmask_b32_e64 v36, 0, 1, vcc
	v_lshlrev_b32_e32 v36, 1, v36
	v_cndmask_b32_e64 v31, v31, v37, s[30:31]
	v_add_lshl_u32 v49, v36, v46, 2
	ds_bpermute_b32 v36, v49, v31
	v_add_u32_e32 v30, v35, v30
	ds_bpermute_b32 v37, v49, v30
	v_and_b32_e32 v35, 1, v54
	v_cmp_eq_u32_e32 vcc, 1, v35
	s_waitcnt lgkmcnt(1)
	v_and_b32_e32 v36, 1, v36
	v_mov_b32_e32 v35, 0
	v_add_u32_e32 v53, 2, v47
	v_cndmask_b32_e64 v36, v36, 1, vcc
	v_cmp_eq_u16_sdwa vcc, v54, v35 src0_sel:BYTE_0 src1_sel:DWORD
	v_and_b32_e32 v55, 0xffff, v36
	s_waitcnt lgkmcnt(0)
	v_cndmask_b32_e32 v37, 0, v37, vcc
	v_cmp_gt_u32_e32 vcc, v53, v33
	v_cndmask_b32_e32 v36, v36, v54, vcc
	v_cndmask_b32_e64 v37, v37, 0, vcc
	v_cndmask_b32_e32 v31, v55, v31, vcc
	v_cmp_gt_u32_e32 vcc, 60, v47
	v_cndmask_b32_e64 v54, 0, 1, vcc
	v_lshlrev_b32_e32 v54, 2, v54
	v_add_lshl_u32 v54, v54, v46, 2
	ds_bpermute_b32 v56, v54, v31
	v_add_u32_e32 v30, v37, v30
	ds_bpermute_b32 v37, v54, v30
	v_and_b32_e32 v57, 1, v36
	v_cmp_eq_u32_e32 vcc, 1, v57
	s_waitcnt lgkmcnt(1)
	v_and_b32_e32 v56, 1, v56
	v_add_u32_e32 v55, 4, v47
	v_cndmask_b32_e64 v56, v56, 1, vcc
	v_cmp_eq_u16_sdwa vcc, v36, v35 src0_sel:BYTE_0 src1_sel:DWORD
	v_and_b32_e32 v57, 0xffff, v56
	s_waitcnt lgkmcnt(0)
	v_cndmask_b32_e32 v37, 0, v37, vcc
	v_cmp_gt_u32_e32 vcc, v55, v33
	v_cndmask_b32_e32 v36, v56, v36, vcc
	v_cndmask_b32_e64 v37, v37, 0, vcc
	v_cndmask_b32_e32 v31, v57, v31, vcc
	v_cmp_gt_u32_e32 vcc, 56, v47
	v_cndmask_b32_e64 v56, 0, 1, vcc
	v_lshlrev_b32_e32 v56, 3, v56
	v_add_lshl_u32 v56, v56, v46, 2
	ds_bpermute_b32 v58, v56, v31
	v_add_u32_e32 v30, v37, v30
	ds_bpermute_b32 v37, v56, v30
	v_and_b32_e32 v59, 1, v36
	v_cmp_eq_u32_e32 vcc, 1, v59
	s_waitcnt lgkmcnt(1)
	v_and_b32_e32 v58, 1, v58
	;; [unrolled: 21-line block ×4, first 2 shown]
	v_add_u32_e32 v62, 32, v47
	v_cndmask_b32_e64 v31, v31, 1, vcc
	v_cmp_eq_u16_sdwa vcc, v36, v35 src0_sel:BYTE_0 src1_sel:DWORD
	s_waitcnt lgkmcnt(0)
	v_cndmask_b32_e32 v37, 0, v37, vcc
	v_cmp_gt_u32_e32 vcc, v62, v33
	v_cndmask_b32_e64 v33, v37, 0, vcc
	v_cndmask_b32_e32 v31, v31, v36, vcc
	v_add_u32_e32 v30, v33, v30
	s_branch .LBB806_104
.LBB806_103:                            ;   in Loop: Header=BB806_104 Depth=1
	s_or_b64 exec, exec, s[30:31]
	v_cmp_eq_u16_sdwa s[30:31], v32, v27 src0_sel:BYTE_0 src1_sel:DWORD
	v_and_b32_e32 v33, s31, v29
	ds_bpermute_b32 v37, v48, v31
	v_or_b32_e32 v33, 0x80000000, v33
	v_and_b32_e32 v36, s30, v28
	v_ffbl_b32_e32 v33, v33
	v_add_u32_e32 v33, 32, v33
	v_ffbl_b32_e32 v36, v36
	v_min_u32_e32 v33, v36, v33
	ds_bpermute_b32 v36, v48, v30
	v_and_b32_e32 v63, 1, v31
	s_waitcnt lgkmcnt(1)
	v_and_b32_e32 v37, 1, v37
	v_cmp_eq_u32_e32 vcc, 1, v63
	v_cndmask_b32_e64 v37, v37, 1, vcc
	v_cmp_gt_u64_e32 vcc, s[40:41], v[30:31]
	v_and_b32_e32 v63, 0xffff, v37
	v_cmp_lt_u32_e64 s[30:31], v47, v33
	v_cndmask_b32_e64 v37, v31, v37, s[30:31]
	v_cndmask_b32_e64 v31, v31, v63, s[30:31]
	s_and_b64 vcc, s[30:31], vcc
	ds_bpermute_b32 v63, v49, v31
	s_waitcnt lgkmcnt(1)
	v_cndmask_b32_e32 v36, 0, v36, vcc
	v_add_u32_e32 v30, v36, v30
	ds_bpermute_b32 v36, v49, v30
	v_and_b32_e32 v64, 1, v37
	s_waitcnt lgkmcnt(1)
	v_and_b32_e32 v63, 1, v63
	v_cmp_eq_u32_e32 vcc, 1, v64
	v_cndmask_b32_e64 v63, v63, 1, vcc
	v_cmp_eq_u16_sdwa vcc, v37, v35 src0_sel:BYTE_0 src1_sel:DWORD
	v_and_b32_e32 v64, 0xffff, v63
	s_waitcnt lgkmcnt(0)
	v_cndmask_b32_e32 v36, 0, v36, vcc
	v_cmp_gt_u32_e32 vcc, v53, v33
	v_cndmask_b32_e32 v31, v64, v31, vcc
	v_cndmask_b32_e32 v37, v63, v37, vcc
	ds_bpermute_b32 v63, v54, v31
	v_cndmask_b32_e64 v36, v36, 0, vcc
	v_add_u32_e32 v30, v36, v30
	ds_bpermute_b32 v36, v54, v30
	v_and_b32_e32 v64, 1, v37
	s_waitcnt lgkmcnt(1)
	v_and_b32_e32 v63, 1, v63
	v_cmp_eq_u32_e32 vcc, 1, v64
	v_cndmask_b32_e64 v63, v63, 1, vcc
	v_cmp_eq_u16_sdwa vcc, v37, v35 src0_sel:BYTE_0 src1_sel:DWORD
	v_and_b32_e32 v64, 0xffff, v63
	s_waitcnt lgkmcnt(0)
	v_cndmask_b32_e32 v36, 0, v36, vcc
	v_cmp_gt_u32_e32 vcc, v55, v33
	v_cndmask_b32_e32 v31, v64, v31, vcc
	v_cndmask_b32_e32 v37, v63, v37, vcc
	ds_bpermute_b32 v63, v56, v31
	v_cndmask_b32_e64 v36, v36, 0, vcc
	;; [unrolled: 16-line block ×3, first 2 shown]
	v_add_u32_e32 v30, v36, v30
	ds_bpermute_b32 v36, v58, v30
	v_and_b32_e32 v64, 1, v37
	s_waitcnt lgkmcnt(1)
	v_and_b32_e32 v63, 1, v63
	v_cmp_eq_u32_e32 vcc, 1, v64
	v_cndmask_b32_e64 v63, v63, 1, vcc
	v_cmp_eq_u16_sdwa vcc, v37, v35 src0_sel:BYTE_0 src1_sel:DWORD
	v_and_b32_e32 v64, 0xffff, v63
	s_waitcnt lgkmcnt(0)
	v_cndmask_b32_e32 v36, 0, v36, vcc
	v_cmp_gt_u32_e32 vcc, v59, v33
	v_cndmask_b32_e64 v36, v36, 0, vcc
	v_cndmask_b32_e32 v31, v64, v31, vcc
	ds_bpermute_b32 v31, v61, v31
	v_add_u32_e32 v30, v36, v30
	ds_bpermute_b32 v36, v61, v30
	v_cndmask_b32_e32 v37, v63, v37, vcc
	v_and_b32_e32 v63, 1, v37
	v_cmp_eq_u32_e32 vcc, 1, v63
	s_waitcnt lgkmcnt(1)
	v_cndmask_b32_e64 v31, v31, 1, vcc
	v_cmp_eq_u16_sdwa vcc, v37, v35 src0_sel:BYTE_0 src1_sel:DWORD
	s_waitcnt lgkmcnt(0)
	v_cndmask_b32_e32 v36, 0, v36, vcc
	v_cmp_gt_u32_e32 vcc, v62, v33
	v_cndmask_b32_e64 v33, v36, 0, vcc
	v_cndmask_b32_e32 v31, v31, v37, vcc
	v_add_u32_e32 v30, v33, v30
	v_cmp_eq_u16_sdwa vcc, v46, v35 src0_sel:BYTE_0 src1_sel:DWORD
	v_and_b32_e32 v33, 1, v46
	v_cndmask_b32_e32 v30, 0, v30, vcc
	v_and_b32_e32 v31, 1, v31
	v_cmp_eq_u32_e32 vcc, 1, v33
	v_subrev_u32_e32 v34, 64, v34
	v_add_u32_e32 v30, v30, v60
	v_cndmask_b32_e64 v31, v31, 1, vcc
.LBB806_104:                            ; =>This Loop Header: Depth=1
                                        ;     Child Loop BB806_107 Depth 2
                                        ;       Child Loop BB806_108 Depth 3
	v_cmp_ne_u16_sdwa s[30:31], v32, v27 src0_sel:BYTE_0 src1_sel:DWORD
	v_mov_b32_e32 v46, v31
	v_cndmask_b32_e64 v31, 0, 1, s[30:31]
	;;#ASMSTART
	;;#ASMEND
	v_cmp_ne_u32_e32 vcc, 0, v31
	s_cmp_lg_u64 vcc, exec
	v_mov_b32_e32 v60, v30
	s_cbranch_scc1 .LBB806_111
; %bb.105:                              ;   in Loop: Header=BB806_104 Depth=1
	v_lshlrev_b64 v[30:31], 4, v[34:35]
	v_mov_b32_e32 v32, s45
	v_add_co_u32_e32 v36, vcc, s44, v30
	v_addc_co_u32_e32 v37, vcc, v32, v31, vcc
	;;#ASMSTART
	global_load_dwordx4 v[30:33], v[36:37] off glc	
s_waitcnt vmcnt(0)
	;;#ASMEND
	v_and_b32_e32 v33, 0xff0000, v30
	v_or_b32_sdwa v33, v30, v33 dst_sel:DWORD dst_unused:UNUSED_PAD src0_sel:WORD_0 src1_sel:DWORD
	v_and_b32_e32 v30, 0xff000000, v30
	v_and_b32_e32 v31, 0xff, v31
	v_or3_b32 v31, 0, 0, v31
	v_or3_b32 v30, v33, v30, 0
	v_cmp_eq_u16_sdwa s[48:49], v32, v35 src0_sel:BYTE_0 src1_sel:DWORD
	s_and_saveexec_b64 s[30:31], s[48:49]
	s_cbranch_execz .LBB806_103
; %bb.106:                              ;   in Loop: Header=BB806_104 Depth=1
	s_mov_b32 s47, 1
	s_mov_b64 s[48:49], 0
.LBB806_107:                            ;   Parent Loop BB806_104 Depth=1
                                        ; =>  This Loop Header: Depth=2
                                        ;       Child Loop BB806_108 Depth 3
	s_max_u32 s54, s47, 1
.LBB806_108:                            ;   Parent Loop BB806_104 Depth=1
                                        ;     Parent Loop BB806_107 Depth=2
                                        ; =>    This Inner Loop Header: Depth=3
	s_add_i32 s54, s54, -1
	s_cmp_eq_u32 s54, 0
	s_sleep 1
	s_cbranch_scc0 .LBB806_108
; %bb.109:                              ;   in Loop: Header=BB806_107 Depth=2
	s_cmp_lt_u32 s47, 32
	s_cselect_b64 s[54:55], -1, 0
	s_cmp_lg_u64 s[54:55], 0
	s_addc_u32 s47, s47, 0
	;;#ASMSTART
	global_load_dwordx4 v[30:33], v[36:37] off glc	
s_waitcnt vmcnt(0)
	;;#ASMEND
	v_cmp_ne_u16_sdwa s[54:55], v32, v35 src0_sel:BYTE_0 src1_sel:DWORD
	s_or_b64 s[48:49], s[54:55], s[48:49]
	s_andn2_b64 exec, exec, s[48:49]
	s_cbranch_execnz .LBB806_107
; %bb.110:                              ;   in Loop: Header=BB806_104 Depth=1
	s_or_b64 exec, exec, s[48:49]
	v_and_b32_e32 v31, 0xff, v31
	s_branch .LBB806_103
.LBB806_111:                            ;   in Loop: Header=BB806_104 Depth=1
                                        ; implicit-def: $vgpr31
                                        ; implicit-def: $vgpr30
                                        ; implicit-def: $vgpr32
	s_cbranch_execz .LBB806_104
; %bb.112:
	s_and_saveexec_b64 s[30:31], s[26:27]
	s_cbranch_execz .LBB806_114
; %bb.113:
	s_and_b32 s40, s7, 0xff
	s_cmp_eq_u32 s40, 0
	s_cselect_b64 vcc, -1, 0
	s_bitcmp1_b32 s7, 0
	s_mov_b32 s41, 0
	s_cselect_b64 s[48:49], -1, 0
	s_add_i32 s40, s6, 64
	s_lshl_b64 s[6:7], s[40:41], 4
	v_cndmask_b32_e32 v27, 0, v60, vcc
	s_add_u32 s6, s44, s6
	v_add_u32_e32 v26, v27, v26
	v_and_b32_e32 v27, 1, v46
	s_addc_u32 s7, s45, s7
	v_mov_b32_e32 v29, 0
	v_cndmask_b32_e64 v27, v27, 1, s[48:49]
	v_mov_b32_e32 v28, 2
	v_pk_mov_b32 v[30:31], s[6:7], s[6:7] op_sel:[0,1]
	;;#ASMSTART
	global_store_dwordx4 v[30:31], v[26:29] off	
s_waitcnt vmcnt(0)
	;;#ASMEND
.LBB806_114:
	s_or_b64 exec, exec, s[30:31]
	v_cmp_eq_u32_e32 vcc, 0, v0
	s_and_b64 exec, exec, vcc
	s_cbranch_execz .LBB806_116
; %bb.115:
	v_mov_b32_e32 v26, 0
	ds_write_b32 v26, v60 offset:24
	ds_write_b8 v26, v46 offset:28
.LBB806_116:
	s_or_b64 exec, exec, s[38:39]
	v_mov_b32_e32 v28, 0
	s_waitcnt lgkmcnt(0)
	s_barrier
	ds_read_b32 v26, v28 offset:24
	v_cndmask_b32_e64 v27, v45, v43, s[26:27]
	v_cmp_eq_u16_sdwa vcc, v27, v28 src0_sel:BYTE_0 src1_sel:DWORD
	v_cndmask_b32_e64 v29, v44, v42, s[26:27]
	s_waitcnt lgkmcnt(0)
	v_cndmask_b32_e32 v27, 0, v26, vcc
	v_add_u32_e32 v27, v27, v29
	v_cmp_eq_u32_e32 vcc, 0, v0
	v_and_b32_e32 v29, 0xff, v39
	v_cndmask_b32_e32 v26, v27, v26, vcc
	v_cmp_eq_u64_e32 vcc, 0, v[28:29]
	v_cndmask_b32_e32 v27, 0, v26, vcc
	v_add_u32_e32 v27, v27, v38
	v_cndmask_b32_e64 v28, 0, v27, s[2:3]
	v_add_u32_e32 v42, v28, v8
	v_cndmask_b32_e64 v28, 0, v42, s[4:5]
	;; [unrolled: 2-line block ×12, first 2 shown]
	v_add_u32_e32 v49, v28, v24
	s_branch .LBB806_143
.LBB806_117:
	s_or_b64 exec, exec, s[30:31]
                                        ; implicit-def: $vgpr14
	s_and_saveexec_b64 s[30:31], s[2:3]
	s_cbranch_execz .LBB806_33
.LBB806_118:
	v_mov_b32_e32 v15, s47
	v_add_co_u32_e32 v14, vcc, s7, v12
	v_addc_co_u32_e32 v15, vcc, 0, v15, vcc
	flat_load_dword v14, v[14:15] offset:1024
	s_or_b64 exec, exec, s[30:31]
                                        ; implicit-def: $vgpr15
	s_and_saveexec_b64 s[2:3], s[4:5]
	s_cbranch_execnz .LBB806_34
.LBB806_119:
	s_or_b64 exec, exec, s[2:3]
                                        ; implicit-def: $vgpr16
	s_and_saveexec_b64 s[2:3], s[28:29]
	s_cbranch_execz .LBB806_35
.LBB806_120:
	v_mov_b32_e32 v17, s47
	v_add_co_u32_e32 v16, vcc, s7, v12
	v_addc_co_u32_e32 v17, vcc, 0, v17, vcc
	flat_load_dword v16, v[16:17] offset:3072
	s_or_b64 exec, exec, s[2:3]
                                        ; implicit-def: $vgpr17
	s_and_saveexec_b64 s[2:3], s[8:9]
	s_cbranch_execnz .LBB806_36
.LBB806_121:
	s_or_b64 exec, exec, s[2:3]
                                        ; implicit-def: $vgpr2
	s_and_saveexec_b64 s[2:3], s[10:11]
	s_cbranch_execz .LBB806_37
.LBB806_122:
	v_lshlrev_b32_e32 v2, 2, v3
	v_mov_b32_e32 v3, s47
	v_add_co_u32_e32 v2, vcc, s7, v2
	v_addc_co_u32_e32 v3, vcc, 0, v3, vcc
	flat_load_dword v2, v[2:3]
	s_or_b64 exec, exec, s[2:3]
                                        ; implicit-def: $vgpr3
	s_and_saveexec_b64 s[2:3], s[12:13]
	s_cbranch_execnz .LBB806_38
.LBB806_123:
	s_or_b64 exec, exec, s[2:3]
                                        ; implicit-def: $vgpr4
	s_and_saveexec_b64 s[2:3], s[14:15]
	s_cbranch_execz .LBB806_39
.LBB806_124:
	v_lshlrev_b32_e32 v4, 2, v5
	v_mov_b32_e32 v5, s47
	v_add_co_u32_e32 v4, vcc, s7, v4
	v_addc_co_u32_e32 v5, vcc, 0, v5, vcc
	flat_load_dword v4, v[4:5]
	s_or_b64 exec, exec, s[2:3]
                                        ; implicit-def: $vgpr5
	s_and_saveexec_b64 s[2:3], s[16:17]
	s_cbranch_execnz .LBB806_40
.LBB806_125:
	s_or_b64 exec, exec, s[2:3]
                                        ; implicit-def: $vgpr6
	s_and_saveexec_b64 s[2:3], s[18:19]
	s_cbranch_execz .LBB806_41
.LBB806_126:
	v_lshlrev_b32_e32 v6, 2, v7
	v_mov_b32_e32 v7, s47
	v_add_co_u32_e32 v6, vcc, s7, v6
	v_addc_co_u32_e32 v7, vcc, 0, v7, vcc
	flat_load_dword v6, v[6:7]
	s_or_b64 exec, exec, s[2:3]
                                        ; implicit-def: $vgpr7
	s_and_saveexec_b64 s[2:3], s[20:21]
	s_cbranch_execnz .LBB806_42
.LBB806_127:
	s_or_b64 exec, exec, s[2:3]
                                        ; implicit-def: $vgpr8
	s_and_saveexec_b64 s[2:3], s[22:23]
	s_cbranch_execz .LBB806_43
.LBB806_128:
	v_lshlrev_b32_e32 v8, 2, v9
	v_mov_b32_e32 v9, s47
	v_add_co_u32_e32 v8, vcc, s7, v8
	v_addc_co_u32_e32 v9, vcc, 0, v9, vcc
	flat_load_dword v8, v[8:9]
	s_or_b64 exec, exec, s[2:3]
                                        ; implicit-def: $vgpr9
	s_and_saveexec_b64 s[2:3], s[24:25]
	s_cbranch_execz .LBB806_45
	s_branch .LBB806_44
.LBB806_129:
                                        ; implicit-def: $vgpr49
                                        ; implicit-def: $vgpr47
                                        ; implicit-def: $vgpr45
                                        ; implicit-def: $vgpr43
                                        ; implicit-def: $vgpr34_vgpr35_vgpr36_vgpr37
                                        ; implicit-def: $vgpr30_vgpr31_vgpr32_vgpr33
                                        ; implicit-def: $vgpr26_vgpr27_vgpr28_vgpr29
	s_cbranch_execz .LBB806_143
; %bb.130:
	s_cmp_lg_u64 s[52:53], 0
	s_cselect_b32 s3, s51, 0
	s_cselect_b32 s2, s50, 0
	s_mov_b32 s24, 0
	s_cmp_eq_u64 s[2:3], 0
	v_mov_b32_e32 v32, s56
	s_cbranch_scc1 .LBB806_132
; %bb.131:
	v_mov_b32_e32 v26, 0
	global_load_dword v32, v26, s[2:3]
.LBB806_132:
	s_mov_b32 s25, 1
	v_cmp_gt_u64_e32 vcc, s[24:25], v[8:9]
	v_cndmask_b32_e32 v27, 0, v38, vcc
	v_add_u32_e32 v27, v27, v8
	v_cmp_gt_u64_e64 s[2:3], s[24:25], v[6:7]
	v_cndmask_b32_e64 v27, 0, v27, s[2:3]
	v_add_u32_e32 v27, v27, v6
	v_cmp_gt_u64_e64 s[4:5], s[24:25], v[4:5]
	v_cndmask_b32_e64 v27, 0, v27, s[4:5]
	;; [unrolled: 3-line block ×11, first 2 shown]
	v_mov_b32_e32 v26, 0
	v_add_u32_e32 v27, v27, v24
	v_cmp_gt_u64_e64 s[24:25], s[24:25], v[40:41]
	v_or3_b32 v7, v23, v15, v7
	v_cndmask_b32_e64 v27, 0, v27, s[24:25]
	v_or3_b32 v9, v25, v17, v9
	v_and_b32_e32 v35, 1, v7
	v_mov_b32_e32 v34, v26
	v_add_u32_e32 v33, v27, v40
	v_and_b32_e32 v27, 1, v41
	v_or3_b32 v3, v19, v11, v3
	v_and_b32_e32 v31, 1, v9
	v_mov_b32_e32 v30, v26
	v_cmp_ne_u64_e64 s[26:27], 0, v[34:35]
	v_cmp_eq_u32_e64 s[24:25], 1, v27
	v_or3_b32 v5, v21, v13, v5
	v_and_b32_e32 v27, 1, v3
	v_cndmask_b32_e64 v3, 0, 1, s[26:27]
	v_cmp_ne_u64_e64 s[26:27], 0, v[30:31]
	v_and_b32_e32 v29, 1, v5
	v_mov_b32_e32 v28, v26
	v_cndmask_b32_e64 v5, 0, 1, s[26:27]
	v_lshlrev_b16_e32 v3, 2, v3
	v_lshlrev_b16_e32 v5, 3, v5
	v_cmp_ne_u64_e64 s[26:27], 0, v[28:29]
	v_or_b32_e32 v3, v5, v3
	v_cndmask_b32_e64 v5, 0, 1, s[26:27]
	v_cmp_ne_u64_e64 s[26:27], 0, v[26:27]
	v_lshlrev_b16_e32 v5, 1, v5
	v_cndmask_b32_e64 v7, 0, 1, s[26:27]
	v_or_b32_e32 v5, v7, v5
	v_and_b32_e32 v5, 3, v5
	v_or_b32_e32 v3, v5, v3
	v_and_b32_e32 v3, 15, v3
	v_cmp_ne_u16_e64 s[26:27], 0, v3
	s_or_b64 s[24:25], s[24:25], s[26:27]
	v_cndmask_b32_e64 v5, v39, 1, s[24:25]
	v_and_b32_e32 v7, 0xff, v5
	v_mov_b32_dpp v11, v33 row_shr:1 row_mask:0xf bank_mask:0xf
	v_cmp_eq_u16_e64 s[24:25], 0, v7
	v_mov_b32_dpp v13, v7 row_shr:1 row_mask:0xf bank_mask:0xf
	v_and_b32_e32 v15, 1, v5
	v_mbcnt_hi_u32_b32 v3, -1, v52
	v_cndmask_b32_e64 v11, 0, v11, s[24:25]
	v_and_b32_e32 v13, 1, v13
	v_cmp_eq_u32_e64 s[24:25], 1, v15
	v_and_b32_e32 v9, 15, v3
	v_cndmask_b32_e64 v13, v13, 1, s[24:25]
	v_and_b32_e32 v15, 0xffff, v13
	v_cmp_eq_u32_e64 s[24:25], 0, v9
	v_cndmask_b32_e64 v5, v13, v5, s[24:25]
	v_cndmask_b32_e64 v7, v15, v7, s[24:25]
	v_and_b32_e32 v17, 1, v5
	v_cndmask_b32_e64 v11, v11, 0, s[24:25]
	v_mov_b32_dpp v15, v7 row_shr:2 row_mask:0xf bank_mask:0xf
	v_and_b32_e32 v15, 1, v15
	v_cmp_eq_u32_e64 s[24:25], 1, v17
	v_cndmask_b32_e64 v15, v15, 1, s[24:25]
	v_and_b32_e32 v17, 0xffff, v15
	v_cmp_lt_u32_e64 s[24:25], 1, v9
	v_add_u32_e32 v11, v11, v33
	v_cmp_eq_u16_sdwa s[26:27], v5, v26 src0_sel:BYTE_0 src1_sel:DWORD
	v_cndmask_b32_e64 v5, v5, v15, s[24:25]
	v_cndmask_b32_e64 v7, v7, v17, s[24:25]
	v_mov_b32_dpp v13, v11 row_shr:2 row_mask:0xf bank_mask:0xf
	s_and_b64 s[24:25], s[24:25], s[26:27]
	v_mov_b32_dpp v15, v7 row_shr:4 row_mask:0xf bank_mask:0xf
	v_and_b32_e32 v17, 1, v5
	v_cndmask_b32_e64 v13, 0, v13, s[24:25]
	v_and_b32_e32 v15, 1, v15
	v_cmp_eq_u32_e64 s[24:25], 1, v17
	v_cndmask_b32_e64 v15, v15, 1, s[24:25]
	v_and_b32_e32 v17, 0xffff, v15
	v_cmp_lt_u32_e64 s[24:25], 3, v9
	v_add_u32_e32 v11, v13, v11
	v_cmp_eq_u16_sdwa s[26:27], v5, v26 src0_sel:BYTE_0 src1_sel:DWORD
	v_cndmask_b32_e64 v5, v5, v15, s[24:25]
	v_cndmask_b32_e64 v7, v7, v17, s[24:25]
	v_mov_b32_dpp v13, v11 row_shr:4 row_mask:0xf bank_mask:0xf
	s_and_b64 s[24:25], s[24:25], s[26:27]
	v_mov_b32_dpp v15, v7 row_shr:8 row_mask:0xf bank_mask:0xf
	v_and_b32_e32 v17, 1, v5
	v_cndmask_b32_e64 v13, 0, v13, s[24:25]
	v_and_b32_e32 v15, 1, v15
	v_cmp_eq_u32_e64 s[24:25], 1, v17
	v_cndmask_b32_e64 v15, v15, 1, s[24:25]
	v_add_u32_e32 v11, v13, v11
	v_cmp_eq_u16_sdwa s[26:27], v5, v26 src0_sel:BYTE_0 src1_sel:DWORD
	v_and_b32_e32 v17, 0xffff, v15
	v_cmp_lt_u32_e64 s[24:25], 7, v9
	v_mov_b32_dpp v13, v11 row_shr:8 row_mask:0xf bank_mask:0xf
	v_cndmask_b32_e64 v5, v5, v15, s[24:25]
	v_cndmask_b32_e64 v7, v7, v17, s[24:25]
	s_and_b64 s[24:25], s[24:25], s[26:27]
	v_cndmask_b32_e64 v9, 0, v13, s[24:25]
	v_add_u32_e32 v9, v9, v11
	v_mov_b32_dpp v13, v7 row_bcast:15 row_mask:0xf bank_mask:0xf
	v_cmp_eq_u16_sdwa s[24:25], v5, v26 src0_sel:BYTE_0 src1_sel:DWORD
	v_mov_b32_dpp v11, v9 row_bcast:15 row_mask:0xf bank_mask:0xf
	v_and_b32_e32 v19, 1, v5
	v_cndmask_b32_e64 v11, 0, v11, s[24:25]
	v_and_b32_e32 v13, 1, v13
	v_cmp_eq_u32_e64 s[24:25], 1, v19
	v_and_b32_e32 v17, 16, v3
	v_cndmask_b32_e64 v13, v13, 1, s[24:25]
	v_and_b32_e32 v19, 0xffff, v13
	v_cmp_eq_u32_e64 s[24:25], 0, v17
	v_cndmask_b32_e64 v5, v13, v5, s[24:25]
	v_cndmask_b32_e64 v7, v19, v7, s[24:25]
	v_bfe_i32 v15, v3, 4, 1
	v_and_b32_e32 v13, 1, v5
	v_mov_b32_dpp v7, v7 row_bcast:31 row_mask:0xf bank_mask:0xf
	v_and_b32_e32 v11, v15, v11
	v_and_b32_e32 v7, 1, v7
	v_cmp_eq_u32_e64 s[24:25], 1, v13
	v_add_u32_e32 v9, v11, v9
	v_cmp_eq_u16_sdwa s[26:27], v5, v26 src0_sel:BYTE_0 src1_sel:DWORD
	v_cndmask_b32_e64 v7, v7, 1, s[24:25]
	v_cmp_lt_u32_e64 s[24:25], 31, v3
	v_mov_b32_dpp v11, v9 row_bcast:31 row_mask:0xf bank_mask:0xf
	v_cndmask_b32_e64 v5, v5, v7, s[24:25]
	s_and_b64 s[24:25], s[24:25], s[26:27]
	v_cndmask_b32_e64 v7, 0, v11, s[24:25]
	v_add_u32_e32 v7, v7, v9
	v_cmp_eq_u32_e64 s[24:25], v51, v0
	s_and_saveexec_b64 s[26:27], s[24:25]
	s_cbranch_execz .LBB806_134
; %bb.133:
	v_lshlrev_b32_e32 v9, 3, v1
	ds_write_b32 v9, v7
	ds_write_b8 v9, v5 offset:4
.LBB806_134:
	s_or_b64 exec, exec, s[26:27]
	v_cmp_gt_u32_e64 s[24:25], 4, v0
	s_waitcnt lgkmcnt(0)
	s_barrier
	s_and_saveexec_b64 s[26:27], s[24:25]
	s_cbranch_execz .LBB806_138
; %bb.135:
	v_lshlrev_b32_e32 v9, 3, v0
	ds_read_b64 v[26:27], v9
	v_and_b32_e32 v11, 3, v3
	v_cmp_ne_u32_e64 s[24:25], 0, v11
	s_waitcnt lgkmcnt(0)
	v_mov_b32_dpp v13, v26 row_shr:1 row_mask:0xf bank_mask:0xf
	v_mov_b32_dpp v17, v27 row_shr:1 row_mask:0xf bank_mask:0xf
	v_mov_b32_e32 v15, v27
	s_and_saveexec_b64 s[28:29], s[24:25]
	s_cbranch_execz .LBB806_137
; %bb.136:
	v_and_b32_e32 v15, 1, v27
	v_and_b32_e32 v17, 1, v17
	v_cmp_eq_u32_e64 s[24:25], 1, v15
	v_mov_b32_e32 v15, 0
	v_cndmask_b32_e64 v17, v17, 1, s[24:25]
	v_cmp_eq_u16_sdwa s[24:25], v27, v15 src0_sel:BYTE_0 src1_sel:DWORD
	v_cndmask_b32_e64 v13, 0, v13, s[24:25]
	v_add_u32_e32 v26, v13, v26
	v_and_b32_e32 v13, 0xffff, v17
	s_movk_i32 s24, 0xff00
	v_and_or_b32 v15, v27, s24, v13
	v_mov_b32_e32 v27, v17
.LBB806_137:
	s_or_b64 exec, exec, s[28:29]
	v_mov_b32_dpp v15, v15 row_shr:2 row_mask:0xf bank_mask:0xf
	v_and_b32_e32 v17, 1, v27
	v_and_b32_e32 v15, 1, v15
	v_cmp_eq_u32_e64 s[24:25], 1, v17
	v_mov_b32_e32 v17, 0
	v_cndmask_b32_e64 v15, v15, 1, s[24:25]
	v_cmp_eq_u16_sdwa s[28:29], v27, v17 src0_sel:BYTE_0 src1_sel:DWORD
	v_cmp_lt_u32_e64 s[24:25], 1, v11
	v_mov_b32_dpp v13, v26 row_shr:2 row_mask:0xf bank_mask:0xf
	v_cndmask_b32_e64 v11, v27, v15, s[24:25]
	s_and_b64 s[24:25], s[24:25], s[28:29]
	v_cndmask_b32_e64 v13, 0, v13, s[24:25]
	v_add_u32_e32 v13, v13, v26
	ds_write_b32 v9, v13
	ds_write_b8 v9, v11 offset:4
.LBB806_138:
	s_or_b64 exec, exec, s[26:27]
	v_cmp_lt_u32_e64 s[24:25], 63, v0
	s_waitcnt vmcnt(0)
	v_mov_b32_e32 v9, v32
	s_waitcnt lgkmcnt(0)
	s_barrier
	s_and_saveexec_b64 s[26:27], s[24:25]
	s_cbranch_execz .LBB806_140
; %bb.139:
	v_lshl_add_u32 v1, v1, 3, -8
	ds_read_u8 v9, v1 offset:4
	ds_read_b32 v1, v1
	s_waitcnt lgkmcnt(1)
	v_cmp_eq_u16_e64 s[24:25], 0, v9
	v_cndmask_b32_e64 v9, 0, v32, s[24:25]
	s_waitcnt lgkmcnt(0)
	v_add_u32_e32 v9, v9, v1
.LBB806_140:
	s_or_b64 exec, exec, s[26:27]
	v_mov_b32_e32 v28, 0
	v_cmp_eq_u16_sdwa s[24:25], v5, v28 src0_sel:BYTE_0 src1_sel:DWORD
	v_cndmask_b32_e64 v1, 0, v9, s[24:25]
	v_add_u32_e32 v1, v1, v7
	v_add_u32_e32 v5, -1, v3
	v_and_b32_e32 v7, 64, v3
	v_cmp_lt_i32_e64 s[24:25], v5, v7
	v_cndmask_b32_e64 v5, v5, v3, s[24:25]
	v_lshlrev_b32_e32 v5, 2, v5
	ds_bpermute_b32 v1, v5, v1
	v_cmp_eq_u32_e64 s[24:25], 0, v3
	v_and_b32_e32 v29, 0xff, v39
	v_cmp_eq_u64_e64 s[26:27], 0, v[28:29]
	s_waitcnt lgkmcnt(0)
	v_cndmask_b32_e64 v26, v1, v9, s[24:25]
	v_cmp_eq_u32_e64 s[24:25], 0, v0
	v_cndmask_b32_e64 v1, v26, v32, s[24:25]
	v_cndmask_b32_e64 v1, 0, v1, s[26:27]
	v_add_u32_e32 v27, v1, v38
	v_cndmask_b32_e32 v1, 0, v27, vcc
	v_add_u32_e32 v42, v1, v8
	v_cndmask_b32_e64 v1, 0, v42, s[2:3]
	v_add_u32_e32 v43, v1, v6
	v_cndmask_b32_e64 v1, 0, v43, s[4:5]
	v_add_u32_e32 v30, v1, v4
	v_cndmask_b32_e64 v1, 0, v30, s[6:7]
	v_add_u32_e32 v31, v1, v2
	v_cndmask_b32_e64 v1, 0, v31, s[8:9]
	v_add_u32_e32 v44, v1, v16
	v_cndmask_b32_e64 v1, 0, v44, s[10:11]
	v_add_u32_e32 v45, v1, v14
	v_cndmask_b32_e64 v1, 0, v45, s[12:13]
	v_add_u32_e32 v34, v1, v12
	v_cndmask_b32_e64 v1, 0, v34, s[14:15]
	v_add_u32_e32 v35, v1, v10
	v_cndmask_b32_e64 v1, 0, v35, s[16:17]
	v_add_u32_e32 v46, v1, v18
	v_cndmask_b32_e64 v1, 0, v46, s[18:19]
	v_add_u32_e32 v47, v1, v20
	v_cndmask_b32_e64 v1, 0, v47, s[20:21]
	v_add_u32_e32 v48, v1, v22
	v_cndmask_b32_e64 v1, 0, v48, s[22:23]
	s_and_saveexec_b64 s[2:3], s[24:25]
	s_cbranch_execz .LBB806_142
; %bb.141:
	ds_read_u8 v3, v28 offset:28
	ds_read_b32 v2, v28 offset:24
	s_add_u32 s4, s44, 0x400
	s_addc_u32 s5, s45, 0
	v_mov_b32_e32 v5, v28
	s_waitcnt lgkmcnt(1)
	v_cmp_eq_u16_e32 vcc, 0, v3
	v_cndmask_b32_e32 v4, 0, v32, vcc
	s_waitcnt lgkmcnt(0)
	v_add_u32_e32 v2, v4, v2
	v_and_b32_e32 v3, 0xffff, v3
	v_mov_b32_e32 v4, 2
	v_pk_mov_b32 v[6:7], s[4:5], s[4:5] op_sel:[0,1]
	;;#ASMSTART
	global_store_dwordx4 v[6:7], v[2:5] off	
s_waitcnt vmcnt(0)
	;;#ASMEND
	v_mov_b32_e32 v26, v32
.LBB806_142:
	s_or_b64 exec, exec, s[2:3]
	v_add_u32_e32 v49, v1, v24
.LBB806_143:
	s_add_u32 s2, s42, s34
	s_addc_u32 s3, s43, s35
	s_add_u32 s4, s2, s36
	v_mul_u32_u24_e32 v1, 14, v0
	s_addc_u32 s5, s3, s37
	s_and_b64 vcc, exec, s[0:1]
	v_lshlrev_b32_e32 v2, 2, v1
	s_cbranch_vccz .LBB806_171
; %bb.144:
	s_movk_i32 s0, 0xffcc
	v_mad_i32_i24 v3, v0, s0, v2
	s_barrier
	ds_write2_b64 v2, v[26:27], v[42:43] offset1:1
	ds_write2_b64 v2, v[30:31], v[44:45] offset0:2 offset1:3
	ds_write2_b64 v2, v[34:35], v[46:47] offset0:4 offset1:5
	ds_write_b64 v2, v[48:49] offset:48
	s_waitcnt lgkmcnt(0)
	s_barrier
	ds_read2st64_b32 v[16:17], v3 offset0:4 offset1:8
	ds_read2st64_b32 v[14:15], v3 offset0:12 offset1:16
	;; [unrolled: 1-line block ×6, first 2 shown]
	ds_read_b32 v3, v3 offset:13312
	v_mov_b32_e32 v7, s5
	v_add_co_u32_e32 v6, vcc, s4, v50
	s_add_i32 s33, s33, s46
	v_addc_co_u32_e32 v7, vcc, 0, v7, vcc
	v_mov_b32_e32 v1, 0
	v_cmp_gt_u32_e32 vcc, s33, v0
	s_and_saveexec_b64 s[0:1], vcc
	s_cbranch_execz .LBB806_146
; %bb.145:
	v_mul_i32_i24_e32 v18, 0xffffffcc, v0
	v_add_u32_e32 v18, v2, v18
	ds_read_b32 v18, v18
	s_waitcnt lgkmcnt(0)
	flat_store_dword v[6:7], v18
.LBB806_146:
	s_or_b64 exec, exec, s[0:1]
	v_or_b32_e32 v18, 0x100, v0
	v_cmp_gt_u32_e32 vcc, s33, v18
	s_and_saveexec_b64 s[0:1], vcc
	s_cbranch_execz .LBB806_148
; %bb.147:
	s_waitcnt lgkmcnt(0)
	flat_store_dword v[6:7], v16 offset:1024
.LBB806_148:
	s_or_b64 exec, exec, s[0:1]
	s_waitcnt lgkmcnt(0)
	v_or_b32_e32 v16, 0x200, v0
	v_cmp_gt_u32_e32 vcc, s33, v16
	s_and_saveexec_b64 s[0:1], vcc
	s_cbranch_execz .LBB806_150
; %bb.149:
	flat_store_dword v[6:7], v17 offset:2048
.LBB806_150:
	s_or_b64 exec, exec, s[0:1]
	v_or_b32_e32 v16, 0x300, v0
	v_cmp_gt_u32_e32 vcc, s33, v16
	s_and_saveexec_b64 s[0:1], vcc
	s_cbranch_execz .LBB806_152
; %bb.151:
	flat_store_dword v[6:7], v14 offset:3072
.LBB806_152:
	s_or_b64 exec, exec, s[0:1]
	v_or_b32_e32 v14, 0x400, v0
	v_cmp_gt_u32_e32 vcc, s33, v14
	s_and_saveexec_b64 s[0:1], vcc
	s_cbranch_execz .LBB806_154
; %bb.153:
	v_add_co_u32_e32 v16, vcc, 0x1000, v6
	v_addc_co_u32_e32 v17, vcc, 0, v7, vcc
	flat_store_dword v[16:17], v15
.LBB806_154:
	s_or_b64 exec, exec, s[0:1]
	v_or_b32_e32 v14, 0x500, v0
	v_cmp_gt_u32_e32 vcc, s33, v14
	s_and_saveexec_b64 s[0:1], vcc
	s_cbranch_execz .LBB806_156
; %bb.155:
	v_add_co_u32_e32 v14, vcc, 0x1000, v6
	v_addc_co_u32_e32 v15, vcc, 0, v7, vcc
	flat_store_dword v[14:15], v12 offset:1024
.LBB806_156:
	s_or_b64 exec, exec, s[0:1]
	v_or_b32_e32 v12, 0x600, v0
	v_cmp_gt_u32_e32 vcc, s33, v12
	s_and_saveexec_b64 s[0:1], vcc
	s_cbranch_execz .LBB806_158
; %bb.157:
	v_add_co_u32_e32 v14, vcc, 0x1000, v6
	v_addc_co_u32_e32 v15, vcc, 0, v7, vcc
	flat_store_dword v[14:15], v13 offset:2048
.LBB806_158:
	s_or_b64 exec, exec, s[0:1]
	v_or_b32_e32 v12, 0x700, v0
	v_cmp_gt_u32_e32 vcc, s33, v12
	s_and_saveexec_b64 s[0:1], vcc
	s_cbranch_execz .LBB806_160
; %bb.159:
	v_add_co_u32_e32 v12, vcc, 0x1000, v6
	v_addc_co_u32_e32 v13, vcc, 0, v7, vcc
	flat_store_dword v[12:13], v10 offset:3072
.LBB806_160:
	s_or_b64 exec, exec, s[0:1]
	v_or_b32_e32 v10, 0x800, v0
	v_cmp_gt_u32_e32 vcc, s33, v10
	s_and_saveexec_b64 s[0:1], vcc
	s_cbranch_execz .LBB806_162
; %bb.161:
	v_add_co_u32_e32 v12, vcc, 0x2000, v6
	v_addc_co_u32_e32 v13, vcc, 0, v7, vcc
	flat_store_dword v[12:13], v11
.LBB806_162:
	s_or_b64 exec, exec, s[0:1]
	v_or_b32_e32 v10, 0x900, v0
	v_cmp_gt_u32_e32 vcc, s33, v10
	s_and_saveexec_b64 s[0:1], vcc
	s_cbranch_execz .LBB806_164
; %bb.163:
	v_add_co_u32_e32 v10, vcc, 0x2000, v6
	v_addc_co_u32_e32 v11, vcc, 0, v7, vcc
	flat_store_dword v[10:11], v8 offset:1024
.LBB806_164:
	s_or_b64 exec, exec, s[0:1]
	v_or_b32_e32 v8, 0xa00, v0
	v_cmp_gt_u32_e32 vcc, s33, v8
	s_and_saveexec_b64 s[0:1], vcc
	s_cbranch_execz .LBB806_166
; %bb.165:
	v_add_co_u32_e32 v10, vcc, 0x2000, v6
	v_addc_co_u32_e32 v11, vcc, 0, v7, vcc
	flat_store_dword v[10:11], v9 offset:2048
.LBB806_166:
	;; [unrolled: 10-line block ×3, first 2 shown]
	s_or_b64 exec, exec, s[0:1]
	v_or_b32_e32 v4, 0xc00, v0
	v_cmp_gt_u32_e32 vcc, s33, v4
	s_and_saveexec_b64 s[0:1], vcc
	s_cbranch_execz .LBB806_170
; %bb.169:
	v_add_co_u32_e32 v6, vcc, 0x3000, v6
	v_addc_co_u32_e32 v7, vcc, 0, v7, vcc
	flat_store_dword v[6:7], v5
.LBB806_170:
	s_or_b64 exec, exec, s[0:1]
	v_or_b32_e32 v4, 0xd00, v0
	v_cmp_gt_u32_e64 s[0:1], s33, v4
	s_branch .LBB806_173
.LBB806_171:
	s_mov_b64 s[0:1], 0
                                        ; implicit-def: $vgpr3
	s_cbranch_execz .LBB806_173
; %bb.172:
	s_movk_i32 s2, 0xffcc
	s_waitcnt lgkmcnt(0)
	s_barrier
	ds_write2_b64 v2, v[26:27], v[42:43] offset1:1
	ds_write2_b64 v2, v[30:31], v[44:45] offset0:2 offset1:3
	ds_write2_b64 v2, v[34:35], v[46:47] offset0:4 offset1:5
	ds_write_b64 v2, v[48:49] offset:48
	v_mad_i32_i24 v2, v0, s2, v2
	v_mov_b32_e32 v17, s5
	v_add_co_u32_e32 v16, vcc, s4, v50
	s_waitcnt lgkmcnt(0)
	s_barrier
	ds_read2st64_b32 v[4:5], v2 offset1:4
	ds_read2st64_b32 v[6:7], v2 offset0:8 offset1:12
	ds_read2st64_b32 v[8:9], v2 offset0:16 offset1:20
	;; [unrolled: 1-line block ×6, first 2 shown]
	v_addc_co_u32_e32 v17, vcc, 0, v17, vcc
	s_movk_i32 s2, 0x1000
	s_waitcnt lgkmcnt(0)
	flat_store_dword v[16:17], v4
	flat_store_dword v[16:17], v5 offset:1024
	flat_store_dword v[16:17], v6 offset:2048
	;; [unrolled: 1-line block ×3, first 2 shown]
	v_add_co_u32_e32 v4, vcc, s2, v16
	v_addc_co_u32_e32 v5, vcc, 0, v17, vcc
	flat_store_dword v[4:5], v8
	flat_store_dword v[4:5], v9 offset:1024
	flat_store_dword v[4:5], v10 offset:2048
	;; [unrolled: 1-line block ×3, first 2 shown]
	v_add_co_u32_e32 v4, vcc, 0x2000, v16
	v_addc_co_u32_e32 v5, vcc, 0, v17, vcc
	flat_store_dword v[4:5], v12
	flat_store_dword v[4:5], v13 offset:1024
	flat_store_dword v[4:5], v14 offset:2048
	;; [unrolled: 1-line block ×3, first 2 shown]
	v_add_co_u32_e32 v4, vcc, 0x3000, v16
	v_mov_b32_e32 v1, 0
	v_addc_co_u32_e32 v5, vcc, 0, v17, vcc
	s_or_b64 s[0:1], s[0:1], exec
	flat_store_dword v[4:5], v2
.LBB806_173:
	s_and_saveexec_b64 s[2:3], s[0:1]
	s_cbranch_execz .LBB806_175
; %bb.174:
	v_lshlrev_b64 v[0:1], 2, v[0:1]
	v_mov_b32_e32 v2, s5
	v_add_co_u32_e32 v0, vcc, s4, v0
	v_addc_co_u32_e32 v1, vcc, v2, v1, vcc
	v_add_co_u32_e32 v0, vcc, 0x3000, v0
	v_addc_co_u32_e32 v1, vcc, 0, v1, vcc
	flat_store_dword v[0:1], v3 offset:1024
	s_endpgm
.LBB806_175:
	s_endpgm
	.section	.rodata,"a",@progbits
	.p2align	6, 0x0
	.amdhsa_kernel _ZN7rocprim17ROCPRIM_400000_NS6detail17trampoline_kernelINS0_14default_configENS1_27scan_by_key_config_selectorIiiEEZZNS1_16scan_by_key_implILNS1_25lookback_scan_determinismE0ELb1ES3_N6thrust23THRUST_200600_302600_NS6detail15normal_iteratorINS9_10device_ptrIiEEEESE_SE_iNS9_4plusIiEE19head_flag_predicateiEE10hipError_tPvRmT2_T3_T4_T5_mT6_T7_P12ihipStream_tbENKUlT_T0_E_clISt17integral_constantIbLb1EESX_IbLb0EEEEDaST_SU_EUlST_E_NS1_11comp_targetILNS1_3genE4ELNS1_11target_archE910ELNS1_3gpuE8ELNS1_3repE0EEENS1_30default_config_static_selectorELNS0_4arch9wavefront6targetE1EEEvT1_
		.amdhsa_group_segment_fixed_size 16384
		.amdhsa_private_segment_fixed_size 0
		.amdhsa_kernarg_size 112
		.amdhsa_user_sgpr_count 6
		.amdhsa_user_sgpr_private_segment_buffer 1
		.amdhsa_user_sgpr_dispatch_ptr 0
		.amdhsa_user_sgpr_queue_ptr 0
		.amdhsa_user_sgpr_kernarg_segment_ptr 1
		.amdhsa_user_sgpr_dispatch_id 0
		.amdhsa_user_sgpr_flat_scratch_init 0
		.amdhsa_user_sgpr_kernarg_preload_length 0
		.amdhsa_user_sgpr_kernarg_preload_offset 0
		.amdhsa_user_sgpr_private_segment_size 0
		.amdhsa_uses_dynamic_stack 0
		.amdhsa_system_sgpr_private_segment_wavefront_offset 0
		.amdhsa_system_sgpr_workgroup_id_x 1
		.amdhsa_system_sgpr_workgroup_id_y 0
		.amdhsa_system_sgpr_workgroup_id_z 0
		.amdhsa_system_sgpr_workgroup_info 0
		.amdhsa_system_vgpr_workitem_id 0
		.amdhsa_next_free_vgpr 65
		.amdhsa_next_free_sgpr 60
		.amdhsa_accum_offset 68
		.amdhsa_reserve_vcc 1
		.amdhsa_reserve_flat_scratch 0
		.amdhsa_float_round_mode_32 0
		.amdhsa_float_round_mode_16_64 0
		.amdhsa_float_denorm_mode_32 3
		.amdhsa_float_denorm_mode_16_64 3
		.amdhsa_dx10_clamp 1
		.amdhsa_ieee_mode 1
		.amdhsa_fp16_overflow 0
		.amdhsa_tg_split 0
		.amdhsa_exception_fp_ieee_invalid_op 0
		.amdhsa_exception_fp_denorm_src 0
		.amdhsa_exception_fp_ieee_div_zero 0
		.amdhsa_exception_fp_ieee_overflow 0
		.amdhsa_exception_fp_ieee_underflow 0
		.amdhsa_exception_fp_ieee_inexact 0
		.amdhsa_exception_int_div_zero 0
	.end_amdhsa_kernel
	.section	.text._ZN7rocprim17ROCPRIM_400000_NS6detail17trampoline_kernelINS0_14default_configENS1_27scan_by_key_config_selectorIiiEEZZNS1_16scan_by_key_implILNS1_25lookback_scan_determinismE0ELb1ES3_N6thrust23THRUST_200600_302600_NS6detail15normal_iteratorINS9_10device_ptrIiEEEESE_SE_iNS9_4plusIiEE19head_flag_predicateiEE10hipError_tPvRmT2_T3_T4_T5_mT6_T7_P12ihipStream_tbENKUlT_T0_E_clISt17integral_constantIbLb1EESX_IbLb0EEEEDaST_SU_EUlST_E_NS1_11comp_targetILNS1_3genE4ELNS1_11target_archE910ELNS1_3gpuE8ELNS1_3repE0EEENS1_30default_config_static_selectorELNS0_4arch9wavefront6targetE1EEEvT1_,"axG",@progbits,_ZN7rocprim17ROCPRIM_400000_NS6detail17trampoline_kernelINS0_14default_configENS1_27scan_by_key_config_selectorIiiEEZZNS1_16scan_by_key_implILNS1_25lookback_scan_determinismE0ELb1ES3_N6thrust23THRUST_200600_302600_NS6detail15normal_iteratorINS9_10device_ptrIiEEEESE_SE_iNS9_4plusIiEE19head_flag_predicateiEE10hipError_tPvRmT2_T3_T4_T5_mT6_T7_P12ihipStream_tbENKUlT_T0_E_clISt17integral_constantIbLb1EESX_IbLb0EEEEDaST_SU_EUlST_E_NS1_11comp_targetILNS1_3genE4ELNS1_11target_archE910ELNS1_3gpuE8ELNS1_3repE0EEENS1_30default_config_static_selectorELNS0_4arch9wavefront6targetE1EEEvT1_,comdat
.Lfunc_end806:
	.size	_ZN7rocprim17ROCPRIM_400000_NS6detail17trampoline_kernelINS0_14default_configENS1_27scan_by_key_config_selectorIiiEEZZNS1_16scan_by_key_implILNS1_25lookback_scan_determinismE0ELb1ES3_N6thrust23THRUST_200600_302600_NS6detail15normal_iteratorINS9_10device_ptrIiEEEESE_SE_iNS9_4plusIiEE19head_flag_predicateiEE10hipError_tPvRmT2_T3_T4_T5_mT6_T7_P12ihipStream_tbENKUlT_T0_E_clISt17integral_constantIbLb1EESX_IbLb0EEEEDaST_SU_EUlST_E_NS1_11comp_targetILNS1_3genE4ELNS1_11target_archE910ELNS1_3gpuE8ELNS1_3repE0EEENS1_30default_config_static_selectorELNS0_4arch9wavefront6targetE1EEEvT1_, .Lfunc_end806-_ZN7rocprim17ROCPRIM_400000_NS6detail17trampoline_kernelINS0_14default_configENS1_27scan_by_key_config_selectorIiiEEZZNS1_16scan_by_key_implILNS1_25lookback_scan_determinismE0ELb1ES3_N6thrust23THRUST_200600_302600_NS6detail15normal_iteratorINS9_10device_ptrIiEEEESE_SE_iNS9_4plusIiEE19head_flag_predicateiEE10hipError_tPvRmT2_T3_T4_T5_mT6_T7_P12ihipStream_tbENKUlT_T0_E_clISt17integral_constantIbLb1EESX_IbLb0EEEEDaST_SU_EUlST_E_NS1_11comp_targetILNS1_3genE4ELNS1_11target_archE910ELNS1_3gpuE8ELNS1_3repE0EEENS1_30default_config_static_selectorELNS0_4arch9wavefront6targetE1EEEvT1_
                                        ; -- End function
	.section	.AMDGPU.csdata,"",@progbits
; Kernel info:
; codeLenInByte = 11280
; NumSgprs: 64
; NumVgprs: 65
; NumAgprs: 0
; TotalNumVgprs: 65
; ScratchSize: 0
; MemoryBound: 0
; FloatMode: 240
; IeeeMode: 1
; LDSByteSize: 16384 bytes/workgroup (compile time only)
; SGPRBlocks: 7
; VGPRBlocks: 8
; NumSGPRsForWavesPerEU: 64
; NumVGPRsForWavesPerEU: 65
; AccumOffset: 68
; Occupancy: 4
; WaveLimiterHint : 1
; COMPUTE_PGM_RSRC2:SCRATCH_EN: 0
; COMPUTE_PGM_RSRC2:USER_SGPR: 6
; COMPUTE_PGM_RSRC2:TRAP_HANDLER: 0
; COMPUTE_PGM_RSRC2:TGID_X_EN: 1
; COMPUTE_PGM_RSRC2:TGID_Y_EN: 0
; COMPUTE_PGM_RSRC2:TGID_Z_EN: 0
; COMPUTE_PGM_RSRC2:TIDIG_COMP_CNT: 0
; COMPUTE_PGM_RSRC3_GFX90A:ACCUM_OFFSET: 16
; COMPUTE_PGM_RSRC3_GFX90A:TG_SPLIT: 0
	.section	.text._ZN7rocprim17ROCPRIM_400000_NS6detail17trampoline_kernelINS0_14default_configENS1_27scan_by_key_config_selectorIiiEEZZNS1_16scan_by_key_implILNS1_25lookback_scan_determinismE0ELb1ES3_N6thrust23THRUST_200600_302600_NS6detail15normal_iteratorINS9_10device_ptrIiEEEESE_SE_iNS9_4plusIiEE19head_flag_predicateiEE10hipError_tPvRmT2_T3_T4_T5_mT6_T7_P12ihipStream_tbENKUlT_T0_E_clISt17integral_constantIbLb1EESX_IbLb0EEEEDaST_SU_EUlST_E_NS1_11comp_targetILNS1_3genE3ELNS1_11target_archE908ELNS1_3gpuE7ELNS1_3repE0EEENS1_30default_config_static_selectorELNS0_4arch9wavefront6targetE1EEEvT1_,"axG",@progbits,_ZN7rocprim17ROCPRIM_400000_NS6detail17trampoline_kernelINS0_14default_configENS1_27scan_by_key_config_selectorIiiEEZZNS1_16scan_by_key_implILNS1_25lookback_scan_determinismE0ELb1ES3_N6thrust23THRUST_200600_302600_NS6detail15normal_iteratorINS9_10device_ptrIiEEEESE_SE_iNS9_4plusIiEE19head_flag_predicateiEE10hipError_tPvRmT2_T3_T4_T5_mT6_T7_P12ihipStream_tbENKUlT_T0_E_clISt17integral_constantIbLb1EESX_IbLb0EEEEDaST_SU_EUlST_E_NS1_11comp_targetILNS1_3genE3ELNS1_11target_archE908ELNS1_3gpuE7ELNS1_3repE0EEENS1_30default_config_static_selectorELNS0_4arch9wavefront6targetE1EEEvT1_,comdat
	.protected	_ZN7rocprim17ROCPRIM_400000_NS6detail17trampoline_kernelINS0_14default_configENS1_27scan_by_key_config_selectorIiiEEZZNS1_16scan_by_key_implILNS1_25lookback_scan_determinismE0ELb1ES3_N6thrust23THRUST_200600_302600_NS6detail15normal_iteratorINS9_10device_ptrIiEEEESE_SE_iNS9_4plusIiEE19head_flag_predicateiEE10hipError_tPvRmT2_T3_T4_T5_mT6_T7_P12ihipStream_tbENKUlT_T0_E_clISt17integral_constantIbLb1EESX_IbLb0EEEEDaST_SU_EUlST_E_NS1_11comp_targetILNS1_3genE3ELNS1_11target_archE908ELNS1_3gpuE7ELNS1_3repE0EEENS1_30default_config_static_selectorELNS0_4arch9wavefront6targetE1EEEvT1_ ; -- Begin function _ZN7rocprim17ROCPRIM_400000_NS6detail17trampoline_kernelINS0_14default_configENS1_27scan_by_key_config_selectorIiiEEZZNS1_16scan_by_key_implILNS1_25lookback_scan_determinismE0ELb1ES3_N6thrust23THRUST_200600_302600_NS6detail15normal_iteratorINS9_10device_ptrIiEEEESE_SE_iNS9_4plusIiEE19head_flag_predicateiEE10hipError_tPvRmT2_T3_T4_T5_mT6_T7_P12ihipStream_tbENKUlT_T0_E_clISt17integral_constantIbLb1EESX_IbLb0EEEEDaST_SU_EUlST_E_NS1_11comp_targetILNS1_3genE3ELNS1_11target_archE908ELNS1_3gpuE7ELNS1_3repE0EEENS1_30default_config_static_selectorELNS0_4arch9wavefront6targetE1EEEvT1_
	.globl	_ZN7rocprim17ROCPRIM_400000_NS6detail17trampoline_kernelINS0_14default_configENS1_27scan_by_key_config_selectorIiiEEZZNS1_16scan_by_key_implILNS1_25lookback_scan_determinismE0ELb1ES3_N6thrust23THRUST_200600_302600_NS6detail15normal_iteratorINS9_10device_ptrIiEEEESE_SE_iNS9_4plusIiEE19head_flag_predicateiEE10hipError_tPvRmT2_T3_T4_T5_mT6_T7_P12ihipStream_tbENKUlT_T0_E_clISt17integral_constantIbLb1EESX_IbLb0EEEEDaST_SU_EUlST_E_NS1_11comp_targetILNS1_3genE3ELNS1_11target_archE908ELNS1_3gpuE7ELNS1_3repE0EEENS1_30default_config_static_selectorELNS0_4arch9wavefront6targetE1EEEvT1_
	.p2align	8
	.type	_ZN7rocprim17ROCPRIM_400000_NS6detail17trampoline_kernelINS0_14default_configENS1_27scan_by_key_config_selectorIiiEEZZNS1_16scan_by_key_implILNS1_25lookback_scan_determinismE0ELb1ES3_N6thrust23THRUST_200600_302600_NS6detail15normal_iteratorINS9_10device_ptrIiEEEESE_SE_iNS9_4plusIiEE19head_flag_predicateiEE10hipError_tPvRmT2_T3_T4_T5_mT6_T7_P12ihipStream_tbENKUlT_T0_E_clISt17integral_constantIbLb1EESX_IbLb0EEEEDaST_SU_EUlST_E_NS1_11comp_targetILNS1_3genE3ELNS1_11target_archE908ELNS1_3gpuE7ELNS1_3repE0EEENS1_30default_config_static_selectorELNS0_4arch9wavefront6targetE1EEEvT1_,@function
_ZN7rocprim17ROCPRIM_400000_NS6detail17trampoline_kernelINS0_14default_configENS1_27scan_by_key_config_selectorIiiEEZZNS1_16scan_by_key_implILNS1_25lookback_scan_determinismE0ELb1ES3_N6thrust23THRUST_200600_302600_NS6detail15normal_iteratorINS9_10device_ptrIiEEEESE_SE_iNS9_4plusIiEE19head_flag_predicateiEE10hipError_tPvRmT2_T3_T4_T5_mT6_T7_P12ihipStream_tbENKUlT_T0_E_clISt17integral_constantIbLb1EESX_IbLb0EEEEDaST_SU_EUlST_E_NS1_11comp_targetILNS1_3genE3ELNS1_11target_archE908ELNS1_3gpuE7ELNS1_3repE0EEENS1_30default_config_static_selectorELNS0_4arch9wavefront6targetE1EEEvT1_: ; @_ZN7rocprim17ROCPRIM_400000_NS6detail17trampoline_kernelINS0_14default_configENS1_27scan_by_key_config_selectorIiiEEZZNS1_16scan_by_key_implILNS1_25lookback_scan_determinismE0ELb1ES3_N6thrust23THRUST_200600_302600_NS6detail15normal_iteratorINS9_10device_ptrIiEEEESE_SE_iNS9_4plusIiEE19head_flag_predicateiEE10hipError_tPvRmT2_T3_T4_T5_mT6_T7_P12ihipStream_tbENKUlT_T0_E_clISt17integral_constantIbLb1EESX_IbLb0EEEEDaST_SU_EUlST_E_NS1_11comp_targetILNS1_3genE3ELNS1_11target_archE908ELNS1_3gpuE7ELNS1_3repE0EEENS1_30default_config_static_selectorELNS0_4arch9wavefront6targetE1EEEvT1_
; %bb.0:
	.section	.rodata,"a",@progbits
	.p2align	6, 0x0
	.amdhsa_kernel _ZN7rocprim17ROCPRIM_400000_NS6detail17trampoline_kernelINS0_14default_configENS1_27scan_by_key_config_selectorIiiEEZZNS1_16scan_by_key_implILNS1_25lookback_scan_determinismE0ELb1ES3_N6thrust23THRUST_200600_302600_NS6detail15normal_iteratorINS9_10device_ptrIiEEEESE_SE_iNS9_4plusIiEE19head_flag_predicateiEE10hipError_tPvRmT2_T3_T4_T5_mT6_T7_P12ihipStream_tbENKUlT_T0_E_clISt17integral_constantIbLb1EESX_IbLb0EEEEDaST_SU_EUlST_E_NS1_11comp_targetILNS1_3genE3ELNS1_11target_archE908ELNS1_3gpuE7ELNS1_3repE0EEENS1_30default_config_static_selectorELNS0_4arch9wavefront6targetE1EEEvT1_
		.amdhsa_group_segment_fixed_size 0
		.amdhsa_private_segment_fixed_size 0
		.amdhsa_kernarg_size 112
		.amdhsa_user_sgpr_count 6
		.amdhsa_user_sgpr_private_segment_buffer 1
		.amdhsa_user_sgpr_dispatch_ptr 0
		.amdhsa_user_sgpr_queue_ptr 0
		.amdhsa_user_sgpr_kernarg_segment_ptr 1
		.amdhsa_user_sgpr_dispatch_id 0
		.amdhsa_user_sgpr_flat_scratch_init 0
		.amdhsa_user_sgpr_kernarg_preload_length 0
		.amdhsa_user_sgpr_kernarg_preload_offset 0
		.amdhsa_user_sgpr_private_segment_size 0
		.amdhsa_uses_dynamic_stack 0
		.amdhsa_system_sgpr_private_segment_wavefront_offset 0
		.amdhsa_system_sgpr_workgroup_id_x 1
		.amdhsa_system_sgpr_workgroup_id_y 0
		.amdhsa_system_sgpr_workgroup_id_z 0
		.amdhsa_system_sgpr_workgroup_info 0
		.amdhsa_system_vgpr_workitem_id 0
		.amdhsa_next_free_vgpr 1
		.amdhsa_next_free_sgpr 0
		.amdhsa_accum_offset 4
		.amdhsa_reserve_vcc 0
		.amdhsa_reserve_flat_scratch 0
		.amdhsa_float_round_mode_32 0
		.amdhsa_float_round_mode_16_64 0
		.amdhsa_float_denorm_mode_32 3
		.amdhsa_float_denorm_mode_16_64 3
		.amdhsa_dx10_clamp 1
		.amdhsa_ieee_mode 1
		.amdhsa_fp16_overflow 0
		.amdhsa_tg_split 0
		.amdhsa_exception_fp_ieee_invalid_op 0
		.amdhsa_exception_fp_denorm_src 0
		.amdhsa_exception_fp_ieee_div_zero 0
		.amdhsa_exception_fp_ieee_overflow 0
		.amdhsa_exception_fp_ieee_underflow 0
		.amdhsa_exception_fp_ieee_inexact 0
		.amdhsa_exception_int_div_zero 0
	.end_amdhsa_kernel
	.section	.text._ZN7rocprim17ROCPRIM_400000_NS6detail17trampoline_kernelINS0_14default_configENS1_27scan_by_key_config_selectorIiiEEZZNS1_16scan_by_key_implILNS1_25lookback_scan_determinismE0ELb1ES3_N6thrust23THRUST_200600_302600_NS6detail15normal_iteratorINS9_10device_ptrIiEEEESE_SE_iNS9_4plusIiEE19head_flag_predicateiEE10hipError_tPvRmT2_T3_T4_T5_mT6_T7_P12ihipStream_tbENKUlT_T0_E_clISt17integral_constantIbLb1EESX_IbLb0EEEEDaST_SU_EUlST_E_NS1_11comp_targetILNS1_3genE3ELNS1_11target_archE908ELNS1_3gpuE7ELNS1_3repE0EEENS1_30default_config_static_selectorELNS0_4arch9wavefront6targetE1EEEvT1_,"axG",@progbits,_ZN7rocprim17ROCPRIM_400000_NS6detail17trampoline_kernelINS0_14default_configENS1_27scan_by_key_config_selectorIiiEEZZNS1_16scan_by_key_implILNS1_25lookback_scan_determinismE0ELb1ES3_N6thrust23THRUST_200600_302600_NS6detail15normal_iteratorINS9_10device_ptrIiEEEESE_SE_iNS9_4plusIiEE19head_flag_predicateiEE10hipError_tPvRmT2_T3_T4_T5_mT6_T7_P12ihipStream_tbENKUlT_T0_E_clISt17integral_constantIbLb1EESX_IbLb0EEEEDaST_SU_EUlST_E_NS1_11comp_targetILNS1_3genE3ELNS1_11target_archE908ELNS1_3gpuE7ELNS1_3repE0EEENS1_30default_config_static_selectorELNS0_4arch9wavefront6targetE1EEEvT1_,comdat
.Lfunc_end807:
	.size	_ZN7rocprim17ROCPRIM_400000_NS6detail17trampoline_kernelINS0_14default_configENS1_27scan_by_key_config_selectorIiiEEZZNS1_16scan_by_key_implILNS1_25lookback_scan_determinismE0ELb1ES3_N6thrust23THRUST_200600_302600_NS6detail15normal_iteratorINS9_10device_ptrIiEEEESE_SE_iNS9_4plusIiEE19head_flag_predicateiEE10hipError_tPvRmT2_T3_T4_T5_mT6_T7_P12ihipStream_tbENKUlT_T0_E_clISt17integral_constantIbLb1EESX_IbLb0EEEEDaST_SU_EUlST_E_NS1_11comp_targetILNS1_3genE3ELNS1_11target_archE908ELNS1_3gpuE7ELNS1_3repE0EEENS1_30default_config_static_selectorELNS0_4arch9wavefront6targetE1EEEvT1_, .Lfunc_end807-_ZN7rocprim17ROCPRIM_400000_NS6detail17trampoline_kernelINS0_14default_configENS1_27scan_by_key_config_selectorIiiEEZZNS1_16scan_by_key_implILNS1_25lookback_scan_determinismE0ELb1ES3_N6thrust23THRUST_200600_302600_NS6detail15normal_iteratorINS9_10device_ptrIiEEEESE_SE_iNS9_4plusIiEE19head_flag_predicateiEE10hipError_tPvRmT2_T3_T4_T5_mT6_T7_P12ihipStream_tbENKUlT_T0_E_clISt17integral_constantIbLb1EESX_IbLb0EEEEDaST_SU_EUlST_E_NS1_11comp_targetILNS1_3genE3ELNS1_11target_archE908ELNS1_3gpuE7ELNS1_3repE0EEENS1_30default_config_static_selectorELNS0_4arch9wavefront6targetE1EEEvT1_
                                        ; -- End function
	.section	.AMDGPU.csdata,"",@progbits
; Kernel info:
; codeLenInByte = 0
; NumSgprs: 4
; NumVgprs: 0
; NumAgprs: 0
; TotalNumVgprs: 0
; ScratchSize: 0
; MemoryBound: 0
; FloatMode: 240
; IeeeMode: 1
; LDSByteSize: 0 bytes/workgroup (compile time only)
; SGPRBlocks: 0
; VGPRBlocks: 0
; NumSGPRsForWavesPerEU: 4
; NumVGPRsForWavesPerEU: 1
; AccumOffset: 4
; Occupancy: 8
; WaveLimiterHint : 0
; COMPUTE_PGM_RSRC2:SCRATCH_EN: 0
; COMPUTE_PGM_RSRC2:USER_SGPR: 6
; COMPUTE_PGM_RSRC2:TRAP_HANDLER: 0
; COMPUTE_PGM_RSRC2:TGID_X_EN: 1
; COMPUTE_PGM_RSRC2:TGID_Y_EN: 0
; COMPUTE_PGM_RSRC2:TGID_Z_EN: 0
; COMPUTE_PGM_RSRC2:TIDIG_COMP_CNT: 0
; COMPUTE_PGM_RSRC3_GFX90A:ACCUM_OFFSET: 0
; COMPUTE_PGM_RSRC3_GFX90A:TG_SPLIT: 0
	.section	.text._ZN7rocprim17ROCPRIM_400000_NS6detail17trampoline_kernelINS0_14default_configENS1_27scan_by_key_config_selectorIiiEEZZNS1_16scan_by_key_implILNS1_25lookback_scan_determinismE0ELb1ES3_N6thrust23THRUST_200600_302600_NS6detail15normal_iteratorINS9_10device_ptrIiEEEESE_SE_iNS9_4plusIiEE19head_flag_predicateiEE10hipError_tPvRmT2_T3_T4_T5_mT6_T7_P12ihipStream_tbENKUlT_T0_E_clISt17integral_constantIbLb1EESX_IbLb0EEEEDaST_SU_EUlST_E_NS1_11comp_targetILNS1_3genE2ELNS1_11target_archE906ELNS1_3gpuE6ELNS1_3repE0EEENS1_30default_config_static_selectorELNS0_4arch9wavefront6targetE1EEEvT1_,"axG",@progbits,_ZN7rocprim17ROCPRIM_400000_NS6detail17trampoline_kernelINS0_14default_configENS1_27scan_by_key_config_selectorIiiEEZZNS1_16scan_by_key_implILNS1_25lookback_scan_determinismE0ELb1ES3_N6thrust23THRUST_200600_302600_NS6detail15normal_iteratorINS9_10device_ptrIiEEEESE_SE_iNS9_4plusIiEE19head_flag_predicateiEE10hipError_tPvRmT2_T3_T4_T5_mT6_T7_P12ihipStream_tbENKUlT_T0_E_clISt17integral_constantIbLb1EESX_IbLb0EEEEDaST_SU_EUlST_E_NS1_11comp_targetILNS1_3genE2ELNS1_11target_archE906ELNS1_3gpuE6ELNS1_3repE0EEENS1_30default_config_static_selectorELNS0_4arch9wavefront6targetE1EEEvT1_,comdat
	.protected	_ZN7rocprim17ROCPRIM_400000_NS6detail17trampoline_kernelINS0_14default_configENS1_27scan_by_key_config_selectorIiiEEZZNS1_16scan_by_key_implILNS1_25lookback_scan_determinismE0ELb1ES3_N6thrust23THRUST_200600_302600_NS6detail15normal_iteratorINS9_10device_ptrIiEEEESE_SE_iNS9_4plusIiEE19head_flag_predicateiEE10hipError_tPvRmT2_T3_T4_T5_mT6_T7_P12ihipStream_tbENKUlT_T0_E_clISt17integral_constantIbLb1EESX_IbLb0EEEEDaST_SU_EUlST_E_NS1_11comp_targetILNS1_3genE2ELNS1_11target_archE906ELNS1_3gpuE6ELNS1_3repE0EEENS1_30default_config_static_selectorELNS0_4arch9wavefront6targetE1EEEvT1_ ; -- Begin function _ZN7rocprim17ROCPRIM_400000_NS6detail17trampoline_kernelINS0_14default_configENS1_27scan_by_key_config_selectorIiiEEZZNS1_16scan_by_key_implILNS1_25lookback_scan_determinismE0ELb1ES3_N6thrust23THRUST_200600_302600_NS6detail15normal_iteratorINS9_10device_ptrIiEEEESE_SE_iNS9_4plusIiEE19head_flag_predicateiEE10hipError_tPvRmT2_T3_T4_T5_mT6_T7_P12ihipStream_tbENKUlT_T0_E_clISt17integral_constantIbLb1EESX_IbLb0EEEEDaST_SU_EUlST_E_NS1_11comp_targetILNS1_3genE2ELNS1_11target_archE906ELNS1_3gpuE6ELNS1_3repE0EEENS1_30default_config_static_selectorELNS0_4arch9wavefront6targetE1EEEvT1_
	.globl	_ZN7rocprim17ROCPRIM_400000_NS6detail17trampoline_kernelINS0_14default_configENS1_27scan_by_key_config_selectorIiiEEZZNS1_16scan_by_key_implILNS1_25lookback_scan_determinismE0ELb1ES3_N6thrust23THRUST_200600_302600_NS6detail15normal_iteratorINS9_10device_ptrIiEEEESE_SE_iNS9_4plusIiEE19head_flag_predicateiEE10hipError_tPvRmT2_T3_T4_T5_mT6_T7_P12ihipStream_tbENKUlT_T0_E_clISt17integral_constantIbLb1EESX_IbLb0EEEEDaST_SU_EUlST_E_NS1_11comp_targetILNS1_3genE2ELNS1_11target_archE906ELNS1_3gpuE6ELNS1_3repE0EEENS1_30default_config_static_selectorELNS0_4arch9wavefront6targetE1EEEvT1_
	.p2align	8
	.type	_ZN7rocprim17ROCPRIM_400000_NS6detail17trampoline_kernelINS0_14default_configENS1_27scan_by_key_config_selectorIiiEEZZNS1_16scan_by_key_implILNS1_25lookback_scan_determinismE0ELb1ES3_N6thrust23THRUST_200600_302600_NS6detail15normal_iteratorINS9_10device_ptrIiEEEESE_SE_iNS9_4plusIiEE19head_flag_predicateiEE10hipError_tPvRmT2_T3_T4_T5_mT6_T7_P12ihipStream_tbENKUlT_T0_E_clISt17integral_constantIbLb1EESX_IbLb0EEEEDaST_SU_EUlST_E_NS1_11comp_targetILNS1_3genE2ELNS1_11target_archE906ELNS1_3gpuE6ELNS1_3repE0EEENS1_30default_config_static_selectorELNS0_4arch9wavefront6targetE1EEEvT1_,@function
_ZN7rocprim17ROCPRIM_400000_NS6detail17trampoline_kernelINS0_14default_configENS1_27scan_by_key_config_selectorIiiEEZZNS1_16scan_by_key_implILNS1_25lookback_scan_determinismE0ELb1ES3_N6thrust23THRUST_200600_302600_NS6detail15normal_iteratorINS9_10device_ptrIiEEEESE_SE_iNS9_4plusIiEE19head_flag_predicateiEE10hipError_tPvRmT2_T3_T4_T5_mT6_T7_P12ihipStream_tbENKUlT_T0_E_clISt17integral_constantIbLb1EESX_IbLb0EEEEDaST_SU_EUlST_E_NS1_11comp_targetILNS1_3genE2ELNS1_11target_archE906ELNS1_3gpuE6ELNS1_3repE0EEENS1_30default_config_static_selectorELNS0_4arch9wavefront6targetE1EEEvT1_: ; @_ZN7rocprim17ROCPRIM_400000_NS6detail17trampoline_kernelINS0_14default_configENS1_27scan_by_key_config_selectorIiiEEZZNS1_16scan_by_key_implILNS1_25lookback_scan_determinismE0ELb1ES3_N6thrust23THRUST_200600_302600_NS6detail15normal_iteratorINS9_10device_ptrIiEEEESE_SE_iNS9_4plusIiEE19head_flag_predicateiEE10hipError_tPvRmT2_T3_T4_T5_mT6_T7_P12ihipStream_tbENKUlT_T0_E_clISt17integral_constantIbLb1EESX_IbLb0EEEEDaST_SU_EUlST_E_NS1_11comp_targetILNS1_3genE2ELNS1_11target_archE906ELNS1_3gpuE6ELNS1_3repE0EEENS1_30default_config_static_selectorELNS0_4arch9wavefront6targetE1EEEvT1_
; %bb.0:
	.section	.rodata,"a",@progbits
	.p2align	6, 0x0
	.amdhsa_kernel _ZN7rocprim17ROCPRIM_400000_NS6detail17trampoline_kernelINS0_14default_configENS1_27scan_by_key_config_selectorIiiEEZZNS1_16scan_by_key_implILNS1_25lookback_scan_determinismE0ELb1ES3_N6thrust23THRUST_200600_302600_NS6detail15normal_iteratorINS9_10device_ptrIiEEEESE_SE_iNS9_4plusIiEE19head_flag_predicateiEE10hipError_tPvRmT2_T3_T4_T5_mT6_T7_P12ihipStream_tbENKUlT_T0_E_clISt17integral_constantIbLb1EESX_IbLb0EEEEDaST_SU_EUlST_E_NS1_11comp_targetILNS1_3genE2ELNS1_11target_archE906ELNS1_3gpuE6ELNS1_3repE0EEENS1_30default_config_static_selectorELNS0_4arch9wavefront6targetE1EEEvT1_
		.amdhsa_group_segment_fixed_size 0
		.amdhsa_private_segment_fixed_size 0
		.amdhsa_kernarg_size 112
		.amdhsa_user_sgpr_count 6
		.amdhsa_user_sgpr_private_segment_buffer 1
		.amdhsa_user_sgpr_dispatch_ptr 0
		.amdhsa_user_sgpr_queue_ptr 0
		.amdhsa_user_sgpr_kernarg_segment_ptr 1
		.amdhsa_user_sgpr_dispatch_id 0
		.amdhsa_user_sgpr_flat_scratch_init 0
		.amdhsa_user_sgpr_kernarg_preload_length 0
		.amdhsa_user_sgpr_kernarg_preload_offset 0
		.amdhsa_user_sgpr_private_segment_size 0
		.amdhsa_uses_dynamic_stack 0
		.amdhsa_system_sgpr_private_segment_wavefront_offset 0
		.amdhsa_system_sgpr_workgroup_id_x 1
		.amdhsa_system_sgpr_workgroup_id_y 0
		.amdhsa_system_sgpr_workgroup_id_z 0
		.amdhsa_system_sgpr_workgroup_info 0
		.amdhsa_system_vgpr_workitem_id 0
		.amdhsa_next_free_vgpr 1
		.amdhsa_next_free_sgpr 0
		.amdhsa_accum_offset 4
		.amdhsa_reserve_vcc 0
		.amdhsa_reserve_flat_scratch 0
		.amdhsa_float_round_mode_32 0
		.amdhsa_float_round_mode_16_64 0
		.amdhsa_float_denorm_mode_32 3
		.amdhsa_float_denorm_mode_16_64 3
		.amdhsa_dx10_clamp 1
		.amdhsa_ieee_mode 1
		.amdhsa_fp16_overflow 0
		.amdhsa_tg_split 0
		.amdhsa_exception_fp_ieee_invalid_op 0
		.amdhsa_exception_fp_denorm_src 0
		.amdhsa_exception_fp_ieee_div_zero 0
		.amdhsa_exception_fp_ieee_overflow 0
		.amdhsa_exception_fp_ieee_underflow 0
		.amdhsa_exception_fp_ieee_inexact 0
		.amdhsa_exception_int_div_zero 0
	.end_amdhsa_kernel
	.section	.text._ZN7rocprim17ROCPRIM_400000_NS6detail17trampoline_kernelINS0_14default_configENS1_27scan_by_key_config_selectorIiiEEZZNS1_16scan_by_key_implILNS1_25lookback_scan_determinismE0ELb1ES3_N6thrust23THRUST_200600_302600_NS6detail15normal_iteratorINS9_10device_ptrIiEEEESE_SE_iNS9_4plusIiEE19head_flag_predicateiEE10hipError_tPvRmT2_T3_T4_T5_mT6_T7_P12ihipStream_tbENKUlT_T0_E_clISt17integral_constantIbLb1EESX_IbLb0EEEEDaST_SU_EUlST_E_NS1_11comp_targetILNS1_3genE2ELNS1_11target_archE906ELNS1_3gpuE6ELNS1_3repE0EEENS1_30default_config_static_selectorELNS0_4arch9wavefront6targetE1EEEvT1_,"axG",@progbits,_ZN7rocprim17ROCPRIM_400000_NS6detail17trampoline_kernelINS0_14default_configENS1_27scan_by_key_config_selectorIiiEEZZNS1_16scan_by_key_implILNS1_25lookback_scan_determinismE0ELb1ES3_N6thrust23THRUST_200600_302600_NS6detail15normal_iteratorINS9_10device_ptrIiEEEESE_SE_iNS9_4plusIiEE19head_flag_predicateiEE10hipError_tPvRmT2_T3_T4_T5_mT6_T7_P12ihipStream_tbENKUlT_T0_E_clISt17integral_constantIbLb1EESX_IbLb0EEEEDaST_SU_EUlST_E_NS1_11comp_targetILNS1_3genE2ELNS1_11target_archE906ELNS1_3gpuE6ELNS1_3repE0EEENS1_30default_config_static_selectorELNS0_4arch9wavefront6targetE1EEEvT1_,comdat
.Lfunc_end808:
	.size	_ZN7rocprim17ROCPRIM_400000_NS6detail17trampoline_kernelINS0_14default_configENS1_27scan_by_key_config_selectorIiiEEZZNS1_16scan_by_key_implILNS1_25lookback_scan_determinismE0ELb1ES3_N6thrust23THRUST_200600_302600_NS6detail15normal_iteratorINS9_10device_ptrIiEEEESE_SE_iNS9_4plusIiEE19head_flag_predicateiEE10hipError_tPvRmT2_T3_T4_T5_mT6_T7_P12ihipStream_tbENKUlT_T0_E_clISt17integral_constantIbLb1EESX_IbLb0EEEEDaST_SU_EUlST_E_NS1_11comp_targetILNS1_3genE2ELNS1_11target_archE906ELNS1_3gpuE6ELNS1_3repE0EEENS1_30default_config_static_selectorELNS0_4arch9wavefront6targetE1EEEvT1_, .Lfunc_end808-_ZN7rocprim17ROCPRIM_400000_NS6detail17trampoline_kernelINS0_14default_configENS1_27scan_by_key_config_selectorIiiEEZZNS1_16scan_by_key_implILNS1_25lookback_scan_determinismE0ELb1ES3_N6thrust23THRUST_200600_302600_NS6detail15normal_iteratorINS9_10device_ptrIiEEEESE_SE_iNS9_4plusIiEE19head_flag_predicateiEE10hipError_tPvRmT2_T3_T4_T5_mT6_T7_P12ihipStream_tbENKUlT_T0_E_clISt17integral_constantIbLb1EESX_IbLb0EEEEDaST_SU_EUlST_E_NS1_11comp_targetILNS1_3genE2ELNS1_11target_archE906ELNS1_3gpuE6ELNS1_3repE0EEENS1_30default_config_static_selectorELNS0_4arch9wavefront6targetE1EEEvT1_
                                        ; -- End function
	.section	.AMDGPU.csdata,"",@progbits
; Kernel info:
; codeLenInByte = 0
; NumSgprs: 4
; NumVgprs: 0
; NumAgprs: 0
; TotalNumVgprs: 0
; ScratchSize: 0
; MemoryBound: 0
; FloatMode: 240
; IeeeMode: 1
; LDSByteSize: 0 bytes/workgroup (compile time only)
; SGPRBlocks: 0
; VGPRBlocks: 0
; NumSGPRsForWavesPerEU: 4
; NumVGPRsForWavesPerEU: 1
; AccumOffset: 4
; Occupancy: 8
; WaveLimiterHint : 0
; COMPUTE_PGM_RSRC2:SCRATCH_EN: 0
; COMPUTE_PGM_RSRC2:USER_SGPR: 6
; COMPUTE_PGM_RSRC2:TRAP_HANDLER: 0
; COMPUTE_PGM_RSRC2:TGID_X_EN: 1
; COMPUTE_PGM_RSRC2:TGID_Y_EN: 0
; COMPUTE_PGM_RSRC2:TGID_Z_EN: 0
; COMPUTE_PGM_RSRC2:TIDIG_COMP_CNT: 0
; COMPUTE_PGM_RSRC3_GFX90A:ACCUM_OFFSET: 0
; COMPUTE_PGM_RSRC3_GFX90A:TG_SPLIT: 0
	.section	.text._ZN7rocprim17ROCPRIM_400000_NS6detail17trampoline_kernelINS0_14default_configENS1_27scan_by_key_config_selectorIiiEEZZNS1_16scan_by_key_implILNS1_25lookback_scan_determinismE0ELb1ES3_N6thrust23THRUST_200600_302600_NS6detail15normal_iteratorINS9_10device_ptrIiEEEESE_SE_iNS9_4plusIiEE19head_flag_predicateiEE10hipError_tPvRmT2_T3_T4_T5_mT6_T7_P12ihipStream_tbENKUlT_T0_E_clISt17integral_constantIbLb1EESX_IbLb0EEEEDaST_SU_EUlST_E_NS1_11comp_targetILNS1_3genE10ELNS1_11target_archE1200ELNS1_3gpuE4ELNS1_3repE0EEENS1_30default_config_static_selectorELNS0_4arch9wavefront6targetE1EEEvT1_,"axG",@progbits,_ZN7rocprim17ROCPRIM_400000_NS6detail17trampoline_kernelINS0_14default_configENS1_27scan_by_key_config_selectorIiiEEZZNS1_16scan_by_key_implILNS1_25lookback_scan_determinismE0ELb1ES3_N6thrust23THRUST_200600_302600_NS6detail15normal_iteratorINS9_10device_ptrIiEEEESE_SE_iNS9_4plusIiEE19head_flag_predicateiEE10hipError_tPvRmT2_T3_T4_T5_mT6_T7_P12ihipStream_tbENKUlT_T0_E_clISt17integral_constantIbLb1EESX_IbLb0EEEEDaST_SU_EUlST_E_NS1_11comp_targetILNS1_3genE10ELNS1_11target_archE1200ELNS1_3gpuE4ELNS1_3repE0EEENS1_30default_config_static_selectorELNS0_4arch9wavefront6targetE1EEEvT1_,comdat
	.protected	_ZN7rocprim17ROCPRIM_400000_NS6detail17trampoline_kernelINS0_14default_configENS1_27scan_by_key_config_selectorIiiEEZZNS1_16scan_by_key_implILNS1_25lookback_scan_determinismE0ELb1ES3_N6thrust23THRUST_200600_302600_NS6detail15normal_iteratorINS9_10device_ptrIiEEEESE_SE_iNS9_4plusIiEE19head_flag_predicateiEE10hipError_tPvRmT2_T3_T4_T5_mT6_T7_P12ihipStream_tbENKUlT_T0_E_clISt17integral_constantIbLb1EESX_IbLb0EEEEDaST_SU_EUlST_E_NS1_11comp_targetILNS1_3genE10ELNS1_11target_archE1200ELNS1_3gpuE4ELNS1_3repE0EEENS1_30default_config_static_selectorELNS0_4arch9wavefront6targetE1EEEvT1_ ; -- Begin function _ZN7rocprim17ROCPRIM_400000_NS6detail17trampoline_kernelINS0_14default_configENS1_27scan_by_key_config_selectorIiiEEZZNS1_16scan_by_key_implILNS1_25lookback_scan_determinismE0ELb1ES3_N6thrust23THRUST_200600_302600_NS6detail15normal_iteratorINS9_10device_ptrIiEEEESE_SE_iNS9_4plusIiEE19head_flag_predicateiEE10hipError_tPvRmT2_T3_T4_T5_mT6_T7_P12ihipStream_tbENKUlT_T0_E_clISt17integral_constantIbLb1EESX_IbLb0EEEEDaST_SU_EUlST_E_NS1_11comp_targetILNS1_3genE10ELNS1_11target_archE1200ELNS1_3gpuE4ELNS1_3repE0EEENS1_30default_config_static_selectorELNS0_4arch9wavefront6targetE1EEEvT1_
	.globl	_ZN7rocprim17ROCPRIM_400000_NS6detail17trampoline_kernelINS0_14default_configENS1_27scan_by_key_config_selectorIiiEEZZNS1_16scan_by_key_implILNS1_25lookback_scan_determinismE0ELb1ES3_N6thrust23THRUST_200600_302600_NS6detail15normal_iteratorINS9_10device_ptrIiEEEESE_SE_iNS9_4plusIiEE19head_flag_predicateiEE10hipError_tPvRmT2_T3_T4_T5_mT6_T7_P12ihipStream_tbENKUlT_T0_E_clISt17integral_constantIbLb1EESX_IbLb0EEEEDaST_SU_EUlST_E_NS1_11comp_targetILNS1_3genE10ELNS1_11target_archE1200ELNS1_3gpuE4ELNS1_3repE0EEENS1_30default_config_static_selectorELNS0_4arch9wavefront6targetE1EEEvT1_
	.p2align	8
	.type	_ZN7rocprim17ROCPRIM_400000_NS6detail17trampoline_kernelINS0_14default_configENS1_27scan_by_key_config_selectorIiiEEZZNS1_16scan_by_key_implILNS1_25lookback_scan_determinismE0ELb1ES3_N6thrust23THRUST_200600_302600_NS6detail15normal_iteratorINS9_10device_ptrIiEEEESE_SE_iNS9_4plusIiEE19head_flag_predicateiEE10hipError_tPvRmT2_T3_T4_T5_mT6_T7_P12ihipStream_tbENKUlT_T0_E_clISt17integral_constantIbLb1EESX_IbLb0EEEEDaST_SU_EUlST_E_NS1_11comp_targetILNS1_3genE10ELNS1_11target_archE1200ELNS1_3gpuE4ELNS1_3repE0EEENS1_30default_config_static_selectorELNS0_4arch9wavefront6targetE1EEEvT1_,@function
_ZN7rocprim17ROCPRIM_400000_NS6detail17trampoline_kernelINS0_14default_configENS1_27scan_by_key_config_selectorIiiEEZZNS1_16scan_by_key_implILNS1_25lookback_scan_determinismE0ELb1ES3_N6thrust23THRUST_200600_302600_NS6detail15normal_iteratorINS9_10device_ptrIiEEEESE_SE_iNS9_4plusIiEE19head_flag_predicateiEE10hipError_tPvRmT2_T3_T4_T5_mT6_T7_P12ihipStream_tbENKUlT_T0_E_clISt17integral_constantIbLb1EESX_IbLb0EEEEDaST_SU_EUlST_E_NS1_11comp_targetILNS1_3genE10ELNS1_11target_archE1200ELNS1_3gpuE4ELNS1_3repE0EEENS1_30default_config_static_selectorELNS0_4arch9wavefront6targetE1EEEvT1_: ; @_ZN7rocprim17ROCPRIM_400000_NS6detail17trampoline_kernelINS0_14default_configENS1_27scan_by_key_config_selectorIiiEEZZNS1_16scan_by_key_implILNS1_25lookback_scan_determinismE0ELb1ES3_N6thrust23THRUST_200600_302600_NS6detail15normal_iteratorINS9_10device_ptrIiEEEESE_SE_iNS9_4plusIiEE19head_flag_predicateiEE10hipError_tPvRmT2_T3_T4_T5_mT6_T7_P12ihipStream_tbENKUlT_T0_E_clISt17integral_constantIbLb1EESX_IbLb0EEEEDaST_SU_EUlST_E_NS1_11comp_targetILNS1_3genE10ELNS1_11target_archE1200ELNS1_3gpuE4ELNS1_3repE0EEENS1_30default_config_static_selectorELNS0_4arch9wavefront6targetE1EEEvT1_
; %bb.0:
	.section	.rodata,"a",@progbits
	.p2align	6, 0x0
	.amdhsa_kernel _ZN7rocprim17ROCPRIM_400000_NS6detail17trampoline_kernelINS0_14default_configENS1_27scan_by_key_config_selectorIiiEEZZNS1_16scan_by_key_implILNS1_25lookback_scan_determinismE0ELb1ES3_N6thrust23THRUST_200600_302600_NS6detail15normal_iteratorINS9_10device_ptrIiEEEESE_SE_iNS9_4plusIiEE19head_flag_predicateiEE10hipError_tPvRmT2_T3_T4_T5_mT6_T7_P12ihipStream_tbENKUlT_T0_E_clISt17integral_constantIbLb1EESX_IbLb0EEEEDaST_SU_EUlST_E_NS1_11comp_targetILNS1_3genE10ELNS1_11target_archE1200ELNS1_3gpuE4ELNS1_3repE0EEENS1_30default_config_static_selectorELNS0_4arch9wavefront6targetE1EEEvT1_
		.amdhsa_group_segment_fixed_size 0
		.amdhsa_private_segment_fixed_size 0
		.amdhsa_kernarg_size 112
		.amdhsa_user_sgpr_count 6
		.amdhsa_user_sgpr_private_segment_buffer 1
		.amdhsa_user_sgpr_dispatch_ptr 0
		.amdhsa_user_sgpr_queue_ptr 0
		.amdhsa_user_sgpr_kernarg_segment_ptr 1
		.amdhsa_user_sgpr_dispatch_id 0
		.amdhsa_user_sgpr_flat_scratch_init 0
		.amdhsa_user_sgpr_kernarg_preload_length 0
		.amdhsa_user_sgpr_kernarg_preload_offset 0
		.amdhsa_user_sgpr_private_segment_size 0
		.amdhsa_uses_dynamic_stack 0
		.amdhsa_system_sgpr_private_segment_wavefront_offset 0
		.amdhsa_system_sgpr_workgroup_id_x 1
		.amdhsa_system_sgpr_workgroup_id_y 0
		.amdhsa_system_sgpr_workgroup_id_z 0
		.amdhsa_system_sgpr_workgroup_info 0
		.amdhsa_system_vgpr_workitem_id 0
		.amdhsa_next_free_vgpr 1
		.amdhsa_next_free_sgpr 0
		.amdhsa_accum_offset 4
		.amdhsa_reserve_vcc 0
		.amdhsa_reserve_flat_scratch 0
		.amdhsa_float_round_mode_32 0
		.amdhsa_float_round_mode_16_64 0
		.amdhsa_float_denorm_mode_32 3
		.amdhsa_float_denorm_mode_16_64 3
		.amdhsa_dx10_clamp 1
		.amdhsa_ieee_mode 1
		.amdhsa_fp16_overflow 0
		.amdhsa_tg_split 0
		.amdhsa_exception_fp_ieee_invalid_op 0
		.amdhsa_exception_fp_denorm_src 0
		.amdhsa_exception_fp_ieee_div_zero 0
		.amdhsa_exception_fp_ieee_overflow 0
		.amdhsa_exception_fp_ieee_underflow 0
		.amdhsa_exception_fp_ieee_inexact 0
		.amdhsa_exception_int_div_zero 0
	.end_amdhsa_kernel
	.section	.text._ZN7rocprim17ROCPRIM_400000_NS6detail17trampoline_kernelINS0_14default_configENS1_27scan_by_key_config_selectorIiiEEZZNS1_16scan_by_key_implILNS1_25lookback_scan_determinismE0ELb1ES3_N6thrust23THRUST_200600_302600_NS6detail15normal_iteratorINS9_10device_ptrIiEEEESE_SE_iNS9_4plusIiEE19head_flag_predicateiEE10hipError_tPvRmT2_T3_T4_T5_mT6_T7_P12ihipStream_tbENKUlT_T0_E_clISt17integral_constantIbLb1EESX_IbLb0EEEEDaST_SU_EUlST_E_NS1_11comp_targetILNS1_3genE10ELNS1_11target_archE1200ELNS1_3gpuE4ELNS1_3repE0EEENS1_30default_config_static_selectorELNS0_4arch9wavefront6targetE1EEEvT1_,"axG",@progbits,_ZN7rocprim17ROCPRIM_400000_NS6detail17trampoline_kernelINS0_14default_configENS1_27scan_by_key_config_selectorIiiEEZZNS1_16scan_by_key_implILNS1_25lookback_scan_determinismE0ELb1ES3_N6thrust23THRUST_200600_302600_NS6detail15normal_iteratorINS9_10device_ptrIiEEEESE_SE_iNS9_4plusIiEE19head_flag_predicateiEE10hipError_tPvRmT2_T3_T4_T5_mT6_T7_P12ihipStream_tbENKUlT_T0_E_clISt17integral_constantIbLb1EESX_IbLb0EEEEDaST_SU_EUlST_E_NS1_11comp_targetILNS1_3genE10ELNS1_11target_archE1200ELNS1_3gpuE4ELNS1_3repE0EEENS1_30default_config_static_selectorELNS0_4arch9wavefront6targetE1EEEvT1_,comdat
.Lfunc_end809:
	.size	_ZN7rocprim17ROCPRIM_400000_NS6detail17trampoline_kernelINS0_14default_configENS1_27scan_by_key_config_selectorIiiEEZZNS1_16scan_by_key_implILNS1_25lookback_scan_determinismE0ELb1ES3_N6thrust23THRUST_200600_302600_NS6detail15normal_iteratorINS9_10device_ptrIiEEEESE_SE_iNS9_4plusIiEE19head_flag_predicateiEE10hipError_tPvRmT2_T3_T4_T5_mT6_T7_P12ihipStream_tbENKUlT_T0_E_clISt17integral_constantIbLb1EESX_IbLb0EEEEDaST_SU_EUlST_E_NS1_11comp_targetILNS1_3genE10ELNS1_11target_archE1200ELNS1_3gpuE4ELNS1_3repE0EEENS1_30default_config_static_selectorELNS0_4arch9wavefront6targetE1EEEvT1_, .Lfunc_end809-_ZN7rocprim17ROCPRIM_400000_NS6detail17trampoline_kernelINS0_14default_configENS1_27scan_by_key_config_selectorIiiEEZZNS1_16scan_by_key_implILNS1_25lookback_scan_determinismE0ELb1ES3_N6thrust23THRUST_200600_302600_NS6detail15normal_iteratorINS9_10device_ptrIiEEEESE_SE_iNS9_4plusIiEE19head_flag_predicateiEE10hipError_tPvRmT2_T3_T4_T5_mT6_T7_P12ihipStream_tbENKUlT_T0_E_clISt17integral_constantIbLb1EESX_IbLb0EEEEDaST_SU_EUlST_E_NS1_11comp_targetILNS1_3genE10ELNS1_11target_archE1200ELNS1_3gpuE4ELNS1_3repE0EEENS1_30default_config_static_selectorELNS0_4arch9wavefront6targetE1EEEvT1_
                                        ; -- End function
	.section	.AMDGPU.csdata,"",@progbits
; Kernel info:
; codeLenInByte = 0
; NumSgprs: 4
; NumVgprs: 0
; NumAgprs: 0
; TotalNumVgprs: 0
; ScratchSize: 0
; MemoryBound: 0
; FloatMode: 240
; IeeeMode: 1
; LDSByteSize: 0 bytes/workgroup (compile time only)
; SGPRBlocks: 0
; VGPRBlocks: 0
; NumSGPRsForWavesPerEU: 4
; NumVGPRsForWavesPerEU: 1
; AccumOffset: 4
; Occupancy: 8
; WaveLimiterHint : 0
; COMPUTE_PGM_RSRC2:SCRATCH_EN: 0
; COMPUTE_PGM_RSRC2:USER_SGPR: 6
; COMPUTE_PGM_RSRC2:TRAP_HANDLER: 0
; COMPUTE_PGM_RSRC2:TGID_X_EN: 1
; COMPUTE_PGM_RSRC2:TGID_Y_EN: 0
; COMPUTE_PGM_RSRC2:TGID_Z_EN: 0
; COMPUTE_PGM_RSRC2:TIDIG_COMP_CNT: 0
; COMPUTE_PGM_RSRC3_GFX90A:ACCUM_OFFSET: 0
; COMPUTE_PGM_RSRC3_GFX90A:TG_SPLIT: 0
	.section	.text._ZN7rocprim17ROCPRIM_400000_NS6detail17trampoline_kernelINS0_14default_configENS1_27scan_by_key_config_selectorIiiEEZZNS1_16scan_by_key_implILNS1_25lookback_scan_determinismE0ELb1ES3_N6thrust23THRUST_200600_302600_NS6detail15normal_iteratorINS9_10device_ptrIiEEEESE_SE_iNS9_4plusIiEE19head_flag_predicateiEE10hipError_tPvRmT2_T3_T4_T5_mT6_T7_P12ihipStream_tbENKUlT_T0_E_clISt17integral_constantIbLb1EESX_IbLb0EEEEDaST_SU_EUlST_E_NS1_11comp_targetILNS1_3genE9ELNS1_11target_archE1100ELNS1_3gpuE3ELNS1_3repE0EEENS1_30default_config_static_selectorELNS0_4arch9wavefront6targetE1EEEvT1_,"axG",@progbits,_ZN7rocprim17ROCPRIM_400000_NS6detail17trampoline_kernelINS0_14default_configENS1_27scan_by_key_config_selectorIiiEEZZNS1_16scan_by_key_implILNS1_25lookback_scan_determinismE0ELb1ES3_N6thrust23THRUST_200600_302600_NS6detail15normal_iteratorINS9_10device_ptrIiEEEESE_SE_iNS9_4plusIiEE19head_flag_predicateiEE10hipError_tPvRmT2_T3_T4_T5_mT6_T7_P12ihipStream_tbENKUlT_T0_E_clISt17integral_constantIbLb1EESX_IbLb0EEEEDaST_SU_EUlST_E_NS1_11comp_targetILNS1_3genE9ELNS1_11target_archE1100ELNS1_3gpuE3ELNS1_3repE0EEENS1_30default_config_static_selectorELNS0_4arch9wavefront6targetE1EEEvT1_,comdat
	.protected	_ZN7rocprim17ROCPRIM_400000_NS6detail17trampoline_kernelINS0_14default_configENS1_27scan_by_key_config_selectorIiiEEZZNS1_16scan_by_key_implILNS1_25lookback_scan_determinismE0ELb1ES3_N6thrust23THRUST_200600_302600_NS6detail15normal_iteratorINS9_10device_ptrIiEEEESE_SE_iNS9_4plusIiEE19head_flag_predicateiEE10hipError_tPvRmT2_T3_T4_T5_mT6_T7_P12ihipStream_tbENKUlT_T0_E_clISt17integral_constantIbLb1EESX_IbLb0EEEEDaST_SU_EUlST_E_NS1_11comp_targetILNS1_3genE9ELNS1_11target_archE1100ELNS1_3gpuE3ELNS1_3repE0EEENS1_30default_config_static_selectorELNS0_4arch9wavefront6targetE1EEEvT1_ ; -- Begin function _ZN7rocprim17ROCPRIM_400000_NS6detail17trampoline_kernelINS0_14default_configENS1_27scan_by_key_config_selectorIiiEEZZNS1_16scan_by_key_implILNS1_25lookback_scan_determinismE0ELb1ES3_N6thrust23THRUST_200600_302600_NS6detail15normal_iteratorINS9_10device_ptrIiEEEESE_SE_iNS9_4plusIiEE19head_flag_predicateiEE10hipError_tPvRmT2_T3_T4_T5_mT6_T7_P12ihipStream_tbENKUlT_T0_E_clISt17integral_constantIbLb1EESX_IbLb0EEEEDaST_SU_EUlST_E_NS1_11comp_targetILNS1_3genE9ELNS1_11target_archE1100ELNS1_3gpuE3ELNS1_3repE0EEENS1_30default_config_static_selectorELNS0_4arch9wavefront6targetE1EEEvT1_
	.globl	_ZN7rocprim17ROCPRIM_400000_NS6detail17trampoline_kernelINS0_14default_configENS1_27scan_by_key_config_selectorIiiEEZZNS1_16scan_by_key_implILNS1_25lookback_scan_determinismE0ELb1ES3_N6thrust23THRUST_200600_302600_NS6detail15normal_iteratorINS9_10device_ptrIiEEEESE_SE_iNS9_4plusIiEE19head_flag_predicateiEE10hipError_tPvRmT2_T3_T4_T5_mT6_T7_P12ihipStream_tbENKUlT_T0_E_clISt17integral_constantIbLb1EESX_IbLb0EEEEDaST_SU_EUlST_E_NS1_11comp_targetILNS1_3genE9ELNS1_11target_archE1100ELNS1_3gpuE3ELNS1_3repE0EEENS1_30default_config_static_selectorELNS0_4arch9wavefront6targetE1EEEvT1_
	.p2align	8
	.type	_ZN7rocprim17ROCPRIM_400000_NS6detail17trampoline_kernelINS0_14default_configENS1_27scan_by_key_config_selectorIiiEEZZNS1_16scan_by_key_implILNS1_25lookback_scan_determinismE0ELb1ES3_N6thrust23THRUST_200600_302600_NS6detail15normal_iteratorINS9_10device_ptrIiEEEESE_SE_iNS9_4plusIiEE19head_flag_predicateiEE10hipError_tPvRmT2_T3_T4_T5_mT6_T7_P12ihipStream_tbENKUlT_T0_E_clISt17integral_constantIbLb1EESX_IbLb0EEEEDaST_SU_EUlST_E_NS1_11comp_targetILNS1_3genE9ELNS1_11target_archE1100ELNS1_3gpuE3ELNS1_3repE0EEENS1_30default_config_static_selectorELNS0_4arch9wavefront6targetE1EEEvT1_,@function
_ZN7rocprim17ROCPRIM_400000_NS6detail17trampoline_kernelINS0_14default_configENS1_27scan_by_key_config_selectorIiiEEZZNS1_16scan_by_key_implILNS1_25lookback_scan_determinismE0ELb1ES3_N6thrust23THRUST_200600_302600_NS6detail15normal_iteratorINS9_10device_ptrIiEEEESE_SE_iNS9_4plusIiEE19head_flag_predicateiEE10hipError_tPvRmT2_T3_T4_T5_mT6_T7_P12ihipStream_tbENKUlT_T0_E_clISt17integral_constantIbLb1EESX_IbLb0EEEEDaST_SU_EUlST_E_NS1_11comp_targetILNS1_3genE9ELNS1_11target_archE1100ELNS1_3gpuE3ELNS1_3repE0EEENS1_30default_config_static_selectorELNS0_4arch9wavefront6targetE1EEEvT1_: ; @_ZN7rocprim17ROCPRIM_400000_NS6detail17trampoline_kernelINS0_14default_configENS1_27scan_by_key_config_selectorIiiEEZZNS1_16scan_by_key_implILNS1_25lookback_scan_determinismE0ELb1ES3_N6thrust23THRUST_200600_302600_NS6detail15normal_iteratorINS9_10device_ptrIiEEEESE_SE_iNS9_4plusIiEE19head_flag_predicateiEE10hipError_tPvRmT2_T3_T4_T5_mT6_T7_P12ihipStream_tbENKUlT_T0_E_clISt17integral_constantIbLb1EESX_IbLb0EEEEDaST_SU_EUlST_E_NS1_11comp_targetILNS1_3genE9ELNS1_11target_archE1100ELNS1_3gpuE3ELNS1_3repE0EEENS1_30default_config_static_selectorELNS0_4arch9wavefront6targetE1EEEvT1_
; %bb.0:
	.section	.rodata,"a",@progbits
	.p2align	6, 0x0
	.amdhsa_kernel _ZN7rocprim17ROCPRIM_400000_NS6detail17trampoline_kernelINS0_14default_configENS1_27scan_by_key_config_selectorIiiEEZZNS1_16scan_by_key_implILNS1_25lookback_scan_determinismE0ELb1ES3_N6thrust23THRUST_200600_302600_NS6detail15normal_iteratorINS9_10device_ptrIiEEEESE_SE_iNS9_4plusIiEE19head_flag_predicateiEE10hipError_tPvRmT2_T3_T4_T5_mT6_T7_P12ihipStream_tbENKUlT_T0_E_clISt17integral_constantIbLb1EESX_IbLb0EEEEDaST_SU_EUlST_E_NS1_11comp_targetILNS1_3genE9ELNS1_11target_archE1100ELNS1_3gpuE3ELNS1_3repE0EEENS1_30default_config_static_selectorELNS0_4arch9wavefront6targetE1EEEvT1_
		.amdhsa_group_segment_fixed_size 0
		.amdhsa_private_segment_fixed_size 0
		.amdhsa_kernarg_size 112
		.amdhsa_user_sgpr_count 6
		.amdhsa_user_sgpr_private_segment_buffer 1
		.amdhsa_user_sgpr_dispatch_ptr 0
		.amdhsa_user_sgpr_queue_ptr 0
		.amdhsa_user_sgpr_kernarg_segment_ptr 1
		.amdhsa_user_sgpr_dispatch_id 0
		.amdhsa_user_sgpr_flat_scratch_init 0
		.amdhsa_user_sgpr_kernarg_preload_length 0
		.amdhsa_user_sgpr_kernarg_preload_offset 0
		.amdhsa_user_sgpr_private_segment_size 0
		.amdhsa_uses_dynamic_stack 0
		.amdhsa_system_sgpr_private_segment_wavefront_offset 0
		.amdhsa_system_sgpr_workgroup_id_x 1
		.amdhsa_system_sgpr_workgroup_id_y 0
		.amdhsa_system_sgpr_workgroup_id_z 0
		.amdhsa_system_sgpr_workgroup_info 0
		.amdhsa_system_vgpr_workitem_id 0
		.amdhsa_next_free_vgpr 1
		.amdhsa_next_free_sgpr 0
		.amdhsa_accum_offset 4
		.amdhsa_reserve_vcc 0
		.amdhsa_reserve_flat_scratch 0
		.amdhsa_float_round_mode_32 0
		.amdhsa_float_round_mode_16_64 0
		.amdhsa_float_denorm_mode_32 3
		.amdhsa_float_denorm_mode_16_64 3
		.amdhsa_dx10_clamp 1
		.amdhsa_ieee_mode 1
		.amdhsa_fp16_overflow 0
		.amdhsa_tg_split 0
		.amdhsa_exception_fp_ieee_invalid_op 0
		.amdhsa_exception_fp_denorm_src 0
		.amdhsa_exception_fp_ieee_div_zero 0
		.amdhsa_exception_fp_ieee_overflow 0
		.amdhsa_exception_fp_ieee_underflow 0
		.amdhsa_exception_fp_ieee_inexact 0
		.amdhsa_exception_int_div_zero 0
	.end_amdhsa_kernel
	.section	.text._ZN7rocprim17ROCPRIM_400000_NS6detail17trampoline_kernelINS0_14default_configENS1_27scan_by_key_config_selectorIiiEEZZNS1_16scan_by_key_implILNS1_25lookback_scan_determinismE0ELb1ES3_N6thrust23THRUST_200600_302600_NS6detail15normal_iteratorINS9_10device_ptrIiEEEESE_SE_iNS9_4plusIiEE19head_flag_predicateiEE10hipError_tPvRmT2_T3_T4_T5_mT6_T7_P12ihipStream_tbENKUlT_T0_E_clISt17integral_constantIbLb1EESX_IbLb0EEEEDaST_SU_EUlST_E_NS1_11comp_targetILNS1_3genE9ELNS1_11target_archE1100ELNS1_3gpuE3ELNS1_3repE0EEENS1_30default_config_static_selectorELNS0_4arch9wavefront6targetE1EEEvT1_,"axG",@progbits,_ZN7rocprim17ROCPRIM_400000_NS6detail17trampoline_kernelINS0_14default_configENS1_27scan_by_key_config_selectorIiiEEZZNS1_16scan_by_key_implILNS1_25lookback_scan_determinismE0ELb1ES3_N6thrust23THRUST_200600_302600_NS6detail15normal_iteratorINS9_10device_ptrIiEEEESE_SE_iNS9_4plusIiEE19head_flag_predicateiEE10hipError_tPvRmT2_T3_T4_T5_mT6_T7_P12ihipStream_tbENKUlT_T0_E_clISt17integral_constantIbLb1EESX_IbLb0EEEEDaST_SU_EUlST_E_NS1_11comp_targetILNS1_3genE9ELNS1_11target_archE1100ELNS1_3gpuE3ELNS1_3repE0EEENS1_30default_config_static_selectorELNS0_4arch9wavefront6targetE1EEEvT1_,comdat
.Lfunc_end810:
	.size	_ZN7rocprim17ROCPRIM_400000_NS6detail17trampoline_kernelINS0_14default_configENS1_27scan_by_key_config_selectorIiiEEZZNS1_16scan_by_key_implILNS1_25lookback_scan_determinismE0ELb1ES3_N6thrust23THRUST_200600_302600_NS6detail15normal_iteratorINS9_10device_ptrIiEEEESE_SE_iNS9_4plusIiEE19head_flag_predicateiEE10hipError_tPvRmT2_T3_T4_T5_mT6_T7_P12ihipStream_tbENKUlT_T0_E_clISt17integral_constantIbLb1EESX_IbLb0EEEEDaST_SU_EUlST_E_NS1_11comp_targetILNS1_3genE9ELNS1_11target_archE1100ELNS1_3gpuE3ELNS1_3repE0EEENS1_30default_config_static_selectorELNS0_4arch9wavefront6targetE1EEEvT1_, .Lfunc_end810-_ZN7rocprim17ROCPRIM_400000_NS6detail17trampoline_kernelINS0_14default_configENS1_27scan_by_key_config_selectorIiiEEZZNS1_16scan_by_key_implILNS1_25lookback_scan_determinismE0ELb1ES3_N6thrust23THRUST_200600_302600_NS6detail15normal_iteratorINS9_10device_ptrIiEEEESE_SE_iNS9_4plusIiEE19head_flag_predicateiEE10hipError_tPvRmT2_T3_T4_T5_mT6_T7_P12ihipStream_tbENKUlT_T0_E_clISt17integral_constantIbLb1EESX_IbLb0EEEEDaST_SU_EUlST_E_NS1_11comp_targetILNS1_3genE9ELNS1_11target_archE1100ELNS1_3gpuE3ELNS1_3repE0EEENS1_30default_config_static_selectorELNS0_4arch9wavefront6targetE1EEEvT1_
                                        ; -- End function
	.section	.AMDGPU.csdata,"",@progbits
; Kernel info:
; codeLenInByte = 0
; NumSgprs: 4
; NumVgprs: 0
; NumAgprs: 0
; TotalNumVgprs: 0
; ScratchSize: 0
; MemoryBound: 0
; FloatMode: 240
; IeeeMode: 1
; LDSByteSize: 0 bytes/workgroup (compile time only)
; SGPRBlocks: 0
; VGPRBlocks: 0
; NumSGPRsForWavesPerEU: 4
; NumVGPRsForWavesPerEU: 1
; AccumOffset: 4
; Occupancy: 8
; WaveLimiterHint : 0
; COMPUTE_PGM_RSRC2:SCRATCH_EN: 0
; COMPUTE_PGM_RSRC2:USER_SGPR: 6
; COMPUTE_PGM_RSRC2:TRAP_HANDLER: 0
; COMPUTE_PGM_RSRC2:TGID_X_EN: 1
; COMPUTE_PGM_RSRC2:TGID_Y_EN: 0
; COMPUTE_PGM_RSRC2:TGID_Z_EN: 0
; COMPUTE_PGM_RSRC2:TIDIG_COMP_CNT: 0
; COMPUTE_PGM_RSRC3_GFX90A:ACCUM_OFFSET: 0
; COMPUTE_PGM_RSRC3_GFX90A:TG_SPLIT: 0
	.section	.text._ZN7rocprim17ROCPRIM_400000_NS6detail17trampoline_kernelINS0_14default_configENS1_27scan_by_key_config_selectorIiiEEZZNS1_16scan_by_key_implILNS1_25lookback_scan_determinismE0ELb1ES3_N6thrust23THRUST_200600_302600_NS6detail15normal_iteratorINS9_10device_ptrIiEEEESE_SE_iNS9_4plusIiEE19head_flag_predicateiEE10hipError_tPvRmT2_T3_T4_T5_mT6_T7_P12ihipStream_tbENKUlT_T0_E_clISt17integral_constantIbLb1EESX_IbLb0EEEEDaST_SU_EUlST_E_NS1_11comp_targetILNS1_3genE8ELNS1_11target_archE1030ELNS1_3gpuE2ELNS1_3repE0EEENS1_30default_config_static_selectorELNS0_4arch9wavefront6targetE1EEEvT1_,"axG",@progbits,_ZN7rocprim17ROCPRIM_400000_NS6detail17trampoline_kernelINS0_14default_configENS1_27scan_by_key_config_selectorIiiEEZZNS1_16scan_by_key_implILNS1_25lookback_scan_determinismE0ELb1ES3_N6thrust23THRUST_200600_302600_NS6detail15normal_iteratorINS9_10device_ptrIiEEEESE_SE_iNS9_4plusIiEE19head_flag_predicateiEE10hipError_tPvRmT2_T3_T4_T5_mT6_T7_P12ihipStream_tbENKUlT_T0_E_clISt17integral_constantIbLb1EESX_IbLb0EEEEDaST_SU_EUlST_E_NS1_11comp_targetILNS1_3genE8ELNS1_11target_archE1030ELNS1_3gpuE2ELNS1_3repE0EEENS1_30default_config_static_selectorELNS0_4arch9wavefront6targetE1EEEvT1_,comdat
	.protected	_ZN7rocprim17ROCPRIM_400000_NS6detail17trampoline_kernelINS0_14default_configENS1_27scan_by_key_config_selectorIiiEEZZNS1_16scan_by_key_implILNS1_25lookback_scan_determinismE0ELb1ES3_N6thrust23THRUST_200600_302600_NS6detail15normal_iteratorINS9_10device_ptrIiEEEESE_SE_iNS9_4plusIiEE19head_flag_predicateiEE10hipError_tPvRmT2_T3_T4_T5_mT6_T7_P12ihipStream_tbENKUlT_T0_E_clISt17integral_constantIbLb1EESX_IbLb0EEEEDaST_SU_EUlST_E_NS1_11comp_targetILNS1_3genE8ELNS1_11target_archE1030ELNS1_3gpuE2ELNS1_3repE0EEENS1_30default_config_static_selectorELNS0_4arch9wavefront6targetE1EEEvT1_ ; -- Begin function _ZN7rocprim17ROCPRIM_400000_NS6detail17trampoline_kernelINS0_14default_configENS1_27scan_by_key_config_selectorIiiEEZZNS1_16scan_by_key_implILNS1_25lookback_scan_determinismE0ELb1ES3_N6thrust23THRUST_200600_302600_NS6detail15normal_iteratorINS9_10device_ptrIiEEEESE_SE_iNS9_4plusIiEE19head_flag_predicateiEE10hipError_tPvRmT2_T3_T4_T5_mT6_T7_P12ihipStream_tbENKUlT_T0_E_clISt17integral_constantIbLb1EESX_IbLb0EEEEDaST_SU_EUlST_E_NS1_11comp_targetILNS1_3genE8ELNS1_11target_archE1030ELNS1_3gpuE2ELNS1_3repE0EEENS1_30default_config_static_selectorELNS0_4arch9wavefront6targetE1EEEvT1_
	.globl	_ZN7rocprim17ROCPRIM_400000_NS6detail17trampoline_kernelINS0_14default_configENS1_27scan_by_key_config_selectorIiiEEZZNS1_16scan_by_key_implILNS1_25lookback_scan_determinismE0ELb1ES3_N6thrust23THRUST_200600_302600_NS6detail15normal_iteratorINS9_10device_ptrIiEEEESE_SE_iNS9_4plusIiEE19head_flag_predicateiEE10hipError_tPvRmT2_T3_T4_T5_mT6_T7_P12ihipStream_tbENKUlT_T0_E_clISt17integral_constantIbLb1EESX_IbLb0EEEEDaST_SU_EUlST_E_NS1_11comp_targetILNS1_3genE8ELNS1_11target_archE1030ELNS1_3gpuE2ELNS1_3repE0EEENS1_30default_config_static_selectorELNS0_4arch9wavefront6targetE1EEEvT1_
	.p2align	8
	.type	_ZN7rocprim17ROCPRIM_400000_NS6detail17trampoline_kernelINS0_14default_configENS1_27scan_by_key_config_selectorIiiEEZZNS1_16scan_by_key_implILNS1_25lookback_scan_determinismE0ELb1ES3_N6thrust23THRUST_200600_302600_NS6detail15normal_iteratorINS9_10device_ptrIiEEEESE_SE_iNS9_4plusIiEE19head_flag_predicateiEE10hipError_tPvRmT2_T3_T4_T5_mT6_T7_P12ihipStream_tbENKUlT_T0_E_clISt17integral_constantIbLb1EESX_IbLb0EEEEDaST_SU_EUlST_E_NS1_11comp_targetILNS1_3genE8ELNS1_11target_archE1030ELNS1_3gpuE2ELNS1_3repE0EEENS1_30default_config_static_selectorELNS0_4arch9wavefront6targetE1EEEvT1_,@function
_ZN7rocprim17ROCPRIM_400000_NS6detail17trampoline_kernelINS0_14default_configENS1_27scan_by_key_config_selectorIiiEEZZNS1_16scan_by_key_implILNS1_25lookback_scan_determinismE0ELb1ES3_N6thrust23THRUST_200600_302600_NS6detail15normal_iteratorINS9_10device_ptrIiEEEESE_SE_iNS9_4plusIiEE19head_flag_predicateiEE10hipError_tPvRmT2_T3_T4_T5_mT6_T7_P12ihipStream_tbENKUlT_T0_E_clISt17integral_constantIbLb1EESX_IbLb0EEEEDaST_SU_EUlST_E_NS1_11comp_targetILNS1_3genE8ELNS1_11target_archE1030ELNS1_3gpuE2ELNS1_3repE0EEENS1_30default_config_static_selectorELNS0_4arch9wavefront6targetE1EEEvT1_: ; @_ZN7rocprim17ROCPRIM_400000_NS6detail17trampoline_kernelINS0_14default_configENS1_27scan_by_key_config_selectorIiiEEZZNS1_16scan_by_key_implILNS1_25lookback_scan_determinismE0ELb1ES3_N6thrust23THRUST_200600_302600_NS6detail15normal_iteratorINS9_10device_ptrIiEEEESE_SE_iNS9_4plusIiEE19head_flag_predicateiEE10hipError_tPvRmT2_T3_T4_T5_mT6_T7_P12ihipStream_tbENKUlT_T0_E_clISt17integral_constantIbLb1EESX_IbLb0EEEEDaST_SU_EUlST_E_NS1_11comp_targetILNS1_3genE8ELNS1_11target_archE1030ELNS1_3gpuE2ELNS1_3repE0EEENS1_30default_config_static_selectorELNS0_4arch9wavefront6targetE1EEEvT1_
; %bb.0:
	.section	.rodata,"a",@progbits
	.p2align	6, 0x0
	.amdhsa_kernel _ZN7rocprim17ROCPRIM_400000_NS6detail17trampoline_kernelINS0_14default_configENS1_27scan_by_key_config_selectorIiiEEZZNS1_16scan_by_key_implILNS1_25lookback_scan_determinismE0ELb1ES3_N6thrust23THRUST_200600_302600_NS6detail15normal_iteratorINS9_10device_ptrIiEEEESE_SE_iNS9_4plusIiEE19head_flag_predicateiEE10hipError_tPvRmT2_T3_T4_T5_mT6_T7_P12ihipStream_tbENKUlT_T0_E_clISt17integral_constantIbLb1EESX_IbLb0EEEEDaST_SU_EUlST_E_NS1_11comp_targetILNS1_3genE8ELNS1_11target_archE1030ELNS1_3gpuE2ELNS1_3repE0EEENS1_30default_config_static_selectorELNS0_4arch9wavefront6targetE1EEEvT1_
		.amdhsa_group_segment_fixed_size 0
		.amdhsa_private_segment_fixed_size 0
		.amdhsa_kernarg_size 112
		.amdhsa_user_sgpr_count 6
		.amdhsa_user_sgpr_private_segment_buffer 1
		.amdhsa_user_sgpr_dispatch_ptr 0
		.amdhsa_user_sgpr_queue_ptr 0
		.amdhsa_user_sgpr_kernarg_segment_ptr 1
		.amdhsa_user_sgpr_dispatch_id 0
		.amdhsa_user_sgpr_flat_scratch_init 0
		.amdhsa_user_sgpr_kernarg_preload_length 0
		.amdhsa_user_sgpr_kernarg_preload_offset 0
		.amdhsa_user_sgpr_private_segment_size 0
		.amdhsa_uses_dynamic_stack 0
		.amdhsa_system_sgpr_private_segment_wavefront_offset 0
		.amdhsa_system_sgpr_workgroup_id_x 1
		.amdhsa_system_sgpr_workgroup_id_y 0
		.amdhsa_system_sgpr_workgroup_id_z 0
		.amdhsa_system_sgpr_workgroup_info 0
		.amdhsa_system_vgpr_workitem_id 0
		.amdhsa_next_free_vgpr 1
		.amdhsa_next_free_sgpr 0
		.amdhsa_accum_offset 4
		.amdhsa_reserve_vcc 0
		.amdhsa_reserve_flat_scratch 0
		.amdhsa_float_round_mode_32 0
		.amdhsa_float_round_mode_16_64 0
		.amdhsa_float_denorm_mode_32 3
		.amdhsa_float_denorm_mode_16_64 3
		.amdhsa_dx10_clamp 1
		.amdhsa_ieee_mode 1
		.amdhsa_fp16_overflow 0
		.amdhsa_tg_split 0
		.amdhsa_exception_fp_ieee_invalid_op 0
		.amdhsa_exception_fp_denorm_src 0
		.amdhsa_exception_fp_ieee_div_zero 0
		.amdhsa_exception_fp_ieee_overflow 0
		.amdhsa_exception_fp_ieee_underflow 0
		.amdhsa_exception_fp_ieee_inexact 0
		.amdhsa_exception_int_div_zero 0
	.end_amdhsa_kernel
	.section	.text._ZN7rocprim17ROCPRIM_400000_NS6detail17trampoline_kernelINS0_14default_configENS1_27scan_by_key_config_selectorIiiEEZZNS1_16scan_by_key_implILNS1_25lookback_scan_determinismE0ELb1ES3_N6thrust23THRUST_200600_302600_NS6detail15normal_iteratorINS9_10device_ptrIiEEEESE_SE_iNS9_4plusIiEE19head_flag_predicateiEE10hipError_tPvRmT2_T3_T4_T5_mT6_T7_P12ihipStream_tbENKUlT_T0_E_clISt17integral_constantIbLb1EESX_IbLb0EEEEDaST_SU_EUlST_E_NS1_11comp_targetILNS1_3genE8ELNS1_11target_archE1030ELNS1_3gpuE2ELNS1_3repE0EEENS1_30default_config_static_selectorELNS0_4arch9wavefront6targetE1EEEvT1_,"axG",@progbits,_ZN7rocprim17ROCPRIM_400000_NS6detail17trampoline_kernelINS0_14default_configENS1_27scan_by_key_config_selectorIiiEEZZNS1_16scan_by_key_implILNS1_25lookback_scan_determinismE0ELb1ES3_N6thrust23THRUST_200600_302600_NS6detail15normal_iteratorINS9_10device_ptrIiEEEESE_SE_iNS9_4plusIiEE19head_flag_predicateiEE10hipError_tPvRmT2_T3_T4_T5_mT6_T7_P12ihipStream_tbENKUlT_T0_E_clISt17integral_constantIbLb1EESX_IbLb0EEEEDaST_SU_EUlST_E_NS1_11comp_targetILNS1_3genE8ELNS1_11target_archE1030ELNS1_3gpuE2ELNS1_3repE0EEENS1_30default_config_static_selectorELNS0_4arch9wavefront6targetE1EEEvT1_,comdat
.Lfunc_end811:
	.size	_ZN7rocprim17ROCPRIM_400000_NS6detail17trampoline_kernelINS0_14default_configENS1_27scan_by_key_config_selectorIiiEEZZNS1_16scan_by_key_implILNS1_25lookback_scan_determinismE0ELb1ES3_N6thrust23THRUST_200600_302600_NS6detail15normal_iteratorINS9_10device_ptrIiEEEESE_SE_iNS9_4plusIiEE19head_flag_predicateiEE10hipError_tPvRmT2_T3_T4_T5_mT6_T7_P12ihipStream_tbENKUlT_T0_E_clISt17integral_constantIbLb1EESX_IbLb0EEEEDaST_SU_EUlST_E_NS1_11comp_targetILNS1_3genE8ELNS1_11target_archE1030ELNS1_3gpuE2ELNS1_3repE0EEENS1_30default_config_static_selectorELNS0_4arch9wavefront6targetE1EEEvT1_, .Lfunc_end811-_ZN7rocprim17ROCPRIM_400000_NS6detail17trampoline_kernelINS0_14default_configENS1_27scan_by_key_config_selectorIiiEEZZNS1_16scan_by_key_implILNS1_25lookback_scan_determinismE0ELb1ES3_N6thrust23THRUST_200600_302600_NS6detail15normal_iteratorINS9_10device_ptrIiEEEESE_SE_iNS9_4plusIiEE19head_flag_predicateiEE10hipError_tPvRmT2_T3_T4_T5_mT6_T7_P12ihipStream_tbENKUlT_T0_E_clISt17integral_constantIbLb1EESX_IbLb0EEEEDaST_SU_EUlST_E_NS1_11comp_targetILNS1_3genE8ELNS1_11target_archE1030ELNS1_3gpuE2ELNS1_3repE0EEENS1_30default_config_static_selectorELNS0_4arch9wavefront6targetE1EEEvT1_
                                        ; -- End function
	.section	.AMDGPU.csdata,"",@progbits
; Kernel info:
; codeLenInByte = 0
; NumSgprs: 4
; NumVgprs: 0
; NumAgprs: 0
; TotalNumVgprs: 0
; ScratchSize: 0
; MemoryBound: 0
; FloatMode: 240
; IeeeMode: 1
; LDSByteSize: 0 bytes/workgroup (compile time only)
; SGPRBlocks: 0
; VGPRBlocks: 0
; NumSGPRsForWavesPerEU: 4
; NumVGPRsForWavesPerEU: 1
; AccumOffset: 4
; Occupancy: 8
; WaveLimiterHint : 0
; COMPUTE_PGM_RSRC2:SCRATCH_EN: 0
; COMPUTE_PGM_RSRC2:USER_SGPR: 6
; COMPUTE_PGM_RSRC2:TRAP_HANDLER: 0
; COMPUTE_PGM_RSRC2:TGID_X_EN: 1
; COMPUTE_PGM_RSRC2:TGID_Y_EN: 0
; COMPUTE_PGM_RSRC2:TGID_Z_EN: 0
; COMPUTE_PGM_RSRC2:TIDIG_COMP_CNT: 0
; COMPUTE_PGM_RSRC3_GFX90A:ACCUM_OFFSET: 0
; COMPUTE_PGM_RSRC3_GFX90A:TG_SPLIT: 0
	.section	.text._ZN7rocprim17ROCPRIM_400000_NS6detail17trampoline_kernelINS0_14default_configENS1_27scan_by_key_config_selectorIiiEEZZNS1_16scan_by_key_implILNS1_25lookback_scan_determinismE0ELb1ES3_N6thrust23THRUST_200600_302600_NS6detail15normal_iteratorINS9_10device_ptrIiEEEESE_SE_iNS9_4plusIiEE19head_flag_predicateiEE10hipError_tPvRmT2_T3_T4_T5_mT6_T7_P12ihipStream_tbENKUlT_T0_E_clISt17integral_constantIbLb0EESX_IbLb1EEEEDaST_SU_EUlST_E_NS1_11comp_targetILNS1_3genE0ELNS1_11target_archE4294967295ELNS1_3gpuE0ELNS1_3repE0EEENS1_30default_config_static_selectorELNS0_4arch9wavefront6targetE1EEEvT1_,"axG",@progbits,_ZN7rocprim17ROCPRIM_400000_NS6detail17trampoline_kernelINS0_14default_configENS1_27scan_by_key_config_selectorIiiEEZZNS1_16scan_by_key_implILNS1_25lookback_scan_determinismE0ELb1ES3_N6thrust23THRUST_200600_302600_NS6detail15normal_iteratorINS9_10device_ptrIiEEEESE_SE_iNS9_4plusIiEE19head_flag_predicateiEE10hipError_tPvRmT2_T3_T4_T5_mT6_T7_P12ihipStream_tbENKUlT_T0_E_clISt17integral_constantIbLb0EESX_IbLb1EEEEDaST_SU_EUlST_E_NS1_11comp_targetILNS1_3genE0ELNS1_11target_archE4294967295ELNS1_3gpuE0ELNS1_3repE0EEENS1_30default_config_static_selectorELNS0_4arch9wavefront6targetE1EEEvT1_,comdat
	.protected	_ZN7rocprim17ROCPRIM_400000_NS6detail17trampoline_kernelINS0_14default_configENS1_27scan_by_key_config_selectorIiiEEZZNS1_16scan_by_key_implILNS1_25lookback_scan_determinismE0ELb1ES3_N6thrust23THRUST_200600_302600_NS6detail15normal_iteratorINS9_10device_ptrIiEEEESE_SE_iNS9_4plusIiEE19head_flag_predicateiEE10hipError_tPvRmT2_T3_T4_T5_mT6_T7_P12ihipStream_tbENKUlT_T0_E_clISt17integral_constantIbLb0EESX_IbLb1EEEEDaST_SU_EUlST_E_NS1_11comp_targetILNS1_3genE0ELNS1_11target_archE4294967295ELNS1_3gpuE0ELNS1_3repE0EEENS1_30default_config_static_selectorELNS0_4arch9wavefront6targetE1EEEvT1_ ; -- Begin function _ZN7rocprim17ROCPRIM_400000_NS6detail17trampoline_kernelINS0_14default_configENS1_27scan_by_key_config_selectorIiiEEZZNS1_16scan_by_key_implILNS1_25lookback_scan_determinismE0ELb1ES3_N6thrust23THRUST_200600_302600_NS6detail15normal_iteratorINS9_10device_ptrIiEEEESE_SE_iNS9_4plusIiEE19head_flag_predicateiEE10hipError_tPvRmT2_T3_T4_T5_mT6_T7_P12ihipStream_tbENKUlT_T0_E_clISt17integral_constantIbLb0EESX_IbLb1EEEEDaST_SU_EUlST_E_NS1_11comp_targetILNS1_3genE0ELNS1_11target_archE4294967295ELNS1_3gpuE0ELNS1_3repE0EEENS1_30default_config_static_selectorELNS0_4arch9wavefront6targetE1EEEvT1_
	.globl	_ZN7rocprim17ROCPRIM_400000_NS6detail17trampoline_kernelINS0_14default_configENS1_27scan_by_key_config_selectorIiiEEZZNS1_16scan_by_key_implILNS1_25lookback_scan_determinismE0ELb1ES3_N6thrust23THRUST_200600_302600_NS6detail15normal_iteratorINS9_10device_ptrIiEEEESE_SE_iNS9_4plusIiEE19head_flag_predicateiEE10hipError_tPvRmT2_T3_T4_T5_mT6_T7_P12ihipStream_tbENKUlT_T0_E_clISt17integral_constantIbLb0EESX_IbLb1EEEEDaST_SU_EUlST_E_NS1_11comp_targetILNS1_3genE0ELNS1_11target_archE4294967295ELNS1_3gpuE0ELNS1_3repE0EEENS1_30default_config_static_selectorELNS0_4arch9wavefront6targetE1EEEvT1_
	.p2align	8
	.type	_ZN7rocprim17ROCPRIM_400000_NS6detail17trampoline_kernelINS0_14default_configENS1_27scan_by_key_config_selectorIiiEEZZNS1_16scan_by_key_implILNS1_25lookback_scan_determinismE0ELb1ES3_N6thrust23THRUST_200600_302600_NS6detail15normal_iteratorINS9_10device_ptrIiEEEESE_SE_iNS9_4plusIiEE19head_flag_predicateiEE10hipError_tPvRmT2_T3_T4_T5_mT6_T7_P12ihipStream_tbENKUlT_T0_E_clISt17integral_constantIbLb0EESX_IbLb1EEEEDaST_SU_EUlST_E_NS1_11comp_targetILNS1_3genE0ELNS1_11target_archE4294967295ELNS1_3gpuE0ELNS1_3repE0EEENS1_30default_config_static_selectorELNS0_4arch9wavefront6targetE1EEEvT1_,@function
_ZN7rocprim17ROCPRIM_400000_NS6detail17trampoline_kernelINS0_14default_configENS1_27scan_by_key_config_selectorIiiEEZZNS1_16scan_by_key_implILNS1_25lookback_scan_determinismE0ELb1ES3_N6thrust23THRUST_200600_302600_NS6detail15normal_iteratorINS9_10device_ptrIiEEEESE_SE_iNS9_4plusIiEE19head_flag_predicateiEE10hipError_tPvRmT2_T3_T4_T5_mT6_T7_P12ihipStream_tbENKUlT_T0_E_clISt17integral_constantIbLb0EESX_IbLb1EEEEDaST_SU_EUlST_E_NS1_11comp_targetILNS1_3genE0ELNS1_11target_archE4294967295ELNS1_3gpuE0ELNS1_3repE0EEENS1_30default_config_static_selectorELNS0_4arch9wavefront6targetE1EEEvT1_: ; @_ZN7rocprim17ROCPRIM_400000_NS6detail17trampoline_kernelINS0_14default_configENS1_27scan_by_key_config_selectorIiiEEZZNS1_16scan_by_key_implILNS1_25lookback_scan_determinismE0ELb1ES3_N6thrust23THRUST_200600_302600_NS6detail15normal_iteratorINS9_10device_ptrIiEEEESE_SE_iNS9_4plusIiEE19head_flag_predicateiEE10hipError_tPvRmT2_T3_T4_T5_mT6_T7_P12ihipStream_tbENKUlT_T0_E_clISt17integral_constantIbLb0EESX_IbLb1EEEEDaST_SU_EUlST_E_NS1_11comp_targetILNS1_3genE0ELNS1_11target_archE4294967295ELNS1_3gpuE0ELNS1_3repE0EEENS1_30default_config_static_selectorELNS0_4arch9wavefront6targetE1EEEvT1_
; %bb.0:
	.section	.rodata,"a",@progbits
	.p2align	6, 0x0
	.amdhsa_kernel _ZN7rocprim17ROCPRIM_400000_NS6detail17trampoline_kernelINS0_14default_configENS1_27scan_by_key_config_selectorIiiEEZZNS1_16scan_by_key_implILNS1_25lookback_scan_determinismE0ELb1ES3_N6thrust23THRUST_200600_302600_NS6detail15normal_iteratorINS9_10device_ptrIiEEEESE_SE_iNS9_4plusIiEE19head_flag_predicateiEE10hipError_tPvRmT2_T3_T4_T5_mT6_T7_P12ihipStream_tbENKUlT_T0_E_clISt17integral_constantIbLb0EESX_IbLb1EEEEDaST_SU_EUlST_E_NS1_11comp_targetILNS1_3genE0ELNS1_11target_archE4294967295ELNS1_3gpuE0ELNS1_3repE0EEENS1_30default_config_static_selectorELNS0_4arch9wavefront6targetE1EEEvT1_
		.amdhsa_group_segment_fixed_size 0
		.amdhsa_private_segment_fixed_size 0
		.amdhsa_kernarg_size 112
		.amdhsa_user_sgpr_count 6
		.amdhsa_user_sgpr_private_segment_buffer 1
		.amdhsa_user_sgpr_dispatch_ptr 0
		.amdhsa_user_sgpr_queue_ptr 0
		.amdhsa_user_sgpr_kernarg_segment_ptr 1
		.amdhsa_user_sgpr_dispatch_id 0
		.amdhsa_user_sgpr_flat_scratch_init 0
		.amdhsa_user_sgpr_kernarg_preload_length 0
		.amdhsa_user_sgpr_kernarg_preload_offset 0
		.amdhsa_user_sgpr_private_segment_size 0
		.amdhsa_uses_dynamic_stack 0
		.amdhsa_system_sgpr_private_segment_wavefront_offset 0
		.amdhsa_system_sgpr_workgroup_id_x 1
		.amdhsa_system_sgpr_workgroup_id_y 0
		.amdhsa_system_sgpr_workgroup_id_z 0
		.amdhsa_system_sgpr_workgroup_info 0
		.amdhsa_system_vgpr_workitem_id 0
		.amdhsa_next_free_vgpr 1
		.amdhsa_next_free_sgpr 0
		.amdhsa_accum_offset 4
		.amdhsa_reserve_vcc 0
		.amdhsa_reserve_flat_scratch 0
		.amdhsa_float_round_mode_32 0
		.amdhsa_float_round_mode_16_64 0
		.amdhsa_float_denorm_mode_32 3
		.amdhsa_float_denorm_mode_16_64 3
		.amdhsa_dx10_clamp 1
		.amdhsa_ieee_mode 1
		.amdhsa_fp16_overflow 0
		.amdhsa_tg_split 0
		.amdhsa_exception_fp_ieee_invalid_op 0
		.amdhsa_exception_fp_denorm_src 0
		.amdhsa_exception_fp_ieee_div_zero 0
		.amdhsa_exception_fp_ieee_overflow 0
		.amdhsa_exception_fp_ieee_underflow 0
		.amdhsa_exception_fp_ieee_inexact 0
		.amdhsa_exception_int_div_zero 0
	.end_amdhsa_kernel
	.section	.text._ZN7rocprim17ROCPRIM_400000_NS6detail17trampoline_kernelINS0_14default_configENS1_27scan_by_key_config_selectorIiiEEZZNS1_16scan_by_key_implILNS1_25lookback_scan_determinismE0ELb1ES3_N6thrust23THRUST_200600_302600_NS6detail15normal_iteratorINS9_10device_ptrIiEEEESE_SE_iNS9_4plusIiEE19head_flag_predicateiEE10hipError_tPvRmT2_T3_T4_T5_mT6_T7_P12ihipStream_tbENKUlT_T0_E_clISt17integral_constantIbLb0EESX_IbLb1EEEEDaST_SU_EUlST_E_NS1_11comp_targetILNS1_3genE0ELNS1_11target_archE4294967295ELNS1_3gpuE0ELNS1_3repE0EEENS1_30default_config_static_selectorELNS0_4arch9wavefront6targetE1EEEvT1_,"axG",@progbits,_ZN7rocprim17ROCPRIM_400000_NS6detail17trampoline_kernelINS0_14default_configENS1_27scan_by_key_config_selectorIiiEEZZNS1_16scan_by_key_implILNS1_25lookback_scan_determinismE0ELb1ES3_N6thrust23THRUST_200600_302600_NS6detail15normal_iteratorINS9_10device_ptrIiEEEESE_SE_iNS9_4plusIiEE19head_flag_predicateiEE10hipError_tPvRmT2_T3_T4_T5_mT6_T7_P12ihipStream_tbENKUlT_T0_E_clISt17integral_constantIbLb0EESX_IbLb1EEEEDaST_SU_EUlST_E_NS1_11comp_targetILNS1_3genE0ELNS1_11target_archE4294967295ELNS1_3gpuE0ELNS1_3repE0EEENS1_30default_config_static_selectorELNS0_4arch9wavefront6targetE1EEEvT1_,comdat
.Lfunc_end812:
	.size	_ZN7rocprim17ROCPRIM_400000_NS6detail17trampoline_kernelINS0_14default_configENS1_27scan_by_key_config_selectorIiiEEZZNS1_16scan_by_key_implILNS1_25lookback_scan_determinismE0ELb1ES3_N6thrust23THRUST_200600_302600_NS6detail15normal_iteratorINS9_10device_ptrIiEEEESE_SE_iNS9_4plusIiEE19head_flag_predicateiEE10hipError_tPvRmT2_T3_T4_T5_mT6_T7_P12ihipStream_tbENKUlT_T0_E_clISt17integral_constantIbLb0EESX_IbLb1EEEEDaST_SU_EUlST_E_NS1_11comp_targetILNS1_3genE0ELNS1_11target_archE4294967295ELNS1_3gpuE0ELNS1_3repE0EEENS1_30default_config_static_selectorELNS0_4arch9wavefront6targetE1EEEvT1_, .Lfunc_end812-_ZN7rocprim17ROCPRIM_400000_NS6detail17trampoline_kernelINS0_14default_configENS1_27scan_by_key_config_selectorIiiEEZZNS1_16scan_by_key_implILNS1_25lookback_scan_determinismE0ELb1ES3_N6thrust23THRUST_200600_302600_NS6detail15normal_iteratorINS9_10device_ptrIiEEEESE_SE_iNS9_4plusIiEE19head_flag_predicateiEE10hipError_tPvRmT2_T3_T4_T5_mT6_T7_P12ihipStream_tbENKUlT_T0_E_clISt17integral_constantIbLb0EESX_IbLb1EEEEDaST_SU_EUlST_E_NS1_11comp_targetILNS1_3genE0ELNS1_11target_archE4294967295ELNS1_3gpuE0ELNS1_3repE0EEENS1_30default_config_static_selectorELNS0_4arch9wavefront6targetE1EEEvT1_
                                        ; -- End function
	.section	.AMDGPU.csdata,"",@progbits
; Kernel info:
; codeLenInByte = 0
; NumSgprs: 4
; NumVgprs: 0
; NumAgprs: 0
; TotalNumVgprs: 0
; ScratchSize: 0
; MemoryBound: 0
; FloatMode: 240
; IeeeMode: 1
; LDSByteSize: 0 bytes/workgroup (compile time only)
; SGPRBlocks: 0
; VGPRBlocks: 0
; NumSGPRsForWavesPerEU: 4
; NumVGPRsForWavesPerEU: 1
; AccumOffset: 4
; Occupancy: 8
; WaveLimiterHint : 0
; COMPUTE_PGM_RSRC2:SCRATCH_EN: 0
; COMPUTE_PGM_RSRC2:USER_SGPR: 6
; COMPUTE_PGM_RSRC2:TRAP_HANDLER: 0
; COMPUTE_PGM_RSRC2:TGID_X_EN: 1
; COMPUTE_PGM_RSRC2:TGID_Y_EN: 0
; COMPUTE_PGM_RSRC2:TGID_Z_EN: 0
; COMPUTE_PGM_RSRC2:TIDIG_COMP_CNT: 0
; COMPUTE_PGM_RSRC3_GFX90A:ACCUM_OFFSET: 0
; COMPUTE_PGM_RSRC3_GFX90A:TG_SPLIT: 0
	.section	.text._ZN7rocprim17ROCPRIM_400000_NS6detail17trampoline_kernelINS0_14default_configENS1_27scan_by_key_config_selectorIiiEEZZNS1_16scan_by_key_implILNS1_25lookback_scan_determinismE0ELb1ES3_N6thrust23THRUST_200600_302600_NS6detail15normal_iteratorINS9_10device_ptrIiEEEESE_SE_iNS9_4plusIiEE19head_flag_predicateiEE10hipError_tPvRmT2_T3_T4_T5_mT6_T7_P12ihipStream_tbENKUlT_T0_E_clISt17integral_constantIbLb0EESX_IbLb1EEEEDaST_SU_EUlST_E_NS1_11comp_targetILNS1_3genE10ELNS1_11target_archE1201ELNS1_3gpuE5ELNS1_3repE0EEENS1_30default_config_static_selectorELNS0_4arch9wavefront6targetE1EEEvT1_,"axG",@progbits,_ZN7rocprim17ROCPRIM_400000_NS6detail17trampoline_kernelINS0_14default_configENS1_27scan_by_key_config_selectorIiiEEZZNS1_16scan_by_key_implILNS1_25lookback_scan_determinismE0ELb1ES3_N6thrust23THRUST_200600_302600_NS6detail15normal_iteratorINS9_10device_ptrIiEEEESE_SE_iNS9_4plusIiEE19head_flag_predicateiEE10hipError_tPvRmT2_T3_T4_T5_mT6_T7_P12ihipStream_tbENKUlT_T0_E_clISt17integral_constantIbLb0EESX_IbLb1EEEEDaST_SU_EUlST_E_NS1_11comp_targetILNS1_3genE10ELNS1_11target_archE1201ELNS1_3gpuE5ELNS1_3repE0EEENS1_30default_config_static_selectorELNS0_4arch9wavefront6targetE1EEEvT1_,comdat
	.protected	_ZN7rocprim17ROCPRIM_400000_NS6detail17trampoline_kernelINS0_14default_configENS1_27scan_by_key_config_selectorIiiEEZZNS1_16scan_by_key_implILNS1_25lookback_scan_determinismE0ELb1ES3_N6thrust23THRUST_200600_302600_NS6detail15normal_iteratorINS9_10device_ptrIiEEEESE_SE_iNS9_4plusIiEE19head_flag_predicateiEE10hipError_tPvRmT2_T3_T4_T5_mT6_T7_P12ihipStream_tbENKUlT_T0_E_clISt17integral_constantIbLb0EESX_IbLb1EEEEDaST_SU_EUlST_E_NS1_11comp_targetILNS1_3genE10ELNS1_11target_archE1201ELNS1_3gpuE5ELNS1_3repE0EEENS1_30default_config_static_selectorELNS0_4arch9wavefront6targetE1EEEvT1_ ; -- Begin function _ZN7rocprim17ROCPRIM_400000_NS6detail17trampoline_kernelINS0_14default_configENS1_27scan_by_key_config_selectorIiiEEZZNS1_16scan_by_key_implILNS1_25lookback_scan_determinismE0ELb1ES3_N6thrust23THRUST_200600_302600_NS6detail15normal_iteratorINS9_10device_ptrIiEEEESE_SE_iNS9_4plusIiEE19head_flag_predicateiEE10hipError_tPvRmT2_T3_T4_T5_mT6_T7_P12ihipStream_tbENKUlT_T0_E_clISt17integral_constantIbLb0EESX_IbLb1EEEEDaST_SU_EUlST_E_NS1_11comp_targetILNS1_3genE10ELNS1_11target_archE1201ELNS1_3gpuE5ELNS1_3repE0EEENS1_30default_config_static_selectorELNS0_4arch9wavefront6targetE1EEEvT1_
	.globl	_ZN7rocprim17ROCPRIM_400000_NS6detail17trampoline_kernelINS0_14default_configENS1_27scan_by_key_config_selectorIiiEEZZNS1_16scan_by_key_implILNS1_25lookback_scan_determinismE0ELb1ES3_N6thrust23THRUST_200600_302600_NS6detail15normal_iteratorINS9_10device_ptrIiEEEESE_SE_iNS9_4plusIiEE19head_flag_predicateiEE10hipError_tPvRmT2_T3_T4_T5_mT6_T7_P12ihipStream_tbENKUlT_T0_E_clISt17integral_constantIbLb0EESX_IbLb1EEEEDaST_SU_EUlST_E_NS1_11comp_targetILNS1_3genE10ELNS1_11target_archE1201ELNS1_3gpuE5ELNS1_3repE0EEENS1_30default_config_static_selectorELNS0_4arch9wavefront6targetE1EEEvT1_
	.p2align	8
	.type	_ZN7rocprim17ROCPRIM_400000_NS6detail17trampoline_kernelINS0_14default_configENS1_27scan_by_key_config_selectorIiiEEZZNS1_16scan_by_key_implILNS1_25lookback_scan_determinismE0ELb1ES3_N6thrust23THRUST_200600_302600_NS6detail15normal_iteratorINS9_10device_ptrIiEEEESE_SE_iNS9_4plusIiEE19head_flag_predicateiEE10hipError_tPvRmT2_T3_T4_T5_mT6_T7_P12ihipStream_tbENKUlT_T0_E_clISt17integral_constantIbLb0EESX_IbLb1EEEEDaST_SU_EUlST_E_NS1_11comp_targetILNS1_3genE10ELNS1_11target_archE1201ELNS1_3gpuE5ELNS1_3repE0EEENS1_30default_config_static_selectorELNS0_4arch9wavefront6targetE1EEEvT1_,@function
_ZN7rocprim17ROCPRIM_400000_NS6detail17trampoline_kernelINS0_14default_configENS1_27scan_by_key_config_selectorIiiEEZZNS1_16scan_by_key_implILNS1_25lookback_scan_determinismE0ELb1ES3_N6thrust23THRUST_200600_302600_NS6detail15normal_iteratorINS9_10device_ptrIiEEEESE_SE_iNS9_4plusIiEE19head_flag_predicateiEE10hipError_tPvRmT2_T3_T4_T5_mT6_T7_P12ihipStream_tbENKUlT_T0_E_clISt17integral_constantIbLb0EESX_IbLb1EEEEDaST_SU_EUlST_E_NS1_11comp_targetILNS1_3genE10ELNS1_11target_archE1201ELNS1_3gpuE5ELNS1_3repE0EEENS1_30default_config_static_selectorELNS0_4arch9wavefront6targetE1EEEvT1_: ; @_ZN7rocprim17ROCPRIM_400000_NS6detail17trampoline_kernelINS0_14default_configENS1_27scan_by_key_config_selectorIiiEEZZNS1_16scan_by_key_implILNS1_25lookback_scan_determinismE0ELb1ES3_N6thrust23THRUST_200600_302600_NS6detail15normal_iteratorINS9_10device_ptrIiEEEESE_SE_iNS9_4plusIiEE19head_flag_predicateiEE10hipError_tPvRmT2_T3_T4_T5_mT6_T7_P12ihipStream_tbENKUlT_T0_E_clISt17integral_constantIbLb0EESX_IbLb1EEEEDaST_SU_EUlST_E_NS1_11comp_targetILNS1_3genE10ELNS1_11target_archE1201ELNS1_3gpuE5ELNS1_3repE0EEENS1_30default_config_static_selectorELNS0_4arch9wavefront6targetE1EEEvT1_
; %bb.0:
	.section	.rodata,"a",@progbits
	.p2align	6, 0x0
	.amdhsa_kernel _ZN7rocprim17ROCPRIM_400000_NS6detail17trampoline_kernelINS0_14default_configENS1_27scan_by_key_config_selectorIiiEEZZNS1_16scan_by_key_implILNS1_25lookback_scan_determinismE0ELb1ES3_N6thrust23THRUST_200600_302600_NS6detail15normal_iteratorINS9_10device_ptrIiEEEESE_SE_iNS9_4plusIiEE19head_flag_predicateiEE10hipError_tPvRmT2_T3_T4_T5_mT6_T7_P12ihipStream_tbENKUlT_T0_E_clISt17integral_constantIbLb0EESX_IbLb1EEEEDaST_SU_EUlST_E_NS1_11comp_targetILNS1_3genE10ELNS1_11target_archE1201ELNS1_3gpuE5ELNS1_3repE0EEENS1_30default_config_static_selectorELNS0_4arch9wavefront6targetE1EEEvT1_
		.amdhsa_group_segment_fixed_size 0
		.amdhsa_private_segment_fixed_size 0
		.amdhsa_kernarg_size 112
		.amdhsa_user_sgpr_count 6
		.amdhsa_user_sgpr_private_segment_buffer 1
		.amdhsa_user_sgpr_dispatch_ptr 0
		.amdhsa_user_sgpr_queue_ptr 0
		.amdhsa_user_sgpr_kernarg_segment_ptr 1
		.amdhsa_user_sgpr_dispatch_id 0
		.amdhsa_user_sgpr_flat_scratch_init 0
		.amdhsa_user_sgpr_kernarg_preload_length 0
		.amdhsa_user_sgpr_kernarg_preload_offset 0
		.amdhsa_user_sgpr_private_segment_size 0
		.amdhsa_uses_dynamic_stack 0
		.amdhsa_system_sgpr_private_segment_wavefront_offset 0
		.amdhsa_system_sgpr_workgroup_id_x 1
		.amdhsa_system_sgpr_workgroup_id_y 0
		.amdhsa_system_sgpr_workgroup_id_z 0
		.amdhsa_system_sgpr_workgroup_info 0
		.amdhsa_system_vgpr_workitem_id 0
		.amdhsa_next_free_vgpr 1
		.amdhsa_next_free_sgpr 0
		.amdhsa_accum_offset 4
		.amdhsa_reserve_vcc 0
		.amdhsa_reserve_flat_scratch 0
		.amdhsa_float_round_mode_32 0
		.amdhsa_float_round_mode_16_64 0
		.amdhsa_float_denorm_mode_32 3
		.amdhsa_float_denorm_mode_16_64 3
		.amdhsa_dx10_clamp 1
		.amdhsa_ieee_mode 1
		.amdhsa_fp16_overflow 0
		.amdhsa_tg_split 0
		.amdhsa_exception_fp_ieee_invalid_op 0
		.amdhsa_exception_fp_denorm_src 0
		.amdhsa_exception_fp_ieee_div_zero 0
		.amdhsa_exception_fp_ieee_overflow 0
		.amdhsa_exception_fp_ieee_underflow 0
		.amdhsa_exception_fp_ieee_inexact 0
		.amdhsa_exception_int_div_zero 0
	.end_amdhsa_kernel
	.section	.text._ZN7rocprim17ROCPRIM_400000_NS6detail17trampoline_kernelINS0_14default_configENS1_27scan_by_key_config_selectorIiiEEZZNS1_16scan_by_key_implILNS1_25lookback_scan_determinismE0ELb1ES3_N6thrust23THRUST_200600_302600_NS6detail15normal_iteratorINS9_10device_ptrIiEEEESE_SE_iNS9_4plusIiEE19head_flag_predicateiEE10hipError_tPvRmT2_T3_T4_T5_mT6_T7_P12ihipStream_tbENKUlT_T0_E_clISt17integral_constantIbLb0EESX_IbLb1EEEEDaST_SU_EUlST_E_NS1_11comp_targetILNS1_3genE10ELNS1_11target_archE1201ELNS1_3gpuE5ELNS1_3repE0EEENS1_30default_config_static_selectorELNS0_4arch9wavefront6targetE1EEEvT1_,"axG",@progbits,_ZN7rocprim17ROCPRIM_400000_NS6detail17trampoline_kernelINS0_14default_configENS1_27scan_by_key_config_selectorIiiEEZZNS1_16scan_by_key_implILNS1_25lookback_scan_determinismE0ELb1ES3_N6thrust23THRUST_200600_302600_NS6detail15normal_iteratorINS9_10device_ptrIiEEEESE_SE_iNS9_4plusIiEE19head_flag_predicateiEE10hipError_tPvRmT2_T3_T4_T5_mT6_T7_P12ihipStream_tbENKUlT_T0_E_clISt17integral_constantIbLb0EESX_IbLb1EEEEDaST_SU_EUlST_E_NS1_11comp_targetILNS1_3genE10ELNS1_11target_archE1201ELNS1_3gpuE5ELNS1_3repE0EEENS1_30default_config_static_selectorELNS0_4arch9wavefront6targetE1EEEvT1_,comdat
.Lfunc_end813:
	.size	_ZN7rocprim17ROCPRIM_400000_NS6detail17trampoline_kernelINS0_14default_configENS1_27scan_by_key_config_selectorIiiEEZZNS1_16scan_by_key_implILNS1_25lookback_scan_determinismE0ELb1ES3_N6thrust23THRUST_200600_302600_NS6detail15normal_iteratorINS9_10device_ptrIiEEEESE_SE_iNS9_4plusIiEE19head_flag_predicateiEE10hipError_tPvRmT2_T3_T4_T5_mT6_T7_P12ihipStream_tbENKUlT_T0_E_clISt17integral_constantIbLb0EESX_IbLb1EEEEDaST_SU_EUlST_E_NS1_11comp_targetILNS1_3genE10ELNS1_11target_archE1201ELNS1_3gpuE5ELNS1_3repE0EEENS1_30default_config_static_selectorELNS0_4arch9wavefront6targetE1EEEvT1_, .Lfunc_end813-_ZN7rocprim17ROCPRIM_400000_NS6detail17trampoline_kernelINS0_14default_configENS1_27scan_by_key_config_selectorIiiEEZZNS1_16scan_by_key_implILNS1_25lookback_scan_determinismE0ELb1ES3_N6thrust23THRUST_200600_302600_NS6detail15normal_iteratorINS9_10device_ptrIiEEEESE_SE_iNS9_4plusIiEE19head_flag_predicateiEE10hipError_tPvRmT2_T3_T4_T5_mT6_T7_P12ihipStream_tbENKUlT_T0_E_clISt17integral_constantIbLb0EESX_IbLb1EEEEDaST_SU_EUlST_E_NS1_11comp_targetILNS1_3genE10ELNS1_11target_archE1201ELNS1_3gpuE5ELNS1_3repE0EEENS1_30default_config_static_selectorELNS0_4arch9wavefront6targetE1EEEvT1_
                                        ; -- End function
	.section	.AMDGPU.csdata,"",@progbits
; Kernel info:
; codeLenInByte = 0
; NumSgprs: 4
; NumVgprs: 0
; NumAgprs: 0
; TotalNumVgprs: 0
; ScratchSize: 0
; MemoryBound: 0
; FloatMode: 240
; IeeeMode: 1
; LDSByteSize: 0 bytes/workgroup (compile time only)
; SGPRBlocks: 0
; VGPRBlocks: 0
; NumSGPRsForWavesPerEU: 4
; NumVGPRsForWavesPerEU: 1
; AccumOffset: 4
; Occupancy: 8
; WaveLimiterHint : 0
; COMPUTE_PGM_RSRC2:SCRATCH_EN: 0
; COMPUTE_PGM_RSRC2:USER_SGPR: 6
; COMPUTE_PGM_RSRC2:TRAP_HANDLER: 0
; COMPUTE_PGM_RSRC2:TGID_X_EN: 1
; COMPUTE_PGM_RSRC2:TGID_Y_EN: 0
; COMPUTE_PGM_RSRC2:TGID_Z_EN: 0
; COMPUTE_PGM_RSRC2:TIDIG_COMP_CNT: 0
; COMPUTE_PGM_RSRC3_GFX90A:ACCUM_OFFSET: 0
; COMPUTE_PGM_RSRC3_GFX90A:TG_SPLIT: 0
	.section	.text._ZN7rocprim17ROCPRIM_400000_NS6detail17trampoline_kernelINS0_14default_configENS1_27scan_by_key_config_selectorIiiEEZZNS1_16scan_by_key_implILNS1_25lookback_scan_determinismE0ELb1ES3_N6thrust23THRUST_200600_302600_NS6detail15normal_iteratorINS9_10device_ptrIiEEEESE_SE_iNS9_4plusIiEE19head_flag_predicateiEE10hipError_tPvRmT2_T3_T4_T5_mT6_T7_P12ihipStream_tbENKUlT_T0_E_clISt17integral_constantIbLb0EESX_IbLb1EEEEDaST_SU_EUlST_E_NS1_11comp_targetILNS1_3genE5ELNS1_11target_archE942ELNS1_3gpuE9ELNS1_3repE0EEENS1_30default_config_static_selectorELNS0_4arch9wavefront6targetE1EEEvT1_,"axG",@progbits,_ZN7rocprim17ROCPRIM_400000_NS6detail17trampoline_kernelINS0_14default_configENS1_27scan_by_key_config_selectorIiiEEZZNS1_16scan_by_key_implILNS1_25lookback_scan_determinismE0ELb1ES3_N6thrust23THRUST_200600_302600_NS6detail15normal_iteratorINS9_10device_ptrIiEEEESE_SE_iNS9_4plusIiEE19head_flag_predicateiEE10hipError_tPvRmT2_T3_T4_T5_mT6_T7_P12ihipStream_tbENKUlT_T0_E_clISt17integral_constantIbLb0EESX_IbLb1EEEEDaST_SU_EUlST_E_NS1_11comp_targetILNS1_3genE5ELNS1_11target_archE942ELNS1_3gpuE9ELNS1_3repE0EEENS1_30default_config_static_selectorELNS0_4arch9wavefront6targetE1EEEvT1_,comdat
	.protected	_ZN7rocprim17ROCPRIM_400000_NS6detail17trampoline_kernelINS0_14default_configENS1_27scan_by_key_config_selectorIiiEEZZNS1_16scan_by_key_implILNS1_25lookback_scan_determinismE0ELb1ES3_N6thrust23THRUST_200600_302600_NS6detail15normal_iteratorINS9_10device_ptrIiEEEESE_SE_iNS9_4plusIiEE19head_flag_predicateiEE10hipError_tPvRmT2_T3_T4_T5_mT6_T7_P12ihipStream_tbENKUlT_T0_E_clISt17integral_constantIbLb0EESX_IbLb1EEEEDaST_SU_EUlST_E_NS1_11comp_targetILNS1_3genE5ELNS1_11target_archE942ELNS1_3gpuE9ELNS1_3repE0EEENS1_30default_config_static_selectorELNS0_4arch9wavefront6targetE1EEEvT1_ ; -- Begin function _ZN7rocprim17ROCPRIM_400000_NS6detail17trampoline_kernelINS0_14default_configENS1_27scan_by_key_config_selectorIiiEEZZNS1_16scan_by_key_implILNS1_25lookback_scan_determinismE0ELb1ES3_N6thrust23THRUST_200600_302600_NS6detail15normal_iteratorINS9_10device_ptrIiEEEESE_SE_iNS9_4plusIiEE19head_flag_predicateiEE10hipError_tPvRmT2_T3_T4_T5_mT6_T7_P12ihipStream_tbENKUlT_T0_E_clISt17integral_constantIbLb0EESX_IbLb1EEEEDaST_SU_EUlST_E_NS1_11comp_targetILNS1_3genE5ELNS1_11target_archE942ELNS1_3gpuE9ELNS1_3repE0EEENS1_30default_config_static_selectorELNS0_4arch9wavefront6targetE1EEEvT1_
	.globl	_ZN7rocprim17ROCPRIM_400000_NS6detail17trampoline_kernelINS0_14default_configENS1_27scan_by_key_config_selectorIiiEEZZNS1_16scan_by_key_implILNS1_25lookback_scan_determinismE0ELb1ES3_N6thrust23THRUST_200600_302600_NS6detail15normal_iteratorINS9_10device_ptrIiEEEESE_SE_iNS9_4plusIiEE19head_flag_predicateiEE10hipError_tPvRmT2_T3_T4_T5_mT6_T7_P12ihipStream_tbENKUlT_T0_E_clISt17integral_constantIbLb0EESX_IbLb1EEEEDaST_SU_EUlST_E_NS1_11comp_targetILNS1_3genE5ELNS1_11target_archE942ELNS1_3gpuE9ELNS1_3repE0EEENS1_30default_config_static_selectorELNS0_4arch9wavefront6targetE1EEEvT1_
	.p2align	8
	.type	_ZN7rocprim17ROCPRIM_400000_NS6detail17trampoline_kernelINS0_14default_configENS1_27scan_by_key_config_selectorIiiEEZZNS1_16scan_by_key_implILNS1_25lookback_scan_determinismE0ELb1ES3_N6thrust23THRUST_200600_302600_NS6detail15normal_iteratorINS9_10device_ptrIiEEEESE_SE_iNS9_4plusIiEE19head_flag_predicateiEE10hipError_tPvRmT2_T3_T4_T5_mT6_T7_P12ihipStream_tbENKUlT_T0_E_clISt17integral_constantIbLb0EESX_IbLb1EEEEDaST_SU_EUlST_E_NS1_11comp_targetILNS1_3genE5ELNS1_11target_archE942ELNS1_3gpuE9ELNS1_3repE0EEENS1_30default_config_static_selectorELNS0_4arch9wavefront6targetE1EEEvT1_,@function
_ZN7rocprim17ROCPRIM_400000_NS6detail17trampoline_kernelINS0_14default_configENS1_27scan_by_key_config_selectorIiiEEZZNS1_16scan_by_key_implILNS1_25lookback_scan_determinismE0ELb1ES3_N6thrust23THRUST_200600_302600_NS6detail15normal_iteratorINS9_10device_ptrIiEEEESE_SE_iNS9_4plusIiEE19head_flag_predicateiEE10hipError_tPvRmT2_T3_T4_T5_mT6_T7_P12ihipStream_tbENKUlT_T0_E_clISt17integral_constantIbLb0EESX_IbLb1EEEEDaST_SU_EUlST_E_NS1_11comp_targetILNS1_3genE5ELNS1_11target_archE942ELNS1_3gpuE9ELNS1_3repE0EEENS1_30default_config_static_selectorELNS0_4arch9wavefront6targetE1EEEvT1_: ; @_ZN7rocprim17ROCPRIM_400000_NS6detail17trampoline_kernelINS0_14default_configENS1_27scan_by_key_config_selectorIiiEEZZNS1_16scan_by_key_implILNS1_25lookback_scan_determinismE0ELb1ES3_N6thrust23THRUST_200600_302600_NS6detail15normal_iteratorINS9_10device_ptrIiEEEESE_SE_iNS9_4plusIiEE19head_flag_predicateiEE10hipError_tPvRmT2_T3_T4_T5_mT6_T7_P12ihipStream_tbENKUlT_T0_E_clISt17integral_constantIbLb0EESX_IbLb1EEEEDaST_SU_EUlST_E_NS1_11comp_targetILNS1_3genE5ELNS1_11target_archE942ELNS1_3gpuE9ELNS1_3repE0EEENS1_30default_config_static_selectorELNS0_4arch9wavefront6targetE1EEEvT1_
; %bb.0:
	.section	.rodata,"a",@progbits
	.p2align	6, 0x0
	.amdhsa_kernel _ZN7rocprim17ROCPRIM_400000_NS6detail17trampoline_kernelINS0_14default_configENS1_27scan_by_key_config_selectorIiiEEZZNS1_16scan_by_key_implILNS1_25lookback_scan_determinismE0ELb1ES3_N6thrust23THRUST_200600_302600_NS6detail15normal_iteratorINS9_10device_ptrIiEEEESE_SE_iNS9_4plusIiEE19head_flag_predicateiEE10hipError_tPvRmT2_T3_T4_T5_mT6_T7_P12ihipStream_tbENKUlT_T0_E_clISt17integral_constantIbLb0EESX_IbLb1EEEEDaST_SU_EUlST_E_NS1_11comp_targetILNS1_3genE5ELNS1_11target_archE942ELNS1_3gpuE9ELNS1_3repE0EEENS1_30default_config_static_selectorELNS0_4arch9wavefront6targetE1EEEvT1_
		.amdhsa_group_segment_fixed_size 0
		.amdhsa_private_segment_fixed_size 0
		.amdhsa_kernarg_size 112
		.amdhsa_user_sgpr_count 6
		.amdhsa_user_sgpr_private_segment_buffer 1
		.amdhsa_user_sgpr_dispatch_ptr 0
		.amdhsa_user_sgpr_queue_ptr 0
		.amdhsa_user_sgpr_kernarg_segment_ptr 1
		.amdhsa_user_sgpr_dispatch_id 0
		.amdhsa_user_sgpr_flat_scratch_init 0
		.amdhsa_user_sgpr_kernarg_preload_length 0
		.amdhsa_user_sgpr_kernarg_preload_offset 0
		.amdhsa_user_sgpr_private_segment_size 0
		.amdhsa_uses_dynamic_stack 0
		.amdhsa_system_sgpr_private_segment_wavefront_offset 0
		.amdhsa_system_sgpr_workgroup_id_x 1
		.amdhsa_system_sgpr_workgroup_id_y 0
		.amdhsa_system_sgpr_workgroup_id_z 0
		.amdhsa_system_sgpr_workgroup_info 0
		.amdhsa_system_vgpr_workitem_id 0
		.amdhsa_next_free_vgpr 1
		.amdhsa_next_free_sgpr 0
		.amdhsa_accum_offset 4
		.amdhsa_reserve_vcc 0
		.amdhsa_reserve_flat_scratch 0
		.amdhsa_float_round_mode_32 0
		.amdhsa_float_round_mode_16_64 0
		.amdhsa_float_denorm_mode_32 3
		.amdhsa_float_denorm_mode_16_64 3
		.amdhsa_dx10_clamp 1
		.amdhsa_ieee_mode 1
		.amdhsa_fp16_overflow 0
		.amdhsa_tg_split 0
		.amdhsa_exception_fp_ieee_invalid_op 0
		.amdhsa_exception_fp_denorm_src 0
		.amdhsa_exception_fp_ieee_div_zero 0
		.amdhsa_exception_fp_ieee_overflow 0
		.amdhsa_exception_fp_ieee_underflow 0
		.amdhsa_exception_fp_ieee_inexact 0
		.amdhsa_exception_int_div_zero 0
	.end_amdhsa_kernel
	.section	.text._ZN7rocprim17ROCPRIM_400000_NS6detail17trampoline_kernelINS0_14default_configENS1_27scan_by_key_config_selectorIiiEEZZNS1_16scan_by_key_implILNS1_25lookback_scan_determinismE0ELb1ES3_N6thrust23THRUST_200600_302600_NS6detail15normal_iteratorINS9_10device_ptrIiEEEESE_SE_iNS9_4plusIiEE19head_flag_predicateiEE10hipError_tPvRmT2_T3_T4_T5_mT6_T7_P12ihipStream_tbENKUlT_T0_E_clISt17integral_constantIbLb0EESX_IbLb1EEEEDaST_SU_EUlST_E_NS1_11comp_targetILNS1_3genE5ELNS1_11target_archE942ELNS1_3gpuE9ELNS1_3repE0EEENS1_30default_config_static_selectorELNS0_4arch9wavefront6targetE1EEEvT1_,"axG",@progbits,_ZN7rocprim17ROCPRIM_400000_NS6detail17trampoline_kernelINS0_14default_configENS1_27scan_by_key_config_selectorIiiEEZZNS1_16scan_by_key_implILNS1_25lookback_scan_determinismE0ELb1ES3_N6thrust23THRUST_200600_302600_NS6detail15normal_iteratorINS9_10device_ptrIiEEEESE_SE_iNS9_4plusIiEE19head_flag_predicateiEE10hipError_tPvRmT2_T3_T4_T5_mT6_T7_P12ihipStream_tbENKUlT_T0_E_clISt17integral_constantIbLb0EESX_IbLb1EEEEDaST_SU_EUlST_E_NS1_11comp_targetILNS1_3genE5ELNS1_11target_archE942ELNS1_3gpuE9ELNS1_3repE0EEENS1_30default_config_static_selectorELNS0_4arch9wavefront6targetE1EEEvT1_,comdat
.Lfunc_end814:
	.size	_ZN7rocprim17ROCPRIM_400000_NS6detail17trampoline_kernelINS0_14default_configENS1_27scan_by_key_config_selectorIiiEEZZNS1_16scan_by_key_implILNS1_25lookback_scan_determinismE0ELb1ES3_N6thrust23THRUST_200600_302600_NS6detail15normal_iteratorINS9_10device_ptrIiEEEESE_SE_iNS9_4plusIiEE19head_flag_predicateiEE10hipError_tPvRmT2_T3_T4_T5_mT6_T7_P12ihipStream_tbENKUlT_T0_E_clISt17integral_constantIbLb0EESX_IbLb1EEEEDaST_SU_EUlST_E_NS1_11comp_targetILNS1_3genE5ELNS1_11target_archE942ELNS1_3gpuE9ELNS1_3repE0EEENS1_30default_config_static_selectorELNS0_4arch9wavefront6targetE1EEEvT1_, .Lfunc_end814-_ZN7rocprim17ROCPRIM_400000_NS6detail17trampoline_kernelINS0_14default_configENS1_27scan_by_key_config_selectorIiiEEZZNS1_16scan_by_key_implILNS1_25lookback_scan_determinismE0ELb1ES3_N6thrust23THRUST_200600_302600_NS6detail15normal_iteratorINS9_10device_ptrIiEEEESE_SE_iNS9_4plusIiEE19head_flag_predicateiEE10hipError_tPvRmT2_T3_T4_T5_mT6_T7_P12ihipStream_tbENKUlT_T0_E_clISt17integral_constantIbLb0EESX_IbLb1EEEEDaST_SU_EUlST_E_NS1_11comp_targetILNS1_3genE5ELNS1_11target_archE942ELNS1_3gpuE9ELNS1_3repE0EEENS1_30default_config_static_selectorELNS0_4arch9wavefront6targetE1EEEvT1_
                                        ; -- End function
	.section	.AMDGPU.csdata,"",@progbits
; Kernel info:
; codeLenInByte = 0
; NumSgprs: 4
; NumVgprs: 0
; NumAgprs: 0
; TotalNumVgprs: 0
; ScratchSize: 0
; MemoryBound: 0
; FloatMode: 240
; IeeeMode: 1
; LDSByteSize: 0 bytes/workgroup (compile time only)
; SGPRBlocks: 0
; VGPRBlocks: 0
; NumSGPRsForWavesPerEU: 4
; NumVGPRsForWavesPerEU: 1
; AccumOffset: 4
; Occupancy: 8
; WaveLimiterHint : 0
; COMPUTE_PGM_RSRC2:SCRATCH_EN: 0
; COMPUTE_PGM_RSRC2:USER_SGPR: 6
; COMPUTE_PGM_RSRC2:TRAP_HANDLER: 0
; COMPUTE_PGM_RSRC2:TGID_X_EN: 1
; COMPUTE_PGM_RSRC2:TGID_Y_EN: 0
; COMPUTE_PGM_RSRC2:TGID_Z_EN: 0
; COMPUTE_PGM_RSRC2:TIDIG_COMP_CNT: 0
; COMPUTE_PGM_RSRC3_GFX90A:ACCUM_OFFSET: 0
; COMPUTE_PGM_RSRC3_GFX90A:TG_SPLIT: 0
	.section	.text._ZN7rocprim17ROCPRIM_400000_NS6detail17trampoline_kernelINS0_14default_configENS1_27scan_by_key_config_selectorIiiEEZZNS1_16scan_by_key_implILNS1_25lookback_scan_determinismE0ELb1ES3_N6thrust23THRUST_200600_302600_NS6detail15normal_iteratorINS9_10device_ptrIiEEEESE_SE_iNS9_4plusIiEE19head_flag_predicateiEE10hipError_tPvRmT2_T3_T4_T5_mT6_T7_P12ihipStream_tbENKUlT_T0_E_clISt17integral_constantIbLb0EESX_IbLb1EEEEDaST_SU_EUlST_E_NS1_11comp_targetILNS1_3genE4ELNS1_11target_archE910ELNS1_3gpuE8ELNS1_3repE0EEENS1_30default_config_static_selectorELNS0_4arch9wavefront6targetE1EEEvT1_,"axG",@progbits,_ZN7rocprim17ROCPRIM_400000_NS6detail17trampoline_kernelINS0_14default_configENS1_27scan_by_key_config_selectorIiiEEZZNS1_16scan_by_key_implILNS1_25lookback_scan_determinismE0ELb1ES3_N6thrust23THRUST_200600_302600_NS6detail15normal_iteratorINS9_10device_ptrIiEEEESE_SE_iNS9_4plusIiEE19head_flag_predicateiEE10hipError_tPvRmT2_T3_T4_T5_mT6_T7_P12ihipStream_tbENKUlT_T0_E_clISt17integral_constantIbLb0EESX_IbLb1EEEEDaST_SU_EUlST_E_NS1_11comp_targetILNS1_3genE4ELNS1_11target_archE910ELNS1_3gpuE8ELNS1_3repE0EEENS1_30default_config_static_selectorELNS0_4arch9wavefront6targetE1EEEvT1_,comdat
	.protected	_ZN7rocprim17ROCPRIM_400000_NS6detail17trampoline_kernelINS0_14default_configENS1_27scan_by_key_config_selectorIiiEEZZNS1_16scan_by_key_implILNS1_25lookback_scan_determinismE0ELb1ES3_N6thrust23THRUST_200600_302600_NS6detail15normal_iteratorINS9_10device_ptrIiEEEESE_SE_iNS9_4plusIiEE19head_flag_predicateiEE10hipError_tPvRmT2_T3_T4_T5_mT6_T7_P12ihipStream_tbENKUlT_T0_E_clISt17integral_constantIbLb0EESX_IbLb1EEEEDaST_SU_EUlST_E_NS1_11comp_targetILNS1_3genE4ELNS1_11target_archE910ELNS1_3gpuE8ELNS1_3repE0EEENS1_30default_config_static_selectorELNS0_4arch9wavefront6targetE1EEEvT1_ ; -- Begin function _ZN7rocprim17ROCPRIM_400000_NS6detail17trampoline_kernelINS0_14default_configENS1_27scan_by_key_config_selectorIiiEEZZNS1_16scan_by_key_implILNS1_25lookback_scan_determinismE0ELb1ES3_N6thrust23THRUST_200600_302600_NS6detail15normal_iteratorINS9_10device_ptrIiEEEESE_SE_iNS9_4plusIiEE19head_flag_predicateiEE10hipError_tPvRmT2_T3_T4_T5_mT6_T7_P12ihipStream_tbENKUlT_T0_E_clISt17integral_constantIbLb0EESX_IbLb1EEEEDaST_SU_EUlST_E_NS1_11comp_targetILNS1_3genE4ELNS1_11target_archE910ELNS1_3gpuE8ELNS1_3repE0EEENS1_30default_config_static_selectorELNS0_4arch9wavefront6targetE1EEEvT1_
	.globl	_ZN7rocprim17ROCPRIM_400000_NS6detail17trampoline_kernelINS0_14default_configENS1_27scan_by_key_config_selectorIiiEEZZNS1_16scan_by_key_implILNS1_25lookback_scan_determinismE0ELb1ES3_N6thrust23THRUST_200600_302600_NS6detail15normal_iteratorINS9_10device_ptrIiEEEESE_SE_iNS9_4plusIiEE19head_flag_predicateiEE10hipError_tPvRmT2_T3_T4_T5_mT6_T7_P12ihipStream_tbENKUlT_T0_E_clISt17integral_constantIbLb0EESX_IbLb1EEEEDaST_SU_EUlST_E_NS1_11comp_targetILNS1_3genE4ELNS1_11target_archE910ELNS1_3gpuE8ELNS1_3repE0EEENS1_30default_config_static_selectorELNS0_4arch9wavefront6targetE1EEEvT1_
	.p2align	8
	.type	_ZN7rocprim17ROCPRIM_400000_NS6detail17trampoline_kernelINS0_14default_configENS1_27scan_by_key_config_selectorIiiEEZZNS1_16scan_by_key_implILNS1_25lookback_scan_determinismE0ELb1ES3_N6thrust23THRUST_200600_302600_NS6detail15normal_iteratorINS9_10device_ptrIiEEEESE_SE_iNS9_4plusIiEE19head_flag_predicateiEE10hipError_tPvRmT2_T3_T4_T5_mT6_T7_P12ihipStream_tbENKUlT_T0_E_clISt17integral_constantIbLb0EESX_IbLb1EEEEDaST_SU_EUlST_E_NS1_11comp_targetILNS1_3genE4ELNS1_11target_archE910ELNS1_3gpuE8ELNS1_3repE0EEENS1_30default_config_static_selectorELNS0_4arch9wavefront6targetE1EEEvT1_,@function
_ZN7rocprim17ROCPRIM_400000_NS6detail17trampoline_kernelINS0_14default_configENS1_27scan_by_key_config_selectorIiiEEZZNS1_16scan_by_key_implILNS1_25lookback_scan_determinismE0ELb1ES3_N6thrust23THRUST_200600_302600_NS6detail15normal_iteratorINS9_10device_ptrIiEEEESE_SE_iNS9_4plusIiEE19head_flag_predicateiEE10hipError_tPvRmT2_T3_T4_T5_mT6_T7_P12ihipStream_tbENKUlT_T0_E_clISt17integral_constantIbLb0EESX_IbLb1EEEEDaST_SU_EUlST_E_NS1_11comp_targetILNS1_3genE4ELNS1_11target_archE910ELNS1_3gpuE8ELNS1_3repE0EEENS1_30default_config_static_selectorELNS0_4arch9wavefront6targetE1EEEvT1_: ; @_ZN7rocprim17ROCPRIM_400000_NS6detail17trampoline_kernelINS0_14default_configENS1_27scan_by_key_config_selectorIiiEEZZNS1_16scan_by_key_implILNS1_25lookback_scan_determinismE0ELb1ES3_N6thrust23THRUST_200600_302600_NS6detail15normal_iteratorINS9_10device_ptrIiEEEESE_SE_iNS9_4plusIiEE19head_flag_predicateiEE10hipError_tPvRmT2_T3_T4_T5_mT6_T7_P12ihipStream_tbENKUlT_T0_E_clISt17integral_constantIbLb0EESX_IbLb1EEEEDaST_SU_EUlST_E_NS1_11comp_targetILNS1_3genE4ELNS1_11target_archE910ELNS1_3gpuE8ELNS1_3repE0EEENS1_30default_config_static_selectorELNS0_4arch9wavefront6targetE1EEEvT1_
; %bb.0:
	s_load_dword s54, s[4:5], 0x20
	s_load_dwordx4 s[44:47], s[4:5], 0x28
	s_load_dwordx2 s[52:53], s[4:5], 0x38
	v_cmp_eq_u32_e64 s[0:1], 0, v0
	s_and_saveexec_b64 s[2:3], s[0:1]
	s_cbranch_execz .LBB815_4
; %bb.1:
	s_mov_b64 s[8:9], exec
	v_mbcnt_lo_u32_b32 v1, s8, 0
	v_mbcnt_hi_u32_b32 v1, s9, v1
	v_cmp_eq_u32_e32 vcc, 0, v1
                                        ; implicit-def: $vgpr2
	s_and_saveexec_b64 s[6:7], vcc
	s_cbranch_execz .LBB815_3
; %bb.2:
	s_load_dwordx2 s[10:11], s[4:5], 0x68
	s_bcnt1_i32_b64 s8, s[8:9]
	v_mov_b32_e32 v2, 0
	v_mov_b32_e32 v3, s8
	s_waitcnt lgkmcnt(0)
	global_atomic_add v2, v2, v3, s[10:11] glc
.LBB815_3:
	s_or_b64 exec, exec, s[6:7]
	s_waitcnt vmcnt(0)
	v_readfirstlane_b32 s6, v2
	v_add_u32_e32 v1, s6, v1
	v_mov_b32_e32 v2, 0
	ds_write_b32 v2, v1
.LBB815_4:
	s_or_b64 exec, exec, s[2:3]
	s_load_dwordx8 s[36:43], s[4:5], 0x0
	s_load_dword s2, s[4:5], 0x40
	s_load_dwordx4 s[48:51], s[4:5], 0x48
	v_mov_b32_e32 v3, 0
	s_waitcnt lgkmcnt(0)
	s_lshl_b64 s[34:35], s[38:39], 2
	s_barrier
	ds_read_b32 v4, v3
	s_add_u32 s3, s36, s34
	s_addc_u32 s4, s37, s35
	s_add_u32 s5, s40, s34
	s_mul_i32 s7, s53, s2
	s_mul_hi_u32 s8, s52, s2
	s_addc_u32 s6, s41, s35
	s_add_i32 s7, s8, s7
	s_movk_i32 s8, 0xe00
	s_waitcnt lgkmcnt(0)
	v_mul_lo_u32 v2, v4, s8
	v_lshlrev_b64 v[38:39], 2, v[2:3]
	v_mov_b32_e32 v1, s4
	v_add_co_u32_e32 v42, vcc, s3, v38
	v_addc_co_u32_e32 v43, vcc, v1, v39, vcc
	v_mov_b32_e32 v2, s6
	v_add_co_u32_e32 v1, vcc, s5, v38
	s_mul_i32 s2, s52, s2
	v_addc_co_u32_e32 v46, vcc, v2, v39, vcc
	v_mov_b32_e32 v3, s7
	v_add_co_u32_e32 v2, vcc, s2, v4
	s_add_u32 s4, s48, -1
	v_addc_co_u32_e32 v3, vcc, 0, v3, vcc
	s_addc_u32 s5, s49, -1
	v_cmp_le_u64_e64 s[2:3], s[4:5], v[2:3]
	v_readfirstlane_b32 s47, v4
	s_mov_b64 s[12:13], -1
	s_and_b64 vcc, exec, s[2:3]
	s_mul_i32 s33, s4, 0xfffff200
	s_barrier
	s_barrier
	s_cbranch_vccz .LBB815_80
; %bb.5:
	flat_load_dword v13, v[42:43]
	s_add_i32 s40, s33, s46
	v_cmp_gt_u32_e32 vcc, s40, v0
	s_waitcnt vmcnt(0) lgkmcnt(0)
	v_mov_b32_e32 v14, v13
	s_and_saveexec_b64 s[6:7], vcc
	s_cbranch_execz .LBB815_7
; %bb.6:
	v_lshlrev_b32_e32 v2, 2, v0
	v_add_co_u32_e64 v2, s[4:5], v42, v2
	v_addc_co_u32_e64 v3, s[4:5], 0, v43, s[4:5]
	flat_load_dword v14, v[2:3]
.LBB815_7:
	s_or_b64 exec, exec, s[6:7]
	v_or_b32_e32 v2, 0x100, v0
	v_cmp_gt_u32_e64 s[4:5], s40, v2
	v_mov_b32_e32 v15, v13
	s_and_saveexec_b64 s[8:9], s[4:5]
	s_cbranch_execz .LBB815_9
; %bb.8:
	v_lshlrev_b32_e32 v2, 2, v0
	v_add_co_u32_e64 v2, s[6:7], v42, v2
	v_addc_co_u32_e64 v3, s[6:7], 0, v43, s[6:7]
	flat_load_dword v15, v[2:3] offset:1024
.LBB815_9:
	s_or_b64 exec, exec, s[8:9]
	v_or_b32_e32 v2, 0x200, v0
	v_cmp_gt_u32_e64 s[6:7], s40, v2
	v_mov_b32_e32 v16, v13
	s_and_saveexec_b64 s[10:11], s[6:7]
	s_cbranch_execz .LBB815_11
; %bb.10:
	v_lshlrev_b32_e32 v2, 2, v0
	v_add_co_u32_e64 v2, s[8:9], v42, v2
	v_addc_co_u32_e64 v3, s[8:9], 0, v43, s[8:9]
	flat_load_dword v16, v[2:3] offset:2048
.LBB815_11:
	;; [unrolled: 12-line block ×3, first 2 shown]
	s_or_b64 exec, exec, s[12:13]
	v_or_b32_e32 v2, 0x400, v0
	v_cmp_gt_u32_e64 s[10:11], s40, v2
	v_lshlrev_b32_e32 v2, 2, v2
	v_mov_b32_e32 v18, v13
	s_and_saveexec_b64 s[14:15], s[10:11]
	s_cbranch_execz .LBB815_15
; %bb.14:
	v_add_co_u32_e64 v4, s[12:13], v42, v2
	v_addc_co_u32_e64 v5, s[12:13], 0, v43, s[12:13]
	flat_load_dword v18, v[4:5]
.LBB815_15:
	s_or_b64 exec, exec, s[14:15]
	v_or_b32_e32 v3, 0x500, v0
	v_cmp_gt_u32_e64 s[12:13], s40, v3
	v_lshlrev_b32_e32 v3, 2, v3
	v_mov_b32_e32 v19, v13
	s_and_saveexec_b64 s[16:17], s[12:13]
	s_cbranch_execz .LBB815_17
; %bb.16:
	v_add_co_u32_e64 v4, s[14:15], v42, v3
	v_addc_co_u32_e64 v5, s[14:15], 0, v43, s[14:15]
	flat_load_dword v19, v[4:5]
.LBB815_17:
	;; [unrolled: 12-line block ×9, first 2 shown]
	s_or_b64 exec, exec, s[30:31]
	v_or_b32_e32 v11, 0xd00, v0
	v_cmp_gt_u32_e64 s[28:29], s40, v11
	v_lshlrev_b32_e32 v11, 2, v11
	s_and_saveexec_b64 s[36:37], s[28:29]
	s_cbranch_execz .LBB815_33
; %bb.32:
	v_add_co_u32_e64 v12, s[30:31], v42, v11
	v_addc_co_u32_e64 v13, s[30:31], 0, v43, s[30:31]
	flat_load_dword v13, v[12:13]
.LBB815_33:
	s_or_b64 exec, exec, s[36:37]
	v_lshlrev_b32_e32 v12, 2, v0
	s_waitcnt vmcnt(0) lgkmcnt(0)
	ds_write2st64_b32 v12, v14, v15 offset1:4
	ds_write2st64_b32 v12, v16, v17 offset0:8 offset1:12
	ds_write2st64_b32 v12, v18, v19 offset0:16 offset1:20
	;; [unrolled: 1-line block ×6, first 2 shown]
	s_waitcnt lgkmcnt(0)
	s_barrier
	flat_load_dword v47, v[42:43]
	v_mad_u32_u24 v48, v0, 52, v12
	s_movk_i32 s30, 0xffcc
	ds_read2_b64 v[34:37], v48 offset1:1
	ds_read2_b64 v[30:33], v48 offset0:2 offset1:3
	ds_read2_b64 v[26:29], v48 offset0:4 offset1:5
	ds_read_b64 v[44:45], v48 offset:48
	v_mad_i32_i24 v13, v0, s30, v48
	s_movk_i32 s30, 0xff
	v_cmp_ne_u32_e64 s[30:31], s30, v0
	s_waitcnt lgkmcnt(0)
	ds_write_b32 v13, v34 offset:15360
	s_waitcnt lgkmcnt(0)
	s_barrier
	s_and_saveexec_b64 s[36:37], s[30:31]
	s_cbranch_execz .LBB815_35
; %bb.34:
	s_waitcnt vmcnt(0)
	ds_read_b32 v47, v12 offset:15364
.LBB815_35:
	s_or_b64 exec, exec, s[36:37]
	s_waitcnt lgkmcnt(0)
	s_barrier
	s_waitcnt lgkmcnt(0)
                                        ; implicit-def: $vgpr13
	s_and_saveexec_b64 s[30:31], vcc
	s_cbranch_execz .LBB815_117
; %bb.36:
	v_add_co_u32_e32 v14, vcc, v1, v12
	v_addc_co_u32_e32 v15, vcc, 0, v46, vcc
	flat_load_dword v13, v[14:15]
	s_or_b64 exec, exec, s[30:31]
                                        ; implicit-def: $vgpr14
	s_and_saveexec_b64 s[30:31], s[4:5]
	s_cbranch_execnz .LBB815_118
.LBB815_37:
	s_or_b64 exec, exec, s[30:31]
                                        ; implicit-def: $vgpr15
	s_and_saveexec_b64 s[4:5], s[6:7]
	s_cbranch_execz .LBB815_119
.LBB815_38:
	v_add_co_u32_e32 v16, vcc, v1, v12
	v_addc_co_u32_e32 v17, vcc, 0, v46, vcc
	flat_load_dword v15, v[16:17] offset:2048
	s_or_b64 exec, exec, s[4:5]
                                        ; implicit-def: $vgpr16
	s_and_saveexec_b64 s[4:5], s[8:9]
	s_cbranch_execnz .LBB815_120
.LBB815_39:
	s_or_b64 exec, exec, s[4:5]
                                        ; implicit-def: $vgpr17
	s_and_saveexec_b64 s[4:5], s[10:11]
	s_cbranch_execz .LBB815_121
.LBB815_40:
	v_add_co_u32_e32 v18, vcc, v1, v2
	v_addc_co_u32_e32 v19, vcc, 0, v46, vcc
	flat_load_dword v17, v[18:19]
	s_or_b64 exec, exec, s[4:5]
                                        ; implicit-def: $vgpr2
	s_and_saveexec_b64 s[4:5], s[12:13]
	s_cbranch_execnz .LBB815_122
.LBB815_41:
	s_or_b64 exec, exec, s[4:5]
                                        ; implicit-def: $vgpr3
	s_and_saveexec_b64 s[4:5], s[14:15]
	s_cbranch_execz .LBB815_123
.LBB815_42:
	v_add_co_u32_e32 v18, vcc, v1, v4
	v_addc_co_u32_e32 v19, vcc, 0, v46, vcc
	flat_load_dword v3, v[18:19]
	s_or_b64 exec, exec, s[4:5]
                                        ; implicit-def: $vgpr4
	s_and_saveexec_b64 s[4:5], s[16:17]
	s_cbranch_execnz .LBB815_124
.LBB815_43:
	s_or_b64 exec, exec, s[4:5]
                                        ; implicit-def: $vgpr5
	s_and_saveexec_b64 s[4:5], s[18:19]
	s_cbranch_execz .LBB815_125
.LBB815_44:
	v_add_co_u32_e32 v18, vcc, v1, v6
	v_addc_co_u32_e32 v19, vcc, 0, v46, vcc
	flat_load_dword v5, v[18:19]
	s_or_b64 exec, exec, s[4:5]
                                        ; implicit-def: $vgpr6
	s_and_saveexec_b64 s[4:5], s[20:21]
	s_cbranch_execnz .LBB815_126
.LBB815_45:
	s_or_b64 exec, exec, s[4:5]
                                        ; implicit-def: $vgpr7
	s_and_saveexec_b64 s[4:5], s[22:23]
	s_cbranch_execz .LBB815_127
.LBB815_46:
	v_add_co_u32_e32 v18, vcc, v1, v8
	v_addc_co_u32_e32 v19, vcc, 0, v46, vcc
	flat_load_dword v7, v[18:19]
	s_or_b64 exec, exec, s[4:5]
                                        ; implicit-def: $vgpr8
	s_and_saveexec_b64 s[4:5], s[24:25]
	s_cbranch_execnz .LBB815_128
.LBB815_47:
	s_or_b64 exec, exec, s[4:5]
                                        ; implicit-def: $vgpr9
	s_and_saveexec_b64 s[4:5], s[26:27]
	s_cbranch_execz .LBB815_49
.LBB815_48:
	v_add_co_u32_e32 v18, vcc, v1, v10
	v_addc_co_u32_e32 v19, vcc, 0, v46, vcc
	flat_load_dword v9, v[18:19]
.LBB815_49:
	s_or_b64 exec, exec, s[4:5]
	v_mul_u32_u24_e32 v49, 14, v0
                                        ; implicit-def: $vgpr10
	s_and_saveexec_b64 s[4:5], s[28:29]
	s_cbranch_execz .LBB815_51
; %bb.50:
	v_add_co_u32_e32 v10, vcc, v1, v11
	v_addc_co_u32_e32 v11, vcc, 0, v46, vcc
	flat_load_dword v10, v[10:11]
.LBB815_51:
	s_or_b64 exec, exec, s[4:5]
	s_mov_b32 s4, 0
	s_mov_b32 s5, s4
	s_waitcnt vmcnt(0) lgkmcnt(0)
	ds_write2st64_b32 v12, v13, v14 offset1:4
	ds_write2st64_b32 v12, v15, v16 offset0:8 offset1:12
	ds_write2st64_b32 v12, v17, v2 offset0:16 offset1:20
	ds_write2st64_b32 v12, v3, v4 offset0:24 offset1:28
	ds_write2st64_b32 v12, v5, v6 offset0:32 offset1:36
	ds_write2st64_b32 v12, v7, v8 offset0:40 offset1:44
	ds_write2st64_b32 v12, v9, v10 offset0:48 offset1:52
	s_mov_b32 s6, s4
	s_mov_b32 s7, s4
	;; [unrolled: 1-line block ×6, first 2 shown]
	v_pk_mov_b32 v[2:3], s[4:5], s[4:5] op_sel:[0,1]
	v_pk_mov_b32 v[8:9], s[10:11], s[10:11] op_sel:[0,1]
	;; [unrolled: 1-line block ×6, first 2 shown]
	v_cmp_gt_u32_e32 vcc, s40, v49
	s_mov_b64 s[12:13], 0
	v_pk_mov_b32 v[40:41], 0, 0
	s_mov_b64 s[18:19], 0
	v_pk_mov_b32 v[14:15], v[6:7], v[6:7] op_sel:[0,1]
	v_pk_mov_b32 v[12:13], v[4:5], v[4:5] op_sel:[0,1]
	v_pk_mov_b32 v[10:11], v[2:3], v[2:3] op_sel:[0,1]
	v_pk_mov_b32 v[22:23], v[6:7], v[6:7] op_sel:[0,1]
	v_pk_mov_b32 v[20:21], v[4:5], v[4:5] op_sel:[0,1]
	v_pk_mov_b32 v[18:19], v[2:3], v[2:3] op_sel:[0,1]
	s_waitcnt lgkmcnt(0)
	s_barrier
	s_waitcnt lgkmcnt(0)
                                        ; implicit-def: $sgpr16_sgpr17
                                        ; implicit-def: $vgpr34
	s_and_saveexec_b64 s[14:15], vcc
	s_cbranch_execz .LBB815_79
; %bb.52:
	ds_read_b32 v2, v48
	v_mov_b32_e32 v4, s54
	v_cmp_eq_u32_e32 vcc, 0, v35
	v_or_b32_e32 v3, 1, v49
                                        ; implicit-def: $vgpr34
	s_waitcnt lgkmcnt(0)
	v_cndmask_b32_e32 v40, v4, v2, vcc
	v_cmp_ne_u32_e32 vcc, 0, v35
	v_cndmask_b32_e64 v41, 0, 1, vcc
	v_cmp_gt_u32_e32 vcc, s40, v3
	v_pk_mov_b32 v[2:3], s[4:5], s[4:5] op_sel:[0,1]
	v_pk_mov_b32 v[8:9], s[10:11], s[10:11] op_sel:[0,1]
	v_pk_mov_b32 v[4:5], s[6:7], s[6:7] op_sel:[0,1]
	v_pk_mov_b32 v[6:7], s[8:9], s[8:9] op_sel:[0,1]
	v_pk_mov_b32 v[16:17], v[8:9], v[8:9] op_sel:[0,1]
	v_pk_mov_b32 v[24:25], v[8:9], v[8:9] op_sel:[0,1]
	v_pk_mov_b32 v[14:15], v[6:7], v[6:7] op_sel:[0,1]
	v_pk_mov_b32 v[12:13], v[4:5], v[4:5] op_sel:[0,1]
	v_pk_mov_b32 v[10:11], v[2:3], v[2:3] op_sel:[0,1]
	v_pk_mov_b32 v[22:23], v[6:7], v[6:7] op_sel:[0,1]
	v_pk_mov_b32 v[20:21], v[4:5], v[4:5] op_sel:[0,1]
	v_pk_mov_b32 v[18:19], v[2:3], v[2:3] op_sel:[0,1]
                                        ; implicit-def: $sgpr4_sgpr5
	s_and_saveexec_b64 s[16:17], vcc
	s_cbranch_execz .LBB815_78
; %bb.53:
	ds_read2_b32 v[34:35], v48 offset0:1 offset1:2
	s_mov_b32 s4, 0
	v_mov_b32_e32 v3, s54
	v_cmp_eq_u32_e32 vcc, 0, v36
	s_mov_b32 s10, s4
	s_mov_b32 s11, s4
	v_add_u32_e32 v2, 2, v49
	s_waitcnt lgkmcnt(0)
	v_cndmask_b32_e32 v8, v3, v34, vcc
	v_cmp_ne_u32_e32 vcc, 0, v36
	s_mov_b32 s5, s4
	s_mov_b32 s6, s4
	;; [unrolled: 1-line block ×5, first 2 shown]
	v_pk_mov_b32 v[16:17], s[10:11], s[10:11] op_sel:[0,1]
	v_cndmask_b32_e64 v9, 0, 1, vcc
	v_cmp_gt_u32_e32 vcc, s40, v2
	v_mov_b32_e32 v2, 0
	v_pk_mov_b32 v[14:15], s[8:9], s[8:9] op_sel:[0,1]
	v_pk_mov_b32 v[12:13], s[6:7], s[6:7] op_sel:[0,1]
	;; [unrolled: 1-line block ×4, first 2 shown]
	v_mov_b32_e32 v3, v2
	v_mov_b32_e32 v4, v2
	;; [unrolled: 1-line block ×5, first 2 shown]
	s_mov_b64 s[20:21], 0
	v_pk_mov_b32 v[22:23], v[14:15], v[14:15] op_sel:[0,1]
	v_pk_mov_b32 v[20:21], v[12:13], v[12:13] op_sel:[0,1]
	;; [unrolled: 1-line block ×3, first 2 shown]
                                        ; implicit-def: $sgpr24_sgpr25
                                        ; implicit-def: $vgpr34
	s_and_saveexec_b64 s[18:19], vcc
	s_cbranch_execz .LBB815_77
; %bb.54:
	v_mov_b32_e32 v4, s54
	v_cmp_eq_u32_e32 vcc, 0, v37
	v_pk_mov_b32 v[16:17], s[10:11], s[10:11] op_sel:[0,1]
	v_add_u32_e32 v3, 3, v49
	v_cndmask_b32_e32 v6, v4, v35, vcc
	v_cmp_ne_u32_e32 vcc, 0, v37
	v_pk_mov_b32 v[14:15], s[8:9], s[8:9] op_sel:[0,1]
	v_pk_mov_b32 v[12:13], s[6:7], s[6:7] op_sel:[0,1]
	;; [unrolled: 1-line block ×4, first 2 shown]
	v_cndmask_b32_e64 v7, 0, 1, vcc
	v_cmp_gt_u32_e32 vcc, s40, v3
	v_mov_b32_e32 v3, v2
	v_mov_b32_e32 v4, v2
	;; [unrolled: 1-line block ×3, first 2 shown]
	s_mov_b64 s[22:23], 0
	v_pk_mov_b32 v[22:23], v[14:15], v[14:15] op_sel:[0,1]
	v_pk_mov_b32 v[20:21], v[12:13], v[12:13] op_sel:[0,1]
	;; [unrolled: 1-line block ×3, first 2 shown]
                                        ; implicit-def: $sgpr4_sgpr5
                                        ; implicit-def: $vgpr34
	s_and_saveexec_b64 s[20:21], vcc
	s_cbranch_execz .LBB815_76
; %bb.55:
	ds_read2_b32 v[34:35], v48 offset0:3 offset1:4
	s_mov_b32 s4, 0
	s_mov_b32 s10, s4
	;; [unrolled: 1-line block ×3, first 2 shown]
	v_mov_b32_e32 v3, s54
	v_cmp_eq_u32_e32 vcc, 0, v30
	s_mov_b32 s5, s4
	s_mov_b32 s6, s4
	s_mov_b32 s7, s4
	s_mov_b32 s8, s4
	s_mov_b32 s9, s4
	v_pk_mov_b32 v[16:17], s[10:11], s[10:11] op_sel:[0,1]
	v_add_u32_e32 v2, 4, v49
	s_waitcnt lgkmcnt(0)
	v_cndmask_b32_e32 v4, v3, v34, vcc
	v_cmp_ne_u32_e32 vcc, 0, v30
	v_pk_mov_b32 v[14:15], s[8:9], s[8:9] op_sel:[0,1]
	v_pk_mov_b32 v[12:13], s[6:7], s[6:7] op_sel:[0,1]
	;; [unrolled: 1-line block ×4, first 2 shown]
	v_cndmask_b32_e64 v5, 0, 1, vcc
	v_cmp_gt_u32_e32 vcc, s40, v2
	v_mov_b32_e32 v2, s4
	v_mov_b32_e32 v3, s4
	s_mov_b64 s[24:25], 0
	v_pk_mov_b32 v[22:23], v[14:15], v[14:15] op_sel:[0,1]
	v_pk_mov_b32 v[20:21], v[12:13], v[12:13] op_sel:[0,1]
	;; [unrolled: 1-line block ×3, first 2 shown]
                                        ; implicit-def: $sgpr26_sgpr27
                                        ; implicit-def: $vgpr34
	s_and_saveexec_b64 s[22:23], vcc
	s_cbranch_execz .LBB815_75
; %bb.56:
	v_mov_b32_e32 v2, s54
	v_cmp_eq_u32_e32 vcc, 0, v31
	v_add_u32_e32 v10, 5, v49
	v_cndmask_b32_e32 v2, v2, v35, vcc
	v_cmp_ne_u32_e32 vcc, 0, v31
	v_cndmask_b32_e64 v3, 0, 1, vcc
	v_cmp_gt_u32_e32 vcc, s40, v10
	v_pk_mov_b32 v[16:17], s[10:11], s[10:11] op_sel:[0,1]
	v_pk_mov_b32 v[14:15], s[8:9], s[8:9] op_sel:[0,1]
	;; [unrolled: 1-line block ×5, first 2 shown]
	s_mov_b64 s[28:29], 0
	v_pk_mov_b32 v[22:23], v[14:15], v[14:15] op_sel:[0,1]
	v_pk_mov_b32 v[20:21], v[12:13], v[12:13] op_sel:[0,1]
	;; [unrolled: 1-line block ×3, first 2 shown]
                                        ; implicit-def: $sgpr4_sgpr5
                                        ; implicit-def: $vgpr34
	s_and_saveexec_b64 s[24:25], vcc
	s_cbranch_execz .LBB815_74
; %bb.57:
	ds_read2_b32 v[30:31], v48 offset0:5 offset1:6
	s_mov_b32 s4, 0
	v_mov_b32_e32 v11, s54
	v_cmp_eq_u32_e32 vcc, 0, v32
	v_add_u32_e32 v10, 6, v49
	s_waitcnt lgkmcnt(0)
	v_cndmask_b32_e32 v16, v11, v30, vcc
	v_cmp_ne_u32_e32 vcc, 0, v32
	s_mov_b32 s10, s4
	s_mov_b32 s11, s4
	v_cndmask_b32_e64 v17, 0, 1, vcc
	v_cmp_gt_u32_e32 vcc, s40, v10
	v_mov_b32_e32 v10, 0
	s_mov_b32 s5, s4
	s_mov_b32 s6, s4
	;; [unrolled: 1-line block ×5, first 2 shown]
	v_pk_mov_b32 v[24:25], s[10:11], s[10:11] op_sel:[0,1]
	v_mov_b32_e32 v11, v10
	v_mov_b32_e32 v12, v10
	;; [unrolled: 1-line block ×5, first 2 shown]
	v_pk_mov_b32 v[22:23], s[8:9], s[8:9] op_sel:[0,1]
	v_pk_mov_b32 v[20:21], s[6:7], s[6:7] op_sel:[0,1]
	;; [unrolled: 1-line block ×3, first 2 shown]
                                        ; implicit-def: $sgpr36_sgpr37
                                        ; implicit-def: $vgpr34
	s_and_saveexec_b64 s[26:27], vcc
	s_cbranch_execz .LBB815_73
; %bb.58:
	v_mov_b32_e32 v12, s54
	v_cmp_eq_u32_e32 vcc, 0, v33
	v_add_u32_e32 v11, 7, v49
	v_cndmask_b32_e32 v14, v12, v31, vcc
	v_cmp_ne_u32_e32 vcc, 0, v33
	v_pk_mov_b32 v[24:25], s[10:11], s[10:11] op_sel:[0,1]
	v_cndmask_b32_e64 v15, 0, 1, vcc
	v_cmp_gt_u32_e32 vcc, s40, v11
	v_mov_b32_e32 v11, v10
	v_mov_b32_e32 v12, v10
	;; [unrolled: 1-line block ×3, first 2 shown]
	s_mov_b64 s[30:31], 0
	v_pk_mov_b32 v[22:23], s[8:9], s[8:9] op_sel:[0,1]
	v_pk_mov_b32 v[20:21], s[6:7], s[6:7] op_sel:[0,1]
	;; [unrolled: 1-line block ×3, first 2 shown]
                                        ; implicit-def: $sgpr4_sgpr5
                                        ; implicit-def: $vgpr34
	s_and_saveexec_b64 s[28:29], vcc
	s_cbranch_execz .LBB815_72
; %bb.59:
	ds_read2_b32 v[30:31], v48 offset0:7 offset1:8
	s_mov_b32 s4, 0
	v_mov_b32_e32 v11, s54
	v_cmp_eq_u32_e32 vcc, 0, v26
	s_mov_b32 s10, s4
	s_mov_b32 s11, s4
	v_add_u32_e32 v10, 8, v49
	s_waitcnt lgkmcnt(0)
	v_cndmask_b32_e32 v12, v11, v30, vcc
	v_cmp_ne_u32_e32 vcc, 0, v26
	s_mov_b32 s5, s4
	s_mov_b32 s6, s4
	;; [unrolled: 1-line block ×5, first 2 shown]
	v_pk_mov_b32 v[24:25], s[10:11], s[10:11] op_sel:[0,1]
	v_cndmask_b32_e64 v13, 0, 1, vcc
	v_cmp_gt_u32_e32 vcc, s40, v10
	v_mov_b32_e32 v10, s4
	v_mov_b32_e32 v11, s4
	s_mov_b64 s[36:37], 0
	v_pk_mov_b32 v[22:23], s[8:9], s[8:9] op_sel:[0,1]
	v_pk_mov_b32 v[20:21], s[6:7], s[6:7] op_sel:[0,1]
	;; [unrolled: 1-line block ×3, first 2 shown]
                                        ; implicit-def: $sgpr38_sgpr39
                                        ; implicit-def: $vgpr34
	s_and_saveexec_b64 s[30:31], vcc
	s_cbranch_execz .LBB815_71
; %bb.60:
	v_mov_b32_e32 v10, s54
	v_cmp_eq_u32_e32 vcc, 0, v27
	v_add_u32_e32 v18, 9, v49
	v_cndmask_b32_e32 v10, v10, v31, vcc
	v_cmp_ne_u32_e32 vcc, 0, v27
	v_cndmask_b32_e64 v11, 0, 1, vcc
	v_cmp_gt_u32_e32 vcc, s40, v18
	v_pk_mov_b32 v[24:25], s[10:11], s[10:11] op_sel:[0,1]
	v_pk_mov_b32 v[22:23], s[8:9], s[8:9] op_sel:[0,1]
	;; [unrolled: 1-line block ×4, first 2 shown]
                                        ; implicit-def: $sgpr6_sgpr7
                                        ; implicit-def: $vgpr34
	s_and_saveexec_b64 s[4:5], vcc
	s_cbranch_execz .LBB815_70
; %bb.61:
	ds_read2_b32 v[26:27], v48 offset0:9 offset1:10
	v_mov_b32_e32 v18, s54
	v_cmp_eq_u32_e32 vcc, 0, v28
	v_add_u32_e32 v20, 10, v49
	v_mov_b32_e32 v22, 0
	s_waitcnt lgkmcnt(0)
	v_cndmask_b32_e32 v18, v18, v26, vcc
	v_cmp_ne_u32_e32 vcc, 0, v28
	v_cndmask_b32_e64 v19, 0, 1, vcc
	v_cmp_gt_u32_e32 vcc, s40, v20
	v_mov_b32_e32 v20, v22
	v_mov_b32_e32 v21, v22
	;; [unrolled: 1-line block ×5, first 2 shown]
	s_mov_b64 s[8:9], 0
                                        ; implicit-def: $sgpr36_sgpr37
                                        ; implicit-def: $vgpr34
	s_and_saveexec_b64 s[6:7], vcc
	s_cbranch_execz .LBB815_69
; %bb.62:
	v_mov_b32_e32 v20, s54
	v_cmp_eq_u32_e32 vcc, 0, v29
	v_add_u32_e32 v23, 11, v49
	v_cndmask_b32_e32 v20, v20, v27, vcc
	v_cmp_ne_u32_e32 vcc, 0, v29
	v_cndmask_b32_e64 v21, 0, 1, vcc
	v_cmp_gt_u32_e32 vcc, s40, v23
	v_mov_b32_e32 v23, v22
	v_mov_b32_e32 v24, v22
	;; [unrolled: 1-line block ×3, first 2 shown]
	s_mov_b64 s[10:11], 0
                                        ; implicit-def: $sgpr38_sgpr39
                                        ; implicit-def: $vgpr34
	s_and_saveexec_b64 s[8:9], vcc
	s_cbranch_execz .LBB815_68
; %bb.63:
	ds_read2_b32 v[26:27], v48 offset0:11 offset1:12
	v_mov_b32_e32 v22, s54
	v_cmp_eq_u32_e32 vcc, 0, v44
	v_add_u32_e32 v24, 12, v49
	s_mov_b32 s10, 0
	s_waitcnt lgkmcnt(0)
	v_cndmask_b32_e32 v22, v22, v26, vcc
	v_cmp_ne_u32_e32 vcc, 0, v44
	v_cndmask_b32_e64 v23, 0, 1, vcc
	v_cmp_gt_u32_e32 vcc, s40, v24
	v_mov_b32_e32 v24, s10
	v_mov_b32_e32 v25, s10
	s_mov_b64 s[36:37], 0
                                        ; implicit-def: $sgpr38_sgpr39
                                        ; implicit-def: $vgpr34
	s_and_saveexec_b64 s[10:11], vcc
	s_cbranch_execz .LBB815_67
; %bb.64:
	v_mov_b32_e32 v24, s54
	v_cmp_eq_u32_e32 vcc, 0, v45
	v_add_u32_e32 v26, 13, v49
	v_cndmask_b32_e32 v24, v24, v27, vcc
	v_cmp_ne_u32_e32 vcc, 0, v45
	v_cndmask_b32_e64 v25, 0, 1, vcc
	v_cmp_gt_u32_e32 vcc, s40, v26
                                        ; implicit-def: $sgpr38_sgpr39
                                        ; implicit-def: $vgpr34
	s_and_saveexec_b64 s[40:41], vcc
	s_xor_b64 s[40:41], exec, s[40:41]
	s_cbranch_execz .LBB815_66
; %bb.65:
	ds_read_b32 v26, v48 offset:52
	v_mov_b32_e32 v27, s54
	v_cmp_ne_u32_e32 vcc, 0, v47
	s_mov_b64 s[36:37], exec
	s_and_b64 s[38:39], vcc, exec
	s_waitcnt lgkmcnt(0)
	v_cndmask_b32_e32 v34, v26, v27, vcc
.LBB815_66:
	s_or_b64 exec, exec, s[40:41]
	s_and_b64 s[38:39], s[38:39], exec
	s_and_b64 s[36:37], s[36:37], exec
.LBB815_67:
	s_or_b64 exec, exec, s[10:11]
	s_and_b64 s[38:39], s[38:39], exec
	s_and_b64 s[10:11], s[36:37], exec
.LBB815_68:
	s_or_b64 exec, exec, s[8:9]
	s_and_b64 s[36:37], s[38:39], exec
	s_and_b64 s[8:9], s[10:11], exec
.LBB815_69:
	s_or_b64 exec, exec, s[6:7]
	s_and_b64 s[6:7], s[36:37], exec
	s_and_b64 s[36:37], s[8:9], exec
.LBB815_70:
	s_or_b64 exec, exec, s[4:5]
	s_and_b64 s[38:39], s[6:7], exec
	s_and_b64 s[36:37], s[36:37], exec
.LBB815_71:
	s_or_b64 exec, exec, s[30:31]
	s_and_b64 s[4:5], s[38:39], exec
	s_and_b64 s[30:31], s[36:37], exec
.LBB815_72:
	s_or_b64 exec, exec, s[28:29]
	s_and_b64 s[36:37], s[4:5], exec
	s_and_b64 s[28:29], s[30:31], exec
.LBB815_73:
	s_or_b64 exec, exec, s[26:27]
	s_and_b64 s[4:5], s[36:37], exec
	s_and_b64 s[28:29], s[28:29], exec
.LBB815_74:
	s_or_b64 exec, exec, s[24:25]
	s_and_b64 s[26:27], s[4:5], exec
	s_and_b64 s[24:25], s[28:29], exec
.LBB815_75:
	s_or_b64 exec, exec, s[22:23]
	s_and_b64 s[4:5], s[26:27], exec
	s_and_b64 s[22:23], s[24:25], exec
.LBB815_76:
	s_or_b64 exec, exec, s[20:21]
	s_and_b64 s[24:25], s[4:5], exec
	s_and_b64 s[20:21], s[22:23], exec
.LBB815_77:
	s_or_b64 exec, exec, s[18:19]
	s_and_b64 s[4:5], s[24:25], exec
	s_and_b64 s[18:19], s[20:21], exec
.LBB815_78:
	s_or_b64 exec, exec, s[16:17]
	s_and_b64 s[16:17], s[4:5], exec
	s_and_b64 s[18:19], s[18:19], exec
.LBB815_79:
	s_or_b64 exec, exec, s[14:15]
	s_and_b64 vcc, exec, s[12:13]
	v_lshlrev_b32_e32 v52, 2, v0
	s_cbranch_vccnz .LBB815_81
	s_branch .LBB815_86
.LBB815_80:
	s_mov_b64 s[18:19], 0
                                        ; implicit-def: $sgpr16_sgpr17
                                        ; implicit-def: $vgpr2_vgpr3_vgpr4_vgpr5_vgpr6_vgpr7_vgpr8_vgpr9
                                        ; implicit-def: $vgpr10_vgpr11_vgpr12_vgpr13_vgpr14_vgpr15_vgpr16_vgpr17
                                        ; implicit-def: $vgpr18_vgpr19_vgpr20_vgpr21_vgpr22_vgpr23_vgpr24_vgpr25
                                        ; implicit-def: $vgpr34
                                        ; implicit-def: $vgpr40_vgpr41
	s_and_b64 vcc, exec, s[12:13]
	v_lshlrev_b32_e32 v52, 2, v0
	s_cbranch_vccz .LBB815_86
.LBB815_81:
	v_add_co_u32_e32 v2, vcc, v42, v52
	v_addc_co_u32_e32 v3, vcc, 0, v43, vcc
	v_add_co_u32_e32 v4, vcc, 0x1000, v2
	v_addc_co_u32_e32 v5, vcc, 0, v3, vcc
	flat_load_dword v6, v[2:3]
	flat_load_dword v7, v[2:3] offset:1024
	flat_load_dword v8, v[2:3] offset:2048
	;; [unrolled: 1-line block ×3, first 2 shown]
	flat_load_dword v10, v[4:5]
	flat_load_dword v11, v[4:5] offset:1024
	flat_load_dword v12, v[4:5] offset:2048
	;; [unrolled: 1-line block ×3, first 2 shown]
	v_add_co_u32_e32 v4, vcc, 0x2000, v2
	v_addc_co_u32_e32 v5, vcc, 0, v3, vcc
	v_add_co_u32_e32 v2, vcc, 0x3000, v2
	v_addc_co_u32_e32 v3, vcc, 0, v3, vcc
	flat_load_dword v14, v[4:5]
	flat_load_dword v15, v[4:5] offset:1024
	flat_load_dword v16, v[4:5] offset:2048
	flat_load_dword v17, v[4:5] offset:3072
	flat_load_dword v18, v[2:3]
	flat_load_dword v19, v[2:3] offset:1024
	v_add_co_u32_e32 v2, vcc, 0x3000, v42
	v_addc_co_u32_e32 v3, vcc, 0, v43, vcc
	s_movk_i32 s6, 0xffcc
	s_movk_i32 s9, 0x1000
	s_mov_b32 s4, 0
	s_movk_i32 s8, 0x2000
	s_movk_i32 s5, 0x3000
	s_waitcnt vmcnt(0) lgkmcnt(0)
	ds_write2st64_b32 v52, v6, v7 offset1:4
	ds_write2st64_b32 v52, v8, v9 offset0:8 offset1:12
	ds_write2st64_b32 v52, v10, v11 offset0:16 offset1:20
	;; [unrolled: 1-line block ×6, first 2 shown]
	s_waitcnt lgkmcnt(0)
	s_barrier
	flat_load_dword v32, v[2:3] offset:2048
	v_mad_u32_u24 v8, v0, 52, v52
	ds_read_b64 v[2:3], v8
	ds_read2_b64 v[10:13], v8 offset0:1 offset1:2
	ds_read2_b64 v[18:21], v8 offset0:3 offset1:4
	;; [unrolled: 1-line block ×3, first 2 shown]
	v_mad_i32_i24 v4, v0, s6, v8
	s_movk_i32 s6, 0xff
	v_cmp_ne_u32_e32 vcc, s6, v0
	s_waitcnt lgkmcnt(0)
	ds_write_b32 v4, v2 offset:15360
	s_waitcnt lgkmcnt(0)
	s_barrier
	s_and_saveexec_b64 s[6:7], vcc
	s_cbranch_execz .LBB815_83
; %bb.82:
	s_waitcnt vmcnt(0)
	ds_read_b32 v32, v52 offset:15364
.LBB815_83:
	s_or_b64 exec, exec, s[6:7]
	v_add_co_u32_e32 v4, vcc, v1, v52
	v_addc_co_u32_e32 v5, vcc, 0, v46, vcc
	v_add_co_u32_e32 v6, vcc, s9, v4
	v_addc_co_u32_e32 v7, vcc, 0, v5, vcc
	s_waitcnt lgkmcnt(0)
	s_barrier
	flat_load_dword v1, v[4:5]
	flat_load_dword v2, v[4:5] offset:1024
	flat_load_dword v9, v[4:5] offset:2048
	;; [unrolled: 1-line block ×3, first 2 shown]
	flat_load_dword v15, v[6:7]
	flat_load_dword v16, v[6:7] offset:1024
	flat_load_dword v17, v[6:7] offset:2048
	;; [unrolled: 1-line block ×3, first 2 shown]
	v_add_co_u32_e32 v6, vcc, s8, v4
	v_addc_co_u32_e32 v7, vcc, 0, v5, vcc
	v_add_co_u32_e32 v4, vcc, s5, v4
	v_addc_co_u32_e32 v5, vcc, 0, v5, vcc
	flat_load_dword v23, v[6:7]
	flat_load_dword v24, v[6:7] offset:1024
	flat_load_dword v25, v[6:7] offset:2048
	;; [unrolled: 1-line block ×3, first 2 shown]
	flat_load_dword v31, v[4:5]
	flat_load_dword v33, v[4:5] offset:1024
	s_mov_b32 s5, 1
	v_cmp_eq_u32_e32 vcc, 0, v3
	v_pk_mov_b32 v[40:41], s[4:5], s[4:5] op_sel:[0,1]
	s_waitcnt vmcnt(0) lgkmcnt(0)
	ds_write2st64_b32 v52, v1, v2 offset1:4
	ds_write2st64_b32 v52, v9, v14 offset0:8 offset1:12
	ds_write2st64_b32 v52, v15, v16 offset0:16 offset1:20
	;; [unrolled: 1-line block ×6, first 2 shown]
	s_waitcnt lgkmcnt(0)
	s_barrier
	ds_read2_b32 v[24:25], v8 offset0:7 offset1:8
	ds_read2_b32 v[14:15], v8 offset0:5 offset1:6
	;; [unrolled: 1-line block ×4, first 2 shown]
	ds_read_b32 v1, v8 offset:52
	ds_read2_b32 v[22:23], v8 offset0:11 offset1:12
	ds_read2_b32 v[30:31], v8 offset0:9 offset1:10
	v_mov_b32_e32 v2, s54
	s_and_saveexec_b64 s[4:5], vcc
	s_cbranch_execz .LBB815_85
; %bb.84:
	ds_read_b32 v2, v8
	v_pk_mov_b32 v[40:41], 0, 0
.LBB815_85:
	s_or_b64 exec, exec, s[4:5]
	v_mov_b32_e32 v33, s54
	v_cmp_eq_u32_e32 vcc, 0, v10
	s_waitcnt lgkmcnt(3)
	v_cndmask_b32_e32 v8, v33, v6, vcc
	v_cmp_eq_u32_e32 vcc, 0, v11
	v_cndmask_b32_e32 v6, v33, v7, vcc
	v_cmp_eq_u32_e32 vcc, 0, v12
	;; [unrolled: 2-line block ×3, first 2 shown]
	s_waitcnt lgkmcnt(0)
	v_or_b32_e32 v40, v40, v2
	v_cndmask_b32_e32 v2, v33, v5, vcc
	v_cmp_ne_u32_e32 vcc, 0, v10
	v_cndmask_b32_e64 v9, 0, 1, vcc
	v_cmp_ne_u32_e32 vcc, 0, v11
	v_cndmask_b32_e64 v7, 0, 1, vcc
	;; [unrolled: 2-line block ×4, first 2 shown]
	v_cmp_eq_u32_e32 vcc, 0, v18
	v_cndmask_b32_e32 v16, v33, v14, vcc
	v_cmp_eq_u32_e32 vcc, 0, v19
	v_cndmask_b32_e32 v14, v33, v15, vcc
	;; [unrolled: 2-line block ×4, first 2 shown]
	v_cmp_ne_u32_e32 vcc, 0, v18
	v_cndmask_b32_e64 v17, 0, 1, vcc
	v_cmp_ne_u32_e32 vcc, 0, v19
	v_cndmask_b32_e64 v15, 0, 1, vcc
	;; [unrolled: 2-line block ×4, first 2 shown]
	v_cmp_eq_u32_e32 vcc, 0, v29
	v_cndmask_b32_e32 v24, v33, v23, vcc
	v_cmp_eq_u32_e32 vcc, 0, v28
	v_cndmask_b32_e32 v22, v33, v22, vcc
	;; [unrolled: 2-line block ×4, first 2 shown]
	v_cmp_ne_u32_e32 vcc, 0, v29
	v_cndmask_b32_e64 v25, 0, 1, vcc
	v_cmp_ne_u32_e32 vcc, 0, v28
	v_cndmask_b32_e64 v23, 0, 1, vcc
	;; [unrolled: 2-line block ×3, first 2 shown]
	v_cmp_ne_u32_e32 vcc, 0, v26
	v_cmp_ne_u32_e64 s[16:17], 0, v32
	v_cndmask_b32_e64 v19, 0, 1, vcc
	v_cndmask_b32_e64 v34, v1, v33, s[16:17]
	s_mov_b64 s[18:19], -1
                                        ; implicit-def: $sgpr12_sgpr13
.LBB815_86:
	v_pk_mov_b32 v[42:43], s[12:13], s[12:13] op_sel:[0,1]
	s_and_saveexec_b64 s[4:5], s[18:19]
; %bb.87:
	v_cndmask_b32_e64 v35, 0, 1, s[16:17]
	v_pk_mov_b32 v[42:43], v[34:35], v[34:35] op_sel:[0,1]
; %bb.88:
	s_or_b64 exec, exec, s[4:5]
	s_mov_b32 s28, 0
	s_cmp_lg_u32 s47, 0
	v_mbcnt_lo_u32_b32 v54, -1, 0
	v_lshrrev_b32_e32 v1, 6, v0
	v_or_b32_e32 v53, 63, v0
	s_barrier
	s_cbranch_scc0 .LBB815_129
; %bb.89:
	s_mov_b32 s29, 1
	v_cmp_gt_u64_e64 s[4:5], s[28:29], v[8:9]
	v_cndmask_b32_e64 v27, 0, v40, s[4:5]
	v_add_u32_e32 v27, v27, v8
	v_cmp_gt_u64_e64 s[6:7], s[28:29], v[6:7]
	v_cndmask_b32_e64 v27, 0, v27, s[6:7]
	v_add_u32_e32 v27, v27, v6
	;; [unrolled: 3-line block ×12, first 2 shown]
	v_cmp_gt_u64_e32 vcc, s[28:29], v[42:43]
	v_cndmask_b32_e32 v27, 0, v27, vcc
	v_add_u32_e32 v28, v27, v42
	v_or3_b32 v27, v43, v25, v23
	v_or3_b32 v27, v27, v21, v19
	;; [unrolled: 1-line block ×6, first 2 shown]
	v_mov_b32_e32 v26, 0
	v_and_b32_e32 v27, 1, v27
	v_cmp_eq_u64_e32 vcc, 0, v[26:27]
	v_cndmask_b32_e32 v27, 1, v41, vcc
	v_and_b32_e32 v29, 0xff, v27
	v_mov_b32_dpp v31, v28 row_shr:1 row_mask:0xf bank_mask:0xf
	v_cmp_eq_u16_e32 vcc, 0, v29
	v_mov_b32_dpp v32, v29 row_shr:1 row_mask:0xf bank_mask:0xf
	v_and_b32_e32 v33, 1, v27
	v_mbcnt_hi_u32_b32 v48, -1, v54
	v_cndmask_b32_e32 v31, 0, v31, vcc
	v_and_b32_e32 v32, 1, v32
	v_cmp_eq_u32_e32 vcc, 1, v33
	v_and_b32_e32 v30, 15, v48
	v_cndmask_b32_e64 v32, v32, 1, vcc
	v_and_b32_e32 v33, 0xffff, v32
	v_cmp_eq_u32_e32 vcc, 0, v30
	v_cndmask_b32_e32 v27, v32, v27, vcc
	v_cndmask_b32_e32 v29, v33, v29, vcc
	v_and_b32_e32 v33, 1, v27
	v_cndmask_b32_e64 v31, v31, 0, vcc
	v_mov_b32_dpp v32, v29 row_shr:2 row_mask:0xf bank_mask:0xf
	v_and_b32_e32 v32, 1, v32
	v_cmp_eq_u32_e32 vcc, 1, v33
	v_cndmask_b32_e64 v32, v32, 1, vcc
	v_and_b32_e32 v33, 0xffff, v32
	v_cmp_lt_u32_e32 vcc, 1, v30
	v_add_u32_e32 v28, v31, v28
	v_cmp_eq_u16_sdwa s[28:29], v27, v26 src0_sel:BYTE_0 src1_sel:DWORD
	v_cndmask_b32_e32 v27, v27, v32, vcc
	v_cndmask_b32_e32 v29, v29, v33, vcc
	v_mov_b32_dpp v31, v28 row_shr:2 row_mask:0xf bank_mask:0xf
	s_and_b64 vcc, vcc, s[28:29]
	v_mov_b32_dpp v32, v29 row_shr:4 row_mask:0xf bank_mask:0xf
	v_and_b32_e32 v33, 1, v27
	v_cndmask_b32_e32 v31, 0, v31, vcc
	v_and_b32_e32 v32, 1, v32
	v_cmp_eq_u32_e32 vcc, 1, v33
	v_cndmask_b32_e64 v32, v32, 1, vcc
	v_and_b32_e32 v33, 0xffff, v32
	v_cmp_lt_u32_e32 vcc, 3, v30
	v_add_u32_e32 v28, v31, v28
	v_cmp_eq_u16_sdwa s[28:29], v27, v26 src0_sel:BYTE_0 src1_sel:DWORD
	v_cndmask_b32_e32 v27, v27, v32, vcc
	v_cndmask_b32_e32 v29, v29, v33, vcc
	v_mov_b32_dpp v31, v28 row_shr:4 row_mask:0xf bank_mask:0xf
	s_and_b64 vcc, vcc, s[28:29]
	v_mov_b32_dpp v32, v29 row_shr:8 row_mask:0xf bank_mask:0xf
	v_and_b32_e32 v33, 1, v27
	v_cndmask_b32_e32 v31, 0, v31, vcc
	v_and_b32_e32 v32, 1, v32
	v_cmp_eq_u32_e32 vcc, 1, v33
	v_cndmask_b32_e64 v32, v32, 1, vcc
	v_add_u32_e32 v28, v31, v28
	v_cmp_eq_u16_sdwa s[28:29], v27, v26 src0_sel:BYTE_0 src1_sel:DWORD
	v_and_b32_e32 v33, 0xffff, v32
	v_cmp_lt_u32_e32 vcc, 7, v30
	v_mov_b32_dpp v31, v28 row_shr:8 row_mask:0xf bank_mask:0xf
	v_cndmask_b32_e32 v27, v27, v32, vcc
	v_cndmask_b32_e32 v29, v29, v33, vcc
	s_and_b64 vcc, vcc, s[28:29]
	v_cndmask_b32_e32 v30, 0, v31, vcc
	v_add_u32_e32 v28, v30, v28
	v_mov_b32_dpp v31, v29 row_bcast:15 row_mask:0xf bank_mask:0xf
	v_cmp_eq_u16_sdwa vcc, v27, v26 src0_sel:BYTE_0 src1_sel:DWORD
	v_mov_b32_dpp v30, v28 row_bcast:15 row_mask:0xf bank_mask:0xf
	v_and_b32_e32 v34, 1, v27
	v_cndmask_b32_e32 v30, 0, v30, vcc
	v_and_b32_e32 v31, 1, v31
	v_cmp_eq_u32_e32 vcc, 1, v34
	v_and_b32_e32 v33, 16, v48
	v_cndmask_b32_e64 v31, v31, 1, vcc
	v_and_b32_e32 v34, 0xffff, v31
	v_cmp_eq_u32_e32 vcc, 0, v33
	v_cndmask_b32_e32 v27, v31, v27, vcc
	v_cndmask_b32_e32 v29, v34, v29, vcc
	v_bfe_i32 v32, v48, 4, 1
	v_cmp_eq_u16_sdwa s[28:29], v27, v26 src0_sel:BYTE_0 src1_sel:DWORD
	v_mov_b32_dpp v29, v29 row_bcast:31 row_mask:0xf bank_mask:0xf
	v_and_b32_e32 v26, 1, v27
	v_and_b32_e32 v30, v32, v30
	;; [unrolled: 1-line block ×3, first 2 shown]
	v_cmp_eq_u32_e32 vcc, 1, v26
	v_add_u32_e32 v28, v30, v28
	v_cndmask_b32_e64 v26, v29, 1, vcc
	v_cmp_lt_u32_e32 vcc, 31, v48
	v_mov_b32_dpp v30, v28 row_bcast:31 row_mask:0xf bank_mask:0xf
	v_cndmask_b32_e32 v29, v27, v26, vcc
	s_and_b64 vcc, vcc, s[28:29]
	v_cndmask_b32_e32 v26, 0, v30, vcc
	v_add_u32_e32 v28, v26, v28
	v_cmp_eq_u32_e32 vcc, v53, v0
	s_and_saveexec_b64 s[28:29], vcc
	s_cbranch_execz .LBB815_91
; %bb.90:
	v_lshlrev_b32_e32 v26, 3, v1
	ds_write_b32 v26, v28
	ds_write_b8 v26, v29 offset:4
.LBB815_91:
	s_or_b64 exec, exec, s[28:29]
	v_cmp_gt_u32_e32 vcc, 4, v0
	s_waitcnt lgkmcnt(0)
	s_barrier
	s_and_saveexec_b64 s[28:29], vcc
	s_cbranch_execz .LBB815_95
; %bb.92:
	v_lshlrev_b32_e32 v30, 3, v0
	ds_read_b64 v[26:27], v30
	v_and_b32_e32 v31, 3, v48
	v_cmp_ne_u32_e32 vcc, 0, v31
	s_waitcnt lgkmcnt(0)
	v_mov_b32_dpp v32, v26 row_shr:1 row_mask:0xf bank_mask:0xf
	v_mov_b32_dpp v34, v27 row_shr:1 row_mask:0xf bank_mask:0xf
	v_mov_b32_e32 v33, v27
	s_and_saveexec_b64 s[30:31], vcc
	s_cbranch_execz .LBB815_94
; %bb.93:
	v_and_b32_e32 v33, 1, v27
	v_and_b32_e32 v34, 1, v34
	v_cmp_eq_u32_e32 vcc, 1, v33
	v_mov_b32_e32 v33, 0
	v_cndmask_b32_e64 v34, v34, 1, vcc
	v_cmp_eq_u16_sdwa vcc, v27, v33 src0_sel:BYTE_0 src1_sel:DWORD
	v_cndmask_b32_e32 v32, 0, v32, vcc
	v_add_u32_e32 v26, v32, v26
	v_and_b32_e32 v32, 0xffff, v34
	s_movk_i32 s36, 0xff00
	v_and_or_b32 v33, v27, s36, v32
	v_mov_b32_e32 v27, v34
.LBB815_94:
	s_or_b64 exec, exec, s[30:31]
	v_mov_b32_dpp v33, v33 row_shr:2 row_mask:0xf bank_mask:0xf
	v_and_b32_e32 v34, 1, v27
	v_and_b32_e32 v33, 1, v33
	v_cmp_eq_u32_e32 vcc, 1, v34
	v_mov_b32_e32 v34, 0
	v_cndmask_b32_e64 v33, v33, 1, vcc
	v_cmp_eq_u16_sdwa s[30:31], v27, v34 src0_sel:BYTE_0 src1_sel:DWORD
	v_cmp_lt_u32_e32 vcc, 1, v31
	v_mov_b32_dpp v32, v26 row_shr:2 row_mask:0xf bank_mask:0xf
	v_cndmask_b32_e32 v27, v27, v33, vcc
	s_and_b64 vcc, vcc, s[30:31]
	v_cndmask_b32_e32 v31, 0, v32, vcc
	v_add_u32_e32 v26, v31, v26
	ds_write_b32 v30, v26
	ds_write_b8 v30, v27 offset:4
.LBB815_95:
	s_or_b64 exec, exec, s[28:29]
	v_cmp_gt_u32_e32 vcc, 64, v0
	v_cmp_lt_u32_e64 s[28:29], 63, v0
	v_mov_b32_e32 v44, 0
	v_mov_b32_e32 v45, 0
	s_waitcnt lgkmcnt(0)
	s_barrier
	s_and_saveexec_b64 s[30:31], s[28:29]
	s_cbranch_execz .LBB815_97
; %bb.96:
	v_lshl_add_u32 v26, v1, 3, -8
	ds_read_b32 v44, v26
	ds_read_u8 v45, v26 offset:4
	v_mov_b32_e32 v27, 0
	v_and_b32_e32 v30, 1, v29
	v_cmp_eq_u16_sdwa s[28:29], v29, v27 src0_sel:BYTE_0 src1_sel:DWORD
	s_waitcnt lgkmcnt(1)
	v_cndmask_b32_e64 v26, 0, v44, s[28:29]
	v_cmp_eq_u32_e64 s[28:29], 1, v30
	v_add_u32_e32 v28, v26, v28
	s_waitcnt lgkmcnt(0)
	v_cndmask_b32_e64 v29, v45, 1, s[28:29]
.LBB815_97:
	s_or_b64 exec, exec, s[30:31]
	v_and_b32_e32 v26, 0xff, v29
	v_add_u32_e32 v27, -1, v48
	v_and_b32_e32 v29, 64, v48
	v_cmp_lt_i32_e64 s[28:29], v27, v29
	v_cndmask_b32_e64 v27, v27, v48, s[28:29]
	v_lshlrev_b32_e32 v27, 2, v27
	ds_bpermute_b32 v46, v27, v28
	ds_bpermute_b32 v47, v27, v26
	v_cmp_eq_u32_e64 s[28:29], 0, v48
	s_and_saveexec_b64 s[36:37], vcc
	s_cbranch_execz .LBB815_116
; %bb.98:
	v_mov_b32_e32 v29, 0
	ds_read_b64 v[26:27], v29 offset:24
	s_waitcnt lgkmcnt(0)
	v_readfirstlane_b32 s48, v27
	s_and_saveexec_b64 s[30:31], s[28:29]
	s_cbranch_execz .LBB815_100
; %bb.99:
	s_add_i32 s38, s47, 64
	s_mov_b32 s39, 0
	s_lshl_b64 s[40:41], s[38:39], 4
	s_add_u32 s40, s44, s40
	s_addc_u32 s41, s45, s41
	s_and_b32 s57, s48, 0xff000000
	s_mov_b32 s56, s39
	s_and_b32 s59, s48, 0xff0000
	s_mov_b32 s58, s39
	s_or_b64 s[56:57], s[58:59], s[56:57]
	s_and_b32 s59, s48, 0xff00
	s_or_b64 s[56:57], s[56:57], s[58:59]
	s_and_b32 s59, s48, 0xff
	s_or_b64 s[38:39], s[56:57], s[58:59]
	v_mov_b32_e32 v27, s39
	v_mov_b32_e32 v28, 1
	v_pk_mov_b32 v[30:31], s[40:41], s[40:41] op_sel:[0,1]
	;;#ASMSTART
	global_store_dwordx4 v[30:31], v[26:29] off	
s_waitcnt vmcnt(0)
	;;#ASMEND
.LBB815_100:
	s_or_b64 exec, exec, s[30:31]
	v_xad_u32 v34, v48, -1, s47
	v_add_u32_e32 v28, 64, v34
	v_lshlrev_b64 v[30:31], 4, v[28:29]
	v_mov_b32_e32 v27, s45
	v_add_co_u32_e32 v36, vcc, s44, v30
	v_addc_co_u32_e32 v37, vcc, v27, v31, vcc
	;;#ASMSTART
	global_load_dwordx4 v[30:33], v[36:37] off glc	
s_waitcnt vmcnt(0)
	;;#ASMEND
	v_and_b32_e32 v27, 0xff0000, v30
	v_or_b32_sdwa v27, v30, v27 dst_sel:DWORD dst_unused:UNUSED_PAD src0_sel:WORD_0 src1_sel:DWORD
	v_and_b32_e32 v28, 0xff000000, v30
	v_and_b32_e32 v30, 0xff, v31
	v_or3_b32 v31, 0, 0, v30
	v_or3_b32 v30, v27, v28, 0
	v_cmp_eq_u16_sdwa s[38:39], v32, v29 src0_sel:BYTE_0 src1_sel:DWORD
	s_and_saveexec_b64 s[30:31], s[38:39]
	s_cbranch_execz .LBB815_104
; %bb.101:
	s_mov_b64 s[38:39], 0
	v_mov_b32_e32 v27, 0
.LBB815_102:                            ; =>This Inner Loop Header: Depth=1
	;;#ASMSTART
	global_load_dwordx4 v[30:33], v[36:37] off glc	
s_waitcnt vmcnt(0)
	;;#ASMEND
	v_cmp_ne_u16_sdwa s[40:41], v32, v27 src0_sel:BYTE_0 src1_sel:DWORD
	s_or_b64 s[38:39], s[40:41], s[38:39]
	s_andn2_b64 exec, exec, s[38:39]
	s_cbranch_execnz .LBB815_102
; %bb.103:
	s_or_b64 exec, exec, s[38:39]
	v_and_b32_e32 v31, 0xff, v31
.LBB815_104:
	s_or_b64 exec, exec, s[30:31]
	v_mov_b32_e32 v27, 2
	v_cmp_eq_u16_sdwa s[30:31], v32, v27 src0_sel:BYTE_0 src1_sel:DWORD
	v_lshlrev_b64 v[28:29], v48, -1
	v_and_b32_e32 v33, s31, v29
	v_or_b32_e32 v33, 0x80000000, v33
	v_and_b32_e32 v35, s30, v28
	v_ffbl_b32_e32 v33, v33
	v_and_b32_e32 v49, 63, v48
	v_add_u32_e32 v33, 32, v33
	v_ffbl_b32_e32 v35, v35
	v_cmp_ne_u32_e32 vcc, 63, v49
	v_min_u32_e32 v33, v35, v33
	v_addc_co_u32_e32 v35, vcc, 0, v48, vcc
	v_lshlrev_b32_e32 v50, 2, v35
	ds_bpermute_b32 v35, v50, v31
	ds_bpermute_b32 v36, v50, v30
	s_mov_b32 s38, 0
	v_and_b32_e32 v37, 1, v31
	s_mov_b32 s39, 1
	s_waitcnt lgkmcnt(1)
	v_and_b32_e32 v35, 1, v35
	v_cmp_eq_u32_e32 vcc, 1, v37
	v_cndmask_b32_e64 v35, v35, 1, vcc
	v_cmp_gt_u64_e32 vcc, s[38:39], v[30:31]
	v_cmp_lt_u32_e64 s[30:31], v49, v33
	s_and_b64 vcc, s[30:31], vcc
	v_and_b32_e32 v37, 0xffff, v35
	v_cndmask_b32_e64 v56, v31, v35, s[30:31]
	s_waitcnt lgkmcnt(0)
	v_cndmask_b32_e32 v35, 0, v36, vcc
	v_cmp_gt_u32_e32 vcc, 62, v49
	v_cndmask_b32_e64 v36, 0, 1, vcc
	v_lshlrev_b32_e32 v36, 1, v36
	v_cndmask_b32_e64 v31, v31, v37, s[30:31]
	v_add_lshl_u32 v51, v36, v48, 2
	ds_bpermute_b32 v36, v51, v31
	v_add_u32_e32 v30, v35, v30
	ds_bpermute_b32 v37, v51, v30
	v_and_b32_e32 v35, 1, v56
	v_cmp_eq_u32_e32 vcc, 1, v35
	s_waitcnt lgkmcnt(1)
	v_and_b32_e32 v36, 1, v36
	v_mov_b32_e32 v35, 0
	v_add_u32_e32 v55, 2, v49
	v_cndmask_b32_e64 v36, v36, 1, vcc
	v_cmp_eq_u16_sdwa vcc, v56, v35 src0_sel:BYTE_0 src1_sel:DWORD
	v_and_b32_e32 v57, 0xffff, v36
	s_waitcnt lgkmcnt(0)
	v_cndmask_b32_e32 v37, 0, v37, vcc
	v_cmp_gt_u32_e32 vcc, v55, v33
	v_cndmask_b32_e32 v36, v36, v56, vcc
	v_cndmask_b32_e64 v37, v37, 0, vcc
	v_cndmask_b32_e32 v31, v57, v31, vcc
	v_cmp_gt_u32_e32 vcc, 60, v49
	v_cndmask_b32_e64 v56, 0, 1, vcc
	v_lshlrev_b32_e32 v56, 2, v56
	v_add_lshl_u32 v56, v56, v48, 2
	ds_bpermute_b32 v58, v56, v31
	v_add_u32_e32 v30, v37, v30
	ds_bpermute_b32 v37, v56, v30
	v_and_b32_e32 v59, 1, v36
	v_cmp_eq_u32_e32 vcc, 1, v59
	s_waitcnt lgkmcnt(1)
	v_and_b32_e32 v58, 1, v58
	v_add_u32_e32 v57, 4, v49
	v_cndmask_b32_e64 v58, v58, 1, vcc
	v_cmp_eq_u16_sdwa vcc, v36, v35 src0_sel:BYTE_0 src1_sel:DWORD
	v_and_b32_e32 v59, 0xffff, v58
	s_waitcnt lgkmcnt(0)
	v_cndmask_b32_e32 v37, 0, v37, vcc
	v_cmp_gt_u32_e32 vcc, v57, v33
	v_cndmask_b32_e32 v36, v58, v36, vcc
	v_cndmask_b32_e64 v37, v37, 0, vcc
	v_cndmask_b32_e32 v31, v59, v31, vcc
	v_cmp_gt_u32_e32 vcc, 56, v49
	v_cndmask_b32_e64 v58, 0, 1, vcc
	v_lshlrev_b32_e32 v58, 3, v58
	v_add_lshl_u32 v58, v58, v48, 2
	ds_bpermute_b32 v60, v58, v31
	v_add_u32_e32 v30, v37, v30
	ds_bpermute_b32 v37, v58, v30
	v_and_b32_e32 v61, 1, v36
	v_cmp_eq_u32_e32 vcc, 1, v61
	s_waitcnt lgkmcnt(1)
	v_and_b32_e32 v60, 1, v60
	;; [unrolled: 21-line block ×4, first 2 shown]
	v_add_u32_e32 v64, 32, v49
	v_cndmask_b32_e64 v31, v31, 1, vcc
	v_cmp_eq_u16_sdwa vcc, v36, v35 src0_sel:BYTE_0 src1_sel:DWORD
	s_waitcnt lgkmcnt(0)
	v_cndmask_b32_e32 v37, 0, v37, vcc
	v_cmp_gt_u32_e32 vcc, v64, v33
	v_cndmask_b32_e64 v33, v37, 0, vcc
	v_cndmask_b32_e32 v31, v31, v36, vcc
	v_add_u32_e32 v30, v33, v30
	s_branch .LBB815_106
.LBB815_105:                            ;   in Loop: Header=BB815_106 Depth=1
	s_or_b64 exec, exec, s[30:31]
	v_cmp_eq_u16_sdwa s[30:31], v32, v27 src0_sel:BYTE_0 src1_sel:DWORD
	v_and_b32_e32 v33, s31, v29
	ds_bpermute_b32 v37, v50, v31
	v_or_b32_e32 v33, 0x80000000, v33
	v_and_b32_e32 v36, s30, v28
	v_ffbl_b32_e32 v33, v33
	v_add_u32_e32 v33, 32, v33
	v_ffbl_b32_e32 v36, v36
	v_min_u32_e32 v33, v36, v33
	ds_bpermute_b32 v36, v50, v30
	v_and_b32_e32 v65, 1, v31
	s_waitcnt lgkmcnt(1)
	v_and_b32_e32 v37, 1, v37
	v_cmp_eq_u32_e32 vcc, 1, v65
	v_cndmask_b32_e64 v37, v37, 1, vcc
	v_cmp_gt_u64_e32 vcc, s[38:39], v[30:31]
	v_and_b32_e32 v65, 0xffff, v37
	v_cmp_lt_u32_e64 s[30:31], v49, v33
	v_cndmask_b32_e64 v37, v31, v37, s[30:31]
	v_cndmask_b32_e64 v31, v31, v65, s[30:31]
	s_and_b64 vcc, s[30:31], vcc
	ds_bpermute_b32 v65, v51, v31
	s_waitcnt lgkmcnt(1)
	v_cndmask_b32_e32 v36, 0, v36, vcc
	v_add_u32_e32 v30, v36, v30
	ds_bpermute_b32 v36, v51, v30
	v_and_b32_e32 v66, 1, v37
	s_waitcnt lgkmcnt(1)
	v_and_b32_e32 v65, 1, v65
	v_cmp_eq_u32_e32 vcc, 1, v66
	v_cndmask_b32_e64 v65, v65, 1, vcc
	v_cmp_eq_u16_sdwa vcc, v37, v35 src0_sel:BYTE_0 src1_sel:DWORD
	v_and_b32_e32 v66, 0xffff, v65
	s_waitcnt lgkmcnt(0)
	v_cndmask_b32_e32 v36, 0, v36, vcc
	v_cmp_gt_u32_e32 vcc, v55, v33
	v_cndmask_b32_e32 v31, v66, v31, vcc
	v_cndmask_b32_e32 v37, v65, v37, vcc
	ds_bpermute_b32 v65, v56, v31
	v_cndmask_b32_e64 v36, v36, 0, vcc
	v_add_u32_e32 v30, v36, v30
	ds_bpermute_b32 v36, v56, v30
	v_and_b32_e32 v66, 1, v37
	s_waitcnt lgkmcnt(1)
	v_and_b32_e32 v65, 1, v65
	v_cmp_eq_u32_e32 vcc, 1, v66
	v_cndmask_b32_e64 v65, v65, 1, vcc
	v_cmp_eq_u16_sdwa vcc, v37, v35 src0_sel:BYTE_0 src1_sel:DWORD
	v_and_b32_e32 v66, 0xffff, v65
	s_waitcnt lgkmcnt(0)
	v_cndmask_b32_e32 v36, 0, v36, vcc
	v_cmp_gt_u32_e32 vcc, v57, v33
	v_cndmask_b32_e32 v31, v66, v31, vcc
	v_cndmask_b32_e32 v37, v65, v37, vcc
	ds_bpermute_b32 v65, v58, v31
	v_cndmask_b32_e64 v36, v36, 0, vcc
	;; [unrolled: 16-line block ×3, first 2 shown]
	v_add_u32_e32 v30, v36, v30
	ds_bpermute_b32 v36, v60, v30
	v_and_b32_e32 v66, 1, v37
	s_waitcnt lgkmcnt(1)
	v_and_b32_e32 v65, 1, v65
	v_cmp_eq_u32_e32 vcc, 1, v66
	v_cndmask_b32_e64 v65, v65, 1, vcc
	v_cmp_eq_u16_sdwa vcc, v37, v35 src0_sel:BYTE_0 src1_sel:DWORD
	v_and_b32_e32 v66, 0xffff, v65
	s_waitcnt lgkmcnt(0)
	v_cndmask_b32_e32 v36, 0, v36, vcc
	v_cmp_gt_u32_e32 vcc, v61, v33
	v_cndmask_b32_e64 v36, v36, 0, vcc
	v_cndmask_b32_e32 v31, v66, v31, vcc
	ds_bpermute_b32 v31, v63, v31
	v_add_u32_e32 v30, v36, v30
	ds_bpermute_b32 v36, v63, v30
	v_cndmask_b32_e32 v37, v65, v37, vcc
	v_and_b32_e32 v65, 1, v37
	v_cmp_eq_u32_e32 vcc, 1, v65
	s_waitcnt lgkmcnt(1)
	v_cndmask_b32_e64 v31, v31, 1, vcc
	v_cmp_eq_u16_sdwa vcc, v37, v35 src0_sel:BYTE_0 src1_sel:DWORD
	s_waitcnt lgkmcnt(0)
	v_cndmask_b32_e32 v36, 0, v36, vcc
	v_cmp_gt_u32_e32 vcc, v64, v33
	v_cndmask_b32_e64 v33, v36, 0, vcc
	v_cndmask_b32_e32 v31, v31, v37, vcc
	v_add_u32_e32 v30, v33, v30
	v_cmp_eq_u16_sdwa vcc, v48, v35 src0_sel:BYTE_0 src1_sel:DWORD
	v_and_b32_e32 v33, 1, v48
	v_cndmask_b32_e32 v30, 0, v30, vcc
	v_and_b32_e32 v31, 1, v31
	v_cmp_eq_u32_e32 vcc, 1, v33
	v_subrev_u32_e32 v34, 64, v34
	v_add_u32_e32 v30, v30, v62
	v_cndmask_b32_e64 v31, v31, 1, vcc
.LBB815_106:                            ; =>This Loop Header: Depth=1
                                        ;     Child Loop BB815_109 Depth 2
	v_cmp_ne_u16_sdwa s[30:31], v32, v27 src0_sel:BYTE_0 src1_sel:DWORD
	v_mov_b32_e32 v48, v31
	v_cndmask_b32_e64 v31, 0, 1, s[30:31]
	;;#ASMSTART
	;;#ASMEND
	v_cmp_ne_u32_e32 vcc, 0, v31
	s_cmp_lg_u64 vcc, exec
	v_mov_b32_e32 v62, v30
	s_cbranch_scc1 .LBB815_111
; %bb.107:                              ;   in Loop: Header=BB815_106 Depth=1
	v_lshlrev_b64 v[30:31], 4, v[34:35]
	v_mov_b32_e32 v32, s45
	v_add_co_u32_e32 v36, vcc, s44, v30
	v_addc_co_u32_e32 v37, vcc, v32, v31, vcc
	;;#ASMSTART
	global_load_dwordx4 v[30:33], v[36:37] off glc	
s_waitcnt vmcnt(0)
	;;#ASMEND
	v_and_b32_e32 v33, 0xff0000, v30
	v_or_b32_sdwa v33, v30, v33 dst_sel:DWORD dst_unused:UNUSED_PAD src0_sel:WORD_0 src1_sel:DWORD
	v_and_b32_e32 v30, 0xff000000, v30
	v_and_b32_e32 v31, 0xff, v31
	v_or3_b32 v31, 0, 0, v31
	v_or3_b32 v30, v33, v30, 0
	v_cmp_eq_u16_sdwa s[40:41], v32, v35 src0_sel:BYTE_0 src1_sel:DWORD
	s_and_saveexec_b64 s[30:31], s[40:41]
	s_cbranch_execz .LBB815_105
; %bb.108:                              ;   in Loop: Header=BB815_106 Depth=1
	s_mov_b64 s[40:41], 0
.LBB815_109:                            ;   Parent Loop BB815_106 Depth=1
                                        ; =>  This Inner Loop Header: Depth=2
	;;#ASMSTART
	global_load_dwordx4 v[30:33], v[36:37] off glc	
s_waitcnt vmcnt(0)
	;;#ASMEND
	v_cmp_ne_u16_sdwa s[56:57], v32, v35 src0_sel:BYTE_0 src1_sel:DWORD
	s_or_b64 s[40:41], s[56:57], s[40:41]
	s_andn2_b64 exec, exec, s[40:41]
	s_cbranch_execnz .LBB815_109
; %bb.110:                              ;   in Loop: Header=BB815_106 Depth=1
	s_or_b64 exec, exec, s[40:41]
	v_and_b32_e32 v31, 0xff, v31
	s_branch .LBB815_105
.LBB815_111:                            ;   in Loop: Header=BB815_106 Depth=1
                                        ; implicit-def: $vgpr31
                                        ; implicit-def: $vgpr30
                                        ; implicit-def: $vgpr32
	s_cbranch_execz .LBB815_106
; %bb.112:
	s_and_saveexec_b64 s[30:31], s[28:29]
	s_cbranch_execz .LBB815_114
; %bb.113:
	s_and_b32 s38, s48, 0xff
	s_cmp_eq_u32 s38, 0
	s_cselect_b64 vcc, -1, 0
	s_bitcmp1_b32 s48, 0
	s_mov_b32 s39, 0
	s_cselect_b64 s[40:41], -1, 0
	s_add_i32 s38, s47, 64
	s_lshl_b64 s[38:39], s[38:39], 4
	v_cndmask_b32_e32 v27, 0, v62, vcc
	s_add_u32 s38, s44, s38
	v_add_u32_e32 v26, v27, v26
	v_and_b32_e32 v27, 1, v48
	s_addc_u32 s39, s45, s39
	v_mov_b32_e32 v29, 0
	v_cndmask_b32_e64 v27, v27, 1, s[40:41]
	v_mov_b32_e32 v28, 2
	v_pk_mov_b32 v[30:31], s[38:39], s[38:39] op_sel:[0,1]
	;;#ASMSTART
	global_store_dwordx4 v[30:31], v[26:29] off	
s_waitcnt vmcnt(0)
	;;#ASMEND
.LBB815_114:
	s_or_b64 exec, exec, s[30:31]
	s_and_b64 exec, exec, s[0:1]
	s_cbranch_execz .LBB815_116
; %bb.115:
	v_mov_b32_e32 v26, 0
	ds_write_b32 v26, v62 offset:24
	ds_write_b8 v26, v48 offset:28
.LBB815_116:
	s_or_b64 exec, exec, s[36:37]
	v_mov_b32_e32 v28, 0
	s_waitcnt lgkmcnt(0)
	s_barrier
	ds_read_b32 v26, v28 offset:24
	v_cndmask_b32_e64 v27, v47, v45, s[28:29]
	v_cmp_eq_u16_sdwa vcc, v27, v28 src0_sel:BYTE_0 src1_sel:DWORD
	v_cndmask_b32_e64 v29, v46, v44, s[28:29]
	s_waitcnt lgkmcnt(0)
	v_cndmask_b32_e32 v27, 0, v26, vcc
	v_add_u32_e32 v27, v27, v29
	v_and_b32_e32 v29, 0xff, v41
	v_cndmask_b32_e64 v26, v27, v26, s[0:1]
	v_cmp_eq_u64_e32 vcc, 0, v[28:29]
	v_cndmask_b32_e32 v27, 0, v26, vcc
	v_add_u32_e32 v27, v27, v40
	v_cndmask_b32_e64 v28, 0, v27, s[4:5]
	v_add_u32_e32 v44, v28, v8
	v_cndmask_b32_e64 v28, 0, v44, s[6:7]
	;; [unrolled: 2-line block ×12, first 2 shown]
	v_add_u32_e32 v51, v28, v24
	s_branch .LBB815_143
.LBB815_117:
	s_or_b64 exec, exec, s[30:31]
                                        ; implicit-def: $vgpr14
	s_and_saveexec_b64 s[30:31], s[4:5]
	s_cbranch_execz .LBB815_37
.LBB815_118:
	v_add_co_u32_e32 v14, vcc, v1, v12
	v_addc_co_u32_e32 v15, vcc, 0, v46, vcc
	flat_load_dword v14, v[14:15] offset:1024
	s_or_b64 exec, exec, s[30:31]
                                        ; implicit-def: $vgpr15
	s_and_saveexec_b64 s[4:5], s[6:7]
	s_cbranch_execnz .LBB815_38
.LBB815_119:
	s_or_b64 exec, exec, s[4:5]
                                        ; implicit-def: $vgpr16
	s_and_saveexec_b64 s[4:5], s[8:9]
	s_cbranch_execz .LBB815_39
.LBB815_120:
	v_add_co_u32_e32 v16, vcc, v1, v12
	v_addc_co_u32_e32 v17, vcc, 0, v46, vcc
	flat_load_dword v16, v[16:17] offset:3072
	s_or_b64 exec, exec, s[4:5]
                                        ; implicit-def: $vgpr17
	s_and_saveexec_b64 s[4:5], s[10:11]
	s_cbranch_execnz .LBB815_40
.LBB815_121:
	s_or_b64 exec, exec, s[4:5]
                                        ; implicit-def: $vgpr2
	s_and_saveexec_b64 s[4:5], s[12:13]
	s_cbranch_execz .LBB815_41
.LBB815_122:
	v_add_co_u32_e32 v2, vcc, v1, v3
	v_addc_co_u32_e32 v3, vcc, 0, v46, vcc
	flat_load_dword v2, v[2:3]
	s_or_b64 exec, exec, s[4:5]
                                        ; implicit-def: $vgpr3
	s_and_saveexec_b64 s[4:5], s[14:15]
	s_cbranch_execnz .LBB815_42
.LBB815_123:
	s_or_b64 exec, exec, s[4:5]
                                        ; implicit-def: $vgpr4
	s_and_saveexec_b64 s[4:5], s[16:17]
	s_cbranch_execz .LBB815_43
.LBB815_124:
	v_add_co_u32_e32 v4, vcc, v1, v5
	v_addc_co_u32_e32 v5, vcc, 0, v46, vcc
	flat_load_dword v4, v[4:5]
	s_or_b64 exec, exec, s[4:5]
                                        ; implicit-def: $vgpr5
	s_and_saveexec_b64 s[4:5], s[18:19]
	s_cbranch_execnz .LBB815_44
.LBB815_125:
	s_or_b64 exec, exec, s[4:5]
                                        ; implicit-def: $vgpr6
	s_and_saveexec_b64 s[4:5], s[20:21]
	s_cbranch_execz .LBB815_45
.LBB815_126:
	v_add_co_u32_e32 v6, vcc, v1, v7
	v_addc_co_u32_e32 v7, vcc, 0, v46, vcc
	flat_load_dword v6, v[6:7]
	s_or_b64 exec, exec, s[4:5]
                                        ; implicit-def: $vgpr7
	s_and_saveexec_b64 s[4:5], s[22:23]
	s_cbranch_execnz .LBB815_46
.LBB815_127:
	s_or_b64 exec, exec, s[4:5]
                                        ; implicit-def: $vgpr8
	s_and_saveexec_b64 s[4:5], s[24:25]
	s_cbranch_execz .LBB815_47
.LBB815_128:
	v_add_co_u32_e32 v8, vcc, v1, v9
	v_addc_co_u32_e32 v9, vcc, 0, v46, vcc
	flat_load_dword v8, v[8:9]
	s_or_b64 exec, exec, s[4:5]
                                        ; implicit-def: $vgpr9
	s_and_saveexec_b64 s[4:5], s[26:27]
	s_cbranch_execz .LBB815_49
	s_branch .LBB815_48
.LBB815_129:
                                        ; implicit-def: $vgpr51
                                        ; implicit-def: $vgpr49
                                        ; implicit-def: $vgpr47
                                        ; implicit-def: $vgpr45
                                        ; implicit-def: $vgpr34_vgpr35_vgpr36_vgpr37
                                        ; implicit-def: $vgpr30_vgpr31_vgpr32_vgpr33
                                        ; implicit-def: $vgpr26_vgpr27_vgpr28_vgpr29
	s_cbranch_execz .LBB815_143
; %bb.130:
	s_cmp_lg_u64 s[52:53], 0
	s_cselect_b32 s5, s51, 0
	s_cselect_b32 s4, s50, 0
	s_mov_b32 s26, 0
	s_cmp_eq_u64 s[4:5], 0
	v_mov_b32_e32 v32, s54
	s_cbranch_scc1 .LBB815_132
; %bb.131:
	v_mov_b32_e32 v26, 0
	global_load_dword v32, v26, s[4:5]
.LBB815_132:
	s_mov_b32 s27, 1
	v_cmp_gt_u64_e32 vcc, s[26:27], v[8:9]
	v_cndmask_b32_e32 v27, 0, v40, vcc
	v_add_u32_e32 v27, v27, v8
	v_cmp_gt_u64_e64 s[4:5], s[26:27], v[6:7]
	v_cndmask_b32_e64 v27, 0, v27, s[4:5]
	v_add_u32_e32 v27, v27, v6
	v_cmp_gt_u64_e64 s[6:7], s[26:27], v[4:5]
	v_cndmask_b32_e64 v27, 0, v27, s[6:7]
	;; [unrolled: 3-line block ×11, first 2 shown]
	v_mov_b32_e32 v26, 0
	v_add_u32_e32 v27, v27, v24
	v_cmp_gt_u64_e64 s[26:27], s[26:27], v[42:43]
	v_or3_b32 v7, v23, v15, v7
	v_cndmask_b32_e64 v27, 0, v27, s[26:27]
	v_or3_b32 v9, v25, v17, v9
	v_and_b32_e32 v35, 1, v7
	v_mov_b32_e32 v34, v26
	v_add_u32_e32 v33, v27, v42
	v_and_b32_e32 v27, 1, v43
	v_or3_b32 v3, v19, v11, v3
	v_and_b32_e32 v31, 1, v9
	v_mov_b32_e32 v30, v26
	v_cmp_ne_u64_e64 s[28:29], 0, v[34:35]
	v_cmp_eq_u32_e64 s[26:27], 1, v27
	v_or3_b32 v5, v21, v13, v5
	v_and_b32_e32 v27, 1, v3
	v_cndmask_b32_e64 v3, 0, 1, s[28:29]
	v_cmp_ne_u64_e64 s[28:29], 0, v[30:31]
	v_and_b32_e32 v29, 1, v5
	v_mov_b32_e32 v28, v26
	v_cndmask_b32_e64 v5, 0, 1, s[28:29]
	v_lshlrev_b16_e32 v3, 2, v3
	v_lshlrev_b16_e32 v5, 3, v5
	v_cmp_ne_u64_e64 s[28:29], 0, v[28:29]
	v_or_b32_e32 v3, v5, v3
	v_cndmask_b32_e64 v5, 0, 1, s[28:29]
	v_cmp_ne_u64_e64 s[28:29], 0, v[26:27]
	v_lshlrev_b16_e32 v5, 1, v5
	v_cndmask_b32_e64 v7, 0, 1, s[28:29]
	v_or_b32_e32 v5, v7, v5
	v_and_b32_e32 v5, 3, v5
	v_or_b32_e32 v3, v5, v3
	v_and_b32_e32 v3, 15, v3
	v_cmp_ne_u16_e64 s[28:29], 0, v3
	s_or_b64 s[26:27], s[26:27], s[28:29]
	v_cndmask_b32_e64 v5, v41, 1, s[26:27]
	v_and_b32_e32 v7, 0xff, v5
	v_mov_b32_dpp v11, v33 row_shr:1 row_mask:0xf bank_mask:0xf
	v_cmp_eq_u16_e64 s[26:27], 0, v7
	v_mov_b32_dpp v13, v7 row_shr:1 row_mask:0xf bank_mask:0xf
	v_and_b32_e32 v15, 1, v5
	v_mbcnt_hi_u32_b32 v3, -1, v54
	v_cndmask_b32_e64 v11, 0, v11, s[26:27]
	v_and_b32_e32 v13, 1, v13
	v_cmp_eq_u32_e64 s[26:27], 1, v15
	v_and_b32_e32 v9, 15, v3
	v_cndmask_b32_e64 v13, v13, 1, s[26:27]
	v_and_b32_e32 v15, 0xffff, v13
	v_cmp_eq_u32_e64 s[26:27], 0, v9
	v_cndmask_b32_e64 v5, v13, v5, s[26:27]
	v_cndmask_b32_e64 v7, v15, v7, s[26:27]
	v_and_b32_e32 v17, 1, v5
	v_cndmask_b32_e64 v11, v11, 0, s[26:27]
	v_mov_b32_dpp v15, v7 row_shr:2 row_mask:0xf bank_mask:0xf
	v_and_b32_e32 v15, 1, v15
	v_cmp_eq_u32_e64 s[26:27], 1, v17
	v_cndmask_b32_e64 v15, v15, 1, s[26:27]
	v_and_b32_e32 v17, 0xffff, v15
	v_cmp_lt_u32_e64 s[26:27], 1, v9
	v_add_u32_e32 v11, v11, v33
	v_cmp_eq_u16_sdwa s[28:29], v5, v26 src0_sel:BYTE_0 src1_sel:DWORD
	v_cndmask_b32_e64 v5, v5, v15, s[26:27]
	v_cndmask_b32_e64 v7, v7, v17, s[26:27]
	v_mov_b32_dpp v13, v11 row_shr:2 row_mask:0xf bank_mask:0xf
	s_and_b64 s[26:27], s[26:27], s[28:29]
	v_mov_b32_dpp v15, v7 row_shr:4 row_mask:0xf bank_mask:0xf
	v_and_b32_e32 v17, 1, v5
	v_cndmask_b32_e64 v13, 0, v13, s[26:27]
	v_and_b32_e32 v15, 1, v15
	v_cmp_eq_u32_e64 s[26:27], 1, v17
	v_cndmask_b32_e64 v15, v15, 1, s[26:27]
	v_and_b32_e32 v17, 0xffff, v15
	v_cmp_lt_u32_e64 s[26:27], 3, v9
	v_add_u32_e32 v11, v13, v11
	v_cmp_eq_u16_sdwa s[28:29], v5, v26 src0_sel:BYTE_0 src1_sel:DWORD
	v_cndmask_b32_e64 v5, v5, v15, s[26:27]
	v_cndmask_b32_e64 v7, v7, v17, s[26:27]
	v_mov_b32_dpp v13, v11 row_shr:4 row_mask:0xf bank_mask:0xf
	s_and_b64 s[26:27], s[26:27], s[28:29]
	v_mov_b32_dpp v15, v7 row_shr:8 row_mask:0xf bank_mask:0xf
	v_and_b32_e32 v17, 1, v5
	v_cndmask_b32_e64 v13, 0, v13, s[26:27]
	v_and_b32_e32 v15, 1, v15
	v_cmp_eq_u32_e64 s[26:27], 1, v17
	v_cndmask_b32_e64 v15, v15, 1, s[26:27]
	v_add_u32_e32 v11, v13, v11
	v_cmp_eq_u16_sdwa s[28:29], v5, v26 src0_sel:BYTE_0 src1_sel:DWORD
	v_and_b32_e32 v17, 0xffff, v15
	v_cmp_lt_u32_e64 s[26:27], 7, v9
	v_mov_b32_dpp v13, v11 row_shr:8 row_mask:0xf bank_mask:0xf
	v_cndmask_b32_e64 v5, v5, v15, s[26:27]
	v_cndmask_b32_e64 v7, v7, v17, s[26:27]
	s_and_b64 s[26:27], s[26:27], s[28:29]
	v_cndmask_b32_e64 v9, 0, v13, s[26:27]
	v_add_u32_e32 v9, v9, v11
	v_mov_b32_dpp v13, v7 row_bcast:15 row_mask:0xf bank_mask:0xf
	v_cmp_eq_u16_sdwa s[26:27], v5, v26 src0_sel:BYTE_0 src1_sel:DWORD
	v_mov_b32_dpp v11, v9 row_bcast:15 row_mask:0xf bank_mask:0xf
	v_and_b32_e32 v19, 1, v5
	v_cndmask_b32_e64 v11, 0, v11, s[26:27]
	v_and_b32_e32 v13, 1, v13
	v_cmp_eq_u32_e64 s[26:27], 1, v19
	v_and_b32_e32 v17, 16, v3
	v_cndmask_b32_e64 v13, v13, 1, s[26:27]
	v_and_b32_e32 v19, 0xffff, v13
	v_cmp_eq_u32_e64 s[26:27], 0, v17
	v_cndmask_b32_e64 v5, v13, v5, s[26:27]
	v_cndmask_b32_e64 v7, v19, v7, s[26:27]
	v_bfe_i32 v15, v3, 4, 1
	v_and_b32_e32 v13, 1, v5
	v_mov_b32_dpp v7, v7 row_bcast:31 row_mask:0xf bank_mask:0xf
	v_and_b32_e32 v11, v15, v11
	v_and_b32_e32 v7, 1, v7
	v_cmp_eq_u32_e64 s[26:27], 1, v13
	v_add_u32_e32 v9, v11, v9
	v_cmp_eq_u16_sdwa s[28:29], v5, v26 src0_sel:BYTE_0 src1_sel:DWORD
	v_cndmask_b32_e64 v7, v7, 1, s[26:27]
	v_cmp_lt_u32_e64 s[26:27], 31, v3
	v_mov_b32_dpp v11, v9 row_bcast:31 row_mask:0xf bank_mask:0xf
	v_cndmask_b32_e64 v5, v5, v7, s[26:27]
	s_and_b64 s[26:27], s[26:27], s[28:29]
	v_cndmask_b32_e64 v7, 0, v11, s[26:27]
	v_add_u32_e32 v7, v7, v9
	v_cmp_eq_u32_e64 s[26:27], v53, v0
	s_and_saveexec_b64 s[28:29], s[26:27]
	s_cbranch_execz .LBB815_134
; %bb.133:
	v_lshlrev_b32_e32 v9, 3, v1
	ds_write_b32 v9, v7
	ds_write_b8 v9, v5 offset:4
.LBB815_134:
	s_or_b64 exec, exec, s[28:29]
	v_cmp_gt_u32_e64 s[26:27], 4, v0
	s_waitcnt lgkmcnt(0)
	s_barrier
	s_and_saveexec_b64 s[28:29], s[26:27]
	s_cbranch_execz .LBB815_138
; %bb.135:
	v_lshlrev_b32_e32 v9, 3, v0
	ds_read_b64 v[26:27], v9
	v_and_b32_e32 v11, 3, v3
	v_cmp_ne_u32_e64 s[26:27], 0, v11
	s_waitcnt lgkmcnt(0)
	v_mov_b32_dpp v13, v26 row_shr:1 row_mask:0xf bank_mask:0xf
	v_mov_b32_dpp v17, v27 row_shr:1 row_mask:0xf bank_mask:0xf
	v_mov_b32_e32 v15, v27
	s_and_saveexec_b64 s[30:31], s[26:27]
	s_cbranch_execz .LBB815_137
; %bb.136:
	v_and_b32_e32 v15, 1, v27
	v_and_b32_e32 v17, 1, v17
	v_cmp_eq_u32_e64 s[26:27], 1, v15
	v_mov_b32_e32 v15, 0
	v_cndmask_b32_e64 v17, v17, 1, s[26:27]
	v_cmp_eq_u16_sdwa s[26:27], v27, v15 src0_sel:BYTE_0 src1_sel:DWORD
	v_cndmask_b32_e64 v13, 0, v13, s[26:27]
	v_add_u32_e32 v26, v13, v26
	v_and_b32_e32 v13, 0xffff, v17
	s_movk_i32 s26, 0xff00
	v_and_or_b32 v15, v27, s26, v13
	v_mov_b32_e32 v27, v17
.LBB815_137:
	s_or_b64 exec, exec, s[30:31]
	v_mov_b32_dpp v15, v15 row_shr:2 row_mask:0xf bank_mask:0xf
	v_and_b32_e32 v17, 1, v27
	v_and_b32_e32 v15, 1, v15
	v_cmp_eq_u32_e64 s[26:27], 1, v17
	v_mov_b32_e32 v17, 0
	v_cndmask_b32_e64 v15, v15, 1, s[26:27]
	v_cmp_eq_u16_sdwa s[30:31], v27, v17 src0_sel:BYTE_0 src1_sel:DWORD
	v_cmp_lt_u32_e64 s[26:27], 1, v11
	v_mov_b32_dpp v13, v26 row_shr:2 row_mask:0xf bank_mask:0xf
	v_cndmask_b32_e64 v11, v27, v15, s[26:27]
	s_and_b64 s[26:27], s[26:27], s[30:31]
	v_cndmask_b32_e64 v13, 0, v13, s[26:27]
	v_add_u32_e32 v13, v13, v26
	ds_write_b32 v9, v13
	ds_write_b8 v9, v11 offset:4
.LBB815_138:
	s_or_b64 exec, exec, s[28:29]
	v_cmp_lt_u32_e64 s[26:27], 63, v0
	s_waitcnt vmcnt(0)
	v_mov_b32_e32 v9, v32
	s_waitcnt lgkmcnt(0)
	s_barrier
	s_and_saveexec_b64 s[28:29], s[26:27]
	s_cbranch_execz .LBB815_140
; %bb.139:
	v_lshl_add_u32 v1, v1, 3, -8
	ds_read_u8 v9, v1 offset:4
	ds_read_b32 v1, v1
	s_waitcnt lgkmcnt(1)
	v_cmp_eq_u16_e64 s[26:27], 0, v9
	v_cndmask_b32_e64 v9, 0, v32, s[26:27]
	s_waitcnt lgkmcnt(0)
	v_add_u32_e32 v9, v9, v1
.LBB815_140:
	s_or_b64 exec, exec, s[28:29]
	v_mov_b32_e32 v28, 0
	v_cmp_eq_u16_sdwa s[26:27], v5, v28 src0_sel:BYTE_0 src1_sel:DWORD
	v_cndmask_b32_e64 v1, 0, v9, s[26:27]
	v_add_u32_e32 v1, v1, v7
	v_add_u32_e32 v5, -1, v3
	v_and_b32_e32 v7, 64, v3
	v_cmp_lt_i32_e64 s[26:27], v5, v7
	v_cndmask_b32_e64 v5, v5, v3, s[26:27]
	v_lshlrev_b32_e32 v5, 2, v5
	ds_bpermute_b32 v1, v5, v1
	v_cmp_eq_u32_e64 s[26:27], 0, v3
	v_and_b32_e32 v29, 0xff, v41
	s_waitcnt lgkmcnt(0)
	v_cndmask_b32_e64 v26, v1, v9, s[26:27]
	v_cndmask_b32_e64 v1, v26, v32, s[0:1]
	v_cmp_eq_u64_e64 s[26:27], 0, v[28:29]
	v_cndmask_b32_e64 v1, 0, v1, s[26:27]
	v_add_u32_e32 v27, v1, v40
	v_cndmask_b32_e32 v1, 0, v27, vcc
	v_add_u32_e32 v44, v1, v8
	v_cndmask_b32_e64 v1, 0, v44, s[4:5]
	v_add_u32_e32 v45, v1, v6
	v_cndmask_b32_e64 v1, 0, v45, s[6:7]
	;; [unrolled: 2-line block ×11, first 2 shown]
	s_and_saveexec_b64 s[4:5], s[0:1]
	s_cbranch_execz .LBB815_142
; %bb.141:
	ds_read_u8 v3, v28 offset:28
	ds_read_b32 v2, v28 offset:24
	s_add_u32 s0, s44, 0x400
	s_addc_u32 s1, s45, 0
	v_mov_b32_e32 v5, v28
	s_waitcnt lgkmcnt(1)
	v_cmp_eq_u16_e32 vcc, 0, v3
	v_cndmask_b32_e32 v4, 0, v32, vcc
	s_waitcnt lgkmcnt(0)
	v_add_u32_e32 v2, v4, v2
	v_and_b32_e32 v3, 0xffff, v3
	v_mov_b32_e32 v4, 2
	v_pk_mov_b32 v[6:7], s[0:1], s[0:1] op_sel:[0,1]
	;;#ASMSTART
	global_store_dwordx4 v[6:7], v[2:5] off	
s_waitcnt vmcnt(0)
	;;#ASMEND
	v_mov_b32_e32 v26, v32
.LBB815_142:
	s_or_b64 exec, exec, s[4:5]
	v_add_u32_e32 v51, v1, v24
.LBB815_143:
	s_add_u32 s0, s42, s34
	s_addc_u32 s1, s43, s35
	v_mov_b32_e32 v1, s1
	v_add_co_u32_e32 v18, vcc, s0, v38
	v_addc_co_u32_e32 v19, vcc, v1, v39, vcc
	v_mul_u32_u24_e32 v1, 14, v0
	s_and_b64 vcc, exec, s[2:3]
	v_lshlrev_b32_e32 v2, 2, v1
	s_cbranch_vccz .LBB815_171
; %bb.144:
	s_movk_i32 s0, 0xffcc
	v_mad_i32_i24 v3, v0, s0, v2
	s_barrier
	ds_write2_b64 v2, v[26:27], v[44:45] offset1:1
	ds_write2_b64 v2, v[30:31], v[46:47] offset0:2 offset1:3
	ds_write2_b64 v2, v[34:35], v[48:49] offset0:4 offset1:5
	ds_write_b64 v2, v[50:51] offset:48
	s_waitcnt lgkmcnt(0)
	s_barrier
	ds_read2st64_b32 v[16:17], v3 offset0:4 offset1:8
	ds_read2st64_b32 v[14:15], v3 offset0:12 offset1:16
	;; [unrolled: 1-line block ×6, first 2 shown]
	ds_read_b32 v3, v3 offset:13312
	v_add_co_u32_e32 v6, vcc, v18, v52
	s_add_i32 s33, s33, s46
	v_addc_co_u32_e32 v7, vcc, 0, v19, vcc
	v_mov_b32_e32 v1, 0
	v_cmp_gt_u32_e32 vcc, s33, v0
	s_and_saveexec_b64 s[0:1], vcc
	s_cbranch_execz .LBB815_146
; %bb.145:
	v_mul_i32_i24_e32 v20, 0xffffffcc, v0
	v_add_u32_e32 v20, v2, v20
	ds_read_b32 v20, v20
	s_waitcnt lgkmcnt(0)
	flat_store_dword v[6:7], v20
.LBB815_146:
	s_or_b64 exec, exec, s[0:1]
	v_or_b32_e32 v20, 0x100, v0
	v_cmp_gt_u32_e32 vcc, s33, v20
	s_and_saveexec_b64 s[0:1], vcc
	s_cbranch_execz .LBB815_148
; %bb.147:
	s_waitcnt lgkmcnt(0)
	flat_store_dword v[6:7], v16 offset:1024
.LBB815_148:
	s_or_b64 exec, exec, s[0:1]
	s_waitcnt lgkmcnt(0)
	v_or_b32_e32 v16, 0x200, v0
	v_cmp_gt_u32_e32 vcc, s33, v16
	s_and_saveexec_b64 s[0:1], vcc
	s_cbranch_execz .LBB815_150
; %bb.149:
	flat_store_dword v[6:7], v17 offset:2048
.LBB815_150:
	s_or_b64 exec, exec, s[0:1]
	v_or_b32_e32 v16, 0x300, v0
	v_cmp_gt_u32_e32 vcc, s33, v16
	s_and_saveexec_b64 s[0:1], vcc
	s_cbranch_execz .LBB815_152
; %bb.151:
	flat_store_dword v[6:7], v14 offset:3072
.LBB815_152:
	s_or_b64 exec, exec, s[0:1]
	v_or_b32_e32 v14, 0x400, v0
	v_cmp_gt_u32_e32 vcc, s33, v14
	s_and_saveexec_b64 s[0:1], vcc
	s_cbranch_execz .LBB815_154
; %bb.153:
	v_add_co_u32_e32 v16, vcc, 0x1000, v6
	v_addc_co_u32_e32 v17, vcc, 0, v7, vcc
	flat_store_dword v[16:17], v15
.LBB815_154:
	s_or_b64 exec, exec, s[0:1]
	v_or_b32_e32 v14, 0x500, v0
	v_cmp_gt_u32_e32 vcc, s33, v14
	s_and_saveexec_b64 s[0:1], vcc
	s_cbranch_execz .LBB815_156
; %bb.155:
	v_add_co_u32_e32 v14, vcc, 0x1000, v6
	v_addc_co_u32_e32 v15, vcc, 0, v7, vcc
	flat_store_dword v[14:15], v12 offset:1024
.LBB815_156:
	s_or_b64 exec, exec, s[0:1]
	v_or_b32_e32 v12, 0x600, v0
	v_cmp_gt_u32_e32 vcc, s33, v12
	s_and_saveexec_b64 s[0:1], vcc
	s_cbranch_execz .LBB815_158
; %bb.157:
	v_add_co_u32_e32 v14, vcc, 0x1000, v6
	v_addc_co_u32_e32 v15, vcc, 0, v7, vcc
	flat_store_dword v[14:15], v13 offset:2048
.LBB815_158:
	;; [unrolled: 10-line block ×3, first 2 shown]
	s_or_b64 exec, exec, s[0:1]
	v_or_b32_e32 v10, 0x800, v0
	v_cmp_gt_u32_e32 vcc, s33, v10
	s_and_saveexec_b64 s[0:1], vcc
	s_cbranch_execz .LBB815_162
; %bb.161:
	v_add_co_u32_e32 v12, vcc, 0x2000, v6
	v_addc_co_u32_e32 v13, vcc, 0, v7, vcc
	flat_store_dword v[12:13], v11
.LBB815_162:
	s_or_b64 exec, exec, s[0:1]
	v_or_b32_e32 v10, 0x900, v0
	v_cmp_gt_u32_e32 vcc, s33, v10
	s_and_saveexec_b64 s[0:1], vcc
	s_cbranch_execz .LBB815_164
; %bb.163:
	v_add_co_u32_e32 v10, vcc, 0x2000, v6
	v_addc_co_u32_e32 v11, vcc, 0, v7, vcc
	flat_store_dword v[10:11], v8 offset:1024
.LBB815_164:
	s_or_b64 exec, exec, s[0:1]
	v_or_b32_e32 v8, 0xa00, v0
	v_cmp_gt_u32_e32 vcc, s33, v8
	s_and_saveexec_b64 s[0:1], vcc
	s_cbranch_execz .LBB815_166
; %bb.165:
	v_add_co_u32_e32 v10, vcc, 0x2000, v6
	v_addc_co_u32_e32 v11, vcc, 0, v7, vcc
	flat_store_dword v[10:11], v9 offset:2048
.LBB815_166:
	;; [unrolled: 10-line block ×3, first 2 shown]
	s_or_b64 exec, exec, s[0:1]
	v_or_b32_e32 v4, 0xc00, v0
	v_cmp_gt_u32_e32 vcc, s33, v4
	s_and_saveexec_b64 s[0:1], vcc
	s_cbranch_execz .LBB815_170
; %bb.169:
	v_add_co_u32_e32 v6, vcc, 0x3000, v6
	v_addc_co_u32_e32 v7, vcc, 0, v7, vcc
	flat_store_dword v[6:7], v5
.LBB815_170:
	s_or_b64 exec, exec, s[0:1]
	v_or_b32_e32 v4, 0xd00, v0
	v_cmp_gt_u32_e64 s[0:1], s33, v4
	s_branch .LBB815_173
.LBB815_171:
	s_mov_b64 s[0:1], 0
                                        ; implicit-def: $vgpr3
	s_cbranch_execz .LBB815_173
; %bb.172:
	s_movk_i32 s2, 0xffcc
	s_waitcnt lgkmcnt(0)
	s_barrier
	ds_write2_b64 v2, v[26:27], v[44:45] offset1:1
	ds_write2_b64 v2, v[30:31], v[46:47] offset0:2 offset1:3
	ds_write2_b64 v2, v[34:35], v[48:49] offset0:4 offset1:5
	ds_write_b64 v2, v[50:51] offset:48
	v_mad_i32_i24 v2, v0, s2, v2
	v_add_co_u32_e32 v16, vcc, v18, v52
	s_waitcnt lgkmcnt(0)
	s_barrier
	ds_read2st64_b32 v[4:5], v2 offset1:4
	ds_read2st64_b32 v[6:7], v2 offset0:8 offset1:12
	ds_read2st64_b32 v[8:9], v2 offset0:16 offset1:20
	ds_read2st64_b32 v[10:11], v2 offset0:24 offset1:28
	ds_read2st64_b32 v[12:13], v2 offset0:32 offset1:36
	ds_read2st64_b32 v[14:15], v2 offset0:40 offset1:44
	ds_read2st64_b32 v[2:3], v2 offset0:48 offset1:52
	v_addc_co_u32_e32 v17, vcc, 0, v19, vcc
	s_movk_i32 s2, 0x1000
	s_waitcnt lgkmcnt(0)
	flat_store_dword v[16:17], v4
	flat_store_dword v[16:17], v5 offset:1024
	flat_store_dword v[16:17], v6 offset:2048
	flat_store_dword v[16:17], v7 offset:3072
	v_add_co_u32_e32 v4, vcc, s2, v16
	v_addc_co_u32_e32 v5, vcc, 0, v17, vcc
	flat_store_dword v[4:5], v8
	flat_store_dword v[4:5], v9 offset:1024
	flat_store_dword v[4:5], v10 offset:2048
	;; [unrolled: 1-line block ×3, first 2 shown]
	v_add_co_u32_e32 v4, vcc, 0x2000, v16
	v_addc_co_u32_e32 v5, vcc, 0, v17, vcc
	flat_store_dword v[4:5], v12
	flat_store_dword v[4:5], v13 offset:1024
	flat_store_dword v[4:5], v14 offset:2048
	;; [unrolled: 1-line block ×3, first 2 shown]
	v_add_co_u32_e32 v4, vcc, 0x3000, v16
	v_mov_b32_e32 v1, 0
	v_addc_co_u32_e32 v5, vcc, 0, v17, vcc
	s_or_b64 s[0:1], s[0:1], exec
	flat_store_dword v[4:5], v2
.LBB815_173:
	s_and_saveexec_b64 s[2:3], s[0:1]
	s_cbranch_execz .LBB815_175
; %bb.174:
	v_lshlrev_b64 v[0:1], 2, v[0:1]
	v_add_co_u32_e32 v0, vcc, v18, v0
	v_addc_co_u32_e32 v1, vcc, v19, v1, vcc
	v_add_co_u32_e32 v0, vcc, 0x3000, v0
	v_addc_co_u32_e32 v1, vcc, 0, v1, vcc
	flat_store_dword v[0:1], v3 offset:1024
	s_endpgm
.LBB815_175:
	s_endpgm
	.section	.rodata,"a",@progbits
	.p2align	6, 0x0
	.amdhsa_kernel _ZN7rocprim17ROCPRIM_400000_NS6detail17trampoline_kernelINS0_14default_configENS1_27scan_by_key_config_selectorIiiEEZZNS1_16scan_by_key_implILNS1_25lookback_scan_determinismE0ELb1ES3_N6thrust23THRUST_200600_302600_NS6detail15normal_iteratorINS9_10device_ptrIiEEEESE_SE_iNS9_4plusIiEE19head_flag_predicateiEE10hipError_tPvRmT2_T3_T4_T5_mT6_T7_P12ihipStream_tbENKUlT_T0_E_clISt17integral_constantIbLb0EESX_IbLb1EEEEDaST_SU_EUlST_E_NS1_11comp_targetILNS1_3genE4ELNS1_11target_archE910ELNS1_3gpuE8ELNS1_3repE0EEENS1_30default_config_static_selectorELNS0_4arch9wavefront6targetE1EEEvT1_
		.amdhsa_group_segment_fixed_size 16384
		.amdhsa_private_segment_fixed_size 0
		.amdhsa_kernarg_size 112
		.amdhsa_user_sgpr_count 6
		.amdhsa_user_sgpr_private_segment_buffer 1
		.amdhsa_user_sgpr_dispatch_ptr 0
		.amdhsa_user_sgpr_queue_ptr 0
		.amdhsa_user_sgpr_kernarg_segment_ptr 1
		.amdhsa_user_sgpr_dispatch_id 0
		.amdhsa_user_sgpr_flat_scratch_init 0
		.amdhsa_user_sgpr_kernarg_preload_length 0
		.amdhsa_user_sgpr_kernarg_preload_offset 0
		.amdhsa_user_sgpr_private_segment_size 0
		.amdhsa_uses_dynamic_stack 0
		.amdhsa_system_sgpr_private_segment_wavefront_offset 0
		.amdhsa_system_sgpr_workgroup_id_x 1
		.amdhsa_system_sgpr_workgroup_id_y 0
		.amdhsa_system_sgpr_workgroup_id_z 0
		.amdhsa_system_sgpr_workgroup_info 0
		.amdhsa_system_vgpr_workitem_id 0
		.amdhsa_next_free_vgpr 67
		.amdhsa_next_free_sgpr 60
		.amdhsa_accum_offset 68
		.amdhsa_reserve_vcc 1
		.amdhsa_reserve_flat_scratch 0
		.amdhsa_float_round_mode_32 0
		.amdhsa_float_round_mode_16_64 0
		.amdhsa_float_denorm_mode_32 3
		.amdhsa_float_denorm_mode_16_64 3
		.amdhsa_dx10_clamp 1
		.amdhsa_ieee_mode 1
		.amdhsa_fp16_overflow 0
		.amdhsa_tg_split 0
		.amdhsa_exception_fp_ieee_invalid_op 0
		.amdhsa_exception_fp_denorm_src 0
		.amdhsa_exception_fp_ieee_div_zero 0
		.amdhsa_exception_fp_ieee_overflow 0
		.amdhsa_exception_fp_ieee_underflow 0
		.amdhsa_exception_fp_ieee_inexact 0
		.amdhsa_exception_int_div_zero 0
	.end_amdhsa_kernel
	.section	.text._ZN7rocprim17ROCPRIM_400000_NS6detail17trampoline_kernelINS0_14default_configENS1_27scan_by_key_config_selectorIiiEEZZNS1_16scan_by_key_implILNS1_25lookback_scan_determinismE0ELb1ES3_N6thrust23THRUST_200600_302600_NS6detail15normal_iteratorINS9_10device_ptrIiEEEESE_SE_iNS9_4plusIiEE19head_flag_predicateiEE10hipError_tPvRmT2_T3_T4_T5_mT6_T7_P12ihipStream_tbENKUlT_T0_E_clISt17integral_constantIbLb0EESX_IbLb1EEEEDaST_SU_EUlST_E_NS1_11comp_targetILNS1_3genE4ELNS1_11target_archE910ELNS1_3gpuE8ELNS1_3repE0EEENS1_30default_config_static_selectorELNS0_4arch9wavefront6targetE1EEEvT1_,"axG",@progbits,_ZN7rocprim17ROCPRIM_400000_NS6detail17trampoline_kernelINS0_14default_configENS1_27scan_by_key_config_selectorIiiEEZZNS1_16scan_by_key_implILNS1_25lookback_scan_determinismE0ELb1ES3_N6thrust23THRUST_200600_302600_NS6detail15normal_iteratorINS9_10device_ptrIiEEEESE_SE_iNS9_4plusIiEE19head_flag_predicateiEE10hipError_tPvRmT2_T3_T4_T5_mT6_T7_P12ihipStream_tbENKUlT_T0_E_clISt17integral_constantIbLb0EESX_IbLb1EEEEDaST_SU_EUlST_E_NS1_11comp_targetILNS1_3genE4ELNS1_11target_archE910ELNS1_3gpuE8ELNS1_3repE0EEENS1_30default_config_static_selectorELNS0_4arch9wavefront6targetE1EEEvT1_,comdat
.Lfunc_end815:
	.size	_ZN7rocprim17ROCPRIM_400000_NS6detail17trampoline_kernelINS0_14default_configENS1_27scan_by_key_config_selectorIiiEEZZNS1_16scan_by_key_implILNS1_25lookback_scan_determinismE0ELb1ES3_N6thrust23THRUST_200600_302600_NS6detail15normal_iteratorINS9_10device_ptrIiEEEESE_SE_iNS9_4plusIiEE19head_flag_predicateiEE10hipError_tPvRmT2_T3_T4_T5_mT6_T7_P12ihipStream_tbENKUlT_T0_E_clISt17integral_constantIbLb0EESX_IbLb1EEEEDaST_SU_EUlST_E_NS1_11comp_targetILNS1_3genE4ELNS1_11target_archE910ELNS1_3gpuE8ELNS1_3repE0EEENS1_30default_config_static_selectorELNS0_4arch9wavefront6targetE1EEEvT1_, .Lfunc_end815-_ZN7rocprim17ROCPRIM_400000_NS6detail17trampoline_kernelINS0_14default_configENS1_27scan_by_key_config_selectorIiiEEZZNS1_16scan_by_key_implILNS1_25lookback_scan_determinismE0ELb1ES3_N6thrust23THRUST_200600_302600_NS6detail15normal_iteratorINS9_10device_ptrIiEEEESE_SE_iNS9_4plusIiEE19head_flag_predicateiEE10hipError_tPvRmT2_T3_T4_T5_mT6_T7_P12ihipStream_tbENKUlT_T0_E_clISt17integral_constantIbLb0EESX_IbLb1EEEEDaST_SU_EUlST_E_NS1_11comp_targetILNS1_3genE4ELNS1_11target_archE910ELNS1_3gpuE8ELNS1_3repE0EEENS1_30default_config_static_selectorELNS0_4arch9wavefront6targetE1EEEvT1_
                                        ; -- End function
	.section	.AMDGPU.csdata,"",@progbits
; Kernel info:
; codeLenInByte = 11144
; NumSgprs: 64
; NumVgprs: 67
; NumAgprs: 0
; TotalNumVgprs: 67
; ScratchSize: 0
; MemoryBound: 0
; FloatMode: 240
; IeeeMode: 1
; LDSByteSize: 16384 bytes/workgroup (compile time only)
; SGPRBlocks: 7
; VGPRBlocks: 8
; NumSGPRsForWavesPerEU: 64
; NumVGPRsForWavesPerEU: 67
; AccumOffset: 68
; Occupancy: 4
; WaveLimiterHint : 1
; COMPUTE_PGM_RSRC2:SCRATCH_EN: 0
; COMPUTE_PGM_RSRC2:USER_SGPR: 6
; COMPUTE_PGM_RSRC2:TRAP_HANDLER: 0
; COMPUTE_PGM_RSRC2:TGID_X_EN: 1
; COMPUTE_PGM_RSRC2:TGID_Y_EN: 0
; COMPUTE_PGM_RSRC2:TGID_Z_EN: 0
; COMPUTE_PGM_RSRC2:TIDIG_COMP_CNT: 0
; COMPUTE_PGM_RSRC3_GFX90A:ACCUM_OFFSET: 16
; COMPUTE_PGM_RSRC3_GFX90A:TG_SPLIT: 0
	.section	.text._ZN7rocprim17ROCPRIM_400000_NS6detail17trampoline_kernelINS0_14default_configENS1_27scan_by_key_config_selectorIiiEEZZNS1_16scan_by_key_implILNS1_25lookback_scan_determinismE0ELb1ES3_N6thrust23THRUST_200600_302600_NS6detail15normal_iteratorINS9_10device_ptrIiEEEESE_SE_iNS9_4plusIiEE19head_flag_predicateiEE10hipError_tPvRmT2_T3_T4_T5_mT6_T7_P12ihipStream_tbENKUlT_T0_E_clISt17integral_constantIbLb0EESX_IbLb1EEEEDaST_SU_EUlST_E_NS1_11comp_targetILNS1_3genE3ELNS1_11target_archE908ELNS1_3gpuE7ELNS1_3repE0EEENS1_30default_config_static_selectorELNS0_4arch9wavefront6targetE1EEEvT1_,"axG",@progbits,_ZN7rocprim17ROCPRIM_400000_NS6detail17trampoline_kernelINS0_14default_configENS1_27scan_by_key_config_selectorIiiEEZZNS1_16scan_by_key_implILNS1_25lookback_scan_determinismE0ELb1ES3_N6thrust23THRUST_200600_302600_NS6detail15normal_iteratorINS9_10device_ptrIiEEEESE_SE_iNS9_4plusIiEE19head_flag_predicateiEE10hipError_tPvRmT2_T3_T4_T5_mT6_T7_P12ihipStream_tbENKUlT_T0_E_clISt17integral_constantIbLb0EESX_IbLb1EEEEDaST_SU_EUlST_E_NS1_11comp_targetILNS1_3genE3ELNS1_11target_archE908ELNS1_3gpuE7ELNS1_3repE0EEENS1_30default_config_static_selectorELNS0_4arch9wavefront6targetE1EEEvT1_,comdat
	.protected	_ZN7rocprim17ROCPRIM_400000_NS6detail17trampoline_kernelINS0_14default_configENS1_27scan_by_key_config_selectorIiiEEZZNS1_16scan_by_key_implILNS1_25lookback_scan_determinismE0ELb1ES3_N6thrust23THRUST_200600_302600_NS6detail15normal_iteratorINS9_10device_ptrIiEEEESE_SE_iNS9_4plusIiEE19head_flag_predicateiEE10hipError_tPvRmT2_T3_T4_T5_mT6_T7_P12ihipStream_tbENKUlT_T0_E_clISt17integral_constantIbLb0EESX_IbLb1EEEEDaST_SU_EUlST_E_NS1_11comp_targetILNS1_3genE3ELNS1_11target_archE908ELNS1_3gpuE7ELNS1_3repE0EEENS1_30default_config_static_selectorELNS0_4arch9wavefront6targetE1EEEvT1_ ; -- Begin function _ZN7rocprim17ROCPRIM_400000_NS6detail17trampoline_kernelINS0_14default_configENS1_27scan_by_key_config_selectorIiiEEZZNS1_16scan_by_key_implILNS1_25lookback_scan_determinismE0ELb1ES3_N6thrust23THRUST_200600_302600_NS6detail15normal_iteratorINS9_10device_ptrIiEEEESE_SE_iNS9_4plusIiEE19head_flag_predicateiEE10hipError_tPvRmT2_T3_T4_T5_mT6_T7_P12ihipStream_tbENKUlT_T0_E_clISt17integral_constantIbLb0EESX_IbLb1EEEEDaST_SU_EUlST_E_NS1_11comp_targetILNS1_3genE3ELNS1_11target_archE908ELNS1_3gpuE7ELNS1_3repE0EEENS1_30default_config_static_selectorELNS0_4arch9wavefront6targetE1EEEvT1_
	.globl	_ZN7rocprim17ROCPRIM_400000_NS6detail17trampoline_kernelINS0_14default_configENS1_27scan_by_key_config_selectorIiiEEZZNS1_16scan_by_key_implILNS1_25lookback_scan_determinismE0ELb1ES3_N6thrust23THRUST_200600_302600_NS6detail15normal_iteratorINS9_10device_ptrIiEEEESE_SE_iNS9_4plusIiEE19head_flag_predicateiEE10hipError_tPvRmT2_T3_T4_T5_mT6_T7_P12ihipStream_tbENKUlT_T0_E_clISt17integral_constantIbLb0EESX_IbLb1EEEEDaST_SU_EUlST_E_NS1_11comp_targetILNS1_3genE3ELNS1_11target_archE908ELNS1_3gpuE7ELNS1_3repE0EEENS1_30default_config_static_selectorELNS0_4arch9wavefront6targetE1EEEvT1_
	.p2align	8
	.type	_ZN7rocprim17ROCPRIM_400000_NS6detail17trampoline_kernelINS0_14default_configENS1_27scan_by_key_config_selectorIiiEEZZNS1_16scan_by_key_implILNS1_25lookback_scan_determinismE0ELb1ES3_N6thrust23THRUST_200600_302600_NS6detail15normal_iteratorINS9_10device_ptrIiEEEESE_SE_iNS9_4plusIiEE19head_flag_predicateiEE10hipError_tPvRmT2_T3_T4_T5_mT6_T7_P12ihipStream_tbENKUlT_T0_E_clISt17integral_constantIbLb0EESX_IbLb1EEEEDaST_SU_EUlST_E_NS1_11comp_targetILNS1_3genE3ELNS1_11target_archE908ELNS1_3gpuE7ELNS1_3repE0EEENS1_30default_config_static_selectorELNS0_4arch9wavefront6targetE1EEEvT1_,@function
_ZN7rocprim17ROCPRIM_400000_NS6detail17trampoline_kernelINS0_14default_configENS1_27scan_by_key_config_selectorIiiEEZZNS1_16scan_by_key_implILNS1_25lookback_scan_determinismE0ELb1ES3_N6thrust23THRUST_200600_302600_NS6detail15normal_iteratorINS9_10device_ptrIiEEEESE_SE_iNS9_4plusIiEE19head_flag_predicateiEE10hipError_tPvRmT2_T3_T4_T5_mT6_T7_P12ihipStream_tbENKUlT_T0_E_clISt17integral_constantIbLb0EESX_IbLb1EEEEDaST_SU_EUlST_E_NS1_11comp_targetILNS1_3genE3ELNS1_11target_archE908ELNS1_3gpuE7ELNS1_3repE0EEENS1_30default_config_static_selectorELNS0_4arch9wavefront6targetE1EEEvT1_: ; @_ZN7rocprim17ROCPRIM_400000_NS6detail17trampoline_kernelINS0_14default_configENS1_27scan_by_key_config_selectorIiiEEZZNS1_16scan_by_key_implILNS1_25lookback_scan_determinismE0ELb1ES3_N6thrust23THRUST_200600_302600_NS6detail15normal_iteratorINS9_10device_ptrIiEEEESE_SE_iNS9_4plusIiEE19head_flag_predicateiEE10hipError_tPvRmT2_T3_T4_T5_mT6_T7_P12ihipStream_tbENKUlT_T0_E_clISt17integral_constantIbLb0EESX_IbLb1EEEEDaST_SU_EUlST_E_NS1_11comp_targetILNS1_3genE3ELNS1_11target_archE908ELNS1_3gpuE7ELNS1_3repE0EEENS1_30default_config_static_selectorELNS0_4arch9wavefront6targetE1EEEvT1_
; %bb.0:
	.section	.rodata,"a",@progbits
	.p2align	6, 0x0
	.amdhsa_kernel _ZN7rocprim17ROCPRIM_400000_NS6detail17trampoline_kernelINS0_14default_configENS1_27scan_by_key_config_selectorIiiEEZZNS1_16scan_by_key_implILNS1_25lookback_scan_determinismE0ELb1ES3_N6thrust23THRUST_200600_302600_NS6detail15normal_iteratorINS9_10device_ptrIiEEEESE_SE_iNS9_4plusIiEE19head_flag_predicateiEE10hipError_tPvRmT2_T3_T4_T5_mT6_T7_P12ihipStream_tbENKUlT_T0_E_clISt17integral_constantIbLb0EESX_IbLb1EEEEDaST_SU_EUlST_E_NS1_11comp_targetILNS1_3genE3ELNS1_11target_archE908ELNS1_3gpuE7ELNS1_3repE0EEENS1_30default_config_static_selectorELNS0_4arch9wavefront6targetE1EEEvT1_
		.amdhsa_group_segment_fixed_size 0
		.amdhsa_private_segment_fixed_size 0
		.amdhsa_kernarg_size 112
		.amdhsa_user_sgpr_count 6
		.amdhsa_user_sgpr_private_segment_buffer 1
		.amdhsa_user_sgpr_dispatch_ptr 0
		.amdhsa_user_sgpr_queue_ptr 0
		.amdhsa_user_sgpr_kernarg_segment_ptr 1
		.amdhsa_user_sgpr_dispatch_id 0
		.amdhsa_user_sgpr_flat_scratch_init 0
		.amdhsa_user_sgpr_kernarg_preload_length 0
		.amdhsa_user_sgpr_kernarg_preload_offset 0
		.amdhsa_user_sgpr_private_segment_size 0
		.amdhsa_uses_dynamic_stack 0
		.amdhsa_system_sgpr_private_segment_wavefront_offset 0
		.amdhsa_system_sgpr_workgroup_id_x 1
		.amdhsa_system_sgpr_workgroup_id_y 0
		.amdhsa_system_sgpr_workgroup_id_z 0
		.amdhsa_system_sgpr_workgroup_info 0
		.amdhsa_system_vgpr_workitem_id 0
		.amdhsa_next_free_vgpr 1
		.amdhsa_next_free_sgpr 0
		.amdhsa_accum_offset 4
		.amdhsa_reserve_vcc 0
		.amdhsa_reserve_flat_scratch 0
		.amdhsa_float_round_mode_32 0
		.amdhsa_float_round_mode_16_64 0
		.amdhsa_float_denorm_mode_32 3
		.amdhsa_float_denorm_mode_16_64 3
		.amdhsa_dx10_clamp 1
		.amdhsa_ieee_mode 1
		.amdhsa_fp16_overflow 0
		.amdhsa_tg_split 0
		.amdhsa_exception_fp_ieee_invalid_op 0
		.amdhsa_exception_fp_denorm_src 0
		.amdhsa_exception_fp_ieee_div_zero 0
		.amdhsa_exception_fp_ieee_overflow 0
		.amdhsa_exception_fp_ieee_underflow 0
		.amdhsa_exception_fp_ieee_inexact 0
		.amdhsa_exception_int_div_zero 0
	.end_amdhsa_kernel
	.section	.text._ZN7rocprim17ROCPRIM_400000_NS6detail17trampoline_kernelINS0_14default_configENS1_27scan_by_key_config_selectorIiiEEZZNS1_16scan_by_key_implILNS1_25lookback_scan_determinismE0ELb1ES3_N6thrust23THRUST_200600_302600_NS6detail15normal_iteratorINS9_10device_ptrIiEEEESE_SE_iNS9_4plusIiEE19head_flag_predicateiEE10hipError_tPvRmT2_T3_T4_T5_mT6_T7_P12ihipStream_tbENKUlT_T0_E_clISt17integral_constantIbLb0EESX_IbLb1EEEEDaST_SU_EUlST_E_NS1_11comp_targetILNS1_3genE3ELNS1_11target_archE908ELNS1_3gpuE7ELNS1_3repE0EEENS1_30default_config_static_selectorELNS0_4arch9wavefront6targetE1EEEvT1_,"axG",@progbits,_ZN7rocprim17ROCPRIM_400000_NS6detail17trampoline_kernelINS0_14default_configENS1_27scan_by_key_config_selectorIiiEEZZNS1_16scan_by_key_implILNS1_25lookback_scan_determinismE0ELb1ES3_N6thrust23THRUST_200600_302600_NS6detail15normal_iteratorINS9_10device_ptrIiEEEESE_SE_iNS9_4plusIiEE19head_flag_predicateiEE10hipError_tPvRmT2_T3_T4_T5_mT6_T7_P12ihipStream_tbENKUlT_T0_E_clISt17integral_constantIbLb0EESX_IbLb1EEEEDaST_SU_EUlST_E_NS1_11comp_targetILNS1_3genE3ELNS1_11target_archE908ELNS1_3gpuE7ELNS1_3repE0EEENS1_30default_config_static_selectorELNS0_4arch9wavefront6targetE1EEEvT1_,comdat
.Lfunc_end816:
	.size	_ZN7rocprim17ROCPRIM_400000_NS6detail17trampoline_kernelINS0_14default_configENS1_27scan_by_key_config_selectorIiiEEZZNS1_16scan_by_key_implILNS1_25lookback_scan_determinismE0ELb1ES3_N6thrust23THRUST_200600_302600_NS6detail15normal_iteratorINS9_10device_ptrIiEEEESE_SE_iNS9_4plusIiEE19head_flag_predicateiEE10hipError_tPvRmT2_T3_T4_T5_mT6_T7_P12ihipStream_tbENKUlT_T0_E_clISt17integral_constantIbLb0EESX_IbLb1EEEEDaST_SU_EUlST_E_NS1_11comp_targetILNS1_3genE3ELNS1_11target_archE908ELNS1_3gpuE7ELNS1_3repE0EEENS1_30default_config_static_selectorELNS0_4arch9wavefront6targetE1EEEvT1_, .Lfunc_end816-_ZN7rocprim17ROCPRIM_400000_NS6detail17trampoline_kernelINS0_14default_configENS1_27scan_by_key_config_selectorIiiEEZZNS1_16scan_by_key_implILNS1_25lookback_scan_determinismE0ELb1ES3_N6thrust23THRUST_200600_302600_NS6detail15normal_iteratorINS9_10device_ptrIiEEEESE_SE_iNS9_4plusIiEE19head_flag_predicateiEE10hipError_tPvRmT2_T3_T4_T5_mT6_T7_P12ihipStream_tbENKUlT_T0_E_clISt17integral_constantIbLb0EESX_IbLb1EEEEDaST_SU_EUlST_E_NS1_11comp_targetILNS1_3genE3ELNS1_11target_archE908ELNS1_3gpuE7ELNS1_3repE0EEENS1_30default_config_static_selectorELNS0_4arch9wavefront6targetE1EEEvT1_
                                        ; -- End function
	.section	.AMDGPU.csdata,"",@progbits
; Kernel info:
; codeLenInByte = 0
; NumSgprs: 4
; NumVgprs: 0
; NumAgprs: 0
; TotalNumVgprs: 0
; ScratchSize: 0
; MemoryBound: 0
; FloatMode: 240
; IeeeMode: 1
; LDSByteSize: 0 bytes/workgroup (compile time only)
; SGPRBlocks: 0
; VGPRBlocks: 0
; NumSGPRsForWavesPerEU: 4
; NumVGPRsForWavesPerEU: 1
; AccumOffset: 4
; Occupancy: 8
; WaveLimiterHint : 0
; COMPUTE_PGM_RSRC2:SCRATCH_EN: 0
; COMPUTE_PGM_RSRC2:USER_SGPR: 6
; COMPUTE_PGM_RSRC2:TRAP_HANDLER: 0
; COMPUTE_PGM_RSRC2:TGID_X_EN: 1
; COMPUTE_PGM_RSRC2:TGID_Y_EN: 0
; COMPUTE_PGM_RSRC2:TGID_Z_EN: 0
; COMPUTE_PGM_RSRC2:TIDIG_COMP_CNT: 0
; COMPUTE_PGM_RSRC3_GFX90A:ACCUM_OFFSET: 0
; COMPUTE_PGM_RSRC3_GFX90A:TG_SPLIT: 0
	.section	.text._ZN7rocprim17ROCPRIM_400000_NS6detail17trampoline_kernelINS0_14default_configENS1_27scan_by_key_config_selectorIiiEEZZNS1_16scan_by_key_implILNS1_25lookback_scan_determinismE0ELb1ES3_N6thrust23THRUST_200600_302600_NS6detail15normal_iteratorINS9_10device_ptrIiEEEESE_SE_iNS9_4plusIiEE19head_flag_predicateiEE10hipError_tPvRmT2_T3_T4_T5_mT6_T7_P12ihipStream_tbENKUlT_T0_E_clISt17integral_constantIbLb0EESX_IbLb1EEEEDaST_SU_EUlST_E_NS1_11comp_targetILNS1_3genE2ELNS1_11target_archE906ELNS1_3gpuE6ELNS1_3repE0EEENS1_30default_config_static_selectorELNS0_4arch9wavefront6targetE1EEEvT1_,"axG",@progbits,_ZN7rocprim17ROCPRIM_400000_NS6detail17trampoline_kernelINS0_14default_configENS1_27scan_by_key_config_selectorIiiEEZZNS1_16scan_by_key_implILNS1_25lookback_scan_determinismE0ELb1ES3_N6thrust23THRUST_200600_302600_NS6detail15normal_iteratorINS9_10device_ptrIiEEEESE_SE_iNS9_4plusIiEE19head_flag_predicateiEE10hipError_tPvRmT2_T3_T4_T5_mT6_T7_P12ihipStream_tbENKUlT_T0_E_clISt17integral_constantIbLb0EESX_IbLb1EEEEDaST_SU_EUlST_E_NS1_11comp_targetILNS1_3genE2ELNS1_11target_archE906ELNS1_3gpuE6ELNS1_3repE0EEENS1_30default_config_static_selectorELNS0_4arch9wavefront6targetE1EEEvT1_,comdat
	.protected	_ZN7rocprim17ROCPRIM_400000_NS6detail17trampoline_kernelINS0_14default_configENS1_27scan_by_key_config_selectorIiiEEZZNS1_16scan_by_key_implILNS1_25lookback_scan_determinismE0ELb1ES3_N6thrust23THRUST_200600_302600_NS6detail15normal_iteratorINS9_10device_ptrIiEEEESE_SE_iNS9_4plusIiEE19head_flag_predicateiEE10hipError_tPvRmT2_T3_T4_T5_mT6_T7_P12ihipStream_tbENKUlT_T0_E_clISt17integral_constantIbLb0EESX_IbLb1EEEEDaST_SU_EUlST_E_NS1_11comp_targetILNS1_3genE2ELNS1_11target_archE906ELNS1_3gpuE6ELNS1_3repE0EEENS1_30default_config_static_selectorELNS0_4arch9wavefront6targetE1EEEvT1_ ; -- Begin function _ZN7rocprim17ROCPRIM_400000_NS6detail17trampoline_kernelINS0_14default_configENS1_27scan_by_key_config_selectorIiiEEZZNS1_16scan_by_key_implILNS1_25lookback_scan_determinismE0ELb1ES3_N6thrust23THRUST_200600_302600_NS6detail15normal_iteratorINS9_10device_ptrIiEEEESE_SE_iNS9_4plusIiEE19head_flag_predicateiEE10hipError_tPvRmT2_T3_T4_T5_mT6_T7_P12ihipStream_tbENKUlT_T0_E_clISt17integral_constantIbLb0EESX_IbLb1EEEEDaST_SU_EUlST_E_NS1_11comp_targetILNS1_3genE2ELNS1_11target_archE906ELNS1_3gpuE6ELNS1_3repE0EEENS1_30default_config_static_selectorELNS0_4arch9wavefront6targetE1EEEvT1_
	.globl	_ZN7rocprim17ROCPRIM_400000_NS6detail17trampoline_kernelINS0_14default_configENS1_27scan_by_key_config_selectorIiiEEZZNS1_16scan_by_key_implILNS1_25lookback_scan_determinismE0ELb1ES3_N6thrust23THRUST_200600_302600_NS6detail15normal_iteratorINS9_10device_ptrIiEEEESE_SE_iNS9_4plusIiEE19head_flag_predicateiEE10hipError_tPvRmT2_T3_T4_T5_mT6_T7_P12ihipStream_tbENKUlT_T0_E_clISt17integral_constantIbLb0EESX_IbLb1EEEEDaST_SU_EUlST_E_NS1_11comp_targetILNS1_3genE2ELNS1_11target_archE906ELNS1_3gpuE6ELNS1_3repE0EEENS1_30default_config_static_selectorELNS0_4arch9wavefront6targetE1EEEvT1_
	.p2align	8
	.type	_ZN7rocprim17ROCPRIM_400000_NS6detail17trampoline_kernelINS0_14default_configENS1_27scan_by_key_config_selectorIiiEEZZNS1_16scan_by_key_implILNS1_25lookback_scan_determinismE0ELb1ES3_N6thrust23THRUST_200600_302600_NS6detail15normal_iteratorINS9_10device_ptrIiEEEESE_SE_iNS9_4plusIiEE19head_flag_predicateiEE10hipError_tPvRmT2_T3_T4_T5_mT6_T7_P12ihipStream_tbENKUlT_T0_E_clISt17integral_constantIbLb0EESX_IbLb1EEEEDaST_SU_EUlST_E_NS1_11comp_targetILNS1_3genE2ELNS1_11target_archE906ELNS1_3gpuE6ELNS1_3repE0EEENS1_30default_config_static_selectorELNS0_4arch9wavefront6targetE1EEEvT1_,@function
_ZN7rocprim17ROCPRIM_400000_NS6detail17trampoline_kernelINS0_14default_configENS1_27scan_by_key_config_selectorIiiEEZZNS1_16scan_by_key_implILNS1_25lookback_scan_determinismE0ELb1ES3_N6thrust23THRUST_200600_302600_NS6detail15normal_iteratorINS9_10device_ptrIiEEEESE_SE_iNS9_4plusIiEE19head_flag_predicateiEE10hipError_tPvRmT2_T3_T4_T5_mT6_T7_P12ihipStream_tbENKUlT_T0_E_clISt17integral_constantIbLb0EESX_IbLb1EEEEDaST_SU_EUlST_E_NS1_11comp_targetILNS1_3genE2ELNS1_11target_archE906ELNS1_3gpuE6ELNS1_3repE0EEENS1_30default_config_static_selectorELNS0_4arch9wavefront6targetE1EEEvT1_: ; @_ZN7rocprim17ROCPRIM_400000_NS6detail17trampoline_kernelINS0_14default_configENS1_27scan_by_key_config_selectorIiiEEZZNS1_16scan_by_key_implILNS1_25lookback_scan_determinismE0ELb1ES3_N6thrust23THRUST_200600_302600_NS6detail15normal_iteratorINS9_10device_ptrIiEEEESE_SE_iNS9_4plusIiEE19head_flag_predicateiEE10hipError_tPvRmT2_T3_T4_T5_mT6_T7_P12ihipStream_tbENKUlT_T0_E_clISt17integral_constantIbLb0EESX_IbLb1EEEEDaST_SU_EUlST_E_NS1_11comp_targetILNS1_3genE2ELNS1_11target_archE906ELNS1_3gpuE6ELNS1_3repE0EEENS1_30default_config_static_selectorELNS0_4arch9wavefront6targetE1EEEvT1_
; %bb.0:
	.section	.rodata,"a",@progbits
	.p2align	6, 0x0
	.amdhsa_kernel _ZN7rocprim17ROCPRIM_400000_NS6detail17trampoline_kernelINS0_14default_configENS1_27scan_by_key_config_selectorIiiEEZZNS1_16scan_by_key_implILNS1_25lookback_scan_determinismE0ELb1ES3_N6thrust23THRUST_200600_302600_NS6detail15normal_iteratorINS9_10device_ptrIiEEEESE_SE_iNS9_4plusIiEE19head_flag_predicateiEE10hipError_tPvRmT2_T3_T4_T5_mT6_T7_P12ihipStream_tbENKUlT_T0_E_clISt17integral_constantIbLb0EESX_IbLb1EEEEDaST_SU_EUlST_E_NS1_11comp_targetILNS1_3genE2ELNS1_11target_archE906ELNS1_3gpuE6ELNS1_3repE0EEENS1_30default_config_static_selectorELNS0_4arch9wavefront6targetE1EEEvT1_
		.amdhsa_group_segment_fixed_size 0
		.amdhsa_private_segment_fixed_size 0
		.amdhsa_kernarg_size 112
		.amdhsa_user_sgpr_count 6
		.amdhsa_user_sgpr_private_segment_buffer 1
		.amdhsa_user_sgpr_dispatch_ptr 0
		.amdhsa_user_sgpr_queue_ptr 0
		.amdhsa_user_sgpr_kernarg_segment_ptr 1
		.amdhsa_user_sgpr_dispatch_id 0
		.amdhsa_user_sgpr_flat_scratch_init 0
		.amdhsa_user_sgpr_kernarg_preload_length 0
		.amdhsa_user_sgpr_kernarg_preload_offset 0
		.amdhsa_user_sgpr_private_segment_size 0
		.amdhsa_uses_dynamic_stack 0
		.amdhsa_system_sgpr_private_segment_wavefront_offset 0
		.amdhsa_system_sgpr_workgroup_id_x 1
		.amdhsa_system_sgpr_workgroup_id_y 0
		.amdhsa_system_sgpr_workgroup_id_z 0
		.amdhsa_system_sgpr_workgroup_info 0
		.amdhsa_system_vgpr_workitem_id 0
		.amdhsa_next_free_vgpr 1
		.amdhsa_next_free_sgpr 0
		.amdhsa_accum_offset 4
		.amdhsa_reserve_vcc 0
		.amdhsa_reserve_flat_scratch 0
		.amdhsa_float_round_mode_32 0
		.amdhsa_float_round_mode_16_64 0
		.amdhsa_float_denorm_mode_32 3
		.amdhsa_float_denorm_mode_16_64 3
		.amdhsa_dx10_clamp 1
		.amdhsa_ieee_mode 1
		.amdhsa_fp16_overflow 0
		.amdhsa_tg_split 0
		.amdhsa_exception_fp_ieee_invalid_op 0
		.amdhsa_exception_fp_denorm_src 0
		.amdhsa_exception_fp_ieee_div_zero 0
		.amdhsa_exception_fp_ieee_overflow 0
		.amdhsa_exception_fp_ieee_underflow 0
		.amdhsa_exception_fp_ieee_inexact 0
		.amdhsa_exception_int_div_zero 0
	.end_amdhsa_kernel
	.section	.text._ZN7rocprim17ROCPRIM_400000_NS6detail17trampoline_kernelINS0_14default_configENS1_27scan_by_key_config_selectorIiiEEZZNS1_16scan_by_key_implILNS1_25lookback_scan_determinismE0ELb1ES3_N6thrust23THRUST_200600_302600_NS6detail15normal_iteratorINS9_10device_ptrIiEEEESE_SE_iNS9_4plusIiEE19head_flag_predicateiEE10hipError_tPvRmT2_T3_T4_T5_mT6_T7_P12ihipStream_tbENKUlT_T0_E_clISt17integral_constantIbLb0EESX_IbLb1EEEEDaST_SU_EUlST_E_NS1_11comp_targetILNS1_3genE2ELNS1_11target_archE906ELNS1_3gpuE6ELNS1_3repE0EEENS1_30default_config_static_selectorELNS0_4arch9wavefront6targetE1EEEvT1_,"axG",@progbits,_ZN7rocprim17ROCPRIM_400000_NS6detail17trampoline_kernelINS0_14default_configENS1_27scan_by_key_config_selectorIiiEEZZNS1_16scan_by_key_implILNS1_25lookback_scan_determinismE0ELb1ES3_N6thrust23THRUST_200600_302600_NS6detail15normal_iteratorINS9_10device_ptrIiEEEESE_SE_iNS9_4plusIiEE19head_flag_predicateiEE10hipError_tPvRmT2_T3_T4_T5_mT6_T7_P12ihipStream_tbENKUlT_T0_E_clISt17integral_constantIbLb0EESX_IbLb1EEEEDaST_SU_EUlST_E_NS1_11comp_targetILNS1_3genE2ELNS1_11target_archE906ELNS1_3gpuE6ELNS1_3repE0EEENS1_30default_config_static_selectorELNS0_4arch9wavefront6targetE1EEEvT1_,comdat
.Lfunc_end817:
	.size	_ZN7rocprim17ROCPRIM_400000_NS6detail17trampoline_kernelINS0_14default_configENS1_27scan_by_key_config_selectorIiiEEZZNS1_16scan_by_key_implILNS1_25lookback_scan_determinismE0ELb1ES3_N6thrust23THRUST_200600_302600_NS6detail15normal_iteratorINS9_10device_ptrIiEEEESE_SE_iNS9_4plusIiEE19head_flag_predicateiEE10hipError_tPvRmT2_T3_T4_T5_mT6_T7_P12ihipStream_tbENKUlT_T0_E_clISt17integral_constantIbLb0EESX_IbLb1EEEEDaST_SU_EUlST_E_NS1_11comp_targetILNS1_3genE2ELNS1_11target_archE906ELNS1_3gpuE6ELNS1_3repE0EEENS1_30default_config_static_selectorELNS0_4arch9wavefront6targetE1EEEvT1_, .Lfunc_end817-_ZN7rocprim17ROCPRIM_400000_NS6detail17trampoline_kernelINS0_14default_configENS1_27scan_by_key_config_selectorIiiEEZZNS1_16scan_by_key_implILNS1_25lookback_scan_determinismE0ELb1ES3_N6thrust23THRUST_200600_302600_NS6detail15normal_iteratorINS9_10device_ptrIiEEEESE_SE_iNS9_4plusIiEE19head_flag_predicateiEE10hipError_tPvRmT2_T3_T4_T5_mT6_T7_P12ihipStream_tbENKUlT_T0_E_clISt17integral_constantIbLb0EESX_IbLb1EEEEDaST_SU_EUlST_E_NS1_11comp_targetILNS1_3genE2ELNS1_11target_archE906ELNS1_3gpuE6ELNS1_3repE0EEENS1_30default_config_static_selectorELNS0_4arch9wavefront6targetE1EEEvT1_
                                        ; -- End function
	.section	.AMDGPU.csdata,"",@progbits
; Kernel info:
; codeLenInByte = 0
; NumSgprs: 4
; NumVgprs: 0
; NumAgprs: 0
; TotalNumVgprs: 0
; ScratchSize: 0
; MemoryBound: 0
; FloatMode: 240
; IeeeMode: 1
; LDSByteSize: 0 bytes/workgroup (compile time only)
; SGPRBlocks: 0
; VGPRBlocks: 0
; NumSGPRsForWavesPerEU: 4
; NumVGPRsForWavesPerEU: 1
; AccumOffset: 4
; Occupancy: 8
; WaveLimiterHint : 0
; COMPUTE_PGM_RSRC2:SCRATCH_EN: 0
; COMPUTE_PGM_RSRC2:USER_SGPR: 6
; COMPUTE_PGM_RSRC2:TRAP_HANDLER: 0
; COMPUTE_PGM_RSRC2:TGID_X_EN: 1
; COMPUTE_PGM_RSRC2:TGID_Y_EN: 0
; COMPUTE_PGM_RSRC2:TGID_Z_EN: 0
; COMPUTE_PGM_RSRC2:TIDIG_COMP_CNT: 0
; COMPUTE_PGM_RSRC3_GFX90A:ACCUM_OFFSET: 0
; COMPUTE_PGM_RSRC3_GFX90A:TG_SPLIT: 0
	.section	.text._ZN7rocprim17ROCPRIM_400000_NS6detail17trampoline_kernelINS0_14default_configENS1_27scan_by_key_config_selectorIiiEEZZNS1_16scan_by_key_implILNS1_25lookback_scan_determinismE0ELb1ES3_N6thrust23THRUST_200600_302600_NS6detail15normal_iteratorINS9_10device_ptrIiEEEESE_SE_iNS9_4plusIiEE19head_flag_predicateiEE10hipError_tPvRmT2_T3_T4_T5_mT6_T7_P12ihipStream_tbENKUlT_T0_E_clISt17integral_constantIbLb0EESX_IbLb1EEEEDaST_SU_EUlST_E_NS1_11comp_targetILNS1_3genE10ELNS1_11target_archE1200ELNS1_3gpuE4ELNS1_3repE0EEENS1_30default_config_static_selectorELNS0_4arch9wavefront6targetE1EEEvT1_,"axG",@progbits,_ZN7rocprim17ROCPRIM_400000_NS6detail17trampoline_kernelINS0_14default_configENS1_27scan_by_key_config_selectorIiiEEZZNS1_16scan_by_key_implILNS1_25lookback_scan_determinismE0ELb1ES3_N6thrust23THRUST_200600_302600_NS6detail15normal_iteratorINS9_10device_ptrIiEEEESE_SE_iNS9_4plusIiEE19head_flag_predicateiEE10hipError_tPvRmT2_T3_T4_T5_mT6_T7_P12ihipStream_tbENKUlT_T0_E_clISt17integral_constantIbLb0EESX_IbLb1EEEEDaST_SU_EUlST_E_NS1_11comp_targetILNS1_3genE10ELNS1_11target_archE1200ELNS1_3gpuE4ELNS1_3repE0EEENS1_30default_config_static_selectorELNS0_4arch9wavefront6targetE1EEEvT1_,comdat
	.protected	_ZN7rocprim17ROCPRIM_400000_NS6detail17trampoline_kernelINS0_14default_configENS1_27scan_by_key_config_selectorIiiEEZZNS1_16scan_by_key_implILNS1_25lookback_scan_determinismE0ELb1ES3_N6thrust23THRUST_200600_302600_NS6detail15normal_iteratorINS9_10device_ptrIiEEEESE_SE_iNS9_4plusIiEE19head_flag_predicateiEE10hipError_tPvRmT2_T3_T4_T5_mT6_T7_P12ihipStream_tbENKUlT_T0_E_clISt17integral_constantIbLb0EESX_IbLb1EEEEDaST_SU_EUlST_E_NS1_11comp_targetILNS1_3genE10ELNS1_11target_archE1200ELNS1_3gpuE4ELNS1_3repE0EEENS1_30default_config_static_selectorELNS0_4arch9wavefront6targetE1EEEvT1_ ; -- Begin function _ZN7rocprim17ROCPRIM_400000_NS6detail17trampoline_kernelINS0_14default_configENS1_27scan_by_key_config_selectorIiiEEZZNS1_16scan_by_key_implILNS1_25lookback_scan_determinismE0ELb1ES3_N6thrust23THRUST_200600_302600_NS6detail15normal_iteratorINS9_10device_ptrIiEEEESE_SE_iNS9_4plusIiEE19head_flag_predicateiEE10hipError_tPvRmT2_T3_T4_T5_mT6_T7_P12ihipStream_tbENKUlT_T0_E_clISt17integral_constantIbLb0EESX_IbLb1EEEEDaST_SU_EUlST_E_NS1_11comp_targetILNS1_3genE10ELNS1_11target_archE1200ELNS1_3gpuE4ELNS1_3repE0EEENS1_30default_config_static_selectorELNS0_4arch9wavefront6targetE1EEEvT1_
	.globl	_ZN7rocprim17ROCPRIM_400000_NS6detail17trampoline_kernelINS0_14default_configENS1_27scan_by_key_config_selectorIiiEEZZNS1_16scan_by_key_implILNS1_25lookback_scan_determinismE0ELb1ES3_N6thrust23THRUST_200600_302600_NS6detail15normal_iteratorINS9_10device_ptrIiEEEESE_SE_iNS9_4plusIiEE19head_flag_predicateiEE10hipError_tPvRmT2_T3_T4_T5_mT6_T7_P12ihipStream_tbENKUlT_T0_E_clISt17integral_constantIbLb0EESX_IbLb1EEEEDaST_SU_EUlST_E_NS1_11comp_targetILNS1_3genE10ELNS1_11target_archE1200ELNS1_3gpuE4ELNS1_3repE0EEENS1_30default_config_static_selectorELNS0_4arch9wavefront6targetE1EEEvT1_
	.p2align	8
	.type	_ZN7rocprim17ROCPRIM_400000_NS6detail17trampoline_kernelINS0_14default_configENS1_27scan_by_key_config_selectorIiiEEZZNS1_16scan_by_key_implILNS1_25lookback_scan_determinismE0ELb1ES3_N6thrust23THRUST_200600_302600_NS6detail15normal_iteratorINS9_10device_ptrIiEEEESE_SE_iNS9_4plusIiEE19head_flag_predicateiEE10hipError_tPvRmT2_T3_T4_T5_mT6_T7_P12ihipStream_tbENKUlT_T0_E_clISt17integral_constantIbLb0EESX_IbLb1EEEEDaST_SU_EUlST_E_NS1_11comp_targetILNS1_3genE10ELNS1_11target_archE1200ELNS1_3gpuE4ELNS1_3repE0EEENS1_30default_config_static_selectorELNS0_4arch9wavefront6targetE1EEEvT1_,@function
_ZN7rocprim17ROCPRIM_400000_NS6detail17trampoline_kernelINS0_14default_configENS1_27scan_by_key_config_selectorIiiEEZZNS1_16scan_by_key_implILNS1_25lookback_scan_determinismE0ELb1ES3_N6thrust23THRUST_200600_302600_NS6detail15normal_iteratorINS9_10device_ptrIiEEEESE_SE_iNS9_4plusIiEE19head_flag_predicateiEE10hipError_tPvRmT2_T3_T4_T5_mT6_T7_P12ihipStream_tbENKUlT_T0_E_clISt17integral_constantIbLb0EESX_IbLb1EEEEDaST_SU_EUlST_E_NS1_11comp_targetILNS1_3genE10ELNS1_11target_archE1200ELNS1_3gpuE4ELNS1_3repE0EEENS1_30default_config_static_selectorELNS0_4arch9wavefront6targetE1EEEvT1_: ; @_ZN7rocprim17ROCPRIM_400000_NS6detail17trampoline_kernelINS0_14default_configENS1_27scan_by_key_config_selectorIiiEEZZNS1_16scan_by_key_implILNS1_25lookback_scan_determinismE0ELb1ES3_N6thrust23THRUST_200600_302600_NS6detail15normal_iteratorINS9_10device_ptrIiEEEESE_SE_iNS9_4plusIiEE19head_flag_predicateiEE10hipError_tPvRmT2_T3_T4_T5_mT6_T7_P12ihipStream_tbENKUlT_T0_E_clISt17integral_constantIbLb0EESX_IbLb1EEEEDaST_SU_EUlST_E_NS1_11comp_targetILNS1_3genE10ELNS1_11target_archE1200ELNS1_3gpuE4ELNS1_3repE0EEENS1_30default_config_static_selectorELNS0_4arch9wavefront6targetE1EEEvT1_
; %bb.0:
	.section	.rodata,"a",@progbits
	.p2align	6, 0x0
	.amdhsa_kernel _ZN7rocprim17ROCPRIM_400000_NS6detail17trampoline_kernelINS0_14default_configENS1_27scan_by_key_config_selectorIiiEEZZNS1_16scan_by_key_implILNS1_25lookback_scan_determinismE0ELb1ES3_N6thrust23THRUST_200600_302600_NS6detail15normal_iteratorINS9_10device_ptrIiEEEESE_SE_iNS9_4plusIiEE19head_flag_predicateiEE10hipError_tPvRmT2_T3_T4_T5_mT6_T7_P12ihipStream_tbENKUlT_T0_E_clISt17integral_constantIbLb0EESX_IbLb1EEEEDaST_SU_EUlST_E_NS1_11comp_targetILNS1_3genE10ELNS1_11target_archE1200ELNS1_3gpuE4ELNS1_3repE0EEENS1_30default_config_static_selectorELNS0_4arch9wavefront6targetE1EEEvT1_
		.amdhsa_group_segment_fixed_size 0
		.amdhsa_private_segment_fixed_size 0
		.amdhsa_kernarg_size 112
		.amdhsa_user_sgpr_count 6
		.amdhsa_user_sgpr_private_segment_buffer 1
		.amdhsa_user_sgpr_dispatch_ptr 0
		.amdhsa_user_sgpr_queue_ptr 0
		.amdhsa_user_sgpr_kernarg_segment_ptr 1
		.amdhsa_user_sgpr_dispatch_id 0
		.amdhsa_user_sgpr_flat_scratch_init 0
		.amdhsa_user_sgpr_kernarg_preload_length 0
		.amdhsa_user_sgpr_kernarg_preload_offset 0
		.amdhsa_user_sgpr_private_segment_size 0
		.amdhsa_uses_dynamic_stack 0
		.amdhsa_system_sgpr_private_segment_wavefront_offset 0
		.amdhsa_system_sgpr_workgroup_id_x 1
		.amdhsa_system_sgpr_workgroup_id_y 0
		.amdhsa_system_sgpr_workgroup_id_z 0
		.amdhsa_system_sgpr_workgroup_info 0
		.amdhsa_system_vgpr_workitem_id 0
		.amdhsa_next_free_vgpr 1
		.amdhsa_next_free_sgpr 0
		.amdhsa_accum_offset 4
		.amdhsa_reserve_vcc 0
		.amdhsa_reserve_flat_scratch 0
		.amdhsa_float_round_mode_32 0
		.amdhsa_float_round_mode_16_64 0
		.amdhsa_float_denorm_mode_32 3
		.amdhsa_float_denorm_mode_16_64 3
		.amdhsa_dx10_clamp 1
		.amdhsa_ieee_mode 1
		.amdhsa_fp16_overflow 0
		.amdhsa_tg_split 0
		.amdhsa_exception_fp_ieee_invalid_op 0
		.amdhsa_exception_fp_denorm_src 0
		.amdhsa_exception_fp_ieee_div_zero 0
		.amdhsa_exception_fp_ieee_overflow 0
		.amdhsa_exception_fp_ieee_underflow 0
		.amdhsa_exception_fp_ieee_inexact 0
		.amdhsa_exception_int_div_zero 0
	.end_amdhsa_kernel
	.section	.text._ZN7rocprim17ROCPRIM_400000_NS6detail17trampoline_kernelINS0_14default_configENS1_27scan_by_key_config_selectorIiiEEZZNS1_16scan_by_key_implILNS1_25lookback_scan_determinismE0ELb1ES3_N6thrust23THRUST_200600_302600_NS6detail15normal_iteratorINS9_10device_ptrIiEEEESE_SE_iNS9_4plusIiEE19head_flag_predicateiEE10hipError_tPvRmT2_T3_T4_T5_mT6_T7_P12ihipStream_tbENKUlT_T0_E_clISt17integral_constantIbLb0EESX_IbLb1EEEEDaST_SU_EUlST_E_NS1_11comp_targetILNS1_3genE10ELNS1_11target_archE1200ELNS1_3gpuE4ELNS1_3repE0EEENS1_30default_config_static_selectorELNS0_4arch9wavefront6targetE1EEEvT1_,"axG",@progbits,_ZN7rocprim17ROCPRIM_400000_NS6detail17trampoline_kernelINS0_14default_configENS1_27scan_by_key_config_selectorIiiEEZZNS1_16scan_by_key_implILNS1_25lookback_scan_determinismE0ELb1ES3_N6thrust23THRUST_200600_302600_NS6detail15normal_iteratorINS9_10device_ptrIiEEEESE_SE_iNS9_4plusIiEE19head_flag_predicateiEE10hipError_tPvRmT2_T3_T4_T5_mT6_T7_P12ihipStream_tbENKUlT_T0_E_clISt17integral_constantIbLb0EESX_IbLb1EEEEDaST_SU_EUlST_E_NS1_11comp_targetILNS1_3genE10ELNS1_11target_archE1200ELNS1_3gpuE4ELNS1_3repE0EEENS1_30default_config_static_selectorELNS0_4arch9wavefront6targetE1EEEvT1_,comdat
.Lfunc_end818:
	.size	_ZN7rocprim17ROCPRIM_400000_NS6detail17trampoline_kernelINS0_14default_configENS1_27scan_by_key_config_selectorIiiEEZZNS1_16scan_by_key_implILNS1_25lookback_scan_determinismE0ELb1ES3_N6thrust23THRUST_200600_302600_NS6detail15normal_iteratorINS9_10device_ptrIiEEEESE_SE_iNS9_4plusIiEE19head_flag_predicateiEE10hipError_tPvRmT2_T3_T4_T5_mT6_T7_P12ihipStream_tbENKUlT_T0_E_clISt17integral_constantIbLb0EESX_IbLb1EEEEDaST_SU_EUlST_E_NS1_11comp_targetILNS1_3genE10ELNS1_11target_archE1200ELNS1_3gpuE4ELNS1_3repE0EEENS1_30default_config_static_selectorELNS0_4arch9wavefront6targetE1EEEvT1_, .Lfunc_end818-_ZN7rocprim17ROCPRIM_400000_NS6detail17trampoline_kernelINS0_14default_configENS1_27scan_by_key_config_selectorIiiEEZZNS1_16scan_by_key_implILNS1_25lookback_scan_determinismE0ELb1ES3_N6thrust23THRUST_200600_302600_NS6detail15normal_iteratorINS9_10device_ptrIiEEEESE_SE_iNS9_4plusIiEE19head_flag_predicateiEE10hipError_tPvRmT2_T3_T4_T5_mT6_T7_P12ihipStream_tbENKUlT_T0_E_clISt17integral_constantIbLb0EESX_IbLb1EEEEDaST_SU_EUlST_E_NS1_11comp_targetILNS1_3genE10ELNS1_11target_archE1200ELNS1_3gpuE4ELNS1_3repE0EEENS1_30default_config_static_selectorELNS0_4arch9wavefront6targetE1EEEvT1_
                                        ; -- End function
	.section	.AMDGPU.csdata,"",@progbits
; Kernel info:
; codeLenInByte = 0
; NumSgprs: 4
; NumVgprs: 0
; NumAgprs: 0
; TotalNumVgprs: 0
; ScratchSize: 0
; MemoryBound: 0
; FloatMode: 240
; IeeeMode: 1
; LDSByteSize: 0 bytes/workgroup (compile time only)
; SGPRBlocks: 0
; VGPRBlocks: 0
; NumSGPRsForWavesPerEU: 4
; NumVGPRsForWavesPerEU: 1
; AccumOffset: 4
; Occupancy: 8
; WaveLimiterHint : 0
; COMPUTE_PGM_RSRC2:SCRATCH_EN: 0
; COMPUTE_PGM_RSRC2:USER_SGPR: 6
; COMPUTE_PGM_RSRC2:TRAP_HANDLER: 0
; COMPUTE_PGM_RSRC2:TGID_X_EN: 1
; COMPUTE_PGM_RSRC2:TGID_Y_EN: 0
; COMPUTE_PGM_RSRC2:TGID_Z_EN: 0
; COMPUTE_PGM_RSRC2:TIDIG_COMP_CNT: 0
; COMPUTE_PGM_RSRC3_GFX90A:ACCUM_OFFSET: 0
; COMPUTE_PGM_RSRC3_GFX90A:TG_SPLIT: 0
	.section	.text._ZN7rocprim17ROCPRIM_400000_NS6detail17trampoline_kernelINS0_14default_configENS1_27scan_by_key_config_selectorIiiEEZZNS1_16scan_by_key_implILNS1_25lookback_scan_determinismE0ELb1ES3_N6thrust23THRUST_200600_302600_NS6detail15normal_iteratorINS9_10device_ptrIiEEEESE_SE_iNS9_4plusIiEE19head_flag_predicateiEE10hipError_tPvRmT2_T3_T4_T5_mT6_T7_P12ihipStream_tbENKUlT_T0_E_clISt17integral_constantIbLb0EESX_IbLb1EEEEDaST_SU_EUlST_E_NS1_11comp_targetILNS1_3genE9ELNS1_11target_archE1100ELNS1_3gpuE3ELNS1_3repE0EEENS1_30default_config_static_selectorELNS0_4arch9wavefront6targetE1EEEvT1_,"axG",@progbits,_ZN7rocprim17ROCPRIM_400000_NS6detail17trampoline_kernelINS0_14default_configENS1_27scan_by_key_config_selectorIiiEEZZNS1_16scan_by_key_implILNS1_25lookback_scan_determinismE0ELb1ES3_N6thrust23THRUST_200600_302600_NS6detail15normal_iteratorINS9_10device_ptrIiEEEESE_SE_iNS9_4plusIiEE19head_flag_predicateiEE10hipError_tPvRmT2_T3_T4_T5_mT6_T7_P12ihipStream_tbENKUlT_T0_E_clISt17integral_constantIbLb0EESX_IbLb1EEEEDaST_SU_EUlST_E_NS1_11comp_targetILNS1_3genE9ELNS1_11target_archE1100ELNS1_3gpuE3ELNS1_3repE0EEENS1_30default_config_static_selectorELNS0_4arch9wavefront6targetE1EEEvT1_,comdat
	.protected	_ZN7rocprim17ROCPRIM_400000_NS6detail17trampoline_kernelINS0_14default_configENS1_27scan_by_key_config_selectorIiiEEZZNS1_16scan_by_key_implILNS1_25lookback_scan_determinismE0ELb1ES3_N6thrust23THRUST_200600_302600_NS6detail15normal_iteratorINS9_10device_ptrIiEEEESE_SE_iNS9_4plusIiEE19head_flag_predicateiEE10hipError_tPvRmT2_T3_T4_T5_mT6_T7_P12ihipStream_tbENKUlT_T0_E_clISt17integral_constantIbLb0EESX_IbLb1EEEEDaST_SU_EUlST_E_NS1_11comp_targetILNS1_3genE9ELNS1_11target_archE1100ELNS1_3gpuE3ELNS1_3repE0EEENS1_30default_config_static_selectorELNS0_4arch9wavefront6targetE1EEEvT1_ ; -- Begin function _ZN7rocprim17ROCPRIM_400000_NS6detail17trampoline_kernelINS0_14default_configENS1_27scan_by_key_config_selectorIiiEEZZNS1_16scan_by_key_implILNS1_25lookback_scan_determinismE0ELb1ES3_N6thrust23THRUST_200600_302600_NS6detail15normal_iteratorINS9_10device_ptrIiEEEESE_SE_iNS9_4plusIiEE19head_flag_predicateiEE10hipError_tPvRmT2_T3_T4_T5_mT6_T7_P12ihipStream_tbENKUlT_T0_E_clISt17integral_constantIbLb0EESX_IbLb1EEEEDaST_SU_EUlST_E_NS1_11comp_targetILNS1_3genE9ELNS1_11target_archE1100ELNS1_3gpuE3ELNS1_3repE0EEENS1_30default_config_static_selectorELNS0_4arch9wavefront6targetE1EEEvT1_
	.globl	_ZN7rocprim17ROCPRIM_400000_NS6detail17trampoline_kernelINS0_14default_configENS1_27scan_by_key_config_selectorIiiEEZZNS1_16scan_by_key_implILNS1_25lookback_scan_determinismE0ELb1ES3_N6thrust23THRUST_200600_302600_NS6detail15normal_iteratorINS9_10device_ptrIiEEEESE_SE_iNS9_4plusIiEE19head_flag_predicateiEE10hipError_tPvRmT2_T3_T4_T5_mT6_T7_P12ihipStream_tbENKUlT_T0_E_clISt17integral_constantIbLb0EESX_IbLb1EEEEDaST_SU_EUlST_E_NS1_11comp_targetILNS1_3genE9ELNS1_11target_archE1100ELNS1_3gpuE3ELNS1_3repE0EEENS1_30default_config_static_selectorELNS0_4arch9wavefront6targetE1EEEvT1_
	.p2align	8
	.type	_ZN7rocprim17ROCPRIM_400000_NS6detail17trampoline_kernelINS0_14default_configENS1_27scan_by_key_config_selectorIiiEEZZNS1_16scan_by_key_implILNS1_25lookback_scan_determinismE0ELb1ES3_N6thrust23THRUST_200600_302600_NS6detail15normal_iteratorINS9_10device_ptrIiEEEESE_SE_iNS9_4plusIiEE19head_flag_predicateiEE10hipError_tPvRmT2_T3_T4_T5_mT6_T7_P12ihipStream_tbENKUlT_T0_E_clISt17integral_constantIbLb0EESX_IbLb1EEEEDaST_SU_EUlST_E_NS1_11comp_targetILNS1_3genE9ELNS1_11target_archE1100ELNS1_3gpuE3ELNS1_3repE0EEENS1_30default_config_static_selectorELNS0_4arch9wavefront6targetE1EEEvT1_,@function
_ZN7rocprim17ROCPRIM_400000_NS6detail17trampoline_kernelINS0_14default_configENS1_27scan_by_key_config_selectorIiiEEZZNS1_16scan_by_key_implILNS1_25lookback_scan_determinismE0ELb1ES3_N6thrust23THRUST_200600_302600_NS6detail15normal_iteratorINS9_10device_ptrIiEEEESE_SE_iNS9_4plusIiEE19head_flag_predicateiEE10hipError_tPvRmT2_T3_T4_T5_mT6_T7_P12ihipStream_tbENKUlT_T0_E_clISt17integral_constantIbLb0EESX_IbLb1EEEEDaST_SU_EUlST_E_NS1_11comp_targetILNS1_3genE9ELNS1_11target_archE1100ELNS1_3gpuE3ELNS1_3repE0EEENS1_30default_config_static_selectorELNS0_4arch9wavefront6targetE1EEEvT1_: ; @_ZN7rocprim17ROCPRIM_400000_NS6detail17trampoline_kernelINS0_14default_configENS1_27scan_by_key_config_selectorIiiEEZZNS1_16scan_by_key_implILNS1_25lookback_scan_determinismE0ELb1ES3_N6thrust23THRUST_200600_302600_NS6detail15normal_iteratorINS9_10device_ptrIiEEEESE_SE_iNS9_4plusIiEE19head_flag_predicateiEE10hipError_tPvRmT2_T3_T4_T5_mT6_T7_P12ihipStream_tbENKUlT_T0_E_clISt17integral_constantIbLb0EESX_IbLb1EEEEDaST_SU_EUlST_E_NS1_11comp_targetILNS1_3genE9ELNS1_11target_archE1100ELNS1_3gpuE3ELNS1_3repE0EEENS1_30default_config_static_selectorELNS0_4arch9wavefront6targetE1EEEvT1_
; %bb.0:
	.section	.rodata,"a",@progbits
	.p2align	6, 0x0
	.amdhsa_kernel _ZN7rocprim17ROCPRIM_400000_NS6detail17trampoline_kernelINS0_14default_configENS1_27scan_by_key_config_selectorIiiEEZZNS1_16scan_by_key_implILNS1_25lookback_scan_determinismE0ELb1ES3_N6thrust23THRUST_200600_302600_NS6detail15normal_iteratorINS9_10device_ptrIiEEEESE_SE_iNS9_4plusIiEE19head_flag_predicateiEE10hipError_tPvRmT2_T3_T4_T5_mT6_T7_P12ihipStream_tbENKUlT_T0_E_clISt17integral_constantIbLb0EESX_IbLb1EEEEDaST_SU_EUlST_E_NS1_11comp_targetILNS1_3genE9ELNS1_11target_archE1100ELNS1_3gpuE3ELNS1_3repE0EEENS1_30default_config_static_selectorELNS0_4arch9wavefront6targetE1EEEvT1_
		.amdhsa_group_segment_fixed_size 0
		.amdhsa_private_segment_fixed_size 0
		.amdhsa_kernarg_size 112
		.amdhsa_user_sgpr_count 6
		.amdhsa_user_sgpr_private_segment_buffer 1
		.amdhsa_user_sgpr_dispatch_ptr 0
		.amdhsa_user_sgpr_queue_ptr 0
		.amdhsa_user_sgpr_kernarg_segment_ptr 1
		.amdhsa_user_sgpr_dispatch_id 0
		.amdhsa_user_sgpr_flat_scratch_init 0
		.amdhsa_user_sgpr_kernarg_preload_length 0
		.amdhsa_user_sgpr_kernarg_preload_offset 0
		.amdhsa_user_sgpr_private_segment_size 0
		.amdhsa_uses_dynamic_stack 0
		.amdhsa_system_sgpr_private_segment_wavefront_offset 0
		.amdhsa_system_sgpr_workgroup_id_x 1
		.amdhsa_system_sgpr_workgroup_id_y 0
		.amdhsa_system_sgpr_workgroup_id_z 0
		.amdhsa_system_sgpr_workgroup_info 0
		.amdhsa_system_vgpr_workitem_id 0
		.amdhsa_next_free_vgpr 1
		.amdhsa_next_free_sgpr 0
		.amdhsa_accum_offset 4
		.amdhsa_reserve_vcc 0
		.amdhsa_reserve_flat_scratch 0
		.amdhsa_float_round_mode_32 0
		.amdhsa_float_round_mode_16_64 0
		.amdhsa_float_denorm_mode_32 3
		.amdhsa_float_denorm_mode_16_64 3
		.amdhsa_dx10_clamp 1
		.amdhsa_ieee_mode 1
		.amdhsa_fp16_overflow 0
		.amdhsa_tg_split 0
		.amdhsa_exception_fp_ieee_invalid_op 0
		.amdhsa_exception_fp_denorm_src 0
		.amdhsa_exception_fp_ieee_div_zero 0
		.amdhsa_exception_fp_ieee_overflow 0
		.amdhsa_exception_fp_ieee_underflow 0
		.amdhsa_exception_fp_ieee_inexact 0
		.amdhsa_exception_int_div_zero 0
	.end_amdhsa_kernel
	.section	.text._ZN7rocprim17ROCPRIM_400000_NS6detail17trampoline_kernelINS0_14default_configENS1_27scan_by_key_config_selectorIiiEEZZNS1_16scan_by_key_implILNS1_25lookback_scan_determinismE0ELb1ES3_N6thrust23THRUST_200600_302600_NS6detail15normal_iteratorINS9_10device_ptrIiEEEESE_SE_iNS9_4plusIiEE19head_flag_predicateiEE10hipError_tPvRmT2_T3_T4_T5_mT6_T7_P12ihipStream_tbENKUlT_T0_E_clISt17integral_constantIbLb0EESX_IbLb1EEEEDaST_SU_EUlST_E_NS1_11comp_targetILNS1_3genE9ELNS1_11target_archE1100ELNS1_3gpuE3ELNS1_3repE0EEENS1_30default_config_static_selectorELNS0_4arch9wavefront6targetE1EEEvT1_,"axG",@progbits,_ZN7rocprim17ROCPRIM_400000_NS6detail17trampoline_kernelINS0_14default_configENS1_27scan_by_key_config_selectorIiiEEZZNS1_16scan_by_key_implILNS1_25lookback_scan_determinismE0ELb1ES3_N6thrust23THRUST_200600_302600_NS6detail15normal_iteratorINS9_10device_ptrIiEEEESE_SE_iNS9_4plusIiEE19head_flag_predicateiEE10hipError_tPvRmT2_T3_T4_T5_mT6_T7_P12ihipStream_tbENKUlT_T0_E_clISt17integral_constantIbLb0EESX_IbLb1EEEEDaST_SU_EUlST_E_NS1_11comp_targetILNS1_3genE9ELNS1_11target_archE1100ELNS1_3gpuE3ELNS1_3repE0EEENS1_30default_config_static_selectorELNS0_4arch9wavefront6targetE1EEEvT1_,comdat
.Lfunc_end819:
	.size	_ZN7rocprim17ROCPRIM_400000_NS6detail17trampoline_kernelINS0_14default_configENS1_27scan_by_key_config_selectorIiiEEZZNS1_16scan_by_key_implILNS1_25lookback_scan_determinismE0ELb1ES3_N6thrust23THRUST_200600_302600_NS6detail15normal_iteratorINS9_10device_ptrIiEEEESE_SE_iNS9_4plusIiEE19head_flag_predicateiEE10hipError_tPvRmT2_T3_T4_T5_mT6_T7_P12ihipStream_tbENKUlT_T0_E_clISt17integral_constantIbLb0EESX_IbLb1EEEEDaST_SU_EUlST_E_NS1_11comp_targetILNS1_3genE9ELNS1_11target_archE1100ELNS1_3gpuE3ELNS1_3repE0EEENS1_30default_config_static_selectorELNS0_4arch9wavefront6targetE1EEEvT1_, .Lfunc_end819-_ZN7rocprim17ROCPRIM_400000_NS6detail17trampoline_kernelINS0_14default_configENS1_27scan_by_key_config_selectorIiiEEZZNS1_16scan_by_key_implILNS1_25lookback_scan_determinismE0ELb1ES3_N6thrust23THRUST_200600_302600_NS6detail15normal_iteratorINS9_10device_ptrIiEEEESE_SE_iNS9_4plusIiEE19head_flag_predicateiEE10hipError_tPvRmT2_T3_T4_T5_mT6_T7_P12ihipStream_tbENKUlT_T0_E_clISt17integral_constantIbLb0EESX_IbLb1EEEEDaST_SU_EUlST_E_NS1_11comp_targetILNS1_3genE9ELNS1_11target_archE1100ELNS1_3gpuE3ELNS1_3repE0EEENS1_30default_config_static_selectorELNS0_4arch9wavefront6targetE1EEEvT1_
                                        ; -- End function
	.section	.AMDGPU.csdata,"",@progbits
; Kernel info:
; codeLenInByte = 0
; NumSgprs: 4
; NumVgprs: 0
; NumAgprs: 0
; TotalNumVgprs: 0
; ScratchSize: 0
; MemoryBound: 0
; FloatMode: 240
; IeeeMode: 1
; LDSByteSize: 0 bytes/workgroup (compile time only)
; SGPRBlocks: 0
; VGPRBlocks: 0
; NumSGPRsForWavesPerEU: 4
; NumVGPRsForWavesPerEU: 1
; AccumOffset: 4
; Occupancy: 8
; WaveLimiterHint : 0
; COMPUTE_PGM_RSRC2:SCRATCH_EN: 0
; COMPUTE_PGM_RSRC2:USER_SGPR: 6
; COMPUTE_PGM_RSRC2:TRAP_HANDLER: 0
; COMPUTE_PGM_RSRC2:TGID_X_EN: 1
; COMPUTE_PGM_RSRC2:TGID_Y_EN: 0
; COMPUTE_PGM_RSRC2:TGID_Z_EN: 0
; COMPUTE_PGM_RSRC2:TIDIG_COMP_CNT: 0
; COMPUTE_PGM_RSRC3_GFX90A:ACCUM_OFFSET: 0
; COMPUTE_PGM_RSRC3_GFX90A:TG_SPLIT: 0
	.section	.text._ZN7rocprim17ROCPRIM_400000_NS6detail17trampoline_kernelINS0_14default_configENS1_27scan_by_key_config_selectorIiiEEZZNS1_16scan_by_key_implILNS1_25lookback_scan_determinismE0ELb1ES3_N6thrust23THRUST_200600_302600_NS6detail15normal_iteratorINS9_10device_ptrIiEEEESE_SE_iNS9_4plusIiEE19head_flag_predicateiEE10hipError_tPvRmT2_T3_T4_T5_mT6_T7_P12ihipStream_tbENKUlT_T0_E_clISt17integral_constantIbLb0EESX_IbLb1EEEEDaST_SU_EUlST_E_NS1_11comp_targetILNS1_3genE8ELNS1_11target_archE1030ELNS1_3gpuE2ELNS1_3repE0EEENS1_30default_config_static_selectorELNS0_4arch9wavefront6targetE1EEEvT1_,"axG",@progbits,_ZN7rocprim17ROCPRIM_400000_NS6detail17trampoline_kernelINS0_14default_configENS1_27scan_by_key_config_selectorIiiEEZZNS1_16scan_by_key_implILNS1_25lookback_scan_determinismE0ELb1ES3_N6thrust23THRUST_200600_302600_NS6detail15normal_iteratorINS9_10device_ptrIiEEEESE_SE_iNS9_4plusIiEE19head_flag_predicateiEE10hipError_tPvRmT2_T3_T4_T5_mT6_T7_P12ihipStream_tbENKUlT_T0_E_clISt17integral_constantIbLb0EESX_IbLb1EEEEDaST_SU_EUlST_E_NS1_11comp_targetILNS1_3genE8ELNS1_11target_archE1030ELNS1_3gpuE2ELNS1_3repE0EEENS1_30default_config_static_selectorELNS0_4arch9wavefront6targetE1EEEvT1_,comdat
	.protected	_ZN7rocprim17ROCPRIM_400000_NS6detail17trampoline_kernelINS0_14default_configENS1_27scan_by_key_config_selectorIiiEEZZNS1_16scan_by_key_implILNS1_25lookback_scan_determinismE0ELb1ES3_N6thrust23THRUST_200600_302600_NS6detail15normal_iteratorINS9_10device_ptrIiEEEESE_SE_iNS9_4plusIiEE19head_flag_predicateiEE10hipError_tPvRmT2_T3_T4_T5_mT6_T7_P12ihipStream_tbENKUlT_T0_E_clISt17integral_constantIbLb0EESX_IbLb1EEEEDaST_SU_EUlST_E_NS1_11comp_targetILNS1_3genE8ELNS1_11target_archE1030ELNS1_3gpuE2ELNS1_3repE0EEENS1_30default_config_static_selectorELNS0_4arch9wavefront6targetE1EEEvT1_ ; -- Begin function _ZN7rocprim17ROCPRIM_400000_NS6detail17trampoline_kernelINS0_14default_configENS1_27scan_by_key_config_selectorIiiEEZZNS1_16scan_by_key_implILNS1_25lookback_scan_determinismE0ELb1ES3_N6thrust23THRUST_200600_302600_NS6detail15normal_iteratorINS9_10device_ptrIiEEEESE_SE_iNS9_4plusIiEE19head_flag_predicateiEE10hipError_tPvRmT2_T3_T4_T5_mT6_T7_P12ihipStream_tbENKUlT_T0_E_clISt17integral_constantIbLb0EESX_IbLb1EEEEDaST_SU_EUlST_E_NS1_11comp_targetILNS1_3genE8ELNS1_11target_archE1030ELNS1_3gpuE2ELNS1_3repE0EEENS1_30default_config_static_selectorELNS0_4arch9wavefront6targetE1EEEvT1_
	.globl	_ZN7rocprim17ROCPRIM_400000_NS6detail17trampoline_kernelINS0_14default_configENS1_27scan_by_key_config_selectorIiiEEZZNS1_16scan_by_key_implILNS1_25lookback_scan_determinismE0ELb1ES3_N6thrust23THRUST_200600_302600_NS6detail15normal_iteratorINS9_10device_ptrIiEEEESE_SE_iNS9_4plusIiEE19head_flag_predicateiEE10hipError_tPvRmT2_T3_T4_T5_mT6_T7_P12ihipStream_tbENKUlT_T0_E_clISt17integral_constantIbLb0EESX_IbLb1EEEEDaST_SU_EUlST_E_NS1_11comp_targetILNS1_3genE8ELNS1_11target_archE1030ELNS1_3gpuE2ELNS1_3repE0EEENS1_30default_config_static_selectorELNS0_4arch9wavefront6targetE1EEEvT1_
	.p2align	8
	.type	_ZN7rocprim17ROCPRIM_400000_NS6detail17trampoline_kernelINS0_14default_configENS1_27scan_by_key_config_selectorIiiEEZZNS1_16scan_by_key_implILNS1_25lookback_scan_determinismE0ELb1ES3_N6thrust23THRUST_200600_302600_NS6detail15normal_iteratorINS9_10device_ptrIiEEEESE_SE_iNS9_4plusIiEE19head_flag_predicateiEE10hipError_tPvRmT2_T3_T4_T5_mT6_T7_P12ihipStream_tbENKUlT_T0_E_clISt17integral_constantIbLb0EESX_IbLb1EEEEDaST_SU_EUlST_E_NS1_11comp_targetILNS1_3genE8ELNS1_11target_archE1030ELNS1_3gpuE2ELNS1_3repE0EEENS1_30default_config_static_selectorELNS0_4arch9wavefront6targetE1EEEvT1_,@function
_ZN7rocprim17ROCPRIM_400000_NS6detail17trampoline_kernelINS0_14default_configENS1_27scan_by_key_config_selectorIiiEEZZNS1_16scan_by_key_implILNS1_25lookback_scan_determinismE0ELb1ES3_N6thrust23THRUST_200600_302600_NS6detail15normal_iteratorINS9_10device_ptrIiEEEESE_SE_iNS9_4plusIiEE19head_flag_predicateiEE10hipError_tPvRmT2_T3_T4_T5_mT6_T7_P12ihipStream_tbENKUlT_T0_E_clISt17integral_constantIbLb0EESX_IbLb1EEEEDaST_SU_EUlST_E_NS1_11comp_targetILNS1_3genE8ELNS1_11target_archE1030ELNS1_3gpuE2ELNS1_3repE0EEENS1_30default_config_static_selectorELNS0_4arch9wavefront6targetE1EEEvT1_: ; @_ZN7rocprim17ROCPRIM_400000_NS6detail17trampoline_kernelINS0_14default_configENS1_27scan_by_key_config_selectorIiiEEZZNS1_16scan_by_key_implILNS1_25lookback_scan_determinismE0ELb1ES3_N6thrust23THRUST_200600_302600_NS6detail15normal_iteratorINS9_10device_ptrIiEEEESE_SE_iNS9_4plusIiEE19head_flag_predicateiEE10hipError_tPvRmT2_T3_T4_T5_mT6_T7_P12ihipStream_tbENKUlT_T0_E_clISt17integral_constantIbLb0EESX_IbLb1EEEEDaST_SU_EUlST_E_NS1_11comp_targetILNS1_3genE8ELNS1_11target_archE1030ELNS1_3gpuE2ELNS1_3repE0EEENS1_30default_config_static_selectorELNS0_4arch9wavefront6targetE1EEEvT1_
; %bb.0:
	.section	.rodata,"a",@progbits
	.p2align	6, 0x0
	.amdhsa_kernel _ZN7rocprim17ROCPRIM_400000_NS6detail17trampoline_kernelINS0_14default_configENS1_27scan_by_key_config_selectorIiiEEZZNS1_16scan_by_key_implILNS1_25lookback_scan_determinismE0ELb1ES3_N6thrust23THRUST_200600_302600_NS6detail15normal_iteratorINS9_10device_ptrIiEEEESE_SE_iNS9_4plusIiEE19head_flag_predicateiEE10hipError_tPvRmT2_T3_T4_T5_mT6_T7_P12ihipStream_tbENKUlT_T0_E_clISt17integral_constantIbLb0EESX_IbLb1EEEEDaST_SU_EUlST_E_NS1_11comp_targetILNS1_3genE8ELNS1_11target_archE1030ELNS1_3gpuE2ELNS1_3repE0EEENS1_30default_config_static_selectorELNS0_4arch9wavefront6targetE1EEEvT1_
		.amdhsa_group_segment_fixed_size 0
		.amdhsa_private_segment_fixed_size 0
		.amdhsa_kernarg_size 112
		.amdhsa_user_sgpr_count 6
		.amdhsa_user_sgpr_private_segment_buffer 1
		.amdhsa_user_sgpr_dispatch_ptr 0
		.amdhsa_user_sgpr_queue_ptr 0
		.amdhsa_user_sgpr_kernarg_segment_ptr 1
		.amdhsa_user_sgpr_dispatch_id 0
		.amdhsa_user_sgpr_flat_scratch_init 0
		.amdhsa_user_sgpr_kernarg_preload_length 0
		.amdhsa_user_sgpr_kernarg_preload_offset 0
		.amdhsa_user_sgpr_private_segment_size 0
		.amdhsa_uses_dynamic_stack 0
		.amdhsa_system_sgpr_private_segment_wavefront_offset 0
		.amdhsa_system_sgpr_workgroup_id_x 1
		.amdhsa_system_sgpr_workgroup_id_y 0
		.amdhsa_system_sgpr_workgroup_id_z 0
		.amdhsa_system_sgpr_workgroup_info 0
		.amdhsa_system_vgpr_workitem_id 0
		.amdhsa_next_free_vgpr 1
		.amdhsa_next_free_sgpr 0
		.amdhsa_accum_offset 4
		.amdhsa_reserve_vcc 0
		.amdhsa_reserve_flat_scratch 0
		.amdhsa_float_round_mode_32 0
		.amdhsa_float_round_mode_16_64 0
		.amdhsa_float_denorm_mode_32 3
		.amdhsa_float_denorm_mode_16_64 3
		.amdhsa_dx10_clamp 1
		.amdhsa_ieee_mode 1
		.amdhsa_fp16_overflow 0
		.amdhsa_tg_split 0
		.amdhsa_exception_fp_ieee_invalid_op 0
		.amdhsa_exception_fp_denorm_src 0
		.amdhsa_exception_fp_ieee_div_zero 0
		.amdhsa_exception_fp_ieee_overflow 0
		.amdhsa_exception_fp_ieee_underflow 0
		.amdhsa_exception_fp_ieee_inexact 0
		.amdhsa_exception_int_div_zero 0
	.end_amdhsa_kernel
	.section	.text._ZN7rocprim17ROCPRIM_400000_NS6detail17trampoline_kernelINS0_14default_configENS1_27scan_by_key_config_selectorIiiEEZZNS1_16scan_by_key_implILNS1_25lookback_scan_determinismE0ELb1ES3_N6thrust23THRUST_200600_302600_NS6detail15normal_iteratorINS9_10device_ptrIiEEEESE_SE_iNS9_4plusIiEE19head_flag_predicateiEE10hipError_tPvRmT2_T3_T4_T5_mT6_T7_P12ihipStream_tbENKUlT_T0_E_clISt17integral_constantIbLb0EESX_IbLb1EEEEDaST_SU_EUlST_E_NS1_11comp_targetILNS1_3genE8ELNS1_11target_archE1030ELNS1_3gpuE2ELNS1_3repE0EEENS1_30default_config_static_selectorELNS0_4arch9wavefront6targetE1EEEvT1_,"axG",@progbits,_ZN7rocprim17ROCPRIM_400000_NS6detail17trampoline_kernelINS0_14default_configENS1_27scan_by_key_config_selectorIiiEEZZNS1_16scan_by_key_implILNS1_25lookback_scan_determinismE0ELb1ES3_N6thrust23THRUST_200600_302600_NS6detail15normal_iteratorINS9_10device_ptrIiEEEESE_SE_iNS9_4plusIiEE19head_flag_predicateiEE10hipError_tPvRmT2_T3_T4_T5_mT6_T7_P12ihipStream_tbENKUlT_T0_E_clISt17integral_constantIbLb0EESX_IbLb1EEEEDaST_SU_EUlST_E_NS1_11comp_targetILNS1_3genE8ELNS1_11target_archE1030ELNS1_3gpuE2ELNS1_3repE0EEENS1_30default_config_static_selectorELNS0_4arch9wavefront6targetE1EEEvT1_,comdat
.Lfunc_end820:
	.size	_ZN7rocprim17ROCPRIM_400000_NS6detail17trampoline_kernelINS0_14default_configENS1_27scan_by_key_config_selectorIiiEEZZNS1_16scan_by_key_implILNS1_25lookback_scan_determinismE0ELb1ES3_N6thrust23THRUST_200600_302600_NS6detail15normal_iteratorINS9_10device_ptrIiEEEESE_SE_iNS9_4plusIiEE19head_flag_predicateiEE10hipError_tPvRmT2_T3_T4_T5_mT6_T7_P12ihipStream_tbENKUlT_T0_E_clISt17integral_constantIbLb0EESX_IbLb1EEEEDaST_SU_EUlST_E_NS1_11comp_targetILNS1_3genE8ELNS1_11target_archE1030ELNS1_3gpuE2ELNS1_3repE0EEENS1_30default_config_static_selectorELNS0_4arch9wavefront6targetE1EEEvT1_, .Lfunc_end820-_ZN7rocprim17ROCPRIM_400000_NS6detail17trampoline_kernelINS0_14default_configENS1_27scan_by_key_config_selectorIiiEEZZNS1_16scan_by_key_implILNS1_25lookback_scan_determinismE0ELb1ES3_N6thrust23THRUST_200600_302600_NS6detail15normal_iteratorINS9_10device_ptrIiEEEESE_SE_iNS9_4plusIiEE19head_flag_predicateiEE10hipError_tPvRmT2_T3_T4_T5_mT6_T7_P12ihipStream_tbENKUlT_T0_E_clISt17integral_constantIbLb0EESX_IbLb1EEEEDaST_SU_EUlST_E_NS1_11comp_targetILNS1_3genE8ELNS1_11target_archE1030ELNS1_3gpuE2ELNS1_3repE0EEENS1_30default_config_static_selectorELNS0_4arch9wavefront6targetE1EEEvT1_
                                        ; -- End function
	.section	.AMDGPU.csdata,"",@progbits
; Kernel info:
; codeLenInByte = 0
; NumSgprs: 4
; NumVgprs: 0
; NumAgprs: 0
; TotalNumVgprs: 0
; ScratchSize: 0
; MemoryBound: 0
; FloatMode: 240
; IeeeMode: 1
; LDSByteSize: 0 bytes/workgroup (compile time only)
; SGPRBlocks: 0
; VGPRBlocks: 0
; NumSGPRsForWavesPerEU: 4
; NumVGPRsForWavesPerEU: 1
; AccumOffset: 4
; Occupancy: 8
; WaveLimiterHint : 0
; COMPUTE_PGM_RSRC2:SCRATCH_EN: 0
; COMPUTE_PGM_RSRC2:USER_SGPR: 6
; COMPUTE_PGM_RSRC2:TRAP_HANDLER: 0
; COMPUTE_PGM_RSRC2:TGID_X_EN: 1
; COMPUTE_PGM_RSRC2:TGID_Y_EN: 0
; COMPUTE_PGM_RSRC2:TGID_Z_EN: 0
; COMPUTE_PGM_RSRC2:TIDIG_COMP_CNT: 0
; COMPUTE_PGM_RSRC3_GFX90A:ACCUM_OFFSET: 0
; COMPUTE_PGM_RSRC3_GFX90A:TG_SPLIT: 0
	.section	.text._ZN7rocprim17ROCPRIM_400000_NS6detail17trampoline_kernelINS0_14default_configENS1_27scan_by_key_config_selectorIssEEZZNS1_16scan_by_key_implILNS1_25lookback_scan_determinismE0ELb0ES3_N6thrust23THRUST_200600_302600_NS6detail15normal_iteratorINS9_10device_ptrIsEEEESE_SE_sNS9_4plusIsEE19head_flag_predicatesEE10hipError_tPvRmT2_T3_T4_T5_mT6_T7_P12ihipStream_tbENKUlT_T0_E_clISt17integral_constantIbLb0EESY_EEDaST_SU_EUlST_E_NS1_11comp_targetILNS1_3genE0ELNS1_11target_archE4294967295ELNS1_3gpuE0ELNS1_3repE0EEENS1_30default_config_static_selectorELNS0_4arch9wavefront6targetE1EEEvT1_,"axG",@progbits,_ZN7rocprim17ROCPRIM_400000_NS6detail17trampoline_kernelINS0_14default_configENS1_27scan_by_key_config_selectorIssEEZZNS1_16scan_by_key_implILNS1_25lookback_scan_determinismE0ELb0ES3_N6thrust23THRUST_200600_302600_NS6detail15normal_iteratorINS9_10device_ptrIsEEEESE_SE_sNS9_4plusIsEE19head_flag_predicatesEE10hipError_tPvRmT2_T3_T4_T5_mT6_T7_P12ihipStream_tbENKUlT_T0_E_clISt17integral_constantIbLb0EESY_EEDaST_SU_EUlST_E_NS1_11comp_targetILNS1_3genE0ELNS1_11target_archE4294967295ELNS1_3gpuE0ELNS1_3repE0EEENS1_30default_config_static_selectorELNS0_4arch9wavefront6targetE1EEEvT1_,comdat
	.protected	_ZN7rocprim17ROCPRIM_400000_NS6detail17trampoline_kernelINS0_14default_configENS1_27scan_by_key_config_selectorIssEEZZNS1_16scan_by_key_implILNS1_25lookback_scan_determinismE0ELb0ES3_N6thrust23THRUST_200600_302600_NS6detail15normal_iteratorINS9_10device_ptrIsEEEESE_SE_sNS9_4plusIsEE19head_flag_predicatesEE10hipError_tPvRmT2_T3_T4_T5_mT6_T7_P12ihipStream_tbENKUlT_T0_E_clISt17integral_constantIbLb0EESY_EEDaST_SU_EUlST_E_NS1_11comp_targetILNS1_3genE0ELNS1_11target_archE4294967295ELNS1_3gpuE0ELNS1_3repE0EEENS1_30default_config_static_selectorELNS0_4arch9wavefront6targetE1EEEvT1_ ; -- Begin function _ZN7rocprim17ROCPRIM_400000_NS6detail17trampoline_kernelINS0_14default_configENS1_27scan_by_key_config_selectorIssEEZZNS1_16scan_by_key_implILNS1_25lookback_scan_determinismE0ELb0ES3_N6thrust23THRUST_200600_302600_NS6detail15normal_iteratorINS9_10device_ptrIsEEEESE_SE_sNS9_4plusIsEE19head_flag_predicatesEE10hipError_tPvRmT2_T3_T4_T5_mT6_T7_P12ihipStream_tbENKUlT_T0_E_clISt17integral_constantIbLb0EESY_EEDaST_SU_EUlST_E_NS1_11comp_targetILNS1_3genE0ELNS1_11target_archE4294967295ELNS1_3gpuE0ELNS1_3repE0EEENS1_30default_config_static_selectorELNS0_4arch9wavefront6targetE1EEEvT1_
	.globl	_ZN7rocprim17ROCPRIM_400000_NS6detail17trampoline_kernelINS0_14default_configENS1_27scan_by_key_config_selectorIssEEZZNS1_16scan_by_key_implILNS1_25lookback_scan_determinismE0ELb0ES3_N6thrust23THRUST_200600_302600_NS6detail15normal_iteratorINS9_10device_ptrIsEEEESE_SE_sNS9_4plusIsEE19head_flag_predicatesEE10hipError_tPvRmT2_T3_T4_T5_mT6_T7_P12ihipStream_tbENKUlT_T0_E_clISt17integral_constantIbLb0EESY_EEDaST_SU_EUlST_E_NS1_11comp_targetILNS1_3genE0ELNS1_11target_archE4294967295ELNS1_3gpuE0ELNS1_3repE0EEENS1_30default_config_static_selectorELNS0_4arch9wavefront6targetE1EEEvT1_
	.p2align	8
	.type	_ZN7rocprim17ROCPRIM_400000_NS6detail17trampoline_kernelINS0_14default_configENS1_27scan_by_key_config_selectorIssEEZZNS1_16scan_by_key_implILNS1_25lookback_scan_determinismE0ELb0ES3_N6thrust23THRUST_200600_302600_NS6detail15normal_iteratorINS9_10device_ptrIsEEEESE_SE_sNS9_4plusIsEE19head_flag_predicatesEE10hipError_tPvRmT2_T3_T4_T5_mT6_T7_P12ihipStream_tbENKUlT_T0_E_clISt17integral_constantIbLb0EESY_EEDaST_SU_EUlST_E_NS1_11comp_targetILNS1_3genE0ELNS1_11target_archE4294967295ELNS1_3gpuE0ELNS1_3repE0EEENS1_30default_config_static_selectorELNS0_4arch9wavefront6targetE1EEEvT1_,@function
_ZN7rocprim17ROCPRIM_400000_NS6detail17trampoline_kernelINS0_14default_configENS1_27scan_by_key_config_selectorIssEEZZNS1_16scan_by_key_implILNS1_25lookback_scan_determinismE0ELb0ES3_N6thrust23THRUST_200600_302600_NS6detail15normal_iteratorINS9_10device_ptrIsEEEESE_SE_sNS9_4plusIsEE19head_flag_predicatesEE10hipError_tPvRmT2_T3_T4_T5_mT6_T7_P12ihipStream_tbENKUlT_T0_E_clISt17integral_constantIbLb0EESY_EEDaST_SU_EUlST_E_NS1_11comp_targetILNS1_3genE0ELNS1_11target_archE4294967295ELNS1_3gpuE0ELNS1_3repE0EEENS1_30default_config_static_selectorELNS0_4arch9wavefront6targetE1EEEvT1_: ; @_ZN7rocprim17ROCPRIM_400000_NS6detail17trampoline_kernelINS0_14default_configENS1_27scan_by_key_config_selectorIssEEZZNS1_16scan_by_key_implILNS1_25lookback_scan_determinismE0ELb0ES3_N6thrust23THRUST_200600_302600_NS6detail15normal_iteratorINS9_10device_ptrIsEEEESE_SE_sNS9_4plusIsEE19head_flag_predicatesEE10hipError_tPvRmT2_T3_T4_T5_mT6_T7_P12ihipStream_tbENKUlT_T0_E_clISt17integral_constantIbLb0EESY_EEDaST_SU_EUlST_E_NS1_11comp_targetILNS1_3genE0ELNS1_11target_archE4294967295ELNS1_3gpuE0ELNS1_3repE0EEENS1_30default_config_static_selectorELNS0_4arch9wavefront6targetE1EEEvT1_
; %bb.0:
	.section	.rodata,"a",@progbits
	.p2align	6, 0x0
	.amdhsa_kernel _ZN7rocprim17ROCPRIM_400000_NS6detail17trampoline_kernelINS0_14default_configENS1_27scan_by_key_config_selectorIssEEZZNS1_16scan_by_key_implILNS1_25lookback_scan_determinismE0ELb0ES3_N6thrust23THRUST_200600_302600_NS6detail15normal_iteratorINS9_10device_ptrIsEEEESE_SE_sNS9_4plusIsEE19head_flag_predicatesEE10hipError_tPvRmT2_T3_T4_T5_mT6_T7_P12ihipStream_tbENKUlT_T0_E_clISt17integral_constantIbLb0EESY_EEDaST_SU_EUlST_E_NS1_11comp_targetILNS1_3genE0ELNS1_11target_archE4294967295ELNS1_3gpuE0ELNS1_3repE0EEENS1_30default_config_static_selectorELNS0_4arch9wavefront6targetE1EEEvT1_
		.amdhsa_group_segment_fixed_size 0
		.amdhsa_private_segment_fixed_size 0
		.amdhsa_kernarg_size 112
		.amdhsa_user_sgpr_count 6
		.amdhsa_user_sgpr_private_segment_buffer 1
		.amdhsa_user_sgpr_dispatch_ptr 0
		.amdhsa_user_sgpr_queue_ptr 0
		.amdhsa_user_sgpr_kernarg_segment_ptr 1
		.amdhsa_user_sgpr_dispatch_id 0
		.amdhsa_user_sgpr_flat_scratch_init 0
		.amdhsa_user_sgpr_kernarg_preload_length 0
		.amdhsa_user_sgpr_kernarg_preload_offset 0
		.amdhsa_user_sgpr_private_segment_size 0
		.amdhsa_uses_dynamic_stack 0
		.amdhsa_system_sgpr_private_segment_wavefront_offset 0
		.amdhsa_system_sgpr_workgroup_id_x 1
		.amdhsa_system_sgpr_workgroup_id_y 0
		.amdhsa_system_sgpr_workgroup_id_z 0
		.amdhsa_system_sgpr_workgroup_info 0
		.amdhsa_system_vgpr_workitem_id 0
		.amdhsa_next_free_vgpr 1
		.amdhsa_next_free_sgpr 0
		.amdhsa_accum_offset 4
		.amdhsa_reserve_vcc 0
		.amdhsa_reserve_flat_scratch 0
		.amdhsa_float_round_mode_32 0
		.amdhsa_float_round_mode_16_64 0
		.amdhsa_float_denorm_mode_32 3
		.amdhsa_float_denorm_mode_16_64 3
		.amdhsa_dx10_clamp 1
		.amdhsa_ieee_mode 1
		.amdhsa_fp16_overflow 0
		.amdhsa_tg_split 0
		.amdhsa_exception_fp_ieee_invalid_op 0
		.amdhsa_exception_fp_denorm_src 0
		.amdhsa_exception_fp_ieee_div_zero 0
		.amdhsa_exception_fp_ieee_overflow 0
		.amdhsa_exception_fp_ieee_underflow 0
		.amdhsa_exception_fp_ieee_inexact 0
		.amdhsa_exception_int_div_zero 0
	.end_amdhsa_kernel
	.section	.text._ZN7rocprim17ROCPRIM_400000_NS6detail17trampoline_kernelINS0_14default_configENS1_27scan_by_key_config_selectorIssEEZZNS1_16scan_by_key_implILNS1_25lookback_scan_determinismE0ELb0ES3_N6thrust23THRUST_200600_302600_NS6detail15normal_iteratorINS9_10device_ptrIsEEEESE_SE_sNS9_4plusIsEE19head_flag_predicatesEE10hipError_tPvRmT2_T3_T4_T5_mT6_T7_P12ihipStream_tbENKUlT_T0_E_clISt17integral_constantIbLb0EESY_EEDaST_SU_EUlST_E_NS1_11comp_targetILNS1_3genE0ELNS1_11target_archE4294967295ELNS1_3gpuE0ELNS1_3repE0EEENS1_30default_config_static_selectorELNS0_4arch9wavefront6targetE1EEEvT1_,"axG",@progbits,_ZN7rocprim17ROCPRIM_400000_NS6detail17trampoline_kernelINS0_14default_configENS1_27scan_by_key_config_selectorIssEEZZNS1_16scan_by_key_implILNS1_25lookback_scan_determinismE0ELb0ES3_N6thrust23THRUST_200600_302600_NS6detail15normal_iteratorINS9_10device_ptrIsEEEESE_SE_sNS9_4plusIsEE19head_flag_predicatesEE10hipError_tPvRmT2_T3_T4_T5_mT6_T7_P12ihipStream_tbENKUlT_T0_E_clISt17integral_constantIbLb0EESY_EEDaST_SU_EUlST_E_NS1_11comp_targetILNS1_3genE0ELNS1_11target_archE4294967295ELNS1_3gpuE0ELNS1_3repE0EEENS1_30default_config_static_selectorELNS0_4arch9wavefront6targetE1EEEvT1_,comdat
.Lfunc_end821:
	.size	_ZN7rocprim17ROCPRIM_400000_NS6detail17trampoline_kernelINS0_14default_configENS1_27scan_by_key_config_selectorIssEEZZNS1_16scan_by_key_implILNS1_25lookback_scan_determinismE0ELb0ES3_N6thrust23THRUST_200600_302600_NS6detail15normal_iteratorINS9_10device_ptrIsEEEESE_SE_sNS9_4plusIsEE19head_flag_predicatesEE10hipError_tPvRmT2_T3_T4_T5_mT6_T7_P12ihipStream_tbENKUlT_T0_E_clISt17integral_constantIbLb0EESY_EEDaST_SU_EUlST_E_NS1_11comp_targetILNS1_3genE0ELNS1_11target_archE4294967295ELNS1_3gpuE0ELNS1_3repE0EEENS1_30default_config_static_selectorELNS0_4arch9wavefront6targetE1EEEvT1_, .Lfunc_end821-_ZN7rocprim17ROCPRIM_400000_NS6detail17trampoline_kernelINS0_14default_configENS1_27scan_by_key_config_selectorIssEEZZNS1_16scan_by_key_implILNS1_25lookback_scan_determinismE0ELb0ES3_N6thrust23THRUST_200600_302600_NS6detail15normal_iteratorINS9_10device_ptrIsEEEESE_SE_sNS9_4plusIsEE19head_flag_predicatesEE10hipError_tPvRmT2_T3_T4_T5_mT6_T7_P12ihipStream_tbENKUlT_T0_E_clISt17integral_constantIbLb0EESY_EEDaST_SU_EUlST_E_NS1_11comp_targetILNS1_3genE0ELNS1_11target_archE4294967295ELNS1_3gpuE0ELNS1_3repE0EEENS1_30default_config_static_selectorELNS0_4arch9wavefront6targetE1EEEvT1_
                                        ; -- End function
	.section	.AMDGPU.csdata,"",@progbits
; Kernel info:
; codeLenInByte = 0
; NumSgprs: 4
; NumVgprs: 0
; NumAgprs: 0
; TotalNumVgprs: 0
; ScratchSize: 0
; MemoryBound: 0
; FloatMode: 240
; IeeeMode: 1
; LDSByteSize: 0 bytes/workgroup (compile time only)
; SGPRBlocks: 0
; VGPRBlocks: 0
; NumSGPRsForWavesPerEU: 4
; NumVGPRsForWavesPerEU: 1
; AccumOffset: 4
; Occupancy: 8
; WaveLimiterHint : 0
; COMPUTE_PGM_RSRC2:SCRATCH_EN: 0
; COMPUTE_PGM_RSRC2:USER_SGPR: 6
; COMPUTE_PGM_RSRC2:TRAP_HANDLER: 0
; COMPUTE_PGM_RSRC2:TGID_X_EN: 1
; COMPUTE_PGM_RSRC2:TGID_Y_EN: 0
; COMPUTE_PGM_RSRC2:TGID_Z_EN: 0
; COMPUTE_PGM_RSRC2:TIDIG_COMP_CNT: 0
; COMPUTE_PGM_RSRC3_GFX90A:ACCUM_OFFSET: 0
; COMPUTE_PGM_RSRC3_GFX90A:TG_SPLIT: 0
	.section	.text._ZN7rocprim17ROCPRIM_400000_NS6detail17trampoline_kernelINS0_14default_configENS1_27scan_by_key_config_selectorIssEEZZNS1_16scan_by_key_implILNS1_25lookback_scan_determinismE0ELb0ES3_N6thrust23THRUST_200600_302600_NS6detail15normal_iteratorINS9_10device_ptrIsEEEESE_SE_sNS9_4plusIsEE19head_flag_predicatesEE10hipError_tPvRmT2_T3_T4_T5_mT6_T7_P12ihipStream_tbENKUlT_T0_E_clISt17integral_constantIbLb0EESY_EEDaST_SU_EUlST_E_NS1_11comp_targetILNS1_3genE10ELNS1_11target_archE1201ELNS1_3gpuE5ELNS1_3repE0EEENS1_30default_config_static_selectorELNS0_4arch9wavefront6targetE1EEEvT1_,"axG",@progbits,_ZN7rocprim17ROCPRIM_400000_NS6detail17trampoline_kernelINS0_14default_configENS1_27scan_by_key_config_selectorIssEEZZNS1_16scan_by_key_implILNS1_25lookback_scan_determinismE0ELb0ES3_N6thrust23THRUST_200600_302600_NS6detail15normal_iteratorINS9_10device_ptrIsEEEESE_SE_sNS9_4plusIsEE19head_flag_predicatesEE10hipError_tPvRmT2_T3_T4_T5_mT6_T7_P12ihipStream_tbENKUlT_T0_E_clISt17integral_constantIbLb0EESY_EEDaST_SU_EUlST_E_NS1_11comp_targetILNS1_3genE10ELNS1_11target_archE1201ELNS1_3gpuE5ELNS1_3repE0EEENS1_30default_config_static_selectorELNS0_4arch9wavefront6targetE1EEEvT1_,comdat
	.protected	_ZN7rocprim17ROCPRIM_400000_NS6detail17trampoline_kernelINS0_14default_configENS1_27scan_by_key_config_selectorIssEEZZNS1_16scan_by_key_implILNS1_25lookback_scan_determinismE0ELb0ES3_N6thrust23THRUST_200600_302600_NS6detail15normal_iteratorINS9_10device_ptrIsEEEESE_SE_sNS9_4plusIsEE19head_flag_predicatesEE10hipError_tPvRmT2_T3_T4_T5_mT6_T7_P12ihipStream_tbENKUlT_T0_E_clISt17integral_constantIbLb0EESY_EEDaST_SU_EUlST_E_NS1_11comp_targetILNS1_3genE10ELNS1_11target_archE1201ELNS1_3gpuE5ELNS1_3repE0EEENS1_30default_config_static_selectorELNS0_4arch9wavefront6targetE1EEEvT1_ ; -- Begin function _ZN7rocprim17ROCPRIM_400000_NS6detail17trampoline_kernelINS0_14default_configENS1_27scan_by_key_config_selectorIssEEZZNS1_16scan_by_key_implILNS1_25lookback_scan_determinismE0ELb0ES3_N6thrust23THRUST_200600_302600_NS6detail15normal_iteratorINS9_10device_ptrIsEEEESE_SE_sNS9_4plusIsEE19head_flag_predicatesEE10hipError_tPvRmT2_T3_T4_T5_mT6_T7_P12ihipStream_tbENKUlT_T0_E_clISt17integral_constantIbLb0EESY_EEDaST_SU_EUlST_E_NS1_11comp_targetILNS1_3genE10ELNS1_11target_archE1201ELNS1_3gpuE5ELNS1_3repE0EEENS1_30default_config_static_selectorELNS0_4arch9wavefront6targetE1EEEvT1_
	.globl	_ZN7rocprim17ROCPRIM_400000_NS6detail17trampoline_kernelINS0_14default_configENS1_27scan_by_key_config_selectorIssEEZZNS1_16scan_by_key_implILNS1_25lookback_scan_determinismE0ELb0ES3_N6thrust23THRUST_200600_302600_NS6detail15normal_iteratorINS9_10device_ptrIsEEEESE_SE_sNS9_4plusIsEE19head_flag_predicatesEE10hipError_tPvRmT2_T3_T4_T5_mT6_T7_P12ihipStream_tbENKUlT_T0_E_clISt17integral_constantIbLb0EESY_EEDaST_SU_EUlST_E_NS1_11comp_targetILNS1_3genE10ELNS1_11target_archE1201ELNS1_3gpuE5ELNS1_3repE0EEENS1_30default_config_static_selectorELNS0_4arch9wavefront6targetE1EEEvT1_
	.p2align	8
	.type	_ZN7rocprim17ROCPRIM_400000_NS6detail17trampoline_kernelINS0_14default_configENS1_27scan_by_key_config_selectorIssEEZZNS1_16scan_by_key_implILNS1_25lookback_scan_determinismE0ELb0ES3_N6thrust23THRUST_200600_302600_NS6detail15normal_iteratorINS9_10device_ptrIsEEEESE_SE_sNS9_4plusIsEE19head_flag_predicatesEE10hipError_tPvRmT2_T3_T4_T5_mT6_T7_P12ihipStream_tbENKUlT_T0_E_clISt17integral_constantIbLb0EESY_EEDaST_SU_EUlST_E_NS1_11comp_targetILNS1_3genE10ELNS1_11target_archE1201ELNS1_3gpuE5ELNS1_3repE0EEENS1_30default_config_static_selectorELNS0_4arch9wavefront6targetE1EEEvT1_,@function
_ZN7rocprim17ROCPRIM_400000_NS6detail17trampoline_kernelINS0_14default_configENS1_27scan_by_key_config_selectorIssEEZZNS1_16scan_by_key_implILNS1_25lookback_scan_determinismE0ELb0ES3_N6thrust23THRUST_200600_302600_NS6detail15normal_iteratorINS9_10device_ptrIsEEEESE_SE_sNS9_4plusIsEE19head_flag_predicatesEE10hipError_tPvRmT2_T3_T4_T5_mT6_T7_P12ihipStream_tbENKUlT_T0_E_clISt17integral_constantIbLb0EESY_EEDaST_SU_EUlST_E_NS1_11comp_targetILNS1_3genE10ELNS1_11target_archE1201ELNS1_3gpuE5ELNS1_3repE0EEENS1_30default_config_static_selectorELNS0_4arch9wavefront6targetE1EEEvT1_: ; @_ZN7rocprim17ROCPRIM_400000_NS6detail17trampoline_kernelINS0_14default_configENS1_27scan_by_key_config_selectorIssEEZZNS1_16scan_by_key_implILNS1_25lookback_scan_determinismE0ELb0ES3_N6thrust23THRUST_200600_302600_NS6detail15normal_iteratorINS9_10device_ptrIsEEEESE_SE_sNS9_4plusIsEE19head_flag_predicatesEE10hipError_tPvRmT2_T3_T4_T5_mT6_T7_P12ihipStream_tbENKUlT_T0_E_clISt17integral_constantIbLb0EESY_EEDaST_SU_EUlST_E_NS1_11comp_targetILNS1_3genE10ELNS1_11target_archE1201ELNS1_3gpuE5ELNS1_3repE0EEENS1_30default_config_static_selectorELNS0_4arch9wavefront6targetE1EEEvT1_
; %bb.0:
	.section	.rodata,"a",@progbits
	.p2align	6, 0x0
	.amdhsa_kernel _ZN7rocprim17ROCPRIM_400000_NS6detail17trampoline_kernelINS0_14default_configENS1_27scan_by_key_config_selectorIssEEZZNS1_16scan_by_key_implILNS1_25lookback_scan_determinismE0ELb0ES3_N6thrust23THRUST_200600_302600_NS6detail15normal_iteratorINS9_10device_ptrIsEEEESE_SE_sNS9_4plusIsEE19head_flag_predicatesEE10hipError_tPvRmT2_T3_T4_T5_mT6_T7_P12ihipStream_tbENKUlT_T0_E_clISt17integral_constantIbLb0EESY_EEDaST_SU_EUlST_E_NS1_11comp_targetILNS1_3genE10ELNS1_11target_archE1201ELNS1_3gpuE5ELNS1_3repE0EEENS1_30default_config_static_selectorELNS0_4arch9wavefront6targetE1EEEvT1_
		.amdhsa_group_segment_fixed_size 0
		.amdhsa_private_segment_fixed_size 0
		.amdhsa_kernarg_size 112
		.amdhsa_user_sgpr_count 6
		.amdhsa_user_sgpr_private_segment_buffer 1
		.amdhsa_user_sgpr_dispatch_ptr 0
		.amdhsa_user_sgpr_queue_ptr 0
		.amdhsa_user_sgpr_kernarg_segment_ptr 1
		.amdhsa_user_sgpr_dispatch_id 0
		.amdhsa_user_sgpr_flat_scratch_init 0
		.amdhsa_user_sgpr_kernarg_preload_length 0
		.amdhsa_user_sgpr_kernarg_preload_offset 0
		.amdhsa_user_sgpr_private_segment_size 0
		.amdhsa_uses_dynamic_stack 0
		.amdhsa_system_sgpr_private_segment_wavefront_offset 0
		.amdhsa_system_sgpr_workgroup_id_x 1
		.amdhsa_system_sgpr_workgroup_id_y 0
		.amdhsa_system_sgpr_workgroup_id_z 0
		.amdhsa_system_sgpr_workgroup_info 0
		.amdhsa_system_vgpr_workitem_id 0
		.amdhsa_next_free_vgpr 1
		.amdhsa_next_free_sgpr 0
		.amdhsa_accum_offset 4
		.amdhsa_reserve_vcc 0
		.amdhsa_reserve_flat_scratch 0
		.amdhsa_float_round_mode_32 0
		.amdhsa_float_round_mode_16_64 0
		.amdhsa_float_denorm_mode_32 3
		.amdhsa_float_denorm_mode_16_64 3
		.amdhsa_dx10_clamp 1
		.amdhsa_ieee_mode 1
		.amdhsa_fp16_overflow 0
		.amdhsa_tg_split 0
		.amdhsa_exception_fp_ieee_invalid_op 0
		.amdhsa_exception_fp_denorm_src 0
		.amdhsa_exception_fp_ieee_div_zero 0
		.amdhsa_exception_fp_ieee_overflow 0
		.amdhsa_exception_fp_ieee_underflow 0
		.amdhsa_exception_fp_ieee_inexact 0
		.amdhsa_exception_int_div_zero 0
	.end_amdhsa_kernel
	.section	.text._ZN7rocprim17ROCPRIM_400000_NS6detail17trampoline_kernelINS0_14default_configENS1_27scan_by_key_config_selectorIssEEZZNS1_16scan_by_key_implILNS1_25lookback_scan_determinismE0ELb0ES3_N6thrust23THRUST_200600_302600_NS6detail15normal_iteratorINS9_10device_ptrIsEEEESE_SE_sNS9_4plusIsEE19head_flag_predicatesEE10hipError_tPvRmT2_T3_T4_T5_mT6_T7_P12ihipStream_tbENKUlT_T0_E_clISt17integral_constantIbLb0EESY_EEDaST_SU_EUlST_E_NS1_11comp_targetILNS1_3genE10ELNS1_11target_archE1201ELNS1_3gpuE5ELNS1_3repE0EEENS1_30default_config_static_selectorELNS0_4arch9wavefront6targetE1EEEvT1_,"axG",@progbits,_ZN7rocprim17ROCPRIM_400000_NS6detail17trampoline_kernelINS0_14default_configENS1_27scan_by_key_config_selectorIssEEZZNS1_16scan_by_key_implILNS1_25lookback_scan_determinismE0ELb0ES3_N6thrust23THRUST_200600_302600_NS6detail15normal_iteratorINS9_10device_ptrIsEEEESE_SE_sNS9_4plusIsEE19head_flag_predicatesEE10hipError_tPvRmT2_T3_T4_T5_mT6_T7_P12ihipStream_tbENKUlT_T0_E_clISt17integral_constantIbLb0EESY_EEDaST_SU_EUlST_E_NS1_11comp_targetILNS1_3genE10ELNS1_11target_archE1201ELNS1_3gpuE5ELNS1_3repE0EEENS1_30default_config_static_selectorELNS0_4arch9wavefront6targetE1EEEvT1_,comdat
.Lfunc_end822:
	.size	_ZN7rocprim17ROCPRIM_400000_NS6detail17trampoline_kernelINS0_14default_configENS1_27scan_by_key_config_selectorIssEEZZNS1_16scan_by_key_implILNS1_25lookback_scan_determinismE0ELb0ES3_N6thrust23THRUST_200600_302600_NS6detail15normal_iteratorINS9_10device_ptrIsEEEESE_SE_sNS9_4plusIsEE19head_flag_predicatesEE10hipError_tPvRmT2_T3_T4_T5_mT6_T7_P12ihipStream_tbENKUlT_T0_E_clISt17integral_constantIbLb0EESY_EEDaST_SU_EUlST_E_NS1_11comp_targetILNS1_3genE10ELNS1_11target_archE1201ELNS1_3gpuE5ELNS1_3repE0EEENS1_30default_config_static_selectorELNS0_4arch9wavefront6targetE1EEEvT1_, .Lfunc_end822-_ZN7rocprim17ROCPRIM_400000_NS6detail17trampoline_kernelINS0_14default_configENS1_27scan_by_key_config_selectorIssEEZZNS1_16scan_by_key_implILNS1_25lookback_scan_determinismE0ELb0ES3_N6thrust23THRUST_200600_302600_NS6detail15normal_iteratorINS9_10device_ptrIsEEEESE_SE_sNS9_4plusIsEE19head_flag_predicatesEE10hipError_tPvRmT2_T3_T4_T5_mT6_T7_P12ihipStream_tbENKUlT_T0_E_clISt17integral_constantIbLb0EESY_EEDaST_SU_EUlST_E_NS1_11comp_targetILNS1_3genE10ELNS1_11target_archE1201ELNS1_3gpuE5ELNS1_3repE0EEENS1_30default_config_static_selectorELNS0_4arch9wavefront6targetE1EEEvT1_
                                        ; -- End function
	.section	.AMDGPU.csdata,"",@progbits
; Kernel info:
; codeLenInByte = 0
; NumSgprs: 4
; NumVgprs: 0
; NumAgprs: 0
; TotalNumVgprs: 0
; ScratchSize: 0
; MemoryBound: 0
; FloatMode: 240
; IeeeMode: 1
; LDSByteSize: 0 bytes/workgroup (compile time only)
; SGPRBlocks: 0
; VGPRBlocks: 0
; NumSGPRsForWavesPerEU: 4
; NumVGPRsForWavesPerEU: 1
; AccumOffset: 4
; Occupancy: 8
; WaveLimiterHint : 0
; COMPUTE_PGM_RSRC2:SCRATCH_EN: 0
; COMPUTE_PGM_RSRC2:USER_SGPR: 6
; COMPUTE_PGM_RSRC2:TRAP_HANDLER: 0
; COMPUTE_PGM_RSRC2:TGID_X_EN: 1
; COMPUTE_PGM_RSRC2:TGID_Y_EN: 0
; COMPUTE_PGM_RSRC2:TGID_Z_EN: 0
; COMPUTE_PGM_RSRC2:TIDIG_COMP_CNT: 0
; COMPUTE_PGM_RSRC3_GFX90A:ACCUM_OFFSET: 0
; COMPUTE_PGM_RSRC3_GFX90A:TG_SPLIT: 0
	.section	.text._ZN7rocprim17ROCPRIM_400000_NS6detail17trampoline_kernelINS0_14default_configENS1_27scan_by_key_config_selectorIssEEZZNS1_16scan_by_key_implILNS1_25lookback_scan_determinismE0ELb0ES3_N6thrust23THRUST_200600_302600_NS6detail15normal_iteratorINS9_10device_ptrIsEEEESE_SE_sNS9_4plusIsEE19head_flag_predicatesEE10hipError_tPvRmT2_T3_T4_T5_mT6_T7_P12ihipStream_tbENKUlT_T0_E_clISt17integral_constantIbLb0EESY_EEDaST_SU_EUlST_E_NS1_11comp_targetILNS1_3genE5ELNS1_11target_archE942ELNS1_3gpuE9ELNS1_3repE0EEENS1_30default_config_static_selectorELNS0_4arch9wavefront6targetE1EEEvT1_,"axG",@progbits,_ZN7rocprim17ROCPRIM_400000_NS6detail17trampoline_kernelINS0_14default_configENS1_27scan_by_key_config_selectorIssEEZZNS1_16scan_by_key_implILNS1_25lookback_scan_determinismE0ELb0ES3_N6thrust23THRUST_200600_302600_NS6detail15normal_iteratorINS9_10device_ptrIsEEEESE_SE_sNS9_4plusIsEE19head_flag_predicatesEE10hipError_tPvRmT2_T3_T4_T5_mT6_T7_P12ihipStream_tbENKUlT_T0_E_clISt17integral_constantIbLb0EESY_EEDaST_SU_EUlST_E_NS1_11comp_targetILNS1_3genE5ELNS1_11target_archE942ELNS1_3gpuE9ELNS1_3repE0EEENS1_30default_config_static_selectorELNS0_4arch9wavefront6targetE1EEEvT1_,comdat
	.protected	_ZN7rocprim17ROCPRIM_400000_NS6detail17trampoline_kernelINS0_14default_configENS1_27scan_by_key_config_selectorIssEEZZNS1_16scan_by_key_implILNS1_25lookback_scan_determinismE0ELb0ES3_N6thrust23THRUST_200600_302600_NS6detail15normal_iteratorINS9_10device_ptrIsEEEESE_SE_sNS9_4plusIsEE19head_flag_predicatesEE10hipError_tPvRmT2_T3_T4_T5_mT6_T7_P12ihipStream_tbENKUlT_T0_E_clISt17integral_constantIbLb0EESY_EEDaST_SU_EUlST_E_NS1_11comp_targetILNS1_3genE5ELNS1_11target_archE942ELNS1_3gpuE9ELNS1_3repE0EEENS1_30default_config_static_selectorELNS0_4arch9wavefront6targetE1EEEvT1_ ; -- Begin function _ZN7rocprim17ROCPRIM_400000_NS6detail17trampoline_kernelINS0_14default_configENS1_27scan_by_key_config_selectorIssEEZZNS1_16scan_by_key_implILNS1_25lookback_scan_determinismE0ELb0ES3_N6thrust23THRUST_200600_302600_NS6detail15normal_iteratorINS9_10device_ptrIsEEEESE_SE_sNS9_4plusIsEE19head_flag_predicatesEE10hipError_tPvRmT2_T3_T4_T5_mT6_T7_P12ihipStream_tbENKUlT_T0_E_clISt17integral_constantIbLb0EESY_EEDaST_SU_EUlST_E_NS1_11comp_targetILNS1_3genE5ELNS1_11target_archE942ELNS1_3gpuE9ELNS1_3repE0EEENS1_30default_config_static_selectorELNS0_4arch9wavefront6targetE1EEEvT1_
	.globl	_ZN7rocprim17ROCPRIM_400000_NS6detail17trampoline_kernelINS0_14default_configENS1_27scan_by_key_config_selectorIssEEZZNS1_16scan_by_key_implILNS1_25lookback_scan_determinismE0ELb0ES3_N6thrust23THRUST_200600_302600_NS6detail15normal_iteratorINS9_10device_ptrIsEEEESE_SE_sNS9_4plusIsEE19head_flag_predicatesEE10hipError_tPvRmT2_T3_T4_T5_mT6_T7_P12ihipStream_tbENKUlT_T0_E_clISt17integral_constantIbLb0EESY_EEDaST_SU_EUlST_E_NS1_11comp_targetILNS1_3genE5ELNS1_11target_archE942ELNS1_3gpuE9ELNS1_3repE0EEENS1_30default_config_static_selectorELNS0_4arch9wavefront6targetE1EEEvT1_
	.p2align	8
	.type	_ZN7rocprim17ROCPRIM_400000_NS6detail17trampoline_kernelINS0_14default_configENS1_27scan_by_key_config_selectorIssEEZZNS1_16scan_by_key_implILNS1_25lookback_scan_determinismE0ELb0ES3_N6thrust23THRUST_200600_302600_NS6detail15normal_iteratorINS9_10device_ptrIsEEEESE_SE_sNS9_4plusIsEE19head_flag_predicatesEE10hipError_tPvRmT2_T3_T4_T5_mT6_T7_P12ihipStream_tbENKUlT_T0_E_clISt17integral_constantIbLb0EESY_EEDaST_SU_EUlST_E_NS1_11comp_targetILNS1_3genE5ELNS1_11target_archE942ELNS1_3gpuE9ELNS1_3repE0EEENS1_30default_config_static_selectorELNS0_4arch9wavefront6targetE1EEEvT1_,@function
_ZN7rocprim17ROCPRIM_400000_NS6detail17trampoline_kernelINS0_14default_configENS1_27scan_by_key_config_selectorIssEEZZNS1_16scan_by_key_implILNS1_25lookback_scan_determinismE0ELb0ES3_N6thrust23THRUST_200600_302600_NS6detail15normal_iteratorINS9_10device_ptrIsEEEESE_SE_sNS9_4plusIsEE19head_flag_predicatesEE10hipError_tPvRmT2_T3_T4_T5_mT6_T7_P12ihipStream_tbENKUlT_T0_E_clISt17integral_constantIbLb0EESY_EEDaST_SU_EUlST_E_NS1_11comp_targetILNS1_3genE5ELNS1_11target_archE942ELNS1_3gpuE9ELNS1_3repE0EEENS1_30default_config_static_selectorELNS0_4arch9wavefront6targetE1EEEvT1_: ; @_ZN7rocprim17ROCPRIM_400000_NS6detail17trampoline_kernelINS0_14default_configENS1_27scan_by_key_config_selectorIssEEZZNS1_16scan_by_key_implILNS1_25lookback_scan_determinismE0ELb0ES3_N6thrust23THRUST_200600_302600_NS6detail15normal_iteratorINS9_10device_ptrIsEEEESE_SE_sNS9_4plusIsEE19head_flag_predicatesEE10hipError_tPvRmT2_T3_T4_T5_mT6_T7_P12ihipStream_tbENKUlT_T0_E_clISt17integral_constantIbLb0EESY_EEDaST_SU_EUlST_E_NS1_11comp_targetILNS1_3genE5ELNS1_11target_archE942ELNS1_3gpuE9ELNS1_3repE0EEENS1_30default_config_static_selectorELNS0_4arch9wavefront6targetE1EEEvT1_
; %bb.0:
	.section	.rodata,"a",@progbits
	.p2align	6, 0x0
	.amdhsa_kernel _ZN7rocprim17ROCPRIM_400000_NS6detail17trampoline_kernelINS0_14default_configENS1_27scan_by_key_config_selectorIssEEZZNS1_16scan_by_key_implILNS1_25lookback_scan_determinismE0ELb0ES3_N6thrust23THRUST_200600_302600_NS6detail15normal_iteratorINS9_10device_ptrIsEEEESE_SE_sNS9_4plusIsEE19head_flag_predicatesEE10hipError_tPvRmT2_T3_T4_T5_mT6_T7_P12ihipStream_tbENKUlT_T0_E_clISt17integral_constantIbLb0EESY_EEDaST_SU_EUlST_E_NS1_11comp_targetILNS1_3genE5ELNS1_11target_archE942ELNS1_3gpuE9ELNS1_3repE0EEENS1_30default_config_static_selectorELNS0_4arch9wavefront6targetE1EEEvT1_
		.amdhsa_group_segment_fixed_size 0
		.amdhsa_private_segment_fixed_size 0
		.amdhsa_kernarg_size 112
		.amdhsa_user_sgpr_count 6
		.amdhsa_user_sgpr_private_segment_buffer 1
		.amdhsa_user_sgpr_dispatch_ptr 0
		.amdhsa_user_sgpr_queue_ptr 0
		.amdhsa_user_sgpr_kernarg_segment_ptr 1
		.amdhsa_user_sgpr_dispatch_id 0
		.amdhsa_user_sgpr_flat_scratch_init 0
		.amdhsa_user_sgpr_kernarg_preload_length 0
		.amdhsa_user_sgpr_kernarg_preload_offset 0
		.amdhsa_user_sgpr_private_segment_size 0
		.amdhsa_uses_dynamic_stack 0
		.amdhsa_system_sgpr_private_segment_wavefront_offset 0
		.amdhsa_system_sgpr_workgroup_id_x 1
		.amdhsa_system_sgpr_workgroup_id_y 0
		.amdhsa_system_sgpr_workgroup_id_z 0
		.amdhsa_system_sgpr_workgroup_info 0
		.amdhsa_system_vgpr_workitem_id 0
		.amdhsa_next_free_vgpr 1
		.amdhsa_next_free_sgpr 0
		.amdhsa_accum_offset 4
		.amdhsa_reserve_vcc 0
		.amdhsa_reserve_flat_scratch 0
		.amdhsa_float_round_mode_32 0
		.amdhsa_float_round_mode_16_64 0
		.amdhsa_float_denorm_mode_32 3
		.amdhsa_float_denorm_mode_16_64 3
		.amdhsa_dx10_clamp 1
		.amdhsa_ieee_mode 1
		.amdhsa_fp16_overflow 0
		.amdhsa_tg_split 0
		.amdhsa_exception_fp_ieee_invalid_op 0
		.amdhsa_exception_fp_denorm_src 0
		.amdhsa_exception_fp_ieee_div_zero 0
		.amdhsa_exception_fp_ieee_overflow 0
		.amdhsa_exception_fp_ieee_underflow 0
		.amdhsa_exception_fp_ieee_inexact 0
		.amdhsa_exception_int_div_zero 0
	.end_amdhsa_kernel
	.section	.text._ZN7rocprim17ROCPRIM_400000_NS6detail17trampoline_kernelINS0_14default_configENS1_27scan_by_key_config_selectorIssEEZZNS1_16scan_by_key_implILNS1_25lookback_scan_determinismE0ELb0ES3_N6thrust23THRUST_200600_302600_NS6detail15normal_iteratorINS9_10device_ptrIsEEEESE_SE_sNS9_4plusIsEE19head_flag_predicatesEE10hipError_tPvRmT2_T3_T4_T5_mT6_T7_P12ihipStream_tbENKUlT_T0_E_clISt17integral_constantIbLb0EESY_EEDaST_SU_EUlST_E_NS1_11comp_targetILNS1_3genE5ELNS1_11target_archE942ELNS1_3gpuE9ELNS1_3repE0EEENS1_30default_config_static_selectorELNS0_4arch9wavefront6targetE1EEEvT1_,"axG",@progbits,_ZN7rocprim17ROCPRIM_400000_NS6detail17trampoline_kernelINS0_14default_configENS1_27scan_by_key_config_selectorIssEEZZNS1_16scan_by_key_implILNS1_25lookback_scan_determinismE0ELb0ES3_N6thrust23THRUST_200600_302600_NS6detail15normal_iteratorINS9_10device_ptrIsEEEESE_SE_sNS9_4plusIsEE19head_flag_predicatesEE10hipError_tPvRmT2_T3_T4_T5_mT6_T7_P12ihipStream_tbENKUlT_T0_E_clISt17integral_constantIbLb0EESY_EEDaST_SU_EUlST_E_NS1_11comp_targetILNS1_3genE5ELNS1_11target_archE942ELNS1_3gpuE9ELNS1_3repE0EEENS1_30default_config_static_selectorELNS0_4arch9wavefront6targetE1EEEvT1_,comdat
.Lfunc_end823:
	.size	_ZN7rocprim17ROCPRIM_400000_NS6detail17trampoline_kernelINS0_14default_configENS1_27scan_by_key_config_selectorIssEEZZNS1_16scan_by_key_implILNS1_25lookback_scan_determinismE0ELb0ES3_N6thrust23THRUST_200600_302600_NS6detail15normal_iteratorINS9_10device_ptrIsEEEESE_SE_sNS9_4plusIsEE19head_flag_predicatesEE10hipError_tPvRmT2_T3_T4_T5_mT6_T7_P12ihipStream_tbENKUlT_T0_E_clISt17integral_constantIbLb0EESY_EEDaST_SU_EUlST_E_NS1_11comp_targetILNS1_3genE5ELNS1_11target_archE942ELNS1_3gpuE9ELNS1_3repE0EEENS1_30default_config_static_selectorELNS0_4arch9wavefront6targetE1EEEvT1_, .Lfunc_end823-_ZN7rocprim17ROCPRIM_400000_NS6detail17trampoline_kernelINS0_14default_configENS1_27scan_by_key_config_selectorIssEEZZNS1_16scan_by_key_implILNS1_25lookback_scan_determinismE0ELb0ES3_N6thrust23THRUST_200600_302600_NS6detail15normal_iteratorINS9_10device_ptrIsEEEESE_SE_sNS9_4plusIsEE19head_flag_predicatesEE10hipError_tPvRmT2_T3_T4_T5_mT6_T7_P12ihipStream_tbENKUlT_T0_E_clISt17integral_constantIbLb0EESY_EEDaST_SU_EUlST_E_NS1_11comp_targetILNS1_3genE5ELNS1_11target_archE942ELNS1_3gpuE9ELNS1_3repE0EEENS1_30default_config_static_selectorELNS0_4arch9wavefront6targetE1EEEvT1_
                                        ; -- End function
	.section	.AMDGPU.csdata,"",@progbits
; Kernel info:
; codeLenInByte = 0
; NumSgprs: 4
; NumVgprs: 0
; NumAgprs: 0
; TotalNumVgprs: 0
; ScratchSize: 0
; MemoryBound: 0
; FloatMode: 240
; IeeeMode: 1
; LDSByteSize: 0 bytes/workgroup (compile time only)
; SGPRBlocks: 0
; VGPRBlocks: 0
; NumSGPRsForWavesPerEU: 4
; NumVGPRsForWavesPerEU: 1
; AccumOffset: 4
; Occupancy: 8
; WaveLimiterHint : 0
; COMPUTE_PGM_RSRC2:SCRATCH_EN: 0
; COMPUTE_PGM_RSRC2:USER_SGPR: 6
; COMPUTE_PGM_RSRC2:TRAP_HANDLER: 0
; COMPUTE_PGM_RSRC2:TGID_X_EN: 1
; COMPUTE_PGM_RSRC2:TGID_Y_EN: 0
; COMPUTE_PGM_RSRC2:TGID_Z_EN: 0
; COMPUTE_PGM_RSRC2:TIDIG_COMP_CNT: 0
; COMPUTE_PGM_RSRC3_GFX90A:ACCUM_OFFSET: 0
; COMPUTE_PGM_RSRC3_GFX90A:TG_SPLIT: 0
	.section	.text._ZN7rocprim17ROCPRIM_400000_NS6detail17trampoline_kernelINS0_14default_configENS1_27scan_by_key_config_selectorIssEEZZNS1_16scan_by_key_implILNS1_25lookback_scan_determinismE0ELb0ES3_N6thrust23THRUST_200600_302600_NS6detail15normal_iteratorINS9_10device_ptrIsEEEESE_SE_sNS9_4plusIsEE19head_flag_predicatesEE10hipError_tPvRmT2_T3_T4_T5_mT6_T7_P12ihipStream_tbENKUlT_T0_E_clISt17integral_constantIbLb0EESY_EEDaST_SU_EUlST_E_NS1_11comp_targetILNS1_3genE4ELNS1_11target_archE910ELNS1_3gpuE8ELNS1_3repE0EEENS1_30default_config_static_selectorELNS0_4arch9wavefront6targetE1EEEvT1_,"axG",@progbits,_ZN7rocprim17ROCPRIM_400000_NS6detail17trampoline_kernelINS0_14default_configENS1_27scan_by_key_config_selectorIssEEZZNS1_16scan_by_key_implILNS1_25lookback_scan_determinismE0ELb0ES3_N6thrust23THRUST_200600_302600_NS6detail15normal_iteratorINS9_10device_ptrIsEEEESE_SE_sNS9_4plusIsEE19head_flag_predicatesEE10hipError_tPvRmT2_T3_T4_T5_mT6_T7_P12ihipStream_tbENKUlT_T0_E_clISt17integral_constantIbLb0EESY_EEDaST_SU_EUlST_E_NS1_11comp_targetILNS1_3genE4ELNS1_11target_archE910ELNS1_3gpuE8ELNS1_3repE0EEENS1_30default_config_static_selectorELNS0_4arch9wavefront6targetE1EEEvT1_,comdat
	.protected	_ZN7rocprim17ROCPRIM_400000_NS6detail17trampoline_kernelINS0_14default_configENS1_27scan_by_key_config_selectorIssEEZZNS1_16scan_by_key_implILNS1_25lookback_scan_determinismE0ELb0ES3_N6thrust23THRUST_200600_302600_NS6detail15normal_iteratorINS9_10device_ptrIsEEEESE_SE_sNS9_4plusIsEE19head_flag_predicatesEE10hipError_tPvRmT2_T3_T4_T5_mT6_T7_P12ihipStream_tbENKUlT_T0_E_clISt17integral_constantIbLb0EESY_EEDaST_SU_EUlST_E_NS1_11comp_targetILNS1_3genE4ELNS1_11target_archE910ELNS1_3gpuE8ELNS1_3repE0EEENS1_30default_config_static_selectorELNS0_4arch9wavefront6targetE1EEEvT1_ ; -- Begin function _ZN7rocprim17ROCPRIM_400000_NS6detail17trampoline_kernelINS0_14default_configENS1_27scan_by_key_config_selectorIssEEZZNS1_16scan_by_key_implILNS1_25lookback_scan_determinismE0ELb0ES3_N6thrust23THRUST_200600_302600_NS6detail15normal_iteratorINS9_10device_ptrIsEEEESE_SE_sNS9_4plusIsEE19head_flag_predicatesEE10hipError_tPvRmT2_T3_T4_T5_mT6_T7_P12ihipStream_tbENKUlT_T0_E_clISt17integral_constantIbLb0EESY_EEDaST_SU_EUlST_E_NS1_11comp_targetILNS1_3genE4ELNS1_11target_archE910ELNS1_3gpuE8ELNS1_3repE0EEENS1_30default_config_static_selectorELNS0_4arch9wavefront6targetE1EEEvT1_
	.globl	_ZN7rocprim17ROCPRIM_400000_NS6detail17trampoline_kernelINS0_14default_configENS1_27scan_by_key_config_selectorIssEEZZNS1_16scan_by_key_implILNS1_25lookback_scan_determinismE0ELb0ES3_N6thrust23THRUST_200600_302600_NS6detail15normal_iteratorINS9_10device_ptrIsEEEESE_SE_sNS9_4plusIsEE19head_flag_predicatesEE10hipError_tPvRmT2_T3_T4_T5_mT6_T7_P12ihipStream_tbENKUlT_T0_E_clISt17integral_constantIbLb0EESY_EEDaST_SU_EUlST_E_NS1_11comp_targetILNS1_3genE4ELNS1_11target_archE910ELNS1_3gpuE8ELNS1_3repE0EEENS1_30default_config_static_selectorELNS0_4arch9wavefront6targetE1EEEvT1_
	.p2align	8
	.type	_ZN7rocprim17ROCPRIM_400000_NS6detail17trampoline_kernelINS0_14default_configENS1_27scan_by_key_config_selectorIssEEZZNS1_16scan_by_key_implILNS1_25lookback_scan_determinismE0ELb0ES3_N6thrust23THRUST_200600_302600_NS6detail15normal_iteratorINS9_10device_ptrIsEEEESE_SE_sNS9_4plusIsEE19head_flag_predicatesEE10hipError_tPvRmT2_T3_T4_T5_mT6_T7_P12ihipStream_tbENKUlT_T0_E_clISt17integral_constantIbLb0EESY_EEDaST_SU_EUlST_E_NS1_11comp_targetILNS1_3genE4ELNS1_11target_archE910ELNS1_3gpuE8ELNS1_3repE0EEENS1_30default_config_static_selectorELNS0_4arch9wavefront6targetE1EEEvT1_,@function
_ZN7rocprim17ROCPRIM_400000_NS6detail17trampoline_kernelINS0_14default_configENS1_27scan_by_key_config_selectorIssEEZZNS1_16scan_by_key_implILNS1_25lookback_scan_determinismE0ELb0ES3_N6thrust23THRUST_200600_302600_NS6detail15normal_iteratorINS9_10device_ptrIsEEEESE_SE_sNS9_4plusIsEE19head_flag_predicatesEE10hipError_tPvRmT2_T3_T4_T5_mT6_T7_P12ihipStream_tbENKUlT_T0_E_clISt17integral_constantIbLb0EESY_EEDaST_SU_EUlST_E_NS1_11comp_targetILNS1_3genE4ELNS1_11target_archE910ELNS1_3gpuE8ELNS1_3repE0EEENS1_30default_config_static_selectorELNS0_4arch9wavefront6targetE1EEEvT1_: ; @_ZN7rocprim17ROCPRIM_400000_NS6detail17trampoline_kernelINS0_14default_configENS1_27scan_by_key_config_selectorIssEEZZNS1_16scan_by_key_implILNS1_25lookback_scan_determinismE0ELb0ES3_N6thrust23THRUST_200600_302600_NS6detail15normal_iteratorINS9_10device_ptrIsEEEESE_SE_sNS9_4plusIsEE19head_flag_predicatesEE10hipError_tPvRmT2_T3_T4_T5_mT6_T7_P12ihipStream_tbENKUlT_T0_E_clISt17integral_constantIbLb0EESY_EEDaST_SU_EUlST_E_NS1_11comp_targetILNS1_3genE4ELNS1_11target_archE910ELNS1_3gpuE8ELNS1_3repE0EEENS1_30default_config_static_selectorELNS0_4arch9wavefront6targetE1EEEvT1_
; %bb.0:
	s_load_dwordx8 s[48:55], s[4:5], 0x0
	s_load_dwordx4 s[56:59], s[4:5], 0x28
	s_load_dwordx2 s[66:67], s[4:5], 0x38
	s_load_dword s0, s[4:5], 0x40
	s_load_dwordx4 s[60:63], s[4:5], 0x48
	s_waitcnt lgkmcnt(0)
	s_lshl_b64 s[64:65], s[50:51], 1
	s_add_u32 s2, s48, s64
	s_addc_u32 s3, s49, s65
	s_add_u32 s4, s52, s64
	s_mul_i32 s1, s67, s0
	s_mul_hi_u32 s7, s66, s0
	s_addc_u32 s5, s53, s65
	s_add_i32 s8, s7, s1
	s_mul_i32 s9, s66, s0
	s_mul_i32 s0, s6, 0x1600
	s_mov_b32 s1, 0
	s_lshl_b64 s[52:53], s[0:1], 1
	s_add_u32 s50, s2, s52
	s_addc_u32 s51, s3, s53
	s_add_u32 s7, s4, s52
	s_addc_u32 s59, s5, s53
	;; [unrolled: 2-line block ×3, first 2 shown]
	s_add_u32 s2, s60, -1
	s_addc_u32 s3, s61, -1
	v_pk_mov_b32 v[2:3], s[2:3], s[2:3] op_sel:[0,1]
	v_cmp_ge_u64_e64 s[0:1], s[0:1], v[2:3]
	s_mov_b64 s[4:5], -1
	s_and_b64 vcc, exec, s[0:1]
	s_mul_i32 s33, s2, 0xffffea00
	s_barrier
	s_cbranch_vccz .LBB824_112
; %bb.1:
	v_pk_mov_b32 v[2:3], s[50:51], s[50:51] op_sel:[0,1]
	flat_load_ushort v6, v[2:3]
	s_add_i32 s70, s33, s58
	v_cmp_gt_u32_e32 vcc, s70, v0
	s_waitcnt vmcnt(0) lgkmcnt(0)
	v_mov_b32_e32 v17, v6
	s_and_saveexec_b64 s[4:5], vcc
	s_cbranch_execz .LBB824_3
; %bb.2:
	v_lshlrev_b32_e32 v1, 1, v0
	v_mov_b32_e32 v3, s51
	v_add_co_u32_e64 v2, s[2:3], s50, v1
	v_addc_co_u32_e64 v3, s[2:3], 0, v3, s[2:3]
	flat_load_ushort v17, v[2:3]
.LBB824_3:
	s_or_b64 exec, exec, s[4:5]
	v_or_b32_e32 v1, 0x100, v0
	v_cmp_gt_u32_e64 s[2:3], s70, v1
	v_mov_b32_e32 v18, v6
	s_and_saveexec_b64 s[8:9], s[2:3]
	s_cbranch_execz .LBB824_5
; %bb.4:
	v_lshlrev_b32_e32 v1, 1, v0
	v_mov_b32_e32 v3, s51
	v_add_co_u32_e64 v2, s[4:5], s50, v1
	v_addc_co_u32_e64 v3, s[4:5], 0, v3, s[4:5]
	flat_load_ushort v18, v[2:3] offset:512
.LBB824_5:
	s_or_b64 exec, exec, s[8:9]
	v_or_b32_e32 v1, 0x200, v0
	v_cmp_gt_u32_e64 s[4:5], s70, v1
	v_mov_b32_e32 v19, v6
	s_and_saveexec_b64 s[10:11], s[4:5]
	s_cbranch_execz .LBB824_7
; %bb.6:
	v_lshlrev_b32_e32 v1, 1, v0
	v_mov_b32_e32 v3, s51
	v_add_co_u32_e64 v2, s[8:9], s50, v1
	v_addc_co_u32_e64 v3, s[8:9], 0, v3, s[8:9]
	flat_load_ushort v19, v[2:3] offset:1024
.LBB824_7:
	;; [unrolled: 13-line block ×7, first 2 shown]
	s_or_b64 exec, exec, s[18:19]
	v_or_b32_e32 v1, 0x800, v0
	v_cmp_gt_u32_e64 s[16:17], s70, v1
	v_lshlrev_b32_e32 v1, 1, v1
	v_mov_b32_e32 v25, v6
	s_and_saveexec_b64 s[20:21], s[16:17]
	s_cbranch_execz .LBB824_19
; %bb.18:
	v_mov_b32_e32 v3, s51
	v_add_co_u32_e64 v2, s[18:19], s50, v1
	v_addc_co_u32_e64 v3, s[18:19], 0, v3, s[18:19]
	flat_load_ushort v25, v[2:3]
.LBB824_19:
	s_or_b64 exec, exec, s[20:21]
	v_or_b32_e32 v2, 0x900, v0
	v_cmp_gt_u32_e64 s[18:19], s70, v2
	v_lshlrev_b32_e32 v2, 1, v2
	v_mov_b32_e32 v26, v6
	s_and_saveexec_b64 s[22:23], s[18:19]
	s_cbranch_execz .LBB824_21
; %bb.20:
	v_mov_b32_e32 v3, s51
	v_add_co_u32_e64 v4, s[20:21], s50, v2
	v_addc_co_u32_e64 v5, s[20:21], 0, v3, s[20:21]
	flat_load_ushort v26, v[4:5]
.LBB824_21:
	;; [unrolled: 13-line block ×13, first 2 shown]
	s_or_b64 exec, exec, s[48:49]
	v_or_b32_e32 v11, 0x1500, v0
	v_cmp_gt_u32_e64 s[44:45], s70, v11
	v_lshlrev_b32_e32 v16, 1, v11
	s_and_saveexec_b64 s[60:61], s[44:45]
	s_cbranch_execz .LBB824_45
; %bb.44:
	v_mov_b32_e32 v6, s51
	v_add_co_u32_e64 v38, s[48:49], s50, v16
	v_addc_co_u32_e64 v39, s[48:49], 0, v6, s[48:49]
	flat_load_ushort v6, v[38:39]
.LBB824_45:
	s_or_b64 exec, exec, s[60:61]
	v_lshlrev_b32_e32 v11, 1, v0
	v_mad_u32_u24 v38, v0, 42, v11
	s_waitcnt vmcnt(0) lgkmcnt(0)
	ds_write_b16 v11, v17
	ds_write_b16 v11, v18 offset:512
	ds_write_b16 v11, v19 offset:1024
	;; [unrolled: 1-line block ×21, first 2 shown]
	s_waitcnt lgkmcnt(0)
	s_barrier
	ds_read2_b32 v[26:27], v38 offset0:8 offset1:9
	ds_read_b32 v39, v38 offset:40
	ds_read2_b32 v[34:35], v38 offset1:1
	ds_read2_b32 v[32:33], v38 offset0:2 offset1:3
	ds_read2_b32 v[30:31], v38 offset0:4 offset1:5
	ds_read2_b32 v[28:29], v38 offset0:6 offset1:7
	s_movk_i32 s48, 0xffd6
	s_waitcnt lgkmcnt(4)
	v_lshrrev_b32_e32 v36, 16, v39
	v_mad_i32_i24 v6, v0, s48, v38
	ds_write_b16 v6, v36 offset:11264
	s_waitcnt lgkmcnt(0)
	s_barrier
	s_barrier
	s_waitcnt lgkmcnt(0)
                                        ; implicit-def: $vgpr6
	s_and_saveexec_b64 s[48:49], vcc
	s_cbranch_execz .LBB824_177
; %bb.46:
	v_mov_b32_e32 v6, s59
	v_add_co_u32_e32 v18, vcc, s7, v11
	v_addc_co_u32_e32 v19, vcc, 0, v6, vcc
	flat_load_ushort v6, v[18:19]
	s_or_b64 exec, exec, s[48:49]
                                        ; implicit-def: $vgpr17
	s_and_saveexec_b64 s[48:49], s[2:3]
	s_cbranch_execnz .LBB824_178
.LBB824_47:
	s_or_b64 exec, exec, s[48:49]
                                        ; implicit-def: $vgpr18
	s_and_saveexec_b64 s[2:3], s[4:5]
	s_cbranch_execz .LBB824_179
.LBB824_48:
	v_mov_b32_e32 v19, s59
	v_add_co_u32_e32 v18, vcc, s7, v11
	v_addc_co_u32_e32 v19, vcc, 0, v19, vcc
	flat_load_ushort v18, v[18:19] offset:1024
	s_or_b64 exec, exec, s[2:3]
                                        ; implicit-def: $vgpr19
	s_and_saveexec_b64 s[2:3], s[46:47]
	s_cbranch_execnz .LBB824_180
.LBB824_49:
	s_or_b64 exec, exec, s[2:3]
                                        ; implicit-def: $vgpr20
	s_and_saveexec_b64 s[2:3], s[8:9]
	s_cbranch_execz .LBB824_181
.LBB824_50:
	v_mov_b32_e32 v21, s59
	v_add_co_u32_e32 v20, vcc, s7, v11
	v_addc_co_u32_e32 v21, vcc, 0, v21, vcc
	flat_load_ushort v20, v[20:21] offset:2048
	s_or_b64 exec, exec, s[2:3]
                                        ; implicit-def: $vgpr21
	s_and_saveexec_b64 s[2:3], s[10:11]
	s_cbranch_execnz .LBB824_182
.LBB824_51:
	s_or_b64 exec, exec, s[2:3]
                                        ; implicit-def: $vgpr22
	s_and_saveexec_b64 s[2:3], s[12:13]
	s_cbranch_execz .LBB824_183
.LBB824_52:
	v_mov_b32_e32 v23, s59
	v_add_co_u32_e32 v22, vcc, s7, v11
	v_addc_co_u32_e32 v23, vcc, 0, v23, vcc
	flat_load_ushort v22, v[22:23] offset:3072
	s_or_b64 exec, exec, s[2:3]
                                        ; implicit-def: $vgpr23
	s_and_saveexec_b64 s[2:3], s[14:15]
	s_cbranch_execnz .LBB824_184
.LBB824_53:
	s_or_b64 exec, exec, s[2:3]
                                        ; implicit-def: $vgpr24
	s_and_saveexec_b64 s[2:3], s[16:17]
	s_cbranch_execz .LBB824_185
.LBB824_54:
	v_mov_b32_e32 v25, s59
	v_add_co_u32_e32 v24, vcc, s7, v1
	v_addc_co_u32_e32 v25, vcc, 0, v25, vcc
	flat_load_ushort v24, v[24:25]
	s_or_b64 exec, exec, s[2:3]
                                        ; implicit-def: $vgpr1
	s_and_saveexec_b64 s[2:3], s[18:19]
	s_cbranch_execnz .LBB824_186
.LBB824_55:
	s_or_b64 exec, exec, s[2:3]
                                        ; implicit-def: $vgpr2
	s_and_saveexec_b64 s[2:3], s[20:21]
	s_cbranch_execz .LBB824_187
.LBB824_56:
	v_mov_b32_e32 v25, s59
	v_add_co_u32_e32 v2, vcc, s7, v3
	v_addc_co_u32_e32 v3, vcc, 0, v25, vcc
	flat_load_ushort v2, v[2:3]
	s_or_b64 exec, exec, s[2:3]
                                        ; implicit-def: $vgpr3
	s_and_saveexec_b64 s[2:3], s[22:23]
	s_cbranch_execnz .LBB824_188
.LBB824_57:
	s_or_b64 exec, exec, s[2:3]
                                        ; implicit-def: $vgpr4
	s_and_saveexec_b64 s[2:3], s[24:25]
	s_cbranch_execz .LBB824_189
.LBB824_58:
	v_mov_b32_e32 v25, s59
	v_add_co_u32_e32 v4, vcc, s7, v5
	v_addc_co_u32_e32 v5, vcc, 0, v25, vcc
	flat_load_ushort v4, v[4:5]
	s_or_b64 exec, exec, s[2:3]
                                        ; implicit-def: $vgpr5
	s_and_saveexec_b64 s[2:3], s[26:27]
	s_cbranch_execnz .LBB824_190
.LBB824_59:
	s_or_b64 exec, exec, s[2:3]
                                        ; implicit-def: $vgpr7
	s_and_saveexec_b64 s[2:3], s[28:29]
	s_cbranch_execz .LBB824_191
.LBB824_60:
	v_mov_b32_e32 v7, s59
	v_add_co_u32_e32 v40, vcc, s7, v8
	v_addc_co_u32_e32 v41, vcc, 0, v7, vcc
	flat_load_ushort v7, v[40:41]
	s_or_b64 exec, exec, s[2:3]
                                        ; implicit-def: $vgpr8
	s_and_saveexec_b64 s[2:3], s[30:31]
	s_cbranch_execnz .LBB824_192
.LBB824_61:
	s_or_b64 exec, exec, s[2:3]
                                        ; implicit-def: $vgpr9
	s_and_saveexec_b64 s[2:3], s[34:35]
	s_cbranch_execz .LBB824_193
.LBB824_62:
	v_mov_b32_e32 v9, s59
	v_add_co_u32_e32 v40, vcc, s7, v10
	v_addc_co_u32_e32 v41, vcc, 0, v9, vcc
	flat_load_ushort v9, v[40:41]
	s_or_b64 exec, exec, s[2:3]
                                        ; implicit-def: $vgpr10
	s_and_saveexec_b64 s[2:3], s[36:37]
	s_cbranch_execnz .LBB824_194
.LBB824_63:
	s_or_b64 exec, exec, s[2:3]
                                        ; implicit-def: $vgpr12
	s_and_saveexec_b64 s[2:3], s[38:39]
	s_cbranch_execz .LBB824_195
.LBB824_64:
	v_mov_b32_e32 v25, s59
	v_add_co_u32_e32 v12, vcc, s7, v13
	v_addc_co_u32_e32 v13, vcc, 0, v25, vcc
	flat_load_ushort v12, v[12:13]
	s_or_b64 exec, exec, s[2:3]
                                        ; implicit-def: $vgpr13
	s_and_saveexec_b64 s[2:3], s[40:41]
	s_cbranch_execnz .LBB824_196
.LBB824_65:
	s_or_b64 exec, exec, s[2:3]
                                        ; implicit-def: $vgpr14
	s_and_saveexec_b64 s[2:3], s[42:43]
	s_cbranch_execz .LBB824_67
.LBB824_66:
	v_mov_b32_e32 v25, s59
	v_add_co_u32_e32 v14, vcc, s7, v15
	v_addc_co_u32_e32 v15, vcc, 0, v25, vcc
	flat_load_ushort v14, v[14:15]
.LBB824_67:
	s_or_b64 exec, exec, s[2:3]
	v_mul_u32_u24_e32 v40, 22, v0
                                        ; implicit-def: $vgpr15
	s_and_saveexec_b64 s[2:3], s[44:45]
	s_cbranch_execz .LBB824_69
; %bb.68:
	v_mov_b32_e32 v15, s59
	v_add_co_u32_e32 v42, vcc, s7, v16
	v_addc_co_u32_e32 v43, vcc, 0, v15, vcc
	flat_load_ushort v15, v[42:43]
.LBB824_69:
	s_or_b64 exec, exec, s[2:3]
	s_mov_b32 s2, 0
	s_mov_b32 s3, s2
	s_waitcnt vmcnt(0) lgkmcnt(0)
	ds_write_b16 v11, v6
	ds_write_b16 v11, v17 offset:512
	ds_write_b16 v11, v18 offset:1024
	;; [unrolled: 1-line block ×21, first 2 shown]
	v_cmp_gt_u32_e32 vcc, s70, v40
	s_mov_b64 s[4:5], 0
	v_pk_mov_b32 v[14:15], s[2:3], s[2:3] op_sel:[0,1]
	v_mov_b32_e32 v1, 0
	s_mov_b64 s[10:11], 0
	v_pk_mov_b32 v[24:25], s[2:3], s[2:3] op_sel:[0,1]
	v_pk_mov_b32 v[22:23], s[2:3], s[2:3] op_sel:[0,1]
	;; [unrolled: 1-line block ×9, first 2 shown]
	s_waitcnt lgkmcnt(0)
	s_barrier
	s_waitcnt lgkmcnt(0)
                                        ; implicit-def: $vgpr37
	s_and_saveexec_b64 s[8:9], vcc
	s_cbranch_execz .LBB824_111
; %bb.70:
	ds_read_u16 v1, v38
	s_mov_b32 s16, 0
	v_cmp_ne_u16_e32 vcc, 0, v34
	v_or_b32_e32 v2, 1, v40
	v_cndmask_b32_e64 v3, 0, 1, vcc
	v_mov_b32_e32 v7, 0
	s_mov_b32 s17, s16
	s_waitcnt lgkmcnt(0)
	v_lshl_or_b32 v6, v3, 16, v1
	v_cmp_gt_u32_e32 vcc, s70, v2
	s_mov_b64 s[12:13], 0
	v_pk_mov_b32 v[14:15], s[16:17], s[16:17] op_sel:[0,1]
	v_pk_mov_b32 v[24:25], s[16:17], s[16:17] op_sel:[0,1]
	;; [unrolled: 1-line block ×9, first 2 shown]
	v_mov_b32_e32 v1, v7
                                        ; implicit-def: $vgpr37
	s_and_saveexec_b64 s[10:11], vcc
	s_cbranch_execz .LBB824_110
; %bb.71:
	ds_read_b128 v[2:5], v38 offset:2
	v_mov_b32_e32 v1, 0
	v_cmp_ne_u16_sdwa s[12:13], v34, v1 src0_sel:WORD_1 src1_sel:DWORD
	v_add_u32_e32 v8, 2, v40
	v_cndmask_b32_e64 v7, 0, 1, s[12:13]
	s_waitcnt lgkmcnt(0)
	v_and_b32_e32 v9, 0xffff, v2
	v_lshl_or_b32 v7, v7, 16, v9
	v_cmp_gt_u32_e32 vcc, s70, v8
	s_mov_b64 s[14:15], 0
	v_pk_mov_b32 v[14:15], s[16:17], s[16:17] op_sel:[0,1]
	v_pk_mov_b32 v[24:25], s[16:17], s[16:17] op_sel:[0,1]
	;; [unrolled: 1-line block ×9, first 2 shown]
                                        ; implicit-def: $vgpr37
	s_and_saveexec_b64 s[12:13], vcc
	s_cbranch_execz .LBB824_109
; %bb.72:
	s_mov_b32 s20, 0
	v_cmp_ne_u16_e32 vcc, 0, v35
	v_add_u32_e32 v1, 3, v40
	v_cndmask_b32_e64 v8, 0, 1, vcc
	v_mov_b32_e32 v9, 0
	s_mov_b32 s21, s20
	v_alignbit_b32 v8, v8, v2, 16
	v_cmp_gt_u32_e32 vcc, s70, v1
	s_mov_b64 s[16:17], 0
	v_pk_mov_b32 v[14:15], s[20:21], s[20:21] op_sel:[0,1]
	v_pk_mov_b32 v[24:25], s[20:21], s[20:21] op_sel:[0,1]
	;; [unrolled: 1-line block ×8, first 2 shown]
	v_mov_b32_e32 v1, v9
                                        ; implicit-def: $vgpr37
	s_and_saveexec_b64 s[14:15], vcc
	s_cbranch_execz .LBB824_108
; %bb.73:
	v_mov_b32_e32 v1, 0
	v_cmp_ne_u16_sdwa s[16:17], v35, v1 src0_sel:WORD_1 src1_sel:DWORD
	v_and_b32_e32 v2, 0xffff, v3
	v_add_u32_e32 v10, 4, v40
	v_cndmask_b32_e64 v9, 0, 1, s[16:17]
	v_lshl_or_b32 v9, v9, 16, v2
	v_cmp_gt_u32_e32 vcc, s70, v10
	s_mov_b64 s[18:19], 0
	v_pk_mov_b32 v[14:15], s[20:21], s[20:21] op_sel:[0,1]
	v_pk_mov_b32 v[24:25], s[20:21], s[20:21] op_sel:[0,1]
	;; [unrolled: 1-line block ×8, first 2 shown]
                                        ; implicit-def: $vgpr37
	s_and_saveexec_b64 s[16:17], vcc
	s_cbranch_execz .LBB824_107
; %bb.74:
	s_mov_b32 s24, 0
	v_cmp_ne_u16_e32 vcc, 0, v32
	v_add_u32_e32 v1, 5, v40
	v_cndmask_b32_e64 v2, 0, 1, vcc
	v_mov_b32_e32 v11, 0
	s_mov_b32 s25, s24
	v_alignbit_b32 v10, v2, v3, 16
	v_cmp_gt_u32_e32 vcc, s70, v1
	s_mov_b64 s[20:21], 0
	v_pk_mov_b32 v[14:15], s[24:25], s[24:25] op_sel:[0,1]
	v_pk_mov_b32 v[24:25], s[24:25], s[24:25] op_sel:[0,1]
	;; [unrolled: 1-line block ×7, first 2 shown]
	v_mov_b32_e32 v1, v11
                                        ; implicit-def: $vgpr37
	s_and_saveexec_b64 s[18:19], vcc
	s_cbranch_execz .LBB824_106
; %bb.75:
	v_mov_b32_e32 v1, 0
	v_cmp_ne_u16_sdwa s[20:21], v32, v1 src0_sel:WORD_1 src1_sel:DWORD
	v_and_b32_e32 v2, 0xffff, v4
	v_add_u32_e32 v3, 6, v40
	v_cndmask_b32_e64 v11, 0, 1, s[20:21]
	v_lshl_or_b32 v11, v11, 16, v2
	v_cmp_gt_u32_e32 vcc, s70, v3
	s_mov_b64 s[22:23], 0
	v_pk_mov_b32 v[14:15], s[24:25], s[24:25] op_sel:[0,1]
	v_pk_mov_b32 v[24:25], s[24:25], s[24:25] op_sel:[0,1]
	;; [unrolled: 1-line block ×7, first 2 shown]
                                        ; implicit-def: $vgpr37
	s_and_saveexec_b64 s[20:21], vcc
	s_cbranch_execz .LBB824_105
; %bb.76:
	s_mov_b32 s28, 0
	v_cmp_ne_u16_e32 vcc, 0, v33
	v_add_u32_e32 v1, 7, v40
	v_cndmask_b32_e64 v2, 0, 1, vcc
	v_mov_b32_e32 v13, 0
	s_mov_b32 s29, s28
	v_alignbit_b32 v12, v2, v4, 16
	v_cmp_gt_u32_e32 vcc, s70, v1
	s_mov_b64 s[24:25], 0
	v_pk_mov_b32 v[14:15], s[28:29], s[28:29] op_sel:[0,1]
	v_pk_mov_b32 v[24:25], s[28:29], s[28:29] op_sel:[0,1]
	;; [unrolled: 1-line block ×6, first 2 shown]
	v_mov_b32_e32 v1, v13
                                        ; implicit-def: $vgpr37
	s_and_saveexec_b64 s[22:23], vcc
	s_cbranch_execz .LBB824_104
; %bb.77:
	v_mov_b32_e32 v1, 0
	v_cmp_ne_u16_sdwa s[24:25], v33, v1 src0_sel:WORD_1 src1_sel:DWORD
	v_and_b32_e32 v2, 0xffff, v5
	v_add_u32_e32 v3, 8, v40
	v_cndmask_b32_e64 v4, 0, 1, s[24:25]
	v_lshl_or_b32 v13, v4, 16, v2
	v_cmp_gt_u32_e32 vcc, s70, v3
	s_mov_b64 s[26:27], 0
	v_pk_mov_b32 v[14:15], s[28:29], s[28:29] op_sel:[0,1]
	v_pk_mov_b32 v[24:25], s[28:29], s[28:29] op_sel:[0,1]
	;; [unrolled: 1-line block ×6, first 2 shown]
                                        ; implicit-def: $vgpr37
	s_and_saveexec_b64 s[24:25], vcc
	s_cbranch_execz .LBB824_103
; %bb.78:
	s_mov_b32 s34, 0
	v_cmp_ne_u16_e32 vcc, 0, v30
	v_add_u32_e32 v1, 9, v40
	v_cndmask_b32_e64 v2, 0, 1, vcc
	v_mov_b32_e32 v17, 0
	s_mov_b32 s35, s34
	v_alignbit_b32 v16, v2, v5, 16
	v_cmp_gt_u32_e32 vcc, s70, v1
	s_mov_b64 s[28:29], 0
	v_pk_mov_b32 v[14:15], s[34:35], s[34:35] op_sel:[0,1]
	v_pk_mov_b32 v[24:25], s[34:35], s[34:35] op_sel:[0,1]
	;; [unrolled: 1-line block ×5, first 2 shown]
	v_mov_b32_e32 v1, v17
                                        ; implicit-def: $vgpr37
	s_and_saveexec_b64 s[26:27], vcc
	s_cbranch_execz .LBB824_102
; %bb.79:
	ds_read_b128 v[2:5], v38 offset:18
	v_mov_b32_e32 v1, 0
	v_cmp_ne_u16_sdwa s[28:29], v30, v1 src0_sel:WORD_1 src1_sel:DWORD
	v_add_u32_e32 v14, 10, v40
	v_cndmask_b32_e64 v15, 0, 1, s[28:29]
	s_waitcnt lgkmcnt(0)
	v_and_b32_e32 v17, 0xffff, v2
	v_lshl_or_b32 v17, v15, 16, v17
	v_cmp_gt_u32_e32 vcc, s70, v14
	s_mov_b64 s[30:31], 0
	v_pk_mov_b32 v[14:15], s[34:35], s[34:35] op_sel:[0,1]
	v_pk_mov_b32 v[24:25], s[34:35], s[34:35] op_sel:[0,1]
	;; [unrolled: 1-line block ×5, first 2 shown]
                                        ; implicit-def: $vgpr37
	s_and_saveexec_b64 s[28:29], vcc
	s_cbranch_execz .LBB824_101
; %bb.80:
	s_mov_b32 s38, 0
	v_cmp_ne_u16_e32 vcc, 0, v31
	v_add_u32_e32 v1, 11, v40
	v_cndmask_b32_e64 v14, 0, 1, vcc
	v_mov_b32_e32 v19, 0
	s_mov_b32 s39, s38
	v_alignbit_b32 v18, v14, v2, 16
	v_cmp_gt_u32_e32 vcc, s70, v1
	s_mov_b64 s[34:35], 0
	v_pk_mov_b32 v[14:15], s[38:39], s[38:39] op_sel:[0,1]
	v_pk_mov_b32 v[24:25], s[38:39], s[38:39] op_sel:[0,1]
	;; [unrolled: 1-line block ×4, first 2 shown]
	v_mov_b32_e32 v1, v19
                                        ; implicit-def: $vgpr37
	s_and_saveexec_b64 s[30:31], vcc
	s_cbranch_execz .LBB824_100
; %bb.81:
	v_mov_b32_e32 v1, 0
	v_cmp_ne_u16_sdwa s[34:35], v31, v1 src0_sel:WORD_1 src1_sel:DWORD
	v_and_b32_e32 v2, 0xffff, v3
	v_add_u32_e32 v14, 12, v40
	v_cndmask_b32_e64 v15, 0, 1, s[34:35]
	v_lshl_or_b32 v19, v15, 16, v2
	v_cmp_gt_u32_e32 vcc, s70, v14
	s_mov_b64 s[36:37], 0
	v_pk_mov_b32 v[14:15], s[38:39], s[38:39] op_sel:[0,1]
	v_pk_mov_b32 v[24:25], s[38:39], s[38:39] op_sel:[0,1]
	;; [unrolled: 1-line block ×4, first 2 shown]
                                        ; implicit-def: $vgpr37
	s_and_saveexec_b64 s[34:35], vcc
	s_cbranch_execz .LBB824_99
; %bb.82:
	s_mov_b32 s42, 0
	v_cmp_ne_u16_e32 vcc, 0, v28
	v_add_u32_e32 v1, 13, v40
	v_cndmask_b32_e64 v2, 0, 1, vcc
	v_mov_b32_e32 v21, 0
	s_mov_b32 s43, s42
	v_alignbit_b32 v20, v2, v3, 16
	v_cmp_gt_u32_e32 vcc, s70, v1
	s_mov_b64 s[38:39], 0
	v_pk_mov_b32 v[14:15], s[42:43], s[42:43] op_sel:[0,1]
	v_pk_mov_b32 v[24:25], s[42:43], s[42:43] op_sel:[0,1]
	;; [unrolled: 1-line block ×3, first 2 shown]
	v_mov_b32_e32 v1, v21
                                        ; implicit-def: $vgpr37
	s_and_saveexec_b64 s[36:37], vcc
	s_cbranch_execz .LBB824_98
; %bb.83:
	v_mov_b32_e32 v1, 0
	v_cmp_ne_u16_sdwa s[38:39], v28, v1 src0_sel:WORD_1 src1_sel:DWORD
	v_and_b32_e32 v2, 0xffff, v4
	v_add_u32_e32 v3, 14, v40
	v_cndmask_b32_e64 v14, 0, 1, s[38:39]
	v_lshl_or_b32 v21, v14, 16, v2
	v_cmp_gt_u32_e32 vcc, s70, v3
	s_mov_b64 s[40:41], 0
	v_pk_mov_b32 v[14:15], s[42:43], s[42:43] op_sel:[0,1]
	v_pk_mov_b32 v[24:25], s[42:43], s[42:43] op_sel:[0,1]
	;; [unrolled: 1-line block ×3, first 2 shown]
                                        ; implicit-def: $vgpr37
	s_and_saveexec_b64 s[38:39], vcc
	s_cbranch_execz .LBB824_97
; %bb.84:
	s_mov_b32 s46, 0
	v_cmp_ne_u16_e32 vcc, 0, v29
	v_add_u32_e32 v1, 15, v40
	v_cndmask_b32_e64 v2, 0, 1, vcc
	v_mov_b32_e32 v23, 0
	s_mov_b32 s47, s46
	v_alignbit_b32 v22, v2, v4, 16
	v_cmp_gt_u32_e32 vcc, s70, v1
	s_mov_b64 s[42:43], 0
	v_pk_mov_b32 v[14:15], s[46:47], s[46:47] op_sel:[0,1]
	v_pk_mov_b32 v[24:25], s[46:47], s[46:47] op_sel:[0,1]
	v_mov_b32_e32 v1, v23
                                        ; implicit-def: $vgpr37
	s_and_saveexec_b64 s[40:41], vcc
	s_cbranch_execz .LBB824_96
; %bb.85:
	v_mov_b32_e32 v1, 0
	v_cmp_ne_u16_sdwa s[42:43], v29, v1 src0_sel:WORD_1 src1_sel:DWORD
	v_and_b32_e32 v2, 0xffff, v5
	v_add_u32_e32 v3, 16, v40
	v_cndmask_b32_e64 v4, 0, 1, s[42:43]
	v_lshl_or_b32 v23, v4, 16, v2
	v_cmp_gt_u32_e32 vcc, s70, v3
	s_mov_b64 s[44:45], 0
	v_pk_mov_b32 v[14:15], s[46:47], s[46:47] op_sel:[0,1]
	v_pk_mov_b32 v[24:25], s[46:47], s[46:47] op_sel:[0,1]
                                        ; implicit-def: $vgpr37
	s_and_saveexec_b64 s[42:43], vcc
	s_cbranch_execz .LBB824_95
; %bb.86:
	s_mov_b32 s60, 0
	v_cmp_ne_u16_e32 vcc, 0, v26
	v_add_u32_e32 v1, 17, v40
	v_cndmask_b32_e64 v2, 0, 1, vcc
	v_mov_b32_e32 v25, 0
	s_mov_b32 s61, s60
	v_alignbit_b32 v24, v2, v5, 16
	v_cmp_gt_u32_e32 vcc, s70, v1
	s_mov_b64 s[46:47], 0
	v_pk_mov_b32 v[14:15], s[60:61], s[60:61] op_sel:[0,1]
	v_mov_b32_e32 v1, v25
                                        ; implicit-def: $vgpr37
	s_and_saveexec_b64 s[44:45], vcc
	s_cbranch_execz .LBB824_94
; %bb.87:
	ds_read_b64 v[2:3], v38 offset:34
	v_mov_b32_e32 v1, 0
	v_cmp_ne_u16_sdwa s[46:47], v26, v1 src0_sel:WORD_1 src1_sel:DWORD
	v_add_u32_e32 v4, 18, v40
	v_cndmask_b32_e64 v5, 0, 1, s[46:47]
	s_waitcnt lgkmcnt(0)
	v_and_b32_e32 v14, 0xffff, v2
	v_lshl_or_b32 v25, v5, 16, v14
	v_cmp_gt_u32_e32 vcc, s70, v4
	s_mov_b64 s[48:49], 0
	v_pk_mov_b32 v[14:15], s[60:61], s[60:61] op_sel:[0,1]
                                        ; implicit-def: $vgpr37
	s_and_saveexec_b64 s[46:47], vcc
	s_cbranch_execz .LBB824_93
; %bb.88:
	v_cmp_ne_u16_e32 vcc, 0, v27
	v_add_u32_e32 v1, 19, v40
	v_cndmask_b32_e64 v4, 0, 1, vcc
	v_mov_b32_e32 v15, 0
	v_alignbit_b32 v14, v4, v2, 16
	v_cmp_gt_u32_e32 vcc, s70, v1
	s_mov_b64 s[60:61], 0
	v_mov_b32_e32 v1, v15
                                        ; implicit-def: $vgpr37
	s_and_saveexec_b64 s[48:49], vcc
	s_cbranch_execz .LBB824_92
; %bb.89:
	v_mov_b32_e32 v1, 0
	v_cmp_ne_u16_sdwa s[60:61], v27, v1 src0_sel:WORD_1 src1_sel:DWORD
	v_and_b32_e32 v2, 0xffff, v3
	v_add_u32_e32 v4, 20, v40
	v_cndmask_b32_e64 v5, 0, 1, s[60:61]
	v_lshl_or_b32 v15, v5, 16, v2
	v_cmp_gt_u32_e32 vcc, s70, v4
	s_mov_b64 s[60:61], 0
                                        ; implicit-def: $vgpr37
	s_and_saveexec_b64 s[68:69], vcc
	s_xor_b64 s[68:69], exec, s[68:69]
	s_cbranch_execz .LBB824_91
; %bb.90:
	ds_read_u16 v37, v38 offset:42
	v_add_u32_e32 v2, 21, v40
	v_cmp_ne_u16_e32 vcc, 0, v39
	v_cndmask_b32_e64 v1, 0, 1, vcc
	v_cmp_gt_u32_e32 vcc, s70, v2
	v_alignbit_b32 v1, v1, v3, 16
	s_and_b64 s[60:61], vcc, exec
.LBB824_91:
	s_or_b64 exec, exec, s[68:69]
	s_and_b64 s[60:61], s[60:61], exec
.LBB824_92:
	s_or_b64 exec, exec, s[48:49]
	s_and_b64 s[48:49], s[60:61], exec
.LBB824_93:
	s_or_b64 exec, exec, s[46:47]
	s_and_b64 s[46:47], s[48:49], exec
.LBB824_94:
	s_or_b64 exec, exec, s[44:45]
	s_and_b64 s[44:45], s[46:47], exec
.LBB824_95:
	s_or_b64 exec, exec, s[42:43]
	s_and_b64 s[42:43], s[44:45], exec
.LBB824_96:
	s_or_b64 exec, exec, s[40:41]
	s_and_b64 s[40:41], s[42:43], exec
.LBB824_97:
	s_or_b64 exec, exec, s[38:39]
	s_and_b64 s[38:39], s[40:41], exec
.LBB824_98:
	s_or_b64 exec, exec, s[36:37]
	s_and_b64 s[36:37], s[38:39], exec
.LBB824_99:
	s_or_b64 exec, exec, s[34:35]
	s_and_b64 s[34:35], s[36:37], exec
.LBB824_100:
	s_or_b64 exec, exec, s[30:31]
	s_and_b64 s[30:31], s[34:35], exec
.LBB824_101:
	s_or_b64 exec, exec, s[28:29]
	s_and_b64 s[28:29], s[30:31], exec
.LBB824_102:
	s_or_b64 exec, exec, s[26:27]
	s_and_b64 s[26:27], s[28:29], exec
.LBB824_103:
	s_or_b64 exec, exec, s[24:25]
	s_and_b64 s[24:25], s[26:27], exec
.LBB824_104:
	s_or_b64 exec, exec, s[22:23]
	s_and_b64 s[22:23], s[24:25], exec
.LBB824_105:
	s_or_b64 exec, exec, s[20:21]
	s_and_b64 s[20:21], s[22:23], exec
.LBB824_106:
	s_or_b64 exec, exec, s[18:19]
	s_and_b64 s[18:19], s[20:21], exec
.LBB824_107:
	s_or_b64 exec, exec, s[16:17]
	s_and_b64 s[16:17], s[18:19], exec
.LBB824_108:
	s_or_b64 exec, exec, s[14:15]
	s_and_b64 s[14:15], s[16:17], exec
.LBB824_109:
	s_or_b64 exec, exec, s[12:13]
	s_and_b64 s[12:13], s[14:15], exec
.LBB824_110:
	s_or_b64 exec, exec, s[10:11]
	s_and_b64 s[10:11], s[12:13], exec
.LBB824_111:
	s_or_b64 exec, exec, s[8:9]
	s_and_b64 vcc, exec, s[4:5]
	v_lshlrev_b32_e32 v32, 1, v0
	s_cbranch_vccnz .LBB824_113
	s_branch .LBB824_114
.LBB824_112:
	s_mov_b64 s[10:11], 0
                                        ; implicit-def: $vgpr14_vgpr15
                                        ; implicit-def: $vgpr24_vgpr25
                                        ; implicit-def: $vgpr22_vgpr23
                                        ; implicit-def: $vgpr20_vgpr21
                                        ; implicit-def: $vgpr18_vgpr19
                                        ; implicit-def: $vgpr16_vgpr17
                                        ; implicit-def: $vgpr12_vgpr13
                                        ; implicit-def: $vgpr10_vgpr11
                                        ; implicit-def: $vgpr8_vgpr9
                                        ; implicit-def: $vgpr6_vgpr7
                                        ; implicit-def: $vgpr36
                                        ; implicit-def: $vgpr37
                                        ; implicit-def: $vgpr1
                                        ; implicit-def: $sgpr2
	s_and_b64 vcc, exec, s[4:5]
	v_lshlrev_b32_e32 v32, 1, v0
	s_cbranch_vccz .LBB824_114
.LBB824_113:
	v_mov_b32_e32 v1, s51
	v_add_co_u32_e32 v2, vcc, s50, v32
	v_addc_co_u32_e32 v3, vcc, 0, v1, vcc
	v_add_co_u32_e32 v4, vcc, 0x1000, v2
	v_addc_co_u32_e32 v5, vcc, 0, v3, vcc
	flat_load_ushort v1, v[2:3]
	flat_load_ushort v6, v[2:3] offset:512
	flat_load_ushort v7, v[2:3] offset:1024
	;; [unrolled: 1-line block ×7, first 2 shown]
	v_add_co_u32_e32 v2, vcc, 0x2000, v2
	v_addc_co_u32_e32 v3, vcc, 0, v3, vcc
	flat_load_ushort v13, v[4:5]
	flat_load_ushort v14, v[4:5] offset:512
	flat_load_ushort v15, v[4:5] offset:1024
	;; [unrolled: 1-line block ×7, first 2 shown]
	s_nop 0
	flat_load_ushort v4, v[2:3]
	flat_load_ushort v5, v[2:3] offset:512
	flat_load_ushort v21, v[2:3] offset:1024
	;; [unrolled: 1-line block ×5, first 2 shown]
	v_mov_b32_e32 v3, s59
	v_add_co_u32_e32 v2, vcc, s7, v32
	s_movk_i32 s2, 0x1000
	v_addc_co_u32_e32 v3, vcc, 0, v3, vcc
	v_mad_u32_u24 v28, v0, 42, v32
	s_movk_i32 s4, 0xffd6
	s_movk_i32 s3, 0x2000
	v_mad_i32_i24 v29, v0, s4, v28
	v_mov_b32_e32 v39, 0
	s_or_b64 s[10:11], s[10:11], exec
	s_waitcnt vmcnt(0) lgkmcnt(0)
	ds_write_b16 v32, v1
	ds_write_b16 v32, v6 offset:512
	ds_write_b16 v32, v7 offset:1024
	;; [unrolled: 1-line block ×21, first 2 shown]
	v_add_co_u32_e32 v8, vcc, s2, v2
	s_waitcnt lgkmcnt(0)
	s_barrier
	ds_read_b32 v1, v28 offset:40
	ds_read2_b32 v[4:5], v28 offset1:1
	ds_read2_b32 v[6:7], v28 offset0:2 offset1:3
	ds_read2_b32 v[14:15], v28 offset0:4 offset1:5
	ds_read2_b32 v[24:25], v28 offset0:6 offset1:7
	ds_read2_b32 v[26:27], v28 offset0:8 offset1:9
	s_waitcnt lgkmcnt(5)
	v_lshrrev_b32_e32 v36, 16, v1
	v_addc_co_u32_e32 v9, vcc, 0, v3, vcc
	ds_write_b16 v29, v36 offset:11264
	s_waitcnt lgkmcnt(0)
	s_barrier
	s_barrier
	flat_load_ushort v10, v[2:3]
	flat_load_ushort v11, v[2:3] offset:512
	flat_load_ushort v12, v[2:3] offset:1024
	;; [unrolled: 1-line block ×7, first 2 shown]
	v_add_co_u32_e32 v2, vcc, s3, v2
	v_addc_co_u32_e32 v3, vcc, 0, v3, vcc
	flat_load_ushort v20, v[8:9]
	flat_load_ushort v21, v[8:9] offset:512
	flat_load_ushort v22, v[8:9] offset:1024
	;; [unrolled: 1-line block ×7, first 2 shown]
	s_nop 0
	flat_load_ushort v8, v[2:3]
	flat_load_ushort v9, v[2:3] offset:512
	flat_load_ushort v34, v[2:3] offset:1024
	;; [unrolled: 1-line block ×5, first 2 shown]
	v_cmp_ne_u16_sdwa s[2:3], v4, v39 src0_sel:WORD_1 src1_sel:DWORD
	v_cmp_ne_u16_e32 vcc, 0, v4
	v_cndmask_b32_e64 v40, 0, 1, s[2:3]
	v_cndmask_b32_e64 v41, 0, 1, vcc
	v_cmp_ne_u16_sdwa s[2:3], v5, v39 src0_sel:WORD_1 src1_sel:DWORD
	v_cmp_ne_u16_e32 vcc, 0, v5
	v_cndmask_b32_e64 v42, 0, 1, s[2:3]
	v_cmp_ne_u16_sdwa s[2:3], v6, v39 src0_sel:WORD_1 src1_sel:DWORD
	v_cndmask_b32_e64 v43, 0, 1, vcc
	v_cndmask_b32_e64 v44, 0, 1, s[2:3]
	v_cmp_ne_u16_e32 vcc, 0, v6
	v_cmp_ne_u16_sdwa s[2:3], v7, v39 src0_sel:WORD_1 src1_sel:DWORD
	v_cndmask_b32_e64 v45, 0, 1, vcc
	v_cndmask_b32_e64 v6, 0, 1, s[2:3]
	v_cmp_ne_u16_e32 vcc, 0, v7
	v_cmp_ne_u16_sdwa s[2:3], v14, v39 src0_sel:WORD_1 src1_sel:DWORD
	v_cndmask_b32_e64 v46, 0, 1, vcc
	v_cmp_ne_u16_e32 vcc, 0, v14
	s_waitcnt vmcnt(0) lgkmcnt(0)
	ds_write_b16 v32, v10
	ds_write_b16 v32, v11 offset:512
	ds_write_b16 v32, v12 offset:1024
	;; [unrolled: 1-line block ×21, first 2 shown]
	s_waitcnt lgkmcnt(0)
	s_barrier
	ds_read2_b32 v[2:3], v28 offset0:8 offset1:9
	ds_read_b32 v29, v28 offset:40
	ds_read2_b32 v[4:5], v28 offset1:1
	ds_read2_b32 v[12:13], v28 offset0:2 offset1:3
	ds_read2_b32 v[18:19], v28 offset0:4 offset1:5
	ds_read2_b32 v[22:23], v28 offset0:6 offset1:7
	s_waitcnt lgkmcnt(4)
	v_lshrrev_b32_e32 v37, 16, v29
	s_waitcnt lgkmcnt(3)
	v_and_b32_e32 v8, 0xffff, v4
	v_alignbit_b32 v7, v40, v4, 16
	v_and_b32_e32 v4, 0xffff, v5
	v_alignbit_b32 v9, v42, v5, 16
	s_waitcnt lgkmcnt(2)
	v_and_b32_e32 v5, 0xffff, v12
	v_lshl_or_b32 v10, v45, 16, v5
	v_cndmask_b32_e64 v5, 0, 1, s[2:3]
	v_alignbit_b32 v11, v44, v12, 16
	v_and_b32_e32 v12, 0xffff, v13
	v_alignbit_b32 v13, v6, v13, 16
	v_lshl_or_b32 v6, v41, 16, v8
	v_lshl_or_b32 v8, v43, 16, v4
	s_waitcnt lgkmcnt(1)
	v_and_b32_e32 v4, 0xffff, v18
	v_alignbit_b32 v17, v5, v18, 16
	v_cndmask_b32_e64 v5, 0, 1, vcc
	v_cmp_ne_u16_sdwa s[2:3], v15, v39 src0_sel:WORD_1 src1_sel:DWORD
	v_lshl_or_b32 v16, v5, 16, v4
	v_cndmask_b32_e64 v5, 0, 1, s[2:3]
	v_cmp_ne_u16_e32 vcc, 0, v15
	v_and_b32_e32 v4, 0xffff, v19
	v_alignbit_b32 v19, v5, v19, 16
	v_cndmask_b32_e64 v5, 0, 1, vcc
	v_cmp_ne_u16_sdwa s[2:3], v24, v39 src0_sel:WORD_1 src1_sel:DWORD
	v_lshl_or_b32 v18, v5, 16, v4
	v_cndmask_b32_e64 v5, 0, 1, s[2:3]
	v_cmp_ne_u16_e32 vcc, 0, v24
	s_waitcnt lgkmcnt(0)
	v_and_b32_e32 v4, 0xffff, v22
	v_alignbit_b32 v21, v5, v22, 16
	v_cndmask_b32_e64 v5, 0, 1, vcc
	v_cmp_ne_u16_sdwa s[2:3], v25, v39 src0_sel:WORD_1 src1_sel:DWORD
	v_lshl_or_b32 v20, v5, 16, v4
	v_cndmask_b32_e64 v5, 0, 1, s[2:3]
	v_cmp_ne_u16_e32 vcc, 0, v25
	v_and_b32_e32 v4, 0xffff, v23
	v_alignbit_b32 v23, v5, v23, 16
	v_cndmask_b32_e64 v5, 0, 1, vcc
	v_cmp_ne_u16_sdwa s[2:3], v26, v39 src0_sel:WORD_1 src1_sel:DWORD
	v_lshl_or_b32 v22, v5, 16, v4
	v_cndmask_b32_e64 v5, 0, 1, s[2:3]
	v_cmp_ne_u16_e32 vcc, 0, v26
	;; [unrolled: 7-line block ×3, first 2 shown]
	v_and_b32_e32 v2, 0xffff, v3
	v_alignbit_b32 v15, v4, v3, 16
	v_cndmask_b32_e64 v3, 0, 1, vcc
	v_cmp_ne_u16_e32 vcc, 0, v1
	v_lshl_or_b32 v14, v3, 16, v2
	v_and_b32_e32 v2, 0xffff, v29
	v_cndmask_b32_e64 v1, 0, 1, vcc
	v_lshl_or_b32 v12, v46, 16, v12
	v_lshl_or_b32 v1, v1, 16, v2
                                        ; implicit-def: $sgpr2
.LBB824_114:
	v_mov_b32_e32 v33, s2
	s_and_saveexec_b64 s[2:3], s[10:11]
	s_cbranch_execz .LBB824_116
; %bb.115:
	v_cmp_ne_u16_e32 vcc, 0, v36
	s_waitcnt lgkmcnt(0)
	v_and_b32_e32 v2, 0xffff, v37
	v_cndmask_b32_e64 v3, 0, 1, vcc
	v_lshl_or_b32 v33, v3, 16, v2
.LBB824_116:
	s_or_b64 exec, exec, s[2:3]
	s_cmp_lg_u32 s6, 0
	v_or3_b32 v35, v33, v1, v15
	v_lshrrev_b32_e32 v34, 5, v0
	v_cmp_gt_u32_e32 vcc, 64, v0
	s_waitcnt lgkmcnt(0)
	s_barrier
	s_cbranch_scc0 .LBB824_197
; %bb.117:
	s_mov_b32 s7, 0x10000
	v_cmp_gt_u32_e64 s[2:3], s7, v7
	v_cndmask_b32_e64 v2, 0, v6, s[2:3]
	v_add_u16_e32 v2, v2, v7
	v_cmp_gt_u32_e64 s[4:5], s7, v8
	v_cndmask_b32_e64 v2, 0, v2, s[4:5]
	v_add_u16_e32 v2, v2, v8
	;; [unrolled: 3-line block ×21, first 2 shown]
	v_or3_b32 v2, v35, v14, v25
	v_or3_b32 v2, v2, v24, v23
	;; [unrolled: 1-line block ×9, first 2 shown]
	v_and_b32_e32 v2, 0x10000, v2
	v_lshrrev_b32_e32 v36, 16, v6
	v_cmp_ne_u32_e64 s[46:47], 0, v2
	v_mov_b32_e32 v5, 0x10000
	v_cndmask_b32_e64 v38, v36, 1, s[46:47]
	v_add_lshl_u32 v2, v34, v0, 2
	ds_write_b16 v2, v37
	ds_write_b8 v2, v38 offset:2
	s_waitcnt lgkmcnt(0)
	s_barrier
	s_and_saveexec_b64 s[48:49], vcc
	s_cbranch_execz .LBB824_131
; %bb.118:
	v_lshlrev_b32_e32 v2, 2, v0
	v_lshrrev_b32_e32 v3, 3, v0
	v_add_lshl_u32 v2, v3, v2, 2
	ds_read_b32 v3, v2
	ds_read_u16 v4, v2 offset:4
	ds_read_u8 v26, v2 offset:6
	ds_read_u16 v27, v2 offset:8
	ds_read_u8 v28, v2 offset:10
	;; [unrolled: 2-line block ×3, first 2 shown]
	v_mov_b32_e32 v31, 0
	s_waitcnt lgkmcnt(4)
	v_cmp_eq_u16_sdwa s[46:47], v26, v31 src0_sel:BYTE_0 src1_sel:DWORD
	v_cndmask_b32_e64 v39, 0, v3, s[46:47]
	v_add_u16_e32 v39, v39, v4
	s_waitcnt lgkmcnt(2)
	v_cmp_eq_u16_sdwa s[46:47], v28, v31 src0_sel:BYTE_0 src1_sel:DWORD
	s_waitcnt lgkmcnt(0)
	v_or_b32_e32 v28, v30, v28
	v_cndmask_b32_e64 v31, 0, v39, s[46:47]
	v_or_b32_e32 v26, v28, v26
	v_add_u16_e32 v27, v31, v27
	v_cmp_eq_u16_e64 s[46:47], 0, v30
	v_and_b32_e32 v26, 1, v26
	v_and_b32_e32 v4, 0x10000, v3
	v_cndmask_b32_e64 v31, 0, v27, s[46:47]
	v_cmp_eq_u32_e64 s[46:47], 1, v26
	v_mbcnt_lo_u32_b32 v26, -1, 0
	v_add_u16_e32 v27, v31, v29
	v_cndmask_b32_e64 v39, v4, v5, s[46:47]
	v_add_u16_e32 v29, v31, v29
	v_and_b32_e32 v5, 0xff000000, v3
	v_mbcnt_hi_u32_b32 v26, -1, v26
	v_or_b32_e32 v30, v39, v5
	v_and_b32_e32 v31, 15, v26
	v_or3_b32 v29, v5, v29, v39
	s_movk_i32 s7, 0xff
	v_lshrrev_b32_e32 v28, 16, v30
	v_mov_b32_dpp v39, v29 row_shr:1 row_mask:0xf bank_mask:0xf
	v_cmp_ne_u32_e64 s[46:47], 0, v31
	s_and_saveexec_b64 s[60:61], s[46:47]
	s_cbranch_execz .LBB824_120
; %bb.119:
	v_and_b32_sdwa v28, v30, s7 dst_sel:DWORD dst_unused:UNUSED_PAD src0_sel:WORD_1 src1_sel:DWORD
	v_cmp_eq_u16_e64 s[46:47], 0, v28
	v_and_b32_e32 v28, 0x10000, v30
	v_mov_b32_e32 v30, 1
	v_cndmask_b32_e64 v29, 0, v39, s[46:47]
	v_and_b32_sdwa v30, v39, v30 dst_sel:DWORD dst_unused:UNUSED_PAD src0_sel:WORD_1 src1_sel:DWORD
	v_cmp_ne_u32_e64 s[46:47], 0, v28
	v_cndmask_b32_e64 v28, v30, 1, s[46:47]
	v_add_u16_e32 v40, v29, v27
	v_lshlrev_b32_e32 v30, 16, v28
	v_add_u16_e32 v27, v29, v27
	v_or3_b32 v29, v30, v27, v5
	v_mov_b32_e32 v27, v40
.LBB824_120:
	s_or_b64 exec, exec, s[60:61]
	v_lshrrev_b32_e32 v30, 16, v29
	v_mov_b32_dpp v39, v29 row_shr:2 row_mask:0xf bank_mask:0xf
	v_cmp_lt_u32_e64 s[46:47], 1, v31
	s_and_saveexec_b64 s[60:61], s[46:47]
	s_cbranch_execz .LBB824_122
; %bb.121:
	v_mov_b32_e32 v28, 0
	v_cmp_eq_u16_sdwa s[46:47], v30, v28 src0_sel:BYTE_0 src1_sel:DWORD
	v_and_b32_e32 v28, 0x10000, v29
	v_mov_b32_e32 v29, 1
	v_cndmask_b32_e64 v30, 0, v39, s[46:47]
	v_and_b32_sdwa v29, v39, v29 dst_sel:DWORD dst_unused:UNUSED_PAD src0_sel:WORD_1 src1_sel:DWORD
	v_cmp_ne_u32_e64 s[46:47], 0, v28
	v_cndmask_b32_e64 v28, v29, 1, s[46:47]
	v_add_u16_e32 v40, v30, v27
	v_lshlrev_b32_e32 v29, 16, v28
	v_add_u16_e32 v27, v30, v27
	v_or3_b32 v29, v29, v27, v5
	v_mov_b32_e32 v30, v28
	v_mov_b32_e32 v27, v40
.LBB824_122:
	s_or_b64 exec, exec, s[60:61]
	v_mov_b32_dpp v39, v29 row_shr:4 row_mask:0xf bank_mask:0xf
	v_cmp_lt_u32_e64 s[46:47], 3, v31
	s_and_saveexec_b64 s[60:61], s[46:47]
	s_cbranch_execz .LBB824_124
; %bb.123:
	v_mov_b32_e32 v28, 0
	v_cmp_eq_u16_sdwa s[46:47], v30, v28 src0_sel:BYTE_0 src1_sel:DWORD
	v_and_b32_e32 v28, 1, v30
	v_mov_b32_e32 v30, 1
	v_cndmask_b32_e64 v29, 0, v39, s[46:47]
	v_and_b32_sdwa v30, v39, v30 dst_sel:DWORD dst_unused:UNUSED_PAD src0_sel:WORD_1 src1_sel:DWORD
	v_cmp_eq_u32_e64 s[46:47], 1, v28
	v_cndmask_b32_e64 v28, v30, 1, s[46:47]
	v_add_u16_e32 v40, v29, v27
	v_lshlrev_b32_e32 v30, 16, v28
	v_add_u16_e32 v27, v29, v27
	v_or3_b32 v29, v30, v27, v5
	v_mov_b32_e32 v30, v28
	v_mov_b32_e32 v27, v40
.LBB824_124:
	s_or_b64 exec, exec, s[60:61]
	v_mov_b32_dpp v39, v29 row_shr:8 row_mask:0xf bank_mask:0xf
	v_cmp_lt_u32_e64 s[46:47], 7, v31
	s_and_saveexec_b64 s[60:61], s[46:47]
	s_cbranch_execz .LBB824_126
; %bb.125:
	v_mov_b32_e32 v28, 0
	v_cmp_eq_u16_sdwa s[46:47], v30, v28 src0_sel:BYTE_0 src1_sel:DWORD
	v_and_b32_e32 v28, 1, v30
	v_mov_b32_e32 v30, 1
	v_cndmask_b32_e64 v29, 0, v39, s[46:47]
	v_and_b32_sdwa v30, v39, v30 dst_sel:DWORD dst_unused:UNUSED_PAD src0_sel:WORD_1 src1_sel:DWORD
	v_cmp_eq_u32_e64 s[46:47], 1, v28
	v_cndmask_b32_e64 v28, v30, 1, s[46:47]
	v_add_u16_e32 v31, v29, v27
	v_lshlrev_b32_e32 v30, 16, v28
	v_add_u16_e32 v27, v29, v27
	v_or3_b32 v29, v30, v27, v5
	v_mov_b32_e32 v30, v28
	v_mov_b32_e32 v27, v31
.LBB824_126:
	s_or_b64 exec, exec, s[60:61]
	v_and_b32_e32 v39, 16, v26
	v_mov_b32_dpp v31, v29 row_bcast:15 row_mask:0xf bank_mask:0xf
	v_cmp_ne_u32_e64 s[46:47], 0, v39
	s_and_saveexec_b64 s[60:61], s[46:47]
	s_cbranch_execz .LBB824_128
; %bb.127:
	v_mov_b32_e32 v28, 0
	v_cmp_eq_u16_sdwa s[46:47], v30, v28 src0_sel:BYTE_0 src1_sel:DWORD
	v_and_b32_e32 v28, 1, v30
	v_mov_b32_e32 v30, 1
	v_cndmask_b32_e64 v29, 0, v31, s[46:47]
	v_and_b32_sdwa v30, v31, v30 dst_sel:DWORD dst_unused:UNUSED_PAD src0_sel:WORD_1 src1_sel:DWORD
	v_cmp_eq_u32_e64 s[46:47], 1, v28
	v_cndmask_b32_e64 v28, v30, 1, s[46:47]
	v_add_u16_e32 v39, v29, v27
	v_lshlrev_b32_e32 v30, 16, v28
	v_add_u16_e32 v27, v29, v27
	v_or3_b32 v29, v30, v27, v5
	v_mov_b32_e32 v30, v28
	v_mov_b32_e32 v27, v39
.LBB824_128:
	s_or_b64 exec, exec, s[60:61]
	v_mov_b32_dpp v29, v29 row_bcast:31 row_mask:0xf bank_mask:0xf
	v_cmp_lt_u32_e64 s[46:47], 31, v26
	s_and_saveexec_b64 s[60:61], s[46:47]
; %bb.129:
	v_mov_b32_e32 v28, 0
	v_cmp_eq_u16_sdwa s[46:47], v30, v28 src0_sel:BYTE_0 src1_sel:DWORD
	v_cndmask_b32_e64 v28, 0, v29, s[46:47]
	v_add_u16_e32 v27, v28, v27
	v_and_b32_e32 v28, 1, v30
	v_mov_b32_e32 v30, 1
	v_and_b32_sdwa v29, v29, v30 dst_sel:DWORD dst_unused:UNUSED_PAD src0_sel:WORD_1 src1_sel:DWORD
	v_cmp_eq_u32_e64 s[46:47], 1, v28
	v_cndmask_b32_e64 v28, v29, 1, s[46:47]
; %bb.130:
	s_or_b64 exec, exec, s[60:61]
	v_and_b32_e32 v28, 0xff, v28
	v_lshlrev_b32_e32 v28, 16, v28
	v_and_b32_e32 v27, 0xffff, v27
	v_or3_b32 v5, v28, v27, v5
	v_add_u32_e32 v27, -1, v26
	v_and_b32_e32 v28, 64, v26
	v_cmp_lt_i32_e64 s[46:47], v27, v28
	v_cndmask_b32_e64 v26, v27, v26, s[46:47]
	v_lshlrev_b32_e32 v26, 2, v26
	ds_bpermute_b32 v5, v26, v5
	v_and_b32_e32 v26, 0xff0000, v3
	v_cmp_eq_u32_e64 s[46:47], 0, v26
	; wave barrier
	s_waitcnt lgkmcnt(0)
	v_cndmask_b32_e64 v26, 0, v5, s[46:47]
	v_add_u16_e32 v3, v26, v3
	v_mov_b32_e32 v26, 1
	v_and_b32_sdwa v5, v5, v26 dst_sel:DWORD dst_unused:UNUSED_PAD src0_sel:WORD_1 src1_sel:DWORD
	v_cmp_eq_u32_e64 s[46:47], 0, v4
	v_cndmask_b32_e64 v4, 1, v5, s[46:47]
	v_cmp_eq_u32_e64 s[46:47], 0, v0
	v_cndmask_b32_e64 v3, v3, v37, s[46:47]
	v_cndmask_b32_e64 v4, v4, v38, s[46:47]
	ds_write_b16 v2, v3
	ds_write_b8 v2, v4 offset:2
	; wave barrier
	ds_read_u16 v5, v2 offset:4
	ds_read_u8 v26, v2 offset:6
	ds_read_u16 v27, v2 offset:8
	ds_read_u8 v28, v2 offset:10
	;; [unrolled: 2-line block ×3, first 2 shown]
	s_waitcnt lgkmcnt(4)
	v_cmp_eq_u16_e64 s[46:47], 0, v26
	v_cndmask_b32_e64 v3, 0, v3, s[46:47]
	v_add_u16_e32 v3, v3, v5
	v_and_b32_e32 v5, 1, v26
	v_cmp_eq_u32_e64 s[46:47], 1, v5
	v_cndmask_b32_e64 v4, v4, 1, s[46:47]
	s_waitcnt lgkmcnt(2)
	v_cmp_eq_u16_e64 s[46:47], 0, v28
	v_and_b32_e32 v5, 1, v28
	ds_write_b16 v2, v3 offset:4
	ds_write_b8 v2, v4 offset:6
	v_cndmask_b32_e64 v3, 0, v3, s[46:47]
	v_cmp_eq_u32_e64 s[46:47], 1, v5
	v_add_u16_e32 v3, v3, v27
	v_cndmask_b32_e64 v4, v4, 1, s[46:47]
	s_waitcnt lgkmcnt(2)
	v_cmp_eq_u16_e64 s[46:47], 0, v30
	ds_write_b16 v2, v3 offset:8
	ds_write_b8 v2, v4 offset:10
	v_cndmask_b32_e64 v3, 0, v3, s[46:47]
	v_and_b32_e32 v5, 1, v30
	v_add_u16_e32 v3, v3, v29
	v_cmp_eq_u32_e64 s[46:47], 1, v5
	v_cndmask_b32_e64 v4, v4, 1, s[46:47]
	ds_write_b16 v2, v3 offset:12
	ds_write_b8 v2, v4 offset:14
.LBB824_131:
	s_or_b64 exec, exec, s[48:49]
	v_cmp_eq_u32_e64 s[46:47], 0, v0
	v_cmp_ne_u32_e64 s[48:49], 0, v0
	s_waitcnt lgkmcnt(0)
	s_barrier
	s_and_saveexec_b64 s[60:61], s[48:49]
	s_cbranch_execz .LBB824_133
; %bb.132:
	v_add_u32_e32 v2, -1, v0
	v_lshrrev_b32_e32 v3, 5, v2
	v_add_lshl_u32 v2, v3, v2, 2
	ds_read_u16 v37, v2
	ds_read_u8 v38, v2 offset:2
.LBB824_133:
	s_or_b64 exec, exec, s[60:61]
	s_and_saveexec_b64 s[60:61], vcc
	s_cbranch_execz .LBB824_176
; %bb.134:
	v_mov_b32_e32 v29, 0
	ds_read_b32 v2, v29 offset:1048
	v_mbcnt_lo_u32_b32 v3, -1, 0
	v_mbcnt_hi_u32_b32 v5, -1, v3
	s_mov_b32 s71, 0
	v_cmp_eq_u32_e64 s[48:49], 0, v5
	s_and_saveexec_b64 s[68:69], s[48:49]
	s_cbranch_execz .LBB824_136
; %bb.135:
	s_add_i32 s70, s6, 64
	s_lshl_b64 s[70:71], s[70:71], 3
	s_add_u32 s70, s56, s70
	v_mov_b32_e32 v3, 1
	s_addc_u32 s71, s57, s71
	s_waitcnt lgkmcnt(0)
	global_store_dwordx2 v29, v[2:3], s[70:71]
.LBB824_136:
	s_or_b64 exec, exec, s[68:69]
	v_xad_u32 v4, v5, -1, s6
	v_add_u32_e32 v28, 64, v4
	v_lshlrev_b64 v[26:27], 3, v[28:29]
	v_mov_b32_e32 v3, s57
	v_add_co_u32_e32 v30, vcc, s56, v26
	v_addc_co_u32_e32 v31, vcc, v3, v27, vcc
	global_load_dwordx2 v[26:27], v[30:31], off glc
	s_waitcnt vmcnt(0)
	v_cmp_eq_u16_sdwa s[70:71], v27, v29 src0_sel:BYTE_0 src1_sel:DWORD
	s_and_saveexec_b64 s[68:69], s[70:71]
	s_cbranch_execz .LBB824_140
; %bb.137:
	s_mov_b64 s[70:71], 0
	v_mov_b32_e32 v3, 0
.LBB824_138:                            ; =>This Inner Loop Header: Depth=1
	global_load_dwordx2 v[26:27], v[30:31], off glc
	s_waitcnt vmcnt(0)
	v_cmp_ne_u16_sdwa s[72:73], v27, v3 src0_sel:BYTE_0 src1_sel:DWORD
	s_or_b64 s[70:71], s[72:73], s[70:71]
	s_andn2_b64 exec, exec, s[70:71]
	s_cbranch_execnz .LBB824_138
; %bb.139:
	s_or_b64 exec, exec, s[70:71]
.LBB824_140:
	s_or_b64 exec, exec, s[68:69]
	v_mov_b32_e32 v3, 2
	v_cmp_eq_u16_sdwa s[68:69], v27, v3 src0_sel:BYTE_0 src1_sel:DWORD
	v_lshlrev_b64 v[28:29], v5, -1
	v_and_b32_e32 v3, s69, v29
	v_or_b32_e32 v3, 0x80000000, v3
	v_ffbl_b32_e32 v3, v3
	v_add_u32_e32 v31, 32, v3
	v_and_b32_e32 v3, 63, v5
	v_cmp_ne_u32_e32 vcc, 63, v3
	v_addc_co_u32_e32 v39, vcc, 0, v5, vcc
	v_and_b32_e32 v50, 0xffffff, v26
	v_lshlrev_b32_e32 v39, 2, v39
	ds_bpermute_b32 v40, v39, v50
	v_and_b32_e32 v30, s68, v28
	v_ffbl_b32_e32 v30, v30
	v_min_u32_e32 v31, v30, v31
	v_lshrrev_b32_e32 v30, 16, v26
	v_cmp_lt_u32_e32 vcc, v3, v31
	v_bfe_u32 v48, v26, 16, 8
	s_and_saveexec_b64 s[68:69], vcc
	s_cbranch_execz .LBB824_142
; %bb.141:
	v_and_b32_e32 v30, 0xff0000, v26
	v_cmp_eq_u32_e32 vcc, 0, v30
	v_and_b32_e32 v30, 0x10000, v30
	v_mov_b32_e32 v43, 1
	s_waitcnt lgkmcnt(0)
	v_cndmask_b32_e32 v41, 0, v40, vcc
	v_and_b32_sdwa v40, v40, v43 dst_sel:DWORD dst_unused:UNUSED_PAD src0_sel:WORD_1 src1_sel:DWORD
	v_cmp_ne_u32_e32 vcc, 0, v30
	v_cndmask_b32_e64 v30, v40, 1, vcc
	v_add_u16_e32 v42, v41, v26
	v_lshlrev_b32_e32 v40, 16, v30
	v_add_u16_e32 v26, v41, v26
	v_or_b32_e32 v50, v40, v26
	v_mov_b32_e32 v26, v42
	v_mov_b32_e32 v48, v30
.LBB824_142:
	s_or_b64 exec, exec, s[68:69]
	v_cmp_gt_u32_e32 vcc, 62, v3
	s_waitcnt lgkmcnt(0)
	v_cndmask_b32_e64 v40, 0, 1, vcc
	v_lshlrev_b32_e32 v40, 1, v40
	v_add_lshl_u32 v40, v40, v5, 2
	ds_bpermute_b32 v42, v40, v50
	v_add_u32_e32 v41, 2, v3
	v_cmp_le_u32_e32 vcc, v41, v31
	s_and_saveexec_b64 s[68:69], vcc
	s_cbranch_execz .LBB824_144
; %bb.143:
	v_cmp_eq_u16_e32 vcc, 0, v48
	v_and_b32_e32 v30, 1, v48
	v_mov_b32_e32 v45, 1
	s_waitcnt lgkmcnt(0)
	v_cndmask_b32_e32 v43, 0, v42, vcc
	v_and_b32_sdwa v42, v42, v45 dst_sel:DWORD dst_unused:UNUSED_PAD src0_sel:WORD_1 src1_sel:DWORD
	v_cmp_eq_u32_e32 vcc, 1, v30
	v_cndmask_b32_e64 v30, v42, 1, vcc
	v_add_u16_e32 v44, v43, v26
	v_lshlrev_b32_e32 v42, 16, v30
	v_add_u16_e32 v26, v43, v26
	v_or_b32_e32 v50, v42, v26
	v_mov_b32_e32 v26, v44
	v_mov_b32_e32 v48, v30
.LBB824_144:
	s_or_b64 exec, exec, s[68:69]
	v_cmp_gt_u32_e32 vcc, 60, v3
	s_waitcnt lgkmcnt(0)
	v_cndmask_b32_e64 v42, 0, 1, vcc
	v_lshlrev_b32_e32 v42, 2, v42
	v_add_lshl_u32 v42, v42, v5, 2
	ds_bpermute_b32 v44, v42, v50
	v_add_u32_e32 v43, 4, v3
	v_cmp_le_u32_e32 vcc, v43, v31
	s_and_saveexec_b64 s[68:69], vcc
	s_cbranch_execz .LBB824_146
; %bb.145:
	v_cmp_eq_u16_e32 vcc, 0, v48
	v_and_b32_e32 v30, 1, v48
	v_mov_b32_e32 v47, 1
	s_waitcnt lgkmcnt(0)
	v_cndmask_b32_e32 v45, 0, v44, vcc
	v_and_b32_sdwa v44, v44, v47 dst_sel:DWORD dst_unused:UNUSED_PAD src0_sel:WORD_1 src1_sel:DWORD
	v_cmp_eq_u32_e32 vcc, 1, v30
	v_cndmask_b32_e64 v30, v44, 1, vcc
	v_add_u16_e32 v46, v45, v26
	v_lshlrev_b32_e32 v44, 16, v30
	v_add_u16_e32 v26, v45, v26
	v_or_b32_e32 v50, v44, v26
	v_mov_b32_e32 v26, v46
	v_mov_b32_e32 v48, v30
.LBB824_146:
	;; [unrolled: 27-line block ×4, first 2 shown]
	s_or_b64 exec, exec, s[68:69]
	v_cmp_gt_u32_e32 vcc, 32, v3
	s_waitcnt lgkmcnt(0)
	v_cndmask_b32_e64 v49, 0, 1, vcc
	v_lshlrev_b32_e32 v49, 5, v49
	v_add_lshl_u32 v49, v49, v5, 2
	ds_bpermute_b32 v5, v49, v50
	v_add_u32_e32 v50, 32, v3
	v_cmp_le_u32_e32 vcc, v50, v31
	s_and_saveexec_b64 s[68:69], vcc
	s_cbranch_execz .LBB824_152
; %bb.151:
	v_cmp_eq_u16_e32 vcc, 0, v48
	s_waitcnt lgkmcnt(0)
	v_cndmask_b32_e32 v30, 0, v5, vcc
	v_add_u16_e32 v26, v30, v26
	v_and_b32_e32 v30, 1, v48
	v_mov_b32_e32 v31, 1
	v_and_b32_sdwa v5, v5, v31 dst_sel:DWORD dst_unused:UNUSED_PAD src0_sel:WORD_1 src1_sel:DWORD
	v_cmp_eq_u32_e32 vcc, 1, v30
	v_cndmask_b32_e64 v30, v5, 1, vcc
.LBB824_152:
	s_or_b64 exec, exec, s[68:69]
	s_waitcnt lgkmcnt(0)
	v_mov_b32_e32 v5, 0
	v_mov_b32_e32 v52, 2
	;; [unrolled: 1-line block ×3, first 2 shown]
	s_branch .LBB824_154
.LBB824_153:                            ;   in Loop: Header=BB824_154 Depth=1
	s_or_b64 exec, exec, s[68:69]
	v_cmp_eq_u16_sdwa vcc, v48, v5 src0_sel:BYTE_0 src1_sel:DWORD
	v_and_b32_e32 v30, 1, v48
	v_cndmask_b32_e32 v26, 0, v26, vcc
	v_and_b32_e32 v31, 1, v31
	v_cmp_eq_u32_e32 vcc, 1, v30
	v_subrev_u32_e32 v4, 64, v4
	v_add_u16_e32 v26, v26, v51
	v_cndmask_b32_e64 v30, v31, 1, vcc
.LBB824_154:                            ; =>This Loop Header: Depth=1
                                        ;     Child Loop BB824_157 Depth 2
	v_cmp_ne_u16_sdwa s[68:69], v27, v52 src0_sel:BYTE_0 src1_sel:DWORD
	v_cndmask_b32_e64 v27, 0, 1, s[68:69]
	;;#ASMSTART
	;;#ASMEND
	v_cmp_ne_u32_e32 vcc, 0, v27
	v_mov_b32_e32 v48, v30
	s_cmp_lg_u64 vcc, exec
	v_mov_b32_e32 v51, v26
	s_cbranch_scc1 .LBB824_171
; %bb.155:                              ;   in Loop: Header=BB824_154 Depth=1
	v_lshlrev_b64 v[26:27], 3, v[4:5]
	v_mov_b32_e32 v31, s57
	v_add_co_u32_e32 v30, vcc, s56, v26
	v_addc_co_u32_e32 v31, vcc, v31, v27, vcc
	global_load_dwordx2 v[26:27], v[30:31], off glc
	s_waitcnt vmcnt(0)
	v_cmp_eq_u16_sdwa s[70:71], v27, v5 src0_sel:BYTE_0 src1_sel:DWORD
	s_and_saveexec_b64 s[68:69], s[70:71]
	s_cbranch_execz .LBB824_159
; %bb.156:                              ;   in Loop: Header=BB824_154 Depth=1
	s_mov_b64 s[70:71], 0
.LBB824_157:                            ;   Parent Loop BB824_154 Depth=1
                                        ; =>  This Inner Loop Header: Depth=2
	global_load_dwordx2 v[26:27], v[30:31], off glc
	s_waitcnt vmcnt(0)
	v_cmp_ne_u16_sdwa s[72:73], v27, v5 src0_sel:BYTE_0 src1_sel:DWORD
	s_or_b64 s[70:71], s[72:73], s[70:71]
	s_andn2_b64 exec, exec, s[70:71]
	s_cbranch_execnz .LBB824_157
; %bb.158:                              ;   in Loop: Header=BB824_154 Depth=1
	s_or_b64 exec, exec, s[70:71]
.LBB824_159:                            ;   in Loop: Header=BB824_154 Depth=1
	s_or_b64 exec, exec, s[68:69]
	v_cmp_eq_u16_sdwa s[68:69], v27, v52 src0_sel:BYTE_0 src1_sel:DWORD
	v_and_b32_e32 v30, s69, v29
	s_waitcnt lgkmcnt(0)
	v_and_b32_e32 v55, 0xffffff, v26
	v_or_b32_e32 v30, 0x80000000, v30
	ds_bpermute_b32 v56, v39, v55
	v_and_b32_e32 v31, s68, v28
	v_ffbl_b32_e32 v30, v30
	v_add_u32_e32 v30, 32, v30
	v_ffbl_b32_e32 v31, v31
	v_min_u32_e32 v30, v31, v30
	v_lshrrev_b32_e32 v31, 16, v26
	v_cmp_lt_u32_e32 vcc, v3, v30
	v_bfe_u32 v54, v26, 16, 8
	s_and_saveexec_b64 s[68:69], vcc
	s_cbranch_execz .LBB824_161
; %bb.160:                              ;   in Loop: Header=BB824_154 Depth=1
	v_and_b32_e32 v31, 0xff0000, v26
	v_cmp_eq_u32_e32 vcc, 0, v31
	v_and_b32_e32 v31, 0x10000, v31
	s_waitcnt lgkmcnt(0)
	v_cndmask_b32_e32 v54, 0, v56, vcc
	v_and_b32_sdwa v55, v56, v53 dst_sel:DWORD dst_unused:UNUSED_PAD src0_sel:WORD_1 src1_sel:DWORD
	v_cmp_ne_u32_e32 vcc, 0, v31
	v_cndmask_b32_e64 v31, v55, 1, vcc
	v_add_u16_e32 v57, v54, v26
	v_lshlrev_b32_e32 v55, 16, v31
	v_add_u16_e32 v26, v54, v26
	v_or_b32_e32 v55, v55, v26
	v_mov_b32_e32 v26, v57
	v_mov_b32_e32 v54, v31
.LBB824_161:                            ;   in Loop: Header=BB824_154 Depth=1
	s_or_b64 exec, exec, s[68:69]
	s_waitcnt lgkmcnt(0)
	ds_bpermute_b32 v56, v40, v55
	v_cmp_le_u32_e32 vcc, v41, v30
	s_and_saveexec_b64 s[68:69], vcc
	s_cbranch_execz .LBB824_163
; %bb.162:                              ;   in Loop: Header=BB824_154 Depth=1
	v_cmp_eq_u16_e32 vcc, 0, v54
	v_and_b32_e32 v31, 1, v54
	s_waitcnt lgkmcnt(0)
	v_cndmask_b32_e32 v55, 0, v56, vcc
	v_and_b32_sdwa v54, v56, v53 dst_sel:DWORD dst_unused:UNUSED_PAD src0_sel:WORD_1 src1_sel:DWORD
	v_cmp_eq_u32_e32 vcc, 1, v31
	v_cndmask_b32_e64 v31, v54, 1, vcc
	v_add_u16_e32 v57, v55, v26
	v_lshlrev_b32_e32 v54, 16, v31
	v_add_u16_e32 v26, v55, v26
	v_or_b32_e32 v55, v54, v26
	v_mov_b32_e32 v26, v57
	v_mov_b32_e32 v54, v31
.LBB824_163:                            ;   in Loop: Header=BB824_154 Depth=1
	s_or_b64 exec, exec, s[68:69]
	s_waitcnt lgkmcnt(0)
	ds_bpermute_b32 v56, v42, v55
	v_cmp_le_u32_e32 vcc, v43, v30
	s_and_saveexec_b64 s[68:69], vcc
	s_cbranch_execz .LBB824_165
; %bb.164:                              ;   in Loop: Header=BB824_154 Depth=1
	v_cmp_eq_u16_e32 vcc, 0, v54
	v_and_b32_e32 v31, 1, v54
	s_waitcnt lgkmcnt(0)
	v_cndmask_b32_e32 v55, 0, v56, vcc
	v_and_b32_sdwa v54, v56, v53 dst_sel:DWORD dst_unused:UNUSED_PAD src0_sel:WORD_1 src1_sel:DWORD
	v_cmp_eq_u32_e32 vcc, 1, v31
	v_cndmask_b32_e64 v31, v54, 1, vcc
	v_add_u16_e32 v57, v55, v26
	v_lshlrev_b32_e32 v54, 16, v31
	v_add_u16_e32 v26, v55, v26
	v_or_b32_e32 v55, v54, v26
	v_mov_b32_e32 v26, v57
	v_mov_b32_e32 v54, v31
.LBB824_165:                            ;   in Loop: Header=BB824_154 Depth=1
	;; [unrolled: 21-line block ×4, first 2 shown]
	s_or_b64 exec, exec, s[68:69]
	ds_bpermute_b32 v55, v49, v55
	v_cmp_le_u32_e32 vcc, v50, v30
	s_and_saveexec_b64 s[68:69], vcc
	s_cbranch_execz .LBB824_153
; %bb.170:                              ;   in Loop: Header=BB824_154 Depth=1
	v_cmp_eq_u16_e32 vcc, 0, v54
	s_waitcnt lgkmcnt(0)
	v_cndmask_b32_e32 v30, 0, v55, vcc
	v_add_u16_e32 v26, v30, v26
	v_and_b32_e32 v30, 1, v54
	v_lshrrev_b32_e32 v31, 16, v55
	v_cmp_eq_u32_e32 vcc, 1, v30
	v_cndmask_b32_e64 v31, v31, 1, vcc
	s_branch .LBB824_153
.LBB824_171:                            ;   in Loop: Header=BB824_154 Depth=1
                                        ; implicit-def: $vgpr30
                                        ; implicit-def: $vgpr26
	s_cbranch_execz .LBB824_154
; %bb.172:
	s_and_saveexec_b64 s[68:69], s[48:49]
	s_cbranch_execz .LBB824_174
; %bb.173:
	v_and_b32_e32 v3, 0xff0000, v2
	s_mov_b32 s7, 0
	v_cmp_eq_u32_e32 vcc, 0, v3
	v_and_b32_e32 v4, 0x10000, v2
	v_mov_b32_e32 v5, 1
	s_add_i32 s6, s6, 64
	v_cndmask_b32_e32 v3, 0, v51, vcc
	v_and_b32_sdwa v5, v48, v5 dst_sel:WORD_1 dst_unused:UNUSED_PAD src0_sel:DWORD src1_sel:DWORD
	v_mov_b32_e32 v26, 0x10000
	v_cmp_eq_u32_e32 vcc, 0, v4
	s_lshl_b64 s[6:7], s[6:7], 3
	v_cndmask_b32_e32 v4, v26, v5, vcc
	s_add_u32 s6, s56, s6
	v_add_u16_e32 v2, v3, v2
	s_addc_u32 s7, s57, s7
	v_mov_b32_e32 v5, 0
	v_or_b32_e32 v2, v4, v2
	v_mov_b32_e32 v3, 2
	global_store_dwordx2 v5, v[2:3], s[6:7]
.LBB824_174:
	s_or_b64 exec, exec, s[68:69]
	s_and_b64 exec, exec, s[46:47]
	s_cbranch_execz .LBB824_176
; %bb.175:
	v_mov_b32_e32 v2, 0
	ds_write_b16 v2, v51
	ds_write_b8 v2, v48 offset:2
.LBB824_176:
	s_or_b64 exec, exec, s[60:61]
	v_mov_b32_e32 v2, 0
	s_mov_b32 s6, 0x10000
	s_waitcnt lgkmcnt(0)
	s_barrier
	ds_read_b32 v3, v2
	v_cmp_gt_u32_e32 vcc, s6, v6
	v_and_b32_e32 v5, 0x10000, v6
	v_cndmask_b32_e32 v4, 0, v37, vcc
	v_and_b32_e32 v26, 1, v38
	v_cmp_ne_u32_e32 vcc, 0, v5
	v_cndmask_b32_e64 v5, v26, 1, vcc
	v_cndmask_b32_e64 v5, v5, v36, s[46:47]
	v_cndmask_b32_e64 v4, v4, 0, s[46:47]
	v_cmp_eq_u16_sdwa vcc, v5, v2 src0_sel:BYTE_0 src1_sel:DWORD
	v_add_u16_e32 v4, v4, v6
	s_waitcnt lgkmcnt(0)
	v_cndmask_b32_e32 v2, 0, v3, vcc
	v_add_u16_e32 v4, v4, v2
	v_cndmask_b32_e64 v2, 0, v4, s[2:3]
	v_add_u16_e32 v5, v2, v7
	v_cndmask_b32_e64 v2, 0, v5, s[4:5]
	;; [unrolled: 2-line block ×21, first 2 shown]
	v_add_u16_e32 v49, v2, v33
	s_branch .LBB824_219
.LBB824_177:
	s_or_b64 exec, exec, s[48:49]
                                        ; implicit-def: $vgpr17
	s_and_saveexec_b64 s[48:49], s[2:3]
	s_cbranch_execz .LBB824_47
.LBB824_178:
	v_mov_b32_e32 v17, s59
	v_add_co_u32_e32 v18, vcc, s7, v11
	v_addc_co_u32_e32 v19, vcc, 0, v17, vcc
	flat_load_ushort v17, v[18:19] offset:512
	s_or_b64 exec, exec, s[48:49]
                                        ; implicit-def: $vgpr18
	s_and_saveexec_b64 s[2:3], s[4:5]
	s_cbranch_execnz .LBB824_48
.LBB824_179:
	s_or_b64 exec, exec, s[2:3]
                                        ; implicit-def: $vgpr19
	s_and_saveexec_b64 s[2:3], s[46:47]
	s_cbranch_execz .LBB824_49
.LBB824_180:
	v_mov_b32_e32 v19, s59
	v_add_co_u32_e32 v20, vcc, s7, v11
	v_addc_co_u32_e32 v21, vcc, 0, v19, vcc
	flat_load_ushort v19, v[20:21] offset:1536
	s_or_b64 exec, exec, s[2:3]
                                        ; implicit-def: $vgpr20
	s_and_saveexec_b64 s[2:3], s[8:9]
	s_cbranch_execnz .LBB824_50
.LBB824_181:
	s_or_b64 exec, exec, s[2:3]
                                        ; implicit-def: $vgpr21
	s_and_saveexec_b64 s[2:3], s[10:11]
	s_cbranch_execz .LBB824_51
.LBB824_182:
	v_mov_b32_e32 v21, s59
	v_add_co_u32_e32 v22, vcc, s7, v11
	v_addc_co_u32_e32 v23, vcc, 0, v21, vcc
	flat_load_ushort v21, v[22:23] offset:2560
	s_or_b64 exec, exec, s[2:3]
                                        ; implicit-def: $vgpr22
	s_and_saveexec_b64 s[2:3], s[12:13]
	s_cbranch_execnz .LBB824_52
.LBB824_183:
	s_or_b64 exec, exec, s[2:3]
                                        ; implicit-def: $vgpr23
	s_and_saveexec_b64 s[2:3], s[14:15]
	s_cbranch_execz .LBB824_53
.LBB824_184:
	v_mov_b32_e32 v23, s59
	v_add_co_u32_e32 v24, vcc, s7, v11
	v_addc_co_u32_e32 v25, vcc, 0, v23, vcc
	flat_load_ushort v23, v[24:25] offset:3584
	s_or_b64 exec, exec, s[2:3]
                                        ; implicit-def: $vgpr24
	s_and_saveexec_b64 s[2:3], s[16:17]
	s_cbranch_execnz .LBB824_54
.LBB824_185:
	s_or_b64 exec, exec, s[2:3]
                                        ; implicit-def: $vgpr1
	s_and_saveexec_b64 s[2:3], s[18:19]
	s_cbranch_execz .LBB824_55
.LBB824_186:
	v_mov_b32_e32 v1, s59
	v_add_co_u32_e32 v40, vcc, s7, v2
	v_addc_co_u32_e32 v41, vcc, 0, v1, vcc
	flat_load_ushort v1, v[40:41]
	s_or_b64 exec, exec, s[2:3]
                                        ; implicit-def: $vgpr2
	s_and_saveexec_b64 s[2:3], s[20:21]
	s_cbranch_execnz .LBB824_56
.LBB824_187:
	s_or_b64 exec, exec, s[2:3]
                                        ; implicit-def: $vgpr3
	s_and_saveexec_b64 s[2:3], s[22:23]
	s_cbranch_execz .LBB824_57
.LBB824_188:
	v_mov_b32_e32 v3, s59
	v_add_co_u32_e32 v40, vcc, s7, v4
	v_addc_co_u32_e32 v41, vcc, 0, v3, vcc
	flat_load_ushort v3, v[40:41]
	s_or_b64 exec, exec, s[2:3]
                                        ; implicit-def: $vgpr4
	s_and_saveexec_b64 s[2:3], s[24:25]
	s_cbranch_execnz .LBB824_58
.LBB824_189:
	s_or_b64 exec, exec, s[2:3]
                                        ; implicit-def: $vgpr5
	s_and_saveexec_b64 s[2:3], s[26:27]
	s_cbranch_execz .LBB824_59
.LBB824_190:
	v_mov_b32_e32 v5, s59
	v_add_co_u32_e32 v40, vcc, s7, v7
	v_addc_co_u32_e32 v41, vcc, 0, v5, vcc
	flat_load_ushort v5, v[40:41]
	s_or_b64 exec, exec, s[2:3]
                                        ; implicit-def: $vgpr7
	s_and_saveexec_b64 s[2:3], s[28:29]
	s_cbranch_execnz .LBB824_60
.LBB824_191:
	s_or_b64 exec, exec, s[2:3]
                                        ; implicit-def: $vgpr8
	s_and_saveexec_b64 s[2:3], s[30:31]
	s_cbranch_execz .LBB824_61
.LBB824_192:
	v_mov_b32_e32 v25, s59
	v_add_co_u32_e32 v8, vcc, s7, v9
	v_addc_co_u32_e32 v9, vcc, 0, v25, vcc
	flat_load_ushort v8, v[8:9]
	s_or_b64 exec, exec, s[2:3]
                                        ; implicit-def: $vgpr9
	s_and_saveexec_b64 s[2:3], s[34:35]
	s_cbranch_execnz .LBB824_62
.LBB824_193:
	s_or_b64 exec, exec, s[2:3]
                                        ; implicit-def: $vgpr10
	s_and_saveexec_b64 s[2:3], s[36:37]
	s_cbranch_execz .LBB824_63
.LBB824_194:
	v_mov_b32_e32 v10, s59
	v_add_co_u32_e32 v40, vcc, s7, v12
	v_addc_co_u32_e32 v41, vcc, 0, v10, vcc
	flat_load_ushort v10, v[40:41]
	s_or_b64 exec, exec, s[2:3]
                                        ; implicit-def: $vgpr12
	s_and_saveexec_b64 s[2:3], s[38:39]
	s_cbranch_execnz .LBB824_64
.LBB824_195:
	s_or_b64 exec, exec, s[2:3]
                                        ; implicit-def: $vgpr13
	s_and_saveexec_b64 s[2:3], s[40:41]
	s_cbranch_execz .LBB824_65
.LBB824_196:
	v_mov_b32_e32 v13, s59
	v_add_co_u32_e32 v40, vcc, s7, v14
	v_addc_co_u32_e32 v41, vcc, 0, v13, vcc
	flat_load_ushort v13, v[40:41]
	s_or_b64 exec, exec, s[2:3]
                                        ; implicit-def: $vgpr14
	s_and_saveexec_b64 s[2:3], s[42:43]
	s_cbranch_execz .LBB824_67
	s_branch .LBB824_66
.LBB824_197:
                                        ; implicit-def: $vgpr4
                                        ; implicit-def: $vgpr5
                                        ; implicit-def: $vgpr26
                                        ; implicit-def: $vgpr27
                                        ; implicit-def: $vgpr28
                                        ; implicit-def: $vgpr29
                                        ; implicit-def: $vgpr30
                                        ; implicit-def: $vgpr31
                                        ; implicit-def: $vgpr36
                                        ; implicit-def: $vgpr37
                                        ; implicit-def: $vgpr38
                                        ; implicit-def: $vgpr39
                                        ; implicit-def: $vgpr40
                                        ; implicit-def: $vgpr41
                                        ; implicit-def: $vgpr42
                                        ; implicit-def: $vgpr43
                                        ; implicit-def: $vgpr44
                                        ; implicit-def: $vgpr45
                                        ; implicit-def: $vgpr46
                                        ; implicit-def: $vgpr47
                                        ; implicit-def: $vgpr48
                                        ; implicit-def: $vgpr49
	s_cbranch_execz .LBB824_219
; %bb.198:
	s_cmp_lg_u64 s[66:67], 0
	s_cselect_b32 s5, s63, 0
	s_cselect_b32 s4, s62, 0
	s_cmp_lg_u64 s[4:5], 0
	s_cselect_b64 s[6:7], -1, 0
	v_cmp_eq_u32_e32 vcc, 0, v0
	v_cmp_ne_u32_e64 s[2:3], 0, v0
	s_and_b64 s[8:9], vcc, s[6:7]
	v_mov_b32_e32 v4, v6
	s_and_saveexec_b64 s[6:7], s[8:9]
	s_cbranch_execz .LBB824_200
; %bb.199:
	v_mov_b32_e32 v2, 0
	global_load_ushort v3, v2, s[4:5]
	global_load_ubyte v4, v2, s[4:5] offset:2
	s_mov_b32 s4, 0x10000
	v_and_b32_e32 v2, 0x10000, v6
	v_mov_b32_e32 v5, 1
	v_cmp_gt_u32_e64 s[4:5], s4, v6
	v_mov_b32_e32 v26, 0x10000
	s_waitcnt vmcnt(1)
	v_cndmask_b32_e64 v3, 0, v3, s[4:5]
	s_waitcnt vmcnt(0)
	v_and_b32_sdwa v4, v4, v5 dst_sel:WORD_1 dst_unused:UNUSED_PAD src0_sel:DWORD src1_sel:DWORD
	v_cmp_eq_u32_e64 s[4:5], 0, v2
	v_add_u16_e32 v3, v3, v6
	v_cndmask_b32_e64 v2, v26, v4, s[4:5]
	v_or_b32_e32 v4, v2, v3
.LBB824_200:
	s_or_b64 exec, exec, s[6:7]
	s_mov_b32 s46, 0x10000
	v_cmp_gt_u32_e64 s[4:5], s46, v7
	v_cndmask_b32_e64 v3, 0, v4, s[4:5]
	v_add_u16_e32 v5, v3, v7
	v_cmp_gt_u32_e64 s[6:7], s46, v8
	v_cndmask_b32_e64 v3, 0, v5, s[6:7]
	v_add_u16_e32 v26, v3, v8
	v_cmp_gt_u32_e64 s[8:9], s46, v9
	v_cndmask_b32_e64 v3, 0, v26, s[8:9]
	v_add_u16_e32 v27, v3, v9
	v_cmp_gt_u32_e64 s[10:11], s46, v10
	v_cndmask_b32_e64 v3, 0, v27, s[10:11]
	v_add_u16_e32 v28, v3, v10
	v_cmp_gt_u32_e64 s[12:13], s46, v11
	v_cndmask_b32_e64 v3, 0, v28, s[12:13]
	v_add_u16_e32 v29, v3, v11
	v_cmp_gt_u32_e64 s[14:15], s46, v12
	v_cndmask_b32_e64 v3, 0, v29, s[14:15]
	v_add_u16_e32 v30, v3, v12
	v_cmp_gt_u32_e64 s[16:17], s46, v13
	v_cndmask_b32_e64 v3, 0, v30, s[16:17]
	v_add_u16_e32 v31, v3, v13
	v_cmp_gt_u32_e64 s[18:19], s46, v16
	v_cndmask_b32_e64 v3, 0, v31, s[18:19]
	v_add_u16_e32 v36, v3, v16
	v_cmp_gt_u32_e64 s[20:21], s46, v17
	v_cndmask_b32_e64 v3, 0, v36, s[20:21]
	v_add_u16_e32 v37, v3, v17
	v_cmp_gt_u32_e64 s[22:23], s46, v18
	v_cndmask_b32_e64 v3, 0, v37, s[22:23]
	v_add_u16_e32 v38, v3, v18
	v_cmp_gt_u32_e64 s[24:25], s46, v19
	v_cndmask_b32_e64 v3, 0, v38, s[24:25]
	v_add_u16_e32 v39, v3, v19
	v_cmp_gt_u32_e64 s[26:27], s46, v20
	v_cndmask_b32_e64 v3, 0, v39, s[26:27]
	v_add_u16_e32 v40, v3, v20
	v_cmp_gt_u32_e64 s[28:29], s46, v21
	v_cndmask_b32_e64 v3, 0, v40, s[28:29]
	v_add_u16_e32 v41, v3, v21
	v_cmp_gt_u32_e64 s[30:31], s46, v22
	v_cndmask_b32_e64 v3, 0, v41, s[30:31]
	v_add_u16_e32 v42, v3, v22
	v_cmp_gt_u32_e64 s[34:35], s46, v23
	v_cndmask_b32_e64 v3, 0, v42, s[34:35]
	v_add_u16_e32 v43, v3, v23
	v_cmp_gt_u32_e64 s[36:37], s46, v24
	v_cndmask_b32_e64 v3, 0, v43, s[36:37]
	v_add_u16_e32 v44, v3, v24
	v_cmp_gt_u32_e64 s[38:39], s46, v25
	v_cndmask_b32_e64 v3, 0, v44, s[38:39]
	v_add_u16_e32 v45, v3, v25
	v_cmp_gt_u32_e64 s[40:41], s46, v14
	v_cndmask_b32_e64 v3, 0, v45, s[40:41]
	v_add_u16_e32 v46, v3, v14
	v_cmp_gt_u32_e64 s[42:43], s46, v15
	v_cndmask_b32_e64 v3, 0, v46, s[42:43]
	v_add_u16_e32 v47, v3, v15
	v_cmp_gt_u32_e64 s[44:45], s46, v1
	v_cndmask_b32_e64 v3, 0, v47, s[44:45]
	v_add_u16_e32 v48, v3, v1
	v_cmp_gt_u32_e64 s[46:47], s46, v33
	v_cndmask_b32_e64 v3, 0, v48, s[46:47]
	v_add_u16_e32 v49, v3, v33
	v_or3_b32 v3, v35, v14, v25
	v_or3_b32 v3, v3, v24, v23
	;; [unrolled: 1-line block ×9, first 2 shown]
	v_and_b32_e32 v3, 0x10000, v3
	v_lshrrev_b32_e32 v2, 16, v4
	v_cmp_ne_u32_e64 s[48:49], 0, v3
	v_mov_b32_e32 v35, 0x10000
	v_cndmask_b32_e64 v3, v2, 1, s[48:49]
	v_add_lshl_u32 v2, v34, v0, 2
	v_cmp_gt_u32_e64 s[48:49], 64, v0
	ds_write_b16 v2, v49
	ds_write_b8 v2, v3 offset:2
	s_waitcnt lgkmcnt(0)
	s_barrier
	s_and_saveexec_b64 s[50:51], s[48:49]
	s_cbranch_execz .LBB824_214
; %bb.201:
	v_lshlrev_b32_e32 v2, 2, v0
	v_lshrrev_b32_e32 v6, 3, v0
	v_add_lshl_u32 v2, v6, v2, 2
	ds_read_b32 v6, v2
	ds_read_u16 v34, v2 offset:4
	ds_read_u8 v50, v2 offset:6
	ds_read_u16 v51, v2 offset:8
	ds_read_u8 v52, v2 offset:10
	;; [unrolled: 2-line block ×3, first 2 shown]
	v_mov_b32_e32 v55, 0
	s_waitcnt lgkmcnt(4)
	v_cmp_eq_u16_sdwa s[48:49], v50, v55 src0_sel:BYTE_0 src1_sel:DWORD
	v_cndmask_b32_e64 v56, 0, v6, s[48:49]
	v_add_u16_e32 v56, v56, v34
	s_waitcnt lgkmcnt(2)
	v_cmp_eq_u16_sdwa s[48:49], v52, v55 src0_sel:BYTE_0 src1_sel:DWORD
	s_waitcnt lgkmcnt(0)
	v_or_b32_e32 v52, v54, v52
	v_cndmask_b32_e64 v55, 0, v56, s[48:49]
	v_or_b32_e32 v50, v52, v50
	v_add_u16_e32 v51, v55, v51
	v_cmp_eq_u16_e64 s[48:49], 0, v54
	v_and_b32_e32 v50, 1, v50
	v_and_b32_e32 v34, 0x10000, v6
	v_cndmask_b32_e64 v55, 0, v51, s[48:49]
	v_cmp_eq_u32_e64 s[48:49], 1, v50
	v_mbcnt_lo_u32_b32 v50, -1, 0
	v_add_u16_e32 v51, v55, v53
	v_cndmask_b32_e64 v56, v34, v35, s[48:49]
	v_add_u16_e32 v53, v55, v53
	v_and_b32_e32 v35, 0xff000000, v6
	v_mbcnt_hi_u32_b32 v50, -1, v50
	v_or_b32_e32 v54, v56, v35
	v_and_b32_e32 v55, 15, v50
	v_or3_b32 v53, v35, v53, v56
	s_movk_i32 s59, 0xff
	v_lshrrev_b32_e32 v52, 16, v54
	v_mov_b32_dpp v56, v53 row_shr:1 row_mask:0xf bank_mask:0xf
	v_cmp_ne_u32_e64 s[48:49], 0, v55
	s_and_saveexec_b64 s[60:61], s[48:49]
	s_cbranch_execz .LBB824_203
; %bb.202:
	v_and_b32_sdwa v52, v54, s59 dst_sel:DWORD dst_unused:UNUSED_PAD src0_sel:WORD_1 src1_sel:DWORD
	v_cmp_eq_u16_e64 s[48:49], 0, v52
	v_and_b32_e32 v52, 0x10000, v54
	v_mov_b32_e32 v54, 1
	v_cndmask_b32_e64 v53, 0, v56, s[48:49]
	v_and_b32_sdwa v54, v56, v54 dst_sel:DWORD dst_unused:UNUSED_PAD src0_sel:WORD_1 src1_sel:DWORD
	v_cmp_ne_u32_e64 s[48:49], 0, v52
	v_cndmask_b32_e64 v52, v54, 1, s[48:49]
	v_add_u16_e32 v57, v53, v51
	v_lshlrev_b32_e32 v54, 16, v52
	v_add_u16_e32 v51, v53, v51
	v_or3_b32 v53, v54, v51, v35
	v_mov_b32_e32 v51, v57
.LBB824_203:
	s_or_b64 exec, exec, s[60:61]
	v_lshrrev_b32_e32 v54, 16, v53
	v_mov_b32_dpp v56, v53 row_shr:2 row_mask:0xf bank_mask:0xf
	v_cmp_lt_u32_e64 s[48:49], 1, v55
	s_and_saveexec_b64 s[60:61], s[48:49]
	s_cbranch_execz .LBB824_205
; %bb.204:
	v_mov_b32_e32 v52, 0
	v_cmp_eq_u16_sdwa s[48:49], v54, v52 src0_sel:BYTE_0 src1_sel:DWORD
	v_and_b32_e32 v52, 0x10000, v53
	v_mov_b32_e32 v53, 1
	v_cndmask_b32_e64 v54, 0, v56, s[48:49]
	v_and_b32_sdwa v53, v56, v53 dst_sel:DWORD dst_unused:UNUSED_PAD src0_sel:WORD_1 src1_sel:DWORD
	v_cmp_ne_u32_e64 s[48:49], 0, v52
	v_cndmask_b32_e64 v52, v53, 1, s[48:49]
	v_add_u16_e32 v57, v54, v51
	v_lshlrev_b32_e32 v53, 16, v52
	v_add_u16_e32 v51, v54, v51
	v_or3_b32 v53, v53, v51, v35
	v_mov_b32_e32 v54, v52
	v_mov_b32_e32 v51, v57
.LBB824_205:
	s_or_b64 exec, exec, s[60:61]
	v_mov_b32_dpp v56, v53 row_shr:4 row_mask:0xf bank_mask:0xf
	v_cmp_lt_u32_e64 s[48:49], 3, v55
	s_and_saveexec_b64 s[60:61], s[48:49]
	s_cbranch_execz .LBB824_207
; %bb.206:
	v_mov_b32_e32 v52, 0
	v_cmp_eq_u16_sdwa s[48:49], v54, v52 src0_sel:BYTE_0 src1_sel:DWORD
	v_and_b32_e32 v52, 1, v54
	v_mov_b32_e32 v54, 1
	v_cndmask_b32_e64 v53, 0, v56, s[48:49]
	v_and_b32_sdwa v54, v56, v54 dst_sel:DWORD dst_unused:UNUSED_PAD src0_sel:WORD_1 src1_sel:DWORD
	v_cmp_eq_u32_e64 s[48:49], 1, v52
	v_cndmask_b32_e64 v52, v54, 1, s[48:49]
	v_add_u16_e32 v57, v53, v51
	v_lshlrev_b32_e32 v54, 16, v52
	v_add_u16_e32 v51, v53, v51
	v_or3_b32 v53, v54, v51, v35
	v_mov_b32_e32 v54, v52
	v_mov_b32_e32 v51, v57
.LBB824_207:
	s_or_b64 exec, exec, s[60:61]
	v_mov_b32_dpp v56, v53 row_shr:8 row_mask:0xf bank_mask:0xf
	v_cmp_lt_u32_e64 s[48:49], 7, v55
	s_and_saveexec_b64 s[60:61], s[48:49]
	s_cbranch_execz .LBB824_209
; %bb.208:
	v_mov_b32_e32 v52, 0
	v_cmp_eq_u16_sdwa s[48:49], v54, v52 src0_sel:BYTE_0 src1_sel:DWORD
	v_and_b32_e32 v52, 1, v54
	v_mov_b32_e32 v54, 1
	v_cndmask_b32_e64 v53, 0, v56, s[48:49]
	v_and_b32_sdwa v54, v56, v54 dst_sel:DWORD dst_unused:UNUSED_PAD src0_sel:WORD_1 src1_sel:DWORD
	v_cmp_eq_u32_e64 s[48:49], 1, v52
	v_cndmask_b32_e64 v52, v54, 1, s[48:49]
	v_add_u16_e32 v55, v53, v51
	v_lshlrev_b32_e32 v54, 16, v52
	v_add_u16_e32 v51, v53, v51
	v_or3_b32 v53, v54, v51, v35
	v_mov_b32_e32 v54, v52
	v_mov_b32_e32 v51, v55
.LBB824_209:
	s_or_b64 exec, exec, s[60:61]
	v_and_b32_e32 v56, 16, v50
	v_mov_b32_dpp v55, v53 row_bcast:15 row_mask:0xf bank_mask:0xf
	v_cmp_ne_u32_e64 s[48:49], 0, v56
	s_and_saveexec_b64 s[60:61], s[48:49]
	s_cbranch_execz .LBB824_211
; %bb.210:
	v_mov_b32_e32 v52, 0
	v_cmp_eq_u16_sdwa s[48:49], v54, v52 src0_sel:BYTE_0 src1_sel:DWORD
	v_and_b32_e32 v52, 1, v54
	v_mov_b32_e32 v54, 1
	v_cndmask_b32_e64 v53, 0, v55, s[48:49]
	v_and_b32_sdwa v54, v55, v54 dst_sel:DWORD dst_unused:UNUSED_PAD src0_sel:WORD_1 src1_sel:DWORD
	v_cmp_eq_u32_e64 s[48:49], 1, v52
	v_cndmask_b32_e64 v52, v54, 1, s[48:49]
	v_add_u16_e32 v56, v53, v51
	v_lshlrev_b32_e32 v54, 16, v52
	v_add_u16_e32 v51, v53, v51
	v_or3_b32 v53, v54, v51, v35
	v_mov_b32_e32 v54, v52
	v_mov_b32_e32 v51, v56
.LBB824_211:
	s_or_b64 exec, exec, s[60:61]
	v_mov_b32_dpp v53, v53 row_bcast:31 row_mask:0xf bank_mask:0xf
	v_cmp_lt_u32_e64 s[48:49], 31, v50
	s_and_saveexec_b64 s[60:61], s[48:49]
; %bb.212:
	v_mov_b32_e32 v52, 0
	v_cmp_eq_u16_sdwa s[48:49], v54, v52 src0_sel:BYTE_0 src1_sel:DWORD
	v_cndmask_b32_e64 v52, 0, v53, s[48:49]
	v_add_u16_e32 v51, v52, v51
	v_and_b32_e32 v52, 1, v54
	v_mov_b32_e32 v54, 1
	v_and_b32_sdwa v53, v53, v54 dst_sel:DWORD dst_unused:UNUSED_PAD src0_sel:WORD_1 src1_sel:DWORD
	v_cmp_eq_u32_e64 s[48:49], 1, v52
	v_cndmask_b32_e64 v52, v53, 1, s[48:49]
; %bb.213:
	s_or_b64 exec, exec, s[60:61]
	v_and_b32_e32 v52, 0xff, v52
	v_lshlrev_b32_e32 v52, 16, v52
	v_and_b32_e32 v51, 0xffff, v51
	v_or3_b32 v35, v52, v51, v35
	v_add_u32_e32 v51, -1, v50
	v_and_b32_e32 v52, 64, v50
	v_cmp_lt_i32_e64 s[48:49], v51, v52
	v_cndmask_b32_e64 v50, v51, v50, s[48:49]
	v_lshlrev_b32_e32 v50, 2, v50
	ds_bpermute_b32 v35, v50, v35
	v_and_b32_e32 v50, 0xff0000, v6
	v_cmp_eq_u32_e64 s[48:49], 0, v50
	; wave barrier
	s_waitcnt lgkmcnt(0)
	v_cndmask_b32_e64 v50, 0, v35, s[48:49]
	v_add_u16_e32 v6, v50, v6
	v_mov_b32_e32 v50, 1
	v_and_b32_sdwa v35, v35, v50 dst_sel:DWORD dst_unused:UNUSED_PAD src0_sel:WORD_1 src1_sel:DWORD
	v_cmp_eq_u32_e64 s[48:49], 0, v34
	v_cndmask_b32_e64 v34, 1, v35, s[48:49]
	v_cndmask_b32_e32 v6, v6, v49, vcc
	v_cndmask_b32_e32 v3, v34, v3, vcc
	ds_write_b16 v2, v6
	ds_write_b8 v2, v3 offset:2
	; wave barrier
	ds_read_u16 v34, v2 offset:4
	ds_read_u8 v35, v2 offset:6
	ds_read_u16 v50, v2 offset:8
	ds_read_u8 v51, v2 offset:10
	;; [unrolled: 2-line block ×3, first 2 shown]
	s_waitcnt lgkmcnt(4)
	v_cmp_eq_u16_e64 s[48:49], 0, v35
	v_cndmask_b32_e64 v6, 0, v6, s[48:49]
	v_add_u16_e32 v6, v6, v34
	v_and_b32_e32 v34, 1, v35
	v_cmp_eq_u32_e64 s[48:49], 1, v34
	v_cndmask_b32_e64 v3, v3, 1, s[48:49]
	s_waitcnt lgkmcnt(2)
	v_cmp_eq_u16_e64 s[48:49], 0, v51
	v_and_b32_e32 v34, 1, v51
	ds_write_b16 v2, v6 offset:4
	ds_write_b8 v2, v3 offset:6
	v_cndmask_b32_e64 v6, 0, v6, s[48:49]
	v_cmp_eq_u32_e64 s[48:49], 1, v34
	v_add_u16_e32 v6, v6, v50
	v_cndmask_b32_e64 v3, v3, 1, s[48:49]
	s_waitcnt lgkmcnt(2)
	v_cmp_eq_u16_e64 s[48:49], 0, v53
	ds_write_b16 v2, v6 offset:8
	ds_write_b8 v2, v3 offset:10
	v_cndmask_b32_e64 v6, 0, v6, s[48:49]
	v_and_b32_e32 v34, 1, v53
	v_add_u16_e32 v6, v6, v52
	v_cmp_eq_u32_e64 s[48:49], 1, v34
	v_cndmask_b32_e64 v3, v3, 1, s[48:49]
	ds_write_b16 v2, v6 offset:12
	ds_write_b8 v2, v3 offset:14
.LBB824_214:
	s_or_b64 exec, exec, s[50:51]
	v_mov_b32_e32 v2, v49
	s_waitcnt lgkmcnt(0)
	s_barrier
	s_and_saveexec_b64 s[48:49], s[2:3]
	s_cbranch_execz .LBB824_263
; %bb.215:
	v_add_u32_e32 v2, -1, v0
	v_lshrrev_b32_e32 v3, 5, v2
	v_add_lshl_u32 v2, v3, v2, 2
	ds_read_u16 v2, v2
	s_or_b64 exec, exec, s[48:49]
	s_and_saveexec_b64 s[48:49], s[2:3]
	s_cbranch_execnz .LBB824_264
.LBB824_216:
	s_or_b64 exec, exec, s[48:49]
	s_and_saveexec_b64 s[2:3], vcc
	s_cbranch_execz .LBB824_218
.LBB824_217:
	v_mov_b32_e32 v1, 0
	s_waitcnt lgkmcnt(0)
	ds_read_u8 v2, v1 offset:1050
	ds_read_u16 v3, v1 offset:1048
	s_waitcnt lgkmcnt(1)
	v_lshlrev_b32_e32 v2, 16, v2
	s_waitcnt lgkmcnt(0)
	v_or_b32_e32 v2, v2, v3
	v_mov_b32_e32 v3, 2
	global_store_dwordx2 v1, v[2:3], s[56:57] offset:512
.LBB824_218:
	s_or_b64 exec, exec, s[2:3]
.LBB824_219:
	s_add_u32 s2, s54, s64
	s_addc_u32 s3, s55, s65
	s_add_u32 s4, s2, s52
	s_addc_u32 s5, s3, s53
	s_and_b64 vcc, exec, s[0:1]
	v_mul_u32_u24_e32 v7, 22, v0
	s_cbranch_vccz .LBB824_265
; %bb.220:
	s_mov_b32 s0, 0x5040100
	v_lshlrev_b32_e32 v33, 1, v7
	v_perm_b32 v1, v27, v26, s0
	s_waitcnt lgkmcnt(0)
	v_perm_b32 v2, v5, v4, s0
	s_barrier
	ds_write2_b32 v33, v2, v1 offset1:1
	v_perm_b32 v1, v31, v30, s0
	v_perm_b32 v2, v29, v28, s0
	ds_write2_b32 v33, v2, v1 offset0:2 offset1:3
	v_perm_b32 v1, v39, v38, s0
	v_perm_b32 v2, v37, v36, s0
	ds_write2_b32 v33, v2, v1 offset0:4 offset1:5
	;; [unrolled: 3-line block ×4, first 2 shown]
	v_perm_b32 v1, v49, v48, s0
	s_movk_i32 s0, 0xffd6
	v_mad_i32_i24 v2, v0, s0, v33
	ds_write_b32 v33, v1 offset:40
	s_waitcnt lgkmcnt(0)
	s_barrier
	ds_read_u16 v35, v2 offset:512
	ds_read_u16 v34, v2 offset:1024
	;; [unrolled: 1-line block ×21, first 2 shown]
	v_mov_b32_e32 v3, s5
	v_add_co_u32_e32 v2, vcc, s4, v32
	s_add_i32 s33, s33, s58
	v_addc_co_u32_e32 v3, vcc, 0, v3, vcc
	v_mov_b32_e32 v1, 0
	v_cmp_gt_u32_e32 vcc, s33, v0
	s_and_saveexec_b64 s[0:1], vcc
	s_cbranch_execz .LBB824_222
; %bb.221:
	v_mul_i32_i24_e32 v50, 0xffffffd6, v0
	v_add_u32_e32 v33, v33, v50
	ds_read_u16 v33, v33
	s_waitcnt lgkmcnt(0)
	flat_store_short v[2:3], v33
.LBB824_222:
	s_or_b64 exec, exec, s[0:1]
	v_or_b32_e32 v33, 0x100, v0
	v_cmp_gt_u32_e32 vcc, s33, v33
	s_and_saveexec_b64 s[0:1], vcc
	s_cbranch_execz .LBB824_224
; %bb.223:
	s_waitcnt lgkmcnt(0)
	flat_store_short v[2:3], v35 offset:512
.LBB824_224:
	s_or_b64 exec, exec, s[0:1]
	v_or_b32_e32 v33, 0x200, v0
	v_cmp_gt_u32_e32 vcc, s33, v33
	s_and_saveexec_b64 s[0:1], vcc
	s_cbranch_execz .LBB824_226
; %bb.225:
	s_waitcnt lgkmcnt(0)
	flat_store_short v[2:3], v34 offset:1024
.LBB824_226:
	;; [unrolled: 9-line block ×3, first 2 shown]
	s_or_b64 exec, exec, s[0:1]
	s_waitcnt lgkmcnt(0)
	v_or_b32_e32 v25, 0x400, v0
	v_cmp_gt_u32_e32 vcc, s33, v25
	s_and_saveexec_b64 s[0:1], vcc
	s_cbranch_execz .LBB824_230
; %bb.229:
	flat_store_short v[2:3], v24 offset:2048
.LBB824_230:
	s_or_b64 exec, exec, s[0:1]
	v_or_b32_e32 v24, 0x500, v0
	v_cmp_gt_u32_e32 vcc, s33, v24
	s_and_saveexec_b64 s[0:1], vcc
	s_cbranch_execz .LBB824_232
; %bb.231:
	flat_store_short v[2:3], v23 offset:2560
.LBB824_232:
	s_or_b64 exec, exec, s[0:1]
	;; [unrolled: 8-line block ×4, first 2 shown]
	v_or_b32_e32 v21, 0x800, v0
	v_cmp_gt_u32_e32 vcc, s33, v21
	s_and_saveexec_b64 s[0:1], vcc
	s_cbranch_execz .LBB824_238
; %bb.237:
	v_add_co_u32_e32 v22, vcc, 0x1000, v2
	v_addc_co_u32_e32 v23, vcc, 0, v3, vcc
	flat_store_short v[22:23], v20
.LBB824_238:
	s_or_b64 exec, exec, s[0:1]
	v_or_b32_e32 v20, 0x900, v0
	v_cmp_gt_u32_e32 vcc, s33, v20
	s_and_saveexec_b64 s[0:1], vcc
	s_cbranch_execz .LBB824_240
; %bb.239:
	v_add_co_u32_e32 v20, vcc, 0x1000, v2
	v_addc_co_u32_e32 v21, vcc, 0, v3, vcc
	flat_store_short v[20:21], v19 offset:512
.LBB824_240:
	s_or_b64 exec, exec, s[0:1]
	v_or_b32_e32 v19, 0xa00, v0
	v_cmp_gt_u32_e32 vcc, s33, v19
	s_and_saveexec_b64 s[0:1], vcc
	s_cbranch_execz .LBB824_242
; %bb.241:
	v_add_co_u32_e32 v20, vcc, 0x1000, v2
	v_addc_co_u32_e32 v21, vcc, 0, v3, vcc
	flat_store_short v[20:21], v18 offset:1024
.LBB824_242:
	;; [unrolled: 10-line block ×7, first 2 shown]
	s_or_b64 exec, exec, s[0:1]
	v_or_b32_e32 v13, 0x1000, v0
	v_cmp_gt_u32_e32 vcc, s33, v13
	s_and_saveexec_b64 s[0:1], vcc
	s_cbranch_execz .LBB824_254
; %bb.253:
	v_add_co_u32_e32 v14, vcc, 0x2000, v2
	v_addc_co_u32_e32 v15, vcc, 0, v3, vcc
	flat_store_short v[14:15], v12
.LBB824_254:
	s_or_b64 exec, exec, s[0:1]
	v_or_b32_e32 v12, 0x1100, v0
	v_cmp_gt_u32_e32 vcc, s33, v12
	s_and_saveexec_b64 s[0:1], vcc
	s_cbranch_execz .LBB824_256
; %bb.255:
	v_add_co_u32_e32 v12, vcc, 0x2000, v2
	v_addc_co_u32_e32 v13, vcc, 0, v3, vcc
	flat_store_short v[12:13], v11 offset:512
.LBB824_256:
	s_or_b64 exec, exec, s[0:1]
	v_or_b32_e32 v11, 0x1200, v0
	v_cmp_gt_u32_e32 vcc, s33, v11
	s_and_saveexec_b64 s[0:1], vcc
	s_cbranch_execz .LBB824_258
; %bb.257:
	v_add_co_u32_e32 v12, vcc, 0x2000, v2
	v_addc_co_u32_e32 v13, vcc, 0, v3, vcc
	flat_store_short v[12:13], v10 offset:1024
.LBB824_258:
	;; [unrolled: 10-line block ×4, first 2 shown]
	s_or_b64 exec, exec, s[0:1]
	v_or_b32_e32 v2, 0x1500, v0
	v_cmp_gt_u32_e64 s[0:1], s33, v2
	s_branch .LBB824_267
.LBB824_263:
	s_or_b64 exec, exec, s[48:49]
	s_and_saveexec_b64 s[48:49], s[2:3]
	s_cbranch_execz .LBB824_216
.LBB824_264:
	s_mov_b32 s2, 0x10000
	s_waitcnt lgkmcnt(0)
	v_and_b32_e32 v2, 0xffff, v2
	v_cmp_gt_u32_e64 s[2:3], s2, v4
	v_cndmask_b32_e64 v2, 0, v2, s[2:3]
	v_add_u32_e32 v4, v2, v4
	v_cndmask_b32_e64 v2, 0, v4, s[4:5]
	v_add_u16_e32 v5, v2, v7
	v_cndmask_b32_e64 v2, 0, v5, s[6:7]
	v_add_u16_e32 v26, v2, v8
	;; [unrolled: 2-line block ×21, first 2 shown]
	;;#ASMSTART
	;;#ASMEND
	s_or_b64 exec, exec, s[48:49]
	s_and_saveexec_b64 s[2:3], vcc
	s_cbranch_execnz .LBB824_217
	s_branch .LBB824_218
.LBB824_265:
	s_mov_b64 s[0:1], 0
                                        ; implicit-def: $vgpr6
	s_cbranch_execz .LBB824_267
; %bb.266:
	s_mov_b32 s2, 0x5040100
	s_waitcnt lgkmcnt(0)
	v_lshlrev_b32_e32 v2, 1, v7
	v_perm_b32 v1, v27, v26, s2
	v_perm_b32 v3, v5, v4, s2
	s_barrier
	ds_write2_b32 v2, v3, v1 offset1:1
	v_perm_b32 v1, v31, v30, s2
	v_perm_b32 v3, v29, v28, s2
	ds_write2_b32 v2, v3, v1 offset0:2 offset1:3
	v_perm_b32 v1, v39, v38, s2
	v_perm_b32 v3, v37, v36, s2
	ds_write2_b32 v2, v3, v1 offset0:4 offset1:5
	;; [unrolled: 3-line block ×4, first 2 shown]
	v_perm_b32 v1, v49, v48, s2
	s_movk_i32 s2, 0xffd6
	ds_write_b32 v2, v1 offset:40
	v_mad_i32_i24 v2, v0, s2, v2
	s_waitcnt lgkmcnt(0)
	s_barrier
	ds_read_u16 v4, v2
	ds_read_u16 v5, v2 offset:512
	ds_read_u16 v7, v2 offset:1024
	;; [unrolled: 1-line block ×21, first 2 shown]
	v_mov_b32_e32 v3, s5
	v_add_co_u32_e32 v2, vcc, s4, v32
	v_addc_co_u32_e32 v3, vcc, 0, v3, vcc
	s_movk_i32 s2, 0x1000
	s_waitcnt lgkmcnt(0)
	flat_store_short v[2:3], v4
	flat_store_short v[2:3], v5 offset:512
	flat_store_short v[2:3], v7 offset:1024
	;; [unrolled: 1-line block ×7, first 2 shown]
	v_add_co_u32_e32 v4, vcc, s2, v2
	v_addc_co_u32_e32 v5, vcc, 0, v3, vcc
	v_add_co_u32_e32 v2, vcc, 0x2000, v2
	v_mov_b32_e32 v1, 0
	v_addc_co_u32_e32 v3, vcc, 0, v3, vcc
	s_or_b64 s[0:1], s[0:1], exec
	flat_store_short v[4:5], v13
	flat_store_short v[4:5], v14 offset:512
	flat_store_short v[4:5], v15 offset:1024
	;; [unrolled: 1-line block ×7, first 2 shown]
	flat_store_short v[2:3], v21
	flat_store_short v[2:3], v22 offset:512
	flat_store_short v[2:3], v23 offset:1024
	;; [unrolled: 1-line block ×4, first 2 shown]
.LBB824_267:
	s_and_saveexec_b64 s[2:3], s[0:1]
	s_cbranch_execz .LBB824_269
; %bb.268:
	v_lshlrev_b64 v[0:1], 1, v[0:1]
	s_waitcnt lgkmcnt(0)
	v_mov_b32_e32 v2, s5
	v_add_co_u32_e32 v0, vcc, s4, v0
	v_addc_co_u32_e32 v1, vcc, v2, v1, vcc
	v_add_co_u32_e32 v0, vcc, 0x2000, v0
	v_addc_co_u32_e32 v1, vcc, 0, v1, vcc
	flat_store_short v[0:1], v6 offset:2560
	s_endpgm
.LBB824_269:
	s_endpgm
	.section	.rodata,"a",@progbits
	.p2align	6, 0x0
	.amdhsa_kernel _ZN7rocprim17ROCPRIM_400000_NS6detail17trampoline_kernelINS0_14default_configENS1_27scan_by_key_config_selectorIssEEZZNS1_16scan_by_key_implILNS1_25lookback_scan_determinismE0ELb0ES3_N6thrust23THRUST_200600_302600_NS6detail15normal_iteratorINS9_10device_ptrIsEEEESE_SE_sNS9_4plusIsEE19head_flag_predicatesEE10hipError_tPvRmT2_T3_T4_T5_mT6_T7_P12ihipStream_tbENKUlT_T0_E_clISt17integral_constantIbLb0EESY_EEDaST_SU_EUlST_E_NS1_11comp_targetILNS1_3genE4ELNS1_11target_archE910ELNS1_3gpuE8ELNS1_3repE0EEENS1_30default_config_static_selectorELNS0_4arch9wavefront6targetE1EEEvT1_
		.amdhsa_group_segment_fixed_size 12288
		.amdhsa_private_segment_fixed_size 0
		.amdhsa_kernarg_size 112
		.amdhsa_user_sgpr_count 6
		.amdhsa_user_sgpr_private_segment_buffer 1
		.amdhsa_user_sgpr_dispatch_ptr 0
		.amdhsa_user_sgpr_queue_ptr 0
		.amdhsa_user_sgpr_kernarg_segment_ptr 1
		.amdhsa_user_sgpr_dispatch_id 0
		.amdhsa_user_sgpr_flat_scratch_init 0
		.amdhsa_user_sgpr_kernarg_preload_length 0
		.amdhsa_user_sgpr_kernarg_preload_offset 0
		.amdhsa_user_sgpr_private_segment_size 0
		.amdhsa_uses_dynamic_stack 0
		.amdhsa_system_sgpr_private_segment_wavefront_offset 0
		.amdhsa_system_sgpr_workgroup_id_x 1
		.amdhsa_system_sgpr_workgroup_id_y 0
		.amdhsa_system_sgpr_workgroup_id_z 0
		.amdhsa_system_sgpr_workgroup_info 0
		.amdhsa_system_vgpr_workitem_id 0
		.amdhsa_next_free_vgpr 58
		.amdhsa_next_free_sgpr 74
		.amdhsa_accum_offset 60
		.amdhsa_reserve_vcc 1
		.amdhsa_reserve_flat_scratch 0
		.amdhsa_float_round_mode_32 0
		.amdhsa_float_round_mode_16_64 0
		.amdhsa_float_denorm_mode_32 3
		.amdhsa_float_denorm_mode_16_64 3
		.amdhsa_dx10_clamp 1
		.amdhsa_ieee_mode 1
		.amdhsa_fp16_overflow 0
		.amdhsa_tg_split 0
		.amdhsa_exception_fp_ieee_invalid_op 0
		.amdhsa_exception_fp_denorm_src 0
		.amdhsa_exception_fp_ieee_div_zero 0
		.amdhsa_exception_fp_ieee_overflow 0
		.amdhsa_exception_fp_ieee_underflow 0
		.amdhsa_exception_fp_ieee_inexact 0
		.amdhsa_exception_int_div_zero 0
	.end_amdhsa_kernel
	.section	.text._ZN7rocprim17ROCPRIM_400000_NS6detail17trampoline_kernelINS0_14default_configENS1_27scan_by_key_config_selectorIssEEZZNS1_16scan_by_key_implILNS1_25lookback_scan_determinismE0ELb0ES3_N6thrust23THRUST_200600_302600_NS6detail15normal_iteratorINS9_10device_ptrIsEEEESE_SE_sNS9_4plusIsEE19head_flag_predicatesEE10hipError_tPvRmT2_T3_T4_T5_mT6_T7_P12ihipStream_tbENKUlT_T0_E_clISt17integral_constantIbLb0EESY_EEDaST_SU_EUlST_E_NS1_11comp_targetILNS1_3genE4ELNS1_11target_archE910ELNS1_3gpuE8ELNS1_3repE0EEENS1_30default_config_static_selectorELNS0_4arch9wavefront6targetE1EEEvT1_,"axG",@progbits,_ZN7rocprim17ROCPRIM_400000_NS6detail17trampoline_kernelINS0_14default_configENS1_27scan_by_key_config_selectorIssEEZZNS1_16scan_by_key_implILNS1_25lookback_scan_determinismE0ELb0ES3_N6thrust23THRUST_200600_302600_NS6detail15normal_iteratorINS9_10device_ptrIsEEEESE_SE_sNS9_4plusIsEE19head_flag_predicatesEE10hipError_tPvRmT2_T3_T4_T5_mT6_T7_P12ihipStream_tbENKUlT_T0_E_clISt17integral_constantIbLb0EESY_EEDaST_SU_EUlST_E_NS1_11comp_targetILNS1_3genE4ELNS1_11target_archE910ELNS1_3gpuE8ELNS1_3repE0EEENS1_30default_config_static_selectorELNS0_4arch9wavefront6targetE1EEEvT1_,comdat
.Lfunc_end824:
	.size	_ZN7rocprim17ROCPRIM_400000_NS6detail17trampoline_kernelINS0_14default_configENS1_27scan_by_key_config_selectorIssEEZZNS1_16scan_by_key_implILNS1_25lookback_scan_determinismE0ELb0ES3_N6thrust23THRUST_200600_302600_NS6detail15normal_iteratorINS9_10device_ptrIsEEEESE_SE_sNS9_4plusIsEE19head_flag_predicatesEE10hipError_tPvRmT2_T3_T4_T5_mT6_T7_P12ihipStream_tbENKUlT_T0_E_clISt17integral_constantIbLb0EESY_EEDaST_SU_EUlST_E_NS1_11comp_targetILNS1_3genE4ELNS1_11target_archE910ELNS1_3gpuE8ELNS1_3repE0EEENS1_30default_config_static_selectorELNS0_4arch9wavefront6targetE1EEEvT1_, .Lfunc_end824-_ZN7rocprim17ROCPRIM_400000_NS6detail17trampoline_kernelINS0_14default_configENS1_27scan_by_key_config_selectorIssEEZZNS1_16scan_by_key_implILNS1_25lookback_scan_determinismE0ELb0ES3_N6thrust23THRUST_200600_302600_NS6detail15normal_iteratorINS9_10device_ptrIsEEEESE_SE_sNS9_4plusIsEE19head_flag_predicatesEE10hipError_tPvRmT2_T3_T4_T5_mT6_T7_P12ihipStream_tbENKUlT_T0_E_clISt17integral_constantIbLb0EESY_EEDaST_SU_EUlST_E_NS1_11comp_targetILNS1_3genE4ELNS1_11target_archE910ELNS1_3gpuE8ELNS1_3repE0EEENS1_30default_config_static_selectorELNS0_4arch9wavefront6targetE1EEEvT1_
                                        ; -- End function
	.section	.AMDGPU.csdata,"",@progbits
; Kernel info:
; codeLenInByte = 15356
; NumSgprs: 78
; NumVgprs: 58
; NumAgprs: 0
; TotalNumVgprs: 58
; ScratchSize: 0
; MemoryBound: 0
; FloatMode: 240
; IeeeMode: 1
; LDSByteSize: 12288 bytes/workgroup (compile time only)
; SGPRBlocks: 9
; VGPRBlocks: 7
; NumSGPRsForWavesPerEU: 78
; NumVGPRsForWavesPerEU: 58
; AccumOffset: 60
; Occupancy: 5
; WaveLimiterHint : 1
; COMPUTE_PGM_RSRC2:SCRATCH_EN: 0
; COMPUTE_PGM_RSRC2:USER_SGPR: 6
; COMPUTE_PGM_RSRC2:TRAP_HANDLER: 0
; COMPUTE_PGM_RSRC2:TGID_X_EN: 1
; COMPUTE_PGM_RSRC2:TGID_Y_EN: 0
; COMPUTE_PGM_RSRC2:TGID_Z_EN: 0
; COMPUTE_PGM_RSRC2:TIDIG_COMP_CNT: 0
; COMPUTE_PGM_RSRC3_GFX90A:ACCUM_OFFSET: 14
; COMPUTE_PGM_RSRC3_GFX90A:TG_SPLIT: 0
	.section	.text._ZN7rocprim17ROCPRIM_400000_NS6detail17trampoline_kernelINS0_14default_configENS1_27scan_by_key_config_selectorIssEEZZNS1_16scan_by_key_implILNS1_25lookback_scan_determinismE0ELb0ES3_N6thrust23THRUST_200600_302600_NS6detail15normal_iteratorINS9_10device_ptrIsEEEESE_SE_sNS9_4plusIsEE19head_flag_predicatesEE10hipError_tPvRmT2_T3_T4_T5_mT6_T7_P12ihipStream_tbENKUlT_T0_E_clISt17integral_constantIbLb0EESY_EEDaST_SU_EUlST_E_NS1_11comp_targetILNS1_3genE3ELNS1_11target_archE908ELNS1_3gpuE7ELNS1_3repE0EEENS1_30default_config_static_selectorELNS0_4arch9wavefront6targetE1EEEvT1_,"axG",@progbits,_ZN7rocprim17ROCPRIM_400000_NS6detail17trampoline_kernelINS0_14default_configENS1_27scan_by_key_config_selectorIssEEZZNS1_16scan_by_key_implILNS1_25lookback_scan_determinismE0ELb0ES3_N6thrust23THRUST_200600_302600_NS6detail15normal_iteratorINS9_10device_ptrIsEEEESE_SE_sNS9_4plusIsEE19head_flag_predicatesEE10hipError_tPvRmT2_T3_T4_T5_mT6_T7_P12ihipStream_tbENKUlT_T0_E_clISt17integral_constantIbLb0EESY_EEDaST_SU_EUlST_E_NS1_11comp_targetILNS1_3genE3ELNS1_11target_archE908ELNS1_3gpuE7ELNS1_3repE0EEENS1_30default_config_static_selectorELNS0_4arch9wavefront6targetE1EEEvT1_,comdat
	.protected	_ZN7rocprim17ROCPRIM_400000_NS6detail17trampoline_kernelINS0_14default_configENS1_27scan_by_key_config_selectorIssEEZZNS1_16scan_by_key_implILNS1_25lookback_scan_determinismE0ELb0ES3_N6thrust23THRUST_200600_302600_NS6detail15normal_iteratorINS9_10device_ptrIsEEEESE_SE_sNS9_4plusIsEE19head_flag_predicatesEE10hipError_tPvRmT2_T3_T4_T5_mT6_T7_P12ihipStream_tbENKUlT_T0_E_clISt17integral_constantIbLb0EESY_EEDaST_SU_EUlST_E_NS1_11comp_targetILNS1_3genE3ELNS1_11target_archE908ELNS1_3gpuE7ELNS1_3repE0EEENS1_30default_config_static_selectorELNS0_4arch9wavefront6targetE1EEEvT1_ ; -- Begin function _ZN7rocprim17ROCPRIM_400000_NS6detail17trampoline_kernelINS0_14default_configENS1_27scan_by_key_config_selectorIssEEZZNS1_16scan_by_key_implILNS1_25lookback_scan_determinismE0ELb0ES3_N6thrust23THRUST_200600_302600_NS6detail15normal_iteratorINS9_10device_ptrIsEEEESE_SE_sNS9_4plusIsEE19head_flag_predicatesEE10hipError_tPvRmT2_T3_T4_T5_mT6_T7_P12ihipStream_tbENKUlT_T0_E_clISt17integral_constantIbLb0EESY_EEDaST_SU_EUlST_E_NS1_11comp_targetILNS1_3genE3ELNS1_11target_archE908ELNS1_3gpuE7ELNS1_3repE0EEENS1_30default_config_static_selectorELNS0_4arch9wavefront6targetE1EEEvT1_
	.globl	_ZN7rocprim17ROCPRIM_400000_NS6detail17trampoline_kernelINS0_14default_configENS1_27scan_by_key_config_selectorIssEEZZNS1_16scan_by_key_implILNS1_25lookback_scan_determinismE0ELb0ES3_N6thrust23THRUST_200600_302600_NS6detail15normal_iteratorINS9_10device_ptrIsEEEESE_SE_sNS9_4plusIsEE19head_flag_predicatesEE10hipError_tPvRmT2_T3_T4_T5_mT6_T7_P12ihipStream_tbENKUlT_T0_E_clISt17integral_constantIbLb0EESY_EEDaST_SU_EUlST_E_NS1_11comp_targetILNS1_3genE3ELNS1_11target_archE908ELNS1_3gpuE7ELNS1_3repE0EEENS1_30default_config_static_selectorELNS0_4arch9wavefront6targetE1EEEvT1_
	.p2align	8
	.type	_ZN7rocprim17ROCPRIM_400000_NS6detail17trampoline_kernelINS0_14default_configENS1_27scan_by_key_config_selectorIssEEZZNS1_16scan_by_key_implILNS1_25lookback_scan_determinismE0ELb0ES3_N6thrust23THRUST_200600_302600_NS6detail15normal_iteratorINS9_10device_ptrIsEEEESE_SE_sNS9_4plusIsEE19head_flag_predicatesEE10hipError_tPvRmT2_T3_T4_T5_mT6_T7_P12ihipStream_tbENKUlT_T0_E_clISt17integral_constantIbLb0EESY_EEDaST_SU_EUlST_E_NS1_11comp_targetILNS1_3genE3ELNS1_11target_archE908ELNS1_3gpuE7ELNS1_3repE0EEENS1_30default_config_static_selectorELNS0_4arch9wavefront6targetE1EEEvT1_,@function
_ZN7rocprim17ROCPRIM_400000_NS6detail17trampoline_kernelINS0_14default_configENS1_27scan_by_key_config_selectorIssEEZZNS1_16scan_by_key_implILNS1_25lookback_scan_determinismE0ELb0ES3_N6thrust23THRUST_200600_302600_NS6detail15normal_iteratorINS9_10device_ptrIsEEEESE_SE_sNS9_4plusIsEE19head_flag_predicatesEE10hipError_tPvRmT2_T3_T4_T5_mT6_T7_P12ihipStream_tbENKUlT_T0_E_clISt17integral_constantIbLb0EESY_EEDaST_SU_EUlST_E_NS1_11comp_targetILNS1_3genE3ELNS1_11target_archE908ELNS1_3gpuE7ELNS1_3repE0EEENS1_30default_config_static_selectorELNS0_4arch9wavefront6targetE1EEEvT1_: ; @_ZN7rocprim17ROCPRIM_400000_NS6detail17trampoline_kernelINS0_14default_configENS1_27scan_by_key_config_selectorIssEEZZNS1_16scan_by_key_implILNS1_25lookback_scan_determinismE0ELb0ES3_N6thrust23THRUST_200600_302600_NS6detail15normal_iteratorINS9_10device_ptrIsEEEESE_SE_sNS9_4plusIsEE19head_flag_predicatesEE10hipError_tPvRmT2_T3_T4_T5_mT6_T7_P12ihipStream_tbENKUlT_T0_E_clISt17integral_constantIbLb0EESY_EEDaST_SU_EUlST_E_NS1_11comp_targetILNS1_3genE3ELNS1_11target_archE908ELNS1_3gpuE7ELNS1_3repE0EEENS1_30default_config_static_selectorELNS0_4arch9wavefront6targetE1EEEvT1_
; %bb.0:
	.section	.rodata,"a",@progbits
	.p2align	6, 0x0
	.amdhsa_kernel _ZN7rocprim17ROCPRIM_400000_NS6detail17trampoline_kernelINS0_14default_configENS1_27scan_by_key_config_selectorIssEEZZNS1_16scan_by_key_implILNS1_25lookback_scan_determinismE0ELb0ES3_N6thrust23THRUST_200600_302600_NS6detail15normal_iteratorINS9_10device_ptrIsEEEESE_SE_sNS9_4plusIsEE19head_flag_predicatesEE10hipError_tPvRmT2_T3_T4_T5_mT6_T7_P12ihipStream_tbENKUlT_T0_E_clISt17integral_constantIbLb0EESY_EEDaST_SU_EUlST_E_NS1_11comp_targetILNS1_3genE3ELNS1_11target_archE908ELNS1_3gpuE7ELNS1_3repE0EEENS1_30default_config_static_selectorELNS0_4arch9wavefront6targetE1EEEvT1_
		.amdhsa_group_segment_fixed_size 0
		.amdhsa_private_segment_fixed_size 0
		.amdhsa_kernarg_size 112
		.amdhsa_user_sgpr_count 6
		.amdhsa_user_sgpr_private_segment_buffer 1
		.amdhsa_user_sgpr_dispatch_ptr 0
		.amdhsa_user_sgpr_queue_ptr 0
		.amdhsa_user_sgpr_kernarg_segment_ptr 1
		.amdhsa_user_sgpr_dispatch_id 0
		.amdhsa_user_sgpr_flat_scratch_init 0
		.amdhsa_user_sgpr_kernarg_preload_length 0
		.amdhsa_user_sgpr_kernarg_preload_offset 0
		.amdhsa_user_sgpr_private_segment_size 0
		.amdhsa_uses_dynamic_stack 0
		.amdhsa_system_sgpr_private_segment_wavefront_offset 0
		.amdhsa_system_sgpr_workgroup_id_x 1
		.amdhsa_system_sgpr_workgroup_id_y 0
		.amdhsa_system_sgpr_workgroup_id_z 0
		.amdhsa_system_sgpr_workgroup_info 0
		.amdhsa_system_vgpr_workitem_id 0
		.amdhsa_next_free_vgpr 1
		.amdhsa_next_free_sgpr 0
		.amdhsa_accum_offset 4
		.amdhsa_reserve_vcc 0
		.amdhsa_reserve_flat_scratch 0
		.amdhsa_float_round_mode_32 0
		.amdhsa_float_round_mode_16_64 0
		.amdhsa_float_denorm_mode_32 3
		.amdhsa_float_denorm_mode_16_64 3
		.amdhsa_dx10_clamp 1
		.amdhsa_ieee_mode 1
		.amdhsa_fp16_overflow 0
		.amdhsa_tg_split 0
		.amdhsa_exception_fp_ieee_invalid_op 0
		.amdhsa_exception_fp_denorm_src 0
		.amdhsa_exception_fp_ieee_div_zero 0
		.amdhsa_exception_fp_ieee_overflow 0
		.amdhsa_exception_fp_ieee_underflow 0
		.amdhsa_exception_fp_ieee_inexact 0
		.amdhsa_exception_int_div_zero 0
	.end_amdhsa_kernel
	.section	.text._ZN7rocprim17ROCPRIM_400000_NS6detail17trampoline_kernelINS0_14default_configENS1_27scan_by_key_config_selectorIssEEZZNS1_16scan_by_key_implILNS1_25lookback_scan_determinismE0ELb0ES3_N6thrust23THRUST_200600_302600_NS6detail15normal_iteratorINS9_10device_ptrIsEEEESE_SE_sNS9_4plusIsEE19head_flag_predicatesEE10hipError_tPvRmT2_T3_T4_T5_mT6_T7_P12ihipStream_tbENKUlT_T0_E_clISt17integral_constantIbLb0EESY_EEDaST_SU_EUlST_E_NS1_11comp_targetILNS1_3genE3ELNS1_11target_archE908ELNS1_3gpuE7ELNS1_3repE0EEENS1_30default_config_static_selectorELNS0_4arch9wavefront6targetE1EEEvT1_,"axG",@progbits,_ZN7rocprim17ROCPRIM_400000_NS6detail17trampoline_kernelINS0_14default_configENS1_27scan_by_key_config_selectorIssEEZZNS1_16scan_by_key_implILNS1_25lookback_scan_determinismE0ELb0ES3_N6thrust23THRUST_200600_302600_NS6detail15normal_iteratorINS9_10device_ptrIsEEEESE_SE_sNS9_4plusIsEE19head_flag_predicatesEE10hipError_tPvRmT2_T3_T4_T5_mT6_T7_P12ihipStream_tbENKUlT_T0_E_clISt17integral_constantIbLb0EESY_EEDaST_SU_EUlST_E_NS1_11comp_targetILNS1_3genE3ELNS1_11target_archE908ELNS1_3gpuE7ELNS1_3repE0EEENS1_30default_config_static_selectorELNS0_4arch9wavefront6targetE1EEEvT1_,comdat
.Lfunc_end825:
	.size	_ZN7rocprim17ROCPRIM_400000_NS6detail17trampoline_kernelINS0_14default_configENS1_27scan_by_key_config_selectorIssEEZZNS1_16scan_by_key_implILNS1_25lookback_scan_determinismE0ELb0ES3_N6thrust23THRUST_200600_302600_NS6detail15normal_iteratorINS9_10device_ptrIsEEEESE_SE_sNS9_4plusIsEE19head_flag_predicatesEE10hipError_tPvRmT2_T3_T4_T5_mT6_T7_P12ihipStream_tbENKUlT_T0_E_clISt17integral_constantIbLb0EESY_EEDaST_SU_EUlST_E_NS1_11comp_targetILNS1_3genE3ELNS1_11target_archE908ELNS1_3gpuE7ELNS1_3repE0EEENS1_30default_config_static_selectorELNS0_4arch9wavefront6targetE1EEEvT1_, .Lfunc_end825-_ZN7rocprim17ROCPRIM_400000_NS6detail17trampoline_kernelINS0_14default_configENS1_27scan_by_key_config_selectorIssEEZZNS1_16scan_by_key_implILNS1_25lookback_scan_determinismE0ELb0ES3_N6thrust23THRUST_200600_302600_NS6detail15normal_iteratorINS9_10device_ptrIsEEEESE_SE_sNS9_4plusIsEE19head_flag_predicatesEE10hipError_tPvRmT2_T3_T4_T5_mT6_T7_P12ihipStream_tbENKUlT_T0_E_clISt17integral_constantIbLb0EESY_EEDaST_SU_EUlST_E_NS1_11comp_targetILNS1_3genE3ELNS1_11target_archE908ELNS1_3gpuE7ELNS1_3repE0EEENS1_30default_config_static_selectorELNS0_4arch9wavefront6targetE1EEEvT1_
                                        ; -- End function
	.section	.AMDGPU.csdata,"",@progbits
; Kernel info:
; codeLenInByte = 0
; NumSgprs: 4
; NumVgprs: 0
; NumAgprs: 0
; TotalNumVgprs: 0
; ScratchSize: 0
; MemoryBound: 0
; FloatMode: 240
; IeeeMode: 1
; LDSByteSize: 0 bytes/workgroup (compile time only)
; SGPRBlocks: 0
; VGPRBlocks: 0
; NumSGPRsForWavesPerEU: 4
; NumVGPRsForWavesPerEU: 1
; AccumOffset: 4
; Occupancy: 8
; WaveLimiterHint : 0
; COMPUTE_PGM_RSRC2:SCRATCH_EN: 0
; COMPUTE_PGM_RSRC2:USER_SGPR: 6
; COMPUTE_PGM_RSRC2:TRAP_HANDLER: 0
; COMPUTE_PGM_RSRC2:TGID_X_EN: 1
; COMPUTE_PGM_RSRC2:TGID_Y_EN: 0
; COMPUTE_PGM_RSRC2:TGID_Z_EN: 0
; COMPUTE_PGM_RSRC2:TIDIG_COMP_CNT: 0
; COMPUTE_PGM_RSRC3_GFX90A:ACCUM_OFFSET: 0
; COMPUTE_PGM_RSRC3_GFX90A:TG_SPLIT: 0
	.section	.text._ZN7rocprim17ROCPRIM_400000_NS6detail17trampoline_kernelINS0_14default_configENS1_27scan_by_key_config_selectorIssEEZZNS1_16scan_by_key_implILNS1_25lookback_scan_determinismE0ELb0ES3_N6thrust23THRUST_200600_302600_NS6detail15normal_iteratorINS9_10device_ptrIsEEEESE_SE_sNS9_4plusIsEE19head_flag_predicatesEE10hipError_tPvRmT2_T3_T4_T5_mT6_T7_P12ihipStream_tbENKUlT_T0_E_clISt17integral_constantIbLb0EESY_EEDaST_SU_EUlST_E_NS1_11comp_targetILNS1_3genE2ELNS1_11target_archE906ELNS1_3gpuE6ELNS1_3repE0EEENS1_30default_config_static_selectorELNS0_4arch9wavefront6targetE1EEEvT1_,"axG",@progbits,_ZN7rocprim17ROCPRIM_400000_NS6detail17trampoline_kernelINS0_14default_configENS1_27scan_by_key_config_selectorIssEEZZNS1_16scan_by_key_implILNS1_25lookback_scan_determinismE0ELb0ES3_N6thrust23THRUST_200600_302600_NS6detail15normal_iteratorINS9_10device_ptrIsEEEESE_SE_sNS9_4plusIsEE19head_flag_predicatesEE10hipError_tPvRmT2_T3_T4_T5_mT6_T7_P12ihipStream_tbENKUlT_T0_E_clISt17integral_constantIbLb0EESY_EEDaST_SU_EUlST_E_NS1_11comp_targetILNS1_3genE2ELNS1_11target_archE906ELNS1_3gpuE6ELNS1_3repE0EEENS1_30default_config_static_selectorELNS0_4arch9wavefront6targetE1EEEvT1_,comdat
	.protected	_ZN7rocprim17ROCPRIM_400000_NS6detail17trampoline_kernelINS0_14default_configENS1_27scan_by_key_config_selectorIssEEZZNS1_16scan_by_key_implILNS1_25lookback_scan_determinismE0ELb0ES3_N6thrust23THRUST_200600_302600_NS6detail15normal_iteratorINS9_10device_ptrIsEEEESE_SE_sNS9_4plusIsEE19head_flag_predicatesEE10hipError_tPvRmT2_T3_T4_T5_mT6_T7_P12ihipStream_tbENKUlT_T0_E_clISt17integral_constantIbLb0EESY_EEDaST_SU_EUlST_E_NS1_11comp_targetILNS1_3genE2ELNS1_11target_archE906ELNS1_3gpuE6ELNS1_3repE0EEENS1_30default_config_static_selectorELNS0_4arch9wavefront6targetE1EEEvT1_ ; -- Begin function _ZN7rocprim17ROCPRIM_400000_NS6detail17trampoline_kernelINS0_14default_configENS1_27scan_by_key_config_selectorIssEEZZNS1_16scan_by_key_implILNS1_25lookback_scan_determinismE0ELb0ES3_N6thrust23THRUST_200600_302600_NS6detail15normal_iteratorINS9_10device_ptrIsEEEESE_SE_sNS9_4plusIsEE19head_flag_predicatesEE10hipError_tPvRmT2_T3_T4_T5_mT6_T7_P12ihipStream_tbENKUlT_T0_E_clISt17integral_constantIbLb0EESY_EEDaST_SU_EUlST_E_NS1_11comp_targetILNS1_3genE2ELNS1_11target_archE906ELNS1_3gpuE6ELNS1_3repE0EEENS1_30default_config_static_selectorELNS0_4arch9wavefront6targetE1EEEvT1_
	.globl	_ZN7rocprim17ROCPRIM_400000_NS6detail17trampoline_kernelINS0_14default_configENS1_27scan_by_key_config_selectorIssEEZZNS1_16scan_by_key_implILNS1_25lookback_scan_determinismE0ELb0ES3_N6thrust23THRUST_200600_302600_NS6detail15normal_iteratorINS9_10device_ptrIsEEEESE_SE_sNS9_4plusIsEE19head_flag_predicatesEE10hipError_tPvRmT2_T3_T4_T5_mT6_T7_P12ihipStream_tbENKUlT_T0_E_clISt17integral_constantIbLb0EESY_EEDaST_SU_EUlST_E_NS1_11comp_targetILNS1_3genE2ELNS1_11target_archE906ELNS1_3gpuE6ELNS1_3repE0EEENS1_30default_config_static_selectorELNS0_4arch9wavefront6targetE1EEEvT1_
	.p2align	8
	.type	_ZN7rocprim17ROCPRIM_400000_NS6detail17trampoline_kernelINS0_14default_configENS1_27scan_by_key_config_selectorIssEEZZNS1_16scan_by_key_implILNS1_25lookback_scan_determinismE0ELb0ES3_N6thrust23THRUST_200600_302600_NS6detail15normal_iteratorINS9_10device_ptrIsEEEESE_SE_sNS9_4plusIsEE19head_flag_predicatesEE10hipError_tPvRmT2_T3_T4_T5_mT6_T7_P12ihipStream_tbENKUlT_T0_E_clISt17integral_constantIbLb0EESY_EEDaST_SU_EUlST_E_NS1_11comp_targetILNS1_3genE2ELNS1_11target_archE906ELNS1_3gpuE6ELNS1_3repE0EEENS1_30default_config_static_selectorELNS0_4arch9wavefront6targetE1EEEvT1_,@function
_ZN7rocprim17ROCPRIM_400000_NS6detail17trampoline_kernelINS0_14default_configENS1_27scan_by_key_config_selectorIssEEZZNS1_16scan_by_key_implILNS1_25lookback_scan_determinismE0ELb0ES3_N6thrust23THRUST_200600_302600_NS6detail15normal_iteratorINS9_10device_ptrIsEEEESE_SE_sNS9_4plusIsEE19head_flag_predicatesEE10hipError_tPvRmT2_T3_T4_T5_mT6_T7_P12ihipStream_tbENKUlT_T0_E_clISt17integral_constantIbLb0EESY_EEDaST_SU_EUlST_E_NS1_11comp_targetILNS1_3genE2ELNS1_11target_archE906ELNS1_3gpuE6ELNS1_3repE0EEENS1_30default_config_static_selectorELNS0_4arch9wavefront6targetE1EEEvT1_: ; @_ZN7rocprim17ROCPRIM_400000_NS6detail17trampoline_kernelINS0_14default_configENS1_27scan_by_key_config_selectorIssEEZZNS1_16scan_by_key_implILNS1_25lookback_scan_determinismE0ELb0ES3_N6thrust23THRUST_200600_302600_NS6detail15normal_iteratorINS9_10device_ptrIsEEEESE_SE_sNS9_4plusIsEE19head_flag_predicatesEE10hipError_tPvRmT2_T3_T4_T5_mT6_T7_P12ihipStream_tbENKUlT_T0_E_clISt17integral_constantIbLb0EESY_EEDaST_SU_EUlST_E_NS1_11comp_targetILNS1_3genE2ELNS1_11target_archE906ELNS1_3gpuE6ELNS1_3repE0EEENS1_30default_config_static_selectorELNS0_4arch9wavefront6targetE1EEEvT1_
; %bb.0:
	.section	.rodata,"a",@progbits
	.p2align	6, 0x0
	.amdhsa_kernel _ZN7rocprim17ROCPRIM_400000_NS6detail17trampoline_kernelINS0_14default_configENS1_27scan_by_key_config_selectorIssEEZZNS1_16scan_by_key_implILNS1_25lookback_scan_determinismE0ELb0ES3_N6thrust23THRUST_200600_302600_NS6detail15normal_iteratorINS9_10device_ptrIsEEEESE_SE_sNS9_4plusIsEE19head_flag_predicatesEE10hipError_tPvRmT2_T3_T4_T5_mT6_T7_P12ihipStream_tbENKUlT_T0_E_clISt17integral_constantIbLb0EESY_EEDaST_SU_EUlST_E_NS1_11comp_targetILNS1_3genE2ELNS1_11target_archE906ELNS1_3gpuE6ELNS1_3repE0EEENS1_30default_config_static_selectorELNS0_4arch9wavefront6targetE1EEEvT1_
		.amdhsa_group_segment_fixed_size 0
		.amdhsa_private_segment_fixed_size 0
		.amdhsa_kernarg_size 112
		.amdhsa_user_sgpr_count 6
		.amdhsa_user_sgpr_private_segment_buffer 1
		.amdhsa_user_sgpr_dispatch_ptr 0
		.amdhsa_user_sgpr_queue_ptr 0
		.amdhsa_user_sgpr_kernarg_segment_ptr 1
		.amdhsa_user_sgpr_dispatch_id 0
		.amdhsa_user_sgpr_flat_scratch_init 0
		.amdhsa_user_sgpr_kernarg_preload_length 0
		.amdhsa_user_sgpr_kernarg_preload_offset 0
		.amdhsa_user_sgpr_private_segment_size 0
		.amdhsa_uses_dynamic_stack 0
		.amdhsa_system_sgpr_private_segment_wavefront_offset 0
		.amdhsa_system_sgpr_workgroup_id_x 1
		.amdhsa_system_sgpr_workgroup_id_y 0
		.amdhsa_system_sgpr_workgroup_id_z 0
		.amdhsa_system_sgpr_workgroup_info 0
		.amdhsa_system_vgpr_workitem_id 0
		.amdhsa_next_free_vgpr 1
		.amdhsa_next_free_sgpr 0
		.amdhsa_accum_offset 4
		.amdhsa_reserve_vcc 0
		.amdhsa_reserve_flat_scratch 0
		.amdhsa_float_round_mode_32 0
		.amdhsa_float_round_mode_16_64 0
		.amdhsa_float_denorm_mode_32 3
		.amdhsa_float_denorm_mode_16_64 3
		.amdhsa_dx10_clamp 1
		.amdhsa_ieee_mode 1
		.amdhsa_fp16_overflow 0
		.amdhsa_tg_split 0
		.amdhsa_exception_fp_ieee_invalid_op 0
		.amdhsa_exception_fp_denorm_src 0
		.amdhsa_exception_fp_ieee_div_zero 0
		.amdhsa_exception_fp_ieee_overflow 0
		.amdhsa_exception_fp_ieee_underflow 0
		.amdhsa_exception_fp_ieee_inexact 0
		.amdhsa_exception_int_div_zero 0
	.end_amdhsa_kernel
	.section	.text._ZN7rocprim17ROCPRIM_400000_NS6detail17trampoline_kernelINS0_14default_configENS1_27scan_by_key_config_selectorIssEEZZNS1_16scan_by_key_implILNS1_25lookback_scan_determinismE0ELb0ES3_N6thrust23THRUST_200600_302600_NS6detail15normal_iteratorINS9_10device_ptrIsEEEESE_SE_sNS9_4plusIsEE19head_flag_predicatesEE10hipError_tPvRmT2_T3_T4_T5_mT6_T7_P12ihipStream_tbENKUlT_T0_E_clISt17integral_constantIbLb0EESY_EEDaST_SU_EUlST_E_NS1_11comp_targetILNS1_3genE2ELNS1_11target_archE906ELNS1_3gpuE6ELNS1_3repE0EEENS1_30default_config_static_selectorELNS0_4arch9wavefront6targetE1EEEvT1_,"axG",@progbits,_ZN7rocprim17ROCPRIM_400000_NS6detail17trampoline_kernelINS0_14default_configENS1_27scan_by_key_config_selectorIssEEZZNS1_16scan_by_key_implILNS1_25lookback_scan_determinismE0ELb0ES3_N6thrust23THRUST_200600_302600_NS6detail15normal_iteratorINS9_10device_ptrIsEEEESE_SE_sNS9_4plusIsEE19head_flag_predicatesEE10hipError_tPvRmT2_T3_T4_T5_mT6_T7_P12ihipStream_tbENKUlT_T0_E_clISt17integral_constantIbLb0EESY_EEDaST_SU_EUlST_E_NS1_11comp_targetILNS1_3genE2ELNS1_11target_archE906ELNS1_3gpuE6ELNS1_3repE0EEENS1_30default_config_static_selectorELNS0_4arch9wavefront6targetE1EEEvT1_,comdat
.Lfunc_end826:
	.size	_ZN7rocprim17ROCPRIM_400000_NS6detail17trampoline_kernelINS0_14default_configENS1_27scan_by_key_config_selectorIssEEZZNS1_16scan_by_key_implILNS1_25lookback_scan_determinismE0ELb0ES3_N6thrust23THRUST_200600_302600_NS6detail15normal_iteratorINS9_10device_ptrIsEEEESE_SE_sNS9_4plusIsEE19head_flag_predicatesEE10hipError_tPvRmT2_T3_T4_T5_mT6_T7_P12ihipStream_tbENKUlT_T0_E_clISt17integral_constantIbLb0EESY_EEDaST_SU_EUlST_E_NS1_11comp_targetILNS1_3genE2ELNS1_11target_archE906ELNS1_3gpuE6ELNS1_3repE0EEENS1_30default_config_static_selectorELNS0_4arch9wavefront6targetE1EEEvT1_, .Lfunc_end826-_ZN7rocprim17ROCPRIM_400000_NS6detail17trampoline_kernelINS0_14default_configENS1_27scan_by_key_config_selectorIssEEZZNS1_16scan_by_key_implILNS1_25lookback_scan_determinismE0ELb0ES3_N6thrust23THRUST_200600_302600_NS6detail15normal_iteratorINS9_10device_ptrIsEEEESE_SE_sNS9_4plusIsEE19head_flag_predicatesEE10hipError_tPvRmT2_T3_T4_T5_mT6_T7_P12ihipStream_tbENKUlT_T0_E_clISt17integral_constantIbLb0EESY_EEDaST_SU_EUlST_E_NS1_11comp_targetILNS1_3genE2ELNS1_11target_archE906ELNS1_3gpuE6ELNS1_3repE0EEENS1_30default_config_static_selectorELNS0_4arch9wavefront6targetE1EEEvT1_
                                        ; -- End function
	.section	.AMDGPU.csdata,"",@progbits
; Kernel info:
; codeLenInByte = 0
; NumSgprs: 4
; NumVgprs: 0
; NumAgprs: 0
; TotalNumVgprs: 0
; ScratchSize: 0
; MemoryBound: 0
; FloatMode: 240
; IeeeMode: 1
; LDSByteSize: 0 bytes/workgroup (compile time only)
; SGPRBlocks: 0
; VGPRBlocks: 0
; NumSGPRsForWavesPerEU: 4
; NumVGPRsForWavesPerEU: 1
; AccumOffset: 4
; Occupancy: 8
; WaveLimiterHint : 0
; COMPUTE_PGM_RSRC2:SCRATCH_EN: 0
; COMPUTE_PGM_RSRC2:USER_SGPR: 6
; COMPUTE_PGM_RSRC2:TRAP_HANDLER: 0
; COMPUTE_PGM_RSRC2:TGID_X_EN: 1
; COMPUTE_PGM_RSRC2:TGID_Y_EN: 0
; COMPUTE_PGM_RSRC2:TGID_Z_EN: 0
; COMPUTE_PGM_RSRC2:TIDIG_COMP_CNT: 0
; COMPUTE_PGM_RSRC3_GFX90A:ACCUM_OFFSET: 0
; COMPUTE_PGM_RSRC3_GFX90A:TG_SPLIT: 0
	.section	.text._ZN7rocprim17ROCPRIM_400000_NS6detail17trampoline_kernelINS0_14default_configENS1_27scan_by_key_config_selectorIssEEZZNS1_16scan_by_key_implILNS1_25lookback_scan_determinismE0ELb0ES3_N6thrust23THRUST_200600_302600_NS6detail15normal_iteratorINS9_10device_ptrIsEEEESE_SE_sNS9_4plusIsEE19head_flag_predicatesEE10hipError_tPvRmT2_T3_T4_T5_mT6_T7_P12ihipStream_tbENKUlT_T0_E_clISt17integral_constantIbLb0EESY_EEDaST_SU_EUlST_E_NS1_11comp_targetILNS1_3genE10ELNS1_11target_archE1200ELNS1_3gpuE4ELNS1_3repE0EEENS1_30default_config_static_selectorELNS0_4arch9wavefront6targetE1EEEvT1_,"axG",@progbits,_ZN7rocprim17ROCPRIM_400000_NS6detail17trampoline_kernelINS0_14default_configENS1_27scan_by_key_config_selectorIssEEZZNS1_16scan_by_key_implILNS1_25lookback_scan_determinismE0ELb0ES3_N6thrust23THRUST_200600_302600_NS6detail15normal_iteratorINS9_10device_ptrIsEEEESE_SE_sNS9_4plusIsEE19head_flag_predicatesEE10hipError_tPvRmT2_T3_T4_T5_mT6_T7_P12ihipStream_tbENKUlT_T0_E_clISt17integral_constantIbLb0EESY_EEDaST_SU_EUlST_E_NS1_11comp_targetILNS1_3genE10ELNS1_11target_archE1200ELNS1_3gpuE4ELNS1_3repE0EEENS1_30default_config_static_selectorELNS0_4arch9wavefront6targetE1EEEvT1_,comdat
	.protected	_ZN7rocprim17ROCPRIM_400000_NS6detail17trampoline_kernelINS0_14default_configENS1_27scan_by_key_config_selectorIssEEZZNS1_16scan_by_key_implILNS1_25lookback_scan_determinismE0ELb0ES3_N6thrust23THRUST_200600_302600_NS6detail15normal_iteratorINS9_10device_ptrIsEEEESE_SE_sNS9_4plusIsEE19head_flag_predicatesEE10hipError_tPvRmT2_T3_T4_T5_mT6_T7_P12ihipStream_tbENKUlT_T0_E_clISt17integral_constantIbLb0EESY_EEDaST_SU_EUlST_E_NS1_11comp_targetILNS1_3genE10ELNS1_11target_archE1200ELNS1_3gpuE4ELNS1_3repE0EEENS1_30default_config_static_selectorELNS0_4arch9wavefront6targetE1EEEvT1_ ; -- Begin function _ZN7rocprim17ROCPRIM_400000_NS6detail17trampoline_kernelINS0_14default_configENS1_27scan_by_key_config_selectorIssEEZZNS1_16scan_by_key_implILNS1_25lookback_scan_determinismE0ELb0ES3_N6thrust23THRUST_200600_302600_NS6detail15normal_iteratorINS9_10device_ptrIsEEEESE_SE_sNS9_4plusIsEE19head_flag_predicatesEE10hipError_tPvRmT2_T3_T4_T5_mT6_T7_P12ihipStream_tbENKUlT_T0_E_clISt17integral_constantIbLb0EESY_EEDaST_SU_EUlST_E_NS1_11comp_targetILNS1_3genE10ELNS1_11target_archE1200ELNS1_3gpuE4ELNS1_3repE0EEENS1_30default_config_static_selectorELNS0_4arch9wavefront6targetE1EEEvT1_
	.globl	_ZN7rocprim17ROCPRIM_400000_NS6detail17trampoline_kernelINS0_14default_configENS1_27scan_by_key_config_selectorIssEEZZNS1_16scan_by_key_implILNS1_25lookback_scan_determinismE0ELb0ES3_N6thrust23THRUST_200600_302600_NS6detail15normal_iteratorINS9_10device_ptrIsEEEESE_SE_sNS9_4plusIsEE19head_flag_predicatesEE10hipError_tPvRmT2_T3_T4_T5_mT6_T7_P12ihipStream_tbENKUlT_T0_E_clISt17integral_constantIbLb0EESY_EEDaST_SU_EUlST_E_NS1_11comp_targetILNS1_3genE10ELNS1_11target_archE1200ELNS1_3gpuE4ELNS1_3repE0EEENS1_30default_config_static_selectorELNS0_4arch9wavefront6targetE1EEEvT1_
	.p2align	8
	.type	_ZN7rocprim17ROCPRIM_400000_NS6detail17trampoline_kernelINS0_14default_configENS1_27scan_by_key_config_selectorIssEEZZNS1_16scan_by_key_implILNS1_25lookback_scan_determinismE0ELb0ES3_N6thrust23THRUST_200600_302600_NS6detail15normal_iteratorINS9_10device_ptrIsEEEESE_SE_sNS9_4plusIsEE19head_flag_predicatesEE10hipError_tPvRmT2_T3_T4_T5_mT6_T7_P12ihipStream_tbENKUlT_T0_E_clISt17integral_constantIbLb0EESY_EEDaST_SU_EUlST_E_NS1_11comp_targetILNS1_3genE10ELNS1_11target_archE1200ELNS1_3gpuE4ELNS1_3repE0EEENS1_30default_config_static_selectorELNS0_4arch9wavefront6targetE1EEEvT1_,@function
_ZN7rocprim17ROCPRIM_400000_NS6detail17trampoline_kernelINS0_14default_configENS1_27scan_by_key_config_selectorIssEEZZNS1_16scan_by_key_implILNS1_25lookback_scan_determinismE0ELb0ES3_N6thrust23THRUST_200600_302600_NS6detail15normal_iteratorINS9_10device_ptrIsEEEESE_SE_sNS9_4plusIsEE19head_flag_predicatesEE10hipError_tPvRmT2_T3_T4_T5_mT6_T7_P12ihipStream_tbENKUlT_T0_E_clISt17integral_constantIbLb0EESY_EEDaST_SU_EUlST_E_NS1_11comp_targetILNS1_3genE10ELNS1_11target_archE1200ELNS1_3gpuE4ELNS1_3repE0EEENS1_30default_config_static_selectorELNS0_4arch9wavefront6targetE1EEEvT1_: ; @_ZN7rocprim17ROCPRIM_400000_NS6detail17trampoline_kernelINS0_14default_configENS1_27scan_by_key_config_selectorIssEEZZNS1_16scan_by_key_implILNS1_25lookback_scan_determinismE0ELb0ES3_N6thrust23THRUST_200600_302600_NS6detail15normal_iteratorINS9_10device_ptrIsEEEESE_SE_sNS9_4plusIsEE19head_flag_predicatesEE10hipError_tPvRmT2_T3_T4_T5_mT6_T7_P12ihipStream_tbENKUlT_T0_E_clISt17integral_constantIbLb0EESY_EEDaST_SU_EUlST_E_NS1_11comp_targetILNS1_3genE10ELNS1_11target_archE1200ELNS1_3gpuE4ELNS1_3repE0EEENS1_30default_config_static_selectorELNS0_4arch9wavefront6targetE1EEEvT1_
; %bb.0:
	.section	.rodata,"a",@progbits
	.p2align	6, 0x0
	.amdhsa_kernel _ZN7rocprim17ROCPRIM_400000_NS6detail17trampoline_kernelINS0_14default_configENS1_27scan_by_key_config_selectorIssEEZZNS1_16scan_by_key_implILNS1_25lookback_scan_determinismE0ELb0ES3_N6thrust23THRUST_200600_302600_NS6detail15normal_iteratorINS9_10device_ptrIsEEEESE_SE_sNS9_4plusIsEE19head_flag_predicatesEE10hipError_tPvRmT2_T3_T4_T5_mT6_T7_P12ihipStream_tbENKUlT_T0_E_clISt17integral_constantIbLb0EESY_EEDaST_SU_EUlST_E_NS1_11comp_targetILNS1_3genE10ELNS1_11target_archE1200ELNS1_3gpuE4ELNS1_3repE0EEENS1_30default_config_static_selectorELNS0_4arch9wavefront6targetE1EEEvT1_
		.amdhsa_group_segment_fixed_size 0
		.amdhsa_private_segment_fixed_size 0
		.amdhsa_kernarg_size 112
		.amdhsa_user_sgpr_count 6
		.amdhsa_user_sgpr_private_segment_buffer 1
		.amdhsa_user_sgpr_dispatch_ptr 0
		.amdhsa_user_sgpr_queue_ptr 0
		.amdhsa_user_sgpr_kernarg_segment_ptr 1
		.amdhsa_user_sgpr_dispatch_id 0
		.amdhsa_user_sgpr_flat_scratch_init 0
		.amdhsa_user_sgpr_kernarg_preload_length 0
		.amdhsa_user_sgpr_kernarg_preload_offset 0
		.amdhsa_user_sgpr_private_segment_size 0
		.amdhsa_uses_dynamic_stack 0
		.amdhsa_system_sgpr_private_segment_wavefront_offset 0
		.amdhsa_system_sgpr_workgroup_id_x 1
		.amdhsa_system_sgpr_workgroup_id_y 0
		.amdhsa_system_sgpr_workgroup_id_z 0
		.amdhsa_system_sgpr_workgroup_info 0
		.amdhsa_system_vgpr_workitem_id 0
		.amdhsa_next_free_vgpr 1
		.amdhsa_next_free_sgpr 0
		.amdhsa_accum_offset 4
		.amdhsa_reserve_vcc 0
		.amdhsa_reserve_flat_scratch 0
		.amdhsa_float_round_mode_32 0
		.amdhsa_float_round_mode_16_64 0
		.amdhsa_float_denorm_mode_32 3
		.amdhsa_float_denorm_mode_16_64 3
		.amdhsa_dx10_clamp 1
		.amdhsa_ieee_mode 1
		.amdhsa_fp16_overflow 0
		.amdhsa_tg_split 0
		.amdhsa_exception_fp_ieee_invalid_op 0
		.amdhsa_exception_fp_denorm_src 0
		.amdhsa_exception_fp_ieee_div_zero 0
		.amdhsa_exception_fp_ieee_overflow 0
		.amdhsa_exception_fp_ieee_underflow 0
		.amdhsa_exception_fp_ieee_inexact 0
		.amdhsa_exception_int_div_zero 0
	.end_amdhsa_kernel
	.section	.text._ZN7rocprim17ROCPRIM_400000_NS6detail17trampoline_kernelINS0_14default_configENS1_27scan_by_key_config_selectorIssEEZZNS1_16scan_by_key_implILNS1_25lookback_scan_determinismE0ELb0ES3_N6thrust23THRUST_200600_302600_NS6detail15normal_iteratorINS9_10device_ptrIsEEEESE_SE_sNS9_4plusIsEE19head_flag_predicatesEE10hipError_tPvRmT2_T3_T4_T5_mT6_T7_P12ihipStream_tbENKUlT_T0_E_clISt17integral_constantIbLb0EESY_EEDaST_SU_EUlST_E_NS1_11comp_targetILNS1_3genE10ELNS1_11target_archE1200ELNS1_3gpuE4ELNS1_3repE0EEENS1_30default_config_static_selectorELNS0_4arch9wavefront6targetE1EEEvT1_,"axG",@progbits,_ZN7rocprim17ROCPRIM_400000_NS6detail17trampoline_kernelINS0_14default_configENS1_27scan_by_key_config_selectorIssEEZZNS1_16scan_by_key_implILNS1_25lookback_scan_determinismE0ELb0ES3_N6thrust23THRUST_200600_302600_NS6detail15normal_iteratorINS9_10device_ptrIsEEEESE_SE_sNS9_4plusIsEE19head_flag_predicatesEE10hipError_tPvRmT2_T3_T4_T5_mT6_T7_P12ihipStream_tbENKUlT_T0_E_clISt17integral_constantIbLb0EESY_EEDaST_SU_EUlST_E_NS1_11comp_targetILNS1_3genE10ELNS1_11target_archE1200ELNS1_3gpuE4ELNS1_3repE0EEENS1_30default_config_static_selectorELNS0_4arch9wavefront6targetE1EEEvT1_,comdat
.Lfunc_end827:
	.size	_ZN7rocprim17ROCPRIM_400000_NS6detail17trampoline_kernelINS0_14default_configENS1_27scan_by_key_config_selectorIssEEZZNS1_16scan_by_key_implILNS1_25lookback_scan_determinismE0ELb0ES3_N6thrust23THRUST_200600_302600_NS6detail15normal_iteratorINS9_10device_ptrIsEEEESE_SE_sNS9_4plusIsEE19head_flag_predicatesEE10hipError_tPvRmT2_T3_T4_T5_mT6_T7_P12ihipStream_tbENKUlT_T0_E_clISt17integral_constantIbLb0EESY_EEDaST_SU_EUlST_E_NS1_11comp_targetILNS1_3genE10ELNS1_11target_archE1200ELNS1_3gpuE4ELNS1_3repE0EEENS1_30default_config_static_selectorELNS0_4arch9wavefront6targetE1EEEvT1_, .Lfunc_end827-_ZN7rocprim17ROCPRIM_400000_NS6detail17trampoline_kernelINS0_14default_configENS1_27scan_by_key_config_selectorIssEEZZNS1_16scan_by_key_implILNS1_25lookback_scan_determinismE0ELb0ES3_N6thrust23THRUST_200600_302600_NS6detail15normal_iteratorINS9_10device_ptrIsEEEESE_SE_sNS9_4plusIsEE19head_flag_predicatesEE10hipError_tPvRmT2_T3_T4_T5_mT6_T7_P12ihipStream_tbENKUlT_T0_E_clISt17integral_constantIbLb0EESY_EEDaST_SU_EUlST_E_NS1_11comp_targetILNS1_3genE10ELNS1_11target_archE1200ELNS1_3gpuE4ELNS1_3repE0EEENS1_30default_config_static_selectorELNS0_4arch9wavefront6targetE1EEEvT1_
                                        ; -- End function
	.section	.AMDGPU.csdata,"",@progbits
; Kernel info:
; codeLenInByte = 0
; NumSgprs: 4
; NumVgprs: 0
; NumAgprs: 0
; TotalNumVgprs: 0
; ScratchSize: 0
; MemoryBound: 0
; FloatMode: 240
; IeeeMode: 1
; LDSByteSize: 0 bytes/workgroup (compile time only)
; SGPRBlocks: 0
; VGPRBlocks: 0
; NumSGPRsForWavesPerEU: 4
; NumVGPRsForWavesPerEU: 1
; AccumOffset: 4
; Occupancy: 8
; WaveLimiterHint : 0
; COMPUTE_PGM_RSRC2:SCRATCH_EN: 0
; COMPUTE_PGM_RSRC2:USER_SGPR: 6
; COMPUTE_PGM_RSRC2:TRAP_HANDLER: 0
; COMPUTE_PGM_RSRC2:TGID_X_EN: 1
; COMPUTE_PGM_RSRC2:TGID_Y_EN: 0
; COMPUTE_PGM_RSRC2:TGID_Z_EN: 0
; COMPUTE_PGM_RSRC2:TIDIG_COMP_CNT: 0
; COMPUTE_PGM_RSRC3_GFX90A:ACCUM_OFFSET: 0
; COMPUTE_PGM_RSRC3_GFX90A:TG_SPLIT: 0
	.section	.text._ZN7rocprim17ROCPRIM_400000_NS6detail17trampoline_kernelINS0_14default_configENS1_27scan_by_key_config_selectorIssEEZZNS1_16scan_by_key_implILNS1_25lookback_scan_determinismE0ELb0ES3_N6thrust23THRUST_200600_302600_NS6detail15normal_iteratorINS9_10device_ptrIsEEEESE_SE_sNS9_4plusIsEE19head_flag_predicatesEE10hipError_tPvRmT2_T3_T4_T5_mT6_T7_P12ihipStream_tbENKUlT_T0_E_clISt17integral_constantIbLb0EESY_EEDaST_SU_EUlST_E_NS1_11comp_targetILNS1_3genE9ELNS1_11target_archE1100ELNS1_3gpuE3ELNS1_3repE0EEENS1_30default_config_static_selectorELNS0_4arch9wavefront6targetE1EEEvT1_,"axG",@progbits,_ZN7rocprim17ROCPRIM_400000_NS6detail17trampoline_kernelINS0_14default_configENS1_27scan_by_key_config_selectorIssEEZZNS1_16scan_by_key_implILNS1_25lookback_scan_determinismE0ELb0ES3_N6thrust23THRUST_200600_302600_NS6detail15normal_iteratorINS9_10device_ptrIsEEEESE_SE_sNS9_4plusIsEE19head_flag_predicatesEE10hipError_tPvRmT2_T3_T4_T5_mT6_T7_P12ihipStream_tbENKUlT_T0_E_clISt17integral_constantIbLb0EESY_EEDaST_SU_EUlST_E_NS1_11comp_targetILNS1_3genE9ELNS1_11target_archE1100ELNS1_3gpuE3ELNS1_3repE0EEENS1_30default_config_static_selectorELNS0_4arch9wavefront6targetE1EEEvT1_,comdat
	.protected	_ZN7rocprim17ROCPRIM_400000_NS6detail17trampoline_kernelINS0_14default_configENS1_27scan_by_key_config_selectorIssEEZZNS1_16scan_by_key_implILNS1_25lookback_scan_determinismE0ELb0ES3_N6thrust23THRUST_200600_302600_NS6detail15normal_iteratorINS9_10device_ptrIsEEEESE_SE_sNS9_4plusIsEE19head_flag_predicatesEE10hipError_tPvRmT2_T3_T4_T5_mT6_T7_P12ihipStream_tbENKUlT_T0_E_clISt17integral_constantIbLb0EESY_EEDaST_SU_EUlST_E_NS1_11comp_targetILNS1_3genE9ELNS1_11target_archE1100ELNS1_3gpuE3ELNS1_3repE0EEENS1_30default_config_static_selectorELNS0_4arch9wavefront6targetE1EEEvT1_ ; -- Begin function _ZN7rocprim17ROCPRIM_400000_NS6detail17trampoline_kernelINS0_14default_configENS1_27scan_by_key_config_selectorIssEEZZNS1_16scan_by_key_implILNS1_25lookback_scan_determinismE0ELb0ES3_N6thrust23THRUST_200600_302600_NS6detail15normal_iteratorINS9_10device_ptrIsEEEESE_SE_sNS9_4plusIsEE19head_flag_predicatesEE10hipError_tPvRmT2_T3_T4_T5_mT6_T7_P12ihipStream_tbENKUlT_T0_E_clISt17integral_constantIbLb0EESY_EEDaST_SU_EUlST_E_NS1_11comp_targetILNS1_3genE9ELNS1_11target_archE1100ELNS1_3gpuE3ELNS1_3repE0EEENS1_30default_config_static_selectorELNS0_4arch9wavefront6targetE1EEEvT1_
	.globl	_ZN7rocprim17ROCPRIM_400000_NS6detail17trampoline_kernelINS0_14default_configENS1_27scan_by_key_config_selectorIssEEZZNS1_16scan_by_key_implILNS1_25lookback_scan_determinismE0ELb0ES3_N6thrust23THRUST_200600_302600_NS6detail15normal_iteratorINS9_10device_ptrIsEEEESE_SE_sNS9_4plusIsEE19head_flag_predicatesEE10hipError_tPvRmT2_T3_T4_T5_mT6_T7_P12ihipStream_tbENKUlT_T0_E_clISt17integral_constantIbLb0EESY_EEDaST_SU_EUlST_E_NS1_11comp_targetILNS1_3genE9ELNS1_11target_archE1100ELNS1_3gpuE3ELNS1_3repE0EEENS1_30default_config_static_selectorELNS0_4arch9wavefront6targetE1EEEvT1_
	.p2align	8
	.type	_ZN7rocprim17ROCPRIM_400000_NS6detail17trampoline_kernelINS0_14default_configENS1_27scan_by_key_config_selectorIssEEZZNS1_16scan_by_key_implILNS1_25lookback_scan_determinismE0ELb0ES3_N6thrust23THRUST_200600_302600_NS6detail15normal_iteratorINS9_10device_ptrIsEEEESE_SE_sNS9_4plusIsEE19head_flag_predicatesEE10hipError_tPvRmT2_T3_T4_T5_mT6_T7_P12ihipStream_tbENKUlT_T0_E_clISt17integral_constantIbLb0EESY_EEDaST_SU_EUlST_E_NS1_11comp_targetILNS1_3genE9ELNS1_11target_archE1100ELNS1_3gpuE3ELNS1_3repE0EEENS1_30default_config_static_selectorELNS0_4arch9wavefront6targetE1EEEvT1_,@function
_ZN7rocprim17ROCPRIM_400000_NS6detail17trampoline_kernelINS0_14default_configENS1_27scan_by_key_config_selectorIssEEZZNS1_16scan_by_key_implILNS1_25lookback_scan_determinismE0ELb0ES3_N6thrust23THRUST_200600_302600_NS6detail15normal_iteratorINS9_10device_ptrIsEEEESE_SE_sNS9_4plusIsEE19head_flag_predicatesEE10hipError_tPvRmT2_T3_T4_T5_mT6_T7_P12ihipStream_tbENKUlT_T0_E_clISt17integral_constantIbLb0EESY_EEDaST_SU_EUlST_E_NS1_11comp_targetILNS1_3genE9ELNS1_11target_archE1100ELNS1_3gpuE3ELNS1_3repE0EEENS1_30default_config_static_selectorELNS0_4arch9wavefront6targetE1EEEvT1_: ; @_ZN7rocprim17ROCPRIM_400000_NS6detail17trampoline_kernelINS0_14default_configENS1_27scan_by_key_config_selectorIssEEZZNS1_16scan_by_key_implILNS1_25lookback_scan_determinismE0ELb0ES3_N6thrust23THRUST_200600_302600_NS6detail15normal_iteratorINS9_10device_ptrIsEEEESE_SE_sNS9_4plusIsEE19head_flag_predicatesEE10hipError_tPvRmT2_T3_T4_T5_mT6_T7_P12ihipStream_tbENKUlT_T0_E_clISt17integral_constantIbLb0EESY_EEDaST_SU_EUlST_E_NS1_11comp_targetILNS1_3genE9ELNS1_11target_archE1100ELNS1_3gpuE3ELNS1_3repE0EEENS1_30default_config_static_selectorELNS0_4arch9wavefront6targetE1EEEvT1_
; %bb.0:
	.section	.rodata,"a",@progbits
	.p2align	6, 0x0
	.amdhsa_kernel _ZN7rocprim17ROCPRIM_400000_NS6detail17trampoline_kernelINS0_14default_configENS1_27scan_by_key_config_selectorIssEEZZNS1_16scan_by_key_implILNS1_25lookback_scan_determinismE0ELb0ES3_N6thrust23THRUST_200600_302600_NS6detail15normal_iteratorINS9_10device_ptrIsEEEESE_SE_sNS9_4plusIsEE19head_flag_predicatesEE10hipError_tPvRmT2_T3_T4_T5_mT6_T7_P12ihipStream_tbENKUlT_T0_E_clISt17integral_constantIbLb0EESY_EEDaST_SU_EUlST_E_NS1_11comp_targetILNS1_3genE9ELNS1_11target_archE1100ELNS1_3gpuE3ELNS1_3repE0EEENS1_30default_config_static_selectorELNS0_4arch9wavefront6targetE1EEEvT1_
		.amdhsa_group_segment_fixed_size 0
		.amdhsa_private_segment_fixed_size 0
		.amdhsa_kernarg_size 112
		.amdhsa_user_sgpr_count 6
		.amdhsa_user_sgpr_private_segment_buffer 1
		.amdhsa_user_sgpr_dispatch_ptr 0
		.amdhsa_user_sgpr_queue_ptr 0
		.amdhsa_user_sgpr_kernarg_segment_ptr 1
		.amdhsa_user_sgpr_dispatch_id 0
		.amdhsa_user_sgpr_flat_scratch_init 0
		.amdhsa_user_sgpr_kernarg_preload_length 0
		.amdhsa_user_sgpr_kernarg_preload_offset 0
		.amdhsa_user_sgpr_private_segment_size 0
		.amdhsa_uses_dynamic_stack 0
		.amdhsa_system_sgpr_private_segment_wavefront_offset 0
		.amdhsa_system_sgpr_workgroup_id_x 1
		.amdhsa_system_sgpr_workgroup_id_y 0
		.amdhsa_system_sgpr_workgroup_id_z 0
		.amdhsa_system_sgpr_workgroup_info 0
		.amdhsa_system_vgpr_workitem_id 0
		.amdhsa_next_free_vgpr 1
		.amdhsa_next_free_sgpr 0
		.amdhsa_accum_offset 4
		.amdhsa_reserve_vcc 0
		.amdhsa_reserve_flat_scratch 0
		.amdhsa_float_round_mode_32 0
		.amdhsa_float_round_mode_16_64 0
		.amdhsa_float_denorm_mode_32 3
		.amdhsa_float_denorm_mode_16_64 3
		.amdhsa_dx10_clamp 1
		.amdhsa_ieee_mode 1
		.amdhsa_fp16_overflow 0
		.amdhsa_tg_split 0
		.amdhsa_exception_fp_ieee_invalid_op 0
		.amdhsa_exception_fp_denorm_src 0
		.amdhsa_exception_fp_ieee_div_zero 0
		.amdhsa_exception_fp_ieee_overflow 0
		.amdhsa_exception_fp_ieee_underflow 0
		.amdhsa_exception_fp_ieee_inexact 0
		.amdhsa_exception_int_div_zero 0
	.end_amdhsa_kernel
	.section	.text._ZN7rocprim17ROCPRIM_400000_NS6detail17trampoline_kernelINS0_14default_configENS1_27scan_by_key_config_selectorIssEEZZNS1_16scan_by_key_implILNS1_25lookback_scan_determinismE0ELb0ES3_N6thrust23THRUST_200600_302600_NS6detail15normal_iteratorINS9_10device_ptrIsEEEESE_SE_sNS9_4plusIsEE19head_flag_predicatesEE10hipError_tPvRmT2_T3_T4_T5_mT6_T7_P12ihipStream_tbENKUlT_T0_E_clISt17integral_constantIbLb0EESY_EEDaST_SU_EUlST_E_NS1_11comp_targetILNS1_3genE9ELNS1_11target_archE1100ELNS1_3gpuE3ELNS1_3repE0EEENS1_30default_config_static_selectorELNS0_4arch9wavefront6targetE1EEEvT1_,"axG",@progbits,_ZN7rocprim17ROCPRIM_400000_NS6detail17trampoline_kernelINS0_14default_configENS1_27scan_by_key_config_selectorIssEEZZNS1_16scan_by_key_implILNS1_25lookback_scan_determinismE0ELb0ES3_N6thrust23THRUST_200600_302600_NS6detail15normal_iteratorINS9_10device_ptrIsEEEESE_SE_sNS9_4plusIsEE19head_flag_predicatesEE10hipError_tPvRmT2_T3_T4_T5_mT6_T7_P12ihipStream_tbENKUlT_T0_E_clISt17integral_constantIbLb0EESY_EEDaST_SU_EUlST_E_NS1_11comp_targetILNS1_3genE9ELNS1_11target_archE1100ELNS1_3gpuE3ELNS1_3repE0EEENS1_30default_config_static_selectorELNS0_4arch9wavefront6targetE1EEEvT1_,comdat
.Lfunc_end828:
	.size	_ZN7rocprim17ROCPRIM_400000_NS6detail17trampoline_kernelINS0_14default_configENS1_27scan_by_key_config_selectorIssEEZZNS1_16scan_by_key_implILNS1_25lookback_scan_determinismE0ELb0ES3_N6thrust23THRUST_200600_302600_NS6detail15normal_iteratorINS9_10device_ptrIsEEEESE_SE_sNS9_4plusIsEE19head_flag_predicatesEE10hipError_tPvRmT2_T3_T4_T5_mT6_T7_P12ihipStream_tbENKUlT_T0_E_clISt17integral_constantIbLb0EESY_EEDaST_SU_EUlST_E_NS1_11comp_targetILNS1_3genE9ELNS1_11target_archE1100ELNS1_3gpuE3ELNS1_3repE0EEENS1_30default_config_static_selectorELNS0_4arch9wavefront6targetE1EEEvT1_, .Lfunc_end828-_ZN7rocprim17ROCPRIM_400000_NS6detail17trampoline_kernelINS0_14default_configENS1_27scan_by_key_config_selectorIssEEZZNS1_16scan_by_key_implILNS1_25lookback_scan_determinismE0ELb0ES3_N6thrust23THRUST_200600_302600_NS6detail15normal_iteratorINS9_10device_ptrIsEEEESE_SE_sNS9_4plusIsEE19head_flag_predicatesEE10hipError_tPvRmT2_T3_T4_T5_mT6_T7_P12ihipStream_tbENKUlT_T0_E_clISt17integral_constantIbLb0EESY_EEDaST_SU_EUlST_E_NS1_11comp_targetILNS1_3genE9ELNS1_11target_archE1100ELNS1_3gpuE3ELNS1_3repE0EEENS1_30default_config_static_selectorELNS0_4arch9wavefront6targetE1EEEvT1_
                                        ; -- End function
	.section	.AMDGPU.csdata,"",@progbits
; Kernel info:
; codeLenInByte = 0
; NumSgprs: 4
; NumVgprs: 0
; NumAgprs: 0
; TotalNumVgprs: 0
; ScratchSize: 0
; MemoryBound: 0
; FloatMode: 240
; IeeeMode: 1
; LDSByteSize: 0 bytes/workgroup (compile time only)
; SGPRBlocks: 0
; VGPRBlocks: 0
; NumSGPRsForWavesPerEU: 4
; NumVGPRsForWavesPerEU: 1
; AccumOffset: 4
; Occupancy: 8
; WaveLimiterHint : 0
; COMPUTE_PGM_RSRC2:SCRATCH_EN: 0
; COMPUTE_PGM_RSRC2:USER_SGPR: 6
; COMPUTE_PGM_RSRC2:TRAP_HANDLER: 0
; COMPUTE_PGM_RSRC2:TGID_X_EN: 1
; COMPUTE_PGM_RSRC2:TGID_Y_EN: 0
; COMPUTE_PGM_RSRC2:TGID_Z_EN: 0
; COMPUTE_PGM_RSRC2:TIDIG_COMP_CNT: 0
; COMPUTE_PGM_RSRC3_GFX90A:ACCUM_OFFSET: 0
; COMPUTE_PGM_RSRC3_GFX90A:TG_SPLIT: 0
	.section	.text._ZN7rocprim17ROCPRIM_400000_NS6detail17trampoline_kernelINS0_14default_configENS1_27scan_by_key_config_selectorIssEEZZNS1_16scan_by_key_implILNS1_25lookback_scan_determinismE0ELb0ES3_N6thrust23THRUST_200600_302600_NS6detail15normal_iteratorINS9_10device_ptrIsEEEESE_SE_sNS9_4plusIsEE19head_flag_predicatesEE10hipError_tPvRmT2_T3_T4_T5_mT6_T7_P12ihipStream_tbENKUlT_T0_E_clISt17integral_constantIbLb0EESY_EEDaST_SU_EUlST_E_NS1_11comp_targetILNS1_3genE8ELNS1_11target_archE1030ELNS1_3gpuE2ELNS1_3repE0EEENS1_30default_config_static_selectorELNS0_4arch9wavefront6targetE1EEEvT1_,"axG",@progbits,_ZN7rocprim17ROCPRIM_400000_NS6detail17trampoline_kernelINS0_14default_configENS1_27scan_by_key_config_selectorIssEEZZNS1_16scan_by_key_implILNS1_25lookback_scan_determinismE0ELb0ES3_N6thrust23THRUST_200600_302600_NS6detail15normal_iteratorINS9_10device_ptrIsEEEESE_SE_sNS9_4plusIsEE19head_flag_predicatesEE10hipError_tPvRmT2_T3_T4_T5_mT6_T7_P12ihipStream_tbENKUlT_T0_E_clISt17integral_constantIbLb0EESY_EEDaST_SU_EUlST_E_NS1_11comp_targetILNS1_3genE8ELNS1_11target_archE1030ELNS1_3gpuE2ELNS1_3repE0EEENS1_30default_config_static_selectorELNS0_4arch9wavefront6targetE1EEEvT1_,comdat
	.protected	_ZN7rocprim17ROCPRIM_400000_NS6detail17trampoline_kernelINS0_14default_configENS1_27scan_by_key_config_selectorIssEEZZNS1_16scan_by_key_implILNS1_25lookback_scan_determinismE0ELb0ES3_N6thrust23THRUST_200600_302600_NS6detail15normal_iteratorINS9_10device_ptrIsEEEESE_SE_sNS9_4plusIsEE19head_flag_predicatesEE10hipError_tPvRmT2_T3_T4_T5_mT6_T7_P12ihipStream_tbENKUlT_T0_E_clISt17integral_constantIbLb0EESY_EEDaST_SU_EUlST_E_NS1_11comp_targetILNS1_3genE8ELNS1_11target_archE1030ELNS1_3gpuE2ELNS1_3repE0EEENS1_30default_config_static_selectorELNS0_4arch9wavefront6targetE1EEEvT1_ ; -- Begin function _ZN7rocprim17ROCPRIM_400000_NS6detail17trampoline_kernelINS0_14default_configENS1_27scan_by_key_config_selectorIssEEZZNS1_16scan_by_key_implILNS1_25lookback_scan_determinismE0ELb0ES3_N6thrust23THRUST_200600_302600_NS6detail15normal_iteratorINS9_10device_ptrIsEEEESE_SE_sNS9_4plusIsEE19head_flag_predicatesEE10hipError_tPvRmT2_T3_T4_T5_mT6_T7_P12ihipStream_tbENKUlT_T0_E_clISt17integral_constantIbLb0EESY_EEDaST_SU_EUlST_E_NS1_11comp_targetILNS1_3genE8ELNS1_11target_archE1030ELNS1_3gpuE2ELNS1_3repE0EEENS1_30default_config_static_selectorELNS0_4arch9wavefront6targetE1EEEvT1_
	.globl	_ZN7rocprim17ROCPRIM_400000_NS6detail17trampoline_kernelINS0_14default_configENS1_27scan_by_key_config_selectorIssEEZZNS1_16scan_by_key_implILNS1_25lookback_scan_determinismE0ELb0ES3_N6thrust23THRUST_200600_302600_NS6detail15normal_iteratorINS9_10device_ptrIsEEEESE_SE_sNS9_4plusIsEE19head_flag_predicatesEE10hipError_tPvRmT2_T3_T4_T5_mT6_T7_P12ihipStream_tbENKUlT_T0_E_clISt17integral_constantIbLb0EESY_EEDaST_SU_EUlST_E_NS1_11comp_targetILNS1_3genE8ELNS1_11target_archE1030ELNS1_3gpuE2ELNS1_3repE0EEENS1_30default_config_static_selectorELNS0_4arch9wavefront6targetE1EEEvT1_
	.p2align	8
	.type	_ZN7rocprim17ROCPRIM_400000_NS6detail17trampoline_kernelINS0_14default_configENS1_27scan_by_key_config_selectorIssEEZZNS1_16scan_by_key_implILNS1_25lookback_scan_determinismE0ELb0ES3_N6thrust23THRUST_200600_302600_NS6detail15normal_iteratorINS9_10device_ptrIsEEEESE_SE_sNS9_4plusIsEE19head_flag_predicatesEE10hipError_tPvRmT2_T3_T4_T5_mT6_T7_P12ihipStream_tbENKUlT_T0_E_clISt17integral_constantIbLb0EESY_EEDaST_SU_EUlST_E_NS1_11comp_targetILNS1_3genE8ELNS1_11target_archE1030ELNS1_3gpuE2ELNS1_3repE0EEENS1_30default_config_static_selectorELNS0_4arch9wavefront6targetE1EEEvT1_,@function
_ZN7rocprim17ROCPRIM_400000_NS6detail17trampoline_kernelINS0_14default_configENS1_27scan_by_key_config_selectorIssEEZZNS1_16scan_by_key_implILNS1_25lookback_scan_determinismE0ELb0ES3_N6thrust23THRUST_200600_302600_NS6detail15normal_iteratorINS9_10device_ptrIsEEEESE_SE_sNS9_4plusIsEE19head_flag_predicatesEE10hipError_tPvRmT2_T3_T4_T5_mT6_T7_P12ihipStream_tbENKUlT_T0_E_clISt17integral_constantIbLb0EESY_EEDaST_SU_EUlST_E_NS1_11comp_targetILNS1_3genE8ELNS1_11target_archE1030ELNS1_3gpuE2ELNS1_3repE0EEENS1_30default_config_static_selectorELNS0_4arch9wavefront6targetE1EEEvT1_: ; @_ZN7rocprim17ROCPRIM_400000_NS6detail17trampoline_kernelINS0_14default_configENS1_27scan_by_key_config_selectorIssEEZZNS1_16scan_by_key_implILNS1_25lookback_scan_determinismE0ELb0ES3_N6thrust23THRUST_200600_302600_NS6detail15normal_iteratorINS9_10device_ptrIsEEEESE_SE_sNS9_4plusIsEE19head_flag_predicatesEE10hipError_tPvRmT2_T3_T4_T5_mT6_T7_P12ihipStream_tbENKUlT_T0_E_clISt17integral_constantIbLb0EESY_EEDaST_SU_EUlST_E_NS1_11comp_targetILNS1_3genE8ELNS1_11target_archE1030ELNS1_3gpuE2ELNS1_3repE0EEENS1_30default_config_static_selectorELNS0_4arch9wavefront6targetE1EEEvT1_
; %bb.0:
	.section	.rodata,"a",@progbits
	.p2align	6, 0x0
	.amdhsa_kernel _ZN7rocprim17ROCPRIM_400000_NS6detail17trampoline_kernelINS0_14default_configENS1_27scan_by_key_config_selectorIssEEZZNS1_16scan_by_key_implILNS1_25lookback_scan_determinismE0ELb0ES3_N6thrust23THRUST_200600_302600_NS6detail15normal_iteratorINS9_10device_ptrIsEEEESE_SE_sNS9_4plusIsEE19head_flag_predicatesEE10hipError_tPvRmT2_T3_T4_T5_mT6_T7_P12ihipStream_tbENKUlT_T0_E_clISt17integral_constantIbLb0EESY_EEDaST_SU_EUlST_E_NS1_11comp_targetILNS1_3genE8ELNS1_11target_archE1030ELNS1_3gpuE2ELNS1_3repE0EEENS1_30default_config_static_selectorELNS0_4arch9wavefront6targetE1EEEvT1_
		.amdhsa_group_segment_fixed_size 0
		.amdhsa_private_segment_fixed_size 0
		.amdhsa_kernarg_size 112
		.amdhsa_user_sgpr_count 6
		.amdhsa_user_sgpr_private_segment_buffer 1
		.amdhsa_user_sgpr_dispatch_ptr 0
		.amdhsa_user_sgpr_queue_ptr 0
		.amdhsa_user_sgpr_kernarg_segment_ptr 1
		.amdhsa_user_sgpr_dispatch_id 0
		.amdhsa_user_sgpr_flat_scratch_init 0
		.amdhsa_user_sgpr_kernarg_preload_length 0
		.amdhsa_user_sgpr_kernarg_preload_offset 0
		.amdhsa_user_sgpr_private_segment_size 0
		.amdhsa_uses_dynamic_stack 0
		.amdhsa_system_sgpr_private_segment_wavefront_offset 0
		.amdhsa_system_sgpr_workgroup_id_x 1
		.amdhsa_system_sgpr_workgroup_id_y 0
		.amdhsa_system_sgpr_workgroup_id_z 0
		.amdhsa_system_sgpr_workgroup_info 0
		.amdhsa_system_vgpr_workitem_id 0
		.amdhsa_next_free_vgpr 1
		.amdhsa_next_free_sgpr 0
		.amdhsa_accum_offset 4
		.amdhsa_reserve_vcc 0
		.amdhsa_reserve_flat_scratch 0
		.amdhsa_float_round_mode_32 0
		.amdhsa_float_round_mode_16_64 0
		.amdhsa_float_denorm_mode_32 3
		.amdhsa_float_denorm_mode_16_64 3
		.amdhsa_dx10_clamp 1
		.amdhsa_ieee_mode 1
		.amdhsa_fp16_overflow 0
		.amdhsa_tg_split 0
		.amdhsa_exception_fp_ieee_invalid_op 0
		.amdhsa_exception_fp_denorm_src 0
		.amdhsa_exception_fp_ieee_div_zero 0
		.amdhsa_exception_fp_ieee_overflow 0
		.amdhsa_exception_fp_ieee_underflow 0
		.amdhsa_exception_fp_ieee_inexact 0
		.amdhsa_exception_int_div_zero 0
	.end_amdhsa_kernel
	.section	.text._ZN7rocprim17ROCPRIM_400000_NS6detail17trampoline_kernelINS0_14default_configENS1_27scan_by_key_config_selectorIssEEZZNS1_16scan_by_key_implILNS1_25lookback_scan_determinismE0ELb0ES3_N6thrust23THRUST_200600_302600_NS6detail15normal_iteratorINS9_10device_ptrIsEEEESE_SE_sNS9_4plusIsEE19head_flag_predicatesEE10hipError_tPvRmT2_T3_T4_T5_mT6_T7_P12ihipStream_tbENKUlT_T0_E_clISt17integral_constantIbLb0EESY_EEDaST_SU_EUlST_E_NS1_11comp_targetILNS1_3genE8ELNS1_11target_archE1030ELNS1_3gpuE2ELNS1_3repE0EEENS1_30default_config_static_selectorELNS0_4arch9wavefront6targetE1EEEvT1_,"axG",@progbits,_ZN7rocprim17ROCPRIM_400000_NS6detail17trampoline_kernelINS0_14default_configENS1_27scan_by_key_config_selectorIssEEZZNS1_16scan_by_key_implILNS1_25lookback_scan_determinismE0ELb0ES3_N6thrust23THRUST_200600_302600_NS6detail15normal_iteratorINS9_10device_ptrIsEEEESE_SE_sNS9_4plusIsEE19head_flag_predicatesEE10hipError_tPvRmT2_T3_T4_T5_mT6_T7_P12ihipStream_tbENKUlT_T0_E_clISt17integral_constantIbLb0EESY_EEDaST_SU_EUlST_E_NS1_11comp_targetILNS1_3genE8ELNS1_11target_archE1030ELNS1_3gpuE2ELNS1_3repE0EEENS1_30default_config_static_selectorELNS0_4arch9wavefront6targetE1EEEvT1_,comdat
.Lfunc_end829:
	.size	_ZN7rocprim17ROCPRIM_400000_NS6detail17trampoline_kernelINS0_14default_configENS1_27scan_by_key_config_selectorIssEEZZNS1_16scan_by_key_implILNS1_25lookback_scan_determinismE0ELb0ES3_N6thrust23THRUST_200600_302600_NS6detail15normal_iteratorINS9_10device_ptrIsEEEESE_SE_sNS9_4plusIsEE19head_flag_predicatesEE10hipError_tPvRmT2_T3_T4_T5_mT6_T7_P12ihipStream_tbENKUlT_T0_E_clISt17integral_constantIbLb0EESY_EEDaST_SU_EUlST_E_NS1_11comp_targetILNS1_3genE8ELNS1_11target_archE1030ELNS1_3gpuE2ELNS1_3repE0EEENS1_30default_config_static_selectorELNS0_4arch9wavefront6targetE1EEEvT1_, .Lfunc_end829-_ZN7rocprim17ROCPRIM_400000_NS6detail17trampoline_kernelINS0_14default_configENS1_27scan_by_key_config_selectorIssEEZZNS1_16scan_by_key_implILNS1_25lookback_scan_determinismE0ELb0ES3_N6thrust23THRUST_200600_302600_NS6detail15normal_iteratorINS9_10device_ptrIsEEEESE_SE_sNS9_4plusIsEE19head_flag_predicatesEE10hipError_tPvRmT2_T3_T4_T5_mT6_T7_P12ihipStream_tbENKUlT_T0_E_clISt17integral_constantIbLb0EESY_EEDaST_SU_EUlST_E_NS1_11comp_targetILNS1_3genE8ELNS1_11target_archE1030ELNS1_3gpuE2ELNS1_3repE0EEENS1_30default_config_static_selectorELNS0_4arch9wavefront6targetE1EEEvT1_
                                        ; -- End function
	.section	.AMDGPU.csdata,"",@progbits
; Kernel info:
; codeLenInByte = 0
; NumSgprs: 4
; NumVgprs: 0
; NumAgprs: 0
; TotalNumVgprs: 0
; ScratchSize: 0
; MemoryBound: 0
; FloatMode: 240
; IeeeMode: 1
; LDSByteSize: 0 bytes/workgroup (compile time only)
; SGPRBlocks: 0
; VGPRBlocks: 0
; NumSGPRsForWavesPerEU: 4
; NumVGPRsForWavesPerEU: 1
; AccumOffset: 4
; Occupancy: 8
; WaveLimiterHint : 0
; COMPUTE_PGM_RSRC2:SCRATCH_EN: 0
; COMPUTE_PGM_RSRC2:USER_SGPR: 6
; COMPUTE_PGM_RSRC2:TRAP_HANDLER: 0
; COMPUTE_PGM_RSRC2:TGID_X_EN: 1
; COMPUTE_PGM_RSRC2:TGID_Y_EN: 0
; COMPUTE_PGM_RSRC2:TGID_Z_EN: 0
; COMPUTE_PGM_RSRC2:TIDIG_COMP_CNT: 0
; COMPUTE_PGM_RSRC3_GFX90A:ACCUM_OFFSET: 0
; COMPUTE_PGM_RSRC3_GFX90A:TG_SPLIT: 0
	.section	.text._ZN7rocprim17ROCPRIM_400000_NS6detail17trampoline_kernelINS0_14default_configENS1_27scan_by_key_config_selectorIssEEZZNS1_16scan_by_key_implILNS1_25lookback_scan_determinismE0ELb0ES3_N6thrust23THRUST_200600_302600_NS6detail15normal_iteratorINS9_10device_ptrIsEEEESE_SE_sNS9_4plusIsEE19head_flag_predicatesEE10hipError_tPvRmT2_T3_T4_T5_mT6_T7_P12ihipStream_tbENKUlT_T0_E_clISt17integral_constantIbLb1EESY_EEDaST_SU_EUlST_E_NS1_11comp_targetILNS1_3genE0ELNS1_11target_archE4294967295ELNS1_3gpuE0ELNS1_3repE0EEENS1_30default_config_static_selectorELNS0_4arch9wavefront6targetE1EEEvT1_,"axG",@progbits,_ZN7rocprim17ROCPRIM_400000_NS6detail17trampoline_kernelINS0_14default_configENS1_27scan_by_key_config_selectorIssEEZZNS1_16scan_by_key_implILNS1_25lookback_scan_determinismE0ELb0ES3_N6thrust23THRUST_200600_302600_NS6detail15normal_iteratorINS9_10device_ptrIsEEEESE_SE_sNS9_4plusIsEE19head_flag_predicatesEE10hipError_tPvRmT2_T3_T4_T5_mT6_T7_P12ihipStream_tbENKUlT_T0_E_clISt17integral_constantIbLb1EESY_EEDaST_SU_EUlST_E_NS1_11comp_targetILNS1_3genE0ELNS1_11target_archE4294967295ELNS1_3gpuE0ELNS1_3repE0EEENS1_30default_config_static_selectorELNS0_4arch9wavefront6targetE1EEEvT1_,comdat
	.protected	_ZN7rocprim17ROCPRIM_400000_NS6detail17trampoline_kernelINS0_14default_configENS1_27scan_by_key_config_selectorIssEEZZNS1_16scan_by_key_implILNS1_25lookback_scan_determinismE0ELb0ES3_N6thrust23THRUST_200600_302600_NS6detail15normal_iteratorINS9_10device_ptrIsEEEESE_SE_sNS9_4plusIsEE19head_flag_predicatesEE10hipError_tPvRmT2_T3_T4_T5_mT6_T7_P12ihipStream_tbENKUlT_T0_E_clISt17integral_constantIbLb1EESY_EEDaST_SU_EUlST_E_NS1_11comp_targetILNS1_3genE0ELNS1_11target_archE4294967295ELNS1_3gpuE0ELNS1_3repE0EEENS1_30default_config_static_selectorELNS0_4arch9wavefront6targetE1EEEvT1_ ; -- Begin function _ZN7rocprim17ROCPRIM_400000_NS6detail17trampoline_kernelINS0_14default_configENS1_27scan_by_key_config_selectorIssEEZZNS1_16scan_by_key_implILNS1_25lookback_scan_determinismE0ELb0ES3_N6thrust23THRUST_200600_302600_NS6detail15normal_iteratorINS9_10device_ptrIsEEEESE_SE_sNS9_4plusIsEE19head_flag_predicatesEE10hipError_tPvRmT2_T3_T4_T5_mT6_T7_P12ihipStream_tbENKUlT_T0_E_clISt17integral_constantIbLb1EESY_EEDaST_SU_EUlST_E_NS1_11comp_targetILNS1_3genE0ELNS1_11target_archE4294967295ELNS1_3gpuE0ELNS1_3repE0EEENS1_30default_config_static_selectorELNS0_4arch9wavefront6targetE1EEEvT1_
	.globl	_ZN7rocprim17ROCPRIM_400000_NS6detail17trampoline_kernelINS0_14default_configENS1_27scan_by_key_config_selectorIssEEZZNS1_16scan_by_key_implILNS1_25lookback_scan_determinismE0ELb0ES3_N6thrust23THRUST_200600_302600_NS6detail15normal_iteratorINS9_10device_ptrIsEEEESE_SE_sNS9_4plusIsEE19head_flag_predicatesEE10hipError_tPvRmT2_T3_T4_T5_mT6_T7_P12ihipStream_tbENKUlT_T0_E_clISt17integral_constantIbLb1EESY_EEDaST_SU_EUlST_E_NS1_11comp_targetILNS1_3genE0ELNS1_11target_archE4294967295ELNS1_3gpuE0ELNS1_3repE0EEENS1_30default_config_static_selectorELNS0_4arch9wavefront6targetE1EEEvT1_
	.p2align	8
	.type	_ZN7rocprim17ROCPRIM_400000_NS6detail17trampoline_kernelINS0_14default_configENS1_27scan_by_key_config_selectorIssEEZZNS1_16scan_by_key_implILNS1_25lookback_scan_determinismE0ELb0ES3_N6thrust23THRUST_200600_302600_NS6detail15normal_iteratorINS9_10device_ptrIsEEEESE_SE_sNS9_4plusIsEE19head_flag_predicatesEE10hipError_tPvRmT2_T3_T4_T5_mT6_T7_P12ihipStream_tbENKUlT_T0_E_clISt17integral_constantIbLb1EESY_EEDaST_SU_EUlST_E_NS1_11comp_targetILNS1_3genE0ELNS1_11target_archE4294967295ELNS1_3gpuE0ELNS1_3repE0EEENS1_30default_config_static_selectorELNS0_4arch9wavefront6targetE1EEEvT1_,@function
_ZN7rocprim17ROCPRIM_400000_NS6detail17trampoline_kernelINS0_14default_configENS1_27scan_by_key_config_selectorIssEEZZNS1_16scan_by_key_implILNS1_25lookback_scan_determinismE0ELb0ES3_N6thrust23THRUST_200600_302600_NS6detail15normal_iteratorINS9_10device_ptrIsEEEESE_SE_sNS9_4plusIsEE19head_flag_predicatesEE10hipError_tPvRmT2_T3_T4_T5_mT6_T7_P12ihipStream_tbENKUlT_T0_E_clISt17integral_constantIbLb1EESY_EEDaST_SU_EUlST_E_NS1_11comp_targetILNS1_3genE0ELNS1_11target_archE4294967295ELNS1_3gpuE0ELNS1_3repE0EEENS1_30default_config_static_selectorELNS0_4arch9wavefront6targetE1EEEvT1_: ; @_ZN7rocprim17ROCPRIM_400000_NS6detail17trampoline_kernelINS0_14default_configENS1_27scan_by_key_config_selectorIssEEZZNS1_16scan_by_key_implILNS1_25lookback_scan_determinismE0ELb0ES3_N6thrust23THRUST_200600_302600_NS6detail15normal_iteratorINS9_10device_ptrIsEEEESE_SE_sNS9_4plusIsEE19head_flag_predicatesEE10hipError_tPvRmT2_T3_T4_T5_mT6_T7_P12ihipStream_tbENKUlT_T0_E_clISt17integral_constantIbLb1EESY_EEDaST_SU_EUlST_E_NS1_11comp_targetILNS1_3genE0ELNS1_11target_archE4294967295ELNS1_3gpuE0ELNS1_3repE0EEENS1_30default_config_static_selectorELNS0_4arch9wavefront6targetE1EEEvT1_
; %bb.0:
	.section	.rodata,"a",@progbits
	.p2align	6, 0x0
	.amdhsa_kernel _ZN7rocprim17ROCPRIM_400000_NS6detail17trampoline_kernelINS0_14default_configENS1_27scan_by_key_config_selectorIssEEZZNS1_16scan_by_key_implILNS1_25lookback_scan_determinismE0ELb0ES3_N6thrust23THRUST_200600_302600_NS6detail15normal_iteratorINS9_10device_ptrIsEEEESE_SE_sNS9_4plusIsEE19head_flag_predicatesEE10hipError_tPvRmT2_T3_T4_T5_mT6_T7_P12ihipStream_tbENKUlT_T0_E_clISt17integral_constantIbLb1EESY_EEDaST_SU_EUlST_E_NS1_11comp_targetILNS1_3genE0ELNS1_11target_archE4294967295ELNS1_3gpuE0ELNS1_3repE0EEENS1_30default_config_static_selectorELNS0_4arch9wavefront6targetE1EEEvT1_
		.amdhsa_group_segment_fixed_size 0
		.amdhsa_private_segment_fixed_size 0
		.amdhsa_kernarg_size 112
		.amdhsa_user_sgpr_count 6
		.amdhsa_user_sgpr_private_segment_buffer 1
		.amdhsa_user_sgpr_dispatch_ptr 0
		.amdhsa_user_sgpr_queue_ptr 0
		.amdhsa_user_sgpr_kernarg_segment_ptr 1
		.amdhsa_user_sgpr_dispatch_id 0
		.amdhsa_user_sgpr_flat_scratch_init 0
		.amdhsa_user_sgpr_kernarg_preload_length 0
		.amdhsa_user_sgpr_kernarg_preload_offset 0
		.amdhsa_user_sgpr_private_segment_size 0
		.amdhsa_uses_dynamic_stack 0
		.amdhsa_system_sgpr_private_segment_wavefront_offset 0
		.amdhsa_system_sgpr_workgroup_id_x 1
		.amdhsa_system_sgpr_workgroup_id_y 0
		.amdhsa_system_sgpr_workgroup_id_z 0
		.amdhsa_system_sgpr_workgroup_info 0
		.amdhsa_system_vgpr_workitem_id 0
		.amdhsa_next_free_vgpr 1
		.amdhsa_next_free_sgpr 0
		.amdhsa_accum_offset 4
		.amdhsa_reserve_vcc 0
		.amdhsa_reserve_flat_scratch 0
		.amdhsa_float_round_mode_32 0
		.amdhsa_float_round_mode_16_64 0
		.amdhsa_float_denorm_mode_32 3
		.amdhsa_float_denorm_mode_16_64 3
		.amdhsa_dx10_clamp 1
		.amdhsa_ieee_mode 1
		.amdhsa_fp16_overflow 0
		.amdhsa_tg_split 0
		.amdhsa_exception_fp_ieee_invalid_op 0
		.amdhsa_exception_fp_denorm_src 0
		.amdhsa_exception_fp_ieee_div_zero 0
		.amdhsa_exception_fp_ieee_overflow 0
		.amdhsa_exception_fp_ieee_underflow 0
		.amdhsa_exception_fp_ieee_inexact 0
		.amdhsa_exception_int_div_zero 0
	.end_amdhsa_kernel
	.section	.text._ZN7rocprim17ROCPRIM_400000_NS6detail17trampoline_kernelINS0_14default_configENS1_27scan_by_key_config_selectorIssEEZZNS1_16scan_by_key_implILNS1_25lookback_scan_determinismE0ELb0ES3_N6thrust23THRUST_200600_302600_NS6detail15normal_iteratorINS9_10device_ptrIsEEEESE_SE_sNS9_4plusIsEE19head_flag_predicatesEE10hipError_tPvRmT2_T3_T4_T5_mT6_T7_P12ihipStream_tbENKUlT_T0_E_clISt17integral_constantIbLb1EESY_EEDaST_SU_EUlST_E_NS1_11comp_targetILNS1_3genE0ELNS1_11target_archE4294967295ELNS1_3gpuE0ELNS1_3repE0EEENS1_30default_config_static_selectorELNS0_4arch9wavefront6targetE1EEEvT1_,"axG",@progbits,_ZN7rocprim17ROCPRIM_400000_NS6detail17trampoline_kernelINS0_14default_configENS1_27scan_by_key_config_selectorIssEEZZNS1_16scan_by_key_implILNS1_25lookback_scan_determinismE0ELb0ES3_N6thrust23THRUST_200600_302600_NS6detail15normal_iteratorINS9_10device_ptrIsEEEESE_SE_sNS9_4plusIsEE19head_flag_predicatesEE10hipError_tPvRmT2_T3_T4_T5_mT6_T7_P12ihipStream_tbENKUlT_T0_E_clISt17integral_constantIbLb1EESY_EEDaST_SU_EUlST_E_NS1_11comp_targetILNS1_3genE0ELNS1_11target_archE4294967295ELNS1_3gpuE0ELNS1_3repE0EEENS1_30default_config_static_selectorELNS0_4arch9wavefront6targetE1EEEvT1_,comdat
.Lfunc_end830:
	.size	_ZN7rocprim17ROCPRIM_400000_NS6detail17trampoline_kernelINS0_14default_configENS1_27scan_by_key_config_selectorIssEEZZNS1_16scan_by_key_implILNS1_25lookback_scan_determinismE0ELb0ES3_N6thrust23THRUST_200600_302600_NS6detail15normal_iteratorINS9_10device_ptrIsEEEESE_SE_sNS9_4plusIsEE19head_flag_predicatesEE10hipError_tPvRmT2_T3_T4_T5_mT6_T7_P12ihipStream_tbENKUlT_T0_E_clISt17integral_constantIbLb1EESY_EEDaST_SU_EUlST_E_NS1_11comp_targetILNS1_3genE0ELNS1_11target_archE4294967295ELNS1_3gpuE0ELNS1_3repE0EEENS1_30default_config_static_selectorELNS0_4arch9wavefront6targetE1EEEvT1_, .Lfunc_end830-_ZN7rocprim17ROCPRIM_400000_NS6detail17trampoline_kernelINS0_14default_configENS1_27scan_by_key_config_selectorIssEEZZNS1_16scan_by_key_implILNS1_25lookback_scan_determinismE0ELb0ES3_N6thrust23THRUST_200600_302600_NS6detail15normal_iteratorINS9_10device_ptrIsEEEESE_SE_sNS9_4plusIsEE19head_flag_predicatesEE10hipError_tPvRmT2_T3_T4_T5_mT6_T7_P12ihipStream_tbENKUlT_T0_E_clISt17integral_constantIbLb1EESY_EEDaST_SU_EUlST_E_NS1_11comp_targetILNS1_3genE0ELNS1_11target_archE4294967295ELNS1_3gpuE0ELNS1_3repE0EEENS1_30default_config_static_selectorELNS0_4arch9wavefront6targetE1EEEvT1_
                                        ; -- End function
	.section	.AMDGPU.csdata,"",@progbits
; Kernel info:
; codeLenInByte = 0
; NumSgprs: 4
; NumVgprs: 0
; NumAgprs: 0
; TotalNumVgprs: 0
; ScratchSize: 0
; MemoryBound: 0
; FloatMode: 240
; IeeeMode: 1
; LDSByteSize: 0 bytes/workgroup (compile time only)
; SGPRBlocks: 0
; VGPRBlocks: 0
; NumSGPRsForWavesPerEU: 4
; NumVGPRsForWavesPerEU: 1
; AccumOffset: 4
; Occupancy: 8
; WaveLimiterHint : 0
; COMPUTE_PGM_RSRC2:SCRATCH_EN: 0
; COMPUTE_PGM_RSRC2:USER_SGPR: 6
; COMPUTE_PGM_RSRC2:TRAP_HANDLER: 0
; COMPUTE_PGM_RSRC2:TGID_X_EN: 1
; COMPUTE_PGM_RSRC2:TGID_Y_EN: 0
; COMPUTE_PGM_RSRC2:TGID_Z_EN: 0
; COMPUTE_PGM_RSRC2:TIDIG_COMP_CNT: 0
; COMPUTE_PGM_RSRC3_GFX90A:ACCUM_OFFSET: 0
; COMPUTE_PGM_RSRC3_GFX90A:TG_SPLIT: 0
	.section	.text._ZN7rocprim17ROCPRIM_400000_NS6detail17trampoline_kernelINS0_14default_configENS1_27scan_by_key_config_selectorIssEEZZNS1_16scan_by_key_implILNS1_25lookback_scan_determinismE0ELb0ES3_N6thrust23THRUST_200600_302600_NS6detail15normal_iteratorINS9_10device_ptrIsEEEESE_SE_sNS9_4plusIsEE19head_flag_predicatesEE10hipError_tPvRmT2_T3_T4_T5_mT6_T7_P12ihipStream_tbENKUlT_T0_E_clISt17integral_constantIbLb1EESY_EEDaST_SU_EUlST_E_NS1_11comp_targetILNS1_3genE10ELNS1_11target_archE1201ELNS1_3gpuE5ELNS1_3repE0EEENS1_30default_config_static_selectorELNS0_4arch9wavefront6targetE1EEEvT1_,"axG",@progbits,_ZN7rocprim17ROCPRIM_400000_NS6detail17trampoline_kernelINS0_14default_configENS1_27scan_by_key_config_selectorIssEEZZNS1_16scan_by_key_implILNS1_25lookback_scan_determinismE0ELb0ES3_N6thrust23THRUST_200600_302600_NS6detail15normal_iteratorINS9_10device_ptrIsEEEESE_SE_sNS9_4plusIsEE19head_flag_predicatesEE10hipError_tPvRmT2_T3_T4_T5_mT6_T7_P12ihipStream_tbENKUlT_T0_E_clISt17integral_constantIbLb1EESY_EEDaST_SU_EUlST_E_NS1_11comp_targetILNS1_3genE10ELNS1_11target_archE1201ELNS1_3gpuE5ELNS1_3repE0EEENS1_30default_config_static_selectorELNS0_4arch9wavefront6targetE1EEEvT1_,comdat
	.protected	_ZN7rocprim17ROCPRIM_400000_NS6detail17trampoline_kernelINS0_14default_configENS1_27scan_by_key_config_selectorIssEEZZNS1_16scan_by_key_implILNS1_25lookback_scan_determinismE0ELb0ES3_N6thrust23THRUST_200600_302600_NS6detail15normal_iteratorINS9_10device_ptrIsEEEESE_SE_sNS9_4plusIsEE19head_flag_predicatesEE10hipError_tPvRmT2_T3_T4_T5_mT6_T7_P12ihipStream_tbENKUlT_T0_E_clISt17integral_constantIbLb1EESY_EEDaST_SU_EUlST_E_NS1_11comp_targetILNS1_3genE10ELNS1_11target_archE1201ELNS1_3gpuE5ELNS1_3repE0EEENS1_30default_config_static_selectorELNS0_4arch9wavefront6targetE1EEEvT1_ ; -- Begin function _ZN7rocprim17ROCPRIM_400000_NS6detail17trampoline_kernelINS0_14default_configENS1_27scan_by_key_config_selectorIssEEZZNS1_16scan_by_key_implILNS1_25lookback_scan_determinismE0ELb0ES3_N6thrust23THRUST_200600_302600_NS6detail15normal_iteratorINS9_10device_ptrIsEEEESE_SE_sNS9_4plusIsEE19head_flag_predicatesEE10hipError_tPvRmT2_T3_T4_T5_mT6_T7_P12ihipStream_tbENKUlT_T0_E_clISt17integral_constantIbLb1EESY_EEDaST_SU_EUlST_E_NS1_11comp_targetILNS1_3genE10ELNS1_11target_archE1201ELNS1_3gpuE5ELNS1_3repE0EEENS1_30default_config_static_selectorELNS0_4arch9wavefront6targetE1EEEvT1_
	.globl	_ZN7rocprim17ROCPRIM_400000_NS6detail17trampoline_kernelINS0_14default_configENS1_27scan_by_key_config_selectorIssEEZZNS1_16scan_by_key_implILNS1_25lookback_scan_determinismE0ELb0ES3_N6thrust23THRUST_200600_302600_NS6detail15normal_iteratorINS9_10device_ptrIsEEEESE_SE_sNS9_4plusIsEE19head_flag_predicatesEE10hipError_tPvRmT2_T3_T4_T5_mT6_T7_P12ihipStream_tbENKUlT_T0_E_clISt17integral_constantIbLb1EESY_EEDaST_SU_EUlST_E_NS1_11comp_targetILNS1_3genE10ELNS1_11target_archE1201ELNS1_3gpuE5ELNS1_3repE0EEENS1_30default_config_static_selectorELNS0_4arch9wavefront6targetE1EEEvT1_
	.p2align	8
	.type	_ZN7rocprim17ROCPRIM_400000_NS6detail17trampoline_kernelINS0_14default_configENS1_27scan_by_key_config_selectorIssEEZZNS1_16scan_by_key_implILNS1_25lookback_scan_determinismE0ELb0ES3_N6thrust23THRUST_200600_302600_NS6detail15normal_iteratorINS9_10device_ptrIsEEEESE_SE_sNS9_4plusIsEE19head_flag_predicatesEE10hipError_tPvRmT2_T3_T4_T5_mT6_T7_P12ihipStream_tbENKUlT_T0_E_clISt17integral_constantIbLb1EESY_EEDaST_SU_EUlST_E_NS1_11comp_targetILNS1_3genE10ELNS1_11target_archE1201ELNS1_3gpuE5ELNS1_3repE0EEENS1_30default_config_static_selectorELNS0_4arch9wavefront6targetE1EEEvT1_,@function
_ZN7rocprim17ROCPRIM_400000_NS6detail17trampoline_kernelINS0_14default_configENS1_27scan_by_key_config_selectorIssEEZZNS1_16scan_by_key_implILNS1_25lookback_scan_determinismE0ELb0ES3_N6thrust23THRUST_200600_302600_NS6detail15normal_iteratorINS9_10device_ptrIsEEEESE_SE_sNS9_4plusIsEE19head_flag_predicatesEE10hipError_tPvRmT2_T3_T4_T5_mT6_T7_P12ihipStream_tbENKUlT_T0_E_clISt17integral_constantIbLb1EESY_EEDaST_SU_EUlST_E_NS1_11comp_targetILNS1_3genE10ELNS1_11target_archE1201ELNS1_3gpuE5ELNS1_3repE0EEENS1_30default_config_static_selectorELNS0_4arch9wavefront6targetE1EEEvT1_: ; @_ZN7rocprim17ROCPRIM_400000_NS6detail17trampoline_kernelINS0_14default_configENS1_27scan_by_key_config_selectorIssEEZZNS1_16scan_by_key_implILNS1_25lookback_scan_determinismE0ELb0ES3_N6thrust23THRUST_200600_302600_NS6detail15normal_iteratorINS9_10device_ptrIsEEEESE_SE_sNS9_4plusIsEE19head_flag_predicatesEE10hipError_tPvRmT2_T3_T4_T5_mT6_T7_P12ihipStream_tbENKUlT_T0_E_clISt17integral_constantIbLb1EESY_EEDaST_SU_EUlST_E_NS1_11comp_targetILNS1_3genE10ELNS1_11target_archE1201ELNS1_3gpuE5ELNS1_3repE0EEENS1_30default_config_static_selectorELNS0_4arch9wavefront6targetE1EEEvT1_
; %bb.0:
	.section	.rodata,"a",@progbits
	.p2align	6, 0x0
	.amdhsa_kernel _ZN7rocprim17ROCPRIM_400000_NS6detail17trampoline_kernelINS0_14default_configENS1_27scan_by_key_config_selectorIssEEZZNS1_16scan_by_key_implILNS1_25lookback_scan_determinismE0ELb0ES3_N6thrust23THRUST_200600_302600_NS6detail15normal_iteratorINS9_10device_ptrIsEEEESE_SE_sNS9_4plusIsEE19head_flag_predicatesEE10hipError_tPvRmT2_T3_T4_T5_mT6_T7_P12ihipStream_tbENKUlT_T0_E_clISt17integral_constantIbLb1EESY_EEDaST_SU_EUlST_E_NS1_11comp_targetILNS1_3genE10ELNS1_11target_archE1201ELNS1_3gpuE5ELNS1_3repE0EEENS1_30default_config_static_selectorELNS0_4arch9wavefront6targetE1EEEvT1_
		.amdhsa_group_segment_fixed_size 0
		.amdhsa_private_segment_fixed_size 0
		.amdhsa_kernarg_size 112
		.amdhsa_user_sgpr_count 6
		.amdhsa_user_sgpr_private_segment_buffer 1
		.amdhsa_user_sgpr_dispatch_ptr 0
		.amdhsa_user_sgpr_queue_ptr 0
		.amdhsa_user_sgpr_kernarg_segment_ptr 1
		.amdhsa_user_sgpr_dispatch_id 0
		.amdhsa_user_sgpr_flat_scratch_init 0
		.amdhsa_user_sgpr_kernarg_preload_length 0
		.amdhsa_user_sgpr_kernarg_preload_offset 0
		.amdhsa_user_sgpr_private_segment_size 0
		.amdhsa_uses_dynamic_stack 0
		.amdhsa_system_sgpr_private_segment_wavefront_offset 0
		.amdhsa_system_sgpr_workgroup_id_x 1
		.amdhsa_system_sgpr_workgroup_id_y 0
		.amdhsa_system_sgpr_workgroup_id_z 0
		.amdhsa_system_sgpr_workgroup_info 0
		.amdhsa_system_vgpr_workitem_id 0
		.amdhsa_next_free_vgpr 1
		.amdhsa_next_free_sgpr 0
		.amdhsa_accum_offset 4
		.amdhsa_reserve_vcc 0
		.amdhsa_reserve_flat_scratch 0
		.amdhsa_float_round_mode_32 0
		.amdhsa_float_round_mode_16_64 0
		.amdhsa_float_denorm_mode_32 3
		.amdhsa_float_denorm_mode_16_64 3
		.amdhsa_dx10_clamp 1
		.amdhsa_ieee_mode 1
		.amdhsa_fp16_overflow 0
		.amdhsa_tg_split 0
		.amdhsa_exception_fp_ieee_invalid_op 0
		.amdhsa_exception_fp_denorm_src 0
		.amdhsa_exception_fp_ieee_div_zero 0
		.amdhsa_exception_fp_ieee_overflow 0
		.amdhsa_exception_fp_ieee_underflow 0
		.amdhsa_exception_fp_ieee_inexact 0
		.amdhsa_exception_int_div_zero 0
	.end_amdhsa_kernel
	.section	.text._ZN7rocprim17ROCPRIM_400000_NS6detail17trampoline_kernelINS0_14default_configENS1_27scan_by_key_config_selectorIssEEZZNS1_16scan_by_key_implILNS1_25lookback_scan_determinismE0ELb0ES3_N6thrust23THRUST_200600_302600_NS6detail15normal_iteratorINS9_10device_ptrIsEEEESE_SE_sNS9_4plusIsEE19head_flag_predicatesEE10hipError_tPvRmT2_T3_T4_T5_mT6_T7_P12ihipStream_tbENKUlT_T0_E_clISt17integral_constantIbLb1EESY_EEDaST_SU_EUlST_E_NS1_11comp_targetILNS1_3genE10ELNS1_11target_archE1201ELNS1_3gpuE5ELNS1_3repE0EEENS1_30default_config_static_selectorELNS0_4arch9wavefront6targetE1EEEvT1_,"axG",@progbits,_ZN7rocprim17ROCPRIM_400000_NS6detail17trampoline_kernelINS0_14default_configENS1_27scan_by_key_config_selectorIssEEZZNS1_16scan_by_key_implILNS1_25lookback_scan_determinismE0ELb0ES3_N6thrust23THRUST_200600_302600_NS6detail15normal_iteratorINS9_10device_ptrIsEEEESE_SE_sNS9_4plusIsEE19head_flag_predicatesEE10hipError_tPvRmT2_T3_T4_T5_mT6_T7_P12ihipStream_tbENKUlT_T0_E_clISt17integral_constantIbLb1EESY_EEDaST_SU_EUlST_E_NS1_11comp_targetILNS1_3genE10ELNS1_11target_archE1201ELNS1_3gpuE5ELNS1_3repE0EEENS1_30default_config_static_selectorELNS0_4arch9wavefront6targetE1EEEvT1_,comdat
.Lfunc_end831:
	.size	_ZN7rocprim17ROCPRIM_400000_NS6detail17trampoline_kernelINS0_14default_configENS1_27scan_by_key_config_selectorIssEEZZNS1_16scan_by_key_implILNS1_25lookback_scan_determinismE0ELb0ES3_N6thrust23THRUST_200600_302600_NS6detail15normal_iteratorINS9_10device_ptrIsEEEESE_SE_sNS9_4plusIsEE19head_flag_predicatesEE10hipError_tPvRmT2_T3_T4_T5_mT6_T7_P12ihipStream_tbENKUlT_T0_E_clISt17integral_constantIbLb1EESY_EEDaST_SU_EUlST_E_NS1_11comp_targetILNS1_3genE10ELNS1_11target_archE1201ELNS1_3gpuE5ELNS1_3repE0EEENS1_30default_config_static_selectorELNS0_4arch9wavefront6targetE1EEEvT1_, .Lfunc_end831-_ZN7rocprim17ROCPRIM_400000_NS6detail17trampoline_kernelINS0_14default_configENS1_27scan_by_key_config_selectorIssEEZZNS1_16scan_by_key_implILNS1_25lookback_scan_determinismE0ELb0ES3_N6thrust23THRUST_200600_302600_NS6detail15normal_iteratorINS9_10device_ptrIsEEEESE_SE_sNS9_4plusIsEE19head_flag_predicatesEE10hipError_tPvRmT2_T3_T4_T5_mT6_T7_P12ihipStream_tbENKUlT_T0_E_clISt17integral_constantIbLb1EESY_EEDaST_SU_EUlST_E_NS1_11comp_targetILNS1_3genE10ELNS1_11target_archE1201ELNS1_3gpuE5ELNS1_3repE0EEENS1_30default_config_static_selectorELNS0_4arch9wavefront6targetE1EEEvT1_
                                        ; -- End function
	.section	.AMDGPU.csdata,"",@progbits
; Kernel info:
; codeLenInByte = 0
; NumSgprs: 4
; NumVgprs: 0
; NumAgprs: 0
; TotalNumVgprs: 0
; ScratchSize: 0
; MemoryBound: 0
; FloatMode: 240
; IeeeMode: 1
; LDSByteSize: 0 bytes/workgroup (compile time only)
; SGPRBlocks: 0
; VGPRBlocks: 0
; NumSGPRsForWavesPerEU: 4
; NumVGPRsForWavesPerEU: 1
; AccumOffset: 4
; Occupancy: 8
; WaveLimiterHint : 0
; COMPUTE_PGM_RSRC2:SCRATCH_EN: 0
; COMPUTE_PGM_RSRC2:USER_SGPR: 6
; COMPUTE_PGM_RSRC2:TRAP_HANDLER: 0
; COMPUTE_PGM_RSRC2:TGID_X_EN: 1
; COMPUTE_PGM_RSRC2:TGID_Y_EN: 0
; COMPUTE_PGM_RSRC2:TGID_Z_EN: 0
; COMPUTE_PGM_RSRC2:TIDIG_COMP_CNT: 0
; COMPUTE_PGM_RSRC3_GFX90A:ACCUM_OFFSET: 0
; COMPUTE_PGM_RSRC3_GFX90A:TG_SPLIT: 0
	.section	.text._ZN7rocprim17ROCPRIM_400000_NS6detail17trampoline_kernelINS0_14default_configENS1_27scan_by_key_config_selectorIssEEZZNS1_16scan_by_key_implILNS1_25lookback_scan_determinismE0ELb0ES3_N6thrust23THRUST_200600_302600_NS6detail15normal_iteratorINS9_10device_ptrIsEEEESE_SE_sNS9_4plusIsEE19head_flag_predicatesEE10hipError_tPvRmT2_T3_T4_T5_mT6_T7_P12ihipStream_tbENKUlT_T0_E_clISt17integral_constantIbLb1EESY_EEDaST_SU_EUlST_E_NS1_11comp_targetILNS1_3genE5ELNS1_11target_archE942ELNS1_3gpuE9ELNS1_3repE0EEENS1_30default_config_static_selectorELNS0_4arch9wavefront6targetE1EEEvT1_,"axG",@progbits,_ZN7rocprim17ROCPRIM_400000_NS6detail17trampoline_kernelINS0_14default_configENS1_27scan_by_key_config_selectorIssEEZZNS1_16scan_by_key_implILNS1_25lookback_scan_determinismE0ELb0ES3_N6thrust23THRUST_200600_302600_NS6detail15normal_iteratorINS9_10device_ptrIsEEEESE_SE_sNS9_4plusIsEE19head_flag_predicatesEE10hipError_tPvRmT2_T3_T4_T5_mT6_T7_P12ihipStream_tbENKUlT_T0_E_clISt17integral_constantIbLb1EESY_EEDaST_SU_EUlST_E_NS1_11comp_targetILNS1_3genE5ELNS1_11target_archE942ELNS1_3gpuE9ELNS1_3repE0EEENS1_30default_config_static_selectorELNS0_4arch9wavefront6targetE1EEEvT1_,comdat
	.protected	_ZN7rocprim17ROCPRIM_400000_NS6detail17trampoline_kernelINS0_14default_configENS1_27scan_by_key_config_selectorIssEEZZNS1_16scan_by_key_implILNS1_25lookback_scan_determinismE0ELb0ES3_N6thrust23THRUST_200600_302600_NS6detail15normal_iteratorINS9_10device_ptrIsEEEESE_SE_sNS9_4plusIsEE19head_flag_predicatesEE10hipError_tPvRmT2_T3_T4_T5_mT6_T7_P12ihipStream_tbENKUlT_T0_E_clISt17integral_constantIbLb1EESY_EEDaST_SU_EUlST_E_NS1_11comp_targetILNS1_3genE5ELNS1_11target_archE942ELNS1_3gpuE9ELNS1_3repE0EEENS1_30default_config_static_selectorELNS0_4arch9wavefront6targetE1EEEvT1_ ; -- Begin function _ZN7rocprim17ROCPRIM_400000_NS6detail17trampoline_kernelINS0_14default_configENS1_27scan_by_key_config_selectorIssEEZZNS1_16scan_by_key_implILNS1_25lookback_scan_determinismE0ELb0ES3_N6thrust23THRUST_200600_302600_NS6detail15normal_iteratorINS9_10device_ptrIsEEEESE_SE_sNS9_4plusIsEE19head_flag_predicatesEE10hipError_tPvRmT2_T3_T4_T5_mT6_T7_P12ihipStream_tbENKUlT_T0_E_clISt17integral_constantIbLb1EESY_EEDaST_SU_EUlST_E_NS1_11comp_targetILNS1_3genE5ELNS1_11target_archE942ELNS1_3gpuE9ELNS1_3repE0EEENS1_30default_config_static_selectorELNS0_4arch9wavefront6targetE1EEEvT1_
	.globl	_ZN7rocprim17ROCPRIM_400000_NS6detail17trampoline_kernelINS0_14default_configENS1_27scan_by_key_config_selectorIssEEZZNS1_16scan_by_key_implILNS1_25lookback_scan_determinismE0ELb0ES3_N6thrust23THRUST_200600_302600_NS6detail15normal_iteratorINS9_10device_ptrIsEEEESE_SE_sNS9_4plusIsEE19head_flag_predicatesEE10hipError_tPvRmT2_T3_T4_T5_mT6_T7_P12ihipStream_tbENKUlT_T0_E_clISt17integral_constantIbLb1EESY_EEDaST_SU_EUlST_E_NS1_11comp_targetILNS1_3genE5ELNS1_11target_archE942ELNS1_3gpuE9ELNS1_3repE0EEENS1_30default_config_static_selectorELNS0_4arch9wavefront6targetE1EEEvT1_
	.p2align	8
	.type	_ZN7rocprim17ROCPRIM_400000_NS6detail17trampoline_kernelINS0_14default_configENS1_27scan_by_key_config_selectorIssEEZZNS1_16scan_by_key_implILNS1_25lookback_scan_determinismE0ELb0ES3_N6thrust23THRUST_200600_302600_NS6detail15normal_iteratorINS9_10device_ptrIsEEEESE_SE_sNS9_4plusIsEE19head_flag_predicatesEE10hipError_tPvRmT2_T3_T4_T5_mT6_T7_P12ihipStream_tbENKUlT_T0_E_clISt17integral_constantIbLb1EESY_EEDaST_SU_EUlST_E_NS1_11comp_targetILNS1_3genE5ELNS1_11target_archE942ELNS1_3gpuE9ELNS1_3repE0EEENS1_30default_config_static_selectorELNS0_4arch9wavefront6targetE1EEEvT1_,@function
_ZN7rocprim17ROCPRIM_400000_NS6detail17trampoline_kernelINS0_14default_configENS1_27scan_by_key_config_selectorIssEEZZNS1_16scan_by_key_implILNS1_25lookback_scan_determinismE0ELb0ES3_N6thrust23THRUST_200600_302600_NS6detail15normal_iteratorINS9_10device_ptrIsEEEESE_SE_sNS9_4plusIsEE19head_flag_predicatesEE10hipError_tPvRmT2_T3_T4_T5_mT6_T7_P12ihipStream_tbENKUlT_T0_E_clISt17integral_constantIbLb1EESY_EEDaST_SU_EUlST_E_NS1_11comp_targetILNS1_3genE5ELNS1_11target_archE942ELNS1_3gpuE9ELNS1_3repE0EEENS1_30default_config_static_selectorELNS0_4arch9wavefront6targetE1EEEvT1_: ; @_ZN7rocprim17ROCPRIM_400000_NS6detail17trampoline_kernelINS0_14default_configENS1_27scan_by_key_config_selectorIssEEZZNS1_16scan_by_key_implILNS1_25lookback_scan_determinismE0ELb0ES3_N6thrust23THRUST_200600_302600_NS6detail15normal_iteratorINS9_10device_ptrIsEEEESE_SE_sNS9_4plusIsEE19head_flag_predicatesEE10hipError_tPvRmT2_T3_T4_T5_mT6_T7_P12ihipStream_tbENKUlT_T0_E_clISt17integral_constantIbLb1EESY_EEDaST_SU_EUlST_E_NS1_11comp_targetILNS1_3genE5ELNS1_11target_archE942ELNS1_3gpuE9ELNS1_3repE0EEENS1_30default_config_static_selectorELNS0_4arch9wavefront6targetE1EEEvT1_
; %bb.0:
	.section	.rodata,"a",@progbits
	.p2align	6, 0x0
	.amdhsa_kernel _ZN7rocprim17ROCPRIM_400000_NS6detail17trampoline_kernelINS0_14default_configENS1_27scan_by_key_config_selectorIssEEZZNS1_16scan_by_key_implILNS1_25lookback_scan_determinismE0ELb0ES3_N6thrust23THRUST_200600_302600_NS6detail15normal_iteratorINS9_10device_ptrIsEEEESE_SE_sNS9_4plusIsEE19head_flag_predicatesEE10hipError_tPvRmT2_T3_T4_T5_mT6_T7_P12ihipStream_tbENKUlT_T0_E_clISt17integral_constantIbLb1EESY_EEDaST_SU_EUlST_E_NS1_11comp_targetILNS1_3genE5ELNS1_11target_archE942ELNS1_3gpuE9ELNS1_3repE0EEENS1_30default_config_static_selectorELNS0_4arch9wavefront6targetE1EEEvT1_
		.amdhsa_group_segment_fixed_size 0
		.amdhsa_private_segment_fixed_size 0
		.amdhsa_kernarg_size 112
		.amdhsa_user_sgpr_count 6
		.amdhsa_user_sgpr_private_segment_buffer 1
		.amdhsa_user_sgpr_dispatch_ptr 0
		.amdhsa_user_sgpr_queue_ptr 0
		.amdhsa_user_sgpr_kernarg_segment_ptr 1
		.amdhsa_user_sgpr_dispatch_id 0
		.amdhsa_user_sgpr_flat_scratch_init 0
		.amdhsa_user_sgpr_kernarg_preload_length 0
		.amdhsa_user_sgpr_kernarg_preload_offset 0
		.amdhsa_user_sgpr_private_segment_size 0
		.amdhsa_uses_dynamic_stack 0
		.amdhsa_system_sgpr_private_segment_wavefront_offset 0
		.amdhsa_system_sgpr_workgroup_id_x 1
		.amdhsa_system_sgpr_workgroup_id_y 0
		.amdhsa_system_sgpr_workgroup_id_z 0
		.amdhsa_system_sgpr_workgroup_info 0
		.amdhsa_system_vgpr_workitem_id 0
		.amdhsa_next_free_vgpr 1
		.amdhsa_next_free_sgpr 0
		.amdhsa_accum_offset 4
		.amdhsa_reserve_vcc 0
		.amdhsa_reserve_flat_scratch 0
		.amdhsa_float_round_mode_32 0
		.amdhsa_float_round_mode_16_64 0
		.amdhsa_float_denorm_mode_32 3
		.amdhsa_float_denorm_mode_16_64 3
		.amdhsa_dx10_clamp 1
		.amdhsa_ieee_mode 1
		.amdhsa_fp16_overflow 0
		.amdhsa_tg_split 0
		.amdhsa_exception_fp_ieee_invalid_op 0
		.amdhsa_exception_fp_denorm_src 0
		.amdhsa_exception_fp_ieee_div_zero 0
		.amdhsa_exception_fp_ieee_overflow 0
		.amdhsa_exception_fp_ieee_underflow 0
		.amdhsa_exception_fp_ieee_inexact 0
		.amdhsa_exception_int_div_zero 0
	.end_amdhsa_kernel
	.section	.text._ZN7rocprim17ROCPRIM_400000_NS6detail17trampoline_kernelINS0_14default_configENS1_27scan_by_key_config_selectorIssEEZZNS1_16scan_by_key_implILNS1_25lookback_scan_determinismE0ELb0ES3_N6thrust23THRUST_200600_302600_NS6detail15normal_iteratorINS9_10device_ptrIsEEEESE_SE_sNS9_4plusIsEE19head_flag_predicatesEE10hipError_tPvRmT2_T3_T4_T5_mT6_T7_P12ihipStream_tbENKUlT_T0_E_clISt17integral_constantIbLb1EESY_EEDaST_SU_EUlST_E_NS1_11comp_targetILNS1_3genE5ELNS1_11target_archE942ELNS1_3gpuE9ELNS1_3repE0EEENS1_30default_config_static_selectorELNS0_4arch9wavefront6targetE1EEEvT1_,"axG",@progbits,_ZN7rocprim17ROCPRIM_400000_NS6detail17trampoline_kernelINS0_14default_configENS1_27scan_by_key_config_selectorIssEEZZNS1_16scan_by_key_implILNS1_25lookback_scan_determinismE0ELb0ES3_N6thrust23THRUST_200600_302600_NS6detail15normal_iteratorINS9_10device_ptrIsEEEESE_SE_sNS9_4plusIsEE19head_flag_predicatesEE10hipError_tPvRmT2_T3_T4_T5_mT6_T7_P12ihipStream_tbENKUlT_T0_E_clISt17integral_constantIbLb1EESY_EEDaST_SU_EUlST_E_NS1_11comp_targetILNS1_3genE5ELNS1_11target_archE942ELNS1_3gpuE9ELNS1_3repE0EEENS1_30default_config_static_selectorELNS0_4arch9wavefront6targetE1EEEvT1_,comdat
.Lfunc_end832:
	.size	_ZN7rocprim17ROCPRIM_400000_NS6detail17trampoline_kernelINS0_14default_configENS1_27scan_by_key_config_selectorIssEEZZNS1_16scan_by_key_implILNS1_25lookback_scan_determinismE0ELb0ES3_N6thrust23THRUST_200600_302600_NS6detail15normal_iteratorINS9_10device_ptrIsEEEESE_SE_sNS9_4plusIsEE19head_flag_predicatesEE10hipError_tPvRmT2_T3_T4_T5_mT6_T7_P12ihipStream_tbENKUlT_T0_E_clISt17integral_constantIbLb1EESY_EEDaST_SU_EUlST_E_NS1_11comp_targetILNS1_3genE5ELNS1_11target_archE942ELNS1_3gpuE9ELNS1_3repE0EEENS1_30default_config_static_selectorELNS0_4arch9wavefront6targetE1EEEvT1_, .Lfunc_end832-_ZN7rocprim17ROCPRIM_400000_NS6detail17trampoline_kernelINS0_14default_configENS1_27scan_by_key_config_selectorIssEEZZNS1_16scan_by_key_implILNS1_25lookback_scan_determinismE0ELb0ES3_N6thrust23THRUST_200600_302600_NS6detail15normal_iteratorINS9_10device_ptrIsEEEESE_SE_sNS9_4plusIsEE19head_flag_predicatesEE10hipError_tPvRmT2_T3_T4_T5_mT6_T7_P12ihipStream_tbENKUlT_T0_E_clISt17integral_constantIbLb1EESY_EEDaST_SU_EUlST_E_NS1_11comp_targetILNS1_3genE5ELNS1_11target_archE942ELNS1_3gpuE9ELNS1_3repE0EEENS1_30default_config_static_selectorELNS0_4arch9wavefront6targetE1EEEvT1_
                                        ; -- End function
	.section	.AMDGPU.csdata,"",@progbits
; Kernel info:
; codeLenInByte = 0
; NumSgprs: 4
; NumVgprs: 0
; NumAgprs: 0
; TotalNumVgprs: 0
; ScratchSize: 0
; MemoryBound: 0
; FloatMode: 240
; IeeeMode: 1
; LDSByteSize: 0 bytes/workgroup (compile time only)
; SGPRBlocks: 0
; VGPRBlocks: 0
; NumSGPRsForWavesPerEU: 4
; NumVGPRsForWavesPerEU: 1
; AccumOffset: 4
; Occupancy: 8
; WaveLimiterHint : 0
; COMPUTE_PGM_RSRC2:SCRATCH_EN: 0
; COMPUTE_PGM_RSRC2:USER_SGPR: 6
; COMPUTE_PGM_RSRC2:TRAP_HANDLER: 0
; COMPUTE_PGM_RSRC2:TGID_X_EN: 1
; COMPUTE_PGM_RSRC2:TGID_Y_EN: 0
; COMPUTE_PGM_RSRC2:TGID_Z_EN: 0
; COMPUTE_PGM_RSRC2:TIDIG_COMP_CNT: 0
; COMPUTE_PGM_RSRC3_GFX90A:ACCUM_OFFSET: 0
; COMPUTE_PGM_RSRC3_GFX90A:TG_SPLIT: 0
	.section	.text._ZN7rocprim17ROCPRIM_400000_NS6detail17trampoline_kernelINS0_14default_configENS1_27scan_by_key_config_selectorIssEEZZNS1_16scan_by_key_implILNS1_25lookback_scan_determinismE0ELb0ES3_N6thrust23THRUST_200600_302600_NS6detail15normal_iteratorINS9_10device_ptrIsEEEESE_SE_sNS9_4plusIsEE19head_flag_predicatesEE10hipError_tPvRmT2_T3_T4_T5_mT6_T7_P12ihipStream_tbENKUlT_T0_E_clISt17integral_constantIbLb1EESY_EEDaST_SU_EUlST_E_NS1_11comp_targetILNS1_3genE4ELNS1_11target_archE910ELNS1_3gpuE8ELNS1_3repE0EEENS1_30default_config_static_selectorELNS0_4arch9wavefront6targetE1EEEvT1_,"axG",@progbits,_ZN7rocprim17ROCPRIM_400000_NS6detail17trampoline_kernelINS0_14default_configENS1_27scan_by_key_config_selectorIssEEZZNS1_16scan_by_key_implILNS1_25lookback_scan_determinismE0ELb0ES3_N6thrust23THRUST_200600_302600_NS6detail15normal_iteratorINS9_10device_ptrIsEEEESE_SE_sNS9_4plusIsEE19head_flag_predicatesEE10hipError_tPvRmT2_T3_T4_T5_mT6_T7_P12ihipStream_tbENKUlT_T0_E_clISt17integral_constantIbLb1EESY_EEDaST_SU_EUlST_E_NS1_11comp_targetILNS1_3genE4ELNS1_11target_archE910ELNS1_3gpuE8ELNS1_3repE0EEENS1_30default_config_static_selectorELNS0_4arch9wavefront6targetE1EEEvT1_,comdat
	.protected	_ZN7rocprim17ROCPRIM_400000_NS6detail17trampoline_kernelINS0_14default_configENS1_27scan_by_key_config_selectorIssEEZZNS1_16scan_by_key_implILNS1_25lookback_scan_determinismE0ELb0ES3_N6thrust23THRUST_200600_302600_NS6detail15normal_iteratorINS9_10device_ptrIsEEEESE_SE_sNS9_4plusIsEE19head_flag_predicatesEE10hipError_tPvRmT2_T3_T4_T5_mT6_T7_P12ihipStream_tbENKUlT_T0_E_clISt17integral_constantIbLb1EESY_EEDaST_SU_EUlST_E_NS1_11comp_targetILNS1_3genE4ELNS1_11target_archE910ELNS1_3gpuE8ELNS1_3repE0EEENS1_30default_config_static_selectorELNS0_4arch9wavefront6targetE1EEEvT1_ ; -- Begin function _ZN7rocprim17ROCPRIM_400000_NS6detail17trampoline_kernelINS0_14default_configENS1_27scan_by_key_config_selectorIssEEZZNS1_16scan_by_key_implILNS1_25lookback_scan_determinismE0ELb0ES3_N6thrust23THRUST_200600_302600_NS6detail15normal_iteratorINS9_10device_ptrIsEEEESE_SE_sNS9_4plusIsEE19head_flag_predicatesEE10hipError_tPvRmT2_T3_T4_T5_mT6_T7_P12ihipStream_tbENKUlT_T0_E_clISt17integral_constantIbLb1EESY_EEDaST_SU_EUlST_E_NS1_11comp_targetILNS1_3genE4ELNS1_11target_archE910ELNS1_3gpuE8ELNS1_3repE0EEENS1_30default_config_static_selectorELNS0_4arch9wavefront6targetE1EEEvT1_
	.globl	_ZN7rocprim17ROCPRIM_400000_NS6detail17trampoline_kernelINS0_14default_configENS1_27scan_by_key_config_selectorIssEEZZNS1_16scan_by_key_implILNS1_25lookback_scan_determinismE0ELb0ES3_N6thrust23THRUST_200600_302600_NS6detail15normal_iteratorINS9_10device_ptrIsEEEESE_SE_sNS9_4plusIsEE19head_flag_predicatesEE10hipError_tPvRmT2_T3_T4_T5_mT6_T7_P12ihipStream_tbENKUlT_T0_E_clISt17integral_constantIbLb1EESY_EEDaST_SU_EUlST_E_NS1_11comp_targetILNS1_3genE4ELNS1_11target_archE910ELNS1_3gpuE8ELNS1_3repE0EEENS1_30default_config_static_selectorELNS0_4arch9wavefront6targetE1EEEvT1_
	.p2align	8
	.type	_ZN7rocprim17ROCPRIM_400000_NS6detail17trampoline_kernelINS0_14default_configENS1_27scan_by_key_config_selectorIssEEZZNS1_16scan_by_key_implILNS1_25lookback_scan_determinismE0ELb0ES3_N6thrust23THRUST_200600_302600_NS6detail15normal_iteratorINS9_10device_ptrIsEEEESE_SE_sNS9_4plusIsEE19head_flag_predicatesEE10hipError_tPvRmT2_T3_T4_T5_mT6_T7_P12ihipStream_tbENKUlT_T0_E_clISt17integral_constantIbLb1EESY_EEDaST_SU_EUlST_E_NS1_11comp_targetILNS1_3genE4ELNS1_11target_archE910ELNS1_3gpuE8ELNS1_3repE0EEENS1_30default_config_static_selectorELNS0_4arch9wavefront6targetE1EEEvT1_,@function
_ZN7rocprim17ROCPRIM_400000_NS6detail17trampoline_kernelINS0_14default_configENS1_27scan_by_key_config_selectorIssEEZZNS1_16scan_by_key_implILNS1_25lookback_scan_determinismE0ELb0ES3_N6thrust23THRUST_200600_302600_NS6detail15normal_iteratorINS9_10device_ptrIsEEEESE_SE_sNS9_4plusIsEE19head_flag_predicatesEE10hipError_tPvRmT2_T3_T4_T5_mT6_T7_P12ihipStream_tbENKUlT_T0_E_clISt17integral_constantIbLb1EESY_EEDaST_SU_EUlST_E_NS1_11comp_targetILNS1_3genE4ELNS1_11target_archE910ELNS1_3gpuE8ELNS1_3repE0EEENS1_30default_config_static_selectorELNS0_4arch9wavefront6targetE1EEEvT1_: ; @_ZN7rocprim17ROCPRIM_400000_NS6detail17trampoline_kernelINS0_14default_configENS1_27scan_by_key_config_selectorIssEEZZNS1_16scan_by_key_implILNS1_25lookback_scan_determinismE0ELb0ES3_N6thrust23THRUST_200600_302600_NS6detail15normal_iteratorINS9_10device_ptrIsEEEESE_SE_sNS9_4plusIsEE19head_flag_predicatesEE10hipError_tPvRmT2_T3_T4_T5_mT6_T7_P12ihipStream_tbENKUlT_T0_E_clISt17integral_constantIbLb1EESY_EEDaST_SU_EUlST_E_NS1_11comp_targetILNS1_3genE4ELNS1_11target_archE910ELNS1_3gpuE8ELNS1_3repE0EEENS1_30default_config_static_selectorELNS0_4arch9wavefront6targetE1EEEvT1_
; %bb.0:
	s_load_dwordx4 s[64:67], s[4:5], 0x28
	s_load_dwordx2 s[72:73], s[4:5], 0x38
	v_cmp_ne_u32_e64 s[52:53], 0, v0
	v_cmp_eq_u32_e64 s[0:1], 0, v0
	s_and_saveexec_b64 s[2:3], s[0:1]
	s_cbranch_execz .LBB833_4
; %bb.1:
	s_mov_b64 s[8:9], exec
	v_mbcnt_lo_u32_b32 v1, s8, 0
	v_mbcnt_hi_u32_b32 v1, s9, v1
	v_cmp_eq_u32_e32 vcc, 0, v1
                                        ; implicit-def: $vgpr2
	s_and_saveexec_b64 s[6:7], vcc
	s_cbranch_execz .LBB833_3
; %bb.2:
	s_load_dwordx2 s[10:11], s[4:5], 0x68
	s_bcnt1_i32_b64 s8, s[8:9]
	v_mov_b32_e32 v2, 0
	v_mov_b32_e32 v3, s8
	s_waitcnt lgkmcnt(0)
	global_atomic_add v2, v2, v3, s[10:11] glc
.LBB833_3:
	s_or_b64 exec, exec, s[6:7]
	s_waitcnt vmcnt(0)
	v_readfirstlane_b32 s6, v2
	v_add_u32_e32 v1, s6, v1
	v_mov_b32_e32 v2, 0
	ds_write_b32 v2, v1
.LBB833_4:
	s_or_b64 exec, exec, s[2:3]
	s_load_dwordx8 s[56:63], s[4:5], 0x0
	s_load_dword s2, s[4:5], 0x40
	s_load_dwordx4 s[68:71], s[4:5], 0x48
	v_mov_b32_e32 v1, 0
	s_waitcnt lgkmcnt(0)
	s_barrier
	ds_read_b32 v1, v1
	s_lshl_b64 s[54:55], s[58:59], 1
	s_add_u32 s4, s56, s54
	s_addc_u32 s5, s57, s55
	s_add_u32 s6, s60, s54
	s_mul_i32 s3, s73, s2
	s_mul_hi_u32 s8, s72, s2
	s_waitcnt lgkmcnt(0)
	v_readfirstlane_b32 s67, v1
	s_addc_u32 s7, s61, s55
	s_add_i32 s8, s8, s3
	s_mul_i32 s9, s72, s2
	s_mov_b32 s3, 0
	s_mul_i32 s2, s67, 0x1600
	s_lshl_b64 s[56:57], s[2:3], 1
	s_add_u32 s50, s4, s56
	s_addc_u32 s51, s5, s57
	s_add_u32 s74, s6, s56
	s_addc_u32 s75, s7, s57
	v_mov_b32_e32 v3, s8
	v_add_co_u32_e32 v2, vcc, s9, v1
	s_add_u32 s4, s68, -1
	v_addc_co_u32_e32 v3, vcc, 0, v3, vcc
	s_addc_u32 s5, s69, -1
	v_cmp_le_u64_e64 s[2:3], s[4:5], v[2:3]
	s_mov_b64 s[6:7], -1
	s_and_b64 vcc, exec, s[2:3]
	s_mul_i32 s33, s4, 0xffffea00
	s_barrier
	s_barrier
	s_cbranch_vccz .LBB833_116
; %bb.5:
	v_pk_mov_b32 v[2:3], s[50:51], s[50:51] op_sel:[0,1]
	flat_load_ushort v10, v[2:3]
	s_add_i32 s68, s33, s66
	v_cmp_gt_u32_e32 vcc, s68, v0
	s_waitcnt vmcnt(0) lgkmcnt(0)
	v_mov_b32_e32 v17, v10
	s_and_saveexec_b64 s[6:7], vcc
	s_cbranch_execz .LBB833_7
; %bb.6:
	v_lshlrev_b32_e32 v1, 1, v0
	v_mov_b32_e32 v3, s51
	v_add_co_u32_e64 v2, s[4:5], s50, v1
	v_addc_co_u32_e64 v3, s[4:5], 0, v3, s[4:5]
	flat_load_ushort v17, v[2:3]
.LBB833_7:
	s_or_b64 exec, exec, s[6:7]
	v_or_b32_e32 v1, 0x100, v0
	v_cmp_gt_u32_e64 s[6:7], s68, v1
	v_mov_b32_e32 v18, v10
	s_and_saveexec_b64 s[8:9], s[6:7]
	s_cbranch_execz .LBB833_9
; %bb.8:
	v_lshlrev_b32_e32 v1, 1, v0
	v_mov_b32_e32 v3, s51
	v_add_co_u32_e64 v2, s[4:5], s50, v1
	v_addc_co_u32_e64 v3, s[4:5], 0, v3, s[4:5]
	flat_load_ushort v18, v[2:3] offset:512
.LBB833_9:
	s_or_b64 exec, exec, s[8:9]
	v_or_b32_e32 v1, 0x200, v0
	v_cmp_gt_u32_e64 s[8:9], s68, v1
	v_mov_b32_e32 v19, v10
	s_and_saveexec_b64 s[10:11], s[8:9]
	s_cbranch_execz .LBB833_11
; %bb.10:
	v_lshlrev_b32_e32 v1, 1, v0
	v_mov_b32_e32 v3, s51
	v_add_co_u32_e64 v2, s[4:5], s50, v1
	v_addc_co_u32_e64 v3, s[4:5], 0, v3, s[4:5]
	flat_load_ushort v19, v[2:3] offset:1024
.LBB833_11:
	;; [unrolled: 13-line block ×7, first 2 shown]
	s_or_b64 exec, exec, s[20:21]
	v_or_b32_e32 v1, 0x800, v0
	v_cmp_gt_u32_e64 s[20:21], s68, v1
	v_mov_b32_e32 v25, v10
	s_and_saveexec_b64 s[22:23], s[20:21]
	s_cbranch_execz .LBB833_23
; %bb.22:
	v_lshlrev_b32_e32 v2, 1, v1
	v_mov_b32_e32 v3, s51
	v_add_co_u32_e64 v2, s[4:5], s50, v2
	v_addc_co_u32_e64 v3, s[4:5], 0, v3, s[4:5]
	flat_load_ushort v25, v[2:3]
.LBB833_23:
	s_or_b64 exec, exec, s[22:23]
	v_or_b32_e32 v2, 0x900, v0
	v_cmp_gt_u32_e64 s[22:23], s68, v2
	v_mov_b32_e32 v26, v10
	s_and_saveexec_b64 s[24:25], s[22:23]
	s_cbranch_execz .LBB833_25
; %bb.24:
	v_lshlrev_b32_e32 v3, 1, v2
	v_mov_b32_e32 v5, s51
	v_add_co_u32_e64 v4, s[4:5], s50, v3
	v_addc_co_u32_e64 v5, s[4:5], 0, v5, s[4:5]
	flat_load_ushort v26, v[4:5]
.LBB833_25:
	;; [unrolled: 13-line block ×13, first 2 shown]
	s_or_b64 exec, exec, s[48:49]
	v_or_b32_e32 v16, 0x1500, v0
	v_cmp_gt_u32_e64 s[48:49], s68, v16
	s_and_saveexec_b64 s[58:59], s[48:49]
	s_cbranch_execz .LBB833_49
; %bb.48:
	v_lshlrev_b32_e32 v8, 1, v16
	v_mov_b32_e32 v10, s51
	v_add_co_u32_e64 v38, s[4:5], s50, v8
	v_addc_co_u32_e64 v39, s[4:5], 0, v10, s[4:5]
	flat_load_ushort v10, v[38:39]
.LBB833_49:
	s_or_b64 exec, exec, s[58:59]
	v_lshlrev_b32_e32 v8, 1, v0
	v_mad_u32_u24 v38, v0, 42, v8
	s_waitcnt vmcnt(0) lgkmcnt(0)
	ds_write_b16 v8, v17
	ds_write_b16 v8, v18 offset:512
	ds_write_b16 v8, v19 offset:1024
	;; [unrolled: 1-line block ×21, first 2 shown]
	s_waitcnt lgkmcnt(0)
	s_barrier
	ds_read2_b32 v[26:27], v38 offset0:8 offset1:9
	ds_read_b32 v39, v38 offset:40
	ds_read2_b32 v[34:35], v38 offset1:1
	ds_read2_b32 v[32:33], v38 offset0:2 offset1:3
	ds_read2_b32 v[30:31], v38 offset0:4 offset1:5
	;; [unrolled: 1-line block ×3, first 2 shown]
	s_movk_i32 s4, 0xffd6
	s_waitcnt lgkmcnt(4)
	v_lshrrev_b32_e32 v36, 16, v39
	v_mad_i32_i24 v10, v0, s4, v38
	ds_write_b16 v10, v36 offset:11264
	s_waitcnt lgkmcnt(0)
	s_barrier
	s_barrier
	s_waitcnt lgkmcnt(0)
                                        ; implicit-def: $vgpr10
	s_and_saveexec_b64 s[4:5], vcc
	s_cbranch_execz .LBB833_185
; %bb.50:
	v_mov_b32_e32 v10, s75
	v_add_co_u32_e32 v18, vcc, s74, v8
	v_addc_co_u32_e32 v19, vcc, 0, v10, vcc
	flat_load_ushort v10, v[18:19]
	s_or_b64 exec, exec, s[4:5]
                                        ; implicit-def: $vgpr17
	s_and_saveexec_b64 s[4:5], s[6:7]
	s_cbranch_execnz .LBB833_186
.LBB833_51:
	s_or_b64 exec, exec, s[4:5]
                                        ; implicit-def: $vgpr18
	s_and_saveexec_b64 s[4:5], s[8:9]
	s_cbranch_execz .LBB833_187
.LBB833_52:
	v_mov_b32_e32 v19, s75
	v_add_co_u32_e32 v18, vcc, s74, v8
	v_addc_co_u32_e32 v19, vcc, 0, v19, vcc
	flat_load_ushort v18, v[18:19] offset:1024
	s_or_b64 exec, exec, s[4:5]
                                        ; implicit-def: $vgpr19
	s_and_saveexec_b64 s[4:5], s[10:11]
	s_cbranch_execnz .LBB833_188
.LBB833_53:
	s_or_b64 exec, exec, s[4:5]
                                        ; implicit-def: $vgpr20
	s_and_saveexec_b64 s[4:5], s[12:13]
	s_cbranch_execz .LBB833_189
.LBB833_54:
	v_mov_b32_e32 v21, s75
	v_add_co_u32_e32 v20, vcc, s74, v8
	v_addc_co_u32_e32 v21, vcc, 0, v21, vcc
	flat_load_ushort v20, v[20:21] offset:2048
	s_or_b64 exec, exec, s[4:5]
                                        ; implicit-def: $vgpr21
	s_and_saveexec_b64 s[4:5], s[14:15]
	s_cbranch_execnz .LBB833_190
.LBB833_55:
	s_or_b64 exec, exec, s[4:5]
                                        ; implicit-def: $vgpr22
	s_and_saveexec_b64 s[4:5], s[16:17]
	s_cbranch_execz .LBB833_191
.LBB833_56:
	v_mov_b32_e32 v23, s75
	v_add_co_u32_e32 v22, vcc, s74, v8
	v_addc_co_u32_e32 v23, vcc, 0, v23, vcc
	flat_load_ushort v22, v[22:23] offset:3072
	s_or_b64 exec, exec, s[4:5]
                                        ; implicit-def: $vgpr23
	s_and_saveexec_b64 s[4:5], s[18:19]
	s_cbranch_execnz .LBB833_192
.LBB833_57:
	s_or_b64 exec, exec, s[4:5]
                                        ; implicit-def: $vgpr24
	s_and_saveexec_b64 s[4:5], s[20:21]
	s_cbranch_execz .LBB833_193
.LBB833_58:
	v_lshlrev_b32_e32 v1, 1, v1
	v_mov_b32_e32 v25, s75
	v_add_co_u32_e32 v24, vcc, s74, v1
	v_addc_co_u32_e32 v25, vcc, 0, v25, vcc
	flat_load_ushort v24, v[24:25]
	s_or_b64 exec, exec, s[4:5]
                                        ; implicit-def: $vgpr1
	s_and_saveexec_b64 s[4:5], s[22:23]
	s_cbranch_execnz .LBB833_194
.LBB833_59:
	s_or_b64 exec, exec, s[4:5]
                                        ; implicit-def: $vgpr2
	s_and_saveexec_b64 s[4:5], s[24:25]
	s_cbranch_execz .LBB833_195
.LBB833_60:
	v_lshlrev_b32_e32 v2, 1, v3
	v_mov_b32_e32 v3, s75
	v_add_co_u32_e32 v2, vcc, s74, v2
	v_addc_co_u32_e32 v3, vcc, 0, v3, vcc
	flat_load_ushort v2, v[2:3]
	s_or_b64 exec, exec, s[4:5]
                                        ; implicit-def: $vgpr3
	s_and_saveexec_b64 s[4:5], s[26:27]
	s_cbranch_execnz .LBB833_196
.LBB833_61:
	s_or_b64 exec, exec, s[4:5]
                                        ; implicit-def: $vgpr4
	s_and_saveexec_b64 s[4:5], s[28:29]
	s_cbranch_execz .LBB833_197
.LBB833_62:
	v_lshlrev_b32_e32 v4, 1, v5
	v_mov_b32_e32 v5, s75
	v_add_co_u32_e32 v4, vcc, s74, v4
	v_addc_co_u32_e32 v5, vcc, 0, v5, vcc
	flat_load_ushort v4, v[4:5]
	s_or_b64 exec, exec, s[4:5]
                                        ; implicit-def: $vgpr5
	s_and_saveexec_b64 s[4:5], s[30:31]
	s_cbranch_execnz .LBB833_198
.LBB833_63:
	s_or_b64 exec, exec, s[4:5]
                                        ; implicit-def: $vgpr6
	s_and_saveexec_b64 s[4:5], s[34:35]
	s_cbranch_execz .LBB833_199
.LBB833_64:
	v_lshlrev_b32_e32 v6, 1, v7
	v_mov_b32_e32 v7, s75
	v_add_co_u32_e32 v6, vcc, s74, v6
	v_addc_co_u32_e32 v7, vcc, 0, v7, vcc
	flat_load_ushort v6, v[6:7]
	s_or_b64 exec, exec, s[4:5]
                                        ; implicit-def: $vgpr7
	s_and_saveexec_b64 s[4:5], s[36:37]
	s_cbranch_execnz .LBB833_200
.LBB833_65:
	s_or_b64 exec, exec, s[4:5]
                                        ; implicit-def: $vgpr9
	s_and_saveexec_b64 s[4:5], s[38:39]
	s_cbranch_execz .LBB833_201
.LBB833_66:
	v_lshlrev_b32_e32 v9, 1, v11
	v_mov_b32_e32 v11, s75
	v_add_co_u32_e32 v40, vcc, s74, v9
	v_addc_co_u32_e32 v41, vcc, 0, v11, vcc
	flat_load_ushort v9, v[40:41]
	s_or_b64 exec, exec, s[4:5]
                                        ; implicit-def: $vgpr11
	s_and_saveexec_b64 s[4:5], s[40:41]
	s_cbranch_execnz .LBB833_202
.LBB833_67:
	s_or_b64 exec, exec, s[4:5]
                                        ; implicit-def: $vgpr12
	s_and_saveexec_b64 s[4:5], s[42:43]
	s_cbranch_execz .LBB833_203
.LBB833_68:
	v_lshlrev_b32_e32 v12, 1, v13
	v_mov_b32_e32 v13, s75
	v_add_co_u32_e32 v12, vcc, s74, v12
	v_addc_co_u32_e32 v13, vcc, 0, v13, vcc
	flat_load_ushort v12, v[12:13]
	s_or_b64 exec, exec, s[4:5]
                                        ; implicit-def: $vgpr13
	s_and_saveexec_b64 s[4:5], s[44:45]
	s_cbranch_execnz .LBB833_204
.LBB833_69:
	s_or_b64 exec, exec, s[4:5]
                                        ; implicit-def: $vgpr14
	s_and_saveexec_b64 s[4:5], s[46:47]
	s_cbranch_execz .LBB833_71
.LBB833_70:
	v_lshlrev_b32_e32 v14, 1, v15
	v_mov_b32_e32 v15, s75
	v_add_co_u32_e32 v14, vcc, s74, v14
	v_addc_co_u32_e32 v15, vcc, 0, v15, vcc
	flat_load_ushort v14, v[14:15]
.LBB833_71:
	s_or_b64 exec, exec, s[4:5]
	v_mul_u32_u24_e32 v40, 22, v0
                                        ; implicit-def: $vgpr15
	s_and_saveexec_b64 s[4:5], s[48:49]
	s_cbranch_execz .LBB833_73
; %bb.72:
	v_lshlrev_b32_e32 v15, 1, v16
	v_mov_b32_e32 v16, s75
	v_add_co_u32_e32 v42, vcc, s74, v15
	v_addc_co_u32_e32 v43, vcc, 0, v16, vcc
	flat_load_ushort v15, v[42:43]
.LBB833_73:
	s_or_b64 exec, exec, s[4:5]
	s_mov_b32 s4, 0
	s_mov_b32 s5, s4
	s_waitcnt vmcnt(0) lgkmcnt(0)
	ds_write_b16 v8, v10
	ds_write_b16 v8, v17 offset:512
	ds_write_b16 v8, v18 offset:1024
	;; [unrolled: 1-line block ×21, first 2 shown]
	v_cmp_gt_u32_e32 vcc, s68, v40
	s_mov_b64 s[6:7], 0
	v_pk_mov_b32 v[14:15], s[4:5], s[4:5] op_sel:[0,1]
	v_mov_b32_e32 v1, 0
	s_mov_b64 s[10:11], 0
	v_pk_mov_b32 v[24:25], s[4:5], s[4:5] op_sel:[0,1]
	v_pk_mov_b32 v[22:23], s[4:5], s[4:5] op_sel:[0,1]
	;; [unrolled: 1-line block ×9, first 2 shown]
	s_waitcnt lgkmcnt(0)
	s_barrier
	s_waitcnt lgkmcnt(0)
                                        ; implicit-def: $vgpr37
	s_and_saveexec_b64 s[8:9], vcc
	s_cbranch_execz .LBB833_115
; %bb.74:
	ds_read_u16 v1, v38
	s_mov_b32 s16, 0
	v_cmp_ne_u16_e32 vcc, 0, v34
	v_or_b32_e32 v2, 1, v40
	v_cndmask_b32_e64 v3, 0, 1, vcc
	v_mov_b32_e32 v7, 0
	s_mov_b32 s17, s16
	s_waitcnt lgkmcnt(0)
	v_lshl_or_b32 v6, v3, 16, v1
	v_cmp_gt_u32_e32 vcc, s68, v2
	s_mov_b64 s[12:13], 0
	v_pk_mov_b32 v[14:15], s[16:17], s[16:17] op_sel:[0,1]
	v_pk_mov_b32 v[24:25], s[16:17], s[16:17] op_sel:[0,1]
	v_pk_mov_b32 v[22:23], s[16:17], s[16:17] op_sel:[0,1]
	v_pk_mov_b32 v[20:21], s[16:17], s[16:17] op_sel:[0,1]
	v_pk_mov_b32 v[18:19], s[16:17], s[16:17] op_sel:[0,1]
	v_pk_mov_b32 v[16:17], s[16:17], s[16:17] op_sel:[0,1]
	v_pk_mov_b32 v[12:13], s[16:17], s[16:17] op_sel:[0,1]
	v_pk_mov_b32 v[10:11], s[16:17], s[16:17] op_sel:[0,1]
	v_pk_mov_b32 v[8:9], s[16:17], s[16:17] op_sel:[0,1]
	v_mov_b32_e32 v1, v7
                                        ; implicit-def: $vgpr37
	s_and_saveexec_b64 s[10:11], vcc
	s_cbranch_execz .LBB833_114
; %bb.75:
	ds_read_b128 v[2:5], v38 offset:2
	v_mov_b32_e32 v1, 0
	v_cmp_ne_u16_sdwa s[12:13], v34, v1 src0_sel:WORD_1 src1_sel:DWORD
	v_add_u32_e32 v8, 2, v40
	v_cndmask_b32_e64 v7, 0, 1, s[12:13]
	s_waitcnt lgkmcnt(0)
	v_and_b32_e32 v9, 0xffff, v2
	v_lshl_or_b32 v7, v7, 16, v9
	v_cmp_gt_u32_e32 vcc, s68, v8
	s_mov_b64 s[14:15], 0
	v_pk_mov_b32 v[14:15], s[16:17], s[16:17] op_sel:[0,1]
	v_pk_mov_b32 v[24:25], s[16:17], s[16:17] op_sel:[0,1]
	;; [unrolled: 1-line block ×9, first 2 shown]
                                        ; implicit-def: $vgpr37
	s_and_saveexec_b64 s[12:13], vcc
	s_cbranch_execz .LBB833_113
; %bb.76:
	s_mov_b32 s20, 0
	v_cmp_ne_u16_e32 vcc, 0, v35
	v_add_u32_e32 v1, 3, v40
	v_cndmask_b32_e64 v8, 0, 1, vcc
	v_mov_b32_e32 v9, 0
	s_mov_b32 s21, s20
	v_alignbit_b32 v8, v8, v2, 16
	v_cmp_gt_u32_e32 vcc, s68, v1
	s_mov_b64 s[16:17], 0
	v_pk_mov_b32 v[14:15], s[20:21], s[20:21] op_sel:[0,1]
	v_pk_mov_b32 v[24:25], s[20:21], s[20:21] op_sel:[0,1]
	;; [unrolled: 1-line block ×8, first 2 shown]
	v_mov_b32_e32 v1, v9
                                        ; implicit-def: $vgpr37
	s_and_saveexec_b64 s[14:15], vcc
	s_cbranch_execz .LBB833_112
; %bb.77:
	v_mov_b32_e32 v1, 0
	v_cmp_ne_u16_sdwa s[16:17], v35, v1 src0_sel:WORD_1 src1_sel:DWORD
	v_and_b32_e32 v2, 0xffff, v3
	v_add_u32_e32 v10, 4, v40
	v_cndmask_b32_e64 v9, 0, 1, s[16:17]
	v_lshl_or_b32 v9, v9, 16, v2
	v_cmp_gt_u32_e32 vcc, s68, v10
	s_mov_b64 s[18:19], 0
	v_pk_mov_b32 v[14:15], s[20:21], s[20:21] op_sel:[0,1]
	v_pk_mov_b32 v[24:25], s[20:21], s[20:21] op_sel:[0,1]
	;; [unrolled: 1-line block ×8, first 2 shown]
                                        ; implicit-def: $vgpr37
	s_and_saveexec_b64 s[16:17], vcc
	s_cbranch_execz .LBB833_111
; %bb.78:
	s_mov_b32 s24, 0
	v_cmp_ne_u16_e32 vcc, 0, v32
	v_add_u32_e32 v1, 5, v40
	v_cndmask_b32_e64 v2, 0, 1, vcc
	v_mov_b32_e32 v11, 0
	s_mov_b32 s25, s24
	v_alignbit_b32 v10, v2, v3, 16
	v_cmp_gt_u32_e32 vcc, s68, v1
	s_mov_b64 s[20:21], 0
	v_pk_mov_b32 v[14:15], s[24:25], s[24:25] op_sel:[0,1]
	v_pk_mov_b32 v[24:25], s[24:25], s[24:25] op_sel:[0,1]
	;; [unrolled: 1-line block ×7, first 2 shown]
	v_mov_b32_e32 v1, v11
                                        ; implicit-def: $vgpr37
	s_and_saveexec_b64 s[18:19], vcc
	s_cbranch_execz .LBB833_110
; %bb.79:
	v_mov_b32_e32 v1, 0
	v_cmp_ne_u16_sdwa s[20:21], v32, v1 src0_sel:WORD_1 src1_sel:DWORD
	v_and_b32_e32 v2, 0xffff, v4
	v_add_u32_e32 v3, 6, v40
	v_cndmask_b32_e64 v11, 0, 1, s[20:21]
	v_lshl_or_b32 v11, v11, 16, v2
	v_cmp_gt_u32_e32 vcc, s68, v3
	s_mov_b64 s[22:23], 0
	v_pk_mov_b32 v[14:15], s[24:25], s[24:25] op_sel:[0,1]
	v_pk_mov_b32 v[24:25], s[24:25], s[24:25] op_sel:[0,1]
	;; [unrolled: 1-line block ×7, first 2 shown]
                                        ; implicit-def: $vgpr37
	s_and_saveexec_b64 s[20:21], vcc
	s_cbranch_execz .LBB833_109
; %bb.80:
	s_mov_b32 s28, 0
	v_cmp_ne_u16_e32 vcc, 0, v33
	v_add_u32_e32 v1, 7, v40
	v_cndmask_b32_e64 v2, 0, 1, vcc
	v_mov_b32_e32 v13, 0
	s_mov_b32 s29, s28
	v_alignbit_b32 v12, v2, v4, 16
	v_cmp_gt_u32_e32 vcc, s68, v1
	s_mov_b64 s[24:25], 0
	v_pk_mov_b32 v[14:15], s[28:29], s[28:29] op_sel:[0,1]
	v_pk_mov_b32 v[24:25], s[28:29], s[28:29] op_sel:[0,1]
	;; [unrolled: 1-line block ×6, first 2 shown]
	v_mov_b32_e32 v1, v13
                                        ; implicit-def: $vgpr37
	s_and_saveexec_b64 s[22:23], vcc
	s_cbranch_execz .LBB833_108
; %bb.81:
	v_mov_b32_e32 v1, 0
	v_cmp_ne_u16_sdwa s[24:25], v33, v1 src0_sel:WORD_1 src1_sel:DWORD
	v_and_b32_e32 v2, 0xffff, v5
	v_add_u32_e32 v3, 8, v40
	v_cndmask_b32_e64 v4, 0, 1, s[24:25]
	v_lshl_or_b32 v13, v4, 16, v2
	v_cmp_gt_u32_e32 vcc, s68, v3
	s_mov_b64 s[26:27], 0
	v_pk_mov_b32 v[14:15], s[28:29], s[28:29] op_sel:[0,1]
	v_pk_mov_b32 v[24:25], s[28:29], s[28:29] op_sel:[0,1]
	;; [unrolled: 1-line block ×6, first 2 shown]
                                        ; implicit-def: $vgpr37
	s_and_saveexec_b64 s[24:25], vcc
	s_cbranch_execz .LBB833_107
; %bb.82:
	s_mov_b32 s34, 0
	v_cmp_ne_u16_e32 vcc, 0, v30
	v_add_u32_e32 v1, 9, v40
	v_cndmask_b32_e64 v2, 0, 1, vcc
	v_mov_b32_e32 v17, 0
	s_mov_b32 s35, s34
	v_alignbit_b32 v16, v2, v5, 16
	v_cmp_gt_u32_e32 vcc, s68, v1
	s_mov_b64 s[28:29], 0
	v_pk_mov_b32 v[14:15], s[34:35], s[34:35] op_sel:[0,1]
	v_pk_mov_b32 v[24:25], s[34:35], s[34:35] op_sel:[0,1]
	;; [unrolled: 1-line block ×5, first 2 shown]
	v_mov_b32_e32 v1, v17
                                        ; implicit-def: $vgpr37
	s_and_saveexec_b64 s[26:27], vcc
	s_cbranch_execz .LBB833_106
; %bb.83:
	ds_read_b128 v[2:5], v38 offset:18
	v_mov_b32_e32 v1, 0
	v_cmp_ne_u16_sdwa s[28:29], v30, v1 src0_sel:WORD_1 src1_sel:DWORD
	v_add_u32_e32 v14, 10, v40
	v_cndmask_b32_e64 v15, 0, 1, s[28:29]
	s_waitcnt lgkmcnt(0)
	v_and_b32_e32 v17, 0xffff, v2
	v_lshl_or_b32 v17, v15, 16, v17
	v_cmp_gt_u32_e32 vcc, s68, v14
	s_mov_b64 s[30:31], 0
	v_pk_mov_b32 v[14:15], s[34:35], s[34:35] op_sel:[0,1]
	v_pk_mov_b32 v[24:25], s[34:35], s[34:35] op_sel:[0,1]
	;; [unrolled: 1-line block ×5, first 2 shown]
                                        ; implicit-def: $vgpr37
	s_and_saveexec_b64 s[28:29], vcc
	s_cbranch_execz .LBB833_105
; %bb.84:
	s_mov_b32 s38, 0
	v_cmp_ne_u16_e32 vcc, 0, v31
	v_add_u32_e32 v1, 11, v40
	v_cndmask_b32_e64 v14, 0, 1, vcc
	v_mov_b32_e32 v19, 0
	s_mov_b32 s39, s38
	v_alignbit_b32 v18, v14, v2, 16
	v_cmp_gt_u32_e32 vcc, s68, v1
	s_mov_b64 s[34:35], 0
	v_pk_mov_b32 v[14:15], s[38:39], s[38:39] op_sel:[0,1]
	v_pk_mov_b32 v[24:25], s[38:39], s[38:39] op_sel:[0,1]
	;; [unrolled: 1-line block ×4, first 2 shown]
	v_mov_b32_e32 v1, v19
                                        ; implicit-def: $vgpr37
	s_and_saveexec_b64 s[30:31], vcc
	s_cbranch_execz .LBB833_104
; %bb.85:
	v_mov_b32_e32 v1, 0
	v_cmp_ne_u16_sdwa s[34:35], v31, v1 src0_sel:WORD_1 src1_sel:DWORD
	v_and_b32_e32 v2, 0xffff, v3
	v_add_u32_e32 v14, 12, v40
	v_cndmask_b32_e64 v15, 0, 1, s[34:35]
	v_lshl_or_b32 v19, v15, 16, v2
	v_cmp_gt_u32_e32 vcc, s68, v14
	s_mov_b64 s[36:37], 0
	v_pk_mov_b32 v[14:15], s[38:39], s[38:39] op_sel:[0,1]
	v_pk_mov_b32 v[24:25], s[38:39], s[38:39] op_sel:[0,1]
	;; [unrolled: 1-line block ×4, first 2 shown]
                                        ; implicit-def: $vgpr37
	s_and_saveexec_b64 s[34:35], vcc
	s_cbranch_execz .LBB833_103
; %bb.86:
	s_mov_b32 s42, 0
	v_cmp_ne_u16_e32 vcc, 0, v28
	v_add_u32_e32 v1, 13, v40
	v_cndmask_b32_e64 v2, 0, 1, vcc
	v_mov_b32_e32 v21, 0
	s_mov_b32 s43, s42
	v_alignbit_b32 v20, v2, v3, 16
	v_cmp_gt_u32_e32 vcc, s68, v1
	s_mov_b64 s[38:39], 0
	v_pk_mov_b32 v[14:15], s[42:43], s[42:43] op_sel:[0,1]
	v_pk_mov_b32 v[24:25], s[42:43], s[42:43] op_sel:[0,1]
	;; [unrolled: 1-line block ×3, first 2 shown]
	v_mov_b32_e32 v1, v21
                                        ; implicit-def: $vgpr37
	s_and_saveexec_b64 s[36:37], vcc
	s_cbranch_execz .LBB833_102
; %bb.87:
	v_mov_b32_e32 v1, 0
	v_cmp_ne_u16_sdwa s[38:39], v28, v1 src0_sel:WORD_1 src1_sel:DWORD
	v_and_b32_e32 v2, 0xffff, v4
	v_add_u32_e32 v3, 14, v40
	v_cndmask_b32_e64 v14, 0, 1, s[38:39]
	v_lshl_or_b32 v21, v14, 16, v2
	v_cmp_gt_u32_e32 vcc, s68, v3
	s_mov_b64 s[40:41], 0
	v_pk_mov_b32 v[14:15], s[42:43], s[42:43] op_sel:[0,1]
	v_pk_mov_b32 v[24:25], s[42:43], s[42:43] op_sel:[0,1]
	;; [unrolled: 1-line block ×3, first 2 shown]
                                        ; implicit-def: $vgpr37
	s_and_saveexec_b64 s[38:39], vcc
	s_cbranch_execz .LBB833_101
; %bb.88:
	s_mov_b32 s46, 0
	v_cmp_ne_u16_e32 vcc, 0, v29
	v_add_u32_e32 v1, 15, v40
	v_cndmask_b32_e64 v2, 0, 1, vcc
	v_mov_b32_e32 v23, 0
	s_mov_b32 s47, s46
	v_alignbit_b32 v22, v2, v4, 16
	v_cmp_gt_u32_e32 vcc, s68, v1
	s_mov_b64 s[42:43], 0
	v_pk_mov_b32 v[14:15], s[46:47], s[46:47] op_sel:[0,1]
	v_pk_mov_b32 v[24:25], s[46:47], s[46:47] op_sel:[0,1]
	v_mov_b32_e32 v1, v23
                                        ; implicit-def: $vgpr37
	s_and_saveexec_b64 s[40:41], vcc
	s_cbranch_execz .LBB833_100
; %bb.89:
	v_mov_b32_e32 v1, 0
	v_cmp_ne_u16_sdwa s[42:43], v29, v1 src0_sel:WORD_1 src1_sel:DWORD
	v_and_b32_e32 v2, 0xffff, v5
	v_add_u32_e32 v3, 16, v40
	v_cndmask_b32_e64 v4, 0, 1, s[42:43]
	v_lshl_or_b32 v23, v4, 16, v2
	v_cmp_gt_u32_e32 vcc, s68, v3
	s_mov_b64 s[44:45], 0
	v_pk_mov_b32 v[14:15], s[46:47], s[46:47] op_sel:[0,1]
	v_pk_mov_b32 v[24:25], s[46:47], s[46:47] op_sel:[0,1]
                                        ; implicit-def: $vgpr37
	s_and_saveexec_b64 s[42:43], vcc
	s_cbranch_execz .LBB833_99
; %bb.90:
	s_mov_b32 s58, 0
	v_cmp_ne_u16_e32 vcc, 0, v26
	v_add_u32_e32 v1, 17, v40
	v_cndmask_b32_e64 v2, 0, 1, vcc
	v_mov_b32_e32 v25, 0
	s_mov_b32 s59, s58
	v_alignbit_b32 v24, v2, v5, 16
	v_cmp_gt_u32_e32 vcc, s68, v1
	s_mov_b64 s[46:47], 0
	v_pk_mov_b32 v[14:15], s[58:59], s[58:59] op_sel:[0,1]
	v_mov_b32_e32 v1, v25
                                        ; implicit-def: $vgpr37
	s_and_saveexec_b64 s[44:45], vcc
	s_cbranch_execz .LBB833_98
; %bb.91:
	ds_read_b64 v[2:3], v38 offset:34
	v_mov_b32_e32 v1, 0
	v_cmp_ne_u16_sdwa s[46:47], v26, v1 src0_sel:WORD_1 src1_sel:DWORD
	v_add_u32_e32 v4, 18, v40
	v_cndmask_b32_e64 v5, 0, 1, s[46:47]
	s_waitcnt lgkmcnt(0)
	v_and_b32_e32 v14, 0xffff, v2
	v_lshl_or_b32 v25, v5, 16, v14
	v_cmp_gt_u32_e32 vcc, s68, v4
	s_mov_b64 s[48:49], 0
	v_pk_mov_b32 v[14:15], s[58:59], s[58:59] op_sel:[0,1]
                                        ; implicit-def: $vgpr37
	s_and_saveexec_b64 s[46:47], vcc
	s_cbranch_execz .LBB833_97
; %bb.92:
	v_cmp_ne_u16_e32 vcc, 0, v27
	v_add_u32_e32 v1, 19, v40
	v_cndmask_b32_e64 v4, 0, 1, vcc
	v_mov_b32_e32 v15, 0
	v_alignbit_b32 v14, v4, v2, 16
	v_cmp_gt_u32_e32 vcc, s68, v1
	s_mov_b64 s[58:59], 0
	v_mov_b32_e32 v1, v15
                                        ; implicit-def: $vgpr37
	s_and_saveexec_b64 s[48:49], vcc
	s_cbranch_execz .LBB833_96
; %bb.93:
	v_mov_b32_e32 v1, 0
	v_cmp_ne_u16_sdwa s[58:59], v27, v1 src0_sel:WORD_1 src1_sel:DWORD
	v_and_b32_e32 v2, 0xffff, v3
	v_add_u32_e32 v4, 20, v40
	v_cndmask_b32_e64 v5, 0, 1, s[58:59]
	v_lshl_or_b32 v15, v5, 16, v2
	v_cmp_gt_u32_e32 vcc, s68, v4
	s_mov_b64 s[58:59], 0
                                        ; implicit-def: $vgpr37
	s_and_saveexec_b64 s[60:61], vcc
	s_xor_b64 s[60:61], exec, s[60:61]
	s_cbranch_execz .LBB833_95
; %bb.94:
	ds_read_u16 v37, v38 offset:42
	v_add_u32_e32 v2, 21, v40
	v_cmp_ne_u16_e32 vcc, 0, v39
	v_cndmask_b32_e64 v1, 0, 1, vcc
	v_cmp_gt_u32_e32 vcc, s68, v2
	v_alignbit_b32 v1, v1, v3, 16
	s_and_b64 s[58:59], vcc, exec
.LBB833_95:
	s_or_b64 exec, exec, s[60:61]
	s_and_b64 s[58:59], s[58:59], exec
.LBB833_96:
	s_or_b64 exec, exec, s[48:49]
	s_and_b64 s[48:49], s[58:59], exec
.LBB833_97:
	s_or_b64 exec, exec, s[46:47]
	s_and_b64 s[46:47], s[48:49], exec
.LBB833_98:
	s_or_b64 exec, exec, s[44:45]
	s_and_b64 s[44:45], s[46:47], exec
.LBB833_99:
	s_or_b64 exec, exec, s[42:43]
	s_and_b64 s[42:43], s[44:45], exec
.LBB833_100:
	s_or_b64 exec, exec, s[40:41]
	s_and_b64 s[40:41], s[42:43], exec
.LBB833_101:
	s_or_b64 exec, exec, s[38:39]
	s_and_b64 s[38:39], s[40:41], exec
.LBB833_102:
	s_or_b64 exec, exec, s[36:37]
	s_and_b64 s[36:37], s[38:39], exec
.LBB833_103:
	s_or_b64 exec, exec, s[34:35]
	s_and_b64 s[34:35], s[36:37], exec
.LBB833_104:
	s_or_b64 exec, exec, s[30:31]
	s_and_b64 s[30:31], s[34:35], exec
.LBB833_105:
	s_or_b64 exec, exec, s[28:29]
	s_and_b64 s[28:29], s[30:31], exec
.LBB833_106:
	s_or_b64 exec, exec, s[26:27]
	s_and_b64 s[26:27], s[28:29], exec
.LBB833_107:
	s_or_b64 exec, exec, s[24:25]
	s_and_b64 s[24:25], s[26:27], exec
.LBB833_108:
	s_or_b64 exec, exec, s[22:23]
	s_and_b64 s[22:23], s[24:25], exec
.LBB833_109:
	s_or_b64 exec, exec, s[20:21]
	s_and_b64 s[20:21], s[22:23], exec
.LBB833_110:
	s_or_b64 exec, exec, s[18:19]
	s_and_b64 s[18:19], s[20:21], exec
.LBB833_111:
	s_or_b64 exec, exec, s[16:17]
	s_and_b64 s[16:17], s[18:19], exec
.LBB833_112:
	s_or_b64 exec, exec, s[14:15]
	s_and_b64 s[14:15], s[16:17], exec
.LBB833_113:
	s_or_b64 exec, exec, s[12:13]
	s_and_b64 s[12:13], s[14:15], exec
.LBB833_114:
	s_or_b64 exec, exec, s[10:11]
	s_and_b64 s[10:11], s[12:13], exec
.LBB833_115:
	s_or_b64 exec, exec, s[8:9]
	s_and_b64 vcc, exec, s[6:7]
	v_lshlrev_b32_e32 v32, 1, v0
	s_cbranch_vccnz .LBB833_117
	s_branch .LBB833_118
.LBB833_116:
	s_mov_b64 s[10:11], 0
                                        ; implicit-def: $vgpr14_vgpr15
                                        ; implicit-def: $vgpr24_vgpr25
                                        ; implicit-def: $vgpr22_vgpr23
                                        ; implicit-def: $vgpr20_vgpr21
                                        ; implicit-def: $vgpr18_vgpr19
                                        ; implicit-def: $vgpr16_vgpr17
                                        ; implicit-def: $vgpr12_vgpr13
                                        ; implicit-def: $vgpr10_vgpr11
                                        ; implicit-def: $vgpr8_vgpr9
                                        ; implicit-def: $vgpr6_vgpr7
                                        ; implicit-def: $vgpr36
                                        ; implicit-def: $vgpr37
                                        ; implicit-def: $vgpr1
                                        ; implicit-def: $sgpr4
	s_and_b64 vcc, exec, s[6:7]
	v_lshlrev_b32_e32 v32, 1, v0
	s_cbranch_vccz .LBB833_118
.LBB833_117:
	v_mov_b32_e32 v1, s51
	v_add_co_u32_e32 v2, vcc, s50, v32
	v_addc_co_u32_e32 v3, vcc, 0, v1, vcc
	v_add_co_u32_e32 v4, vcc, 0x1000, v2
	v_addc_co_u32_e32 v5, vcc, 0, v3, vcc
	flat_load_ushort v1, v[2:3]
	flat_load_ushort v6, v[2:3] offset:512
	flat_load_ushort v7, v[2:3] offset:1024
	;; [unrolled: 1-line block ×7, first 2 shown]
	v_add_co_u32_e32 v2, vcc, 0x2000, v2
	v_addc_co_u32_e32 v3, vcc, 0, v3, vcc
	flat_load_ushort v13, v[4:5]
	flat_load_ushort v14, v[4:5] offset:512
	flat_load_ushort v15, v[4:5] offset:1024
	;; [unrolled: 1-line block ×7, first 2 shown]
	s_nop 0
	flat_load_ushort v4, v[2:3]
	flat_load_ushort v5, v[2:3] offset:512
	flat_load_ushort v21, v[2:3] offset:1024
	;; [unrolled: 1-line block ×5, first 2 shown]
	v_mov_b32_e32 v3, s75
	v_add_co_u32_e32 v2, vcc, s74, v32
	s_movk_i32 s4, 0x1000
	v_addc_co_u32_e32 v3, vcc, 0, v3, vcc
	v_mad_u32_u24 v28, v0, 42, v32
	s_movk_i32 s6, 0xffd6
	s_movk_i32 s5, 0x2000
	v_mad_i32_i24 v29, v0, s6, v28
	v_mov_b32_e32 v39, 0
	s_or_b64 s[10:11], s[10:11], exec
	s_waitcnt vmcnt(0) lgkmcnt(0)
	ds_write_b16 v32, v1
	ds_write_b16 v32, v6 offset:512
	ds_write_b16 v32, v7 offset:1024
	ds_write_b16 v32, v8 offset:1536
	ds_write_b16 v32, v9 offset:2048
	ds_write_b16 v32, v10 offset:2560
	ds_write_b16 v32, v11 offset:3072
	ds_write_b16 v32, v12 offset:3584
	ds_write_b16 v32, v13 offset:4096
	ds_write_b16 v32, v14 offset:4608
	ds_write_b16 v32, v15 offset:5120
	ds_write_b16 v32, v16 offset:5632
	ds_write_b16 v32, v17 offset:6144
	ds_write_b16 v32, v18 offset:6656
	ds_write_b16 v32, v19 offset:7168
	ds_write_b16 v32, v20 offset:7680
	ds_write_b16 v32, v4 offset:8192
	ds_write_b16 v32, v5 offset:8704
	ds_write_b16 v32, v21 offset:9216
	ds_write_b16 v32, v22 offset:9728
	ds_write_b16 v32, v23 offset:10240
	ds_write_b16 v32, v24 offset:10752
	v_add_co_u32_e32 v8, vcc, s4, v2
	s_waitcnt lgkmcnt(0)
	s_barrier
	ds_read_b32 v1, v28 offset:40
	ds_read2_b32 v[4:5], v28 offset1:1
	ds_read2_b32 v[6:7], v28 offset0:2 offset1:3
	ds_read2_b32 v[14:15], v28 offset0:4 offset1:5
	;; [unrolled: 1-line block ×4, first 2 shown]
	s_waitcnt lgkmcnt(5)
	v_lshrrev_b32_e32 v36, 16, v1
	v_addc_co_u32_e32 v9, vcc, 0, v3, vcc
	ds_write_b16 v29, v36 offset:11264
	s_waitcnt lgkmcnt(0)
	s_barrier
	s_barrier
	flat_load_ushort v10, v[2:3]
	flat_load_ushort v11, v[2:3] offset:512
	flat_load_ushort v12, v[2:3] offset:1024
	flat_load_ushort v13, v[2:3] offset:1536
	flat_load_ushort v16, v[2:3] offset:2048
	flat_load_ushort v17, v[2:3] offset:2560
	flat_load_ushort v18, v[2:3] offset:3072
	flat_load_ushort v19, v[2:3] offset:3584
	v_add_co_u32_e32 v2, vcc, s5, v2
	v_addc_co_u32_e32 v3, vcc, 0, v3, vcc
	flat_load_ushort v20, v[8:9]
	flat_load_ushort v21, v[8:9] offset:512
	flat_load_ushort v22, v[8:9] offset:1024
	;; [unrolled: 1-line block ×7, first 2 shown]
	s_nop 0
	flat_load_ushort v8, v[2:3]
	flat_load_ushort v9, v[2:3] offset:512
	flat_load_ushort v34, v[2:3] offset:1024
	flat_load_ushort v35, v[2:3] offset:1536
	flat_load_ushort v37, v[2:3] offset:2048
	flat_load_ushort v38, v[2:3] offset:2560
	v_cmp_ne_u16_sdwa s[4:5], v4, v39 src0_sel:WORD_1 src1_sel:DWORD
	v_cmp_ne_u16_e32 vcc, 0, v4
	v_cndmask_b32_e64 v40, 0, 1, s[4:5]
	v_cndmask_b32_e64 v41, 0, 1, vcc
	v_cmp_ne_u16_sdwa s[4:5], v5, v39 src0_sel:WORD_1 src1_sel:DWORD
	v_cmp_ne_u16_e32 vcc, 0, v5
	v_cndmask_b32_e64 v42, 0, 1, s[4:5]
	v_cmp_ne_u16_sdwa s[4:5], v6, v39 src0_sel:WORD_1 src1_sel:DWORD
	v_cndmask_b32_e64 v43, 0, 1, vcc
	v_cndmask_b32_e64 v44, 0, 1, s[4:5]
	v_cmp_ne_u16_e32 vcc, 0, v6
	v_cmp_ne_u16_sdwa s[4:5], v7, v39 src0_sel:WORD_1 src1_sel:DWORD
	v_cndmask_b32_e64 v45, 0, 1, vcc
	v_cndmask_b32_e64 v6, 0, 1, s[4:5]
	v_cmp_ne_u16_e32 vcc, 0, v7
	v_cmp_ne_u16_sdwa s[4:5], v14, v39 src0_sel:WORD_1 src1_sel:DWORD
	v_cndmask_b32_e64 v46, 0, 1, vcc
	v_cmp_ne_u16_e32 vcc, 0, v14
	s_waitcnt vmcnt(0) lgkmcnt(0)
	ds_write_b16 v32, v10
	ds_write_b16 v32, v11 offset:512
	ds_write_b16 v32, v12 offset:1024
	;; [unrolled: 1-line block ×21, first 2 shown]
	s_waitcnt lgkmcnt(0)
	s_barrier
	ds_read2_b32 v[2:3], v28 offset0:8 offset1:9
	ds_read_b32 v29, v28 offset:40
	ds_read2_b32 v[4:5], v28 offset1:1
	ds_read2_b32 v[12:13], v28 offset0:2 offset1:3
	ds_read2_b32 v[18:19], v28 offset0:4 offset1:5
	;; [unrolled: 1-line block ×3, first 2 shown]
	s_waitcnt lgkmcnt(4)
	v_lshrrev_b32_e32 v37, 16, v29
	s_waitcnt lgkmcnt(3)
	v_and_b32_e32 v8, 0xffff, v4
	v_alignbit_b32 v7, v40, v4, 16
	v_and_b32_e32 v4, 0xffff, v5
	v_alignbit_b32 v9, v42, v5, 16
	s_waitcnt lgkmcnt(2)
	v_and_b32_e32 v5, 0xffff, v12
	v_lshl_or_b32 v10, v45, 16, v5
	v_cndmask_b32_e64 v5, 0, 1, s[4:5]
	v_alignbit_b32 v11, v44, v12, 16
	v_and_b32_e32 v12, 0xffff, v13
	v_alignbit_b32 v13, v6, v13, 16
	v_lshl_or_b32 v6, v41, 16, v8
	v_lshl_or_b32 v8, v43, 16, v4
	s_waitcnt lgkmcnt(1)
	v_and_b32_e32 v4, 0xffff, v18
	v_alignbit_b32 v17, v5, v18, 16
	v_cndmask_b32_e64 v5, 0, 1, vcc
	v_cmp_ne_u16_sdwa s[4:5], v15, v39 src0_sel:WORD_1 src1_sel:DWORD
	v_lshl_or_b32 v16, v5, 16, v4
	v_cndmask_b32_e64 v5, 0, 1, s[4:5]
	v_cmp_ne_u16_e32 vcc, 0, v15
	v_and_b32_e32 v4, 0xffff, v19
	v_alignbit_b32 v19, v5, v19, 16
	v_cndmask_b32_e64 v5, 0, 1, vcc
	v_cmp_ne_u16_sdwa s[4:5], v24, v39 src0_sel:WORD_1 src1_sel:DWORD
	v_lshl_or_b32 v18, v5, 16, v4
	v_cndmask_b32_e64 v5, 0, 1, s[4:5]
	v_cmp_ne_u16_e32 vcc, 0, v24
	s_waitcnt lgkmcnt(0)
	v_and_b32_e32 v4, 0xffff, v22
	v_alignbit_b32 v21, v5, v22, 16
	v_cndmask_b32_e64 v5, 0, 1, vcc
	v_cmp_ne_u16_sdwa s[4:5], v25, v39 src0_sel:WORD_1 src1_sel:DWORD
	v_lshl_or_b32 v20, v5, 16, v4
	v_cndmask_b32_e64 v5, 0, 1, s[4:5]
	v_cmp_ne_u16_e32 vcc, 0, v25
	v_and_b32_e32 v4, 0xffff, v23
	v_alignbit_b32 v23, v5, v23, 16
	v_cndmask_b32_e64 v5, 0, 1, vcc
	v_cmp_ne_u16_sdwa s[4:5], v26, v39 src0_sel:WORD_1 src1_sel:DWORD
	v_lshl_or_b32 v22, v5, 16, v4
	v_cndmask_b32_e64 v5, 0, 1, s[4:5]
	v_cmp_ne_u16_e32 vcc, 0, v26
	;; [unrolled: 7-line block ×3, first 2 shown]
	v_and_b32_e32 v2, 0xffff, v3
	v_alignbit_b32 v15, v4, v3, 16
	v_cndmask_b32_e64 v3, 0, 1, vcc
	v_cmp_ne_u16_e32 vcc, 0, v1
	v_lshl_or_b32 v14, v3, 16, v2
	v_and_b32_e32 v2, 0xffff, v29
	v_cndmask_b32_e64 v1, 0, 1, vcc
	v_lshl_or_b32 v12, v46, 16, v12
	v_lshl_or_b32 v1, v1, 16, v2
                                        ; implicit-def: $sgpr4
.LBB833_118:
	v_mov_b32_e32 v33, s4
	s_and_saveexec_b64 s[4:5], s[10:11]
	s_cbranch_execz .LBB833_120
; %bb.119:
	v_cmp_ne_u16_e32 vcc, 0, v36
	s_waitcnt lgkmcnt(0)
	v_and_b32_e32 v2, 0xffff, v37
	v_cndmask_b32_e64 v3, 0, 1, vcc
	v_lshl_or_b32 v33, v3, 16, v2
.LBB833_120:
	s_or_b64 exec, exec, s[4:5]
	s_cmp_lg_u32 s67, 0
	v_or3_b32 v35, v33, v1, v15
	v_lshrrev_b32_e32 v34, 5, v0
	v_cmp_gt_u32_e32 vcc, 64, v0
	s_waitcnt lgkmcnt(0)
	s_barrier
	s_cbranch_scc0 .LBB833_205
; %bb.121:
	s_mov_b32 s4, 0x10000
	v_cmp_gt_u32_e64 s[6:7], s4, v7
	v_cndmask_b32_e64 v2, 0, v6, s[6:7]
	v_add_u16_e32 v2, v2, v7
	v_cmp_gt_u32_e64 s[8:9], s4, v8
	v_cndmask_b32_e64 v2, 0, v2, s[8:9]
	v_add_u16_e32 v2, v2, v8
	;; [unrolled: 3-line block ×21, first 2 shown]
	v_or3_b32 v2, v35, v14, v25
	v_or3_b32 v2, v2, v24, v23
	;; [unrolled: 1-line block ×9, first 2 shown]
	v_and_b32_e32 v2, 0x10000, v2
	v_lshrrev_b32_e32 v36, 16, v6
	v_cmp_ne_u32_e64 s[4:5], 0, v2
	v_mov_b32_e32 v5, 0x10000
	v_cndmask_b32_e64 v38, v36, 1, s[4:5]
	v_add_lshl_u32 v2, v34, v0, 2
	ds_write_b16 v2, v37
	ds_write_b8 v2, v38 offset:2
	s_waitcnt lgkmcnt(0)
	s_barrier
	s_and_saveexec_b64 s[50:51], vcc
	s_cbranch_execz .LBB833_135
; %bb.122:
	v_lshlrev_b32_e32 v2, 2, v0
	v_lshrrev_b32_e32 v3, 3, v0
	v_add_lshl_u32 v2, v3, v2, 2
	ds_read_b32 v3, v2
	ds_read_u16 v4, v2 offset:4
	ds_read_u8 v26, v2 offset:6
	ds_read_u16 v27, v2 offset:8
	ds_read_u8 v28, v2 offset:10
	;; [unrolled: 2-line block ×3, first 2 shown]
	v_mov_b32_e32 v31, 0
	s_waitcnt lgkmcnt(4)
	v_cmp_eq_u16_sdwa s[4:5], v26, v31 src0_sel:BYTE_0 src1_sel:DWORD
	v_cndmask_b32_e64 v39, 0, v3, s[4:5]
	v_add_u16_e32 v39, v39, v4
	s_waitcnt lgkmcnt(2)
	v_cmp_eq_u16_sdwa s[4:5], v28, v31 src0_sel:BYTE_0 src1_sel:DWORD
	s_waitcnt lgkmcnt(0)
	v_or_b32_e32 v28, v30, v28
	v_cndmask_b32_e64 v31, 0, v39, s[4:5]
	v_or_b32_e32 v26, v28, v26
	v_add_u16_e32 v27, v31, v27
	v_cmp_eq_u16_e64 s[4:5], 0, v30
	v_and_b32_e32 v26, 1, v26
	v_and_b32_e32 v4, 0x10000, v3
	v_cndmask_b32_e64 v31, 0, v27, s[4:5]
	v_cmp_eq_u32_e64 s[4:5], 1, v26
	v_mbcnt_lo_u32_b32 v26, -1, 0
	v_add_u16_e32 v27, v31, v29
	v_cndmask_b32_e64 v39, v4, v5, s[4:5]
	v_add_u16_e32 v29, v31, v29
	v_and_b32_e32 v5, 0xff000000, v3
	v_mbcnt_hi_u32_b32 v26, -1, v26
	v_or_b32_e32 v30, v39, v5
	v_and_b32_e32 v31, 15, v26
	v_or3_b32 v29, v5, v29, v39
	s_movk_i32 s60, 0xff
	v_lshrrev_b32_e32 v28, 16, v30
	v_mov_b32_dpp v39, v29 row_shr:1 row_mask:0xf bank_mask:0xf
	v_cmp_ne_u32_e64 s[4:5], 0, v31
	s_and_saveexec_b64 s[58:59], s[4:5]
	s_cbranch_execz .LBB833_124
; %bb.123:
	v_and_b32_sdwa v28, v30, s60 dst_sel:DWORD dst_unused:UNUSED_PAD src0_sel:WORD_1 src1_sel:DWORD
	v_cmp_eq_u16_e64 s[4:5], 0, v28
	v_and_b32_e32 v28, 0x10000, v30
	v_mov_b32_e32 v30, 1
	v_cndmask_b32_e64 v29, 0, v39, s[4:5]
	v_and_b32_sdwa v30, v39, v30 dst_sel:DWORD dst_unused:UNUSED_PAD src0_sel:WORD_1 src1_sel:DWORD
	v_cmp_ne_u32_e64 s[4:5], 0, v28
	v_cndmask_b32_e64 v28, v30, 1, s[4:5]
	v_add_u16_e32 v40, v29, v27
	v_lshlrev_b32_e32 v30, 16, v28
	v_add_u16_e32 v27, v29, v27
	v_or3_b32 v29, v30, v27, v5
	v_mov_b32_e32 v27, v40
.LBB833_124:
	s_or_b64 exec, exec, s[58:59]
	v_lshrrev_b32_e32 v30, 16, v29
	v_mov_b32_dpp v39, v29 row_shr:2 row_mask:0xf bank_mask:0xf
	v_cmp_lt_u32_e64 s[4:5], 1, v31
	s_and_saveexec_b64 s[58:59], s[4:5]
	s_cbranch_execz .LBB833_126
; %bb.125:
	v_mov_b32_e32 v28, 0
	v_cmp_eq_u16_sdwa s[4:5], v30, v28 src0_sel:BYTE_0 src1_sel:DWORD
	v_and_b32_e32 v28, 0x10000, v29
	v_mov_b32_e32 v29, 1
	v_cndmask_b32_e64 v30, 0, v39, s[4:5]
	v_and_b32_sdwa v29, v39, v29 dst_sel:DWORD dst_unused:UNUSED_PAD src0_sel:WORD_1 src1_sel:DWORD
	v_cmp_ne_u32_e64 s[4:5], 0, v28
	v_cndmask_b32_e64 v28, v29, 1, s[4:5]
	v_add_u16_e32 v40, v30, v27
	v_lshlrev_b32_e32 v29, 16, v28
	v_add_u16_e32 v27, v30, v27
	v_or3_b32 v29, v29, v27, v5
	v_mov_b32_e32 v30, v28
	v_mov_b32_e32 v27, v40
.LBB833_126:
	s_or_b64 exec, exec, s[58:59]
	v_mov_b32_dpp v39, v29 row_shr:4 row_mask:0xf bank_mask:0xf
	v_cmp_lt_u32_e64 s[4:5], 3, v31
	s_and_saveexec_b64 s[58:59], s[4:5]
	s_cbranch_execz .LBB833_128
; %bb.127:
	v_mov_b32_e32 v28, 0
	v_cmp_eq_u16_sdwa s[4:5], v30, v28 src0_sel:BYTE_0 src1_sel:DWORD
	v_and_b32_e32 v28, 1, v30
	v_mov_b32_e32 v30, 1
	v_cndmask_b32_e64 v29, 0, v39, s[4:5]
	v_and_b32_sdwa v30, v39, v30 dst_sel:DWORD dst_unused:UNUSED_PAD src0_sel:WORD_1 src1_sel:DWORD
	v_cmp_eq_u32_e64 s[4:5], 1, v28
	v_cndmask_b32_e64 v28, v30, 1, s[4:5]
	v_add_u16_e32 v40, v29, v27
	v_lshlrev_b32_e32 v30, 16, v28
	v_add_u16_e32 v27, v29, v27
	v_or3_b32 v29, v30, v27, v5
	v_mov_b32_e32 v30, v28
	v_mov_b32_e32 v27, v40
.LBB833_128:
	s_or_b64 exec, exec, s[58:59]
	v_mov_b32_dpp v39, v29 row_shr:8 row_mask:0xf bank_mask:0xf
	v_cmp_lt_u32_e64 s[4:5], 7, v31
	s_and_saveexec_b64 s[58:59], s[4:5]
	s_cbranch_execz .LBB833_130
; %bb.129:
	v_mov_b32_e32 v28, 0
	v_cmp_eq_u16_sdwa s[4:5], v30, v28 src0_sel:BYTE_0 src1_sel:DWORD
	v_and_b32_e32 v28, 1, v30
	v_mov_b32_e32 v30, 1
	v_cndmask_b32_e64 v29, 0, v39, s[4:5]
	v_and_b32_sdwa v30, v39, v30 dst_sel:DWORD dst_unused:UNUSED_PAD src0_sel:WORD_1 src1_sel:DWORD
	v_cmp_eq_u32_e64 s[4:5], 1, v28
	v_cndmask_b32_e64 v28, v30, 1, s[4:5]
	v_add_u16_e32 v31, v29, v27
	v_lshlrev_b32_e32 v30, 16, v28
	v_add_u16_e32 v27, v29, v27
	v_or3_b32 v29, v30, v27, v5
	v_mov_b32_e32 v30, v28
	v_mov_b32_e32 v27, v31
.LBB833_130:
	s_or_b64 exec, exec, s[58:59]
	v_and_b32_e32 v39, 16, v26
	v_mov_b32_dpp v31, v29 row_bcast:15 row_mask:0xf bank_mask:0xf
	v_cmp_ne_u32_e64 s[4:5], 0, v39
	s_and_saveexec_b64 s[58:59], s[4:5]
	s_cbranch_execz .LBB833_132
; %bb.131:
	v_mov_b32_e32 v28, 0
	v_cmp_eq_u16_sdwa s[4:5], v30, v28 src0_sel:BYTE_0 src1_sel:DWORD
	v_and_b32_e32 v28, 1, v30
	v_mov_b32_e32 v30, 1
	v_cndmask_b32_e64 v29, 0, v31, s[4:5]
	v_and_b32_sdwa v30, v31, v30 dst_sel:DWORD dst_unused:UNUSED_PAD src0_sel:WORD_1 src1_sel:DWORD
	v_cmp_eq_u32_e64 s[4:5], 1, v28
	v_cndmask_b32_e64 v28, v30, 1, s[4:5]
	v_add_u16_e32 v39, v29, v27
	v_lshlrev_b32_e32 v30, 16, v28
	v_add_u16_e32 v27, v29, v27
	v_or3_b32 v29, v30, v27, v5
	v_mov_b32_e32 v30, v28
	v_mov_b32_e32 v27, v39
.LBB833_132:
	s_or_b64 exec, exec, s[58:59]
	v_mov_b32_dpp v29, v29 row_bcast:31 row_mask:0xf bank_mask:0xf
	v_cmp_lt_u32_e64 s[4:5], 31, v26
	s_and_saveexec_b64 s[58:59], s[4:5]
; %bb.133:
	v_mov_b32_e32 v28, 0
	v_cmp_eq_u16_sdwa s[4:5], v30, v28 src0_sel:BYTE_0 src1_sel:DWORD
	v_cndmask_b32_e64 v28, 0, v29, s[4:5]
	v_add_u16_e32 v27, v28, v27
	v_and_b32_e32 v28, 1, v30
	v_mov_b32_e32 v30, 1
	v_and_b32_sdwa v29, v29, v30 dst_sel:DWORD dst_unused:UNUSED_PAD src0_sel:WORD_1 src1_sel:DWORD
	v_cmp_eq_u32_e64 s[4:5], 1, v28
	v_cndmask_b32_e64 v28, v29, 1, s[4:5]
; %bb.134:
	s_or_b64 exec, exec, s[58:59]
	v_and_b32_e32 v28, 0xff, v28
	v_lshlrev_b32_e32 v28, 16, v28
	v_and_b32_e32 v27, 0xffff, v27
	v_or3_b32 v5, v28, v27, v5
	v_add_u32_e32 v27, -1, v26
	v_and_b32_e32 v28, 64, v26
	v_cmp_lt_i32_e64 s[4:5], v27, v28
	v_cndmask_b32_e64 v26, v27, v26, s[4:5]
	v_lshlrev_b32_e32 v26, 2, v26
	ds_bpermute_b32 v5, v26, v5
	v_and_b32_e32 v26, 0xff0000, v3
	v_cmp_eq_u32_e64 s[4:5], 0, v26
	; wave barrier
	s_waitcnt lgkmcnt(0)
	v_cndmask_b32_e64 v26, 0, v5, s[4:5]
	v_add_u16_e32 v3, v26, v3
	v_mov_b32_e32 v26, 1
	v_and_b32_sdwa v5, v5, v26 dst_sel:DWORD dst_unused:UNUSED_PAD src0_sel:WORD_1 src1_sel:DWORD
	v_cmp_eq_u32_e64 s[4:5], 0, v4
	v_cndmask_b32_e64 v4, 1, v5, s[4:5]
	v_cndmask_b32_e64 v3, v3, v37, s[0:1]
	;; [unrolled: 1-line block ×3, first 2 shown]
	ds_write_b16 v2, v3
	ds_write_b8 v2, v4 offset:2
	; wave barrier
	ds_read_u16 v5, v2 offset:4
	ds_read_u8 v26, v2 offset:6
	ds_read_u16 v27, v2 offset:8
	ds_read_u8 v28, v2 offset:10
	;; [unrolled: 2-line block ×3, first 2 shown]
	s_waitcnt lgkmcnt(4)
	v_cmp_eq_u16_e64 s[4:5], 0, v26
	v_cndmask_b32_e64 v3, 0, v3, s[4:5]
	v_add_u16_e32 v3, v3, v5
	v_and_b32_e32 v5, 1, v26
	v_cmp_eq_u32_e64 s[4:5], 1, v5
	v_cndmask_b32_e64 v4, v4, 1, s[4:5]
	s_waitcnt lgkmcnt(2)
	v_cmp_eq_u16_e64 s[4:5], 0, v28
	v_and_b32_e32 v5, 1, v28
	ds_write_b16 v2, v3 offset:4
	ds_write_b8 v2, v4 offset:6
	v_cndmask_b32_e64 v3, 0, v3, s[4:5]
	v_cmp_eq_u32_e64 s[4:5], 1, v5
	v_add_u16_e32 v3, v3, v27
	v_cndmask_b32_e64 v4, v4, 1, s[4:5]
	s_waitcnt lgkmcnt(2)
	v_cmp_eq_u16_e64 s[4:5], 0, v30
	ds_write_b16 v2, v3 offset:8
	ds_write_b8 v2, v4 offset:10
	v_cndmask_b32_e64 v3, 0, v3, s[4:5]
	v_and_b32_e32 v5, 1, v30
	v_add_u16_e32 v3, v3, v29
	v_cmp_eq_u32_e64 s[4:5], 1, v5
	v_cndmask_b32_e64 v4, v4, 1, s[4:5]
	ds_write_b16 v2, v3 offset:12
	ds_write_b8 v2, v4 offset:14
.LBB833_135:
	s_or_b64 exec, exec, s[50:51]
	s_waitcnt lgkmcnt(0)
	s_barrier
	s_and_saveexec_b64 s[4:5], s[52:53]
	s_cbranch_execz .LBB833_137
; %bb.136:
	v_add_u32_e32 v2, -1, v0
	v_lshrrev_b32_e32 v3, 5, v2
	v_add_lshl_u32 v2, v3, v2, 2
	ds_read_u16 v37, v2
	ds_read_u8 v38, v2 offset:2
.LBB833_137:
	s_or_b64 exec, exec, s[4:5]
	s_and_saveexec_b64 s[4:5], vcc
	s_cbranch_execz .LBB833_184
; %bb.138:
	v_mov_b32_e32 v31, 0
	ds_read_b32 v2, v31 offset:1048
	v_mbcnt_lo_u32_b32 v3, -1, 0
	v_mbcnt_hi_u32_b32 v5, -1, v3
	s_mov_b32 s61, 0
	v_cmp_eq_u32_e64 s[50:51], 0, v5
	s_and_saveexec_b64 s[58:59], s[50:51]
	s_cbranch_execz .LBB833_140
; %bb.139:
	s_add_i32 s60, s67, 64
	s_lshl_b64 s[60:61], s[60:61], 3
	s_add_u32 s60, s64, s60
	v_mov_b32_e32 v3, 1
	s_addc_u32 s61, s65, s61
	s_waitcnt lgkmcnt(0)
	global_store_dwordx2 v31, v[2:3], s[60:61]
.LBB833_140:
	s_or_b64 exec, exec, s[58:59]
	v_xad_u32 v4, v5, -1, s67
	v_add_u32_e32 v30, 64, v4
	v_lshlrev_b64 v[26:27], 3, v[30:31]
	v_mov_b32_e32 v3, s65
	v_add_co_u32_e32 v26, vcc, s64, v26
	v_addc_co_u32_e32 v27, vcc, v3, v27, vcc
	global_load_dwordx2 v[28:29], v[26:27], off glc
	s_waitcnt vmcnt(0)
	v_cmp_eq_u16_sdwa s[60:61], v29, v31 src0_sel:BYTE_0 src1_sel:DWORD
	s_and_saveexec_b64 s[58:59], s[60:61]
	s_cbranch_execz .LBB833_146
; %bb.141:
	s_mov_b32 s68, 1
	s_mov_b64 s[60:61], 0
	v_mov_b32_e32 v3, 0
.LBB833_142:                            ; =>This Loop Header: Depth=1
                                        ;     Child Loop BB833_143 Depth 2
	s_max_u32 s69, s68, 1
.LBB833_143:                            ;   Parent Loop BB833_142 Depth=1
                                        ; =>  This Inner Loop Header: Depth=2
	s_add_i32 s69, s69, -1
	s_cmp_eq_u32 s69, 0
	s_sleep 1
	s_cbranch_scc0 .LBB833_143
; %bb.144:                              ;   in Loop: Header=BB833_142 Depth=1
	global_load_dwordx2 v[28:29], v[26:27], off glc
	s_cmp_lt_u32 s68, 32
	s_cselect_b64 s[74:75], -1, 0
	s_cmp_lg_u64 s[74:75], 0
	s_addc_u32 s68, s68, 0
	s_waitcnt vmcnt(0)
	v_cmp_ne_u16_sdwa s[74:75], v29, v3 src0_sel:BYTE_0 src1_sel:DWORD
	s_or_b64 s[60:61], s[74:75], s[60:61]
	s_andn2_b64 exec, exec, s[60:61]
	s_cbranch_execnz .LBB833_142
; %bb.145:
	s_or_b64 exec, exec, s[60:61]
.LBB833_146:
	s_or_b64 exec, exec, s[58:59]
	v_mov_b32_e32 v3, 2
	v_cmp_eq_u16_sdwa s[58:59], v29, v3 src0_sel:BYTE_0 src1_sel:DWORD
	v_lshlrev_b64 v[26:27], v5, -1
	v_and_b32_e32 v3, s59, v27
	v_or_b32_e32 v3, 0x80000000, v3
	v_ffbl_b32_e32 v3, v3
	v_add_u32_e32 v31, 32, v3
	v_and_b32_e32 v3, 63, v5
	v_cmp_ne_u32_e32 vcc, 63, v3
	v_addc_co_u32_e32 v39, vcc, 0, v5, vcc
	v_and_b32_e32 v50, 0xffffff, v28
	v_lshlrev_b32_e32 v39, 2, v39
	ds_bpermute_b32 v40, v39, v50
	v_and_b32_e32 v30, s58, v26
	v_ffbl_b32_e32 v30, v30
	v_min_u32_e32 v31, v30, v31
	v_lshrrev_b32_e32 v30, 16, v28
	v_cmp_lt_u32_e32 vcc, v3, v31
	v_bfe_u32 v48, v28, 16, 8
	s_and_saveexec_b64 s[58:59], vcc
	s_cbranch_execz .LBB833_148
; %bb.147:
	v_and_b32_e32 v30, 0xff0000, v28
	v_cmp_eq_u32_e32 vcc, 0, v30
	v_and_b32_e32 v30, 0x10000, v30
	v_mov_b32_e32 v43, 1
	s_waitcnt lgkmcnt(0)
	v_cndmask_b32_e32 v41, 0, v40, vcc
	v_and_b32_sdwa v40, v40, v43 dst_sel:DWORD dst_unused:UNUSED_PAD src0_sel:WORD_1 src1_sel:DWORD
	v_cmp_ne_u32_e32 vcc, 0, v30
	v_cndmask_b32_e64 v30, v40, 1, vcc
	v_add_u16_e32 v42, v41, v28
	v_lshlrev_b32_e32 v40, 16, v30
	v_add_u16_e32 v28, v41, v28
	v_or_b32_e32 v50, v40, v28
	v_mov_b32_e32 v28, v42
	v_mov_b32_e32 v48, v30
.LBB833_148:
	s_or_b64 exec, exec, s[58:59]
	v_cmp_gt_u32_e32 vcc, 62, v3
	s_waitcnt lgkmcnt(0)
	v_cndmask_b32_e64 v40, 0, 1, vcc
	v_lshlrev_b32_e32 v40, 1, v40
	v_add_lshl_u32 v40, v40, v5, 2
	ds_bpermute_b32 v42, v40, v50
	v_add_u32_e32 v41, 2, v3
	v_cmp_le_u32_e32 vcc, v41, v31
	s_and_saveexec_b64 s[58:59], vcc
	s_cbranch_execz .LBB833_150
; %bb.149:
	v_cmp_eq_u16_e32 vcc, 0, v48
	v_and_b32_e32 v30, 1, v48
	v_mov_b32_e32 v45, 1
	s_waitcnt lgkmcnt(0)
	v_cndmask_b32_e32 v43, 0, v42, vcc
	v_and_b32_sdwa v42, v42, v45 dst_sel:DWORD dst_unused:UNUSED_PAD src0_sel:WORD_1 src1_sel:DWORD
	v_cmp_eq_u32_e32 vcc, 1, v30
	v_cndmask_b32_e64 v30, v42, 1, vcc
	v_add_u16_e32 v44, v43, v28
	v_lshlrev_b32_e32 v42, 16, v30
	v_add_u16_e32 v28, v43, v28
	v_or_b32_e32 v50, v42, v28
	v_mov_b32_e32 v28, v44
	v_mov_b32_e32 v48, v30
.LBB833_150:
	s_or_b64 exec, exec, s[58:59]
	v_cmp_gt_u32_e32 vcc, 60, v3
	s_waitcnt lgkmcnt(0)
	v_cndmask_b32_e64 v42, 0, 1, vcc
	v_lshlrev_b32_e32 v42, 2, v42
	v_add_lshl_u32 v42, v42, v5, 2
	ds_bpermute_b32 v44, v42, v50
	v_add_u32_e32 v43, 4, v3
	v_cmp_le_u32_e32 vcc, v43, v31
	s_and_saveexec_b64 s[58:59], vcc
	s_cbranch_execz .LBB833_152
; %bb.151:
	v_cmp_eq_u16_e32 vcc, 0, v48
	v_and_b32_e32 v30, 1, v48
	v_mov_b32_e32 v47, 1
	s_waitcnt lgkmcnt(0)
	v_cndmask_b32_e32 v45, 0, v44, vcc
	v_and_b32_sdwa v44, v44, v47 dst_sel:DWORD dst_unused:UNUSED_PAD src0_sel:WORD_1 src1_sel:DWORD
	v_cmp_eq_u32_e32 vcc, 1, v30
	v_cndmask_b32_e64 v30, v44, 1, vcc
	v_add_u16_e32 v46, v45, v28
	v_lshlrev_b32_e32 v44, 16, v30
	v_add_u16_e32 v28, v45, v28
	v_or_b32_e32 v50, v44, v28
	v_mov_b32_e32 v28, v46
	v_mov_b32_e32 v48, v30
.LBB833_152:
	;; [unrolled: 27-line block ×4, first 2 shown]
	s_or_b64 exec, exec, s[58:59]
	v_cmp_gt_u32_e32 vcc, 32, v3
	s_waitcnt lgkmcnt(0)
	v_cndmask_b32_e64 v49, 0, 1, vcc
	v_lshlrev_b32_e32 v49, 5, v49
	v_add_lshl_u32 v49, v49, v5, 2
	ds_bpermute_b32 v5, v49, v50
	v_add_u32_e32 v50, 32, v3
	v_cmp_le_u32_e32 vcc, v50, v31
	s_and_saveexec_b64 s[58:59], vcc
	s_cbranch_execz .LBB833_158
; %bb.157:
	v_cmp_eq_u16_e32 vcc, 0, v48
	s_waitcnt lgkmcnt(0)
	v_cndmask_b32_e32 v30, 0, v5, vcc
	v_add_u16_e32 v28, v30, v28
	v_and_b32_e32 v30, 1, v48
	v_mov_b32_e32 v31, 1
	v_and_b32_sdwa v5, v5, v31 dst_sel:DWORD dst_unused:UNUSED_PAD src0_sel:WORD_1 src1_sel:DWORD
	v_cmp_eq_u32_e32 vcc, 1, v30
	v_cndmask_b32_e64 v30, v5, 1, vcc
.LBB833_158:
	s_or_b64 exec, exec, s[58:59]
	s_waitcnt lgkmcnt(0)
	v_mov_b32_e32 v5, 0
	v_mov_b32_e32 v52, 2
	;; [unrolled: 1-line block ×3, first 2 shown]
	s_branch .LBB833_160
.LBB833_159:                            ;   in Loop: Header=BB833_160 Depth=1
	s_or_b64 exec, exec, s[58:59]
	v_cmp_eq_u16_sdwa vcc, v48, v5 src0_sel:BYTE_0 src1_sel:DWORD
	v_and_b32_e32 v30, 1, v48
	v_cndmask_b32_e32 v28, 0, v28, vcc
	v_and_b32_e32 v31, 1, v31
	v_cmp_eq_u32_e32 vcc, 1, v30
	v_subrev_u32_e32 v4, 64, v4
	v_add_u16_e32 v28, v28, v51
	v_cndmask_b32_e64 v30, v31, 1, vcc
.LBB833_160:                            ; =>This Loop Header: Depth=1
                                        ;     Child Loop BB833_163 Depth 2
                                        ;       Child Loop BB833_164 Depth 3
	v_cmp_ne_u16_sdwa s[58:59], v29, v52 src0_sel:BYTE_0 src1_sel:DWORD
	v_cndmask_b32_e64 v29, 0, 1, s[58:59]
	;;#ASMSTART
	;;#ASMEND
	v_cmp_ne_u32_e32 vcc, 0, v29
	v_mov_b32_e32 v48, v30
	s_cmp_lg_u64 vcc, exec
	v_mov_b32_e32 v51, v28
	s_cbranch_scc1 .LBB833_179
; %bb.161:                              ;   in Loop: Header=BB833_160 Depth=1
	v_lshlrev_b64 v[28:29], 3, v[4:5]
	v_mov_b32_e32 v31, s65
	v_add_co_u32_e32 v30, vcc, s64, v28
	v_addc_co_u32_e32 v31, vcc, v31, v29, vcc
	global_load_dwordx2 v[28:29], v[30:31], off glc
	s_waitcnt vmcnt(0)
	v_cmp_eq_u16_sdwa s[60:61], v29, v5 src0_sel:BYTE_0 src1_sel:DWORD
	s_and_saveexec_b64 s[58:59], s[60:61]
	s_cbranch_execz .LBB833_167
; %bb.162:                              ;   in Loop: Header=BB833_160 Depth=1
	s_mov_b32 s68, 1
	s_mov_b64 s[60:61], 0
.LBB833_163:                            ;   Parent Loop BB833_160 Depth=1
                                        ; =>  This Loop Header: Depth=2
                                        ;       Child Loop BB833_164 Depth 3
	s_max_u32 s69, s68, 1
.LBB833_164:                            ;   Parent Loop BB833_160 Depth=1
                                        ;     Parent Loop BB833_163 Depth=2
                                        ; =>    This Inner Loop Header: Depth=3
	s_add_i32 s69, s69, -1
	s_cmp_eq_u32 s69, 0
	s_sleep 1
	s_cbranch_scc0 .LBB833_164
; %bb.165:                              ;   in Loop: Header=BB833_163 Depth=2
	global_load_dwordx2 v[28:29], v[30:31], off glc
	s_cmp_lt_u32 s68, 32
	s_cselect_b64 s[74:75], -1, 0
	s_cmp_lg_u64 s[74:75], 0
	s_addc_u32 s68, s68, 0
	s_waitcnt vmcnt(0)
	v_cmp_ne_u16_sdwa s[74:75], v29, v5 src0_sel:BYTE_0 src1_sel:DWORD
	s_or_b64 s[60:61], s[74:75], s[60:61]
	s_andn2_b64 exec, exec, s[60:61]
	s_cbranch_execnz .LBB833_163
; %bb.166:                              ;   in Loop: Header=BB833_160 Depth=1
	s_or_b64 exec, exec, s[60:61]
.LBB833_167:                            ;   in Loop: Header=BB833_160 Depth=1
	s_or_b64 exec, exec, s[58:59]
	v_cmp_eq_u16_sdwa s[58:59], v29, v52 src0_sel:BYTE_0 src1_sel:DWORD
	v_and_b32_e32 v30, s59, v27
	s_waitcnt lgkmcnt(0)
	v_and_b32_e32 v55, 0xffffff, v28
	v_or_b32_e32 v30, 0x80000000, v30
	ds_bpermute_b32 v56, v39, v55
	v_and_b32_e32 v31, s58, v26
	v_ffbl_b32_e32 v30, v30
	v_add_u32_e32 v30, 32, v30
	v_ffbl_b32_e32 v31, v31
	v_min_u32_e32 v30, v31, v30
	v_lshrrev_b32_e32 v31, 16, v28
	v_cmp_lt_u32_e32 vcc, v3, v30
	v_bfe_u32 v54, v28, 16, 8
	s_and_saveexec_b64 s[58:59], vcc
	s_cbranch_execz .LBB833_169
; %bb.168:                              ;   in Loop: Header=BB833_160 Depth=1
	v_and_b32_e32 v31, 0xff0000, v28
	v_cmp_eq_u32_e32 vcc, 0, v31
	v_and_b32_e32 v31, 0x10000, v31
	s_waitcnt lgkmcnt(0)
	v_cndmask_b32_e32 v54, 0, v56, vcc
	v_and_b32_sdwa v55, v56, v53 dst_sel:DWORD dst_unused:UNUSED_PAD src0_sel:WORD_1 src1_sel:DWORD
	v_cmp_ne_u32_e32 vcc, 0, v31
	v_cndmask_b32_e64 v31, v55, 1, vcc
	v_add_u16_e32 v57, v54, v28
	v_lshlrev_b32_e32 v55, 16, v31
	v_add_u16_e32 v28, v54, v28
	v_or_b32_e32 v55, v55, v28
	v_mov_b32_e32 v28, v57
	v_mov_b32_e32 v54, v31
.LBB833_169:                            ;   in Loop: Header=BB833_160 Depth=1
	s_or_b64 exec, exec, s[58:59]
	s_waitcnt lgkmcnt(0)
	ds_bpermute_b32 v56, v40, v55
	v_cmp_le_u32_e32 vcc, v41, v30
	s_and_saveexec_b64 s[58:59], vcc
	s_cbranch_execz .LBB833_171
; %bb.170:                              ;   in Loop: Header=BB833_160 Depth=1
	v_cmp_eq_u16_e32 vcc, 0, v54
	v_and_b32_e32 v31, 1, v54
	s_waitcnt lgkmcnt(0)
	v_cndmask_b32_e32 v55, 0, v56, vcc
	v_and_b32_sdwa v54, v56, v53 dst_sel:DWORD dst_unused:UNUSED_PAD src0_sel:WORD_1 src1_sel:DWORD
	v_cmp_eq_u32_e32 vcc, 1, v31
	v_cndmask_b32_e64 v31, v54, 1, vcc
	v_add_u16_e32 v57, v55, v28
	v_lshlrev_b32_e32 v54, 16, v31
	v_add_u16_e32 v28, v55, v28
	v_or_b32_e32 v55, v54, v28
	v_mov_b32_e32 v28, v57
	v_mov_b32_e32 v54, v31
.LBB833_171:                            ;   in Loop: Header=BB833_160 Depth=1
	s_or_b64 exec, exec, s[58:59]
	s_waitcnt lgkmcnt(0)
	ds_bpermute_b32 v56, v42, v55
	v_cmp_le_u32_e32 vcc, v43, v30
	s_and_saveexec_b64 s[58:59], vcc
	s_cbranch_execz .LBB833_173
; %bb.172:                              ;   in Loop: Header=BB833_160 Depth=1
	v_cmp_eq_u16_e32 vcc, 0, v54
	v_and_b32_e32 v31, 1, v54
	s_waitcnt lgkmcnt(0)
	v_cndmask_b32_e32 v55, 0, v56, vcc
	v_and_b32_sdwa v54, v56, v53 dst_sel:DWORD dst_unused:UNUSED_PAD src0_sel:WORD_1 src1_sel:DWORD
	v_cmp_eq_u32_e32 vcc, 1, v31
	v_cndmask_b32_e64 v31, v54, 1, vcc
	v_add_u16_e32 v57, v55, v28
	v_lshlrev_b32_e32 v54, 16, v31
	v_add_u16_e32 v28, v55, v28
	v_or_b32_e32 v55, v54, v28
	v_mov_b32_e32 v28, v57
	v_mov_b32_e32 v54, v31
.LBB833_173:                            ;   in Loop: Header=BB833_160 Depth=1
	;; [unrolled: 21-line block ×4, first 2 shown]
	s_or_b64 exec, exec, s[58:59]
	ds_bpermute_b32 v55, v49, v55
	v_cmp_le_u32_e32 vcc, v50, v30
	s_and_saveexec_b64 s[58:59], vcc
	s_cbranch_execz .LBB833_159
; %bb.178:                              ;   in Loop: Header=BB833_160 Depth=1
	v_cmp_eq_u16_e32 vcc, 0, v54
	s_waitcnt lgkmcnt(0)
	v_cndmask_b32_e32 v30, 0, v55, vcc
	v_add_u16_e32 v28, v30, v28
	v_and_b32_e32 v30, 1, v54
	v_lshrrev_b32_e32 v31, 16, v55
	v_cmp_eq_u32_e32 vcc, 1, v30
	v_cndmask_b32_e64 v31, v31, 1, vcc
	s_branch .LBB833_159
.LBB833_179:                            ;   in Loop: Header=BB833_160 Depth=1
                                        ; implicit-def: $vgpr30
                                        ; implicit-def: $vgpr28
	s_cbranch_execz .LBB833_160
; %bb.180:
	s_and_saveexec_b64 s[58:59], s[50:51]
	s_cbranch_execz .LBB833_182
; %bb.181:
	v_and_b32_e32 v3, 0xff0000, v2
	s_mov_b32 s51, 0
	v_cmp_eq_u32_e32 vcc, 0, v3
	v_and_b32_e32 v4, 0x10000, v2
	v_mov_b32_e32 v5, 1
	s_add_i32 s50, s67, 64
	v_cndmask_b32_e32 v3, 0, v51, vcc
	v_and_b32_sdwa v5, v48, v5 dst_sel:WORD_1 dst_unused:UNUSED_PAD src0_sel:DWORD src1_sel:DWORD
	v_mov_b32_e32 v26, 0x10000
	v_cmp_eq_u32_e32 vcc, 0, v4
	s_lshl_b64 s[50:51], s[50:51], 3
	v_cndmask_b32_e32 v4, v26, v5, vcc
	s_add_u32 s50, s64, s50
	v_add_u16_e32 v2, v3, v2
	s_addc_u32 s51, s65, s51
	v_mov_b32_e32 v5, 0
	v_or_b32_e32 v2, v4, v2
	v_mov_b32_e32 v3, 2
	global_store_dwordx2 v5, v[2:3], s[50:51]
.LBB833_182:
	s_or_b64 exec, exec, s[58:59]
	s_and_b64 exec, exec, s[0:1]
	s_cbranch_execz .LBB833_184
; %bb.183:
	v_mov_b32_e32 v2, 0
	ds_write_b16 v2, v51
	ds_write_b8 v2, v48 offset:2
.LBB833_184:
	s_or_b64 exec, exec, s[4:5]
	v_mov_b32_e32 v2, 0
	s_mov_b32 s4, 0x10000
	s_waitcnt lgkmcnt(0)
	s_barrier
	ds_read_b32 v3, v2
	v_cmp_gt_u32_e32 vcc, s4, v6
	v_and_b32_e32 v5, 0x10000, v6
	v_cndmask_b32_e32 v4, 0, v37, vcc
	v_and_b32_e32 v26, 1, v38
	v_cmp_ne_u32_e32 vcc, 0, v5
	v_cndmask_b32_e64 v5, v26, 1, vcc
	v_cndmask_b32_e64 v5, v5, v36, s[0:1]
	v_cndmask_b32_e64 v4, v4, 0, s[0:1]
	v_cmp_eq_u16_sdwa vcc, v5, v2 src0_sel:BYTE_0 src1_sel:DWORD
	v_add_u16_e32 v4, v4, v6
	s_waitcnt lgkmcnt(0)
	v_cndmask_b32_e32 v2, 0, v3, vcc
	v_add_u16_e32 v4, v4, v2
	v_cndmask_b32_e64 v2, 0, v4, s[6:7]
	v_add_u16_e32 v5, v2, v7
	v_cndmask_b32_e64 v2, 0, v5, s[8:9]
	;; [unrolled: 2-line block ×21, first 2 shown]
	v_add_u16_e32 v49, v2, v33
	s_branch .LBB833_227
.LBB833_185:
	s_or_b64 exec, exec, s[4:5]
                                        ; implicit-def: $vgpr17
	s_and_saveexec_b64 s[4:5], s[6:7]
	s_cbranch_execz .LBB833_51
.LBB833_186:
	v_mov_b32_e32 v17, s75
	v_add_co_u32_e32 v18, vcc, s74, v8
	v_addc_co_u32_e32 v19, vcc, 0, v17, vcc
	flat_load_ushort v17, v[18:19] offset:512
	s_or_b64 exec, exec, s[4:5]
                                        ; implicit-def: $vgpr18
	s_and_saveexec_b64 s[4:5], s[8:9]
	s_cbranch_execnz .LBB833_52
.LBB833_187:
	s_or_b64 exec, exec, s[4:5]
                                        ; implicit-def: $vgpr19
	s_and_saveexec_b64 s[4:5], s[10:11]
	s_cbranch_execz .LBB833_53
.LBB833_188:
	v_mov_b32_e32 v19, s75
	v_add_co_u32_e32 v20, vcc, s74, v8
	v_addc_co_u32_e32 v21, vcc, 0, v19, vcc
	flat_load_ushort v19, v[20:21] offset:1536
	s_or_b64 exec, exec, s[4:5]
                                        ; implicit-def: $vgpr20
	s_and_saveexec_b64 s[4:5], s[12:13]
	s_cbranch_execnz .LBB833_54
.LBB833_189:
	s_or_b64 exec, exec, s[4:5]
                                        ; implicit-def: $vgpr21
	s_and_saveexec_b64 s[4:5], s[14:15]
	s_cbranch_execz .LBB833_55
.LBB833_190:
	v_mov_b32_e32 v21, s75
	v_add_co_u32_e32 v22, vcc, s74, v8
	v_addc_co_u32_e32 v23, vcc, 0, v21, vcc
	flat_load_ushort v21, v[22:23] offset:2560
	s_or_b64 exec, exec, s[4:5]
                                        ; implicit-def: $vgpr22
	s_and_saveexec_b64 s[4:5], s[16:17]
	s_cbranch_execnz .LBB833_56
.LBB833_191:
	s_or_b64 exec, exec, s[4:5]
                                        ; implicit-def: $vgpr23
	s_and_saveexec_b64 s[4:5], s[18:19]
	s_cbranch_execz .LBB833_57
.LBB833_192:
	v_mov_b32_e32 v23, s75
	v_add_co_u32_e32 v24, vcc, s74, v8
	v_addc_co_u32_e32 v25, vcc, 0, v23, vcc
	flat_load_ushort v23, v[24:25] offset:3584
	s_or_b64 exec, exec, s[4:5]
                                        ; implicit-def: $vgpr24
	s_and_saveexec_b64 s[4:5], s[20:21]
	s_cbranch_execnz .LBB833_58
.LBB833_193:
	s_or_b64 exec, exec, s[4:5]
                                        ; implicit-def: $vgpr1
	s_and_saveexec_b64 s[4:5], s[22:23]
	s_cbranch_execz .LBB833_59
.LBB833_194:
	v_lshlrev_b32_e32 v1, 1, v2
	v_mov_b32_e32 v2, s75
	v_add_co_u32_e32 v40, vcc, s74, v1
	v_addc_co_u32_e32 v41, vcc, 0, v2, vcc
	flat_load_ushort v1, v[40:41]
	s_or_b64 exec, exec, s[4:5]
                                        ; implicit-def: $vgpr2
	s_and_saveexec_b64 s[4:5], s[24:25]
	s_cbranch_execnz .LBB833_60
.LBB833_195:
	s_or_b64 exec, exec, s[4:5]
                                        ; implicit-def: $vgpr3
	s_and_saveexec_b64 s[4:5], s[26:27]
	s_cbranch_execz .LBB833_61
.LBB833_196:
	v_lshlrev_b32_e32 v3, 1, v4
	v_mov_b32_e32 v4, s75
	v_add_co_u32_e32 v40, vcc, s74, v3
	v_addc_co_u32_e32 v41, vcc, 0, v4, vcc
	flat_load_ushort v3, v[40:41]
	s_or_b64 exec, exec, s[4:5]
                                        ; implicit-def: $vgpr4
	s_and_saveexec_b64 s[4:5], s[28:29]
	s_cbranch_execnz .LBB833_62
.LBB833_197:
	s_or_b64 exec, exec, s[4:5]
                                        ; implicit-def: $vgpr5
	s_and_saveexec_b64 s[4:5], s[30:31]
	s_cbranch_execz .LBB833_63
.LBB833_198:
	v_lshlrev_b32_e32 v5, 1, v6
	v_mov_b32_e32 v6, s75
	v_add_co_u32_e32 v40, vcc, s74, v5
	v_addc_co_u32_e32 v41, vcc, 0, v6, vcc
	flat_load_ushort v5, v[40:41]
	s_or_b64 exec, exec, s[4:5]
                                        ; implicit-def: $vgpr6
	s_and_saveexec_b64 s[4:5], s[34:35]
	s_cbranch_execnz .LBB833_64
.LBB833_199:
	s_or_b64 exec, exec, s[4:5]
                                        ; implicit-def: $vgpr7
	s_and_saveexec_b64 s[4:5], s[36:37]
	s_cbranch_execz .LBB833_65
.LBB833_200:
	v_lshlrev_b32_e32 v7, 1, v9
	v_mov_b32_e32 v9, s75
	v_add_co_u32_e32 v40, vcc, s74, v7
	v_addc_co_u32_e32 v41, vcc, 0, v9, vcc
	flat_load_ushort v7, v[40:41]
	s_or_b64 exec, exec, s[4:5]
                                        ; implicit-def: $vgpr9
	s_and_saveexec_b64 s[4:5], s[38:39]
	s_cbranch_execnz .LBB833_66
.LBB833_201:
	s_or_b64 exec, exec, s[4:5]
                                        ; implicit-def: $vgpr11
	s_and_saveexec_b64 s[4:5], s[40:41]
	s_cbranch_execz .LBB833_67
.LBB833_202:
	v_lshlrev_b32_e32 v11, 1, v12
	v_mov_b32_e32 v12, s75
	v_add_co_u32_e32 v40, vcc, s74, v11
	v_addc_co_u32_e32 v41, vcc, 0, v12, vcc
	flat_load_ushort v11, v[40:41]
	s_or_b64 exec, exec, s[4:5]
                                        ; implicit-def: $vgpr12
	s_and_saveexec_b64 s[4:5], s[42:43]
	s_cbranch_execnz .LBB833_68
.LBB833_203:
	s_or_b64 exec, exec, s[4:5]
                                        ; implicit-def: $vgpr13
	s_and_saveexec_b64 s[4:5], s[44:45]
	s_cbranch_execz .LBB833_69
.LBB833_204:
	v_lshlrev_b32_e32 v13, 1, v14
	v_mov_b32_e32 v14, s75
	v_add_co_u32_e32 v40, vcc, s74, v13
	v_addc_co_u32_e32 v41, vcc, 0, v14, vcc
	flat_load_ushort v13, v[40:41]
	s_or_b64 exec, exec, s[4:5]
                                        ; implicit-def: $vgpr14
	s_and_saveexec_b64 s[4:5], s[46:47]
	s_cbranch_execz .LBB833_71
	s_branch .LBB833_70
.LBB833_205:
                                        ; implicit-def: $vgpr4
                                        ; implicit-def: $vgpr5
                                        ; implicit-def: $vgpr26
                                        ; implicit-def: $vgpr27
                                        ; implicit-def: $vgpr28
                                        ; implicit-def: $vgpr29
                                        ; implicit-def: $vgpr30
                                        ; implicit-def: $vgpr31
                                        ; implicit-def: $vgpr36
                                        ; implicit-def: $vgpr37
                                        ; implicit-def: $vgpr38
                                        ; implicit-def: $vgpr39
                                        ; implicit-def: $vgpr40
                                        ; implicit-def: $vgpr41
                                        ; implicit-def: $vgpr42
                                        ; implicit-def: $vgpr43
                                        ; implicit-def: $vgpr44
                                        ; implicit-def: $vgpr45
                                        ; implicit-def: $vgpr46
                                        ; implicit-def: $vgpr47
                                        ; implicit-def: $vgpr48
                                        ; implicit-def: $vgpr49
	s_cbranch_execz .LBB833_227
; %bb.206:
	s_cmp_lg_u64 s[72:73], 0
	s_cselect_b32 s7, s71, 0
	s_cselect_b32 s6, s70, 0
	s_cmp_lg_u64 s[6:7], 0
	s_cselect_b64 s[4:5], -1, 0
	s_and_b64 s[8:9], s[0:1], s[4:5]
	v_mov_b32_e32 v4, v6
	s_and_saveexec_b64 s[4:5], s[8:9]
	s_cbranch_execz .LBB833_208
; %bb.207:
	v_mov_b32_e32 v2, 0
	global_load_ushort v3, v2, s[6:7]
	global_load_ubyte v4, v2, s[6:7] offset:2
	s_mov_b32 s6, 0x10000
	v_and_b32_e32 v2, 0x10000, v6
	v_mov_b32_e32 v5, 1
	v_cmp_gt_u32_e32 vcc, s6, v6
	v_mov_b32_e32 v26, 0x10000
	s_waitcnt vmcnt(1)
	v_cndmask_b32_e32 v3, 0, v3, vcc
	s_waitcnt vmcnt(0)
	v_and_b32_sdwa v4, v4, v5 dst_sel:WORD_1 dst_unused:UNUSED_PAD src0_sel:DWORD src1_sel:DWORD
	v_cmp_eq_u32_e32 vcc, 0, v2
	v_add_u16_e32 v3, v3, v6
	v_cndmask_b32_e32 v2, v26, v4, vcc
	v_or_b32_e32 v4, v2, v3
.LBB833_208:
	s_or_b64 exec, exec, s[4:5]
	s_mov_b32 s4, 0x10000
	v_cmp_gt_u32_e32 vcc, s4, v7
	v_cndmask_b32_e32 v3, 0, v4, vcc
	v_add_u16_e32 v5, v3, v7
	v_cmp_gt_u32_e64 s[6:7], s4, v8
	v_cndmask_b32_e64 v3, 0, v5, s[6:7]
	v_add_u16_e32 v26, v3, v8
	v_cmp_gt_u32_e64 s[8:9], s4, v9
	v_cndmask_b32_e64 v3, 0, v26, s[8:9]
	;; [unrolled: 3-line block ×20, first 2 shown]
	v_add_u16_e32 v49, v3, v33
	v_or3_b32 v3, v35, v14, v25
	v_or3_b32 v3, v3, v24, v23
	v_or3_b32 v3, v3, v22, v21
	v_or3_b32 v3, v3, v20, v19
	v_or3_b32 v3, v3, v18, v17
	v_or3_b32 v3, v3, v16, v13
	v_or3_b32 v3, v3, v12, v11
	v_or3_b32 v3, v3, v10, v9
	v_or3_b32 v3, v3, v8, v7
	v_and_b32_e32 v3, 0x10000, v3
	v_lshrrev_b32_e32 v2, 16, v4
	v_cmp_ne_u32_e64 s[4:5], 0, v3
	v_mov_b32_e32 v35, 0x10000
	v_cndmask_b32_e64 v3, v2, 1, s[4:5]
	v_add_lshl_u32 v2, v34, v0, 2
	v_cmp_gt_u32_e64 s[4:5], 64, v0
	ds_write_b16 v2, v49
	ds_write_b8 v2, v3 offset:2
	s_waitcnt lgkmcnt(0)
	s_barrier
	s_and_saveexec_b64 s[48:49], s[4:5]
	s_cbranch_execz .LBB833_222
; %bb.209:
	v_lshlrev_b32_e32 v2, 2, v0
	v_lshrrev_b32_e32 v6, 3, v0
	v_add_lshl_u32 v2, v6, v2, 2
	ds_read_b32 v6, v2
	ds_read_u16 v34, v2 offset:4
	ds_read_u8 v50, v2 offset:6
	ds_read_u16 v51, v2 offset:8
	ds_read_u8 v52, v2 offset:10
	;; [unrolled: 2-line block ×3, first 2 shown]
	v_mov_b32_e32 v55, 0
	s_waitcnt lgkmcnt(4)
	v_cmp_eq_u16_sdwa s[4:5], v50, v55 src0_sel:BYTE_0 src1_sel:DWORD
	v_cndmask_b32_e64 v56, 0, v6, s[4:5]
	v_add_u16_e32 v56, v56, v34
	s_waitcnt lgkmcnt(2)
	v_cmp_eq_u16_sdwa s[4:5], v52, v55 src0_sel:BYTE_0 src1_sel:DWORD
	s_waitcnt lgkmcnt(0)
	v_or_b32_e32 v52, v54, v52
	v_cndmask_b32_e64 v55, 0, v56, s[4:5]
	v_or_b32_e32 v50, v52, v50
	v_add_u16_e32 v51, v55, v51
	v_cmp_eq_u16_e64 s[4:5], 0, v54
	v_and_b32_e32 v50, 1, v50
	v_and_b32_e32 v34, 0x10000, v6
	v_cndmask_b32_e64 v55, 0, v51, s[4:5]
	v_cmp_eq_u32_e64 s[4:5], 1, v50
	v_mbcnt_lo_u32_b32 v50, -1, 0
	v_add_u16_e32 v51, v55, v53
	v_cndmask_b32_e64 v56, v34, v35, s[4:5]
	v_add_u16_e32 v53, v55, v53
	v_and_b32_e32 v35, 0xff000000, v6
	v_mbcnt_hi_u32_b32 v50, -1, v50
	v_or_b32_e32 v54, v56, v35
	v_and_b32_e32 v55, 15, v50
	v_or3_b32 v53, v35, v53, v56
	s_movk_i32 s58, 0xff
	v_lshrrev_b32_e32 v52, 16, v54
	v_mov_b32_dpp v56, v53 row_shr:1 row_mask:0xf bank_mask:0xf
	v_cmp_ne_u32_e64 s[4:5], 0, v55
	s_and_saveexec_b64 s[50:51], s[4:5]
	s_cbranch_execz .LBB833_211
; %bb.210:
	v_and_b32_sdwa v52, v54, s58 dst_sel:DWORD dst_unused:UNUSED_PAD src0_sel:WORD_1 src1_sel:DWORD
	v_cmp_eq_u16_e64 s[4:5], 0, v52
	v_and_b32_e32 v52, 0x10000, v54
	v_mov_b32_e32 v54, 1
	v_cndmask_b32_e64 v53, 0, v56, s[4:5]
	v_and_b32_sdwa v54, v56, v54 dst_sel:DWORD dst_unused:UNUSED_PAD src0_sel:WORD_1 src1_sel:DWORD
	v_cmp_ne_u32_e64 s[4:5], 0, v52
	v_cndmask_b32_e64 v52, v54, 1, s[4:5]
	v_add_u16_e32 v57, v53, v51
	v_lshlrev_b32_e32 v54, 16, v52
	v_add_u16_e32 v51, v53, v51
	v_or3_b32 v53, v54, v51, v35
	v_mov_b32_e32 v51, v57
.LBB833_211:
	s_or_b64 exec, exec, s[50:51]
	v_lshrrev_b32_e32 v54, 16, v53
	v_mov_b32_dpp v56, v53 row_shr:2 row_mask:0xf bank_mask:0xf
	v_cmp_lt_u32_e64 s[4:5], 1, v55
	s_and_saveexec_b64 s[50:51], s[4:5]
	s_cbranch_execz .LBB833_213
; %bb.212:
	v_mov_b32_e32 v52, 0
	v_cmp_eq_u16_sdwa s[4:5], v54, v52 src0_sel:BYTE_0 src1_sel:DWORD
	v_and_b32_e32 v52, 0x10000, v53
	v_mov_b32_e32 v53, 1
	v_cndmask_b32_e64 v54, 0, v56, s[4:5]
	v_and_b32_sdwa v53, v56, v53 dst_sel:DWORD dst_unused:UNUSED_PAD src0_sel:WORD_1 src1_sel:DWORD
	v_cmp_ne_u32_e64 s[4:5], 0, v52
	v_cndmask_b32_e64 v52, v53, 1, s[4:5]
	v_add_u16_e32 v57, v54, v51
	v_lshlrev_b32_e32 v53, 16, v52
	v_add_u16_e32 v51, v54, v51
	v_or3_b32 v53, v53, v51, v35
	v_mov_b32_e32 v54, v52
	v_mov_b32_e32 v51, v57
.LBB833_213:
	s_or_b64 exec, exec, s[50:51]
	v_mov_b32_dpp v56, v53 row_shr:4 row_mask:0xf bank_mask:0xf
	v_cmp_lt_u32_e64 s[4:5], 3, v55
	s_and_saveexec_b64 s[50:51], s[4:5]
	s_cbranch_execz .LBB833_215
; %bb.214:
	v_mov_b32_e32 v52, 0
	v_cmp_eq_u16_sdwa s[4:5], v54, v52 src0_sel:BYTE_0 src1_sel:DWORD
	v_and_b32_e32 v52, 1, v54
	v_mov_b32_e32 v54, 1
	v_cndmask_b32_e64 v53, 0, v56, s[4:5]
	v_and_b32_sdwa v54, v56, v54 dst_sel:DWORD dst_unused:UNUSED_PAD src0_sel:WORD_1 src1_sel:DWORD
	v_cmp_eq_u32_e64 s[4:5], 1, v52
	v_cndmask_b32_e64 v52, v54, 1, s[4:5]
	v_add_u16_e32 v57, v53, v51
	v_lshlrev_b32_e32 v54, 16, v52
	v_add_u16_e32 v51, v53, v51
	v_or3_b32 v53, v54, v51, v35
	v_mov_b32_e32 v54, v52
	v_mov_b32_e32 v51, v57
.LBB833_215:
	s_or_b64 exec, exec, s[50:51]
	v_mov_b32_dpp v56, v53 row_shr:8 row_mask:0xf bank_mask:0xf
	v_cmp_lt_u32_e64 s[4:5], 7, v55
	s_and_saveexec_b64 s[50:51], s[4:5]
	s_cbranch_execz .LBB833_217
; %bb.216:
	v_mov_b32_e32 v52, 0
	v_cmp_eq_u16_sdwa s[4:5], v54, v52 src0_sel:BYTE_0 src1_sel:DWORD
	v_and_b32_e32 v52, 1, v54
	v_mov_b32_e32 v54, 1
	v_cndmask_b32_e64 v53, 0, v56, s[4:5]
	v_and_b32_sdwa v54, v56, v54 dst_sel:DWORD dst_unused:UNUSED_PAD src0_sel:WORD_1 src1_sel:DWORD
	v_cmp_eq_u32_e64 s[4:5], 1, v52
	v_cndmask_b32_e64 v52, v54, 1, s[4:5]
	v_add_u16_e32 v55, v53, v51
	v_lshlrev_b32_e32 v54, 16, v52
	v_add_u16_e32 v51, v53, v51
	v_or3_b32 v53, v54, v51, v35
	v_mov_b32_e32 v54, v52
	v_mov_b32_e32 v51, v55
.LBB833_217:
	s_or_b64 exec, exec, s[50:51]
	v_and_b32_e32 v56, 16, v50
	v_mov_b32_dpp v55, v53 row_bcast:15 row_mask:0xf bank_mask:0xf
	v_cmp_ne_u32_e64 s[4:5], 0, v56
	s_and_saveexec_b64 s[50:51], s[4:5]
	s_cbranch_execz .LBB833_219
; %bb.218:
	v_mov_b32_e32 v52, 0
	v_cmp_eq_u16_sdwa s[4:5], v54, v52 src0_sel:BYTE_0 src1_sel:DWORD
	v_and_b32_e32 v52, 1, v54
	v_mov_b32_e32 v54, 1
	v_cndmask_b32_e64 v53, 0, v55, s[4:5]
	v_and_b32_sdwa v54, v55, v54 dst_sel:DWORD dst_unused:UNUSED_PAD src0_sel:WORD_1 src1_sel:DWORD
	v_cmp_eq_u32_e64 s[4:5], 1, v52
	v_cndmask_b32_e64 v52, v54, 1, s[4:5]
	v_add_u16_e32 v56, v53, v51
	v_lshlrev_b32_e32 v54, 16, v52
	v_add_u16_e32 v51, v53, v51
	v_or3_b32 v53, v54, v51, v35
	v_mov_b32_e32 v54, v52
	v_mov_b32_e32 v51, v56
.LBB833_219:
	s_or_b64 exec, exec, s[50:51]
	v_mov_b32_dpp v53, v53 row_bcast:31 row_mask:0xf bank_mask:0xf
	v_cmp_lt_u32_e64 s[4:5], 31, v50
	s_and_saveexec_b64 s[50:51], s[4:5]
; %bb.220:
	v_mov_b32_e32 v52, 0
	v_cmp_eq_u16_sdwa s[4:5], v54, v52 src0_sel:BYTE_0 src1_sel:DWORD
	v_cndmask_b32_e64 v52, 0, v53, s[4:5]
	v_add_u16_e32 v51, v52, v51
	v_and_b32_e32 v52, 1, v54
	v_mov_b32_e32 v54, 1
	v_and_b32_sdwa v53, v53, v54 dst_sel:DWORD dst_unused:UNUSED_PAD src0_sel:WORD_1 src1_sel:DWORD
	v_cmp_eq_u32_e64 s[4:5], 1, v52
	v_cndmask_b32_e64 v52, v53, 1, s[4:5]
; %bb.221:
	s_or_b64 exec, exec, s[50:51]
	v_and_b32_e32 v52, 0xff, v52
	v_lshlrev_b32_e32 v52, 16, v52
	v_and_b32_e32 v51, 0xffff, v51
	v_or3_b32 v35, v52, v51, v35
	v_add_u32_e32 v51, -1, v50
	v_and_b32_e32 v52, 64, v50
	v_cmp_lt_i32_e64 s[4:5], v51, v52
	v_cndmask_b32_e64 v50, v51, v50, s[4:5]
	v_lshlrev_b32_e32 v50, 2, v50
	ds_bpermute_b32 v35, v50, v35
	v_and_b32_e32 v50, 0xff0000, v6
	v_cmp_eq_u32_e64 s[4:5], 0, v50
	; wave barrier
	s_waitcnt lgkmcnt(0)
	v_cndmask_b32_e64 v50, 0, v35, s[4:5]
	v_add_u16_e32 v6, v50, v6
	v_mov_b32_e32 v50, 1
	v_and_b32_sdwa v35, v35, v50 dst_sel:DWORD dst_unused:UNUSED_PAD src0_sel:WORD_1 src1_sel:DWORD
	v_cmp_eq_u32_e64 s[4:5], 0, v34
	v_cndmask_b32_e64 v34, 1, v35, s[4:5]
	v_cndmask_b32_e64 v6, v6, v49, s[0:1]
	;; [unrolled: 1-line block ×3, first 2 shown]
	ds_write_b16 v2, v6
	ds_write_b8 v2, v3 offset:2
	; wave barrier
	ds_read_u16 v34, v2 offset:4
	ds_read_u8 v35, v2 offset:6
	ds_read_u16 v50, v2 offset:8
	ds_read_u8 v51, v2 offset:10
	;; [unrolled: 2-line block ×3, first 2 shown]
	s_waitcnt lgkmcnt(4)
	v_cmp_eq_u16_e64 s[4:5], 0, v35
	v_cndmask_b32_e64 v6, 0, v6, s[4:5]
	v_add_u16_e32 v6, v6, v34
	v_and_b32_e32 v34, 1, v35
	v_cmp_eq_u32_e64 s[4:5], 1, v34
	v_cndmask_b32_e64 v3, v3, 1, s[4:5]
	s_waitcnt lgkmcnt(2)
	v_cmp_eq_u16_e64 s[4:5], 0, v51
	v_and_b32_e32 v34, 1, v51
	ds_write_b16 v2, v6 offset:4
	ds_write_b8 v2, v3 offset:6
	v_cndmask_b32_e64 v6, 0, v6, s[4:5]
	v_cmp_eq_u32_e64 s[4:5], 1, v34
	v_add_u16_e32 v6, v6, v50
	v_cndmask_b32_e64 v3, v3, 1, s[4:5]
	s_waitcnt lgkmcnt(2)
	v_cmp_eq_u16_e64 s[4:5], 0, v53
	ds_write_b16 v2, v6 offset:8
	ds_write_b8 v2, v3 offset:10
	v_cndmask_b32_e64 v6, 0, v6, s[4:5]
	v_and_b32_e32 v34, 1, v53
	v_add_u16_e32 v6, v6, v52
	v_cmp_eq_u32_e64 s[4:5], 1, v34
	v_cndmask_b32_e64 v3, v3, 1, s[4:5]
	ds_write_b16 v2, v6 offset:12
	ds_write_b8 v2, v3 offset:14
.LBB833_222:
	s_or_b64 exec, exec, s[48:49]
	v_mov_b32_e32 v2, v49
	s_waitcnt lgkmcnt(0)
	s_barrier
	s_and_saveexec_b64 s[4:5], s[52:53]
	s_cbranch_execz .LBB833_271
; %bb.223:
	v_add_u32_e32 v2, -1, v0
	v_lshrrev_b32_e32 v3, 5, v2
	v_add_lshl_u32 v2, v3, v2, 2
	ds_read_u16 v2, v2
	s_or_b64 exec, exec, s[4:5]
	s_and_saveexec_b64 s[48:49], s[52:53]
	s_cbranch_execnz .LBB833_272
.LBB833_224:
	s_or_b64 exec, exec, s[48:49]
	s_and_saveexec_b64 s[4:5], s[0:1]
	s_cbranch_execz .LBB833_226
.LBB833_225:
	v_mov_b32_e32 v1, 0
	s_waitcnt lgkmcnt(0)
	ds_read_u8 v2, v1 offset:1050
	ds_read_u16 v3, v1 offset:1048
	s_waitcnt lgkmcnt(1)
	v_lshlrev_b32_e32 v2, 16, v2
	s_waitcnt lgkmcnt(0)
	v_or_b32_e32 v2, v2, v3
	v_mov_b32_e32 v3, 2
	global_store_dwordx2 v1, v[2:3], s[64:65] offset:512
.LBB833_226:
	s_or_b64 exec, exec, s[4:5]
.LBB833_227:
	s_add_u32 s0, s62, s54
	s_addc_u32 s1, s63, s55
	s_add_u32 s4, s0, s56
	s_addc_u32 s5, s1, s57
	s_and_b64 vcc, exec, s[2:3]
	v_mul_u32_u24_e32 v7, 22, v0
	s_cbranch_vccz .LBB833_273
; %bb.228:
	s_mov_b32 s0, 0x5040100
	v_lshlrev_b32_e32 v33, 1, v7
	v_perm_b32 v1, v27, v26, s0
	s_waitcnt lgkmcnt(0)
	v_perm_b32 v2, v5, v4, s0
	s_barrier
	ds_write2_b32 v33, v2, v1 offset1:1
	v_perm_b32 v1, v31, v30, s0
	v_perm_b32 v2, v29, v28, s0
	ds_write2_b32 v33, v2, v1 offset0:2 offset1:3
	v_perm_b32 v1, v39, v38, s0
	v_perm_b32 v2, v37, v36, s0
	ds_write2_b32 v33, v2, v1 offset0:4 offset1:5
	;; [unrolled: 3-line block ×4, first 2 shown]
	v_perm_b32 v1, v49, v48, s0
	s_movk_i32 s0, 0xffd6
	v_mad_i32_i24 v2, v0, s0, v33
	ds_write_b32 v33, v1 offset:40
	s_waitcnt lgkmcnt(0)
	s_barrier
	ds_read_u16 v35, v2 offset:512
	ds_read_u16 v34, v2 offset:1024
	;; [unrolled: 1-line block ×21, first 2 shown]
	v_mov_b32_e32 v3, s5
	v_add_co_u32_e32 v2, vcc, s4, v32
	s_add_i32 s33, s33, s66
	v_addc_co_u32_e32 v3, vcc, 0, v3, vcc
	v_mov_b32_e32 v1, 0
	v_cmp_gt_u32_e32 vcc, s33, v0
	s_and_saveexec_b64 s[0:1], vcc
	s_cbranch_execz .LBB833_230
; %bb.229:
	v_mul_i32_i24_e32 v50, 0xffffffd6, v0
	v_add_u32_e32 v33, v33, v50
	ds_read_u16 v33, v33
	s_waitcnt lgkmcnt(0)
	flat_store_short v[2:3], v33
.LBB833_230:
	s_or_b64 exec, exec, s[0:1]
	v_or_b32_e32 v33, 0x100, v0
	v_cmp_gt_u32_e32 vcc, s33, v33
	s_and_saveexec_b64 s[0:1], vcc
	s_cbranch_execz .LBB833_232
; %bb.231:
	s_waitcnt lgkmcnt(0)
	flat_store_short v[2:3], v35 offset:512
.LBB833_232:
	s_or_b64 exec, exec, s[0:1]
	v_or_b32_e32 v33, 0x200, v0
	v_cmp_gt_u32_e32 vcc, s33, v33
	s_and_saveexec_b64 s[0:1], vcc
	s_cbranch_execz .LBB833_234
; %bb.233:
	s_waitcnt lgkmcnt(0)
	flat_store_short v[2:3], v34 offset:1024
.LBB833_234:
	;; [unrolled: 9-line block ×3, first 2 shown]
	s_or_b64 exec, exec, s[0:1]
	s_waitcnt lgkmcnt(0)
	v_or_b32_e32 v25, 0x400, v0
	v_cmp_gt_u32_e32 vcc, s33, v25
	s_and_saveexec_b64 s[0:1], vcc
	s_cbranch_execz .LBB833_238
; %bb.237:
	flat_store_short v[2:3], v24 offset:2048
.LBB833_238:
	s_or_b64 exec, exec, s[0:1]
	v_or_b32_e32 v24, 0x500, v0
	v_cmp_gt_u32_e32 vcc, s33, v24
	s_and_saveexec_b64 s[0:1], vcc
	s_cbranch_execz .LBB833_240
; %bb.239:
	flat_store_short v[2:3], v23 offset:2560
.LBB833_240:
	s_or_b64 exec, exec, s[0:1]
	;; [unrolled: 8-line block ×4, first 2 shown]
	v_or_b32_e32 v21, 0x800, v0
	v_cmp_gt_u32_e32 vcc, s33, v21
	s_and_saveexec_b64 s[0:1], vcc
	s_cbranch_execz .LBB833_246
; %bb.245:
	v_add_co_u32_e32 v22, vcc, 0x1000, v2
	v_addc_co_u32_e32 v23, vcc, 0, v3, vcc
	flat_store_short v[22:23], v20
.LBB833_246:
	s_or_b64 exec, exec, s[0:1]
	v_or_b32_e32 v20, 0x900, v0
	v_cmp_gt_u32_e32 vcc, s33, v20
	s_and_saveexec_b64 s[0:1], vcc
	s_cbranch_execz .LBB833_248
; %bb.247:
	v_add_co_u32_e32 v20, vcc, 0x1000, v2
	v_addc_co_u32_e32 v21, vcc, 0, v3, vcc
	flat_store_short v[20:21], v19 offset:512
.LBB833_248:
	s_or_b64 exec, exec, s[0:1]
	v_or_b32_e32 v19, 0xa00, v0
	v_cmp_gt_u32_e32 vcc, s33, v19
	s_and_saveexec_b64 s[0:1], vcc
	s_cbranch_execz .LBB833_250
; %bb.249:
	v_add_co_u32_e32 v20, vcc, 0x1000, v2
	v_addc_co_u32_e32 v21, vcc, 0, v3, vcc
	flat_store_short v[20:21], v18 offset:1024
.LBB833_250:
	;; [unrolled: 10-line block ×7, first 2 shown]
	s_or_b64 exec, exec, s[0:1]
	v_or_b32_e32 v13, 0x1000, v0
	v_cmp_gt_u32_e32 vcc, s33, v13
	s_and_saveexec_b64 s[0:1], vcc
	s_cbranch_execz .LBB833_262
; %bb.261:
	v_add_co_u32_e32 v14, vcc, 0x2000, v2
	v_addc_co_u32_e32 v15, vcc, 0, v3, vcc
	flat_store_short v[14:15], v12
.LBB833_262:
	s_or_b64 exec, exec, s[0:1]
	v_or_b32_e32 v12, 0x1100, v0
	v_cmp_gt_u32_e32 vcc, s33, v12
	s_and_saveexec_b64 s[0:1], vcc
	s_cbranch_execz .LBB833_264
; %bb.263:
	v_add_co_u32_e32 v12, vcc, 0x2000, v2
	v_addc_co_u32_e32 v13, vcc, 0, v3, vcc
	flat_store_short v[12:13], v11 offset:512
.LBB833_264:
	s_or_b64 exec, exec, s[0:1]
	v_or_b32_e32 v11, 0x1200, v0
	v_cmp_gt_u32_e32 vcc, s33, v11
	s_and_saveexec_b64 s[0:1], vcc
	s_cbranch_execz .LBB833_266
; %bb.265:
	v_add_co_u32_e32 v12, vcc, 0x2000, v2
	v_addc_co_u32_e32 v13, vcc, 0, v3, vcc
	flat_store_short v[12:13], v10 offset:1024
.LBB833_266:
	;; [unrolled: 10-line block ×4, first 2 shown]
	s_or_b64 exec, exec, s[0:1]
	v_or_b32_e32 v2, 0x1500, v0
	v_cmp_gt_u32_e64 s[0:1], s33, v2
	s_branch .LBB833_275
.LBB833_271:
	s_or_b64 exec, exec, s[4:5]
	s_and_saveexec_b64 s[48:49], s[52:53]
	s_cbranch_execz .LBB833_224
.LBB833_272:
	s_mov_b32 s4, 0x10000
	s_waitcnt lgkmcnt(0)
	v_and_b32_e32 v2, 0xffff, v2
	v_cmp_gt_u32_e64 s[4:5], s4, v4
	v_cndmask_b32_e64 v2, 0, v2, s[4:5]
	v_add_u32_e32 v4, v2, v4
	v_cndmask_b32_e32 v2, 0, v4, vcc
	v_add_u16_e32 v5, v2, v7
	v_cndmask_b32_e64 v2, 0, v5, s[6:7]
	v_add_u16_e32 v26, v2, v8
	v_cndmask_b32_e64 v2, 0, v26, s[8:9]
	;; [unrolled: 2-line block ×20, first 2 shown]
	v_add_u16_e32 v49, v1, v33
	;;#ASMSTART
	;;#ASMEND
	s_or_b64 exec, exec, s[48:49]
	s_and_saveexec_b64 s[4:5], s[0:1]
	s_cbranch_execnz .LBB833_225
	s_branch .LBB833_226
.LBB833_273:
	s_mov_b64 s[0:1], 0
                                        ; implicit-def: $vgpr6
	s_cbranch_execz .LBB833_275
; %bb.274:
	s_mov_b32 s2, 0x5040100
	s_waitcnt lgkmcnt(0)
	v_lshlrev_b32_e32 v2, 1, v7
	v_perm_b32 v1, v27, v26, s2
	v_perm_b32 v3, v5, v4, s2
	s_barrier
	ds_write2_b32 v2, v3, v1 offset1:1
	v_perm_b32 v1, v31, v30, s2
	v_perm_b32 v3, v29, v28, s2
	ds_write2_b32 v2, v3, v1 offset0:2 offset1:3
	v_perm_b32 v1, v39, v38, s2
	v_perm_b32 v3, v37, v36, s2
	ds_write2_b32 v2, v3, v1 offset0:4 offset1:5
	;; [unrolled: 3-line block ×4, first 2 shown]
	v_perm_b32 v1, v49, v48, s2
	s_movk_i32 s2, 0xffd6
	ds_write_b32 v2, v1 offset:40
	v_mad_i32_i24 v2, v0, s2, v2
	s_waitcnt lgkmcnt(0)
	s_barrier
	ds_read_u16 v4, v2
	ds_read_u16 v5, v2 offset:512
	ds_read_u16 v7, v2 offset:1024
	;; [unrolled: 1-line block ×21, first 2 shown]
	v_mov_b32_e32 v3, s5
	v_add_co_u32_e32 v2, vcc, s4, v32
	v_addc_co_u32_e32 v3, vcc, 0, v3, vcc
	s_movk_i32 s2, 0x1000
	s_waitcnt lgkmcnt(0)
	flat_store_short v[2:3], v4
	flat_store_short v[2:3], v5 offset:512
	flat_store_short v[2:3], v7 offset:1024
	;; [unrolled: 1-line block ×7, first 2 shown]
	v_add_co_u32_e32 v4, vcc, s2, v2
	v_addc_co_u32_e32 v5, vcc, 0, v3, vcc
	v_add_co_u32_e32 v2, vcc, 0x2000, v2
	v_mov_b32_e32 v1, 0
	v_addc_co_u32_e32 v3, vcc, 0, v3, vcc
	s_or_b64 s[0:1], s[0:1], exec
	flat_store_short v[4:5], v13
	flat_store_short v[4:5], v14 offset:512
	flat_store_short v[4:5], v15 offset:1024
	;; [unrolled: 1-line block ×7, first 2 shown]
	flat_store_short v[2:3], v21
	flat_store_short v[2:3], v22 offset:512
	flat_store_short v[2:3], v23 offset:1024
	;; [unrolled: 1-line block ×4, first 2 shown]
.LBB833_275:
	s_and_saveexec_b64 s[2:3], s[0:1]
	s_cbranch_execz .LBB833_277
; %bb.276:
	v_lshlrev_b64 v[0:1], 1, v[0:1]
	s_waitcnt lgkmcnt(0)
	v_mov_b32_e32 v2, s5
	v_add_co_u32_e32 v0, vcc, s4, v0
	v_addc_co_u32_e32 v1, vcc, v2, v1, vcc
	v_add_co_u32_e32 v0, vcc, 0x2000, v0
	v_addc_co_u32_e32 v1, vcc, 0, v1, vcc
	flat_store_short v[0:1], v6 offset:2560
	s_endpgm
.LBB833_277:
	s_endpgm
	.section	.rodata,"a",@progbits
	.p2align	6, 0x0
	.amdhsa_kernel _ZN7rocprim17ROCPRIM_400000_NS6detail17trampoline_kernelINS0_14default_configENS1_27scan_by_key_config_selectorIssEEZZNS1_16scan_by_key_implILNS1_25lookback_scan_determinismE0ELb0ES3_N6thrust23THRUST_200600_302600_NS6detail15normal_iteratorINS9_10device_ptrIsEEEESE_SE_sNS9_4plusIsEE19head_flag_predicatesEE10hipError_tPvRmT2_T3_T4_T5_mT6_T7_P12ihipStream_tbENKUlT_T0_E_clISt17integral_constantIbLb1EESY_EEDaST_SU_EUlST_E_NS1_11comp_targetILNS1_3genE4ELNS1_11target_archE910ELNS1_3gpuE8ELNS1_3repE0EEENS1_30default_config_static_selectorELNS0_4arch9wavefront6targetE1EEEvT1_
		.amdhsa_group_segment_fixed_size 12288
		.amdhsa_private_segment_fixed_size 0
		.amdhsa_kernarg_size 112
		.amdhsa_user_sgpr_count 6
		.amdhsa_user_sgpr_private_segment_buffer 1
		.amdhsa_user_sgpr_dispatch_ptr 0
		.amdhsa_user_sgpr_queue_ptr 0
		.amdhsa_user_sgpr_kernarg_segment_ptr 1
		.amdhsa_user_sgpr_dispatch_id 0
		.amdhsa_user_sgpr_flat_scratch_init 0
		.amdhsa_user_sgpr_kernarg_preload_length 0
		.amdhsa_user_sgpr_kernarg_preload_offset 0
		.amdhsa_user_sgpr_private_segment_size 0
		.amdhsa_uses_dynamic_stack 0
		.amdhsa_system_sgpr_private_segment_wavefront_offset 0
		.amdhsa_system_sgpr_workgroup_id_x 1
		.amdhsa_system_sgpr_workgroup_id_y 0
		.amdhsa_system_sgpr_workgroup_id_z 0
		.amdhsa_system_sgpr_workgroup_info 0
		.amdhsa_system_vgpr_workitem_id 0
		.amdhsa_next_free_vgpr 58
		.amdhsa_next_free_sgpr 76
		.amdhsa_accum_offset 60
		.amdhsa_reserve_vcc 1
		.amdhsa_reserve_flat_scratch 0
		.amdhsa_float_round_mode_32 0
		.amdhsa_float_round_mode_16_64 0
		.amdhsa_float_denorm_mode_32 3
		.amdhsa_float_denorm_mode_16_64 3
		.amdhsa_dx10_clamp 1
		.amdhsa_ieee_mode 1
		.amdhsa_fp16_overflow 0
		.amdhsa_tg_split 0
		.amdhsa_exception_fp_ieee_invalid_op 0
		.amdhsa_exception_fp_denorm_src 0
		.amdhsa_exception_fp_ieee_div_zero 0
		.amdhsa_exception_fp_ieee_overflow 0
		.amdhsa_exception_fp_ieee_underflow 0
		.amdhsa_exception_fp_ieee_inexact 0
		.amdhsa_exception_int_div_zero 0
	.end_amdhsa_kernel
	.section	.text._ZN7rocprim17ROCPRIM_400000_NS6detail17trampoline_kernelINS0_14default_configENS1_27scan_by_key_config_selectorIssEEZZNS1_16scan_by_key_implILNS1_25lookback_scan_determinismE0ELb0ES3_N6thrust23THRUST_200600_302600_NS6detail15normal_iteratorINS9_10device_ptrIsEEEESE_SE_sNS9_4plusIsEE19head_flag_predicatesEE10hipError_tPvRmT2_T3_T4_T5_mT6_T7_P12ihipStream_tbENKUlT_T0_E_clISt17integral_constantIbLb1EESY_EEDaST_SU_EUlST_E_NS1_11comp_targetILNS1_3genE4ELNS1_11target_archE910ELNS1_3gpuE8ELNS1_3repE0EEENS1_30default_config_static_selectorELNS0_4arch9wavefront6targetE1EEEvT1_,"axG",@progbits,_ZN7rocprim17ROCPRIM_400000_NS6detail17trampoline_kernelINS0_14default_configENS1_27scan_by_key_config_selectorIssEEZZNS1_16scan_by_key_implILNS1_25lookback_scan_determinismE0ELb0ES3_N6thrust23THRUST_200600_302600_NS6detail15normal_iteratorINS9_10device_ptrIsEEEESE_SE_sNS9_4plusIsEE19head_flag_predicatesEE10hipError_tPvRmT2_T3_T4_T5_mT6_T7_P12ihipStream_tbENKUlT_T0_E_clISt17integral_constantIbLb1EESY_EEDaST_SU_EUlST_E_NS1_11comp_targetILNS1_3genE4ELNS1_11target_archE910ELNS1_3gpuE8ELNS1_3repE0EEENS1_30default_config_static_selectorELNS0_4arch9wavefront6targetE1EEEvT1_,comdat
.Lfunc_end833:
	.size	_ZN7rocprim17ROCPRIM_400000_NS6detail17trampoline_kernelINS0_14default_configENS1_27scan_by_key_config_selectorIssEEZZNS1_16scan_by_key_implILNS1_25lookback_scan_determinismE0ELb0ES3_N6thrust23THRUST_200600_302600_NS6detail15normal_iteratorINS9_10device_ptrIsEEEESE_SE_sNS9_4plusIsEE19head_flag_predicatesEE10hipError_tPvRmT2_T3_T4_T5_mT6_T7_P12ihipStream_tbENKUlT_T0_E_clISt17integral_constantIbLb1EESY_EEDaST_SU_EUlST_E_NS1_11comp_targetILNS1_3genE4ELNS1_11target_archE910ELNS1_3gpuE8ELNS1_3repE0EEENS1_30default_config_static_selectorELNS0_4arch9wavefront6targetE1EEEvT1_, .Lfunc_end833-_ZN7rocprim17ROCPRIM_400000_NS6detail17trampoline_kernelINS0_14default_configENS1_27scan_by_key_config_selectorIssEEZZNS1_16scan_by_key_implILNS1_25lookback_scan_determinismE0ELb0ES3_N6thrust23THRUST_200600_302600_NS6detail15normal_iteratorINS9_10device_ptrIsEEEESE_SE_sNS9_4plusIsEE19head_flag_predicatesEE10hipError_tPvRmT2_T3_T4_T5_mT6_T7_P12ihipStream_tbENKUlT_T0_E_clISt17integral_constantIbLb1EESY_EEDaST_SU_EUlST_E_NS1_11comp_targetILNS1_3genE4ELNS1_11target_archE910ELNS1_3gpuE8ELNS1_3repE0EEENS1_30default_config_static_selectorELNS0_4arch9wavefront6targetE1EEEvT1_
                                        ; -- End function
	.section	.AMDGPU.csdata,"",@progbits
; Kernel info:
; codeLenInByte = 15580
; NumSgprs: 80
; NumVgprs: 58
; NumAgprs: 0
; TotalNumVgprs: 58
; ScratchSize: 0
; MemoryBound: 0
; FloatMode: 240
; IeeeMode: 1
; LDSByteSize: 12288 bytes/workgroup (compile time only)
; SGPRBlocks: 9
; VGPRBlocks: 7
; NumSGPRsForWavesPerEU: 80
; NumVGPRsForWavesPerEU: 58
; AccumOffset: 60
; Occupancy: 5
; WaveLimiterHint : 1
; COMPUTE_PGM_RSRC2:SCRATCH_EN: 0
; COMPUTE_PGM_RSRC2:USER_SGPR: 6
; COMPUTE_PGM_RSRC2:TRAP_HANDLER: 0
; COMPUTE_PGM_RSRC2:TGID_X_EN: 1
; COMPUTE_PGM_RSRC2:TGID_Y_EN: 0
; COMPUTE_PGM_RSRC2:TGID_Z_EN: 0
; COMPUTE_PGM_RSRC2:TIDIG_COMP_CNT: 0
; COMPUTE_PGM_RSRC3_GFX90A:ACCUM_OFFSET: 14
; COMPUTE_PGM_RSRC3_GFX90A:TG_SPLIT: 0
	.section	.text._ZN7rocprim17ROCPRIM_400000_NS6detail17trampoline_kernelINS0_14default_configENS1_27scan_by_key_config_selectorIssEEZZNS1_16scan_by_key_implILNS1_25lookback_scan_determinismE0ELb0ES3_N6thrust23THRUST_200600_302600_NS6detail15normal_iteratorINS9_10device_ptrIsEEEESE_SE_sNS9_4plusIsEE19head_flag_predicatesEE10hipError_tPvRmT2_T3_T4_T5_mT6_T7_P12ihipStream_tbENKUlT_T0_E_clISt17integral_constantIbLb1EESY_EEDaST_SU_EUlST_E_NS1_11comp_targetILNS1_3genE3ELNS1_11target_archE908ELNS1_3gpuE7ELNS1_3repE0EEENS1_30default_config_static_selectorELNS0_4arch9wavefront6targetE1EEEvT1_,"axG",@progbits,_ZN7rocprim17ROCPRIM_400000_NS6detail17trampoline_kernelINS0_14default_configENS1_27scan_by_key_config_selectorIssEEZZNS1_16scan_by_key_implILNS1_25lookback_scan_determinismE0ELb0ES3_N6thrust23THRUST_200600_302600_NS6detail15normal_iteratorINS9_10device_ptrIsEEEESE_SE_sNS9_4plusIsEE19head_flag_predicatesEE10hipError_tPvRmT2_T3_T4_T5_mT6_T7_P12ihipStream_tbENKUlT_T0_E_clISt17integral_constantIbLb1EESY_EEDaST_SU_EUlST_E_NS1_11comp_targetILNS1_3genE3ELNS1_11target_archE908ELNS1_3gpuE7ELNS1_3repE0EEENS1_30default_config_static_selectorELNS0_4arch9wavefront6targetE1EEEvT1_,comdat
	.protected	_ZN7rocprim17ROCPRIM_400000_NS6detail17trampoline_kernelINS0_14default_configENS1_27scan_by_key_config_selectorIssEEZZNS1_16scan_by_key_implILNS1_25lookback_scan_determinismE0ELb0ES3_N6thrust23THRUST_200600_302600_NS6detail15normal_iteratorINS9_10device_ptrIsEEEESE_SE_sNS9_4plusIsEE19head_flag_predicatesEE10hipError_tPvRmT2_T3_T4_T5_mT6_T7_P12ihipStream_tbENKUlT_T0_E_clISt17integral_constantIbLb1EESY_EEDaST_SU_EUlST_E_NS1_11comp_targetILNS1_3genE3ELNS1_11target_archE908ELNS1_3gpuE7ELNS1_3repE0EEENS1_30default_config_static_selectorELNS0_4arch9wavefront6targetE1EEEvT1_ ; -- Begin function _ZN7rocprim17ROCPRIM_400000_NS6detail17trampoline_kernelINS0_14default_configENS1_27scan_by_key_config_selectorIssEEZZNS1_16scan_by_key_implILNS1_25lookback_scan_determinismE0ELb0ES3_N6thrust23THRUST_200600_302600_NS6detail15normal_iteratorINS9_10device_ptrIsEEEESE_SE_sNS9_4plusIsEE19head_flag_predicatesEE10hipError_tPvRmT2_T3_T4_T5_mT6_T7_P12ihipStream_tbENKUlT_T0_E_clISt17integral_constantIbLb1EESY_EEDaST_SU_EUlST_E_NS1_11comp_targetILNS1_3genE3ELNS1_11target_archE908ELNS1_3gpuE7ELNS1_3repE0EEENS1_30default_config_static_selectorELNS0_4arch9wavefront6targetE1EEEvT1_
	.globl	_ZN7rocprim17ROCPRIM_400000_NS6detail17trampoline_kernelINS0_14default_configENS1_27scan_by_key_config_selectorIssEEZZNS1_16scan_by_key_implILNS1_25lookback_scan_determinismE0ELb0ES3_N6thrust23THRUST_200600_302600_NS6detail15normal_iteratorINS9_10device_ptrIsEEEESE_SE_sNS9_4plusIsEE19head_flag_predicatesEE10hipError_tPvRmT2_T3_T4_T5_mT6_T7_P12ihipStream_tbENKUlT_T0_E_clISt17integral_constantIbLb1EESY_EEDaST_SU_EUlST_E_NS1_11comp_targetILNS1_3genE3ELNS1_11target_archE908ELNS1_3gpuE7ELNS1_3repE0EEENS1_30default_config_static_selectorELNS0_4arch9wavefront6targetE1EEEvT1_
	.p2align	8
	.type	_ZN7rocprim17ROCPRIM_400000_NS6detail17trampoline_kernelINS0_14default_configENS1_27scan_by_key_config_selectorIssEEZZNS1_16scan_by_key_implILNS1_25lookback_scan_determinismE0ELb0ES3_N6thrust23THRUST_200600_302600_NS6detail15normal_iteratorINS9_10device_ptrIsEEEESE_SE_sNS9_4plusIsEE19head_flag_predicatesEE10hipError_tPvRmT2_T3_T4_T5_mT6_T7_P12ihipStream_tbENKUlT_T0_E_clISt17integral_constantIbLb1EESY_EEDaST_SU_EUlST_E_NS1_11comp_targetILNS1_3genE3ELNS1_11target_archE908ELNS1_3gpuE7ELNS1_3repE0EEENS1_30default_config_static_selectorELNS0_4arch9wavefront6targetE1EEEvT1_,@function
_ZN7rocprim17ROCPRIM_400000_NS6detail17trampoline_kernelINS0_14default_configENS1_27scan_by_key_config_selectorIssEEZZNS1_16scan_by_key_implILNS1_25lookback_scan_determinismE0ELb0ES3_N6thrust23THRUST_200600_302600_NS6detail15normal_iteratorINS9_10device_ptrIsEEEESE_SE_sNS9_4plusIsEE19head_flag_predicatesEE10hipError_tPvRmT2_T3_T4_T5_mT6_T7_P12ihipStream_tbENKUlT_T0_E_clISt17integral_constantIbLb1EESY_EEDaST_SU_EUlST_E_NS1_11comp_targetILNS1_3genE3ELNS1_11target_archE908ELNS1_3gpuE7ELNS1_3repE0EEENS1_30default_config_static_selectorELNS0_4arch9wavefront6targetE1EEEvT1_: ; @_ZN7rocprim17ROCPRIM_400000_NS6detail17trampoline_kernelINS0_14default_configENS1_27scan_by_key_config_selectorIssEEZZNS1_16scan_by_key_implILNS1_25lookback_scan_determinismE0ELb0ES3_N6thrust23THRUST_200600_302600_NS6detail15normal_iteratorINS9_10device_ptrIsEEEESE_SE_sNS9_4plusIsEE19head_flag_predicatesEE10hipError_tPvRmT2_T3_T4_T5_mT6_T7_P12ihipStream_tbENKUlT_T0_E_clISt17integral_constantIbLb1EESY_EEDaST_SU_EUlST_E_NS1_11comp_targetILNS1_3genE3ELNS1_11target_archE908ELNS1_3gpuE7ELNS1_3repE0EEENS1_30default_config_static_selectorELNS0_4arch9wavefront6targetE1EEEvT1_
; %bb.0:
	.section	.rodata,"a",@progbits
	.p2align	6, 0x0
	.amdhsa_kernel _ZN7rocprim17ROCPRIM_400000_NS6detail17trampoline_kernelINS0_14default_configENS1_27scan_by_key_config_selectorIssEEZZNS1_16scan_by_key_implILNS1_25lookback_scan_determinismE0ELb0ES3_N6thrust23THRUST_200600_302600_NS6detail15normal_iteratorINS9_10device_ptrIsEEEESE_SE_sNS9_4plusIsEE19head_flag_predicatesEE10hipError_tPvRmT2_T3_T4_T5_mT6_T7_P12ihipStream_tbENKUlT_T0_E_clISt17integral_constantIbLb1EESY_EEDaST_SU_EUlST_E_NS1_11comp_targetILNS1_3genE3ELNS1_11target_archE908ELNS1_3gpuE7ELNS1_3repE0EEENS1_30default_config_static_selectorELNS0_4arch9wavefront6targetE1EEEvT1_
		.amdhsa_group_segment_fixed_size 0
		.amdhsa_private_segment_fixed_size 0
		.amdhsa_kernarg_size 112
		.amdhsa_user_sgpr_count 6
		.amdhsa_user_sgpr_private_segment_buffer 1
		.amdhsa_user_sgpr_dispatch_ptr 0
		.amdhsa_user_sgpr_queue_ptr 0
		.amdhsa_user_sgpr_kernarg_segment_ptr 1
		.amdhsa_user_sgpr_dispatch_id 0
		.amdhsa_user_sgpr_flat_scratch_init 0
		.amdhsa_user_sgpr_kernarg_preload_length 0
		.amdhsa_user_sgpr_kernarg_preload_offset 0
		.amdhsa_user_sgpr_private_segment_size 0
		.amdhsa_uses_dynamic_stack 0
		.amdhsa_system_sgpr_private_segment_wavefront_offset 0
		.amdhsa_system_sgpr_workgroup_id_x 1
		.amdhsa_system_sgpr_workgroup_id_y 0
		.amdhsa_system_sgpr_workgroup_id_z 0
		.amdhsa_system_sgpr_workgroup_info 0
		.amdhsa_system_vgpr_workitem_id 0
		.amdhsa_next_free_vgpr 1
		.amdhsa_next_free_sgpr 0
		.amdhsa_accum_offset 4
		.amdhsa_reserve_vcc 0
		.amdhsa_reserve_flat_scratch 0
		.amdhsa_float_round_mode_32 0
		.amdhsa_float_round_mode_16_64 0
		.amdhsa_float_denorm_mode_32 3
		.amdhsa_float_denorm_mode_16_64 3
		.amdhsa_dx10_clamp 1
		.amdhsa_ieee_mode 1
		.amdhsa_fp16_overflow 0
		.amdhsa_tg_split 0
		.amdhsa_exception_fp_ieee_invalid_op 0
		.amdhsa_exception_fp_denorm_src 0
		.amdhsa_exception_fp_ieee_div_zero 0
		.amdhsa_exception_fp_ieee_overflow 0
		.amdhsa_exception_fp_ieee_underflow 0
		.amdhsa_exception_fp_ieee_inexact 0
		.amdhsa_exception_int_div_zero 0
	.end_amdhsa_kernel
	.section	.text._ZN7rocprim17ROCPRIM_400000_NS6detail17trampoline_kernelINS0_14default_configENS1_27scan_by_key_config_selectorIssEEZZNS1_16scan_by_key_implILNS1_25lookback_scan_determinismE0ELb0ES3_N6thrust23THRUST_200600_302600_NS6detail15normal_iteratorINS9_10device_ptrIsEEEESE_SE_sNS9_4plusIsEE19head_flag_predicatesEE10hipError_tPvRmT2_T3_T4_T5_mT6_T7_P12ihipStream_tbENKUlT_T0_E_clISt17integral_constantIbLb1EESY_EEDaST_SU_EUlST_E_NS1_11comp_targetILNS1_3genE3ELNS1_11target_archE908ELNS1_3gpuE7ELNS1_3repE0EEENS1_30default_config_static_selectorELNS0_4arch9wavefront6targetE1EEEvT1_,"axG",@progbits,_ZN7rocprim17ROCPRIM_400000_NS6detail17trampoline_kernelINS0_14default_configENS1_27scan_by_key_config_selectorIssEEZZNS1_16scan_by_key_implILNS1_25lookback_scan_determinismE0ELb0ES3_N6thrust23THRUST_200600_302600_NS6detail15normal_iteratorINS9_10device_ptrIsEEEESE_SE_sNS9_4plusIsEE19head_flag_predicatesEE10hipError_tPvRmT2_T3_T4_T5_mT6_T7_P12ihipStream_tbENKUlT_T0_E_clISt17integral_constantIbLb1EESY_EEDaST_SU_EUlST_E_NS1_11comp_targetILNS1_3genE3ELNS1_11target_archE908ELNS1_3gpuE7ELNS1_3repE0EEENS1_30default_config_static_selectorELNS0_4arch9wavefront6targetE1EEEvT1_,comdat
.Lfunc_end834:
	.size	_ZN7rocprim17ROCPRIM_400000_NS6detail17trampoline_kernelINS0_14default_configENS1_27scan_by_key_config_selectorIssEEZZNS1_16scan_by_key_implILNS1_25lookback_scan_determinismE0ELb0ES3_N6thrust23THRUST_200600_302600_NS6detail15normal_iteratorINS9_10device_ptrIsEEEESE_SE_sNS9_4plusIsEE19head_flag_predicatesEE10hipError_tPvRmT2_T3_T4_T5_mT6_T7_P12ihipStream_tbENKUlT_T0_E_clISt17integral_constantIbLb1EESY_EEDaST_SU_EUlST_E_NS1_11comp_targetILNS1_3genE3ELNS1_11target_archE908ELNS1_3gpuE7ELNS1_3repE0EEENS1_30default_config_static_selectorELNS0_4arch9wavefront6targetE1EEEvT1_, .Lfunc_end834-_ZN7rocprim17ROCPRIM_400000_NS6detail17trampoline_kernelINS0_14default_configENS1_27scan_by_key_config_selectorIssEEZZNS1_16scan_by_key_implILNS1_25lookback_scan_determinismE0ELb0ES3_N6thrust23THRUST_200600_302600_NS6detail15normal_iteratorINS9_10device_ptrIsEEEESE_SE_sNS9_4plusIsEE19head_flag_predicatesEE10hipError_tPvRmT2_T3_T4_T5_mT6_T7_P12ihipStream_tbENKUlT_T0_E_clISt17integral_constantIbLb1EESY_EEDaST_SU_EUlST_E_NS1_11comp_targetILNS1_3genE3ELNS1_11target_archE908ELNS1_3gpuE7ELNS1_3repE0EEENS1_30default_config_static_selectorELNS0_4arch9wavefront6targetE1EEEvT1_
                                        ; -- End function
	.section	.AMDGPU.csdata,"",@progbits
; Kernel info:
; codeLenInByte = 0
; NumSgprs: 4
; NumVgprs: 0
; NumAgprs: 0
; TotalNumVgprs: 0
; ScratchSize: 0
; MemoryBound: 0
; FloatMode: 240
; IeeeMode: 1
; LDSByteSize: 0 bytes/workgroup (compile time only)
; SGPRBlocks: 0
; VGPRBlocks: 0
; NumSGPRsForWavesPerEU: 4
; NumVGPRsForWavesPerEU: 1
; AccumOffset: 4
; Occupancy: 8
; WaveLimiterHint : 0
; COMPUTE_PGM_RSRC2:SCRATCH_EN: 0
; COMPUTE_PGM_RSRC2:USER_SGPR: 6
; COMPUTE_PGM_RSRC2:TRAP_HANDLER: 0
; COMPUTE_PGM_RSRC2:TGID_X_EN: 1
; COMPUTE_PGM_RSRC2:TGID_Y_EN: 0
; COMPUTE_PGM_RSRC2:TGID_Z_EN: 0
; COMPUTE_PGM_RSRC2:TIDIG_COMP_CNT: 0
; COMPUTE_PGM_RSRC3_GFX90A:ACCUM_OFFSET: 0
; COMPUTE_PGM_RSRC3_GFX90A:TG_SPLIT: 0
	.section	.text._ZN7rocprim17ROCPRIM_400000_NS6detail17trampoline_kernelINS0_14default_configENS1_27scan_by_key_config_selectorIssEEZZNS1_16scan_by_key_implILNS1_25lookback_scan_determinismE0ELb0ES3_N6thrust23THRUST_200600_302600_NS6detail15normal_iteratorINS9_10device_ptrIsEEEESE_SE_sNS9_4plusIsEE19head_flag_predicatesEE10hipError_tPvRmT2_T3_T4_T5_mT6_T7_P12ihipStream_tbENKUlT_T0_E_clISt17integral_constantIbLb1EESY_EEDaST_SU_EUlST_E_NS1_11comp_targetILNS1_3genE2ELNS1_11target_archE906ELNS1_3gpuE6ELNS1_3repE0EEENS1_30default_config_static_selectorELNS0_4arch9wavefront6targetE1EEEvT1_,"axG",@progbits,_ZN7rocprim17ROCPRIM_400000_NS6detail17trampoline_kernelINS0_14default_configENS1_27scan_by_key_config_selectorIssEEZZNS1_16scan_by_key_implILNS1_25lookback_scan_determinismE0ELb0ES3_N6thrust23THRUST_200600_302600_NS6detail15normal_iteratorINS9_10device_ptrIsEEEESE_SE_sNS9_4plusIsEE19head_flag_predicatesEE10hipError_tPvRmT2_T3_T4_T5_mT6_T7_P12ihipStream_tbENKUlT_T0_E_clISt17integral_constantIbLb1EESY_EEDaST_SU_EUlST_E_NS1_11comp_targetILNS1_3genE2ELNS1_11target_archE906ELNS1_3gpuE6ELNS1_3repE0EEENS1_30default_config_static_selectorELNS0_4arch9wavefront6targetE1EEEvT1_,comdat
	.protected	_ZN7rocprim17ROCPRIM_400000_NS6detail17trampoline_kernelINS0_14default_configENS1_27scan_by_key_config_selectorIssEEZZNS1_16scan_by_key_implILNS1_25lookback_scan_determinismE0ELb0ES3_N6thrust23THRUST_200600_302600_NS6detail15normal_iteratorINS9_10device_ptrIsEEEESE_SE_sNS9_4plusIsEE19head_flag_predicatesEE10hipError_tPvRmT2_T3_T4_T5_mT6_T7_P12ihipStream_tbENKUlT_T0_E_clISt17integral_constantIbLb1EESY_EEDaST_SU_EUlST_E_NS1_11comp_targetILNS1_3genE2ELNS1_11target_archE906ELNS1_3gpuE6ELNS1_3repE0EEENS1_30default_config_static_selectorELNS0_4arch9wavefront6targetE1EEEvT1_ ; -- Begin function _ZN7rocprim17ROCPRIM_400000_NS6detail17trampoline_kernelINS0_14default_configENS1_27scan_by_key_config_selectorIssEEZZNS1_16scan_by_key_implILNS1_25lookback_scan_determinismE0ELb0ES3_N6thrust23THRUST_200600_302600_NS6detail15normal_iteratorINS9_10device_ptrIsEEEESE_SE_sNS9_4plusIsEE19head_flag_predicatesEE10hipError_tPvRmT2_T3_T4_T5_mT6_T7_P12ihipStream_tbENKUlT_T0_E_clISt17integral_constantIbLb1EESY_EEDaST_SU_EUlST_E_NS1_11comp_targetILNS1_3genE2ELNS1_11target_archE906ELNS1_3gpuE6ELNS1_3repE0EEENS1_30default_config_static_selectorELNS0_4arch9wavefront6targetE1EEEvT1_
	.globl	_ZN7rocprim17ROCPRIM_400000_NS6detail17trampoline_kernelINS0_14default_configENS1_27scan_by_key_config_selectorIssEEZZNS1_16scan_by_key_implILNS1_25lookback_scan_determinismE0ELb0ES3_N6thrust23THRUST_200600_302600_NS6detail15normal_iteratorINS9_10device_ptrIsEEEESE_SE_sNS9_4plusIsEE19head_flag_predicatesEE10hipError_tPvRmT2_T3_T4_T5_mT6_T7_P12ihipStream_tbENKUlT_T0_E_clISt17integral_constantIbLb1EESY_EEDaST_SU_EUlST_E_NS1_11comp_targetILNS1_3genE2ELNS1_11target_archE906ELNS1_3gpuE6ELNS1_3repE0EEENS1_30default_config_static_selectorELNS0_4arch9wavefront6targetE1EEEvT1_
	.p2align	8
	.type	_ZN7rocprim17ROCPRIM_400000_NS6detail17trampoline_kernelINS0_14default_configENS1_27scan_by_key_config_selectorIssEEZZNS1_16scan_by_key_implILNS1_25lookback_scan_determinismE0ELb0ES3_N6thrust23THRUST_200600_302600_NS6detail15normal_iteratorINS9_10device_ptrIsEEEESE_SE_sNS9_4plusIsEE19head_flag_predicatesEE10hipError_tPvRmT2_T3_T4_T5_mT6_T7_P12ihipStream_tbENKUlT_T0_E_clISt17integral_constantIbLb1EESY_EEDaST_SU_EUlST_E_NS1_11comp_targetILNS1_3genE2ELNS1_11target_archE906ELNS1_3gpuE6ELNS1_3repE0EEENS1_30default_config_static_selectorELNS0_4arch9wavefront6targetE1EEEvT1_,@function
_ZN7rocprim17ROCPRIM_400000_NS6detail17trampoline_kernelINS0_14default_configENS1_27scan_by_key_config_selectorIssEEZZNS1_16scan_by_key_implILNS1_25lookback_scan_determinismE0ELb0ES3_N6thrust23THRUST_200600_302600_NS6detail15normal_iteratorINS9_10device_ptrIsEEEESE_SE_sNS9_4plusIsEE19head_flag_predicatesEE10hipError_tPvRmT2_T3_T4_T5_mT6_T7_P12ihipStream_tbENKUlT_T0_E_clISt17integral_constantIbLb1EESY_EEDaST_SU_EUlST_E_NS1_11comp_targetILNS1_3genE2ELNS1_11target_archE906ELNS1_3gpuE6ELNS1_3repE0EEENS1_30default_config_static_selectorELNS0_4arch9wavefront6targetE1EEEvT1_: ; @_ZN7rocprim17ROCPRIM_400000_NS6detail17trampoline_kernelINS0_14default_configENS1_27scan_by_key_config_selectorIssEEZZNS1_16scan_by_key_implILNS1_25lookback_scan_determinismE0ELb0ES3_N6thrust23THRUST_200600_302600_NS6detail15normal_iteratorINS9_10device_ptrIsEEEESE_SE_sNS9_4plusIsEE19head_flag_predicatesEE10hipError_tPvRmT2_T3_T4_T5_mT6_T7_P12ihipStream_tbENKUlT_T0_E_clISt17integral_constantIbLb1EESY_EEDaST_SU_EUlST_E_NS1_11comp_targetILNS1_3genE2ELNS1_11target_archE906ELNS1_3gpuE6ELNS1_3repE0EEENS1_30default_config_static_selectorELNS0_4arch9wavefront6targetE1EEEvT1_
; %bb.0:
	.section	.rodata,"a",@progbits
	.p2align	6, 0x0
	.amdhsa_kernel _ZN7rocprim17ROCPRIM_400000_NS6detail17trampoline_kernelINS0_14default_configENS1_27scan_by_key_config_selectorIssEEZZNS1_16scan_by_key_implILNS1_25lookback_scan_determinismE0ELb0ES3_N6thrust23THRUST_200600_302600_NS6detail15normal_iteratorINS9_10device_ptrIsEEEESE_SE_sNS9_4plusIsEE19head_flag_predicatesEE10hipError_tPvRmT2_T3_T4_T5_mT6_T7_P12ihipStream_tbENKUlT_T0_E_clISt17integral_constantIbLb1EESY_EEDaST_SU_EUlST_E_NS1_11comp_targetILNS1_3genE2ELNS1_11target_archE906ELNS1_3gpuE6ELNS1_3repE0EEENS1_30default_config_static_selectorELNS0_4arch9wavefront6targetE1EEEvT1_
		.amdhsa_group_segment_fixed_size 0
		.amdhsa_private_segment_fixed_size 0
		.amdhsa_kernarg_size 112
		.amdhsa_user_sgpr_count 6
		.amdhsa_user_sgpr_private_segment_buffer 1
		.amdhsa_user_sgpr_dispatch_ptr 0
		.amdhsa_user_sgpr_queue_ptr 0
		.amdhsa_user_sgpr_kernarg_segment_ptr 1
		.amdhsa_user_sgpr_dispatch_id 0
		.amdhsa_user_sgpr_flat_scratch_init 0
		.amdhsa_user_sgpr_kernarg_preload_length 0
		.amdhsa_user_sgpr_kernarg_preload_offset 0
		.amdhsa_user_sgpr_private_segment_size 0
		.amdhsa_uses_dynamic_stack 0
		.amdhsa_system_sgpr_private_segment_wavefront_offset 0
		.amdhsa_system_sgpr_workgroup_id_x 1
		.amdhsa_system_sgpr_workgroup_id_y 0
		.amdhsa_system_sgpr_workgroup_id_z 0
		.amdhsa_system_sgpr_workgroup_info 0
		.amdhsa_system_vgpr_workitem_id 0
		.amdhsa_next_free_vgpr 1
		.amdhsa_next_free_sgpr 0
		.amdhsa_accum_offset 4
		.amdhsa_reserve_vcc 0
		.amdhsa_reserve_flat_scratch 0
		.amdhsa_float_round_mode_32 0
		.amdhsa_float_round_mode_16_64 0
		.amdhsa_float_denorm_mode_32 3
		.amdhsa_float_denorm_mode_16_64 3
		.amdhsa_dx10_clamp 1
		.amdhsa_ieee_mode 1
		.amdhsa_fp16_overflow 0
		.amdhsa_tg_split 0
		.amdhsa_exception_fp_ieee_invalid_op 0
		.amdhsa_exception_fp_denorm_src 0
		.amdhsa_exception_fp_ieee_div_zero 0
		.amdhsa_exception_fp_ieee_overflow 0
		.amdhsa_exception_fp_ieee_underflow 0
		.amdhsa_exception_fp_ieee_inexact 0
		.amdhsa_exception_int_div_zero 0
	.end_amdhsa_kernel
	.section	.text._ZN7rocprim17ROCPRIM_400000_NS6detail17trampoline_kernelINS0_14default_configENS1_27scan_by_key_config_selectorIssEEZZNS1_16scan_by_key_implILNS1_25lookback_scan_determinismE0ELb0ES3_N6thrust23THRUST_200600_302600_NS6detail15normal_iteratorINS9_10device_ptrIsEEEESE_SE_sNS9_4plusIsEE19head_flag_predicatesEE10hipError_tPvRmT2_T3_T4_T5_mT6_T7_P12ihipStream_tbENKUlT_T0_E_clISt17integral_constantIbLb1EESY_EEDaST_SU_EUlST_E_NS1_11comp_targetILNS1_3genE2ELNS1_11target_archE906ELNS1_3gpuE6ELNS1_3repE0EEENS1_30default_config_static_selectorELNS0_4arch9wavefront6targetE1EEEvT1_,"axG",@progbits,_ZN7rocprim17ROCPRIM_400000_NS6detail17trampoline_kernelINS0_14default_configENS1_27scan_by_key_config_selectorIssEEZZNS1_16scan_by_key_implILNS1_25lookback_scan_determinismE0ELb0ES3_N6thrust23THRUST_200600_302600_NS6detail15normal_iteratorINS9_10device_ptrIsEEEESE_SE_sNS9_4plusIsEE19head_flag_predicatesEE10hipError_tPvRmT2_T3_T4_T5_mT6_T7_P12ihipStream_tbENKUlT_T0_E_clISt17integral_constantIbLb1EESY_EEDaST_SU_EUlST_E_NS1_11comp_targetILNS1_3genE2ELNS1_11target_archE906ELNS1_3gpuE6ELNS1_3repE0EEENS1_30default_config_static_selectorELNS0_4arch9wavefront6targetE1EEEvT1_,comdat
.Lfunc_end835:
	.size	_ZN7rocprim17ROCPRIM_400000_NS6detail17trampoline_kernelINS0_14default_configENS1_27scan_by_key_config_selectorIssEEZZNS1_16scan_by_key_implILNS1_25lookback_scan_determinismE0ELb0ES3_N6thrust23THRUST_200600_302600_NS6detail15normal_iteratorINS9_10device_ptrIsEEEESE_SE_sNS9_4plusIsEE19head_flag_predicatesEE10hipError_tPvRmT2_T3_T4_T5_mT6_T7_P12ihipStream_tbENKUlT_T0_E_clISt17integral_constantIbLb1EESY_EEDaST_SU_EUlST_E_NS1_11comp_targetILNS1_3genE2ELNS1_11target_archE906ELNS1_3gpuE6ELNS1_3repE0EEENS1_30default_config_static_selectorELNS0_4arch9wavefront6targetE1EEEvT1_, .Lfunc_end835-_ZN7rocprim17ROCPRIM_400000_NS6detail17trampoline_kernelINS0_14default_configENS1_27scan_by_key_config_selectorIssEEZZNS1_16scan_by_key_implILNS1_25lookback_scan_determinismE0ELb0ES3_N6thrust23THRUST_200600_302600_NS6detail15normal_iteratorINS9_10device_ptrIsEEEESE_SE_sNS9_4plusIsEE19head_flag_predicatesEE10hipError_tPvRmT2_T3_T4_T5_mT6_T7_P12ihipStream_tbENKUlT_T0_E_clISt17integral_constantIbLb1EESY_EEDaST_SU_EUlST_E_NS1_11comp_targetILNS1_3genE2ELNS1_11target_archE906ELNS1_3gpuE6ELNS1_3repE0EEENS1_30default_config_static_selectorELNS0_4arch9wavefront6targetE1EEEvT1_
                                        ; -- End function
	.section	.AMDGPU.csdata,"",@progbits
; Kernel info:
; codeLenInByte = 0
; NumSgprs: 4
; NumVgprs: 0
; NumAgprs: 0
; TotalNumVgprs: 0
; ScratchSize: 0
; MemoryBound: 0
; FloatMode: 240
; IeeeMode: 1
; LDSByteSize: 0 bytes/workgroup (compile time only)
; SGPRBlocks: 0
; VGPRBlocks: 0
; NumSGPRsForWavesPerEU: 4
; NumVGPRsForWavesPerEU: 1
; AccumOffset: 4
; Occupancy: 8
; WaveLimiterHint : 0
; COMPUTE_PGM_RSRC2:SCRATCH_EN: 0
; COMPUTE_PGM_RSRC2:USER_SGPR: 6
; COMPUTE_PGM_RSRC2:TRAP_HANDLER: 0
; COMPUTE_PGM_RSRC2:TGID_X_EN: 1
; COMPUTE_PGM_RSRC2:TGID_Y_EN: 0
; COMPUTE_PGM_RSRC2:TGID_Z_EN: 0
; COMPUTE_PGM_RSRC2:TIDIG_COMP_CNT: 0
; COMPUTE_PGM_RSRC3_GFX90A:ACCUM_OFFSET: 0
; COMPUTE_PGM_RSRC3_GFX90A:TG_SPLIT: 0
	.section	.text._ZN7rocprim17ROCPRIM_400000_NS6detail17trampoline_kernelINS0_14default_configENS1_27scan_by_key_config_selectorIssEEZZNS1_16scan_by_key_implILNS1_25lookback_scan_determinismE0ELb0ES3_N6thrust23THRUST_200600_302600_NS6detail15normal_iteratorINS9_10device_ptrIsEEEESE_SE_sNS9_4plusIsEE19head_flag_predicatesEE10hipError_tPvRmT2_T3_T4_T5_mT6_T7_P12ihipStream_tbENKUlT_T0_E_clISt17integral_constantIbLb1EESY_EEDaST_SU_EUlST_E_NS1_11comp_targetILNS1_3genE10ELNS1_11target_archE1200ELNS1_3gpuE4ELNS1_3repE0EEENS1_30default_config_static_selectorELNS0_4arch9wavefront6targetE1EEEvT1_,"axG",@progbits,_ZN7rocprim17ROCPRIM_400000_NS6detail17trampoline_kernelINS0_14default_configENS1_27scan_by_key_config_selectorIssEEZZNS1_16scan_by_key_implILNS1_25lookback_scan_determinismE0ELb0ES3_N6thrust23THRUST_200600_302600_NS6detail15normal_iteratorINS9_10device_ptrIsEEEESE_SE_sNS9_4plusIsEE19head_flag_predicatesEE10hipError_tPvRmT2_T3_T4_T5_mT6_T7_P12ihipStream_tbENKUlT_T0_E_clISt17integral_constantIbLb1EESY_EEDaST_SU_EUlST_E_NS1_11comp_targetILNS1_3genE10ELNS1_11target_archE1200ELNS1_3gpuE4ELNS1_3repE0EEENS1_30default_config_static_selectorELNS0_4arch9wavefront6targetE1EEEvT1_,comdat
	.protected	_ZN7rocprim17ROCPRIM_400000_NS6detail17trampoline_kernelINS0_14default_configENS1_27scan_by_key_config_selectorIssEEZZNS1_16scan_by_key_implILNS1_25lookback_scan_determinismE0ELb0ES3_N6thrust23THRUST_200600_302600_NS6detail15normal_iteratorINS9_10device_ptrIsEEEESE_SE_sNS9_4plusIsEE19head_flag_predicatesEE10hipError_tPvRmT2_T3_T4_T5_mT6_T7_P12ihipStream_tbENKUlT_T0_E_clISt17integral_constantIbLb1EESY_EEDaST_SU_EUlST_E_NS1_11comp_targetILNS1_3genE10ELNS1_11target_archE1200ELNS1_3gpuE4ELNS1_3repE0EEENS1_30default_config_static_selectorELNS0_4arch9wavefront6targetE1EEEvT1_ ; -- Begin function _ZN7rocprim17ROCPRIM_400000_NS6detail17trampoline_kernelINS0_14default_configENS1_27scan_by_key_config_selectorIssEEZZNS1_16scan_by_key_implILNS1_25lookback_scan_determinismE0ELb0ES3_N6thrust23THRUST_200600_302600_NS6detail15normal_iteratorINS9_10device_ptrIsEEEESE_SE_sNS9_4plusIsEE19head_flag_predicatesEE10hipError_tPvRmT2_T3_T4_T5_mT6_T7_P12ihipStream_tbENKUlT_T0_E_clISt17integral_constantIbLb1EESY_EEDaST_SU_EUlST_E_NS1_11comp_targetILNS1_3genE10ELNS1_11target_archE1200ELNS1_3gpuE4ELNS1_3repE0EEENS1_30default_config_static_selectorELNS0_4arch9wavefront6targetE1EEEvT1_
	.globl	_ZN7rocprim17ROCPRIM_400000_NS6detail17trampoline_kernelINS0_14default_configENS1_27scan_by_key_config_selectorIssEEZZNS1_16scan_by_key_implILNS1_25lookback_scan_determinismE0ELb0ES3_N6thrust23THRUST_200600_302600_NS6detail15normal_iteratorINS9_10device_ptrIsEEEESE_SE_sNS9_4plusIsEE19head_flag_predicatesEE10hipError_tPvRmT2_T3_T4_T5_mT6_T7_P12ihipStream_tbENKUlT_T0_E_clISt17integral_constantIbLb1EESY_EEDaST_SU_EUlST_E_NS1_11comp_targetILNS1_3genE10ELNS1_11target_archE1200ELNS1_3gpuE4ELNS1_3repE0EEENS1_30default_config_static_selectorELNS0_4arch9wavefront6targetE1EEEvT1_
	.p2align	8
	.type	_ZN7rocprim17ROCPRIM_400000_NS6detail17trampoline_kernelINS0_14default_configENS1_27scan_by_key_config_selectorIssEEZZNS1_16scan_by_key_implILNS1_25lookback_scan_determinismE0ELb0ES3_N6thrust23THRUST_200600_302600_NS6detail15normal_iteratorINS9_10device_ptrIsEEEESE_SE_sNS9_4plusIsEE19head_flag_predicatesEE10hipError_tPvRmT2_T3_T4_T5_mT6_T7_P12ihipStream_tbENKUlT_T0_E_clISt17integral_constantIbLb1EESY_EEDaST_SU_EUlST_E_NS1_11comp_targetILNS1_3genE10ELNS1_11target_archE1200ELNS1_3gpuE4ELNS1_3repE0EEENS1_30default_config_static_selectorELNS0_4arch9wavefront6targetE1EEEvT1_,@function
_ZN7rocprim17ROCPRIM_400000_NS6detail17trampoline_kernelINS0_14default_configENS1_27scan_by_key_config_selectorIssEEZZNS1_16scan_by_key_implILNS1_25lookback_scan_determinismE0ELb0ES3_N6thrust23THRUST_200600_302600_NS6detail15normal_iteratorINS9_10device_ptrIsEEEESE_SE_sNS9_4plusIsEE19head_flag_predicatesEE10hipError_tPvRmT2_T3_T4_T5_mT6_T7_P12ihipStream_tbENKUlT_T0_E_clISt17integral_constantIbLb1EESY_EEDaST_SU_EUlST_E_NS1_11comp_targetILNS1_3genE10ELNS1_11target_archE1200ELNS1_3gpuE4ELNS1_3repE0EEENS1_30default_config_static_selectorELNS0_4arch9wavefront6targetE1EEEvT1_: ; @_ZN7rocprim17ROCPRIM_400000_NS6detail17trampoline_kernelINS0_14default_configENS1_27scan_by_key_config_selectorIssEEZZNS1_16scan_by_key_implILNS1_25lookback_scan_determinismE0ELb0ES3_N6thrust23THRUST_200600_302600_NS6detail15normal_iteratorINS9_10device_ptrIsEEEESE_SE_sNS9_4plusIsEE19head_flag_predicatesEE10hipError_tPvRmT2_T3_T4_T5_mT6_T7_P12ihipStream_tbENKUlT_T0_E_clISt17integral_constantIbLb1EESY_EEDaST_SU_EUlST_E_NS1_11comp_targetILNS1_3genE10ELNS1_11target_archE1200ELNS1_3gpuE4ELNS1_3repE0EEENS1_30default_config_static_selectorELNS0_4arch9wavefront6targetE1EEEvT1_
; %bb.0:
	.section	.rodata,"a",@progbits
	.p2align	6, 0x0
	.amdhsa_kernel _ZN7rocprim17ROCPRIM_400000_NS6detail17trampoline_kernelINS0_14default_configENS1_27scan_by_key_config_selectorIssEEZZNS1_16scan_by_key_implILNS1_25lookback_scan_determinismE0ELb0ES3_N6thrust23THRUST_200600_302600_NS6detail15normal_iteratorINS9_10device_ptrIsEEEESE_SE_sNS9_4plusIsEE19head_flag_predicatesEE10hipError_tPvRmT2_T3_T4_T5_mT6_T7_P12ihipStream_tbENKUlT_T0_E_clISt17integral_constantIbLb1EESY_EEDaST_SU_EUlST_E_NS1_11comp_targetILNS1_3genE10ELNS1_11target_archE1200ELNS1_3gpuE4ELNS1_3repE0EEENS1_30default_config_static_selectorELNS0_4arch9wavefront6targetE1EEEvT1_
		.amdhsa_group_segment_fixed_size 0
		.amdhsa_private_segment_fixed_size 0
		.amdhsa_kernarg_size 112
		.amdhsa_user_sgpr_count 6
		.amdhsa_user_sgpr_private_segment_buffer 1
		.amdhsa_user_sgpr_dispatch_ptr 0
		.amdhsa_user_sgpr_queue_ptr 0
		.amdhsa_user_sgpr_kernarg_segment_ptr 1
		.amdhsa_user_sgpr_dispatch_id 0
		.amdhsa_user_sgpr_flat_scratch_init 0
		.amdhsa_user_sgpr_kernarg_preload_length 0
		.amdhsa_user_sgpr_kernarg_preload_offset 0
		.amdhsa_user_sgpr_private_segment_size 0
		.amdhsa_uses_dynamic_stack 0
		.amdhsa_system_sgpr_private_segment_wavefront_offset 0
		.amdhsa_system_sgpr_workgroup_id_x 1
		.amdhsa_system_sgpr_workgroup_id_y 0
		.amdhsa_system_sgpr_workgroup_id_z 0
		.amdhsa_system_sgpr_workgroup_info 0
		.amdhsa_system_vgpr_workitem_id 0
		.amdhsa_next_free_vgpr 1
		.amdhsa_next_free_sgpr 0
		.amdhsa_accum_offset 4
		.amdhsa_reserve_vcc 0
		.amdhsa_reserve_flat_scratch 0
		.amdhsa_float_round_mode_32 0
		.amdhsa_float_round_mode_16_64 0
		.amdhsa_float_denorm_mode_32 3
		.amdhsa_float_denorm_mode_16_64 3
		.amdhsa_dx10_clamp 1
		.amdhsa_ieee_mode 1
		.amdhsa_fp16_overflow 0
		.amdhsa_tg_split 0
		.amdhsa_exception_fp_ieee_invalid_op 0
		.amdhsa_exception_fp_denorm_src 0
		.amdhsa_exception_fp_ieee_div_zero 0
		.amdhsa_exception_fp_ieee_overflow 0
		.amdhsa_exception_fp_ieee_underflow 0
		.amdhsa_exception_fp_ieee_inexact 0
		.amdhsa_exception_int_div_zero 0
	.end_amdhsa_kernel
	.section	.text._ZN7rocprim17ROCPRIM_400000_NS6detail17trampoline_kernelINS0_14default_configENS1_27scan_by_key_config_selectorIssEEZZNS1_16scan_by_key_implILNS1_25lookback_scan_determinismE0ELb0ES3_N6thrust23THRUST_200600_302600_NS6detail15normal_iteratorINS9_10device_ptrIsEEEESE_SE_sNS9_4plusIsEE19head_flag_predicatesEE10hipError_tPvRmT2_T3_T4_T5_mT6_T7_P12ihipStream_tbENKUlT_T0_E_clISt17integral_constantIbLb1EESY_EEDaST_SU_EUlST_E_NS1_11comp_targetILNS1_3genE10ELNS1_11target_archE1200ELNS1_3gpuE4ELNS1_3repE0EEENS1_30default_config_static_selectorELNS0_4arch9wavefront6targetE1EEEvT1_,"axG",@progbits,_ZN7rocprim17ROCPRIM_400000_NS6detail17trampoline_kernelINS0_14default_configENS1_27scan_by_key_config_selectorIssEEZZNS1_16scan_by_key_implILNS1_25lookback_scan_determinismE0ELb0ES3_N6thrust23THRUST_200600_302600_NS6detail15normal_iteratorINS9_10device_ptrIsEEEESE_SE_sNS9_4plusIsEE19head_flag_predicatesEE10hipError_tPvRmT2_T3_T4_T5_mT6_T7_P12ihipStream_tbENKUlT_T0_E_clISt17integral_constantIbLb1EESY_EEDaST_SU_EUlST_E_NS1_11comp_targetILNS1_3genE10ELNS1_11target_archE1200ELNS1_3gpuE4ELNS1_3repE0EEENS1_30default_config_static_selectorELNS0_4arch9wavefront6targetE1EEEvT1_,comdat
.Lfunc_end836:
	.size	_ZN7rocprim17ROCPRIM_400000_NS6detail17trampoline_kernelINS0_14default_configENS1_27scan_by_key_config_selectorIssEEZZNS1_16scan_by_key_implILNS1_25lookback_scan_determinismE0ELb0ES3_N6thrust23THRUST_200600_302600_NS6detail15normal_iteratorINS9_10device_ptrIsEEEESE_SE_sNS9_4plusIsEE19head_flag_predicatesEE10hipError_tPvRmT2_T3_T4_T5_mT6_T7_P12ihipStream_tbENKUlT_T0_E_clISt17integral_constantIbLb1EESY_EEDaST_SU_EUlST_E_NS1_11comp_targetILNS1_3genE10ELNS1_11target_archE1200ELNS1_3gpuE4ELNS1_3repE0EEENS1_30default_config_static_selectorELNS0_4arch9wavefront6targetE1EEEvT1_, .Lfunc_end836-_ZN7rocprim17ROCPRIM_400000_NS6detail17trampoline_kernelINS0_14default_configENS1_27scan_by_key_config_selectorIssEEZZNS1_16scan_by_key_implILNS1_25lookback_scan_determinismE0ELb0ES3_N6thrust23THRUST_200600_302600_NS6detail15normal_iteratorINS9_10device_ptrIsEEEESE_SE_sNS9_4plusIsEE19head_flag_predicatesEE10hipError_tPvRmT2_T3_T4_T5_mT6_T7_P12ihipStream_tbENKUlT_T0_E_clISt17integral_constantIbLb1EESY_EEDaST_SU_EUlST_E_NS1_11comp_targetILNS1_3genE10ELNS1_11target_archE1200ELNS1_3gpuE4ELNS1_3repE0EEENS1_30default_config_static_selectorELNS0_4arch9wavefront6targetE1EEEvT1_
                                        ; -- End function
	.section	.AMDGPU.csdata,"",@progbits
; Kernel info:
; codeLenInByte = 0
; NumSgprs: 4
; NumVgprs: 0
; NumAgprs: 0
; TotalNumVgprs: 0
; ScratchSize: 0
; MemoryBound: 0
; FloatMode: 240
; IeeeMode: 1
; LDSByteSize: 0 bytes/workgroup (compile time only)
; SGPRBlocks: 0
; VGPRBlocks: 0
; NumSGPRsForWavesPerEU: 4
; NumVGPRsForWavesPerEU: 1
; AccumOffset: 4
; Occupancy: 8
; WaveLimiterHint : 0
; COMPUTE_PGM_RSRC2:SCRATCH_EN: 0
; COMPUTE_PGM_RSRC2:USER_SGPR: 6
; COMPUTE_PGM_RSRC2:TRAP_HANDLER: 0
; COMPUTE_PGM_RSRC2:TGID_X_EN: 1
; COMPUTE_PGM_RSRC2:TGID_Y_EN: 0
; COMPUTE_PGM_RSRC2:TGID_Z_EN: 0
; COMPUTE_PGM_RSRC2:TIDIG_COMP_CNT: 0
; COMPUTE_PGM_RSRC3_GFX90A:ACCUM_OFFSET: 0
; COMPUTE_PGM_RSRC3_GFX90A:TG_SPLIT: 0
	.section	.text._ZN7rocprim17ROCPRIM_400000_NS6detail17trampoline_kernelINS0_14default_configENS1_27scan_by_key_config_selectorIssEEZZNS1_16scan_by_key_implILNS1_25lookback_scan_determinismE0ELb0ES3_N6thrust23THRUST_200600_302600_NS6detail15normal_iteratorINS9_10device_ptrIsEEEESE_SE_sNS9_4plusIsEE19head_flag_predicatesEE10hipError_tPvRmT2_T3_T4_T5_mT6_T7_P12ihipStream_tbENKUlT_T0_E_clISt17integral_constantIbLb1EESY_EEDaST_SU_EUlST_E_NS1_11comp_targetILNS1_3genE9ELNS1_11target_archE1100ELNS1_3gpuE3ELNS1_3repE0EEENS1_30default_config_static_selectorELNS0_4arch9wavefront6targetE1EEEvT1_,"axG",@progbits,_ZN7rocprim17ROCPRIM_400000_NS6detail17trampoline_kernelINS0_14default_configENS1_27scan_by_key_config_selectorIssEEZZNS1_16scan_by_key_implILNS1_25lookback_scan_determinismE0ELb0ES3_N6thrust23THRUST_200600_302600_NS6detail15normal_iteratorINS9_10device_ptrIsEEEESE_SE_sNS9_4plusIsEE19head_flag_predicatesEE10hipError_tPvRmT2_T3_T4_T5_mT6_T7_P12ihipStream_tbENKUlT_T0_E_clISt17integral_constantIbLb1EESY_EEDaST_SU_EUlST_E_NS1_11comp_targetILNS1_3genE9ELNS1_11target_archE1100ELNS1_3gpuE3ELNS1_3repE0EEENS1_30default_config_static_selectorELNS0_4arch9wavefront6targetE1EEEvT1_,comdat
	.protected	_ZN7rocprim17ROCPRIM_400000_NS6detail17trampoline_kernelINS0_14default_configENS1_27scan_by_key_config_selectorIssEEZZNS1_16scan_by_key_implILNS1_25lookback_scan_determinismE0ELb0ES3_N6thrust23THRUST_200600_302600_NS6detail15normal_iteratorINS9_10device_ptrIsEEEESE_SE_sNS9_4plusIsEE19head_flag_predicatesEE10hipError_tPvRmT2_T3_T4_T5_mT6_T7_P12ihipStream_tbENKUlT_T0_E_clISt17integral_constantIbLb1EESY_EEDaST_SU_EUlST_E_NS1_11comp_targetILNS1_3genE9ELNS1_11target_archE1100ELNS1_3gpuE3ELNS1_3repE0EEENS1_30default_config_static_selectorELNS0_4arch9wavefront6targetE1EEEvT1_ ; -- Begin function _ZN7rocprim17ROCPRIM_400000_NS6detail17trampoline_kernelINS0_14default_configENS1_27scan_by_key_config_selectorIssEEZZNS1_16scan_by_key_implILNS1_25lookback_scan_determinismE0ELb0ES3_N6thrust23THRUST_200600_302600_NS6detail15normal_iteratorINS9_10device_ptrIsEEEESE_SE_sNS9_4plusIsEE19head_flag_predicatesEE10hipError_tPvRmT2_T3_T4_T5_mT6_T7_P12ihipStream_tbENKUlT_T0_E_clISt17integral_constantIbLb1EESY_EEDaST_SU_EUlST_E_NS1_11comp_targetILNS1_3genE9ELNS1_11target_archE1100ELNS1_3gpuE3ELNS1_3repE0EEENS1_30default_config_static_selectorELNS0_4arch9wavefront6targetE1EEEvT1_
	.globl	_ZN7rocprim17ROCPRIM_400000_NS6detail17trampoline_kernelINS0_14default_configENS1_27scan_by_key_config_selectorIssEEZZNS1_16scan_by_key_implILNS1_25lookback_scan_determinismE0ELb0ES3_N6thrust23THRUST_200600_302600_NS6detail15normal_iteratorINS9_10device_ptrIsEEEESE_SE_sNS9_4plusIsEE19head_flag_predicatesEE10hipError_tPvRmT2_T3_T4_T5_mT6_T7_P12ihipStream_tbENKUlT_T0_E_clISt17integral_constantIbLb1EESY_EEDaST_SU_EUlST_E_NS1_11comp_targetILNS1_3genE9ELNS1_11target_archE1100ELNS1_3gpuE3ELNS1_3repE0EEENS1_30default_config_static_selectorELNS0_4arch9wavefront6targetE1EEEvT1_
	.p2align	8
	.type	_ZN7rocprim17ROCPRIM_400000_NS6detail17trampoline_kernelINS0_14default_configENS1_27scan_by_key_config_selectorIssEEZZNS1_16scan_by_key_implILNS1_25lookback_scan_determinismE0ELb0ES3_N6thrust23THRUST_200600_302600_NS6detail15normal_iteratorINS9_10device_ptrIsEEEESE_SE_sNS9_4plusIsEE19head_flag_predicatesEE10hipError_tPvRmT2_T3_T4_T5_mT6_T7_P12ihipStream_tbENKUlT_T0_E_clISt17integral_constantIbLb1EESY_EEDaST_SU_EUlST_E_NS1_11comp_targetILNS1_3genE9ELNS1_11target_archE1100ELNS1_3gpuE3ELNS1_3repE0EEENS1_30default_config_static_selectorELNS0_4arch9wavefront6targetE1EEEvT1_,@function
_ZN7rocprim17ROCPRIM_400000_NS6detail17trampoline_kernelINS0_14default_configENS1_27scan_by_key_config_selectorIssEEZZNS1_16scan_by_key_implILNS1_25lookback_scan_determinismE0ELb0ES3_N6thrust23THRUST_200600_302600_NS6detail15normal_iteratorINS9_10device_ptrIsEEEESE_SE_sNS9_4plusIsEE19head_flag_predicatesEE10hipError_tPvRmT2_T3_T4_T5_mT6_T7_P12ihipStream_tbENKUlT_T0_E_clISt17integral_constantIbLb1EESY_EEDaST_SU_EUlST_E_NS1_11comp_targetILNS1_3genE9ELNS1_11target_archE1100ELNS1_3gpuE3ELNS1_3repE0EEENS1_30default_config_static_selectorELNS0_4arch9wavefront6targetE1EEEvT1_: ; @_ZN7rocprim17ROCPRIM_400000_NS6detail17trampoline_kernelINS0_14default_configENS1_27scan_by_key_config_selectorIssEEZZNS1_16scan_by_key_implILNS1_25lookback_scan_determinismE0ELb0ES3_N6thrust23THRUST_200600_302600_NS6detail15normal_iteratorINS9_10device_ptrIsEEEESE_SE_sNS9_4plusIsEE19head_flag_predicatesEE10hipError_tPvRmT2_T3_T4_T5_mT6_T7_P12ihipStream_tbENKUlT_T0_E_clISt17integral_constantIbLb1EESY_EEDaST_SU_EUlST_E_NS1_11comp_targetILNS1_3genE9ELNS1_11target_archE1100ELNS1_3gpuE3ELNS1_3repE0EEENS1_30default_config_static_selectorELNS0_4arch9wavefront6targetE1EEEvT1_
; %bb.0:
	.section	.rodata,"a",@progbits
	.p2align	6, 0x0
	.amdhsa_kernel _ZN7rocprim17ROCPRIM_400000_NS6detail17trampoline_kernelINS0_14default_configENS1_27scan_by_key_config_selectorIssEEZZNS1_16scan_by_key_implILNS1_25lookback_scan_determinismE0ELb0ES3_N6thrust23THRUST_200600_302600_NS6detail15normal_iteratorINS9_10device_ptrIsEEEESE_SE_sNS9_4plusIsEE19head_flag_predicatesEE10hipError_tPvRmT2_T3_T4_T5_mT6_T7_P12ihipStream_tbENKUlT_T0_E_clISt17integral_constantIbLb1EESY_EEDaST_SU_EUlST_E_NS1_11comp_targetILNS1_3genE9ELNS1_11target_archE1100ELNS1_3gpuE3ELNS1_3repE0EEENS1_30default_config_static_selectorELNS0_4arch9wavefront6targetE1EEEvT1_
		.amdhsa_group_segment_fixed_size 0
		.amdhsa_private_segment_fixed_size 0
		.amdhsa_kernarg_size 112
		.amdhsa_user_sgpr_count 6
		.amdhsa_user_sgpr_private_segment_buffer 1
		.amdhsa_user_sgpr_dispatch_ptr 0
		.amdhsa_user_sgpr_queue_ptr 0
		.amdhsa_user_sgpr_kernarg_segment_ptr 1
		.amdhsa_user_sgpr_dispatch_id 0
		.amdhsa_user_sgpr_flat_scratch_init 0
		.amdhsa_user_sgpr_kernarg_preload_length 0
		.amdhsa_user_sgpr_kernarg_preload_offset 0
		.amdhsa_user_sgpr_private_segment_size 0
		.amdhsa_uses_dynamic_stack 0
		.amdhsa_system_sgpr_private_segment_wavefront_offset 0
		.amdhsa_system_sgpr_workgroup_id_x 1
		.amdhsa_system_sgpr_workgroup_id_y 0
		.amdhsa_system_sgpr_workgroup_id_z 0
		.amdhsa_system_sgpr_workgroup_info 0
		.amdhsa_system_vgpr_workitem_id 0
		.amdhsa_next_free_vgpr 1
		.amdhsa_next_free_sgpr 0
		.amdhsa_accum_offset 4
		.amdhsa_reserve_vcc 0
		.amdhsa_reserve_flat_scratch 0
		.amdhsa_float_round_mode_32 0
		.amdhsa_float_round_mode_16_64 0
		.amdhsa_float_denorm_mode_32 3
		.amdhsa_float_denorm_mode_16_64 3
		.amdhsa_dx10_clamp 1
		.amdhsa_ieee_mode 1
		.amdhsa_fp16_overflow 0
		.amdhsa_tg_split 0
		.amdhsa_exception_fp_ieee_invalid_op 0
		.amdhsa_exception_fp_denorm_src 0
		.amdhsa_exception_fp_ieee_div_zero 0
		.amdhsa_exception_fp_ieee_overflow 0
		.amdhsa_exception_fp_ieee_underflow 0
		.amdhsa_exception_fp_ieee_inexact 0
		.amdhsa_exception_int_div_zero 0
	.end_amdhsa_kernel
	.section	.text._ZN7rocprim17ROCPRIM_400000_NS6detail17trampoline_kernelINS0_14default_configENS1_27scan_by_key_config_selectorIssEEZZNS1_16scan_by_key_implILNS1_25lookback_scan_determinismE0ELb0ES3_N6thrust23THRUST_200600_302600_NS6detail15normal_iteratorINS9_10device_ptrIsEEEESE_SE_sNS9_4plusIsEE19head_flag_predicatesEE10hipError_tPvRmT2_T3_T4_T5_mT6_T7_P12ihipStream_tbENKUlT_T0_E_clISt17integral_constantIbLb1EESY_EEDaST_SU_EUlST_E_NS1_11comp_targetILNS1_3genE9ELNS1_11target_archE1100ELNS1_3gpuE3ELNS1_3repE0EEENS1_30default_config_static_selectorELNS0_4arch9wavefront6targetE1EEEvT1_,"axG",@progbits,_ZN7rocprim17ROCPRIM_400000_NS6detail17trampoline_kernelINS0_14default_configENS1_27scan_by_key_config_selectorIssEEZZNS1_16scan_by_key_implILNS1_25lookback_scan_determinismE0ELb0ES3_N6thrust23THRUST_200600_302600_NS6detail15normal_iteratorINS9_10device_ptrIsEEEESE_SE_sNS9_4plusIsEE19head_flag_predicatesEE10hipError_tPvRmT2_T3_T4_T5_mT6_T7_P12ihipStream_tbENKUlT_T0_E_clISt17integral_constantIbLb1EESY_EEDaST_SU_EUlST_E_NS1_11comp_targetILNS1_3genE9ELNS1_11target_archE1100ELNS1_3gpuE3ELNS1_3repE0EEENS1_30default_config_static_selectorELNS0_4arch9wavefront6targetE1EEEvT1_,comdat
.Lfunc_end837:
	.size	_ZN7rocprim17ROCPRIM_400000_NS6detail17trampoline_kernelINS0_14default_configENS1_27scan_by_key_config_selectorIssEEZZNS1_16scan_by_key_implILNS1_25lookback_scan_determinismE0ELb0ES3_N6thrust23THRUST_200600_302600_NS6detail15normal_iteratorINS9_10device_ptrIsEEEESE_SE_sNS9_4plusIsEE19head_flag_predicatesEE10hipError_tPvRmT2_T3_T4_T5_mT6_T7_P12ihipStream_tbENKUlT_T0_E_clISt17integral_constantIbLb1EESY_EEDaST_SU_EUlST_E_NS1_11comp_targetILNS1_3genE9ELNS1_11target_archE1100ELNS1_3gpuE3ELNS1_3repE0EEENS1_30default_config_static_selectorELNS0_4arch9wavefront6targetE1EEEvT1_, .Lfunc_end837-_ZN7rocprim17ROCPRIM_400000_NS6detail17trampoline_kernelINS0_14default_configENS1_27scan_by_key_config_selectorIssEEZZNS1_16scan_by_key_implILNS1_25lookback_scan_determinismE0ELb0ES3_N6thrust23THRUST_200600_302600_NS6detail15normal_iteratorINS9_10device_ptrIsEEEESE_SE_sNS9_4plusIsEE19head_flag_predicatesEE10hipError_tPvRmT2_T3_T4_T5_mT6_T7_P12ihipStream_tbENKUlT_T0_E_clISt17integral_constantIbLb1EESY_EEDaST_SU_EUlST_E_NS1_11comp_targetILNS1_3genE9ELNS1_11target_archE1100ELNS1_3gpuE3ELNS1_3repE0EEENS1_30default_config_static_selectorELNS0_4arch9wavefront6targetE1EEEvT1_
                                        ; -- End function
	.section	.AMDGPU.csdata,"",@progbits
; Kernel info:
; codeLenInByte = 0
; NumSgprs: 4
; NumVgprs: 0
; NumAgprs: 0
; TotalNumVgprs: 0
; ScratchSize: 0
; MemoryBound: 0
; FloatMode: 240
; IeeeMode: 1
; LDSByteSize: 0 bytes/workgroup (compile time only)
; SGPRBlocks: 0
; VGPRBlocks: 0
; NumSGPRsForWavesPerEU: 4
; NumVGPRsForWavesPerEU: 1
; AccumOffset: 4
; Occupancy: 8
; WaveLimiterHint : 0
; COMPUTE_PGM_RSRC2:SCRATCH_EN: 0
; COMPUTE_PGM_RSRC2:USER_SGPR: 6
; COMPUTE_PGM_RSRC2:TRAP_HANDLER: 0
; COMPUTE_PGM_RSRC2:TGID_X_EN: 1
; COMPUTE_PGM_RSRC2:TGID_Y_EN: 0
; COMPUTE_PGM_RSRC2:TGID_Z_EN: 0
; COMPUTE_PGM_RSRC2:TIDIG_COMP_CNT: 0
; COMPUTE_PGM_RSRC3_GFX90A:ACCUM_OFFSET: 0
; COMPUTE_PGM_RSRC3_GFX90A:TG_SPLIT: 0
	.section	.text._ZN7rocprim17ROCPRIM_400000_NS6detail17trampoline_kernelINS0_14default_configENS1_27scan_by_key_config_selectorIssEEZZNS1_16scan_by_key_implILNS1_25lookback_scan_determinismE0ELb0ES3_N6thrust23THRUST_200600_302600_NS6detail15normal_iteratorINS9_10device_ptrIsEEEESE_SE_sNS9_4plusIsEE19head_flag_predicatesEE10hipError_tPvRmT2_T3_T4_T5_mT6_T7_P12ihipStream_tbENKUlT_T0_E_clISt17integral_constantIbLb1EESY_EEDaST_SU_EUlST_E_NS1_11comp_targetILNS1_3genE8ELNS1_11target_archE1030ELNS1_3gpuE2ELNS1_3repE0EEENS1_30default_config_static_selectorELNS0_4arch9wavefront6targetE1EEEvT1_,"axG",@progbits,_ZN7rocprim17ROCPRIM_400000_NS6detail17trampoline_kernelINS0_14default_configENS1_27scan_by_key_config_selectorIssEEZZNS1_16scan_by_key_implILNS1_25lookback_scan_determinismE0ELb0ES3_N6thrust23THRUST_200600_302600_NS6detail15normal_iteratorINS9_10device_ptrIsEEEESE_SE_sNS9_4plusIsEE19head_flag_predicatesEE10hipError_tPvRmT2_T3_T4_T5_mT6_T7_P12ihipStream_tbENKUlT_T0_E_clISt17integral_constantIbLb1EESY_EEDaST_SU_EUlST_E_NS1_11comp_targetILNS1_3genE8ELNS1_11target_archE1030ELNS1_3gpuE2ELNS1_3repE0EEENS1_30default_config_static_selectorELNS0_4arch9wavefront6targetE1EEEvT1_,comdat
	.protected	_ZN7rocprim17ROCPRIM_400000_NS6detail17trampoline_kernelINS0_14default_configENS1_27scan_by_key_config_selectorIssEEZZNS1_16scan_by_key_implILNS1_25lookback_scan_determinismE0ELb0ES3_N6thrust23THRUST_200600_302600_NS6detail15normal_iteratorINS9_10device_ptrIsEEEESE_SE_sNS9_4plusIsEE19head_flag_predicatesEE10hipError_tPvRmT2_T3_T4_T5_mT6_T7_P12ihipStream_tbENKUlT_T0_E_clISt17integral_constantIbLb1EESY_EEDaST_SU_EUlST_E_NS1_11comp_targetILNS1_3genE8ELNS1_11target_archE1030ELNS1_3gpuE2ELNS1_3repE0EEENS1_30default_config_static_selectorELNS0_4arch9wavefront6targetE1EEEvT1_ ; -- Begin function _ZN7rocprim17ROCPRIM_400000_NS6detail17trampoline_kernelINS0_14default_configENS1_27scan_by_key_config_selectorIssEEZZNS1_16scan_by_key_implILNS1_25lookback_scan_determinismE0ELb0ES3_N6thrust23THRUST_200600_302600_NS6detail15normal_iteratorINS9_10device_ptrIsEEEESE_SE_sNS9_4plusIsEE19head_flag_predicatesEE10hipError_tPvRmT2_T3_T4_T5_mT6_T7_P12ihipStream_tbENKUlT_T0_E_clISt17integral_constantIbLb1EESY_EEDaST_SU_EUlST_E_NS1_11comp_targetILNS1_3genE8ELNS1_11target_archE1030ELNS1_3gpuE2ELNS1_3repE0EEENS1_30default_config_static_selectorELNS0_4arch9wavefront6targetE1EEEvT1_
	.globl	_ZN7rocprim17ROCPRIM_400000_NS6detail17trampoline_kernelINS0_14default_configENS1_27scan_by_key_config_selectorIssEEZZNS1_16scan_by_key_implILNS1_25lookback_scan_determinismE0ELb0ES3_N6thrust23THRUST_200600_302600_NS6detail15normal_iteratorINS9_10device_ptrIsEEEESE_SE_sNS9_4plusIsEE19head_flag_predicatesEE10hipError_tPvRmT2_T3_T4_T5_mT6_T7_P12ihipStream_tbENKUlT_T0_E_clISt17integral_constantIbLb1EESY_EEDaST_SU_EUlST_E_NS1_11comp_targetILNS1_3genE8ELNS1_11target_archE1030ELNS1_3gpuE2ELNS1_3repE0EEENS1_30default_config_static_selectorELNS0_4arch9wavefront6targetE1EEEvT1_
	.p2align	8
	.type	_ZN7rocprim17ROCPRIM_400000_NS6detail17trampoline_kernelINS0_14default_configENS1_27scan_by_key_config_selectorIssEEZZNS1_16scan_by_key_implILNS1_25lookback_scan_determinismE0ELb0ES3_N6thrust23THRUST_200600_302600_NS6detail15normal_iteratorINS9_10device_ptrIsEEEESE_SE_sNS9_4plusIsEE19head_flag_predicatesEE10hipError_tPvRmT2_T3_T4_T5_mT6_T7_P12ihipStream_tbENKUlT_T0_E_clISt17integral_constantIbLb1EESY_EEDaST_SU_EUlST_E_NS1_11comp_targetILNS1_3genE8ELNS1_11target_archE1030ELNS1_3gpuE2ELNS1_3repE0EEENS1_30default_config_static_selectorELNS0_4arch9wavefront6targetE1EEEvT1_,@function
_ZN7rocprim17ROCPRIM_400000_NS6detail17trampoline_kernelINS0_14default_configENS1_27scan_by_key_config_selectorIssEEZZNS1_16scan_by_key_implILNS1_25lookback_scan_determinismE0ELb0ES3_N6thrust23THRUST_200600_302600_NS6detail15normal_iteratorINS9_10device_ptrIsEEEESE_SE_sNS9_4plusIsEE19head_flag_predicatesEE10hipError_tPvRmT2_T3_T4_T5_mT6_T7_P12ihipStream_tbENKUlT_T0_E_clISt17integral_constantIbLb1EESY_EEDaST_SU_EUlST_E_NS1_11comp_targetILNS1_3genE8ELNS1_11target_archE1030ELNS1_3gpuE2ELNS1_3repE0EEENS1_30default_config_static_selectorELNS0_4arch9wavefront6targetE1EEEvT1_: ; @_ZN7rocprim17ROCPRIM_400000_NS6detail17trampoline_kernelINS0_14default_configENS1_27scan_by_key_config_selectorIssEEZZNS1_16scan_by_key_implILNS1_25lookback_scan_determinismE0ELb0ES3_N6thrust23THRUST_200600_302600_NS6detail15normal_iteratorINS9_10device_ptrIsEEEESE_SE_sNS9_4plusIsEE19head_flag_predicatesEE10hipError_tPvRmT2_T3_T4_T5_mT6_T7_P12ihipStream_tbENKUlT_T0_E_clISt17integral_constantIbLb1EESY_EEDaST_SU_EUlST_E_NS1_11comp_targetILNS1_3genE8ELNS1_11target_archE1030ELNS1_3gpuE2ELNS1_3repE0EEENS1_30default_config_static_selectorELNS0_4arch9wavefront6targetE1EEEvT1_
; %bb.0:
	.section	.rodata,"a",@progbits
	.p2align	6, 0x0
	.amdhsa_kernel _ZN7rocprim17ROCPRIM_400000_NS6detail17trampoline_kernelINS0_14default_configENS1_27scan_by_key_config_selectorIssEEZZNS1_16scan_by_key_implILNS1_25lookback_scan_determinismE0ELb0ES3_N6thrust23THRUST_200600_302600_NS6detail15normal_iteratorINS9_10device_ptrIsEEEESE_SE_sNS9_4plusIsEE19head_flag_predicatesEE10hipError_tPvRmT2_T3_T4_T5_mT6_T7_P12ihipStream_tbENKUlT_T0_E_clISt17integral_constantIbLb1EESY_EEDaST_SU_EUlST_E_NS1_11comp_targetILNS1_3genE8ELNS1_11target_archE1030ELNS1_3gpuE2ELNS1_3repE0EEENS1_30default_config_static_selectorELNS0_4arch9wavefront6targetE1EEEvT1_
		.amdhsa_group_segment_fixed_size 0
		.amdhsa_private_segment_fixed_size 0
		.amdhsa_kernarg_size 112
		.amdhsa_user_sgpr_count 6
		.amdhsa_user_sgpr_private_segment_buffer 1
		.amdhsa_user_sgpr_dispatch_ptr 0
		.amdhsa_user_sgpr_queue_ptr 0
		.amdhsa_user_sgpr_kernarg_segment_ptr 1
		.amdhsa_user_sgpr_dispatch_id 0
		.amdhsa_user_sgpr_flat_scratch_init 0
		.amdhsa_user_sgpr_kernarg_preload_length 0
		.amdhsa_user_sgpr_kernarg_preload_offset 0
		.amdhsa_user_sgpr_private_segment_size 0
		.amdhsa_uses_dynamic_stack 0
		.amdhsa_system_sgpr_private_segment_wavefront_offset 0
		.amdhsa_system_sgpr_workgroup_id_x 1
		.amdhsa_system_sgpr_workgroup_id_y 0
		.amdhsa_system_sgpr_workgroup_id_z 0
		.amdhsa_system_sgpr_workgroup_info 0
		.amdhsa_system_vgpr_workitem_id 0
		.amdhsa_next_free_vgpr 1
		.amdhsa_next_free_sgpr 0
		.amdhsa_accum_offset 4
		.amdhsa_reserve_vcc 0
		.amdhsa_reserve_flat_scratch 0
		.amdhsa_float_round_mode_32 0
		.amdhsa_float_round_mode_16_64 0
		.amdhsa_float_denorm_mode_32 3
		.amdhsa_float_denorm_mode_16_64 3
		.amdhsa_dx10_clamp 1
		.amdhsa_ieee_mode 1
		.amdhsa_fp16_overflow 0
		.amdhsa_tg_split 0
		.amdhsa_exception_fp_ieee_invalid_op 0
		.amdhsa_exception_fp_denorm_src 0
		.amdhsa_exception_fp_ieee_div_zero 0
		.amdhsa_exception_fp_ieee_overflow 0
		.amdhsa_exception_fp_ieee_underflow 0
		.amdhsa_exception_fp_ieee_inexact 0
		.amdhsa_exception_int_div_zero 0
	.end_amdhsa_kernel
	.section	.text._ZN7rocprim17ROCPRIM_400000_NS6detail17trampoline_kernelINS0_14default_configENS1_27scan_by_key_config_selectorIssEEZZNS1_16scan_by_key_implILNS1_25lookback_scan_determinismE0ELb0ES3_N6thrust23THRUST_200600_302600_NS6detail15normal_iteratorINS9_10device_ptrIsEEEESE_SE_sNS9_4plusIsEE19head_flag_predicatesEE10hipError_tPvRmT2_T3_T4_T5_mT6_T7_P12ihipStream_tbENKUlT_T0_E_clISt17integral_constantIbLb1EESY_EEDaST_SU_EUlST_E_NS1_11comp_targetILNS1_3genE8ELNS1_11target_archE1030ELNS1_3gpuE2ELNS1_3repE0EEENS1_30default_config_static_selectorELNS0_4arch9wavefront6targetE1EEEvT1_,"axG",@progbits,_ZN7rocprim17ROCPRIM_400000_NS6detail17trampoline_kernelINS0_14default_configENS1_27scan_by_key_config_selectorIssEEZZNS1_16scan_by_key_implILNS1_25lookback_scan_determinismE0ELb0ES3_N6thrust23THRUST_200600_302600_NS6detail15normal_iteratorINS9_10device_ptrIsEEEESE_SE_sNS9_4plusIsEE19head_flag_predicatesEE10hipError_tPvRmT2_T3_T4_T5_mT6_T7_P12ihipStream_tbENKUlT_T0_E_clISt17integral_constantIbLb1EESY_EEDaST_SU_EUlST_E_NS1_11comp_targetILNS1_3genE8ELNS1_11target_archE1030ELNS1_3gpuE2ELNS1_3repE0EEENS1_30default_config_static_selectorELNS0_4arch9wavefront6targetE1EEEvT1_,comdat
.Lfunc_end838:
	.size	_ZN7rocprim17ROCPRIM_400000_NS6detail17trampoline_kernelINS0_14default_configENS1_27scan_by_key_config_selectorIssEEZZNS1_16scan_by_key_implILNS1_25lookback_scan_determinismE0ELb0ES3_N6thrust23THRUST_200600_302600_NS6detail15normal_iteratorINS9_10device_ptrIsEEEESE_SE_sNS9_4plusIsEE19head_flag_predicatesEE10hipError_tPvRmT2_T3_T4_T5_mT6_T7_P12ihipStream_tbENKUlT_T0_E_clISt17integral_constantIbLb1EESY_EEDaST_SU_EUlST_E_NS1_11comp_targetILNS1_3genE8ELNS1_11target_archE1030ELNS1_3gpuE2ELNS1_3repE0EEENS1_30default_config_static_selectorELNS0_4arch9wavefront6targetE1EEEvT1_, .Lfunc_end838-_ZN7rocprim17ROCPRIM_400000_NS6detail17trampoline_kernelINS0_14default_configENS1_27scan_by_key_config_selectorIssEEZZNS1_16scan_by_key_implILNS1_25lookback_scan_determinismE0ELb0ES3_N6thrust23THRUST_200600_302600_NS6detail15normal_iteratorINS9_10device_ptrIsEEEESE_SE_sNS9_4plusIsEE19head_flag_predicatesEE10hipError_tPvRmT2_T3_T4_T5_mT6_T7_P12ihipStream_tbENKUlT_T0_E_clISt17integral_constantIbLb1EESY_EEDaST_SU_EUlST_E_NS1_11comp_targetILNS1_3genE8ELNS1_11target_archE1030ELNS1_3gpuE2ELNS1_3repE0EEENS1_30default_config_static_selectorELNS0_4arch9wavefront6targetE1EEEvT1_
                                        ; -- End function
	.section	.AMDGPU.csdata,"",@progbits
; Kernel info:
; codeLenInByte = 0
; NumSgprs: 4
; NumVgprs: 0
; NumAgprs: 0
; TotalNumVgprs: 0
; ScratchSize: 0
; MemoryBound: 0
; FloatMode: 240
; IeeeMode: 1
; LDSByteSize: 0 bytes/workgroup (compile time only)
; SGPRBlocks: 0
; VGPRBlocks: 0
; NumSGPRsForWavesPerEU: 4
; NumVGPRsForWavesPerEU: 1
; AccumOffset: 4
; Occupancy: 8
; WaveLimiterHint : 0
; COMPUTE_PGM_RSRC2:SCRATCH_EN: 0
; COMPUTE_PGM_RSRC2:USER_SGPR: 6
; COMPUTE_PGM_RSRC2:TRAP_HANDLER: 0
; COMPUTE_PGM_RSRC2:TGID_X_EN: 1
; COMPUTE_PGM_RSRC2:TGID_Y_EN: 0
; COMPUTE_PGM_RSRC2:TGID_Z_EN: 0
; COMPUTE_PGM_RSRC2:TIDIG_COMP_CNT: 0
; COMPUTE_PGM_RSRC3_GFX90A:ACCUM_OFFSET: 0
; COMPUTE_PGM_RSRC3_GFX90A:TG_SPLIT: 0
	.section	.text._ZN7rocprim17ROCPRIM_400000_NS6detail17trampoline_kernelINS0_14default_configENS1_27scan_by_key_config_selectorIssEEZZNS1_16scan_by_key_implILNS1_25lookback_scan_determinismE0ELb0ES3_N6thrust23THRUST_200600_302600_NS6detail15normal_iteratorINS9_10device_ptrIsEEEESE_SE_sNS9_4plusIsEE19head_flag_predicatesEE10hipError_tPvRmT2_T3_T4_T5_mT6_T7_P12ihipStream_tbENKUlT_T0_E_clISt17integral_constantIbLb1EESX_IbLb0EEEEDaST_SU_EUlST_E_NS1_11comp_targetILNS1_3genE0ELNS1_11target_archE4294967295ELNS1_3gpuE0ELNS1_3repE0EEENS1_30default_config_static_selectorELNS0_4arch9wavefront6targetE1EEEvT1_,"axG",@progbits,_ZN7rocprim17ROCPRIM_400000_NS6detail17trampoline_kernelINS0_14default_configENS1_27scan_by_key_config_selectorIssEEZZNS1_16scan_by_key_implILNS1_25lookback_scan_determinismE0ELb0ES3_N6thrust23THRUST_200600_302600_NS6detail15normal_iteratorINS9_10device_ptrIsEEEESE_SE_sNS9_4plusIsEE19head_flag_predicatesEE10hipError_tPvRmT2_T3_T4_T5_mT6_T7_P12ihipStream_tbENKUlT_T0_E_clISt17integral_constantIbLb1EESX_IbLb0EEEEDaST_SU_EUlST_E_NS1_11comp_targetILNS1_3genE0ELNS1_11target_archE4294967295ELNS1_3gpuE0ELNS1_3repE0EEENS1_30default_config_static_selectorELNS0_4arch9wavefront6targetE1EEEvT1_,comdat
	.protected	_ZN7rocprim17ROCPRIM_400000_NS6detail17trampoline_kernelINS0_14default_configENS1_27scan_by_key_config_selectorIssEEZZNS1_16scan_by_key_implILNS1_25lookback_scan_determinismE0ELb0ES3_N6thrust23THRUST_200600_302600_NS6detail15normal_iteratorINS9_10device_ptrIsEEEESE_SE_sNS9_4plusIsEE19head_flag_predicatesEE10hipError_tPvRmT2_T3_T4_T5_mT6_T7_P12ihipStream_tbENKUlT_T0_E_clISt17integral_constantIbLb1EESX_IbLb0EEEEDaST_SU_EUlST_E_NS1_11comp_targetILNS1_3genE0ELNS1_11target_archE4294967295ELNS1_3gpuE0ELNS1_3repE0EEENS1_30default_config_static_selectorELNS0_4arch9wavefront6targetE1EEEvT1_ ; -- Begin function _ZN7rocprim17ROCPRIM_400000_NS6detail17trampoline_kernelINS0_14default_configENS1_27scan_by_key_config_selectorIssEEZZNS1_16scan_by_key_implILNS1_25lookback_scan_determinismE0ELb0ES3_N6thrust23THRUST_200600_302600_NS6detail15normal_iteratorINS9_10device_ptrIsEEEESE_SE_sNS9_4plusIsEE19head_flag_predicatesEE10hipError_tPvRmT2_T3_T4_T5_mT6_T7_P12ihipStream_tbENKUlT_T0_E_clISt17integral_constantIbLb1EESX_IbLb0EEEEDaST_SU_EUlST_E_NS1_11comp_targetILNS1_3genE0ELNS1_11target_archE4294967295ELNS1_3gpuE0ELNS1_3repE0EEENS1_30default_config_static_selectorELNS0_4arch9wavefront6targetE1EEEvT1_
	.globl	_ZN7rocprim17ROCPRIM_400000_NS6detail17trampoline_kernelINS0_14default_configENS1_27scan_by_key_config_selectorIssEEZZNS1_16scan_by_key_implILNS1_25lookback_scan_determinismE0ELb0ES3_N6thrust23THRUST_200600_302600_NS6detail15normal_iteratorINS9_10device_ptrIsEEEESE_SE_sNS9_4plusIsEE19head_flag_predicatesEE10hipError_tPvRmT2_T3_T4_T5_mT6_T7_P12ihipStream_tbENKUlT_T0_E_clISt17integral_constantIbLb1EESX_IbLb0EEEEDaST_SU_EUlST_E_NS1_11comp_targetILNS1_3genE0ELNS1_11target_archE4294967295ELNS1_3gpuE0ELNS1_3repE0EEENS1_30default_config_static_selectorELNS0_4arch9wavefront6targetE1EEEvT1_
	.p2align	8
	.type	_ZN7rocprim17ROCPRIM_400000_NS6detail17trampoline_kernelINS0_14default_configENS1_27scan_by_key_config_selectorIssEEZZNS1_16scan_by_key_implILNS1_25lookback_scan_determinismE0ELb0ES3_N6thrust23THRUST_200600_302600_NS6detail15normal_iteratorINS9_10device_ptrIsEEEESE_SE_sNS9_4plusIsEE19head_flag_predicatesEE10hipError_tPvRmT2_T3_T4_T5_mT6_T7_P12ihipStream_tbENKUlT_T0_E_clISt17integral_constantIbLb1EESX_IbLb0EEEEDaST_SU_EUlST_E_NS1_11comp_targetILNS1_3genE0ELNS1_11target_archE4294967295ELNS1_3gpuE0ELNS1_3repE0EEENS1_30default_config_static_selectorELNS0_4arch9wavefront6targetE1EEEvT1_,@function
_ZN7rocprim17ROCPRIM_400000_NS6detail17trampoline_kernelINS0_14default_configENS1_27scan_by_key_config_selectorIssEEZZNS1_16scan_by_key_implILNS1_25lookback_scan_determinismE0ELb0ES3_N6thrust23THRUST_200600_302600_NS6detail15normal_iteratorINS9_10device_ptrIsEEEESE_SE_sNS9_4plusIsEE19head_flag_predicatesEE10hipError_tPvRmT2_T3_T4_T5_mT6_T7_P12ihipStream_tbENKUlT_T0_E_clISt17integral_constantIbLb1EESX_IbLb0EEEEDaST_SU_EUlST_E_NS1_11comp_targetILNS1_3genE0ELNS1_11target_archE4294967295ELNS1_3gpuE0ELNS1_3repE0EEENS1_30default_config_static_selectorELNS0_4arch9wavefront6targetE1EEEvT1_: ; @_ZN7rocprim17ROCPRIM_400000_NS6detail17trampoline_kernelINS0_14default_configENS1_27scan_by_key_config_selectorIssEEZZNS1_16scan_by_key_implILNS1_25lookback_scan_determinismE0ELb0ES3_N6thrust23THRUST_200600_302600_NS6detail15normal_iteratorINS9_10device_ptrIsEEEESE_SE_sNS9_4plusIsEE19head_flag_predicatesEE10hipError_tPvRmT2_T3_T4_T5_mT6_T7_P12ihipStream_tbENKUlT_T0_E_clISt17integral_constantIbLb1EESX_IbLb0EEEEDaST_SU_EUlST_E_NS1_11comp_targetILNS1_3genE0ELNS1_11target_archE4294967295ELNS1_3gpuE0ELNS1_3repE0EEENS1_30default_config_static_selectorELNS0_4arch9wavefront6targetE1EEEvT1_
; %bb.0:
	.section	.rodata,"a",@progbits
	.p2align	6, 0x0
	.amdhsa_kernel _ZN7rocprim17ROCPRIM_400000_NS6detail17trampoline_kernelINS0_14default_configENS1_27scan_by_key_config_selectorIssEEZZNS1_16scan_by_key_implILNS1_25lookback_scan_determinismE0ELb0ES3_N6thrust23THRUST_200600_302600_NS6detail15normal_iteratorINS9_10device_ptrIsEEEESE_SE_sNS9_4plusIsEE19head_flag_predicatesEE10hipError_tPvRmT2_T3_T4_T5_mT6_T7_P12ihipStream_tbENKUlT_T0_E_clISt17integral_constantIbLb1EESX_IbLb0EEEEDaST_SU_EUlST_E_NS1_11comp_targetILNS1_3genE0ELNS1_11target_archE4294967295ELNS1_3gpuE0ELNS1_3repE0EEENS1_30default_config_static_selectorELNS0_4arch9wavefront6targetE1EEEvT1_
		.amdhsa_group_segment_fixed_size 0
		.amdhsa_private_segment_fixed_size 0
		.amdhsa_kernarg_size 112
		.amdhsa_user_sgpr_count 6
		.amdhsa_user_sgpr_private_segment_buffer 1
		.amdhsa_user_sgpr_dispatch_ptr 0
		.amdhsa_user_sgpr_queue_ptr 0
		.amdhsa_user_sgpr_kernarg_segment_ptr 1
		.amdhsa_user_sgpr_dispatch_id 0
		.amdhsa_user_sgpr_flat_scratch_init 0
		.amdhsa_user_sgpr_kernarg_preload_length 0
		.amdhsa_user_sgpr_kernarg_preload_offset 0
		.amdhsa_user_sgpr_private_segment_size 0
		.amdhsa_uses_dynamic_stack 0
		.amdhsa_system_sgpr_private_segment_wavefront_offset 0
		.amdhsa_system_sgpr_workgroup_id_x 1
		.amdhsa_system_sgpr_workgroup_id_y 0
		.amdhsa_system_sgpr_workgroup_id_z 0
		.amdhsa_system_sgpr_workgroup_info 0
		.amdhsa_system_vgpr_workitem_id 0
		.amdhsa_next_free_vgpr 1
		.amdhsa_next_free_sgpr 0
		.amdhsa_accum_offset 4
		.amdhsa_reserve_vcc 0
		.amdhsa_reserve_flat_scratch 0
		.amdhsa_float_round_mode_32 0
		.amdhsa_float_round_mode_16_64 0
		.amdhsa_float_denorm_mode_32 3
		.amdhsa_float_denorm_mode_16_64 3
		.amdhsa_dx10_clamp 1
		.amdhsa_ieee_mode 1
		.amdhsa_fp16_overflow 0
		.amdhsa_tg_split 0
		.amdhsa_exception_fp_ieee_invalid_op 0
		.amdhsa_exception_fp_denorm_src 0
		.amdhsa_exception_fp_ieee_div_zero 0
		.amdhsa_exception_fp_ieee_overflow 0
		.amdhsa_exception_fp_ieee_underflow 0
		.amdhsa_exception_fp_ieee_inexact 0
		.amdhsa_exception_int_div_zero 0
	.end_amdhsa_kernel
	.section	.text._ZN7rocprim17ROCPRIM_400000_NS6detail17trampoline_kernelINS0_14default_configENS1_27scan_by_key_config_selectorIssEEZZNS1_16scan_by_key_implILNS1_25lookback_scan_determinismE0ELb0ES3_N6thrust23THRUST_200600_302600_NS6detail15normal_iteratorINS9_10device_ptrIsEEEESE_SE_sNS9_4plusIsEE19head_flag_predicatesEE10hipError_tPvRmT2_T3_T4_T5_mT6_T7_P12ihipStream_tbENKUlT_T0_E_clISt17integral_constantIbLb1EESX_IbLb0EEEEDaST_SU_EUlST_E_NS1_11comp_targetILNS1_3genE0ELNS1_11target_archE4294967295ELNS1_3gpuE0ELNS1_3repE0EEENS1_30default_config_static_selectorELNS0_4arch9wavefront6targetE1EEEvT1_,"axG",@progbits,_ZN7rocprim17ROCPRIM_400000_NS6detail17trampoline_kernelINS0_14default_configENS1_27scan_by_key_config_selectorIssEEZZNS1_16scan_by_key_implILNS1_25lookback_scan_determinismE0ELb0ES3_N6thrust23THRUST_200600_302600_NS6detail15normal_iteratorINS9_10device_ptrIsEEEESE_SE_sNS9_4plusIsEE19head_flag_predicatesEE10hipError_tPvRmT2_T3_T4_T5_mT6_T7_P12ihipStream_tbENKUlT_T0_E_clISt17integral_constantIbLb1EESX_IbLb0EEEEDaST_SU_EUlST_E_NS1_11comp_targetILNS1_3genE0ELNS1_11target_archE4294967295ELNS1_3gpuE0ELNS1_3repE0EEENS1_30default_config_static_selectorELNS0_4arch9wavefront6targetE1EEEvT1_,comdat
.Lfunc_end839:
	.size	_ZN7rocprim17ROCPRIM_400000_NS6detail17trampoline_kernelINS0_14default_configENS1_27scan_by_key_config_selectorIssEEZZNS1_16scan_by_key_implILNS1_25lookback_scan_determinismE0ELb0ES3_N6thrust23THRUST_200600_302600_NS6detail15normal_iteratorINS9_10device_ptrIsEEEESE_SE_sNS9_4plusIsEE19head_flag_predicatesEE10hipError_tPvRmT2_T3_T4_T5_mT6_T7_P12ihipStream_tbENKUlT_T0_E_clISt17integral_constantIbLb1EESX_IbLb0EEEEDaST_SU_EUlST_E_NS1_11comp_targetILNS1_3genE0ELNS1_11target_archE4294967295ELNS1_3gpuE0ELNS1_3repE0EEENS1_30default_config_static_selectorELNS0_4arch9wavefront6targetE1EEEvT1_, .Lfunc_end839-_ZN7rocprim17ROCPRIM_400000_NS6detail17trampoline_kernelINS0_14default_configENS1_27scan_by_key_config_selectorIssEEZZNS1_16scan_by_key_implILNS1_25lookback_scan_determinismE0ELb0ES3_N6thrust23THRUST_200600_302600_NS6detail15normal_iteratorINS9_10device_ptrIsEEEESE_SE_sNS9_4plusIsEE19head_flag_predicatesEE10hipError_tPvRmT2_T3_T4_T5_mT6_T7_P12ihipStream_tbENKUlT_T0_E_clISt17integral_constantIbLb1EESX_IbLb0EEEEDaST_SU_EUlST_E_NS1_11comp_targetILNS1_3genE0ELNS1_11target_archE4294967295ELNS1_3gpuE0ELNS1_3repE0EEENS1_30default_config_static_selectorELNS0_4arch9wavefront6targetE1EEEvT1_
                                        ; -- End function
	.section	.AMDGPU.csdata,"",@progbits
; Kernel info:
; codeLenInByte = 0
; NumSgprs: 4
; NumVgprs: 0
; NumAgprs: 0
; TotalNumVgprs: 0
; ScratchSize: 0
; MemoryBound: 0
; FloatMode: 240
; IeeeMode: 1
; LDSByteSize: 0 bytes/workgroup (compile time only)
; SGPRBlocks: 0
; VGPRBlocks: 0
; NumSGPRsForWavesPerEU: 4
; NumVGPRsForWavesPerEU: 1
; AccumOffset: 4
; Occupancy: 8
; WaveLimiterHint : 0
; COMPUTE_PGM_RSRC2:SCRATCH_EN: 0
; COMPUTE_PGM_RSRC2:USER_SGPR: 6
; COMPUTE_PGM_RSRC2:TRAP_HANDLER: 0
; COMPUTE_PGM_RSRC2:TGID_X_EN: 1
; COMPUTE_PGM_RSRC2:TGID_Y_EN: 0
; COMPUTE_PGM_RSRC2:TGID_Z_EN: 0
; COMPUTE_PGM_RSRC2:TIDIG_COMP_CNT: 0
; COMPUTE_PGM_RSRC3_GFX90A:ACCUM_OFFSET: 0
; COMPUTE_PGM_RSRC3_GFX90A:TG_SPLIT: 0
	.section	.text._ZN7rocprim17ROCPRIM_400000_NS6detail17trampoline_kernelINS0_14default_configENS1_27scan_by_key_config_selectorIssEEZZNS1_16scan_by_key_implILNS1_25lookback_scan_determinismE0ELb0ES3_N6thrust23THRUST_200600_302600_NS6detail15normal_iteratorINS9_10device_ptrIsEEEESE_SE_sNS9_4plusIsEE19head_flag_predicatesEE10hipError_tPvRmT2_T3_T4_T5_mT6_T7_P12ihipStream_tbENKUlT_T0_E_clISt17integral_constantIbLb1EESX_IbLb0EEEEDaST_SU_EUlST_E_NS1_11comp_targetILNS1_3genE10ELNS1_11target_archE1201ELNS1_3gpuE5ELNS1_3repE0EEENS1_30default_config_static_selectorELNS0_4arch9wavefront6targetE1EEEvT1_,"axG",@progbits,_ZN7rocprim17ROCPRIM_400000_NS6detail17trampoline_kernelINS0_14default_configENS1_27scan_by_key_config_selectorIssEEZZNS1_16scan_by_key_implILNS1_25lookback_scan_determinismE0ELb0ES3_N6thrust23THRUST_200600_302600_NS6detail15normal_iteratorINS9_10device_ptrIsEEEESE_SE_sNS9_4plusIsEE19head_flag_predicatesEE10hipError_tPvRmT2_T3_T4_T5_mT6_T7_P12ihipStream_tbENKUlT_T0_E_clISt17integral_constantIbLb1EESX_IbLb0EEEEDaST_SU_EUlST_E_NS1_11comp_targetILNS1_3genE10ELNS1_11target_archE1201ELNS1_3gpuE5ELNS1_3repE0EEENS1_30default_config_static_selectorELNS0_4arch9wavefront6targetE1EEEvT1_,comdat
	.protected	_ZN7rocprim17ROCPRIM_400000_NS6detail17trampoline_kernelINS0_14default_configENS1_27scan_by_key_config_selectorIssEEZZNS1_16scan_by_key_implILNS1_25lookback_scan_determinismE0ELb0ES3_N6thrust23THRUST_200600_302600_NS6detail15normal_iteratorINS9_10device_ptrIsEEEESE_SE_sNS9_4plusIsEE19head_flag_predicatesEE10hipError_tPvRmT2_T3_T4_T5_mT6_T7_P12ihipStream_tbENKUlT_T0_E_clISt17integral_constantIbLb1EESX_IbLb0EEEEDaST_SU_EUlST_E_NS1_11comp_targetILNS1_3genE10ELNS1_11target_archE1201ELNS1_3gpuE5ELNS1_3repE0EEENS1_30default_config_static_selectorELNS0_4arch9wavefront6targetE1EEEvT1_ ; -- Begin function _ZN7rocprim17ROCPRIM_400000_NS6detail17trampoline_kernelINS0_14default_configENS1_27scan_by_key_config_selectorIssEEZZNS1_16scan_by_key_implILNS1_25lookback_scan_determinismE0ELb0ES3_N6thrust23THRUST_200600_302600_NS6detail15normal_iteratorINS9_10device_ptrIsEEEESE_SE_sNS9_4plusIsEE19head_flag_predicatesEE10hipError_tPvRmT2_T3_T4_T5_mT6_T7_P12ihipStream_tbENKUlT_T0_E_clISt17integral_constantIbLb1EESX_IbLb0EEEEDaST_SU_EUlST_E_NS1_11comp_targetILNS1_3genE10ELNS1_11target_archE1201ELNS1_3gpuE5ELNS1_3repE0EEENS1_30default_config_static_selectorELNS0_4arch9wavefront6targetE1EEEvT1_
	.globl	_ZN7rocprim17ROCPRIM_400000_NS6detail17trampoline_kernelINS0_14default_configENS1_27scan_by_key_config_selectorIssEEZZNS1_16scan_by_key_implILNS1_25lookback_scan_determinismE0ELb0ES3_N6thrust23THRUST_200600_302600_NS6detail15normal_iteratorINS9_10device_ptrIsEEEESE_SE_sNS9_4plusIsEE19head_flag_predicatesEE10hipError_tPvRmT2_T3_T4_T5_mT6_T7_P12ihipStream_tbENKUlT_T0_E_clISt17integral_constantIbLb1EESX_IbLb0EEEEDaST_SU_EUlST_E_NS1_11comp_targetILNS1_3genE10ELNS1_11target_archE1201ELNS1_3gpuE5ELNS1_3repE0EEENS1_30default_config_static_selectorELNS0_4arch9wavefront6targetE1EEEvT1_
	.p2align	8
	.type	_ZN7rocprim17ROCPRIM_400000_NS6detail17trampoline_kernelINS0_14default_configENS1_27scan_by_key_config_selectorIssEEZZNS1_16scan_by_key_implILNS1_25lookback_scan_determinismE0ELb0ES3_N6thrust23THRUST_200600_302600_NS6detail15normal_iteratorINS9_10device_ptrIsEEEESE_SE_sNS9_4plusIsEE19head_flag_predicatesEE10hipError_tPvRmT2_T3_T4_T5_mT6_T7_P12ihipStream_tbENKUlT_T0_E_clISt17integral_constantIbLb1EESX_IbLb0EEEEDaST_SU_EUlST_E_NS1_11comp_targetILNS1_3genE10ELNS1_11target_archE1201ELNS1_3gpuE5ELNS1_3repE0EEENS1_30default_config_static_selectorELNS0_4arch9wavefront6targetE1EEEvT1_,@function
_ZN7rocprim17ROCPRIM_400000_NS6detail17trampoline_kernelINS0_14default_configENS1_27scan_by_key_config_selectorIssEEZZNS1_16scan_by_key_implILNS1_25lookback_scan_determinismE0ELb0ES3_N6thrust23THRUST_200600_302600_NS6detail15normal_iteratorINS9_10device_ptrIsEEEESE_SE_sNS9_4plusIsEE19head_flag_predicatesEE10hipError_tPvRmT2_T3_T4_T5_mT6_T7_P12ihipStream_tbENKUlT_T0_E_clISt17integral_constantIbLb1EESX_IbLb0EEEEDaST_SU_EUlST_E_NS1_11comp_targetILNS1_3genE10ELNS1_11target_archE1201ELNS1_3gpuE5ELNS1_3repE0EEENS1_30default_config_static_selectorELNS0_4arch9wavefront6targetE1EEEvT1_: ; @_ZN7rocprim17ROCPRIM_400000_NS6detail17trampoline_kernelINS0_14default_configENS1_27scan_by_key_config_selectorIssEEZZNS1_16scan_by_key_implILNS1_25lookback_scan_determinismE0ELb0ES3_N6thrust23THRUST_200600_302600_NS6detail15normal_iteratorINS9_10device_ptrIsEEEESE_SE_sNS9_4plusIsEE19head_flag_predicatesEE10hipError_tPvRmT2_T3_T4_T5_mT6_T7_P12ihipStream_tbENKUlT_T0_E_clISt17integral_constantIbLb1EESX_IbLb0EEEEDaST_SU_EUlST_E_NS1_11comp_targetILNS1_3genE10ELNS1_11target_archE1201ELNS1_3gpuE5ELNS1_3repE0EEENS1_30default_config_static_selectorELNS0_4arch9wavefront6targetE1EEEvT1_
; %bb.0:
	.section	.rodata,"a",@progbits
	.p2align	6, 0x0
	.amdhsa_kernel _ZN7rocprim17ROCPRIM_400000_NS6detail17trampoline_kernelINS0_14default_configENS1_27scan_by_key_config_selectorIssEEZZNS1_16scan_by_key_implILNS1_25lookback_scan_determinismE0ELb0ES3_N6thrust23THRUST_200600_302600_NS6detail15normal_iteratorINS9_10device_ptrIsEEEESE_SE_sNS9_4plusIsEE19head_flag_predicatesEE10hipError_tPvRmT2_T3_T4_T5_mT6_T7_P12ihipStream_tbENKUlT_T0_E_clISt17integral_constantIbLb1EESX_IbLb0EEEEDaST_SU_EUlST_E_NS1_11comp_targetILNS1_3genE10ELNS1_11target_archE1201ELNS1_3gpuE5ELNS1_3repE0EEENS1_30default_config_static_selectorELNS0_4arch9wavefront6targetE1EEEvT1_
		.amdhsa_group_segment_fixed_size 0
		.amdhsa_private_segment_fixed_size 0
		.amdhsa_kernarg_size 112
		.amdhsa_user_sgpr_count 6
		.amdhsa_user_sgpr_private_segment_buffer 1
		.amdhsa_user_sgpr_dispatch_ptr 0
		.amdhsa_user_sgpr_queue_ptr 0
		.amdhsa_user_sgpr_kernarg_segment_ptr 1
		.amdhsa_user_sgpr_dispatch_id 0
		.amdhsa_user_sgpr_flat_scratch_init 0
		.amdhsa_user_sgpr_kernarg_preload_length 0
		.amdhsa_user_sgpr_kernarg_preload_offset 0
		.amdhsa_user_sgpr_private_segment_size 0
		.amdhsa_uses_dynamic_stack 0
		.amdhsa_system_sgpr_private_segment_wavefront_offset 0
		.amdhsa_system_sgpr_workgroup_id_x 1
		.amdhsa_system_sgpr_workgroup_id_y 0
		.amdhsa_system_sgpr_workgroup_id_z 0
		.amdhsa_system_sgpr_workgroup_info 0
		.amdhsa_system_vgpr_workitem_id 0
		.amdhsa_next_free_vgpr 1
		.amdhsa_next_free_sgpr 0
		.amdhsa_accum_offset 4
		.amdhsa_reserve_vcc 0
		.amdhsa_reserve_flat_scratch 0
		.amdhsa_float_round_mode_32 0
		.amdhsa_float_round_mode_16_64 0
		.amdhsa_float_denorm_mode_32 3
		.amdhsa_float_denorm_mode_16_64 3
		.amdhsa_dx10_clamp 1
		.amdhsa_ieee_mode 1
		.amdhsa_fp16_overflow 0
		.amdhsa_tg_split 0
		.amdhsa_exception_fp_ieee_invalid_op 0
		.amdhsa_exception_fp_denorm_src 0
		.amdhsa_exception_fp_ieee_div_zero 0
		.amdhsa_exception_fp_ieee_overflow 0
		.amdhsa_exception_fp_ieee_underflow 0
		.amdhsa_exception_fp_ieee_inexact 0
		.amdhsa_exception_int_div_zero 0
	.end_amdhsa_kernel
	.section	.text._ZN7rocprim17ROCPRIM_400000_NS6detail17trampoline_kernelINS0_14default_configENS1_27scan_by_key_config_selectorIssEEZZNS1_16scan_by_key_implILNS1_25lookback_scan_determinismE0ELb0ES3_N6thrust23THRUST_200600_302600_NS6detail15normal_iteratorINS9_10device_ptrIsEEEESE_SE_sNS9_4plusIsEE19head_flag_predicatesEE10hipError_tPvRmT2_T3_T4_T5_mT6_T7_P12ihipStream_tbENKUlT_T0_E_clISt17integral_constantIbLb1EESX_IbLb0EEEEDaST_SU_EUlST_E_NS1_11comp_targetILNS1_3genE10ELNS1_11target_archE1201ELNS1_3gpuE5ELNS1_3repE0EEENS1_30default_config_static_selectorELNS0_4arch9wavefront6targetE1EEEvT1_,"axG",@progbits,_ZN7rocprim17ROCPRIM_400000_NS6detail17trampoline_kernelINS0_14default_configENS1_27scan_by_key_config_selectorIssEEZZNS1_16scan_by_key_implILNS1_25lookback_scan_determinismE0ELb0ES3_N6thrust23THRUST_200600_302600_NS6detail15normal_iteratorINS9_10device_ptrIsEEEESE_SE_sNS9_4plusIsEE19head_flag_predicatesEE10hipError_tPvRmT2_T3_T4_T5_mT6_T7_P12ihipStream_tbENKUlT_T0_E_clISt17integral_constantIbLb1EESX_IbLb0EEEEDaST_SU_EUlST_E_NS1_11comp_targetILNS1_3genE10ELNS1_11target_archE1201ELNS1_3gpuE5ELNS1_3repE0EEENS1_30default_config_static_selectorELNS0_4arch9wavefront6targetE1EEEvT1_,comdat
.Lfunc_end840:
	.size	_ZN7rocprim17ROCPRIM_400000_NS6detail17trampoline_kernelINS0_14default_configENS1_27scan_by_key_config_selectorIssEEZZNS1_16scan_by_key_implILNS1_25lookback_scan_determinismE0ELb0ES3_N6thrust23THRUST_200600_302600_NS6detail15normal_iteratorINS9_10device_ptrIsEEEESE_SE_sNS9_4plusIsEE19head_flag_predicatesEE10hipError_tPvRmT2_T3_T4_T5_mT6_T7_P12ihipStream_tbENKUlT_T0_E_clISt17integral_constantIbLb1EESX_IbLb0EEEEDaST_SU_EUlST_E_NS1_11comp_targetILNS1_3genE10ELNS1_11target_archE1201ELNS1_3gpuE5ELNS1_3repE0EEENS1_30default_config_static_selectorELNS0_4arch9wavefront6targetE1EEEvT1_, .Lfunc_end840-_ZN7rocprim17ROCPRIM_400000_NS6detail17trampoline_kernelINS0_14default_configENS1_27scan_by_key_config_selectorIssEEZZNS1_16scan_by_key_implILNS1_25lookback_scan_determinismE0ELb0ES3_N6thrust23THRUST_200600_302600_NS6detail15normal_iteratorINS9_10device_ptrIsEEEESE_SE_sNS9_4plusIsEE19head_flag_predicatesEE10hipError_tPvRmT2_T3_T4_T5_mT6_T7_P12ihipStream_tbENKUlT_T0_E_clISt17integral_constantIbLb1EESX_IbLb0EEEEDaST_SU_EUlST_E_NS1_11comp_targetILNS1_3genE10ELNS1_11target_archE1201ELNS1_3gpuE5ELNS1_3repE0EEENS1_30default_config_static_selectorELNS0_4arch9wavefront6targetE1EEEvT1_
                                        ; -- End function
	.section	.AMDGPU.csdata,"",@progbits
; Kernel info:
; codeLenInByte = 0
; NumSgprs: 4
; NumVgprs: 0
; NumAgprs: 0
; TotalNumVgprs: 0
; ScratchSize: 0
; MemoryBound: 0
; FloatMode: 240
; IeeeMode: 1
; LDSByteSize: 0 bytes/workgroup (compile time only)
; SGPRBlocks: 0
; VGPRBlocks: 0
; NumSGPRsForWavesPerEU: 4
; NumVGPRsForWavesPerEU: 1
; AccumOffset: 4
; Occupancy: 8
; WaveLimiterHint : 0
; COMPUTE_PGM_RSRC2:SCRATCH_EN: 0
; COMPUTE_PGM_RSRC2:USER_SGPR: 6
; COMPUTE_PGM_RSRC2:TRAP_HANDLER: 0
; COMPUTE_PGM_RSRC2:TGID_X_EN: 1
; COMPUTE_PGM_RSRC2:TGID_Y_EN: 0
; COMPUTE_PGM_RSRC2:TGID_Z_EN: 0
; COMPUTE_PGM_RSRC2:TIDIG_COMP_CNT: 0
; COMPUTE_PGM_RSRC3_GFX90A:ACCUM_OFFSET: 0
; COMPUTE_PGM_RSRC3_GFX90A:TG_SPLIT: 0
	.section	.text._ZN7rocprim17ROCPRIM_400000_NS6detail17trampoline_kernelINS0_14default_configENS1_27scan_by_key_config_selectorIssEEZZNS1_16scan_by_key_implILNS1_25lookback_scan_determinismE0ELb0ES3_N6thrust23THRUST_200600_302600_NS6detail15normal_iteratorINS9_10device_ptrIsEEEESE_SE_sNS9_4plusIsEE19head_flag_predicatesEE10hipError_tPvRmT2_T3_T4_T5_mT6_T7_P12ihipStream_tbENKUlT_T0_E_clISt17integral_constantIbLb1EESX_IbLb0EEEEDaST_SU_EUlST_E_NS1_11comp_targetILNS1_3genE5ELNS1_11target_archE942ELNS1_3gpuE9ELNS1_3repE0EEENS1_30default_config_static_selectorELNS0_4arch9wavefront6targetE1EEEvT1_,"axG",@progbits,_ZN7rocprim17ROCPRIM_400000_NS6detail17trampoline_kernelINS0_14default_configENS1_27scan_by_key_config_selectorIssEEZZNS1_16scan_by_key_implILNS1_25lookback_scan_determinismE0ELb0ES3_N6thrust23THRUST_200600_302600_NS6detail15normal_iteratorINS9_10device_ptrIsEEEESE_SE_sNS9_4plusIsEE19head_flag_predicatesEE10hipError_tPvRmT2_T3_T4_T5_mT6_T7_P12ihipStream_tbENKUlT_T0_E_clISt17integral_constantIbLb1EESX_IbLb0EEEEDaST_SU_EUlST_E_NS1_11comp_targetILNS1_3genE5ELNS1_11target_archE942ELNS1_3gpuE9ELNS1_3repE0EEENS1_30default_config_static_selectorELNS0_4arch9wavefront6targetE1EEEvT1_,comdat
	.protected	_ZN7rocprim17ROCPRIM_400000_NS6detail17trampoline_kernelINS0_14default_configENS1_27scan_by_key_config_selectorIssEEZZNS1_16scan_by_key_implILNS1_25lookback_scan_determinismE0ELb0ES3_N6thrust23THRUST_200600_302600_NS6detail15normal_iteratorINS9_10device_ptrIsEEEESE_SE_sNS9_4plusIsEE19head_flag_predicatesEE10hipError_tPvRmT2_T3_T4_T5_mT6_T7_P12ihipStream_tbENKUlT_T0_E_clISt17integral_constantIbLb1EESX_IbLb0EEEEDaST_SU_EUlST_E_NS1_11comp_targetILNS1_3genE5ELNS1_11target_archE942ELNS1_3gpuE9ELNS1_3repE0EEENS1_30default_config_static_selectorELNS0_4arch9wavefront6targetE1EEEvT1_ ; -- Begin function _ZN7rocprim17ROCPRIM_400000_NS6detail17trampoline_kernelINS0_14default_configENS1_27scan_by_key_config_selectorIssEEZZNS1_16scan_by_key_implILNS1_25lookback_scan_determinismE0ELb0ES3_N6thrust23THRUST_200600_302600_NS6detail15normal_iteratorINS9_10device_ptrIsEEEESE_SE_sNS9_4plusIsEE19head_flag_predicatesEE10hipError_tPvRmT2_T3_T4_T5_mT6_T7_P12ihipStream_tbENKUlT_T0_E_clISt17integral_constantIbLb1EESX_IbLb0EEEEDaST_SU_EUlST_E_NS1_11comp_targetILNS1_3genE5ELNS1_11target_archE942ELNS1_3gpuE9ELNS1_3repE0EEENS1_30default_config_static_selectorELNS0_4arch9wavefront6targetE1EEEvT1_
	.globl	_ZN7rocprim17ROCPRIM_400000_NS6detail17trampoline_kernelINS0_14default_configENS1_27scan_by_key_config_selectorIssEEZZNS1_16scan_by_key_implILNS1_25lookback_scan_determinismE0ELb0ES3_N6thrust23THRUST_200600_302600_NS6detail15normal_iteratorINS9_10device_ptrIsEEEESE_SE_sNS9_4plusIsEE19head_flag_predicatesEE10hipError_tPvRmT2_T3_T4_T5_mT6_T7_P12ihipStream_tbENKUlT_T0_E_clISt17integral_constantIbLb1EESX_IbLb0EEEEDaST_SU_EUlST_E_NS1_11comp_targetILNS1_3genE5ELNS1_11target_archE942ELNS1_3gpuE9ELNS1_3repE0EEENS1_30default_config_static_selectorELNS0_4arch9wavefront6targetE1EEEvT1_
	.p2align	8
	.type	_ZN7rocprim17ROCPRIM_400000_NS6detail17trampoline_kernelINS0_14default_configENS1_27scan_by_key_config_selectorIssEEZZNS1_16scan_by_key_implILNS1_25lookback_scan_determinismE0ELb0ES3_N6thrust23THRUST_200600_302600_NS6detail15normal_iteratorINS9_10device_ptrIsEEEESE_SE_sNS9_4plusIsEE19head_flag_predicatesEE10hipError_tPvRmT2_T3_T4_T5_mT6_T7_P12ihipStream_tbENKUlT_T0_E_clISt17integral_constantIbLb1EESX_IbLb0EEEEDaST_SU_EUlST_E_NS1_11comp_targetILNS1_3genE5ELNS1_11target_archE942ELNS1_3gpuE9ELNS1_3repE0EEENS1_30default_config_static_selectorELNS0_4arch9wavefront6targetE1EEEvT1_,@function
_ZN7rocprim17ROCPRIM_400000_NS6detail17trampoline_kernelINS0_14default_configENS1_27scan_by_key_config_selectorIssEEZZNS1_16scan_by_key_implILNS1_25lookback_scan_determinismE0ELb0ES3_N6thrust23THRUST_200600_302600_NS6detail15normal_iteratorINS9_10device_ptrIsEEEESE_SE_sNS9_4plusIsEE19head_flag_predicatesEE10hipError_tPvRmT2_T3_T4_T5_mT6_T7_P12ihipStream_tbENKUlT_T0_E_clISt17integral_constantIbLb1EESX_IbLb0EEEEDaST_SU_EUlST_E_NS1_11comp_targetILNS1_3genE5ELNS1_11target_archE942ELNS1_3gpuE9ELNS1_3repE0EEENS1_30default_config_static_selectorELNS0_4arch9wavefront6targetE1EEEvT1_: ; @_ZN7rocprim17ROCPRIM_400000_NS6detail17trampoline_kernelINS0_14default_configENS1_27scan_by_key_config_selectorIssEEZZNS1_16scan_by_key_implILNS1_25lookback_scan_determinismE0ELb0ES3_N6thrust23THRUST_200600_302600_NS6detail15normal_iteratorINS9_10device_ptrIsEEEESE_SE_sNS9_4plusIsEE19head_flag_predicatesEE10hipError_tPvRmT2_T3_T4_T5_mT6_T7_P12ihipStream_tbENKUlT_T0_E_clISt17integral_constantIbLb1EESX_IbLb0EEEEDaST_SU_EUlST_E_NS1_11comp_targetILNS1_3genE5ELNS1_11target_archE942ELNS1_3gpuE9ELNS1_3repE0EEENS1_30default_config_static_selectorELNS0_4arch9wavefront6targetE1EEEvT1_
; %bb.0:
	.section	.rodata,"a",@progbits
	.p2align	6, 0x0
	.amdhsa_kernel _ZN7rocprim17ROCPRIM_400000_NS6detail17trampoline_kernelINS0_14default_configENS1_27scan_by_key_config_selectorIssEEZZNS1_16scan_by_key_implILNS1_25lookback_scan_determinismE0ELb0ES3_N6thrust23THRUST_200600_302600_NS6detail15normal_iteratorINS9_10device_ptrIsEEEESE_SE_sNS9_4plusIsEE19head_flag_predicatesEE10hipError_tPvRmT2_T3_T4_T5_mT6_T7_P12ihipStream_tbENKUlT_T0_E_clISt17integral_constantIbLb1EESX_IbLb0EEEEDaST_SU_EUlST_E_NS1_11comp_targetILNS1_3genE5ELNS1_11target_archE942ELNS1_3gpuE9ELNS1_3repE0EEENS1_30default_config_static_selectorELNS0_4arch9wavefront6targetE1EEEvT1_
		.amdhsa_group_segment_fixed_size 0
		.amdhsa_private_segment_fixed_size 0
		.amdhsa_kernarg_size 112
		.amdhsa_user_sgpr_count 6
		.amdhsa_user_sgpr_private_segment_buffer 1
		.amdhsa_user_sgpr_dispatch_ptr 0
		.amdhsa_user_sgpr_queue_ptr 0
		.amdhsa_user_sgpr_kernarg_segment_ptr 1
		.amdhsa_user_sgpr_dispatch_id 0
		.amdhsa_user_sgpr_flat_scratch_init 0
		.amdhsa_user_sgpr_kernarg_preload_length 0
		.amdhsa_user_sgpr_kernarg_preload_offset 0
		.amdhsa_user_sgpr_private_segment_size 0
		.amdhsa_uses_dynamic_stack 0
		.amdhsa_system_sgpr_private_segment_wavefront_offset 0
		.amdhsa_system_sgpr_workgroup_id_x 1
		.amdhsa_system_sgpr_workgroup_id_y 0
		.amdhsa_system_sgpr_workgroup_id_z 0
		.amdhsa_system_sgpr_workgroup_info 0
		.amdhsa_system_vgpr_workitem_id 0
		.amdhsa_next_free_vgpr 1
		.amdhsa_next_free_sgpr 0
		.amdhsa_accum_offset 4
		.amdhsa_reserve_vcc 0
		.amdhsa_reserve_flat_scratch 0
		.amdhsa_float_round_mode_32 0
		.amdhsa_float_round_mode_16_64 0
		.amdhsa_float_denorm_mode_32 3
		.amdhsa_float_denorm_mode_16_64 3
		.amdhsa_dx10_clamp 1
		.amdhsa_ieee_mode 1
		.amdhsa_fp16_overflow 0
		.amdhsa_tg_split 0
		.amdhsa_exception_fp_ieee_invalid_op 0
		.amdhsa_exception_fp_denorm_src 0
		.amdhsa_exception_fp_ieee_div_zero 0
		.amdhsa_exception_fp_ieee_overflow 0
		.amdhsa_exception_fp_ieee_underflow 0
		.amdhsa_exception_fp_ieee_inexact 0
		.amdhsa_exception_int_div_zero 0
	.end_amdhsa_kernel
	.section	.text._ZN7rocprim17ROCPRIM_400000_NS6detail17trampoline_kernelINS0_14default_configENS1_27scan_by_key_config_selectorIssEEZZNS1_16scan_by_key_implILNS1_25lookback_scan_determinismE0ELb0ES3_N6thrust23THRUST_200600_302600_NS6detail15normal_iteratorINS9_10device_ptrIsEEEESE_SE_sNS9_4plusIsEE19head_flag_predicatesEE10hipError_tPvRmT2_T3_T4_T5_mT6_T7_P12ihipStream_tbENKUlT_T0_E_clISt17integral_constantIbLb1EESX_IbLb0EEEEDaST_SU_EUlST_E_NS1_11comp_targetILNS1_3genE5ELNS1_11target_archE942ELNS1_3gpuE9ELNS1_3repE0EEENS1_30default_config_static_selectorELNS0_4arch9wavefront6targetE1EEEvT1_,"axG",@progbits,_ZN7rocprim17ROCPRIM_400000_NS6detail17trampoline_kernelINS0_14default_configENS1_27scan_by_key_config_selectorIssEEZZNS1_16scan_by_key_implILNS1_25lookback_scan_determinismE0ELb0ES3_N6thrust23THRUST_200600_302600_NS6detail15normal_iteratorINS9_10device_ptrIsEEEESE_SE_sNS9_4plusIsEE19head_flag_predicatesEE10hipError_tPvRmT2_T3_T4_T5_mT6_T7_P12ihipStream_tbENKUlT_T0_E_clISt17integral_constantIbLb1EESX_IbLb0EEEEDaST_SU_EUlST_E_NS1_11comp_targetILNS1_3genE5ELNS1_11target_archE942ELNS1_3gpuE9ELNS1_3repE0EEENS1_30default_config_static_selectorELNS0_4arch9wavefront6targetE1EEEvT1_,comdat
.Lfunc_end841:
	.size	_ZN7rocprim17ROCPRIM_400000_NS6detail17trampoline_kernelINS0_14default_configENS1_27scan_by_key_config_selectorIssEEZZNS1_16scan_by_key_implILNS1_25lookback_scan_determinismE0ELb0ES3_N6thrust23THRUST_200600_302600_NS6detail15normal_iteratorINS9_10device_ptrIsEEEESE_SE_sNS9_4plusIsEE19head_flag_predicatesEE10hipError_tPvRmT2_T3_T4_T5_mT6_T7_P12ihipStream_tbENKUlT_T0_E_clISt17integral_constantIbLb1EESX_IbLb0EEEEDaST_SU_EUlST_E_NS1_11comp_targetILNS1_3genE5ELNS1_11target_archE942ELNS1_3gpuE9ELNS1_3repE0EEENS1_30default_config_static_selectorELNS0_4arch9wavefront6targetE1EEEvT1_, .Lfunc_end841-_ZN7rocprim17ROCPRIM_400000_NS6detail17trampoline_kernelINS0_14default_configENS1_27scan_by_key_config_selectorIssEEZZNS1_16scan_by_key_implILNS1_25lookback_scan_determinismE0ELb0ES3_N6thrust23THRUST_200600_302600_NS6detail15normal_iteratorINS9_10device_ptrIsEEEESE_SE_sNS9_4plusIsEE19head_flag_predicatesEE10hipError_tPvRmT2_T3_T4_T5_mT6_T7_P12ihipStream_tbENKUlT_T0_E_clISt17integral_constantIbLb1EESX_IbLb0EEEEDaST_SU_EUlST_E_NS1_11comp_targetILNS1_3genE5ELNS1_11target_archE942ELNS1_3gpuE9ELNS1_3repE0EEENS1_30default_config_static_selectorELNS0_4arch9wavefront6targetE1EEEvT1_
                                        ; -- End function
	.section	.AMDGPU.csdata,"",@progbits
; Kernel info:
; codeLenInByte = 0
; NumSgprs: 4
; NumVgprs: 0
; NumAgprs: 0
; TotalNumVgprs: 0
; ScratchSize: 0
; MemoryBound: 0
; FloatMode: 240
; IeeeMode: 1
; LDSByteSize: 0 bytes/workgroup (compile time only)
; SGPRBlocks: 0
; VGPRBlocks: 0
; NumSGPRsForWavesPerEU: 4
; NumVGPRsForWavesPerEU: 1
; AccumOffset: 4
; Occupancy: 8
; WaveLimiterHint : 0
; COMPUTE_PGM_RSRC2:SCRATCH_EN: 0
; COMPUTE_PGM_RSRC2:USER_SGPR: 6
; COMPUTE_PGM_RSRC2:TRAP_HANDLER: 0
; COMPUTE_PGM_RSRC2:TGID_X_EN: 1
; COMPUTE_PGM_RSRC2:TGID_Y_EN: 0
; COMPUTE_PGM_RSRC2:TGID_Z_EN: 0
; COMPUTE_PGM_RSRC2:TIDIG_COMP_CNT: 0
; COMPUTE_PGM_RSRC3_GFX90A:ACCUM_OFFSET: 0
; COMPUTE_PGM_RSRC3_GFX90A:TG_SPLIT: 0
	.section	.text._ZN7rocprim17ROCPRIM_400000_NS6detail17trampoline_kernelINS0_14default_configENS1_27scan_by_key_config_selectorIssEEZZNS1_16scan_by_key_implILNS1_25lookback_scan_determinismE0ELb0ES3_N6thrust23THRUST_200600_302600_NS6detail15normal_iteratorINS9_10device_ptrIsEEEESE_SE_sNS9_4plusIsEE19head_flag_predicatesEE10hipError_tPvRmT2_T3_T4_T5_mT6_T7_P12ihipStream_tbENKUlT_T0_E_clISt17integral_constantIbLb1EESX_IbLb0EEEEDaST_SU_EUlST_E_NS1_11comp_targetILNS1_3genE4ELNS1_11target_archE910ELNS1_3gpuE8ELNS1_3repE0EEENS1_30default_config_static_selectorELNS0_4arch9wavefront6targetE1EEEvT1_,"axG",@progbits,_ZN7rocprim17ROCPRIM_400000_NS6detail17trampoline_kernelINS0_14default_configENS1_27scan_by_key_config_selectorIssEEZZNS1_16scan_by_key_implILNS1_25lookback_scan_determinismE0ELb0ES3_N6thrust23THRUST_200600_302600_NS6detail15normal_iteratorINS9_10device_ptrIsEEEESE_SE_sNS9_4plusIsEE19head_flag_predicatesEE10hipError_tPvRmT2_T3_T4_T5_mT6_T7_P12ihipStream_tbENKUlT_T0_E_clISt17integral_constantIbLb1EESX_IbLb0EEEEDaST_SU_EUlST_E_NS1_11comp_targetILNS1_3genE4ELNS1_11target_archE910ELNS1_3gpuE8ELNS1_3repE0EEENS1_30default_config_static_selectorELNS0_4arch9wavefront6targetE1EEEvT1_,comdat
	.protected	_ZN7rocprim17ROCPRIM_400000_NS6detail17trampoline_kernelINS0_14default_configENS1_27scan_by_key_config_selectorIssEEZZNS1_16scan_by_key_implILNS1_25lookback_scan_determinismE0ELb0ES3_N6thrust23THRUST_200600_302600_NS6detail15normal_iteratorINS9_10device_ptrIsEEEESE_SE_sNS9_4plusIsEE19head_flag_predicatesEE10hipError_tPvRmT2_T3_T4_T5_mT6_T7_P12ihipStream_tbENKUlT_T0_E_clISt17integral_constantIbLb1EESX_IbLb0EEEEDaST_SU_EUlST_E_NS1_11comp_targetILNS1_3genE4ELNS1_11target_archE910ELNS1_3gpuE8ELNS1_3repE0EEENS1_30default_config_static_selectorELNS0_4arch9wavefront6targetE1EEEvT1_ ; -- Begin function _ZN7rocprim17ROCPRIM_400000_NS6detail17trampoline_kernelINS0_14default_configENS1_27scan_by_key_config_selectorIssEEZZNS1_16scan_by_key_implILNS1_25lookback_scan_determinismE0ELb0ES3_N6thrust23THRUST_200600_302600_NS6detail15normal_iteratorINS9_10device_ptrIsEEEESE_SE_sNS9_4plusIsEE19head_flag_predicatesEE10hipError_tPvRmT2_T3_T4_T5_mT6_T7_P12ihipStream_tbENKUlT_T0_E_clISt17integral_constantIbLb1EESX_IbLb0EEEEDaST_SU_EUlST_E_NS1_11comp_targetILNS1_3genE4ELNS1_11target_archE910ELNS1_3gpuE8ELNS1_3repE0EEENS1_30default_config_static_selectorELNS0_4arch9wavefront6targetE1EEEvT1_
	.globl	_ZN7rocprim17ROCPRIM_400000_NS6detail17trampoline_kernelINS0_14default_configENS1_27scan_by_key_config_selectorIssEEZZNS1_16scan_by_key_implILNS1_25lookback_scan_determinismE0ELb0ES3_N6thrust23THRUST_200600_302600_NS6detail15normal_iteratorINS9_10device_ptrIsEEEESE_SE_sNS9_4plusIsEE19head_flag_predicatesEE10hipError_tPvRmT2_T3_T4_T5_mT6_T7_P12ihipStream_tbENKUlT_T0_E_clISt17integral_constantIbLb1EESX_IbLb0EEEEDaST_SU_EUlST_E_NS1_11comp_targetILNS1_3genE4ELNS1_11target_archE910ELNS1_3gpuE8ELNS1_3repE0EEENS1_30default_config_static_selectorELNS0_4arch9wavefront6targetE1EEEvT1_
	.p2align	8
	.type	_ZN7rocprim17ROCPRIM_400000_NS6detail17trampoline_kernelINS0_14default_configENS1_27scan_by_key_config_selectorIssEEZZNS1_16scan_by_key_implILNS1_25lookback_scan_determinismE0ELb0ES3_N6thrust23THRUST_200600_302600_NS6detail15normal_iteratorINS9_10device_ptrIsEEEESE_SE_sNS9_4plusIsEE19head_flag_predicatesEE10hipError_tPvRmT2_T3_T4_T5_mT6_T7_P12ihipStream_tbENKUlT_T0_E_clISt17integral_constantIbLb1EESX_IbLb0EEEEDaST_SU_EUlST_E_NS1_11comp_targetILNS1_3genE4ELNS1_11target_archE910ELNS1_3gpuE8ELNS1_3repE0EEENS1_30default_config_static_selectorELNS0_4arch9wavefront6targetE1EEEvT1_,@function
_ZN7rocprim17ROCPRIM_400000_NS6detail17trampoline_kernelINS0_14default_configENS1_27scan_by_key_config_selectorIssEEZZNS1_16scan_by_key_implILNS1_25lookback_scan_determinismE0ELb0ES3_N6thrust23THRUST_200600_302600_NS6detail15normal_iteratorINS9_10device_ptrIsEEEESE_SE_sNS9_4plusIsEE19head_flag_predicatesEE10hipError_tPvRmT2_T3_T4_T5_mT6_T7_P12ihipStream_tbENKUlT_T0_E_clISt17integral_constantIbLb1EESX_IbLb0EEEEDaST_SU_EUlST_E_NS1_11comp_targetILNS1_3genE4ELNS1_11target_archE910ELNS1_3gpuE8ELNS1_3repE0EEENS1_30default_config_static_selectorELNS0_4arch9wavefront6targetE1EEEvT1_: ; @_ZN7rocprim17ROCPRIM_400000_NS6detail17trampoline_kernelINS0_14default_configENS1_27scan_by_key_config_selectorIssEEZZNS1_16scan_by_key_implILNS1_25lookback_scan_determinismE0ELb0ES3_N6thrust23THRUST_200600_302600_NS6detail15normal_iteratorINS9_10device_ptrIsEEEESE_SE_sNS9_4plusIsEE19head_flag_predicatesEE10hipError_tPvRmT2_T3_T4_T5_mT6_T7_P12ihipStream_tbENKUlT_T0_E_clISt17integral_constantIbLb1EESX_IbLb0EEEEDaST_SU_EUlST_E_NS1_11comp_targetILNS1_3genE4ELNS1_11target_archE910ELNS1_3gpuE8ELNS1_3repE0EEENS1_30default_config_static_selectorELNS0_4arch9wavefront6targetE1EEEvT1_
; %bb.0:
	s_load_dwordx8 s[48:55], s[4:5], 0x0
	s_load_dwordx4 s[56:59], s[4:5], 0x28
	s_load_dwordx2 s[66:67], s[4:5], 0x38
	s_load_dword s0, s[4:5], 0x40
	s_load_dwordx4 s[60:63], s[4:5], 0x48
	s_waitcnt lgkmcnt(0)
	s_lshl_b64 s[64:65], s[50:51], 1
	s_add_u32 s2, s48, s64
	s_addc_u32 s3, s49, s65
	s_add_u32 s4, s52, s64
	s_mul_i32 s1, s67, s0
	s_mul_hi_u32 s7, s66, s0
	s_addc_u32 s5, s53, s65
	s_add_i32 s8, s7, s1
	s_mul_i32 s9, s66, s0
	s_mul_i32 s0, s6, 0x1600
	s_mov_b32 s1, 0
	s_lshl_b64 s[52:53], s[0:1], 1
	s_add_u32 s50, s2, s52
	s_addc_u32 s51, s3, s53
	s_add_u32 s7, s4, s52
	s_addc_u32 s59, s5, s53
	;; [unrolled: 2-line block ×3, first 2 shown]
	s_add_u32 s2, s60, -1
	s_addc_u32 s3, s61, -1
	v_pk_mov_b32 v[2:3], s[2:3], s[2:3] op_sel:[0,1]
	v_cmp_ge_u64_e64 s[0:1], s[0:1], v[2:3]
	s_mov_b64 s[4:5], -1
	s_and_b64 vcc, exec, s[0:1]
	s_mul_i32 s33, s2, 0xffffea00
	s_barrier
	s_cbranch_vccz .LBB842_112
; %bb.1:
	v_pk_mov_b32 v[2:3], s[50:51], s[50:51] op_sel:[0,1]
	flat_load_ushort v10, v[2:3]
	s_add_i32 s70, s33, s58
	v_cmp_gt_u32_e32 vcc, s70, v0
	s_waitcnt vmcnt(0) lgkmcnt(0)
	v_mov_b32_e32 v17, v10
	s_and_saveexec_b64 s[4:5], vcc
	s_cbranch_execz .LBB842_3
; %bb.2:
	v_lshlrev_b32_e32 v1, 1, v0
	v_mov_b32_e32 v3, s51
	v_add_co_u32_e64 v2, s[2:3], s50, v1
	v_addc_co_u32_e64 v3, s[2:3], 0, v3, s[2:3]
	flat_load_ushort v17, v[2:3]
.LBB842_3:
	s_or_b64 exec, exec, s[4:5]
	v_or_b32_e32 v1, 0x100, v0
	v_cmp_gt_u32_e64 s[2:3], s70, v1
	v_mov_b32_e32 v18, v10
	s_and_saveexec_b64 s[8:9], s[2:3]
	s_cbranch_execz .LBB842_5
; %bb.4:
	v_lshlrev_b32_e32 v1, 1, v0
	v_mov_b32_e32 v3, s51
	v_add_co_u32_e64 v2, s[4:5], s50, v1
	v_addc_co_u32_e64 v3, s[4:5], 0, v3, s[4:5]
	flat_load_ushort v18, v[2:3] offset:512
.LBB842_5:
	s_or_b64 exec, exec, s[8:9]
	v_or_b32_e32 v1, 0x200, v0
	v_cmp_gt_u32_e64 s[4:5], s70, v1
	v_mov_b32_e32 v19, v10
	s_and_saveexec_b64 s[10:11], s[4:5]
	s_cbranch_execz .LBB842_7
; %bb.6:
	v_lshlrev_b32_e32 v1, 1, v0
	v_mov_b32_e32 v3, s51
	v_add_co_u32_e64 v2, s[8:9], s50, v1
	v_addc_co_u32_e64 v3, s[8:9], 0, v3, s[8:9]
	flat_load_ushort v19, v[2:3] offset:1024
.LBB842_7:
	;; [unrolled: 13-line block ×7, first 2 shown]
	s_or_b64 exec, exec, s[18:19]
	v_or_b32_e32 v1, 0x800, v0
	v_cmp_gt_u32_e64 s[16:17], s70, v1
	v_mov_b32_e32 v25, v10
	s_and_saveexec_b64 s[20:21], s[16:17]
	s_cbranch_execz .LBB842_19
; %bb.18:
	v_lshlrev_b32_e32 v2, 1, v1
	v_mov_b32_e32 v3, s51
	v_add_co_u32_e64 v2, s[18:19], s50, v2
	v_addc_co_u32_e64 v3, s[18:19], 0, v3, s[18:19]
	flat_load_ushort v25, v[2:3]
.LBB842_19:
	s_or_b64 exec, exec, s[20:21]
	v_or_b32_e32 v2, 0x900, v0
	v_cmp_gt_u32_e64 s[18:19], s70, v2
	v_mov_b32_e32 v26, v10
	s_and_saveexec_b64 s[22:23], s[18:19]
	s_cbranch_execz .LBB842_21
; %bb.20:
	v_lshlrev_b32_e32 v3, 1, v2
	v_mov_b32_e32 v5, s51
	v_add_co_u32_e64 v4, s[20:21], s50, v3
	v_addc_co_u32_e64 v5, s[20:21], 0, v5, s[20:21]
	flat_load_ushort v26, v[4:5]
.LBB842_21:
	;; [unrolled: 13-line block ×13, first 2 shown]
	s_or_b64 exec, exec, s[48:49]
	v_or_b32_e32 v16, 0x1500, v0
	v_cmp_gt_u32_e64 s[44:45], s70, v16
	s_and_saveexec_b64 s[60:61], s[44:45]
	s_cbranch_execz .LBB842_45
; %bb.44:
	v_lshlrev_b32_e32 v8, 1, v16
	v_mov_b32_e32 v10, s51
	v_add_co_u32_e64 v38, s[48:49], s50, v8
	v_addc_co_u32_e64 v39, s[48:49], 0, v10, s[48:49]
	flat_load_ushort v10, v[38:39]
.LBB842_45:
	s_or_b64 exec, exec, s[60:61]
	v_lshlrev_b32_e32 v8, 1, v0
	v_mad_u32_u24 v38, v0, 42, v8
	s_waitcnt vmcnt(0) lgkmcnt(0)
	ds_write_b16 v8, v17
	ds_write_b16 v8, v18 offset:512
	ds_write_b16 v8, v19 offset:1024
	;; [unrolled: 1-line block ×21, first 2 shown]
	s_waitcnt lgkmcnt(0)
	s_barrier
	ds_read2_b32 v[26:27], v38 offset0:8 offset1:9
	ds_read_b32 v39, v38 offset:40
	ds_read2_b32 v[34:35], v38 offset1:1
	ds_read2_b32 v[32:33], v38 offset0:2 offset1:3
	ds_read2_b32 v[30:31], v38 offset0:4 offset1:5
	;; [unrolled: 1-line block ×3, first 2 shown]
	s_movk_i32 s48, 0xffd6
	s_waitcnt lgkmcnt(4)
	v_lshrrev_b32_e32 v36, 16, v39
	v_mad_i32_i24 v10, v0, s48, v38
	ds_write_b16 v10, v36 offset:11264
	s_waitcnt lgkmcnt(0)
	s_barrier
	s_barrier
	s_waitcnt lgkmcnt(0)
                                        ; implicit-def: $vgpr10
	s_and_saveexec_b64 s[48:49], vcc
	s_cbranch_execz .LBB842_181
; %bb.46:
	v_mov_b32_e32 v10, s59
	v_add_co_u32_e32 v18, vcc, s7, v8
	v_addc_co_u32_e32 v19, vcc, 0, v10, vcc
	flat_load_ushort v10, v[18:19]
	s_or_b64 exec, exec, s[48:49]
                                        ; implicit-def: $vgpr17
	s_and_saveexec_b64 s[48:49], s[2:3]
	s_cbranch_execnz .LBB842_182
.LBB842_47:
	s_or_b64 exec, exec, s[48:49]
                                        ; implicit-def: $vgpr18
	s_and_saveexec_b64 s[2:3], s[4:5]
	s_cbranch_execz .LBB842_183
.LBB842_48:
	v_mov_b32_e32 v19, s59
	v_add_co_u32_e32 v18, vcc, s7, v8
	v_addc_co_u32_e32 v19, vcc, 0, v19, vcc
	flat_load_ushort v18, v[18:19] offset:1024
	s_or_b64 exec, exec, s[2:3]
                                        ; implicit-def: $vgpr19
	s_and_saveexec_b64 s[2:3], s[46:47]
	s_cbranch_execnz .LBB842_184
.LBB842_49:
	s_or_b64 exec, exec, s[2:3]
                                        ; implicit-def: $vgpr20
	s_and_saveexec_b64 s[2:3], s[8:9]
	s_cbranch_execz .LBB842_185
.LBB842_50:
	v_mov_b32_e32 v21, s59
	v_add_co_u32_e32 v20, vcc, s7, v8
	v_addc_co_u32_e32 v21, vcc, 0, v21, vcc
	flat_load_ushort v20, v[20:21] offset:2048
	s_or_b64 exec, exec, s[2:3]
                                        ; implicit-def: $vgpr21
	s_and_saveexec_b64 s[2:3], s[10:11]
	s_cbranch_execnz .LBB842_186
.LBB842_51:
	s_or_b64 exec, exec, s[2:3]
                                        ; implicit-def: $vgpr22
	s_and_saveexec_b64 s[2:3], s[12:13]
	s_cbranch_execz .LBB842_187
.LBB842_52:
	v_mov_b32_e32 v23, s59
	v_add_co_u32_e32 v22, vcc, s7, v8
	v_addc_co_u32_e32 v23, vcc, 0, v23, vcc
	flat_load_ushort v22, v[22:23] offset:3072
	s_or_b64 exec, exec, s[2:3]
                                        ; implicit-def: $vgpr23
	s_and_saveexec_b64 s[2:3], s[14:15]
	s_cbranch_execnz .LBB842_188
.LBB842_53:
	s_or_b64 exec, exec, s[2:3]
                                        ; implicit-def: $vgpr24
	s_and_saveexec_b64 s[2:3], s[16:17]
	s_cbranch_execz .LBB842_189
.LBB842_54:
	v_lshlrev_b32_e32 v1, 1, v1
	v_mov_b32_e32 v25, s59
	v_add_co_u32_e32 v24, vcc, s7, v1
	v_addc_co_u32_e32 v25, vcc, 0, v25, vcc
	flat_load_ushort v24, v[24:25]
	s_or_b64 exec, exec, s[2:3]
                                        ; implicit-def: $vgpr1
	s_and_saveexec_b64 s[2:3], s[18:19]
	s_cbranch_execnz .LBB842_190
.LBB842_55:
	s_or_b64 exec, exec, s[2:3]
                                        ; implicit-def: $vgpr2
	s_and_saveexec_b64 s[2:3], s[20:21]
	s_cbranch_execz .LBB842_191
.LBB842_56:
	v_lshlrev_b32_e32 v2, 1, v3
	v_mov_b32_e32 v3, s59
	v_add_co_u32_e32 v2, vcc, s7, v2
	v_addc_co_u32_e32 v3, vcc, 0, v3, vcc
	flat_load_ushort v2, v[2:3]
	s_or_b64 exec, exec, s[2:3]
                                        ; implicit-def: $vgpr3
	s_and_saveexec_b64 s[2:3], s[22:23]
	s_cbranch_execnz .LBB842_192
.LBB842_57:
	s_or_b64 exec, exec, s[2:3]
                                        ; implicit-def: $vgpr4
	s_and_saveexec_b64 s[2:3], s[24:25]
	s_cbranch_execz .LBB842_193
.LBB842_58:
	v_lshlrev_b32_e32 v4, 1, v5
	v_mov_b32_e32 v5, s59
	v_add_co_u32_e32 v4, vcc, s7, v4
	v_addc_co_u32_e32 v5, vcc, 0, v5, vcc
	flat_load_ushort v4, v[4:5]
	s_or_b64 exec, exec, s[2:3]
                                        ; implicit-def: $vgpr5
	s_and_saveexec_b64 s[2:3], s[26:27]
	s_cbranch_execnz .LBB842_194
.LBB842_59:
	s_or_b64 exec, exec, s[2:3]
                                        ; implicit-def: $vgpr6
	s_and_saveexec_b64 s[2:3], s[28:29]
	s_cbranch_execz .LBB842_195
.LBB842_60:
	v_lshlrev_b32_e32 v6, 1, v7
	v_mov_b32_e32 v7, s59
	v_add_co_u32_e32 v6, vcc, s7, v6
	v_addc_co_u32_e32 v7, vcc, 0, v7, vcc
	flat_load_ushort v6, v[6:7]
	s_or_b64 exec, exec, s[2:3]
                                        ; implicit-def: $vgpr7
	s_and_saveexec_b64 s[2:3], s[30:31]
	s_cbranch_execnz .LBB842_196
.LBB842_61:
	s_or_b64 exec, exec, s[2:3]
                                        ; implicit-def: $vgpr9
	s_and_saveexec_b64 s[2:3], s[34:35]
	s_cbranch_execz .LBB842_197
.LBB842_62:
	v_lshlrev_b32_e32 v9, 1, v11
	v_mov_b32_e32 v11, s59
	v_add_co_u32_e32 v40, vcc, s7, v9
	v_addc_co_u32_e32 v41, vcc, 0, v11, vcc
	flat_load_ushort v9, v[40:41]
	s_or_b64 exec, exec, s[2:3]
                                        ; implicit-def: $vgpr11
	s_and_saveexec_b64 s[2:3], s[36:37]
	s_cbranch_execnz .LBB842_198
.LBB842_63:
	s_or_b64 exec, exec, s[2:3]
                                        ; implicit-def: $vgpr12
	s_and_saveexec_b64 s[2:3], s[38:39]
	s_cbranch_execz .LBB842_199
.LBB842_64:
	v_lshlrev_b32_e32 v12, 1, v13
	v_mov_b32_e32 v13, s59
	v_add_co_u32_e32 v12, vcc, s7, v12
	v_addc_co_u32_e32 v13, vcc, 0, v13, vcc
	flat_load_ushort v12, v[12:13]
	s_or_b64 exec, exec, s[2:3]
                                        ; implicit-def: $vgpr13
	s_and_saveexec_b64 s[2:3], s[40:41]
	s_cbranch_execnz .LBB842_200
.LBB842_65:
	s_or_b64 exec, exec, s[2:3]
                                        ; implicit-def: $vgpr14
	s_and_saveexec_b64 s[2:3], s[42:43]
	s_cbranch_execz .LBB842_67
.LBB842_66:
	v_lshlrev_b32_e32 v14, 1, v15
	v_mov_b32_e32 v15, s59
	v_add_co_u32_e32 v14, vcc, s7, v14
	v_addc_co_u32_e32 v15, vcc, 0, v15, vcc
	flat_load_ushort v14, v[14:15]
.LBB842_67:
	s_or_b64 exec, exec, s[2:3]
	v_mul_u32_u24_e32 v40, 22, v0
                                        ; implicit-def: $vgpr15
	s_and_saveexec_b64 s[2:3], s[44:45]
	s_cbranch_execz .LBB842_69
; %bb.68:
	v_lshlrev_b32_e32 v15, 1, v16
	v_mov_b32_e32 v16, s59
	v_add_co_u32_e32 v42, vcc, s7, v15
	v_addc_co_u32_e32 v43, vcc, 0, v16, vcc
	flat_load_ushort v15, v[42:43]
.LBB842_69:
	s_or_b64 exec, exec, s[2:3]
	s_mov_b32 s2, 0
	s_mov_b32 s3, s2
	s_waitcnt vmcnt(0) lgkmcnt(0)
	ds_write_b16 v8, v10
	ds_write_b16 v8, v17 offset:512
	ds_write_b16 v8, v18 offset:1024
	;; [unrolled: 1-line block ×21, first 2 shown]
	v_cmp_gt_u32_e32 vcc, s70, v40
	s_mov_b64 s[4:5], 0
	v_pk_mov_b32 v[14:15], s[2:3], s[2:3] op_sel:[0,1]
	v_mov_b32_e32 v1, 0
	s_mov_b64 s[10:11], 0
	v_pk_mov_b32 v[24:25], s[2:3], s[2:3] op_sel:[0,1]
	v_pk_mov_b32 v[22:23], s[2:3], s[2:3] op_sel:[0,1]
	;; [unrolled: 1-line block ×9, first 2 shown]
	s_waitcnt lgkmcnt(0)
	s_barrier
	s_waitcnt lgkmcnt(0)
                                        ; implicit-def: $vgpr37
	s_and_saveexec_b64 s[8:9], vcc
	s_cbranch_execz .LBB842_111
; %bb.70:
	ds_read_u16 v1, v38
	s_mov_b32 s16, 0
	v_cmp_ne_u16_e32 vcc, 0, v34
	v_or_b32_e32 v2, 1, v40
	v_cndmask_b32_e64 v3, 0, 1, vcc
	v_mov_b32_e32 v7, 0
	s_mov_b32 s17, s16
	s_waitcnt lgkmcnt(0)
	v_lshl_or_b32 v6, v3, 16, v1
	v_cmp_gt_u32_e32 vcc, s70, v2
	s_mov_b64 s[12:13], 0
	v_pk_mov_b32 v[14:15], s[16:17], s[16:17] op_sel:[0,1]
	v_pk_mov_b32 v[24:25], s[16:17], s[16:17] op_sel:[0,1]
	;; [unrolled: 1-line block ×9, first 2 shown]
	v_mov_b32_e32 v1, v7
                                        ; implicit-def: $vgpr37
	s_and_saveexec_b64 s[10:11], vcc
	s_cbranch_execz .LBB842_110
; %bb.71:
	ds_read_b128 v[2:5], v38 offset:2
	v_mov_b32_e32 v1, 0
	v_cmp_ne_u16_sdwa s[12:13], v34, v1 src0_sel:WORD_1 src1_sel:DWORD
	v_add_u32_e32 v8, 2, v40
	v_cndmask_b32_e64 v7, 0, 1, s[12:13]
	s_waitcnt lgkmcnt(0)
	v_and_b32_e32 v9, 0xffff, v2
	v_lshl_or_b32 v7, v7, 16, v9
	v_cmp_gt_u32_e32 vcc, s70, v8
	s_mov_b64 s[14:15], 0
	v_pk_mov_b32 v[14:15], s[16:17], s[16:17] op_sel:[0,1]
	v_pk_mov_b32 v[24:25], s[16:17], s[16:17] op_sel:[0,1]
	;; [unrolled: 1-line block ×9, first 2 shown]
                                        ; implicit-def: $vgpr37
	s_and_saveexec_b64 s[12:13], vcc
	s_cbranch_execz .LBB842_109
; %bb.72:
	s_mov_b32 s20, 0
	v_cmp_ne_u16_e32 vcc, 0, v35
	v_add_u32_e32 v1, 3, v40
	v_cndmask_b32_e64 v8, 0, 1, vcc
	v_mov_b32_e32 v9, 0
	s_mov_b32 s21, s20
	v_alignbit_b32 v8, v8, v2, 16
	v_cmp_gt_u32_e32 vcc, s70, v1
	s_mov_b64 s[16:17], 0
	v_pk_mov_b32 v[14:15], s[20:21], s[20:21] op_sel:[0,1]
	v_pk_mov_b32 v[24:25], s[20:21], s[20:21] op_sel:[0,1]
	;; [unrolled: 1-line block ×8, first 2 shown]
	v_mov_b32_e32 v1, v9
                                        ; implicit-def: $vgpr37
	s_and_saveexec_b64 s[14:15], vcc
	s_cbranch_execz .LBB842_108
; %bb.73:
	v_mov_b32_e32 v1, 0
	v_cmp_ne_u16_sdwa s[16:17], v35, v1 src0_sel:WORD_1 src1_sel:DWORD
	v_and_b32_e32 v2, 0xffff, v3
	v_add_u32_e32 v10, 4, v40
	v_cndmask_b32_e64 v9, 0, 1, s[16:17]
	v_lshl_or_b32 v9, v9, 16, v2
	v_cmp_gt_u32_e32 vcc, s70, v10
	s_mov_b64 s[18:19], 0
	v_pk_mov_b32 v[14:15], s[20:21], s[20:21] op_sel:[0,1]
	v_pk_mov_b32 v[24:25], s[20:21], s[20:21] op_sel:[0,1]
	;; [unrolled: 1-line block ×8, first 2 shown]
                                        ; implicit-def: $vgpr37
	s_and_saveexec_b64 s[16:17], vcc
	s_cbranch_execz .LBB842_107
; %bb.74:
	s_mov_b32 s24, 0
	v_cmp_ne_u16_e32 vcc, 0, v32
	v_add_u32_e32 v1, 5, v40
	v_cndmask_b32_e64 v2, 0, 1, vcc
	v_mov_b32_e32 v11, 0
	s_mov_b32 s25, s24
	v_alignbit_b32 v10, v2, v3, 16
	v_cmp_gt_u32_e32 vcc, s70, v1
	s_mov_b64 s[20:21], 0
	v_pk_mov_b32 v[14:15], s[24:25], s[24:25] op_sel:[0,1]
	v_pk_mov_b32 v[24:25], s[24:25], s[24:25] op_sel:[0,1]
	;; [unrolled: 1-line block ×7, first 2 shown]
	v_mov_b32_e32 v1, v11
                                        ; implicit-def: $vgpr37
	s_and_saveexec_b64 s[18:19], vcc
	s_cbranch_execz .LBB842_106
; %bb.75:
	v_mov_b32_e32 v1, 0
	v_cmp_ne_u16_sdwa s[20:21], v32, v1 src0_sel:WORD_1 src1_sel:DWORD
	v_and_b32_e32 v2, 0xffff, v4
	v_add_u32_e32 v3, 6, v40
	v_cndmask_b32_e64 v11, 0, 1, s[20:21]
	v_lshl_or_b32 v11, v11, 16, v2
	v_cmp_gt_u32_e32 vcc, s70, v3
	s_mov_b64 s[22:23], 0
	v_pk_mov_b32 v[14:15], s[24:25], s[24:25] op_sel:[0,1]
	v_pk_mov_b32 v[24:25], s[24:25], s[24:25] op_sel:[0,1]
	;; [unrolled: 1-line block ×7, first 2 shown]
                                        ; implicit-def: $vgpr37
	s_and_saveexec_b64 s[20:21], vcc
	s_cbranch_execz .LBB842_105
; %bb.76:
	s_mov_b32 s28, 0
	v_cmp_ne_u16_e32 vcc, 0, v33
	v_add_u32_e32 v1, 7, v40
	v_cndmask_b32_e64 v2, 0, 1, vcc
	v_mov_b32_e32 v13, 0
	s_mov_b32 s29, s28
	v_alignbit_b32 v12, v2, v4, 16
	v_cmp_gt_u32_e32 vcc, s70, v1
	s_mov_b64 s[24:25], 0
	v_pk_mov_b32 v[14:15], s[28:29], s[28:29] op_sel:[0,1]
	v_pk_mov_b32 v[24:25], s[28:29], s[28:29] op_sel:[0,1]
	v_pk_mov_b32 v[22:23], s[28:29], s[28:29] op_sel:[0,1]
	v_pk_mov_b32 v[20:21], s[28:29], s[28:29] op_sel:[0,1]
	v_pk_mov_b32 v[18:19], s[28:29], s[28:29] op_sel:[0,1]
	v_pk_mov_b32 v[16:17], s[28:29], s[28:29] op_sel:[0,1]
	v_mov_b32_e32 v1, v13
                                        ; implicit-def: $vgpr37
	s_and_saveexec_b64 s[22:23], vcc
	s_cbranch_execz .LBB842_104
; %bb.77:
	v_mov_b32_e32 v1, 0
	v_cmp_ne_u16_sdwa s[24:25], v33, v1 src0_sel:WORD_1 src1_sel:DWORD
	v_and_b32_e32 v2, 0xffff, v5
	v_add_u32_e32 v3, 8, v40
	v_cndmask_b32_e64 v4, 0, 1, s[24:25]
	v_lshl_or_b32 v13, v4, 16, v2
	v_cmp_gt_u32_e32 vcc, s70, v3
	s_mov_b64 s[26:27], 0
	v_pk_mov_b32 v[14:15], s[28:29], s[28:29] op_sel:[0,1]
	v_pk_mov_b32 v[24:25], s[28:29], s[28:29] op_sel:[0,1]
	;; [unrolled: 1-line block ×6, first 2 shown]
                                        ; implicit-def: $vgpr37
	s_and_saveexec_b64 s[24:25], vcc
	s_cbranch_execz .LBB842_103
; %bb.78:
	s_mov_b32 s34, 0
	v_cmp_ne_u16_e32 vcc, 0, v30
	v_add_u32_e32 v1, 9, v40
	v_cndmask_b32_e64 v2, 0, 1, vcc
	v_mov_b32_e32 v17, 0
	s_mov_b32 s35, s34
	v_alignbit_b32 v16, v2, v5, 16
	v_cmp_gt_u32_e32 vcc, s70, v1
	s_mov_b64 s[28:29], 0
	v_pk_mov_b32 v[14:15], s[34:35], s[34:35] op_sel:[0,1]
	v_pk_mov_b32 v[24:25], s[34:35], s[34:35] op_sel:[0,1]
	;; [unrolled: 1-line block ×5, first 2 shown]
	v_mov_b32_e32 v1, v17
                                        ; implicit-def: $vgpr37
	s_and_saveexec_b64 s[26:27], vcc
	s_cbranch_execz .LBB842_102
; %bb.79:
	ds_read_b128 v[2:5], v38 offset:18
	v_mov_b32_e32 v1, 0
	v_cmp_ne_u16_sdwa s[28:29], v30, v1 src0_sel:WORD_1 src1_sel:DWORD
	v_add_u32_e32 v14, 10, v40
	v_cndmask_b32_e64 v15, 0, 1, s[28:29]
	s_waitcnt lgkmcnt(0)
	v_and_b32_e32 v17, 0xffff, v2
	v_lshl_or_b32 v17, v15, 16, v17
	v_cmp_gt_u32_e32 vcc, s70, v14
	s_mov_b64 s[30:31], 0
	v_pk_mov_b32 v[14:15], s[34:35], s[34:35] op_sel:[0,1]
	v_pk_mov_b32 v[24:25], s[34:35], s[34:35] op_sel:[0,1]
	;; [unrolled: 1-line block ×5, first 2 shown]
                                        ; implicit-def: $vgpr37
	s_and_saveexec_b64 s[28:29], vcc
	s_cbranch_execz .LBB842_101
; %bb.80:
	s_mov_b32 s38, 0
	v_cmp_ne_u16_e32 vcc, 0, v31
	v_add_u32_e32 v1, 11, v40
	v_cndmask_b32_e64 v14, 0, 1, vcc
	v_mov_b32_e32 v19, 0
	s_mov_b32 s39, s38
	v_alignbit_b32 v18, v14, v2, 16
	v_cmp_gt_u32_e32 vcc, s70, v1
	s_mov_b64 s[34:35], 0
	v_pk_mov_b32 v[14:15], s[38:39], s[38:39] op_sel:[0,1]
	v_pk_mov_b32 v[24:25], s[38:39], s[38:39] op_sel:[0,1]
	;; [unrolled: 1-line block ×4, first 2 shown]
	v_mov_b32_e32 v1, v19
                                        ; implicit-def: $vgpr37
	s_and_saveexec_b64 s[30:31], vcc
	s_cbranch_execz .LBB842_100
; %bb.81:
	v_mov_b32_e32 v1, 0
	v_cmp_ne_u16_sdwa s[34:35], v31, v1 src0_sel:WORD_1 src1_sel:DWORD
	v_and_b32_e32 v2, 0xffff, v3
	v_add_u32_e32 v14, 12, v40
	v_cndmask_b32_e64 v15, 0, 1, s[34:35]
	v_lshl_or_b32 v19, v15, 16, v2
	v_cmp_gt_u32_e32 vcc, s70, v14
	s_mov_b64 s[36:37], 0
	v_pk_mov_b32 v[14:15], s[38:39], s[38:39] op_sel:[0,1]
	v_pk_mov_b32 v[24:25], s[38:39], s[38:39] op_sel:[0,1]
	;; [unrolled: 1-line block ×4, first 2 shown]
                                        ; implicit-def: $vgpr37
	s_and_saveexec_b64 s[34:35], vcc
	s_cbranch_execz .LBB842_99
; %bb.82:
	s_mov_b32 s42, 0
	v_cmp_ne_u16_e32 vcc, 0, v28
	v_add_u32_e32 v1, 13, v40
	v_cndmask_b32_e64 v2, 0, 1, vcc
	v_mov_b32_e32 v21, 0
	s_mov_b32 s43, s42
	v_alignbit_b32 v20, v2, v3, 16
	v_cmp_gt_u32_e32 vcc, s70, v1
	s_mov_b64 s[38:39], 0
	v_pk_mov_b32 v[14:15], s[42:43], s[42:43] op_sel:[0,1]
	v_pk_mov_b32 v[24:25], s[42:43], s[42:43] op_sel:[0,1]
	;; [unrolled: 1-line block ×3, first 2 shown]
	v_mov_b32_e32 v1, v21
                                        ; implicit-def: $vgpr37
	s_and_saveexec_b64 s[36:37], vcc
	s_cbranch_execz .LBB842_98
; %bb.83:
	v_mov_b32_e32 v1, 0
	v_cmp_ne_u16_sdwa s[38:39], v28, v1 src0_sel:WORD_1 src1_sel:DWORD
	v_and_b32_e32 v2, 0xffff, v4
	v_add_u32_e32 v3, 14, v40
	v_cndmask_b32_e64 v14, 0, 1, s[38:39]
	v_lshl_or_b32 v21, v14, 16, v2
	v_cmp_gt_u32_e32 vcc, s70, v3
	s_mov_b64 s[40:41], 0
	v_pk_mov_b32 v[14:15], s[42:43], s[42:43] op_sel:[0,1]
	v_pk_mov_b32 v[24:25], s[42:43], s[42:43] op_sel:[0,1]
	;; [unrolled: 1-line block ×3, first 2 shown]
                                        ; implicit-def: $vgpr37
	s_and_saveexec_b64 s[38:39], vcc
	s_cbranch_execz .LBB842_97
; %bb.84:
	s_mov_b32 s46, 0
	v_cmp_ne_u16_e32 vcc, 0, v29
	v_add_u32_e32 v1, 15, v40
	v_cndmask_b32_e64 v2, 0, 1, vcc
	v_mov_b32_e32 v23, 0
	s_mov_b32 s47, s46
	v_alignbit_b32 v22, v2, v4, 16
	v_cmp_gt_u32_e32 vcc, s70, v1
	s_mov_b64 s[42:43], 0
	v_pk_mov_b32 v[14:15], s[46:47], s[46:47] op_sel:[0,1]
	v_pk_mov_b32 v[24:25], s[46:47], s[46:47] op_sel:[0,1]
	v_mov_b32_e32 v1, v23
                                        ; implicit-def: $vgpr37
	s_and_saveexec_b64 s[40:41], vcc
	s_cbranch_execz .LBB842_96
; %bb.85:
	v_mov_b32_e32 v1, 0
	v_cmp_ne_u16_sdwa s[42:43], v29, v1 src0_sel:WORD_1 src1_sel:DWORD
	v_and_b32_e32 v2, 0xffff, v5
	v_add_u32_e32 v3, 16, v40
	v_cndmask_b32_e64 v4, 0, 1, s[42:43]
	v_lshl_or_b32 v23, v4, 16, v2
	v_cmp_gt_u32_e32 vcc, s70, v3
	s_mov_b64 s[44:45], 0
	v_pk_mov_b32 v[14:15], s[46:47], s[46:47] op_sel:[0,1]
	v_pk_mov_b32 v[24:25], s[46:47], s[46:47] op_sel:[0,1]
                                        ; implicit-def: $vgpr37
	s_and_saveexec_b64 s[42:43], vcc
	s_cbranch_execz .LBB842_95
; %bb.86:
	s_mov_b32 s60, 0
	v_cmp_ne_u16_e32 vcc, 0, v26
	v_add_u32_e32 v1, 17, v40
	v_cndmask_b32_e64 v2, 0, 1, vcc
	v_mov_b32_e32 v25, 0
	s_mov_b32 s61, s60
	v_alignbit_b32 v24, v2, v5, 16
	v_cmp_gt_u32_e32 vcc, s70, v1
	s_mov_b64 s[46:47], 0
	v_pk_mov_b32 v[14:15], s[60:61], s[60:61] op_sel:[0,1]
	v_mov_b32_e32 v1, v25
                                        ; implicit-def: $vgpr37
	s_and_saveexec_b64 s[44:45], vcc
	s_cbranch_execz .LBB842_94
; %bb.87:
	ds_read_b64 v[2:3], v38 offset:34
	v_mov_b32_e32 v1, 0
	v_cmp_ne_u16_sdwa s[46:47], v26, v1 src0_sel:WORD_1 src1_sel:DWORD
	v_add_u32_e32 v4, 18, v40
	v_cndmask_b32_e64 v5, 0, 1, s[46:47]
	s_waitcnt lgkmcnt(0)
	v_and_b32_e32 v14, 0xffff, v2
	v_lshl_or_b32 v25, v5, 16, v14
	v_cmp_gt_u32_e32 vcc, s70, v4
	s_mov_b64 s[48:49], 0
	v_pk_mov_b32 v[14:15], s[60:61], s[60:61] op_sel:[0,1]
                                        ; implicit-def: $vgpr37
	s_and_saveexec_b64 s[46:47], vcc
	s_cbranch_execz .LBB842_93
; %bb.88:
	v_cmp_ne_u16_e32 vcc, 0, v27
	v_add_u32_e32 v1, 19, v40
	v_cndmask_b32_e64 v4, 0, 1, vcc
	v_mov_b32_e32 v15, 0
	v_alignbit_b32 v14, v4, v2, 16
	v_cmp_gt_u32_e32 vcc, s70, v1
	s_mov_b64 s[60:61], 0
	v_mov_b32_e32 v1, v15
                                        ; implicit-def: $vgpr37
	s_and_saveexec_b64 s[48:49], vcc
	s_cbranch_execz .LBB842_92
; %bb.89:
	v_mov_b32_e32 v1, 0
	v_cmp_ne_u16_sdwa s[60:61], v27, v1 src0_sel:WORD_1 src1_sel:DWORD
	v_and_b32_e32 v2, 0xffff, v3
	v_add_u32_e32 v4, 20, v40
	v_cndmask_b32_e64 v5, 0, 1, s[60:61]
	v_lshl_or_b32 v15, v5, 16, v2
	v_cmp_gt_u32_e32 vcc, s70, v4
	s_mov_b64 s[60:61], 0
                                        ; implicit-def: $vgpr37
	s_and_saveexec_b64 s[68:69], vcc
	s_xor_b64 s[68:69], exec, s[68:69]
	s_cbranch_execz .LBB842_91
; %bb.90:
	ds_read_u16 v37, v38 offset:42
	v_add_u32_e32 v2, 21, v40
	v_cmp_ne_u16_e32 vcc, 0, v39
	v_cndmask_b32_e64 v1, 0, 1, vcc
	v_cmp_gt_u32_e32 vcc, s70, v2
	v_alignbit_b32 v1, v1, v3, 16
	s_and_b64 s[60:61], vcc, exec
.LBB842_91:
	s_or_b64 exec, exec, s[68:69]
	s_and_b64 s[60:61], s[60:61], exec
.LBB842_92:
	s_or_b64 exec, exec, s[48:49]
	s_and_b64 s[48:49], s[60:61], exec
.LBB842_93:
	s_or_b64 exec, exec, s[46:47]
	s_and_b64 s[46:47], s[48:49], exec
.LBB842_94:
	s_or_b64 exec, exec, s[44:45]
	s_and_b64 s[44:45], s[46:47], exec
.LBB842_95:
	s_or_b64 exec, exec, s[42:43]
	s_and_b64 s[42:43], s[44:45], exec
.LBB842_96:
	s_or_b64 exec, exec, s[40:41]
	s_and_b64 s[40:41], s[42:43], exec
.LBB842_97:
	s_or_b64 exec, exec, s[38:39]
	s_and_b64 s[38:39], s[40:41], exec
.LBB842_98:
	s_or_b64 exec, exec, s[36:37]
	s_and_b64 s[36:37], s[38:39], exec
.LBB842_99:
	s_or_b64 exec, exec, s[34:35]
	s_and_b64 s[34:35], s[36:37], exec
.LBB842_100:
	s_or_b64 exec, exec, s[30:31]
	s_and_b64 s[30:31], s[34:35], exec
.LBB842_101:
	s_or_b64 exec, exec, s[28:29]
	s_and_b64 s[28:29], s[30:31], exec
.LBB842_102:
	s_or_b64 exec, exec, s[26:27]
	s_and_b64 s[26:27], s[28:29], exec
.LBB842_103:
	s_or_b64 exec, exec, s[24:25]
	s_and_b64 s[24:25], s[26:27], exec
.LBB842_104:
	s_or_b64 exec, exec, s[22:23]
	s_and_b64 s[22:23], s[24:25], exec
.LBB842_105:
	s_or_b64 exec, exec, s[20:21]
	s_and_b64 s[20:21], s[22:23], exec
.LBB842_106:
	s_or_b64 exec, exec, s[18:19]
	s_and_b64 s[18:19], s[20:21], exec
.LBB842_107:
	s_or_b64 exec, exec, s[16:17]
	s_and_b64 s[16:17], s[18:19], exec
.LBB842_108:
	s_or_b64 exec, exec, s[14:15]
	s_and_b64 s[14:15], s[16:17], exec
.LBB842_109:
	s_or_b64 exec, exec, s[12:13]
	s_and_b64 s[12:13], s[14:15], exec
.LBB842_110:
	s_or_b64 exec, exec, s[10:11]
	s_and_b64 s[10:11], s[12:13], exec
.LBB842_111:
	s_or_b64 exec, exec, s[8:9]
	s_and_b64 vcc, exec, s[4:5]
	v_lshlrev_b32_e32 v32, 1, v0
	s_cbranch_vccnz .LBB842_113
	s_branch .LBB842_114
.LBB842_112:
	s_mov_b64 s[10:11], 0
                                        ; implicit-def: $vgpr14_vgpr15
                                        ; implicit-def: $vgpr24_vgpr25
                                        ; implicit-def: $vgpr22_vgpr23
                                        ; implicit-def: $vgpr20_vgpr21
                                        ; implicit-def: $vgpr18_vgpr19
                                        ; implicit-def: $vgpr16_vgpr17
                                        ; implicit-def: $vgpr12_vgpr13
                                        ; implicit-def: $vgpr10_vgpr11
                                        ; implicit-def: $vgpr8_vgpr9
                                        ; implicit-def: $vgpr6_vgpr7
                                        ; implicit-def: $vgpr36
                                        ; implicit-def: $vgpr37
                                        ; implicit-def: $vgpr1
                                        ; implicit-def: $sgpr2
	s_and_b64 vcc, exec, s[4:5]
	v_lshlrev_b32_e32 v32, 1, v0
	s_cbranch_vccz .LBB842_114
.LBB842_113:
	v_mov_b32_e32 v1, s51
	v_add_co_u32_e32 v2, vcc, s50, v32
	v_addc_co_u32_e32 v3, vcc, 0, v1, vcc
	v_add_co_u32_e32 v4, vcc, 0x1000, v2
	v_addc_co_u32_e32 v5, vcc, 0, v3, vcc
	flat_load_ushort v1, v[2:3]
	flat_load_ushort v6, v[2:3] offset:512
	flat_load_ushort v7, v[2:3] offset:1024
	;; [unrolled: 1-line block ×7, first 2 shown]
	v_add_co_u32_e32 v2, vcc, 0x2000, v2
	v_addc_co_u32_e32 v3, vcc, 0, v3, vcc
	flat_load_ushort v13, v[4:5]
	flat_load_ushort v14, v[4:5] offset:512
	flat_load_ushort v15, v[4:5] offset:1024
	;; [unrolled: 1-line block ×7, first 2 shown]
	s_nop 0
	flat_load_ushort v4, v[2:3]
	flat_load_ushort v5, v[2:3] offset:512
	flat_load_ushort v21, v[2:3] offset:1024
	;; [unrolled: 1-line block ×5, first 2 shown]
	v_mov_b32_e32 v3, s59
	v_add_co_u32_e32 v2, vcc, s7, v32
	s_movk_i32 s2, 0x1000
	v_addc_co_u32_e32 v3, vcc, 0, v3, vcc
	v_mad_u32_u24 v28, v0, 42, v32
	s_movk_i32 s4, 0xffd6
	s_movk_i32 s3, 0x2000
	v_mad_i32_i24 v29, v0, s4, v28
	v_mov_b32_e32 v39, 0
	s_or_b64 s[10:11], s[10:11], exec
	s_waitcnt vmcnt(0) lgkmcnt(0)
	ds_write_b16 v32, v1
	ds_write_b16 v32, v6 offset:512
	ds_write_b16 v32, v7 offset:1024
	;; [unrolled: 1-line block ×21, first 2 shown]
	v_add_co_u32_e32 v8, vcc, s2, v2
	s_waitcnt lgkmcnt(0)
	s_barrier
	ds_read_b32 v1, v28 offset:40
	ds_read2_b32 v[4:5], v28 offset1:1
	ds_read2_b32 v[6:7], v28 offset0:2 offset1:3
	ds_read2_b32 v[14:15], v28 offset0:4 offset1:5
	ds_read2_b32 v[24:25], v28 offset0:6 offset1:7
	ds_read2_b32 v[26:27], v28 offset0:8 offset1:9
	s_waitcnt lgkmcnt(5)
	v_lshrrev_b32_e32 v36, 16, v1
	v_addc_co_u32_e32 v9, vcc, 0, v3, vcc
	ds_write_b16 v29, v36 offset:11264
	s_waitcnt lgkmcnt(0)
	s_barrier
	s_barrier
	flat_load_ushort v10, v[2:3]
	flat_load_ushort v11, v[2:3] offset:512
	flat_load_ushort v12, v[2:3] offset:1024
	;; [unrolled: 1-line block ×7, first 2 shown]
	v_add_co_u32_e32 v2, vcc, s3, v2
	v_addc_co_u32_e32 v3, vcc, 0, v3, vcc
	flat_load_ushort v20, v[8:9]
	flat_load_ushort v21, v[8:9] offset:512
	flat_load_ushort v22, v[8:9] offset:1024
	;; [unrolled: 1-line block ×7, first 2 shown]
	s_nop 0
	flat_load_ushort v8, v[2:3]
	flat_load_ushort v9, v[2:3] offset:512
	flat_load_ushort v34, v[2:3] offset:1024
	;; [unrolled: 1-line block ×5, first 2 shown]
	v_cmp_ne_u16_sdwa s[2:3], v4, v39 src0_sel:WORD_1 src1_sel:DWORD
	v_cmp_ne_u16_e32 vcc, 0, v4
	v_cndmask_b32_e64 v40, 0, 1, s[2:3]
	v_cndmask_b32_e64 v41, 0, 1, vcc
	v_cmp_ne_u16_sdwa s[2:3], v5, v39 src0_sel:WORD_1 src1_sel:DWORD
	v_cmp_ne_u16_e32 vcc, 0, v5
	v_cndmask_b32_e64 v42, 0, 1, s[2:3]
	v_cmp_ne_u16_sdwa s[2:3], v6, v39 src0_sel:WORD_1 src1_sel:DWORD
	v_cndmask_b32_e64 v43, 0, 1, vcc
	v_cndmask_b32_e64 v44, 0, 1, s[2:3]
	v_cmp_ne_u16_e32 vcc, 0, v6
	v_cmp_ne_u16_sdwa s[2:3], v7, v39 src0_sel:WORD_1 src1_sel:DWORD
	v_cndmask_b32_e64 v45, 0, 1, vcc
	v_cndmask_b32_e64 v6, 0, 1, s[2:3]
	v_cmp_ne_u16_e32 vcc, 0, v7
	v_cmp_ne_u16_sdwa s[2:3], v14, v39 src0_sel:WORD_1 src1_sel:DWORD
	v_cndmask_b32_e64 v46, 0, 1, vcc
	v_cmp_ne_u16_e32 vcc, 0, v14
	s_waitcnt vmcnt(0) lgkmcnt(0)
	ds_write_b16 v32, v10
	ds_write_b16 v32, v11 offset:512
	ds_write_b16 v32, v12 offset:1024
	;; [unrolled: 1-line block ×21, first 2 shown]
	s_waitcnt lgkmcnt(0)
	s_barrier
	ds_read2_b32 v[2:3], v28 offset0:8 offset1:9
	ds_read_b32 v29, v28 offset:40
	ds_read2_b32 v[4:5], v28 offset1:1
	ds_read2_b32 v[12:13], v28 offset0:2 offset1:3
	ds_read2_b32 v[18:19], v28 offset0:4 offset1:5
	;; [unrolled: 1-line block ×3, first 2 shown]
	s_waitcnt lgkmcnt(4)
	v_lshrrev_b32_e32 v37, 16, v29
	s_waitcnt lgkmcnt(3)
	v_and_b32_e32 v8, 0xffff, v4
	v_alignbit_b32 v7, v40, v4, 16
	v_and_b32_e32 v4, 0xffff, v5
	v_alignbit_b32 v9, v42, v5, 16
	s_waitcnt lgkmcnt(2)
	v_and_b32_e32 v5, 0xffff, v12
	v_lshl_or_b32 v10, v45, 16, v5
	v_cndmask_b32_e64 v5, 0, 1, s[2:3]
	v_alignbit_b32 v11, v44, v12, 16
	v_and_b32_e32 v12, 0xffff, v13
	v_alignbit_b32 v13, v6, v13, 16
	v_lshl_or_b32 v6, v41, 16, v8
	v_lshl_or_b32 v8, v43, 16, v4
	s_waitcnt lgkmcnt(1)
	v_and_b32_e32 v4, 0xffff, v18
	v_alignbit_b32 v17, v5, v18, 16
	v_cndmask_b32_e64 v5, 0, 1, vcc
	v_cmp_ne_u16_sdwa s[2:3], v15, v39 src0_sel:WORD_1 src1_sel:DWORD
	v_lshl_or_b32 v16, v5, 16, v4
	v_cndmask_b32_e64 v5, 0, 1, s[2:3]
	v_cmp_ne_u16_e32 vcc, 0, v15
	v_and_b32_e32 v4, 0xffff, v19
	v_alignbit_b32 v19, v5, v19, 16
	v_cndmask_b32_e64 v5, 0, 1, vcc
	v_cmp_ne_u16_sdwa s[2:3], v24, v39 src0_sel:WORD_1 src1_sel:DWORD
	v_lshl_or_b32 v18, v5, 16, v4
	v_cndmask_b32_e64 v5, 0, 1, s[2:3]
	v_cmp_ne_u16_e32 vcc, 0, v24
	s_waitcnt lgkmcnt(0)
	v_and_b32_e32 v4, 0xffff, v22
	v_alignbit_b32 v21, v5, v22, 16
	v_cndmask_b32_e64 v5, 0, 1, vcc
	v_cmp_ne_u16_sdwa s[2:3], v25, v39 src0_sel:WORD_1 src1_sel:DWORD
	v_lshl_or_b32 v20, v5, 16, v4
	v_cndmask_b32_e64 v5, 0, 1, s[2:3]
	v_cmp_ne_u16_e32 vcc, 0, v25
	v_and_b32_e32 v4, 0xffff, v23
	v_alignbit_b32 v23, v5, v23, 16
	v_cndmask_b32_e64 v5, 0, 1, vcc
	v_cmp_ne_u16_sdwa s[2:3], v26, v39 src0_sel:WORD_1 src1_sel:DWORD
	v_lshl_or_b32 v22, v5, 16, v4
	v_cndmask_b32_e64 v5, 0, 1, s[2:3]
	v_cmp_ne_u16_e32 vcc, 0, v26
	;; [unrolled: 7-line block ×3, first 2 shown]
	v_and_b32_e32 v2, 0xffff, v3
	v_alignbit_b32 v15, v4, v3, 16
	v_cndmask_b32_e64 v3, 0, 1, vcc
	v_cmp_ne_u16_e32 vcc, 0, v1
	v_lshl_or_b32 v14, v3, 16, v2
	v_and_b32_e32 v2, 0xffff, v29
	v_cndmask_b32_e64 v1, 0, 1, vcc
	v_lshl_or_b32 v12, v46, 16, v12
	v_lshl_or_b32 v1, v1, 16, v2
                                        ; implicit-def: $sgpr2
.LBB842_114:
	v_mov_b32_e32 v33, s2
	s_and_saveexec_b64 s[2:3], s[10:11]
	s_cbranch_execz .LBB842_116
; %bb.115:
	v_cmp_ne_u16_e32 vcc, 0, v36
	s_waitcnt lgkmcnt(0)
	v_and_b32_e32 v2, 0xffff, v37
	v_cndmask_b32_e64 v3, 0, 1, vcc
	v_lshl_or_b32 v33, v3, 16, v2
.LBB842_116:
	s_or_b64 exec, exec, s[2:3]
	s_cmp_lg_u32 s6, 0
	v_or3_b32 v35, v33, v1, v15
	v_lshrrev_b32_e32 v34, 5, v0
	v_cmp_gt_u32_e32 vcc, 64, v0
	s_waitcnt lgkmcnt(0)
	s_barrier
	s_cbranch_scc0 .LBB842_201
; %bb.117:
	s_mov_b32 s7, 0x10000
	v_cmp_gt_u32_e64 s[2:3], s7, v7
	v_cndmask_b32_e64 v2, 0, v6, s[2:3]
	v_add_u16_e32 v2, v2, v7
	v_cmp_gt_u32_e64 s[4:5], s7, v8
	v_cndmask_b32_e64 v2, 0, v2, s[4:5]
	v_add_u16_e32 v2, v2, v8
	;; [unrolled: 3-line block ×21, first 2 shown]
	v_or3_b32 v2, v35, v14, v25
	v_or3_b32 v2, v2, v24, v23
	;; [unrolled: 1-line block ×9, first 2 shown]
	v_and_b32_e32 v2, 0x10000, v2
	v_lshrrev_b32_e32 v36, 16, v6
	v_cmp_ne_u32_e64 s[46:47], 0, v2
	v_mov_b32_e32 v5, 0x10000
	v_cndmask_b32_e64 v38, v36, 1, s[46:47]
	v_add_lshl_u32 v2, v34, v0, 2
	ds_write_b16 v2, v37
	ds_write_b8 v2, v38 offset:2
	s_waitcnt lgkmcnt(0)
	s_barrier
	s_and_saveexec_b64 s[48:49], vcc
	s_cbranch_execz .LBB842_131
; %bb.118:
	v_lshlrev_b32_e32 v2, 2, v0
	v_lshrrev_b32_e32 v3, 3, v0
	v_add_lshl_u32 v2, v3, v2, 2
	ds_read_b32 v3, v2
	ds_read_u16 v4, v2 offset:4
	ds_read_u8 v26, v2 offset:6
	ds_read_u16 v27, v2 offset:8
	ds_read_u8 v28, v2 offset:10
	;; [unrolled: 2-line block ×3, first 2 shown]
	v_mov_b32_e32 v31, 0
	s_waitcnt lgkmcnt(4)
	v_cmp_eq_u16_sdwa s[46:47], v26, v31 src0_sel:BYTE_0 src1_sel:DWORD
	v_cndmask_b32_e64 v39, 0, v3, s[46:47]
	v_add_u16_e32 v39, v39, v4
	s_waitcnt lgkmcnt(2)
	v_cmp_eq_u16_sdwa s[46:47], v28, v31 src0_sel:BYTE_0 src1_sel:DWORD
	s_waitcnt lgkmcnt(0)
	v_or_b32_e32 v28, v30, v28
	v_cndmask_b32_e64 v31, 0, v39, s[46:47]
	v_or_b32_e32 v26, v28, v26
	v_add_u16_e32 v27, v31, v27
	v_cmp_eq_u16_e64 s[46:47], 0, v30
	v_and_b32_e32 v26, 1, v26
	v_and_b32_e32 v4, 0x10000, v3
	v_cndmask_b32_e64 v31, 0, v27, s[46:47]
	v_cmp_eq_u32_e64 s[46:47], 1, v26
	v_mbcnt_lo_u32_b32 v26, -1, 0
	v_add_u16_e32 v27, v31, v29
	v_cndmask_b32_e64 v39, v4, v5, s[46:47]
	v_add_u16_e32 v29, v31, v29
	v_and_b32_e32 v5, 0xff000000, v3
	v_mbcnt_hi_u32_b32 v26, -1, v26
	v_or_b32_e32 v30, v39, v5
	v_and_b32_e32 v31, 15, v26
	v_or3_b32 v29, v5, v29, v39
	s_movk_i32 s7, 0xff
	v_lshrrev_b32_e32 v28, 16, v30
	v_mov_b32_dpp v39, v29 row_shr:1 row_mask:0xf bank_mask:0xf
	v_cmp_ne_u32_e64 s[46:47], 0, v31
	s_and_saveexec_b64 s[60:61], s[46:47]
	s_cbranch_execz .LBB842_120
; %bb.119:
	v_and_b32_sdwa v28, v30, s7 dst_sel:DWORD dst_unused:UNUSED_PAD src0_sel:WORD_1 src1_sel:DWORD
	v_cmp_eq_u16_e64 s[46:47], 0, v28
	v_and_b32_e32 v28, 0x10000, v30
	v_mov_b32_e32 v30, 1
	v_cndmask_b32_e64 v29, 0, v39, s[46:47]
	v_and_b32_sdwa v30, v39, v30 dst_sel:DWORD dst_unused:UNUSED_PAD src0_sel:WORD_1 src1_sel:DWORD
	v_cmp_ne_u32_e64 s[46:47], 0, v28
	v_cndmask_b32_e64 v28, v30, 1, s[46:47]
	v_add_u16_e32 v40, v29, v27
	v_lshlrev_b32_e32 v30, 16, v28
	v_add_u16_e32 v27, v29, v27
	v_or3_b32 v29, v30, v27, v5
	v_mov_b32_e32 v27, v40
.LBB842_120:
	s_or_b64 exec, exec, s[60:61]
	v_lshrrev_b32_e32 v30, 16, v29
	v_mov_b32_dpp v39, v29 row_shr:2 row_mask:0xf bank_mask:0xf
	v_cmp_lt_u32_e64 s[46:47], 1, v31
	s_and_saveexec_b64 s[60:61], s[46:47]
	s_cbranch_execz .LBB842_122
; %bb.121:
	v_mov_b32_e32 v28, 0
	v_cmp_eq_u16_sdwa s[46:47], v30, v28 src0_sel:BYTE_0 src1_sel:DWORD
	v_and_b32_e32 v28, 0x10000, v29
	v_mov_b32_e32 v29, 1
	v_cndmask_b32_e64 v30, 0, v39, s[46:47]
	v_and_b32_sdwa v29, v39, v29 dst_sel:DWORD dst_unused:UNUSED_PAD src0_sel:WORD_1 src1_sel:DWORD
	v_cmp_ne_u32_e64 s[46:47], 0, v28
	v_cndmask_b32_e64 v28, v29, 1, s[46:47]
	v_add_u16_e32 v40, v30, v27
	v_lshlrev_b32_e32 v29, 16, v28
	v_add_u16_e32 v27, v30, v27
	v_or3_b32 v29, v29, v27, v5
	v_mov_b32_e32 v30, v28
	v_mov_b32_e32 v27, v40
.LBB842_122:
	s_or_b64 exec, exec, s[60:61]
	v_mov_b32_dpp v39, v29 row_shr:4 row_mask:0xf bank_mask:0xf
	v_cmp_lt_u32_e64 s[46:47], 3, v31
	s_and_saveexec_b64 s[60:61], s[46:47]
	s_cbranch_execz .LBB842_124
; %bb.123:
	v_mov_b32_e32 v28, 0
	v_cmp_eq_u16_sdwa s[46:47], v30, v28 src0_sel:BYTE_0 src1_sel:DWORD
	v_and_b32_e32 v28, 1, v30
	v_mov_b32_e32 v30, 1
	v_cndmask_b32_e64 v29, 0, v39, s[46:47]
	v_and_b32_sdwa v30, v39, v30 dst_sel:DWORD dst_unused:UNUSED_PAD src0_sel:WORD_1 src1_sel:DWORD
	v_cmp_eq_u32_e64 s[46:47], 1, v28
	v_cndmask_b32_e64 v28, v30, 1, s[46:47]
	v_add_u16_e32 v40, v29, v27
	v_lshlrev_b32_e32 v30, 16, v28
	v_add_u16_e32 v27, v29, v27
	v_or3_b32 v29, v30, v27, v5
	v_mov_b32_e32 v30, v28
	v_mov_b32_e32 v27, v40
.LBB842_124:
	s_or_b64 exec, exec, s[60:61]
	v_mov_b32_dpp v39, v29 row_shr:8 row_mask:0xf bank_mask:0xf
	v_cmp_lt_u32_e64 s[46:47], 7, v31
	s_and_saveexec_b64 s[60:61], s[46:47]
	s_cbranch_execz .LBB842_126
; %bb.125:
	v_mov_b32_e32 v28, 0
	v_cmp_eq_u16_sdwa s[46:47], v30, v28 src0_sel:BYTE_0 src1_sel:DWORD
	v_and_b32_e32 v28, 1, v30
	v_mov_b32_e32 v30, 1
	v_cndmask_b32_e64 v29, 0, v39, s[46:47]
	v_and_b32_sdwa v30, v39, v30 dst_sel:DWORD dst_unused:UNUSED_PAD src0_sel:WORD_1 src1_sel:DWORD
	v_cmp_eq_u32_e64 s[46:47], 1, v28
	v_cndmask_b32_e64 v28, v30, 1, s[46:47]
	v_add_u16_e32 v31, v29, v27
	v_lshlrev_b32_e32 v30, 16, v28
	v_add_u16_e32 v27, v29, v27
	v_or3_b32 v29, v30, v27, v5
	v_mov_b32_e32 v30, v28
	v_mov_b32_e32 v27, v31
.LBB842_126:
	s_or_b64 exec, exec, s[60:61]
	v_and_b32_e32 v39, 16, v26
	v_mov_b32_dpp v31, v29 row_bcast:15 row_mask:0xf bank_mask:0xf
	v_cmp_ne_u32_e64 s[46:47], 0, v39
	s_and_saveexec_b64 s[60:61], s[46:47]
	s_cbranch_execz .LBB842_128
; %bb.127:
	v_mov_b32_e32 v28, 0
	v_cmp_eq_u16_sdwa s[46:47], v30, v28 src0_sel:BYTE_0 src1_sel:DWORD
	v_and_b32_e32 v28, 1, v30
	v_mov_b32_e32 v30, 1
	v_cndmask_b32_e64 v29, 0, v31, s[46:47]
	v_and_b32_sdwa v30, v31, v30 dst_sel:DWORD dst_unused:UNUSED_PAD src0_sel:WORD_1 src1_sel:DWORD
	v_cmp_eq_u32_e64 s[46:47], 1, v28
	v_cndmask_b32_e64 v28, v30, 1, s[46:47]
	v_add_u16_e32 v39, v29, v27
	v_lshlrev_b32_e32 v30, 16, v28
	v_add_u16_e32 v27, v29, v27
	v_or3_b32 v29, v30, v27, v5
	v_mov_b32_e32 v30, v28
	v_mov_b32_e32 v27, v39
.LBB842_128:
	s_or_b64 exec, exec, s[60:61]
	v_mov_b32_dpp v29, v29 row_bcast:31 row_mask:0xf bank_mask:0xf
	v_cmp_lt_u32_e64 s[46:47], 31, v26
	s_and_saveexec_b64 s[60:61], s[46:47]
; %bb.129:
	v_mov_b32_e32 v28, 0
	v_cmp_eq_u16_sdwa s[46:47], v30, v28 src0_sel:BYTE_0 src1_sel:DWORD
	v_cndmask_b32_e64 v28, 0, v29, s[46:47]
	v_add_u16_e32 v27, v28, v27
	v_and_b32_e32 v28, 1, v30
	v_mov_b32_e32 v30, 1
	v_and_b32_sdwa v29, v29, v30 dst_sel:DWORD dst_unused:UNUSED_PAD src0_sel:WORD_1 src1_sel:DWORD
	v_cmp_eq_u32_e64 s[46:47], 1, v28
	v_cndmask_b32_e64 v28, v29, 1, s[46:47]
; %bb.130:
	s_or_b64 exec, exec, s[60:61]
	v_and_b32_e32 v28, 0xff, v28
	v_lshlrev_b32_e32 v28, 16, v28
	v_and_b32_e32 v27, 0xffff, v27
	v_or3_b32 v5, v28, v27, v5
	v_add_u32_e32 v27, -1, v26
	v_and_b32_e32 v28, 64, v26
	v_cmp_lt_i32_e64 s[46:47], v27, v28
	v_cndmask_b32_e64 v26, v27, v26, s[46:47]
	v_lshlrev_b32_e32 v26, 2, v26
	ds_bpermute_b32 v5, v26, v5
	v_and_b32_e32 v26, 0xff0000, v3
	v_cmp_eq_u32_e64 s[46:47], 0, v26
	; wave barrier
	s_waitcnt lgkmcnt(0)
	v_cndmask_b32_e64 v26, 0, v5, s[46:47]
	v_add_u16_e32 v3, v26, v3
	v_mov_b32_e32 v26, 1
	v_and_b32_sdwa v5, v5, v26 dst_sel:DWORD dst_unused:UNUSED_PAD src0_sel:WORD_1 src1_sel:DWORD
	v_cmp_eq_u32_e64 s[46:47], 0, v4
	v_cndmask_b32_e64 v4, 1, v5, s[46:47]
	v_cmp_eq_u32_e64 s[46:47], 0, v0
	v_cndmask_b32_e64 v3, v3, v37, s[46:47]
	v_cndmask_b32_e64 v4, v4, v38, s[46:47]
	ds_write_b16 v2, v3
	ds_write_b8 v2, v4 offset:2
	; wave barrier
	ds_read_u16 v5, v2 offset:4
	ds_read_u8 v26, v2 offset:6
	ds_read_u16 v27, v2 offset:8
	ds_read_u8 v28, v2 offset:10
	;; [unrolled: 2-line block ×3, first 2 shown]
	s_waitcnt lgkmcnt(4)
	v_cmp_eq_u16_e64 s[46:47], 0, v26
	v_cndmask_b32_e64 v3, 0, v3, s[46:47]
	v_add_u16_e32 v3, v3, v5
	v_and_b32_e32 v5, 1, v26
	v_cmp_eq_u32_e64 s[46:47], 1, v5
	v_cndmask_b32_e64 v4, v4, 1, s[46:47]
	s_waitcnt lgkmcnt(2)
	v_cmp_eq_u16_e64 s[46:47], 0, v28
	v_and_b32_e32 v5, 1, v28
	ds_write_b16 v2, v3 offset:4
	ds_write_b8 v2, v4 offset:6
	v_cndmask_b32_e64 v3, 0, v3, s[46:47]
	v_cmp_eq_u32_e64 s[46:47], 1, v5
	v_add_u16_e32 v3, v3, v27
	v_cndmask_b32_e64 v4, v4, 1, s[46:47]
	s_waitcnt lgkmcnt(2)
	v_cmp_eq_u16_e64 s[46:47], 0, v30
	ds_write_b16 v2, v3 offset:8
	ds_write_b8 v2, v4 offset:10
	v_cndmask_b32_e64 v3, 0, v3, s[46:47]
	v_and_b32_e32 v5, 1, v30
	v_add_u16_e32 v3, v3, v29
	v_cmp_eq_u32_e64 s[46:47], 1, v5
	v_cndmask_b32_e64 v4, v4, 1, s[46:47]
	ds_write_b16 v2, v3 offset:12
	ds_write_b8 v2, v4 offset:14
.LBB842_131:
	s_or_b64 exec, exec, s[48:49]
	v_cmp_eq_u32_e64 s[46:47], 0, v0
	v_cmp_ne_u32_e64 s[48:49], 0, v0
	s_waitcnt lgkmcnt(0)
	s_barrier
	s_and_saveexec_b64 s[60:61], s[48:49]
	s_cbranch_execz .LBB842_133
; %bb.132:
	v_add_u32_e32 v2, -1, v0
	v_lshrrev_b32_e32 v3, 5, v2
	v_add_lshl_u32 v2, v3, v2, 2
	ds_read_u16 v37, v2
	ds_read_u8 v38, v2 offset:2
.LBB842_133:
	s_or_b64 exec, exec, s[60:61]
	s_and_saveexec_b64 s[60:61], vcc
	s_cbranch_execz .LBB842_180
; %bb.134:
	v_mov_b32_e32 v31, 0
	ds_read_b32 v2, v31 offset:1048
	v_mbcnt_lo_u32_b32 v3, -1, 0
	v_mbcnt_hi_u32_b32 v5, -1, v3
	s_mov_b32 s71, 0
	v_cmp_eq_u32_e64 s[48:49], 0, v5
	s_and_saveexec_b64 s[68:69], s[48:49]
	s_cbranch_execz .LBB842_136
; %bb.135:
	s_add_i32 s70, s6, 64
	s_lshl_b64 s[70:71], s[70:71], 3
	s_add_u32 s70, s56, s70
	v_mov_b32_e32 v3, 1
	s_addc_u32 s71, s57, s71
	s_waitcnt lgkmcnt(0)
	global_store_dwordx2 v31, v[2:3], s[70:71]
.LBB842_136:
	s_or_b64 exec, exec, s[68:69]
	v_xad_u32 v4, v5, -1, s6
	v_add_u32_e32 v30, 64, v4
	v_lshlrev_b64 v[26:27], 3, v[30:31]
	v_mov_b32_e32 v3, s57
	v_add_co_u32_e32 v26, vcc, s56, v26
	v_addc_co_u32_e32 v27, vcc, v3, v27, vcc
	global_load_dwordx2 v[28:29], v[26:27], off glc
	s_waitcnt vmcnt(0)
	v_cmp_eq_u16_sdwa s[70:71], v29, v31 src0_sel:BYTE_0 src1_sel:DWORD
	s_and_saveexec_b64 s[68:69], s[70:71]
	s_cbranch_execz .LBB842_142
; %bb.137:
	s_mov_b32 s7, 1
	s_mov_b64 s[70:71], 0
	v_mov_b32_e32 v3, 0
.LBB842_138:                            ; =>This Loop Header: Depth=1
                                        ;     Child Loop BB842_139 Depth 2
	s_max_u32 s59, s7, 1
.LBB842_139:                            ;   Parent Loop BB842_138 Depth=1
                                        ; =>  This Inner Loop Header: Depth=2
	s_add_i32 s59, s59, -1
	s_cmp_eq_u32 s59, 0
	s_sleep 1
	s_cbranch_scc0 .LBB842_139
; %bb.140:                              ;   in Loop: Header=BB842_138 Depth=1
	global_load_dwordx2 v[28:29], v[26:27], off glc
	s_cmp_lt_u32 s7, 32
	s_cselect_b64 s[72:73], -1, 0
	s_cmp_lg_u64 s[72:73], 0
	s_addc_u32 s7, s7, 0
	s_waitcnt vmcnt(0)
	v_cmp_ne_u16_sdwa s[72:73], v29, v3 src0_sel:BYTE_0 src1_sel:DWORD
	s_or_b64 s[70:71], s[72:73], s[70:71]
	s_andn2_b64 exec, exec, s[70:71]
	s_cbranch_execnz .LBB842_138
; %bb.141:
	s_or_b64 exec, exec, s[70:71]
.LBB842_142:
	s_or_b64 exec, exec, s[68:69]
	v_mov_b32_e32 v3, 2
	v_cmp_eq_u16_sdwa s[68:69], v29, v3 src0_sel:BYTE_0 src1_sel:DWORD
	v_lshlrev_b64 v[26:27], v5, -1
	v_and_b32_e32 v3, s69, v27
	v_or_b32_e32 v3, 0x80000000, v3
	v_ffbl_b32_e32 v3, v3
	v_add_u32_e32 v31, 32, v3
	v_and_b32_e32 v3, 63, v5
	v_cmp_ne_u32_e32 vcc, 63, v3
	v_addc_co_u32_e32 v39, vcc, 0, v5, vcc
	v_and_b32_e32 v50, 0xffffff, v28
	v_lshlrev_b32_e32 v39, 2, v39
	ds_bpermute_b32 v40, v39, v50
	v_and_b32_e32 v30, s68, v26
	v_ffbl_b32_e32 v30, v30
	v_min_u32_e32 v31, v30, v31
	v_lshrrev_b32_e32 v30, 16, v28
	v_cmp_lt_u32_e32 vcc, v3, v31
	v_bfe_u32 v48, v28, 16, 8
	s_and_saveexec_b64 s[68:69], vcc
	s_cbranch_execz .LBB842_144
; %bb.143:
	v_and_b32_e32 v30, 0xff0000, v28
	v_cmp_eq_u32_e32 vcc, 0, v30
	v_and_b32_e32 v30, 0x10000, v30
	v_mov_b32_e32 v43, 1
	s_waitcnt lgkmcnt(0)
	v_cndmask_b32_e32 v41, 0, v40, vcc
	v_and_b32_sdwa v40, v40, v43 dst_sel:DWORD dst_unused:UNUSED_PAD src0_sel:WORD_1 src1_sel:DWORD
	v_cmp_ne_u32_e32 vcc, 0, v30
	v_cndmask_b32_e64 v30, v40, 1, vcc
	v_add_u16_e32 v42, v41, v28
	v_lshlrev_b32_e32 v40, 16, v30
	v_add_u16_e32 v28, v41, v28
	v_or_b32_e32 v50, v40, v28
	v_mov_b32_e32 v28, v42
	v_mov_b32_e32 v48, v30
.LBB842_144:
	s_or_b64 exec, exec, s[68:69]
	v_cmp_gt_u32_e32 vcc, 62, v3
	s_waitcnt lgkmcnt(0)
	v_cndmask_b32_e64 v40, 0, 1, vcc
	v_lshlrev_b32_e32 v40, 1, v40
	v_add_lshl_u32 v40, v40, v5, 2
	ds_bpermute_b32 v42, v40, v50
	v_add_u32_e32 v41, 2, v3
	v_cmp_le_u32_e32 vcc, v41, v31
	s_and_saveexec_b64 s[68:69], vcc
	s_cbranch_execz .LBB842_146
; %bb.145:
	v_cmp_eq_u16_e32 vcc, 0, v48
	v_and_b32_e32 v30, 1, v48
	v_mov_b32_e32 v45, 1
	s_waitcnt lgkmcnt(0)
	v_cndmask_b32_e32 v43, 0, v42, vcc
	v_and_b32_sdwa v42, v42, v45 dst_sel:DWORD dst_unused:UNUSED_PAD src0_sel:WORD_1 src1_sel:DWORD
	v_cmp_eq_u32_e32 vcc, 1, v30
	v_cndmask_b32_e64 v30, v42, 1, vcc
	v_add_u16_e32 v44, v43, v28
	v_lshlrev_b32_e32 v42, 16, v30
	v_add_u16_e32 v28, v43, v28
	v_or_b32_e32 v50, v42, v28
	v_mov_b32_e32 v28, v44
	v_mov_b32_e32 v48, v30
.LBB842_146:
	s_or_b64 exec, exec, s[68:69]
	v_cmp_gt_u32_e32 vcc, 60, v3
	s_waitcnt lgkmcnt(0)
	v_cndmask_b32_e64 v42, 0, 1, vcc
	v_lshlrev_b32_e32 v42, 2, v42
	v_add_lshl_u32 v42, v42, v5, 2
	ds_bpermute_b32 v44, v42, v50
	v_add_u32_e32 v43, 4, v3
	v_cmp_le_u32_e32 vcc, v43, v31
	s_and_saveexec_b64 s[68:69], vcc
	s_cbranch_execz .LBB842_148
; %bb.147:
	v_cmp_eq_u16_e32 vcc, 0, v48
	v_and_b32_e32 v30, 1, v48
	v_mov_b32_e32 v47, 1
	s_waitcnt lgkmcnt(0)
	v_cndmask_b32_e32 v45, 0, v44, vcc
	v_and_b32_sdwa v44, v44, v47 dst_sel:DWORD dst_unused:UNUSED_PAD src0_sel:WORD_1 src1_sel:DWORD
	v_cmp_eq_u32_e32 vcc, 1, v30
	v_cndmask_b32_e64 v30, v44, 1, vcc
	v_add_u16_e32 v46, v45, v28
	v_lshlrev_b32_e32 v44, 16, v30
	v_add_u16_e32 v28, v45, v28
	v_or_b32_e32 v50, v44, v28
	v_mov_b32_e32 v28, v46
	v_mov_b32_e32 v48, v30
.LBB842_148:
	;; [unrolled: 27-line block ×4, first 2 shown]
	s_or_b64 exec, exec, s[68:69]
	v_cmp_gt_u32_e32 vcc, 32, v3
	s_waitcnt lgkmcnt(0)
	v_cndmask_b32_e64 v49, 0, 1, vcc
	v_lshlrev_b32_e32 v49, 5, v49
	v_add_lshl_u32 v49, v49, v5, 2
	ds_bpermute_b32 v5, v49, v50
	v_add_u32_e32 v50, 32, v3
	v_cmp_le_u32_e32 vcc, v50, v31
	s_and_saveexec_b64 s[68:69], vcc
	s_cbranch_execz .LBB842_154
; %bb.153:
	v_cmp_eq_u16_e32 vcc, 0, v48
	s_waitcnt lgkmcnt(0)
	v_cndmask_b32_e32 v30, 0, v5, vcc
	v_add_u16_e32 v28, v30, v28
	v_and_b32_e32 v30, 1, v48
	v_mov_b32_e32 v31, 1
	v_and_b32_sdwa v5, v5, v31 dst_sel:DWORD dst_unused:UNUSED_PAD src0_sel:WORD_1 src1_sel:DWORD
	v_cmp_eq_u32_e32 vcc, 1, v30
	v_cndmask_b32_e64 v30, v5, 1, vcc
.LBB842_154:
	s_or_b64 exec, exec, s[68:69]
	s_waitcnt lgkmcnt(0)
	v_mov_b32_e32 v5, 0
	v_mov_b32_e32 v52, 2
	;; [unrolled: 1-line block ×3, first 2 shown]
	s_branch .LBB842_156
.LBB842_155:                            ;   in Loop: Header=BB842_156 Depth=1
	s_or_b64 exec, exec, s[68:69]
	v_cmp_eq_u16_sdwa vcc, v48, v5 src0_sel:BYTE_0 src1_sel:DWORD
	v_and_b32_e32 v30, 1, v48
	v_cndmask_b32_e32 v28, 0, v28, vcc
	v_and_b32_e32 v31, 1, v31
	v_cmp_eq_u32_e32 vcc, 1, v30
	v_subrev_u32_e32 v4, 64, v4
	v_add_u16_e32 v28, v28, v51
	v_cndmask_b32_e64 v30, v31, 1, vcc
.LBB842_156:                            ; =>This Loop Header: Depth=1
                                        ;     Child Loop BB842_159 Depth 2
                                        ;       Child Loop BB842_160 Depth 3
	v_cmp_ne_u16_sdwa s[68:69], v29, v52 src0_sel:BYTE_0 src1_sel:DWORD
	v_cndmask_b32_e64 v29, 0, 1, s[68:69]
	;;#ASMSTART
	;;#ASMEND
	v_cmp_ne_u32_e32 vcc, 0, v29
	v_mov_b32_e32 v48, v30
	s_cmp_lg_u64 vcc, exec
	v_mov_b32_e32 v51, v28
	s_cbranch_scc1 .LBB842_175
; %bb.157:                              ;   in Loop: Header=BB842_156 Depth=1
	v_lshlrev_b64 v[28:29], 3, v[4:5]
	v_mov_b32_e32 v31, s57
	v_add_co_u32_e32 v30, vcc, s56, v28
	v_addc_co_u32_e32 v31, vcc, v31, v29, vcc
	global_load_dwordx2 v[28:29], v[30:31], off glc
	s_waitcnt vmcnt(0)
	v_cmp_eq_u16_sdwa s[70:71], v29, v5 src0_sel:BYTE_0 src1_sel:DWORD
	s_and_saveexec_b64 s[68:69], s[70:71]
	s_cbranch_execz .LBB842_163
; %bb.158:                              ;   in Loop: Header=BB842_156 Depth=1
	s_mov_b32 s7, 1
	s_mov_b64 s[70:71], 0
.LBB842_159:                            ;   Parent Loop BB842_156 Depth=1
                                        ; =>  This Loop Header: Depth=2
                                        ;       Child Loop BB842_160 Depth 3
	s_max_u32 s59, s7, 1
.LBB842_160:                            ;   Parent Loop BB842_156 Depth=1
                                        ;     Parent Loop BB842_159 Depth=2
                                        ; =>    This Inner Loop Header: Depth=3
	s_add_i32 s59, s59, -1
	s_cmp_eq_u32 s59, 0
	s_sleep 1
	s_cbranch_scc0 .LBB842_160
; %bb.161:                              ;   in Loop: Header=BB842_159 Depth=2
	global_load_dwordx2 v[28:29], v[30:31], off glc
	s_cmp_lt_u32 s7, 32
	s_cselect_b64 s[72:73], -1, 0
	s_cmp_lg_u64 s[72:73], 0
	s_addc_u32 s7, s7, 0
	s_waitcnt vmcnt(0)
	v_cmp_ne_u16_sdwa s[72:73], v29, v5 src0_sel:BYTE_0 src1_sel:DWORD
	s_or_b64 s[70:71], s[72:73], s[70:71]
	s_andn2_b64 exec, exec, s[70:71]
	s_cbranch_execnz .LBB842_159
; %bb.162:                              ;   in Loop: Header=BB842_156 Depth=1
	s_or_b64 exec, exec, s[70:71]
.LBB842_163:                            ;   in Loop: Header=BB842_156 Depth=1
	s_or_b64 exec, exec, s[68:69]
	v_cmp_eq_u16_sdwa s[68:69], v29, v52 src0_sel:BYTE_0 src1_sel:DWORD
	v_and_b32_e32 v30, s69, v27
	s_waitcnt lgkmcnt(0)
	v_and_b32_e32 v55, 0xffffff, v28
	v_or_b32_e32 v30, 0x80000000, v30
	ds_bpermute_b32 v56, v39, v55
	v_and_b32_e32 v31, s68, v26
	v_ffbl_b32_e32 v30, v30
	v_add_u32_e32 v30, 32, v30
	v_ffbl_b32_e32 v31, v31
	v_min_u32_e32 v30, v31, v30
	v_lshrrev_b32_e32 v31, 16, v28
	v_cmp_lt_u32_e32 vcc, v3, v30
	v_bfe_u32 v54, v28, 16, 8
	s_and_saveexec_b64 s[68:69], vcc
	s_cbranch_execz .LBB842_165
; %bb.164:                              ;   in Loop: Header=BB842_156 Depth=1
	v_and_b32_e32 v31, 0xff0000, v28
	v_cmp_eq_u32_e32 vcc, 0, v31
	v_and_b32_e32 v31, 0x10000, v31
	s_waitcnt lgkmcnt(0)
	v_cndmask_b32_e32 v54, 0, v56, vcc
	v_and_b32_sdwa v55, v56, v53 dst_sel:DWORD dst_unused:UNUSED_PAD src0_sel:WORD_1 src1_sel:DWORD
	v_cmp_ne_u32_e32 vcc, 0, v31
	v_cndmask_b32_e64 v31, v55, 1, vcc
	v_add_u16_e32 v57, v54, v28
	v_lshlrev_b32_e32 v55, 16, v31
	v_add_u16_e32 v28, v54, v28
	v_or_b32_e32 v55, v55, v28
	v_mov_b32_e32 v28, v57
	v_mov_b32_e32 v54, v31
.LBB842_165:                            ;   in Loop: Header=BB842_156 Depth=1
	s_or_b64 exec, exec, s[68:69]
	s_waitcnt lgkmcnt(0)
	ds_bpermute_b32 v56, v40, v55
	v_cmp_le_u32_e32 vcc, v41, v30
	s_and_saveexec_b64 s[68:69], vcc
	s_cbranch_execz .LBB842_167
; %bb.166:                              ;   in Loop: Header=BB842_156 Depth=1
	v_cmp_eq_u16_e32 vcc, 0, v54
	v_and_b32_e32 v31, 1, v54
	s_waitcnt lgkmcnt(0)
	v_cndmask_b32_e32 v55, 0, v56, vcc
	v_and_b32_sdwa v54, v56, v53 dst_sel:DWORD dst_unused:UNUSED_PAD src0_sel:WORD_1 src1_sel:DWORD
	v_cmp_eq_u32_e32 vcc, 1, v31
	v_cndmask_b32_e64 v31, v54, 1, vcc
	v_add_u16_e32 v57, v55, v28
	v_lshlrev_b32_e32 v54, 16, v31
	v_add_u16_e32 v28, v55, v28
	v_or_b32_e32 v55, v54, v28
	v_mov_b32_e32 v28, v57
	v_mov_b32_e32 v54, v31
.LBB842_167:                            ;   in Loop: Header=BB842_156 Depth=1
	s_or_b64 exec, exec, s[68:69]
	s_waitcnt lgkmcnt(0)
	ds_bpermute_b32 v56, v42, v55
	v_cmp_le_u32_e32 vcc, v43, v30
	s_and_saveexec_b64 s[68:69], vcc
	s_cbranch_execz .LBB842_169
; %bb.168:                              ;   in Loop: Header=BB842_156 Depth=1
	v_cmp_eq_u16_e32 vcc, 0, v54
	v_and_b32_e32 v31, 1, v54
	s_waitcnt lgkmcnt(0)
	v_cndmask_b32_e32 v55, 0, v56, vcc
	v_and_b32_sdwa v54, v56, v53 dst_sel:DWORD dst_unused:UNUSED_PAD src0_sel:WORD_1 src1_sel:DWORD
	v_cmp_eq_u32_e32 vcc, 1, v31
	v_cndmask_b32_e64 v31, v54, 1, vcc
	v_add_u16_e32 v57, v55, v28
	v_lshlrev_b32_e32 v54, 16, v31
	v_add_u16_e32 v28, v55, v28
	v_or_b32_e32 v55, v54, v28
	v_mov_b32_e32 v28, v57
	v_mov_b32_e32 v54, v31
.LBB842_169:                            ;   in Loop: Header=BB842_156 Depth=1
	;; [unrolled: 21-line block ×4, first 2 shown]
	s_or_b64 exec, exec, s[68:69]
	ds_bpermute_b32 v55, v49, v55
	v_cmp_le_u32_e32 vcc, v50, v30
	s_and_saveexec_b64 s[68:69], vcc
	s_cbranch_execz .LBB842_155
; %bb.174:                              ;   in Loop: Header=BB842_156 Depth=1
	v_cmp_eq_u16_e32 vcc, 0, v54
	s_waitcnt lgkmcnt(0)
	v_cndmask_b32_e32 v30, 0, v55, vcc
	v_add_u16_e32 v28, v30, v28
	v_and_b32_e32 v30, 1, v54
	v_lshrrev_b32_e32 v31, 16, v55
	v_cmp_eq_u32_e32 vcc, 1, v30
	v_cndmask_b32_e64 v31, v31, 1, vcc
	s_branch .LBB842_155
.LBB842_175:                            ;   in Loop: Header=BB842_156 Depth=1
                                        ; implicit-def: $vgpr30
                                        ; implicit-def: $vgpr28
	s_cbranch_execz .LBB842_156
; %bb.176:
	s_and_saveexec_b64 s[68:69], s[48:49]
	s_cbranch_execz .LBB842_178
; %bb.177:
	v_and_b32_e32 v3, 0xff0000, v2
	s_mov_b32 s7, 0
	v_cmp_eq_u32_e32 vcc, 0, v3
	v_and_b32_e32 v4, 0x10000, v2
	v_mov_b32_e32 v5, 1
	s_add_i32 s6, s6, 64
	v_cndmask_b32_e32 v3, 0, v51, vcc
	v_and_b32_sdwa v5, v48, v5 dst_sel:WORD_1 dst_unused:UNUSED_PAD src0_sel:DWORD src1_sel:DWORD
	v_mov_b32_e32 v26, 0x10000
	v_cmp_eq_u32_e32 vcc, 0, v4
	s_lshl_b64 s[6:7], s[6:7], 3
	v_cndmask_b32_e32 v4, v26, v5, vcc
	s_add_u32 s6, s56, s6
	v_add_u16_e32 v2, v3, v2
	s_addc_u32 s7, s57, s7
	v_mov_b32_e32 v5, 0
	v_or_b32_e32 v2, v4, v2
	v_mov_b32_e32 v3, 2
	global_store_dwordx2 v5, v[2:3], s[6:7]
.LBB842_178:
	s_or_b64 exec, exec, s[68:69]
	s_and_b64 exec, exec, s[46:47]
	s_cbranch_execz .LBB842_180
; %bb.179:
	v_mov_b32_e32 v2, 0
	ds_write_b16 v2, v51
	ds_write_b8 v2, v48 offset:2
.LBB842_180:
	s_or_b64 exec, exec, s[60:61]
	v_mov_b32_e32 v2, 0
	s_mov_b32 s6, 0x10000
	s_waitcnt lgkmcnt(0)
	s_barrier
	ds_read_b32 v3, v2
	v_cmp_gt_u32_e32 vcc, s6, v6
	v_and_b32_e32 v5, 0x10000, v6
	v_cndmask_b32_e32 v4, 0, v37, vcc
	v_and_b32_e32 v26, 1, v38
	v_cmp_ne_u32_e32 vcc, 0, v5
	v_cndmask_b32_e64 v5, v26, 1, vcc
	v_cndmask_b32_e64 v5, v5, v36, s[46:47]
	v_cndmask_b32_e64 v4, v4, 0, s[46:47]
	v_cmp_eq_u16_sdwa vcc, v5, v2 src0_sel:BYTE_0 src1_sel:DWORD
	v_add_u16_e32 v4, v4, v6
	s_waitcnt lgkmcnt(0)
	v_cndmask_b32_e32 v2, 0, v3, vcc
	v_add_u16_e32 v4, v4, v2
	v_cndmask_b32_e64 v2, 0, v4, s[2:3]
	v_add_u16_e32 v5, v2, v7
	v_cndmask_b32_e64 v2, 0, v5, s[4:5]
	;; [unrolled: 2-line block ×21, first 2 shown]
	v_add_u16_e32 v49, v2, v33
	s_branch .LBB842_223
.LBB842_181:
	s_or_b64 exec, exec, s[48:49]
                                        ; implicit-def: $vgpr17
	s_and_saveexec_b64 s[48:49], s[2:3]
	s_cbranch_execz .LBB842_47
.LBB842_182:
	v_mov_b32_e32 v17, s59
	v_add_co_u32_e32 v18, vcc, s7, v8
	v_addc_co_u32_e32 v19, vcc, 0, v17, vcc
	flat_load_ushort v17, v[18:19] offset:512
	s_or_b64 exec, exec, s[48:49]
                                        ; implicit-def: $vgpr18
	s_and_saveexec_b64 s[2:3], s[4:5]
	s_cbranch_execnz .LBB842_48
.LBB842_183:
	s_or_b64 exec, exec, s[2:3]
                                        ; implicit-def: $vgpr19
	s_and_saveexec_b64 s[2:3], s[46:47]
	s_cbranch_execz .LBB842_49
.LBB842_184:
	v_mov_b32_e32 v19, s59
	v_add_co_u32_e32 v20, vcc, s7, v8
	v_addc_co_u32_e32 v21, vcc, 0, v19, vcc
	flat_load_ushort v19, v[20:21] offset:1536
	s_or_b64 exec, exec, s[2:3]
                                        ; implicit-def: $vgpr20
	s_and_saveexec_b64 s[2:3], s[8:9]
	s_cbranch_execnz .LBB842_50
.LBB842_185:
	s_or_b64 exec, exec, s[2:3]
                                        ; implicit-def: $vgpr21
	s_and_saveexec_b64 s[2:3], s[10:11]
	s_cbranch_execz .LBB842_51
.LBB842_186:
	v_mov_b32_e32 v21, s59
	v_add_co_u32_e32 v22, vcc, s7, v8
	v_addc_co_u32_e32 v23, vcc, 0, v21, vcc
	flat_load_ushort v21, v[22:23] offset:2560
	s_or_b64 exec, exec, s[2:3]
                                        ; implicit-def: $vgpr22
	s_and_saveexec_b64 s[2:3], s[12:13]
	s_cbranch_execnz .LBB842_52
.LBB842_187:
	s_or_b64 exec, exec, s[2:3]
                                        ; implicit-def: $vgpr23
	s_and_saveexec_b64 s[2:3], s[14:15]
	s_cbranch_execz .LBB842_53
.LBB842_188:
	v_mov_b32_e32 v23, s59
	v_add_co_u32_e32 v24, vcc, s7, v8
	v_addc_co_u32_e32 v25, vcc, 0, v23, vcc
	flat_load_ushort v23, v[24:25] offset:3584
	s_or_b64 exec, exec, s[2:3]
                                        ; implicit-def: $vgpr24
	s_and_saveexec_b64 s[2:3], s[16:17]
	s_cbranch_execnz .LBB842_54
.LBB842_189:
	s_or_b64 exec, exec, s[2:3]
                                        ; implicit-def: $vgpr1
	s_and_saveexec_b64 s[2:3], s[18:19]
	s_cbranch_execz .LBB842_55
.LBB842_190:
	v_lshlrev_b32_e32 v1, 1, v2
	v_mov_b32_e32 v2, s59
	v_add_co_u32_e32 v40, vcc, s7, v1
	v_addc_co_u32_e32 v41, vcc, 0, v2, vcc
	flat_load_ushort v1, v[40:41]
	s_or_b64 exec, exec, s[2:3]
                                        ; implicit-def: $vgpr2
	s_and_saveexec_b64 s[2:3], s[20:21]
	s_cbranch_execnz .LBB842_56
.LBB842_191:
	s_or_b64 exec, exec, s[2:3]
                                        ; implicit-def: $vgpr3
	s_and_saveexec_b64 s[2:3], s[22:23]
	s_cbranch_execz .LBB842_57
.LBB842_192:
	v_lshlrev_b32_e32 v3, 1, v4
	v_mov_b32_e32 v4, s59
	v_add_co_u32_e32 v40, vcc, s7, v3
	v_addc_co_u32_e32 v41, vcc, 0, v4, vcc
	flat_load_ushort v3, v[40:41]
	s_or_b64 exec, exec, s[2:3]
                                        ; implicit-def: $vgpr4
	s_and_saveexec_b64 s[2:3], s[24:25]
	s_cbranch_execnz .LBB842_58
.LBB842_193:
	s_or_b64 exec, exec, s[2:3]
                                        ; implicit-def: $vgpr5
	s_and_saveexec_b64 s[2:3], s[26:27]
	s_cbranch_execz .LBB842_59
.LBB842_194:
	v_lshlrev_b32_e32 v5, 1, v6
	v_mov_b32_e32 v6, s59
	v_add_co_u32_e32 v40, vcc, s7, v5
	v_addc_co_u32_e32 v41, vcc, 0, v6, vcc
	flat_load_ushort v5, v[40:41]
	s_or_b64 exec, exec, s[2:3]
                                        ; implicit-def: $vgpr6
	s_and_saveexec_b64 s[2:3], s[28:29]
	s_cbranch_execnz .LBB842_60
.LBB842_195:
	s_or_b64 exec, exec, s[2:3]
                                        ; implicit-def: $vgpr7
	s_and_saveexec_b64 s[2:3], s[30:31]
	s_cbranch_execz .LBB842_61
.LBB842_196:
	v_lshlrev_b32_e32 v7, 1, v9
	v_mov_b32_e32 v9, s59
	v_add_co_u32_e32 v40, vcc, s7, v7
	v_addc_co_u32_e32 v41, vcc, 0, v9, vcc
	flat_load_ushort v7, v[40:41]
	s_or_b64 exec, exec, s[2:3]
                                        ; implicit-def: $vgpr9
	s_and_saveexec_b64 s[2:3], s[34:35]
	s_cbranch_execnz .LBB842_62
.LBB842_197:
	s_or_b64 exec, exec, s[2:3]
                                        ; implicit-def: $vgpr11
	s_and_saveexec_b64 s[2:3], s[36:37]
	s_cbranch_execz .LBB842_63
.LBB842_198:
	v_lshlrev_b32_e32 v11, 1, v12
	v_mov_b32_e32 v12, s59
	v_add_co_u32_e32 v40, vcc, s7, v11
	v_addc_co_u32_e32 v41, vcc, 0, v12, vcc
	flat_load_ushort v11, v[40:41]
	s_or_b64 exec, exec, s[2:3]
                                        ; implicit-def: $vgpr12
	s_and_saveexec_b64 s[2:3], s[38:39]
	s_cbranch_execnz .LBB842_64
.LBB842_199:
	s_or_b64 exec, exec, s[2:3]
                                        ; implicit-def: $vgpr13
	s_and_saveexec_b64 s[2:3], s[40:41]
	s_cbranch_execz .LBB842_65
.LBB842_200:
	v_lshlrev_b32_e32 v13, 1, v14
	v_mov_b32_e32 v14, s59
	v_add_co_u32_e32 v40, vcc, s7, v13
	v_addc_co_u32_e32 v41, vcc, 0, v14, vcc
	flat_load_ushort v13, v[40:41]
	s_or_b64 exec, exec, s[2:3]
                                        ; implicit-def: $vgpr14
	s_and_saveexec_b64 s[2:3], s[42:43]
	s_cbranch_execz .LBB842_67
	s_branch .LBB842_66
.LBB842_201:
                                        ; implicit-def: $vgpr4
                                        ; implicit-def: $vgpr5
                                        ; implicit-def: $vgpr26
                                        ; implicit-def: $vgpr27
                                        ; implicit-def: $vgpr28
                                        ; implicit-def: $vgpr29
                                        ; implicit-def: $vgpr30
                                        ; implicit-def: $vgpr31
                                        ; implicit-def: $vgpr36
                                        ; implicit-def: $vgpr37
                                        ; implicit-def: $vgpr38
                                        ; implicit-def: $vgpr39
                                        ; implicit-def: $vgpr40
                                        ; implicit-def: $vgpr41
                                        ; implicit-def: $vgpr42
                                        ; implicit-def: $vgpr43
                                        ; implicit-def: $vgpr44
                                        ; implicit-def: $vgpr45
                                        ; implicit-def: $vgpr46
                                        ; implicit-def: $vgpr47
                                        ; implicit-def: $vgpr48
                                        ; implicit-def: $vgpr49
	s_cbranch_execz .LBB842_223
; %bb.202:
	s_cmp_lg_u64 s[66:67], 0
	s_cselect_b32 s5, s63, 0
	s_cselect_b32 s4, s62, 0
	s_cmp_lg_u64 s[4:5], 0
	s_cselect_b64 s[6:7], -1, 0
	v_cmp_eq_u32_e32 vcc, 0, v0
	v_cmp_ne_u32_e64 s[2:3], 0, v0
	s_and_b64 s[8:9], vcc, s[6:7]
	v_mov_b32_e32 v4, v6
	s_and_saveexec_b64 s[6:7], s[8:9]
	s_cbranch_execz .LBB842_204
; %bb.203:
	v_mov_b32_e32 v2, 0
	global_load_ushort v3, v2, s[4:5]
	global_load_ubyte v4, v2, s[4:5] offset:2
	s_mov_b32 s4, 0x10000
	v_and_b32_e32 v2, 0x10000, v6
	v_mov_b32_e32 v5, 1
	v_cmp_gt_u32_e64 s[4:5], s4, v6
	v_mov_b32_e32 v26, 0x10000
	s_waitcnt vmcnt(1)
	v_cndmask_b32_e64 v3, 0, v3, s[4:5]
	s_waitcnt vmcnt(0)
	v_and_b32_sdwa v4, v4, v5 dst_sel:WORD_1 dst_unused:UNUSED_PAD src0_sel:DWORD src1_sel:DWORD
	v_cmp_eq_u32_e64 s[4:5], 0, v2
	v_add_u16_e32 v3, v3, v6
	v_cndmask_b32_e64 v2, v26, v4, s[4:5]
	v_or_b32_e32 v4, v2, v3
.LBB842_204:
	s_or_b64 exec, exec, s[6:7]
	s_mov_b32 s46, 0x10000
	v_cmp_gt_u32_e64 s[4:5], s46, v7
	v_cndmask_b32_e64 v3, 0, v4, s[4:5]
	v_add_u16_e32 v5, v3, v7
	v_cmp_gt_u32_e64 s[6:7], s46, v8
	v_cndmask_b32_e64 v3, 0, v5, s[6:7]
	v_add_u16_e32 v26, v3, v8
	;; [unrolled: 3-line block ×21, first 2 shown]
	v_or3_b32 v3, v35, v14, v25
	v_or3_b32 v3, v3, v24, v23
	;; [unrolled: 1-line block ×9, first 2 shown]
	v_and_b32_e32 v3, 0x10000, v3
	v_lshrrev_b32_e32 v2, 16, v4
	v_cmp_ne_u32_e64 s[48:49], 0, v3
	v_mov_b32_e32 v35, 0x10000
	v_cndmask_b32_e64 v3, v2, 1, s[48:49]
	v_add_lshl_u32 v2, v34, v0, 2
	v_cmp_gt_u32_e64 s[48:49], 64, v0
	ds_write_b16 v2, v49
	ds_write_b8 v2, v3 offset:2
	s_waitcnt lgkmcnt(0)
	s_barrier
	s_and_saveexec_b64 s[50:51], s[48:49]
	s_cbranch_execz .LBB842_218
; %bb.205:
	v_lshlrev_b32_e32 v2, 2, v0
	v_lshrrev_b32_e32 v6, 3, v0
	v_add_lshl_u32 v2, v6, v2, 2
	ds_read_b32 v6, v2
	ds_read_u16 v34, v2 offset:4
	ds_read_u8 v50, v2 offset:6
	ds_read_u16 v51, v2 offset:8
	ds_read_u8 v52, v2 offset:10
	;; [unrolled: 2-line block ×3, first 2 shown]
	v_mov_b32_e32 v55, 0
	s_waitcnt lgkmcnt(4)
	v_cmp_eq_u16_sdwa s[48:49], v50, v55 src0_sel:BYTE_0 src1_sel:DWORD
	v_cndmask_b32_e64 v56, 0, v6, s[48:49]
	v_add_u16_e32 v56, v56, v34
	s_waitcnt lgkmcnt(2)
	v_cmp_eq_u16_sdwa s[48:49], v52, v55 src0_sel:BYTE_0 src1_sel:DWORD
	s_waitcnt lgkmcnt(0)
	v_or_b32_e32 v52, v54, v52
	v_cndmask_b32_e64 v55, 0, v56, s[48:49]
	v_or_b32_e32 v50, v52, v50
	v_add_u16_e32 v51, v55, v51
	v_cmp_eq_u16_e64 s[48:49], 0, v54
	v_and_b32_e32 v50, 1, v50
	v_and_b32_e32 v34, 0x10000, v6
	v_cndmask_b32_e64 v55, 0, v51, s[48:49]
	v_cmp_eq_u32_e64 s[48:49], 1, v50
	v_mbcnt_lo_u32_b32 v50, -1, 0
	v_add_u16_e32 v51, v55, v53
	v_cndmask_b32_e64 v56, v34, v35, s[48:49]
	v_add_u16_e32 v53, v55, v53
	v_and_b32_e32 v35, 0xff000000, v6
	v_mbcnt_hi_u32_b32 v50, -1, v50
	v_or_b32_e32 v54, v56, v35
	v_and_b32_e32 v55, 15, v50
	v_or3_b32 v53, v35, v53, v56
	s_movk_i32 s59, 0xff
	v_lshrrev_b32_e32 v52, 16, v54
	v_mov_b32_dpp v56, v53 row_shr:1 row_mask:0xf bank_mask:0xf
	v_cmp_ne_u32_e64 s[48:49], 0, v55
	s_and_saveexec_b64 s[60:61], s[48:49]
	s_cbranch_execz .LBB842_207
; %bb.206:
	v_and_b32_sdwa v52, v54, s59 dst_sel:DWORD dst_unused:UNUSED_PAD src0_sel:WORD_1 src1_sel:DWORD
	v_cmp_eq_u16_e64 s[48:49], 0, v52
	v_and_b32_e32 v52, 0x10000, v54
	v_mov_b32_e32 v54, 1
	v_cndmask_b32_e64 v53, 0, v56, s[48:49]
	v_and_b32_sdwa v54, v56, v54 dst_sel:DWORD dst_unused:UNUSED_PAD src0_sel:WORD_1 src1_sel:DWORD
	v_cmp_ne_u32_e64 s[48:49], 0, v52
	v_cndmask_b32_e64 v52, v54, 1, s[48:49]
	v_add_u16_e32 v57, v53, v51
	v_lshlrev_b32_e32 v54, 16, v52
	v_add_u16_e32 v51, v53, v51
	v_or3_b32 v53, v54, v51, v35
	v_mov_b32_e32 v51, v57
.LBB842_207:
	s_or_b64 exec, exec, s[60:61]
	v_lshrrev_b32_e32 v54, 16, v53
	v_mov_b32_dpp v56, v53 row_shr:2 row_mask:0xf bank_mask:0xf
	v_cmp_lt_u32_e64 s[48:49], 1, v55
	s_and_saveexec_b64 s[60:61], s[48:49]
	s_cbranch_execz .LBB842_209
; %bb.208:
	v_mov_b32_e32 v52, 0
	v_cmp_eq_u16_sdwa s[48:49], v54, v52 src0_sel:BYTE_0 src1_sel:DWORD
	v_and_b32_e32 v52, 0x10000, v53
	v_mov_b32_e32 v53, 1
	v_cndmask_b32_e64 v54, 0, v56, s[48:49]
	v_and_b32_sdwa v53, v56, v53 dst_sel:DWORD dst_unused:UNUSED_PAD src0_sel:WORD_1 src1_sel:DWORD
	v_cmp_ne_u32_e64 s[48:49], 0, v52
	v_cndmask_b32_e64 v52, v53, 1, s[48:49]
	v_add_u16_e32 v57, v54, v51
	v_lshlrev_b32_e32 v53, 16, v52
	v_add_u16_e32 v51, v54, v51
	v_or3_b32 v53, v53, v51, v35
	v_mov_b32_e32 v54, v52
	v_mov_b32_e32 v51, v57
.LBB842_209:
	s_or_b64 exec, exec, s[60:61]
	v_mov_b32_dpp v56, v53 row_shr:4 row_mask:0xf bank_mask:0xf
	v_cmp_lt_u32_e64 s[48:49], 3, v55
	s_and_saveexec_b64 s[60:61], s[48:49]
	s_cbranch_execz .LBB842_211
; %bb.210:
	v_mov_b32_e32 v52, 0
	v_cmp_eq_u16_sdwa s[48:49], v54, v52 src0_sel:BYTE_0 src1_sel:DWORD
	v_and_b32_e32 v52, 1, v54
	v_mov_b32_e32 v54, 1
	v_cndmask_b32_e64 v53, 0, v56, s[48:49]
	v_and_b32_sdwa v54, v56, v54 dst_sel:DWORD dst_unused:UNUSED_PAD src0_sel:WORD_1 src1_sel:DWORD
	v_cmp_eq_u32_e64 s[48:49], 1, v52
	v_cndmask_b32_e64 v52, v54, 1, s[48:49]
	v_add_u16_e32 v57, v53, v51
	v_lshlrev_b32_e32 v54, 16, v52
	v_add_u16_e32 v51, v53, v51
	v_or3_b32 v53, v54, v51, v35
	v_mov_b32_e32 v54, v52
	v_mov_b32_e32 v51, v57
.LBB842_211:
	s_or_b64 exec, exec, s[60:61]
	v_mov_b32_dpp v56, v53 row_shr:8 row_mask:0xf bank_mask:0xf
	v_cmp_lt_u32_e64 s[48:49], 7, v55
	s_and_saveexec_b64 s[60:61], s[48:49]
	s_cbranch_execz .LBB842_213
; %bb.212:
	v_mov_b32_e32 v52, 0
	v_cmp_eq_u16_sdwa s[48:49], v54, v52 src0_sel:BYTE_0 src1_sel:DWORD
	v_and_b32_e32 v52, 1, v54
	v_mov_b32_e32 v54, 1
	v_cndmask_b32_e64 v53, 0, v56, s[48:49]
	v_and_b32_sdwa v54, v56, v54 dst_sel:DWORD dst_unused:UNUSED_PAD src0_sel:WORD_1 src1_sel:DWORD
	v_cmp_eq_u32_e64 s[48:49], 1, v52
	v_cndmask_b32_e64 v52, v54, 1, s[48:49]
	v_add_u16_e32 v55, v53, v51
	v_lshlrev_b32_e32 v54, 16, v52
	v_add_u16_e32 v51, v53, v51
	v_or3_b32 v53, v54, v51, v35
	v_mov_b32_e32 v54, v52
	v_mov_b32_e32 v51, v55
.LBB842_213:
	s_or_b64 exec, exec, s[60:61]
	v_and_b32_e32 v56, 16, v50
	v_mov_b32_dpp v55, v53 row_bcast:15 row_mask:0xf bank_mask:0xf
	v_cmp_ne_u32_e64 s[48:49], 0, v56
	s_and_saveexec_b64 s[60:61], s[48:49]
	s_cbranch_execz .LBB842_215
; %bb.214:
	v_mov_b32_e32 v52, 0
	v_cmp_eq_u16_sdwa s[48:49], v54, v52 src0_sel:BYTE_0 src1_sel:DWORD
	v_and_b32_e32 v52, 1, v54
	v_mov_b32_e32 v54, 1
	v_cndmask_b32_e64 v53, 0, v55, s[48:49]
	v_and_b32_sdwa v54, v55, v54 dst_sel:DWORD dst_unused:UNUSED_PAD src0_sel:WORD_1 src1_sel:DWORD
	v_cmp_eq_u32_e64 s[48:49], 1, v52
	v_cndmask_b32_e64 v52, v54, 1, s[48:49]
	v_add_u16_e32 v56, v53, v51
	v_lshlrev_b32_e32 v54, 16, v52
	v_add_u16_e32 v51, v53, v51
	v_or3_b32 v53, v54, v51, v35
	v_mov_b32_e32 v54, v52
	v_mov_b32_e32 v51, v56
.LBB842_215:
	s_or_b64 exec, exec, s[60:61]
	v_mov_b32_dpp v53, v53 row_bcast:31 row_mask:0xf bank_mask:0xf
	v_cmp_lt_u32_e64 s[48:49], 31, v50
	s_and_saveexec_b64 s[60:61], s[48:49]
; %bb.216:
	v_mov_b32_e32 v52, 0
	v_cmp_eq_u16_sdwa s[48:49], v54, v52 src0_sel:BYTE_0 src1_sel:DWORD
	v_cndmask_b32_e64 v52, 0, v53, s[48:49]
	v_add_u16_e32 v51, v52, v51
	v_and_b32_e32 v52, 1, v54
	v_mov_b32_e32 v54, 1
	v_and_b32_sdwa v53, v53, v54 dst_sel:DWORD dst_unused:UNUSED_PAD src0_sel:WORD_1 src1_sel:DWORD
	v_cmp_eq_u32_e64 s[48:49], 1, v52
	v_cndmask_b32_e64 v52, v53, 1, s[48:49]
; %bb.217:
	s_or_b64 exec, exec, s[60:61]
	v_and_b32_e32 v52, 0xff, v52
	v_lshlrev_b32_e32 v52, 16, v52
	v_and_b32_e32 v51, 0xffff, v51
	v_or3_b32 v35, v52, v51, v35
	v_add_u32_e32 v51, -1, v50
	v_and_b32_e32 v52, 64, v50
	v_cmp_lt_i32_e64 s[48:49], v51, v52
	v_cndmask_b32_e64 v50, v51, v50, s[48:49]
	v_lshlrev_b32_e32 v50, 2, v50
	ds_bpermute_b32 v35, v50, v35
	v_and_b32_e32 v50, 0xff0000, v6
	v_cmp_eq_u32_e64 s[48:49], 0, v50
	; wave barrier
	s_waitcnt lgkmcnt(0)
	v_cndmask_b32_e64 v50, 0, v35, s[48:49]
	v_add_u16_e32 v6, v50, v6
	v_mov_b32_e32 v50, 1
	v_and_b32_sdwa v35, v35, v50 dst_sel:DWORD dst_unused:UNUSED_PAD src0_sel:WORD_1 src1_sel:DWORD
	v_cmp_eq_u32_e64 s[48:49], 0, v34
	v_cndmask_b32_e64 v34, 1, v35, s[48:49]
	v_cndmask_b32_e32 v6, v6, v49, vcc
	v_cndmask_b32_e32 v3, v34, v3, vcc
	ds_write_b16 v2, v6
	ds_write_b8 v2, v3 offset:2
	; wave barrier
	ds_read_u16 v34, v2 offset:4
	ds_read_u8 v35, v2 offset:6
	ds_read_u16 v50, v2 offset:8
	ds_read_u8 v51, v2 offset:10
	;; [unrolled: 2-line block ×3, first 2 shown]
	s_waitcnt lgkmcnt(4)
	v_cmp_eq_u16_e64 s[48:49], 0, v35
	v_cndmask_b32_e64 v6, 0, v6, s[48:49]
	v_add_u16_e32 v6, v6, v34
	v_and_b32_e32 v34, 1, v35
	v_cmp_eq_u32_e64 s[48:49], 1, v34
	v_cndmask_b32_e64 v3, v3, 1, s[48:49]
	s_waitcnt lgkmcnt(2)
	v_cmp_eq_u16_e64 s[48:49], 0, v51
	v_and_b32_e32 v34, 1, v51
	ds_write_b16 v2, v6 offset:4
	ds_write_b8 v2, v3 offset:6
	v_cndmask_b32_e64 v6, 0, v6, s[48:49]
	v_cmp_eq_u32_e64 s[48:49], 1, v34
	v_add_u16_e32 v6, v6, v50
	v_cndmask_b32_e64 v3, v3, 1, s[48:49]
	s_waitcnt lgkmcnt(2)
	v_cmp_eq_u16_e64 s[48:49], 0, v53
	ds_write_b16 v2, v6 offset:8
	ds_write_b8 v2, v3 offset:10
	v_cndmask_b32_e64 v6, 0, v6, s[48:49]
	v_and_b32_e32 v34, 1, v53
	v_add_u16_e32 v6, v6, v52
	v_cmp_eq_u32_e64 s[48:49], 1, v34
	v_cndmask_b32_e64 v3, v3, 1, s[48:49]
	ds_write_b16 v2, v6 offset:12
	ds_write_b8 v2, v3 offset:14
.LBB842_218:
	s_or_b64 exec, exec, s[50:51]
	v_mov_b32_e32 v2, v49
	s_waitcnt lgkmcnt(0)
	s_barrier
	s_and_saveexec_b64 s[48:49], s[2:3]
	s_cbranch_execz .LBB842_267
; %bb.219:
	v_add_u32_e32 v2, -1, v0
	v_lshrrev_b32_e32 v3, 5, v2
	v_add_lshl_u32 v2, v3, v2, 2
	ds_read_u16 v2, v2
	s_or_b64 exec, exec, s[48:49]
	s_and_saveexec_b64 s[48:49], s[2:3]
	s_cbranch_execnz .LBB842_268
.LBB842_220:
	s_or_b64 exec, exec, s[48:49]
	s_and_saveexec_b64 s[2:3], vcc
	s_cbranch_execz .LBB842_222
.LBB842_221:
	v_mov_b32_e32 v1, 0
	s_waitcnt lgkmcnt(0)
	ds_read_u8 v2, v1 offset:1050
	ds_read_u16 v3, v1 offset:1048
	s_waitcnt lgkmcnt(1)
	v_lshlrev_b32_e32 v2, 16, v2
	s_waitcnt lgkmcnt(0)
	v_or_b32_e32 v2, v2, v3
	v_mov_b32_e32 v3, 2
	global_store_dwordx2 v1, v[2:3], s[56:57] offset:512
.LBB842_222:
	s_or_b64 exec, exec, s[2:3]
.LBB842_223:
	s_add_u32 s2, s54, s64
	s_addc_u32 s3, s55, s65
	s_add_u32 s4, s2, s52
	s_addc_u32 s5, s3, s53
	s_and_b64 vcc, exec, s[0:1]
	v_mul_u32_u24_e32 v7, 22, v0
	s_cbranch_vccz .LBB842_269
; %bb.224:
	s_mov_b32 s0, 0x5040100
	v_lshlrev_b32_e32 v33, 1, v7
	v_perm_b32 v1, v27, v26, s0
	s_waitcnt lgkmcnt(0)
	v_perm_b32 v2, v5, v4, s0
	s_barrier
	ds_write2_b32 v33, v2, v1 offset1:1
	v_perm_b32 v1, v31, v30, s0
	v_perm_b32 v2, v29, v28, s0
	ds_write2_b32 v33, v2, v1 offset0:2 offset1:3
	v_perm_b32 v1, v39, v38, s0
	v_perm_b32 v2, v37, v36, s0
	ds_write2_b32 v33, v2, v1 offset0:4 offset1:5
	;; [unrolled: 3-line block ×4, first 2 shown]
	v_perm_b32 v1, v49, v48, s0
	s_movk_i32 s0, 0xffd6
	v_mad_i32_i24 v2, v0, s0, v33
	ds_write_b32 v33, v1 offset:40
	s_waitcnt lgkmcnt(0)
	s_barrier
	ds_read_u16 v35, v2 offset:512
	ds_read_u16 v34, v2 offset:1024
	;; [unrolled: 1-line block ×21, first 2 shown]
	v_mov_b32_e32 v3, s5
	v_add_co_u32_e32 v2, vcc, s4, v32
	s_add_i32 s33, s33, s58
	v_addc_co_u32_e32 v3, vcc, 0, v3, vcc
	v_mov_b32_e32 v1, 0
	v_cmp_gt_u32_e32 vcc, s33, v0
	s_and_saveexec_b64 s[0:1], vcc
	s_cbranch_execz .LBB842_226
; %bb.225:
	v_mul_i32_i24_e32 v50, 0xffffffd6, v0
	v_add_u32_e32 v33, v33, v50
	ds_read_u16 v33, v33
	s_waitcnt lgkmcnt(0)
	flat_store_short v[2:3], v33
.LBB842_226:
	s_or_b64 exec, exec, s[0:1]
	v_or_b32_e32 v33, 0x100, v0
	v_cmp_gt_u32_e32 vcc, s33, v33
	s_and_saveexec_b64 s[0:1], vcc
	s_cbranch_execz .LBB842_228
; %bb.227:
	s_waitcnt lgkmcnt(0)
	flat_store_short v[2:3], v35 offset:512
.LBB842_228:
	s_or_b64 exec, exec, s[0:1]
	v_or_b32_e32 v33, 0x200, v0
	v_cmp_gt_u32_e32 vcc, s33, v33
	s_and_saveexec_b64 s[0:1], vcc
	s_cbranch_execz .LBB842_230
; %bb.229:
	s_waitcnt lgkmcnt(0)
	flat_store_short v[2:3], v34 offset:1024
.LBB842_230:
	;; [unrolled: 9-line block ×3, first 2 shown]
	s_or_b64 exec, exec, s[0:1]
	s_waitcnt lgkmcnt(0)
	v_or_b32_e32 v25, 0x400, v0
	v_cmp_gt_u32_e32 vcc, s33, v25
	s_and_saveexec_b64 s[0:1], vcc
	s_cbranch_execz .LBB842_234
; %bb.233:
	flat_store_short v[2:3], v24 offset:2048
.LBB842_234:
	s_or_b64 exec, exec, s[0:1]
	v_or_b32_e32 v24, 0x500, v0
	v_cmp_gt_u32_e32 vcc, s33, v24
	s_and_saveexec_b64 s[0:1], vcc
	s_cbranch_execz .LBB842_236
; %bb.235:
	flat_store_short v[2:3], v23 offset:2560
.LBB842_236:
	s_or_b64 exec, exec, s[0:1]
	;; [unrolled: 8-line block ×4, first 2 shown]
	v_or_b32_e32 v21, 0x800, v0
	v_cmp_gt_u32_e32 vcc, s33, v21
	s_and_saveexec_b64 s[0:1], vcc
	s_cbranch_execz .LBB842_242
; %bb.241:
	v_add_co_u32_e32 v22, vcc, 0x1000, v2
	v_addc_co_u32_e32 v23, vcc, 0, v3, vcc
	flat_store_short v[22:23], v20
.LBB842_242:
	s_or_b64 exec, exec, s[0:1]
	v_or_b32_e32 v20, 0x900, v0
	v_cmp_gt_u32_e32 vcc, s33, v20
	s_and_saveexec_b64 s[0:1], vcc
	s_cbranch_execz .LBB842_244
; %bb.243:
	v_add_co_u32_e32 v20, vcc, 0x1000, v2
	v_addc_co_u32_e32 v21, vcc, 0, v3, vcc
	flat_store_short v[20:21], v19 offset:512
.LBB842_244:
	s_or_b64 exec, exec, s[0:1]
	v_or_b32_e32 v19, 0xa00, v0
	v_cmp_gt_u32_e32 vcc, s33, v19
	s_and_saveexec_b64 s[0:1], vcc
	s_cbranch_execz .LBB842_246
; %bb.245:
	v_add_co_u32_e32 v20, vcc, 0x1000, v2
	v_addc_co_u32_e32 v21, vcc, 0, v3, vcc
	flat_store_short v[20:21], v18 offset:1024
.LBB842_246:
	;; [unrolled: 10-line block ×7, first 2 shown]
	s_or_b64 exec, exec, s[0:1]
	v_or_b32_e32 v13, 0x1000, v0
	v_cmp_gt_u32_e32 vcc, s33, v13
	s_and_saveexec_b64 s[0:1], vcc
	s_cbranch_execz .LBB842_258
; %bb.257:
	v_add_co_u32_e32 v14, vcc, 0x2000, v2
	v_addc_co_u32_e32 v15, vcc, 0, v3, vcc
	flat_store_short v[14:15], v12
.LBB842_258:
	s_or_b64 exec, exec, s[0:1]
	v_or_b32_e32 v12, 0x1100, v0
	v_cmp_gt_u32_e32 vcc, s33, v12
	s_and_saveexec_b64 s[0:1], vcc
	s_cbranch_execz .LBB842_260
; %bb.259:
	v_add_co_u32_e32 v12, vcc, 0x2000, v2
	v_addc_co_u32_e32 v13, vcc, 0, v3, vcc
	flat_store_short v[12:13], v11 offset:512
.LBB842_260:
	s_or_b64 exec, exec, s[0:1]
	v_or_b32_e32 v11, 0x1200, v0
	v_cmp_gt_u32_e32 vcc, s33, v11
	s_and_saveexec_b64 s[0:1], vcc
	s_cbranch_execz .LBB842_262
; %bb.261:
	v_add_co_u32_e32 v12, vcc, 0x2000, v2
	v_addc_co_u32_e32 v13, vcc, 0, v3, vcc
	flat_store_short v[12:13], v10 offset:1024
.LBB842_262:
	;; [unrolled: 10-line block ×4, first 2 shown]
	s_or_b64 exec, exec, s[0:1]
	v_or_b32_e32 v2, 0x1500, v0
	v_cmp_gt_u32_e64 s[0:1], s33, v2
	s_branch .LBB842_271
.LBB842_267:
	s_or_b64 exec, exec, s[48:49]
	s_and_saveexec_b64 s[48:49], s[2:3]
	s_cbranch_execz .LBB842_220
.LBB842_268:
	s_mov_b32 s2, 0x10000
	s_waitcnt lgkmcnt(0)
	v_and_b32_e32 v2, 0xffff, v2
	v_cmp_gt_u32_e64 s[2:3], s2, v4
	v_cndmask_b32_e64 v2, 0, v2, s[2:3]
	v_add_u32_e32 v4, v2, v4
	v_cndmask_b32_e64 v2, 0, v4, s[4:5]
	v_add_u16_e32 v5, v2, v7
	v_cndmask_b32_e64 v2, 0, v5, s[6:7]
	v_add_u16_e32 v26, v2, v8
	;; [unrolled: 2-line block ×21, first 2 shown]
	;;#ASMSTART
	;;#ASMEND
	s_or_b64 exec, exec, s[48:49]
	s_and_saveexec_b64 s[2:3], vcc
	s_cbranch_execnz .LBB842_221
	s_branch .LBB842_222
.LBB842_269:
	s_mov_b64 s[0:1], 0
                                        ; implicit-def: $vgpr6
	s_cbranch_execz .LBB842_271
; %bb.270:
	s_mov_b32 s2, 0x5040100
	s_waitcnt lgkmcnt(0)
	v_lshlrev_b32_e32 v2, 1, v7
	v_perm_b32 v1, v27, v26, s2
	v_perm_b32 v3, v5, v4, s2
	s_barrier
	ds_write2_b32 v2, v3, v1 offset1:1
	v_perm_b32 v1, v31, v30, s2
	v_perm_b32 v3, v29, v28, s2
	ds_write2_b32 v2, v3, v1 offset0:2 offset1:3
	v_perm_b32 v1, v39, v38, s2
	v_perm_b32 v3, v37, v36, s2
	ds_write2_b32 v2, v3, v1 offset0:4 offset1:5
	;; [unrolled: 3-line block ×4, first 2 shown]
	v_perm_b32 v1, v49, v48, s2
	s_movk_i32 s2, 0xffd6
	ds_write_b32 v2, v1 offset:40
	v_mad_i32_i24 v2, v0, s2, v2
	s_waitcnt lgkmcnt(0)
	s_barrier
	ds_read_u16 v4, v2
	ds_read_u16 v5, v2 offset:512
	ds_read_u16 v7, v2 offset:1024
	;; [unrolled: 1-line block ×21, first 2 shown]
	v_mov_b32_e32 v3, s5
	v_add_co_u32_e32 v2, vcc, s4, v32
	v_addc_co_u32_e32 v3, vcc, 0, v3, vcc
	s_movk_i32 s2, 0x1000
	s_waitcnt lgkmcnt(0)
	flat_store_short v[2:3], v4
	flat_store_short v[2:3], v5 offset:512
	flat_store_short v[2:3], v7 offset:1024
	;; [unrolled: 1-line block ×7, first 2 shown]
	v_add_co_u32_e32 v4, vcc, s2, v2
	v_addc_co_u32_e32 v5, vcc, 0, v3, vcc
	v_add_co_u32_e32 v2, vcc, 0x2000, v2
	v_mov_b32_e32 v1, 0
	v_addc_co_u32_e32 v3, vcc, 0, v3, vcc
	s_or_b64 s[0:1], s[0:1], exec
	flat_store_short v[4:5], v13
	flat_store_short v[4:5], v14 offset:512
	flat_store_short v[4:5], v15 offset:1024
	;; [unrolled: 1-line block ×7, first 2 shown]
	flat_store_short v[2:3], v21
	flat_store_short v[2:3], v22 offset:512
	flat_store_short v[2:3], v23 offset:1024
	;; [unrolled: 1-line block ×4, first 2 shown]
.LBB842_271:
	s_and_saveexec_b64 s[2:3], s[0:1]
	s_cbranch_execz .LBB842_273
; %bb.272:
	v_lshlrev_b64 v[0:1], 1, v[0:1]
	s_waitcnt lgkmcnt(0)
	v_mov_b32_e32 v2, s5
	v_add_co_u32_e32 v0, vcc, s4, v0
	v_addc_co_u32_e32 v1, vcc, v2, v1, vcc
	v_add_co_u32_e32 v0, vcc, 0x2000, v0
	v_addc_co_u32_e32 v1, vcc, 0, v1, vcc
	flat_store_short v[0:1], v6 offset:2560
	s_endpgm
.LBB842_273:
	s_endpgm
	.section	.rodata,"a",@progbits
	.p2align	6, 0x0
	.amdhsa_kernel _ZN7rocprim17ROCPRIM_400000_NS6detail17trampoline_kernelINS0_14default_configENS1_27scan_by_key_config_selectorIssEEZZNS1_16scan_by_key_implILNS1_25lookback_scan_determinismE0ELb0ES3_N6thrust23THRUST_200600_302600_NS6detail15normal_iteratorINS9_10device_ptrIsEEEESE_SE_sNS9_4plusIsEE19head_flag_predicatesEE10hipError_tPvRmT2_T3_T4_T5_mT6_T7_P12ihipStream_tbENKUlT_T0_E_clISt17integral_constantIbLb1EESX_IbLb0EEEEDaST_SU_EUlST_E_NS1_11comp_targetILNS1_3genE4ELNS1_11target_archE910ELNS1_3gpuE8ELNS1_3repE0EEENS1_30default_config_static_selectorELNS0_4arch9wavefront6targetE1EEEvT1_
		.amdhsa_group_segment_fixed_size 12288
		.amdhsa_private_segment_fixed_size 0
		.amdhsa_kernarg_size 112
		.amdhsa_user_sgpr_count 6
		.amdhsa_user_sgpr_private_segment_buffer 1
		.amdhsa_user_sgpr_dispatch_ptr 0
		.amdhsa_user_sgpr_queue_ptr 0
		.amdhsa_user_sgpr_kernarg_segment_ptr 1
		.amdhsa_user_sgpr_dispatch_id 0
		.amdhsa_user_sgpr_flat_scratch_init 0
		.amdhsa_user_sgpr_kernarg_preload_length 0
		.amdhsa_user_sgpr_kernarg_preload_offset 0
		.amdhsa_user_sgpr_private_segment_size 0
		.amdhsa_uses_dynamic_stack 0
		.amdhsa_system_sgpr_private_segment_wavefront_offset 0
		.amdhsa_system_sgpr_workgroup_id_x 1
		.amdhsa_system_sgpr_workgroup_id_y 0
		.amdhsa_system_sgpr_workgroup_id_z 0
		.amdhsa_system_sgpr_workgroup_info 0
		.amdhsa_system_vgpr_workitem_id 0
		.amdhsa_next_free_vgpr 58
		.amdhsa_next_free_sgpr 74
		.amdhsa_accum_offset 60
		.amdhsa_reserve_vcc 1
		.amdhsa_reserve_flat_scratch 0
		.amdhsa_float_round_mode_32 0
		.amdhsa_float_round_mode_16_64 0
		.amdhsa_float_denorm_mode_32 3
		.amdhsa_float_denorm_mode_16_64 3
		.amdhsa_dx10_clamp 1
		.amdhsa_ieee_mode 1
		.amdhsa_fp16_overflow 0
		.amdhsa_tg_split 0
		.amdhsa_exception_fp_ieee_invalid_op 0
		.amdhsa_exception_fp_denorm_src 0
		.amdhsa_exception_fp_ieee_div_zero 0
		.amdhsa_exception_fp_ieee_overflow 0
		.amdhsa_exception_fp_ieee_underflow 0
		.amdhsa_exception_fp_ieee_inexact 0
		.amdhsa_exception_int_div_zero 0
	.end_amdhsa_kernel
	.section	.text._ZN7rocprim17ROCPRIM_400000_NS6detail17trampoline_kernelINS0_14default_configENS1_27scan_by_key_config_selectorIssEEZZNS1_16scan_by_key_implILNS1_25lookback_scan_determinismE0ELb0ES3_N6thrust23THRUST_200600_302600_NS6detail15normal_iteratorINS9_10device_ptrIsEEEESE_SE_sNS9_4plusIsEE19head_flag_predicatesEE10hipError_tPvRmT2_T3_T4_T5_mT6_T7_P12ihipStream_tbENKUlT_T0_E_clISt17integral_constantIbLb1EESX_IbLb0EEEEDaST_SU_EUlST_E_NS1_11comp_targetILNS1_3genE4ELNS1_11target_archE910ELNS1_3gpuE8ELNS1_3repE0EEENS1_30default_config_static_selectorELNS0_4arch9wavefront6targetE1EEEvT1_,"axG",@progbits,_ZN7rocprim17ROCPRIM_400000_NS6detail17trampoline_kernelINS0_14default_configENS1_27scan_by_key_config_selectorIssEEZZNS1_16scan_by_key_implILNS1_25lookback_scan_determinismE0ELb0ES3_N6thrust23THRUST_200600_302600_NS6detail15normal_iteratorINS9_10device_ptrIsEEEESE_SE_sNS9_4plusIsEE19head_flag_predicatesEE10hipError_tPvRmT2_T3_T4_T5_mT6_T7_P12ihipStream_tbENKUlT_T0_E_clISt17integral_constantIbLb1EESX_IbLb0EEEEDaST_SU_EUlST_E_NS1_11comp_targetILNS1_3genE4ELNS1_11target_archE910ELNS1_3gpuE8ELNS1_3repE0EEENS1_30default_config_static_selectorELNS0_4arch9wavefront6targetE1EEEvT1_,comdat
.Lfunc_end842:
	.size	_ZN7rocprim17ROCPRIM_400000_NS6detail17trampoline_kernelINS0_14default_configENS1_27scan_by_key_config_selectorIssEEZZNS1_16scan_by_key_implILNS1_25lookback_scan_determinismE0ELb0ES3_N6thrust23THRUST_200600_302600_NS6detail15normal_iteratorINS9_10device_ptrIsEEEESE_SE_sNS9_4plusIsEE19head_flag_predicatesEE10hipError_tPvRmT2_T3_T4_T5_mT6_T7_P12ihipStream_tbENKUlT_T0_E_clISt17integral_constantIbLb1EESX_IbLb0EEEEDaST_SU_EUlST_E_NS1_11comp_targetILNS1_3genE4ELNS1_11target_archE910ELNS1_3gpuE8ELNS1_3repE0EEENS1_30default_config_static_selectorELNS0_4arch9wavefront6targetE1EEEvT1_, .Lfunc_end842-_ZN7rocprim17ROCPRIM_400000_NS6detail17trampoline_kernelINS0_14default_configENS1_27scan_by_key_config_selectorIssEEZZNS1_16scan_by_key_implILNS1_25lookback_scan_determinismE0ELb0ES3_N6thrust23THRUST_200600_302600_NS6detail15normal_iteratorINS9_10device_ptrIsEEEESE_SE_sNS9_4plusIsEE19head_flag_predicatesEE10hipError_tPvRmT2_T3_T4_T5_mT6_T7_P12ihipStream_tbENKUlT_T0_E_clISt17integral_constantIbLb1EESX_IbLb0EEEEDaST_SU_EUlST_E_NS1_11comp_targetILNS1_3genE4ELNS1_11target_archE910ELNS1_3gpuE8ELNS1_3repE0EEENS1_30default_config_static_selectorELNS0_4arch9wavefront6targetE1EEEvT1_
                                        ; -- End function
	.section	.AMDGPU.csdata,"",@progbits
; Kernel info:
; codeLenInByte = 15492
; NumSgprs: 78
; NumVgprs: 58
; NumAgprs: 0
; TotalNumVgprs: 58
; ScratchSize: 0
; MemoryBound: 0
; FloatMode: 240
; IeeeMode: 1
; LDSByteSize: 12288 bytes/workgroup (compile time only)
; SGPRBlocks: 9
; VGPRBlocks: 7
; NumSGPRsForWavesPerEU: 78
; NumVGPRsForWavesPerEU: 58
; AccumOffset: 60
; Occupancy: 5
; WaveLimiterHint : 1
; COMPUTE_PGM_RSRC2:SCRATCH_EN: 0
; COMPUTE_PGM_RSRC2:USER_SGPR: 6
; COMPUTE_PGM_RSRC2:TRAP_HANDLER: 0
; COMPUTE_PGM_RSRC2:TGID_X_EN: 1
; COMPUTE_PGM_RSRC2:TGID_Y_EN: 0
; COMPUTE_PGM_RSRC2:TGID_Z_EN: 0
; COMPUTE_PGM_RSRC2:TIDIG_COMP_CNT: 0
; COMPUTE_PGM_RSRC3_GFX90A:ACCUM_OFFSET: 14
; COMPUTE_PGM_RSRC3_GFX90A:TG_SPLIT: 0
	.section	.text._ZN7rocprim17ROCPRIM_400000_NS6detail17trampoline_kernelINS0_14default_configENS1_27scan_by_key_config_selectorIssEEZZNS1_16scan_by_key_implILNS1_25lookback_scan_determinismE0ELb0ES3_N6thrust23THRUST_200600_302600_NS6detail15normal_iteratorINS9_10device_ptrIsEEEESE_SE_sNS9_4plusIsEE19head_flag_predicatesEE10hipError_tPvRmT2_T3_T4_T5_mT6_T7_P12ihipStream_tbENKUlT_T0_E_clISt17integral_constantIbLb1EESX_IbLb0EEEEDaST_SU_EUlST_E_NS1_11comp_targetILNS1_3genE3ELNS1_11target_archE908ELNS1_3gpuE7ELNS1_3repE0EEENS1_30default_config_static_selectorELNS0_4arch9wavefront6targetE1EEEvT1_,"axG",@progbits,_ZN7rocprim17ROCPRIM_400000_NS6detail17trampoline_kernelINS0_14default_configENS1_27scan_by_key_config_selectorIssEEZZNS1_16scan_by_key_implILNS1_25lookback_scan_determinismE0ELb0ES3_N6thrust23THRUST_200600_302600_NS6detail15normal_iteratorINS9_10device_ptrIsEEEESE_SE_sNS9_4plusIsEE19head_flag_predicatesEE10hipError_tPvRmT2_T3_T4_T5_mT6_T7_P12ihipStream_tbENKUlT_T0_E_clISt17integral_constantIbLb1EESX_IbLb0EEEEDaST_SU_EUlST_E_NS1_11comp_targetILNS1_3genE3ELNS1_11target_archE908ELNS1_3gpuE7ELNS1_3repE0EEENS1_30default_config_static_selectorELNS0_4arch9wavefront6targetE1EEEvT1_,comdat
	.protected	_ZN7rocprim17ROCPRIM_400000_NS6detail17trampoline_kernelINS0_14default_configENS1_27scan_by_key_config_selectorIssEEZZNS1_16scan_by_key_implILNS1_25lookback_scan_determinismE0ELb0ES3_N6thrust23THRUST_200600_302600_NS6detail15normal_iteratorINS9_10device_ptrIsEEEESE_SE_sNS9_4plusIsEE19head_flag_predicatesEE10hipError_tPvRmT2_T3_T4_T5_mT6_T7_P12ihipStream_tbENKUlT_T0_E_clISt17integral_constantIbLb1EESX_IbLb0EEEEDaST_SU_EUlST_E_NS1_11comp_targetILNS1_3genE3ELNS1_11target_archE908ELNS1_3gpuE7ELNS1_3repE0EEENS1_30default_config_static_selectorELNS0_4arch9wavefront6targetE1EEEvT1_ ; -- Begin function _ZN7rocprim17ROCPRIM_400000_NS6detail17trampoline_kernelINS0_14default_configENS1_27scan_by_key_config_selectorIssEEZZNS1_16scan_by_key_implILNS1_25lookback_scan_determinismE0ELb0ES3_N6thrust23THRUST_200600_302600_NS6detail15normal_iteratorINS9_10device_ptrIsEEEESE_SE_sNS9_4plusIsEE19head_flag_predicatesEE10hipError_tPvRmT2_T3_T4_T5_mT6_T7_P12ihipStream_tbENKUlT_T0_E_clISt17integral_constantIbLb1EESX_IbLb0EEEEDaST_SU_EUlST_E_NS1_11comp_targetILNS1_3genE3ELNS1_11target_archE908ELNS1_3gpuE7ELNS1_3repE0EEENS1_30default_config_static_selectorELNS0_4arch9wavefront6targetE1EEEvT1_
	.globl	_ZN7rocprim17ROCPRIM_400000_NS6detail17trampoline_kernelINS0_14default_configENS1_27scan_by_key_config_selectorIssEEZZNS1_16scan_by_key_implILNS1_25lookback_scan_determinismE0ELb0ES3_N6thrust23THRUST_200600_302600_NS6detail15normal_iteratorINS9_10device_ptrIsEEEESE_SE_sNS9_4plusIsEE19head_flag_predicatesEE10hipError_tPvRmT2_T3_T4_T5_mT6_T7_P12ihipStream_tbENKUlT_T0_E_clISt17integral_constantIbLb1EESX_IbLb0EEEEDaST_SU_EUlST_E_NS1_11comp_targetILNS1_3genE3ELNS1_11target_archE908ELNS1_3gpuE7ELNS1_3repE0EEENS1_30default_config_static_selectorELNS0_4arch9wavefront6targetE1EEEvT1_
	.p2align	8
	.type	_ZN7rocprim17ROCPRIM_400000_NS6detail17trampoline_kernelINS0_14default_configENS1_27scan_by_key_config_selectorIssEEZZNS1_16scan_by_key_implILNS1_25lookback_scan_determinismE0ELb0ES3_N6thrust23THRUST_200600_302600_NS6detail15normal_iteratorINS9_10device_ptrIsEEEESE_SE_sNS9_4plusIsEE19head_flag_predicatesEE10hipError_tPvRmT2_T3_T4_T5_mT6_T7_P12ihipStream_tbENKUlT_T0_E_clISt17integral_constantIbLb1EESX_IbLb0EEEEDaST_SU_EUlST_E_NS1_11comp_targetILNS1_3genE3ELNS1_11target_archE908ELNS1_3gpuE7ELNS1_3repE0EEENS1_30default_config_static_selectorELNS0_4arch9wavefront6targetE1EEEvT1_,@function
_ZN7rocprim17ROCPRIM_400000_NS6detail17trampoline_kernelINS0_14default_configENS1_27scan_by_key_config_selectorIssEEZZNS1_16scan_by_key_implILNS1_25lookback_scan_determinismE0ELb0ES3_N6thrust23THRUST_200600_302600_NS6detail15normal_iteratorINS9_10device_ptrIsEEEESE_SE_sNS9_4plusIsEE19head_flag_predicatesEE10hipError_tPvRmT2_T3_T4_T5_mT6_T7_P12ihipStream_tbENKUlT_T0_E_clISt17integral_constantIbLb1EESX_IbLb0EEEEDaST_SU_EUlST_E_NS1_11comp_targetILNS1_3genE3ELNS1_11target_archE908ELNS1_3gpuE7ELNS1_3repE0EEENS1_30default_config_static_selectorELNS0_4arch9wavefront6targetE1EEEvT1_: ; @_ZN7rocprim17ROCPRIM_400000_NS6detail17trampoline_kernelINS0_14default_configENS1_27scan_by_key_config_selectorIssEEZZNS1_16scan_by_key_implILNS1_25lookback_scan_determinismE0ELb0ES3_N6thrust23THRUST_200600_302600_NS6detail15normal_iteratorINS9_10device_ptrIsEEEESE_SE_sNS9_4plusIsEE19head_flag_predicatesEE10hipError_tPvRmT2_T3_T4_T5_mT6_T7_P12ihipStream_tbENKUlT_T0_E_clISt17integral_constantIbLb1EESX_IbLb0EEEEDaST_SU_EUlST_E_NS1_11comp_targetILNS1_3genE3ELNS1_11target_archE908ELNS1_3gpuE7ELNS1_3repE0EEENS1_30default_config_static_selectorELNS0_4arch9wavefront6targetE1EEEvT1_
; %bb.0:
	.section	.rodata,"a",@progbits
	.p2align	6, 0x0
	.amdhsa_kernel _ZN7rocprim17ROCPRIM_400000_NS6detail17trampoline_kernelINS0_14default_configENS1_27scan_by_key_config_selectorIssEEZZNS1_16scan_by_key_implILNS1_25lookback_scan_determinismE0ELb0ES3_N6thrust23THRUST_200600_302600_NS6detail15normal_iteratorINS9_10device_ptrIsEEEESE_SE_sNS9_4plusIsEE19head_flag_predicatesEE10hipError_tPvRmT2_T3_T4_T5_mT6_T7_P12ihipStream_tbENKUlT_T0_E_clISt17integral_constantIbLb1EESX_IbLb0EEEEDaST_SU_EUlST_E_NS1_11comp_targetILNS1_3genE3ELNS1_11target_archE908ELNS1_3gpuE7ELNS1_3repE0EEENS1_30default_config_static_selectorELNS0_4arch9wavefront6targetE1EEEvT1_
		.amdhsa_group_segment_fixed_size 0
		.amdhsa_private_segment_fixed_size 0
		.amdhsa_kernarg_size 112
		.amdhsa_user_sgpr_count 6
		.amdhsa_user_sgpr_private_segment_buffer 1
		.amdhsa_user_sgpr_dispatch_ptr 0
		.amdhsa_user_sgpr_queue_ptr 0
		.amdhsa_user_sgpr_kernarg_segment_ptr 1
		.amdhsa_user_sgpr_dispatch_id 0
		.amdhsa_user_sgpr_flat_scratch_init 0
		.amdhsa_user_sgpr_kernarg_preload_length 0
		.amdhsa_user_sgpr_kernarg_preload_offset 0
		.amdhsa_user_sgpr_private_segment_size 0
		.amdhsa_uses_dynamic_stack 0
		.amdhsa_system_sgpr_private_segment_wavefront_offset 0
		.amdhsa_system_sgpr_workgroup_id_x 1
		.amdhsa_system_sgpr_workgroup_id_y 0
		.amdhsa_system_sgpr_workgroup_id_z 0
		.amdhsa_system_sgpr_workgroup_info 0
		.amdhsa_system_vgpr_workitem_id 0
		.amdhsa_next_free_vgpr 1
		.amdhsa_next_free_sgpr 0
		.amdhsa_accum_offset 4
		.amdhsa_reserve_vcc 0
		.amdhsa_reserve_flat_scratch 0
		.amdhsa_float_round_mode_32 0
		.amdhsa_float_round_mode_16_64 0
		.amdhsa_float_denorm_mode_32 3
		.amdhsa_float_denorm_mode_16_64 3
		.amdhsa_dx10_clamp 1
		.amdhsa_ieee_mode 1
		.amdhsa_fp16_overflow 0
		.amdhsa_tg_split 0
		.amdhsa_exception_fp_ieee_invalid_op 0
		.amdhsa_exception_fp_denorm_src 0
		.amdhsa_exception_fp_ieee_div_zero 0
		.amdhsa_exception_fp_ieee_overflow 0
		.amdhsa_exception_fp_ieee_underflow 0
		.amdhsa_exception_fp_ieee_inexact 0
		.amdhsa_exception_int_div_zero 0
	.end_amdhsa_kernel
	.section	.text._ZN7rocprim17ROCPRIM_400000_NS6detail17trampoline_kernelINS0_14default_configENS1_27scan_by_key_config_selectorIssEEZZNS1_16scan_by_key_implILNS1_25lookback_scan_determinismE0ELb0ES3_N6thrust23THRUST_200600_302600_NS6detail15normal_iteratorINS9_10device_ptrIsEEEESE_SE_sNS9_4plusIsEE19head_flag_predicatesEE10hipError_tPvRmT2_T3_T4_T5_mT6_T7_P12ihipStream_tbENKUlT_T0_E_clISt17integral_constantIbLb1EESX_IbLb0EEEEDaST_SU_EUlST_E_NS1_11comp_targetILNS1_3genE3ELNS1_11target_archE908ELNS1_3gpuE7ELNS1_3repE0EEENS1_30default_config_static_selectorELNS0_4arch9wavefront6targetE1EEEvT1_,"axG",@progbits,_ZN7rocprim17ROCPRIM_400000_NS6detail17trampoline_kernelINS0_14default_configENS1_27scan_by_key_config_selectorIssEEZZNS1_16scan_by_key_implILNS1_25lookback_scan_determinismE0ELb0ES3_N6thrust23THRUST_200600_302600_NS6detail15normal_iteratorINS9_10device_ptrIsEEEESE_SE_sNS9_4plusIsEE19head_flag_predicatesEE10hipError_tPvRmT2_T3_T4_T5_mT6_T7_P12ihipStream_tbENKUlT_T0_E_clISt17integral_constantIbLb1EESX_IbLb0EEEEDaST_SU_EUlST_E_NS1_11comp_targetILNS1_3genE3ELNS1_11target_archE908ELNS1_3gpuE7ELNS1_3repE0EEENS1_30default_config_static_selectorELNS0_4arch9wavefront6targetE1EEEvT1_,comdat
.Lfunc_end843:
	.size	_ZN7rocprim17ROCPRIM_400000_NS6detail17trampoline_kernelINS0_14default_configENS1_27scan_by_key_config_selectorIssEEZZNS1_16scan_by_key_implILNS1_25lookback_scan_determinismE0ELb0ES3_N6thrust23THRUST_200600_302600_NS6detail15normal_iteratorINS9_10device_ptrIsEEEESE_SE_sNS9_4plusIsEE19head_flag_predicatesEE10hipError_tPvRmT2_T3_T4_T5_mT6_T7_P12ihipStream_tbENKUlT_T0_E_clISt17integral_constantIbLb1EESX_IbLb0EEEEDaST_SU_EUlST_E_NS1_11comp_targetILNS1_3genE3ELNS1_11target_archE908ELNS1_3gpuE7ELNS1_3repE0EEENS1_30default_config_static_selectorELNS0_4arch9wavefront6targetE1EEEvT1_, .Lfunc_end843-_ZN7rocprim17ROCPRIM_400000_NS6detail17trampoline_kernelINS0_14default_configENS1_27scan_by_key_config_selectorIssEEZZNS1_16scan_by_key_implILNS1_25lookback_scan_determinismE0ELb0ES3_N6thrust23THRUST_200600_302600_NS6detail15normal_iteratorINS9_10device_ptrIsEEEESE_SE_sNS9_4plusIsEE19head_flag_predicatesEE10hipError_tPvRmT2_T3_T4_T5_mT6_T7_P12ihipStream_tbENKUlT_T0_E_clISt17integral_constantIbLb1EESX_IbLb0EEEEDaST_SU_EUlST_E_NS1_11comp_targetILNS1_3genE3ELNS1_11target_archE908ELNS1_3gpuE7ELNS1_3repE0EEENS1_30default_config_static_selectorELNS0_4arch9wavefront6targetE1EEEvT1_
                                        ; -- End function
	.section	.AMDGPU.csdata,"",@progbits
; Kernel info:
; codeLenInByte = 0
; NumSgprs: 4
; NumVgprs: 0
; NumAgprs: 0
; TotalNumVgprs: 0
; ScratchSize: 0
; MemoryBound: 0
; FloatMode: 240
; IeeeMode: 1
; LDSByteSize: 0 bytes/workgroup (compile time only)
; SGPRBlocks: 0
; VGPRBlocks: 0
; NumSGPRsForWavesPerEU: 4
; NumVGPRsForWavesPerEU: 1
; AccumOffset: 4
; Occupancy: 8
; WaveLimiterHint : 0
; COMPUTE_PGM_RSRC2:SCRATCH_EN: 0
; COMPUTE_PGM_RSRC2:USER_SGPR: 6
; COMPUTE_PGM_RSRC2:TRAP_HANDLER: 0
; COMPUTE_PGM_RSRC2:TGID_X_EN: 1
; COMPUTE_PGM_RSRC2:TGID_Y_EN: 0
; COMPUTE_PGM_RSRC2:TGID_Z_EN: 0
; COMPUTE_PGM_RSRC2:TIDIG_COMP_CNT: 0
; COMPUTE_PGM_RSRC3_GFX90A:ACCUM_OFFSET: 0
; COMPUTE_PGM_RSRC3_GFX90A:TG_SPLIT: 0
	.section	.text._ZN7rocprim17ROCPRIM_400000_NS6detail17trampoline_kernelINS0_14default_configENS1_27scan_by_key_config_selectorIssEEZZNS1_16scan_by_key_implILNS1_25lookback_scan_determinismE0ELb0ES3_N6thrust23THRUST_200600_302600_NS6detail15normal_iteratorINS9_10device_ptrIsEEEESE_SE_sNS9_4plusIsEE19head_flag_predicatesEE10hipError_tPvRmT2_T3_T4_T5_mT6_T7_P12ihipStream_tbENKUlT_T0_E_clISt17integral_constantIbLb1EESX_IbLb0EEEEDaST_SU_EUlST_E_NS1_11comp_targetILNS1_3genE2ELNS1_11target_archE906ELNS1_3gpuE6ELNS1_3repE0EEENS1_30default_config_static_selectorELNS0_4arch9wavefront6targetE1EEEvT1_,"axG",@progbits,_ZN7rocprim17ROCPRIM_400000_NS6detail17trampoline_kernelINS0_14default_configENS1_27scan_by_key_config_selectorIssEEZZNS1_16scan_by_key_implILNS1_25lookback_scan_determinismE0ELb0ES3_N6thrust23THRUST_200600_302600_NS6detail15normal_iteratorINS9_10device_ptrIsEEEESE_SE_sNS9_4plusIsEE19head_flag_predicatesEE10hipError_tPvRmT2_T3_T4_T5_mT6_T7_P12ihipStream_tbENKUlT_T0_E_clISt17integral_constantIbLb1EESX_IbLb0EEEEDaST_SU_EUlST_E_NS1_11comp_targetILNS1_3genE2ELNS1_11target_archE906ELNS1_3gpuE6ELNS1_3repE0EEENS1_30default_config_static_selectorELNS0_4arch9wavefront6targetE1EEEvT1_,comdat
	.protected	_ZN7rocprim17ROCPRIM_400000_NS6detail17trampoline_kernelINS0_14default_configENS1_27scan_by_key_config_selectorIssEEZZNS1_16scan_by_key_implILNS1_25lookback_scan_determinismE0ELb0ES3_N6thrust23THRUST_200600_302600_NS6detail15normal_iteratorINS9_10device_ptrIsEEEESE_SE_sNS9_4plusIsEE19head_flag_predicatesEE10hipError_tPvRmT2_T3_T4_T5_mT6_T7_P12ihipStream_tbENKUlT_T0_E_clISt17integral_constantIbLb1EESX_IbLb0EEEEDaST_SU_EUlST_E_NS1_11comp_targetILNS1_3genE2ELNS1_11target_archE906ELNS1_3gpuE6ELNS1_3repE0EEENS1_30default_config_static_selectorELNS0_4arch9wavefront6targetE1EEEvT1_ ; -- Begin function _ZN7rocprim17ROCPRIM_400000_NS6detail17trampoline_kernelINS0_14default_configENS1_27scan_by_key_config_selectorIssEEZZNS1_16scan_by_key_implILNS1_25lookback_scan_determinismE0ELb0ES3_N6thrust23THRUST_200600_302600_NS6detail15normal_iteratorINS9_10device_ptrIsEEEESE_SE_sNS9_4plusIsEE19head_flag_predicatesEE10hipError_tPvRmT2_T3_T4_T5_mT6_T7_P12ihipStream_tbENKUlT_T0_E_clISt17integral_constantIbLb1EESX_IbLb0EEEEDaST_SU_EUlST_E_NS1_11comp_targetILNS1_3genE2ELNS1_11target_archE906ELNS1_3gpuE6ELNS1_3repE0EEENS1_30default_config_static_selectorELNS0_4arch9wavefront6targetE1EEEvT1_
	.globl	_ZN7rocprim17ROCPRIM_400000_NS6detail17trampoline_kernelINS0_14default_configENS1_27scan_by_key_config_selectorIssEEZZNS1_16scan_by_key_implILNS1_25lookback_scan_determinismE0ELb0ES3_N6thrust23THRUST_200600_302600_NS6detail15normal_iteratorINS9_10device_ptrIsEEEESE_SE_sNS9_4plusIsEE19head_flag_predicatesEE10hipError_tPvRmT2_T3_T4_T5_mT6_T7_P12ihipStream_tbENKUlT_T0_E_clISt17integral_constantIbLb1EESX_IbLb0EEEEDaST_SU_EUlST_E_NS1_11comp_targetILNS1_3genE2ELNS1_11target_archE906ELNS1_3gpuE6ELNS1_3repE0EEENS1_30default_config_static_selectorELNS0_4arch9wavefront6targetE1EEEvT1_
	.p2align	8
	.type	_ZN7rocprim17ROCPRIM_400000_NS6detail17trampoline_kernelINS0_14default_configENS1_27scan_by_key_config_selectorIssEEZZNS1_16scan_by_key_implILNS1_25lookback_scan_determinismE0ELb0ES3_N6thrust23THRUST_200600_302600_NS6detail15normal_iteratorINS9_10device_ptrIsEEEESE_SE_sNS9_4plusIsEE19head_flag_predicatesEE10hipError_tPvRmT2_T3_T4_T5_mT6_T7_P12ihipStream_tbENKUlT_T0_E_clISt17integral_constantIbLb1EESX_IbLb0EEEEDaST_SU_EUlST_E_NS1_11comp_targetILNS1_3genE2ELNS1_11target_archE906ELNS1_3gpuE6ELNS1_3repE0EEENS1_30default_config_static_selectorELNS0_4arch9wavefront6targetE1EEEvT1_,@function
_ZN7rocprim17ROCPRIM_400000_NS6detail17trampoline_kernelINS0_14default_configENS1_27scan_by_key_config_selectorIssEEZZNS1_16scan_by_key_implILNS1_25lookback_scan_determinismE0ELb0ES3_N6thrust23THRUST_200600_302600_NS6detail15normal_iteratorINS9_10device_ptrIsEEEESE_SE_sNS9_4plusIsEE19head_flag_predicatesEE10hipError_tPvRmT2_T3_T4_T5_mT6_T7_P12ihipStream_tbENKUlT_T0_E_clISt17integral_constantIbLb1EESX_IbLb0EEEEDaST_SU_EUlST_E_NS1_11comp_targetILNS1_3genE2ELNS1_11target_archE906ELNS1_3gpuE6ELNS1_3repE0EEENS1_30default_config_static_selectorELNS0_4arch9wavefront6targetE1EEEvT1_: ; @_ZN7rocprim17ROCPRIM_400000_NS6detail17trampoline_kernelINS0_14default_configENS1_27scan_by_key_config_selectorIssEEZZNS1_16scan_by_key_implILNS1_25lookback_scan_determinismE0ELb0ES3_N6thrust23THRUST_200600_302600_NS6detail15normal_iteratorINS9_10device_ptrIsEEEESE_SE_sNS9_4plusIsEE19head_flag_predicatesEE10hipError_tPvRmT2_T3_T4_T5_mT6_T7_P12ihipStream_tbENKUlT_T0_E_clISt17integral_constantIbLb1EESX_IbLb0EEEEDaST_SU_EUlST_E_NS1_11comp_targetILNS1_3genE2ELNS1_11target_archE906ELNS1_3gpuE6ELNS1_3repE0EEENS1_30default_config_static_selectorELNS0_4arch9wavefront6targetE1EEEvT1_
; %bb.0:
	.section	.rodata,"a",@progbits
	.p2align	6, 0x0
	.amdhsa_kernel _ZN7rocprim17ROCPRIM_400000_NS6detail17trampoline_kernelINS0_14default_configENS1_27scan_by_key_config_selectorIssEEZZNS1_16scan_by_key_implILNS1_25lookback_scan_determinismE0ELb0ES3_N6thrust23THRUST_200600_302600_NS6detail15normal_iteratorINS9_10device_ptrIsEEEESE_SE_sNS9_4plusIsEE19head_flag_predicatesEE10hipError_tPvRmT2_T3_T4_T5_mT6_T7_P12ihipStream_tbENKUlT_T0_E_clISt17integral_constantIbLb1EESX_IbLb0EEEEDaST_SU_EUlST_E_NS1_11comp_targetILNS1_3genE2ELNS1_11target_archE906ELNS1_3gpuE6ELNS1_3repE0EEENS1_30default_config_static_selectorELNS0_4arch9wavefront6targetE1EEEvT1_
		.amdhsa_group_segment_fixed_size 0
		.amdhsa_private_segment_fixed_size 0
		.amdhsa_kernarg_size 112
		.amdhsa_user_sgpr_count 6
		.amdhsa_user_sgpr_private_segment_buffer 1
		.amdhsa_user_sgpr_dispatch_ptr 0
		.amdhsa_user_sgpr_queue_ptr 0
		.amdhsa_user_sgpr_kernarg_segment_ptr 1
		.amdhsa_user_sgpr_dispatch_id 0
		.amdhsa_user_sgpr_flat_scratch_init 0
		.amdhsa_user_sgpr_kernarg_preload_length 0
		.amdhsa_user_sgpr_kernarg_preload_offset 0
		.amdhsa_user_sgpr_private_segment_size 0
		.amdhsa_uses_dynamic_stack 0
		.amdhsa_system_sgpr_private_segment_wavefront_offset 0
		.amdhsa_system_sgpr_workgroup_id_x 1
		.amdhsa_system_sgpr_workgroup_id_y 0
		.amdhsa_system_sgpr_workgroup_id_z 0
		.amdhsa_system_sgpr_workgroup_info 0
		.amdhsa_system_vgpr_workitem_id 0
		.amdhsa_next_free_vgpr 1
		.amdhsa_next_free_sgpr 0
		.amdhsa_accum_offset 4
		.amdhsa_reserve_vcc 0
		.amdhsa_reserve_flat_scratch 0
		.amdhsa_float_round_mode_32 0
		.amdhsa_float_round_mode_16_64 0
		.amdhsa_float_denorm_mode_32 3
		.amdhsa_float_denorm_mode_16_64 3
		.amdhsa_dx10_clamp 1
		.amdhsa_ieee_mode 1
		.amdhsa_fp16_overflow 0
		.amdhsa_tg_split 0
		.amdhsa_exception_fp_ieee_invalid_op 0
		.amdhsa_exception_fp_denorm_src 0
		.amdhsa_exception_fp_ieee_div_zero 0
		.amdhsa_exception_fp_ieee_overflow 0
		.amdhsa_exception_fp_ieee_underflow 0
		.amdhsa_exception_fp_ieee_inexact 0
		.amdhsa_exception_int_div_zero 0
	.end_amdhsa_kernel
	.section	.text._ZN7rocprim17ROCPRIM_400000_NS6detail17trampoline_kernelINS0_14default_configENS1_27scan_by_key_config_selectorIssEEZZNS1_16scan_by_key_implILNS1_25lookback_scan_determinismE0ELb0ES3_N6thrust23THRUST_200600_302600_NS6detail15normal_iteratorINS9_10device_ptrIsEEEESE_SE_sNS9_4plusIsEE19head_flag_predicatesEE10hipError_tPvRmT2_T3_T4_T5_mT6_T7_P12ihipStream_tbENKUlT_T0_E_clISt17integral_constantIbLb1EESX_IbLb0EEEEDaST_SU_EUlST_E_NS1_11comp_targetILNS1_3genE2ELNS1_11target_archE906ELNS1_3gpuE6ELNS1_3repE0EEENS1_30default_config_static_selectorELNS0_4arch9wavefront6targetE1EEEvT1_,"axG",@progbits,_ZN7rocprim17ROCPRIM_400000_NS6detail17trampoline_kernelINS0_14default_configENS1_27scan_by_key_config_selectorIssEEZZNS1_16scan_by_key_implILNS1_25lookback_scan_determinismE0ELb0ES3_N6thrust23THRUST_200600_302600_NS6detail15normal_iteratorINS9_10device_ptrIsEEEESE_SE_sNS9_4plusIsEE19head_flag_predicatesEE10hipError_tPvRmT2_T3_T4_T5_mT6_T7_P12ihipStream_tbENKUlT_T0_E_clISt17integral_constantIbLb1EESX_IbLb0EEEEDaST_SU_EUlST_E_NS1_11comp_targetILNS1_3genE2ELNS1_11target_archE906ELNS1_3gpuE6ELNS1_3repE0EEENS1_30default_config_static_selectorELNS0_4arch9wavefront6targetE1EEEvT1_,comdat
.Lfunc_end844:
	.size	_ZN7rocprim17ROCPRIM_400000_NS6detail17trampoline_kernelINS0_14default_configENS1_27scan_by_key_config_selectorIssEEZZNS1_16scan_by_key_implILNS1_25lookback_scan_determinismE0ELb0ES3_N6thrust23THRUST_200600_302600_NS6detail15normal_iteratorINS9_10device_ptrIsEEEESE_SE_sNS9_4plusIsEE19head_flag_predicatesEE10hipError_tPvRmT2_T3_T4_T5_mT6_T7_P12ihipStream_tbENKUlT_T0_E_clISt17integral_constantIbLb1EESX_IbLb0EEEEDaST_SU_EUlST_E_NS1_11comp_targetILNS1_3genE2ELNS1_11target_archE906ELNS1_3gpuE6ELNS1_3repE0EEENS1_30default_config_static_selectorELNS0_4arch9wavefront6targetE1EEEvT1_, .Lfunc_end844-_ZN7rocprim17ROCPRIM_400000_NS6detail17trampoline_kernelINS0_14default_configENS1_27scan_by_key_config_selectorIssEEZZNS1_16scan_by_key_implILNS1_25lookback_scan_determinismE0ELb0ES3_N6thrust23THRUST_200600_302600_NS6detail15normal_iteratorINS9_10device_ptrIsEEEESE_SE_sNS9_4plusIsEE19head_flag_predicatesEE10hipError_tPvRmT2_T3_T4_T5_mT6_T7_P12ihipStream_tbENKUlT_T0_E_clISt17integral_constantIbLb1EESX_IbLb0EEEEDaST_SU_EUlST_E_NS1_11comp_targetILNS1_3genE2ELNS1_11target_archE906ELNS1_3gpuE6ELNS1_3repE0EEENS1_30default_config_static_selectorELNS0_4arch9wavefront6targetE1EEEvT1_
                                        ; -- End function
	.section	.AMDGPU.csdata,"",@progbits
; Kernel info:
; codeLenInByte = 0
; NumSgprs: 4
; NumVgprs: 0
; NumAgprs: 0
; TotalNumVgprs: 0
; ScratchSize: 0
; MemoryBound: 0
; FloatMode: 240
; IeeeMode: 1
; LDSByteSize: 0 bytes/workgroup (compile time only)
; SGPRBlocks: 0
; VGPRBlocks: 0
; NumSGPRsForWavesPerEU: 4
; NumVGPRsForWavesPerEU: 1
; AccumOffset: 4
; Occupancy: 8
; WaveLimiterHint : 0
; COMPUTE_PGM_RSRC2:SCRATCH_EN: 0
; COMPUTE_PGM_RSRC2:USER_SGPR: 6
; COMPUTE_PGM_RSRC2:TRAP_HANDLER: 0
; COMPUTE_PGM_RSRC2:TGID_X_EN: 1
; COMPUTE_PGM_RSRC2:TGID_Y_EN: 0
; COMPUTE_PGM_RSRC2:TGID_Z_EN: 0
; COMPUTE_PGM_RSRC2:TIDIG_COMP_CNT: 0
; COMPUTE_PGM_RSRC3_GFX90A:ACCUM_OFFSET: 0
; COMPUTE_PGM_RSRC3_GFX90A:TG_SPLIT: 0
	.section	.text._ZN7rocprim17ROCPRIM_400000_NS6detail17trampoline_kernelINS0_14default_configENS1_27scan_by_key_config_selectorIssEEZZNS1_16scan_by_key_implILNS1_25lookback_scan_determinismE0ELb0ES3_N6thrust23THRUST_200600_302600_NS6detail15normal_iteratorINS9_10device_ptrIsEEEESE_SE_sNS9_4plusIsEE19head_flag_predicatesEE10hipError_tPvRmT2_T3_T4_T5_mT6_T7_P12ihipStream_tbENKUlT_T0_E_clISt17integral_constantIbLb1EESX_IbLb0EEEEDaST_SU_EUlST_E_NS1_11comp_targetILNS1_3genE10ELNS1_11target_archE1200ELNS1_3gpuE4ELNS1_3repE0EEENS1_30default_config_static_selectorELNS0_4arch9wavefront6targetE1EEEvT1_,"axG",@progbits,_ZN7rocprim17ROCPRIM_400000_NS6detail17trampoline_kernelINS0_14default_configENS1_27scan_by_key_config_selectorIssEEZZNS1_16scan_by_key_implILNS1_25lookback_scan_determinismE0ELb0ES3_N6thrust23THRUST_200600_302600_NS6detail15normal_iteratorINS9_10device_ptrIsEEEESE_SE_sNS9_4plusIsEE19head_flag_predicatesEE10hipError_tPvRmT2_T3_T4_T5_mT6_T7_P12ihipStream_tbENKUlT_T0_E_clISt17integral_constantIbLb1EESX_IbLb0EEEEDaST_SU_EUlST_E_NS1_11comp_targetILNS1_3genE10ELNS1_11target_archE1200ELNS1_3gpuE4ELNS1_3repE0EEENS1_30default_config_static_selectorELNS0_4arch9wavefront6targetE1EEEvT1_,comdat
	.protected	_ZN7rocprim17ROCPRIM_400000_NS6detail17trampoline_kernelINS0_14default_configENS1_27scan_by_key_config_selectorIssEEZZNS1_16scan_by_key_implILNS1_25lookback_scan_determinismE0ELb0ES3_N6thrust23THRUST_200600_302600_NS6detail15normal_iteratorINS9_10device_ptrIsEEEESE_SE_sNS9_4plusIsEE19head_flag_predicatesEE10hipError_tPvRmT2_T3_T4_T5_mT6_T7_P12ihipStream_tbENKUlT_T0_E_clISt17integral_constantIbLb1EESX_IbLb0EEEEDaST_SU_EUlST_E_NS1_11comp_targetILNS1_3genE10ELNS1_11target_archE1200ELNS1_3gpuE4ELNS1_3repE0EEENS1_30default_config_static_selectorELNS0_4arch9wavefront6targetE1EEEvT1_ ; -- Begin function _ZN7rocprim17ROCPRIM_400000_NS6detail17trampoline_kernelINS0_14default_configENS1_27scan_by_key_config_selectorIssEEZZNS1_16scan_by_key_implILNS1_25lookback_scan_determinismE0ELb0ES3_N6thrust23THRUST_200600_302600_NS6detail15normal_iteratorINS9_10device_ptrIsEEEESE_SE_sNS9_4plusIsEE19head_flag_predicatesEE10hipError_tPvRmT2_T3_T4_T5_mT6_T7_P12ihipStream_tbENKUlT_T0_E_clISt17integral_constantIbLb1EESX_IbLb0EEEEDaST_SU_EUlST_E_NS1_11comp_targetILNS1_3genE10ELNS1_11target_archE1200ELNS1_3gpuE4ELNS1_3repE0EEENS1_30default_config_static_selectorELNS0_4arch9wavefront6targetE1EEEvT1_
	.globl	_ZN7rocprim17ROCPRIM_400000_NS6detail17trampoline_kernelINS0_14default_configENS1_27scan_by_key_config_selectorIssEEZZNS1_16scan_by_key_implILNS1_25lookback_scan_determinismE0ELb0ES3_N6thrust23THRUST_200600_302600_NS6detail15normal_iteratorINS9_10device_ptrIsEEEESE_SE_sNS9_4plusIsEE19head_flag_predicatesEE10hipError_tPvRmT2_T3_T4_T5_mT6_T7_P12ihipStream_tbENKUlT_T0_E_clISt17integral_constantIbLb1EESX_IbLb0EEEEDaST_SU_EUlST_E_NS1_11comp_targetILNS1_3genE10ELNS1_11target_archE1200ELNS1_3gpuE4ELNS1_3repE0EEENS1_30default_config_static_selectorELNS0_4arch9wavefront6targetE1EEEvT1_
	.p2align	8
	.type	_ZN7rocprim17ROCPRIM_400000_NS6detail17trampoline_kernelINS0_14default_configENS1_27scan_by_key_config_selectorIssEEZZNS1_16scan_by_key_implILNS1_25lookback_scan_determinismE0ELb0ES3_N6thrust23THRUST_200600_302600_NS6detail15normal_iteratorINS9_10device_ptrIsEEEESE_SE_sNS9_4plusIsEE19head_flag_predicatesEE10hipError_tPvRmT2_T3_T4_T5_mT6_T7_P12ihipStream_tbENKUlT_T0_E_clISt17integral_constantIbLb1EESX_IbLb0EEEEDaST_SU_EUlST_E_NS1_11comp_targetILNS1_3genE10ELNS1_11target_archE1200ELNS1_3gpuE4ELNS1_3repE0EEENS1_30default_config_static_selectorELNS0_4arch9wavefront6targetE1EEEvT1_,@function
_ZN7rocprim17ROCPRIM_400000_NS6detail17trampoline_kernelINS0_14default_configENS1_27scan_by_key_config_selectorIssEEZZNS1_16scan_by_key_implILNS1_25lookback_scan_determinismE0ELb0ES3_N6thrust23THRUST_200600_302600_NS6detail15normal_iteratorINS9_10device_ptrIsEEEESE_SE_sNS9_4plusIsEE19head_flag_predicatesEE10hipError_tPvRmT2_T3_T4_T5_mT6_T7_P12ihipStream_tbENKUlT_T0_E_clISt17integral_constantIbLb1EESX_IbLb0EEEEDaST_SU_EUlST_E_NS1_11comp_targetILNS1_3genE10ELNS1_11target_archE1200ELNS1_3gpuE4ELNS1_3repE0EEENS1_30default_config_static_selectorELNS0_4arch9wavefront6targetE1EEEvT1_: ; @_ZN7rocprim17ROCPRIM_400000_NS6detail17trampoline_kernelINS0_14default_configENS1_27scan_by_key_config_selectorIssEEZZNS1_16scan_by_key_implILNS1_25lookback_scan_determinismE0ELb0ES3_N6thrust23THRUST_200600_302600_NS6detail15normal_iteratorINS9_10device_ptrIsEEEESE_SE_sNS9_4plusIsEE19head_flag_predicatesEE10hipError_tPvRmT2_T3_T4_T5_mT6_T7_P12ihipStream_tbENKUlT_T0_E_clISt17integral_constantIbLb1EESX_IbLb0EEEEDaST_SU_EUlST_E_NS1_11comp_targetILNS1_3genE10ELNS1_11target_archE1200ELNS1_3gpuE4ELNS1_3repE0EEENS1_30default_config_static_selectorELNS0_4arch9wavefront6targetE1EEEvT1_
; %bb.0:
	.section	.rodata,"a",@progbits
	.p2align	6, 0x0
	.amdhsa_kernel _ZN7rocprim17ROCPRIM_400000_NS6detail17trampoline_kernelINS0_14default_configENS1_27scan_by_key_config_selectorIssEEZZNS1_16scan_by_key_implILNS1_25lookback_scan_determinismE0ELb0ES3_N6thrust23THRUST_200600_302600_NS6detail15normal_iteratorINS9_10device_ptrIsEEEESE_SE_sNS9_4plusIsEE19head_flag_predicatesEE10hipError_tPvRmT2_T3_T4_T5_mT6_T7_P12ihipStream_tbENKUlT_T0_E_clISt17integral_constantIbLb1EESX_IbLb0EEEEDaST_SU_EUlST_E_NS1_11comp_targetILNS1_3genE10ELNS1_11target_archE1200ELNS1_3gpuE4ELNS1_3repE0EEENS1_30default_config_static_selectorELNS0_4arch9wavefront6targetE1EEEvT1_
		.amdhsa_group_segment_fixed_size 0
		.amdhsa_private_segment_fixed_size 0
		.amdhsa_kernarg_size 112
		.amdhsa_user_sgpr_count 6
		.amdhsa_user_sgpr_private_segment_buffer 1
		.amdhsa_user_sgpr_dispatch_ptr 0
		.amdhsa_user_sgpr_queue_ptr 0
		.amdhsa_user_sgpr_kernarg_segment_ptr 1
		.amdhsa_user_sgpr_dispatch_id 0
		.amdhsa_user_sgpr_flat_scratch_init 0
		.amdhsa_user_sgpr_kernarg_preload_length 0
		.amdhsa_user_sgpr_kernarg_preload_offset 0
		.amdhsa_user_sgpr_private_segment_size 0
		.amdhsa_uses_dynamic_stack 0
		.amdhsa_system_sgpr_private_segment_wavefront_offset 0
		.amdhsa_system_sgpr_workgroup_id_x 1
		.amdhsa_system_sgpr_workgroup_id_y 0
		.amdhsa_system_sgpr_workgroup_id_z 0
		.amdhsa_system_sgpr_workgroup_info 0
		.amdhsa_system_vgpr_workitem_id 0
		.amdhsa_next_free_vgpr 1
		.amdhsa_next_free_sgpr 0
		.amdhsa_accum_offset 4
		.amdhsa_reserve_vcc 0
		.amdhsa_reserve_flat_scratch 0
		.amdhsa_float_round_mode_32 0
		.amdhsa_float_round_mode_16_64 0
		.amdhsa_float_denorm_mode_32 3
		.amdhsa_float_denorm_mode_16_64 3
		.amdhsa_dx10_clamp 1
		.amdhsa_ieee_mode 1
		.amdhsa_fp16_overflow 0
		.amdhsa_tg_split 0
		.amdhsa_exception_fp_ieee_invalid_op 0
		.amdhsa_exception_fp_denorm_src 0
		.amdhsa_exception_fp_ieee_div_zero 0
		.amdhsa_exception_fp_ieee_overflow 0
		.amdhsa_exception_fp_ieee_underflow 0
		.amdhsa_exception_fp_ieee_inexact 0
		.amdhsa_exception_int_div_zero 0
	.end_amdhsa_kernel
	.section	.text._ZN7rocprim17ROCPRIM_400000_NS6detail17trampoline_kernelINS0_14default_configENS1_27scan_by_key_config_selectorIssEEZZNS1_16scan_by_key_implILNS1_25lookback_scan_determinismE0ELb0ES3_N6thrust23THRUST_200600_302600_NS6detail15normal_iteratorINS9_10device_ptrIsEEEESE_SE_sNS9_4plusIsEE19head_flag_predicatesEE10hipError_tPvRmT2_T3_T4_T5_mT6_T7_P12ihipStream_tbENKUlT_T0_E_clISt17integral_constantIbLb1EESX_IbLb0EEEEDaST_SU_EUlST_E_NS1_11comp_targetILNS1_3genE10ELNS1_11target_archE1200ELNS1_3gpuE4ELNS1_3repE0EEENS1_30default_config_static_selectorELNS0_4arch9wavefront6targetE1EEEvT1_,"axG",@progbits,_ZN7rocprim17ROCPRIM_400000_NS6detail17trampoline_kernelINS0_14default_configENS1_27scan_by_key_config_selectorIssEEZZNS1_16scan_by_key_implILNS1_25lookback_scan_determinismE0ELb0ES3_N6thrust23THRUST_200600_302600_NS6detail15normal_iteratorINS9_10device_ptrIsEEEESE_SE_sNS9_4plusIsEE19head_flag_predicatesEE10hipError_tPvRmT2_T3_T4_T5_mT6_T7_P12ihipStream_tbENKUlT_T0_E_clISt17integral_constantIbLb1EESX_IbLb0EEEEDaST_SU_EUlST_E_NS1_11comp_targetILNS1_3genE10ELNS1_11target_archE1200ELNS1_3gpuE4ELNS1_3repE0EEENS1_30default_config_static_selectorELNS0_4arch9wavefront6targetE1EEEvT1_,comdat
.Lfunc_end845:
	.size	_ZN7rocprim17ROCPRIM_400000_NS6detail17trampoline_kernelINS0_14default_configENS1_27scan_by_key_config_selectorIssEEZZNS1_16scan_by_key_implILNS1_25lookback_scan_determinismE0ELb0ES3_N6thrust23THRUST_200600_302600_NS6detail15normal_iteratorINS9_10device_ptrIsEEEESE_SE_sNS9_4plusIsEE19head_flag_predicatesEE10hipError_tPvRmT2_T3_T4_T5_mT6_T7_P12ihipStream_tbENKUlT_T0_E_clISt17integral_constantIbLb1EESX_IbLb0EEEEDaST_SU_EUlST_E_NS1_11comp_targetILNS1_3genE10ELNS1_11target_archE1200ELNS1_3gpuE4ELNS1_3repE0EEENS1_30default_config_static_selectorELNS0_4arch9wavefront6targetE1EEEvT1_, .Lfunc_end845-_ZN7rocprim17ROCPRIM_400000_NS6detail17trampoline_kernelINS0_14default_configENS1_27scan_by_key_config_selectorIssEEZZNS1_16scan_by_key_implILNS1_25lookback_scan_determinismE0ELb0ES3_N6thrust23THRUST_200600_302600_NS6detail15normal_iteratorINS9_10device_ptrIsEEEESE_SE_sNS9_4plusIsEE19head_flag_predicatesEE10hipError_tPvRmT2_T3_T4_T5_mT6_T7_P12ihipStream_tbENKUlT_T0_E_clISt17integral_constantIbLb1EESX_IbLb0EEEEDaST_SU_EUlST_E_NS1_11comp_targetILNS1_3genE10ELNS1_11target_archE1200ELNS1_3gpuE4ELNS1_3repE0EEENS1_30default_config_static_selectorELNS0_4arch9wavefront6targetE1EEEvT1_
                                        ; -- End function
	.section	.AMDGPU.csdata,"",@progbits
; Kernel info:
; codeLenInByte = 0
; NumSgprs: 4
; NumVgprs: 0
; NumAgprs: 0
; TotalNumVgprs: 0
; ScratchSize: 0
; MemoryBound: 0
; FloatMode: 240
; IeeeMode: 1
; LDSByteSize: 0 bytes/workgroup (compile time only)
; SGPRBlocks: 0
; VGPRBlocks: 0
; NumSGPRsForWavesPerEU: 4
; NumVGPRsForWavesPerEU: 1
; AccumOffset: 4
; Occupancy: 8
; WaveLimiterHint : 0
; COMPUTE_PGM_RSRC2:SCRATCH_EN: 0
; COMPUTE_PGM_RSRC2:USER_SGPR: 6
; COMPUTE_PGM_RSRC2:TRAP_HANDLER: 0
; COMPUTE_PGM_RSRC2:TGID_X_EN: 1
; COMPUTE_PGM_RSRC2:TGID_Y_EN: 0
; COMPUTE_PGM_RSRC2:TGID_Z_EN: 0
; COMPUTE_PGM_RSRC2:TIDIG_COMP_CNT: 0
; COMPUTE_PGM_RSRC3_GFX90A:ACCUM_OFFSET: 0
; COMPUTE_PGM_RSRC3_GFX90A:TG_SPLIT: 0
	.section	.text._ZN7rocprim17ROCPRIM_400000_NS6detail17trampoline_kernelINS0_14default_configENS1_27scan_by_key_config_selectorIssEEZZNS1_16scan_by_key_implILNS1_25lookback_scan_determinismE0ELb0ES3_N6thrust23THRUST_200600_302600_NS6detail15normal_iteratorINS9_10device_ptrIsEEEESE_SE_sNS9_4plusIsEE19head_flag_predicatesEE10hipError_tPvRmT2_T3_T4_T5_mT6_T7_P12ihipStream_tbENKUlT_T0_E_clISt17integral_constantIbLb1EESX_IbLb0EEEEDaST_SU_EUlST_E_NS1_11comp_targetILNS1_3genE9ELNS1_11target_archE1100ELNS1_3gpuE3ELNS1_3repE0EEENS1_30default_config_static_selectorELNS0_4arch9wavefront6targetE1EEEvT1_,"axG",@progbits,_ZN7rocprim17ROCPRIM_400000_NS6detail17trampoline_kernelINS0_14default_configENS1_27scan_by_key_config_selectorIssEEZZNS1_16scan_by_key_implILNS1_25lookback_scan_determinismE0ELb0ES3_N6thrust23THRUST_200600_302600_NS6detail15normal_iteratorINS9_10device_ptrIsEEEESE_SE_sNS9_4plusIsEE19head_flag_predicatesEE10hipError_tPvRmT2_T3_T4_T5_mT6_T7_P12ihipStream_tbENKUlT_T0_E_clISt17integral_constantIbLb1EESX_IbLb0EEEEDaST_SU_EUlST_E_NS1_11comp_targetILNS1_3genE9ELNS1_11target_archE1100ELNS1_3gpuE3ELNS1_3repE0EEENS1_30default_config_static_selectorELNS0_4arch9wavefront6targetE1EEEvT1_,comdat
	.protected	_ZN7rocprim17ROCPRIM_400000_NS6detail17trampoline_kernelINS0_14default_configENS1_27scan_by_key_config_selectorIssEEZZNS1_16scan_by_key_implILNS1_25lookback_scan_determinismE0ELb0ES3_N6thrust23THRUST_200600_302600_NS6detail15normal_iteratorINS9_10device_ptrIsEEEESE_SE_sNS9_4plusIsEE19head_flag_predicatesEE10hipError_tPvRmT2_T3_T4_T5_mT6_T7_P12ihipStream_tbENKUlT_T0_E_clISt17integral_constantIbLb1EESX_IbLb0EEEEDaST_SU_EUlST_E_NS1_11comp_targetILNS1_3genE9ELNS1_11target_archE1100ELNS1_3gpuE3ELNS1_3repE0EEENS1_30default_config_static_selectorELNS0_4arch9wavefront6targetE1EEEvT1_ ; -- Begin function _ZN7rocprim17ROCPRIM_400000_NS6detail17trampoline_kernelINS0_14default_configENS1_27scan_by_key_config_selectorIssEEZZNS1_16scan_by_key_implILNS1_25lookback_scan_determinismE0ELb0ES3_N6thrust23THRUST_200600_302600_NS6detail15normal_iteratorINS9_10device_ptrIsEEEESE_SE_sNS9_4plusIsEE19head_flag_predicatesEE10hipError_tPvRmT2_T3_T4_T5_mT6_T7_P12ihipStream_tbENKUlT_T0_E_clISt17integral_constantIbLb1EESX_IbLb0EEEEDaST_SU_EUlST_E_NS1_11comp_targetILNS1_3genE9ELNS1_11target_archE1100ELNS1_3gpuE3ELNS1_3repE0EEENS1_30default_config_static_selectorELNS0_4arch9wavefront6targetE1EEEvT1_
	.globl	_ZN7rocprim17ROCPRIM_400000_NS6detail17trampoline_kernelINS0_14default_configENS1_27scan_by_key_config_selectorIssEEZZNS1_16scan_by_key_implILNS1_25lookback_scan_determinismE0ELb0ES3_N6thrust23THRUST_200600_302600_NS6detail15normal_iteratorINS9_10device_ptrIsEEEESE_SE_sNS9_4plusIsEE19head_flag_predicatesEE10hipError_tPvRmT2_T3_T4_T5_mT6_T7_P12ihipStream_tbENKUlT_T0_E_clISt17integral_constantIbLb1EESX_IbLb0EEEEDaST_SU_EUlST_E_NS1_11comp_targetILNS1_3genE9ELNS1_11target_archE1100ELNS1_3gpuE3ELNS1_3repE0EEENS1_30default_config_static_selectorELNS0_4arch9wavefront6targetE1EEEvT1_
	.p2align	8
	.type	_ZN7rocprim17ROCPRIM_400000_NS6detail17trampoline_kernelINS0_14default_configENS1_27scan_by_key_config_selectorIssEEZZNS1_16scan_by_key_implILNS1_25lookback_scan_determinismE0ELb0ES3_N6thrust23THRUST_200600_302600_NS6detail15normal_iteratorINS9_10device_ptrIsEEEESE_SE_sNS9_4plusIsEE19head_flag_predicatesEE10hipError_tPvRmT2_T3_T4_T5_mT6_T7_P12ihipStream_tbENKUlT_T0_E_clISt17integral_constantIbLb1EESX_IbLb0EEEEDaST_SU_EUlST_E_NS1_11comp_targetILNS1_3genE9ELNS1_11target_archE1100ELNS1_3gpuE3ELNS1_3repE0EEENS1_30default_config_static_selectorELNS0_4arch9wavefront6targetE1EEEvT1_,@function
_ZN7rocprim17ROCPRIM_400000_NS6detail17trampoline_kernelINS0_14default_configENS1_27scan_by_key_config_selectorIssEEZZNS1_16scan_by_key_implILNS1_25lookback_scan_determinismE0ELb0ES3_N6thrust23THRUST_200600_302600_NS6detail15normal_iteratorINS9_10device_ptrIsEEEESE_SE_sNS9_4plusIsEE19head_flag_predicatesEE10hipError_tPvRmT2_T3_T4_T5_mT6_T7_P12ihipStream_tbENKUlT_T0_E_clISt17integral_constantIbLb1EESX_IbLb0EEEEDaST_SU_EUlST_E_NS1_11comp_targetILNS1_3genE9ELNS1_11target_archE1100ELNS1_3gpuE3ELNS1_3repE0EEENS1_30default_config_static_selectorELNS0_4arch9wavefront6targetE1EEEvT1_: ; @_ZN7rocprim17ROCPRIM_400000_NS6detail17trampoline_kernelINS0_14default_configENS1_27scan_by_key_config_selectorIssEEZZNS1_16scan_by_key_implILNS1_25lookback_scan_determinismE0ELb0ES3_N6thrust23THRUST_200600_302600_NS6detail15normal_iteratorINS9_10device_ptrIsEEEESE_SE_sNS9_4plusIsEE19head_flag_predicatesEE10hipError_tPvRmT2_T3_T4_T5_mT6_T7_P12ihipStream_tbENKUlT_T0_E_clISt17integral_constantIbLb1EESX_IbLb0EEEEDaST_SU_EUlST_E_NS1_11comp_targetILNS1_3genE9ELNS1_11target_archE1100ELNS1_3gpuE3ELNS1_3repE0EEENS1_30default_config_static_selectorELNS0_4arch9wavefront6targetE1EEEvT1_
; %bb.0:
	.section	.rodata,"a",@progbits
	.p2align	6, 0x0
	.amdhsa_kernel _ZN7rocprim17ROCPRIM_400000_NS6detail17trampoline_kernelINS0_14default_configENS1_27scan_by_key_config_selectorIssEEZZNS1_16scan_by_key_implILNS1_25lookback_scan_determinismE0ELb0ES3_N6thrust23THRUST_200600_302600_NS6detail15normal_iteratorINS9_10device_ptrIsEEEESE_SE_sNS9_4plusIsEE19head_flag_predicatesEE10hipError_tPvRmT2_T3_T4_T5_mT6_T7_P12ihipStream_tbENKUlT_T0_E_clISt17integral_constantIbLb1EESX_IbLb0EEEEDaST_SU_EUlST_E_NS1_11comp_targetILNS1_3genE9ELNS1_11target_archE1100ELNS1_3gpuE3ELNS1_3repE0EEENS1_30default_config_static_selectorELNS0_4arch9wavefront6targetE1EEEvT1_
		.amdhsa_group_segment_fixed_size 0
		.amdhsa_private_segment_fixed_size 0
		.amdhsa_kernarg_size 112
		.amdhsa_user_sgpr_count 6
		.amdhsa_user_sgpr_private_segment_buffer 1
		.amdhsa_user_sgpr_dispatch_ptr 0
		.amdhsa_user_sgpr_queue_ptr 0
		.amdhsa_user_sgpr_kernarg_segment_ptr 1
		.amdhsa_user_sgpr_dispatch_id 0
		.amdhsa_user_sgpr_flat_scratch_init 0
		.amdhsa_user_sgpr_kernarg_preload_length 0
		.amdhsa_user_sgpr_kernarg_preload_offset 0
		.amdhsa_user_sgpr_private_segment_size 0
		.amdhsa_uses_dynamic_stack 0
		.amdhsa_system_sgpr_private_segment_wavefront_offset 0
		.amdhsa_system_sgpr_workgroup_id_x 1
		.amdhsa_system_sgpr_workgroup_id_y 0
		.amdhsa_system_sgpr_workgroup_id_z 0
		.amdhsa_system_sgpr_workgroup_info 0
		.amdhsa_system_vgpr_workitem_id 0
		.amdhsa_next_free_vgpr 1
		.amdhsa_next_free_sgpr 0
		.amdhsa_accum_offset 4
		.amdhsa_reserve_vcc 0
		.amdhsa_reserve_flat_scratch 0
		.amdhsa_float_round_mode_32 0
		.amdhsa_float_round_mode_16_64 0
		.amdhsa_float_denorm_mode_32 3
		.amdhsa_float_denorm_mode_16_64 3
		.amdhsa_dx10_clamp 1
		.amdhsa_ieee_mode 1
		.amdhsa_fp16_overflow 0
		.amdhsa_tg_split 0
		.amdhsa_exception_fp_ieee_invalid_op 0
		.amdhsa_exception_fp_denorm_src 0
		.amdhsa_exception_fp_ieee_div_zero 0
		.amdhsa_exception_fp_ieee_overflow 0
		.amdhsa_exception_fp_ieee_underflow 0
		.amdhsa_exception_fp_ieee_inexact 0
		.amdhsa_exception_int_div_zero 0
	.end_amdhsa_kernel
	.section	.text._ZN7rocprim17ROCPRIM_400000_NS6detail17trampoline_kernelINS0_14default_configENS1_27scan_by_key_config_selectorIssEEZZNS1_16scan_by_key_implILNS1_25lookback_scan_determinismE0ELb0ES3_N6thrust23THRUST_200600_302600_NS6detail15normal_iteratorINS9_10device_ptrIsEEEESE_SE_sNS9_4plusIsEE19head_flag_predicatesEE10hipError_tPvRmT2_T3_T4_T5_mT6_T7_P12ihipStream_tbENKUlT_T0_E_clISt17integral_constantIbLb1EESX_IbLb0EEEEDaST_SU_EUlST_E_NS1_11comp_targetILNS1_3genE9ELNS1_11target_archE1100ELNS1_3gpuE3ELNS1_3repE0EEENS1_30default_config_static_selectorELNS0_4arch9wavefront6targetE1EEEvT1_,"axG",@progbits,_ZN7rocprim17ROCPRIM_400000_NS6detail17trampoline_kernelINS0_14default_configENS1_27scan_by_key_config_selectorIssEEZZNS1_16scan_by_key_implILNS1_25lookback_scan_determinismE0ELb0ES3_N6thrust23THRUST_200600_302600_NS6detail15normal_iteratorINS9_10device_ptrIsEEEESE_SE_sNS9_4plusIsEE19head_flag_predicatesEE10hipError_tPvRmT2_T3_T4_T5_mT6_T7_P12ihipStream_tbENKUlT_T0_E_clISt17integral_constantIbLb1EESX_IbLb0EEEEDaST_SU_EUlST_E_NS1_11comp_targetILNS1_3genE9ELNS1_11target_archE1100ELNS1_3gpuE3ELNS1_3repE0EEENS1_30default_config_static_selectorELNS0_4arch9wavefront6targetE1EEEvT1_,comdat
.Lfunc_end846:
	.size	_ZN7rocprim17ROCPRIM_400000_NS6detail17trampoline_kernelINS0_14default_configENS1_27scan_by_key_config_selectorIssEEZZNS1_16scan_by_key_implILNS1_25lookback_scan_determinismE0ELb0ES3_N6thrust23THRUST_200600_302600_NS6detail15normal_iteratorINS9_10device_ptrIsEEEESE_SE_sNS9_4plusIsEE19head_flag_predicatesEE10hipError_tPvRmT2_T3_T4_T5_mT6_T7_P12ihipStream_tbENKUlT_T0_E_clISt17integral_constantIbLb1EESX_IbLb0EEEEDaST_SU_EUlST_E_NS1_11comp_targetILNS1_3genE9ELNS1_11target_archE1100ELNS1_3gpuE3ELNS1_3repE0EEENS1_30default_config_static_selectorELNS0_4arch9wavefront6targetE1EEEvT1_, .Lfunc_end846-_ZN7rocprim17ROCPRIM_400000_NS6detail17trampoline_kernelINS0_14default_configENS1_27scan_by_key_config_selectorIssEEZZNS1_16scan_by_key_implILNS1_25lookback_scan_determinismE0ELb0ES3_N6thrust23THRUST_200600_302600_NS6detail15normal_iteratorINS9_10device_ptrIsEEEESE_SE_sNS9_4plusIsEE19head_flag_predicatesEE10hipError_tPvRmT2_T3_T4_T5_mT6_T7_P12ihipStream_tbENKUlT_T0_E_clISt17integral_constantIbLb1EESX_IbLb0EEEEDaST_SU_EUlST_E_NS1_11comp_targetILNS1_3genE9ELNS1_11target_archE1100ELNS1_3gpuE3ELNS1_3repE0EEENS1_30default_config_static_selectorELNS0_4arch9wavefront6targetE1EEEvT1_
                                        ; -- End function
	.section	.AMDGPU.csdata,"",@progbits
; Kernel info:
; codeLenInByte = 0
; NumSgprs: 4
; NumVgprs: 0
; NumAgprs: 0
; TotalNumVgprs: 0
; ScratchSize: 0
; MemoryBound: 0
; FloatMode: 240
; IeeeMode: 1
; LDSByteSize: 0 bytes/workgroup (compile time only)
; SGPRBlocks: 0
; VGPRBlocks: 0
; NumSGPRsForWavesPerEU: 4
; NumVGPRsForWavesPerEU: 1
; AccumOffset: 4
; Occupancy: 8
; WaveLimiterHint : 0
; COMPUTE_PGM_RSRC2:SCRATCH_EN: 0
; COMPUTE_PGM_RSRC2:USER_SGPR: 6
; COMPUTE_PGM_RSRC2:TRAP_HANDLER: 0
; COMPUTE_PGM_RSRC2:TGID_X_EN: 1
; COMPUTE_PGM_RSRC2:TGID_Y_EN: 0
; COMPUTE_PGM_RSRC2:TGID_Z_EN: 0
; COMPUTE_PGM_RSRC2:TIDIG_COMP_CNT: 0
; COMPUTE_PGM_RSRC3_GFX90A:ACCUM_OFFSET: 0
; COMPUTE_PGM_RSRC3_GFX90A:TG_SPLIT: 0
	.section	.text._ZN7rocprim17ROCPRIM_400000_NS6detail17trampoline_kernelINS0_14default_configENS1_27scan_by_key_config_selectorIssEEZZNS1_16scan_by_key_implILNS1_25lookback_scan_determinismE0ELb0ES3_N6thrust23THRUST_200600_302600_NS6detail15normal_iteratorINS9_10device_ptrIsEEEESE_SE_sNS9_4plusIsEE19head_flag_predicatesEE10hipError_tPvRmT2_T3_T4_T5_mT6_T7_P12ihipStream_tbENKUlT_T0_E_clISt17integral_constantIbLb1EESX_IbLb0EEEEDaST_SU_EUlST_E_NS1_11comp_targetILNS1_3genE8ELNS1_11target_archE1030ELNS1_3gpuE2ELNS1_3repE0EEENS1_30default_config_static_selectorELNS0_4arch9wavefront6targetE1EEEvT1_,"axG",@progbits,_ZN7rocprim17ROCPRIM_400000_NS6detail17trampoline_kernelINS0_14default_configENS1_27scan_by_key_config_selectorIssEEZZNS1_16scan_by_key_implILNS1_25lookback_scan_determinismE0ELb0ES3_N6thrust23THRUST_200600_302600_NS6detail15normal_iteratorINS9_10device_ptrIsEEEESE_SE_sNS9_4plusIsEE19head_flag_predicatesEE10hipError_tPvRmT2_T3_T4_T5_mT6_T7_P12ihipStream_tbENKUlT_T0_E_clISt17integral_constantIbLb1EESX_IbLb0EEEEDaST_SU_EUlST_E_NS1_11comp_targetILNS1_3genE8ELNS1_11target_archE1030ELNS1_3gpuE2ELNS1_3repE0EEENS1_30default_config_static_selectorELNS0_4arch9wavefront6targetE1EEEvT1_,comdat
	.protected	_ZN7rocprim17ROCPRIM_400000_NS6detail17trampoline_kernelINS0_14default_configENS1_27scan_by_key_config_selectorIssEEZZNS1_16scan_by_key_implILNS1_25lookback_scan_determinismE0ELb0ES3_N6thrust23THRUST_200600_302600_NS6detail15normal_iteratorINS9_10device_ptrIsEEEESE_SE_sNS9_4plusIsEE19head_flag_predicatesEE10hipError_tPvRmT2_T3_T4_T5_mT6_T7_P12ihipStream_tbENKUlT_T0_E_clISt17integral_constantIbLb1EESX_IbLb0EEEEDaST_SU_EUlST_E_NS1_11comp_targetILNS1_3genE8ELNS1_11target_archE1030ELNS1_3gpuE2ELNS1_3repE0EEENS1_30default_config_static_selectorELNS0_4arch9wavefront6targetE1EEEvT1_ ; -- Begin function _ZN7rocprim17ROCPRIM_400000_NS6detail17trampoline_kernelINS0_14default_configENS1_27scan_by_key_config_selectorIssEEZZNS1_16scan_by_key_implILNS1_25lookback_scan_determinismE0ELb0ES3_N6thrust23THRUST_200600_302600_NS6detail15normal_iteratorINS9_10device_ptrIsEEEESE_SE_sNS9_4plusIsEE19head_flag_predicatesEE10hipError_tPvRmT2_T3_T4_T5_mT6_T7_P12ihipStream_tbENKUlT_T0_E_clISt17integral_constantIbLb1EESX_IbLb0EEEEDaST_SU_EUlST_E_NS1_11comp_targetILNS1_3genE8ELNS1_11target_archE1030ELNS1_3gpuE2ELNS1_3repE0EEENS1_30default_config_static_selectorELNS0_4arch9wavefront6targetE1EEEvT1_
	.globl	_ZN7rocprim17ROCPRIM_400000_NS6detail17trampoline_kernelINS0_14default_configENS1_27scan_by_key_config_selectorIssEEZZNS1_16scan_by_key_implILNS1_25lookback_scan_determinismE0ELb0ES3_N6thrust23THRUST_200600_302600_NS6detail15normal_iteratorINS9_10device_ptrIsEEEESE_SE_sNS9_4plusIsEE19head_flag_predicatesEE10hipError_tPvRmT2_T3_T4_T5_mT6_T7_P12ihipStream_tbENKUlT_T0_E_clISt17integral_constantIbLb1EESX_IbLb0EEEEDaST_SU_EUlST_E_NS1_11comp_targetILNS1_3genE8ELNS1_11target_archE1030ELNS1_3gpuE2ELNS1_3repE0EEENS1_30default_config_static_selectorELNS0_4arch9wavefront6targetE1EEEvT1_
	.p2align	8
	.type	_ZN7rocprim17ROCPRIM_400000_NS6detail17trampoline_kernelINS0_14default_configENS1_27scan_by_key_config_selectorIssEEZZNS1_16scan_by_key_implILNS1_25lookback_scan_determinismE0ELb0ES3_N6thrust23THRUST_200600_302600_NS6detail15normal_iteratorINS9_10device_ptrIsEEEESE_SE_sNS9_4plusIsEE19head_flag_predicatesEE10hipError_tPvRmT2_T3_T4_T5_mT6_T7_P12ihipStream_tbENKUlT_T0_E_clISt17integral_constantIbLb1EESX_IbLb0EEEEDaST_SU_EUlST_E_NS1_11comp_targetILNS1_3genE8ELNS1_11target_archE1030ELNS1_3gpuE2ELNS1_3repE0EEENS1_30default_config_static_selectorELNS0_4arch9wavefront6targetE1EEEvT1_,@function
_ZN7rocprim17ROCPRIM_400000_NS6detail17trampoline_kernelINS0_14default_configENS1_27scan_by_key_config_selectorIssEEZZNS1_16scan_by_key_implILNS1_25lookback_scan_determinismE0ELb0ES3_N6thrust23THRUST_200600_302600_NS6detail15normal_iteratorINS9_10device_ptrIsEEEESE_SE_sNS9_4plusIsEE19head_flag_predicatesEE10hipError_tPvRmT2_T3_T4_T5_mT6_T7_P12ihipStream_tbENKUlT_T0_E_clISt17integral_constantIbLb1EESX_IbLb0EEEEDaST_SU_EUlST_E_NS1_11comp_targetILNS1_3genE8ELNS1_11target_archE1030ELNS1_3gpuE2ELNS1_3repE0EEENS1_30default_config_static_selectorELNS0_4arch9wavefront6targetE1EEEvT1_: ; @_ZN7rocprim17ROCPRIM_400000_NS6detail17trampoline_kernelINS0_14default_configENS1_27scan_by_key_config_selectorIssEEZZNS1_16scan_by_key_implILNS1_25lookback_scan_determinismE0ELb0ES3_N6thrust23THRUST_200600_302600_NS6detail15normal_iteratorINS9_10device_ptrIsEEEESE_SE_sNS9_4plusIsEE19head_flag_predicatesEE10hipError_tPvRmT2_T3_T4_T5_mT6_T7_P12ihipStream_tbENKUlT_T0_E_clISt17integral_constantIbLb1EESX_IbLb0EEEEDaST_SU_EUlST_E_NS1_11comp_targetILNS1_3genE8ELNS1_11target_archE1030ELNS1_3gpuE2ELNS1_3repE0EEENS1_30default_config_static_selectorELNS0_4arch9wavefront6targetE1EEEvT1_
; %bb.0:
	.section	.rodata,"a",@progbits
	.p2align	6, 0x0
	.amdhsa_kernel _ZN7rocprim17ROCPRIM_400000_NS6detail17trampoline_kernelINS0_14default_configENS1_27scan_by_key_config_selectorIssEEZZNS1_16scan_by_key_implILNS1_25lookback_scan_determinismE0ELb0ES3_N6thrust23THRUST_200600_302600_NS6detail15normal_iteratorINS9_10device_ptrIsEEEESE_SE_sNS9_4plusIsEE19head_flag_predicatesEE10hipError_tPvRmT2_T3_T4_T5_mT6_T7_P12ihipStream_tbENKUlT_T0_E_clISt17integral_constantIbLb1EESX_IbLb0EEEEDaST_SU_EUlST_E_NS1_11comp_targetILNS1_3genE8ELNS1_11target_archE1030ELNS1_3gpuE2ELNS1_3repE0EEENS1_30default_config_static_selectorELNS0_4arch9wavefront6targetE1EEEvT1_
		.amdhsa_group_segment_fixed_size 0
		.amdhsa_private_segment_fixed_size 0
		.amdhsa_kernarg_size 112
		.amdhsa_user_sgpr_count 6
		.amdhsa_user_sgpr_private_segment_buffer 1
		.amdhsa_user_sgpr_dispatch_ptr 0
		.amdhsa_user_sgpr_queue_ptr 0
		.amdhsa_user_sgpr_kernarg_segment_ptr 1
		.amdhsa_user_sgpr_dispatch_id 0
		.amdhsa_user_sgpr_flat_scratch_init 0
		.amdhsa_user_sgpr_kernarg_preload_length 0
		.amdhsa_user_sgpr_kernarg_preload_offset 0
		.amdhsa_user_sgpr_private_segment_size 0
		.amdhsa_uses_dynamic_stack 0
		.amdhsa_system_sgpr_private_segment_wavefront_offset 0
		.amdhsa_system_sgpr_workgroup_id_x 1
		.amdhsa_system_sgpr_workgroup_id_y 0
		.amdhsa_system_sgpr_workgroup_id_z 0
		.amdhsa_system_sgpr_workgroup_info 0
		.amdhsa_system_vgpr_workitem_id 0
		.amdhsa_next_free_vgpr 1
		.amdhsa_next_free_sgpr 0
		.amdhsa_accum_offset 4
		.amdhsa_reserve_vcc 0
		.amdhsa_reserve_flat_scratch 0
		.amdhsa_float_round_mode_32 0
		.amdhsa_float_round_mode_16_64 0
		.amdhsa_float_denorm_mode_32 3
		.amdhsa_float_denorm_mode_16_64 3
		.amdhsa_dx10_clamp 1
		.amdhsa_ieee_mode 1
		.amdhsa_fp16_overflow 0
		.amdhsa_tg_split 0
		.amdhsa_exception_fp_ieee_invalid_op 0
		.amdhsa_exception_fp_denorm_src 0
		.amdhsa_exception_fp_ieee_div_zero 0
		.amdhsa_exception_fp_ieee_overflow 0
		.amdhsa_exception_fp_ieee_underflow 0
		.amdhsa_exception_fp_ieee_inexact 0
		.amdhsa_exception_int_div_zero 0
	.end_amdhsa_kernel
	.section	.text._ZN7rocprim17ROCPRIM_400000_NS6detail17trampoline_kernelINS0_14default_configENS1_27scan_by_key_config_selectorIssEEZZNS1_16scan_by_key_implILNS1_25lookback_scan_determinismE0ELb0ES3_N6thrust23THRUST_200600_302600_NS6detail15normal_iteratorINS9_10device_ptrIsEEEESE_SE_sNS9_4plusIsEE19head_flag_predicatesEE10hipError_tPvRmT2_T3_T4_T5_mT6_T7_P12ihipStream_tbENKUlT_T0_E_clISt17integral_constantIbLb1EESX_IbLb0EEEEDaST_SU_EUlST_E_NS1_11comp_targetILNS1_3genE8ELNS1_11target_archE1030ELNS1_3gpuE2ELNS1_3repE0EEENS1_30default_config_static_selectorELNS0_4arch9wavefront6targetE1EEEvT1_,"axG",@progbits,_ZN7rocprim17ROCPRIM_400000_NS6detail17trampoline_kernelINS0_14default_configENS1_27scan_by_key_config_selectorIssEEZZNS1_16scan_by_key_implILNS1_25lookback_scan_determinismE0ELb0ES3_N6thrust23THRUST_200600_302600_NS6detail15normal_iteratorINS9_10device_ptrIsEEEESE_SE_sNS9_4plusIsEE19head_flag_predicatesEE10hipError_tPvRmT2_T3_T4_T5_mT6_T7_P12ihipStream_tbENKUlT_T0_E_clISt17integral_constantIbLb1EESX_IbLb0EEEEDaST_SU_EUlST_E_NS1_11comp_targetILNS1_3genE8ELNS1_11target_archE1030ELNS1_3gpuE2ELNS1_3repE0EEENS1_30default_config_static_selectorELNS0_4arch9wavefront6targetE1EEEvT1_,comdat
.Lfunc_end847:
	.size	_ZN7rocprim17ROCPRIM_400000_NS6detail17trampoline_kernelINS0_14default_configENS1_27scan_by_key_config_selectorIssEEZZNS1_16scan_by_key_implILNS1_25lookback_scan_determinismE0ELb0ES3_N6thrust23THRUST_200600_302600_NS6detail15normal_iteratorINS9_10device_ptrIsEEEESE_SE_sNS9_4plusIsEE19head_flag_predicatesEE10hipError_tPvRmT2_T3_T4_T5_mT6_T7_P12ihipStream_tbENKUlT_T0_E_clISt17integral_constantIbLb1EESX_IbLb0EEEEDaST_SU_EUlST_E_NS1_11comp_targetILNS1_3genE8ELNS1_11target_archE1030ELNS1_3gpuE2ELNS1_3repE0EEENS1_30default_config_static_selectorELNS0_4arch9wavefront6targetE1EEEvT1_, .Lfunc_end847-_ZN7rocprim17ROCPRIM_400000_NS6detail17trampoline_kernelINS0_14default_configENS1_27scan_by_key_config_selectorIssEEZZNS1_16scan_by_key_implILNS1_25lookback_scan_determinismE0ELb0ES3_N6thrust23THRUST_200600_302600_NS6detail15normal_iteratorINS9_10device_ptrIsEEEESE_SE_sNS9_4plusIsEE19head_flag_predicatesEE10hipError_tPvRmT2_T3_T4_T5_mT6_T7_P12ihipStream_tbENKUlT_T0_E_clISt17integral_constantIbLb1EESX_IbLb0EEEEDaST_SU_EUlST_E_NS1_11comp_targetILNS1_3genE8ELNS1_11target_archE1030ELNS1_3gpuE2ELNS1_3repE0EEENS1_30default_config_static_selectorELNS0_4arch9wavefront6targetE1EEEvT1_
                                        ; -- End function
	.section	.AMDGPU.csdata,"",@progbits
; Kernel info:
; codeLenInByte = 0
; NumSgprs: 4
; NumVgprs: 0
; NumAgprs: 0
; TotalNumVgprs: 0
; ScratchSize: 0
; MemoryBound: 0
; FloatMode: 240
; IeeeMode: 1
; LDSByteSize: 0 bytes/workgroup (compile time only)
; SGPRBlocks: 0
; VGPRBlocks: 0
; NumSGPRsForWavesPerEU: 4
; NumVGPRsForWavesPerEU: 1
; AccumOffset: 4
; Occupancy: 8
; WaveLimiterHint : 0
; COMPUTE_PGM_RSRC2:SCRATCH_EN: 0
; COMPUTE_PGM_RSRC2:USER_SGPR: 6
; COMPUTE_PGM_RSRC2:TRAP_HANDLER: 0
; COMPUTE_PGM_RSRC2:TGID_X_EN: 1
; COMPUTE_PGM_RSRC2:TGID_Y_EN: 0
; COMPUTE_PGM_RSRC2:TGID_Z_EN: 0
; COMPUTE_PGM_RSRC2:TIDIG_COMP_CNT: 0
; COMPUTE_PGM_RSRC3_GFX90A:ACCUM_OFFSET: 0
; COMPUTE_PGM_RSRC3_GFX90A:TG_SPLIT: 0
	.section	.text._ZN7rocprim17ROCPRIM_400000_NS6detail17trampoline_kernelINS0_14default_configENS1_27scan_by_key_config_selectorIssEEZZNS1_16scan_by_key_implILNS1_25lookback_scan_determinismE0ELb0ES3_N6thrust23THRUST_200600_302600_NS6detail15normal_iteratorINS9_10device_ptrIsEEEESE_SE_sNS9_4plusIsEE19head_flag_predicatesEE10hipError_tPvRmT2_T3_T4_T5_mT6_T7_P12ihipStream_tbENKUlT_T0_E_clISt17integral_constantIbLb0EESX_IbLb1EEEEDaST_SU_EUlST_E_NS1_11comp_targetILNS1_3genE0ELNS1_11target_archE4294967295ELNS1_3gpuE0ELNS1_3repE0EEENS1_30default_config_static_selectorELNS0_4arch9wavefront6targetE1EEEvT1_,"axG",@progbits,_ZN7rocprim17ROCPRIM_400000_NS6detail17trampoline_kernelINS0_14default_configENS1_27scan_by_key_config_selectorIssEEZZNS1_16scan_by_key_implILNS1_25lookback_scan_determinismE0ELb0ES3_N6thrust23THRUST_200600_302600_NS6detail15normal_iteratorINS9_10device_ptrIsEEEESE_SE_sNS9_4plusIsEE19head_flag_predicatesEE10hipError_tPvRmT2_T3_T4_T5_mT6_T7_P12ihipStream_tbENKUlT_T0_E_clISt17integral_constantIbLb0EESX_IbLb1EEEEDaST_SU_EUlST_E_NS1_11comp_targetILNS1_3genE0ELNS1_11target_archE4294967295ELNS1_3gpuE0ELNS1_3repE0EEENS1_30default_config_static_selectorELNS0_4arch9wavefront6targetE1EEEvT1_,comdat
	.protected	_ZN7rocprim17ROCPRIM_400000_NS6detail17trampoline_kernelINS0_14default_configENS1_27scan_by_key_config_selectorIssEEZZNS1_16scan_by_key_implILNS1_25lookback_scan_determinismE0ELb0ES3_N6thrust23THRUST_200600_302600_NS6detail15normal_iteratorINS9_10device_ptrIsEEEESE_SE_sNS9_4plusIsEE19head_flag_predicatesEE10hipError_tPvRmT2_T3_T4_T5_mT6_T7_P12ihipStream_tbENKUlT_T0_E_clISt17integral_constantIbLb0EESX_IbLb1EEEEDaST_SU_EUlST_E_NS1_11comp_targetILNS1_3genE0ELNS1_11target_archE4294967295ELNS1_3gpuE0ELNS1_3repE0EEENS1_30default_config_static_selectorELNS0_4arch9wavefront6targetE1EEEvT1_ ; -- Begin function _ZN7rocprim17ROCPRIM_400000_NS6detail17trampoline_kernelINS0_14default_configENS1_27scan_by_key_config_selectorIssEEZZNS1_16scan_by_key_implILNS1_25lookback_scan_determinismE0ELb0ES3_N6thrust23THRUST_200600_302600_NS6detail15normal_iteratorINS9_10device_ptrIsEEEESE_SE_sNS9_4plusIsEE19head_flag_predicatesEE10hipError_tPvRmT2_T3_T4_T5_mT6_T7_P12ihipStream_tbENKUlT_T0_E_clISt17integral_constantIbLb0EESX_IbLb1EEEEDaST_SU_EUlST_E_NS1_11comp_targetILNS1_3genE0ELNS1_11target_archE4294967295ELNS1_3gpuE0ELNS1_3repE0EEENS1_30default_config_static_selectorELNS0_4arch9wavefront6targetE1EEEvT1_
	.globl	_ZN7rocprim17ROCPRIM_400000_NS6detail17trampoline_kernelINS0_14default_configENS1_27scan_by_key_config_selectorIssEEZZNS1_16scan_by_key_implILNS1_25lookback_scan_determinismE0ELb0ES3_N6thrust23THRUST_200600_302600_NS6detail15normal_iteratorINS9_10device_ptrIsEEEESE_SE_sNS9_4plusIsEE19head_flag_predicatesEE10hipError_tPvRmT2_T3_T4_T5_mT6_T7_P12ihipStream_tbENKUlT_T0_E_clISt17integral_constantIbLb0EESX_IbLb1EEEEDaST_SU_EUlST_E_NS1_11comp_targetILNS1_3genE0ELNS1_11target_archE4294967295ELNS1_3gpuE0ELNS1_3repE0EEENS1_30default_config_static_selectorELNS0_4arch9wavefront6targetE1EEEvT1_
	.p2align	8
	.type	_ZN7rocprim17ROCPRIM_400000_NS6detail17trampoline_kernelINS0_14default_configENS1_27scan_by_key_config_selectorIssEEZZNS1_16scan_by_key_implILNS1_25lookback_scan_determinismE0ELb0ES3_N6thrust23THRUST_200600_302600_NS6detail15normal_iteratorINS9_10device_ptrIsEEEESE_SE_sNS9_4plusIsEE19head_flag_predicatesEE10hipError_tPvRmT2_T3_T4_T5_mT6_T7_P12ihipStream_tbENKUlT_T0_E_clISt17integral_constantIbLb0EESX_IbLb1EEEEDaST_SU_EUlST_E_NS1_11comp_targetILNS1_3genE0ELNS1_11target_archE4294967295ELNS1_3gpuE0ELNS1_3repE0EEENS1_30default_config_static_selectorELNS0_4arch9wavefront6targetE1EEEvT1_,@function
_ZN7rocprim17ROCPRIM_400000_NS6detail17trampoline_kernelINS0_14default_configENS1_27scan_by_key_config_selectorIssEEZZNS1_16scan_by_key_implILNS1_25lookback_scan_determinismE0ELb0ES3_N6thrust23THRUST_200600_302600_NS6detail15normal_iteratorINS9_10device_ptrIsEEEESE_SE_sNS9_4plusIsEE19head_flag_predicatesEE10hipError_tPvRmT2_T3_T4_T5_mT6_T7_P12ihipStream_tbENKUlT_T0_E_clISt17integral_constantIbLb0EESX_IbLb1EEEEDaST_SU_EUlST_E_NS1_11comp_targetILNS1_3genE0ELNS1_11target_archE4294967295ELNS1_3gpuE0ELNS1_3repE0EEENS1_30default_config_static_selectorELNS0_4arch9wavefront6targetE1EEEvT1_: ; @_ZN7rocprim17ROCPRIM_400000_NS6detail17trampoline_kernelINS0_14default_configENS1_27scan_by_key_config_selectorIssEEZZNS1_16scan_by_key_implILNS1_25lookback_scan_determinismE0ELb0ES3_N6thrust23THRUST_200600_302600_NS6detail15normal_iteratorINS9_10device_ptrIsEEEESE_SE_sNS9_4plusIsEE19head_flag_predicatesEE10hipError_tPvRmT2_T3_T4_T5_mT6_T7_P12ihipStream_tbENKUlT_T0_E_clISt17integral_constantIbLb0EESX_IbLb1EEEEDaST_SU_EUlST_E_NS1_11comp_targetILNS1_3genE0ELNS1_11target_archE4294967295ELNS1_3gpuE0ELNS1_3repE0EEENS1_30default_config_static_selectorELNS0_4arch9wavefront6targetE1EEEvT1_
; %bb.0:
	.section	.rodata,"a",@progbits
	.p2align	6, 0x0
	.amdhsa_kernel _ZN7rocprim17ROCPRIM_400000_NS6detail17trampoline_kernelINS0_14default_configENS1_27scan_by_key_config_selectorIssEEZZNS1_16scan_by_key_implILNS1_25lookback_scan_determinismE0ELb0ES3_N6thrust23THRUST_200600_302600_NS6detail15normal_iteratorINS9_10device_ptrIsEEEESE_SE_sNS9_4plusIsEE19head_flag_predicatesEE10hipError_tPvRmT2_T3_T4_T5_mT6_T7_P12ihipStream_tbENKUlT_T0_E_clISt17integral_constantIbLb0EESX_IbLb1EEEEDaST_SU_EUlST_E_NS1_11comp_targetILNS1_3genE0ELNS1_11target_archE4294967295ELNS1_3gpuE0ELNS1_3repE0EEENS1_30default_config_static_selectorELNS0_4arch9wavefront6targetE1EEEvT1_
		.amdhsa_group_segment_fixed_size 0
		.amdhsa_private_segment_fixed_size 0
		.amdhsa_kernarg_size 112
		.amdhsa_user_sgpr_count 6
		.amdhsa_user_sgpr_private_segment_buffer 1
		.amdhsa_user_sgpr_dispatch_ptr 0
		.amdhsa_user_sgpr_queue_ptr 0
		.amdhsa_user_sgpr_kernarg_segment_ptr 1
		.amdhsa_user_sgpr_dispatch_id 0
		.amdhsa_user_sgpr_flat_scratch_init 0
		.amdhsa_user_sgpr_kernarg_preload_length 0
		.amdhsa_user_sgpr_kernarg_preload_offset 0
		.amdhsa_user_sgpr_private_segment_size 0
		.amdhsa_uses_dynamic_stack 0
		.amdhsa_system_sgpr_private_segment_wavefront_offset 0
		.amdhsa_system_sgpr_workgroup_id_x 1
		.amdhsa_system_sgpr_workgroup_id_y 0
		.amdhsa_system_sgpr_workgroup_id_z 0
		.amdhsa_system_sgpr_workgroup_info 0
		.amdhsa_system_vgpr_workitem_id 0
		.amdhsa_next_free_vgpr 1
		.amdhsa_next_free_sgpr 0
		.amdhsa_accum_offset 4
		.amdhsa_reserve_vcc 0
		.amdhsa_reserve_flat_scratch 0
		.amdhsa_float_round_mode_32 0
		.amdhsa_float_round_mode_16_64 0
		.amdhsa_float_denorm_mode_32 3
		.amdhsa_float_denorm_mode_16_64 3
		.amdhsa_dx10_clamp 1
		.amdhsa_ieee_mode 1
		.amdhsa_fp16_overflow 0
		.amdhsa_tg_split 0
		.amdhsa_exception_fp_ieee_invalid_op 0
		.amdhsa_exception_fp_denorm_src 0
		.amdhsa_exception_fp_ieee_div_zero 0
		.amdhsa_exception_fp_ieee_overflow 0
		.amdhsa_exception_fp_ieee_underflow 0
		.amdhsa_exception_fp_ieee_inexact 0
		.amdhsa_exception_int_div_zero 0
	.end_amdhsa_kernel
	.section	.text._ZN7rocprim17ROCPRIM_400000_NS6detail17trampoline_kernelINS0_14default_configENS1_27scan_by_key_config_selectorIssEEZZNS1_16scan_by_key_implILNS1_25lookback_scan_determinismE0ELb0ES3_N6thrust23THRUST_200600_302600_NS6detail15normal_iteratorINS9_10device_ptrIsEEEESE_SE_sNS9_4plusIsEE19head_flag_predicatesEE10hipError_tPvRmT2_T3_T4_T5_mT6_T7_P12ihipStream_tbENKUlT_T0_E_clISt17integral_constantIbLb0EESX_IbLb1EEEEDaST_SU_EUlST_E_NS1_11comp_targetILNS1_3genE0ELNS1_11target_archE4294967295ELNS1_3gpuE0ELNS1_3repE0EEENS1_30default_config_static_selectorELNS0_4arch9wavefront6targetE1EEEvT1_,"axG",@progbits,_ZN7rocprim17ROCPRIM_400000_NS6detail17trampoline_kernelINS0_14default_configENS1_27scan_by_key_config_selectorIssEEZZNS1_16scan_by_key_implILNS1_25lookback_scan_determinismE0ELb0ES3_N6thrust23THRUST_200600_302600_NS6detail15normal_iteratorINS9_10device_ptrIsEEEESE_SE_sNS9_4plusIsEE19head_flag_predicatesEE10hipError_tPvRmT2_T3_T4_T5_mT6_T7_P12ihipStream_tbENKUlT_T0_E_clISt17integral_constantIbLb0EESX_IbLb1EEEEDaST_SU_EUlST_E_NS1_11comp_targetILNS1_3genE0ELNS1_11target_archE4294967295ELNS1_3gpuE0ELNS1_3repE0EEENS1_30default_config_static_selectorELNS0_4arch9wavefront6targetE1EEEvT1_,comdat
.Lfunc_end848:
	.size	_ZN7rocprim17ROCPRIM_400000_NS6detail17trampoline_kernelINS0_14default_configENS1_27scan_by_key_config_selectorIssEEZZNS1_16scan_by_key_implILNS1_25lookback_scan_determinismE0ELb0ES3_N6thrust23THRUST_200600_302600_NS6detail15normal_iteratorINS9_10device_ptrIsEEEESE_SE_sNS9_4plusIsEE19head_flag_predicatesEE10hipError_tPvRmT2_T3_T4_T5_mT6_T7_P12ihipStream_tbENKUlT_T0_E_clISt17integral_constantIbLb0EESX_IbLb1EEEEDaST_SU_EUlST_E_NS1_11comp_targetILNS1_3genE0ELNS1_11target_archE4294967295ELNS1_3gpuE0ELNS1_3repE0EEENS1_30default_config_static_selectorELNS0_4arch9wavefront6targetE1EEEvT1_, .Lfunc_end848-_ZN7rocprim17ROCPRIM_400000_NS6detail17trampoline_kernelINS0_14default_configENS1_27scan_by_key_config_selectorIssEEZZNS1_16scan_by_key_implILNS1_25lookback_scan_determinismE0ELb0ES3_N6thrust23THRUST_200600_302600_NS6detail15normal_iteratorINS9_10device_ptrIsEEEESE_SE_sNS9_4plusIsEE19head_flag_predicatesEE10hipError_tPvRmT2_T3_T4_T5_mT6_T7_P12ihipStream_tbENKUlT_T0_E_clISt17integral_constantIbLb0EESX_IbLb1EEEEDaST_SU_EUlST_E_NS1_11comp_targetILNS1_3genE0ELNS1_11target_archE4294967295ELNS1_3gpuE0ELNS1_3repE0EEENS1_30default_config_static_selectorELNS0_4arch9wavefront6targetE1EEEvT1_
                                        ; -- End function
	.section	.AMDGPU.csdata,"",@progbits
; Kernel info:
; codeLenInByte = 0
; NumSgprs: 4
; NumVgprs: 0
; NumAgprs: 0
; TotalNumVgprs: 0
; ScratchSize: 0
; MemoryBound: 0
; FloatMode: 240
; IeeeMode: 1
; LDSByteSize: 0 bytes/workgroup (compile time only)
; SGPRBlocks: 0
; VGPRBlocks: 0
; NumSGPRsForWavesPerEU: 4
; NumVGPRsForWavesPerEU: 1
; AccumOffset: 4
; Occupancy: 8
; WaveLimiterHint : 0
; COMPUTE_PGM_RSRC2:SCRATCH_EN: 0
; COMPUTE_PGM_RSRC2:USER_SGPR: 6
; COMPUTE_PGM_RSRC2:TRAP_HANDLER: 0
; COMPUTE_PGM_RSRC2:TGID_X_EN: 1
; COMPUTE_PGM_RSRC2:TGID_Y_EN: 0
; COMPUTE_PGM_RSRC2:TGID_Z_EN: 0
; COMPUTE_PGM_RSRC2:TIDIG_COMP_CNT: 0
; COMPUTE_PGM_RSRC3_GFX90A:ACCUM_OFFSET: 0
; COMPUTE_PGM_RSRC3_GFX90A:TG_SPLIT: 0
	.section	.text._ZN7rocprim17ROCPRIM_400000_NS6detail17trampoline_kernelINS0_14default_configENS1_27scan_by_key_config_selectorIssEEZZNS1_16scan_by_key_implILNS1_25lookback_scan_determinismE0ELb0ES3_N6thrust23THRUST_200600_302600_NS6detail15normal_iteratorINS9_10device_ptrIsEEEESE_SE_sNS9_4plusIsEE19head_flag_predicatesEE10hipError_tPvRmT2_T3_T4_T5_mT6_T7_P12ihipStream_tbENKUlT_T0_E_clISt17integral_constantIbLb0EESX_IbLb1EEEEDaST_SU_EUlST_E_NS1_11comp_targetILNS1_3genE10ELNS1_11target_archE1201ELNS1_3gpuE5ELNS1_3repE0EEENS1_30default_config_static_selectorELNS0_4arch9wavefront6targetE1EEEvT1_,"axG",@progbits,_ZN7rocprim17ROCPRIM_400000_NS6detail17trampoline_kernelINS0_14default_configENS1_27scan_by_key_config_selectorIssEEZZNS1_16scan_by_key_implILNS1_25lookback_scan_determinismE0ELb0ES3_N6thrust23THRUST_200600_302600_NS6detail15normal_iteratorINS9_10device_ptrIsEEEESE_SE_sNS9_4plusIsEE19head_flag_predicatesEE10hipError_tPvRmT2_T3_T4_T5_mT6_T7_P12ihipStream_tbENKUlT_T0_E_clISt17integral_constantIbLb0EESX_IbLb1EEEEDaST_SU_EUlST_E_NS1_11comp_targetILNS1_3genE10ELNS1_11target_archE1201ELNS1_3gpuE5ELNS1_3repE0EEENS1_30default_config_static_selectorELNS0_4arch9wavefront6targetE1EEEvT1_,comdat
	.protected	_ZN7rocprim17ROCPRIM_400000_NS6detail17trampoline_kernelINS0_14default_configENS1_27scan_by_key_config_selectorIssEEZZNS1_16scan_by_key_implILNS1_25lookback_scan_determinismE0ELb0ES3_N6thrust23THRUST_200600_302600_NS6detail15normal_iteratorINS9_10device_ptrIsEEEESE_SE_sNS9_4plusIsEE19head_flag_predicatesEE10hipError_tPvRmT2_T3_T4_T5_mT6_T7_P12ihipStream_tbENKUlT_T0_E_clISt17integral_constantIbLb0EESX_IbLb1EEEEDaST_SU_EUlST_E_NS1_11comp_targetILNS1_3genE10ELNS1_11target_archE1201ELNS1_3gpuE5ELNS1_3repE0EEENS1_30default_config_static_selectorELNS0_4arch9wavefront6targetE1EEEvT1_ ; -- Begin function _ZN7rocprim17ROCPRIM_400000_NS6detail17trampoline_kernelINS0_14default_configENS1_27scan_by_key_config_selectorIssEEZZNS1_16scan_by_key_implILNS1_25lookback_scan_determinismE0ELb0ES3_N6thrust23THRUST_200600_302600_NS6detail15normal_iteratorINS9_10device_ptrIsEEEESE_SE_sNS9_4plusIsEE19head_flag_predicatesEE10hipError_tPvRmT2_T3_T4_T5_mT6_T7_P12ihipStream_tbENKUlT_T0_E_clISt17integral_constantIbLb0EESX_IbLb1EEEEDaST_SU_EUlST_E_NS1_11comp_targetILNS1_3genE10ELNS1_11target_archE1201ELNS1_3gpuE5ELNS1_3repE0EEENS1_30default_config_static_selectorELNS0_4arch9wavefront6targetE1EEEvT1_
	.globl	_ZN7rocprim17ROCPRIM_400000_NS6detail17trampoline_kernelINS0_14default_configENS1_27scan_by_key_config_selectorIssEEZZNS1_16scan_by_key_implILNS1_25lookback_scan_determinismE0ELb0ES3_N6thrust23THRUST_200600_302600_NS6detail15normal_iteratorINS9_10device_ptrIsEEEESE_SE_sNS9_4plusIsEE19head_flag_predicatesEE10hipError_tPvRmT2_T3_T4_T5_mT6_T7_P12ihipStream_tbENKUlT_T0_E_clISt17integral_constantIbLb0EESX_IbLb1EEEEDaST_SU_EUlST_E_NS1_11comp_targetILNS1_3genE10ELNS1_11target_archE1201ELNS1_3gpuE5ELNS1_3repE0EEENS1_30default_config_static_selectorELNS0_4arch9wavefront6targetE1EEEvT1_
	.p2align	8
	.type	_ZN7rocprim17ROCPRIM_400000_NS6detail17trampoline_kernelINS0_14default_configENS1_27scan_by_key_config_selectorIssEEZZNS1_16scan_by_key_implILNS1_25lookback_scan_determinismE0ELb0ES3_N6thrust23THRUST_200600_302600_NS6detail15normal_iteratorINS9_10device_ptrIsEEEESE_SE_sNS9_4plusIsEE19head_flag_predicatesEE10hipError_tPvRmT2_T3_T4_T5_mT6_T7_P12ihipStream_tbENKUlT_T0_E_clISt17integral_constantIbLb0EESX_IbLb1EEEEDaST_SU_EUlST_E_NS1_11comp_targetILNS1_3genE10ELNS1_11target_archE1201ELNS1_3gpuE5ELNS1_3repE0EEENS1_30default_config_static_selectorELNS0_4arch9wavefront6targetE1EEEvT1_,@function
_ZN7rocprim17ROCPRIM_400000_NS6detail17trampoline_kernelINS0_14default_configENS1_27scan_by_key_config_selectorIssEEZZNS1_16scan_by_key_implILNS1_25lookback_scan_determinismE0ELb0ES3_N6thrust23THRUST_200600_302600_NS6detail15normal_iteratorINS9_10device_ptrIsEEEESE_SE_sNS9_4plusIsEE19head_flag_predicatesEE10hipError_tPvRmT2_T3_T4_T5_mT6_T7_P12ihipStream_tbENKUlT_T0_E_clISt17integral_constantIbLb0EESX_IbLb1EEEEDaST_SU_EUlST_E_NS1_11comp_targetILNS1_3genE10ELNS1_11target_archE1201ELNS1_3gpuE5ELNS1_3repE0EEENS1_30default_config_static_selectorELNS0_4arch9wavefront6targetE1EEEvT1_: ; @_ZN7rocprim17ROCPRIM_400000_NS6detail17trampoline_kernelINS0_14default_configENS1_27scan_by_key_config_selectorIssEEZZNS1_16scan_by_key_implILNS1_25lookback_scan_determinismE0ELb0ES3_N6thrust23THRUST_200600_302600_NS6detail15normal_iteratorINS9_10device_ptrIsEEEESE_SE_sNS9_4plusIsEE19head_flag_predicatesEE10hipError_tPvRmT2_T3_T4_T5_mT6_T7_P12ihipStream_tbENKUlT_T0_E_clISt17integral_constantIbLb0EESX_IbLb1EEEEDaST_SU_EUlST_E_NS1_11comp_targetILNS1_3genE10ELNS1_11target_archE1201ELNS1_3gpuE5ELNS1_3repE0EEENS1_30default_config_static_selectorELNS0_4arch9wavefront6targetE1EEEvT1_
; %bb.0:
	.section	.rodata,"a",@progbits
	.p2align	6, 0x0
	.amdhsa_kernel _ZN7rocprim17ROCPRIM_400000_NS6detail17trampoline_kernelINS0_14default_configENS1_27scan_by_key_config_selectorIssEEZZNS1_16scan_by_key_implILNS1_25lookback_scan_determinismE0ELb0ES3_N6thrust23THRUST_200600_302600_NS6detail15normal_iteratorINS9_10device_ptrIsEEEESE_SE_sNS9_4plusIsEE19head_flag_predicatesEE10hipError_tPvRmT2_T3_T4_T5_mT6_T7_P12ihipStream_tbENKUlT_T0_E_clISt17integral_constantIbLb0EESX_IbLb1EEEEDaST_SU_EUlST_E_NS1_11comp_targetILNS1_3genE10ELNS1_11target_archE1201ELNS1_3gpuE5ELNS1_3repE0EEENS1_30default_config_static_selectorELNS0_4arch9wavefront6targetE1EEEvT1_
		.amdhsa_group_segment_fixed_size 0
		.amdhsa_private_segment_fixed_size 0
		.amdhsa_kernarg_size 112
		.amdhsa_user_sgpr_count 6
		.amdhsa_user_sgpr_private_segment_buffer 1
		.amdhsa_user_sgpr_dispatch_ptr 0
		.amdhsa_user_sgpr_queue_ptr 0
		.amdhsa_user_sgpr_kernarg_segment_ptr 1
		.amdhsa_user_sgpr_dispatch_id 0
		.amdhsa_user_sgpr_flat_scratch_init 0
		.amdhsa_user_sgpr_kernarg_preload_length 0
		.amdhsa_user_sgpr_kernarg_preload_offset 0
		.amdhsa_user_sgpr_private_segment_size 0
		.amdhsa_uses_dynamic_stack 0
		.amdhsa_system_sgpr_private_segment_wavefront_offset 0
		.amdhsa_system_sgpr_workgroup_id_x 1
		.amdhsa_system_sgpr_workgroup_id_y 0
		.amdhsa_system_sgpr_workgroup_id_z 0
		.amdhsa_system_sgpr_workgroup_info 0
		.amdhsa_system_vgpr_workitem_id 0
		.amdhsa_next_free_vgpr 1
		.amdhsa_next_free_sgpr 0
		.amdhsa_accum_offset 4
		.amdhsa_reserve_vcc 0
		.amdhsa_reserve_flat_scratch 0
		.amdhsa_float_round_mode_32 0
		.amdhsa_float_round_mode_16_64 0
		.amdhsa_float_denorm_mode_32 3
		.amdhsa_float_denorm_mode_16_64 3
		.amdhsa_dx10_clamp 1
		.amdhsa_ieee_mode 1
		.amdhsa_fp16_overflow 0
		.amdhsa_tg_split 0
		.amdhsa_exception_fp_ieee_invalid_op 0
		.amdhsa_exception_fp_denorm_src 0
		.amdhsa_exception_fp_ieee_div_zero 0
		.amdhsa_exception_fp_ieee_overflow 0
		.amdhsa_exception_fp_ieee_underflow 0
		.amdhsa_exception_fp_ieee_inexact 0
		.amdhsa_exception_int_div_zero 0
	.end_amdhsa_kernel
	.section	.text._ZN7rocprim17ROCPRIM_400000_NS6detail17trampoline_kernelINS0_14default_configENS1_27scan_by_key_config_selectorIssEEZZNS1_16scan_by_key_implILNS1_25lookback_scan_determinismE0ELb0ES3_N6thrust23THRUST_200600_302600_NS6detail15normal_iteratorINS9_10device_ptrIsEEEESE_SE_sNS9_4plusIsEE19head_flag_predicatesEE10hipError_tPvRmT2_T3_T4_T5_mT6_T7_P12ihipStream_tbENKUlT_T0_E_clISt17integral_constantIbLb0EESX_IbLb1EEEEDaST_SU_EUlST_E_NS1_11comp_targetILNS1_3genE10ELNS1_11target_archE1201ELNS1_3gpuE5ELNS1_3repE0EEENS1_30default_config_static_selectorELNS0_4arch9wavefront6targetE1EEEvT1_,"axG",@progbits,_ZN7rocprim17ROCPRIM_400000_NS6detail17trampoline_kernelINS0_14default_configENS1_27scan_by_key_config_selectorIssEEZZNS1_16scan_by_key_implILNS1_25lookback_scan_determinismE0ELb0ES3_N6thrust23THRUST_200600_302600_NS6detail15normal_iteratorINS9_10device_ptrIsEEEESE_SE_sNS9_4plusIsEE19head_flag_predicatesEE10hipError_tPvRmT2_T3_T4_T5_mT6_T7_P12ihipStream_tbENKUlT_T0_E_clISt17integral_constantIbLb0EESX_IbLb1EEEEDaST_SU_EUlST_E_NS1_11comp_targetILNS1_3genE10ELNS1_11target_archE1201ELNS1_3gpuE5ELNS1_3repE0EEENS1_30default_config_static_selectorELNS0_4arch9wavefront6targetE1EEEvT1_,comdat
.Lfunc_end849:
	.size	_ZN7rocprim17ROCPRIM_400000_NS6detail17trampoline_kernelINS0_14default_configENS1_27scan_by_key_config_selectorIssEEZZNS1_16scan_by_key_implILNS1_25lookback_scan_determinismE0ELb0ES3_N6thrust23THRUST_200600_302600_NS6detail15normal_iteratorINS9_10device_ptrIsEEEESE_SE_sNS9_4plusIsEE19head_flag_predicatesEE10hipError_tPvRmT2_T3_T4_T5_mT6_T7_P12ihipStream_tbENKUlT_T0_E_clISt17integral_constantIbLb0EESX_IbLb1EEEEDaST_SU_EUlST_E_NS1_11comp_targetILNS1_3genE10ELNS1_11target_archE1201ELNS1_3gpuE5ELNS1_3repE0EEENS1_30default_config_static_selectorELNS0_4arch9wavefront6targetE1EEEvT1_, .Lfunc_end849-_ZN7rocprim17ROCPRIM_400000_NS6detail17trampoline_kernelINS0_14default_configENS1_27scan_by_key_config_selectorIssEEZZNS1_16scan_by_key_implILNS1_25lookback_scan_determinismE0ELb0ES3_N6thrust23THRUST_200600_302600_NS6detail15normal_iteratorINS9_10device_ptrIsEEEESE_SE_sNS9_4plusIsEE19head_flag_predicatesEE10hipError_tPvRmT2_T3_T4_T5_mT6_T7_P12ihipStream_tbENKUlT_T0_E_clISt17integral_constantIbLb0EESX_IbLb1EEEEDaST_SU_EUlST_E_NS1_11comp_targetILNS1_3genE10ELNS1_11target_archE1201ELNS1_3gpuE5ELNS1_3repE0EEENS1_30default_config_static_selectorELNS0_4arch9wavefront6targetE1EEEvT1_
                                        ; -- End function
	.section	.AMDGPU.csdata,"",@progbits
; Kernel info:
; codeLenInByte = 0
; NumSgprs: 4
; NumVgprs: 0
; NumAgprs: 0
; TotalNumVgprs: 0
; ScratchSize: 0
; MemoryBound: 0
; FloatMode: 240
; IeeeMode: 1
; LDSByteSize: 0 bytes/workgroup (compile time only)
; SGPRBlocks: 0
; VGPRBlocks: 0
; NumSGPRsForWavesPerEU: 4
; NumVGPRsForWavesPerEU: 1
; AccumOffset: 4
; Occupancy: 8
; WaveLimiterHint : 0
; COMPUTE_PGM_RSRC2:SCRATCH_EN: 0
; COMPUTE_PGM_RSRC2:USER_SGPR: 6
; COMPUTE_PGM_RSRC2:TRAP_HANDLER: 0
; COMPUTE_PGM_RSRC2:TGID_X_EN: 1
; COMPUTE_PGM_RSRC2:TGID_Y_EN: 0
; COMPUTE_PGM_RSRC2:TGID_Z_EN: 0
; COMPUTE_PGM_RSRC2:TIDIG_COMP_CNT: 0
; COMPUTE_PGM_RSRC3_GFX90A:ACCUM_OFFSET: 0
; COMPUTE_PGM_RSRC3_GFX90A:TG_SPLIT: 0
	.section	.text._ZN7rocprim17ROCPRIM_400000_NS6detail17trampoline_kernelINS0_14default_configENS1_27scan_by_key_config_selectorIssEEZZNS1_16scan_by_key_implILNS1_25lookback_scan_determinismE0ELb0ES3_N6thrust23THRUST_200600_302600_NS6detail15normal_iteratorINS9_10device_ptrIsEEEESE_SE_sNS9_4plusIsEE19head_flag_predicatesEE10hipError_tPvRmT2_T3_T4_T5_mT6_T7_P12ihipStream_tbENKUlT_T0_E_clISt17integral_constantIbLb0EESX_IbLb1EEEEDaST_SU_EUlST_E_NS1_11comp_targetILNS1_3genE5ELNS1_11target_archE942ELNS1_3gpuE9ELNS1_3repE0EEENS1_30default_config_static_selectorELNS0_4arch9wavefront6targetE1EEEvT1_,"axG",@progbits,_ZN7rocprim17ROCPRIM_400000_NS6detail17trampoline_kernelINS0_14default_configENS1_27scan_by_key_config_selectorIssEEZZNS1_16scan_by_key_implILNS1_25lookback_scan_determinismE0ELb0ES3_N6thrust23THRUST_200600_302600_NS6detail15normal_iteratorINS9_10device_ptrIsEEEESE_SE_sNS9_4plusIsEE19head_flag_predicatesEE10hipError_tPvRmT2_T3_T4_T5_mT6_T7_P12ihipStream_tbENKUlT_T0_E_clISt17integral_constantIbLb0EESX_IbLb1EEEEDaST_SU_EUlST_E_NS1_11comp_targetILNS1_3genE5ELNS1_11target_archE942ELNS1_3gpuE9ELNS1_3repE0EEENS1_30default_config_static_selectorELNS0_4arch9wavefront6targetE1EEEvT1_,comdat
	.protected	_ZN7rocprim17ROCPRIM_400000_NS6detail17trampoline_kernelINS0_14default_configENS1_27scan_by_key_config_selectorIssEEZZNS1_16scan_by_key_implILNS1_25lookback_scan_determinismE0ELb0ES3_N6thrust23THRUST_200600_302600_NS6detail15normal_iteratorINS9_10device_ptrIsEEEESE_SE_sNS9_4plusIsEE19head_flag_predicatesEE10hipError_tPvRmT2_T3_T4_T5_mT6_T7_P12ihipStream_tbENKUlT_T0_E_clISt17integral_constantIbLb0EESX_IbLb1EEEEDaST_SU_EUlST_E_NS1_11comp_targetILNS1_3genE5ELNS1_11target_archE942ELNS1_3gpuE9ELNS1_3repE0EEENS1_30default_config_static_selectorELNS0_4arch9wavefront6targetE1EEEvT1_ ; -- Begin function _ZN7rocprim17ROCPRIM_400000_NS6detail17trampoline_kernelINS0_14default_configENS1_27scan_by_key_config_selectorIssEEZZNS1_16scan_by_key_implILNS1_25lookback_scan_determinismE0ELb0ES3_N6thrust23THRUST_200600_302600_NS6detail15normal_iteratorINS9_10device_ptrIsEEEESE_SE_sNS9_4plusIsEE19head_flag_predicatesEE10hipError_tPvRmT2_T3_T4_T5_mT6_T7_P12ihipStream_tbENKUlT_T0_E_clISt17integral_constantIbLb0EESX_IbLb1EEEEDaST_SU_EUlST_E_NS1_11comp_targetILNS1_3genE5ELNS1_11target_archE942ELNS1_3gpuE9ELNS1_3repE0EEENS1_30default_config_static_selectorELNS0_4arch9wavefront6targetE1EEEvT1_
	.globl	_ZN7rocprim17ROCPRIM_400000_NS6detail17trampoline_kernelINS0_14default_configENS1_27scan_by_key_config_selectorIssEEZZNS1_16scan_by_key_implILNS1_25lookback_scan_determinismE0ELb0ES3_N6thrust23THRUST_200600_302600_NS6detail15normal_iteratorINS9_10device_ptrIsEEEESE_SE_sNS9_4plusIsEE19head_flag_predicatesEE10hipError_tPvRmT2_T3_T4_T5_mT6_T7_P12ihipStream_tbENKUlT_T0_E_clISt17integral_constantIbLb0EESX_IbLb1EEEEDaST_SU_EUlST_E_NS1_11comp_targetILNS1_3genE5ELNS1_11target_archE942ELNS1_3gpuE9ELNS1_3repE0EEENS1_30default_config_static_selectorELNS0_4arch9wavefront6targetE1EEEvT1_
	.p2align	8
	.type	_ZN7rocprim17ROCPRIM_400000_NS6detail17trampoline_kernelINS0_14default_configENS1_27scan_by_key_config_selectorIssEEZZNS1_16scan_by_key_implILNS1_25lookback_scan_determinismE0ELb0ES3_N6thrust23THRUST_200600_302600_NS6detail15normal_iteratorINS9_10device_ptrIsEEEESE_SE_sNS9_4plusIsEE19head_flag_predicatesEE10hipError_tPvRmT2_T3_T4_T5_mT6_T7_P12ihipStream_tbENKUlT_T0_E_clISt17integral_constantIbLb0EESX_IbLb1EEEEDaST_SU_EUlST_E_NS1_11comp_targetILNS1_3genE5ELNS1_11target_archE942ELNS1_3gpuE9ELNS1_3repE0EEENS1_30default_config_static_selectorELNS0_4arch9wavefront6targetE1EEEvT1_,@function
_ZN7rocprim17ROCPRIM_400000_NS6detail17trampoline_kernelINS0_14default_configENS1_27scan_by_key_config_selectorIssEEZZNS1_16scan_by_key_implILNS1_25lookback_scan_determinismE0ELb0ES3_N6thrust23THRUST_200600_302600_NS6detail15normal_iteratorINS9_10device_ptrIsEEEESE_SE_sNS9_4plusIsEE19head_flag_predicatesEE10hipError_tPvRmT2_T3_T4_T5_mT6_T7_P12ihipStream_tbENKUlT_T0_E_clISt17integral_constantIbLb0EESX_IbLb1EEEEDaST_SU_EUlST_E_NS1_11comp_targetILNS1_3genE5ELNS1_11target_archE942ELNS1_3gpuE9ELNS1_3repE0EEENS1_30default_config_static_selectorELNS0_4arch9wavefront6targetE1EEEvT1_: ; @_ZN7rocprim17ROCPRIM_400000_NS6detail17trampoline_kernelINS0_14default_configENS1_27scan_by_key_config_selectorIssEEZZNS1_16scan_by_key_implILNS1_25lookback_scan_determinismE0ELb0ES3_N6thrust23THRUST_200600_302600_NS6detail15normal_iteratorINS9_10device_ptrIsEEEESE_SE_sNS9_4plusIsEE19head_flag_predicatesEE10hipError_tPvRmT2_T3_T4_T5_mT6_T7_P12ihipStream_tbENKUlT_T0_E_clISt17integral_constantIbLb0EESX_IbLb1EEEEDaST_SU_EUlST_E_NS1_11comp_targetILNS1_3genE5ELNS1_11target_archE942ELNS1_3gpuE9ELNS1_3repE0EEENS1_30default_config_static_selectorELNS0_4arch9wavefront6targetE1EEEvT1_
; %bb.0:
	.section	.rodata,"a",@progbits
	.p2align	6, 0x0
	.amdhsa_kernel _ZN7rocprim17ROCPRIM_400000_NS6detail17trampoline_kernelINS0_14default_configENS1_27scan_by_key_config_selectorIssEEZZNS1_16scan_by_key_implILNS1_25lookback_scan_determinismE0ELb0ES3_N6thrust23THRUST_200600_302600_NS6detail15normal_iteratorINS9_10device_ptrIsEEEESE_SE_sNS9_4plusIsEE19head_flag_predicatesEE10hipError_tPvRmT2_T3_T4_T5_mT6_T7_P12ihipStream_tbENKUlT_T0_E_clISt17integral_constantIbLb0EESX_IbLb1EEEEDaST_SU_EUlST_E_NS1_11comp_targetILNS1_3genE5ELNS1_11target_archE942ELNS1_3gpuE9ELNS1_3repE0EEENS1_30default_config_static_selectorELNS0_4arch9wavefront6targetE1EEEvT1_
		.amdhsa_group_segment_fixed_size 0
		.amdhsa_private_segment_fixed_size 0
		.amdhsa_kernarg_size 112
		.amdhsa_user_sgpr_count 6
		.amdhsa_user_sgpr_private_segment_buffer 1
		.amdhsa_user_sgpr_dispatch_ptr 0
		.amdhsa_user_sgpr_queue_ptr 0
		.amdhsa_user_sgpr_kernarg_segment_ptr 1
		.amdhsa_user_sgpr_dispatch_id 0
		.amdhsa_user_sgpr_flat_scratch_init 0
		.amdhsa_user_sgpr_kernarg_preload_length 0
		.amdhsa_user_sgpr_kernarg_preload_offset 0
		.amdhsa_user_sgpr_private_segment_size 0
		.amdhsa_uses_dynamic_stack 0
		.amdhsa_system_sgpr_private_segment_wavefront_offset 0
		.amdhsa_system_sgpr_workgroup_id_x 1
		.amdhsa_system_sgpr_workgroup_id_y 0
		.amdhsa_system_sgpr_workgroup_id_z 0
		.amdhsa_system_sgpr_workgroup_info 0
		.amdhsa_system_vgpr_workitem_id 0
		.amdhsa_next_free_vgpr 1
		.amdhsa_next_free_sgpr 0
		.amdhsa_accum_offset 4
		.amdhsa_reserve_vcc 0
		.amdhsa_reserve_flat_scratch 0
		.amdhsa_float_round_mode_32 0
		.amdhsa_float_round_mode_16_64 0
		.amdhsa_float_denorm_mode_32 3
		.amdhsa_float_denorm_mode_16_64 3
		.amdhsa_dx10_clamp 1
		.amdhsa_ieee_mode 1
		.amdhsa_fp16_overflow 0
		.amdhsa_tg_split 0
		.amdhsa_exception_fp_ieee_invalid_op 0
		.amdhsa_exception_fp_denorm_src 0
		.amdhsa_exception_fp_ieee_div_zero 0
		.amdhsa_exception_fp_ieee_overflow 0
		.amdhsa_exception_fp_ieee_underflow 0
		.amdhsa_exception_fp_ieee_inexact 0
		.amdhsa_exception_int_div_zero 0
	.end_amdhsa_kernel
	.section	.text._ZN7rocprim17ROCPRIM_400000_NS6detail17trampoline_kernelINS0_14default_configENS1_27scan_by_key_config_selectorIssEEZZNS1_16scan_by_key_implILNS1_25lookback_scan_determinismE0ELb0ES3_N6thrust23THRUST_200600_302600_NS6detail15normal_iteratorINS9_10device_ptrIsEEEESE_SE_sNS9_4plusIsEE19head_flag_predicatesEE10hipError_tPvRmT2_T3_T4_T5_mT6_T7_P12ihipStream_tbENKUlT_T0_E_clISt17integral_constantIbLb0EESX_IbLb1EEEEDaST_SU_EUlST_E_NS1_11comp_targetILNS1_3genE5ELNS1_11target_archE942ELNS1_3gpuE9ELNS1_3repE0EEENS1_30default_config_static_selectorELNS0_4arch9wavefront6targetE1EEEvT1_,"axG",@progbits,_ZN7rocprim17ROCPRIM_400000_NS6detail17trampoline_kernelINS0_14default_configENS1_27scan_by_key_config_selectorIssEEZZNS1_16scan_by_key_implILNS1_25lookback_scan_determinismE0ELb0ES3_N6thrust23THRUST_200600_302600_NS6detail15normal_iteratorINS9_10device_ptrIsEEEESE_SE_sNS9_4plusIsEE19head_flag_predicatesEE10hipError_tPvRmT2_T3_T4_T5_mT6_T7_P12ihipStream_tbENKUlT_T0_E_clISt17integral_constantIbLb0EESX_IbLb1EEEEDaST_SU_EUlST_E_NS1_11comp_targetILNS1_3genE5ELNS1_11target_archE942ELNS1_3gpuE9ELNS1_3repE0EEENS1_30default_config_static_selectorELNS0_4arch9wavefront6targetE1EEEvT1_,comdat
.Lfunc_end850:
	.size	_ZN7rocprim17ROCPRIM_400000_NS6detail17trampoline_kernelINS0_14default_configENS1_27scan_by_key_config_selectorIssEEZZNS1_16scan_by_key_implILNS1_25lookback_scan_determinismE0ELb0ES3_N6thrust23THRUST_200600_302600_NS6detail15normal_iteratorINS9_10device_ptrIsEEEESE_SE_sNS9_4plusIsEE19head_flag_predicatesEE10hipError_tPvRmT2_T3_T4_T5_mT6_T7_P12ihipStream_tbENKUlT_T0_E_clISt17integral_constantIbLb0EESX_IbLb1EEEEDaST_SU_EUlST_E_NS1_11comp_targetILNS1_3genE5ELNS1_11target_archE942ELNS1_3gpuE9ELNS1_3repE0EEENS1_30default_config_static_selectorELNS0_4arch9wavefront6targetE1EEEvT1_, .Lfunc_end850-_ZN7rocprim17ROCPRIM_400000_NS6detail17trampoline_kernelINS0_14default_configENS1_27scan_by_key_config_selectorIssEEZZNS1_16scan_by_key_implILNS1_25lookback_scan_determinismE0ELb0ES3_N6thrust23THRUST_200600_302600_NS6detail15normal_iteratorINS9_10device_ptrIsEEEESE_SE_sNS9_4plusIsEE19head_flag_predicatesEE10hipError_tPvRmT2_T3_T4_T5_mT6_T7_P12ihipStream_tbENKUlT_T0_E_clISt17integral_constantIbLb0EESX_IbLb1EEEEDaST_SU_EUlST_E_NS1_11comp_targetILNS1_3genE5ELNS1_11target_archE942ELNS1_3gpuE9ELNS1_3repE0EEENS1_30default_config_static_selectorELNS0_4arch9wavefront6targetE1EEEvT1_
                                        ; -- End function
	.section	.AMDGPU.csdata,"",@progbits
; Kernel info:
; codeLenInByte = 0
; NumSgprs: 4
; NumVgprs: 0
; NumAgprs: 0
; TotalNumVgprs: 0
; ScratchSize: 0
; MemoryBound: 0
; FloatMode: 240
; IeeeMode: 1
; LDSByteSize: 0 bytes/workgroup (compile time only)
; SGPRBlocks: 0
; VGPRBlocks: 0
; NumSGPRsForWavesPerEU: 4
; NumVGPRsForWavesPerEU: 1
; AccumOffset: 4
; Occupancy: 8
; WaveLimiterHint : 0
; COMPUTE_PGM_RSRC2:SCRATCH_EN: 0
; COMPUTE_PGM_RSRC2:USER_SGPR: 6
; COMPUTE_PGM_RSRC2:TRAP_HANDLER: 0
; COMPUTE_PGM_RSRC2:TGID_X_EN: 1
; COMPUTE_PGM_RSRC2:TGID_Y_EN: 0
; COMPUTE_PGM_RSRC2:TGID_Z_EN: 0
; COMPUTE_PGM_RSRC2:TIDIG_COMP_CNT: 0
; COMPUTE_PGM_RSRC3_GFX90A:ACCUM_OFFSET: 0
; COMPUTE_PGM_RSRC3_GFX90A:TG_SPLIT: 0
	.section	.text._ZN7rocprim17ROCPRIM_400000_NS6detail17trampoline_kernelINS0_14default_configENS1_27scan_by_key_config_selectorIssEEZZNS1_16scan_by_key_implILNS1_25lookback_scan_determinismE0ELb0ES3_N6thrust23THRUST_200600_302600_NS6detail15normal_iteratorINS9_10device_ptrIsEEEESE_SE_sNS9_4plusIsEE19head_flag_predicatesEE10hipError_tPvRmT2_T3_T4_T5_mT6_T7_P12ihipStream_tbENKUlT_T0_E_clISt17integral_constantIbLb0EESX_IbLb1EEEEDaST_SU_EUlST_E_NS1_11comp_targetILNS1_3genE4ELNS1_11target_archE910ELNS1_3gpuE8ELNS1_3repE0EEENS1_30default_config_static_selectorELNS0_4arch9wavefront6targetE1EEEvT1_,"axG",@progbits,_ZN7rocprim17ROCPRIM_400000_NS6detail17trampoline_kernelINS0_14default_configENS1_27scan_by_key_config_selectorIssEEZZNS1_16scan_by_key_implILNS1_25lookback_scan_determinismE0ELb0ES3_N6thrust23THRUST_200600_302600_NS6detail15normal_iteratorINS9_10device_ptrIsEEEESE_SE_sNS9_4plusIsEE19head_flag_predicatesEE10hipError_tPvRmT2_T3_T4_T5_mT6_T7_P12ihipStream_tbENKUlT_T0_E_clISt17integral_constantIbLb0EESX_IbLb1EEEEDaST_SU_EUlST_E_NS1_11comp_targetILNS1_3genE4ELNS1_11target_archE910ELNS1_3gpuE8ELNS1_3repE0EEENS1_30default_config_static_selectorELNS0_4arch9wavefront6targetE1EEEvT1_,comdat
	.protected	_ZN7rocprim17ROCPRIM_400000_NS6detail17trampoline_kernelINS0_14default_configENS1_27scan_by_key_config_selectorIssEEZZNS1_16scan_by_key_implILNS1_25lookback_scan_determinismE0ELb0ES3_N6thrust23THRUST_200600_302600_NS6detail15normal_iteratorINS9_10device_ptrIsEEEESE_SE_sNS9_4plusIsEE19head_flag_predicatesEE10hipError_tPvRmT2_T3_T4_T5_mT6_T7_P12ihipStream_tbENKUlT_T0_E_clISt17integral_constantIbLb0EESX_IbLb1EEEEDaST_SU_EUlST_E_NS1_11comp_targetILNS1_3genE4ELNS1_11target_archE910ELNS1_3gpuE8ELNS1_3repE0EEENS1_30default_config_static_selectorELNS0_4arch9wavefront6targetE1EEEvT1_ ; -- Begin function _ZN7rocprim17ROCPRIM_400000_NS6detail17trampoline_kernelINS0_14default_configENS1_27scan_by_key_config_selectorIssEEZZNS1_16scan_by_key_implILNS1_25lookback_scan_determinismE0ELb0ES3_N6thrust23THRUST_200600_302600_NS6detail15normal_iteratorINS9_10device_ptrIsEEEESE_SE_sNS9_4plusIsEE19head_flag_predicatesEE10hipError_tPvRmT2_T3_T4_T5_mT6_T7_P12ihipStream_tbENKUlT_T0_E_clISt17integral_constantIbLb0EESX_IbLb1EEEEDaST_SU_EUlST_E_NS1_11comp_targetILNS1_3genE4ELNS1_11target_archE910ELNS1_3gpuE8ELNS1_3repE0EEENS1_30default_config_static_selectorELNS0_4arch9wavefront6targetE1EEEvT1_
	.globl	_ZN7rocprim17ROCPRIM_400000_NS6detail17trampoline_kernelINS0_14default_configENS1_27scan_by_key_config_selectorIssEEZZNS1_16scan_by_key_implILNS1_25lookback_scan_determinismE0ELb0ES3_N6thrust23THRUST_200600_302600_NS6detail15normal_iteratorINS9_10device_ptrIsEEEESE_SE_sNS9_4plusIsEE19head_flag_predicatesEE10hipError_tPvRmT2_T3_T4_T5_mT6_T7_P12ihipStream_tbENKUlT_T0_E_clISt17integral_constantIbLb0EESX_IbLb1EEEEDaST_SU_EUlST_E_NS1_11comp_targetILNS1_3genE4ELNS1_11target_archE910ELNS1_3gpuE8ELNS1_3repE0EEENS1_30default_config_static_selectorELNS0_4arch9wavefront6targetE1EEEvT1_
	.p2align	8
	.type	_ZN7rocprim17ROCPRIM_400000_NS6detail17trampoline_kernelINS0_14default_configENS1_27scan_by_key_config_selectorIssEEZZNS1_16scan_by_key_implILNS1_25lookback_scan_determinismE0ELb0ES3_N6thrust23THRUST_200600_302600_NS6detail15normal_iteratorINS9_10device_ptrIsEEEESE_SE_sNS9_4plusIsEE19head_flag_predicatesEE10hipError_tPvRmT2_T3_T4_T5_mT6_T7_P12ihipStream_tbENKUlT_T0_E_clISt17integral_constantIbLb0EESX_IbLb1EEEEDaST_SU_EUlST_E_NS1_11comp_targetILNS1_3genE4ELNS1_11target_archE910ELNS1_3gpuE8ELNS1_3repE0EEENS1_30default_config_static_selectorELNS0_4arch9wavefront6targetE1EEEvT1_,@function
_ZN7rocprim17ROCPRIM_400000_NS6detail17trampoline_kernelINS0_14default_configENS1_27scan_by_key_config_selectorIssEEZZNS1_16scan_by_key_implILNS1_25lookback_scan_determinismE0ELb0ES3_N6thrust23THRUST_200600_302600_NS6detail15normal_iteratorINS9_10device_ptrIsEEEESE_SE_sNS9_4plusIsEE19head_flag_predicatesEE10hipError_tPvRmT2_T3_T4_T5_mT6_T7_P12ihipStream_tbENKUlT_T0_E_clISt17integral_constantIbLb0EESX_IbLb1EEEEDaST_SU_EUlST_E_NS1_11comp_targetILNS1_3genE4ELNS1_11target_archE910ELNS1_3gpuE8ELNS1_3repE0EEENS1_30default_config_static_selectorELNS0_4arch9wavefront6targetE1EEEvT1_: ; @_ZN7rocprim17ROCPRIM_400000_NS6detail17trampoline_kernelINS0_14default_configENS1_27scan_by_key_config_selectorIssEEZZNS1_16scan_by_key_implILNS1_25lookback_scan_determinismE0ELb0ES3_N6thrust23THRUST_200600_302600_NS6detail15normal_iteratorINS9_10device_ptrIsEEEESE_SE_sNS9_4plusIsEE19head_flag_predicatesEE10hipError_tPvRmT2_T3_T4_T5_mT6_T7_P12ihipStream_tbENKUlT_T0_E_clISt17integral_constantIbLb0EESX_IbLb1EEEEDaST_SU_EUlST_E_NS1_11comp_targetILNS1_3genE4ELNS1_11target_archE910ELNS1_3gpuE8ELNS1_3repE0EEENS1_30default_config_static_selectorELNS0_4arch9wavefront6targetE1EEEvT1_
; %bb.0:
	s_load_dwordx4 s[64:67], s[4:5], 0x28
	s_load_dwordx2 s[72:73], s[4:5], 0x38
	v_cmp_ne_u32_e64 s[52:53], 0, v0
	v_cmp_eq_u32_e64 s[0:1], 0, v0
	s_and_saveexec_b64 s[2:3], s[0:1]
	s_cbranch_execz .LBB851_4
; %bb.1:
	s_mov_b64 s[8:9], exec
	v_mbcnt_lo_u32_b32 v1, s8, 0
	v_mbcnt_hi_u32_b32 v1, s9, v1
	v_cmp_eq_u32_e32 vcc, 0, v1
                                        ; implicit-def: $vgpr2
	s_and_saveexec_b64 s[6:7], vcc
	s_cbranch_execz .LBB851_3
; %bb.2:
	s_load_dwordx2 s[10:11], s[4:5], 0x68
	s_bcnt1_i32_b64 s8, s[8:9]
	v_mov_b32_e32 v2, 0
	v_mov_b32_e32 v3, s8
	s_waitcnt lgkmcnt(0)
	global_atomic_add v2, v2, v3, s[10:11] glc
.LBB851_3:
	s_or_b64 exec, exec, s[6:7]
	s_waitcnt vmcnt(0)
	v_readfirstlane_b32 s6, v2
	v_add_u32_e32 v1, s6, v1
	v_mov_b32_e32 v2, 0
	ds_write_b32 v2, v1
.LBB851_4:
	s_or_b64 exec, exec, s[2:3]
	s_load_dwordx8 s[56:63], s[4:5], 0x0
	s_load_dword s2, s[4:5], 0x40
	s_load_dwordx4 s[68:71], s[4:5], 0x48
	v_mov_b32_e32 v1, 0
	s_waitcnt lgkmcnt(0)
	s_barrier
	ds_read_b32 v1, v1
	s_lshl_b64 s[54:55], s[58:59], 1
	s_add_u32 s4, s56, s54
	s_addc_u32 s5, s57, s55
	s_add_u32 s6, s60, s54
	s_mul_i32 s3, s73, s2
	s_mul_hi_u32 s8, s72, s2
	s_waitcnt lgkmcnt(0)
	v_readfirstlane_b32 s67, v1
	s_addc_u32 s7, s61, s55
	s_add_i32 s8, s8, s3
	s_mul_i32 s9, s72, s2
	s_mov_b32 s3, 0
	s_mul_i32 s2, s67, 0x1600
	s_lshl_b64 s[56:57], s[2:3], 1
	s_add_u32 s50, s4, s56
	s_addc_u32 s51, s5, s57
	s_add_u32 s74, s6, s56
	s_addc_u32 s75, s7, s57
	v_mov_b32_e32 v3, s8
	v_add_co_u32_e32 v2, vcc, s9, v1
	s_add_u32 s4, s68, -1
	v_addc_co_u32_e32 v3, vcc, 0, v3, vcc
	s_addc_u32 s5, s69, -1
	v_cmp_le_u64_e64 s[2:3], s[4:5], v[2:3]
	s_mov_b64 s[6:7], -1
	s_and_b64 vcc, exec, s[2:3]
	s_mul_i32 s33, s4, 0xffffea00
	s_barrier
	s_barrier
	s_cbranch_vccz .LBB851_116
; %bb.5:
	v_pk_mov_b32 v[2:3], s[50:51], s[50:51] op_sel:[0,1]
	flat_load_ushort v6, v[2:3]
	s_add_i32 s68, s33, s66
	v_cmp_gt_u32_e32 vcc, s68, v0
	s_waitcnt vmcnt(0) lgkmcnt(0)
	v_mov_b32_e32 v17, v6
	s_and_saveexec_b64 s[6:7], vcc
	s_cbranch_execz .LBB851_7
; %bb.6:
	v_lshlrev_b32_e32 v1, 1, v0
	v_mov_b32_e32 v3, s51
	v_add_co_u32_e64 v2, s[4:5], s50, v1
	v_addc_co_u32_e64 v3, s[4:5], 0, v3, s[4:5]
	flat_load_ushort v17, v[2:3]
.LBB851_7:
	s_or_b64 exec, exec, s[6:7]
	v_or_b32_e32 v1, 0x100, v0
	v_cmp_gt_u32_e64 s[6:7], s68, v1
	v_mov_b32_e32 v18, v6
	s_and_saveexec_b64 s[8:9], s[6:7]
	s_cbranch_execz .LBB851_9
; %bb.8:
	v_lshlrev_b32_e32 v1, 1, v0
	v_mov_b32_e32 v3, s51
	v_add_co_u32_e64 v2, s[4:5], s50, v1
	v_addc_co_u32_e64 v3, s[4:5], 0, v3, s[4:5]
	flat_load_ushort v18, v[2:3] offset:512
.LBB851_9:
	s_or_b64 exec, exec, s[8:9]
	v_or_b32_e32 v1, 0x200, v0
	v_cmp_gt_u32_e64 s[8:9], s68, v1
	v_mov_b32_e32 v19, v6
	s_and_saveexec_b64 s[10:11], s[8:9]
	s_cbranch_execz .LBB851_11
; %bb.10:
	v_lshlrev_b32_e32 v1, 1, v0
	v_mov_b32_e32 v3, s51
	v_add_co_u32_e64 v2, s[4:5], s50, v1
	v_addc_co_u32_e64 v3, s[4:5], 0, v3, s[4:5]
	flat_load_ushort v19, v[2:3] offset:1024
.LBB851_11:
	;; [unrolled: 13-line block ×7, first 2 shown]
	s_or_b64 exec, exec, s[20:21]
	v_or_b32_e32 v1, 0x800, v0
	v_cmp_gt_u32_e64 s[20:21], s68, v1
	v_lshlrev_b32_e32 v1, 1, v1
	v_mov_b32_e32 v25, v6
	s_and_saveexec_b64 s[22:23], s[20:21]
	s_cbranch_execz .LBB851_23
; %bb.22:
	v_mov_b32_e32 v3, s51
	v_add_co_u32_e64 v2, s[4:5], s50, v1
	v_addc_co_u32_e64 v3, s[4:5], 0, v3, s[4:5]
	flat_load_ushort v25, v[2:3]
.LBB851_23:
	s_or_b64 exec, exec, s[22:23]
	v_or_b32_e32 v2, 0x900, v0
	v_cmp_gt_u32_e64 s[22:23], s68, v2
	v_lshlrev_b32_e32 v2, 1, v2
	v_mov_b32_e32 v26, v6
	s_and_saveexec_b64 s[24:25], s[22:23]
	s_cbranch_execz .LBB851_25
; %bb.24:
	v_mov_b32_e32 v3, s51
	v_add_co_u32_e64 v4, s[4:5], s50, v2
	v_addc_co_u32_e64 v5, s[4:5], 0, v3, s[4:5]
	flat_load_ushort v26, v[4:5]
.LBB851_25:
	;; [unrolled: 13-line block ×13, first 2 shown]
	s_or_b64 exec, exec, s[48:49]
	v_or_b32_e32 v11, 0x1500, v0
	v_cmp_gt_u32_e64 s[48:49], s68, v11
	v_lshlrev_b32_e32 v16, 1, v11
	s_and_saveexec_b64 s[58:59], s[48:49]
	s_cbranch_execz .LBB851_49
; %bb.48:
	v_mov_b32_e32 v6, s51
	v_add_co_u32_e64 v38, s[4:5], s50, v16
	v_addc_co_u32_e64 v39, s[4:5], 0, v6, s[4:5]
	flat_load_ushort v6, v[38:39]
.LBB851_49:
	s_or_b64 exec, exec, s[58:59]
	v_lshlrev_b32_e32 v11, 1, v0
	v_mad_u32_u24 v38, v0, 42, v11
	s_waitcnt vmcnt(0) lgkmcnt(0)
	ds_write_b16 v11, v17
	ds_write_b16 v11, v18 offset:512
	ds_write_b16 v11, v19 offset:1024
	ds_write_b16 v11, v20 offset:1536
	ds_write_b16 v11, v21 offset:2048
	ds_write_b16 v11, v22 offset:2560
	ds_write_b16 v11, v23 offset:3072
	ds_write_b16 v11, v24 offset:3584
	ds_write_b16 v11, v25 offset:4096
	ds_write_b16 v11, v26 offset:4608
	ds_write_b16 v11, v27 offset:5120
	ds_write_b16 v11, v28 offset:5632
	ds_write_b16 v11, v29 offset:6144
	ds_write_b16 v11, v30 offset:6656
	ds_write_b16 v11, v31 offset:7168
	ds_write_b16 v11, v32 offset:7680
	ds_write_b16 v11, v33 offset:8192
	ds_write_b16 v11, v34 offset:8704
	ds_write_b16 v11, v35 offset:9216
	ds_write_b16 v11, v36 offset:9728
	ds_write_b16 v11, v37 offset:10240
	ds_write_b16 v11, v6 offset:10752
	s_waitcnt lgkmcnt(0)
	s_barrier
	ds_read2_b32 v[26:27], v38 offset0:8 offset1:9
	ds_read_b32 v39, v38 offset:40
	ds_read2_b32 v[34:35], v38 offset1:1
	ds_read2_b32 v[32:33], v38 offset0:2 offset1:3
	ds_read2_b32 v[30:31], v38 offset0:4 offset1:5
	;; [unrolled: 1-line block ×3, first 2 shown]
	s_movk_i32 s4, 0xffd6
	s_waitcnt lgkmcnt(4)
	v_lshrrev_b32_e32 v36, 16, v39
	v_mad_i32_i24 v6, v0, s4, v38
	ds_write_b16 v6, v36 offset:11264
	s_waitcnt lgkmcnt(0)
	s_barrier
	s_barrier
	s_waitcnt lgkmcnt(0)
                                        ; implicit-def: $vgpr6
	s_and_saveexec_b64 s[4:5], vcc
	s_cbranch_execz .LBB851_181
; %bb.50:
	v_mov_b32_e32 v6, s75
	v_add_co_u32_e32 v18, vcc, s74, v11
	v_addc_co_u32_e32 v19, vcc, 0, v6, vcc
	flat_load_ushort v6, v[18:19]
	s_or_b64 exec, exec, s[4:5]
                                        ; implicit-def: $vgpr17
	s_and_saveexec_b64 s[4:5], s[6:7]
	s_cbranch_execnz .LBB851_182
.LBB851_51:
	s_or_b64 exec, exec, s[4:5]
                                        ; implicit-def: $vgpr18
	s_and_saveexec_b64 s[4:5], s[8:9]
	s_cbranch_execz .LBB851_183
.LBB851_52:
	v_mov_b32_e32 v19, s75
	v_add_co_u32_e32 v18, vcc, s74, v11
	v_addc_co_u32_e32 v19, vcc, 0, v19, vcc
	flat_load_ushort v18, v[18:19] offset:1024
	s_or_b64 exec, exec, s[4:5]
                                        ; implicit-def: $vgpr19
	s_and_saveexec_b64 s[4:5], s[10:11]
	s_cbranch_execnz .LBB851_184
.LBB851_53:
	s_or_b64 exec, exec, s[4:5]
                                        ; implicit-def: $vgpr20
	s_and_saveexec_b64 s[4:5], s[12:13]
	s_cbranch_execz .LBB851_185
.LBB851_54:
	v_mov_b32_e32 v21, s75
	v_add_co_u32_e32 v20, vcc, s74, v11
	v_addc_co_u32_e32 v21, vcc, 0, v21, vcc
	flat_load_ushort v20, v[20:21] offset:2048
	s_or_b64 exec, exec, s[4:5]
                                        ; implicit-def: $vgpr21
	s_and_saveexec_b64 s[4:5], s[14:15]
	s_cbranch_execnz .LBB851_186
.LBB851_55:
	s_or_b64 exec, exec, s[4:5]
                                        ; implicit-def: $vgpr22
	s_and_saveexec_b64 s[4:5], s[16:17]
	s_cbranch_execz .LBB851_187
.LBB851_56:
	v_mov_b32_e32 v23, s75
	v_add_co_u32_e32 v22, vcc, s74, v11
	v_addc_co_u32_e32 v23, vcc, 0, v23, vcc
	flat_load_ushort v22, v[22:23] offset:3072
	s_or_b64 exec, exec, s[4:5]
                                        ; implicit-def: $vgpr23
	s_and_saveexec_b64 s[4:5], s[18:19]
	s_cbranch_execnz .LBB851_188
.LBB851_57:
	s_or_b64 exec, exec, s[4:5]
                                        ; implicit-def: $vgpr24
	s_and_saveexec_b64 s[4:5], s[20:21]
	s_cbranch_execz .LBB851_189
.LBB851_58:
	v_mov_b32_e32 v25, s75
	v_add_co_u32_e32 v24, vcc, s74, v1
	v_addc_co_u32_e32 v25, vcc, 0, v25, vcc
	flat_load_ushort v24, v[24:25]
	s_or_b64 exec, exec, s[4:5]
                                        ; implicit-def: $vgpr1
	s_and_saveexec_b64 s[4:5], s[22:23]
	s_cbranch_execnz .LBB851_190
.LBB851_59:
	s_or_b64 exec, exec, s[4:5]
                                        ; implicit-def: $vgpr2
	s_and_saveexec_b64 s[4:5], s[24:25]
	s_cbranch_execz .LBB851_191
.LBB851_60:
	v_mov_b32_e32 v25, s75
	v_add_co_u32_e32 v2, vcc, s74, v3
	v_addc_co_u32_e32 v3, vcc, 0, v25, vcc
	flat_load_ushort v2, v[2:3]
	s_or_b64 exec, exec, s[4:5]
                                        ; implicit-def: $vgpr3
	s_and_saveexec_b64 s[4:5], s[26:27]
	s_cbranch_execnz .LBB851_192
.LBB851_61:
	s_or_b64 exec, exec, s[4:5]
                                        ; implicit-def: $vgpr4
	s_and_saveexec_b64 s[4:5], s[28:29]
	s_cbranch_execz .LBB851_193
.LBB851_62:
	v_mov_b32_e32 v25, s75
	v_add_co_u32_e32 v4, vcc, s74, v5
	v_addc_co_u32_e32 v5, vcc, 0, v25, vcc
	flat_load_ushort v4, v[4:5]
	s_or_b64 exec, exec, s[4:5]
                                        ; implicit-def: $vgpr5
	s_and_saveexec_b64 s[4:5], s[30:31]
	s_cbranch_execnz .LBB851_194
.LBB851_63:
	s_or_b64 exec, exec, s[4:5]
                                        ; implicit-def: $vgpr7
	s_and_saveexec_b64 s[4:5], s[34:35]
	s_cbranch_execz .LBB851_195
.LBB851_64:
	v_mov_b32_e32 v7, s75
	v_add_co_u32_e32 v40, vcc, s74, v8
	v_addc_co_u32_e32 v41, vcc, 0, v7, vcc
	flat_load_ushort v7, v[40:41]
	s_or_b64 exec, exec, s[4:5]
                                        ; implicit-def: $vgpr8
	s_and_saveexec_b64 s[4:5], s[36:37]
	s_cbranch_execnz .LBB851_196
.LBB851_65:
	s_or_b64 exec, exec, s[4:5]
                                        ; implicit-def: $vgpr9
	s_and_saveexec_b64 s[4:5], s[38:39]
	s_cbranch_execz .LBB851_197
.LBB851_66:
	v_mov_b32_e32 v9, s75
	v_add_co_u32_e32 v40, vcc, s74, v10
	v_addc_co_u32_e32 v41, vcc, 0, v9, vcc
	flat_load_ushort v9, v[40:41]
	s_or_b64 exec, exec, s[4:5]
                                        ; implicit-def: $vgpr10
	s_and_saveexec_b64 s[4:5], s[40:41]
	s_cbranch_execnz .LBB851_198
.LBB851_67:
	s_or_b64 exec, exec, s[4:5]
                                        ; implicit-def: $vgpr12
	s_and_saveexec_b64 s[4:5], s[42:43]
	s_cbranch_execz .LBB851_199
.LBB851_68:
	v_mov_b32_e32 v25, s75
	v_add_co_u32_e32 v12, vcc, s74, v13
	v_addc_co_u32_e32 v13, vcc, 0, v25, vcc
	flat_load_ushort v12, v[12:13]
	s_or_b64 exec, exec, s[4:5]
                                        ; implicit-def: $vgpr13
	s_and_saveexec_b64 s[4:5], s[44:45]
	s_cbranch_execnz .LBB851_200
.LBB851_69:
	s_or_b64 exec, exec, s[4:5]
                                        ; implicit-def: $vgpr14
	s_and_saveexec_b64 s[4:5], s[46:47]
	s_cbranch_execz .LBB851_71
.LBB851_70:
	v_mov_b32_e32 v25, s75
	v_add_co_u32_e32 v14, vcc, s74, v15
	v_addc_co_u32_e32 v15, vcc, 0, v25, vcc
	flat_load_ushort v14, v[14:15]
.LBB851_71:
	s_or_b64 exec, exec, s[4:5]
	v_mul_u32_u24_e32 v40, 22, v0
                                        ; implicit-def: $vgpr15
	s_and_saveexec_b64 s[4:5], s[48:49]
	s_cbranch_execz .LBB851_73
; %bb.72:
	v_mov_b32_e32 v15, s75
	v_add_co_u32_e32 v42, vcc, s74, v16
	v_addc_co_u32_e32 v43, vcc, 0, v15, vcc
	flat_load_ushort v15, v[42:43]
.LBB851_73:
	s_or_b64 exec, exec, s[4:5]
	s_mov_b32 s4, 0
	s_mov_b32 s5, s4
	s_waitcnt vmcnt(0) lgkmcnt(0)
	ds_write_b16 v11, v6
	ds_write_b16 v11, v17 offset:512
	ds_write_b16 v11, v18 offset:1024
	;; [unrolled: 1-line block ×21, first 2 shown]
	v_cmp_gt_u32_e32 vcc, s68, v40
	s_mov_b64 s[6:7], 0
	v_pk_mov_b32 v[14:15], s[4:5], s[4:5] op_sel:[0,1]
	v_mov_b32_e32 v1, 0
	s_mov_b64 s[10:11], 0
	v_pk_mov_b32 v[24:25], s[4:5], s[4:5] op_sel:[0,1]
	v_pk_mov_b32 v[22:23], s[4:5], s[4:5] op_sel:[0,1]
	;; [unrolled: 1-line block ×9, first 2 shown]
	s_waitcnt lgkmcnt(0)
	s_barrier
	s_waitcnt lgkmcnt(0)
                                        ; implicit-def: $vgpr37
	s_and_saveexec_b64 s[8:9], vcc
	s_cbranch_execz .LBB851_115
; %bb.74:
	ds_read_u16 v1, v38
	s_mov_b32 s16, 0
	v_cmp_ne_u16_e32 vcc, 0, v34
	v_or_b32_e32 v2, 1, v40
	v_cndmask_b32_e64 v3, 0, 1, vcc
	v_mov_b32_e32 v7, 0
	s_mov_b32 s17, s16
	s_waitcnt lgkmcnt(0)
	v_lshl_or_b32 v6, v3, 16, v1
	v_cmp_gt_u32_e32 vcc, s68, v2
	s_mov_b64 s[12:13], 0
	v_pk_mov_b32 v[14:15], s[16:17], s[16:17] op_sel:[0,1]
	v_pk_mov_b32 v[24:25], s[16:17], s[16:17] op_sel:[0,1]
	;; [unrolled: 1-line block ×9, first 2 shown]
	v_mov_b32_e32 v1, v7
                                        ; implicit-def: $vgpr37
	s_and_saveexec_b64 s[10:11], vcc
	s_cbranch_execz .LBB851_114
; %bb.75:
	ds_read_b128 v[2:5], v38 offset:2
	v_mov_b32_e32 v1, 0
	v_cmp_ne_u16_sdwa s[12:13], v34, v1 src0_sel:WORD_1 src1_sel:DWORD
	v_add_u32_e32 v8, 2, v40
	v_cndmask_b32_e64 v7, 0, 1, s[12:13]
	s_waitcnt lgkmcnt(0)
	v_and_b32_e32 v9, 0xffff, v2
	v_lshl_or_b32 v7, v7, 16, v9
	v_cmp_gt_u32_e32 vcc, s68, v8
	s_mov_b64 s[14:15], 0
	v_pk_mov_b32 v[14:15], s[16:17], s[16:17] op_sel:[0,1]
	v_pk_mov_b32 v[24:25], s[16:17], s[16:17] op_sel:[0,1]
	;; [unrolled: 1-line block ×9, first 2 shown]
                                        ; implicit-def: $vgpr37
	s_and_saveexec_b64 s[12:13], vcc
	s_cbranch_execz .LBB851_113
; %bb.76:
	s_mov_b32 s20, 0
	v_cmp_ne_u16_e32 vcc, 0, v35
	v_add_u32_e32 v1, 3, v40
	v_cndmask_b32_e64 v8, 0, 1, vcc
	v_mov_b32_e32 v9, 0
	s_mov_b32 s21, s20
	v_alignbit_b32 v8, v8, v2, 16
	v_cmp_gt_u32_e32 vcc, s68, v1
	s_mov_b64 s[16:17], 0
	v_pk_mov_b32 v[14:15], s[20:21], s[20:21] op_sel:[0,1]
	v_pk_mov_b32 v[24:25], s[20:21], s[20:21] op_sel:[0,1]
	;; [unrolled: 1-line block ×8, first 2 shown]
	v_mov_b32_e32 v1, v9
                                        ; implicit-def: $vgpr37
	s_and_saveexec_b64 s[14:15], vcc
	s_cbranch_execz .LBB851_112
; %bb.77:
	v_mov_b32_e32 v1, 0
	v_cmp_ne_u16_sdwa s[16:17], v35, v1 src0_sel:WORD_1 src1_sel:DWORD
	v_and_b32_e32 v2, 0xffff, v3
	v_add_u32_e32 v10, 4, v40
	v_cndmask_b32_e64 v9, 0, 1, s[16:17]
	v_lshl_or_b32 v9, v9, 16, v2
	v_cmp_gt_u32_e32 vcc, s68, v10
	s_mov_b64 s[18:19], 0
	v_pk_mov_b32 v[14:15], s[20:21], s[20:21] op_sel:[0,1]
	v_pk_mov_b32 v[24:25], s[20:21], s[20:21] op_sel:[0,1]
	;; [unrolled: 1-line block ×8, first 2 shown]
                                        ; implicit-def: $vgpr37
	s_and_saveexec_b64 s[16:17], vcc
	s_cbranch_execz .LBB851_111
; %bb.78:
	s_mov_b32 s24, 0
	v_cmp_ne_u16_e32 vcc, 0, v32
	v_add_u32_e32 v1, 5, v40
	v_cndmask_b32_e64 v2, 0, 1, vcc
	v_mov_b32_e32 v11, 0
	s_mov_b32 s25, s24
	v_alignbit_b32 v10, v2, v3, 16
	v_cmp_gt_u32_e32 vcc, s68, v1
	s_mov_b64 s[20:21], 0
	v_pk_mov_b32 v[14:15], s[24:25], s[24:25] op_sel:[0,1]
	v_pk_mov_b32 v[24:25], s[24:25], s[24:25] op_sel:[0,1]
	;; [unrolled: 1-line block ×7, first 2 shown]
	v_mov_b32_e32 v1, v11
                                        ; implicit-def: $vgpr37
	s_and_saveexec_b64 s[18:19], vcc
	s_cbranch_execz .LBB851_110
; %bb.79:
	v_mov_b32_e32 v1, 0
	v_cmp_ne_u16_sdwa s[20:21], v32, v1 src0_sel:WORD_1 src1_sel:DWORD
	v_and_b32_e32 v2, 0xffff, v4
	v_add_u32_e32 v3, 6, v40
	v_cndmask_b32_e64 v11, 0, 1, s[20:21]
	v_lshl_or_b32 v11, v11, 16, v2
	v_cmp_gt_u32_e32 vcc, s68, v3
	s_mov_b64 s[22:23], 0
	v_pk_mov_b32 v[14:15], s[24:25], s[24:25] op_sel:[0,1]
	v_pk_mov_b32 v[24:25], s[24:25], s[24:25] op_sel:[0,1]
	;; [unrolled: 1-line block ×7, first 2 shown]
                                        ; implicit-def: $vgpr37
	s_and_saveexec_b64 s[20:21], vcc
	s_cbranch_execz .LBB851_109
; %bb.80:
	s_mov_b32 s28, 0
	v_cmp_ne_u16_e32 vcc, 0, v33
	v_add_u32_e32 v1, 7, v40
	v_cndmask_b32_e64 v2, 0, 1, vcc
	v_mov_b32_e32 v13, 0
	s_mov_b32 s29, s28
	v_alignbit_b32 v12, v2, v4, 16
	v_cmp_gt_u32_e32 vcc, s68, v1
	s_mov_b64 s[24:25], 0
	v_pk_mov_b32 v[14:15], s[28:29], s[28:29] op_sel:[0,1]
	v_pk_mov_b32 v[24:25], s[28:29], s[28:29] op_sel:[0,1]
	;; [unrolled: 1-line block ×6, first 2 shown]
	v_mov_b32_e32 v1, v13
                                        ; implicit-def: $vgpr37
	s_and_saveexec_b64 s[22:23], vcc
	s_cbranch_execz .LBB851_108
; %bb.81:
	v_mov_b32_e32 v1, 0
	v_cmp_ne_u16_sdwa s[24:25], v33, v1 src0_sel:WORD_1 src1_sel:DWORD
	v_and_b32_e32 v2, 0xffff, v5
	v_add_u32_e32 v3, 8, v40
	v_cndmask_b32_e64 v4, 0, 1, s[24:25]
	v_lshl_or_b32 v13, v4, 16, v2
	v_cmp_gt_u32_e32 vcc, s68, v3
	s_mov_b64 s[26:27], 0
	v_pk_mov_b32 v[14:15], s[28:29], s[28:29] op_sel:[0,1]
	v_pk_mov_b32 v[24:25], s[28:29], s[28:29] op_sel:[0,1]
	;; [unrolled: 1-line block ×6, first 2 shown]
                                        ; implicit-def: $vgpr37
	s_and_saveexec_b64 s[24:25], vcc
	s_cbranch_execz .LBB851_107
; %bb.82:
	s_mov_b32 s34, 0
	v_cmp_ne_u16_e32 vcc, 0, v30
	v_add_u32_e32 v1, 9, v40
	v_cndmask_b32_e64 v2, 0, 1, vcc
	v_mov_b32_e32 v17, 0
	s_mov_b32 s35, s34
	v_alignbit_b32 v16, v2, v5, 16
	v_cmp_gt_u32_e32 vcc, s68, v1
	s_mov_b64 s[28:29], 0
	v_pk_mov_b32 v[14:15], s[34:35], s[34:35] op_sel:[0,1]
	v_pk_mov_b32 v[24:25], s[34:35], s[34:35] op_sel:[0,1]
	;; [unrolled: 1-line block ×5, first 2 shown]
	v_mov_b32_e32 v1, v17
                                        ; implicit-def: $vgpr37
	s_and_saveexec_b64 s[26:27], vcc
	s_cbranch_execz .LBB851_106
; %bb.83:
	ds_read_b128 v[2:5], v38 offset:18
	v_mov_b32_e32 v1, 0
	v_cmp_ne_u16_sdwa s[28:29], v30, v1 src0_sel:WORD_1 src1_sel:DWORD
	v_add_u32_e32 v14, 10, v40
	v_cndmask_b32_e64 v15, 0, 1, s[28:29]
	s_waitcnt lgkmcnt(0)
	v_and_b32_e32 v17, 0xffff, v2
	v_lshl_or_b32 v17, v15, 16, v17
	v_cmp_gt_u32_e32 vcc, s68, v14
	s_mov_b64 s[30:31], 0
	v_pk_mov_b32 v[14:15], s[34:35], s[34:35] op_sel:[0,1]
	v_pk_mov_b32 v[24:25], s[34:35], s[34:35] op_sel:[0,1]
	v_pk_mov_b32 v[22:23], s[34:35], s[34:35] op_sel:[0,1]
	v_pk_mov_b32 v[20:21], s[34:35], s[34:35] op_sel:[0,1]
	v_pk_mov_b32 v[18:19], s[34:35], s[34:35] op_sel:[0,1]
                                        ; implicit-def: $vgpr37
	s_and_saveexec_b64 s[28:29], vcc
	s_cbranch_execz .LBB851_105
; %bb.84:
	s_mov_b32 s38, 0
	v_cmp_ne_u16_e32 vcc, 0, v31
	v_add_u32_e32 v1, 11, v40
	v_cndmask_b32_e64 v14, 0, 1, vcc
	v_mov_b32_e32 v19, 0
	s_mov_b32 s39, s38
	v_alignbit_b32 v18, v14, v2, 16
	v_cmp_gt_u32_e32 vcc, s68, v1
	s_mov_b64 s[34:35], 0
	v_pk_mov_b32 v[14:15], s[38:39], s[38:39] op_sel:[0,1]
	v_pk_mov_b32 v[24:25], s[38:39], s[38:39] op_sel:[0,1]
	;; [unrolled: 1-line block ×4, first 2 shown]
	v_mov_b32_e32 v1, v19
                                        ; implicit-def: $vgpr37
	s_and_saveexec_b64 s[30:31], vcc
	s_cbranch_execz .LBB851_104
; %bb.85:
	v_mov_b32_e32 v1, 0
	v_cmp_ne_u16_sdwa s[34:35], v31, v1 src0_sel:WORD_1 src1_sel:DWORD
	v_and_b32_e32 v2, 0xffff, v3
	v_add_u32_e32 v14, 12, v40
	v_cndmask_b32_e64 v15, 0, 1, s[34:35]
	v_lshl_or_b32 v19, v15, 16, v2
	v_cmp_gt_u32_e32 vcc, s68, v14
	s_mov_b64 s[36:37], 0
	v_pk_mov_b32 v[14:15], s[38:39], s[38:39] op_sel:[0,1]
	v_pk_mov_b32 v[24:25], s[38:39], s[38:39] op_sel:[0,1]
	;; [unrolled: 1-line block ×4, first 2 shown]
                                        ; implicit-def: $vgpr37
	s_and_saveexec_b64 s[34:35], vcc
	s_cbranch_execz .LBB851_103
; %bb.86:
	s_mov_b32 s42, 0
	v_cmp_ne_u16_e32 vcc, 0, v28
	v_add_u32_e32 v1, 13, v40
	v_cndmask_b32_e64 v2, 0, 1, vcc
	v_mov_b32_e32 v21, 0
	s_mov_b32 s43, s42
	v_alignbit_b32 v20, v2, v3, 16
	v_cmp_gt_u32_e32 vcc, s68, v1
	s_mov_b64 s[38:39], 0
	v_pk_mov_b32 v[14:15], s[42:43], s[42:43] op_sel:[0,1]
	v_pk_mov_b32 v[24:25], s[42:43], s[42:43] op_sel:[0,1]
	;; [unrolled: 1-line block ×3, first 2 shown]
	v_mov_b32_e32 v1, v21
                                        ; implicit-def: $vgpr37
	s_and_saveexec_b64 s[36:37], vcc
	s_cbranch_execz .LBB851_102
; %bb.87:
	v_mov_b32_e32 v1, 0
	v_cmp_ne_u16_sdwa s[38:39], v28, v1 src0_sel:WORD_1 src1_sel:DWORD
	v_and_b32_e32 v2, 0xffff, v4
	v_add_u32_e32 v3, 14, v40
	v_cndmask_b32_e64 v14, 0, 1, s[38:39]
	v_lshl_or_b32 v21, v14, 16, v2
	v_cmp_gt_u32_e32 vcc, s68, v3
	s_mov_b64 s[40:41], 0
	v_pk_mov_b32 v[14:15], s[42:43], s[42:43] op_sel:[0,1]
	v_pk_mov_b32 v[24:25], s[42:43], s[42:43] op_sel:[0,1]
	;; [unrolled: 1-line block ×3, first 2 shown]
                                        ; implicit-def: $vgpr37
	s_and_saveexec_b64 s[38:39], vcc
	s_cbranch_execz .LBB851_101
; %bb.88:
	s_mov_b32 s46, 0
	v_cmp_ne_u16_e32 vcc, 0, v29
	v_add_u32_e32 v1, 15, v40
	v_cndmask_b32_e64 v2, 0, 1, vcc
	v_mov_b32_e32 v23, 0
	s_mov_b32 s47, s46
	v_alignbit_b32 v22, v2, v4, 16
	v_cmp_gt_u32_e32 vcc, s68, v1
	s_mov_b64 s[42:43], 0
	v_pk_mov_b32 v[14:15], s[46:47], s[46:47] op_sel:[0,1]
	v_pk_mov_b32 v[24:25], s[46:47], s[46:47] op_sel:[0,1]
	v_mov_b32_e32 v1, v23
                                        ; implicit-def: $vgpr37
	s_and_saveexec_b64 s[40:41], vcc
	s_cbranch_execz .LBB851_100
; %bb.89:
	v_mov_b32_e32 v1, 0
	v_cmp_ne_u16_sdwa s[42:43], v29, v1 src0_sel:WORD_1 src1_sel:DWORD
	v_and_b32_e32 v2, 0xffff, v5
	v_add_u32_e32 v3, 16, v40
	v_cndmask_b32_e64 v4, 0, 1, s[42:43]
	v_lshl_or_b32 v23, v4, 16, v2
	v_cmp_gt_u32_e32 vcc, s68, v3
	s_mov_b64 s[44:45], 0
	v_pk_mov_b32 v[14:15], s[46:47], s[46:47] op_sel:[0,1]
	v_pk_mov_b32 v[24:25], s[46:47], s[46:47] op_sel:[0,1]
                                        ; implicit-def: $vgpr37
	s_and_saveexec_b64 s[42:43], vcc
	s_cbranch_execz .LBB851_99
; %bb.90:
	s_mov_b32 s58, 0
	v_cmp_ne_u16_e32 vcc, 0, v26
	v_add_u32_e32 v1, 17, v40
	v_cndmask_b32_e64 v2, 0, 1, vcc
	v_mov_b32_e32 v25, 0
	s_mov_b32 s59, s58
	v_alignbit_b32 v24, v2, v5, 16
	v_cmp_gt_u32_e32 vcc, s68, v1
	s_mov_b64 s[46:47], 0
	v_pk_mov_b32 v[14:15], s[58:59], s[58:59] op_sel:[0,1]
	v_mov_b32_e32 v1, v25
                                        ; implicit-def: $vgpr37
	s_and_saveexec_b64 s[44:45], vcc
	s_cbranch_execz .LBB851_98
; %bb.91:
	ds_read_b64 v[2:3], v38 offset:34
	v_mov_b32_e32 v1, 0
	v_cmp_ne_u16_sdwa s[46:47], v26, v1 src0_sel:WORD_1 src1_sel:DWORD
	v_add_u32_e32 v4, 18, v40
	v_cndmask_b32_e64 v5, 0, 1, s[46:47]
	s_waitcnt lgkmcnt(0)
	v_and_b32_e32 v14, 0xffff, v2
	v_lshl_or_b32 v25, v5, 16, v14
	v_cmp_gt_u32_e32 vcc, s68, v4
	s_mov_b64 s[48:49], 0
	v_pk_mov_b32 v[14:15], s[58:59], s[58:59] op_sel:[0,1]
                                        ; implicit-def: $vgpr37
	s_and_saveexec_b64 s[46:47], vcc
	s_cbranch_execz .LBB851_97
; %bb.92:
	v_cmp_ne_u16_e32 vcc, 0, v27
	v_add_u32_e32 v1, 19, v40
	v_cndmask_b32_e64 v4, 0, 1, vcc
	v_mov_b32_e32 v15, 0
	v_alignbit_b32 v14, v4, v2, 16
	v_cmp_gt_u32_e32 vcc, s68, v1
	s_mov_b64 s[58:59], 0
	v_mov_b32_e32 v1, v15
                                        ; implicit-def: $vgpr37
	s_and_saveexec_b64 s[48:49], vcc
	s_cbranch_execz .LBB851_96
; %bb.93:
	v_mov_b32_e32 v1, 0
	v_cmp_ne_u16_sdwa s[58:59], v27, v1 src0_sel:WORD_1 src1_sel:DWORD
	v_and_b32_e32 v2, 0xffff, v3
	v_add_u32_e32 v4, 20, v40
	v_cndmask_b32_e64 v5, 0, 1, s[58:59]
	v_lshl_or_b32 v15, v5, 16, v2
	v_cmp_gt_u32_e32 vcc, s68, v4
	s_mov_b64 s[58:59], 0
                                        ; implicit-def: $vgpr37
	s_and_saveexec_b64 s[60:61], vcc
	s_xor_b64 s[60:61], exec, s[60:61]
	s_cbranch_execz .LBB851_95
; %bb.94:
	ds_read_u16 v37, v38 offset:42
	v_add_u32_e32 v2, 21, v40
	v_cmp_ne_u16_e32 vcc, 0, v39
	v_cndmask_b32_e64 v1, 0, 1, vcc
	v_cmp_gt_u32_e32 vcc, s68, v2
	v_alignbit_b32 v1, v1, v3, 16
	s_and_b64 s[58:59], vcc, exec
.LBB851_95:
	s_or_b64 exec, exec, s[60:61]
	s_and_b64 s[58:59], s[58:59], exec
.LBB851_96:
	s_or_b64 exec, exec, s[48:49]
	s_and_b64 s[48:49], s[58:59], exec
.LBB851_97:
	s_or_b64 exec, exec, s[46:47]
	s_and_b64 s[46:47], s[48:49], exec
.LBB851_98:
	s_or_b64 exec, exec, s[44:45]
	s_and_b64 s[44:45], s[46:47], exec
.LBB851_99:
	s_or_b64 exec, exec, s[42:43]
	s_and_b64 s[42:43], s[44:45], exec
.LBB851_100:
	s_or_b64 exec, exec, s[40:41]
	s_and_b64 s[40:41], s[42:43], exec
.LBB851_101:
	s_or_b64 exec, exec, s[38:39]
	s_and_b64 s[38:39], s[40:41], exec
.LBB851_102:
	s_or_b64 exec, exec, s[36:37]
	s_and_b64 s[36:37], s[38:39], exec
.LBB851_103:
	s_or_b64 exec, exec, s[34:35]
	s_and_b64 s[34:35], s[36:37], exec
.LBB851_104:
	s_or_b64 exec, exec, s[30:31]
	s_and_b64 s[30:31], s[34:35], exec
.LBB851_105:
	s_or_b64 exec, exec, s[28:29]
	s_and_b64 s[28:29], s[30:31], exec
.LBB851_106:
	s_or_b64 exec, exec, s[26:27]
	s_and_b64 s[26:27], s[28:29], exec
.LBB851_107:
	s_or_b64 exec, exec, s[24:25]
	s_and_b64 s[24:25], s[26:27], exec
.LBB851_108:
	s_or_b64 exec, exec, s[22:23]
	s_and_b64 s[22:23], s[24:25], exec
.LBB851_109:
	s_or_b64 exec, exec, s[20:21]
	s_and_b64 s[20:21], s[22:23], exec
.LBB851_110:
	s_or_b64 exec, exec, s[18:19]
	s_and_b64 s[18:19], s[20:21], exec
.LBB851_111:
	s_or_b64 exec, exec, s[16:17]
	s_and_b64 s[16:17], s[18:19], exec
.LBB851_112:
	s_or_b64 exec, exec, s[14:15]
	s_and_b64 s[14:15], s[16:17], exec
.LBB851_113:
	s_or_b64 exec, exec, s[12:13]
	s_and_b64 s[12:13], s[14:15], exec
.LBB851_114:
	s_or_b64 exec, exec, s[10:11]
	s_and_b64 s[10:11], s[12:13], exec
.LBB851_115:
	s_or_b64 exec, exec, s[8:9]
	s_and_b64 vcc, exec, s[6:7]
	v_lshlrev_b32_e32 v32, 1, v0
	s_cbranch_vccnz .LBB851_117
	s_branch .LBB851_118
.LBB851_116:
	s_mov_b64 s[10:11], 0
                                        ; implicit-def: $vgpr14_vgpr15
                                        ; implicit-def: $vgpr24_vgpr25
                                        ; implicit-def: $vgpr22_vgpr23
                                        ; implicit-def: $vgpr20_vgpr21
                                        ; implicit-def: $vgpr18_vgpr19
                                        ; implicit-def: $vgpr16_vgpr17
                                        ; implicit-def: $vgpr12_vgpr13
                                        ; implicit-def: $vgpr10_vgpr11
                                        ; implicit-def: $vgpr8_vgpr9
                                        ; implicit-def: $vgpr6_vgpr7
                                        ; implicit-def: $vgpr36
                                        ; implicit-def: $vgpr37
                                        ; implicit-def: $vgpr1
                                        ; implicit-def: $sgpr4
	s_and_b64 vcc, exec, s[6:7]
	v_lshlrev_b32_e32 v32, 1, v0
	s_cbranch_vccz .LBB851_118
.LBB851_117:
	v_mov_b32_e32 v1, s51
	v_add_co_u32_e32 v2, vcc, s50, v32
	v_addc_co_u32_e32 v3, vcc, 0, v1, vcc
	v_add_co_u32_e32 v4, vcc, 0x1000, v2
	v_addc_co_u32_e32 v5, vcc, 0, v3, vcc
	flat_load_ushort v1, v[2:3]
	flat_load_ushort v6, v[2:3] offset:512
	flat_load_ushort v7, v[2:3] offset:1024
	;; [unrolled: 1-line block ×7, first 2 shown]
	v_add_co_u32_e32 v2, vcc, 0x2000, v2
	v_addc_co_u32_e32 v3, vcc, 0, v3, vcc
	flat_load_ushort v13, v[4:5]
	flat_load_ushort v14, v[4:5] offset:512
	flat_load_ushort v15, v[4:5] offset:1024
	;; [unrolled: 1-line block ×7, first 2 shown]
	s_nop 0
	flat_load_ushort v4, v[2:3]
	flat_load_ushort v5, v[2:3] offset:512
	flat_load_ushort v21, v[2:3] offset:1024
	;; [unrolled: 1-line block ×5, first 2 shown]
	v_mov_b32_e32 v3, s75
	v_add_co_u32_e32 v2, vcc, s74, v32
	s_movk_i32 s4, 0x1000
	v_addc_co_u32_e32 v3, vcc, 0, v3, vcc
	v_mad_u32_u24 v28, v0, 42, v32
	s_movk_i32 s6, 0xffd6
	s_movk_i32 s5, 0x2000
	v_mad_i32_i24 v29, v0, s6, v28
	v_mov_b32_e32 v39, 0
	s_or_b64 s[10:11], s[10:11], exec
	s_waitcnt vmcnt(0) lgkmcnt(0)
	ds_write_b16 v32, v1
	ds_write_b16 v32, v6 offset:512
	ds_write_b16 v32, v7 offset:1024
	;; [unrolled: 1-line block ×21, first 2 shown]
	v_add_co_u32_e32 v8, vcc, s4, v2
	s_waitcnt lgkmcnt(0)
	s_barrier
	ds_read_b32 v1, v28 offset:40
	ds_read2_b32 v[4:5], v28 offset1:1
	ds_read2_b32 v[6:7], v28 offset0:2 offset1:3
	ds_read2_b32 v[14:15], v28 offset0:4 offset1:5
	;; [unrolled: 1-line block ×4, first 2 shown]
	s_waitcnt lgkmcnt(5)
	v_lshrrev_b32_e32 v36, 16, v1
	v_addc_co_u32_e32 v9, vcc, 0, v3, vcc
	ds_write_b16 v29, v36 offset:11264
	s_waitcnt lgkmcnt(0)
	s_barrier
	s_barrier
	flat_load_ushort v10, v[2:3]
	flat_load_ushort v11, v[2:3] offset:512
	flat_load_ushort v12, v[2:3] offset:1024
	;; [unrolled: 1-line block ×7, first 2 shown]
	v_add_co_u32_e32 v2, vcc, s5, v2
	v_addc_co_u32_e32 v3, vcc, 0, v3, vcc
	flat_load_ushort v20, v[8:9]
	flat_load_ushort v21, v[8:9] offset:512
	flat_load_ushort v22, v[8:9] offset:1024
	;; [unrolled: 1-line block ×7, first 2 shown]
	s_nop 0
	flat_load_ushort v8, v[2:3]
	flat_load_ushort v9, v[2:3] offset:512
	flat_load_ushort v34, v[2:3] offset:1024
	;; [unrolled: 1-line block ×5, first 2 shown]
	v_cmp_ne_u16_sdwa s[4:5], v4, v39 src0_sel:WORD_1 src1_sel:DWORD
	v_cmp_ne_u16_e32 vcc, 0, v4
	v_cndmask_b32_e64 v40, 0, 1, s[4:5]
	v_cndmask_b32_e64 v41, 0, 1, vcc
	v_cmp_ne_u16_sdwa s[4:5], v5, v39 src0_sel:WORD_1 src1_sel:DWORD
	v_cmp_ne_u16_e32 vcc, 0, v5
	v_cndmask_b32_e64 v42, 0, 1, s[4:5]
	v_cmp_ne_u16_sdwa s[4:5], v6, v39 src0_sel:WORD_1 src1_sel:DWORD
	v_cndmask_b32_e64 v43, 0, 1, vcc
	v_cndmask_b32_e64 v44, 0, 1, s[4:5]
	v_cmp_ne_u16_e32 vcc, 0, v6
	v_cmp_ne_u16_sdwa s[4:5], v7, v39 src0_sel:WORD_1 src1_sel:DWORD
	v_cndmask_b32_e64 v45, 0, 1, vcc
	v_cndmask_b32_e64 v6, 0, 1, s[4:5]
	v_cmp_ne_u16_e32 vcc, 0, v7
	v_cmp_ne_u16_sdwa s[4:5], v14, v39 src0_sel:WORD_1 src1_sel:DWORD
	v_cndmask_b32_e64 v46, 0, 1, vcc
	v_cmp_ne_u16_e32 vcc, 0, v14
	s_waitcnt vmcnt(0) lgkmcnt(0)
	ds_write_b16 v32, v10
	ds_write_b16 v32, v11 offset:512
	ds_write_b16 v32, v12 offset:1024
	;; [unrolled: 1-line block ×21, first 2 shown]
	s_waitcnt lgkmcnt(0)
	s_barrier
	ds_read2_b32 v[2:3], v28 offset0:8 offset1:9
	ds_read_b32 v29, v28 offset:40
	ds_read2_b32 v[4:5], v28 offset1:1
	ds_read2_b32 v[12:13], v28 offset0:2 offset1:3
	ds_read2_b32 v[18:19], v28 offset0:4 offset1:5
	;; [unrolled: 1-line block ×3, first 2 shown]
	s_waitcnt lgkmcnt(4)
	v_lshrrev_b32_e32 v37, 16, v29
	s_waitcnt lgkmcnt(3)
	v_and_b32_e32 v8, 0xffff, v4
	v_alignbit_b32 v7, v40, v4, 16
	v_and_b32_e32 v4, 0xffff, v5
	v_alignbit_b32 v9, v42, v5, 16
	s_waitcnt lgkmcnt(2)
	v_and_b32_e32 v5, 0xffff, v12
	v_lshl_or_b32 v10, v45, 16, v5
	v_cndmask_b32_e64 v5, 0, 1, s[4:5]
	v_alignbit_b32 v11, v44, v12, 16
	v_and_b32_e32 v12, 0xffff, v13
	v_alignbit_b32 v13, v6, v13, 16
	v_lshl_or_b32 v6, v41, 16, v8
	v_lshl_or_b32 v8, v43, 16, v4
	s_waitcnt lgkmcnt(1)
	v_and_b32_e32 v4, 0xffff, v18
	v_alignbit_b32 v17, v5, v18, 16
	v_cndmask_b32_e64 v5, 0, 1, vcc
	v_cmp_ne_u16_sdwa s[4:5], v15, v39 src0_sel:WORD_1 src1_sel:DWORD
	v_lshl_or_b32 v16, v5, 16, v4
	v_cndmask_b32_e64 v5, 0, 1, s[4:5]
	v_cmp_ne_u16_e32 vcc, 0, v15
	v_and_b32_e32 v4, 0xffff, v19
	v_alignbit_b32 v19, v5, v19, 16
	v_cndmask_b32_e64 v5, 0, 1, vcc
	v_cmp_ne_u16_sdwa s[4:5], v24, v39 src0_sel:WORD_1 src1_sel:DWORD
	v_lshl_or_b32 v18, v5, 16, v4
	v_cndmask_b32_e64 v5, 0, 1, s[4:5]
	v_cmp_ne_u16_e32 vcc, 0, v24
	s_waitcnt lgkmcnt(0)
	v_and_b32_e32 v4, 0xffff, v22
	v_alignbit_b32 v21, v5, v22, 16
	v_cndmask_b32_e64 v5, 0, 1, vcc
	v_cmp_ne_u16_sdwa s[4:5], v25, v39 src0_sel:WORD_1 src1_sel:DWORD
	v_lshl_or_b32 v20, v5, 16, v4
	v_cndmask_b32_e64 v5, 0, 1, s[4:5]
	v_cmp_ne_u16_e32 vcc, 0, v25
	v_and_b32_e32 v4, 0xffff, v23
	v_alignbit_b32 v23, v5, v23, 16
	v_cndmask_b32_e64 v5, 0, 1, vcc
	v_cmp_ne_u16_sdwa s[4:5], v26, v39 src0_sel:WORD_1 src1_sel:DWORD
	v_lshl_or_b32 v22, v5, 16, v4
	v_cndmask_b32_e64 v5, 0, 1, s[4:5]
	v_cmp_ne_u16_e32 vcc, 0, v26
	;; [unrolled: 7-line block ×3, first 2 shown]
	v_and_b32_e32 v2, 0xffff, v3
	v_alignbit_b32 v15, v4, v3, 16
	v_cndmask_b32_e64 v3, 0, 1, vcc
	v_cmp_ne_u16_e32 vcc, 0, v1
	v_lshl_or_b32 v14, v3, 16, v2
	v_and_b32_e32 v2, 0xffff, v29
	v_cndmask_b32_e64 v1, 0, 1, vcc
	v_lshl_or_b32 v12, v46, 16, v12
	v_lshl_or_b32 v1, v1, 16, v2
                                        ; implicit-def: $sgpr4
.LBB851_118:
	v_mov_b32_e32 v33, s4
	s_and_saveexec_b64 s[4:5], s[10:11]
	s_cbranch_execz .LBB851_120
; %bb.119:
	v_cmp_ne_u16_e32 vcc, 0, v36
	s_waitcnt lgkmcnt(0)
	v_and_b32_e32 v2, 0xffff, v37
	v_cndmask_b32_e64 v3, 0, 1, vcc
	v_lshl_or_b32 v33, v3, 16, v2
.LBB851_120:
	s_or_b64 exec, exec, s[4:5]
	s_cmp_lg_u32 s67, 0
	v_or3_b32 v35, v33, v1, v15
	v_lshrrev_b32_e32 v34, 5, v0
	v_cmp_gt_u32_e32 vcc, 64, v0
	s_waitcnt lgkmcnt(0)
	s_barrier
	s_cbranch_scc0 .LBB851_201
; %bb.121:
	s_mov_b32 s4, 0x10000
	v_cmp_gt_u32_e64 s[6:7], s4, v7
	v_cndmask_b32_e64 v2, 0, v6, s[6:7]
	v_add_u16_e32 v2, v2, v7
	v_cmp_gt_u32_e64 s[8:9], s4, v8
	v_cndmask_b32_e64 v2, 0, v2, s[8:9]
	v_add_u16_e32 v2, v2, v8
	;; [unrolled: 3-line block ×21, first 2 shown]
	v_or3_b32 v2, v35, v14, v25
	v_or3_b32 v2, v2, v24, v23
	;; [unrolled: 1-line block ×9, first 2 shown]
	v_and_b32_e32 v2, 0x10000, v2
	v_lshrrev_b32_e32 v36, 16, v6
	v_cmp_ne_u32_e64 s[4:5], 0, v2
	v_mov_b32_e32 v5, 0x10000
	v_cndmask_b32_e64 v38, v36, 1, s[4:5]
	v_add_lshl_u32 v2, v34, v0, 2
	ds_write_b16 v2, v37
	ds_write_b8 v2, v38 offset:2
	s_waitcnt lgkmcnt(0)
	s_barrier
	s_and_saveexec_b64 s[50:51], vcc
	s_cbranch_execz .LBB851_135
; %bb.122:
	v_lshlrev_b32_e32 v2, 2, v0
	v_lshrrev_b32_e32 v3, 3, v0
	v_add_lshl_u32 v2, v3, v2, 2
	ds_read_b32 v3, v2
	ds_read_u16 v4, v2 offset:4
	ds_read_u8 v26, v2 offset:6
	ds_read_u16 v27, v2 offset:8
	ds_read_u8 v28, v2 offset:10
	ds_read_u16 v29, v2 offset:12
	ds_read_u8 v30, v2 offset:14
	v_mov_b32_e32 v31, 0
	s_waitcnt lgkmcnt(4)
	v_cmp_eq_u16_sdwa s[4:5], v26, v31 src0_sel:BYTE_0 src1_sel:DWORD
	v_cndmask_b32_e64 v39, 0, v3, s[4:5]
	v_add_u16_e32 v39, v39, v4
	s_waitcnt lgkmcnt(2)
	v_cmp_eq_u16_sdwa s[4:5], v28, v31 src0_sel:BYTE_0 src1_sel:DWORD
	s_waitcnt lgkmcnt(0)
	v_or_b32_e32 v28, v30, v28
	v_cndmask_b32_e64 v31, 0, v39, s[4:5]
	v_or_b32_e32 v26, v28, v26
	v_add_u16_e32 v27, v31, v27
	v_cmp_eq_u16_e64 s[4:5], 0, v30
	v_and_b32_e32 v26, 1, v26
	v_and_b32_e32 v4, 0x10000, v3
	v_cndmask_b32_e64 v31, 0, v27, s[4:5]
	v_cmp_eq_u32_e64 s[4:5], 1, v26
	v_mbcnt_lo_u32_b32 v26, -1, 0
	v_add_u16_e32 v27, v31, v29
	v_cndmask_b32_e64 v39, v4, v5, s[4:5]
	v_add_u16_e32 v29, v31, v29
	v_and_b32_e32 v5, 0xff000000, v3
	v_mbcnt_hi_u32_b32 v26, -1, v26
	v_or_b32_e32 v30, v39, v5
	v_and_b32_e32 v31, 15, v26
	v_or3_b32 v29, v5, v29, v39
	s_movk_i32 s60, 0xff
	v_lshrrev_b32_e32 v28, 16, v30
	v_mov_b32_dpp v39, v29 row_shr:1 row_mask:0xf bank_mask:0xf
	v_cmp_ne_u32_e64 s[4:5], 0, v31
	s_and_saveexec_b64 s[58:59], s[4:5]
	s_cbranch_execz .LBB851_124
; %bb.123:
	v_and_b32_sdwa v28, v30, s60 dst_sel:DWORD dst_unused:UNUSED_PAD src0_sel:WORD_1 src1_sel:DWORD
	v_cmp_eq_u16_e64 s[4:5], 0, v28
	v_and_b32_e32 v28, 0x10000, v30
	v_mov_b32_e32 v30, 1
	v_cndmask_b32_e64 v29, 0, v39, s[4:5]
	v_and_b32_sdwa v30, v39, v30 dst_sel:DWORD dst_unused:UNUSED_PAD src0_sel:WORD_1 src1_sel:DWORD
	v_cmp_ne_u32_e64 s[4:5], 0, v28
	v_cndmask_b32_e64 v28, v30, 1, s[4:5]
	v_add_u16_e32 v40, v29, v27
	v_lshlrev_b32_e32 v30, 16, v28
	v_add_u16_e32 v27, v29, v27
	v_or3_b32 v29, v30, v27, v5
	v_mov_b32_e32 v27, v40
.LBB851_124:
	s_or_b64 exec, exec, s[58:59]
	v_lshrrev_b32_e32 v30, 16, v29
	v_mov_b32_dpp v39, v29 row_shr:2 row_mask:0xf bank_mask:0xf
	v_cmp_lt_u32_e64 s[4:5], 1, v31
	s_and_saveexec_b64 s[58:59], s[4:5]
	s_cbranch_execz .LBB851_126
; %bb.125:
	v_mov_b32_e32 v28, 0
	v_cmp_eq_u16_sdwa s[4:5], v30, v28 src0_sel:BYTE_0 src1_sel:DWORD
	v_and_b32_e32 v28, 0x10000, v29
	v_mov_b32_e32 v29, 1
	v_cndmask_b32_e64 v30, 0, v39, s[4:5]
	v_and_b32_sdwa v29, v39, v29 dst_sel:DWORD dst_unused:UNUSED_PAD src0_sel:WORD_1 src1_sel:DWORD
	v_cmp_ne_u32_e64 s[4:5], 0, v28
	v_cndmask_b32_e64 v28, v29, 1, s[4:5]
	v_add_u16_e32 v40, v30, v27
	v_lshlrev_b32_e32 v29, 16, v28
	v_add_u16_e32 v27, v30, v27
	v_or3_b32 v29, v29, v27, v5
	v_mov_b32_e32 v30, v28
	v_mov_b32_e32 v27, v40
.LBB851_126:
	s_or_b64 exec, exec, s[58:59]
	v_mov_b32_dpp v39, v29 row_shr:4 row_mask:0xf bank_mask:0xf
	v_cmp_lt_u32_e64 s[4:5], 3, v31
	s_and_saveexec_b64 s[58:59], s[4:5]
	s_cbranch_execz .LBB851_128
; %bb.127:
	v_mov_b32_e32 v28, 0
	v_cmp_eq_u16_sdwa s[4:5], v30, v28 src0_sel:BYTE_0 src1_sel:DWORD
	v_and_b32_e32 v28, 1, v30
	v_mov_b32_e32 v30, 1
	v_cndmask_b32_e64 v29, 0, v39, s[4:5]
	v_and_b32_sdwa v30, v39, v30 dst_sel:DWORD dst_unused:UNUSED_PAD src0_sel:WORD_1 src1_sel:DWORD
	v_cmp_eq_u32_e64 s[4:5], 1, v28
	v_cndmask_b32_e64 v28, v30, 1, s[4:5]
	v_add_u16_e32 v40, v29, v27
	v_lshlrev_b32_e32 v30, 16, v28
	v_add_u16_e32 v27, v29, v27
	v_or3_b32 v29, v30, v27, v5
	v_mov_b32_e32 v30, v28
	v_mov_b32_e32 v27, v40
.LBB851_128:
	s_or_b64 exec, exec, s[58:59]
	v_mov_b32_dpp v39, v29 row_shr:8 row_mask:0xf bank_mask:0xf
	v_cmp_lt_u32_e64 s[4:5], 7, v31
	s_and_saveexec_b64 s[58:59], s[4:5]
	s_cbranch_execz .LBB851_130
; %bb.129:
	v_mov_b32_e32 v28, 0
	v_cmp_eq_u16_sdwa s[4:5], v30, v28 src0_sel:BYTE_0 src1_sel:DWORD
	v_and_b32_e32 v28, 1, v30
	v_mov_b32_e32 v30, 1
	v_cndmask_b32_e64 v29, 0, v39, s[4:5]
	v_and_b32_sdwa v30, v39, v30 dst_sel:DWORD dst_unused:UNUSED_PAD src0_sel:WORD_1 src1_sel:DWORD
	v_cmp_eq_u32_e64 s[4:5], 1, v28
	v_cndmask_b32_e64 v28, v30, 1, s[4:5]
	v_add_u16_e32 v31, v29, v27
	v_lshlrev_b32_e32 v30, 16, v28
	v_add_u16_e32 v27, v29, v27
	v_or3_b32 v29, v30, v27, v5
	v_mov_b32_e32 v30, v28
	v_mov_b32_e32 v27, v31
.LBB851_130:
	s_or_b64 exec, exec, s[58:59]
	v_and_b32_e32 v39, 16, v26
	v_mov_b32_dpp v31, v29 row_bcast:15 row_mask:0xf bank_mask:0xf
	v_cmp_ne_u32_e64 s[4:5], 0, v39
	s_and_saveexec_b64 s[58:59], s[4:5]
	s_cbranch_execz .LBB851_132
; %bb.131:
	v_mov_b32_e32 v28, 0
	v_cmp_eq_u16_sdwa s[4:5], v30, v28 src0_sel:BYTE_0 src1_sel:DWORD
	v_and_b32_e32 v28, 1, v30
	v_mov_b32_e32 v30, 1
	v_cndmask_b32_e64 v29, 0, v31, s[4:5]
	v_and_b32_sdwa v30, v31, v30 dst_sel:DWORD dst_unused:UNUSED_PAD src0_sel:WORD_1 src1_sel:DWORD
	v_cmp_eq_u32_e64 s[4:5], 1, v28
	v_cndmask_b32_e64 v28, v30, 1, s[4:5]
	v_add_u16_e32 v39, v29, v27
	v_lshlrev_b32_e32 v30, 16, v28
	v_add_u16_e32 v27, v29, v27
	v_or3_b32 v29, v30, v27, v5
	v_mov_b32_e32 v30, v28
	v_mov_b32_e32 v27, v39
.LBB851_132:
	s_or_b64 exec, exec, s[58:59]
	v_mov_b32_dpp v29, v29 row_bcast:31 row_mask:0xf bank_mask:0xf
	v_cmp_lt_u32_e64 s[4:5], 31, v26
	s_and_saveexec_b64 s[58:59], s[4:5]
; %bb.133:
	v_mov_b32_e32 v28, 0
	v_cmp_eq_u16_sdwa s[4:5], v30, v28 src0_sel:BYTE_0 src1_sel:DWORD
	v_cndmask_b32_e64 v28, 0, v29, s[4:5]
	v_add_u16_e32 v27, v28, v27
	v_and_b32_e32 v28, 1, v30
	v_mov_b32_e32 v30, 1
	v_and_b32_sdwa v29, v29, v30 dst_sel:DWORD dst_unused:UNUSED_PAD src0_sel:WORD_1 src1_sel:DWORD
	v_cmp_eq_u32_e64 s[4:5], 1, v28
	v_cndmask_b32_e64 v28, v29, 1, s[4:5]
; %bb.134:
	s_or_b64 exec, exec, s[58:59]
	v_and_b32_e32 v28, 0xff, v28
	v_lshlrev_b32_e32 v28, 16, v28
	v_and_b32_e32 v27, 0xffff, v27
	v_or3_b32 v5, v28, v27, v5
	v_add_u32_e32 v27, -1, v26
	v_and_b32_e32 v28, 64, v26
	v_cmp_lt_i32_e64 s[4:5], v27, v28
	v_cndmask_b32_e64 v26, v27, v26, s[4:5]
	v_lshlrev_b32_e32 v26, 2, v26
	ds_bpermute_b32 v5, v26, v5
	v_and_b32_e32 v26, 0xff0000, v3
	v_cmp_eq_u32_e64 s[4:5], 0, v26
	; wave barrier
	s_waitcnt lgkmcnt(0)
	v_cndmask_b32_e64 v26, 0, v5, s[4:5]
	v_add_u16_e32 v3, v26, v3
	v_mov_b32_e32 v26, 1
	v_and_b32_sdwa v5, v5, v26 dst_sel:DWORD dst_unused:UNUSED_PAD src0_sel:WORD_1 src1_sel:DWORD
	v_cmp_eq_u32_e64 s[4:5], 0, v4
	v_cndmask_b32_e64 v4, 1, v5, s[4:5]
	v_cndmask_b32_e64 v3, v3, v37, s[0:1]
	;; [unrolled: 1-line block ×3, first 2 shown]
	ds_write_b16 v2, v3
	ds_write_b8 v2, v4 offset:2
	; wave barrier
	ds_read_u16 v5, v2 offset:4
	ds_read_u8 v26, v2 offset:6
	ds_read_u16 v27, v2 offset:8
	ds_read_u8 v28, v2 offset:10
	;; [unrolled: 2-line block ×3, first 2 shown]
	s_waitcnt lgkmcnt(4)
	v_cmp_eq_u16_e64 s[4:5], 0, v26
	v_cndmask_b32_e64 v3, 0, v3, s[4:5]
	v_add_u16_e32 v3, v3, v5
	v_and_b32_e32 v5, 1, v26
	v_cmp_eq_u32_e64 s[4:5], 1, v5
	v_cndmask_b32_e64 v4, v4, 1, s[4:5]
	s_waitcnt lgkmcnt(2)
	v_cmp_eq_u16_e64 s[4:5], 0, v28
	v_and_b32_e32 v5, 1, v28
	ds_write_b16 v2, v3 offset:4
	ds_write_b8 v2, v4 offset:6
	v_cndmask_b32_e64 v3, 0, v3, s[4:5]
	v_cmp_eq_u32_e64 s[4:5], 1, v5
	v_add_u16_e32 v3, v3, v27
	v_cndmask_b32_e64 v4, v4, 1, s[4:5]
	s_waitcnt lgkmcnt(2)
	v_cmp_eq_u16_e64 s[4:5], 0, v30
	ds_write_b16 v2, v3 offset:8
	ds_write_b8 v2, v4 offset:10
	v_cndmask_b32_e64 v3, 0, v3, s[4:5]
	v_and_b32_e32 v5, 1, v30
	v_add_u16_e32 v3, v3, v29
	v_cmp_eq_u32_e64 s[4:5], 1, v5
	v_cndmask_b32_e64 v4, v4, 1, s[4:5]
	ds_write_b16 v2, v3 offset:12
	ds_write_b8 v2, v4 offset:14
.LBB851_135:
	s_or_b64 exec, exec, s[50:51]
	s_waitcnt lgkmcnt(0)
	s_barrier
	s_and_saveexec_b64 s[4:5], s[52:53]
	s_cbranch_execz .LBB851_137
; %bb.136:
	v_add_u32_e32 v2, -1, v0
	v_lshrrev_b32_e32 v3, 5, v2
	v_add_lshl_u32 v2, v3, v2, 2
	ds_read_u16 v37, v2
	ds_read_u8 v38, v2 offset:2
.LBB851_137:
	s_or_b64 exec, exec, s[4:5]
	s_and_saveexec_b64 s[4:5], vcc
	s_cbranch_execz .LBB851_180
; %bb.138:
	v_mov_b32_e32 v29, 0
	ds_read_b32 v2, v29 offset:1048
	v_mbcnt_lo_u32_b32 v3, -1, 0
	v_mbcnt_hi_u32_b32 v5, -1, v3
	s_mov_b32 s61, 0
	v_cmp_eq_u32_e64 s[50:51], 0, v5
	s_and_saveexec_b64 s[58:59], s[50:51]
	s_cbranch_execz .LBB851_140
; %bb.139:
	s_add_i32 s60, s67, 64
	s_lshl_b64 s[60:61], s[60:61], 3
	s_add_u32 s60, s64, s60
	v_mov_b32_e32 v3, 1
	s_addc_u32 s61, s65, s61
	s_waitcnt lgkmcnt(0)
	global_store_dwordx2 v29, v[2:3], s[60:61]
.LBB851_140:
	s_or_b64 exec, exec, s[58:59]
	v_xad_u32 v4, v5, -1, s67
	v_add_u32_e32 v28, 64, v4
	v_lshlrev_b64 v[26:27], 3, v[28:29]
	v_mov_b32_e32 v3, s65
	v_add_co_u32_e32 v30, vcc, s64, v26
	v_addc_co_u32_e32 v31, vcc, v3, v27, vcc
	global_load_dwordx2 v[26:27], v[30:31], off glc
	s_waitcnt vmcnt(0)
	v_cmp_eq_u16_sdwa s[60:61], v27, v29 src0_sel:BYTE_0 src1_sel:DWORD
	s_and_saveexec_b64 s[58:59], s[60:61]
	s_cbranch_execz .LBB851_144
; %bb.141:
	s_mov_b64 s[60:61], 0
	v_mov_b32_e32 v3, 0
.LBB851_142:                            ; =>This Inner Loop Header: Depth=1
	global_load_dwordx2 v[26:27], v[30:31], off glc
	s_waitcnt vmcnt(0)
	v_cmp_ne_u16_sdwa s[68:69], v27, v3 src0_sel:BYTE_0 src1_sel:DWORD
	s_or_b64 s[60:61], s[68:69], s[60:61]
	s_andn2_b64 exec, exec, s[60:61]
	s_cbranch_execnz .LBB851_142
; %bb.143:
	s_or_b64 exec, exec, s[60:61]
.LBB851_144:
	s_or_b64 exec, exec, s[58:59]
	v_mov_b32_e32 v3, 2
	v_cmp_eq_u16_sdwa s[58:59], v27, v3 src0_sel:BYTE_0 src1_sel:DWORD
	v_lshlrev_b64 v[28:29], v5, -1
	v_and_b32_e32 v3, s59, v29
	v_or_b32_e32 v3, 0x80000000, v3
	v_ffbl_b32_e32 v3, v3
	v_add_u32_e32 v31, 32, v3
	v_and_b32_e32 v3, 63, v5
	v_cmp_ne_u32_e32 vcc, 63, v3
	v_addc_co_u32_e32 v39, vcc, 0, v5, vcc
	v_and_b32_e32 v50, 0xffffff, v26
	v_lshlrev_b32_e32 v39, 2, v39
	ds_bpermute_b32 v40, v39, v50
	v_and_b32_e32 v30, s58, v28
	v_ffbl_b32_e32 v30, v30
	v_min_u32_e32 v31, v30, v31
	v_lshrrev_b32_e32 v30, 16, v26
	v_cmp_lt_u32_e32 vcc, v3, v31
	v_bfe_u32 v48, v26, 16, 8
	s_and_saveexec_b64 s[58:59], vcc
	s_cbranch_execz .LBB851_146
; %bb.145:
	v_and_b32_e32 v30, 0xff0000, v26
	v_cmp_eq_u32_e32 vcc, 0, v30
	v_and_b32_e32 v30, 0x10000, v30
	v_mov_b32_e32 v43, 1
	s_waitcnt lgkmcnt(0)
	v_cndmask_b32_e32 v41, 0, v40, vcc
	v_and_b32_sdwa v40, v40, v43 dst_sel:DWORD dst_unused:UNUSED_PAD src0_sel:WORD_1 src1_sel:DWORD
	v_cmp_ne_u32_e32 vcc, 0, v30
	v_cndmask_b32_e64 v30, v40, 1, vcc
	v_add_u16_e32 v42, v41, v26
	v_lshlrev_b32_e32 v40, 16, v30
	v_add_u16_e32 v26, v41, v26
	v_or_b32_e32 v50, v40, v26
	v_mov_b32_e32 v26, v42
	v_mov_b32_e32 v48, v30
.LBB851_146:
	s_or_b64 exec, exec, s[58:59]
	v_cmp_gt_u32_e32 vcc, 62, v3
	s_waitcnt lgkmcnt(0)
	v_cndmask_b32_e64 v40, 0, 1, vcc
	v_lshlrev_b32_e32 v40, 1, v40
	v_add_lshl_u32 v40, v40, v5, 2
	ds_bpermute_b32 v42, v40, v50
	v_add_u32_e32 v41, 2, v3
	v_cmp_le_u32_e32 vcc, v41, v31
	s_and_saveexec_b64 s[58:59], vcc
	s_cbranch_execz .LBB851_148
; %bb.147:
	v_cmp_eq_u16_e32 vcc, 0, v48
	v_and_b32_e32 v30, 1, v48
	v_mov_b32_e32 v45, 1
	s_waitcnt lgkmcnt(0)
	v_cndmask_b32_e32 v43, 0, v42, vcc
	v_and_b32_sdwa v42, v42, v45 dst_sel:DWORD dst_unused:UNUSED_PAD src0_sel:WORD_1 src1_sel:DWORD
	v_cmp_eq_u32_e32 vcc, 1, v30
	v_cndmask_b32_e64 v30, v42, 1, vcc
	v_add_u16_e32 v44, v43, v26
	v_lshlrev_b32_e32 v42, 16, v30
	v_add_u16_e32 v26, v43, v26
	v_or_b32_e32 v50, v42, v26
	v_mov_b32_e32 v26, v44
	v_mov_b32_e32 v48, v30
.LBB851_148:
	s_or_b64 exec, exec, s[58:59]
	v_cmp_gt_u32_e32 vcc, 60, v3
	s_waitcnt lgkmcnt(0)
	v_cndmask_b32_e64 v42, 0, 1, vcc
	v_lshlrev_b32_e32 v42, 2, v42
	v_add_lshl_u32 v42, v42, v5, 2
	ds_bpermute_b32 v44, v42, v50
	v_add_u32_e32 v43, 4, v3
	v_cmp_le_u32_e32 vcc, v43, v31
	s_and_saveexec_b64 s[58:59], vcc
	s_cbranch_execz .LBB851_150
; %bb.149:
	v_cmp_eq_u16_e32 vcc, 0, v48
	v_and_b32_e32 v30, 1, v48
	v_mov_b32_e32 v47, 1
	s_waitcnt lgkmcnt(0)
	v_cndmask_b32_e32 v45, 0, v44, vcc
	v_and_b32_sdwa v44, v44, v47 dst_sel:DWORD dst_unused:UNUSED_PAD src0_sel:WORD_1 src1_sel:DWORD
	v_cmp_eq_u32_e32 vcc, 1, v30
	v_cndmask_b32_e64 v30, v44, 1, vcc
	v_add_u16_e32 v46, v45, v26
	v_lshlrev_b32_e32 v44, 16, v30
	v_add_u16_e32 v26, v45, v26
	v_or_b32_e32 v50, v44, v26
	v_mov_b32_e32 v26, v46
	v_mov_b32_e32 v48, v30
.LBB851_150:
	;; [unrolled: 27-line block ×4, first 2 shown]
	s_or_b64 exec, exec, s[58:59]
	v_cmp_gt_u32_e32 vcc, 32, v3
	s_waitcnt lgkmcnt(0)
	v_cndmask_b32_e64 v49, 0, 1, vcc
	v_lshlrev_b32_e32 v49, 5, v49
	v_add_lshl_u32 v49, v49, v5, 2
	ds_bpermute_b32 v5, v49, v50
	v_add_u32_e32 v50, 32, v3
	v_cmp_le_u32_e32 vcc, v50, v31
	s_and_saveexec_b64 s[58:59], vcc
	s_cbranch_execz .LBB851_156
; %bb.155:
	v_cmp_eq_u16_e32 vcc, 0, v48
	s_waitcnt lgkmcnt(0)
	v_cndmask_b32_e32 v30, 0, v5, vcc
	v_add_u16_e32 v26, v30, v26
	v_and_b32_e32 v30, 1, v48
	v_mov_b32_e32 v31, 1
	v_and_b32_sdwa v5, v5, v31 dst_sel:DWORD dst_unused:UNUSED_PAD src0_sel:WORD_1 src1_sel:DWORD
	v_cmp_eq_u32_e32 vcc, 1, v30
	v_cndmask_b32_e64 v30, v5, 1, vcc
.LBB851_156:
	s_or_b64 exec, exec, s[58:59]
	s_waitcnt lgkmcnt(0)
	v_mov_b32_e32 v5, 0
	v_mov_b32_e32 v52, 2
	;; [unrolled: 1-line block ×3, first 2 shown]
	s_branch .LBB851_158
.LBB851_157:                            ;   in Loop: Header=BB851_158 Depth=1
	s_or_b64 exec, exec, s[58:59]
	v_cmp_eq_u16_sdwa vcc, v48, v5 src0_sel:BYTE_0 src1_sel:DWORD
	v_and_b32_e32 v30, 1, v48
	v_cndmask_b32_e32 v26, 0, v26, vcc
	v_and_b32_e32 v31, 1, v31
	v_cmp_eq_u32_e32 vcc, 1, v30
	v_subrev_u32_e32 v4, 64, v4
	v_add_u16_e32 v26, v26, v51
	v_cndmask_b32_e64 v30, v31, 1, vcc
.LBB851_158:                            ; =>This Loop Header: Depth=1
                                        ;     Child Loop BB851_161 Depth 2
	v_cmp_ne_u16_sdwa s[58:59], v27, v52 src0_sel:BYTE_0 src1_sel:DWORD
	v_cndmask_b32_e64 v27, 0, 1, s[58:59]
	;;#ASMSTART
	;;#ASMEND
	v_cmp_ne_u32_e32 vcc, 0, v27
	v_mov_b32_e32 v48, v30
	s_cmp_lg_u64 vcc, exec
	v_mov_b32_e32 v51, v26
	s_cbranch_scc1 .LBB851_175
; %bb.159:                              ;   in Loop: Header=BB851_158 Depth=1
	v_lshlrev_b64 v[26:27], 3, v[4:5]
	v_mov_b32_e32 v31, s65
	v_add_co_u32_e32 v30, vcc, s64, v26
	v_addc_co_u32_e32 v31, vcc, v31, v27, vcc
	global_load_dwordx2 v[26:27], v[30:31], off glc
	s_waitcnt vmcnt(0)
	v_cmp_eq_u16_sdwa s[60:61], v27, v5 src0_sel:BYTE_0 src1_sel:DWORD
	s_and_saveexec_b64 s[58:59], s[60:61]
	s_cbranch_execz .LBB851_163
; %bb.160:                              ;   in Loop: Header=BB851_158 Depth=1
	s_mov_b64 s[60:61], 0
.LBB851_161:                            ;   Parent Loop BB851_158 Depth=1
                                        ; =>  This Inner Loop Header: Depth=2
	global_load_dwordx2 v[26:27], v[30:31], off glc
	s_waitcnt vmcnt(0)
	v_cmp_ne_u16_sdwa s[68:69], v27, v5 src0_sel:BYTE_0 src1_sel:DWORD
	s_or_b64 s[60:61], s[68:69], s[60:61]
	s_andn2_b64 exec, exec, s[60:61]
	s_cbranch_execnz .LBB851_161
; %bb.162:                              ;   in Loop: Header=BB851_158 Depth=1
	s_or_b64 exec, exec, s[60:61]
.LBB851_163:                            ;   in Loop: Header=BB851_158 Depth=1
	s_or_b64 exec, exec, s[58:59]
	v_cmp_eq_u16_sdwa s[58:59], v27, v52 src0_sel:BYTE_0 src1_sel:DWORD
	v_and_b32_e32 v30, s59, v29
	s_waitcnt lgkmcnt(0)
	v_and_b32_e32 v55, 0xffffff, v26
	v_or_b32_e32 v30, 0x80000000, v30
	ds_bpermute_b32 v56, v39, v55
	v_and_b32_e32 v31, s58, v28
	v_ffbl_b32_e32 v30, v30
	v_add_u32_e32 v30, 32, v30
	v_ffbl_b32_e32 v31, v31
	v_min_u32_e32 v30, v31, v30
	v_lshrrev_b32_e32 v31, 16, v26
	v_cmp_lt_u32_e32 vcc, v3, v30
	v_bfe_u32 v54, v26, 16, 8
	s_and_saveexec_b64 s[58:59], vcc
	s_cbranch_execz .LBB851_165
; %bb.164:                              ;   in Loop: Header=BB851_158 Depth=1
	v_and_b32_e32 v31, 0xff0000, v26
	v_cmp_eq_u32_e32 vcc, 0, v31
	v_and_b32_e32 v31, 0x10000, v31
	s_waitcnt lgkmcnt(0)
	v_cndmask_b32_e32 v54, 0, v56, vcc
	v_and_b32_sdwa v55, v56, v53 dst_sel:DWORD dst_unused:UNUSED_PAD src0_sel:WORD_1 src1_sel:DWORD
	v_cmp_ne_u32_e32 vcc, 0, v31
	v_cndmask_b32_e64 v31, v55, 1, vcc
	v_add_u16_e32 v57, v54, v26
	v_lshlrev_b32_e32 v55, 16, v31
	v_add_u16_e32 v26, v54, v26
	v_or_b32_e32 v55, v55, v26
	v_mov_b32_e32 v26, v57
	v_mov_b32_e32 v54, v31
.LBB851_165:                            ;   in Loop: Header=BB851_158 Depth=1
	s_or_b64 exec, exec, s[58:59]
	s_waitcnt lgkmcnt(0)
	ds_bpermute_b32 v56, v40, v55
	v_cmp_le_u32_e32 vcc, v41, v30
	s_and_saveexec_b64 s[58:59], vcc
	s_cbranch_execz .LBB851_167
; %bb.166:                              ;   in Loop: Header=BB851_158 Depth=1
	v_cmp_eq_u16_e32 vcc, 0, v54
	v_and_b32_e32 v31, 1, v54
	s_waitcnt lgkmcnt(0)
	v_cndmask_b32_e32 v55, 0, v56, vcc
	v_and_b32_sdwa v54, v56, v53 dst_sel:DWORD dst_unused:UNUSED_PAD src0_sel:WORD_1 src1_sel:DWORD
	v_cmp_eq_u32_e32 vcc, 1, v31
	v_cndmask_b32_e64 v31, v54, 1, vcc
	v_add_u16_e32 v57, v55, v26
	v_lshlrev_b32_e32 v54, 16, v31
	v_add_u16_e32 v26, v55, v26
	v_or_b32_e32 v55, v54, v26
	v_mov_b32_e32 v26, v57
	v_mov_b32_e32 v54, v31
.LBB851_167:                            ;   in Loop: Header=BB851_158 Depth=1
	s_or_b64 exec, exec, s[58:59]
	s_waitcnt lgkmcnt(0)
	ds_bpermute_b32 v56, v42, v55
	v_cmp_le_u32_e32 vcc, v43, v30
	s_and_saveexec_b64 s[58:59], vcc
	s_cbranch_execz .LBB851_169
; %bb.168:                              ;   in Loop: Header=BB851_158 Depth=1
	v_cmp_eq_u16_e32 vcc, 0, v54
	v_and_b32_e32 v31, 1, v54
	s_waitcnt lgkmcnt(0)
	v_cndmask_b32_e32 v55, 0, v56, vcc
	v_and_b32_sdwa v54, v56, v53 dst_sel:DWORD dst_unused:UNUSED_PAD src0_sel:WORD_1 src1_sel:DWORD
	v_cmp_eq_u32_e32 vcc, 1, v31
	v_cndmask_b32_e64 v31, v54, 1, vcc
	v_add_u16_e32 v57, v55, v26
	v_lshlrev_b32_e32 v54, 16, v31
	v_add_u16_e32 v26, v55, v26
	v_or_b32_e32 v55, v54, v26
	v_mov_b32_e32 v26, v57
	v_mov_b32_e32 v54, v31
.LBB851_169:                            ;   in Loop: Header=BB851_158 Depth=1
	;; [unrolled: 21-line block ×4, first 2 shown]
	s_or_b64 exec, exec, s[58:59]
	ds_bpermute_b32 v55, v49, v55
	v_cmp_le_u32_e32 vcc, v50, v30
	s_and_saveexec_b64 s[58:59], vcc
	s_cbranch_execz .LBB851_157
; %bb.174:                              ;   in Loop: Header=BB851_158 Depth=1
	v_cmp_eq_u16_e32 vcc, 0, v54
	s_waitcnt lgkmcnt(0)
	v_cndmask_b32_e32 v30, 0, v55, vcc
	v_add_u16_e32 v26, v30, v26
	v_and_b32_e32 v30, 1, v54
	v_lshrrev_b32_e32 v31, 16, v55
	v_cmp_eq_u32_e32 vcc, 1, v30
	v_cndmask_b32_e64 v31, v31, 1, vcc
	s_branch .LBB851_157
.LBB851_175:                            ;   in Loop: Header=BB851_158 Depth=1
                                        ; implicit-def: $vgpr30
                                        ; implicit-def: $vgpr26
	s_cbranch_execz .LBB851_158
; %bb.176:
	s_and_saveexec_b64 s[58:59], s[50:51]
	s_cbranch_execz .LBB851_178
; %bb.177:
	v_and_b32_e32 v3, 0xff0000, v2
	s_mov_b32 s51, 0
	v_cmp_eq_u32_e32 vcc, 0, v3
	v_and_b32_e32 v4, 0x10000, v2
	v_mov_b32_e32 v5, 1
	s_add_i32 s50, s67, 64
	v_cndmask_b32_e32 v3, 0, v51, vcc
	v_and_b32_sdwa v5, v48, v5 dst_sel:WORD_1 dst_unused:UNUSED_PAD src0_sel:DWORD src1_sel:DWORD
	v_mov_b32_e32 v26, 0x10000
	v_cmp_eq_u32_e32 vcc, 0, v4
	s_lshl_b64 s[50:51], s[50:51], 3
	v_cndmask_b32_e32 v4, v26, v5, vcc
	s_add_u32 s50, s64, s50
	v_add_u16_e32 v2, v3, v2
	s_addc_u32 s51, s65, s51
	v_mov_b32_e32 v5, 0
	v_or_b32_e32 v2, v4, v2
	v_mov_b32_e32 v3, 2
	global_store_dwordx2 v5, v[2:3], s[50:51]
.LBB851_178:
	s_or_b64 exec, exec, s[58:59]
	s_and_b64 exec, exec, s[0:1]
	s_cbranch_execz .LBB851_180
; %bb.179:
	v_mov_b32_e32 v2, 0
	ds_write_b16 v2, v51
	ds_write_b8 v2, v48 offset:2
.LBB851_180:
	s_or_b64 exec, exec, s[4:5]
	v_mov_b32_e32 v2, 0
	s_mov_b32 s4, 0x10000
	s_waitcnt lgkmcnt(0)
	s_barrier
	ds_read_b32 v3, v2
	v_cmp_gt_u32_e32 vcc, s4, v6
	v_and_b32_e32 v5, 0x10000, v6
	v_cndmask_b32_e32 v4, 0, v37, vcc
	v_and_b32_e32 v26, 1, v38
	v_cmp_ne_u32_e32 vcc, 0, v5
	v_cndmask_b32_e64 v5, v26, 1, vcc
	v_cndmask_b32_e64 v5, v5, v36, s[0:1]
	v_cndmask_b32_e64 v4, v4, 0, s[0:1]
	v_cmp_eq_u16_sdwa vcc, v5, v2 src0_sel:BYTE_0 src1_sel:DWORD
	v_add_u16_e32 v4, v4, v6
	s_waitcnt lgkmcnt(0)
	v_cndmask_b32_e32 v2, 0, v3, vcc
	v_add_u16_e32 v4, v4, v2
	v_cndmask_b32_e64 v2, 0, v4, s[6:7]
	v_add_u16_e32 v5, v2, v7
	v_cndmask_b32_e64 v2, 0, v5, s[8:9]
	;; [unrolled: 2-line block ×21, first 2 shown]
	v_add_u16_e32 v49, v2, v33
	s_branch .LBB851_223
.LBB851_181:
	s_or_b64 exec, exec, s[4:5]
                                        ; implicit-def: $vgpr17
	s_and_saveexec_b64 s[4:5], s[6:7]
	s_cbranch_execz .LBB851_51
.LBB851_182:
	v_mov_b32_e32 v17, s75
	v_add_co_u32_e32 v18, vcc, s74, v11
	v_addc_co_u32_e32 v19, vcc, 0, v17, vcc
	flat_load_ushort v17, v[18:19] offset:512
	s_or_b64 exec, exec, s[4:5]
                                        ; implicit-def: $vgpr18
	s_and_saveexec_b64 s[4:5], s[8:9]
	s_cbranch_execnz .LBB851_52
.LBB851_183:
	s_or_b64 exec, exec, s[4:5]
                                        ; implicit-def: $vgpr19
	s_and_saveexec_b64 s[4:5], s[10:11]
	s_cbranch_execz .LBB851_53
.LBB851_184:
	v_mov_b32_e32 v19, s75
	v_add_co_u32_e32 v20, vcc, s74, v11
	v_addc_co_u32_e32 v21, vcc, 0, v19, vcc
	flat_load_ushort v19, v[20:21] offset:1536
	s_or_b64 exec, exec, s[4:5]
                                        ; implicit-def: $vgpr20
	s_and_saveexec_b64 s[4:5], s[12:13]
	s_cbranch_execnz .LBB851_54
.LBB851_185:
	s_or_b64 exec, exec, s[4:5]
                                        ; implicit-def: $vgpr21
	s_and_saveexec_b64 s[4:5], s[14:15]
	s_cbranch_execz .LBB851_55
.LBB851_186:
	v_mov_b32_e32 v21, s75
	v_add_co_u32_e32 v22, vcc, s74, v11
	v_addc_co_u32_e32 v23, vcc, 0, v21, vcc
	flat_load_ushort v21, v[22:23] offset:2560
	s_or_b64 exec, exec, s[4:5]
                                        ; implicit-def: $vgpr22
	s_and_saveexec_b64 s[4:5], s[16:17]
	s_cbranch_execnz .LBB851_56
.LBB851_187:
	s_or_b64 exec, exec, s[4:5]
                                        ; implicit-def: $vgpr23
	s_and_saveexec_b64 s[4:5], s[18:19]
	s_cbranch_execz .LBB851_57
.LBB851_188:
	v_mov_b32_e32 v23, s75
	v_add_co_u32_e32 v24, vcc, s74, v11
	v_addc_co_u32_e32 v25, vcc, 0, v23, vcc
	flat_load_ushort v23, v[24:25] offset:3584
	s_or_b64 exec, exec, s[4:5]
                                        ; implicit-def: $vgpr24
	s_and_saveexec_b64 s[4:5], s[20:21]
	s_cbranch_execnz .LBB851_58
.LBB851_189:
	s_or_b64 exec, exec, s[4:5]
                                        ; implicit-def: $vgpr1
	s_and_saveexec_b64 s[4:5], s[22:23]
	s_cbranch_execz .LBB851_59
.LBB851_190:
	v_mov_b32_e32 v1, s75
	v_add_co_u32_e32 v40, vcc, s74, v2
	v_addc_co_u32_e32 v41, vcc, 0, v1, vcc
	flat_load_ushort v1, v[40:41]
	s_or_b64 exec, exec, s[4:5]
                                        ; implicit-def: $vgpr2
	s_and_saveexec_b64 s[4:5], s[24:25]
	s_cbranch_execnz .LBB851_60
.LBB851_191:
	s_or_b64 exec, exec, s[4:5]
                                        ; implicit-def: $vgpr3
	s_and_saveexec_b64 s[4:5], s[26:27]
	s_cbranch_execz .LBB851_61
.LBB851_192:
	v_mov_b32_e32 v3, s75
	v_add_co_u32_e32 v40, vcc, s74, v4
	v_addc_co_u32_e32 v41, vcc, 0, v3, vcc
	flat_load_ushort v3, v[40:41]
	s_or_b64 exec, exec, s[4:5]
                                        ; implicit-def: $vgpr4
	s_and_saveexec_b64 s[4:5], s[28:29]
	s_cbranch_execnz .LBB851_62
.LBB851_193:
	s_or_b64 exec, exec, s[4:5]
                                        ; implicit-def: $vgpr5
	s_and_saveexec_b64 s[4:5], s[30:31]
	s_cbranch_execz .LBB851_63
.LBB851_194:
	v_mov_b32_e32 v5, s75
	v_add_co_u32_e32 v40, vcc, s74, v7
	v_addc_co_u32_e32 v41, vcc, 0, v5, vcc
	flat_load_ushort v5, v[40:41]
	s_or_b64 exec, exec, s[4:5]
                                        ; implicit-def: $vgpr7
	s_and_saveexec_b64 s[4:5], s[34:35]
	s_cbranch_execnz .LBB851_64
.LBB851_195:
	s_or_b64 exec, exec, s[4:5]
                                        ; implicit-def: $vgpr8
	s_and_saveexec_b64 s[4:5], s[36:37]
	s_cbranch_execz .LBB851_65
.LBB851_196:
	v_mov_b32_e32 v25, s75
	v_add_co_u32_e32 v8, vcc, s74, v9
	v_addc_co_u32_e32 v9, vcc, 0, v25, vcc
	flat_load_ushort v8, v[8:9]
	s_or_b64 exec, exec, s[4:5]
                                        ; implicit-def: $vgpr9
	s_and_saveexec_b64 s[4:5], s[38:39]
	s_cbranch_execnz .LBB851_66
.LBB851_197:
	s_or_b64 exec, exec, s[4:5]
                                        ; implicit-def: $vgpr10
	s_and_saveexec_b64 s[4:5], s[40:41]
	s_cbranch_execz .LBB851_67
.LBB851_198:
	v_mov_b32_e32 v10, s75
	v_add_co_u32_e32 v40, vcc, s74, v12
	v_addc_co_u32_e32 v41, vcc, 0, v10, vcc
	flat_load_ushort v10, v[40:41]
	s_or_b64 exec, exec, s[4:5]
                                        ; implicit-def: $vgpr12
	s_and_saveexec_b64 s[4:5], s[42:43]
	s_cbranch_execnz .LBB851_68
.LBB851_199:
	s_or_b64 exec, exec, s[4:5]
                                        ; implicit-def: $vgpr13
	s_and_saveexec_b64 s[4:5], s[44:45]
	s_cbranch_execz .LBB851_69
.LBB851_200:
	v_mov_b32_e32 v13, s75
	v_add_co_u32_e32 v40, vcc, s74, v14
	v_addc_co_u32_e32 v41, vcc, 0, v13, vcc
	flat_load_ushort v13, v[40:41]
	s_or_b64 exec, exec, s[4:5]
                                        ; implicit-def: $vgpr14
	s_and_saveexec_b64 s[4:5], s[46:47]
	s_cbranch_execz .LBB851_71
	s_branch .LBB851_70
.LBB851_201:
                                        ; implicit-def: $vgpr4
                                        ; implicit-def: $vgpr5
                                        ; implicit-def: $vgpr26
                                        ; implicit-def: $vgpr27
                                        ; implicit-def: $vgpr28
                                        ; implicit-def: $vgpr29
                                        ; implicit-def: $vgpr30
                                        ; implicit-def: $vgpr31
                                        ; implicit-def: $vgpr36
                                        ; implicit-def: $vgpr37
                                        ; implicit-def: $vgpr38
                                        ; implicit-def: $vgpr39
                                        ; implicit-def: $vgpr40
                                        ; implicit-def: $vgpr41
                                        ; implicit-def: $vgpr42
                                        ; implicit-def: $vgpr43
                                        ; implicit-def: $vgpr44
                                        ; implicit-def: $vgpr45
                                        ; implicit-def: $vgpr46
                                        ; implicit-def: $vgpr47
                                        ; implicit-def: $vgpr48
                                        ; implicit-def: $vgpr49
	s_cbranch_execz .LBB851_223
; %bb.202:
	s_cmp_lg_u64 s[72:73], 0
	s_cselect_b32 s7, s71, 0
	s_cselect_b32 s6, s70, 0
	s_cmp_lg_u64 s[6:7], 0
	s_cselect_b64 s[4:5], -1, 0
	s_and_b64 s[8:9], s[0:1], s[4:5]
	v_mov_b32_e32 v4, v6
	s_and_saveexec_b64 s[4:5], s[8:9]
	s_cbranch_execz .LBB851_204
; %bb.203:
	v_mov_b32_e32 v2, 0
	global_load_ushort v3, v2, s[6:7]
	global_load_ubyte v4, v2, s[6:7] offset:2
	s_mov_b32 s6, 0x10000
	v_and_b32_e32 v2, 0x10000, v6
	v_mov_b32_e32 v5, 1
	v_cmp_gt_u32_e32 vcc, s6, v6
	v_mov_b32_e32 v26, 0x10000
	s_waitcnt vmcnt(1)
	v_cndmask_b32_e32 v3, 0, v3, vcc
	s_waitcnt vmcnt(0)
	v_and_b32_sdwa v4, v4, v5 dst_sel:WORD_1 dst_unused:UNUSED_PAD src0_sel:DWORD src1_sel:DWORD
	v_cmp_eq_u32_e32 vcc, 0, v2
	v_add_u16_e32 v3, v3, v6
	v_cndmask_b32_e32 v2, v26, v4, vcc
	v_or_b32_e32 v4, v2, v3
.LBB851_204:
	s_or_b64 exec, exec, s[4:5]
	s_mov_b32 s4, 0x10000
	v_cmp_gt_u32_e32 vcc, s4, v7
	v_cndmask_b32_e32 v3, 0, v4, vcc
	v_add_u16_e32 v5, v3, v7
	v_cmp_gt_u32_e64 s[6:7], s4, v8
	v_cndmask_b32_e64 v3, 0, v5, s[6:7]
	v_add_u16_e32 v26, v3, v8
	v_cmp_gt_u32_e64 s[8:9], s4, v9
	v_cndmask_b32_e64 v3, 0, v26, s[8:9]
	;; [unrolled: 3-line block ×20, first 2 shown]
	v_add_u16_e32 v49, v3, v33
	v_or3_b32 v3, v35, v14, v25
	v_or3_b32 v3, v3, v24, v23
	;; [unrolled: 1-line block ×9, first 2 shown]
	v_and_b32_e32 v3, 0x10000, v3
	v_lshrrev_b32_e32 v2, 16, v4
	v_cmp_ne_u32_e64 s[4:5], 0, v3
	v_mov_b32_e32 v35, 0x10000
	v_cndmask_b32_e64 v3, v2, 1, s[4:5]
	v_add_lshl_u32 v2, v34, v0, 2
	v_cmp_gt_u32_e64 s[4:5], 64, v0
	ds_write_b16 v2, v49
	ds_write_b8 v2, v3 offset:2
	s_waitcnt lgkmcnt(0)
	s_barrier
	s_and_saveexec_b64 s[48:49], s[4:5]
	s_cbranch_execz .LBB851_218
; %bb.205:
	v_lshlrev_b32_e32 v2, 2, v0
	v_lshrrev_b32_e32 v6, 3, v0
	v_add_lshl_u32 v2, v6, v2, 2
	ds_read_b32 v6, v2
	ds_read_u16 v34, v2 offset:4
	ds_read_u8 v50, v2 offset:6
	ds_read_u16 v51, v2 offset:8
	ds_read_u8 v52, v2 offset:10
	;; [unrolled: 2-line block ×3, first 2 shown]
	v_mov_b32_e32 v55, 0
	s_waitcnt lgkmcnt(4)
	v_cmp_eq_u16_sdwa s[4:5], v50, v55 src0_sel:BYTE_0 src1_sel:DWORD
	v_cndmask_b32_e64 v56, 0, v6, s[4:5]
	v_add_u16_e32 v56, v56, v34
	s_waitcnt lgkmcnt(2)
	v_cmp_eq_u16_sdwa s[4:5], v52, v55 src0_sel:BYTE_0 src1_sel:DWORD
	s_waitcnt lgkmcnt(0)
	v_or_b32_e32 v52, v54, v52
	v_cndmask_b32_e64 v55, 0, v56, s[4:5]
	v_or_b32_e32 v50, v52, v50
	v_add_u16_e32 v51, v55, v51
	v_cmp_eq_u16_e64 s[4:5], 0, v54
	v_and_b32_e32 v50, 1, v50
	v_and_b32_e32 v34, 0x10000, v6
	v_cndmask_b32_e64 v55, 0, v51, s[4:5]
	v_cmp_eq_u32_e64 s[4:5], 1, v50
	v_mbcnt_lo_u32_b32 v50, -1, 0
	v_add_u16_e32 v51, v55, v53
	v_cndmask_b32_e64 v56, v34, v35, s[4:5]
	v_add_u16_e32 v53, v55, v53
	v_and_b32_e32 v35, 0xff000000, v6
	v_mbcnt_hi_u32_b32 v50, -1, v50
	v_or_b32_e32 v54, v56, v35
	v_and_b32_e32 v55, 15, v50
	v_or3_b32 v53, v35, v53, v56
	s_movk_i32 s58, 0xff
	v_lshrrev_b32_e32 v52, 16, v54
	v_mov_b32_dpp v56, v53 row_shr:1 row_mask:0xf bank_mask:0xf
	v_cmp_ne_u32_e64 s[4:5], 0, v55
	s_and_saveexec_b64 s[50:51], s[4:5]
	s_cbranch_execz .LBB851_207
; %bb.206:
	v_and_b32_sdwa v52, v54, s58 dst_sel:DWORD dst_unused:UNUSED_PAD src0_sel:WORD_1 src1_sel:DWORD
	v_cmp_eq_u16_e64 s[4:5], 0, v52
	v_and_b32_e32 v52, 0x10000, v54
	v_mov_b32_e32 v54, 1
	v_cndmask_b32_e64 v53, 0, v56, s[4:5]
	v_and_b32_sdwa v54, v56, v54 dst_sel:DWORD dst_unused:UNUSED_PAD src0_sel:WORD_1 src1_sel:DWORD
	v_cmp_ne_u32_e64 s[4:5], 0, v52
	v_cndmask_b32_e64 v52, v54, 1, s[4:5]
	v_add_u16_e32 v57, v53, v51
	v_lshlrev_b32_e32 v54, 16, v52
	v_add_u16_e32 v51, v53, v51
	v_or3_b32 v53, v54, v51, v35
	v_mov_b32_e32 v51, v57
.LBB851_207:
	s_or_b64 exec, exec, s[50:51]
	v_lshrrev_b32_e32 v54, 16, v53
	v_mov_b32_dpp v56, v53 row_shr:2 row_mask:0xf bank_mask:0xf
	v_cmp_lt_u32_e64 s[4:5], 1, v55
	s_and_saveexec_b64 s[50:51], s[4:5]
	s_cbranch_execz .LBB851_209
; %bb.208:
	v_mov_b32_e32 v52, 0
	v_cmp_eq_u16_sdwa s[4:5], v54, v52 src0_sel:BYTE_0 src1_sel:DWORD
	v_and_b32_e32 v52, 0x10000, v53
	v_mov_b32_e32 v53, 1
	v_cndmask_b32_e64 v54, 0, v56, s[4:5]
	v_and_b32_sdwa v53, v56, v53 dst_sel:DWORD dst_unused:UNUSED_PAD src0_sel:WORD_1 src1_sel:DWORD
	v_cmp_ne_u32_e64 s[4:5], 0, v52
	v_cndmask_b32_e64 v52, v53, 1, s[4:5]
	v_add_u16_e32 v57, v54, v51
	v_lshlrev_b32_e32 v53, 16, v52
	v_add_u16_e32 v51, v54, v51
	v_or3_b32 v53, v53, v51, v35
	v_mov_b32_e32 v54, v52
	v_mov_b32_e32 v51, v57
.LBB851_209:
	s_or_b64 exec, exec, s[50:51]
	v_mov_b32_dpp v56, v53 row_shr:4 row_mask:0xf bank_mask:0xf
	v_cmp_lt_u32_e64 s[4:5], 3, v55
	s_and_saveexec_b64 s[50:51], s[4:5]
	s_cbranch_execz .LBB851_211
; %bb.210:
	v_mov_b32_e32 v52, 0
	v_cmp_eq_u16_sdwa s[4:5], v54, v52 src0_sel:BYTE_0 src1_sel:DWORD
	v_and_b32_e32 v52, 1, v54
	v_mov_b32_e32 v54, 1
	v_cndmask_b32_e64 v53, 0, v56, s[4:5]
	v_and_b32_sdwa v54, v56, v54 dst_sel:DWORD dst_unused:UNUSED_PAD src0_sel:WORD_1 src1_sel:DWORD
	v_cmp_eq_u32_e64 s[4:5], 1, v52
	v_cndmask_b32_e64 v52, v54, 1, s[4:5]
	v_add_u16_e32 v57, v53, v51
	v_lshlrev_b32_e32 v54, 16, v52
	v_add_u16_e32 v51, v53, v51
	v_or3_b32 v53, v54, v51, v35
	v_mov_b32_e32 v54, v52
	v_mov_b32_e32 v51, v57
.LBB851_211:
	s_or_b64 exec, exec, s[50:51]
	v_mov_b32_dpp v56, v53 row_shr:8 row_mask:0xf bank_mask:0xf
	v_cmp_lt_u32_e64 s[4:5], 7, v55
	s_and_saveexec_b64 s[50:51], s[4:5]
	s_cbranch_execz .LBB851_213
; %bb.212:
	v_mov_b32_e32 v52, 0
	v_cmp_eq_u16_sdwa s[4:5], v54, v52 src0_sel:BYTE_0 src1_sel:DWORD
	v_and_b32_e32 v52, 1, v54
	v_mov_b32_e32 v54, 1
	v_cndmask_b32_e64 v53, 0, v56, s[4:5]
	v_and_b32_sdwa v54, v56, v54 dst_sel:DWORD dst_unused:UNUSED_PAD src0_sel:WORD_1 src1_sel:DWORD
	v_cmp_eq_u32_e64 s[4:5], 1, v52
	v_cndmask_b32_e64 v52, v54, 1, s[4:5]
	v_add_u16_e32 v55, v53, v51
	v_lshlrev_b32_e32 v54, 16, v52
	v_add_u16_e32 v51, v53, v51
	v_or3_b32 v53, v54, v51, v35
	v_mov_b32_e32 v54, v52
	v_mov_b32_e32 v51, v55
.LBB851_213:
	s_or_b64 exec, exec, s[50:51]
	v_and_b32_e32 v56, 16, v50
	v_mov_b32_dpp v55, v53 row_bcast:15 row_mask:0xf bank_mask:0xf
	v_cmp_ne_u32_e64 s[4:5], 0, v56
	s_and_saveexec_b64 s[50:51], s[4:5]
	s_cbranch_execz .LBB851_215
; %bb.214:
	v_mov_b32_e32 v52, 0
	v_cmp_eq_u16_sdwa s[4:5], v54, v52 src0_sel:BYTE_0 src1_sel:DWORD
	v_and_b32_e32 v52, 1, v54
	v_mov_b32_e32 v54, 1
	v_cndmask_b32_e64 v53, 0, v55, s[4:5]
	v_and_b32_sdwa v54, v55, v54 dst_sel:DWORD dst_unused:UNUSED_PAD src0_sel:WORD_1 src1_sel:DWORD
	v_cmp_eq_u32_e64 s[4:5], 1, v52
	v_cndmask_b32_e64 v52, v54, 1, s[4:5]
	v_add_u16_e32 v56, v53, v51
	v_lshlrev_b32_e32 v54, 16, v52
	v_add_u16_e32 v51, v53, v51
	v_or3_b32 v53, v54, v51, v35
	v_mov_b32_e32 v54, v52
	v_mov_b32_e32 v51, v56
.LBB851_215:
	s_or_b64 exec, exec, s[50:51]
	v_mov_b32_dpp v53, v53 row_bcast:31 row_mask:0xf bank_mask:0xf
	v_cmp_lt_u32_e64 s[4:5], 31, v50
	s_and_saveexec_b64 s[50:51], s[4:5]
; %bb.216:
	v_mov_b32_e32 v52, 0
	v_cmp_eq_u16_sdwa s[4:5], v54, v52 src0_sel:BYTE_0 src1_sel:DWORD
	v_cndmask_b32_e64 v52, 0, v53, s[4:5]
	v_add_u16_e32 v51, v52, v51
	v_and_b32_e32 v52, 1, v54
	v_mov_b32_e32 v54, 1
	v_and_b32_sdwa v53, v53, v54 dst_sel:DWORD dst_unused:UNUSED_PAD src0_sel:WORD_1 src1_sel:DWORD
	v_cmp_eq_u32_e64 s[4:5], 1, v52
	v_cndmask_b32_e64 v52, v53, 1, s[4:5]
; %bb.217:
	s_or_b64 exec, exec, s[50:51]
	v_and_b32_e32 v52, 0xff, v52
	v_lshlrev_b32_e32 v52, 16, v52
	v_and_b32_e32 v51, 0xffff, v51
	v_or3_b32 v35, v52, v51, v35
	v_add_u32_e32 v51, -1, v50
	v_and_b32_e32 v52, 64, v50
	v_cmp_lt_i32_e64 s[4:5], v51, v52
	v_cndmask_b32_e64 v50, v51, v50, s[4:5]
	v_lshlrev_b32_e32 v50, 2, v50
	ds_bpermute_b32 v35, v50, v35
	v_and_b32_e32 v50, 0xff0000, v6
	v_cmp_eq_u32_e64 s[4:5], 0, v50
	; wave barrier
	s_waitcnt lgkmcnt(0)
	v_cndmask_b32_e64 v50, 0, v35, s[4:5]
	v_add_u16_e32 v6, v50, v6
	v_mov_b32_e32 v50, 1
	v_and_b32_sdwa v35, v35, v50 dst_sel:DWORD dst_unused:UNUSED_PAD src0_sel:WORD_1 src1_sel:DWORD
	v_cmp_eq_u32_e64 s[4:5], 0, v34
	v_cndmask_b32_e64 v34, 1, v35, s[4:5]
	v_cndmask_b32_e64 v6, v6, v49, s[0:1]
	;; [unrolled: 1-line block ×3, first 2 shown]
	ds_write_b16 v2, v6
	ds_write_b8 v2, v3 offset:2
	; wave barrier
	ds_read_u16 v34, v2 offset:4
	ds_read_u8 v35, v2 offset:6
	ds_read_u16 v50, v2 offset:8
	ds_read_u8 v51, v2 offset:10
	;; [unrolled: 2-line block ×3, first 2 shown]
	s_waitcnt lgkmcnt(4)
	v_cmp_eq_u16_e64 s[4:5], 0, v35
	v_cndmask_b32_e64 v6, 0, v6, s[4:5]
	v_add_u16_e32 v6, v6, v34
	v_and_b32_e32 v34, 1, v35
	v_cmp_eq_u32_e64 s[4:5], 1, v34
	v_cndmask_b32_e64 v3, v3, 1, s[4:5]
	s_waitcnt lgkmcnt(2)
	v_cmp_eq_u16_e64 s[4:5], 0, v51
	v_and_b32_e32 v34, 1, v51
	ds_write_b16 v2, v6 offset:4
	ds_write_b8 v2, v3 offset:6
	v_cndmask_b32_e64 v6, 0, v6, s[4:5]
	v_cmp_eq_u32_e64 s[4:5], 1, v34
	v_add_u16_e32 v6, v6, v50
	v_cndmask_b32_e64 v3, v3, 1, s[4:5]
	s_waitcnt lgkmcnt(2)
	v_cmp_eq_u16_e64 s[4:5], 0, v53
	ds_write_b16 v2, v6 offset:8
	ds_write_b8 v2, v3 offset:10
	v_cndmask_b32_e64 v6, 0, v6, s[4:5]
	v_and_b32_e32 v34, 1, v53
	v_add_u16_e32 v6, v6, v52
	v_cmp_eq_u32_e64 s[4:5], 1, v34
	v_cndmask_b32_e64 v3, v3, 1, s[4:5]
	ds_write_b16 v2, v6 offset:12
	ds_write_b8 v2, v3 offset:14
.LBB851_218:
	s_or_b64 exec, exec, s[48:49]
	v_mov_b32_e32 v2, v49
	s_waitcnt lgkmcnt(0)
	s_barrier
	s_and_saveexec_b64 s[4:5], s[52:53]
	s_cbranch_execz .LBB851_267
; %bb.219:
	v_add_u32_e32 v2, -1, v0
	v_lshrrev_b32_e32 v3, 5, v2
	v_add_lshl_u32 v2, v3, v2, 2
	ds_read_u16 v2, v2
	s_or_b64 exec, exec, s[4:5]
	s_and_saveexec_b64 s[48:49], s[52:53]
	s_cbranch_execnz .LBB851_268
.LBB851_220:
	s_or_b64 exec, exec, s[48:49]
	s_and_saveexec_b64 s[4:5], s[0:1]
	s_cbranch_execz .LBB851_222
.LBB851_221:
	v_mov_b32_e32 v1, 0
	s_waitcnt lgkmcnt(0)
	ds_read_u8 v2, v1 offset:1050
	ds_read_u16 v3, v1 offset:1048
	s_waitcnt lgkmcnt(1)
	v_lshlrev_b32_e32 v2, 16, v2
	s_waitcnt lgkmcnt(0)
	v_or_b32_e32 v2, v2, v3
	v_mov_b32_e32 v3, 2
	global_store_dwordx2 v1, v[2:3], s[64:65] offset:512
.LBB851_222:
	s_or_b64 exec, exec, s[4:5]
.LBB851_223:
	s_add_u32 s0, s62, s54
	s_addc_u32 s1, s63, s55
	s_add_u32 s4, s0, s56
	s_addc_u32 s5, s1, s57
	s_and_b64 vcc, exec, s[2:3]
	v_mul_u32_u24_e32 v7, 22, v0
	s_cbranch_vccz .LBB851_269
; %bb.224:
	s_mov_b32 s0, 0x5040100
	v_lshlrev_b32_e32 v33, 1, v7
	v_perm_b32 v1, v27, v26, s0
	s_waitcnt lgkmcnt(0)
	v_perm_b32 v2, v5, v4, s0
	s_barrier
	ds_write2_b32 v33, v2, v1 offset1:1
	v_perm_b32 v1, v31, v30, s0
	v_perm_b32 v2, v29, v28, s0
	ds_write2_b32 v33, v2, v1 offset0:2 offset1:3
	v_perm_b32 v1, v39, v38, s0
	v_perm_b32 v2, v37, v36, s0
	ds_write2_b32 v33, v2, v1 offset0:4 offset1:5
	;; [unrolled: 3-line block ×4, first 2 shown]
	v_perm_b32 v1, v49, v48, s0
	s_movk_i32 s0, 0xffd6
	v_mad_i32_i24 v2, v0, s0, v33
	ds_write_b32 v33, v1 offset:40
	s_waitcnt lgkmcnt(0)
	s_barrier
	ds_read_u16 v35, v2 offset:512
	ds_read_u16 v34, v2 offset:1024
	;; [unrolled: 1-line block ×21, first 2 shown]
	v_mov_b32_e32 v3, s5
	v_add_co_u32_e32 v2, vcc, s4, v32
	s_add_i32 s33, s33, s66
	v_addc_co_u32_e32 v3, vcc, 0, v3, vcc
	v_mov_b32_e32 v1, 0
	v_cmp_gt_u32_e32 vcc, s33, v0
	s_and_saveexec_b64 s[0:1], vcc
	s_cbranch_execz .LBB851_226
; %bb.225:
	v_mul_i32_i24_e32 v50, 0xffffffd6, v0
	v_add_u32_e32 v33, v33, v50
	ds_read_u16 v33, v33
	s_waitcnt lgkmcnt(0)
	flat_store_short v[2:3], v33
.LBB851_226:
	s_or_b64 exec, exec, s[0:1]
	v_or_b32_e32 v33, 0x100, v0
	v_cmp_gt_u32_e32 vcc, s33, v33
	s_and_saveexec_b64 s[0:1], vcc
	s_cbranch_execz .LBB851_228
; %bb.227:
	s_waitcnt lgkmcnt(0)
	flat_store_short v[2:3], v35 offset:512
.LBB851_228:
	s_or_b64 exec, exec, s[0:1]
	v_or_b32_e32 v33, 0x200, v0
	v_cmp_gt_u32_e32 vcc, s33, v33
	s_and_saveexec_b64 s[0:1], vcc
	s_cbranch_execz .LBB851_230
; %bb.229:
	s_waitcnt lgkmcnt(0)
	flat_store_short v[2:3], v34 offset:1024
.LBB851_230:
	;; [unrolled: 9-line block ×3, first 2 shown]
	s_or_b64 exec, exec, s[0:1]
	s_waitcnt lgkmcnt(0)
	v_or_b32_e32 v25, 0x400, v0
	v_cmp_gt_u32_e32 vcc, s33, v25
	s_and_saveexec_b64 s[0:1], vcc
	s_cbranch_execz .LBB851_234
; %bb.233:
	flat_store_short v[2:3], v24 offset:2048
.LBB851_234:
	s_or_b64 exec, exec, s[0:1]
	v_or_b32_e32 v24, 0x500, v0
	v_cmp_gt_u32_e32 vcc, s33, v24
	s_and_saveexec_b64 s[0:1], vcc
	s_cbranch_execz .LBB851_236
; %bb.235:
	flat_store_short v[2:3], v23 offset:2560
.LBB851_236:
	s_or_b64 exec, exec, s[0:1]
	;; [unrolled: 8-line block ×4, first 2 shown]
	v_or_b32_e32 v21, 0x800, v0
	v_cmp_gt_u32_e32 vcc, s33, v21
	s_and_saveexec_b64 s[0:1], vcc
	s_cbranch_execz .LBB851_242
; %bb.241:
	v_add_co_u32_e32 v22, vcc, 0x1000, v2
	v_addc_co_u32_e32 v23, vcc, 0, v3, vcc
	flat_store_short v[22:23], v20
.LBB851_242:
	s_or_b64 exec, exec, s[0:1]
	v_or_b32_e32 v20, 0x900, v0
	v_cmp_gt_u32_e32 vcc, s33, v20
	s_and_saveexec_b64 s[0:1], vcc
	s_cbranch_execz .LBB851_244
; %bb.243:
	v_add_co_u32_e32 v20, vcc, 0x1000, v2
	v_addc_co_u32_e32 v21, vcc, 0, v3, vcc
	flat_store_short v[20:21], v19 offset:512
.LBB851_244:
	s_or_b64 exec, exec, s[0:1]
	v_or_b32_e32 v19, 0xa00, v0
	v_cmp_gt_u32_e32 vcc, s33, v19
	s_and_saveexec_b64 s[0:1], vcc
	s_cbranch_execz .LBB851_246
; %bb.245:
	v_add_co_u32_e32 v20, vcc, 0x1000, v2
	v_addc_co_u32_e32 v21, vcc, 0, v3, vcc
	flat_store_short v[20:21], v18 offset:1024
.LBB851_246:
	;; [unrolled: 10-line block ×7, first 2 shown]
	s_or_b64 exec, exec, s[0:1]
	v_or_b32_e32 v13, 0x1000, v0
	v_cmp_gt_u32_e32 vcc, s33, v13
	s_and_saveexec_b64 s[0:1], vcc
	s_cbranch_execz .LBB851_258
; %bb.257:
	v_add_co_u32_e32 v14, vcc, 0x2000, v2
	v_addc_co_u32_e32 v15, vcc, 0, v3, vcc
	flat_store_short v[14:15], v12
.LBB851_258:
	s_or_b64 exec, exec, s[0:1]
	v_or_b32_e32 v12, 0x1100, v0
	v_cmp_gt_u32_e32 vcc, s33, v12
	s_and_saveexec_b64 s[0:1], vcc
	s_cbranch_execz .LBB851_260
; %bb.259:
	v_add_co_u32_e32 v12, vcc, 0x2000, v2
	v_addc_co_u32_e32 v13, vcc, 0, v3, vcc
	flat_store_short v[12:13], v11 offset:512
.LBB851_260:
	s_or_b64 exec, exec, s[0:1]
	v_or_b32_e32 v11, 0x1200, v0
	v_cmp_gt_u32_e32 vcc, s33, v11
	s_and_saveexec_b64 s[0:1], vcc
	s_cbranch_execz .LBB851_262
; %bb.261:
	v_add_co_u32_e32 v12, vcc, 0x2000, v2
	v_addc_co_u32_e32 v13, vcc, 0, v3, vcc
	flat_store_short v[12:13], v10 offset:1024
.LBB851_262:
	;; [unrolled: 10-line block ×4, first 2 shown]
	s_or_b64 exec, exec, s[0:1]
	v_or_b32_e32 v2, 0x1500, v0
	v_cmp_gt_u32_e64 s[0:1], s33, v2
	s_branch .LBB851_271
.LBB851_267:
	s_or_b64 exec, exec, s[4:5]
	s_and_saveexec_b64 s[48:49], s[52:53]
	s_cbranch_execz .LBB851_220
.LBB851_268:
	s_mov_b32 s4, 0x10000
	s_waitcnt lgkmcnt(0)
	v_and_b32_e32 v2, 0xffff, v2
	v_cmp_gt_u32_e64 s[4:5], s4, v4
	v_cndmask_b32_e64 v2, 0, v2, s[4:5]
	v_add_u32_e32 v4, v2, v4
	v_cndmask_b32_e32 v2, 0, v4, vcc
	v_add_u16_e32 v5, v2, v7
	v_cndmask_b32_e64 v2, 0, v5, s[6:7]
	v_add_u16_e32 v26, v2, v8
	v_cndmask_b32_e64 v2, 0, v26, s[8:9]
	;; [unrolled: 2-line block ×20, first 2 shown]
	v_add_u16_e32 v49, v1, v33
	;;#ASMSTART
	;;#ASMEND
	s_or_b64 exec, exec, s[48:49]
	s_and_saveexec_b64 s[4:5], s[0:1]
	s_cbranch_execnz .LBB851_221
	s_branch .LBB851_222
.LBB851_269:
	s_mov_b64 s[0:1], 0
                                        ; implicit-def: $vgpr6
	s_cbranch_execz .LBB851_271
; %bb.270:
	s_mov_b32 s2, 0x5040100
	s_waitcnt lgkmcnt(0)
	v_lshlrev_b32_e32 v2, 1, v7
	v_perm_b32 v1, v27, v26, s2
	v_perm_b32 v3, v5, v4, s2
	s_barrier
	ds_write2_b32 v2, v3, v1 offset1:1
	v_perm_b32 v1, v31, v30, s2
	v_perm_b32 v3, v29, v28, s2
	ds_write2_b32 v2, v3, v1 offset0:2 offset1:3
	v_perm_b32 v1, v39, v38, s2
	v_perm_b32 v3, v37, v36, s2
	ds_write2_b32 v2, v3, v1 offset0:4 offset1:5
	;; [unrolled: 3-line block ×4, first 2 shown]
	v_perm_b32 v1, v49, v48, s2
	s_movk_i32 s2, 0xffd6
	ds_write_b32 v2, v1 offset:40
	v_mad_i32_i24 v2, v0, s2, v2
	s_waitcnt lgkmcnt(0)
	s_barrier
	ds_read_u16 v4, v2
	ds_read_u16 v5, v2 offset:512
	ds_read_u16 v7, v2 offset:1024
	;; [unrolled: 1-line block ×21, first 2 shown]
	v_mov_b32_e32 v3, s5
	v_add_co_u32_e32 v2, vcc, s4, v32
	v_addc_co_u32_e32 v3, vcc, 0, v3, vcc
	s_movk_i32 s2, 0x1000
	s_waitcnt lgkmcnt(0)
	flat_store_short v[2:3], v4
	flat_store_short v[2:3], v5 offset:512
	flat_store_short v[2:3], v7 offset:1024
	;; [unrolled: 1-line block ×7, first 2 shown]
	v_add_co_u32_e32 v4, vcc, s2, v2
	v_addc_co_u32_e32 v5, vcc, 0, v3, vcc
	v_add_co_u32_e32 v2, vcc, 0x2000, v2
	v_mov_b32_e32 v1, 0
	v_addc_co_u32_e32 v3, vcc, 0, v3, vcc
	s_or_b64 s[0:1], s[0:1], exec
	flat_store_short v[4:5], v13
	flat_store_short v[4:5], v14 offset:512
	flat_store_short v[4:5], v15 offset:1024
	;; [unrolled: 1-line block ×7, first 2 shown]
	flat_store_short v[2:3], v21
	flat_store_short v[2:3], v22 offset:512
	flat_store_short v[2:3], v23 offset:1024
	;; [unrolled: 1-line block ×4, first 2 shown]
.LBB851_271:
	s_and_saveexec_b64 s[2:3], s[0:1]
	s_cbranch_execz .LBB851_273
; %bb.272:
	v_lshlrev_b64 v[0:1], 1, v[0:1]
	s_waitcnt lgkmcnt(0)
	v_mov_b32_e32 v2, s5
	v_add_co_u32_e32 v0, vcc, s4, v0
	v_addc_co_u32_e32 v1, vcc, v2, v1, vcc
	v_add_co_u32_e32 v0, vcc, 0x2000, v0
	v_addc_co_u32_e32 v1, vcc, 0, v1, vcc
	flat_store_short v[0:1], v6 offset:2560
	s_endpgm
.LBB851_273:
	s_endpgm
	.section	.rodata,"a",@progbits
	.p2align	6, 0x0
	.amdhsa_kernel _ZN7rocprim17ROCPRIM_400000_NS6detail17trampoline_kernelINS0_14default_configENS1_27scan_by_key_config_selectorIssEEZZNS1_16scan_by_key_implILNS1_25lookback_scan_determinismE0ELb0ES3_N6thrust23THRUST_200600_302600_NS6detail15normal_iteratorINS9_10device_ptrIsEEEESE_SE_sNS9_4plusIsEE19head_flag_predicatesEE10hipError_tPvRmT2_T3_T4_T5_mT6_T7_P12ihipStream_tbENKUlT_T0_E_clISt17integral_constantIbLb0EESX_IbLb1EEEEDaST_SU_EUlST_E_NS1_11comp_targetILNS1_3genE4ELNS1_11target_archE910ELNS1_3gpuE8ELNS1_3repE0EEENS1_30default_config_static_selectorELNS0_4arch9wavefront6targetE1EEEvT1_
		.amdhsa_group_segment_fixed_size 12288
		.amdhsa_private_segment_fixed_size 0
		.amdhsa_kernarg_size 112
		.amdhsa_user_sgpr_count 6
		.amdhsa_user_sgpr_private_segment_buffer 1
		.amdhsa_user_sgpr_dispatch_ptr 0
		.amdhsa_user_sgpr_queue_ptr 0
		.amdhsa_user_sgpr_kernarg_segment_ptr 1
		.amdhsa_user_sgpr_dispatch_id 0
		.amdhsa_user_sgpr_flat_scratch_init 0
		.amdhsa_user_sgpr_kernarg_preload_length 0
		.amdhsa_user_sgpr_kernarg_preload_offset 0
		.amdhsa_user_sgpr_private_segment_size 0
		.amdhsa_uses_dynamic_stack 0
		.amdhsa_system_sgpr_private_segment_wavefront_offset 0
		.amdhsa_system_sgpr_workgroup_id_x 1
		.amdhsa_system_sgpr_workgroup_id_y 0
		.amdhsa_system_sgpr_workgroup_id_z 0
		.amdhsa_system_sgpr_workgroup_info 0
		.amdhsa_system_vgpr_workitem_id 0
		.amdhsa_next_free_vgpr 58
		.amdhsa_next_free_sgpr 76
		.amdhsa_accum_offset 60
		.amdhsa_reserve_vcc 1
		.amdhsa_reserve_flat_scratch 0
		.amdhsa_float_round_mode_32 0
		.amdhsa_float_round_mode_16_64 0
		.amdhsa_float_denorm_mode_32 3
		.amdhsa_float_denorm_mode_16_64 3
		.amdhsa_dx10_clamp 1
		.amdhsa_ieee_mode 1
		.amdhsa_fp16_overflow 0
		.amdhsa_tg_split 0
		.amdhsa_exception_fp_ieee_invalid_op 0
		.amdhsa_exception_fp_denorm_src 0
		.amdhsa_exception_fp_ieee_div_zero 0
		.amdhsa_exception_fp_ieee_overflow 0
		.amdhsa_exception_fp_ieee_underflow 0
		.amdhsa_exception_fp_ieee_inexact 0
		.amdhsa_exception_int_div_zero 0
	.end_amdhsa_kernel
	.section	.text._ZN7rocprim17ROCPRIM_400000_NS6detail17trampoline_kernelINS0_14default_configENS1_27scan_by_key_config_selectorIssEEZZNS1_16scan_by_key_implILNS1_25lookback_scan_determinismE0ELb0ES3_N6thrust23THRUST_200600_302600_NS6detail15normal_iteratorINS9_10device_ptrIsEEEESE_SE_sNS9_4plusIsEE19head_flag_predicatesEE10hipError_tPvRmT2_T3_T4_T5_mT6_T7_P12ihipStream_tbENKUlT_T0_E_clISt17integral_constantIbLb0EESX_IbLb1EEEEDaST_SU_EUlST_E_NS1_11comp_targetILNS1_3genE4ELNS1_11target_archE910ELNS1_3gpuE8ELNS1_3repE0EEENS1_30default_config_static_selectorELNS0_4arch9wavefront6targetE1EEEvT1_,"axG",@progbits,_ZN7rocprim17ROCPRIM_400000_NS6detail17trampoline_kernelINS0_14default_configENS1_27scan_by_key_config_selectorIssEEZZNS1_16scan_by_key_implILNS1_25lookback_scan_determinismE0ELb0ES3_N6thrust23THRUST_200600_302600_NS6detail15normal_iteratorINS9_10device_ptrIsEEEESE_SE_sNS9_4plusIsEE19head_flag_predicatesEE10hipError_tPvRmT2_T3_T4_T5_mT6_T7_P12ihipStream_tbENKUlT_T0_E_clISt17integral_constantIbLb0EESX_IbLb1EEEEDaST_SU_EUlST_E_NS1_11comp_targetILNS1_3genE4ELNS1_11target_archE910ELNS1_3gpuE8ELNS1_3repE0EEENS1_30default_config_static_selectorELNS0_4arch9wavefront6targetE1EEEvT1_,comdat
.Lfunc_end851:
	.size	_ZN7rocprim17ROCPRIM_400000_NS6detail17trampoline_kernelINS0_14default_configENS1_27scan_by_key_config_selectorIssEEZZNS1_16scan_by_key_implILNS1_25lookback_scan_determinismE0ELb0ES3_N6thrust23THRUST_200600_302600_NS6detail15normal_iteratorINS9_10device_ptrIsEEEESE_SE_sNS9_4plusIsEE19head_flag_predicatesEE10hipError_tPvRmT2_T3_T4_T5_mT6_T7_P12ihipStream_tbENKUlT_T0_E_clISt17integral_constantIbLb0EESX_IbLb1EEEEDaST_SU_EUlST_E_NS1_11comp_targetILNS1_3genE4ELNS1_11target_archE910ELNS1_3gpuE8ELNS1_3repE0EEENS1_30default_config_static_selectorELNS0_4arch9wavefront6targetE1EEEvT1_, .Lfunc_end851-_ZN7rocprim17ROCPRIM_400000_NS6detail17trampoline_kernelINS0_14default_configENS1_27scan_by_key_config_selectorIssEEZZNS1_16scan_by_key_implILNS1_25lookback_scan_determinismE0ELb0ES3_N6thrust23THRUST_200600_302600_NS6detail15normal_iteratorINS9_10device_ptrIsEEEESE_SE_sNS9_4plusIsEE19head_flag_predicatesEE10hipError_tPvRmT2_T3_T4_T5_mT6_T7_P12ihipStream_tbENKUlT_T0_E_clISt17integral_constantIbLb0EESX_IbLb1EEEEDaST_SU_EUlST_E_NS1_11comp_targetILNS1_3genE4ELNS1_11target_archE910ELNS1_3gpuE8ELNS1_3repE0EEENS1_30default_config_static_selectorELNS0_4arch9wavefront6targetE1EEEvT1_
                                        ; -- End function
	.section	.AMDGPU.csdata,"",@progbits
; Kernel info:
; codeLenInByte = 15444
; NumSgprs: 80
; NumVgprs: 58
; NumAgprs: 0
; TotalNumVgprs: 58
; ScratchSize: 0
; MemoryBound: 0
; FloatMode: 240
; IeeeMode: 1
; LDSByteSize: 12288 bytes/workgroup (compile time only)
; SGPRBlocks: 9
; VGPRBlocks: 7
; NumSGPRsForWavesPerEU: 80
; NumVGPRsForWavesPerEU: 58
; AccumOffset: 60
; Occupancy: 5
; WaveLimiterHint : 1
; COMPUTE_PGM_RSRC2:SCRATCH_EN: 0
; COMPUTE_PGM_RSRC2:USER_SGPR: 6
; COMPUTE_PGM_RSRC2:TRAP_HANDLER: 0
; COMPUTE_PGM_RSRC2:TGID_X_EN: 1
; COMPUTE_PGM_RSRC2:TGID_Y_EN: 0
; COMPUTE_PGM_RSRC2:TGID_Z_EN: 0
; COMPUTE_PGM_RSRC2:TIDIG_COMP_CNT: 0
; COMPUTE_PGM_RSRC3_GFX90A:ACCUM_OFFSET: 14
; COMPUTE_PGM_RSRC3_GFX90A:TG_SPLIT: 0
	.section	.text._ZN7rocprim17ROCPRIM_400000_NS6detail17trampoline_kernelINS0_14default_configENS1_27scan_by_key_config_selectorIssEEZZNS1_16scan_by_key_implILNS1_25lookback_scan_determinismE0ELb0ES3_N6thrust23THRUST_200600_302600_NS6detail15normal_iteratorINS9_10device_ptrIsEEEESE_SE_sNS9_4plusIsEE19head_flag_predicatesEE10hipError_tPvRmT2_T3_T4_T5_mT6_T7_P12ihipStream_tbENKUlT_T0_E_clISt17integral_constantIbLb0EESX_IbLb1EEEEDaST_SU_EUlST_E_NS1_11comp_targetILNS1_3genE3ELNS1_11target_archE908ELNS1_3gpuE7ELNS1_3repE0EEENS1_30default_config_static_selectorELNS0_4arch9wavefront6targetE1EEEvT1_,"axG",@progbits,_ZN7rocprim17ROCPRIM_400000_NS6detail17trampoline_kernelINS0_14default_configENS1_27scan_by_key_config_selectorIssEEZZNS1_16scan_by_key_implILNS1_25lookback_scan_determinismE0ELb0ES3_N6thrust23THRUST_200600_302600_NS6detail15normal_iteratorINS9_10device_ptrIsEEEESE_SE_sNS9_4plusIsEE19head_flag_predicatesEE10hipError_tPvRmT2_T3_T4_T5_mT6_T7_P12ihipStream_tbENKUlT_T0_E_clISt17integral_constantIbLb0EESX_IbLb1EEEEDaST_SU_EUlST_E_NS1_11comp_targetILNS1_3genE3ELNS1_11target_archE908ELNS1_3gpuE7ELNS1_3repE0EEENS1_30default_config_static_selectorELNS0_4arch9wavefront6targetE1EEEvT1_,comdat
	.protected	_ZN7rocprim17ROCPRIM_400000_NS6detail17trampoline_kernelINS0_14default_configENS1_27scan_by_key_config_selectorIssEEZZNS1_16scan_by_key_implILNS1_25lookback_scan_determinismE0ELb0ES3_N6thrust23THRUST_200600_302600_NS6detail15normal_iteratorINS9_10device_ptrIsEEEESE_SE_sNS9_4plusIsEE19head_flag_predicatesEE10hipError_tPvRmT2_T3_T4_T5_mT6_T7_P12ihipStream_tbENKUlT_T0_E_clISt17integral_constantIbLb0EESX_IbLb1EEEEDaST_SU_EUlST_E_NS1_11comp_targetILNS1_3genE3ELNS1_11target_archE908ELNS1_3gpuE7ELNS1_3repE0EEENS1_30default_config_static_selectorELNS0_4arch9wavefront6targetE1EEEvT1_ ; -- Begin function _ZN7rocprim17ROCPRIM_400000_NS6detail17trampoline_kernelINS0_14default_configENS1_27scan_by_key_config_selectorIssEEZZNS1_16scan_by_key_implILNS1_25lookback_scan_determinismE0ELb0ES3_N6thrust23THRUST_200600_302600_NS6detail15normal_iteratorINS9_10device_ptrIsEEEESE_SE_sNS9_4plusIsEE19head_flag_predicatesEE10hipError_tPvRmT2_T3_T4_T5_mT6_T7_P12ihipStream_tbENKUlT_T0_E_clISt17integral_constantIbLb0EESX_IbLb1EEEEDaST_SU_EUlST_E_NS1_11comp_targetILNS1_3genE3ELNS1_11target_archE908ELNS1_3gpuE7ELNS1_3repE0EEENS1_30default_config_static_selectorELNS0_4arch9wavefront6targetE1EEEvT1_
	.globl	_ZN7rocprim17ROCPRIM_400000_NS6detail17trampoline_kernelINS0_14default_configENS1_27scan_by_key_config_selectorIssEEZZNS1_16scan_by_key_implILNS1_25lookback_scan_determinismE0ELb0ES3_N6thrust23THRUST_200600_302600_NS6detail15normal_iteratorINS9_10device_ptrIsEEEESE_SE_sNS9_4plusIsEE19head_flag_predicatesEE10hipError_tPvRmT2_T3_T4_T5_mT6_T7_P12ihipStream_tbENKUlT_T0_E_clISt17integral_constantIbLb0EESX_IbLb1EEEEDaST_SU_EUlST_E_NS1_11comp_targetILNS1_3genE3ELNS1_11target_archE908ELNS1_3gpuE7ELNS1_3repE0EEENS1_30default_config_static_selectorELNS0_4arch9wavefront6targetE1EEEvT1_
	.p2align	8
	.type	_ZN7rocprim17ROCPRIM_400000_NS6detail17trampoline_kernelINS0_14default_configENS1_27scan_by_key_config_selectorIssEEZZNS1_16scan_by_key_implILNS1_25lookback_scan_determinismE0ELb0ES3_N6thrust23THRUST_200600_302600_NS6detail15normal_iteratorINS9_10device_ptrIsEEEESE_SE_sNS9_4plusIsEE19head_flag_predicatesEE10hipError_tPvRmT2_T3_T4_T5_mT6_T7_P12ihipStream_tbENKUlT_T0_E_clISt17integral_constantIbLb0EESX_IbLb1EEEEDaST_SU_EUlST_E_NS1_11comp_targetILNS1_3genE3ELNS1_11target_archE908ELNS1_3gpuE7ELNS1_3repE0EEENS1_30default_config_static_selectorELNS0_4arch9wavefront6targetE1EEEvT1_,@function
_ZN7rocprim17ROCPRIM_400000_NS6detail17trampoline_kernelINS0_14default_configENS1_27scan_by_key_config_selectorIssEEZZNS1_16scan_by_key_implILNS1_25lookback_scan_determinismE0ELb0ES3_N6thrust23THRUST_200600_302600_NS6detail15normal_iteratorINS9_10device_ptrIsEEEESE_SE_sNS9_4plusIsEE19head_flag_predicatesEE10hipError_tPvRmT2_T3_T4_T5_mT6_T7_P12ihipStream_tbENKUlT_T0_E_clISt17integral_constantIbLb0EESX_IbLb1EEEEDaST_SU_EUlST_E_NS1_11comp_targetILNS1_3genE3ELNS1_11target_archE908ELNS1_3gpuE7ELNS1_3repE0EEENS1_30default_config_static_selectorELNS0_4arch9wavefront6targetE1EEEvT1_: ; @_ZN7rocprim17ROCPRIM_400000_NS6detail17trampoline_kernelINS0_14default_configENS1_27scan_by_key_config_selectorIssEEZZNS1_16scan_by_key_implILNS1_25lookback_scan_determinismE0ELb0ES3_N6thrust23THRUST_200600_302600_NS6detail15normal_iteratorINS9_10device_ptrIsEEEESE_SE_sNS9_4plusIsEE19head_flag_predicatesEE10hipError_tPvRmT2_T3_T4_T5_mT6_T7_P12ihipStream_tbENKUlT_T0_E_clISt17integral_constantIbLb0EESX_IbLb1EEEEDaST_SU_EUlST_E_NS1_11comp_targetILNS1_3genE3ELNS1_11target_archE908ELNS1_3gpuE7ELNS1_3repE0EEENS1_30default_config_static_selectorELNS0_4arch9wavefront6targetE1EEEvT1_
; %bb.0:
	.section	.rodata,"a",@progbits
	.p2align	6, 0x0
	.amdhsa_kernel _ZN7rocprim17ROCPRIM_400000_NS6detail17trampoline_kernelINS0_14default_configENS1_27scan_by_key_config_selectorIssEEZZNS1_16scan_by_key_implILNS1_25lookback_scan_determinismE0ELb0ES3_N6thrust23THRUST_200600_302600_NS6detail15normal_iteratorINS9_10device_ptrIsEEEESE_SE_sNS9_4plusIsEE19head_flag_predicatesEE10hipError_tPvRmT2_T3_T4_T5_mT6_T7_P12ihipStream_tbENKUlT_T0_E_clISt17integral_constantIbLb0EESX_IbLb1EEEEDaST_SU_EUlST_E_NS1_11comp_targetILNS1_3genE3ELNS1_11target_archE908ELNS1_3gpuE7ELNS1_3repE0EEENS1_30default_config_static_selectorELNS0_4arch9wavefront6targetE1EEEvT1_
		.amdhsa_group_segment_fixed_size 0
		.amdhsa_private_segment_fixed_size 0
		.amdhsa_kernarg_size 112
		.amdhsa_user_sgpr_count 6
		.amdhsa_user_sgpr_private_segment_buffer 1
		.amdhsa_user_sgpr_dispatch_ptr 0
		.amdhsa_user_sgpr_queue_ptr 0
		.amdhsa_user_sgpr_kernarg_segment_ptr 1
		.amdhsa_user_sgpr_dispatch_id 0
		.amdhsa_user_sgpr_flat_scratch_init 0
		.amdhsa_user_sgpr_kernarg_preload_length 0
		.amdhsa_user_sgpr_kernarg_preload_offset 0
		.amdhsa_user_sgpr_private_segment_size 0
		.amdhsa_uses_dynamic_stack 0
		.amdhsa_system_sgpr_private_segment_wavefront_offset 0
		.amdhsa_system_sgpr_workgroup_id_x 1
		.amdhsa_system_sgpr_workgroup_id_y 0
		.amdhsa_system_sgpr_workgroup_id_z 0
		.amdhsa_system_sgpr_workgroup_info 0
		.amdhsa_system_vgpr_workitem_id 0
		.amdhsa_next_free_vgpr 1
		.amdhsa_next_free_sgpr 0
		.amdhsa_accum_offset 4
		.amdhsa_reserve_vcc 0
		.amdhsa_reserve_flat_scratch 0
		.amdhsa_float_round_mode_32 0
		.amdhsa_float_round_mode_16_64 0
		.amdhsa_float_denorm_mode_32 3
		.amdhsa_float_denorm_mode_16_64 3
		.amdhsa_dx10_clamp 1
		.amdhsa_ieee_mode 1
		.amdhsa_fp16_overflow 0
		.amdhsa_tg_split 0
		.amdhsa_exception_fp_ieee_invalid_op 0
		.amdhsa_exception_fp_denorm_src 0
		.amdhsa_exception_fp_ieee_div_zero 0
		.amdhsa_exception_fp_ieee_overflow 0
		.amdhsa_exception_fp_ieee_underflow 0
		.amdhsa_exception_fp_ieee_inexact 0
		.amdhsa_exception_int_div_zero 0
	.end_amdhsa_kernel
	.section	.text._ZN7rocprim17ROCPRIM_400000_NS6detail17trampoline_kernelINS0_14default_configENS1_27scan_by_key_config_selectorIssEEZZNS1_16scan_by_key_implILNS1_25lookback_scan_determinismE0ELb0ES3_N6thrust23THRUST_200600_302600_NS6detail15normal_iteratorINS9_10device_ptrIsEEEESE_SE_sNS9_4plusIsEE19head_flag_predicatesEE10hipError_tPvRmT2_T3_T4_T5_mT6_T7_P12ihipStream_tbENKUlT_T0_E_clISt17integral_constantIbLb0EESX_IbLb1EEEEDaST_SU_EUlST_E_NS1_11comp_targetILNS1_3genE3ELNS1_11target_archE908ELNS1_3gpuE7ELNS1_3repE0EEENS1_30default_config_static_selectorELNS0_4arch9wavefront6targetE1EEEvT1_,"axG",@progbits,_ZN7rocprim17ROCPRIM_400000_NS6detail17trampoline_kernelINS0_14default_configENS1_27scan_by_key_config_selectorIssEEZZNS1_16scan_by_key_implILNS1_25lookback_scan_determinismE0ELb0ES3_N6thrust23THRUST_200600_302600_NS6detail15normal_iteratorINS9_10device_ptrIsEEEESE_SE_sNS9_4plusIsEE19head_flag_predicatesEE10hipError_tPvRmT2_T3_T4_T5_mT6_T7_P12ihipStream_tbENKUlT_T0_E_clISt17integral_constantIbLb0EESX_IbLb1EEEEDaST_SU_EUlST_E_NS1_11comp_targetILNS1_3genE3ELNS1_11target_archE908ELNS1_3gpuE7ELNS1_3repE0EEENS1_30default_config_static_selectorELNS0_4arch9wavefront6targetE1EEEvT1_,comdat
.Lfunc_end852:
	.size	_ZN7rocprim17ROCPRIM_400000_NS6detail17trampoline_kernelINS0_14default_configENS1_27scan_by_key_config_selectorIssEEZZNS1_16scan_by_key_implILNS1_25lookback_scan_determinismE0ELb0ES3_N6thrust23THRUST_200600_302600_NS6detail15normal_iteratorINS9_10device_ptrIsEEEESE_SE_sNS9_4plusIsEE19head_flag_predicatesEE10hipError_tPvRmT2_T3_T4_T5_mT6_T7_P12ihipStream_tbENKUlT_T0_E_clISt17integral_constantIbLb0EESX_IbLb1EEEEDaST_SU_EUlST_E_NS1_11comp_targetILNS1_3genE3ELNS1_11target_archE908ELNS1_3gpuE7ELNS1_3repE0EEENS1_30default_config_static_selectorELNS0_4arch9wavefront6targetE1EEEvT1_, .Lfunc_end852-_ZN7rocprim17ROCPRIM_400000_NS6detail17trampoline_kernelINS0_14default_configENS1_27scan_by_key_config_selectorIssEEZZNS1_16scan_by_key_implILNS1_25lookback_scan_determinismE0ELb0ES3_N6thrust23THRUST_200600_302600_NS6detail15normal_iteratorINS9_10device_ptrIsEEEESE_SE_sNS9_4plusIsEE19head_flag_predicatesEE10hipError_tPvRmT2_T3_T4_T5_mT6_T7_P12ihipStream_tbENKUlT_T0_E_clISt17integral_constantIbLb0EESX_IbLb1EEEEDaST_SU_EUlST_E_NS1_11comp_targetILNS1_3genE3ELNS1_11target_archE908ELNS1_3gpuE7ELNS1_3repE0EEENS1_30default_config_static_selectorELNS0_4arch9wavefront6targetE1EEEvT1_
                                        ; -- End function
	.section	.AMDGPU.csdata,"",@progbits
; Kernel info:
; codeLenInByte = 0
; NumSgprs: 4
; NumVgprs: 0
; NumAgprs: 0
; TotalNumVgprs: 0
; ScratchSize: 0
; MemoryBound: 0
; FloatMode: 240
; IeeeMode: 1
; LDSByteSize: 0 bytes/workgroup (compile time only)
; SGPRBlocks: 0
; VGPRBlocks: 0
; NumSGPRsForWavesPerEU: 4
; NumVGPRsForWavesPerEU: 1
; AccumOffset: 4
; Occupancy: 8
; WaveLimiterHint : 0
; COMPUTE_PGM_RSRC2:SCRATCH_EN: 0
; COMPUTE_PGM_RSRC2:USER_SGPR: 6
; COMPUTE_PGM_RSRC2:TRAP_HANDLER: 0
; COMPUTE_PGM_RSRC2:TGID_X_EN: 1
; COMPUTE_PGM_RSRC2:TGID_Y_EN: 0
; COMPUTE_PGM_RSRC2:TGID_Z_EN: 0
; COMPUTE_PGM_RSRC2:TIDIG_COMP_CNT: 0
; COMPUTE_PGM_RSRC3_GFX90A:ACCUM_OFFSET: 0
; COMPUTE_PGM_RSRC3_GFX90A:TG_SPLIT: 0
	.section	.text._ZN7rocprim17ROCPRIM_400000_NS6detail17trampoline_kernelINS0_14default_configENS1_27scan_by_key_config_selectorIssEEZZNS1_16scan_by_key_implILNS1_25lookback_scan_determinismE0ELb0ES3_N6thrust23THRUST_200600_302600_NS6detail15normal_iteratorINS9_10device_ptrIsEEEESE_SE_sNS9_4plusIsEE19head_flag_predicatesEE10hipError_tPvRmT2_T3_T4_T5_mT6_T7_P12ihipStream_tbENKUlT_T0_E_clISt17integral_constantIbLb0EESX_IbLb1EEEEDaST_SU_EUlST_E_NS1_11comp_targetILNS1_3genE2ELNS1_11target_archE906ELNS1_3gpuE6ELNS1_3repE0EEENS1_30default_config_static_selectorELNS0_4arch9wavefront6targetE1EEEvT1_,"axG",@progbits,_ZN7rocprim17ROCPRIM_400000_NS6detail17trampoline_kernelINS0_14default_configENS1_27scan_by_key_config_selectorIssEEZZNS1_16scan_by_key_implILNS1_25lookback_scan_determinismE0ELb0ES3_N6thrust23THRUST_200600_302600_NS6detail15normal_iteratorINS9_10device_ptrIsEEEESE_SE_sNS9_4plusIsEE19head_flag_predicatesEE10hipError_tPvRmT2_T3_T4_T5_mT6_T7_P12ihipStream_tbENKUlT_T0_E_clISt17integral_constantIbLb0EESX_IbLb1EEEEDaST_SU_EUlST_E_NS1_11comp_targetILNS1_3genE2ELNS1_11target_archE906ELNS1_3gpuE6ELNS1_3repE0EEENS1_30default_config_static_selectorELNS0_4arch9wavefront6targetE1EEEvT1_,comdat
	.protected	_ZN7rocprim17ROCPRIM_400000_NS6detail17trampoline_kernelINS0_14default_configENS1_27scan_by_key_config_selectorIssEEZZNS1_16scan_by_key_implILNS1_25lookback_scan_determinismE0ELb0ES3_N6thrust23THRUST_200600_302600_NS6detail15normal_iteratorINS9_10device_ptrIsEEEESE_SE_sNS9_4plusIsEE19head_flag_predicatesEE10hipError_tPvRmT2_T3_T4_T5_mT6_T7_P12ihipStream_tbENKUlT_T0_E_clISt17integral_constantIbLb0EESX_IbLb1EEEEDaST_SU_EUlST_E_NS1_11comp_targetILNS1_3genE2ELNS1_11target_archE906ELNS1_3gpuE6ELNS1_3repE0EEENS1_30default_config_static_selectorELNS0_4arch9wavefront6targetE1EEEvT1_ ; -- Begin function _ZN7rocprim17ROCPRIM_400000_NS6detail17trampoline_kernelINS0_14default_configENS1_27scan_by_key_config_selectorIssEEZZNS1_16scan_by_key_implILNS1_25lookback_scan_determinismE0ELb0ES3_N6thrust23THRUST_200600_302600_NS6detail15normal_iteratorINS9_10device_ptrIsEEEESE_SE_sNS9_4plusIsEE19head_flag_predicatesEE10hipError_tPvRmT2_T3_T4_T5_mT6_T7_P12ihipStream_tbENKUlT_T0_E_clISt17integral_constantIbLb0EESX_IbLb1EEEEDaST_SU_EUlST_E_NS1_11comp_targetILNS1_3genE2ELNS1_11target_archE906ELNS1_3gpuE6ELNS1_3repE0EEENS1_30default_config_static_selectorELNS0_4arch9wavefront6targetE1EEEvT1_
	.globl	_ZN7rocprim17ROCPRIM_400000_NS6detail17trampoline_kernelINS0_14default_configENS1_27scan_by_key_config_selectorIssEEZZNS1_16scan_by_key_implILNS1_25lookback_scan_determinismE0ELb0ES3_N6thrust23THRUST_200600_302600_NS6detail15normal_iteratorINS9_10device_ptrIsEEEESE_SE_sNS9_4plusIsEE19head_flag_predicatesEE10hipError_tPvRmT2_T3_T4_T5_mT6_T7_P12ihipStream_tbENKUlT_T0_E_clISt17integral_constantIbLb0EESX_IbLb1EEEEDaST_SU_EUlST_E_NS1_11comp_targetILNS1_3genE2ELNS1_11target_archE906ELNS1_3gpuE6ELNS1_3repE0EEENS1_30default_config_static_selectorELNS0_4arch9wavefront6targetE1EEEvT1_
	.p2align	8
	.type	_ZN7rocprim17ROCPRIM_400000_NS6detail17trampoline_kernelINS0_14default_configENS1_27scan_by_key_config_selectorIssEEZZNS1_16scan_by_key_implILNS1_25lookback_scan_determinismE0ELb0ES3_N6thrust23THRUST_200600_302600_NS6detail15normal_iteratorINS9_10device_ptrIsEEEESE_SE_sNS9_4plusIsEE19head_flag_predicatesEE10hipError_tPvRmT2_T3_T4_T5_mT6_T7_P12ihipStream_tbENKUlT_T0_E_clISt17integral_constantIbLb0EESX_IbLb1EEEEDaST_SU_EUlST_E_NS1_11comp_targetILNS1_3genE2ELNS1_11target_archE906ELNS1_3gpuE6ELNS1_3repE0EEENS1_30default_config_static_selectorELNS0_4arch9wavefront6targetE1EEEvT1_,@function
_ZN7rocprim17ROCPRIM_400000_NS6detail17trampoline_kernelINS0_14default_configENS1_27scan_by_key_config_selectorIssEEZZNS1_16scan_by_key_implILNS1_25lookback_scan_determinismE0ELb0ES3_N6thrust23THRUST_200600_302600_NS6detail15normal_iteratorINS9_10device_ptrIsEEEESE_SE_sNS9_4plusIsEE19head_flag_predicatesEE10hipError_tPvRmT2_T3_T4_T5_mT6_T7_P12ihipStream_tbENKUlT_T0_E_clISt17integral_constantIbLb0EESX_IbLb1EEEEDaST_SU_EUlST_E_NS1_11comp_targetILNS1_3genE2ELNS1_11target_archE906ELNS1_3gpuE6ELNS1_3repE0EEENS1_30default_config_static_selectorELNS0_4arch9wavefront6targetE1EEEvT1_: ; @_ZN7rocprim17ROCPRIM_400000_NS6detail17trampoline_kernelINS0_14default_configENS1_27scan_by_key_config_selectorIssEEZZNS1_16scan_by_key_implILNS1_25lookback_scan_determinismE0ELb0ES3_N6thrust23THRUST_200600_302600_NS6detail15normal_iteratorINS9_10device_ptrIsEEEESE_SE_sNS9_4plusIsEE19head_flag_predicatesEE10hipError_tPvRmT2_T3_T4_T5_mT6_T7_P12ihipStream_tbENKUlT_T0_E_clISt17integral_constantIbLb0EESX_IbLb1EEEEDaST_SU_EUlST_E_NS1_11comp_targetILNS1_3genE2ELNS1_11target_archE906ELNS1_3gpuE6ELNS1_3repE0EEENS1_30default_config_static_selectorELNS0_4arch9wavefront6targetE1EEEvT1_
; %bb.0:
	.section	.rodata,"a",@progbits
	.p2align	6, 0x0
	.amdhsa_kernel _ZN7rocprim17ROCPRIM_400000_NS6detail17trampoline_kernelINS0_14default_configENS1_27scan_by_key_config_selectorIssEEZZNS1_16scan_by_key_implILNS1_25lookback_scan_determinismE0ELb0ES3_N6thrust23THRUST_200600_302600_NS6detail15normal_iteratorINS9_10device_ptrIsEEEESE_SE_sNS9_4plusIsEE19head_flag_predicatesEE10hipError_tPvRmT2_T3_T4_T5_mT6_T7_P12ihipStream_tbENKUlT_T0_E_clISt17integral_constantIbLb0EESX_IbLb1EEEEDaST_SU_EUlST_E_NS1_11comp_targetILNS1_3genE2ELNS1_11target_archE906ELNS1_3gpuE6ELNS1_3repE0EEENS1_30default_config_static_selectorELNS0_4arch9wavefront6targetE1EEEvT1_
		.amdhsa_group_segment_fixed_size 0
		.amdhsa_private_segment_fixed_size 0
		.amdhsa_kernarg_size 112
		.amdhsa_user_sgpr_count 6
		.amdhsa_user_sgpr_private_segment_buffer 1
		.amdhsa_user_sgpr_dispatch_ptr 0
		.amdhsa_user_sgpr_queue_ptr 0
		.amdhsa_user_sgpr_kernarg_segment_ptr 1
		.amdhsa_user_sgpr_dispatch_id 0
		.amdhsa_user_sgpr_flat_scratch_init 0
		.amdhsa_user_sgpr_kernarg_preload_length 0
		.amdhsa_user_sgpr_kernarg_preload_offset 0
		.amdhsa_user_sgpr_private_segment_size 0
		.amdhsa_uses_dynamic_stack 0
		.amdhsa_system_sgpr_private_segment_wavefront_offset 0
		.amdhsa_system_sgpr_workgroup_id_x 1
		.amdhsa_system_sgpr_workgroup_id_y 0
		.amdhsa_system_sgpr_workgroup_id_z 0
		.amdhsa_system_sgpr_workgroup_info 0
		.amdhsa_system_vgpr_workitem_id 0
		.amdhsa_next_free_vgpr 1
		.amdhsa_next_free_sgpr 0
		.amdhsa_accum_offset 4
		.amdhsa_reserve_vcc 0
		.amdhsa_reserve_flat_scratch 0
		.amdhsa_float_round_mode_32 0
		.amdhsa_float_round_mode_16_64 0
		.amdhsa_float_denorm_mode_32 3
		.amdhsa_float_denorm_mode_16_64 3
		.amdhsa_dx10_clamp 1
		.amdhsa_ieee_mode 1
		.amdhsa_fp16_overflow 0
		.amdhsa_tg_split 0
		.amdhsa_exception_fp_ieee_invalid_op 0
		.amdhsa_exception_fp_denorm_src 0
		.amdhsa_exception_fp_ieee_div_zero 0
		.amdhsa_exception_fp_ieee_overflow 0
		.amdhsa_exception_fp_ieee_underflow 0
		.amdhsa_exception_fp_ieee_inexact 0
		.amdhsa_exception_int_div_zero 0
	.end_amdhsa_kernel
	.section	.text._ZN7rocprim17ROCPRIM_400000_NS6detail17trampoline_kernelINS0_14default_configENS1_27scan_by_key_config_selectorIssEEZZNS1_16scan_by_key_implILNS1_25lookback_scan_determinismE0ELb0ES3_N6thrust23THRUST_200600_302600_NS6detail15normal_iteratorINS9_10device_ptrIsEEEESE_SE_sNS9_4plusIsEE19head_flag_predicatesEE10hipError_tPvRmT2_T3_T4_T5_mT6_T7_P12ihipStream_tbENKUlT_T0_E_clISt17integral_constantIbLb0EESX_IbLb1EEEEDaST_SU_EUlST_E_NS1_11comp_targetILNS1_3genE2ELNS1_11target_archE906ELNS1_3gpuE6ELNS1_3repE0EEENS1_30default_config_static_selectorELNS0_4arch9wavefront6targetE1EEEvT1_,"axG",@progbits,_ZN7rocprim17ROCPRIM_400000_NS6detail17trampoline_kernelINS0_14default_configENS1_27scan_by_key_config_selectorIssEEZZNS1_16scan_by_key_implILNS1_25lookback_scan_determinismE0ELb0ES3_N6thrust23THRUST_200600_302600_NS6detail15normal_iteratorINS9_10device_ptrIsEEEESE_SE_sNS9_4plusIsEE19head_flag_predicatesEE10hipError_tPvRmT2_T3_T4_T5_mT6_T7_P12ihipStream_tbENKUlT_T0_E_clISt17integral_constantIbLb0EESX_IbLb1EEEEDaST_SU_EUlST_E_NS1_11comp_targetILNS1_3genE2ELNS1_11target_archE906ELNS1_3gpuE6ELNS1_3repE0EEENS1_30default_config_static_selectorELNS0_4arch9wavefront6targetE1EEEvT1_,comdat
.Lfunc_end853:
	.size	_ZN7rocprim17ROCPRIM_400000_NS6detail17trampoline_kernelINS0_14default_configENS1_27scan_by_key_config_selectorIssEEZZNS1_16scan_by_key_implILNS1_25lookback_scan_determinismE0ELb0ES3_N6thrust23THRUST_200600_302600_NS6detail15normal_iteratorINS9_10device_ptrIsEEEESE_SE_sNS9_4plusIsEE19head_flag_predicatesEE10hipError_tPvRmT2_T3_T4_T5_mT6_T7_P12ihipStream_tbENKUlT_T0_E_clISt17integral_constantIbLb0EESX_IbLb1EEEEDaST_SU_EUlST_E_NS1_11comp_targetILNS1_3genE2ELNS1_11target_archE906ELNS1_3gpuE6ELNS1_3repE0EEENS1_30default_config_static_selectorELNS0_4arch9wavefront6targetE1EEEvT1_, .Lfunc_end853-_ZN7rocprim17ROCPRIM_400000_NS6detail17trampoline_kernelINS0_14default_configENS1_27scan_by_key_config_selectorIssEEZZNS1_16scan_by_key_implILNS1_25lookback_scan_determinismE0ELb0ES3_N6thrust23THRUST_200600_302600_NS6detail15normal_iteratorINS9_10device_ptrIsEEEESE_SE_sNS9_4plusIsEE19head_flag_predicatesEE10hipError_tPvRmT2_T3_T4_T5_mT6_T7_P12ihipStream_tbENKUlT_T0_E_clISt17integral_constantIbLb0EESX_IbLb1EEEEDaST_SU_EUlST_E_NS1_11comp_targetILNS1_3genE2ELNS1_11target_archE906ELNS1_3gpuE6ELNS1_3repE0EEENS1_30default_config_static_selectorELNS0_4arch9wavefront6targetE1EEEvT1_
                                        ; -- End function
	.section	.AMDGPU.csdata,"",@progbits
; Kernel info:
; codeLenInByte = 0
; NumSgprs: 4
; NumVgprs: 0
; NumAgprs: 0
; TotalNumVgprs: 0
; ScratchSize: 0
; MemoryBound: 0
; FloatMode: 240
; IeeeMode: 1
; LDSByteSize: 0 bytes/workgroup (compile time only)
; SGPRBlocks: 0
; VGPRBlocks: 0
; NumSGPRsForWavesPerEU: 4
; NumVGPRsForWavesPerEU: 1
; AccumOffset: 4
; Occupancy: 8
; WaveLimiterHint : 0
; COMPUTE_PGM_RSRC2:SCRATCH_EN: 0
; COMPUTE_PGM_RSRC2:USER_SGPR: 6
; COMPUTE_PGM_RSRC2:TRAP_HANDLER: 0
; COMPUTE_PGM_RSRC2:TGID_X_EN: 1
; COMPUTE_PGM_RSRC2:TGID_Y_EN: 0
; COMPUTE_PGM_RSRC2:TGID_Z_EN: 0
; COMPUTE_PGM_RSRC2:TIDIG_COMP_CNT: 0
; COMPUTE_PGM_RSRC3_GFX90A:ACCUM_OFFSET: 0
; COMPUTE_PGM_RSRC3_GFX90A:TG_SPLIT: 0
	.section	.text._ZN7rocprim17ROCPRIM_400000_NS6detail17trampoline_kernelINS0_14default_configENS1_27scan_by_key_config_selectorIssEEZZNS1_16scan_by_key_implILNS1_25lookback_scan_determinismE0ELb0ES3_N6thrust23THRUST_200600_302600_NS6detail15normal_iteratorINS9_10device_ptrIsEEEESE_SE_sNS9_4plusIsEE19head_flag_predicatesEE10hipError_tPvRmT2_T3_T4_T5_mT6_T7_P12ihipStream_tbENKUlT_T0_E_clISt17integral_constantIbLb0EESX_IbLb1EEEEDaST_SU_EUlST_E_NS1_11comp_targetILNS1_3genE10ELNS1_11target_archE1200ELNS1_3gpuE4ELNS1_3repE0EEENS1_30default_config_static_selectorELNS0_4arch9wavefront6targetE1EEEvT1_,"axG",@progbits,_ZN7rocprim17ROCPRIM_400000_NS6detail17trampoline_kernelINS0_14default_configENS1_27scan_by_key_config_selectorIssEEZZNS1_16scan_by_key_implILNS1_25lookback_scan_determinismE0ELb0ES3_N6thrust23THRUST_200600_302600_NS6detail15normal_iteratorINS9_10device_ptrIsEEEESE_SE_sNS9_4plusIsEE19head_flag_predicatesEE10hipError_tPvRmT2_T3_T4_T5_mT6_T7_P12ihipStream_tbENKUlT_T0_E_clISt17integral_constantIbLb0EESX_IbLb1EEEEDaST_SU_EUlST_E_NS1_11comp_targetILNS1_3genE10ELNS1_11target_archE1200ELNS1_3gpuE4ELNS1_3repE0EEENS1_30default_config_static_selectorELNS0_4arch9wavefront6targetE1EEEvT1_,comdat
	.protected	_ZN7rocprim17ROCPRIM_400000_NS6detail17trampoline_kernelINS0_14default_configENS1_27scan_by_key_config_selectorIssEEZZNS1_16scan_by_key_implILNS1_25lookback_scan_determinismE0ELb0ES3_N6thrust23THRUST_200600_302600_NS6detail15normal_iteratorINS9_10device_ptrIsEEEESE_SE_sNS9_4plusIsEE19head_flag_predicatesEE10hipError_tPvRmT2_T3_T4_T5_mT6_T7_P12ihipStream_tbENKUlT_T0_E_clISt17integral_constantIbLb0EESX_IbLb1EEEEDaST_SU_EUlST_E_NS1_11comp_targetILNS1_3genE10ELNS1_11target_archE1200ELNS1_3gpuE4ELNS1_3repE0EEENS1_30default_config_static_selectorELNS0_4arch9wavefront6targetE1EEEvT1_ ; -- Begin function _ZN7rocprim17ROCPRIM_400000_NS6detail17trampoline_kernelINS0_14default_configENS1_27scan_by_key_config_selectorIssEEZZNS1_16scan_by_key_implILNS1_25lookback_scan_determinismE0ELb0ES3_N6thrust23THRUST_200600_302600_NS6detail15normal_iteratorINS9_10device_ptrIsEEEESE_SE_sNS9_4plusIsEE19head_flag_predicatesEE10hipError_tPvRmT2_T3_T4_T5_mT6_T7_P12ihipStream_tbENKUlT_T0_E_clISt17integral_constantIbLb0EESX_IbLb1EEEEDaST_SU_EUlST_E_NS1_11comp_targetILNS1_3genE10ELNS1_11target_archE1200ELNS1_3gpuE4ELNS1_3repE0EEENS1_30default_config_static_selectorELNS0_4arch9wavefront6targetE1EEEvT1_
	.globl	_ZN7rocprim17ROCPRIM_400000_NS6detail17trampoline_kernelINS0_14default_configENS1_27scan_by_key_config_selectorIssEEZZNS1_16scan_by_key_implILNS1_25lookback_scan_determinismE0ELb0ES3_N6thrust23THRUST_200600_302600_NS6detail15normal_iteratorINS9_10device_ptrIsEEEESE_SE_sNS9_4plusIsEE19head_flag_predicatesEE10hipError_tPvRmT2_T3_T4_T5_mT6_T7_P12ihipStream_tbENKUlT_T0_E_clISt17integral_constantIbLb0EESX_IbLb1EEEEDaST_SU_EUlST_E_NS1_11comp_targetILNS1_3genE10ELNS1_11target_archE1200ELNS1_3gpuE4ELNS1_3repE0EEENS1_30default_config_static_selectorELNS0_4arch9wavefront6targetE1EEEvT1_
	.p2align	8
	.type	_ZN7rocprim17ROCPRIM_400000_NS6detail17trampoline_kernelINS0_14default_configENS1_27scan_by_key_config_selectorIssEEZZNS1_16scan_by_key_implILNS1_25lookback_scan_determinismE0ELb0ES3_N6thrust23THRUST_200600_302600_NS6detail15normal_iteratorINS9_10device_ptrIsEEEESE_SE_sNS9_4plusIsEE19head_flag_predicatesEE10hipError_tPvRmT2_T3_T4_T5_mT6_T7_P12ihipStream_tbENKUlT_T0_E_clISt17integral_constantIbLb0EESX_IbLb1EEEEDaST_SU_EUlST_E_NS1_11comp_targetILNS1_3genE10ELNS1_11target_archE1200ELNS1_3gpuE4ELNS1_3repE0EEENS1_30default_config_static_selectorELNS0_4arch9wavefront6targetE1EEEvT1_,@function
_ZN7rocprim17ROCPRIM_400000_NS6detail17trampoline_kernelINS0_14default_configENS1_27scan_by_key_config_selectorIssEEZZNS1_16scan_by_key_implILNS1_25lookback_scan_determinismE0ELb0ES3_N6thrust23THRUST_200600_302600_NS6detail15normal_iteratorINS9_10device_ptrIsEEEESE_SE_sNS9_4plusIsEE19head_flag_predicatesEE10hipError_tPvRmT2_T3_T4_T5_mT6_T7_P12ihipStream_tbENKUlT_T0_E_clISt17integral_constantIbLb0EESX_IbLb1EEEEDaST_SU_EUlST_E_NS1_11comp_targetILNS1_3genE10ELNS1_11target_archE1200ELNS1_3gpuE4ELNS1_3repE0EEENS1_30default_config_static_selectorELNS0_4arch9wavefront6targetE1EEEvT1_: ; @_ZN7rocprim17ROCPRIM_400000_NS6detail17trampoline_kernelINS0_14default_configENS1_27scan_by_key_config_selectorIssEEZZNS1_16scan_by_key_implILNS1_25lookback_scan_determinismE0ELb0ES3_N6thrust23THRUST_200600_302600_NS6detail15normal_iteratorINS9_10device_ptrIsEEEESE_SE_sNS9_4plusIsEE19head_flag_predicatesEE10hipError_tPvRmT2_T3_T4_T5_mT6_T7_P12ihipStream_tbENKUlT_T0_E_clISt17integral_constantIbLb0EESX_IbLb1EEEEDaST_SU_EUlST_E_NS1_11comp_targetILNS1_3genE10ELNS1_11target_archE1200ELNS1_3gpuE4ELNS1_3repE0EEENS1_30default_config_static_selectorELNS0_4arch9wavefront6targetE1EEEvT1_
; %bb.0:
	.section	.rodata,"a",@progbits
	.p2align	6, 0x0
	.amdhsa_kernel _ZN7rocprim17ROCPRIM_400000_NS6detail17trampoline_kernelINS0_14default_configENS1_27scan_by_key_config_selectorIssEEZZNS1_16scan_by_key_implILNS1_25lookback_scan_determinismE0ELb0ES3_N6thrust23THRUST_200600_302600_NS6detail15normal_iteratorINS9_10device_ptrIsEEEESE_SE_sNS9_4plusIsEE19head_flag_predicatesEE10hipError_tPvRmT2_T3_T4_T5_mT6_T7_P12ihipStream_tbENKUlT_T0_E_clISt17integral_constantIbLb0EESX_IbLb1EEEEDaST_SU_EUlST_E_NS1_11comp_targetILNS1_3genE10ELNS1_11target_archE1200ELNS1_3gpuE4ELNS1_3repE0EEENS1_30default_config_static_selectorELNS0_4arch9wavefront6targetE1EEEvT1_
		.amdhsa_group_segment_fixed_size 0
		.amdhsa_private_segment_fixed_size 0
		.amdhsa_kernarg_size 112
		.amdhsa_user_sgpr_count 6
		.amdhsa_user_sgpr_private_segment_buffer 1
		.amdhsa_user_sgpr_dispatch_ptr 0
		.amdhsa_user_sgpr_queue_ptr 0
		.amdhsa_user_sgpr_kernarg_segment_ptr 1
		.amdhsa_user_sgpr_dispatch_id 0
		.amdhsa_user_sgpr_flat_scratch_init 0
		.amdhsa_user_sgpr_kernarg_preload_length 0
		.amdhsa_user_sgpr_kernarg_preload_offset 0
		.amdhsa_user_sgpr_private_segment_size 0
		.amdhsa_uses_dynamic_stack 0
		.amdhsa_system_sgpr_private_segment_wavefront_offset 0
		.amdhsa_system_sgpr_workgroup_id_x 1
		.amdhsa_system_sgpr_workgroup_id_y 0
		.amdhsa_system_sgpr_workgroup_id_z 0
		.amdhsa_system_sgpr_workgroup_info 0
		.amdhsa_system_vgpr_workitem_id 0
		.amdhsa_next_free_vgpr 1
		.amdhsa_next_free_sgpr 0
		.amdhsa_accum_offset 4
		.amdhsa_reserve_vcc 0
		.amdhsa_reserve_flat_scratch 0
		.amdhsa_float_round_mode_32 0
		.amdhsa_float_round_mode_16_64 0
		.amdhsa_float_denorm_mode_32 3
		.amdhsa_float_denorm_mode_16_64 3
		.amdhsa_dx10_clamp 1
		.amdhsa_ieee_mode 1
		.amdhsa_fp16_overflow 0
		.amdhsa_tg_split 0
		.amdhsa_exception_fp_ieee_invalid_op 0
		.amdhsa_exception_fp_denorm_src 0
		.amdhsa_exception_fp_ieee_div_zero 0
		.amdhsa_exception_fp_ieee_overflow 0
		.amdhsa_exception_fp_ieee_underflow 0
		.amdhsa_exception_fp_ieee_inexact 0
		.amdhsa_exception_int_div_zero 0
	.end_amdhsa_kernel
	.section	.text._ZN7rocprim17ROCPRIM_400000_NS6detail17trampoline_kernelINS0_14default_configENS1_27scan_by_key_config_selectorIssEEZZNS1_16scan_by_key_implILNS1_25lookback_scan_determinismE0ELb0ES3_N6thrust23THRUST_200600_302600_NS6detail15normal_iteratorINS9_10device_ptrIsEEEESE_SE_sNS9_4plusIsEE19head_flag_predicatesEE10hipError_tPvRmT2_T3_T4_T5_mT6_T7_P12ihipStream_tbENKUlT_T0_E_clISt17integral_constantIbLb0EESX_IbLb1EEEEDaST_SU_EUlST_E_NS1_11comp_targetILNS1_3genE10ELNS1_11target_archE1200ELNS1_3gpuE4ELNS1_3repE0EEENS1_30default_config_static_selectorELNS0_4arch9wavefront6targetE1EEEvT1_,"axG",@progbits,_ZN7rocprim17ROCPRIM_400000_NS6detail17trampoline_kernelINS0_14default_configENS1_27scan_by_key_config_selectorIssEEZZNS1_16scan_by_key_implILNS1_25lookback_scan_determinismE0ELb0ES3_N6thrust23THRUST_200600_302600_NS6detail15normal_iteratorINS9_10device_ptrIsEEEESE_SE_sNS9_4plusIsEE19head_flag_predicatesEE10hipError_tPvRmT2_T3_T4_T5_mT6_T7_P12ihipStream_tbENKUlT_T0_E_clISt17integral_constantIbLb0EESX_IbLb1EEEEDaST_SU_EUlST_E_NS1_11comp_targetILNS1_3genE10ELNS1_11target_archE1200ELNS1_3gpuE4ELNS1_3repE0EEENS1_30default_config_static_selectorELNS0_4arch9wavefront6targetE1EEEvT1_,comdat
.Lfunc_end854:
	.size	_ZN7rocprim17ROCPRIM_400000_NS6detail17trampoline_kernelINS0_14default_configENS1_27scan_by_key_config_selectorIssEEZZNS1_16scan_by_key_implILNS1_25lookback_scan_determinismE0ELb0ES3_N6thrust23THRUST_200600_302600_NS6detail15normal_iteratorINS9_10device_ptrIsEEEESE_SE_sNS9_4plusIsEE19head_flag_predicatesEE10hipError_tPvRmT2_T3_T4_T5_mT6_T7_P12ihipStream_tbENKUlT_T0_E_clISt17integral_constantIbLb0EESX_IbLb1EEEEDaST_SU_EUlST_E_NS1_11comp_targetILNS1_3genE10ELNS1_11target_archE1200ELNS1_3gpuE4ELNS1_3repE0EEENS1_30default_config_static_selectorELNS0_4arch9wavefront6targetE1EEEvT1_, .Lfunc_end854-_ZN7rocprim17ROCPRIM_400000_NS6detail17trampoline_kernelINS0_14default_configENS1_27scan_by_key_config_selectorIssEEZZNS1_16scan_by_key_implILNS1_25lookback_scan_determinismE0ELb0ES3_N6thrust23THRUST_200600_302600_NS6detail15normal_iteratorINS9_10device_ptrIsEEEESE_SE_sNS9_4plusIsEE19head_flag_predicatesEE10hipError_tPvRmT2_T3_T4_T5_mT6_T7_P12ihipStream_tbENKUlT_T0_E_clISt17integral_constantIbLb0EESX_IbLb1EEEEDaST_SU_EUlST_E_NS1_11comp_targetILNS1_3genE10ELNS1_11target_archE1200ELNS1_3gpuE4ELNS1_3repE0EEENS1_30default_config_static_selectorELNS0_4arch9wavefront6targetE1EEEvT1_
                                        ; -- End function
	.section	.AMDGPU.csdata,"",@progbits
; Kernel info:
; codeLenInByte = 0
; NumSgprs: 4
; NumVgprs: 0
; NumAgprs: 0
; TotalNumVgprs: 0
; ScratchSize: 0
; MemoryBound: 0
; FloatMode: 240
; IeeeMode: 1
; LDSByteSize: 0 bytes/workgroup (compile time only)
; SGPRBlocks: 0
; VGPRBlocks: 0
; NumSGPRsForWavesPerEU: 4
; NumVGPRsForWavesPerEU: 1
; AccumOffset: 4
; Occupancy: 8
; WaveLimiterHint : 0
; COMPUTE_PGM_RSRC2:SCRATCH_EN: 0
; COMPUTE_PGM_RSRC2:USER_SGPR: 6
; COMPUTE_PGM_RSRC2:TRAP_HANDLER: 0
; COMPUTE_PGM_RSRC2:TGID_X_EN: 1
; COMPUTE_PGM_RSRC2:TGID_Y_EN: 0
; COMPUTE_PGM_RSRC2:TGID_Z_EN: 0
; COMPUTE_PGM_RSRC2:TIDIG_COMP_CNT: 0
; COMPUTE_PGM_RSRC3_GFX90A:ACCUM_OFFSET: 0
; COMPUTE_PGM_RSRC3_GFX90A:TG_SPLIT: 0
	.section	.text._ZN7rocprim17ROCPRIM_400000_NS6detail17trampoline_kernelINS0_14default_configENS1_27scan_by_key_config_selectorIssEEZZNS1_16scan_by_key_implILNS1_25lookback_scan_determinismE0ELb0ES3_N6thrust23THRUST_200600_302600_NS6detail15normal_iteratorINS9_10device_ptrIsEEEESE_SE_sNS9_4plusIsEE19head_flag_predicatesEE10hipError_tPvRmT2_T3_T4_T5_mT6_T7_P12ihipStream_tbENKUlT_T0_E_clISt17integral_constantIbLb0EESX_IbLb1EEEEDaST_SU_EUlST_E_NS1_11comp_targetILNS1_3genE9ELNS1_11target_archE1100ELNS1_3gpuE3ELNS1_3repE0EEENS1_30default_config_static_selectorELNS0_4arch9wavefront6targetE1EEEvT1_,"axG",@progbits,_ZN7rocprim17ROCPRIM_400000_NS6detail17trampoline_kernelINS0_14default_configENS1_27scan_by_key_config_selectorIssEEZZNS1_16scan_by_key_implILNS1_25lookback_scan_determinismE0ELb0ES3_N6thrust23THRUST_200600_302600_NS6detail15normal_iteratorINS9_10device_ptrIsEEEESE_SE_sNS9_4plusIsEE19head_flag_predicatesEE10hipError_tPvRmT2_T3_T4_T5_mT6_T7_P12ihipStream_tbENKUlT_T0_E_clISt17integral_constantIbLb0EESX_IbLb1EEEEDaST_SU_EUlST_E_NS1_11comp_targetILNS1_3genE9ELNS1_11target_archE1100ELNS1_3gpuE3ELNS1_3repE0EEENS1_30default_config_static_selectorELNS0_4arch9wavefront6targetE1EEEvT1_,comdat
	.protected	_ZN7rocprim17ROCPRIM_400000_NS6detail17trampoline_kernelINS0_14default_configENS1_27scan_by_key_config_selectorIssEEZZNS1_16scan_by_key_implILNS1_25lookback_scan_determinismE0ELb0ES3_N6thrust23THRUST_200600_302600_NS6detail15normal_iteratorINS9_10device_ptrIsEEEESE_SE_sNS9_4plusIsEE19head_flag_predicatesEE10hipError_tPvRmT2_T3_T4_T5_mT6_T7_P12ihipStream_tbENKUlT_T0_E_clISt17integral_constantIbLb0EESX_IbLb1EEEEDaST_SU_EUlST_E_NS1_11comp_targetILNS1_3genE9ELNS1_11target_archE1100ELNS1_3gpuE3ELNS1_3repE0EEENS1_30default_config_static_selectorELNS0_4arch9wavefront6targetE1EEEvT1_ ; -- Begin function _ZN7rocprim17ROCPRIM_400000_NS6detail17trampoline_kernelINS0_14default_configENS1_27scan_by_key_config_selectorIssEEZZNS1_16scan_by_key_implILNS1_25lookback_scan_determinismE0ELb0ES3_N6thrust23THRUST_200600_302600_NS6detail15normal_iteratorINS9_10device_ptrIsEEEESE_SE_sNS9_4plusIsEE19head_flag_predicatesEE10hipError_tPvRmT2_T3_T4_T5_mT6_T7_P12ihipStream_tbENKUlT_T0_E_clISt17integral_constantIbLb0EESX_IbLb1EEEEDaST_SU_EUlST_E_NS1_11comp_targetILNS1_3genE9ELNS1_11target_archE1100ELNS1_3gpuE3ELNS1_3repE0EEENS1_30default_config_static_selectorELNS0_4arch9wavefront6targetE1EEEvT1_
	.globl	_ZN7rocprim17ROCPRIM_400000_NS6detail17trampoline_kernelINS0_14default_configENS1_27scan_by_key_config_selectorIssEEZZNS1_16scan_by_key_implILNS1_25lookback_scan_determinismE0ELb0ES3_N6thrust23THRUST_200600_302600_NS6detail15normal_iteratorINS9_10device_ptrIsEEEESE_SE_sNS9_4plusIsEE19head_flag_predicatesEE10hipError_tPvRmT2_T3_T4_T5_mT6_T7_P12ihipStream_tbENKUlT_T0_E_clISt17integral_constantIbLb0EESX_IbLb1EEEEDaST_SU_EUlST_E_NS1_11comp_targetILNS1_3genE9ELNS1_11target_archE1100ELNS1_3gpuE3ELNS1_3repE0EEENS1_30default_config_static_selectorELNS0_4arch9wavefront6targetE1EEEvT1_
	.p2align	8
	.type	_ZN7rocprim17ROCPRIM_400000_NS6detail17trampoline_kernelINS0_14default_configENS1_27scan_by_key_config_selectorIssEEZZNS1_16scan_by_key_implILNS1_25lookback_scan_determinismE0ELb0ES3_N6thrust23THRUST_200600_302600_NS6detail15normal_iteratorINS9_10device_ptrIsEEEESE_SE_sNS9_4plusIsEE19head_flag_predicatesEE10hipError_tPvRmT2_T3_T4_T5_mT6_T7_P12ihipStream_tbENKUlT_T0_E_clISt17integral_constantIbLb0EESX_IbLb1EEEEDaST_SU_EUlST_E_NS1_11comp_targetILNS1_3genE9ELNS1_11target_archE1100ELNS1_3gpuE3ELNS1_3repE0EEENS1_30default_config_static_selectorELNS0_4arch9wavefront6targetE1EEEvT1_,@function
_ZN7rocprim17ROCPRIM_400000_NS6detail17trampoline_kernelINS0_14default_configENS1_27scan_by_key_config_selectorIssEEZZNS1_16scan_by_key_implILNS1_25lookback_scan_determinismE0ELb0ES3_N6thrust23THRUST_200600_302600_NS6detail15normal_iteratorINS9_10device_ptrIsEEEESE_SE_sNS9_4plusIsEE19head_flag_predicatesEE10hipError_tPvRmT2_T3_T4_T5_mT6_T7_P12ihipStream_tbENKUlT_T0_E_clISt17integral_constantIbLb0EESX_IbLb1EEEEDaST_SU_EUlST_E_NS1_11comp_targetILNS1_3genE9ELNS1_11target_archE1100ELNS1_3gpuE3ELNS1_3repE0EEENS1_30default_config_static_selectorELNS0_4arch9wavefront6targetE1EEEvT1_: ; @_ZN7rocprim17ROCPRIM_400000_NS6detail17trampoline_kernelINS0_14default_configENS1_27scan_by_key_config_selectorIssEEZZNS1_16scan_by_key_implILNS1_25lookback_scan_determinismE0ELb0ES3_N6thrust23THRUST_200600_302600_NS6detail15normal_iteratorINS9_10device_ptrIsEEEESE_SE_sNS9_4plusIsEE19head_flag_predicatesEE10hipError_tPvRmT2_T3_T4_T5_mT6_T7_P12ihipStream_tbENKUlT_T0_E_clISt17integral_constantIbLb0EESX_IbLb1EEEEDaST_SU_EUlST_E_NS1_11comp_targetILNS1_3genE9ELNS1_11target_archE1100ELNS1_3gpuE3ELNS1_3repE0EEENS1_30default_config_static_selectorELNS0_4arch9wavefront6targetE1EEEvT1_
; %bb.0:
	.section	.rodata,"a",@progbits
	.p2align	6, 0x0
	.amdhsa_kernel _ZN7rocprim17ROCPRIM_400000_NS6detail17trampoline_kernelINS0_14default_configENS1_27scan_by_key_config_selectorIssEEZZNS1_16scan_by_key_implILNS1_25lookback_scan_determinismE0ELb0ES3_N6thrust23THRUST_200600_302600_NS6detail15normal_iteratorINS9_10device_ptrIsEEEESE_SE_sNS9_4plusIsEE19head_flag_predicatesEE10hipError_tPvRmT2_T3_T4_T5_mT6_T7_P12ihipStream_tbENKUlT_T0_E_clISt17integral_constantIbLb0EESX_IbLb1EEEEDaST_SU_EUlST_E_NS1_11comp_targetILNS1_3genE9ELNS1_11target_archE1100ELNS1_3gpuE3ELNS1_3repE0EEENS1_30default_config_static_selectorELNS0_4arch9wavefront6targetE1EEEvT1_
		.amdhsa_group_segment_fixed_size 0
		.amdhsa_private_segment_fixed_size 0
		.amdhsa_kernarg_size 112
		.amdhsa_user_sgpr_count 6
		.amdhsa_user_sgpr_private_segment_buffer 1
		.amdhsa_user_sgpr_dispatch_ptr 0
		.amdhsa_user_sgpr_queue_ptr 0
		.amdhsa_user_sgpr_kernarg_segment_ptr 1
		.amdhsa_user_sgpr_dispatch_id 0
		.amdhsa_user_sgpr_flat_scratch_init 0
		.amdhsa_user_sgpr_kernarg_preload_length 0
		.amdhsa_user_sgpr_kernarg_preload_offset 0
		.amdhsa_user_sgpr_private_segment_size 0
		.amdhsa_uses_dynamic_stack 0
		.amdhsa_system_sgpr_private_segment_wavefront_offset 0
		.amdhsa_system_sgpr_workgroup_id_x 1
		.amdhsa_system_sgpr_workgroup_id_y 0
		.amdhsa_system_sgpr_workgroup_id_z 0
		.amdhsa_system_sgpr_workgroup_info 0
		.amdhsa_system_vgpr_workitem_id 0
		.amdhsa_next_free_vgpr 1
		.amdhsa_next_free_sgpr 0
		.amdhsa_accum_offset 4
		.amdhsa_reserve_vcc 0
		.amdhsa_reserve_flat_scratch 0
		.amdhsa_float_round_mode_32 0
		.amdhsa_float_round_mode_16_64 0
		.amdhsa_float_denorm_mode_32 3
		.amdhsa_float_denorm_mode_16_64 3
		.amdhsa_dx10_clamp 1
		.amdhsa_ieee_mode 1
		.amdhsa_fp16_overflow 0
		.amdhsa_tg_split 0
		.amdhsa_exception_fp_ieee_invalid_op 0
		.amdhsa_exception_fp_denorm_src 0
		.amdhsa_exception_fp_ieee_div_zero 0
		.amdhsa_exception_fp_ieee_overflow 0
		.amdhsa_exception_fp_ieee_underflow 0
		.amdhsa_exception_fp_ieee_inexact 0
		.amdhsa_exception_int_div_zero 0
	.end_amdhsa_kernel
	.section	.text._ZN7rocprim17ROCPRIM_400000_NS6detail17trampoline_kernelINS0_14default_configENS1_27scan_by_key_config_selectorIssEEZZNS1_16scan_by_key_implILNS1_25lookback_scan_determinismE0ELb0ES3_N6thrust23THRUST_200600_302600_NS6detail15normal_iteratorINS9_10device_ptrIsEEEESE_SE_sNS9_4plusIsEE19head_flag_predicatesEE10hipError_tPvRmT2_T3_T4_T5_mT6_T7_P12ihipStream_tbENKUlT_T0_E_clISt17integral_constantIbLb0EESX_IbLb1EEEEDaST_SU_EUlST_E_NS1_11comp_targetILNS1_3genE9ELNS1_11target_archE1100ELNS1_3gpuE3ELNS1_3repE0EEENS1_30default_config_static_selectorELNS0_4arch9wavefront6targetE1EEEvT1_,"axG",@progbits,_ZN7rocprim17ROCPRIM_400000_NS6detail17trampoline_kernelINS0_14default_configENS1_27scan_by_key_config_selectorIssEEZZNS1_16scan_by_key_implILNS1_25lookback_scan_determinismE0ELb0ES3_N6thrust23THRUST_200600_302600_NS6detail15normal_iteratorINS9_10device_ptrIsEEEESE_SE_sNS9_4plusIsEE19head_flag_predicatesEE10hipError_tPvRmT2_T3_T4_T5_mT6_T7_P12ihipStream_tbENKUlT_T0_E_clISt17integral_constantIbLb0EESX_IbLb1EEEEDaST_SU_EUlST_E_NS1_11comp_targetILNS1_3genE9ELNS1_11target_archE1100ELNS1_3gpuE3ELNS1_3repE0EEENS1_30default_config_static_selectorELNS0_4arch9wavefront6targetE1EEEvT1_,comdat
.Lfunc_end855:
	.size	_ZN7rocprim17ROCPRIM_400000_NS6detail17trampoline_kernelINS0_14default_configENS1_27scan_by_key_config_selectorIssEEZZNS1_16scan_by_key_implILNS1_25lookback_scan_determinismE0ELb0ES3_N6thrust23THRUST_200600_302600_NS6detail15normal_iteratorINS9_10device_ptrIsEEEESE_SE_sNS9_4plusIsEE19head_flag_predicatesEE10hipError_tPvRmT2_T3_T4_T5_mT6_T7_P12ihipStream_tbENKUlT_T0_E_clISt17integral_constantIbLb0EESX_IbLb1EEEEDaST_SU_EUlST_E_NS1_11comp_targetILNS1_3genE9ELNS1_11target_archE1100ELNS1_3gpuE3ELNS1_3repE0EEENS1_30default_config_static_selectorELNS0_4arch9wavefront6targetE1EEEvT1_, .Lfunc_end855-_ZN7rocprim17ROCPRIM_400000_NS6detail17trampoline_kernelINS0_14default_configENS1_27scan_by_key_config_selectorIssEEZZNS1_16scan_by_key_implILNS1_25lookback_scan_determinismE0ELb0ES3_N6thrust23THRUST_200600_302600_NS6detail15normal_iteratorINS9_10device_ptrIsEEEESE_SE_sNS9_4plusIsEE19head_flag_predicatesEE10hipError_tPvRmT2_T3_T4_T5_mT6_T7_P12ihipStream_tbENKUlT_T0_E_clISt17integral_constantIbLb0EESX_IbLb1EEEEDaST_SU_EUlST_E_NS1_11comp_targetILNS1_3genE9ELNS1_11target_archE1100ELNS1_3gpuE3ELNS1_3repE0EEENS1_30default_config_static_selectorELNS0_4arch9wavefront6targetE1EEEvT1_
                                        ; -- End function
	.section	.AMDGPU.csdata,"",@progbits
; Kernel info:
; codeLenInByte = 0
; NumSgprs: 4
; NumVgprs: 0
; NumAgprs: 0
; TotalNumVgprs: 0
; ScratchSize: 0
; MemoryBound: 0
; FloatMode: 240
; IeeeMode: 1
; LDSByteSize: 0 bytes/workgroup (compile time only)
; SGPRBlocks: 0
; VGPRBlocks: 0
; NumSGPRsForWavesPerEU: 4
; NumVGPRsForWavesPerEU: 1
; AccumOffset: 4
; Occupancy: 8
; WaveLimiterHint : 0
; COMPUTE_PGM_RSRC2:SCRATCH_EN: 0
; COMPUTE_PGM_RSRC2:USER_SGPR: 6
; COMPUTE_PGM_RSRC2:TRAP_HANDLER: 0
; COMPUTE_PGM_RSRC2:TGID_X_EN: 1
; COMPUTE_PGM_RSRC2:TGID_Y_EN: 0
; COMPUTE_PGM_RSRC2:TGID_Z_EN: 0
; COMPUTE_PGM_RSRC2:TIDIG_COMP_CNT: 0
; COMPUTE_PGM_RSRC3_GFX90A:ACCUM_OFFSET: 0
; COMPUTE_PGM_RSRC3_GFX90A:TG_SPLIT: 0
	.section	.text._ZN7rocprim17ROCPRIM_400000_NS6detail17trampoline_kernelINS0_14default_configENS1_27scan_by_key_config_selectorIssEEZZNS1_16scan_by_key_implILNS1_25lookback_scan_determinismE0ELb0ES3_N6thrust23THRUST_200600_302600_NS6detail15normal_iteratorINS9_10device_ptrIsEEEESE_SE_sNS9_4plusIsEE19head_flag_predicatesEE10hipError_tPvRmT2_T3_T4_T5_mT6_T7_P12ihipStream_tbENKUlT_T0_E_clISt17integral_constantIbLb0EESX_IbLb1EEEEDaST_SU_EUlST_E_NS1_11comp_targetILNS1_3genE8ELNS1_11target_archE1030ELNS1_3gpuE2ELNS1_3repE0EEENS1_30default_config_static_selectorELNS0_4arch9wavefront6targetE1EEEvT1_,"axG",@progbits,_ZN7rocprim17ROCPRIM_400000_NS6detail17trampoline_kernelINS0_14default_configENS1_27scan_by_key_config_selectorIssEEZZNS1_16scan_by_key_implILNS1_25lookback_scan_determinismE0ELb0ES3_N6thrust23THRUST_200600_302600_NS6detail15normal_iteratorINS9_10device_ptrIsEEEESE_SE_sNS9_4plusIsEE19head_flag_predicatesEE10hipError_tPvRmT2_T3_T4_T5_mT6_T7_P12ihipStream_tbENKUlT_T0_E_clISt17integral_constantIbLb0EESX_IbLb1EEEEDaST_SU_EUlST_E_NS1_11comp_targetILNS1_3genE8ELNS1_11target_archE1030ELNS1_3gpuE2ELNS1_3repE0EEENS1_30default_config_static_selectorELNS0_4arch9wavefront6targetE1EEEvT1_,comdat
	.protected	_ZN7rocprim17ROCPRIM_400000_NS6detail17trampoline_kernelINS0_14default_configENS1_27scan_by_key_config_selectorIssEEZZNS1_16scan_by_key_implILNS1_25lookback_scan_determinismE0ELb0ES3_N6thrust23THRUST_200600_302600_NS6detail15normal_iteratorINS9_10device_ptrIsEEEESE_SE_sNS9_4plusIsEE19head_flag_predicatesEE10hipError_tPvRmT2_T3_T4_T5_mT6_T7_P12ihipStream_tbENKUlT_T0_E_clISt17integral_constantIbLb0EESX_IbLb1EEEEDaST_SU_EUlST_E_NS1_11comp_targetILNS1_3genE8ELNS1_11target_archE1030ELNS1_3gpuE2ELNS1_3repE0EEENS1_30default_config_static_selectorELNS0_4arch9wavefront6targetE1EEEvT1_ ; -- Begin function _ZN7rocprim17ROCPRIM_400000_NS6detail17trampoline_kernelINS0_14default_configENS1_27scan_by_key_config_selectorIssEEZZNS1_16scan_by_key_implILNS1_25lookback_scan_determinismE0ELb0ES3_N6thrust23THRUST_200600_302600_NS6detail15normal_iteratorINS9_10device_ptrIsEEEESE_SE_sNS9_4plusIsEE19head_flag_predicatesEE10hipError_tPvRmT2_T3_T4_T5_mT6_T7_P12ihipStream_tbENKUlT_T0_E_clISt17integral_constantIbLb0EESX_IbLb1EEEEDaST_SU_EUlST_E_NS1_11comp_targetILNS1_3genE8ELNS1_11target_archE1030ELNS1_3gpuE2ELNS1_3repE0EEENS1_30default_config_static_selectorELNS0_4arch9wavefront6targetE1EEEvT1_
	.globl	_ZN7rocprim17ROCPRIM_400000_NS6detail17trampoline_kernelINS0_14default_configENS1_27scan_by_key_config_selectorIssEEZZNS1_16scan_by_key_implILNS1_25lookback_scan_determinismE0ELb0ES3_N6thrust23THRUST_200600_302600_NS6detail15normal_iteratorINS9_10device_ptrIsEEEESE_SE_sNS9_4plusIsEE19head_flag_predicatesEE10hipError_tPvRmT2_T3_T4_T5_mT6_T7_P12ihipStream_tbENKUlT_T0_E_clISt17integral_constantIbLb0EESX_IbLb1EEEEDaST_SU_EUlST_E_NS1_11comp_targetILNS1_3genE8ELNS1_11target_archE1030ELNS1_3gpuE2ELNS1_3repE0EEENS1_30default_config_static_selectorELNS0_4arch9wavefront6targetE1EEEvT1_
	.p2align	8
	.type	_ZN7rocprim17ROCPRIM_400000_NS6detail17trampoline_kernelINS0_14default_configENS1_27scan_by_key_config_selectorIssEEZZNS1_16scan_by_key_implILNS1_25lookback_scan_determinismE0ELb0ES3_N6thrust23THRUST_200600_302600_NS6detail15normal_iteratorINS9_10device_ptrIsEEEESE_SE_sNS9_4plusIsEE19head_flag_predicatesEE10hipError_tPvRmT2_T3_T4_T5_mT6_T7_P12ihipStream_tbENKUlT_T0_E_clISt17integral_constantIbLb0EESX_IbLb1EEEEDaST_SU_EUlST_E_NS1_11comp_targetILNS1_3genE8ELNS1_11target_archE1030ELNS1_3gpuE2ELNS1_3repE0EEENS1_30default_config_static_selectorELNS0_4arch9wavefront6targetE1EEEvT1_,@function
_ZN7rocprim17ROCPRIM_400000_NS6detail17trampoline_kernelINS0_14default_configENS1_27scan_by_key_config_selectorIssEEZZNS1_16scan_by_key_implILNS1_25lookback_scan_determinismE0ELb0ES3_N6thrust23THRUST_200600_302600_NS6detail15normal_iteratorINS9_10device_ptrIsEEEESE_SE_sNS9_4plusIsEE19head_flag_predicatesEE10hipError_tPvRmT2_T3_T4_T5_mT6_T7_P12ihipStream_tbENKUlT_T0_E_clISt17integral_constantIbLb0EESX_IbLb1EEEEDaST_SU_EUlST_E_NS1_11comp_targetILNS1_3genE8ELNS1_11target_archE1030ELNS1_3gpuE2ELNS1_3repE0EEENS1_30default_config_static_selectorELNS0_4arch9wavefront6targetE1EEEvT1_: ; @_ZN7rocprim17ROCPRIM_400000_NS6detail17trampoline_kernelINS0_14default_configENS1_27scan_by_key_config_selectorIssEEZZNS1_16scan_by_key_implILNS1_25lookback_scan_determinismE0ELb0ES3_N6thrust23THRUST_200600_302600_NS6detail15normal_iteratorINS9_10device_ptrIsEEEESE_SE_sNS9_4plusIsEE19head_flag_predicatesEE10hipError_tPvRmT2_T3_T4_T5_mT6_T7_P12ihipStream_tbENKUlT_T0_E_clISt17integral_constantIbLb0EESX_IbLb1EEEEDaST_SU_EUlST_E_NS1_11comp_targetILNS1_3genE8ELNS1_11target_archE1030ELNS1_3gpuE2ELNS1_3repE0EEENS1_30default_config_static_selectorELNS0_4arch9wavefront6targetE1EEEvT1_
; %bb.0:
	.section	.rodata,"a",@progbits
	.p2align	6, 0x0
	.amdhsa_kernel _ZN7rocprim17ROCPRIM_400000_NS6detail17trampoline_kernelINS0_14default_configENS1_27scan_by_key_config_selectorIssEEZZNS1_16scan_by_key_implILNS1_25lookback_scan_determinismE0ELb0ES3_N6thrust23THRUST_200600_302600_NS6detail15normal_iteratorINS9_10device_ptrIsEEEESE_SE_sNS9_4plusIsEE19head_flag_predicatesEE10hipError_tPvRmT2_T3_T4_T5_mT6_T7_P12ihipStream_tbENKUlT_T0_E_clISt17integral_constantIbLb0EESX_IbLb1EEEEDaST_SU_EUlST_E_NS1_11comp_targetILNS1_3genE8ELNS1_11target_archE1030ELNS1_3gpuE2ELNS1_3repE0EEENS1_30default_config_static_selectorELNS0_4arch9wavefront6targetE1EEEvT1_
		.amdhsa_group_segment_fixed_size 0
		.amdhsa_private_segment_fixed_size 0
		.amdhsa_kernarg_size 112
		.amdhsa_user_sgpr_count 6
		.amdhsa_user_sgpr_private_segment_buffer 1
		.amdhsa_user_sgpr_dispatch_ptr 0
		.amdhsa_user_sgpr_queue_ptr 0
		.amdhsa_user_sgpr_kernarg_segment_ptr 1
		.amdhsa_user_sgpr_dispatch_id 0
		.amdhsa_user_sgpr_flat_scratch_init 0
		.amdhsa_user_sgpr_kernarg_preload_length 0
		.amdhsa_user_sgpr_kernarg_preload_offset 0
		.amdhsa_user_sgpr_private_segment_size 0
		.amdhsa_uses_dynamic_stack 0
		.amdhsa_system_sgpr_private_segment_wavefront_offset 0
		.amdhsa_system_sgpr_workgroup_id_x 1
		.amdhsa_system_sgpr_workgroup_id_y 0
		.amdhsa_system_sgpr_workgroup_id_z 0
		.amdhsa_system_sgpr_workgroup_info 0
		.amdhsa_system_vgpr_workitem_id 0
		.amdhsa_next_free_vgpr 1
		.amdhsa_next_free_sgpr 0
		.amdhsa_accum_offset 4
		.amdhsa_reserve_vcc 0
		.amdhsa_reserve_flat_scratch 0
		.amdhsa_float_round_mode_32 0
		.amdhsa_float_round_mode_16_64 0
		.amdhsa_float_denorm_mode_32 3
		.amdhsa_float_denorm_mode_16_64 3
		.amdhsa_dx10_clamp 1
		.amdhsa_ieee_mode 1
		.amdhsa_fp16_overflow 0
		.amdhsa_tg_split 0
		.amdhsa_exception_fp_ieee_invalid_op 0
		.amdhsa_exception_fp_denorm_src 0
		.amdhsa_exception_fp_ieee_div_zero 0
		.amdhsa_exception_fp_ieee_overflow 0
		.amdhsa_exception_fp_ieee_underflow 0
		.amdhsa_exception_fp_ieee_inexact 0
		.amdhsa_exception_int_div_zero 0
	.end_amdhsa_kernel
	.section	.text._ZN7rocprim17ROCPRIM_400000_NS6detail17trampoline_kernelINS0_14default_configENS1_27scan_by_key_config_selectorIssEEZZNS1_16scan_by_key_implILNS1_25lookback_scan_determinismE0ELb0ES3_N6thrust23THRUST_200600_302600_NS6detail15normal_iteratorINS9_10device_ptrIsEEEESE_SE_sNS9_4plusIsEE19head_flag_predicatesEE10hipError_tPvRmT2_T3_T4_T5_mT6_T7_P12ihipStream_tbENKUlT_T0_E_clISt17integral_constantIbLb0EESX_IbLb1EEEEDaST_SU_EUlST_E_NS1_11comp_targetILNS1_3genE8ELNS1_11target_archE1030ELNS1_3gpuE2ELNS1_3repE0EEENS1_30default_config_static_selectorELNS0_4arch9wavefront6targetE1EEEvT1_,"axG",@progbits,_ZN7rocprim17ROCPRIM_400000_NS6detail17trampoline_kernelINS0_14default_configENS1_27scan_by_key_config_selectorIssEEZZNS1_16scan_by_key_implILNS1_25lookback_scan_determinismE0ELb0ES3_N6thrust23THRUST_200600_302600_NS6detail15normal_iteratorINS9_10device_ptrIsEEEESE_SE_sNS9_4plusIsEE19head_flag_predicatesEE10hipError_tPvRmT2_T3_T4_T5_mT6_T7_P12ihipStream_tbENKUlT_T0_E_clISt17integral_constantIbLb0EESX_IbLb1EEEEDaST_SU_EUlST_E_NS1_11comp_targetILNS1_3genE8ELNS1_11target_archE1030ELNS1_3gpuE2ELNS1_3repE0EEENS1_30default_config_static_selectorELNS0_4arch9wavefront6targetE1EEEvT1_,comdat
.Lfunc_end856:
	.size	_ZN7rocprim17ROCPRIM_400000_NS6detail17trampoline_kernelINS0_14default_configENS1_27scan_by_key_config_selectorIssEEZZNS1_16scan_by_key_implILNS1_25lookback_scan_determinismE0ELb0ES3_N6thrust23THRUST_200600_302600_NS6detail15normal_iteratorINS9_10device_ptrIsEEEESE_SE_sNS9_4plusIsEE19head_flag_predicatesEE10hipError_tPvRmT2_T3_T4_T5_mT6_T7_P12ihipStream_tbENKUlT_T0_E_clISt17integral_constantIbLb0EESX_IbLb1EEEEDaST_SU_EUlST_E_NS1_11comp_targetILNS1_3genE8ELNS1_11target_archE1030ELNS1_3gpuE2ELNS1_3repE0EEENS1_30default_config_static_selectorELNS0_4arch9wavefront6targetE1EEEvT1_, .Lfunc_end856-_ZN7rocprim17ROCPRIM_400000_NS6detail17trampoline_kernelINS0_14default_configENS1_27scan_by_key_config_selectorIssEEZZNS1_16scan_by_key_implILNS1_25lookback_scan_determinismE0ELb0ES3_N6thrust23THRUST_200600_302600_NS6detail15normal_iteratorINS9_10device_ptrIsEEEESE_SE_sNS9_4plusIsEE19head_flag_predicatesEE10hipError_tPvRmT2_T3_T4_T5_mT6_T7_P12ihipStream_tbENKUlT_T0_E_clISt17integral_constantIbLb0EESX_IbLb1EEEEDaST_SU_EUlST_E_NS1_11comp_targetILNS1_3genE8ELNS1_11target_archE1030ELNS1_3gpuE2ELNS1_3repE0EEENS1_30default_config_static_selectorELNS0_4arch9wavefront6targetE1EEEvT1_
                                        ; -- End function
	.section	.AMDGPU.csdata,"",@progbits
; Kernel info:
; codeLenInByte = 0
; NumSgprs: 4
; NumVgprs: 0
; NumAgprs: 0
; TotalNumVgprs: 0
; ScratchSize: 0
; MemoryBound: 0
; FloatMode: 240
; IeeeMode: 1
; LDSByteSize: 0 bytes/workgroup (compile time only)
; SGPRBlocks: 0
; VGPRBlocks: 0
; NumSGPRsForWavesPerEU: 4
; NumVGPRsForWavesPerEU: 1
; AccumOffset: 4
; Occupancy: 8
; WaveLimiterHint : 0
; COMPUTE_PGM_RSRC2:SCRATCH_EN: 0
; COMPUTE_PGM_RSRC2:USER_SGPR: 6
; COMPUTE_PGM_RSRC2:TRAP_HANDLER: 0
; COMPUTE_PGM_RSRC2:TGID_X_EN: 1
; COMPUTE_PGM_RSRC2:TGID_Y_EN: 0
; COMPUTE_PGM_RSRC2:TGID_Z_EN: 0
; COMPUTE_PGM_RSRC2:TIDIG_COMP_CNT: 0
; COMPUTE_PGM_RSRC3_GFX90A:ACCUM_OFFSET: 0
; COMPUTE_PGM_RSRC3_GFX90A:TG_SPLIT: 0
	.section	.text._ZN7rocprim17ROCPRIM_400000_NS6detail17trampoline_kernelINS0_14default_configENS1_27scan_by_key_config_selectorIssEEZZNS1_16scan_by_key_implILNS1_25lookback_scan_determinismE0ELb1ES3_N6thrust23THRUST_200600_302600_NS6detail15normal_iteratorINS9_10device_ptrIsEEEESE_SE_sNS9_4plusIsEE19head_flag_predicatesEE10hipError_tPvRmT2_T3_T4_T5_mT6_T7_P12ihipStream_tbENKUlT_T0_E_clISt17integral_constantIbLb0EESY_EEDaST_SU_EUlST_E_NS1_11comp_targetILNS1_3genE0ELNS1_11target_archE4294967295ELNS1_3gpuE0ELNS1_3repE0EEENS1_30default_config_static_selectorELNS0_4arch9wavefront6targetE1EEEvT1_,"axG",@progbits,_ZN7rocprim17ROCPRIM_400000_NS6detail17trampoline_kernelINS0_14default_configENS1_27scan_by_key_config_selectorIssEEZZNS1_16scan_by_key_implILNS1_25lookback_scan_determinismE0ELb1ES3_N6thrust23THRUST_200600_302600_NS6detail15normal_iteratorINS9_10device_ptrIsEEEESE_SE_sNS9_4plusIsEE19head_flag_predicatesEE10hipError_tPvRmT2_T3_T4_T5_mT6_T7_P12ihipStream_tbENKUlT_T0_E_clISt17integral_constantIbLb0EESY_EEDaST_SU_EUlST_E_NS1_11comp_targetILNS1_3genE0ELNS1_11target_archE4294967295ELNS1_3gpuE0ELNS1_3repE0EEENS1_30default_config_static_selectorELNS0_4arch9wavefront6targetE1EEEvT1_,comdat
	.protected	_ZN7rocprim17ROCPRIM_400000_NS6detail17trampoline_kernelINS0_14default_configENS1_27scan_by_key_config_selectorIssEEZZNS1_16scan_by_key_implILNS1_25lookback_scan_determinismE0ELb1ES3_N6thrust23THRUST_200600_302600_NS6detail15normal_iteratorINS9_10device_ptrIsEEEESE_SE_sNS9_4plusIsEE19head_flag_predicatesEE10hipError_tPvRmT2_T3_T4_T5_mT6_T7_P12ihipStream_tbENKUlT_T0_E_clISt17integral_constantIbLb0EESY_EEDaST_SU_EUlST_E_NS1_11comp_targetILNS1_3genE0ELNS1_11target_archE4294967295ELNS1_3gpuE0ELNS1_3repE0EEENS1_30default_config_static_selectorELNS0_4arch9wavefront6targetE1EEEvT1_ ; -- Begin function _ZN7rocprim17ROCPRIM_400000_NS6detail17trampoline_kernelINS0_14default_configENS1_27scan_by_key_config_selectorIssEEZZNS1_16scan_by_key_implILNS1_25lookback_scan_determinismE0ELb1ES3_N6thrust23THRUST_200600_302600_NS6detail15normal_iteratorINS9_10device_ptrIsEEEESE_SE_sNS9_4plusIsEE19head_flag_predicatesEE10hipError_tPvRmT2_T3_T4_T5_mT6_T7_P12ihipStream_tbENKUlT_T0_E_clISt17integral_constantIbLb0EESY_EEDaST_SU_EUlST_E_NS1_11comp_targetILNS1_3genE0ELNS1_11target_archE4294967295ELNS1_3gpuE0ELNS1_3repE0EEENS1_30default_config_static_selectorELNS0_4arch9wavefront6targetE1EEEvT1_
	.globl	_ZN7rocprim17ROCPRIM_400000_NS6detail17trampoline_kernelINS0_14default_configENS1_27scan_by_key_config_selectorIssEEZZNS1_16scan_by_key_implILNS1_25lookback_scan_determinismE0ELb1ES3_N6thrust23THRUST_200600_302600_NS6detail15normal_iteratorINS9_10device_ptrIsEEEESE_SE_sNS9_4plusIsEE19head_flag_predicatesEE10hipError_tPvRmT2_T3_T4_T5_mT6_T7_P12ihipStream_tbENKUlT_T0_E_clISt17integral_constantIbLb0EESY_EEDaST_SU_EUlST_E_NS1_11comp_targetILNS1_3genE0ELNS1_11target_archE4294967295ELNS1_3gpuE0ELNS1_3repE0EEENS1_30default_config_static_selectorELNS0_4arch9wavefront6targetE1EEEvT1_
	.p2align	8
	.type	_ZN7rocprim17ROCPRIM_400000_NS6detail17trampoline_kernelINS0_14default_configENS1_27scan_by_key_config_selectorIssEEZZNS1_16scan_by_key_implILNS1_25lookback_scan_determinismE0ELb1ES3_N6thrust23THRUST_200600_302600_NS6detail15normal_iteratorINS9_10device_ptrIsEEEESE_SE_sNS9_4plusIsEE19head_flag_predicatesEE10hipError_tPvRmT2_T3_T4_T5_mT6_T7_P12ihipStream_tbENKUlT_T0_E_clISt17integral_constantIbLb0EESY_EEDaST_SU_EUlST_E_NS1_11comp_targetILNS1_3genE0ELNS1_11target_archE4294967295ELNS1_3gpuE0ELNS1_3repE0EEENS1_30default_config_static_selectorELNS0_4arch9wavefront6targetE1EEEvT1_,@function
_ZN7rocprim17ROCPRIM_400000_NS6detail17trampoline_kernelINS0_14default_configENS1_27scan_by_key_config_selectorIssEEZZNS1_16scan_by_key_implILNS1_25lookback_scan_determinismE0ELb1ES3_N6thrust23THRUST_200600_302600_NS6detail15normal_iteratorINS9_10device_ptrIsEEEESE_SE_sNS9_4plusIsEE19head_flag_predicatesEE10hipError_tPvRmT2_T3_T4_T5_mT6_T7_P12ihipStream_tbENKUlT_T0_E_clISt17integral_constantIbLb0EESY_EEDaST_SU_EUlST_E_NS1_11comp_targetILNS1_3genE0ELNS1_11target_archE4294967295ELNS1_3gpuE0ELNS1_3repE0EEENS1_30default_config_static_selectorELNS0_4arch9wavefront6targetE1EEEvT1_: ; @_ZN7rocprim17ROCPRIM_400000_NS6detail17trampoline_kernelINS0_14default_configENS1_27scan_by_key_config_selectorIssEEZZNS1_16scan_by_key_implILNS1_25lookback_scan_determinismE0ELb1ES3_N6thrust23THRUST_200600_302600_NS6detail15normal_iteratorINS9_10device_ptrIsEEEESE_SE_sNS9_4plusIsEE19head_flag_predicatesEE10hipError_tPvRmT2_T3_T4_T5_mT6_T7_P12ihipStream_tbENKUlT_T0_E_clISt17integral_constantIbLb0EESY_EEDaST_SU_EUlST_E_NS1_11comp_targetILNS1_3genE0ELNS1_11target_archE4294967295ELNS1_3gpuE0ELNS1_3repE0EEENS1_30default_config_static_selectorELNS0_4arch9wavefront6targetE1EEEvT1_
; %bb.0:
	.section	.rodata,"a",@progbits
	.p2align	6, 0x0
	.amdhsa_kernel _ZN7rocprim17ROCPRIM_400000_NS6detail17trampoline_kernelINS0_14default_configENS1_27scan_by_key_config_selectorIssEEZZNS1_16scan_by_key_implILNS1_25lookback_scan_determinismE0ELb1ES3_N6thrust23THRUST_200600_302600_NS6detail15normal_iteratorINS9_10device_ptrIsEEEESE_SE_sNS9_4plusIsEE19head_flag_predicatesEE10hipError_tPvRmT2_T3_T4_T5_mT6_T7_P12ihipStream_tbENKUlT_T0_E_clISt17integral_constantIbLb0EESY_EEDaST_SU_EUlST_E_NS1_11comp_targetILNS1_3genE0ELNS1_11target_archE4294967295ELNS1_3gpuE0ELNS1_3repE0EEENS1_30default_config_static_selectorELNS0_4arch9wavefront6targetE1EEEvT1_
		.amdhsa_group_segment_fixed_size 0
		.amdhsa_private_segment_fixed_size 0
		.amdhsa_kernarg_size 112
		.amdhsa_user_sgpr_count 6
		.amdhsa_user_sgpr_private_segment_buffer 1
		.amdhsa_user_sgpr_dispatch_ptr 0
		.amdhsa_user_sgpr_queue_ptr 0
		.amdhsa_user_sgpr_kernarg_segment_ptr 1
		.amdhsa_user_sgpr_dispatch_id 0
		.amdhsa_user_sgpr_flat_scratch_init 0
		.amdhsa_user_sgpr_kernarg_preload_length 0
		.amdhsa_user_sgpr_kernarg_preload_offset 0
		.amdhsa_user_sgpr_private_segment_size 0
		.amdhsa_uses_dynamic_stack 0
		.amdhsa_system_sgpr_private_segment_wavefront_offset 0
		.amdhsa_system_sgpr_workgroup_id_x 1
		.amdhsa_system_sgpr_workgroup_id_y 0
		.amdhsa_system_sgpr_workgroup_id_z 0
		.amdhsa_system_sgpr_workgroup_info 0
		.amdhsa_system_vgpr_workitem_id 0
		.amdhsa_next_free_vgpr 1
		.amdhsa_next_free_sgpr 0
		.amdhsa_accum_offset 4
		.amdhsa_reserve_vcc 0
		.amdhsa_reserve_flat_scratch 0
		.amdhsa_float_round_mode_32 0
		.amdhsa_float_round_mode_16_64 0
		.amdhsa_float_denorm_mode_32 3
		.amdhsa_float_denorm_mode_16_64 3
		.amdhsa_dx10_clamp 1
		.amdhsa_ieee_mode 1
		.amdhsa_fp16_overflow 0
		.amdhsa_tg_split 0
		.amdhsa_exception_fp_ieee_invalid_op 0
		.amdhsa_exception_fp_denorm_src 0
		.amdhsa_exception_fp_ieee_div_zero 0
		.amdhsa_exception_fp_ieee_overflow 0
		.amdhsa_exception_fp_ieee_underflow 0
		.amdhsa_exception_fp_ieee_inexact 0
		.amdhsa_exception_int_div_zero 0
	.end_amdhsa_kernel
	.section	.text._ZN7rocprim17ROCPRIM_400000_NS6detail17trampoline_kernelINS0_14default_configENS1_27scan_by_key_config_selectorIssEEZZNS1_16scan_by_key_implILNS1_25lookback_scan_determinismE0ELb1ES3_N6thrust23THRUST_200600_302600_NS6detail15normal_iteratorINS9_10device_ptrIsEEEESE_SE_sNS9_4plusIsEE19head_flag_predicatesEE10hipError_tPvRmT2_T3_T4_T5_mT6_T7_P12ihipStream_tbENKUlT_T0_E_clISt17integral_constantIbLb0EESY_EEDaST_SU_EUlST_E_NS1_11comp_targetILNS1_3genE0ELNS1_11target_archE4294967295ELNS1_3gpuE0ELNS1_3repE0EEENS1_30default_config_static_selectorELNS0_4arch9wavefront6targetE1EEEvT1_,"axG",@progbits,_ZN7rocprim17ROCPRIM_400000_NS6detail17trampoline_kernelINS0_14default_configENS1_27scan_by_key_config_selectorIssEEZZNS1_16scan_by_key_implILNS1_25lookback_scan_determinismE0ELb1ES3_N6thrust23THRUST_200600_302600_NS6detail15normal_iteratorINS9_10device_ptrIsEEEESE_SE_sNS9_4plusIsEE19head_flag_predicatesEE10hipError_tPvRmT2_T3_T4_T5_mT6_T7_P12ihipStream_tbENKUlT_T0_E_clISt17integral_constantIbLb0EESY_EEDaST_SU_EUlST_E_NS1_11comp_targetILNS1_3genE0ELNS1_11target_archE4294967295ELNS1_3gpuE0ELNS1_3repE0EEENS1_30default_config_static_selectorELNS0_4arch9wavefront6targetE1EEEvT1_,comdat
.Lfunc_end857:
	.size	_ZN7rocprim17ROCPRIM_400000_NS6detail17trampoline_kernelINS0_14default_configENS1_27scan_by_key_config_selectorIssEEZZNS1_16scan_by_key_implILNS1_25lookback_scan_determinismE0ELb1ES3_N6thrust23THRUST_200600_302600_NS6detail15normal_iteratorINS9_10device_ptrIsEEEESE_SE_sNS9_4plusIsEE19head_flag_predicatesEE10hipError_tPvRmT2_T3_T4_T5_mT6_T7_P12ihipStream_tbENKUlT_T0_E_clISt17integral_constantIbLb0EESY_EEDaST_SU_EUlST_E_NS1_11comp_targetILNS1_3genE0ELNS1_11target_archE4294967295ELNS1_3gpuE0ELNS1_3repE0EEENS1_30default_config_static_selectorELNS0_4arch9wavefront6targetE1EEEvT1_, .Lfunc_end857-_ZN7rocprim17ROCPRIM_400000_NS6detail17trampoline_kernelINS0_14default_configENS1_27scan_by_key_config_selectorIssEEZZNS1_16scan_by_key_implILNS1_25lookback_scan_determinismE0ELb1ES3_N6thrust23THRUST_200600_302600_NS6detail15normal_iteratorINS9_10device_ptrIsEEEESE_SE_sNS9_4plusIsEE19head_flag_predicatesEE10hipError_tPvRmT2_T3_T4_T5_mT6_T7_P12ihipStream_tbENKUlT_T0_E_clISt17integral_constantIbLb0EESY_EEDaST_SU_EUlST_E_NS1_11comp_targetILNS1_3genE0ELNS1_11target_archE4294967295ELNS1_3gpuE0ELNS1_3repE0EEENS1_30default_config_static_selectorELNS0_4arch9wavefront6targetE1EEEvT1_
                                        ; -- End function
	.section	.AMDGPU.csdata,"",@progbits
; Kernel info:
; codeLenInByte = 0
; NumSgprs: 4
; NumVgprs: 0
; NumAgprs: 0
; TotalNumVgprs: 0
; ScratchSize: 0
; MemoryBound: 0
; FloatMode: 240
; IeeeMode: 1
; LDSByteSize: 0 bytes/workgroup (compile time only)
; SGPRBlocks: 0
; VGPRBlocks: 0
; NumSGPRsForWavesPerEU: 4
; NumVGPRsForWavesPerEU: 1
; AccumOffset: 4
; Occupancy: 8
; WaveLimiterHint : 0
; COMPUTE_PGM_RSRC2:SCRATCH_EN: 0
; COMPUTE_PGM_RSRC2:USER_SGPR: 6
; COMPUTE_PGM_RSRC2:TRAP_HANDLER: 0
; COMPUTE_PGM_RSRC2:TGID_X_EN: 1
; COMPUTE_PGM_RSRC2:TGID_Y_EN: 0
; COMPUTE_PGM_RSRC2:TGID_Z_EN: 0
; COMPUTE_PGM_RSRC2:TIDIG_COMP_CNT: 0
; COMPUTE_PGM_RSRC3_GFX90A:ACCUM_OFFSET: 0
; COMPUTE_PGM_RSRC3_GFX90A:TG_SPLIT: 0
	.section	.text._ZN7rocprim17ROCPRIM_400000_NS6detail17trampoline_kernelINS0_14default_configENS1_27scan_by_key_config_selectorIssEEZZNS1_16scan_by_key_implILNS1_25lookback_scan_determinismE0ELb1ES3_N6thrust23THRUST_200600_302600_NS6detail15normal_iteratorINS9_10device_ptrIsEEEESE_SE_sNS9_4plusIsEE19head_flag_predicatesEE10hipError_tPvRmT2_T3_T4_T5_mT6_T7_P12ihipStream_tbENKUlT_T0_E_clISt17integral_constantIbLb0EESY_EEDaST_SU_EUlST_E_NS1_11comp_targetILNS1_3genE10ELNS1_11target_archE1201ELNS1_3gpuE5ELNS1_3repE0EEENS1_30default_config_static_selectorELNS0_4arch9wavefront6targetE1EEEvT1_,"axG",@progbits,_ZN7rocprim17ROCPRIM_400000_NS6detail17trampoline_kernelINS0_14default_configENS1_27scan_by_key_config_selectorIssEEZZNS1_16scan_by_key_implILNS1_25lookback_scan_determinismE0ELb1ES3_N6thrust23THRUST_200600_302600_NS6detail15normal_iteratorINS9_10device_ptrIsEEEESE_SE_sNS9_4plusIsEE19head_flag_predicatesEE10hipError_tPvRmT2_T3_T4_T5_mT6_T7_P12ihipStream_tbENKUlT_T0_E_clISt17integral_constantIbLb0EESY_EEDaST_SU_EUlST_E_NS1_11comp_targetILNS1_3genE10ELNS1_11target_archE1201ELNS1_3gpuE5ELNS1_3repE0EEENS1_30default_config_static_selectorELNS0_4arch9wavefront6targetE1EEEvT1_,comdat
	.protected	_ZN7rocprim17ROCPRIM_400000_NS6detail17trampoline_kernelINS0_14default_configENS1_27scan_by_key_config_selectorIssEEZZNS1_16scan_by_key_implILNS1_25lookback_scan_determinismE0ELb1ES3_N6thrust23THRUST_200600_302600_NS6detail15normal_iteratorINS9_10device_ptrIsEEEESE_SE_sNS9_4plusIsEE19head_flag_predicatesEE10hipError_tPvRmT2_T3_T4_T5_mT6_T7_P12ihipStream_tbENKUlT_T0_E_clISt17integral_constantIbLb0EESY_EEDaST_SU_EUlST_E_NS1_11comp_targetILNS1_3genE10ELNS1_11target_archE1201ELNS1_3gpuE5ELNS1_3repE0EEENS1_30default_config_static_selectorELNS0_4arch9wavefront6targetE1EEEvT1_ ; -- Begin function _ZN7rocprim17ROCPRIM_400000_NS6detail17trampoline_kernelINS0_14default_configENS1_27scan_by_key_config_selectorIssEEZZNS1_16scan_by_key_implILNS1_25lookback_scan_determinismE0ELb1ES3_N6thrust23THRUST_200600_302600_NS6detail15normal_iteratorINS9_10device_ptrIsEEEESE_SE_sNS9_4plusIsEE19head_flag_predicatesEE10hipError_tPvRmT2_T3_T4_T5_mT6_T7_P12ihipStream_tbENKUlT_T0_E_clISt17integral_constantIbLb0EESY_EEDaST_SU_EUlST_E_NS1_11comp_targetILNS1_3genE10ELNS1_11target_archE1201ELNS1_3gpuE5ELNS1_3repE0EEENS1_30default_config_static_selectorELNS0_4arch9wavefront6targetE1EEEvT1_
	.globl	_ZN7rocprim17ROCPRIM_400000_NS6detail17trampoline_kernelINS0_14default_configENS1_27scan_by_key_config_selectorIssEEZZNS1_16scan_by_key_implILNS1_25lookback_scan_determinismE0ELb1ES3_N6thrust23THRUST_200600_302600_NS6detail15normal_iteratorINS9_10device_ptrIsEEEESE_SE_sNS9_4plusIsEE19head_flag_predicatesEE10hipError_tPvRmT2_T3_T4_T5_mT6_T7_P12ihipStream_tbENKUlT_T0_E_clISt17integral_constantIbLb0EESY_EEDaST_SU_EUlST_E_NS1_11comp_targetILNS1_3genE10ELNS1_11target_archE1201ELNS1_3gpuE5ELNS1_3repE0EEENS1_30default_config_static_selectorELNS0_4arch9wavefront6targetE1EEEvT1_
	.p2align	8
	.type	_ZN7rocprim17ROCPRIM_400000_NS6detail17trampoline_kernelINS0_14default_configENS1_27scan_by_key_config_selectorIssEEZZNS1_16scan_by_key_implILNS1_25lookback_scan_determinismE0ELb1ES3_N6thrust23THRUST_200600_302600_NS6detail15normal_iteratorINS9_10device_ptrIsEEEESE_SE_sNS9_4plusIsEE19head_flag_predicatesEE10hipError_tPvRmT2_T3_T4_T5_mT6_T7_P12ihipStream_tbENKUlT_T0_E_clISt17integral_constantIbLb0EESY_EEDaST_SU_EUlST_E_NS1_11comp_targetILNS1_3genE10ELNS1_11target_archE1201ELNS1_3gpuE5ELNS1_3repE0EEENS1_30default_config_static_selectorELNS0_4arch9wavefront6targetE1EEEvT1_,@function
_ZN7rocprim17ROCPRIM_400000_NS6detail17trampoline_kernelINS0_14default_configENS1_27scan_by_key_config_selectorIssEEZZNS1_16scan_by_key_implILNS1_25lookback_scan_determinismE0ELb1ES3_N6thrust23THRUST_200600_302600_NS6detail15normal_iteratorINS9_10device_ptrIsEEEESE_SE_sNS9_4plusIsEE19head_flag_predicatesEE10hipError_tPvRmT2_T3_T4_T5_mT6_T7_P12ihipStream_tbENKUlT_T0_E_clISt17integral_constantIbLb0EESY_EEDaST_SU_EUlST_E_NS1_11comp_targetILNS1_3genE10ELNS1_11target_archE1201ELNS1_3gpuE5ELNS1_3repE0EEENS1_30default_config_static_selectorELNS0_4arch9wavefront6targetE1EEEvT1_: ; @_ZN7rocprim17ROCPRIM_400000_NS6detail17trampoline_kernelINS0_14default_configENS1_27scan_by_key_config_selectorIssEEZZNS1_16scan_by_key_implILNS1_25lookback_scan_determinismE0ELb1ES3_N6thrust23THRUST_200600_302600_NS6detail15normal_iteratorINS9_10device_ptrIsEEEESE_SE_sNS9_4plusIsEE19head_flag_predicatesEE10hipError_tPvRmT2_T3_T4_T5_mT6_T7_P12ihipStream_tbENKUlT_T0_E_clISt17integral_constantIbLb0EESY_EEDaST_SU_EUlST_E_NS1_11comp_targetILNS1_3genE10ELNS1_11target_archE1201ELNS1_3gpuE5ELNS1_3repE0EEENS1_30default_config_static_selectorELNS0_4arch9wavefront6targetE1EEEvT1_
; %bb.0:
	.section	.rodata,"a",@progbits
	.p2align	6, 0x0
	.amdhsa_kernel _ZN7rocprim17ROCPRIM_400000_NS6detail17trampoline_kernelINS0_14default_configENS1_27scan_by_key_config_selectorIssEEZZNS1_16scan_by_key_implILNS1_25lookback_scan_determinismE0ELb1ES3_N6thrust23THRUST_200600_302600_NS6detail15normal_iteratorINS9_10device_ptrIsEEEESE_SE_sNS9_4plusIsEE19head_flag_predicatesEE10hipError_tPvRmT2_T3_T4_T5_mT6_T7_P12ihipStream_tbENKUlT_T0_E_clISt17integral_constantIbLb0EESY_EEDaST_SU_EUlST_E_NS1_11comp_targetILNS1_3genE10ELNS1_11target_archE1201ELNS1_3gpuE5ELNS1_3repE0EEENS1_30default_config_static_selectorELNS0_4arch9wavefront6targetE1EEEvT1_
		.amdhsa_group_segment_fixed_size 0
		.amdhsa_private_segment_fixed_size 0
		.amdhsa_kernarg_size 112
		.amdhsa_user_sgpr_count 6
		.amdhsa_user_sgpr_private_segment_buffer 1
		.amdhsa_user_sgpr_dispatch_ptr 0
		.amdhsa_user_sgpr_queue_ptr 0
		.amdhsa_user_sgpr_kernarg_segment_ptr 1
		.amdhsa_user_sgpr_dispatch_id 0
		.amdhsa_user_sgpr_flat_scratch_init 0
		.amdhsa_user_sgpr_kernarg_preload_length 0
		.amdhsa_user_sgpr_kernarg_preload_offset 0
		.amdhsa_user_sgpr_private_segment_size 0
		.amdhsa_uses_dynamic_stack 0
		.amdhsa_system_sgpr_private_segment_wavefront_offset 0
		.amdhsa_system_sgpr_workgroup_id_x 1
		.amdhsa_system_sgpr_workgroup_id_y 0
		.amdhsa_system_sgpr_workgroup_id_z 0
		.amdhsa_system_sgpr_workgroup_info 0
		.amdhsa_system_vgpr_workitem_id 0
		.amdhsa_next_free_vgpr 1
		.amdhsa_next_free_sgpr 0
		.amdhsa_accum_offset 4
		.amdhsa_reserve_vcc 0
		.amdhsa_reserve_flat_scratch 0
		.amdhsa_float_round_mode_32 0
		.amdhsa_float_round_mode_16_64 0
		.amdhsa_float_denorm_mode_32 3
		.amdhsa_float_denorm_mode_16_64 3
		.amdhsa_dx10_clamp 1
		.amdhsa_ieee_mode 1
		.amdhsa_fp16_overflow 0
		.amdhsa_tg_split 0
		.amdhsa_exception_fp_ieee_invalid_op 0
		.amdhsa_exception_fp_denorm_src 0
		.amdhsa_exception_fp_ieee_div_zero 0
		.amdhsa_exception_fp_ieee_overflow 0
		.amdhsa_exception_fp_ieee_underflow 0
		.amdhsa_exception_fp_ieee_inexact 0
		.amdhsa_exception_int_div_zero 0
	.end_amdhsa_kernel
	.section	.text._ZN7rocprim17ROCPRIM_400000_NS6detail17trampoline_kernelINS0_14default_configENS1_27scan_by_key_config_selectorIssEEZZNS1_16scan_by_key_implILNS1_25lookback_scan_determinismE0ELb1ES3_N6thrust23THRUST_200600_302600_NS6detail15normal_iteratorINS9_10device_ptrIsEEEESE_SE_sNS9_4plusIsEE19head_flag_predicatesEE10hipError_tPvRmT2_T3_T4_T5_mT6_T7_P12ihipStream_tbENKUlT_T0_E_clISt17integral_constantIbLb0EESY_EEDaST_SU_EUlST_E_NS1_11comp_targetILNS1_3genE10ELNS1_11target_archE1201ELNS1_3gpuE5ELNS1_3repE0EEENS1_30default_config_static_selectorELNS0_4arch9wavefront6targetE1EEEvT1_,"axG",@progbits,_ZN7rocprim17ROCPRIM_400000_NS6detail17trampoline_kernelINS0_14default_configENS1_27scan_by_key_config_selectorIssEEZZNS1_16scan_by_key_implILNS1_25lookback_scan_determinismE0ELb1ES3_N6thrust23THRUST_200600_302600_NS6detail15normal_iteratorINS9_10device_ptrIsEEEESE_SE_sNS9_4plusIsEE19head_flag_predicatesEE10hipError_tPvRmT2_T3_T4_T5_mT6_T7_P12ihipStream_tbENKUlT_T0_E_clISt17integral_constantIbLb0EESY_EEDaST_SU_EUlST_E_NS1_11comp_targetILNS1_3genE10ELNS1_11target_archE1201ELNS1_3gpuE5ELNS1_3repE0EEENS1_30default_config_static_selectorELNS0_4arch9wavefront6targetE1EEEvT1_,comdat
.Lfunc_end858:
	.size	_ZN7rocprim17ROCPRIM_400000_NS6detail17trampoline_kernelINS0_14default_configENS1_27scan_by_key_config_selectorIssEEZZNS1_16scan_by_key_implILNS1_25lookback_scan_determinismE0ELb1ES3_N6thrust23THRUST_200600_302600_NS6detail15normal_iteratorINS9_10device_ptrIsEEEESE_SE_sNS9_4plusIsEE19head_flag_predicatesEE10hipError_tPvRmT2_T3_T4_T5_mT6_T7_P12ihipStream_tbENKUlT_T0_E_clISt17integral_constantIbLb0EESY_EEDaST_SU_EUlST_E_NS1_11comp_targetILNS1_3genE10ELNS1_11target_archE1201ELNS1_3gpuE5ELNS1_3repE0EEENS1_30default_config_static_selectorELNS0_4arch9wavefront6targetE1EEEvT1_, .Lfunc_end858-_ZN7rocprim17ROCPRIM_400000_NS6detail17trampoline_kernelINS0_14default_configENS1_27scan_by_key_config_selectorIssEEZZNS1_16scan_by_key_implILNS1_25lookback_scan_determinismE0ELb1ES3_N6thrust23THRUST_200600_302600_NS6detail15normal_iteratorINS9_10device_ptrIsEEEESE_SE_sNS9_4plusIsEE19head_flag_predicatesEE10hipError_tPvRmT2_T3_T4_T5_mT6_T7_P12ihipStream_tbENKUlT_T0_E_clISt17integral_constantIbLb0EESY_EEDaST_SU_EUlST_E_NS1_11comp_targetILNS1_3genE10ELNS1_11target_archE1201ELNS1_3gpuE5ELNS1_3repE0EEENS1_30default_config_static_selectorELNS0_4arch9wavefront6targetE1EEEvT1_
                                        ; -- End function
	.section	.AMDGPU.csdata,"",@progbits
; Kernel info:
; codeLenInByte = 0
; NumSgprs: 4
; NumVgprs: 0
; NumAgprs: 0
; TotalNumVgprs: 0
; ScratchSize: 0
; MemoryBound: 0
; FloatMode: 240
; IeeeMode: 1
; LDSByteSize: 0 bytes/workgroup (compile time only)
; SGPRBlocks: 0
; VGPRBlocks: 0
; NumSGPRsForWavesPerEU: 4
; NumVGPRsForWavesPerEU: 1
; AccumOffset: 4
; Occupancy: 8
; WaveLimiterHint : 0
; COMPUTE_PGM_RSRC2:SCRATCH_EN: 0
; COMPUTE_PGM_RSRC2:USER_SGPR: 6
; COMPUTE_PGM_RSRC2:TRAP_HANDLER: 0
; COMPUTE_PGM_RSRC2:TGID_X_EN: 1
; COMPUTE_PGM_RSRC2:TGID_Y_EN: 0
; COMPUTE_PGM_RSRC2:TGID_Z_EN: 0
; COMPUTE_PGM_RSRC2:TIDIG_COMP_CNT: 0
; COMPUTE_PGM_RSRC3_GFX90A:ACCUM_OFFSET: 0
; COMPUTE_PGM_RSRC3_GFX90A:TG_SPLIT: 0
	.section	.text._ZN7rocprim17ROCPRIM_400000_NS6detail17trampoline_kernelINS0_14default_configENS1_27scan_by_key_config_selectorIssEEZZNS1_16scan_by_key_implILNS1_25lookback_scan_determinismE0ELb1ES3_N6thrust23THRUST_200600_302600_NS6detail15normal_iteratorINS9_10device_ptrIsEEEESE_SE_sNS9_4plusIsEE19head_flag_predicatesEE10hipError_tPvRmT2_T3_T4_T5_mT6_T7_P12ihipStream_tbENKUlT_T0_E_clISt17integral_constantIbLb0EESY_EEDaST_SU_EUlST_E_NS1_11comp_targetILNS1_3genE5ELNS1_11target_archE942ELNS1_3gpuE9ELNS1_3repE0EEENS1_30default_config_static_selectorELNS0_4arch9wavefront6targetE1EEEvT1_,"axG",@progbits,_ZN7rocprim17ROCPRIM_400000_NS6detail17trampoline_kernelINS0_14default_configENS1_27scan_by_key_config_selectorIssEEZZNS1_16scan_by_key_implILNS1_25lookback_scan_determinismE0ELb1ES3_N6thrust23THRUST_200600_302600_NS6detail15normal_iteratorINS9_10device_ptrIsEEEESE_SE_sNS9_4plusIsEE19head_flag_predicatesEE10hipError_tPvRmT2_T3_T4_T5_mT6_T7_P12ihipStream_tbENKUlT_T0_E_clISt17integral_constantIbLb0EESY_EEDaST_SU_EUlST_E_NS1_11comp_targetILNS1_3genE5ELNS1_11target_archE942ELNS1_3gpuE9ELNS1_3repE0EEENS1_30default_config_static_selectorELNS0_4arch9wavefront6targetE1EEEvT1_,comdat
	.protected	_ZN7rocprim17ROCPRIM_400000_NS6detail17trampoline_kernelINS0_14default_configENS1_27scan_by_key_config_selectorIssEEZZNS1_16scan_by_key_implILNS1_25lookback_scan_determinismE0ELb1ES3_N6thrust23THRUST_200600_302600_NS6detail15normal_iteratorINS9_10device_ptrIsEEEESE_SE_sNS9_4plusIsEE19head_flag_predicatesEE10hipError_tPvRmT2_T3_T4_T5_mT6_T7_P12ihipStream_tbENKUlT_T0_E_clISt17integral_constantIbLb0EESY_EEDaST_SU_EUlST_E_NS1_11comp_targetILNS1_3genE5ELNS1_11target_archE942ELNS1_3gpuE9ELNS1_3repE0EEENS1_30default_config_static_selectorELNS0_4arch9wavefront6targetE1EEEvT1_ ; -- Begin function _ZN7rocprim17ROCPRIM_400000_NS6detail17trampoline_kernelINS0_14default_configENS1_27scan_by_key_config_selectorIssEEZZNS1_16scan_by_key_implILNS1_25lookback_scan_determinismE0ELb1ES3_N6thrust23THRUST_200600_302600_NS6detail15normal_iteratorINS9_10device_ptrIsEEEESE_SE_sNS9_4plusIsEE19head_flag_predicatesEE10hipError_tPvRmT2_T3_T4_T5_mT6_T7_P12ihipStream_tbENKUlT_T0_E_clISt17integral_constantIbLb0EESY_EEDaST_SU_EUlST_E_NS1_11comp_targetILNS1_3genE5ELNS1_11target_archE942ELNS1_3gpuE9ELNS1_3repE0EEENS1_30default_config_static_selectorELNS0_4arch9wavefront6targetE1EEEvT1_
	.globl	_ZN7rocprim17ROCPRIM_400000_NS6detail17trampoline_kernelINS0_14default_configENS1_27scan_by_key_config_selectorIssEEZZNS1_16scan_by_key_implILNS1_25lookback_scan_determinismE0ELb1ES3_N6thrust23THRUST_200600_302600_NS6detail15normal_iteratorINS9_10device_ptrIsEEEESE_SE_sNS9_4plusIsEE19head_flag_predicatesEE10hipError_tPvRmT2_T3_T4_T5_mT6_T7_P12ihipStream_tbENKUlT_T0_E_clISt17integral_constantIbLb0EESY_EEDaST_SU_EUlST_E_NS1_11comp_targetILNS1_3genE5ELNS1_11target_archE942ELNS1_3gpuE9ELNS1_3repE0EEENS1_30default_config_static_selectorELNS0_4arch9wavefront6targetE1EEEvT1_
	.p2align	8
	.type	_ZN7rocprim17ROCPRIM_400000_NS6detail17trampoline_kernelINS0_14default_configENS1_27scan_by_key_config_selectorIssEEZZNS1_16scan_by_key_implILNS1_25lookback_scan_determinismE0ELb1ES3_N6thrust23THRUST_200600_302600_NS6detail15normal_iteratorINS9_10device_ptrIsEEEESE_SE_sNS9_4plusIsEE19head_flag_predicatesEE10hipError_tPvRmT2_T3_T4_T5_mT6_T7_P12ihipStream_tbENKUlT_T0_E_clISt17integral_constantIbLb0EESY_EEDaST_SU_EUlST_E_NS1_11comp_targetILNS1_3genE5ELNS1_11target_archE942ELNS1_3gpuE9ELNS1_3repE0EEENS1_30default_config_static_selectorELNS0_4arch9wavefront6targetE1EEEvT1_,@function
_ZN7rocprim17ROCPRIM_400000_NS6detail17trampoline_kernelINS0_14default_configENS1_27scan_by_key_config_selectorIssEEZZNS1_16scan_by_key_implILNS1_25lookback_scan_determinismE0ELb1ES3_N6thrust23THRUST_200600_302600_NS6detail15normal_iteratorINS9_10device_ptrIsEEEESE_SE_sNS9_4plusIsEE19head_flag_predicatesEE10hipError_tPvRmT2_T3_T4_T5_mT6_T7_P12ihipStream_tbENKUlT_T0_E_clISt17integral_constantIbLb0EESY_EEDaST_SU_EUlST_E_NS1_11comp_targetILNS1_3genE5ELNS1_11target_archE942ELNS1_3gpuE9ELNS1_3repE0EEENS1_30default_config_static_selectorELNS0_4arch9wavefront6targetE1EEEvT1_: ; @_ZN7rocprim17ROCPRIM_400000_NS6detail17trampoline_kernelINS0_14default_configENS1_27scan_by_key_config_selectorIssEEZZNS1_16scan_by_key_implILNS1_25lookback_scan_determinismE0ELb1ES3_N6thrust23THRUST_200600_302600_NS6detail15normal_iteratorINS9_10device_ptrIsEEEESE_SE_sNS9_4plusIsEE19head_flag_predicatesEE10hipError_tPvRmT2_T3_T4_T5_mT6_T7_P12ihipStream_tbENKUlT_T0_E_clISt17integral_constantIbLb0EESY_EEDaST_SU_EUlST_E_NS1_11comp_targetILNS1_3genE5ELNS1_11target_archE942ELNS1_3gpuE9ELNS1_3repE0EEENS1_30default_config_static_selectorELNS0_4arch9wavefront6targetE1EEEvT1_
; %bb.0:
	.section	.rodata,"a",@progbits
	.p2align	6, 0x0
	.amdhsa_kernel _ZN7rocprim17ROCPRIM_400000_NS6detail17trampoline_kernelINS0_14default_configENS1_27scan_by_key_config_selectorIssEEZZNS1_16scan_by_key_implILNS1_25lookback_scan_determinismE0ELb1ES3_N6thrust23THRUST_200600_302600_NS6detail15normal_iteratorINS9_10device_ptrIsEEEESE_SE_sNS9_4plusIsEE19head_flag_predicatesEE10hipError_tPvRmT2_T3_T4_T5_mT6_T7_P12ihipStream_tbENKUlT_T0_E_clISt17integral_constantIbLb0EESY_EEDaST_SU_EUlST_E_NS1_11comp_targetILNS1_3genE5ELNS1_11target_archE942ELNS1_3gpuE9ELNS1_3repE0EEENS1_30default_config_static_selectorELNS0_4arch9wavefront6targetE1EEEvT1_
		.amdhsa_group_segment_fixed_size 0
		.amdhsa_private_segment_fixed_size 0
		.amdhsa_kernarg_size 112
		.amdhsa_user_sgpr_count 6
		.amdhsa_user_sgpr_private_segment_buffer 1
		.amdhsa_user_sgpr_dispatch_ptr 0
		.amdhsa_user_sgpr_queue_ptr 0
		.amdhsa_user_sgpr_kernarg_segment_ptr 1
		.amdhsa_user_sgpr_dispatch_id 0
		.amdhsa_user_sgpr_flat_scratch_init 0
		.amdhsa_user_sgpr_kernarg_preload_length 0
		.amdhsa_user_sgpr_kernarg_preload_offset 0
		.amdhsa_user_sgpr_private_segment_size 0
		.amdhsa_uses_dynamic_stack 0
		.amdhsa_system_sgpr_private_segment_wavefront_offset 0
		.amdhsa_system_sgpr_workgroup_id_x 1
		.amdhsa_system_sgpr_workgroup_id_y 0
		.amdhsa_system_sgpr_workgroup_id_z 0
		.amdhsa_system_sgpr_workgroup_info 0
		.amdhsa_system_vgpr_workitem_id 0
		.amdhsa_next_free_vgpr 1
		.amdhsa_next_free_sgpr 0
		.amdhsa_accum_offset 4
		.amdhsa_reserve_vcc 0
		.amdhsa_reserve_flat_scratch 0
		.amdhsa_float_round_mode_32 0
		.amdhsa_float_round_mode_16_64 0
		.amdhsa_float_denorm_mode_32 3
		.amdhsa_float_denorm_mode_16_64 3
		.amdhsa_dx10_clamp 1
		.amdhsa_ieee_mode 1
		.amdhsa_fp16_overflow 0
		.amdhsa_tg_split 0
		.amdhsa_exception_fp_ieee_invalid_op 0
		.amdhsa_exception_fp_denorm_src 0
		.amdhsa_exception_fp_ieee_div_zero 0
		.amdhsa_exception_fp_ieee_overflow 0
		.amdhsa_exception_fp_ieee_underflow 0
		.amdhsa_exception_fp_ieee_inexact 0
		.amdhsa_exception_int_div_zero 0
	.end_amdhsa_kernel
	.section	.text._ZN7rocprim17ROCPRIM_400000_NS6detail17trampoline_kernelINS0_14default_configENS1_27scan_by_key_config_selectorIssEEZZNS1_16scan_by_key_implILNS1_25lookback_scan_determinismE0ELb1ES3_N6thrust23THRUST_200600_302600_NS6detail15normal_iteratorINS9_10device_ptrIsEEEESE_SE_sNS9_4plusIsEE19head_flag_predicatesEE10hipError_tPvRmT2_T3_T4_T5_mT6_T7_P12ihipStream_tbENKUlT_T0_E_clISt17integral_constantIbLb0EESY_EEDaST_SU_EUlST_E_NS1_11comp_targetILNS1_3genE5ELNS1_11target_archE942ELNS1_3gpuE9ELNS1_3repE0EEENS1_30default_config_static_selectorELNS0_4arch9wavefront6targetE1EEEvT1_,"axG",@progbits,_ZN7rocprim17ROCPRIM_400000_NS6detail17trampoline_kernelINS0_14default_configENS1_27scan_by_key_config_selectorIssEEZZNS1_16scan_by_key_implILNS1_25lookback_scan_determinismE0ELb1ES3_N6thrust23THRUST_200600_302600_NS6detail15normal_iteratorINS9_10device_ptrIsEEEESE_SE_sNS9_4plusIsEE19head_flag_predicatesEE10hipError_tPvRmT2_T3_T4_T5_mT6_T7_P12ihipStream_tbENKUlT_T0_E_clISt17integral_constantIbLb0EESY_EEDaST_SU_EUlST_E_NS1_11comp_targetILNS1_3genE5ELNS1_11target_archE942ELNS1_3gpuE9ELNS1_3repE0EEENS1_30default_config_static_selectorELNS0_4arch9wavefront6targetE1EEEvT1_,comdat
.Lfunc_end859:
	.size	_ZN7rocprim17ROCPRIM_400000_NS6detail17trampoline_kernelINS0_14default_configENS1_27scan_by_key_config_selectorIssEEZZNS1_16scan_by_key_implILNS1_25lookback_scan_determinismE0ELb1ES3_N6thrust23THRUST_200600_302600_NS6detail15normal_iteratorINS9_10device_ptrIsEEEESE_SE_sNS9_4plusIsEE19head_flag_predicatesEE10hipError_tPvRmT2_T3_T4_T5_mT6_T7_P12ihipStream_tbENKUlT_T0_E_clISt17integral_constantIbLb0EESY_EEDaST_SU_EUlST_E_NS1_11comp_targetILNS1_3genE5ELNS1_11target_archE942ELNS1_3gpuE9ELNS1_3repE0EEENS1_30default_config_static_selectorELNS0_4arch9wavefront6targetE1EEEvT1_, .Lfunc_end859-_ZN7rocprim17ROCPRIM_400000_NS6detail17trampoline_kernelINS0_14default_configENS1_27scan_by_key_config_selectorIssEEZZNS1_16scan_by_key_implILNS1_25lookback_scan_determinismE0ELb1ES3_N6thrust23THRUST_200600_302600_NS6detail15normal_iteratorINS9_10device_ptrIsEEEESE_SE_sNS9_4plusIsEE19head_flag_predicatesEE10hipError_tPvRmT2_T3_T4_T5_mT6_T7_P12ihipStream_tbENKUlT_T0_E_clISt17integral_constantIbLb0EESY_EEDaST_SU_EUlST_E_NS1_11comp_targetILNS1_3genE5ELNS1_11target_archE942ELNS1_3gpuE9ELNS1_3repE0EEENS1_30default_config_static_selectorELNS0_4arch9wavefront6targetE1EEEvT1_
                                        ; -- End function
	.section	.AMDGPU.csdata,"",@progbits
; Kernel info:
; codeLenInByte = 0
; NumSgprs: 4
; NumVgprs: 0
; NumAgprs: 0
; TotalNumVgprs: 0
; ScratchSize: 0
; MemoryBound: 0
; FloatMode: 240
; IeeeMode: 1
; LDSByteSize: 0 bytes/workgroup (compile time only)
; SGPRBlocks: 0
; VGPRBlocks: 0
; NumSGPRsForWavesPerEU: 4
; NumVGPRsForWavesPerEU: 1
; AccumOffset: 4
; Occupancy: 8
; WaveLimiterHint : 0
; COMPUTE_PGM_RSRC2:SCRATCH_EN: 0
; COMPUTE_PGM_RSRC2:USER_SGPR: 6
; COMPUTE_PGM_RSRC2:TRAP_HANDLER: 0
; COMPUTE_PGM_RSRC2:TGID_X_EN: 1
; COMPUTE_PGM_RSRC2:TGID_Y_EN: 0
; COMPUTE_PGM_RSRC2:TGID_Z_EN: 0
; COMPUTE_PGM_RSRC2:TIDIG_COMP_CNT: 0
; COMPUTE_PGM_RSRC3_GFX90A:ACCUM_OFFSET: 0
; COMPUTE_PGM_RSRC3_GFX90A:TG_SPLIT: 0
	.section	.text._ZN7rocprim17ROCPRIM_400000_NS6detail17trampoline_kernelINS0_14default_configENS1_27scan_by_key_config_selectorIssEEZZNS1_16scan_by_key_implILNS1_25lookback_scan_determinismE0ELb1ES3_N6thrust23THRUST_200600_302600_NS6detail15normal_iteratorINS9_10device_ptrIsEEEESE_SE_sNS9_4plusIsEE19head_flag_predicatesEE10hipError_tPvRmT2_T3_T4_T5_mT6_T7_P12ihipStream_tbENKUlT_T0_E_clISt17integral_constantIbLb0EESY_EEDaST_SU_EUlST_E_NS1_11comp_targetILNS1_3genE4ELNS1_11target_archE910ELNS1_3gpuE8ELNS1_3repE0EEENS1_30default_config_static_selectorELNS0_4arch9wavefront6targetE1EEEvT1_,"axG",@progbits,_ZN7rocprim17ROCPRIM_400000_NS6detail17trampoline_kernelINS0_14default_configENS1_27scan_by_key_config_selectorIssEEZZNS1_16scan_by_key_implILNS1_25lookback_scan_determinismE0ELb1ES3_N6thrust23THRUST_200600_302600_NS6detail15normal_iteratorINS9_10device_ptrIsEEEESE_SE_sNS9_4plusIsEE19head_flag_predicatesEE10hipError_tPvRmT2_T3_T4_T5_mT6_T7_P12ihipStream_tbENKUlT_T0_E_clISt17integral_constantIbLb0EESY_EEDaST_SU_EUlST_E_NS1_11comp_targetILNS1_3genE4ELNS1_11target_archE910ELNS1_3gpuE8ELNS1_3repE0EEENS1_30default_config_static_selectorELNS0_4arch9wavefront6targetE1EEEvT1_,comdat
	.protected	_ZN7rocprim17ROCPRIM_400000_NS6detail17trampoline_kernelINS0_14default_configENS1_27scan_by_key_config_selectorIssEEZZNS1_16scan_by_key_implILNS1_25lookback_scan_determinismE0ELb1ES3_N6thrust23THRUST_200600_302600_NS6detail15normal_iteratorINS9_10device_ptrIsEEEESE_SE_sNS9_4plusIsEE19head_flag_predicatesEE10hipError_tPvRmT2_T3_T4_T5_mT6_T7_P12ihipStream_tbENKUlT_T0_E_clISt17integral_constantIbLb0EESY_EEDaST_SU_EUlST_E_NS1_11comp_targetILNS1_3genE4ELNS1_11target_archE910ELNS1_3gpuE8ELNS1_3repE0EEENS1_30default_config_static_selectorELNS0_4arch9wavefront6targetE1EEEvT1_ ; -- Begin function _ZN7rocprim17ROCPRIM_400000_NS6detail17trampoline_kernelINS0_14default_configENS1_27scan_by_key_config_selectorIssEEZZNS1_16scan_by_key_implILNS1_25lookback_scan_determinismE0ELb1ES3_N6thrust23THRUST_200600_302600_NS6detail15normal_iteratorINS9_10device_ptrIsEEEESE_SE_sNS9_4plusIsEE19head_flag_predicatesEE10hipError_tPvRmT2_T3_T4_T5_mT6_T7_P12ihipStream_tbENKUlT_T0_E_clISt17integral_constantIbLb0EESY_EEDaST_SU_EUlST_E_NS1_11comp_targetILNS1_3genE4ELNS1_11target_archE910ELNS1_3gpuE8ELNS1_3repE0EEENS1_30default_config_static_selectorELNS0_4arch9wavefront6targetE1EEEvT1_
	.globl	_ZN7rocprim17ROCPRIM_400000_NS6detail17trampoline_kernelINS0_14default_configENS1_27scan_by_key_config_selectorIssEEZZNS1_16scan_by_key_implILNS1_25lookback_scan_determinismE0ELb1ES3_N6thrust23THRUST_200600_302600_NS6detail15normal_iteratorINS9_10device_ptrIsEEEESE_SE_sNS9_4plusIsEE19head_flag_predicatesEE10hipError_tPvRmT2_T3_T4_T5_mT6_T7_P12ihipStream_tbENKUlT_T0_E_clISt17integral_constantIbLb0EESY_EEDaST_SU_EUlST_E_NS1_11comp_targetILNS1_3genE4ELNS1_11target_archE910ELNS1_3gpuE8ELNS1_3repE0EEENS1_30default_config_static_selectorELNS0_4arch9wavefront6targetE1EEEvT1_
	.p2align	8
	.type	_ZN7rocprim17ROCPRIM_400000_NS6detail17trampoline_kernelINS0_14default_configENS1_27scan_by_key_config_selectorIssEEZZNS1_16scan_by_key_implILNS1_25lookback_scan_determinismE0ELb1ES3_N6thrust23THRUST_200600_302600_NS6detail15normal_iteratorINS9_10device_ptrIsEEEESE_SE_sNS9_4plusIsEE19head_flag_predicatesEE10hipError_tPvRmT2_T3_T4_T5_mT6_T7_P12ihipStream_tbENKUlT_T0_E_clISt17integral_constantIbLb0EESY_EEDaST_SU_EUlST_E_NS1_11comp_targetILNS1_3genE4ELNS1_11target_archE910ELNS1_3gpuE8ELNS1_3repE0EEENS1_30default_config_static_selectorELNS0_4arch9wavefront6targetE1EEEvT1_,@function
_ZN7rocprim17ROCPRIM_400000_NS6detail17trampoline_kernelINS0_14default_configENS1_27scan_by_key_config_selectorIssEEZZNS1_16scan_by_key_implILNS1_25lookback_scan_determinismE0ELb1ES3_N6thrust23THRUST_200600_302600_NS6detail15normal_iteratorINS9_10device_ptrIsEEEESE_SE_sNS9_4plusIsEE19head_flag_predicatesEE10hipError_tPvRmT2_T3_T4_T5_mT6_T7_P12ihipStream_tbENKUlT_T0_E_clISt17integral_constantIbLb0EESY_EEDaST_SU_EUlST_E_NS1_11comp_targetILNS1_3genE4ELNS1_11target_archE910ELNS1_3gpuE8ELNS1_3repE0EEENS1_30default_config_static_selectorELNS0_4arch9wavefront6targetE1EEEvT1_: ; @_ZN7rocprim17ROCPRIM_400000_NS6detail17trampoline_kernelINS0_14default_configENS1_27scan_by_key_config_selectorIssEEZZNS1_16scan_by_key_implILNS1_25lookback_scan_determinismE0ELb1ES3_N6thrust23THRUST_200600_302600_NS6detail15normal_iteratorINS9_10device_ptrIsEEEESE_SE_sNS9_4plusIsEE19head_flag_predicatesEE10hipError_tPvRmT2_T3_T4_T5_mT6_T7_P12ihipStream_tbENKUlT_T0_E_clISt17integral_constantIbLb0EESY_EEDaST_SU_EUlST_E_NS1_11comp_targetILNS1_3genE4ELNS1_11target_archE910ELNS1_3gpuE8ELNS1_3repE0EEENS1_30default_config_static_selectorELNS0_4arch9wavefront6targetE1EEEvT1_
; %bb.0:
	s_load_dwordx8 s[44:51], s[4:5], 0x0
	s_load_dword s7, s[4:5], 0x20
	s_load_dwordx4 s[52:55], s[4:5], 0x28
	s_load_dwordx2 s[64:65], s[4:5], 0x38
	s_load_dword s0, s[4:5], 0x40
	s_load_dwordx4 s[56:59], s[4:5], 0x48
	s_waitcnt lgkmcnt(0)
	s_lshl_b64 s[60:61], s[46:47], 1
	s_add_u32 s2, s44, s60
	s_addc_u32 s3, s45, s61
	s_add_u32 s4, s48, s60
	s_mul_i32 s1, s65, s0
	s_mul_hi_u32 s8, s64, s0
	s_addc_u32 s5, s49, s61
	s_add_i32 s8, s8, s1
	s_mul_i32 s9, s64, s0
	s_mul_i32 s0, s6, 0x1600
	s_mov_b32 s1, 0
	s_lshl_b64 s[62:63], s[0:1], 1
	s_add_u32 s66, s2, s62
	s_addc_u32 s67, s3, s63
	s_add_u32 s55, s4, s62
	s_addc_u32 s72, s5, s63
	;; [unrolled: 2-line block ×3, first 2 shown]
	s_add_u32 s4, s56, -1
	s_addc_u32 s5, s57, -1
	v_pk_mov_b32 v[2:3], s[4:5], s[4:5] op_sel:[0,1]
	v_cmp_ge_u64_e64 s[0:1], s[0:1], v[2:3]
	s_mov_b64 s[2:3], -1
	s_and_b64 vcc, exec, s[0:1]
	s_mul_i32 s33, s4, 0xffffea00
	s_barrier
	s_cbranch_vccz .LBB860_116
; %bb.1:
	v_pk_mov_b32 v[2:3], s[66:67], s[66:67] op_sel:[0,1]
	flat_load_ushort v6, v[2:3]
	s_add_i32 s74, s33, s54
	v_cmp_gt_u32_e32 vcc, s74, v0
	s_waitcnt vmcnt(0) lgkmcnt(0)
	v_mov_b32_e32 v7, v6
	s_and_saveexec_b64 s[4:5], vcc
	s_cbranch_execz .LBB860_3
; %bb.2:
	v_lshlrev_b32_e32 v1, 1, v0
	v_mov_b32_e32 v3, s67
	v_add_co_u32_e64 v2, s[2:3], s66, v1
	v_addc_co_u32_e64 v3, s[2:3], 0, v3, s[2:3]
	flat_load_ushort v7, v[2:3]
.LBB860_3:
	s_or_b64 exec, exec, s[4:5]
	v_or_b32_e32 v1, 0x100, v0
	v_cmp_gt_u32_e64 s[2:3], s74, v1
	v_mov_b32_e32 v8, v6
	s_and_saveexec_b64 s[8:9], s[2:3]
	s_cbranch_execz .LBB860_5
; %bb.4:
	v_lshlrev_b32_e32 v1, 1, v0
	v_mov_b32_e32 v3, s67
	v_add_co_u32_e64 v2, s[4:5], s66, v1
	v_addc_co_u32_e64 v3, s[4:5], 0, v3, s[4:5]
	flat_load_ushort v8, v[2:3] offset:512
.LBB860_5:
	s_or_b64 exec, exec, s[8:9]
	v_or_b32_e32 v1, 0x200, v0
	v_cmp_gt_u32_e64 s[4:5], s74, v1
	v_mov_b32_e32 v9, v6
	s_and_saveexec_b64 s[10:11], s[4:5]
	s_cbranch_execz .LBB860_7
; %bb.6:
	v_lshlrev_b32_e32 v1, 1, v0
	v_mov_b32_e32 v3, s67
	v_add_co_u32_e64 v2, s[8:9], s66, v1
	v_addc_co_u32_e64 v3, s[8:9], 0, v3, s[8:9]
	flat_load_ushort v9, v[2:3] offset:1024
.LBB860_7:
	;; [unrolled: 13-line block ×7, first 2 shown]
	s_or_b64 exec, exec, s[18:19]
	v_or_b32_e32 v1, 0x800, v0
	v_cmp_gt_u32_e64 s[16:17], s74, v1
	v_lshlrev_b32_e32 v1, 1, v1
	v_mov_b32_e32 v15, v6
	s_and_saveexec_b64 s[20:21], s[16:17]
	s_cbranch_execz .LBB860_19
; %bb.18:
	v_mov_b32_e32 v3, s67
	v_add_co_u32_e64 v2, s[18:19], s66, v1
	v_addc_co_u32_e64 v3, s[18:19], 0, v3, s[18:19]
	flat_load_ushort v15, v[2:3]
.LBB860_19:
	s_or_b64 exec, exec, s[20:21]
	v_or_b32_e32 v2, 0x900, v0
	v_cmp_gt_u32_e64 s[18:19], s74, v2
	v_lshlrev_b32_e32 v2, 1, v2
	v_mov_b32_e32 v26, v6
	s_and_saveexec_b64 s[22:23], s[18:19]
	s_cbranch_execz .LBB860_21
; %bb.20:
	v_mov_b32_e32 v3, s67
	v_add_co_u32_e64 v4, s[20:21], s66, v2
	v_addc_co_u32_e64 v5, s[20:21], 0, v3, s[20:21]
	flat_load_ushort v26, v[4:5]
.LBB860_21:
	;; [unrolled: 13-line block ×13, first 2 shown]
	s_or_b64 exec, exec, s[48:49]
	v_or_b32_e32 v20, 0x1500, v0
	v_cmp_gt_u32_e64 s[44:45], s74, v20
	v_lshlrev_b32_e32 v25, 1, v20
	s_and_saveexec_b64 s[56:57], s[44:45]
	s_cbranch_execz .LBB860_45
; %bb.44:
	v_mov_b32_e32 v6, s67
	v_add_co_u32_e64 v38, s[48:49], s66, v25
	v_addc_co_u32_e64 v39, s[48:49], 0, v6, s[48:49]
	flat_load_ushort v6, v[38:39]
.LBB860_45:
	s_or_b64 exec, exec, s[56:57]
	v_lshlrev_b32_e32 v20, 1, v0
	s_waitcnt vmcnt(0) lgkmcnt(0)
	ds_write_b16 v20, v7
	ds_write_b16 v20, v8 offset:512
	ds_write_b16 v20, v9 offset:1024
	;; [unrolled: 1-line block ×21, first 2 shown]
	v_pk_mov_b32 v[6:7], s[66:67], s[66:67] op_sel:[0,1]
	s_waitcnt lgkmcnt(0)
	s_barrier
	flat_load_ushort v36, v[6:7]
	v_mad_u32_u24 v38, v0, 42, v20
	s_movk_i32 s48, 0xffd6
	v_mad_i32_i24 v26, v0, s48, v38
	s_movk_i32 s48, 0xff
	v_cmp_ne_u32_e64 s[48:49], s48, v0
	ds_read2_b32 v[14:15], v38 offset1:1
	ds_read2_b32 v[12:13], v38 offset0:2 offset1:3
	ds_read2_b32 v[10:11], v38 offset0:4 offset1:5
	;; [unrolled: 1-line block ×4, first 2 shown]
	ds_read_b32 v39, v38 offset:40
	s_waitcnt lgkmcnt(0)
	ds_write_b16 v26, v14 offset:11776
	s_waitcnt lgkmcnt(0)
	s_barrier
	s_and_saveexec_b64 s[56:57], s[48:49]
	s_cbranch_execz .LBB860_47
; %bb.46:
	s_waitcnt vmcnt(0)
	ds_read_u16 v36, v20 offset:11778
.LBB860_47:
	s_or_b64 exec, exec, s[56:57]
	s_waitcnt lgkmcnt(0)
	s_barrier
	s_waitcnt lgkmcnt(0)
                                        ; implicit-def: $vgpr26
	s_and_saveexec_b64 s[48:49], vcc
	s_cbranch_execz .LBB860_185
; %bb.48:
	v_mov_b32_e32 v27, s72
	v_add_co_u32_e32 v26, vcc, s55, v20
	v_addc_co_u32_e32 v27, vcc, 0, v27, vcc
	flat_load_ushort v26, v[26:27]
	s_or_b64 exec, exec, s[48:49]
                                        ; implicit-def: $vgpr27
	s_and_saveexec_b64 s[48:49], s[2:3]
	s_cbranch_execnz .LBB860_186
.LBB860_49:
	s_or_b64 exec, exec, s[48:49]
                                        ; implicit-def: $vgpr28
	s_and_saveexec_b64 s[2:3], s[4:5]
	s_cbranch_execz .LBB860_187
.LBB860_50:
	v_mov_b32_e32 v29, s72
	v_add_co_u32_e32 v28, vcc, s55, v20
	v_addc_co_u32_e32 v29, vcc, 0, v29, vcc
	flat_load_ushort v28, v[28:29] offset:1024
	s_or_b64 exec, exec, s[2:3]
                                        ; implicit-def: $vgpr29
	s_and_saveexec_b64 s[2:3], s[46:47]
	s_cbranch_execnz .LBB860_188
.LBB860_51:
	s_or_b64 exec, exec, s[2:3]
                                        ; implicit-def: $vgpr30
	s_and_saveexec_b64 s[2:3], s[8:9]
	s_cbranch_execz .LBB860_189
.LBB860_52:
	v_mov_b32_e32 v31, s72
	v_add_co_u32_e32 v30, vcc, s55, v20
	v_addc_co_u32_e32 v31, vcc, 0, v31, vcc
	flat_load_ushort v30, v[30:31] offset:2048
	s_or_b64 exec, exec, s[2:3]
                                        ; implicit-def: $vgpr31
	s_and_saveexec_b64 s[2:3], s[10:11]
	s_cbranch_execnz .LBB860_190
.LBB860_53:
	s_or_b64 exec, exec, s[2:3]
                                        ; implicit-def: $vgpr32
	s_and_saveexec_b64 s[2:3], s[12:13]
	s_cbranch_execz .LBB860_191
.LBB860_54:
	v_mov_b32_e32 v33, s72
	v_add_co_u32_e32 v32, vcc, s55, v20
	v_addc_co_u32_e32 v33, vcc, 0, v33, vcc
	flat_load_ushort v32, v[32:33] offset:3072
	s_or_b64 exec, exec, s[2:3]
                                        ; implicit-def: $vgpr33
	s_and_saveexec_b64 s[2:3], s[14:15]
	s_cbranch_execnz .LBB860_192
.LBB860_55:
	s_or_b64 exec, exec, s[2:3]
                                        ; implicit-def: $vgpr34
	s_and_saveexec_b64 s[2:3], s[16:17]
	s_cbranch_execz .LBB860_193
.LBB860_56:
	v_mov_b32_e32 v35, s72
	v_add_co_u32_e32 v34, vcc, s55, v1
	v_addc_co_u32_e32 v35, vcc, 0, v35, vcc
	flat_load_ushort v34, v[34:35]
	s_or_b64 exec, exec, s[2:3]
                                        ; implicit-def: $vgpr1
	s_and_saveexec_b64 s[2:3], s[18:19]
	s_cbranch_execnz .LBB860_194
.LBB860_57:
	s_or_b64 exec, exec, s[2:3]
                                        ; implicit-def: $vgpr2
	s_and_saveexec_b64 s[2:3], s[20:21]
	s_cbranch_execz .LBB860_195
.LBB860_58:
	v_mov_b32_e32 v35, s72
	v_add_co_u32_e32 v2, vcc, s55, v3
	v_addc_co_u32_e32 v3, vcc, 0, v35, vcc
	flat_load_ushort v2, v[2:3]
	s_or_b64 exec, exec, s[2:3]
                                        ; implicit-def: $vgpr3
	s_and_saveexec_b64 s[2:3], s[22:23]
	s_cbranch_execnz .LBB860_196
.LBB860_59:
	s_or_b64 exec, exec, s[2:3]
                                        ; implicit-def: $vgpr4
	s_and_saveexec_b64 s[2:3], s[24:25]
	s_cbranch_execz .LBB860_197
.LBB860_60:
	v_mov_b32_e32 v35, s72
	v_add_co_u32_e32 v4, vcc, s55, v5
	v_addc_co_u32_e32 v5, vcc, 0, v35, vcc
	flat_load_ushort v4, v[4:5]
	s_or_b64 exec, exec, s[2:3]
                                        ; implicit-def: $vgpr5
	s_and_saveexec_b64 s[2:3], s[26:27]
	s_cbranch_execnz .LBB860_198
.LBB860_61:
	s_or_b64 exec, exec, s[2:3]
                                        ; implicit-def: $vgpr16
	s_and_saveexec_b64 s[2:3], s[28:29]
	s_cbranch_execz .LBB860_199
.LBB860_62:
	v_mov_b32_e32 v35, s72
	v_add_co_u32_e32 v16, vcc, s55, v17
	v_addc_co_u32_e32 v17, vcc, 0, v35, vcc
	flat_load_ushort v16, v[16:17]
	s_or_b64 exec, exec, s[2:3]
                                        ; implicit-def: $vgpr17
	s_and_saveexec_b64 s[2:3], s[30:31]
	s_cbranch_execnz .LBB860_200
.LBB860_63:
	s_or_b64 exec, exec, s[2:3]
                                        ; implicit-def: $vgpr18
	s_and_saveexec_b64 s[2:3], s[34:35]
	s_cbranch_execz .LBB860_201
.LBB860_64:
	v_mov_b32_e32 v35, s72
	v_add_co_u32_e32 v18, vcc, s55, v19
	v_addc_co_u32_e32 v19, vcc, 0, v35, vcc
	flat_load_ushort v18, v[18:19]
	s_or_b64 exec, exec, s[2:3]
                                        ; implicit-def: $vgpr19
	s_and_saveexec_b64 s[2:3], s[36:37]
	s_cbranch_execnz .LBB860_202
.LBB860_65:
	s_or_b64 exec, exec, s[2:3]
                                        ; implicit-def: $vgpr21
	s_and_saveexec_b64 s[2:3], s[38:39]
	s_cbranch_execz .LBB860_203
.LBB860_66:
	v_mov_b32_e32 v21, s72
	v_add_co_u32_e32 v40, vcc, s55, v22
	v_addc_co_u32_e32 v41, vcc, 0, v21, vcc
	flat_load_ushort v21, v[40:41]
	s_or_b64 exec, exec, s[2:3]
                                        ; implicit-def: $vgpr22
	s_and_saveexec_b64 s[2:3], s[40:41]
	s_cbranch_execnz .LBB860_204
.LBB860_67:
	s_or_b64 exec, exec, s[2:3]
                                        ; implicit-def: $vgpr23
	s_and_saveexec_b64 s[2:3], s[42:43]
	s_cbranch_execz .LBB860_69
.LBB860_68:
	v_mov_b32_e32 v23, s72
	v_add_co_u32_e32 v40, vcc, s55, v24
	v_addc_co_u32_e32 v41, vcc, 0, v23, vcc
	flat_load_ushort v23, v[40:41]
.LBB860_69:
	s_or_b64 exec, exec, s[2:3]
	v_mul_u32_u24_e32 v40, 22, v0
                                        ; implicit-def: $vgpr24
	s_and_saveexec_b64 s[2:3], s[44:45]
	s_cbranch_execz .LBB860_71
; %bb.70:
	v_mov_b32_e32 v35, s72
	v_add_co_u32_e32 v24, vcc, s55, v25
	v_addc_co_u32_e32 v25, vcc, 0, v35, vcc
	flat_load_ushort v24, v[24:25]
.LBB860_71:
	s_or_b64 exec, exec, s[2:3]
	s_waitcnt vmcnt(0) lgkmcnt(0)
	ds_write_b16 v20, v26
	ds_write_b16 v20, v27 offset:512
	ds_write_b16 v20, v28 offset:1024
	;; [unrolled: 1-line block ×21, first 2 shown]
	v_cmp_gt_u32_e32 vcc, s74, v40
	s_mov_b64 s[2:3], 0
	s_mov_b32 s73, 0
	v_mov_b32_e32 v1, 0
	s_mov_b64 s[10:11], 0
	v_mov_b32_e32 v20, 0
	v_mov_b32_e32 v21, 0
	v_mov_b32_e32 v22, 0
	v_mov_b32_e32 v16, 0
	v_mov_b32_e32 v23, 0
	v_mov_b32_e32 v17, 0
	v_mov_b32_e32 v24, 0
	v_mov_b32_e32 v25, 0
	v_mov_b32_e32 v26, 0
	v_mov_b32_e32 v27, 0
	v_mov_b32_e32 v28, 0
	v_mov_b32_e32 v29, 0
	v_mov_b32_e32 v30, 0
	v_mov_b32_e32 v31, 0
	v_mov_b32_e32 v32, 0
	v_mov_b32_e32 v33, 0
	v_mov_b32_e32 v18, 0
	v_mov_b32_e32 v34, 0
	v_mov_b32_e32 v19, 0
	v_mov_b32_e32 v35, 0
	s_waitcnt lgkmcnt(0)
	s_barrier
	s_waitcnt lgkmcnt(0)
                                        ; implicit-def: $sgpr8_sgpr9
                                        ; implicit-def: $vgpr37
	s_and_saveexec_b64 s[4:5], vcc
	s_cbranch_execz .LBB860_115
; %bb.72:
	ds_read_u16 v1, v38
	v_mov_b32_e32 v20, 0
	v_mov_b32_e32 v3, s7
	v_cmp_eq_u16_sdwa vcc, v14, v20 src0_sel:WORD_1 src1_sel:DWORD
	v_cmp_ne_u16_sdwa s[8:9], v14, v20 src0_sel:WORD_1 src1_sel:DWORD
	s_waitcnt lgkmcnt(0)
	v_cndmask_b32_e32 v1, v3, v1, vcc
	v_or_b32_e32 v2, 1, v40
	v_and_b32_e32 v1, 0xffff, v1
	v_cndmask_b32_e64 v3, 0, 1, s[8:9]
	v_lshl_or_b32 v1, v3, 16, v1
	v_cmp_gt_u32_e32 vcc, s74, v2
	v_mov_b32_e32 v21, 0
	v_mov_b32_e32 v22, 0
	;; [unrolled: 1-line block ×19, first 2 shown]
                                        ; implicit-def: $sgpr12_sgpr13
                                        ; implicit-def: $vgpr37
	s_and_saveexec_b64 s[8:9], vcc
	s_cbranch_execz .LBB860_114
; %bb.73:
	ds_read_b128 v[2:5], v38 offset:2
	v_mov_b32_e32 v16, s7
	v_cmp_eq_u16_e32 vcc, 0, v15
	v_add_u32_e32 v14, 2, v40
	s_mov_b64 s[14:15], 0
	s_waitcnt lgkmcnt(0)
	v_cndmask_b32_e32 v16, v16, v2, vcc
	v_cmp_ne_u16_e32 vcc, 0, v15
	v_and_b32_e32 v16, 0xffff, v16
	v_cndmask_b32_e64 v17, 0, 1, vcc
	v_lshl_or_b32 v20, v17, 16, v16
	v_cmp_gt_u32_e32 vcc, s74, v14
	v_mov_b32_e32 v21, 0
	v_mov_b32_e32 v22, 0
	;; [unrolled: 1-line block ×19, first 2 shown]
                                        ; implicit-def: $sgpr12_sgpr13
                                        ; implicit-def: $vgpr37
	s_and_saveexec_b64 s[10:11], vcc
	s_cbranch_execz .LBB860_113
; %bb.74:
	v_mov_b32_e32 v22, 0
	v_lshrrev_b32_e32 v2, 16, v2
	v_mov_b32_e32 v16, s7
	v_cmp_eq_u16_sdwa vcc, v15, v22 src0_sel:WORD_1 src1_sel:DWORD
	v_cndmask_b32_e32 v2, v16, v2, vcc
	v_cmp_ne_u16_sdwa s[12:13], v15, v22 src0_sel:WORD_1 src1_sel:DWORD
	v_add_u32_e32 v14, 3, v40
	v_and_b32_e32 v2, 0xffff, v2
	v_cndmask_b32_e64 v15, 0, 1, s[12:13]
	v_lshl_or_b32 v21, v15, 16, v2
	v_cmp_gt_u32_e32 vcc, s74, v14
	v_mov_b32_e32 v16, 0
	v_mov_b32_e32 v23, 0
	;; [unrolled: 1-line block ×17, first 2 shown]
                                        ; implicit-def: $sgpr16_sgpr17
                                        ; implicit-def: $vgpr37
	s_and_saveexec_b64 s[12:13], vcc
	s_cbranch_execz .LBB860_112
; %bb.75:
	v_mov_b32_e32 v14, s7
	v_cmp_eq_u16_e32 vcc, 0, v12
	v_cndmask_b32_e32 v14, v14, v3, vcc
	v_cmp_ne_u16_e32 vcc, 0, v12
	v_add_u32_e32 v2, 4, v40
	v_and_b32_e32 v14, 0xffff, v14
	v_cndmask_b32_e64 v15, 0, 1, vcc
	v_lshl_or_b32 v22, v15, 16, v14
	v_cmp_gt_u32_e32 vcc, s74, v2
	s_mov_b64 s[18:19], 0
	v_mov_b32_e32 v16, 0
	v_mov_b32_e32 v23, 0
	;; [unrolled: 1-line block ×17, first 2 shown]
                                        ; implicit-def: $sgpr16_sgpr17
                                        ; implicit-def: $vgpr37
	s_and_saveexec_b64 s[14:15], vcc
	s_cbranch_execz .LBB860_111
; %bb.76:
	v_mov_b32_e32 v23, 0
	v_lshrrev_b32_e32 v2, 16, v3
	v_mov_b32_e32 v14, s7
	v_cmp_eq_u16_sdwa vcc, v12, v23 src0_sel:WORD_1 src1_sel:DWORD
	v_cndmask_b32_e32 v2, v14, v2, vcc
	v_cmp_ne_u16_sdwa s[16:17], v12, v23 src0_sel:WORD_1 src1_sel:DWORD
	v_add_u32_e32 v3, 5, v40
	v_and_b32_e32 v2, 0xffff, v2
	v_cndmask_b32_e64 v12, 0, 1, s[16:17]
	v_lshl_or_b32 v16, v12, 16, v2
	v_cmp_gt_u32_e32 vcc, s74, v3
	v_mov_b32_e32 v17, 0
	v_mov_b32_e32 v24, 0
	;; [unrolled: 1-line block ×15, first 2 shown]
                                        ; implicit-def: $sgpr20_sgpr21
                                        ; implicit-def: $vgpr37
	s_and_saveexec_b64 s[16:17], vcc
	s_cbranch_execz .LBB860_110
; %bb.77:
	v_mov_b32_e32 v3, s7
	v_cmp_eq_u16_e32 vcc, 0, v13
	v_cndmask_b32_e32 v3, v3, v4, vcc
	v_cmp_ne_u16_e32 vcc, 0, v13
	v_add_u32_e32 v2, 6, v40
	v_and_b32_e32 v3, 0xffff, v3
	v_cndmask_b32_e64 v12, 0, 1, vcc
	v_lshl_or_b32 v23, v12, 16, v3
	v_cmp_gt_u32_e32 vcc, s74, v2
	s_mov_b64 s[22:23], 0
	v_mov_b32_e32 v17, 0
	v_mov_b32_e32 v24, 0
	v_mov_b32_e32 v25, 0
	v_mov_b32_e32 v26, 0
	v_mov_b32_e32 v27, 0
	v_mov_b32_e32 v28, 0
	v_mov_b32_e32 v29, 0
	v_mov_b32_e32 v30, 0
	v_mov_b32_e32 v31, 0
	v_mov_b32_e32 v32, 0
	v_mov_b32_e32 v33, 0
	v_mov_b32_e32 v18, 0
	v_mov_b32_e32 v34, 0
	v_mov_b32_e32 v19, 0
	v_mov_b32_e32 v35, 0
                                        ; implicit-def: $sgpr20_sgpr21
                                        ; implicit-def: $vgpr37
	s_and_saveexec_b64 s[18:19], vcc
	s_cbranch_execz .LBB860_109
; %bb.78:
	v_mov_b32_e32 v24, 0
	v_lshrrev_b32_e32 v2, 16, v4
	v_mov_b32_e32 v4, s7
	v_cmp_eq_u16_sdwa vcc, v13, v24 src0_sel:WORD_1 src1_sel:DWORD
	v_cndmask_b32_e32 v2, v4, v2, vcc
	v_cmp_ne_u16_sdwa s[20:21], v13, v24 src0_sel:WORD_1 src1_sel:DWORD
	v_add_u32_e32 v3, 7, v40
	v_and_b32_e32 v2, 0xffff, v2
	v_cndmask_b32_e64 v4, 0, 1, s[20:21]
	v_lshl_or_b32 v17, v4, 16, v2
	v_cmp_gt_u32_e32 vcc, s74, v3
	v_mov_b32_e32 v25, 0
	v_mov_b32_e32 v26, 0
	;; [unrolled: 1-line block ×13, first 2 shown]
                                        ; implicit-def: $sgpr24_sgpr25
                                        ; implicit-def: $vgpr37
	s_and_saveexec_b64 s[20:21], vcc
	s_cbranch_execz .LBB860_108
; %bb.79:
	v_mov_b32_e32 v3, s7
	v_cmp_eq_u16_e32 vcc, 0, v10
	v_cndmask_b32_e32 v3, v3, v5, vcc
	v_cmp_ne_u16_e32 vcc, 0, v10
	v_add_u32_e32 v2, 8, v40
	v_and_b32_e32 v3, 0xffff, v3
	v_cndmask_b32_e64 v4, 0, 1, vcc
	v_lshl_or_b32 v24, v4, 16, v3
	v_cmp_gt_u32_e32 vcc, s74, v2
	s_mov_b64 s[26:27], 0
	v_mov_b32_e32 v25, 0
	v_mov_b32_e32 v26, 0
	;; [unrolled: 1-line block ×13, first 2 shown]
                                        ; implicit-def: $sgpr24_sgpr25
                                        ; implicit-def: $vgpr37
	s_and_saveexec_b64 s[22:23], vcc
	s_cbranch_execz .LBB860_107
; %bb.80:
	v_mov_b32_e32 v26, 0
	v_lshrrev_b32_e32 v2, 16, v5
	v_mov_b32_e32 v4, s7
	v_cmp_eq_u16_sdwa vcc, v10, v26 src0_sel:WORD_1 src1_sel:DWORD
	v_cndmask_b32_e32 v2, v4, v2, vcc
	v_cmp_ne_u16_sdwa s[24:25], v10, v26 src0_sel:WORD_1 src1_sel:DWORD
	v_add_u32_e32 v3, 9, v40
	v_and_b32_e32 v2, 0xffff, v2
	v_cndmask_b32_e64 v4, 0, 1, s[24:25]
	v_lshl_or_b32 v25, v4, 16, v2
	v_cmp_gt_u32_e32 vcc, s74, v3
	v_mov_b32_e32 v27, 0
	v_mov_b32_e32 v28, 0
	;; [unrolled: 1-line block ×11, first 2 shown]
                                        ; implicit-def: $sgpr28_sgpr29
                                        ; implicit-def: $vgpr37
	s_and_saveexec_b64 s[24:25], vcc
	s_cbranch_execz .LBB860_106
; %bb.81:
	ds_read_b128 v[2:5], v38 offset:18
	v_mov_b32_e32 v12, s7
	v_cmp_eq_u16_e32 vcc, 0, v11
	v_add_u32_e32 v10, 10, v40
	s_mov_b64 s[30:31], 0
	s_waitcnt lgkmcnt(0)
	v_cndmask_b32_e32 v12, v12, v2, vcc
	v_cmp_ne_u16_e32 vcc, 0, v11
	v_and_b32_e32 v12, 0xffff, v12
	v_cndmask_b32_e64 v13, 0, 1, vcc
	v_lshl_or_b32 v26, v13, 16, v12
	v_cmp_gt_u32_e32 vcc, s74, v10
	v_mov_b32_e32 v27, 0
	v_mov_b32_e32 v28, 0
	;; [unrolled: 1-line block ×11, first 2 shown]
                                        ; implicit-def: $sgpr28_sgpr29
                                        ; implicit-def: $vgpr37
	s_and_saveexec_b64 s[26:27], vcc
	s_cbranch_execz .LBB860_105
; %bb.82:
	v_mov_b32_e32 v28, 0
	v_lshrrev_b32_e32 v2, 16, v2
	v_mov_b32_e32 v12, s7
	v_cmp_eq_u16_sdwa vcc, v11, v28 src0_sel:WORD_1 src1_sel:DWORD
	v_cndmask_b32_e32 v2, v12, v2, vcc
	v_cmp_ne_u16_sdwa s[28:29], v11, v28 src0_sel:WORD_1 src1_sel:DWORD
	v_add_u32_e32 v10, 11, v40
	v_and_b32_e32 v2, 0xffff, v2
	v_cndmask_b32_e64 v11, 0, 1, s[28:29]
	v_lshl_or_b32 v27, v11, 16, v2
	v_cmp_gt_u32_e32 vcc, s74, v10
	v_mov_b32_e32 v29, 0
	v_mov_b32_e32 v30, 0
	;; [unrolled: 1-line block ×9, first 2 shown]
                                        ; implicit-def: $sgpr34_sgpr35
                                        ; implicit-def: $vgpr37
	s_and_saveexec_b64 s[28:29], vcc
	s_cbranch_execz .LBB860_104
; %bb.83:
	v_mov_b32_e32 v10, s7
	v_cmp_eq_u16_e32 vcc, 0, v8
	v_cndmask_b32_e32 v10, v10, v3, vcc
	v_cmp_ne_u16_e32 vcc, 0, v8
	v_add_u32_e32 v2, 12, v40
	v_and_b32_e32 v10, 0xffff, v10
	v_cndmask_b32_e64 v11, 0, 1, vcc
	v_lshl_or_b32 v28, v11, 16, v10
	v_cmp_gt_u32_e32 vcc, s74, v2
	s_mov_b64 s[36:37], 0
	v_mov_b32_e32 v29, 0
	v_mov_b32_e32 v30, 0
	;; [unrolled: 1-line block ×9, first 2 shown]
                                        ; implicit-def: $sgpr34_sgpr35
                                        ; implicit-def: $vgpr37
	s_and_saveexec_b64 s[30:31], vcc
	s_cbranch_execz .LBB860_103
; %bb.84:
	v_mov_b32_e32 v30, 0
	v_lshrrev_b32_e32 v2, 16, v3
	v_mov_b32_e32 v10, s7
	v_cmp_eq_u16_sdwa vcc, v8, v30 src0_sel:WORD_1 src1_sel:DWORD
	v_cndmask_b32_e32 v2, v10, v2, vcc
	v_cmp_ne_u16_sdwa s[34:35], v8, v30 src0_sel:WORD_1 src1_sel:DWORD
	v_add_u32_e32 v3, 13, v40
	v_and_b32_e32 v2, 0xffff, v2
	v_cndmask_b32_e64 v8, 0, 1, s[34:35]
	v_lshl_or_b32 v29, v8, 16, v2
	v_cmp_gt_u32_e32 vcc, s74, v3
	v_mov_b32_e32 v31, 0
	v_mov_b32_e32 v32, 0
	;; [unrolled: 1-line block ×7, first 2 shown]
                                        ; implicit-def: $sgpr38_sgpr39
                                        ; implicit-def: $vgpr37
	s_and_saveexec_b64 s[34:35], vcc
	s_cbranch_execz .LBB860_102
; %bb.85:
	v_mov_b32_e32 v3, s7
	v_cmp_eq_u16_e32 vcc, 0, v9
	v_cndmask_b32_e32 v3, v3, v4, vcc
	v_cmp_ne_u16_e32 vcc, 0, v9
	v_add_u32_e32 v2, 14, v40
	v_and_b32_e32 v3, 0xffff, v3
	v_cndmask_b32_e64 v8, 0, 1, vcc
	v_lshl_or_b32 v30, v8, 16, v3
	v_cmp_gt_u32_e32 vcc, s74, v2
	s_mov_b64 s[40:41], 0
	v_mov_b32_e32 v31, 0
	v_mov_b32_e32 v32, 0
	v_mov_b32_e32 v33, 0
	v_mov_b32_e32 v18, 0
	v_mov_b32_e32 v34, 0
	v_mov_b32_e32 v19, 0
	v_mov_b32_e32 v35, 0
                                        ; implicit-def: $sgpr38_sgpr39
                                        ; implicit-def: $vgpr37
	s_and_saveexec_b64 s[36:37], vcc
	s_cbranch_execz .LBB860_101
; %bb.86:
	v_mov_b32_e32 v32, 0
	v_lshrrev_b32_e32 v2, 16, v4
	v_mov_b32_e32 v4, s7
	v_cmp_eq_u16_sdwa vcc, v9, v32 src0_sel:WORD_1 src1_sel:DWORD
	v_cndmask_b32_e32 v2, v4, v2, vcc
	v_cmp_ne_u16_sdwa s[38:39], v9, v32 src0_sel:WORD_1 src1_sel:DWORD
	v_add_u32_e32 v3, 15, v40
	v_and_b32_e32 v2, 0xffff, v2
	v_cndmask_b32_e64 v4, 0, 1, s[38:39]
	v_lshl_or_b32 v31, v4, 16, v2
	v_cmp_gt_u32_e32 vcc, s74, v3
	v_mov_b32_e32 v33, 0
	v_mov_b32_e32 v18, 0
	;; [unrolled: 1-line block ×5, first 2 shown]
                                        ; implicit-def: $sgpr42_sgpr43
                                        ; implicit-def: $vgpr37
	s_and_saveexec_b64 s[38:39], vcc
	s_cbranch_execz .LBB860_100
; %bb.87:
	v_mov_b32_e32 v3, s7
	v_cmp_eq_u16_e32 vcc, 0, v6
	v_cndmask_b32_e32 v3, v3, v5, vcc
	v_cmp_ne_u16_e32 vcc, 0, v6
	v_add_u32_e32 v2, 16, v40
	v_and_b32_e32 v3, 0xffff, v3
	v_cndmask_b32_e64 v4, 0, 1, vcc
	v_lshl_or_b32 v32, v4, 16, v3
	v_cmp_gt_u32_e32 vcc, s74, v2
	s_mov_b64 s[44:45], 0
	v_mov_b32_e32 v33, 0
	v_mov_b32_e32 v18, 0
	;; [unrolled: 1-line block ×5, first 2 shown]
                                        ; implicit-def: $sgpr42_sgpr43
                                        ; implicit-def: $vgpr37
	s_and_saveexec_b64 s[40:41], vcc
	s_cbranch_execz .LBB860_99
; %bb.88:
	v_mov_b32_e32 v18, 0
	v_lshrrev_b32_e32 v2, 16, v5
	v_mov_b32_e32 v4, s7
	v_cmp_eq_u16_sdwa vcc, v6, v18 src0_sel:WORD_1 src1_sel:DWORD
	v_cndmask_b32_e32 v2, v4, v2, vcc
	v_cmp_ne_u16_sdwa s[42:43], v6, v18 src0_sel:WORD_1 src1_sel:DWORD
	v_add_u32_e32 v3, 17, v40
	v_and_b32_e32 v2, 0xffff, v2
	v_cndmask_b32_e64 v4, 0, 1, s[42:43]
	v_lshl_or_b32 v33, v4, 16, v2
	v_cmp_gt_u32_e32 vcc, s74, v3
	v_mov_b32_e32 v34, 0
	v_mov_b32_e32 v19, 0
	;; [unrolled: 1-line block ×3, first 2 shown]
                                        ; implicit-def: $sgpr46_sgpr47
                                        ; implicit-def: $vgpr37
	s_and_saveexec_b64 s[42:43], vcc
	s_cbranch_execz .LBB860_98
; %bb.89:
	ds_read_b64 v[2:3], v38 offset:34
	v_mov_b32_e32 v5, s7
	v_cmp_eq_u16_e32 vcc, 0, v7
	v_add_u32_e32 v4, 18, v40
	s_mov_b64 s[48:49], 0
	s_waitcnt lgkmcnt(0)
	v_cndmask_b32_e32 v5, v5, v2, vcc
	v_cmp_ne_u16_e32 vcc, 0, v7
	v_and_b32_e32 v5, 0xffff, v5
	v_cndmask_b32_e64 v6, 0, 1, vcc
	v_lshl_or_b32 v18, v6, 16, v5
	v_cmp_gt_u32_e32 vcc, s74, v4
	v_mov_b32_e32 v34, 0
	v_mov_b32_e32 v19, 0
	;; [unrolled: 1-line block ×3, first 2 shown]
                                        ; implicit-def: $sgpr46_sgpr47
                                        ; implicit-def: $vgpr37
	s_and_saveexec_b64 s[44:45], vcc
	s_cbranch_execz .LBB860_97
; %bb.90:
	v_mov_b32_e32 v19, 0
	v_lshrrev_b32_e32 v2, 16, v2
	v_mov_b32_e32 v5, s7
	v_cmp_eq_u16_sdwa vcc, v7, v19 src0_sel:WORD_1 src1_sel:DWORD
	v_cndmask_b32_e32 v2, v5, v2, vcc
	v_cmp_ne_u16_sdwa s[46:47], v7, v19 src0_sel:WORD_1 src1_sel:DWORD
	v_add_u32_e32 v4, 19, v40
	v_and_b32_e32 v2, 0xffff, v2
	v_cndmask_b32_e64 v5, 0, 1, s[46:47]
	v_lshl_or_b32 v34, v5, 16, v2
	v_cmp_gt_u32_e32 vcc, s74, v4
	v_mov_b32_e32 v35, 0
                                        ; implicit-def: $sgpr56_sgpr57
                                        ; implicit-def: $vgpr37
	s_and_saveexec_b64 s[46:47], vcc
	s_cbranch_execz .LBB860_96
; %bb.91:
	v_mov_b32_e32 v4, s7
	v_cmp_eq_u16_e32 vcc, 0, v39
	v_cndmask_b32_e32 v4, v4, v3, vcc
	v_cmp_ne_u16_e32 vcc, 0, v39
	v_add_u32_e32 v2, 20, v40
	v_and_b32_e32 v4, 0xffff, v4
	v_cndmask_b32_e64 v5, 0, 1, vcc
	v_lshl_or_b32 v19, v5, 16, v4
	v_cmp_gt_u32_e32 vcc, s74, v2
	s_mov_b64 s[68:69], 0
	v_mov_b32_e32 v35, 0
                                        ; implicit-def: $sgpr70_sgpr71
                                        ; implicit-def: $vgpr37
	s_and_saveexec_b64 s[48:49], vcc
	s_cbranch_execz .LBB860_95
; %bb.92:
	v_lshrrev_b32_e32 v2, 16, v3
	v_mov_b32_e32 v3, 0
	v_mov_b32_e32 v5, s7
	v_cmp_eq_u16_sdwa vcc, v39, v3 src0_sel:WORD_1 src1_sel:DWORD
	v_cndmask_b32_e32 v2, v5, v2, vcc
	v_cmp_ne_u16_sdwa s[56:57], v39, v3 src0_sel:WORD_1 src1_sel:DWORD
	v_add_u32_e32 v4, 21, v40
	v_and_b32_e32 v2, 0xffff, v2
	v_cndmask_b32_e64 v3, 0, 1, s[56:57]
	v_lshl_or_b32 v35, v3, 16, v2
	v_cmp_gt_u32_e32 vcc, s74, v4
	s_mov_b64 s[56:57], 0
                                        ; implicit-def: $sgpr68_sgpr69
                                        ; implicit-def: $vgpr37
	s_and_saveexec_b64 s[70:71], vcc
	s_xor_b64 s[70:71], exec, s[70:71]
	s_cbranch_execz .LBB860_94
; %bb.93:
	ds_read_u16 v2, v38 offset:42
	v_mov_b32_e32 v3, s7
	v_cmp_ne_u16_e32 vcc, 0, v36
	s_mov_b64 s[56:57], exec
	s_and_b64 s[68:69], vcc, exec
	s_waitcnt lgkmcnt(0)
	v_cndmask_b32_e32 v37, v2, v3, vcc
.LBB860_94:
	s_or_b64 exec, exec, s[70:71]
	s_and_b64 s[70:71], s[68:69], exec
	s_and_b64 s[68:69], s[56:57], exec
.LBB860_95:
	s_or_b64 exec, exec, s[48:49]
	s_and_b64 s[56:57], s[70:71], exec
	s_and_b64 s[48:49], s[68:69], exec
.LBB860_96:
	s_or_b64 exec, exec, s[46:47]
	s_and_b64 s[46:47], s[56:57], exec
	s_and_b64 s[48:49], s[48:49], exec
.LBB860_97:
	s_or_b64 exec, exec, s[44:45]
	s_and_b64 s[46:47], s[46:47], exec
	s_and_b64 s[44:45], s[48:49], exec
.LBB860_98:
	s_or_b64 exec, exec, s[42:43]
	s_and_b64 s[42:43], s[46:47], exec
	s_and_b64 s[44:45], s[44:45], exec
.LBB860_99:
	s_or_b64 exec, exec, s[40:41]
	s_and_b64 s[42:43], s[42:43], exec
	s_and_b64 s[40:41], s[44:45], exec
.LBB860_100:
	s_or_b64 exec, exec, s[38:39]
	s_and_b64 s[38:39], s[42:43], exec
	s_and_b64 s[40:41], s[40:41], exec
.LBB860_101:
	s_or_b64 exec, exec, s[36:37]
	s_and_b64 s[38:39], s[38:39], exec
	s_and_b64 s[36:37], s[40:41], exec
.LBB860_102:
	s_or_b64 exec, exec, s[34:35]
	s_and_b64 s[34:35], s[38:39], exec
	s_and_b64 s[36:37], s[36:37], exec
.LBB860_103:
	s_or_b64 exec, exec, s[30:31]
	s_and_b64 s[34:35], s[34:35], exec
	s_and_b64 s[30:31], s[36:37], exec
.LBB860_104:
	s_or_b64 exec, exec, s[28:29]
	s_and_b64 s[28:29], s[34:35], exec
	s_and_b64 s[30:31], s[30:31], exec
.LBB860_105:
	s_or_b64 exec, exec, s[26:27]
	s_and_b64 s[28:29], s[28:29], exec
	s_and_b64 s[26:27], s[30:31], exec
.LBB860_106:
	s_or_b64 exec, exec, s[24:25]
	s_and_b64 s[24:25], s[28:29], exec
	s_and_b64 s[26:27], s[26:27], exec
.LBB860_107:
	s_or_b64 exec, exec, s[22:23]
	s_and_b64 s[24:25], s[24:25], exec
	s_and_b64 s[22:23], s[26:27], exec
.LBB860_108:
	s_or_b64 exec, exec, s[20:21]
	s_and_b64 s[20:21], s[24:25], exec
	s_and_b64 s[22:23], s[22:23], exec
.LBB860_109:
	s_or_b64 exec, exec, s[18:19]
	s_and_b64 s[20:21], s[20:21], exec
	s_and_b64 s[18:19], s[22:23], exec
.LBB860_110:
	s_or_b64 exec, exec, s[16:17]
	s_and_b64 s[16:17], s[20:21], exec
	s_and_b64 s[18:19], s[18:19], exec
.LBB860_111:
	s_or_b64 exec, exec, s[14:15]
	s_and_b64 s[16:17], s[16:17], exec
	s_and_b64 s[14:15], s[18:19], exec
.LBB860_112:
	s_or_b64 exec, exec, s[12:13]
	s_and_b64 s[12:13], s[16:17], exec
	s_and_b64 s[14:15], s[14:15], exec
.LBB860_113:
	s_or_b64 exec, exec, s[10:11]
	s_and_b64 s[12:13], s[12:13], exec
	s_and_b64 s[10:11], s[14:15], exec
.LBB860_114:
	s_or_b64 exec, exec, s[8:9]
	s_and_b64 s[8:9], s[12:13], exec
	s_and_b64 s[10:11], s[10:11], exec
.LBB860_115:
	s_or_b64 exec, exec, s[4:5]
	s_and_b64 vcc, exec, s[2:3]
	v_lshlrev_b32_e32 v36, 1, v0
	s_cbranch_vccnz .LBB860_117
	s_branch .LBB860_122
.LBB860_116:
	s_mov_b64 s[10:11], 0
                                        ; implicit-def: $sgpr8_sgpr9
                                        ; implicit-def: $vgpr37
                                        ; implicit-def: $vgpr1
                                        ; implicit-def: $vgpr20
                                        ; implicit-def: $vgpr21
                                        ; implicit-def: $vgpr22
                                        ; implicit-def: $vgpr16
                                        ; implicit-def: $vgpr23
                                        ; implicit-def: $vgpr17
                                        ; implicit-def: $vgpr24
                                        ; implicit-def: $vgpr25
                                        ; implicit-def: $vgpr26
                                        ; implicit-def: $vgpr27
                                        ; implicit-def: $vgpr28
                                        ; implicit-def: $vgpr29
                                        ; implicit-def: $vgpr30
                                        ; implicit-def: $vgpr31
                                        ; implicit-def: $vgpr32
                                        ; implicit-def: $vgpr33
                                        ; implicit-def: $vgpr18
                                        ; implicit-def: $vgpr34
                                        ; implicit-def: $vgpr19
                                        ; implicit-def: $vgpr35
                                        ; implicit-def: $sgpr73
	s_and_b64 vcc, exec, s[2:3]
	v_lshlrev_b32_e32 v36, 1, v0
	s_cbranch_vccz .LBB860_122
.LBB860_117:
	v_mov_b32_e32 v1, s67
	v_add_co_u32_e32 v2, vcc, s66, v36
	v_addc_co_u32_e32 v3, vcc, 0, v1, vcc
	v_add_co_u32_e32 v4, vcc, 0x1000, v2
	v_addc_co_u32_e32 v5, vcc, 0, v3, vcc
	flat_load_ushort v1, v[2:3]
	flat_load_ushort v6, v[2:3] offset:512
	flat_load_ushort v7, v[2:3] offset:1024
	flat_load_ushort v8, v[2:3] offset:1536
	flat_load_ushort v9, v[2:3] offset:2048
	flat_load_ushort v10, v[2:3] offset:2560
	flat_load_ushort v11, v[2:3] offset:3072
	flat_load_ushort v12, v[2:3] offset:3584
	v_add_co_u32_e32 v2, vcc, 0x2000, v2
	v_addc_co_u32_e32 v3, vcc, 0, v3, vcc
	flat_load_ushort v13, v[4:5]
	flat_load_ushort v14, v[4:5] offset:512
	flat_load_ushort v15, v[4:5] offset:1024
	;; [unrolled: 1-line block ×7, first 2 shown]
	s_nop 0
	flat_load_ushort v4, v[2:3]
	flat_load_ushort v5, v[2:3] offset:512
	flat_load_ushort v21, v[2:3] offset:1024
	;; [unrolled: 1-line block ×5, first 2 shown]
	v_mov_b32_e32 v2, s66
	v_mov_b32_e32 v3, s67
	v_add_co_u32_e32 v2, vcc, 0x2000, v2
	v_addc_co_u32_e32 v3, vcc, 0, v3, vcc
	s_movk_i32 s2, 0xffd6
	s_movk_i32 s5, 0x1000
	;; [unrolled: 1-line block ×3, first 2 shown]
	s_waitcnt vmcnt(0) lgkmcnt(0)
	ds_write_b16 v36, v1
	ds_write_b16 v36, v6 offset:512
	ds_write_b16 v36, v7 offset:1024
	;; [unrolled: 1-line block ×21, first 2 shown]
	s_waitcnt lgkmcnt(0)
	s_barrier
	flat_load_ushort v37, v[2:3] offset:3072
	v_mad_u32_u24 v1, v0, 42, v36
	v_mad_i32_i24 v2, v0, s2, v1
	s_movk_i32 s2, 0xff
	v_cmp_ne_u32_e32 vcc, s2, v0
	ds_read2_b32 v[20:21], v1 offset1:1
	ds_read2_b32 v[16:17], v1 offset0:2 offset1:3
	ds_read2_b32 v[14:15], v1 offset0:4 offset1:5
	;; [unrolled: 1-line block ×4, first 2 shown]
	ds_read_b32 v35, v1 offset:40
	s_waitcnt lgkmcnt(0)
	ds_write_b16 v2, v20 offset:11776
	s_waitcnt lgkmcnt(0)
	s_barrier
	s_and_saveexec_b64 s[2:3], vcc
	s_cbranch_execz .LBB860_119
; %bb.118:
	s_waitcnt vmcnt(0)
	ds_read_u16 v37, v36 offset:11778
.LBB860_119:
	s_or_b64 exec, exec, s[2:3]
	v_mov_b32_e32 v3, s72
	v_add_co_u32_e32 v2, vcc, s55, v36
	v_addc_co_u32_e32 v3, vcc, 0, v3, vcc
	v_add_co_u32_e32 v4, vcc, s5, v2
	v_addc_co_u32_e32 v5, vcc, 0, v3, vcc
	s_waitcnt lgkmcnt(0)
	s_barrier
	flat_load_ushort v6, v[2:3]
	flat_load_ushort v7, v[2:3] offset:512
	flat_load_ushort v8, v[2:3] offset:1024
	;; [unrolled: 1-line block ×7, first 2 shown]
	v_add_co_u32_e32 v2, vcc, s4, v2
	v_addc_co_u32_e32 v3, vcc, 0, v3, vcc
	flat_load_ushort v24, v[4:5]
	flat_load_ushort v25, v[4:5] offset:512
	flat_load_ushort v26, v[4:5] offset:1024
	;; [unrolled: 1-line block ×7, first 2 shown]
	s_nop 0
	flat_load_ushort v4, v[2:3]
	flat_load_ushort v5, v[2:3] offset:512
	flat_load_ushort v32, v[2:3] offset:1024
	;; [unrolled: 1-line block ×5, first 2 shown]
	v_mov_b32_e32 v39, 0
	v_cmp_eq_u16_sdwa s[4:5], v20, v39 src0_sel:WORD_1 src1_sel:DWORD
	v_mov_b32_e32 v20, 0x10000
	s_waitcnt vmcnt(0) lgkmcnt(0)
	ds_write_b16 v36, v6
	ds_write_b16 v36, v7 offset:512
	ds_write_b16 v36, v8 offset:1024
	;; [unrolled: 1-line block ×21, first 2 shown]
	s_waitcnt lgkmcnt(0)
	s_barrier
	ds_read_b128 v[6:9], v1 offset:2
	ds_read_b128 v[2:5], v1 offset:18
	ds_read_b64 v[18:19], v1 offset:34
	ds_read_u16 v38, v1 offset:42
	v_mov_b32_e32 v22, s7
	s_and_saveexec_b64 s[2:3], s[4:5]
	s_cbranch_execz .LBB860_121
; %bb.120:
	ds_read_u16 v22, v1
	v_mov_b32_e32 v20, 0
.LBB860_121:
	s_or_b64 exec, exec, s[2:3]
	v_mov_b32_e32 v41, s7
	v_cmp_eq_u16_e32 vcc, 0, v21
	s_waitcnt lgkmcnt(3)
	v_lshrrev_b32_e32 v23, 16, v6
	v_cndmask_b32_e32 v6, v41, v6, vcc
	v_cmp_ne_u16_e32 vcc, 0, v21
	s_waitcnt lgkmcnt(0)
	v_or_b32_sdwa v1, v20, v22 dst_sel:DWORD dst_unused:UNUSED_PAD src0_sel:DWORD src1_sel:WORD_0
	v_and_b32_e32 v6, 0xffff, v6
	v_cndmask_b32_e64 v20, 0, 1, vcc
	v_cmp_eq_u16_sdwa vcc, v21, v39 src0_sel:WORD_1 src1_sel:DWORD
	v_lshl_or_b32 v20, v20, 16, v6
	v_cndmask_b32_e32 v6, v41, v23, vcc
	v_cmp_ne_u16_sdwa s[2:3], v21, v39 src0_sel:WORD_1 src1_sel:DWORD
	v_and_b32_e32 v6, 0xffff, v6
	v_cndmask_b32_e64 v21, 0, 1, s[2:3]
	v_cmp_eq_u16_e32 vcc, 0, v16
	v_lshl_or_b32 v21, v21, 16, v6
	v_cndmask_b32_e32 v6, v41, v7, vcc
	v_cmp_ne_u16_e32 vcc, 0, v16
	v_lshrrev_b32_e32 v24, 16, v7
	v_and_b32_e32 v6, 0xffff, v6
	v_cndmask_b32_e64 v7, 0, 1, vcc
	v_cmp_eq_u16_sdwa vcc, v16, v39 src0_sel:WORD_1 src1_sel:DWORD
	v_lshl_or_b32 v22, v7, 16, v6
	v_cndmask_b32_e32 v6, v41, v24, vcc
	v_cmp_ne_u16_sdwa s[2:3], v16, v39 src0_sel:WORD_1 src1_sel:DWORD
	v_and_b32_e32 v6, 0xffff, v6
	v_cndmask_b32_e64 v7, 0, 1, s[2:3]
	v_cmp_eq_u16_e32 vcc, 0, v17
	v_lshl_or_b32 v16, v7, 16, v6
	v_cndmask_b32_e32 v6, v41, v8, vcc
	v_cmp_ne_u16_e32 vcc, 0, v17
	v_lshrrev_b32_e32 v25, 16, v8
	;; [unrolled: 13-line block ×3, first 2 shown]
	v_and_b32_e32 v6, 0xffff, v6
	v_cndmask_b32_e64 v7, 0, 1, vcc
	v_cmp_eq_u16_sdwa vcc, v14, v39 src0_sel:WORD_1 src1_sel:DWORD
	v_lshl_or_b32 v24, v7, 16, v6
	v_cndmask_b32_e32 v6, v41, v26, vcc
	v_cmp_ne_u16_sdwa s[2:3], v14, v39 src0_sel:WORD_1 src1_sel:DWORD
	v_cmp_eq_u16_e32 vcc, 0, v15
	v_lshrrev_b32_e32 v27, 16, v2
	v_and_b32_e32 v6, 0xffff, v6
	v_cndmask_b32_e64 v7, 0, 1, s[2:3]
	v_cndmask_b32_e32 v2, v41, v2, vcc
	v_cmp_ne_u16_e32 vcc, 0, v15
	v_lshl_or_b32 v25, v7, 16, v6
	v_and_b32_e32 v2, 0xffff, v2
	v_cndmask_b32_e64 v6, 0, 1, vcc
	v_cmp_eq_u16_sdwa vcc, v15, v39 src0_sel:WORD_1 src1_sel:DWORD
	v_lshl_or_b32 v26, v6, 16, v2
	v_cndmask_b32_e32 v2, v41, v27, vcc
	v_cmp_ne_u16_sdwa s[2:3], v15, v39 src0_sel:WORD_1 src1_sel:DWORD
	v_and_b32_e32 v2, 0xffff, v2
	v_cndmask_b32_e64 v6, 0, 1, s[2:3]
	v_cmp_eq_u16_e32 vcc, 0, v12
	v_lshl_or_b32 v27, v6, 16, v2
	v_cndmask_b32_e32 v2, v41, v3, vcc
	v_cmp_ne_u16_e32 vcc, 0, v12
	v_lshrrev_b32_e32 v29, 16, v3
	v_and_b32_e32 v2, 0xffff, v2
	v_cndmask_b32_e64 v3, 0, 1, vcc
	v_cmp_eq_u16_sdwa vcc, v12, v39 src0_sel:WORD_1 src1_sel:DWORD
	v_lshl_or_b32 v28, v3, 16, v2
	v_cndmask_b32_e32 v2, v41, v29, vcc
	v_cmp_ne_u16_sdwa s[2:3], v12, v39 src0_sel:WORD_1 src1_sel:DWORD
	v_and_b32_e32 v2, 0xffff, v2
	v_cndmask_b32_e64 v3, 0, 1, s[2:3]
	v_cmp_eq_u16_e32 vcc, 0, v13
	v_lshl_or_b32 v29, v3, 16, v2
	v_cndmask_b32_e32 v2, v41, v4, vcc
	v_cmp_ne_u16_e32 vcc, 0, v13
	v_lshrrev_b32_e32 v31, 16, v4
	;; [unrolled: 13-line block ×5, first 2 shown]
	v_and_b32_e32 v2, 0xffff, v2
	v_cndmask_b32_e64 v3, 0, 1, vcc
	v_cmp_eq_u16_sdwa vcc, v35, v39 src0_sel:WORD_1 src1_sel:DWORD
	v_lshl_or_b32 v19, v3, 16, v2
	v_cndmask_b32_e32 v2, v41, v40, vcc
	v_cmp_ne_u16_sdwa s[2:3], v35, v39 src0_sel:WORD_1 src1_sel:DWORD
	v_and_b32_e32 v2, 0xffff, v2
	v_cndmask_b32_e64 v3, 0, 1, s[2:3]
	v_cmp_ne_u16_e64 s[8:9], 0, v37
	v_lshl_or_b32 v35, v3, 16, v2
	v_cndmask_b32_e64 v37, v38, v41, s[8:9]
	s_mov_b64 s[10:11], -1
                                        ; implicit-def: $sgpr73
.LBB860_122:
	v_mov_b32_e32 v12, s73
	s_and_saveexec_b64 s[2:3], s[10:11]
; %bb.123:
	v_mov_b32_e32 v2, 0x10000
	v_cndmask_b32_e64 v2, 0, v2, s[8:9]
	v_or_b32_sdwa v12, v2, v37 dst_sel:DWORD dst_unused:UNUSED_PAD src0_sel:DWORD src1_sel:WORD_0
; %bb.124:
	s_or_b64 exec, exec, s[2:3]
	v_or3_b32 v2, v12, v35, v19
	s_cmp_lg_u32 s6, 0
	v_or3_b32 v15, v2, v34, v18
	v_lshrrev_b32_e32 v13, 16, v1
	v_lshrrev_b32_e32 v14, 5, v0
	v_cmp_gt_u32_e32 vcc, 64, v0
	s_barrier
	s_cbranch_scc0 .LBB860_205
; %bb.125:
	s_mov_b32 s44, 0x10000
	v_cmp_gt_u32_e64 s[2:3], s44, v20
	v_cndmask_b32_e64 v2, 0, v1, s[2:3]
	v_add_u16_e32 v2, v2, v20
	v_cmp_gt_u32_e64 s[4:5], s44, v21
	v_cndmask_b32_e64 v2, 0, v2, s[4:5]
	v_add_u16_e32 v2, v2, v21
	;; [unrolled: 3-line block ×21, first 2 shown]
	v_or3_b32 v2, v15, v33, v32
	v_or3_b32 v2, v2, v31, v30
	;; [unrolled: 1-line block ×8, first 2 shown]
	v_and_b32_e32 v2, 0x10000, v2
	v_cmp_ne_u32_e64 s[44:45], 0, v2
	v_mov_b32_e32 v5, 0x10000
	v_cndmask_b32_e64 v38, v13, 1, s[44:45]
	v_add_lshl_u32 v2, v14, v0, 2
	ds_write_b16 v2, v37
	ds_write_b8 v2, v38 offset:2
	s_waitcnt lgkmcnt(0)
	s_barrier
	s_and_saveexec_b64 s[46:47], vcc
	s_cbranch_execz .LBB860_139
; %bb.126:
	v_lshlrev_b32_e32 v2, 2, v0
	v_lshrrev_b32_e32 v3, 3, v0
	v_add_lshl_u32 v2, v3, v2, 2
	ds_read_b32 v3, v2
	ds_read_u16 v4, v2 offset:4
	ds_read_u8 v6, v2 offset:6
	ds_read_u16 v7, v2 offset:8
	ds_read_u8 v8, v2 offset:10
	;; [unrolled: 2-line block ×3, first 2 shown]
	v_mov_b32_e32 v11, 0
	s_waitcnt lgkmcnt(4)
	v_cmp_eq_u16_sdwa s[44:45], v6, v11 src0_sel:BYTE_0 src1_sel:DWORD
	v_cndmask_b32_e64 v39, 0, v3, s[44:45]
	v_add_u16_e32 v39, v39, v4
	s_waitcnt lgkmcnt(2)
	v_cmp_eq_u16_sdwa s[44:45], v8, v11 src0_sel:BYTE_0 src1_sel:DWORD
	s_waitcnt lgkmcnt(0)
	v_or_b32_e32 v8, v10, v8
	v_cndmask_b32_e64 v11, 0, v39, s[44:45]
	v_or_b32_e32 v6, v8, v6
	v_add_u16_e32 v7, v11, v7
	v_cmp_eq_u16_e64 s[44:45], 0, v10
	v_and_b32_e32 v6, 1, v6
	v_and_b32_e32 v4, 0x10000, v3
	v_cndmask_b32_e64 v11, 0, v7, s[44:45]
	v_cmp_eq_u32_e64 s[44:45], 1, v6
	v_mbcnt_lo_u32_b32 v6, -1, 0
	v_add_u16_e32 v7, v11, v9
	v_cndmask_b32_e64 v39, v4, v5, s[44:45]
	v_add_u16_e32 v9, v11, v9
	v_and_b32_e32 v5, 0xff000000, v3
	v_mbcnt_hi_u32_b32 v6, -1, v6
	v_or_b32_e32 v10, v39, v5
	v_and_b32_e32 v11, 15, v6
	v_or3_b32 v9, v5, v9, v39
	s_movk_i32 s55, 0xff
	v_lshrrev_b32_e32 v8, 16, v10
	v_mov_b32_dpp v39, v9 row_shr:1 row_mask:0xf bank_mask:0xf
	v_cmp_ne_u32_e64 s[44:45], 0, v11
	s_and_saveexec_b64 s[56:57], s[44:45]
	s_cbranch_execz .LBB860_128
; %bb.127:
	v_and_b32_sdwa v8, v10, s55 dst_sel:DWORD dst_unused:UNUSED_PAD src0_sel:WORD_1 src1_sel:DWORD
	v_cmp_eq_u16_e64 s[44:45], 0, v8
	v_and_b32_e32 v8, 0x10000, v10
	v_mov_b32_e32 v10, 1
	v_cndmask_b32_e64 v9, 0, v39, s[44:45]
	v_and_b32_sdwa v10, v39, v10 dst_sel:DWORD dst_unused:UNUSED_PAD src0_sel:WORD_1 src1_sel:DWORD
	v_cmp_ne_u32_e64 s[44:45], 0, v8
	v_cndmask_b32_e64 v8, v10, 1, s[44:45]
	v_add_u16_e32 v40, v9, v7
	v_lshlrev_b32_e32 v10, 16, v8
	v_add_u16_e32 v7, v9, v7
	v_or3_b32 v9, v10, v7, v5
	v_mov_b32_e32 v7, v40
.LBB860_128:
	s_or_b64 exec, exec, s[56:57]
	v_lshrrev_b32_e32 v10, 16, v9
	v_mov_b32_dpp v39, v9 row_shr:2 row_mask:0xf bank_mask:0xf
	v_cmp_lt_u32_e64 s[44:45], 1, v11
	s_and_saveexec_b64 s[56:57], s[44:45]
	s_cbranch_execz .LBB860_130
; %bb.129:
	v_mov_b32_e32 v8, 0
	v_cmp_eq_u16_sdwa s[44:45], v10, v8 src0_sel:BYTE_0 src1_sel:DWORD
	v_and_b32_e32 v8, 0x10000, v9
	v_mov_b32_e32 v9, 1
	v_cndmask_b32_e64 v10, 0, v39, s[44:45]
	v_and_b32_sdwa v9, v39, v9 dst_sel:DWORD dst_unused:UNUSED_PAD src0_sel:WORD_1 src1_sel:DWORD
	v_cmp_ne_u32_e64 s[44:45], 0, v8
	v_cndmask_b32_e64 v8, v9, 1, s[44:45]
	v_add_u16_e32 v40, v10, v7
	v_lshlrev_b32_e32 v9, 16, v8
	v_add_u16_e32 v7, v10, v7
	v_or3_b32 v9, v9, v7, v5
	v_mov_b32_e32 v10, v8
	v_mov_b32_e32 v7, v40
.LBB860_130:
	s_or_b64 exec, exec, s[56:57]
	v_mov_b32_dpp v39, v9 row_shr:4 row_mask:0xf bank_mask:0xf
	v_cmp_lt_u32_e64 s[44:45], 3, v11
	s_and_saveexec_b64 s[56:57], s[44:45]
	s_cbranch_execz .LBB860_132
; %bb.131:
	v_mov_b32_e32 v8, 0
	v_cmp_eq_u16_sdwa s[44:45], v10, v8 src0_sel:BYTE_0 src1_sel:DWORD
	v_and_b32_e32 v8, 1, v10
	v_mov_b32_e32 v10, 1
	v_cndmask_b32_e64 v9, 0, v39, s[44:45]
	v_and_b32_sdwa v10, v39, v10 dst_sel:DWORD dst_unused:UNUSED_PAD src0_sel:WORD_1 src1_sel:DWORD
	v_cmp_eq_u32_e64 s[44:45], 1, v8
	v_cndmask_b32_e64 v8, v10, 1, s[44:45]
	v_add_u16_e32 v40, v9, v7
	v_lshlrev_b32_e32 v10, 16, v8
	v_add_u16_e32 v7, v9, v7
	v_or3_b32 v9, v10, v7, v5
	v_mov_b32_e32 v10, v8
	v_mov_b32_e32 v7, v40
.LBB860_132:
	s_or_b64 exec, exec, s[56:57]
	v_mov_b32_dpp v39, v9 row_shr:8 row_mask:0xf bank_mask:0xf
	v_cmp_lt_u32_e64 s[44:45], 7, v11
	s_and_saveexec_b64 s[56:57], s[44:45]
	s_cbranch_execz .LBB860_134
; %bb.133:
	v_mov_b32_e32 v8, 0
	v_cmp_eq_u16_sdwa s[44:45], v10, v8 src0_sel:BYTE_0 src1_sel:DWORD
	v_and_b32_e32 v8, 1, v10
	v_mov_b32_e32 v10, 1
	v_cndmask_b32_e64 v9, 0, v39, s[44:45]
	v_and_b32_sdwa v10, v39, v10 dst_sel:DWORD dst_unused:UNUSED_PAD src0_sel:WORD_1 src1_sel:DWORD
	v_cmp_eq_u32_e64 s[44:45], 1, v8
	v_cndmask_b32_e64 v8, v10, 1, s[44:45]
	v_add_u16_e32 v11, v9, v7
	v_lshlrev_b32_e32 v10, 16, v8
	v_add_u16_e32 v7, v9, v7
	v_or3_b32 v9, v10, v7, v5
	v_mov_b32_e32 v10, v8
	v_mov_b32_e32 v7, v11
.LBB860_134:
	s_or_b64 exec, exec, s[56:57]
	v_and_b32_e32 v39, 16, v6
	v_mov_b32_dpp v11, v9 row_bcast:15 row_mask:0xf bank_mask:0xf
	v_cmp_ne_u32_e64 s[44:45], 0, v39
	s_and_saveexec_b64 s[56:57], s[44:45]
	s_cbranch_execz .LBB860_136
; %bb.135:
	v_mov_b32_e32 v8, 0
	v_cmp_eq_u16_sdwa s[44:45], v10, v8 src0_sel:BYTE_0 src1_sel:DWORD
	v_and_b32_e32 v8, 1, v10
	v_mov_b32_e32 v10, 1
	v_cndmask_b32_e64 v9, 0, v11, s[44:45]
	v_and_b32_sdwa v10, v11, v10 dst_sel:DWORD dst_unused:UNUSED_PAD src0_sel:WORD_1 src1_sel:DWORD
	v_cmp_eq_u32_e64 s[44:45], 1, v8
	v_cndmask_b32_e64 v8, v10, 1, s[44:45]
	v_add_u16_e32 v39, v9, v7
	v_lshlrev_b32_e32 v10, 16, v8
	v_add_u16_e32 v7, v9, v7
	v_or3_b32 v9, v10, v7, v5
	v_mov_b32_e32 v10, v8
	v_mov_b32_e32 v7, v39
.LBB860_136:
	s_or_b64 exec, exec, s[56:57]
	v_mov_b32_dpp v9, v9 row_bcast:31 row_mask:0xf bank_mask:0xf
	v_cmp_lt_u32_e64 s[44:45], 31, v6
	s_and_saveexec_b64 s[56:57], s[44:45]
; %bb.137:
	v_mov_b32_e32 v8, 0
	v_cmp_eq_u16_sdwa s[44:45], v10, v8 src0_sel:BYTE_0 src1_sel:DWORD
	v_cndmask_b32_e64 v8, 0, v9, s[44:45]
	v_add_u16_e32 v7, v8, v7
	v_and_b32_e32 v8, 1, v10
	v_mov_b32_e32 v10, 1
	v_and_b32_sdwa v9, v9, v10 dst_sel:DWORD dst_unused:UNUSED_PAD src0_sel:WORD_1 src1_sel:DWORD
	v_cmp_eq_u32_e64 s[44:45], 1, v8
	v_cndmask_b32_e64 v8, v9, 1, s[44:45]
; %bb.138:
	s_or_b64 exec, exec, s[56:57]
	v_and_b32_e32 v8, 0xff, v8
	v_lshlrev_b32_e32 v8, 16, v8
	v_and_b32_e32 v7, 0xffff, v7
	v_or3_b32 v5, v8, v7, v5
	v_add_u32_e32 v7, -1, v6
	v_and_b32_e32 v8, 64, v6
	v_cmp_lt_i32_e64 s[44:45], v7, v8
	v_cndmask_b32_e64 v6, v7, v6, s[44:45]
	v_lshlrev_b32_e32 v6, 2, v6
	ds_bpermute_b32 v5, v6, v5
	v_and_b32_e32 v6, 0xff0000, v3
	v_cmp_eq_u32_e64 s[44:45], 0, v6
	; wave barrier
	s_waitcnt lgkmcnt(0)
	v_cndmask_b32_e64 v6, 0, v5, s[44:45]
	v_add_u16_e32 v3, v6, v3
	v_mov_b32_e32 v6, 1
	v_and_b32_sdwa v5, v5, v6 dst_sel:DWORD dst_unused:UNUSED_PAD src0_sel:WORD_1 src1_sel:DWORD
	v_cmp_eq_u32_e64 s[44:45], 0, v4
	v_cndmask_b32_e64 v4, 1, v5, s[44:45]
	v_cmp_eq_u32_e64 s[44:45], 0, v0
	v_cndmask_b32_e64 v3, v3, v37, s[44:45]
	v_cndmask_b32_e64 v4, v4, v38, s[44:45]
	ds_write_b16 v2, v3
	ds_write_b8 v2, v4 offset:2
	; wave barrier
	ds_read_u16 v5, v2 offset:4
	ds_read_u8 v6, v2 offset:6
	ds_read_u16 v7, v2 offset:8
	ds_read_u8 v8, v2 offset:10
	;; [unrolled: 2-line block ×3, first 2 shown]
	s_waitcnt lgkmcnt(4)
	v_cmp_eq_u16_e64 s[44:45], 0, v6
	v_cndmask_b32_e64 v3, 0, v3, s[44:45]
	v_add_u16_e32 v3, v3, v5
	v_and_b32_e32 v5, 1, v6
	v_cmp_eq_u32_e64 s[44:45], 1, v5
	v_cndmask_b32_e64 v4, v4, 1, s[44:45]
	s_waitcnt lgkmcnt(2)
	v_cmp_eq_u16_e64 s[44:45], 0, v8
	v_and_b32_e32 v5, 1, v8
	ds_write_b16 v2, v3 offset:4
	ds_write_b8 v2, v4 offset:6
	v_cndmask_b32_e64 v3, 0, v3, s[44:45]
	v_cmp_eq_u32_e64 s[44:45], 1, v5
	v_add_u16_e32 v3, v3, v7
	v_cndmask_b32_e64 v4, v4, 1, s[44:45]
	s_waitcnt lgkmcnt(2)
	v_cmp_eq_u16_e64 s[44:45], 0, v10
	ds_write_b16 v2, v3 offset:8
	ds_write_b8 v2, v4 offset:10
	v_cndmask_b32_e64 v3, 0, v3, s[44:45]
	v_and_b32_e32 v5, 1, v10
	v_add_u16_e32 v3, v3, v9
	v_cmp_eq_u32_e64 s[44:45], 1, v5
	v_cndmask_b32_e64 v4, v4, 1, s[44:45]
	ds_write_b16 v2, v3 offset:12
	ds_write_b8 v2, v4 offset:14
.LBB860_139:
	s_or_b64 exec, exec, s[46:47]
	v_cmp_eq_u32_e64 s[44:45], 0, v0
	v_cmp_ne_u32_e64 s[46:47], 0, v0
	s_waitcnt lgkmcnt(0)
	s_barrier
	s_and_saveexec_b64 s[56:57], s[46:47]
	s_cbranch_execz .LBB860_141
; %bb.140:
	v_add_u32_e32 v2, -1, v0
	v_lshrrev_b32_e32 v3, 5, v2
	v_add_lshl_u32 v2, v3, v2, 2
	ds_read_u16 v37, v2
	ds_read_u8 v38, v2 offset:2
.LBB860_141:
	s_or_b64 exec, exec, s[56:57]
	s_and_saveexec_b64 s[56:57], vcc
	s_cbranch_execz .LBB860_184
; %bb.142:
	v_mov_b32_e32 v9, 0
	ds_read_b32 v2, v9 offset:1048
	v_mbcnt_lo_u32_b32 v3, -1, 0
	v_mbcnt_hi_u32_b32 v5, -1, v3
	s_mov_b32 s69, 0
	v_cmp_eq_u32_e64 s[46:47], 0, v5
	s_and_saveexec_b64 s[66:67], s[46:47]
	s_cbranch_execz .LBB860_144
; %bb.143:
	s_add_i32 s68, s6, 64
	s_lshl_b64 s[68:69], s[68:69], 3
	s_add_u32 s68, s52, s68
	v_mov_b32_e32 v3, 1
	s_addc_u32 s69, s53, s69
	s_waitcnt lgkmcnt(0)
	global_store_dwordx2 v9, v[2:3], s[68:69]
.LBB860_144:
	s_or_b64 exec, exec, s[66:67]
	v_xad_u32 v4, v5, -1, s6
	v_add_u32_e32 v8, 64, v4
	v_lshlrev_b64 v[6:7], 3, v[8:9]
	v_mov_b32_e32 v3, s53
	v_add_co_u32_e32 v10, vcc, s52, v6
	v_addc_co_u32_e32 v11, vcc, v3, v7, vcc
	global_load_dwordx2 v[6:7], v[10:11], off glc
	s_waitcnt vmcnt(0)
	v_cmp_eq_u16_sdwa s[68:69], v7, v9 src0_sel:BYTE_0 src1_sel:DWORD
	s_and_saveexec_b64 s[66:67], s[68:69]
	s_cbranch_execz .LBB860_148
; %bb.145:
	s_mov_b64 s[68:69], 0
	v_mov_b32_e32 v3, 0
.LBB860_146:                            ; =>This Inner Loop Header: Depth=1
	global_load_dwordx2 v[6:7], v[10:11], off glc
	s_waitcnt vmcnt(0)
	v_cmp_ne_u16_sdwa s[70:71], v7, v3 src0_sel:BYTE_0 src1_sel:DWORD
	s_or_b64 s[68:69], s[70:71], s[68:69]
	s_andn2_b64 exec, exec, s[68:69]
	s_cbranch_execnz .LBB860_146
; %bb.147:
	s_or_b64 exec, exec, s[68:69]
.LBB860_148:
	s_or_b64 exec, exec, s[66:67]
	v_mov_b32_e32 v3, 2
	v_cmp_eq_u16_sdwa s[66:67], v7, v3 src0_sel:BYTE_0 src1_sel:DWORD
	v_lshlrev_b64 v[8:9], v5, -1
	v_and_b32_e32 v3, s67, v9
	v_or_b32_e32 v3, 0x80000000, v3
	v_ffbl_b32_e32 v3, v3
	v_add_u32_e32 v11, 32, v3
	v_and_b32_e32 v3, 63, v5
	v_cmp_ne_u32_e32 vcc, 63, v3
	v_addc_co_u32_e32 v39, vcc, 0, v5, vcc
	v_and_b32_e32 v50, 0xffffff, v6
	v_lshlrev_b32_e32 v39, 2, v39
	ds_bpermute_b32 v40, v39, v50
	v_and_b32_e32 v10, s66, v8
	v_ffbl_b32_e32 v10, v10
	v_min_u32_e32 v11, v10, v11
	v_lshrrev_b32_e32 v10, 16, v6
	v_cmp_lt_u32_e32 vcc, v3, v11
	v_bfe_u32 v48, v6, 16, 8
	s_and_saveexec_b64 s[66:67], vcc
	s_cbranch_execz .LBB860_150
; %bb.149:
	v_and_b32_e32 v10, 0xff0000, v6
	v_cmp_eq_u32_e32 vcc, 0, v10
	v_and_b32_e32 v10, 0x10000, v10
	v_mov_b32_e32 v43, 1
	s_waitcnt lgkmcnt(0)
	v_cndmask_b32_e32 v41, 0, v40, vcc
	v_and_b32_sdwa v40, v40, v43 dst_sel:DWORD dst_unused:UNUSED_PAD src0_sel:WORD_1 src1_sel:DWORD
	v_cmp_ne_u32_e32 vcc, 0, v10
	v_cndmask_b32_e64 v10, v40, 1, vcc
	v_add_u16_e32 v42, v41, v6
	v_lshlrev_b32_e32 v40, 16, v10
	v_add_u16_e32 v6, v41, v6
	v_or_b32_e32 v50, v40, v6
	v_mov_b32_e32 v6, v42
	v_mov_b32_e32 v48, v10
.LBB860_150:
	s_or_b64 exec, exec, s[66:67]
	v_cmp_gt_u32_e32 vcc, 62, v3
	s_waitcnt lgkmcnt(0)
	v_cndmask_b32_e64 v40, 0, 1, vcc
	v_lshlrev_b32_e32 v40, 1, v40
	v_add_lshl_u32 v40, v40, v5, 2
	ds_bpermute_b32 v42, v40, v50
	v_add_u32_e32 v41, 2, v3
	v_cmp_le_u32_e32 vcc, v41, v11
	s_and_saveexec_b64 s[66:67], vcc
	s_cbranch_execz .LBB860_152
; %bb.151:
	v_cmp_eq_u16_e32 vcc, 0, v48
	v_and_b32_e32 v10, 1, v48
	v_mov_b32_e32 v45, 1
	s_waitcnt lgkmcnt(0)
	v_cndmask_b32_e32 v43, 0, v42, vcc
	v_and_b32_sdwa v42, v42, v45 dst_sel:DWORD dst_unused:UNUSED_PAD src0_sel:WORD_1 src1_sel:DWORD
	v_cmp_eq_u32_e32 vcc, 1, v10
	v_cndmask_b32_e64 v10, v42, 1, vcc
	v_add_u16_e32 v44, v43, v6
	v_lshlrev_b32_e32 v42, 16, v10
	v_add_u16_e32 v6, v43, v6
	v_or_b32_e32 v50, v42, v6
	v_mov_b32_e32 v6, v44
	v_mov_b32_e32 v48, v10
.LBB860_152:
	s_or_b64 exec, exec, s[66:67]
	v_cmp_gt_u32_e32 vcc, 60, v3
	s_waitcnt lgkmcnt(0)
	v_cndmask_b32_e64 v42, 0, 1, vcc
	v_lshlrev_b32_e32 v42, 2, v42
	v_add_lshl_u32 v42, v42, v5, 2
	ds_bpermute_b32 v44, v42, v50
	v_add_u32_e32 v43, 4, v3
	v_cmp_le_u32_e32 vcc, v43, v11
	s_and_saveexec_b64 s[66:67], vcc
	s_cbranch_execz .LBB860_154
; %bb.153:
	v_cmp_eq_u16_e32 vcc, 0, v48
	v_and_b32_e32 v10, 1, v48
	v_mov_b32_e32 v47, 1
	s_waitcnt lgkmcnt(0)
	v_cndmask_b32_e32 v45, 0, v44, vcc
	v_and_b32_sdwa v44, v44, v47 dst_sel:DWORD dst_unused:UNUSED_PAD src0_sel:WORD_1 src1_sel:DWORD
	v_cmp_eq_u32_e32 vcc, 1, v10
	v_cndmask_b32_e64 v10, v44, 1, vcc
	v_add_u16_e32 v46, v45, v6
	v_lshlrev_b32_e32 v44, 16, v10
	v_add_u16_e32 v6, v45, v6
	v_or_b32_e32 v50, v44, v6
	v_mov_b32_e32 v6, v46
	v_mov_b32_e32 v48, v10
.LBB860_154:
	;; [unrolled: 27-line block ×4, first 2 shown]
	s_or_b64 exec, exec, s[66:67]
	v_cmp_gt_u32_e32 vcc, 32, v3
	s_waitcnt lgkmcnt(0)
	v_cndmask_b32_e64 v49, 0, 1, vcc
	v_lshlrev_b32_e32 v49, 5, v49
	v_add_lshl_u32 v49, v49, v5, 2
	ds_bpermute_b32 v5, v49, v50
	v_add_u32_e32 v50, 32, v3
	v_cmp_le_u32_e32 vcc, v50, v11
	s_and_saveexec_b64 s[66:67], vcc
	s_cbranch_execz .LBB860_160
; %bb.159:
	v_cmp_eq_u16_e32 vcc, 0, v48
	s_waitcnt lgkmcnt(0)
	v_cndmask_b32_e32 v10, 0, v5, vcc
	v_add_u16_e32 v6, v10, v6
	v_and_b32_e32 v10, 1, v48
	v_mov_b32_e32 v11, 1
	v_and_b32_sdwa v5, v5, v11 dst_sel:DWORD dst_unused:UNUSED_PAD src0_sel:WORD_1 src1_sel:DWORD
	v_cmp_eq_u32_e32 vcc, 1, v10
	v_cndmask_b32_e64 v10, v5, 1, vcc
.LBB860_160:
	s_or_b64 exec, exec, s[66:67]
	s_waitcnt lgkmcnt(0)
	v_mov_b32_e32 v5, 0
	v_mov_b32_e32 v52, 2
	;; [unrolled: 1-line block ×3, first 2 shown]
	s_branch .LBB860_162
.LBB860_161:                            ;   in Loop: Header=BB860_162 Depth=1
	s_or_b64 exec, exec, s[66:67]
	v_cmp_eq_u16_sdwa vcc, v48, v5 src0_sel:BYTE_0 src1_sel:DWORD
	v_and_b32_e32 v10, 1, v48
	v_cndmask_b32_e32 v6, 0, v6, vcc
	v_and_b32_e32 v11, 1, v11
	v_cmp_eq_u32_e32 vcc, 1, v10
	v_subrev_u32_e32 v4, 64, v4
	v_add_u16_e32 v6, v6, v51
	v_cndmask_b32_e64 v10, v11, 1, vcc
.LBB860_162:                            ; =>This Loop Header: Depth=1
                                        ;     Child Loop BB860_165 Depth 2
	v_cmp_ne_u16_sdwa s[66:67], v7, v52 src0_sel:BYTE_0 src1_sel:DWORD
	v_cndmask_b32_e64 v7, 0, 1, s[66:67]
	;;#ASMSTART
	;;#ASMEND
	v_cmp_ne_u32_e32 vcc, 0, v7
	v_mov_b32_e32 v48, v10
	s_cmp_lg_u64 vcc, exec
	v_mov_b32_e32 v51, v6
	s_cbranch_scc1 .LBB860_179
; %bb.163:                              ;   in Loop: Header=BB860_162 Depth=1
	v_lshlrev_b64 v[6:7], 3, v[4:5]
	v_mov_b32_e32 v11, s53
	v_add_co_u32_e32 v10, vcc, s52, v6
	v_addc_co_u32_e32 v11, vcc, v11, v7, vcc
	global_load_dwordx2 v[6:7], v[10:11], off glc
	s_waitcnt vmcnt(0)
	v_cmp_eq_u16_sdwa s[68:69], v7, v5 src0_sel:BYTE_0 src1_sel:DWORD
	s_and_saveexec_b64 s[66:67], s[68:69]
	s_cbranch_execz .LBB860_167
; %bb.164:                              ;   in Loop: Header=BB860_162 Depth=1
	s_mov_b64 s[68:69], 0
.LBB860_165:                            ;   Parent Loop BB860_162 Depth=1
                                        ; =>  This Inner Loop Header: Depth=2
	global_load_dwordx2 v[6:7], v[10:11], off glc
	s_waitcnt vmcnt(0)
	v_cmp_ne_u16_sdwa s[70:71], v7, v5 src0_sel:BYTE_0 src1_sel:DWORD
	s_or_b64 s[68:69], s[70:71], s[68:69]
	s_andn2_b64 exec, exec, s[68:69]
	s_cbranch_execnz .LBB860_165
; %bb.166:                              ;   in Loop: Header=BB860_162 Depth=1
	s_or_b64 exec, exec, s[68:69]
.LBB860_167:                            ;   in Loop: Header=BB860_162 Depth=1
	s_or_b64 exec, exec, s[66:67]
	v_cmp_eq_u16_sdwa s[66:67], v7, v52 src0_sel:BYTE_0 src1_sel:DWORD
	v_and_b32_e32 v10, s67, v9
	s_waitcnt lgkmcnt(0)
	v_and_b32_e32 v55, 0xffffff, v6
	v_or_b32_e32 v10, 0x80000000, v10
	ds_bpermute_b32 v56, v39, v55
	v_and_b32_e32 v11, s66, v8
	v_ffbl_b32_e32 v10, v10
	v_add_u32_e32 v10, 32, v10
	v_ffbl_b32_e32 v11, v11
	v_min_u32_e32 v10, v11, v10
	v_lshrrev_b32_e32 v11, 16, v6
	v_cmp_lt_u32_e32 vcc, v3, v10
	v_bfe_u32 v54, v6, 16, 8
	s_and_saveexec_b64 s[66:67], vcc
	s_cbranch_execz .LBB860_169
; %bb.168:                              ;   in Loop: Header=BB860_162 Depth=1
	v_and_b32_e32 v11, 0xff0000, v6
	v_cmp_eq_u32_e32 vcc, 0, v11
	v_and_b32_e32 v11, 0x10000, v11
	s_waitcnt lgkmcnt(0)
	v_cndmask_b32_e32 v54, 0, v56, vcc
	v_and_b32_sdwa v55, v56, v53 dst_sel:DWORD dst_unused:UNUSED_PAD src0_sel:WORD_1 src1_sel:DWORD
	v_cmp_ne_u32_e32 vcc, 0, v11
	v_cndmask_b32_e64 v11, v55, 1, vcc
	v_add_u16_e32 v57, v54, v6
	v_lshlrev_b32_e32 v55, 16, v11
	v_add_u16_e32 v6, v54, v6
	v_or_b32_e32 v55, v55, v6
	v_mov_b32_e32 v6, v57
	v_mov_b32_e32 v54, v11
.LBB860_169:                            ;   in Loop: Header=BB860_162 Depth=1
	s_or_b64 exec, exec, s[66:67]
	s_waitcnt lgkmcnt(0)
	ds_bpermute_b32 v56, v40, v55
	v_cmp_le_u32_e32 vcc, v41, v10
	s_and_saveexec_b64 s[66:67], vcc
	s_cbranch_execz .LBB860_171
; %bb.170:                              ;   in Loop: Header=BB860_162 Depth=1
	v_cmp_eq_u16_e32 vcc, 0, v54
	v_and_b32_e32 v11, 1, v54
	s_waitcnt lgkmcnt(0)
	v_cndmask_b32_e32 v55, 0, v56, vcc
	v_and_b32_sdwa v54, v56, v53 dst_sel:DWORD dst_unused:UNUSED_PAD src0_sel:WORD_1 src1_sel:DWORD
	v_cmp_eq_u32_e32 vcc, 1, v11
	v_cndmask_b32_e64 v11, v54, 1, vcc
	v_add_u16_e32 v57, v55, v6
	v_lshlrev_b32_e32 v54, 16, v11
	v_add_u16_e32 v6, v55, v6
	v_or_b32_e32 v55, v54, v6
	v_mov_b32_e32 v6, v57
	v_mov_b32_e32 v54, v11
.LBB860_171:                            ;   in Loop: Header=BB860_162 Depth=1
	s_or_b64 exec, exec, s[66:67]
	s_waitcnt lgkmcnt(0)
	ds_bpermute_b32 v56, v42, v55
	v_cmp_le_u32_e32 vcc, v43, v10
	s_and_saveexec_b64 s[66:67], vcc
	s_cbranch_execz .LBB860_173
; %bb.172:                              ;   in Loop: Header=BB860_162 Depth=1
	v_cmp_eq_u16_e32 vcc, 0, v54
	v_and_b32_e32 v11, 1, v54
	s_waitcnt lgkmcnt(0)
	v_cndmask_b32_e32 v55, 0, v56, vcc
	v_and_b32_sdwa v54, v56, v53 dst_sel:DWORD dst_unused:UNUSED_PAD src0_sel:WORD_1 src1_sel:DWORD
	v_cmp_eq_u32_e32 vcc, 1, v11
	v_cndmask_b32_e64 v11, v54, 1, vcc
	v_add_u16_e32 v57, v55, v6
	v_lshlrev_b32_e32 v54, 16, v11
	v_add_u16_e32 v6, v55, v6
	v_or_b32_e32 v55, v54, v6
	v_mov_b32_e32 v6, v57
	v_mov_b32_e32 v54, v11
.LBB860_173:                            ;   in Loop: Header=BB860_162 Depth=1
	;; [unrolled: 21-line block ×4, first 2 shown]
	s_or_b64 exec, exec, s[66:67]
	ds_bpermute_b32 v55, v49, v55
	v_cmp_le_u32_e32 vcc, v50, v10
	s_and_saveexec_b64 s[66:67], vcc
	s_cbranch_execz .LBB860_161
; %bb.178:                              ;   in Loop: Header=BB860_162 Depth=1
	v_cmp_eq_u16_e32 vcc, 0, v54
	s_waitcnt lgkmcnt(0)
	v_cndmask_b32_e32 v10, 0, v55, vcc
	v_add_u16_e32 v6, v10, v6
	v_and_b32_e32 v10, 1, v54
	v_lshrrev_b32_e32 v11, 16, v55
	v_cmp_eq_u32_e32 vcc, 1, v10
	v_cndmask_b32_e64 v11, v11, 1, vcc
	s_branch .LBB860_161
.LBB860_179:                            ;   in Loop: Header=BB860_162 Depth=1
                                        ; implicit-def: $vgpr10
                                        ; implicit-def: $vgpr6
	s_cbranch_execz .LBB860_162
; %bb.180:
	s_and_saveexec_b64 s[66:67], s[46:47]
	s_cbranch_execz .LBB860_182
; %bb.181:
	v_and_b32_e32 v3, 0xff0000, v2
	s_mov_b32 s47, 0
	v_cmp_eq_u32_e32 vcc, 0, v3
	v_and_b32_e32 v4, 0x10000, v2
	v_mov_b32_e32 v5, 1
	s_add_i32 s46, s6, 64
	v_cndmask_b32_e32 v3, 0, v51, vcc
	v_and_b32_sdwa v5, v48, v5 dst_sel:WORD_1 dst_unused:UNUSED_PAD src0_sel:DWORD src1_sel:DWORD
	v_mov_b32_e32 v6, 0x10000
	v_cmp_eq_u32_e32 vcc, 0, v4
	s_lshl_b64 s[46:47], s[46:47], 3
	v_cndmask_b32_e32 v4, v6, v5, vcc
	s_add_u32 s46, s52, s46
	v_add_u16_e32 v2, v3, v2
	s_addc_u32 s47, s53, s47
	v_mov_b32_e32 v5, 0
	v_or_b32_e32 v2, v4, v2
	v_mov_b32_e32 v3, 2
	global_store_dwordx2 v5, v[2:3], s[46:47]
.LBB860_182:
	s_or_b64 exec, exec, s[66:67]
	s_and_b64 exec, exec, s[44:45]
	s_cbranch_execz .LBB860_184
; %bb.183:
	v_mov_b32_e32 v2, 0
	ds_write_b16 v2, v51
	ds_write_b8 v2, v48 offset:2
.LBB860_184:
	s_or_b64 exec, exec, s[56:57]
	v_mov_b32_e32 v2, 0
	s_waitcnt lgkmcnt(0)
	s_barrier
	ds_read_b32 v3, v2
	v_cmp_eq_u16_sdwa vcc, v38, v2 src0_sel:BYTE_0 src1_sel:DWORD
	s_waitcnt lgkmcnt(0)
	v_cndmask_b32_e32 v2, 0, v3, vcc
	v_add_u16_e32 v2, v2, v37
	v_cndmask_b32_e64 v4, v2, v3, s[44:45]
	v_and_b32_e32 v2, 0xff0000, v1
	v_cmp_eq_u32_e32 vcc, 0, v2
	v_cndmask_b32_e32 v2, 0, v4, vcc
	v_add_u16_e32 v5, v2, v1
	v_cndmask_b32_e64 v2, 0, v5, s[2:3]
	v_add_u16_e32 v6, v2, v20
	v_cndmask_b32_e64 v2, 0, v6, s[4:5]
	;; [unrolled: 2-line block ×20, first 2 shown]
	v_add_u16_e32 v50, v2, v35
	s_branch .LBB860_227
.LBB860_185:
	s_or_b64 exec, exec, s[48:49]
                                        ; implicit-def: $vgpr27
	s_and_saveexec_b64 s[48:49], s[2:3]
	s_cbranch_execz .LBB860_49
.LBB860_186:
	v_mov_b32_e32 v27, s72
	v_add_co_u32_e32 v28, vcc, s55, v20
	v_addc_co_u32_e32 v29, vcc, 0, v27, vcc
	flat_load_ushort v27, v[28:29] offset:512
	s_or_b64 exec, exec, s[48:49]
                                        ; implicit-def: $vgpr28
	s_and_saveexec_b64 s[2:3], s[4:5]
	s_cbranch_execnz .LBB860_50
.LBB860_187:
	s_or_b64 exec, exec, s[2:3]
                                        ; implicit-def: $vgpr29
	s_and_saveexec_b64 s[2:3], s[46:47]
	s_cbranch_execz .LBB860_51
.LBB860_188:
	v_mov_b32_e32 v29, s72
	v_add_co_u32_e32 v30, vcc, s55, v20
	v_addc_co_u32_e32 v31, vcc, 0, v29, vcc
	flat_load_ushort v29, v[30:31] offset:1536
	s_or_b64 exec, exec, s[2:3]
                                        ; implicit-def: $vgpr30
	s_and_saveexec_b64 s[2:3], s[8:9]
	s_cbranch_execnz .LBB860_52
.LBB860_189:
	s_or_b64 exec, exec, s[2:3]
                                        ; implicit-def: $vgpr31
	s_and_saveexec_b64 s[2:3], s[10:11]
	s_cbranch_execz .LBB860_53
.LBB860_190:
	v_mov_b32_e32 v31, s72
	v_add_co_u32_e32 v32, vcc, s55, v20
	v_addc_co_u32_e32 v33, vcc, 0, v31, vcc
	flat_load_ushort v31, v[32:33] offset:2560
	s_or_b64 exec, exec, s[2:3]
                                        ; implicit-def: $vgpr32
	s_and_saveexec_b64 s[2:3], s[12:13]
	s_cbranch_execnz .LBB860_54
.LBB860_191:
	s_or_b64 exec, exec, s[2:3]
                                        ; implicit-def: $vgpr33
	s_and_saveexec_b64 s[2:3], s[14:15]
	s_cbranch_execz .LBB860_55
.LBB860_192:
	v_mov_b32_e32 v33, s72
	v_add_co_u32_e32 v34, vcc, s55, v20
	v_addc_co_u32_e32 v35, vcc, 0, v33, vcc
	flat_load_ushort v33, v[34:35] offset:3584
	s_or_b64 exec, exec, s[2:3]
                                        ; implicit-def: $vgpr34
	s_and_saveexec_b64 s[2:3], s[16:17]
	s_cbranch_execnz .LBB860_56
.LBB860_193:
	s_or_b64 exec, exec, s[2:3]
                                        ; implicit-def: $vgpr1
	s_and_saveexec_b64 s[2:3], s[18:19]
	s_cbranch_execz .LBB860_57
.LBB860_194:
	v_mov_b32_e32 v1, s72
	v_add_co_u32_e32 v40, vcc, s55, v2
	v_addc_co_u32_e32 v41, vcc, 0, v1, vcc
	flat_load_ushort v1, v[40:41]
	s_or_b64 exec, exec, s[2:3]
                                        ; implicit-def: $vgpr2
	s_and_saveexec_b64 s[2:3], s[20:21]
	s_cbranch_execnz .LBB860_58
.LBB860_195:
	s_or_b64 exec, exec, s[2:3]
                                        ; implicit-def: $vgpr3
	s_and_saveexec_b64 s[2:3], s[22:23]
	s_cbranch_execz .LBB860_59
.LBB860_196:
	v_mov_b32_e32 v3, s72
	v_add_co_u32_e32 v40, vcc, s55, v4
	v_addc_co_u32_e32 v41, vcc, 0, v3, vcc
	flat_load_ushort v3, v[40:41]
	s_or_b64 exec, exec, s[2:3]
                                        ; implicit-def: $vgpr4
	s_and_saveexec_b64 s[2:3], s[24:25]
	s_cbranch_execnz .LBB860_60
.LBB860_197:
	s_or_b64 exec, exec, s[2:3]
                                        ; implicit-def: $vgpr5
	s_and_saveexec_b64 s[2:3], s[26:27]
	s_cbranch_execz .LBB860_61
.LBB860_198:
	v_mov_b32_e32 v5, s72
	v_add_co_u32_e32 v40, vcc, s55, v16
	v_addc_co_u32_e32 v41, vcc, 0, v5, vcc
	flat_load_ushort v5, v[40:41]
	s_or_b64 exec, exec, s[2:3]
                                        ; implicit-def: $vgpr16
	s_and_saveexec_b64 s[2:3], s[28:29]
	s_cbranch_execnz .LBB860_62
.LBB860_199:
	s_or_b64 exec, exec, s[2:3]
                                        ; implicit-def: $vgpr17
	s_and_saveexec_b64 s[2:3], s[30:31]
	s_cbranch_execz .LBB860_63
.LBB860_200:
	v_mov_b32_e32 v17, s72
	v_add_co_u32_e32 v40, vcc, s55, v18
	v_addc_co_u32_e32 v41, vcc, 0, v17, vcc
	flat_load_ushort v17, v[40:41]
	s_or_b64 exec, exec, s[2:3]
                                        ; implicit-def: $vgpr18
	s_and_saveexec_b64 s[2:3], s[34:35]
	s_cbranch_execnz .LBB860_64
.LBB860_201:
	s_or_b64 exec, exec, s[2:3]
                                        ; implicit-def: $vgpr19
	s_and_saveexec_b64 s[2:3], s[36:37]
	s_cbranch_execz .LBB860_65
.LBB860_202:
	v_mov_b32_e32 v19, s72
	v_add_co_u32_e32 v40, vcc, s55, v21
	v_addc_co_u32_e32 v41, vcc, 0, v19, vcc
	flat_load_ushort v19, v[40:41]
	s_or_b64 exec, exec, s[2:3]
                                        ; implicit-def: $vgpr21
	s_and_saveexec_b64 s[2:3], s[38:39]
	s_cbranch_execnz .LBB860_66
.LBB860_203:
	s_or_b64 exec, exec, s[2:3]
                                        ; implicit-def: $vgpr22
	s_and_saveexec_b64 s[2:3], s[40:41]
	s_cbranch_execz .LBB860_67
.LBB860_204:
	v_mov_b32_e32 v35, s72
	v_add_co_u32_e32 v22, vcc, s55, v23
	v_addc_co_u32_e32 v23, vcc, 0, v35, vcc
	flat_load_ushort v22, v[22:23]
	s_or_b64 exec, exec, s[2:3]
                                        ; implicit-def: $vgpr23
	s_and_saveexec_b64 s[2:3], s[42:43]
	s_cbranch_execz .LBB860_69
	s_branch .LBB860_68
.LBB860_205:
                                        ; implicit-def: $vgpr4
                                        ; implicit-def: $vgpr5
                                        ; implicit-def: $vgpr6
                                        ; implicit-def: $vgpr7
                                        ; implicit-def: $vgpr8
                                        ; implicit-def: $vgpr9
                                        ; implicit-def: $vgpr10
                                        ; implicit-def: $vgpr11
                                        ; implicit-def: $vgpr37
                                        ; implicit-def: $vgpr38
                                        ; implicit-def: $vgpr39
                                        ; implicit-def: $vgpr40
                                        ; implicit-def: $vgpr41
                                        ; implicit-def: $vgpr42
                                        ; implicit-def: $vgpr43
                                        ; implicit-def: $vgpr44
                                        ; implicit-def: $vgpr45
                                        ; implicit-def: $vgpr46
                                        ; implicit-def: $vgpr47
                                        ; implicit-def: $vgpr48
                                        ; implicit-def: $vgpr49
                                        ; implicit-def: $vgpr50
	s_cbranch_execz .LBB860_227
; %bb.206:
	s_cmp_lg_u64 s[64:65], 0
	s_cselect_b32 s3, s59, 0
	s_cselect_b32 s2, s58, 0
	s_cmp_eq_u64 s[2:3], 0
	v_mov_b32_e32 v2, s7
	s_cbranch_scc1 .LBB860_208
; %bb.207:
	v_mov_b32_e32 v2, 0
	global_load_ushort v2, v2, s[2:3]
.LBB860_208:
	s_mov_b32 s42, 0x10000
	v_cmp_gt_u32_e32 vcc, s42, v20
	v_cndmask_b32_e32 v3, 0, v1, vcc
	v_add_u16_e32 v3, v3, v20
	v_cmp_gt_u32_e64 s[2:3], s42, v21
	v_cndmask_b32_e64 v3, 0, v3, s[2:3]
	v_add_u16_e32 v3, v3, v21
	v_cmp_gt_u32_e64 s[4:5], s42, v22
	v_cndmask_b32_e64 v3, 0, v3, s[4:5]
	;; [unrolled: 3-line block ×20, first 2 shown]
	v_add_u16_e32 v4, v3, v12
	v_or3_b32 v3, v15, v33, v32
	v_or3_b32 v3, v3, v31, v30
	;; [unrolled: 1-line block ×8, first 2 shown]
	v_and_b32_e32 v3, 0x10000, v3
	v_cmp_ne_u32_e64 s[42:43], 0, v3
	v_mov_b32_e32 v8, 0x10000
	v_cndmask_b32_e64 v5, v13, 1, s[42:43]
	v_add_lshl_u32 v3, v14, v0, 2
	v_cmp_gt_u32_e64 s[42:43], 64, v0
	ds_write_b16 v3, v4
	ds_write_b8 v3, v5 offset:2
	s_waitcnt lgkmcnt(0)
	s_barrier
	s_and_saveexec_b64 s[44:45], s[42:43]
	s_cbranch_execz .LBB860_222
; %bb.209:
	v_lshlrev_b32_e32 v3, 2, v0
	v_lshrrev_b32_e32 v6, 3, v0
	v_add_lshl_u32 v3, v6, v3, 2
	ds_read_b32 v6, v3
	ds_read_u16 v7, v3 offset:4
	ds_read_u8 v9, v3 offset:6
	ds_read_u16 v10, v3 offset:8
	ds_read_u8 v11, v3 offset:10
	;; [unrolled: 2-line block ×3, first 2 shown]
	v_mov_b32_e32 v14, 0
	s_waitcnt lgkmcnt(4)
	v_cmp_eq_u16_sdwa s[42:43], v9, v14 src0_sel:BYTE_0 src1_sel:DWORD
	v_cndmask_b32_e64 v15, 0, v6, s[42:43]
	v_add_u16_e32 v15, v15, v7
	s_waitcnt lgkmcnt(2)
	v_cmp_eq_u16_sdwa s[42:43], v11, v14 src0_sel:BYTE_0 src1_sel:DWORD
	s_waitcnt lgkmcnt(0)
	v_or_b32_e32 v11, v13, v11
	v_cndmask_b32_e64 v14, 0, v15, s[42:43]
	v_or_b32_e32 v9, v11, v9
	v_add_u16_e32 v10, v14, v10
	v_cmp_eq_u16_e64 s[42:43], 0, v13
	v_and_b32_e32 v9, 1, v9
	v_and_b32_e32 v7, 0x10000, v6
	v_cndmask_b32_e64 v14, 0, v10, s[42:43]
	v_cmp_eq_u32_e64 s[42:43], 1, v9
	v_mbcnt_lo_u32_b32 v9, -1, 0
	v_add_u16_e32 v10, v14, v12
	v_cndmask_b32_e64 v15, v7, v8, s[42:43]
	v_add_u16_e32 v12, v14, v12
	v_and_b32_e32 v8, 0xff000000, v6
	v_mbcnt_hi_u32_b32 v9, -1, v9
	v_or_b32_e32 v13, v15, v8
	v_and_b32_e32 v14, 15, v9
	v_or3_b32 v12, v8, v12, v15
	s_movk_i32 s48, 0xff
	v_lshrrev_b32_e32 v11, 16, v13
	v_mov_b32_dpp v15, v12 row_shr:1 row_mask:0xf bank_mask:0xf
	v_cmp_ne_u32_e64 s[42:43], 0, v14
	s_and_saveexec_b64 s[46:47], s[42:43]
	s_cbranch_execz .LBB860_211
; %bb.210:
	v_and_b32_sdwa v11, v13, s48 dst_sel:DWORD dst_unused:UNUSED_PAD src0_sel:WORD_1 src1_sel:DWORD
	v_cmp_eq_u16_e64 s[42:43], 0, v11
	v_and_b32_e32 v11, 0x10000, v13
	v_mov_b32_e32 v13, 1
	v_cndmask_b32_e64 v12, 0, v15, s[42:43]
	v_and_b32_sdwa v13, v15, v13 dst_sel:DWORD dst_unused:UNUSED_PAD src0_sel:WORD_1 src1_sel:DWORD
	v_cmp_ne_u32_e64 s[42:43], 0, v11
	v_cndmask_b32_e64 v11, v13, 1, s[42:43]
	v_add_u16_e32 v37, v12, v10
	v_lshlrev_b32_e32 v13, 16, v11
	v_add_u16_e32 v10, v12, v10
	v_or3_b32 v12, v13, v10, v8
	v_mov_b32_e32 v10, v37
.LBB860_211:
	s_or_b64 exec, exec, s[46:47]
	v_lshrrev_b32_e32 v13, 16, v12
	v_mov_b32_dpp v15, v12 row_shr:2 row_mask:0xf bank_mask:0xf
	v_cmp_lt_u32_e64 s[42:43], 1, v14
	s_and_saveexec_b64 s[46:47], s[42:43]
	s_cbranch_execz .LBB860_213
; %bb.212:
	v_mov_b32_e32 v11, 0
	v_cmp_eq_u16_sdwa s[42:43], v13, v11 src0_sel:BYTE_0 src1_sel:DWORD
	v_and_b32_e32 v11, 0x10000, v12
	v_mov_b32_e32 v12, 1
	v_cndmask_b32_e64 v13, 0, v15, s[42:43]
	v_and_b32_sdwa v12, v15, v12 dst_sel:DWORD dst_unused:UNUSED_PAD src0_sel:WORD_1 src1_sel:DWORD
	v_cmp_ne_u32_e64 s[42:43], 0, v11
	v_cndmask_b32_e64 v11, v12, 1, s[42:43]
	v_add_u16_e32 v37, v13, v10
	v_lshlrev_b32_e32 v12, 16, v11
	v_add_u16_e32 v10, v13, v10
	v_or3_b32 v12, v12, v10, v8
	v_mov_b32_e32 v13, v11
	v_mov_b32_e32 v10, v37
.LBB860_213:
	s_or_b64 exec, exec, s[46:47]
	v_mov_b32_dpp v15, v12 row_shr:4 row_mask:0xf bank_mask:0xf
	v_cmp_lt_u32_e64 s[42:43], 3, v14
	s_and_saveexec_b64 s[46:47], s[42:43]
	s_cbranch_execz .LBB860_215
; %bb.214:
	v_mov_b32_e32 v11, 0
	v_cmp_eq_u16_sdwa s[42:43], v13, v11 src0_sel:BYTE_0 src1_sel:DWORD
	v_and_b32_e32 v11, 1, v13
	v_mov_b32_e32 v13, 1
	v_cndmask_b32_e64 v12, 0, v15, s[42:43]
	v_and_b32_sdwa v13, v15, v13 dst_sel:DWORD dst_unused:UNUSED_PAD src0_sel:WORD_1 src1_sel:DWORD
	v_cmp_eq_u32_e64 s[42:43], 1, v11
	v_cndmask_b32_e64 v11, v13, 1, s[42:43]
	v_add_u16_e32 v37, v12, v10
	v_lshlrev_b32_e32 v13, 16, v11
	v_add_u16_e32 v10, v12, v10
	v_or3_b32 v12, v13, v10, v8
	v_mov_b32_e32 v13, v11
	v_mov_b32_e32 v10, v37
.LBB860_215:
	s_or_b64 exec, exec, s[46:47]
	v_mov_b32_dpp v15, v12 row_shr:8 row_mask:0xf bank_mask:0xf
	v_cmp_lt_u32_e64 s[42:43], 7, v14
	s_and_saveexec_b64 s[46:47], s[42:43]
	s_cbranch_execz .LBB860_217
; %bb.216:
	v_mov_b32_e32 v11, 0
	v_cmp_eq_u16_sdwa s[42:43], v13, v11 src0_sel:BYTE_0 src1_sel:DWORD
	v_and_b32_e32 v11, 1, v13
	v_mov_b32_e32 v13, 1
	v_cndmask_b32_e64 v12, 0, v15, s[42:43]
	v_and_b32_sdwa v13, v15, v13 dst_sel:DWORD dst_unused:UNUSED_PAD src0_sel:WORD_1 src1_sel:DWORD
	v_cmp_eq_u32_e64 s[42:43], 1, v11
	v_cndmask_b32_e64 v11, v13, 1, s[42:43]
	v_add_u16_e32 v14, v12, v10
	v_lshlrev_b32_e32 v13, 16, v11
	v_add_u16_e32 v10, v12, v10
	v_or3_b32 v12, v13, v10, v8
	v_mov_b32_e32 v13, v11
	v_mov_b32_e32 v10, v14
.LBB860_217:
	s_or_b64 exec, exec, s[46:47]
	v_and_b32_e32 v15, 16, v9
	v_mov_b32_dpp v14, v12 row_bcast:15 row_mask:0xf bank_mask:0xf
	v_cmp_ne_u32_e64 s[42:43], 0, v15
	s_and_saveexec_b64 s[46:47], s[42:43]
	s_cbranch_execz .LBB860_219
; %bb.218:
	v_mov_b32_e32 v11, 0
	v_cmp_eq_u16_sdwa s[42:43], v13, v11 src0_sel:BYTE_0 src1_sel:DWORD
	v_and_b32_e32 v11, 1, v13
	v_mov_b32_e32 v13, 1
	v_cndmask_b32_e64 v12, 0, v14, s[42:43]
	v_and_b32_sdwa v13, v14, v13 dst_sel:DWORD dst_unused:UNUSED_PAD src0_sel:WORD_1 src1_sel:DWORD
	v_cmp_eq_u32_e64 s[42:43], 1, v11
	v_cndmask_b32_e64 v11, v13, 1, s[42:43]
	v_add_u16_e32 v15, v12, v10
	v_lshlrev_b32_e32 v13, 16, v11
	v_add_u16_e32 v10, v12, v10
	v_or3_b32 v12, v13, v10, v8
	v_mov_b32_e32 v13, v11
	v_mov_b32_e32 v10, v15
.LBB860_219:
	s_or_b64 exec, exec, s[46:47]
	v_mov_b32_dpp v12, v12 row_bcast:31 row_mask:0xf bank_mask:0xf
	v_cmp_lt_u32_e64 s[42:43], 31, v9
	s_and_saveexec_b64 s[46:47], s[42:43]
; %bb.220:
	v_mov_b32_e32 v11, 0
	v_cmp_eq_u16_sdwa s[42:43], v13, v11 src0_sel:BYTE_0 src1_sel:DWORD
	v_cndmask_b32_e64 v11, 0, v12, s[42:43]
	v_add_u16_e32 v10, v11, v10
	v_and_b32_e32 v11, 1, v13
	v_mov_b32_e32 v13, 1
	v_and_b32_sdwa v12, v12, v13 dst_sel:DWORD dst_unused:UNUSED_PAD src0_sel:WORD_1 src1_sel:DWORD
	v_cmp_eq_u32_e64 s[42:43], 1, v11
	v_cndmask_b32_e64 v11, v12, 1, s[42:43]
; %bb.221:
	s_or_b64 exec, exec, s[46:47]
	v_and_b32_e32 v11, 0xff, v11
	v_lshlrev_b32_e32 v11, 16, v11
	v_and_b32_e32 v10, 0xffff, v10
	v_or3_b32 v8, v11, v10, v8
	v_add_u32_e32 v10, -1, v9
	v_and_b32_e32 v11, 64, v9
	v_cmp_lt_i32_e64 s[42:43], v10, v11
	v_cndmask_b32_e64 v9, v10, v9, s[42:43]
	v_lshlrev_b32_e32 v9, 2, v9
	ds_bpermute_b32 v8, v9, v8
	v_and_b32_e32 v9, 0xff0000, v6
	v_cmp_eq_u32_e64 s[42:43], 0, v9
	; wave barrier
	s_waitcnt lgkmcnt(0)
	v_cndmask_b32_e64 v9, 0, v8, s[42:43]
	v_add_u16_e32 v6, v9, v6
	v_mov_b32_e32 v9, 1
	v_and_b32_sdwa v8, v8, v9 dst_sel:DWORD dst_unused:UNUSED_PAD src0_sel:WORD_1 src1_sel:DWORD
	v_cmp_eq_u32_e64 s[42:43], 0, v7
	v_cndmask_b32_e64 v7, 1, v8, s[42:43]
	v_cmp_eq_u32_e64 s[42:43], 0, v0
	v_cndmask_b32_e64 v4, v6, v4, s[42:43]
	v_cndmask_b32_e64 v5, v7, v5, s[42:43]
	ds_write_b16 v3, v4
	ds_write_b8 v3, v5 offset:2
	; wave barrier
	ds_read_u16 v6, v3 offset:4
	ds_read_u8 v7, v3 offset:6
	ds_read_u16 v8, v3 offset:8
	ds_read_u8 v9, v3 offset:10
	;; [unrolled: 2-line block ×3, first 2 shown]
	s_waitcnt lgkmcnt(4)
	v_cmp_eq_u16_e64 s[42:43], 0, v7
	v_cndmask_b32_e64 v4, 0, v4, s[42:43]
	v_add_u16_e32 v4, v4, v6
	v_and_b32_e32 v6, 1, v7
	v_cmp_eq_u32_e64 s[42:43], 1, v6
	v_cndmask_b32_e64 v5, v5, 1, s[42:43]
	s_waitcnt lgkmcnt(2)
	v_cmp_eq_u16_e64 s[42:43], 0, v9
	v_and_b32_e32 v6, 1, v9
	ds_write_b16 v3, v4 offset:4
	ds_write_b8 v3, v5 offset:6
	v_cndmask_b32_e64 v4, 0, v4, s[42:43]
	v_cmp_eq_u32_e64 s[42:43], 1, v6
	v_add_u16_e32 v4, v4, v8
	v_cndmask_b32_e64 v5, v5, 1, s[42:43]
	s_waitcnt lgkmcnt(2)
	v_cmp_eq_u16_e64 s[42:43], 0, v11
	ds_write_b16 v3, v4 offset:8
	ds_write_b8 v3, v5 offset:10
	v_cndmask_b32_e64 v4, 0, v4, s[42:43]
	v_and_b32_e32 v6, 1, v11
	v_add_u16_e32 v4, v4, v10
	v_cmp_eq_u32_e64 s[42:43], 1, v6
	v_cndmask_b32_e64 v5, v5, 1, s[42:43]
	ds_write_b16 v3, v4 offset:12
	ds_write_b8 v3, v5 offset:14
.LBB860_222:
	s_or_b64 exec, exec, s[44:45]
	v_cmp_eq_u32_e64 s[42:43], 0, v0
	v_cmp_ne_u32_e64 s[44:45], 0, v0
	s_waitcnt vmcnt(0)
	v_mov_b32_e32 v4, v2
	s_waitcnt lgkmcnt(0)
	s_barrier
	s_and_saveexec_b64 s[46:47], s[44:45]
	s_cbranch_execz .LBB860_224
; %bb.223:
	v_add_u32_e32 v3, -1, v0
	v_lshrrev_b32_e32 v4, 5, v3
	v_add_lshl_u32 v3, v4, v3, 2
	ds_read_u8 v4, v3 offset:2
	ds_read_u16 v3, v3
	s_waitcnt lgkmcnt(1)
	v_cmp_eq_u16_e64 s[44:45], 0, v4
	v_cndmask_b32_e64 v4, 0, v2, s[44:45]
	s_waitcnt lgkmcnt(0)
	v_add_u16_e32 v4, v4, v3
.LBB860_224:
	s_or_b64 exec, exec, s[46:47]
	v_and_b32_e32 v3, 0xff0000, v1
	v_cmp_eq_u32_e64 s[44:45], 0, v3
	v_cndmask_b32_e64 v3, 0, v4, s[44:45]
	v_add_u16_e32 v5, v3, v1
	v_cndmask_b32_e32 v1, 0, v5, vcc
	v_add_u16_e32 v6, v1, v20
	v_cndmask_b32_e64 v1, 0, v6, s[2:3]
	v_add_u16_e32 v7, v1, v21
	v_cndmask_b32_e64 v1, 0, v7, s[4:5]
	;; [unrolled: 2-line block ×19, first 2 shown]
	s_and_saveexec_b64 s[2:3], s[42:43]
	s_cbranch_execz .LBB860_226
; %bb.225:
	v_mov_b32_e32 v12, 0
	ds_read_u8 v3, v12 offset:1050
	ds_read_u16 v13, v12 offset:1048
	s_waitcnt lgkmcnt(1)
	v_cmp_eq_u32_e32 vcc, 0, v3
	v_cndmask_b32_e32 v2, 0, v2, vcc
	v_lshlrev_b32_e32 v14, 16, v3
	s_waitcnt lgkmcnt(0)
	v_add_u32_e32 v2, v2, v13
	v_or_b32_sdwa v2, v14, v2 dst_sel:DWORD dst_unused:UNUSED_PAD src0_sel:DWORD src1_sel:WORD_0
	v_mov_b32_e32 v3, 2
	global_store_dwordx2 v12, v[2:3], s[52:53] offset:512
.LBB860_226:
	s_or_b64 exec, exec, s[2:3]
	v_add_u16_e32 v50, v1, v35
.LBB860_227:
	s_add_u32 s2, s50, s60
	s_addc_u32 s3, s51, s61
	s_add_u32 s4, s2, s62
	v_mul_u32_u24_e32 v1, 22, v0
	s_addc_u32 s5, s3, s63
	s_and_b64 vcc, exec, s[0:1]
	v_lshlrev_b32_e32 v12, 1, v1
	s_cbranch_vccz .LBB860_271
; %bb.228:
	s_mov_b32 s0, 0x5040100
	v_perm_b32 v1, v7, v6, s0
	v_perm_b32 v2, v5, v4, s0
	s_barrier
	ds_write2_b32 v12, v2, v1 offset1:1
	v_perm_b32 v1, v11, v10, s0
	v_perm_b32 v2, v9, v8, s0
	ds_write2_b32 v12, v2, v1 offset0:2 offset1:3
	v_perm_b32 v1, v40, v39, s0
	v_perm_b32 v2, v38, v37, s0
	ds_write2_b32 v12, v2, v1 offset0:4 offset1:5
	;; [unrolled: 3-line block ×4, first 2 shown]
	v_perm_b32 v1, v50, v49, s0
	s_movk_i32 s0, 0xffd6
	v_mad_i32_i24 v2, v0, s0, v12
	ds_write_b32 v12, v1 offset:40
	s_waitcnt lgkmcnt(0)
	s_barrier
	ds_read_u16 v33, v2 offset:512
	ds_read_u16 v32, v2 offset:1024
	;; [unrolled: 1-line block ×21, first 2 shown]
	v_mov_b32_e32 v3, s5
	v_add_co_u32_e32 v2, vcc, s4, v36
	s_add_i32 s33, s33, s54
	v_addc_co_u32_e32 v3, vcc, 0, v3, vcc
	v_mov_b32_e32 v1, 0
	v_cmp_gt_u32_e32 vcc, s33, v0
	s_and_saveexec_b64 s[0:1], vcc
	s_cbranch_execz .LBB860_230
; %bb.229:
	v_mul_i32_i24_e32 v34, 0xffffffd6, v0
	v_add_u32_e32 v34, v12, v34
	ds_read_u16 v34, v34
	s_waitcnt lgkmcnt(0)
	flat_store_short v[2:3], v34
.LBB860_230:
	s_or_b64 exec, exec, s[0:1]
	v_or_b32_e32 v34, 0x100, v0
	v_cmp_gt_u32_e32 vcc, s33, v34
	s_and_saveexec_b64 s[0:1], vcc
	s_cbranch_execz .LBB860_232
; %bb.231:
	s_waitcnt lgkmcnt(0)
	flat_store_short v[2:3], v33 offset:512
.LBB860_232:
	s_or_b64 exec, exec, s[0:1]
	s_waitcnt lgkmcnt(0)
	v_or_b32_e32 v33, 0x200, v0
	v_cmp_gt_u32_e32 vcc, s33, v33
	s_and_saveexec_b64 s[0:1], vcc
	s_cbranch_execz .LBB860_234
; %bb.233:
	flat_store_short v[2:3], v32 offset:1024
.LBB860_234:
	s_or_b64 exec, exec, s[0:1]
	v_or_b32_e32 v32, 0x300, v0
	v_cmp_gt_u32_e32 vcc, s33, v32
	s_and_saveexec_b64 s[0:1], vcc
	s_cbranch_execz .LBB860_236
; %bb.235:
	flat_store_short v[2:3], v31 offset:1536
.LBB860_236:
	s_or_b64 exec, exec, s[0:1]
	;; [unrolled: 8-line block ×6, first 2 shown]
	v_or_b32_e32 v27, 0x800, v0
	v_cmp_gt_u32_e32 vcc, s33, v27
	s_and_saveexec_b64 s[0:1], vcc
	s_cbranch_execz .LBB860_246
; %bb.245:
	v_add_co_u32_e32 v28, vcc, 0x1000, v2
	v_addc_co_u32_e32 v29, vcc, 0, v3, vcc
	flat_store_short v[28:29], v26
.LBB860_246:
	s_or_b64 exec, exec, s[0:1]
	v_or_b32_e32 v26, 0x900, v0
	v_cmp_gt_u32_e32 vcc, s33, v26
	s_and_saveexec_b64 s[0:1], vcc
	s_cbranch_execz .LBB860_248
; %bb.247:
	v_add_co_u32_e32 v26, vcc, 0x1000, v2
	v_addc_co_u32_e32 v27, vcc, 0, v3, vcc
	flat_store_short v[26:27], v25 offset:512
.LBB860_248:
	s_or_b64 exec, exec, s[0:1]
	v_or_b32_e32 v25, 0xa00, v0
	v_cmp_gt_u32_e32 vcc, s33, v25
	s_and_saveexec_b64 s[0:1], vcc
	s_cbranch_execz .LBB860_250
; %bb.249:
	v_add_co_u32_e32 v26, vcc, 0x1000, v2
	v_addc_co_u32_e32 v27, vcc, 0, v3, vcc
	flat_store_short v[26:27], v24 offset:1024
.LBB860_250:
	;; [unrolled: 10-line block ×7, first 2 shown]
	s_or_b64 exec, exec, s[0:1]
	v_or_b32_e32 v19, 0x1000, v0
	v_cmp_gt_u32_e32 vcc, s33, v19
	s_and_saveexec_b64 s[0:1], vcc
	s_cbranch_execz .LBB860_262
; %bb.261:
	v_add_co_u32_e32 v20, vcc, 0x2000, v2
	v_addc_co_u32_e32 v21, vcc, 0, v3, vcc
	flat_store_short v[20:21], v18
.LBB860_262:
	s_or_b64 exec, exec, s[0:1]
	v_or_b32_e32 v18, 0x1100, v0
	v_cmp_gt_u32_e32 vcc, s33, v18
	s_and_saveexec_b64 s[0:1], vcc
	s_cbranch_execz .LBB860_264
; %bb.263:
	v_add_co_u32_e32 v18, vcc, 0x2000, v2
	v_addc_co_u32_e32 v19, vcc, 0, v3, vcc
	flat_store_short v[18:19], v17 offset:512
.LBB860_264:
	s_or_b64 exec, exec, s[0:1]
	v_or_b32_e32 v17, 0x1200, v0
	v_cmp_gt_u32_e32 vcc, s33, v17
	s_and_saveexec_b64 s[0:1], vcc
	s_cbranch_execz .LBB860_266
; %bb.265:
	v_add_co_u32_e32 v18, vcc, 0x2000, v2
	v_addc_co_u32_e32 v19, vcc, 0, v3, vcc
	flat_store_short v[18:19], v16 offset:1024
.LBB860_266:
	;; [unrolled: 10-line block ×4, first 2 shown]
	s_or_b64 exec, exec, s[0:1]
	v_or_b32_e32 v2, 0x1500, v0
	v_cmp_gt_u32_e64 s[0:1], s33, v2
	s_branch .LBB860_273
.LBB860_271:
	s_mov_b64 s[0:1], 0
                                        ; implicit-def: $vgpr13
	s_cbranch_execz .LBB860_273
; %bb.272:
	s_mov_b32 s2, 0x5040100
	v_perm_b32 v1, v7, v6, s2
	v_perm_b32 v2, v5, v4, s2
	s_waitcnt lgkmcnt(0)
	s_barrier
	ds_write2_b32 v12, v2, v1 offset1:1
	v_perm_b32 v1, v11, v10, s2
	v_perm_b32 v2, v9, v8, s2
	ds_write2_b32 v12, v2, v1 offset0:2 offset1:3
	v_perm_b32 v1, v40, v39, s2
	v_perm_b32 v2, v38, v37, s2
	ds_write2_b32 v12, v2, v1 offset0:4 offset1:5
	;; [unrolled: 3-line block ×4, first 2 shown]
	v_perm_b32 v1, v50, v49, s2
	s_movk_i32 s2, 0xffd6
	v_mad_i32_i24 v2, v0, s2, v12
	ds_write_b32 v12, v1 offset:40
	s_waitcnt lgkmcnt(0)
	s_barrier
	ds_read_u16 v4, v2
	ds_read_u16 v5, v2 offset:512
	ds_read_u16 v6, v2 offset:1024
	;; [unrolled: 1-line block ×21, first 2 shown]
	v_mov_b32_e32 v3, s5
	v_add_co_u32_e32 v2, vcc, s4, v36
	v_addc_co_u32_e32 v3, vcc, 0, v3, vcc
	s_movk_i32 s2, 0x1000
	s_waitcnt lgkmcnt(0)
	flat_store_short v[2:3], v4
	flat_store_short v[2:3], v5 offset:512
	flat_store_short v[2:3], v6 offset:1024
	;; [unrolled: 1-line block ×7, first 2 shown]
	v_add_co_u32_e32 v4, vcc, s2, v2
	v_addc_co_u32_e32 v5, vcc, 0, v3, vcc
	v_add_co_u32_e32 v2, vcc, 0x2000, v2
	v_mov_b32_e32 v1, 0
	v_addc_co_u32_e32 v3, vcc, 0, v3, vcc
	s_or_b64 s[0:1], s[0:1], exec
	flat_store_short v[4:5], v12
	flat_store_short v[4:5], v14 offset:512
	flat_store_short v[4:5], v15 offset:1024
	;; [unrolled: 1-line block ×7, first 2 shown]
	flat_store_short v[2:3], v21
	flat_store_short v[2:3], v22 offset:512
	flat_store_short v[2:3], v23 offset:1024
	;; [unrolled: 1-line block ×4, first 2 shown]
.LBB860_273:
	s_and_saveexec_b64 s[2:3], s[0:1]
	s_cbranch_execz .LBB860_275
; %bb.274:
	v_lshlrev_b64 v[0:1], 1, v[0:1]
	v_mov_b32_e32 v2, s5
	v_add_co_u32_e32 v0, vcc, s4, v0
	v_addc_co_u32_e32 v1, vcc, v2, v1, vcc
	v_add_co_u32_e32 v0, vcc, 0x2000, v0
	v_addc_co_u32_e32 v1, vcc, 0, v1, vcc
	flat_store_short v[0:1], v13 offset:2560
	s_endpgm
.LBB860_275:
	s_endpgm
	.section	.rodata,"a",@progbits
	.p2align	6, 0x0
	.amdhsa_kernel _ZN7rocprim17ROCPRIM_400000_NS6detail17trampoline_kernelINS0_14default_configENS1_27scan_by_key_config_selectorIssEEZZNS1_16scan_by_key_implILNS1_25lookback_scan_determinismE0ELb1ES3_N6thrust23THRUST_200600_302600_NS6detail15normal_iteratorINS9_10device_ptrIsEEEESE_SE_sNS9_4plusIsEE19head_flag_predicatesEE10hipError_tPvRmT2_T3_T4_T5_mT6_T7_P12ihipStream_tbENKUlT_T0_E_clISt17integral_constantIbLb0EESY_EEDaST_SU_EUlST_E_NS1_11comp_targetILNS1_3genE4ELNS1_11target_archE910ELNS1_3gpuE8ELNS1_3repE0EEENS1_30default_config_static_selectorELNS0_4arch9wavefront6targetE1EEEvT1_
		.amdhsa_group_segment_fixed_size 12288
		.amdhsa_private_segment_fixed_size 0
		.amdhsa_kernarg_size 112
		.amdhsa_user_sgpr_count 6
		.amdhsa_user_sgpr_private_segment_buffer 1
		.amdhsa_user_sgpr_dispatch_ptr 0
		.amdhsa_user_sgpr_queue_ptr 0
		.amdhsa_user_sgpr_kernarg_segment_ptr 1
		.amdhsa_user_sgpr_dispatch_id 0
		.amdhsa_user_sgpr_flat_scratch_init 0
		.amdhsa_user_sgpr_kernarg_preload_length 0
		.amdhsa_user_sgpr_kernarg_preload_offset 0
		.amdhsa_user_sgpr_private_segment_size 0
		.amdhsa_uses_dynamic_stack 0
		.amdhsa_system_sgpr_private_segment_wavefront_offset 0
		.amdhsa_system_sgpr_workgroup_id_x 1
		.amdhsa_system_sgpr_workgroup_id_y 0
		.amdhsa_system_sgpr_workgroup_id_z 0
		.amdhsa_system_sgpr_workgroup_info 0
		.amdhsa_system_vgpr_workitem_id 0
		.amdhsa_next_free_vgpr 58
		.amdhsa_next_free_sgpr 75
		.amdhsa_accum_offset 60
		.amdhsa_reserve_vcc 1
		.amdhsa_reserve_flat_scratch 0
		.amdhsa_float_round_mode_32 0
		.amdhsa_float_round_mode_16_64 0
		.amdhsa_float_denorm_mode_32 3
		.amdhsa_float_denorm_mode_16_64 3
		.amdhsa_dx10_clamp 1
		.amdhsa_ieee_mode 1
		.amdhsa_fp16_overflow 0
		.amdhsa_tg_split 0
		.amdhsa_exception_fp_ieee_invalid_op 0
		.amdhsa_exception_fp_denorm_src 0
		.amdhsa_exception_fp_ieee_div_zero 0
		.amdhsa_exception_fp_ieee_overflow 0
		.amdhsa_exception_fp_ieee_underflow 0
		.amdhsa_exception_fp_ieee_inexact 0
		.amdhsa_exception_int_div_zero 0
	.end_amdhsa_kernel
	.section	.text._ZN7rocprim17ROCPRIM_400000_NS6detail17trampoline_kernelINS0_14default_configENS1_27scan_by_key_config_selectorIssEEZZNS1_16scan_by_key_implILNS1_25lookback_scan_determinismE0ELb1ES3_N6thrust23THRUST_200600_302600_NS6detail15normal_iteratorINS9_10device_ptrIsEEEESE_SE_sNS9_4plusIsEE19head_flag_predicatesEE10hipError_tPvRmT2_T3_T4_T5_mT6_T7_P12ihipStream_tbENKUlT_T0_E_clISt17integral_constantIbLb0EESY_EEDaST_SU_EUlST_E_NS1_11comp_targetILNS1_3genE4ELNS1_11target_archE910ELNS1_3gpuE8ELNS1_3repE0EEENS1_30default_config_static_selectorELNS0_4arch9wavefront6targetE1EEEvT1_,"axG",@progbits,_ZN7rocprim17ROCPRIM_400000_NS6detail17trampoline_kernelINS0_14default_configENS1_27scan_by_key_config_selectorIssEEZZNS1_16scan_by_key_implILNS1_25lookback_scan_determinismE0ELb1ES3_N6thrust23THRUST_200600_302600_NS6detail15normal_iteratorINS9_10device_ptrIsEEEESE_SE_sNS9_4plusIsEE19head_flag_predicatesEE10hipError_tPvRmT2_T3_T4_T5_mT6_T7_P12ihipStream_tbENKUlT_T0_E_clISt17integral_constantIbLb0EESY_EEDaST_SU_EUlST_E_NS1_11comp_targetILNS1_3genE4ELNS1_11target_archE910ELNS1_3gpuE8ELNS1_3repE0EEENS1_30default_config_static_selectorELNS0_4arch9wavefront6targetE1EEEvT1_,comdat
.Lfunc_end860:
	.size	_ZN7rocprim17ROCPRIM_400000_NS6detail17trampoline_kernelINS0_14default_configENS1_27scan_by_key_config_selectorIssEEZZNS1_16scan_by_key_implILNS1_25lookback_scan_determinismE0ELb1ES3_N6thrust23THRUST_200600_302600_NS6detail15normal_iteratorINS9_10device_ptrIsEEEESE_SE_sNS9_4plusIsEE19head_flag_predicatesEE10hipError_tPvRmT2_T3_T4_T5_mT6_T7_P12ihipStream_tbENKUlT_T0_E_clISt17integral_constantIbLb0EESY_EEDaST_SU_EUlST_E_NS1_11comp_targetILNS1_3genE4ELNS1_11target_archE910ELNS1_3gpuE8ELNS1_3repE0EEENS1_30default_config_static_selectorELNS0_4arch9wavefront6targetE1EEEvT1_, .Lfunc_end860-_ZN7rocprim17ROCPRIM_400000_NS6detail17trampoline_kernelINS0_14default_configENS1_27scan_by_key_config_selectorIssEEZZNS1_16scan_by_key_implILNS1_25lookback_scan_determinismE0ELb1ES3_N6thrust23THRUST_200600_302600_NS6detail15normal_iteratorINS9_10device_ptrIsEEEESE_SE_sNS9_4plusIsEE19head_flag_predicatesEE10hipError_tPvRmT2_T3_T4_T5_mT6_T7_P12ihipStream_tbENKUlT_T0_E_clISt17integral_constantIbLb0EESY_EEDaST_SU_EUlST_E_NS1_11comp_targetILNS1_3genE4ELNS1_11target_archE910ELNS1_3gpuE8ELNS1_3repE0EEENS1_30default_config_static_selectorELNS0_4arch9wavefront6targetE1EEEvT1_
                                        ; -- End function
	.section	.AMDGPU.csdata,"",@progbits
; Kernel info:
; codeLenInByte = 16044
; NumSgprs: 79
; NumVgprs: 58
; NumAgprs: 0
; TotalNumVgprs: 58
; ScratchSize: 0
; MemoryBound: 0
; FloatMode: 240
; IeeeMode: 1
; LDSByteSize: 12288 bytes/workgroup (compile time only)
; SGPRBlocks: 9
; VGPRBlocks: 7
; NumSGPRsForWavesPerEU: 79
; NumVGPRsForWavesPerEU: 58
; AccumOffset: 60
; Occupancy: 5
; WaveLimiterHint : 1
; COMPUTE_PGM_RSRC2:SCRATCH_EN: 0
; COMPUTE_PGM_RSRC2:USER_SGPR: 6
; COMPUTE_PGM_RSRC2:TRAP_HANDLER: 0
; COMPUTE_PGM_RSRC2:TGID_X_EN: 1
; COMPUTE_PGM_RSRC2:TGID_Y_EN: 0
; COMPUTE_PGM_RSRC2:TGID_Z_EN: 0
; COMPUTE_PGM_RSRC2:TIDIG_COMP_CNT: 0
; COMPUTE_PGM_RSRC3_GFX90A:ACCUM_OFFSET: 14
; COMPUTE_PGM_RSRC3_GFX90A:TG_SPLIT: 0
	.section	.text._ZN7rocprim17ROCPRIM_400000_NS6detail17trampoline_kernelINS0_14default_configENS1_27scan_by_key_config_selectorIssEEZZNS1_16scan_by_key_implILNS1_25lookback_scan_determinismE0ELb1ES3_N6thrust23THRUST_200600_302600_NS6detail15normal_iteratorINS9_10device_ptrIsEEEESE_SE_sNS9_4plusIsEE19head_flag_predicatesEE10hipError_tPvRmT2_T3_T4_T5_mT6_T7_P12ihipStream_tbENKUlT_T0_E_clISt17integral_constantIbLb0EESY_EEDaST_SU_EUlST_E_NS1_11comp_targetILNS1_3genE3ELNS1_11target_archE908ELNS1_3gpuE7ELNS1_3repE0EEENS1_30default_config_static_selectorELNS0_4arch9wavefront6targetE1EEEvT1_,"axG",@progbits,_ZN7rocprim17ROCPRIM_400000_NS6detail17trampoline_kernelINS0_14default_configENS1_27scan_by_key_config_selectorIssEEZZNS1_16scan_by_key_implILNS1_25lookback_scan_determinismE0ELb1ES3_N6thrust23THRUST_200600_302600_NS6detail15normal_iteratorINS9_10device_ptrIsEEEESE_SE_sNS9_4plusIsEE19head_flag_predicatesEE10hipError_tPvRmT2_T3_T4_T5_mT6_T7_P12ihipStream_tbENKUlT_T0_E_clISt17integral_constantIbLb0EESY_EEDaST_SU_EUlST_E_NS1_11comp_targetILNS1_3genE3ELNS1_11target_archE908ELNS1_3gpuE7ELNS1_3repE0EEENS1_30default_config_static_selectorELNS0_4arch9wavefront6targetE1EEEvT1_,comdat
	.protected	_ZN7rocprim17ROCPRIM_400000_NS6detail17trampoline_kernelINS0_14default_configENS1_27scan_by_key_config_selectorIssEEZZNS1_16scan_by_key_implILNS1_25lookback_scan_determinismE0ELb1ES3_N6thrust23THRUST_200600_302600_NS6detail15normal_iteratorINS9_10device_ptrIsEEEESE_SE_sNS9_4plusIsEE19head_flag_predicatesEE10hipError_tPvRmT2_T3_T4_T5_mT6_T7_P12ihipStream_tbENKUlT_T0_E_clISt17integral_constantIbLb0EESY_EEDaST_SU_EUlST_E_NS1_11comp_targetILNS1_3genE3ELNS1_11target_archE908ELNS1_3gpuE7ELNS1_3repE0EEENS1_30default_config_static_selectorELNS0_4arch9wavefront6targetE1EEEvT1_ ; -- Begin function _ZN7rocprim17ROCPRIM_400000_NS6detail17trampoline_kernelINS0_14default_configENS1_27scan_by_key_config_selectorIssEEZZNS1_16scan_by_key_implILNS1_25lookback_scan_determinismE0ELb1ES3_N6thrust23THRUST_200600_302600_NS6detail15normal_iteratorINS9_10device_ptrIsEEEESE_SE_sNS9_4plusIsEE19head_flag_predicatesEE10hipError_tPvRmT2_T3_T4_T5_mT6_T7_P12ihipStream_tbENKUlT_T0_E_clISt17integral_constantIbLb0EESY_EEDaST_SU_EUlST_E_NS1_11comp_targetILNS1_3genE3ELNS1_11target_archE908ELNS1_3gpuE7ELNS1_3repE0EEENS1_30default_config_static_selectorELNS0_4arch9wavefront6targetE1EEEvT1_
	.globl	_ZN7rocprim17ROCPRIM_400000_NS6detail17trampoline_kernelINS0_14default_configENS1_27scan_by_key_config_selectorIssEEZZNS1_16scan_by_key_implILNS1_25lookback_scan_determinismE0ELb1ES3_N6thrust23THRUST_200600_302600_NS6detail15normal_iteratorINS9_10device_ptrIsEEEESE_SE_sNS9_4plusIsEE19head_flag_predicatesEE10hipError_tPvRmT2_T3_T4_T5_mT6_T7_P12ihipStream_tbENKUlT_T0_E_clISt17integral_constantIbLb0EESY_EEDaST_SU_EUlST_E_NS1_11comp_targetILNS1_3genE3ELNS1_11target_archE908ELNS1_3gpuE7ELNS1_3repE0EEENS1_30default_config_static_selectorELNS0_4arch9wavefront6targetE1EEEvT1_
	.p2align	8
	.type	_ZN7rocprim17ROCPRIM_400000_NS6detail17trampoline_kernelINS0_14default_configENS1_27scan_by_key_config_selectorIssEEZZNS1_16scan_by_key_implILNS1_25lookback_scan_determinismE0ELb1ES3_N6thrust23THRUST_200600_302600_NS6detail15normal_iteratorINS9_10device_ptrIsEEEESE_SE_sNS9_4plusIsEE19head_flag_predicatesEE10hipError_tPvRmT2_T3_T4_T5_mT6_T7_P12ihipStream_tbENKUlT_T0_E_clISt17integral_constantIbLb0EESY_EEDaST_SU_EUlST_E_NS1_11comp_targetILNS1_3genE3ELNS1_11target_archE908ELNS1_3gpuE7ELNS1_3repE0EEENS1_30default_config_static_selectorELNS0_4arch9wavefront6targetE1EEEvT1_,@function
_ZN7rocprim17ROCPRIM_400000_NS6detail17trampoline_kernelINS0_14default_configENS1_27scan_by_key_config_selectorIssEEZZNS1_16scan_by_key_implILNS1_25lookback_scan_determinismE0ELb1ES3_N6thrust23THRUST_200600_302600_NS6detail15normal_iteratorINS9_10device_ptrIsEEEESE_SE_sNS9_4plusIsEE19head_flag_predicatesEE10hipError_tPvRmT2_T3_T4_T5_mT6_T7_P12ihipStream_tbENKUlT_T0_E_clISt17integral_constantIbLb0EESY_EEDaST_SU_EUlST_E_NS1_11comp_targetILNS1_3genE3ELNS1_11target_archE908ELNS1_3gpuE7ELNS1_3repE0EEENS1_30default_config_static_selectorELNS0_4arch9wavefront6targetE1EEEvT1_: ; @_ZN7rocprim17ROCPRIM_400000_NS6detail17trampoline_kernelINS0_14default_configENS1_27scan_by_key_config_selectorIssEEZZNS1_16scan_by_key_implILNS1_25lookback_scan_determinismE0ELb1ES3_N6thrust23THRUST_200600_302600_NS6detail15normal_iteratorINS9_10device_ptrIsEEEESE_SE_sNS9_4plusIsEE19head_flag_predicatesEE10hipError_tPvRmT2_T3_T4_T5_mT6_T7_P12ihipStream_tbENKUlT_T0_E_clISt17integral_constantIbLb0EESY_EEDaST_SU_EUlST_E_NS1_11comp_targetILNS1_3genE3ELNS1_11target_archE908ELNS1_3gpuE7ELNS1_3repE0EEENS1_30default_config_static_selectorELNS0_4arch9wavefront6targetE1EEEvT1_
; %bb.0:
	.section	.rodata,"a",@progbits
	.p2align	6, 0x0
	.amdhsa_kernel _ZN7rocprim17ROCPRIM_400000_NS6detail17trampoline_kernelINS0_14default_configENS1_27scan_by_key_config_selectorIssEEZZNS1_16scan_by_key_implILNS1_25lookback_scan_determinismE0ELb1ES3_N6thrust23THRUST_200600_302600_NS6detail15normal_iteratorINS9_10device_ptrIsEEEESE_SE_sNS9_4plusIsEE19head_flag_predicatesEE10hipError_tPvRmT2_T3_T4_T5_mT6_T7_P12ihipStream_tbENKUlT_T0_E_clISt17integral_constantIbLb0EESY_EEDaST_SU_EUlST_E_NS1_11comp_targetILNS1_3genE3ELNS1_11target_archE908ELNS1_3gpuE7ELNS1_3repE0EEENS1_30default_config_static_selectorELNS0_4arch9wavefront6targetE1EEEvT1_
		.amdhsa_group_segment_fixed_size 0
		.amdhsa_private_segment_fixed_size 0
		.amdhsa_kernarg_size 112
		.amdhsa_user_sgpr_count 6
		.amdhsa_user_sgpr_private_segment_buffer 1
		.amdhsa_user_sgpr_dispatch_ptr 0
		.amdhsa_user_sgpr_queue_ptr 0
		.amdhsa_user_sgpr_kernarg_segment_ptr 1
		.amdhsa_user_sgpr_dispatch_id 0
		.amdhsa_user_sgpr_flat_scratch_init 0
		.amdhsa_user_sgpr_kernarg_preload_length 0
		.amdhsa_user_sgpr_kernarg_preload_offset 0
		.amdhsa_user_sgpr_private_segment_size 0
		.amdhsa_uses_dynamic_stack 0
		.amdhsa_system_sgpr_private_segment_wavefront_offset 0
		.amdhsa_system_sgpr_workgroup_id_x 1
		.amdhsa_system_sgpr_workgroup_id_y 0
		.amdhsa_system_sgpr_workgroup_id_z 0
		.amdhsa_system_sgpr_workgroup_info 0
		.amdhsa_system_vgpr_workitem_id 0
		.amdhsa_next_free_vgpr 1
		.amdhsa_next_free_sgpr 0
		.amdhsa_accum_offset 4
		.amdhsa_reserve_vcc 0
		.amdhsa_reserve_flat_scratch 0
		.amdhsa_float_round_mode_32 0
		.amdhsa_float_round_mode_16_64 0
		.amdhsa_float_denorm_mode_32 3
		.amdhsa_float_denorm_mode_16_64 3
		.amdhsa_dx10_clamp 1
		.amdhsa_ieee_mode 1
		.amdhsa_fp16_overflow 0
		.amdhsa_tg_split 0
		.amdhsa_exception_fp_ieee_invalid_op 0
		.amdhsa_exception_fp_denorm_src 0
		.amdhsa_exception_fp_ieee_div_zero 0
		.amdhsa_exception_fp_ieee_overflow 0
		.amdhsa_exception_fp_ieee_underflow 0
		.amdhsa_exception_fp_ieee_inexact 0
		.amdhsa_exception_int_div_zero 0
	.end_amdhsa_kernel
	.section	.text._ZN7rocprim17ROCPRIM_400000_NS6detail17trampoline_kernelINS0_14default_configENS1_27scan_by_key_config_selectorIssEEZZNS1_16scan_by_key_implILNS1_25lookback_scan_determinismE0ELb1ES3_N6thrust23THRUST_200600_302600_NS6detail15normal_iteratorINS9_10device_ptrIsEEEESE_SE_sNS9_4plusIsEE19head_flag_predicatesEE10hipError_tPvRmT2_T3_T4_T5_mT6_T7_P12ihipStream_tbENKUlT_T0_E_clISt17integral_constantIbLb0EESY_EEDaST_SU_EUlST_E_NS1_11comp_targetILNS1_3genE3ELNS1_11target_archE908ELNS1_3gpuE7ELNS1_3repE0EEENS1_30default_config_static_selectorELNS0_4arch9wavefront6targetE1EEEvT1_,"axG",@progbits,_ZN7rocprim17ROCPRIM_400000_NS6detail17trampoline_kernelINS0_14default_configENS1_27scan_by_key_config_selectorIssEEZZNS1_16scan_by_key_implILNS1_25lookback_scan_determinismE0ELb1ES3_N6thrust23THRUST_200600_302600_NS6detail15normal_iteratorINS9_10device_ptrIsEEEESE_SE_sNS9_4plusIsEE19head_flag_predicatesEE10hipError_tPvRmT2_T3_T4_T5_mT6_T7_P12ihipStream_tbENKUlT_T0_E_clISt17integral_constantIbLb0EESY_EEDaST_SU_EUlST_E_NS1_11comp_targetILNS1_3genE3ELNS1_11target_archE908ELNS1_3gpuE7ELNS1_3repE0EEENS1_30default_config_static_selectorELNS0_4arch9wavefront6targetE1EEEvT1_,comdat
.Lfunc_end861:
	.size	_ZN7rocprim17ROCPRIM_400000_NS6detail17trampoline_kernelINS0_14default_configENS1_27scan_by_key_config_selectorIssEEZZNS1_16scan_by_key_implILNS1_25lookback_scan_determinismE0ELb1ES3_N6thrust23THRUST_200600_302600_NS6detail15normal_iteratorINS9_10device_ptrIsEEEESE_SE_sNS9_4plusIsEE19head_flag_predicatesEE10hipError_tPvRmT2_T3_T4_T5_mT6_T7_P12ihipStream_tbENKUlT_T0_E_clISt17integral_constantIbLb0EESY_EEDaST_SU_EUlST_E_NS1_11comp_targetILNS1_3genE3ELNS1_11target_archE908ELNS1_3gpuE7ELNS1_3repE0EEENS1_30default_config_static_selectorELNS0_4arch9wavefront6targetE1EEEvT1_, .Lfunc_end861-_ZN7rocprim17ROCPRIM_400000_NS6detail17trampoline_kernelINS0_14default_configENS1_27scan_by_key_config_selectorIssEEZZNS1_16scan_by_key_implILNS1_25lookback_scan_determinismE0ELb1ES3_N6thrust23THRUST_200600_302600_NS6detail15normal_iteratorINS9_10device_ptrIsEEEESE_SE_sNS9_4plusIsEE19head_flag_predicatesEE10hipError_tPvRmT2_T3_T4_T5_mT6_T7_P12ihipStream_tbENKUlT_T0_E_clISt17integral_constantIbLb0EESY_EEDaST_SU_EUlST_E_NS1_11comp_targetILNS1_3genE3ELNS1_11target_archE908ELNS1_3gpuE7ELNS1_3repE0EEENS1_30default_config_static_selectorELNS0_4arch9wavefront6targetE1EEEvT1_
                                        ; -- End function
	.section	.AMDGPU.csdata,"",@progbits
; Kernel info:
; codeLenInByte = 0
; NumSgprs: 4
; NumVgprs: 0
; NumAgprs: 0
; TotalNumVgprs: 0
; ScratchSize: 0
; MemoryBound: 0
; FloatMode: 240
; IeeeMode: 1
; LDSByteSize: 0 bytes/workgroup (compile time only)
; SGPRBlocks: 0
; VGPRBlocks: 0
; NumSGPRsForWavesPerEU: 4
; NumVGPRsForWavesPerEU: 1
; AccumOffset: 4
; Occupancy: 8
; WaveLimiterHint : 0
; COMPUTE_PGM_RSRC2:SCRATCH_EN: 0
; COMPUTE_PGM_RSRC2:USER_SGPR: 6
; COMPUTE_PGM_RSRC2:TRAP_HANDLER: 0
; COMPUTE_PGM_RSRC2:TGID_X_EN: 1
; COMPUTE_PGM_RSRC2:TGID_Y_EN: 0
; COMPUTE_PGM_RSRC2:TGID_Z_EN: 0
; COMPUTE_PGM_RSRC2:TIDIG_COMP_CNT: 0
; COMPUTE_PGM_RSRC3_GFX90A:ACCUM_OFFSET: 0
; COMPUTE_PGM_RSRC3_GFX90A:TG_SPLIT: 0
	.section	.text._ZN7rocprim17ROCPRIM_400000_NS6detail17trampoline_kernelINS0_14default_configENS1_27scan_by_key_config_selectorIssEEZZNS1_16scan_by_key_implILNS1_25lookback_scan_determinismE0ELb1ES3_N6thrust23THRUST_200600_302600_NS6detail15normal_iteratorINS9_10device_ptrIsEEEESE_SE_sNS9_4plusIsEE19head_flag_predicatesEE10hipError_tPvRmT2_T3_T4_T5_mT6_T7_P12ihipStream_tbENKUlT_T0_E_clISt17integral_constantIbLb0EESY_EEDaST_SU_EUlST_E_NS1_11comp_targetILNS1_3genE2ELNS1_11target_archE906ELNS1_3gpuE6ELNS1_3repE0EEENS1_30default_config_static_selectorELNS0_4arch9wavefront6targetE1EEEvT1_,"axG",@progbits,_ZN7rocprim17ROCPRIM_400000_NS6detail17trampoline_kernelINS0_14default_configENS1_27scan_by_key_config_selectorIssEEZZNS1_16scan_by_key_implILNS1_25lookback_scan_determinismE0ELb1ES3_N6thrust23THRUST_200600_302600_NS6detail15normal_iteratorINS9_10device_ptrIsEEEESE_SE_sNS9_4plusIsEE19head_flag_predicatesEE10hipError_tPvRmT2_T3_T4_T5_mT6_T7_P12ihipStream_tbENKUlT_T0_E_clISt17integral_constantIbLb0EESY_EEDaST_SU_EUlST_E_NS1_11comp_targetILNS1_3genE2ELNS1_11target_archE906ELNS1_3gpuE6ELNS1_3repE0EEENS1_30default_config_static_selectorELNS0_4arch9wavefront6targetE1EEEvT1_,comdat
	.protected	_ZN7rocprim17ROCPRIM_400000_NS6detail17trampoline_kernelINS0_14default_configENS1_27scan_by_key_config_selectorIssEEZZNS1_16scan_by_key_implILNS1_25lookback_scan_determinismE0ELb1ES3_N6thrust23THRUST_200600_302600_NS6detail15normal_iteratorINS9_10device_ptrIsEEEESE_SE_sNS9_4plusIsEE19head_flag_predicatesEE10hipError_tPvRmT2_T3_T4_T5_mT6_T7_P12ihipStream_tbENKUlT_T0_E_clISt17integral_constantIbLb0EESY_EEDaST_SU_EUlST_E_NS1_11comp_targetILNS1_3genE2ELNS1_11target_archE906ELNS1_3gpuE6ELNS1_3repE0EEENS1_30default_config_static_selectorELNS0_4arch9wavefront6targetE1EEEvT1_ ; -- Begin function _ZN7rocprim17ROCPRIM_400000_NS6detail17trampoline_kernelINS0_14default_configENS1_27scan_by_key_config_selectorIssEEZZNS1_16scan_by_key_implILNS1_25lookback_scan_determinismE0ELb1ES3_N6thrust23THRUST_200600_302600_NS6detail15normal_iteratorINS9_10device_ptrIsEEEESE_SE_sNS9_4plusIsEE19head_flag_predicatesEE10hipError_tPvRmT2_T3_T4_T5_mT6_T7_P12ihipStream_tbENKUlT_T0_E_clISt17integral_constantIbLb0EESY_EEDaST_SU_EUlST_E_NS1_11comp_targetILNS1_3genE2ELNS1_11target_archE906ELNS1_3gpuE6ELNS1_3repE0EEENS1_30default_config_static_selectorELNS0_4arch9wavefront6targetE1EEEvT1_
	.globl	_ZN7rocprim17ROCPRIM_400000_NS6detail17trampoline_kernelINS0_14default_configENS1_27scan_by_key_config_selectorIssEEZZNS1_16scan_by_key_implILNS1_25lookback_scan_determinismE0ELb1ES3_N6thrust23THRUST_200600_302600_NS6detail15normal_iteratorINS9_10device_ptrIsEEEESE_SE_sNS9_4plusIsEE19head_flag_predicatesEE10hipError_tPvRmT2_T3_T4_T5_mT6_T7_P12ihipStream_tbENKUlT_T0_E_clISt17integral_constantIbLb0EESY_EEDaST_SU_EUlST_E_NS1_11comp_targetILNS1_3genE2ELNS1_11target_archE906ELNS1_3gpuE6ELNS1_3repE0EEENS1_30default_config_static_selectorELNS0_4arch9wavefront6targetE1EEEvT1_
	.p2align	8
	.type	_ZN7rocprim17ROCPRIM_400000_NS6detail17trampoline_kernelINS0_14default_configENS1_27scan_by_key_config_selectorIssEEZZNS1_16scan_by_key_implILNS1_25lookback_scan_determinismE0ELb1ES3_N6thrust23THRUST_200600_302600_NS6detail15normal_iteratorINS9_10device_ptrIsEEEESE_SE_sNS9_4plusIsEE19head_flag_predicatesEE10hipError_tPvRmT2_T3_T4_T5_mT6_T7_P12ihipStream_tbENKUlT_T0_E_clISt17integral_constantIbLb0EESY_EEDaST_SU_EUlST_E_NS1_11comp_targetILNS1_3genE2ELNS1_11target_archE906ELNS1_3gpuE6ELNS1_3repE0EEENS1_30default_config_static_selectorELNS0_4arch9wavefront6targetE1EEEvT1_,@function
_ZN7rocprim17ROCPRIM_400000_NS6detail17trampoline_kernelINS0_14default_configENS1_27scan_by_key_config_selectorIssEEZZNS1_16scan_by_key_implILNS1_25lookback_scan_determinismE0ELb1ES3_N6thrust23THRUST_200600_302600_NS6detail15normal_iteratorINS9_10device_ptrIsEEEESE_SE_sNS9_4plusIsEE19head_flag_predicatesEE10hipError_tPvRmT2_T3_T4_T5_mT6_T7_P12ihipStream_tbENKUlT_T0_E_clISt17integral_constantIbLb0EESY_EEDaST_SU_EUlST_E_NS1_11comp_targetILNS1_3genE2ELNS1_11target_archE906ELNS1_3gpuE6ELNS1_3repE0EEENS1_30default_config_static_selectorELNS0_4arch9wavefront6targetE1EEEvT1_: ; @_ZN7rocprim17ROCPRIM_400000_NS6detail17trampoline_kernelINS0_14default_configENS1_27scan_by_key_config_selectorIssEEZZNS1_16scan_by_key_implILNS1_25lookback_scan_determinismE0ELb1ES3_N6thrust23THRUST_200600_302600_NS6detail15normal_iteratorINS9_10device_ptrIsEEEESE_SE_sNS9_4plusIsEE19head_flag_predicatesEE10hipError_tPvRmT2_T3_T4_T5_mT6_T7_P12ihipStream_tbENKUlT_T0_E_clISt17integral_constantIbLb0EESY_EEDaST_SU_EUlST_E_NS1_11comp_targetILNS1_3genE2ELNS1_11target_archE906ELNS1_3gpuE6ELNS1_3repE0EEENS1_30default_config_static_selectorELNS0_4arch9wavefront6targetE1EEEvT1_
; %bb.0:
	.section	.rodata,"a",@progbits
	.p2align	6, 0x0
	.amdhsa_kernel _ZN7rocprim17ROCPRIM_400000_NS6detail17trampoline_kernelINS0_14default_configENS1_27scan_by_key_config_selectorIssEEZZNS1_16scan_by_key_implILNS1_25lookback_scan_determinismE0ELb1ES3_N6thrust23THRUST_200600_302600_NS6detail15normal_iteratorINS9_10device_ptrIsEEEESE_SE_sNS9_4plusIsEE19head_flag_predicatesEE10hipError_tPvRmT2_T3_T4_T5_mT6_T7_P12ihipStream_tbENKUlT_T0_E_clISt17integral_constantIbLb0EESY_EEDaST_SU_EUlST_E_NS1_11comp_targetILNS1_3genE2ELNS1_11target_archE906ELNS1_3gpuE6ELNS1_3repE0EEENS1_30default_config_static_selectorELNS0_4arch9wavefront6targetE1EEEvT1_
		.amdhsa_group_segment_fixed_size 0
		.amdhsa_private_segment_fixed_size 0
		.amdhsa_kernarg_size 112
		.amdhsa_user_sgpr_count 6
		.amdhsa_user_sgpr_private_segment_buffer 1
		.amdhsa_user_sgpr_dispatch_ptr 0
		.amdhsa_user_sgpr_queue_ptr 0
		.amdhsa_user_sgpr_kernarg_segment_ptr 1
		.amdhsa_user_sgpr_dispatch_id 0
		.amdhsa_user_sgpr_flat_scratch_init 0
		.amdhsa_user_sgpr_kernarg_preload_length 0
		.amdhsa_user_sgpr_kernarg_preload_offset 0
		.amdhsa_user_sgpr_private_segment_size 0
		.amdhsa_uses_dynamic_stack 0
		.amdhsa_system_sgpr_private_segment_wavefront_offset 0
		.amdhsa_system_sgpr_workgroup_id_x 1
		.amdhsa_system_sgpr_workgroup_id_y 0
		.amdhsa_system_sgpr_workgroup_id_z 0
		.amdhsa_system_sgpr_workgroup_info 0
		.amdhsa_system_vgpr_workitem_id 0
		.amdhsa_next_free_vgpr 1
		.amdhsa_next_free_sgpr 0
		.amdhsa_accum_offset 4
		.amdhsa_reserve_vcc 0
		.amdhsa_reserve_flat_scratch 0
		.amdhsa_float_round_mode_32 0
		.amdhsa_float_round_mode_16_64 0
		.amdhsa_float_denorm_mode_32 3
		.amdhsa_float_denorm_mode_16_64 3
		.amdhsa_dx10_clamp 1
		.amdhsa_ieee_mode 1
		.amdhsa_fp16_overflow 0
		.amdhsa_tg_split 0
		.amdhsa_exception_fp_ieee_invalid_op 0
		.amdhsa_exception_fp_denorm_src 0
		.amdhsa_exception_fp_ieee_div_zero 0
		.amdhsa_exception_fp_ieee_overflow 0
		.amdhsa_exception_fp_ieee_underflow 0
		.amdhsa_exception_fp_ieee_inexact 0
		.amdhsa_exception_int_div_zero 0
	.end_amdhsa_kernel
	.section	.text._ZN7rocprim17ROCPRIM_400000_NS6detail17trampoline_kernelINS0_14default_configENS1_27scan_by_key_config_selectorIssEEZZNS1_16scan_by_key_implILNS1_25lookback_scan_determinismE0ELb1ES3_N6thrust23THRUST_200600_302600_NS6detail15normal_iteratorINS9_10device_ptrIsEEEESE_SE_sNS9_4plusIsEE19head_flag_predicatesEE10hipError_tPvRmT2_T3_T4_T5_mT6_T7_P12ihipStream_tbENKUlT_T0_E_clISt17integral_constantIbLb0EESY_EEDaST_SU_EUlST_E_NS1_11comp_targetILNS1_3genE2ELNS1_11target_archE906ELNS1_3gpuE6ELNS1_3repE0EEENS1_30default_config_static_selectorELNS0_4arch9wavefront6targetE1EEEvT1_,"axG",@progbits,_ZN7rocprim17ROCPRIM_400000_NS6detail17trampoline_kernelINS0_14default_configENS1_27scan_by_key_config_selectorIssEEZZNS1_16scan_by_key_implILNS1_25lookback_scan_determinismE0ELb1ES3_N6thrust23THRUST_200600_302600_NS6detail15normal_iteratorINS9_10device_ptrIsEEEESE_SE_sNS9_4plusIsEE19head_flag_predicatesEE10hipError_tPvRmT2_T3_T4_T5_mT6_T7_P12ihipStream_tbENKUlT_T0_E_clISt17integral_constantIbLb0EESY_EEDaST_SU_EUlST_E_NS1_11comp_targetILNS1_3genE2ELNS1_11target_archE906ELNS1_3gpuE6ELNS1_3repE0EEENS1_30default_config_static_selectorELNS0_4arch9wavefront6targetE1EEEvT1_,comdat
.Lfunc_end862:
	.size	_ZN7rocprim17ROCPRIM_400000_NS6detail17trampoline_kernelINS0_14default_configENS1_27scan_by_key_config_selectorIssEEZZNS1_16scan_by_key_implILNS1_25lookback_scan_determinismE0ELb1ES3_N6thrust23THRUST_200600_302600_NS6detail15normal_iteratorINS9_10device_ptrIsEEEESE_SE_sNS9_4plusIsEE19head_flag_predicatesEE10hipError_tPvRmT2_T3_T4_T5_mT6_T7_P12ihipStream_tbENKUlT_T0_E_clISt17integral_constantIbLb0EESY_EEDaST_SU_EUlST_E_NS1_11comp_targetILNS1_3genE2ELNS1_11target_archE906ELNS1_3gpuE6ELNS1_3repE0EEENS1_30default_config_static_selectorELNS0_4arch9wavefront6targetE1EEEvT1_, .Lfunc_end862-_ZN7rocprim17ROCPRIM_400000_NS6detail17trampoline_kernelINS0_14default_configENS1_27scan_by_key_config_selectorIssEEZZNS1_16scan_by_key_implILNS1_25lookback_scan_determinismE0ELb1ES3_N6thrust23THRUST_200600_302600_NS6detail15normal_iteratorINS9_10device_ptrIsEEEESE_SE_sNS9_4plusIsEE19head_flag_predicatesEE10hipError_tPvRmT2_T3_T4_T5_mT6_T7_P12ihipStream_tbENKUlT_T0_E_clISt17integral_constantIbLb0EESY_EEDaST_SU_EUlST_E_NS1_11comp_targetILNS1_3genE2ELNS1_11target_archE906ELNS1_3gpuE6ELNS1_3repE0EEENS1_30default_config_static_selectorELNS0_4arch9wavefront6targetE1EEEvT1_
                                        ; -- End function
	.section	.AMDGPU.csdata,"",@progbits
; Kernel info:
; codeLenInByte = 0
; NumSgprs: 4
; NumVgprs: 0
; NumAgprs: 0
; TotalNumVgprs: 0
; ScratchSize: 0
; MemoryBound: 0
; FloatMode: 240
; IeeeMode: 1
; LDSByteSize: 0 bytes/workgroup (compile time only)
; SGPRBlocks: 0
; VGPRBlocks: 0
; NumSGPRsForWavesPerEU: 4
; NumVGPRsForWavesPerEU: 1
; AccumOffset: 4
; Occupancy: 8
; WaveLimiterHint : 0
; COMPUTE_PGM_RSRC2:SCRATCH_EN: 0
; COMPUTE_PGM_RSRC2:USER_SGPR: 6
; COMPUTE_PGM_RSRC2:TRAP_HANDLER: 0
; COMPUTE_PGM_RSRC2:TGID_X_EN: 1
; COMPUTE_PGM_RSRC2:TGID_Y_EN: 0
; COMPUTE_PGM_RSRC2:TGID_Z_EN: 0
; COMPUTE_PGM_RSRC2:TIDIG_COMP_CNT: 0
; COMPUTE_PGM_RSRC3_GFX90A:ACCUM_OFFSET: 0
; COMPUTE_PGM_RSRC3_GFX90A:TG_SPLIT: 0
	.section	.text._ZN7rocprim17ROCPRIM_400000_NS6detail17trampoline_kernelINS0_14default_configENS1_27scan_by_key_config_selectorIssEEZZNS1_16scan_by_key_implILNS1_25lookback_scan_determinismE0ELb1ES3_N6thrust23THRUST_200600_302600_NS6detail15normal_iteratorINS9_10device_ptrIsEEEESE_SE_sNS9_4plusIsEE19head_flag_predicatesEE10hipError_tPvRmT2_T3_T4_T5_mT6_T7_P12ihipStream_tbENKUlT_T0_E_clISt17integral_constantIbLb0EESY_EEDaST_SU_EUlST_E_NS1_11comp_targetILNS1_3genE10ELNS1_11target_archE1200ELNS1_3gpuE4ELNS1_3repE0EEENS1_30default_config_static_selectorELNS0_4arch9wavefront6targetE1EEEvT1_,"axG",@progbits,_ZN7rocprim17ROCPRIM_400000_NS6detail17trampoline_kernelINS0_14default_configENS1_27scan_by_key_config_selectorIssEEZZNS1_16scan_by_key_implILNS1_25lookback_scan_determinismE0ELb1ES3_N6thrust23THRUST_200600_302600_NS6detail15normal_iteratorINS9_10device_ptrIsEEEESE_SE_sNS9_4plusIsEE19head_flag_predicatesEE10hipError_tPvRmT2_T3_T4_T5_mT6_T7_P12ihipStream_tbENKUlT_T0_E_clISt17integral_constantIbLb0EESY_EEDaST_SU_EUlST_E_NS1_11comp_targetILNS1_3genE10ELNS1_11target_archE1200ELNS1_3gpuE4ELNS1_3repE0EEENS1_30default_config_static_selectorELNS0_4arch9wavefront6targetE1EEEvT1_,comdat
	.protected	_ZN7rocprim17ROCPRIM_400000_NS6detail17trampoline_kernelINS0_14default_configENS1_27scan_by_key_config_selectorIssEEZZNS1_16scan_by_key_implILNS1_25lookback_scan_determinismE0ELb1ES3_N6thrust23THRUST_200600_302600_NS6detail15normal_iteratorINS9_10device_ptrIsEEEESE_SE_sNS9_4plusIsEE19head_flag_predicatesEE10hipError_tPvRmT2_T3_T4_T5_mT6_T7_P12ihipStream_tbENKUlT_T0_E_clISt17integral_constantIbLb0EESY_EEDaST_SU_EUlST_E_NS1_11comp_targetILNS1_3genE10ELNS1_11target_archE1200ELNS1_3gpuE4ELNS1_3repE0EEENS1_30default_config_static_selectorELNS0_4arch9wavefront6targetE1EEEvT1_ ; -- Begin function _ZN7rocprim17ROCPRIM_400000_NS6detail17trampoline_kernelINS0_14default_configENS1_27scan_by_key_config_selectorIssEEZZNS1_16scan_by_key_implILNS1_25lookback_scan_determinismE0ELb1ES3_N6thrust23THRUST_200600_302600_NS6detail15normal_iteratorINS9_10device_ptrIsEEEESE_SE_sNS9_4plusIsEE19head_flag_predicatesEE10hipError_tPvRmT2_T3_T4_T5_mT6_T7_P12ihipStream_tbENKUlT_T0_E_clISt17integral_constantIbLb0EESY_EEDaST_SU_EUlST_E_NS1_11comp_targetILNS1_3genE10ELNS1_11target_archE1200ELNS1_3gpuE4ELNS1_3repE0EEENS1_30default_config_static_selectorELNS0_4arch9wavefront6targetE1EEEvT1_
	.globl	_ZN7rocprim17ROCPRIM_400000_NS6detail17trampoline_kernelINS0_14default_configENS1_27scan_by_key_config_selectorIssEEZZNS1_16scan_by_key_implILNS1_25lookback_scan_determinismE0ELb1ES3_N6thrust23THRUST_200600_302600_NS6detail15normal_iteratorINS9_10device_ptrIsEEEESE_SE_sNS9_4plusIsEE19head_flag_predicatesEE10hipError_tPvRmT2_T3_T4_T5_mT6_T7_P12ihipStream_tbENKUlT_T0_E_clISt17integral_constantIbLb0EESY_EEDaST_SU_EUlST_E_NS1_11comp_targetILNS1_3genE10ELNS1_11target_archE1200ELNS1_3gpuE4ELNS1_3repE0EEENS1_30default_config_static_selectorELNS0_4arch9wavefront6targetE1EEEvT1_
	.p2align	8
	.type	_ZN7rocprim17ROCPRIM_400000_NS6detail17trampoline_kernelINS0_14default_configENS1_27scan_by_key_config_selectorIssEEZZNS1_16scan_by_key_implILNS1_25lookback_scan_determinismE0ELb1ES3_N6thrust23THRUST_200600_302600_NS6detail15normal_iteratorINS9_10device_ptrIsEEEESE_SE_sNS9_4plusIsEE19head_flag_predicatesEE10hipError_tPvRmT2_T3_T4_T5_mT6_T7_P12ihipStream_tbENKUlT_T0_E_clISt17integral_constantIbLb0EESY_EEDaST_SU_EUlST_E_NS1_11comp_targetILNS1_3genE10ELNS1_11target_archE1200ELNS1_3gpuE4ELNS1_3repE0EEENS1_30default_config_static_selectorELNS0_4arch9wavefront6targetE1EEEvT1_,@function
_ZN7rocprim17ROCPRIM_400000_NS6detail17trampoline_kernelINS0_14default_configENS1_27scan_by_key_config_selectorIssEEZZNS1_16scan_by_key_implILNS1_25lookback_scan_determinismE0ELb1ES3_N6thrust23THRUST_200600_302600_NS6detail15normal_iteratorINS9_10device_ptrIsEEEESE_SE_sNS9_4plusIsEE19head_flag_predicatesEE10hipError_tPvRmT2_T3_T4_T5_mT6_T7_P12ihipStream_tbENKUlT_T0_E_clISt17integral_constantIbLb0EESY_EEDaST_SU_EUlST_E_NS1_11comp_targetILNS1_3genE10ELNS1_11target_archE1200ELNS1_3gpuE4ELNS1_3repE0EEENS1_30default_config_static_selectorELNS0_4arch9wavefront6targetE1EEEvT1_: ; @_ZN7rocprim17ROCPRIM_400000_NS6detail17trampoline_kernelINS0_14default_configENS1_27scan_by_key_config_selectorIssEEZZNS1_16scan_by_key_implILNS1_25lookback_scan_determinismE0ELb1ES3_N6thrust23THRUST_200600_302600_NS6detail15normal_iteratorINS9_10device_ptrIsEEEESE_SE_sNS9_4plusIsEE19head_flag_predicatesEE10hipError_tPvRmT2_T3_T4_T5_mT6_T7_P12ihipStream_tbENKUlT_T0_E_clISt17integral_constantIbLb0EESY_EEDaST_SU_EUlST_E_NS1_11comp_targetILNS1_3genE10ELNS1_11target_archE1200ELNS1_3gpuE4ELNS1_3repE0EEENS1_30default_config_static_selectorELNS0_4arch9wavefront6targetE1EEEvT1_
; %bb.0:
	.section	.rodata,"a",@progbits
	.p2align	6, 0x0
	.amdhsa_kernel _ZN7rocprim17ROCPRIM_400000_NS6detail17trampoline_kernelINS0_14default_configENS1_27scan_by_key_config_selectorIssEEZZNS1_16scan_by_key_implILNS1_25lookback_scan_determinismE0ELb1ES3_N6thrust23THRUST_200600_302600_NS6detail15normal_iteratorINS9_10device_ptrIsEEEESE_SE_sNS9_4plusIsEE19head_flag_predicatesEE10hipError_tPvRmT2_T3_T4_T5_mT6_T7_P12ihipStream_tbENKUlT_T0_E_clISt17integral_constantIbLb0EESY_EEDaST_SU_EUlST_E_NS1_11comp_targetILNS1_3genE10ELNS1_11target_archE1200ELNS1_3gpuE4ELNS1_3repE0EEENS1_30default_config_static_selectorELNS0_4arch9wavefront6targetE1EEEvT1_
		.amdhsa_group_segment_fixed_size 0
		.amdhsa_private_segment_fixed_size 0
		.amdhsa_kernarg_size 112
		.amdhsa_user_sgpr_count 6
		.amdhsa_user_sgpr_private_segment_buffer 1
		.amdhsa_user_sgpr_dispatch_ptr 0
		.amdhsa_user_sgpr_queue_ptr 0
		.amdhsa_user_sgpr_kernarg_segment_ptr 1
		.amdhsa_user_sgpr_dispatch_id 0
		.amdhsa_user_sgpr_flat_scratch_init 0
		.amdhsa_user_sgpr_kernarg_preload_length 0
		.amdhsa_user_sgpr_kernarg_preload_offset 0
		.amdhsa_user_sgpr_private_segment_size 0
		.amdhsa_uses_dynamic_stack 0
		.amdhsa_system_sgpr_private_segment_wavefront_offset 0
		.amdhsa_system_sgpr_workgroup_id_x 1
		.amdhsa_system_sgpr_workgroup_id_y 0
		.amdhsa_system_sgpr_workgroup_id_z 0
		.amdhsa_system_sgpr_workgroup_info 0
		.amdhsa_system_vgpr_workitem_id 0
		.amdhsa_next_free_vgpr 1
		.amdhsa_next_free_sgpr 0
		.amdhsa_accum_offset 4
		.amdhsa_reserve_vcc 0
		.amdhsa_reserve_flat_scratch 0
		.amdhsa_float_round_mode_32 0
		.amdhsa_float_round_mode_16_64 0
		.amdhsa_float_denorm_mode_32 3
		.amdhsa_float_denorm_mode_16_64 3
		.amdhsa_dx10_clamp 1
		.amdhsa_ieee_mode 1
		.amdhsa_fp16_overflow 0
		.amdhsa_tg_split 0
		.amdhsa_exception_fp_ieee_invalid_op 0
		.amdhsa_exception_fp_denorm_src 0
		.amdhsa_exception_fp_ieee_div_zero 0
		.amdhsa_exception_fp_ieee_overflow 0
		.amdhsa_exception_fp_ieee_underflow 0
		.amdhsa_exception_fp_ieee_inexact 0
		.amdhsa_exception_int_div_zero 0
	.end_amdhsa_kernel
	.section	.text._ZN7rocprim17ROCPRIM_400000_NS6detail17trampoline_kernelINS0_14default_configENS1_27scan_by_key_config_selectorIssEEZZNS1_16scan_by_key_implILNS1_25lookback_scan_determinismE0ELb1ES3_N6thrust23THRUST_200600_302600_NS6detail15normal_iteratorINS9_10device_ptrIsEEEESE_SE_sNS9_4plusIsEE19head_flag_predicatesEE10hipError_tPvRmT2_T3_T4_T5_mT6_T7_P12ihipStream_tbENKUlT_T0_E_clISt17integral_constantIbLb0EESY_EEDaST_SU_EUlST_E_NS1_11comp_targetILNS1_3genE10ELNS1_11target_archE1200ELNS1_3gpuE4ELNS1_3repE0EEENS1_30default_config_static_selectorELNS0_4arch9wavefront6targetE1EEEvT1_,"axG",@progbits,_ZN7rocprim17ROCPRIM_400000_NS6detail17trampoline_kernelINS0_14default_configENS1_27scan_by_key_config_selectorIssEEZZNS1_16scan_by_key_implILNS1_25lookback_scan_determinismE0ELb1ES3_N6thrust23THRUST_200600_302600_NS6detail15normal_iteratorINS9_10device_ptrIsEEEESE_SE_sNS9_4plusIsEE19head_flag_predicatesEE10hipError_tPvRmT2_T3_T4_T5_mT6_T7_P12ihipStream_tbENKUlT_T0_E_clISt17integral_constantIbLb0EESY_EEDaST_SU_EUlST_E_NS1_11comp_targetILNS1_3genE10ELNS1_11target_archE1200ELNS1_3gpuE4ELNS1_3repE0EEENS1_30default_config_static_selectorELNS0_4arch9wavefront6targetE1EEEvT1_,comdat
.Lfunc_end863:
	.size	_ZN7rocprim17ROCPRIM_400000_NS6detail17trampoline_kernelINS0_14default_configENS1_27scan_by_key_config_selectorIssEEZZNS1_16scan_by_key_implILNS1_25lookback_scan_determinismE0ELb1ES3_N6thrust23THRUST_200600_302600_NS6detail15normal_iteratorINS9_10device_ptrIsEEEESE_SE_sNS9_4plusIsEE19head_flag_predicatesEE10hipError_tPvRmT2_T3_T4_T5_mT6_T7_P12ihipStream_tbENKUlT_T0_E_clISt17integral_constantIbLb0EESY_EEDaST_SU_EUlST_E_NS1_11comp_targetILNS1_3genE10ELNS1_11target_archE1200ELNS1_3gpuE4ELNS1_3repE0EEENS1_30default_config_static_selectorELNS0_4arch9wavefront6targetE1EEEvT1_, .Lfunc_end863-_ZN7rocprim17ROCPRIM_400000_NS6detail17trampoline_kernelINS0_14default_configENS1_27scan_by_key_config_selectorIssEEZZNS1_16scan_by_key_implILNS1_25lookback_scan_determinismE0ELb1ES3_N6thrust23THRUST_200600_302600_NS6detail15normal_iteratorINS9_10device_ptrIsEEEESE_SE_sNS9_4plusIsEE19head_flag_predicatesEE10hipError_tPvRmT2_T3_T4_T5_mT6_T7_P12ihipStream_tbENKUlT_T0_E_clISt17integral_constantIbLb0EESY_EEDaST_SU_EUlST_E_NS1_11comp_targetILNS1_3genE10ELNS1_11target_archE1200ELNS1_3gpuE4ELNS1_3repE0EEENS1_30default_config_static_selectorELNS0_4arch9wavefront6targetE1EEEvT1_
                                        ; -- End function
	.section	.AMDGPU.csdata,"",@progbits
; Kernel info:
; codeLenInByte = 0
; NumSgprs: 4
; NumVgprs: 0
; NumAgprs: 0
; TotalNumVgprs: 0
; ScratchSize: 0
; MemoryBound: 0
; FloatMode: 240
; IeeeMode: 1
; LDSByteSize: 0 bytes/workgroup (compile time only)
; SGPRBlocks: 0
; VGPRBlocks: 0
; NumSGPRsForWavesPerEU: 4
; NumVGPRsForWavesPerEU: 1
; AccumOffset: 4
; Occupancy: 8
; WaveLimiterHint : 0
; COMPUTE_PGM_RSRC2:SCRATCH_EN: 0
; COMPUTE_PGM_RSRC2:USER_SGPR: 6
; COMPUTE_PGM_RSRC2:TRAP_HANDLER: 0
; COMPUTE_PGM_RSRC2:TGID_X_EN: 1
; COMPUTE_PGM_RSRC2:TGID_Y_EN: 0
; COMPUTE_PGM_RSRC2:TGID_Z_EN: 0
; COMPUTE_PGM_RSRC2:TIDIG_COMP_CNT: 0
; COMPUTE_PGM_RSRC3_GFX90A:ACCUM_OFFSET: 0
; COMPUTE_PGM_RSRC3_GFX90A:TG_SPLIT: 0
	.section	.text._ZN7rocprim17ROCPRIM_400000_NS6detail17trampoline_kernelINS0_14default_configENS1_27scan_by_key_config_selectorIssEEZZNS1_16scan_by_key_implILNS1_25lookback_scan_determinismE0ELb1ES3_N6thrust23THRUST_200600_302600_NS6detail15normal_iteratorINS9_10device_ptrIsEEEESE_SE_sNS9_4plusIsEE19head_flag_predicatesEE10hipError_tPvRmT2_T3_T4_T5_mT6_T7_P12ihipStream_tbENKUlT_T0_E_clISt17integral_constantIbLb0EESY_EEDaST_SU_EUlST_E_NS1_11comp_targetILNS1_3genE9ELNS1_11target_archE1100ELNS1_3gpuE3ELNS1_3repE0EEENS1_30default_config_static_selectorELNS0_4arch9wavefront6targetE1EEEvT1_,"axG",@progbits,_ZN7rocprim17ROCPRIM_400000_NS6detail17trampoline_kernelINS0_14default_configENS1_27scan_by_key_config_selectorIssEEZZNS1_16scan_by_key_implILNS1_25lookback_scan_determinismE0ELb1ES3_N6thrust23THRUST_200600_302600_NS6detail15normal_iteratorINS9_10device_ptrIsEEEESE_SE_sNS9_4plusIsEE19head_flag_predicatesEE10hipError_tPvRmT2_T3_T4_T5_mT6_T7_P12ihipStream_tbENKUlT_T0_E_clISt17integral_constantIbLb0EESY_EEDaST_SU_EUlST_E_NS1_11comp_targetILNS1_3genE9ELNS1_11target_archE1100ELNS1_3gpuE3ELNS1_3repE0EEENS1_30default_config_static_selectorELNS0_4arch9wavefront6targetE1EEEvT1_,comdat
	.protected	_ZN7rocprim17ROCPRIM_400000_NS6detail17trampoline_kernelINS0_14default_configENS1_27scan_by_key_config_selectorIssEEZZNS1_16scan_by_key_implILNS1_25lookback_scan_determinismE0ELb1ES3_N6thrust23THRUST_200600_302600_NS6detail15normal_iteratorINS9_10device_ptrIsEEEESE_SE_sNS9_4plusIsEE19head_flag_predicatesEE10hipError_tPvRmT2_T3_T4_T5_mT6_T7_P12ihipStream_tbENKUlT_T0_E_clISt17integral_constantIbLb0EESY_EEDaST_SU_EUlST_E_NS1_11comp_targetILNS1_3genE9ELNS1_11target_archE1100ELNS1_3gpuE3ELNS1_3repE0EEENS1_30default_config_static_selectorELNS0_4arch9wavefront6targetE1EEEvT1_ ; -- Begin function _ZN7rocprim17ROCPRIM_400000_NS6detail17trampoline_kernelINS0_14default_configENS1_27scan_by_key_config_selectorIssEEZZNS1_16scan_by_key_implILNS1_25lookback_scan_determinismE0ELb1ES3_N6thrust23THRUST_200600_302600_NS6detail15normal_iteratorINS9_10device_ptrIsEEEESE_SE_sNS9_4plusIsEE19head_flag_predicatesEE10hipError_tPvRmT2_T3_T4_T5_mT6_T7_P12ihipStream_tbENKUlT_T0_E_clISt17integral_constantIbLb0EESY_EEDaST_SU_EUlST_E_NS1_11comp_targetILNS1_3genE9ELNS1_11target_archE1100ELNS1_3gpuE3ELNS1_3repE0EEENS1_30default_config_static_selectorELNS0_4arch9wavefront6targetE1EEEvT1_
	.globl	_ZN7rocprim17ROCPRIM_400000_NS6detail17trampoline_kernelINS0_14default_configENS1_27scan_by_key_config_selectorIssEEZZNS1_16scan_by_key_implILNS1_25lookback_scan_determinismE0ELb1ES3_N6thrust23THRUST_200600_302600_NS6detail15normal_iteratorINS9_10device_ptrIsEEEESE_SE_sNS9_4plusIsEE19head_flag_predicatesEE10hipError_tPvRmT2_T3_T4_T5_mT6_T7_P12ihipStream_tbENKUlT_T0_E_clISt17integral_constantIbLb0EESY_EEDaST_SU_EUlST_E_NS1_11comp_targetILNS1_3genE9ELNS1_11target_archE1100ELNS1_3gpuE3ELNS1_3repE0EEENS1_30default_config_static_selectorELNS0_4arch9wavefront6targetE1EEEvT1_
	.p2align	8
	.type	_ZN7rocprim17ROCPRIM_400000_NS6detail17trampoline_kernelINS0_14default_configENS1_27scan_by_key_config_selectorIssEEZZNS1_16scan_by_key_implILNS1_25lookback_scan_determinismE0ELb1ES3_N6thrust23THRUST_200600_302600_NS6detail15normal_iteratorINS9_10device_ptrIsEEEESE_SE_sNS9_4plusIsEE19head_flag_predicatesEE10hipError_tPvRmT2_T3_T4_T5_mT6_T7_P12ihipStream_tbENKUlT_T0_E_clISt17integral_constantIbLb0EESY_EEDaST_SU_EUlST_E_NS1_11comp_targetILNS1_3genE9ELNS1_11target_archE1100ELNS1_3gpuE3ELNS1_3repE0EEENS1_30default_config_static_selectorELNS0_4arch9wavefront6targetE1EEEvT1_,@function
_ZN7rocprim17ROCPRIM_400000_NS6detail17trampoline_kernelINS0_14default_configENS1_27scan_by_key_config_selectorIssEEZZNS1_16scan_by_key_implILNS1_25lookback_scan_determinismE0ELb1ES3_N6thrust23THRUST_200600_302600_NS6detail15normal_iteratorINS9_10device_ptrIsEEEESE_SE_sNS9_4plusIsEE19head_flag_predicatesEE10hipError_tPvRmT2_T3_T4_T5_mT6_T7_P12ihipStream_tbENKUlT_T0_E_clISt17integral_constantIbLb0EESY_EEDaST_SU_EUlST_E_NS1_11comp_targetILNS1_3genE9ELNS1_11target_archE1100ELNS1_3gpuE3ELNS1_3repE0EEENS1_30default_config_static_selectorELNS0_4arch9wavefront6targetE1EEEvT1_: ; @_ZN7rocprim17ROCPRIM_400000_NS6detail17trampoline_kernelINS0_14default_configENS1_27scan_by_key_config_selectorIssEEZZNS1_16scan_by_key_implILNS1_25lookback_scan_determinismE0ELb1ES3_N6thrust23THRUST_200600_302600_NS6detail15normal_iteratorINS9_10device_ptrIsEEEESE_SE_sNS9_4plusIsEE19head_flag_predicatesEE10hipError_tPvRmT2_T3_T4_T5_mT6_T7_P12ihipStream_tbENKUlT_T0_E_clISt17integral_constantIbLb0EESY_EEDaST_SU_EUlST_E_NS1_11comp_targetILNS1_3genE9ELNS1_11target_archE1100ELNS1_3gpuE3ELNS1_3repE0EEENS1_30default_config_static_selectorELNS0_4arch9wavefront6targetE1EEEvT1_
; %bb.0:
	.section	.rodata,"a",@progbits
	.p2align	6, 0x0
	.amdhsa_kernel _ZN7rocprim17ROCPRIM_400000_NS6detail17trampoline_kernelINS0_14default_configENS1_27scan_by_key_config_selectorIssEEZZNS1_16scan_by_key_implILNS1_25lookback_scan_determinismE0ELb1ES3_N6thrust23THRUST_200600_302600_NS6detail15normal_iteratorINS9_10device_ptrIsEEEESE_SE_sNS9_4plusIsEE19head_flag_predicatesEE10hipError_tPvRmT2_T3_T4_T5_mT6_T7_P12ihipStream_tbENKUlT_T0_E_clISt17integral_constantIbLb0EESY_EEDaST_SU_EUlST_E_NS1_11comp_targetILNS1_3genE9ELNS1_11target_archE1100ELNS1_3gpuE3ELNS1_3repE0EEENS1_30default_config_static_selectorELNS0_4arch9wavefront6targetE1EEEvT1_
		.amdhsa_group_segment_fixed_size 0
		.amdhsa_private_segment_fixed_size 0
		.amdhsa_kernarg_size 112
		.amdhsa_user_sgpr_count 6
		.amdhsa_user_sgpr_private_segment_buffer 1
		.amdhsa_user_sgpr_dispatch_ptr 0
		.amdhsa_user_sgpr_queue_ptr 0
		.amdhsa_user_sgpr_kernarg_segment_ptr 1
		.amdhsa_user_sgpr_dispatch_id 0
		.amdhsa_user_sgpr_flat_scratch_init 0
		.amdhsa_user_sgpr_kernarg_preload_length 0
		.amdhsa_user_sgpr_kernarg_preload_offset 0
		.amdhsa_user_sgpr_private_segment_size 0
		.amdhsa_uses_dynamic_stack 0
		.amdhsa_system_sgpr_private_segment_wavefront_offset 0
		.amdhsa_system_sgpr_workgroup_id_x 1
		.amdhsa_system_sgpr_workgroup_id_y 0
		.amdhsa_system_sgpr_workgroup_id_z 0
		.amdhsa_system_sgpr_workgroup_info 0
		.amdhsa_system_vgpr_workitem_id 0
		.amdhsa_next_free_vgpr 1
		.amdhsa_next_free_sgpr 0
		.amdhsa_accum_offset 4
		.amdhsa_reserve_vcc 0
		.amdhsa_reserve_flat_scratch 0
		.amdhsa_float_round_mode_32 0
		.amdhsa_float_round_mode_16_64 0
		.amdhsa_float_denorm_mode_32 3
		.amdhsa_float_denorm_mode_16_64 3
		.amdhsa_dx10_clamp 1
		.amdhsa_ieee_mode 1
		.amdhsa_fp16_overflow 0
		.amdhsa_tg_split 0
		.amdhsa_exception_fp_ieee_invalid_op 0
		.amdhsa_exception_fp_denorm_src 0
		.amdhsa_exception_fp_ieee_div_zero 0
		.amdhsa_exception_fp_ieee_overflow 0
		.amdhsa_exception_fp_ieee_underflow 0
		.amdhsa_exception_fp_ieee_inexact 0
		.amdhsa_exception_int_div_zero 0
	.end_amdhsa_kernel
	.section	.text._ZN7rocprim17ROCPRIM_400000_NS6detail17trampoline_kernelINS0_14default_configENS1_27scan_by_key_config_selectorIssEEZZNS1_16scan_by_key_implILNS1_25lookback_scan_determinismE0ELb1ES3_N6thrust23THRUST_200600_302600_NS6detail15normal_iteratorINS9_10device_ptrIsEEEESE_SE_sNS9_4plusIsEE19head_flag_predicatesEE10hipError_tPvRmT2_T3_T4_T5_mT6_T7_P12ihipStream_tbENKUlT_T0_E_clISt17integral_constantIbLb0EESY_EEDaST_SU_EUlST_E_NS1_11comp_targetILNS1_3genE9ELNS1_11target_archE1100ELNS1_3gpuE3ELNS1_3repE0EEENS1_30default_config_static_selectorELNS0_4arch9wavefront6targetE1EEEvT1_,"axG",@progbits,_ZN7rocprim17ROCPRIM_400000_NS6detail17trampoline_kernelINS0_14default_configENS1_27scan_by_key_config_selectorIssEEZZNS1_16scan_by_key_implILNS1_25lookback_scan_determinismE0ELb1ES3_N6thrust23THRUST_200600_302600_NS6detail15normal_iteratorINS9_10device_ptrIsEEEESE_SE_sNS9_4plusIsEE19head_flag_predicatesEE10hipError_tPvRmT2_T3_T4_T5_mT6_T7_P12ihipStream_tbENKUlT_T0_E_clISt17integral_constantIbLb0EESY_EEDaST_SU_EUlST_E_NS1_11comp_targetILNS1_3genE9ELNS1_11target_archE1100ELNS1_3gpuE3ELNS1_3repE0EEENS1_30default_config_static_selectorELNS0_4arch9wavefront6targetE1EEEvT1_,comdat
.Lfunc_end864:
	.size	_ZN7rocprim17ROCPRIM_400000_NS6detail17trampoline_kernelINS0_14default_configENS1_27scan_by_key_config_selectorIssEEZZNS1_16scan_by_key_implILNS1_25lookback_scan_determinismE0ELb1ES3_N6thrust23THRUST_200600_302600_NS6detail15normal_iteratorINS9_10device_ptrIsEEEESE_SE_sNS9_4plusIsEE19head_flag_predicatesEE10hipError_tPvRmT2_T3_T4_T5_mT6_T7_P12ihipStream_tbENKUlT_T0_E_clISt17integral_constantIbLb0EESY_EEDaST_SU_EUlST_E_NS1_11comp_targetILNS1_3genE9ELNS1_11target_archE1100ELNS1_3gpuE3ELNS1_3repE0EEENS1_30default_config_static_selectorELNS0_4arch9wavefront6targetE1EEEvT1_, .Lfunc_end864-_ZN7rocprim17ROCPRIM_400000_NS6detail17trampoline_kernelINS0_14default_configENS1_27scan_by_key_config_selectorIssEEZZNS1_16scan_by_key_implILNS1_25lookback_scan_determinismE0ELb1ES3_N6thrust23THRUST_200600_302600_NS6detail15normal_iteratorINS9_10device_ptrIsEEEESE_SE_sNS9_4plusIsEE19head_flag_predicatesEE10hipError_tPvRmT2_T3_T4_T5_mT6_T7_P12ihipStream_tbENKUlT_T0_E_clISt17integral_constantIbLb0EESY_EEDaST_SU_EUlST_E_NS1_11comp_targetILNS1_3genE9ELNS1_11target_archE1100ELNS1_3gpuE3ELNS1_3repE0EEENS1_30default_config_static_selectorELNS0_4arch9wavefront6targetE1EEEvT1_
                                        ; -- End function
	.section	.AMDGPU.csdata,"",@progbits
; Kernel info:
; codeLenInByte = 0
; NumSgprs: 4
; NumVgprs: 0
; NumAgprs: 0
; TotalNumVgprs: 0
; ScratchSize: 0
; MemoryBound: 0
; FloatMode: 240
; IeeeMode: 1
; LDSByteSize: 0 bytes/workgroup (compile time only)
; SGPRBlocks: 0
; VGPRBlocks: 0
; NumSGPRsForWavesPerEU: 4
; NumVGPRsForWavesPerEU: 1
; AccumOffset: 4
; Occupancy: 8
; WaveLimiterHint : 0
; COMPUTE_PGM_RSRC2:SCRATCH_EN: 0
; COMPUTE_PGM_RSRC2:USER_SGPR: 6
; COMPUTE_PGM_RSRC2:TRAP_HANDLER: 0
; COMPUTE_PGM_RSRC2:TGID_X_EN: 1
; COMPUTE_PGM_RSRC2:TGID_Y_EN: 0
; COMPUTE_PGM_RSRC2:TGID_Z_EN: 0
; COMPUTE_PGM_RSRC2:TIDIG_COMP_CNT: 0
; COMPUTE_PGM_RSRC3_GFX90A:ACCUM_OFFSET: 0
; COMPUTE_PGM_RSRC3_GFX90A:TG_SPLIT: 0
	.section	.text._ZN7rocprim17ROCPRIM_400000_NS6detail17trampoline_kernelINS0_14default_configENS1_27scan_by_key_config_selectorIssEEZZNS1_16scan_by_key_implILNS1_25lookback_scan_determinismE0ELb1ES3_N6thrust23THRUST_200600_302600_NS6detail15normal_iteratorINS9_10device_ptrIsEEEESE_SE_sNS9_4plusIsEE19head_flag_predicatesEE10hipError_tPvRmT2_T3_T4_T5_mT6_T7_P12ihipStream_tbENKUlT_T0_E_clISt17integral_constantIbLb0EESY_EEDaST_SU_EUlST_E_NS1_11comp_targetILNS1_3genE8ELNS1_11target_archE1030ELNS1_3gpuE2ELNS1_3repE0EEENS1_30default_config_static_selectorELNS0_4arch9wavefront6targetE1EEEvT1_,"axG",@progbits,_ZN7rocprim17ROCPRIM_400000_NS6detail17trampoline_kernelINS0_14default_configENS1_27scan_by_key_config_selectorIssEEZZNS1_16scan_by_key_implILNS1_25lookback_scan_determinismE0ELb1ES3_N6thrust23THRUST_200600_302600_NS6detail15normal_iteratorINS9_10device_ptrIsEEEESE_SE_sNS9_4plusIsEE19head_flag_predicatesEE10hipError_tPvRmT2_T3_T4_T5_mT6_T7_P12ihipStream_tbENKUlT_T0_E_clISt17integral_constantIbLb0EESY_EEDaST_SU_EUlST_E_NS1_11comp_targetILNS1_3genE8ELNS1_11target_archE1030ELNS1_3gpuE2ELNS1_3repE0EEENS1_30default_config_static_selectorELNS0_4arch9wavefront6targetE1EEEvT1_,comdat
	.protected	_ZN7rocprim17ROCPRIM_400000_NS6detail17trampoline_kernelINS0_14default_configENS1_27scan_by_key_config_selectorIssEEZZNS1_16scan_by_key_implILNS1_25lookback_scan_determinismE0ELb1ES3_N6thrust23THRUST_200600_302600_NS6detail15normal_iteratorINS9_10device_ptrIsEEEESE_SE_sNS9_4plusIsEE19head_flag_predicatesEE10hipError_tPvRmT2_T3_T4_T5_mT6_T7_P12ihipStream_tbENKUlT_T0_E_clISt17integral_constantIbLb0EESY_EEDaST_SU_EUlST_E_NS1_11comp_targetILNS1_3genE8ELNS1_11target_archE1030ELNS1_3gpuE2ELNS1_3repE0EEENS1_30default_config_static_selectorELNS0_4arch9wavefront6targetE1EEEvT1_ ; -- Begin function _ZN7rocprim17ROCPRIM_400000_NS6detail17trampoline_kernelINS0_14default_configENS1_27scan_by_key_config_selectorIssEEZZNS1_16scan_by_key_implILNS1_25lookback_scan_determinismE0ELb1ES3_N6thrust23THRUST_200600_302600_NS6detail15normal_iteratorINS9_10device_ptrIsEEEESE_SE_sNS9_4plusIsEE19head_flag_predicatesEE10hipError_tPvRmT2_T3_T4_T5_mT6_T7_P12ihipStream_tbENKUlT_T0_E_clISt17integral_constantIbLb0EESY_EEDaST_SU_EUlST_E_NS1_11comp_targetILNS1_3genE8ELNS1_11target_archE1030ELNS1_3gpuE2ELNS1_3repE0EEENS1_30default_config_static_selectorELNS0_4arch9wavefront6targetE1EEEvT1_
	.globl	_ZN7rocprim17ROCPRIM_400000_NS6detail17trampoline_kernelINS0_14default_configENS1_27scan_by_key_config_selectorIssEEZZNS1_16scan_by_key_implILNS1_25lookback_scan_determinismE0ELb1ES3_N6thrust23THRUST_200600_302600_NS6detail15normal_iteratorINS9_10device_ptrIsEEEESE_SE_sNS9_4plusIsEE19head_flag_predicatesEE10hipError_tPvRmT2_T3_T4_T5_mT6_T7_P12ihipStream_tbENKUlT_T0_E_clISt17integral_constantIbLb0EESY_EEDaST_SU_EUlST_E_NS1_11comp_targetILNS1_3genE8ELNS1_11target_archE1030ELNS1_3gpuE2ELNS1_3repE0EEENS1_30default_config_static_selectorELNS0_4arch9wavefront6targetE1EEEvT1_
	.p2align	8
	.type	_ZN7rocprim17ROCPRIM_400000_NS6detail17trampoline_kernelINS0_14default_configENS1_27scan_by_key_config_selectorIssEEZZNS1_16scan_by_key_implILNS1_25lookback_scan_determinismE0ELb1ES3_N6thrust23THRUST_200600_302600_NS6detail15normal_iteratorINS9_10device_ptrIsEEEESE_SE_sNS9_4plusIsEE19head_flag_predicatesEE10hipError_tPvRmT2_T3_T4_T5_mT6_T7_P12ihipStream_tbENKUlT_T0_E_clISt17integral_constantIbLb0EESY_EEDaST_SU_EUlST_E_NS1_11comp_targetILNS1_3genE8ELNS1_11target_archE1030ELNS1_3gpuE2ELNS1_3repE0EEENS1_30default_config_static_selectorELNS0_4arch9wavefront6targetE1EEEvT1_,@function
_ZN7rocprim17ROCPRIM_400000_NS6detail17trampoline_kernelINS0_14default_configENS1_27scan_by_key_config_selectorIssEEZZNS1_16scan_by_key_implILNS1_25lookback_scan_determinismE0ELb1ES3_N6thrust23THRUST_200600_302600_NS6detail15normal_iteratorINS9_10device_ptrIsEEEESE_SE_sNS9_4plusIsEE19head_flag_predicatesEE10hipError_tPvRmT2_T3_T4_T5_mT6_T7_P12ihipStream_tbENKUlT_T0_E_clISt17integral_constantIbLb0EESY_EEDaST_SU_EUlST_E_NS1_11comp_targetILNS1_3genE8ELNS1_11target_archE1030ELNS1_3gpuE2ELNS1_3repE0EEENS1_30default_config_static_selectorELNS0_4arch9wavefront6targetE1EEEvT1_: ; @_ZN7rocprim17ROCPRIM_400000_NS6detail17trampoline_kernelINS0_14default_configENS1_27scan_by_key_config_selectorIssEEZZNS1_16scan_by_key_implILNS1_25lookback_scan_determinismE0ELb1ES3_N6thrust23THRUST_200600_302600_NS6detail15normal_iteratorINS9_10device_ptrIsEEEESE_SE_sNS9_4plusIsEE19head_flag_predicatesEE10hipError_tPvRmT2_T3_T4_T5_mT6_T7_P12ihipStream_tbENKUlT_T0_E_clISt17integral_constantIbLb0EESY_EEDaST_SU_EUlST_E_NS1_11comp_targetILNS1_3genE8ELNS1_11target_archE1030ELNS1_3gpuE2ELNS1_3repE0EEENS1_30default_config_static_selectorELNS0_4arch9wavefront6targetE1EEEvT1_
; %bb.0:
	.section	.rodata,"a",@progbits
	.p2align	6, 0x0
	.amdhsa_kernel _ZN7rocprim17ROCPRIM_400000_NS6detail17trampoline_kernelINS0_14default_configENS1_27scan_by_key_config_selectorIssEEZZNS1_16scan_by_key_implILNS1_25lookback_scan_determinismE0ELb1ES3_N6thrust23THRUST_200600_302600_NS6detail15normal_iteratorINS9_10device_ptrIsEEEESE_SE_sNS9_4plusIsEE19head_flag_predicatesEE10hipError_tPvRmT2_T3_T4_T5_mT6_T7_P12ihipStream_tbENKUlT_T0_E_clISt17integral_constantIbLb0EESY_EEDaST_SU_EUlST_E_NS1_11comp_targetILNS1_3genE8ELNS1_11target_archE1030ELNS1_3gpuE2ELNS1_3repE0EEENS1_30default_config_static_selectorELNS0_4arch9wavefront6targetE1EEEvT1_
		.amdhsa_group_segment_fixed_size 0
		.amdhsa_private_segment_fixed_size 0
		.amdhsa_kernarg_size 112
		.amdhsa_user_sgpr_count 6
		.amdhsa_user_sgpr_private_segment_buffer 1
		.amdhsa_user_sgpr_dispatch_ptr 0
		.amdhsa_user_sgpr_queue_ptr 0
		.amdhsa_user_sgpr_kernarg_segment_ptr 1
		.amdhsa_user_sgpr_dispatch_id 0
		.amdhsa_user_sgpr_flat_scratch_init 0
		.amdhsa_user_sgpr_kernarg_preload_length 0
		.amdhsa_user_sgpr_kernarg_preload_offset 0
		.amdhsa_user_sgpr_private_segment_size 0
		.amdhsa_uses_dynamic_stack 0
		.amdhsa_system_sgpr_private_segment_wavefront_offset 0
		.amdhsa_system_sgpr_workgroup_id_x 1
		.amdhsa_system_sgpr_workgroup_id_y 0
		.amdhsa_system_sgpr_workgroup_id_z 0
		.amdhsa_system_sgpr_workgroup_info 0
		.amdhsa_system_vgpr_workitem_id 0
		.amdhsa_next_free_vgpr 1
		.amdhsa_next_free_sgpr 0
		.amdhsa_accum_offset 4
		.amdhsa_reserve_vcc 0
		.amdhsa_reserve_flat_scratch 0
		.amdhsa_float_round_mode_32 0
		.amdhsa_float_round_mode_16_64 0
		.amdhsa_float_denorm_mode_32 3
		.amdhsa_float_denorm_mode_16_64 3
		.amdhsa_dx10_clamp 1
		.amdhsa_ieee_mode 1
		.amdhsa_fp16_overflow 0
		.amdhsa_tg_split 0
		.amdhsa_exception_fp_ieee_invalid_op 0
		.amdhsa_exception_fp_denorm_src 0
		.amdhsa_exception_fp_ieee_div_zero 0
		.amdhsa_exception_fp_ieee_overflow 0
		.amdhsa_exception_fp_ieee_underflow 0
		.amdhsa_exception_fp_ieee_inexact 0
		.amdhsa_exception_int_div_zero 0
	.end_amdhsa_kernel
	.section	.text._ZN7rocprim17ROCPRIM_400000_NS6detail17trampoline_kernelINS0_14default_configENS1_27scan_by_key_config_selectorIssEEZZNS1_16scan_by_key_implILNS1_25lookback_scan_determinismE0ELb1ES3_N6thrust23THRUST_200600_302600_NS6detail15normal_iteratorINS9_10device_ptrIsEEEESE_SE_sNS9_4plusIsEE19head_flag_predicatesEE10hipError_tPvRmT2_T3_T4_T5_mT6_T7_P12ihipStream_tbENKUlT_T0_E_clISt17integral_constantIbLb0EESY_EEDaST_SU_EUlST_E_NS1_11comp_targetILNS1_3genE8ELNS1_11target_archE1030ELNS1_3gpuE2ELNS1_3repE0EEENS1_30default_config_static_selectorELNS0_4arch9wavefront6targetE1EEEvT1_,"axG",@progbits,_ZN7rocprim17ROCPRIM_400000_NS6detail17trampoline_kernelINS0_14default_configENS1_27scan_by_key_config_selectorIssEEZZNS1_16scan_by_key_implILNS1_25lookback_scan_determinismE0ELb1ES3_N6thrust23THRUST_200600_302600_NS6detail15normal_iteratorINS9_10device_ptrIsEEEESE_SE_sNS9_4plusIsEE19head_flag_predicatesEE10hipError_tPvRmT2_T3_T4_T5_mT6_T7_P12ihipStream_tbENKUlT_T0_E_clISt17integral_constantIbLb0EESY_EEDaST_SU_EUlST_E_NS1_11comp_targetILNS1_3genE8ELNS1_11target_archE1030ELNS1_3gpuE2ELNS1_3repE0EEENS1_30default_config_static_selectorELNS0_4arch9wavefront6targetE1EEEvT1_,comdat
.Lfunc_end865:
	.size	_ZN7rocprim17ROCPRIM_400000_NS6detail17trampoline_kernelINS0_14default_configENS1_27scan_by_key_config_selectorIssEEZZNS1_16scan_by_key_implILNS1_25lookback_scan_determinismE0ELb1ES3_N6thrust23THRUST_200600_302600_NS6detail15normal_iteratorINS9_10device_ptrIsEEEESE_SE_sNS9_4plusIsEE19head_flag_predicatesEE10hipError_tPvRmT2_T3_T4_T5_mT6_T7_P12ihipStream_tbENKUlT_T0_E_clISt17integral_constantIbLb0EESY_EEDaST_SU_EUlST_E_NS1_11comp_targetILNS1_3genE8ELNS1_11target_archE1030ELNS1_3gpuE2ELNS1_3repE0EEENS1_30default_config_static_selectorELNS0_4arch9wavefront6targetE1EEEvT1_, .Lfunc_end865-_ZN7rocprim17ROCPRIM_400000_NS6detail17trampoline_kernelINS0_14default_configENS1_27scan_by_key_config_selectorIssEEZZNS1_16scan_by_key_implILNS1_25lookback_scan_determinismE0ELb1ES3_N6thrust23THRUST_200600_302600_NS6detail15normal_iteratorINS9_10device_ptrIsEEEESE_SE_sNS9_4plusIsEE19head_flag_predicatesEE10hipError_tPvRmT2_T3_T4_T5_mT6_T7_P12ihipStream_tbENKUlT_T0_E_clISt17integral_constantIbLb0EESY_EEDaST_SU_EUlST_E_NS1_11comp_targetILNS1_3genE8ELNS1_11target_archE1030ELNS1_3gpuE2ELNS1_3repE0EEENS1_30default_config_static_selectorELNS0_4arch9wavefront6targetE1EEEvT1_
                                        ; -- End function
	.section	.AMDGPU.csdata,"",@progbits
; Kernel info:
; codeLenInByte = 0
; NumSgprs: 4
; NumVgprs: 0
; NumAgprs: 0
; TotalNumVgprs: 0
; ScratchSize: 0
; MemoryBound: 0
; FloatMode: 240
; IeeeMode: 1
; LDSByteSize: 0 bytes/workgroup (compile time only)
; SGPRBlocks: 0
; VGPRBlocks: 0
; NumSGPRsForWavesPerEU: 4
; NumVGPRsForWavesPerEU: 1
; AccumOffset: 4
; Occupancy: 8
; WaveLimiterHint : 0
; COMPUTE_PGM_RSRC2:SCRATCH_EN: 0
; COMPUTE_PGM_RSRC2:USER_SGPR: 6
; COMPUTE_PGM_RSRC2:TRAP_HANDLER: 0
; COMPUTE_PGM_RSRC2:TGID_X_EN: 1
; COMPUTE_PGM_RSRC2:TGID_Y_EN: 0
; COMPUTE_PGM_RSRC2:TGID_Z_EN: 0
; COMPUTE_PGM_RSRC2:TIDIG_COMP_CNT: 0
; COMPUTE_PGM_RSRC3_GFX90A:ACCUM_OFFSET: 0
; COMPUTE_PGM_RSRC3_GFX90A:TG_SPLIT: 0
	.section	.text._ZN7rocprim17ROCPRIM_400000_NS6detail17trampoline_kernelINS0_14default_configENS1_27scan_by_key_config_selectorIssEEZZNS1_16scan_by_key_implILNS1_25lookback_scan_determinismE0ELb1ES3_N6thrust23THRUST_200600_302600_NS6detail15normal_iteratorINS9_10device_ptrIsEEEESE_SE_sNS9_4plusIsEE19head_flag_predicatesEE10hipError_tPvRmT2_T3_T4_T5_mT6_T7_P12ihipStream_tbENKUlT_T0_E_clISt17integral_constantIbLb1EESY_EEDaST_SU_EUlST_E_NS1_11comp_targetILNS1_3genE0ELNS1_11target_archE4294967295ELNS1_3gpuE0ELNS1_3repE0EEENS1_30default_config_static_selectorELNS0_4arch9wavefront6targetE1EEEvT1_,"axG",@progbits,_ZN7rocprim17ROCPRIM_400000_NS6detail17trampoline_kernelINS0_14default_configENS1_27scan_by_key_config_selectorIssEEZZNS1_16scan_by_key_implILNS1_25lookback_scan_determinismE0ELb1ES3_N6thrust23THRUST_200600_302600_NS6detail15normal_iteratorINS9_10device_ptrIsEEEESE_SE_sNS9_4plusIsEE19head_flag_predicatesEE10hipError_tPvRmT2_T3_T4_T5_mT6_T7_P12ihipStream_tbENKUlT_T0_E_clISt17integral_constantIbLb1EESY_EEDaST_SU_EUlST_E_NS1_11comp_targetILNS1_3genE0ELNS1_11target_archE4294967295ELNS1_3gpuE0ELNS1_3repE0EEENS1_30default_config_static_selectorELNS0_4arch9wavefront6targetE1EEEvT1_,comdat
	.protected	_ZN7rocprim17ROCPRIM_400000_NS6detail17trampoline_kernelINS0_14default_configENS1_27scan_by_key_config_selectorIssEEZZNS1_16scan_by_key_implILNS1_25lookback_scan_determinismE0ELb1ES3_N6thrust23THRUST_200600_302600_NS6detail15normal_iteratorINS9_10device_ptrIsEEEESE_SE_sNS9_4plusIsEE19head_flag_predicatesEE10hipError_tPvRmT2_T3_T4_T5_mT6_T7_P12ihipStream_tbENKUlT_T0_E_clISt17integral_constantIbLb1EESY_EEDaST_SU_EUlST_E_NS1_11comp_targetILNS1_3genE0ELNS1_11target_archE4294967295ELNS1_3gpuE0ELNS1_3repE0EEENS1_30default_config_static_selectorELNS0_4arch9wavefront6targetE1EEEvT1_ ; -- Begin function _ZN7rocprim17ROCPRIM_400000_NS6detail17trampoline_kernelINS0_14default_configENS1_27scan_by_key_config_selectorIssEEZZNS1_16scan_by_key_implILNS1_25lookback_scan_determinismE0ELb1ES3_N6thrust23THRUST_200600_302600_NS6detail15normal_iteratorINS9_10device_ptrIsEEEESE_SE_sNS9_4plusIsEE19head_flag_predicatesEE10hipError_tPvRmT2_T3_T4_T5_mT6_T7_P12ihipStream_tbENKUlT_T0_E_clISt17integral_constantIbLb1EESY_EEDaST_SU_EUlST_E_NS1_11comp_targetILNS1_3genE0ELNS1_11target_archE4294967295ELNS1_3gpuE0ELNS1_3repE0EEENS1_30default_config_static_selectorELNS0_4arch9wavefront6targetE1EEEvT1_
	.globl	_ZN7rocprim17ROCPRIM_400000_NS6detail17trampoline_kernelINS0_14default_configENS1_27scan_by_key_config_selectorIssEEZZNS1_16scan_by_key_implILNS1_25lookback_scan_determinismE0ELb1ES3_N6thrust23THRUST_200600_302600_NS6detail15normal_iteratorINS9_10device_ptrIsEEEESE_SE_sNS9_4plusIsEE19head_flag_predicatesEE10hipError_tPvRmT2_T3_T4_T5_mT6_T7_P12ihipStream_tbENKUlT_T0_E_clISt17integral_constantIbLb1EESY_EEDaST_SU_EUlST_E_NS1_11comp_targetILNS1_3genE0ELNS1_11target_archE4294967295ELNS1_3gpuE0ELNS1_3repE0EEENS1_30default_config_static_selectorELNS0_4arch9wavefront6targetE1EEEvT1_
	.p2align	8
	.type	_ZN7rocprim17ROCPRIM_400000_NS6detail17trampoline_kernelINS0_14default_configENS1_27scan_by_key_config_selectorIssEEZZNS1_16scan_by_key_implILNS1_25lookback_scan_determinismE0ELb1ES3_N6thrust23THRUST_200600_302600_NS6detail15normal_iteratorINS9_10device_ptrIsEEEESE_SE_sNS9_4plusIsEE19head_flag_predicatesEE10hipError_tPvRmT2_T3_T4_T5_mT6_T7_P12ihipStream_tbENKUlT_T0_E_clISt17integral_constantIbLb1EESY_EEDaST_SU_EUlST_E_NS1_11comp_targetILNS1_3genE0ELNS1_11target_archE4294967295ELNS1_3gpuE0ELNS1_3repE0EEENS1_30default_config_static_selectorELNS0_4arch9wavefront6targetE1EEEvT1_,@function
_ZN7rocprim17ROCPRIM_400000_NS6detail17trampoline_kernelINS0_14default_configENS1_27scan_by_key_config_selectorIssEEZZNS1_16scan_by_key_implILNS1_25lookback_scan_determinismE0ELb1ES3_N6thrust23THRUST_200600_302600_NS6detail15normal_iteratorINS9_10device_ptrIsEEEESE_SE_sNS9_4plusIsEE19head_flag_predicatesEE10hipError_tPvRmT2_T3_T4_T5_mT6_T7_P12ihipStream_tbENKUlT_T0_E_clISt17integral_constantIbLb1EESY_EEDaST_SU_EUlST_E_NS1_11comp_targetILNS1_3genE0ELNS1_11target_archE4294967295ELNS1_3gpuE0ELNS1_3repE0EEENS1_30default_config_static_selectorELNS0_4arch9wavefront6targetE1EEEvT1_: ; @_ZN7rocprim17ROCPRIM_400000_NS6detail17trampoline_kernelINS0_14default_configENS1_27scan_by_key_config_selectorIssEEZZNS1_16scan_by_key_implILNS1_25lookback_scan_determinismE0ELb1ES3_N6thrust23THRUST_200600_302600_NS6detail15normal_iteratorINS9_10device_ptrIsEEEESE_SE_sNS9_4plusIsEE19head_flag_predicatesEE10hipError_tPvRmT2_T3_T4_T5_mT6_T7_P12ihipStream_tbENKUlT_T0_E_clISt17integral_constantIbLb1EESY_EEDaST_SU_EUlST_E_NS1_11comp_targetILNS1_3genE0ELNS1_11target_archE4294967295ELNS1_3gpuE0ELNS1_3repE0EEENS1_30default_config_static_selectorELNS0_4arch9wavefront6targetE1EEEvT1_
; %bb.0:
	.section	.rodata,"a",@progbits
	.p2align	6, 0x0
	.amdhsa_kernel _ZN7rocprim17ROCPRIM_400000_NS6detail17trampoline_kernelINS0_14default_configENS1_27scan_by_key_config_selectorIssEEZZNS1_16scan_by_key_implILNS1_25lookback_scan_determinismE0ELb1ES3_N6thrust23THRUST_200600_302600_NS6detail15normal_iteratorINS9_10device_ptrIsEEEESE_SE_sNS9_4plusIsEE19head_flag_predicatesEE10hipError_tPvRmT2_T3_T4_T5_mT6_T7_P12ihipStream_tbENKUlT_T0_E_clISt17integral_constantIbLb1EESY_EEDaST_SU_EUlST_E_NS1_11comp_targetILNS1_3genE0ELNS1_11target_archE4294967295ELNS1_3gpuE0ELNS1_3repE0EEENS1_30default_config_static_selectorELNS0_4arch9wavefront6targetE1EEEvT1_
		.amdhsa_group_segment_fixed_size 0
		.amdhsa_private_segment_fixed_size 0
		.amdhsa_kernarg_size 112
		.amdhsa_user_sgpr_count 6
		.amdhsa_user_sgpr_private_segment_buffer 1
		.amdhsa_user_sgpr_dispatch_ptr 0
		.amdhsa_user_sgpr_queue_ptr 0
		.amdhsa_user_sgpr_kernarg_segment_ptr 1
		.amdhsa_user_sgpr_dispatch_id 0
		.amdhsa_user_sgpr_flat_scratch_init 0
		.amdhsa_user_sgpr_kernarg_preload_length 0
		.amdhsa_user_sgpr_kernarg_preload_offset 0
		.amdhsa_user_sgpr_private_segment_size 0
		.amdhsa_uses_dynamic_stack 0
		.amdhsa_system_sgpr_private_segment_wavefront_offset 0
		.amdhsa_system_sgpr_workgroup_id_x 1
		.amdhsa_system_sgpr_workgroup_id_y 0
		.amdhsa_system_sgpr_workgroup_id_z 0
		.amdhsa_system_sgpr_workgroup_info 0
		.amdhsa_system_vgpr_workitem_id 0
		.amdhsa_next_free_vgpr 1
		.amdhsa_next_free_sgpr 0
		.amdhsa_accum_offset 4
		.amdhsa_reserve_vcc 0
		.amdhsa_reserve_flat_scratch 0
		.amdhsa_float_round_mode_32 0
		.amdhsa_float_round_mode_16_64 0
		.amdhsa_float_denorm_mode_32 3
		.amdhsa_float_denorm_mode_16_64 3
		.amdhsa_dx10_clamp 1
		.amdhsa_ieee_mode 1
		.amdhsa_fp16_overflow 0
		.amdhsa_tg_split 0
		.amdhsa_exception_fp_ieee_invalid_op 0
		.amdhsa_exception_fp_denorm_src 0
		.amdhsa_exception_fp_ieee_div_zero 0
		.amdhsa_exception_fp_ieee_overflow 0
		.amdhsa_exception_fp_ieee_underflow 0
		.amdhsa_exception_fp_ieee_inexact 0
		.amdhsa_exception_int_div_zero 0
	.end_amdhsa_kernel
	.section	.text._ZN7rocprim17ROCPRIM_400000_NS6detail17trampoline_kernelINS0_14default_configENS1_27scan_by_key_config_selectorIssEEZZNS1_16scan_by_key_implILNS1_25lookback_scan_determinismE0ELb1ES3_N6thrust23THRUST_200600_302600_NS6detail15normal_iteratorINS9_10device_ptrIsEEEESE_SE_sNS9_4plusIsEE19head_flag_predicatesEE10hipError_tPvRmT2_T3_T4_T5_mT6_T7_P12ihipStream_tbENKUlT_T0_E_clISt17integral_constantIbLb1EESY_EEDaST_SU_EUlST_E_NS1_11comp_targetILNS1_3genE0ELNS1_11target_archE4294967295ELNS1_3gpuE0ELNS1_3repE0EEENS1_30default_config_static_selectorELNS0_4arch9wavefront6targetE1EEEvT1_,"axG",@progbits,_ZN7rocprim17ROCPRIM_400000_NS6detail17trampoline_kernelINS0_14default_configENS1_27scan_by_key_config_selectorIssEEZZNS1_16scan_by_key_implILNS1_25lookback_scan_determinismE0ELb1ES3_N6thrust23THRUST_200600_302600_NS6detail15normal_iteratorINS9_10device_ptrIsEEEESE_SE_sNS9_4plusIsEE19head_flag_predicatesEE10hipError_tPvRmT2_T3_T4_T5_mT6_T7_P12ihipStream_tbENKUlT_T0_E_clISt17integral_constantIbLb1EESY_EEDaST_SU_EUlST_E_NS1_11comp_targetILNS1_3genE0ELNS1_11target_archE4294967295ELNS1_3gpuE0ELNS1_3repE0EEENS1_30default_config_static_selectorELNS0_4arch9wavefront6targetE1EEEvT1_,comdat
.Lfunc_end866:
	.size	_ZN7rocprim17ROCPRIM_400000_NS6detail17trampoline_kernelINS0_14default_configENS1_27scan_by_key_config_selectorIssEEZZNS1_16scan_by_key_implILNS1_25lookback_scan_determinismE0ELb1ES3_N6thrust23THRUST_200600_302600_NS6detail15normal_iteratorINS9_10device_ptrIsEEEESE_SE_sNS9_4plusIsEE19head_flag_predicatesEE10hipError_tPvRmT2_T3_T4_T5_mT6_T7_P12ihipStream_tbENKUlT_T0_E_clISt17integral_constantIbLb1EESY_EEDaST_SU_EUlST_E_NS1_11comp_targetILNS1_3genE0ELNS1_11target_archE4294967295ELNS1_3gpuE0ELNS1_3repE0EEENS1_30default_config_static_selectorELNS0_4arch9wavefront6targetE1EEEvT1_, .Lfunc_end866-_ZN7rocprim17ROCPRIM_400000_NS6detail17trampoline_kernelINS0_14default_configENS1_27scan_by_key_config_selectorIssEEZZNS1_16scan_by_key_implILNS1_25lookback_scan_determinismE0ELb1ES3_N6thrust23THRUST_200600_302600_NS6detail15normal_iteratorINS9_10device_ptrIsEEEESE_SE_sNS9_4plusIsEE19head_flag_predicatesEE10hipError_tPvRmT2_T3_T4_T5_mT6_T7_P12ihipStream_tbENKUlT_T0_E_clISt17integral_constantIbLb1EESY_EEDaST_SU_EUlST_E_NS1_11comp_targetILNS1_3genE0ELNS1_11target_archE4294967295ELNS1_3gpuE0ELNS1_3repE0EEENS1_30default_config_static_selectorELNS0_4arch9wavefront6targetE1EEEvT1_
                                        ; -- End function
	.section	.AMDGPU.csdata,"",@progbits
; Kernel info:
; codeLenInByte = 0
; NumSgprs: 4
; NumVgprs: 0
; NumAgprs: 0
; TotalNumVgprs: 0
; ScratchSize: 0
; MemoryBound: 0
; FloatMode: 240
; IeeeMode: 1
; LDSByteSize: 0 bytes/workgroup (compile time only)
; SGPRBlocks: 0
; VGPRBlocks: 0
; NumSGPRsForWavesPerEU: 4
; NumVGPRsForWavesPerEU: 1
; AccumOffset: 4
; Occupancy: 8
; WaveLimiterHint : 0
; COMPUTE_PGM_RSRC2:SCRATCH_EN: 0
; COMPUTE_PGM_RSRC2:USER_SGPR: 6
; COMPUTE_PGM_RSRC2:TRAP_HANDLER: 0
; COMPUTE_PGM_RSRC2:TGID_X_EN: 1
; COMPUTE_PGM_RSRC2:TGID_Y_EN: 0
; COMPUTE_PGM_RSRC2:TGID_Z_EN: 0
; COMPUTE_PGM_RSRC2:TIDIG_COMP_CNT: 0
; COMPUTE_PGM_RSRC3_GFX90A:ACCUM_OFFSET: 0
; COMPUTE_PGM_RSRC3_GFX90A:TG_SPLIT: 0
	.section	.text._ZN7rocprim17ROCPRIM_400000_NS6detail17trampoline_kernelINS0_14default_configENS1_27scan_by_key_config_selectorIssEEZZNS1_16scan_by_key_implILNS1_25lookback_scan_determinismE0ELb1ES3_N6thrust23THRUST_200600_302600_NS6detail15normal_iteratorINS9_10device_ptrIsEEEESE_SE_sNS9_4plusIsEE19head_flag_predicatesEE10hipError_tPvRmT2_T3_T4_T5_mT6_T7_P12ihipStream_tbENKUlT_T0_E_clISt17integral_constantIbLb1EESY_EEDaST_SU_EUlST_E_NS1_11comp_targetILNS1_3genE10ELNS1_11target_archE1201ELNS1_3gpuE5ELNS1_3repE0EEENS1_30default_config_static_selectorELNS0_4arch9wavefront6targetE1EEEvT1_,"axG",@progbits,_ZN7rocprim17ROCPRIM_400000_NS6detail17trampoline_kernelINS0_14default_configENS1_27scan_by_key_config_selectorIssEEZZNS1_16scan_by_key_implILNS1_25lookback_scan_determinismE0ELb1ES3_N6thrust23THRUST_200600_302600_NS6detail15normal_iteratorINS9_10device_ptrIsEEEESE_SE_sNS9_4plusIsEE19head_flag_predicatesEE10hipError_tPvRmT2_T3_T4_T5_mT6_T7_P12ihipStream_tbENKUlT_T0_E_clISt17integral_constantIbLb1EESY_EEDaST_SU_EUlST_E_NS1_11comp_targetILNS1_3genE10ELNS1_11target_archE1201ELNS1_3gpuE5ELNS1_3repE0EEENS1_30default_config_static_selectorELNS0_4arch9wavefront6targetE1EEEvT1_,comdat
	.protected	_ZN7rocprim17ROCPRIM_400000_NS6detail17trampoline_kernelINS0_14default_configENS1_27scan_by_key_config_selectorIssEEZZNS1_16scan_by_key_implILNS1_25lookback_scan_determinismE0ELb1ES3_N6thrust23THRUST_200600_302600_NS6detail15normal_iteratorINS9_10device_ptrIsEEEESE_SE_sNS9_4plusIsEE19head_flag_predicatesEE10hipError_tPvRmT2_T3_T4_T5_mT6_T7_P12ihipStream_tbENKUlT_T0_E_clISt17integral_constantIbLb1EESY_EEDaST_SU_EUlST_E_NS1_11comp_targetILNS1_3genE10ELNS1_11target_archE1201ELNS1_3gpuE5ELNS1_3repE0EEENS1_30default_config_static_selectorELNS0_4arch9wavefront6targetE1EEEvT1_ ; -- Begin function _ZN7rocprim17ROCPRIM_400000_NS6detail17trampoline_kernelINS0_14default_configENS1_27scan_by_key_config_selectorIssEEZZNS1_16scan_by_key_implILNS1_25lookback_scan_determinismE0ELb1ES3_N6thrust23THRUST_200600_302600_NS6detail15normal_iteratorINS9_10device_ptrIsEEEESE_SE_sNS9_4plusIsEE19head_flag_predicatesEE10hipError_tPvRmT2_T3_T4_T5_mT6_T7_P12ihipStream_tbENKUlT_T0_E_clISt17integral_constantIbLb1EESY_EEDaST_SU_EUlST_E_NS1_11comp_targetILNS1_3genE10ELNS1_11target_archE1201ELNS1_3gpuE5ELNS1_3repE0EEENS1_30default_config_static_selectorELNS0_4arch9wavefront6targetE1EEEvT1_
	.globl	_ZN7rocprim17ROCPRIM_400000_NS6detail17trampoline_kernelINS0_14default_configENS1_27scan_by_key_config_selectorIssEEZZNS1_16scan_by_key_implILNS1_25lookback_scan_determinismE0ELb1ES3_N6thrust23THRUST_200600_302600_NS6detail15normal_iteratorINS9_10device_ptrIsEEEESE_SE_sNS9_4plusIsEE19head_flag_predicatesEE10hipError_tPvRmT2_T3_T4_T5_mT6_T7_P12ihipStream_tbENKUlT_T0_E_clISt17integral_constantIbLb1EESY_EEDaST_SU_EUlST_E_NS1_11comp_targetILNS1_3genE10ELNS1_11target_archE1201ELNS1_3gpuE5ELNS1_3repE0EEENS1_30default_config_static_selectorELNS0_4arch9wavefront6targetE1EEEvT1_
	.p2align	8
	.type	_ZN7rocprim17ROCPRIM_400000_NS6detail17trampoline_kernelINS0_14default_configENS1_27scan_by_key_config_selectorIssEEZZNS1_16scan_by_key_implILNS1_25lookback_scan_determinismE0ELb1ES3_N6thrust23THRUST_200600_302600_NS6detail15normal_iteratorINS9_10device_ptrIsEEEESE_SE_sNS9_4plusIsEE19head_flag_predicatesEE10hipError_tPvRmT2_T3_T4_T5_mT6_T7_P12ihipStream_tbENKUlT_T0_E_clISt17integral_constantIbLb1EESY_EEDaST_SU_EUlST_E_NS1_11comp_targetILNS1_3genE10ELNS1_11target_archE1201ELNS1_3gpuE5ELNS1_3repE0EEENS1_30default_config_static_selectorELNS0_4arch9wavefront6targetE1EEEvT1_,@function
_ZN7rocprim17ROCPRIM_400000_NS6detail17trampoline_kernelINS0_14default_configENS1_27scan_by_key_config_selectorIssEEZZNS1_16scan_by_key_implILNS1_25lookback_scan_determinismE0ELb1ES3_N6thrust23THRUST_200600_302600_NS6detail15normal_iteratorINS9_10device_ptrIsEEEESE_SE_sNS9_4plusIsEE19head_flag_predicatesEE10hipError_tPvRmT2_T3_T4_T5_mT6_T7_P12ihipStream_tbENKUlT_T0_E_clISt17integral_constantIbLb1EESY_EEDaST_SU_EUlST_E_NS1_11comp_targetILNS1_3genE10ELNS1_11target_archE1201ELNS1_3gpuE5ELNS1_3repE0EEENS1_30default_config_static_selectorELNS0_4arch9wavefront6targetE1EEEvT1_: ; @_ZN7rocprim17ROCPRIM_400000_NS6detail17trampoline_kernelINS0_14default_configENS1_27scan_by_key_config_selectorIssEEZZNS1_16scan_by_key_implILNS1_25lookback_scan_determinismE0ELb1ES3_N6thrust23THRUST_200600_302600_NS6detail15normal_iteratorINS9_10device_ptrIsEEEESE_SE_sNS9_4plusIsEE19head_flag_predicatesEE10hipError_tPvRmT2_T3_T4_T5_mT6_T7_P12ihipStream_tbENKUlT_T0_E_clISt17integral_constantIbLb1EESY_EEDaST_SU_EUlST_E_NS1_11comp_targetILNS1_3genE10ELNS1_11target_archE1201ELNS1_3gpuE5ELNS1_3repE0EEENS1_30default_config_static_selectorELNS0_4arch9wavefront6targetE1EEEvT1_
; %bb.0:
	.section	.rodata,"a",@progbits
	.p2align	6, 0x0
	.amdhsa_kernel _ZN7rocprim17ROCPRIM_400000_NS6detail17trampoline_kernelINS0_14default_configENS1_27scan_by_key_config_selectorIssEEZZNS1_16scan_by_key_implILNS1_25lookback_scan_determinismE0ELb1ES3_N6thrust23THRUST_200600_302600_NS6detail15normal_iteratorINS9_10device_ptrIsEEEESE_SE_sNS9_4plusIsEE19head_flag_predicatesEE10hipError_tPvRmT2_T3_T4_T5_mT6_T7_P12ihipStream_tbENKUlT_T0_E_clISt17integral_constantIbLb1EESY_EEDaST_SU_EUlST_E_NS1_11comp_targetILNS1_3genE10ELNS1_11target_archE1201ELNS1_3gpuE5ELNS1_3repE0EEENS1_30default_config_static_selectorELNS0_4arch9wavefront6targetE1EEEvT1_
		.amdhsa_group_segment_fixed_size 0
		.amdhsa_private_segment_fixed_size 0
		.amdhsa_kernarg_size 112
		.amdhsa_user_sgpr_count 6
		.amdhsa_user_sgpr_private_segment_buffer 1
		.amdhsa_user_sgpr_dispatch_ptr 0
		.amdhsa_user_sgpr_queue_ptr 0
		.amdhsa_user_sgpr_kernarg_segment_ptr 1
		.amdhsa_user_sgpr_dispatch_id 0
		.amdhsa_user_sgpr_flat_scratch_init 0
		.amdhsa_user_sgpr_kernarg_preload_length 0
		.amdhsa_user_sgpr_kernarg_preload_offset 0
		.amdhsa_user_sgpr_private_segment_size 0
		.amdhsa_uses_dynamic_stack 0
		.amdhsa_system_sgpr_private_segment_wavefront_offset 0
		.amdhsa_system_sgpr_workgroup_id_x 1
		.amdhsa_system_sgpr_workgroup_id_y 0
		.amdhsa_system_sgpr_workgroup_id_z 0
		.amdhsa_system_sgpr_workgroup_info 0
		.amdhsa_system_vgpr_workitem_id 0
		.amdhsa_next_free_vgpr 1
		.amdhsa_next_free_sgpr 0
		.amdhsa_accum_offset 4
		.amdhsa_reserve_vcc 0
		.amdhsa_reserve_flat_scratch 0
		.amdhsa_float_round_mode_32 0
		.amdhsa_float_round_mode_16_64 0
		.amdhsa_float_denorm_mode_32 3
		.amdhsa_float_denorm_mode_16_64 3
		.amdhsa_dx10_clamp 1
		.amdhsa_ieee_mode 1
		.amdhsa_fp16_overflow 0
		.amdhsa_tg_split 0
		.amdhsa_exception_fp_ieee_invalid_op 0
		.amdhsa_exception_fp_denorm_src 0
		.amdhsa_exception_fp_ieee_div_zero 0
		.amdhsa_exception_fp_ieee_overflow 0
		.amdhsa_exception_fp_ieee_underflow 0
		.amdhsa_exception_fp_ieee_inexact 0
		.amdhsa_exception_int_div_zero 0
	.end_amdhsa_kernel
	.section	.text._ZN7rocprim17ROCPRIM_400000_NS6detail17trampoline_kernelINS0_14default_configENS1_27scan_by_key_config_selectorIssEEZZNS1_16scan_by_key_implILNS1_25lookback_scan_determinismE0ELb1ES3_N6thrust23THRUST_200600_302600_NS6detail15normal_iteratorINS9_10device_ptrIsEEEESE_SE_sNS9_4plusIsEE19head_flag_predicatesEE10hipError_tPvRmT2_T3_T4_T5_mT6_T7_P12ihipStream_tbENKUlT_T0_E_clISt17integral_constantIbLb1EESY_EEDaST_SU_EUlST_E_NS1_11comp_targetILNS1_3genE10ELNS1_11target_archE1201ELNS1_3gpuE5ELNS1_3repE0EEENS1_30default_config_static_selectorELNS0_4arch9wavefront6targetE1EEEvT1_,"axG",@progbits,_ZN7rocprim17ROCPRIM_400000_NS6detail17trampoline_kernelINS0_14default_configENS1_27scan_by_key_config_selectorIssEEZZNS1_16scan_by_key_implILNS1_25lookback_scan_determinismE0ELb1ES3_N6thrust23THRUST_200600_302600_NS6detail15normal_iteratorINS9_10device_ptrIsEEEESE_SE_sNS9_4plusIsEE19head_flag_predicatesEE10hipError_tPvRmT2_T3_T4_T5_mT6_T7_P12ihipStream_tbENKUlT_T0_E_clISt17integral_constantIbLb1EESY_EEDaST_SU_EUlST_E_NS1_11comp_targetILNS1_3genE10ELNS1_11target_archE1201ELNS1_3gpuE5ELNS1_3repE0EEENS1_30default_config_static_selectorELNS0_4arch9wavefront6targetE1EEEvT1_,comdat
.Lfunc_end867:
	.size	_ZN7rocprim17ROCPRIM_400000_NS6detail17trampoline_kernelINS0_14default_configENS1_27scan_by_key_config_selectorIssEEZZNS1_16scan_by_key_implILNS1_25lookback_scan_determinismE0ELb1ES3_N6thrust23THRUST_200600_302600_NS6detail15normal_iteratorINS9_10device_ptrIsEEEESE_SE_sNS9_4plusIsEE19head_flag_predicatesEE10hipError_tPvRmT2_T3_T4_T5_mT6_T7_P12ihipStream_tbENKUlT_T0_E_clISt17integral_constantIbLb1EESY_EEDaST_SU_EUlST_E_NS1_11comp_targetILNS1_3genE10ELNS1_11target_archE1201ELNS1_3gpuE5ELNS1_3repE0EEENS1_30default_config_static_selectorELNS0_4arch9wavefront6targetE1EEEvT1_, .Lfunc_end867-_ZN7rocprim17ROCPRIM_400000_NS6detail17trampoline_kernelINS0_14default_configENS1_27scan_by_key_config_selectorIssEEZZNS1_16scan_by_key_implILNS1_25lookback_scan_determinismE0ELb1ES3_N6thrust23THRUST_200600_302600_NS6detail15normal_iteratorINS9_10device_ptrIsEEEESE_SE_sNS9_4plusIsEE19head_flag_predicatesEE10hipError_tPvRmT2_T3_T4_T5_mT6_T7_P12ihipStream_tbENKUlT_T0_E_clISt17integral_constantIbLb1EESY_EEDaST_SU_EUlST_E_NS1_11comp_targetILNS1_3genE10ELNS1_11target_archE1201ELNS1_3gpuE5ELNS1_3repE0EEENS1_30default_config_static_selectorELNS0_4arch9wavefront6targetE1EEEvT1_
                                        ; -- End function
	.section	.AMDGPU.csdata,"",@progbits
; Kernel info:
; codeLenInByte = 0
; NumSgprs: 4
; NumVgprs: 0
; NumAgprs: 0
; TotalNumVgprs: 0
; ScratchSize: 0
; MemoryBound: 0
; FloatMode: 240
; IeeeMode: 1
; LDSByteSize: 0 bytes/workgroup (compile time only)
; SGPRBlocks: 0
; VGPRBlocks: 0
; NumSGPRsForWavesPerEU: 4
; NumVGPRsForWavesPerEU: 1
; AccumOffset: 4
; Occupancy: 8
; WaveLimiterHint : 0
; COMPUTE_PGM_RSRC2:SCRATCH_EN: 0
; COMPUTE_PGM_RSRC2:USER_SGPR: 6
; COMPUTE_PGM_RSRC2:TRAP_HANDLER: 0
; COMPUTE_PGM_RSRC2:TGID_X_EN: 1
; COMPUTE_PGM_RSRC2:TGID_Y_EN: 0
; COMPUTE_PGM_RSRC2:TGID_Z_EN: 0
; COMPUTE_PGM_RSRC2:TIDIG_COMP_CNT: 0
; COMPUTE_PGM_RSRC3_GFX90A:ACCUM_OFFSET: 0
; COMPUTE_PGM_RSRC3_GFX90A:TG_SPLIT: 0
	.section	.text._ZN7rocprim17ROCPRIM_400000_NS6detail17trampoline_kernelINS0_14default_configENS1_27scan_by_key_config_selectorIssEEZZNS1_16scan_by_key_implILNS1_25lookback_scan_determinismE0ELb1ES3_N6thrust23THRUST_200600_302600_NS6detail15normal_iteratorINS9_10device_ptrIsEEEESE_SE_sNS9_4plusIsEE19head_flag_predicatesEE10hipError_tPvRmT2_T3_T4_T5_mT6_T7_P12ihipStream_tbENKUlT_T0_E_clISt17integral_constantIbLb1EESY_EEDaST_SU_EUlST_E_NS1_11comp_targetILNS1_3genE5ELNS1_11target_archE942ELNS1_3gpuE9ELNS1_3repE0EEENS1_30default_config_static_selectorELNS0_4arch9wavefront6targetE1EEEvT1_,"axG",@progbits,_ZN7rocprim17ROCPRIM_400000_NS6detail17trampoline_kernelINS0_14default_configENS1_27scan_by_key_config_selectorIssEEZZNS1_16scan_by_key_implILNS1_25lookback_scan_determinismE0ELb1ES3_N6thrust23THRUST_200600_302600_NS6detail15normal_iteratorINS9_10device_ptrIsEEEESE_SE_sNS9_4plusIsEE19head_flag_predicatesEE10hipError_tPvRmT2_T3_T4_T5_mT6_T7_P12ihipStream_tbENKUlT_T0_E_clISt17integral_constantIbLb1EESY_EEDaST_SU_EUlST_E_NS1_11comp_targetILNS1_3genE5ELNS1_11target_archE942ELNS1_3gpuE9ELNS1_3repE0EEENS1_30default_config_static_selectorELNS0_4arch9wavefront6targetE1EEEvT1_,comdat
	.protected	_ZN7rocprim17ROCPRIM_400000_NS6detail17trampoline_kernelINS0_14default_configENS1_27scan_by_key_config_selectorIssEEZZNS1_16scan_by_key_implILNS1_25lookback_scan_determinismE0ELb1ES3_N6thrust23THRUST_200600_302600_NS6detail15normal_iteratorINS9_10device_ptrIsEEEESE_SE_sNS9_4plusIsEE19head_flag_predicatesEE10hipError_tPvRmT2_T3_T4_T5_mT6_T7_P12ihipStream_tbENKUlT_T0_E_clISt17integral_constantIbLb1EESY_EEDaST_SU_EUlST_E_NS1_11comp_targetILNS1_3genE5ELNS1_11target_archE942ELNS1_3gpuE9ELNS1_3repE0EEENS1_30default_config_static_selectorELNS0_4arch9wavefront6targetE1EEEvT1_ ; -- Begin function _ZN7rocprim17ROCPRIM_400000_NS6detail17trampoline_kernelINS0_14default_configENS1_27scan_by_key_config_selectorIssEEZZNS1_16scan_by_key_implILNS1_25lookback_scan_determinismE0ELb1ES3_N6thrust23THRUST_200600_302600_NS6detail15normal_iteratorINS9_10device_ptrIsEEEESE_SE_sNS9_4plusIsEE19head_flag_predicatesEE10hipError_tPvRmT2_T3_T4_T5_mT6_T7_P12ihipStream_tbENKUlT_T0_E_clISt17integral_constantIbLb1EESY_EEDaST_SU_EUlST_E_NS1_11comp_targetILNS1_3genE5ELNS1_11target_archE942ELNS1_3gpuE9ELNS1_3repE0EEENS1_30default_config_static_selectorELNS0_4arch9wavefront6targetE1EEEvT1_
	.globl	_ZN7rocprim17ROCPRIM_400000_NS6detail17trampoline_kernelINS0_14default_configENS1_27scan_by_key_config_selectorIssEEZZNS1_16scan_by_key_implILNS1_25lookback_scan_determinismE0ELb1ES3_N6thrust23THRUST_200600_302600_NS6detail15normal_iteratorINS9_10device_ptrIsEEEESE_SE_sNS9_4plusIsEE19head_flag_predicatesEE10hipError_tPvRmT2_T3_T4_T5_mT6_T7_P12ihipStream_tbENKUlT_T0_E_clISt17integral_constantIbLb1EESY_EEDaST_SU_EUlST_E_NS1_11comp_targetILNS1_3genE5ELNS1_11target_archE942ELNS1_3gpuE9ELNS1_3repE0EEENS1_30default_config_static_selectorELNS0_4arch9wavefront6targetE1EEEvT1_
	.p2align	8
	.type	_ZN7rocprim17ROCPRIM_400000_NS6detail17trampoline_kernelINS0_14default_configENS1_27scan_by_key_config_selectorIssEEZZNS1_16scan_by_key_implILNS1_25lookback_scan_determinismE0ELb1ES3_N6thrust23THRUST_200600_302600_NS6detail15normal_iteratorINS9_10device_ptrIsEEEESE_SE_sNS9_4plusIsEE19head_flag_predicatesEE10hipError_tPvRmT2_T3_T4_T5_mT6_T7_P12ihipStream_tbENKUlT_T0_E_clISt17integral_constantIbLb1EESY_EEDaST_SU_EUlST_E_NS1_11comp_targetILNS1_3genE5ELNS1_11target_archE942ELNS1_3gpuE9ELNS1_3repE0EEENS1_30default_config_static_selectorELNS0_4arch9wavefront6targetE1EEEvT1_,@function
_ZN7rocprim17ROCPRIM_400000_NS6detail17trampoline_kernelINS0_14default_configENS1_27scan_by_key_config_selectorIssEEZZNS1_16scan_by_key_implILNS1_25lookback_scan_determinismE0ELb1ES3_N6thrust23THRUST_200600_302600_NS6detail15normal_iteratorINS9_10device_ptrIsEEEESE_SE_sNS9_4plusIsEE19head_flag_predicatesEE10hipError_tPvRmT2_T3_T4_T5_mT6_T7_P12ihipStream_tbENKUlT_T0_E_clISt17integral_constantIbLb1EESY_EEDaST_SU_EUlST_E_NS1_11comp_targetILNS1_3genE5ELNS1_11target_archE942ELNS1_3gpuE9ELNS1_3repE0EEENS1_30default_config_static_selectorELNS0_4arch9wavefront6targetE1EEEvT1_: ; @_ZN7rocprim17ROCPRIM_400000_NS6detail17trampoline_kernelINS0_14default_configENS1_27scan_by_key_config_selectorIssEEZZNS1_16scan_by_key_implILNS1_25lookback_scan_determinismE0ELb1ES3_N6thrust23THRUST_200600_302600_NS6detail15normal_iteratorINS9_10device_ptrIsEEEESE_SE_sNS9_4plusIsEE19head_flag_predicatesEE10hipError_tPvRmT2_T3_T4_T5_mT6_T7_P12ihipStream_tbENKUlT_T0_E_clISt17integral_constantIbLb1EESY_EEDaST_SU_EUlST_E_NS1_11comp_targetILNS1_3genE5ELNS1_11target_archE942ELNS1_3gpuE9ELNS1_3repE0EEENS1_30default_config_static_selectorELNS0_4arch9wavefront6targetE1EEEvT1_
; %bb.0:
	.section	.rodata,"a",@progbits
	.p2align	6, 0x0
	.amdhsa_kernel _ZN7rocprim17ROCPRIM_400000_NS6detail17trampoline_kernelINS0_14default_configENS1_27scan_by_key_config_selectorIssEEZZNS1_16scan_by_key_implILNS1_25lookback_scan_determinismE0ELb1ES3_N6thrust23THRUST_200600_302600_NS6detail15normal_iteratorINS9_10device_ptrIsEEEESE_SE_sNS9_4plusIsEE19head_flag_predicatesEE10hipError_tPvRmT2_T3_T4_T5_mT6_T7_P12ihipStream_tbENKUlT_T0_E_clISt17integral_constantIbLb1EESY_EEDaST_SU_EUlST_E_NS1_11comp_targetILNS1_3genE5ELNS1_11target_archE942ELNS1_3gpuE9ELNS1_3repE0EEENS1_30default_config_static_selectorELNS0_4arch9wavefront6targetE1EEEvT1_
		.amdhsa_group_segment_fixed_size 0
		.amdhsa_private_segment_fixed_size 0
		.amdhsa_kernarg_size 112
		.amdhsa_user_sgpr_count 6
		.amdhsa_user_sgpr_private_segment_buffer 1
		.amdhsa_user_sgpr_dispatch_ptr 0
		.amdhsa_user_sgpr_queue_ptr 0
		.amdhsa_user_sgpr_kernarg_segment_ptr 1
		.amdhsa_user_sgpr_dispatch_id 0
		.amdhsa_user_sgpr_flat_scratch_init 0
		.amdhsa_user_sgpr_kernarg_preload_length 0
		.amdhsa_user_sgpr_kernarg_preload_offset 0
		.amdhsa_user_sgpr_private_segment_size 0
		.amdhsa_uses_dynamic_stack 0
		.amdhsa_system_sgpr_private_segment_wavefront_offset 0
		.amdhsa_system_sgpr_workgroup_id_x 1
		.amdhsa_system_sgpr_workgroup_id_y 0
		.amdhsa_system_sgpr_workgroup_id_z 0
		.amdhsa_system_sgpr_workgroup_info 0
		.amdhsa_system_vgpr_workitem_id 0
		.amdhsa_next_free_vgpr 1
		.amdhsa_next_free_sgpr 0
		.amdhsa_accum_offset 4
		.amdhsa_reserve_vcc 0
		.amdhsa_reserve_flat_scratch 0
		.amdhsa_float_round_mode_32 0
		.amdhsa_float_round_mode_16_64 0
		.amdhsa_float_denorm_mode_32 3
		.amdhsa_float_denorm_mode_16_64 3
		.amdhsa_dx10_clamp 1
		.amdhsa_ieee_mode 1
		.amdhsa_fp16_overflow 0
		.amdhsa_tg_split 0
		.amdhsa_exception_fp_ieee_invalid_op 0
		.amdhsa_exception_fp_denorm_src 0
		.amdhsa_exception_fp_ieee_div_zero 0
		.amdhsa_exception_fp_ieee_overflow 0
		.amdhsa_exception_fp_ieee_underflow 0
		.amdhsa_exception_fp_ieee_inexact 0
		.amdhsa_exception_int_div_zero 0
	.end_amdhsa_kernel
	.section	.text._ZN7rocprim17ROCPRIM_400000_NS6detail17trampoline_kernelINS0_14default_configENS1_27scan_by_key_config_selectorIssEEZZNS1_16scan_by_key_implILNS1_25lookback_scan_determinismE0ELb1ES3_N6thrust23THRUST_200600_302600_NS6detail15normal_iteratorINS9_10device_ptrIsEEEESE_SE_sNS9_4plusIsEE19head_flag_predicatesEE10hipError_tPvRmT2_T3_T4_T5_mT6_T7_P12ihipStream_tbENKUlT_T0_E_clISt17integral_constantIbLb1EESY_EEDaST_SU_EUlST_E_NS1_11comp_targetILNS1_3genE5ELNS1_11target_archE942ELNS1_3gpuE9ELNS1_3repE0EEENS1_30default_config_static_selectorELNS0_4arch9wavefront6targetE1EEEvT1_,"axG",@progbits,_ZN7rocprim17ROCPRIM_400000_NS6detail17trampoline_kernelINS0_14default_configENS1_27scan_by_key_config_selectorIssEEZZNS1_16scan_by_key_implILNS1_25lookback_scan_determinismE0ELb1ES3_N6thrust23THRUST_200600_302600_NS6detail15normal_iteratorINS9_10device_ptrIsEEEESE_SE_sNS9_4plusIsEE19head_flag_predicatesEE10hipError_tPvRmT2_T3_T4_T5_mT6_T7_P12ihipStream_tbENKUlT_T0_E_clISt17integral_constantIbLb1EESY_EEDaST_SU_EUlST_E_NS1_11comp_targetILNS1_3genE5ELNS1_11target_archE942ELNS1_3gpuE9ELNS1_3repE0EEENS1_30default_config_static_selectorELNS0_4arch9wavefront6targetE1EEEvT1_,comdat
.Lfunc_end868:
	.size	_ZN7rocprim17ROCPRIM_400000_NS6detail17trampoline_kernelINS0_14default_configENS1_27scan_by_key_config_selectorIssEEZZNS1_16scan_by_key_implILNS1_25lookback_scan_determinismE0ELb1ES3_N6thrust23THRUST_200600_302600_NS6detail15normal_iteratorINS9_10device_ptrIsEEEESE_SE_sNS9_4plusIsEE19head_flag_predicatesEE10hipError_tPvRmT2_T3_T4_T5_mT6_T7_P12ihipStream_tbENKUlT_T0_E_clISt17integral_constantIbLb1EESY_EEDaST_SU_EUlST_E_NS1_11comp_targetILNS1_3genE5ELNS1_11target_archE942ELNS1_3gpuE9ELNS1_3repE0EEENS1_30default_config_static_selectorELNS0_4arch9wavefront6targetE1EEEvT1_, .Lfunc_end868-_ZN7rocprim17ROCPRIM_400000_NS6detail17trampoline_kernelINS0_14default_configENS1_27scan_by_key_config_selectorIssEEZZNS1_16scan_by_key_implILNS1_25lookback_scan_determinismE0ELb1ES3_N6thrust23THRUST_200600_302600_NS6detail15normal_iteratorINS9_10device_ptrIsEEEESE_SE_sNS9_4plusIsEE19head_flag_predicatesEE10hipError_tPvRmT2_T3_T4_T5_mT6_T7_P12ihipStream_tbENKUlT_T0_E_clISt17integral_constantIbLb1EESY_EEDaST_SU_EUlST_E_NS1_11comp_targetILNS1_3genE5ELNS1_11target_archE942ELNS1_3gpuE9ELNS1_3repE0EEENS1_30default_config_static_selectorELNS0_4arch9wavefront6targetE1EEEvT1_
                                        ; -- End function
	.section	.AMDGPU.csdata,"",@progbits
; Kernel info:
; codeLenInByte = 0
; NumSgprs: 4
; NumVgprs: 0
; NumAgprs: 0
; TotalNumVgprs: 0
; ScratchSize: 0
; MemoryBound: 0
; FloatMode: 240
; IeeeMode: 1
; LDSByteSize: 0 bytes/workgroup (compile time only)
; SGPRBlocks: 0
; VGPRBlocks: 0
; NumSGPRsForWavesPerEU: 4
; NumVGPRsForWavesPerEU: 1
; AccumOffset: 4
; Occupancy: 8
; WaveLimiterHint : 0
; COMPUTE_PGM_RSRC2:SCRATCH_EN: 0
; COMPUTE_PGM_RSRC2:USER_SGPR: 6
; COMPUTE_PGM_RSRC2:TRAP_HANDLER: 0
; COMPUTE_PGM_RSRC2:TGID_X_EN: 1
; COMPUTE_PGM_RSRC2:TGID_Y_EN: 0
; COMPUTE_PGM_RSRC2:TGID_Z_EN: 0
; COMPUTE_PGM_RSRC2:TIDIG_COMP_CNT: 0
; COMPUTE_PGM_RSRC3_GFX90A:ACCUM_OFFSET: 0
; COMPUTE_PGM_RSRC3_GFX90A:TG_SPLIT: 0
	.section	.text._ZN7rocprim17ROCPRIM_400000_NS6detail17trampoline_kernelINS0_14default_configENS1_27scan_by_key_config_selectorIssEEZZNS1_16scan_by_key_implILNS1_25lookback_scan_determinismE0ELb1ES3_N6thrust23THRUST_200600_302600_NS6detail15normal_iteratorINS9_10device_ptrIsEEEESE_SE_sNS9_4plusIsEE19head_flag_predicatesEE10hipError_tPvRmT2_T3_T4_T5_mT6_T7_P12ihipStream_tbENKUlT_T0_E_clISt17integral_constantIbLb1EESY_EEDaST_SU_EUlST_E_NS1_11comp_targetILNS1_3genE4ELNS1_11target_archE910ELNS1_3gpuE8ELNS1_3repE0EEENS1_30default_config_static_selectorELNS0_4arch9wavefront6targetE1EEEvT1_,"axG",@progbits,_ZN7rocprim17ROCPRIM_400000_NS6detail17trampoline_kernelINS0_14default_configENS1_27scan_by_key_config_selectorIssEEZZNS1_16scan_by_key_implILNS1_25lookback_scan_determinismE0ELb1ES3_N6thrust23THRUST_200600_302600_NS6detail15normal_iteratorINS9_10device_ptrIsEEEESE_SE_sNS9_4plusIsEE19head_flag_predicatesEE10hipError_tPvRmT2_T3_T4_T5_mT6_T7_P12ihipStream_tbENKUlT_T0_E_clISt17integral_constantIbLb1EESY_EEDaST_SU_EUlST_E_NS1_11comp_targetILNS1_3genE4ELNS1_11target_archE910ELNS1_3gpuE8ELNS1_3repE0EEENS1_30default_config_static_selectorELNS0_4arch9wavefront6targetE1EEEvT1_,comdat
	.protected	_ZN7rocprim17ROCPRIM_400000_NS6detail17trampoline_kernelINS0_14default_configENS1_27scan_by_key_config_selectorIssEEZZNS1_16scan_by_key_implILNS1_25lookback_scan_determinismE0ELb1ES3_N6thrust23THRUST_200600_302600_NS6detail15normal_iteratorINS9_10device_ptrIsEEEESE_SE_sNS9_4plusIsEE19head_flag_predicatesEE10hipError_tPvRmT2_T3_T4_T5_mT6_T7_P12ihipStream_tbENKUlT_T0_E_clISt17integral_constantIbLb1EESY_EEDaST_SU_EUlST_E_NS1_11comp_targetILNS1_3genE4ELNS1_11target_archE910ELNS1_3gpuE8ELNS1_3repE0EEENS1_30default_config_static_selectorELNS0_4arch9wavefront6targetE1EEEvT1_ ; -- Begin function _ZN7rocprim17ROCPRIM_400000_NS6detail17trampoline_kernelINS0_14default_configENS1_27scan_by_key_config_selectorIssEEZZNS1_16scan_by_key_implILNS1_25lookback_scan_determinismE0ELb1ES3_N6thrust23THRUST_200600_302600_NS6detail15normal_iteratorINS9_10device_ptrIsEEEESE_SE_sNS9_4plusIsEE19head_flag_predicatesEE10hipError_tPvRmT2_T3_T4_T5_mT6_T7_P12ihipStream_tbENKUlT_T0_E_clISt17integral_constantIbLb1EESY_EEDaST_SU_EUlST_E_NS1_11comp_targetILNS1_3genE4ELNS1_11target_archE910ELNS1_3gpuE8ELNS1_3repE0EEENS1_30default_config_static_selectorELNS0_4arch9wavefront6targetE1EEEvT1_
	.globl	_ZN7rocprim17ROCPRIM_400000_NS6detail17trampoline_kernelINS0_14default_configENS1_27scan_by_key_config_selectorIssEEZZNS1_16scan_by_key_implILNS1_25lookback_scan_determinismE0ELb1ES3_N6thrust23THRUST_200600_302600_NS6detail15normal_iteratorINS9_10device_ptrIsEEEESE_SE_sNS9_4plusIsEE19head_flag_predicatesEE10hipError_tPvRmT2_T3_T4_T5_mT6_T7_P12ihipStream_tbENKUlT_T0_E_clISt17integral_constantIbLb1EESY_EEDaST_SU_EUlST_E_NS1_11comp_targetILNS1_3genE4ELNS1_11target_archE910ELNS1_3gpuE8ELNS1_3repE0EEENS1_30default_config_static_selectorELNS0_4arch9wavefront6targetE1EEEvT1_
	.p2align	8
	.type	_ZN7rocprim17ROCPRIM_400000_NS6detail17trampoline_kernelINS0_14default_configENS1_27scan_by_key_config_selectorIssEEZZNS1_16scan_by_key_implILNS1_25lookback_scan_determinismE0ELb1ES3_N6thrust23THRUST_200600_302600_NS6detail15normal_iteratorINS9_10device_ptrIsEEEESE_SE_sNS9_4plusIsEE19head_flag_predicatesEE10hipError_tPvRmT2_T3_T4_T5_mT6_T7_P12ihipStream_tbENKUlT_T0_E_clISt17integral_constantIbLb1EESY_EEDaST_SU_EUlST_E_NS1_11comp_targetILNS1_3genE4ELNS1_11target_archE910ELNS1_3gpuE8ELNS1_3repE0EEENS1_30default_config_static_selectorELNS0_4arch9wavefront6targetE1EEEvT1_,@function
_ZN7rocprim17ROCPRIM_400000_NS6detail17trampoline_kernelINS0_14default_configENS1_27scan_by_key_config_selectorIssEEZZNS1_16scan_by_key_implILNS1_25lookback_scan_determinismE0ELb1ES3_N6thrust23THRUST_200600_302600_NS6detail15normal_iteratorINS9_10device_ptrIsEEEESE_SE_sNS9_4plusIsEE19head_flag_predicatesEE10hipError_tPvRmT2_T3_T4_T5_mT6_T7_P12ihipStream_tbENKUlT_T0_E_clISt17integral_constantIbLb1EESY_EEDaST_SU_EUlST_E_NS1_11comp_targetILNS1_3genE4ELNS1_11target_archE910ELNS1_3gpuE8ELNS1_3repE0EEENS1_30default_config_static_selectorELNS0_4arch9wavefront6targetE1EEEvT1_: ; @_ZN7rocprim17ROCPRIM_400000_NS6detail17trampoline_kernelINS0_14default_configENS1_27scan_by_key_config_selectorIssEEZZNS1_16scan_by_key_implILNS1_25lookback_scan_determinismE0ELb1ES3_N6thrust23THRUST_200600_302600_NS6detail15normal_iteratorINS9_10device_ptrIsEEEESE_SE_sNS9_4plusIsEE19head_flag_predicatesEE10hipError_tPvRmT2_T3_T4_T5_mT6_T7_P12ihipStream_tbENKUlT_T0_E_clISt17integral_constantIbLb1EESY_EEDaST_SU_EUlST_E_NS1_11comp_targetILNS1_3genE4ELNS1_11target_archE910ELNS1_3gpuE8ELNS1_3repE0EEENS1_30default_config_static_selectorELNS0_4arch9wavefront6targetE1EEEvT1_
; %bb.0:
	s_load_dword s70, s[4:5], 0x20
	s_load_dwordx4 s[60:63], s[4:5], 0x28
	s_load_dwordx2 s[68:69], s[4:5], 0x38
	v_cmp_ne_u32_e64 s[50:51], 0, v0
	v_cmp_eq_u32_e64 s[0:1], 0, v0
	s_and_saveexec_b64 s[2:3], s[0:1]
	s_cbranch_execz .LBB869_4
; %bb.1:
	s_mov_b64 s[8:9], exec
	v_mbcnt_lo_u32_b32 v1, s8, 0
	v_mbcnt_hi_u32_b32 v1, s9, v1
	v_cmp_eq_u32_e32 vcc, 0, v1
                                        ; implicit-def: $vgpr2
	s_and_saveexec_b64 s[6:7], vcc
	s_cbranch_execz .LBB869_3
; %bb.2:
	s_load_dwordx2 s[10:11], s[4:5], 0x68
	s_bcnt1_i32_b64 s8, s[8:9]
	v_mov_b32_e32 v2, 0
	v_mov_b32_e32 v3, s8
	s_waitcnt lgkmcnt(0)
	global_atomic_add v2, v2, v3, s[10:11] glc
.LBB869_3:
	s_or_b64 exec, exec, s[6:7]
	s_waitcnt vmcnt(0)
	v_readfirstlane_b32 s6, v2
	v_add_u32_e32 v1, s6, v1
	v_mov_b32_e32 v2, 0
	ds_write_b32 v2, v1
.LBB869_4:
	s_or_b64 exec, exec, s[2:3]
	s_load_dwordx8 s[52:59], s[4:5], 0x0
	s_load_dword s2, s[4:5], 0x40
	s_load_dwordx4 s[64:67], s[4:5], 0x48
	v_mov_b32_e32 v3, 0
	s_waitcnt lgkmcnt(0)
	s_lshl_b64 s[54:55], s[54:55], 1
	s_barrier
	ds_read_b32 v1, v3
	s_add_u32 s3, s52, s54
	s_addc_u32 s4, s53, s55
	s_add_u32 s5, s56, s54
	s_mul_i32 s7, s69, s2
	s_mul_hi_u32 s8, s68, s2
	s_addc_u32 s6, s57, s55
	s_add_i32 s7, s8, s7
	s_movk_i32 s8, 0x1600
	s_waitcnt lgkmcnt(0)
	v_mul_lo_u32 v2, v1, s8
	v_lshlrev_b64 v[10:11], 1, v[2:3]
	v_mov_b32_e32 v2, s4
	v_add_co_u32_e32 v6, vcc, s3, v10
	v_addc_co_u32_e32 v7, vcc, v2, v11, vcc
	v_mov_b32_e32 v2, s6
	v_add_co_u32_e32 v21, vcc, s5, v10
	s_mul_i32 s2, s68, s2
	v_addc_co_u32_e32 v39, vcc, v2, v11, vcc
	v_mov_b32_e32 v3, s7
	v_add_co_u32_e32 v2, vcc, s2, v1
	s_add_u32 s6, s64, -1
	v_addc_co_u32_e32 v3, vcc, 0, v3, vcc
	s_addc_u32 s7, s65, -1
	v_cmp_le_u64_e64 s[2:3], s[6:7], v[2:3]
	v_readfirstlane_b32 s63, v1
	s_mov_b64 s[4:5], -1
	s_and_b64 vcc, exec, s[2:3]
	s_mul_i32 s33, s6, 0xffffea00
	s_barrier
	s_barrier
	s_cbranch_vccz .LBB869_120
; %bb.5:
	flat_load_ushort v8, v[6:7]
	s_add_i32 s72, s33, s62
	v_cmp_gt_u32_e32 vcc, s72, v0
	s_waitcnt vmcnt(0) lgkmcnt(0)
	v_mov_b32_e32 v9, v8
	s_and_saveexec_b64 s[6:7], vcc
	s_cbranch_execz .LBB869_7
; %bb.6:
	v_lshlrev_b32_e32 v1, 1, v0
	v_add_co_u32_e64 v2, s[4:5], v6, v1
	v_addc_co_u32_e64 v3, s[4:5], 0, v7, s[4:5]
	flat_load_ushort v9, v[2:3]
.LBB869_7:
	s_or_b64 exec, exec, s[6:7]
	v_or_b32_e32 v1, 0x100, v0
	v_cmp_gt_u32_e64 s[6:7], s72, v1
	v_mov_b32_e32 v12, v8
	s_and_saveexec_b64 s[8:9], s[6:7]
	s_cbranch_execz .LBB869_9
; %bb.8:
	v_lshlrev_b32_e32 v1, 1, v0
	v_add_co_u32_e64 v2, s[4:5], v6, v1
	v_addc_co_u32_e64 v3, s[4:5], 0, v7, s[4:5]
	flat_load_ushort v12, v[2:3] offset:512
.LBB869_9:
	s_or_b64 exec, exec, s[8:9]
	v_or_b32_e32 v1, 0x200, v0
	v_cmp_gt_u32_e64 s[8:9], s72, v1
	v_mov_b32_e32 v13, v8
	s_and_saveexec_b64 s[10:11], s[8:9]
	s_cbranch_execz .LBB869_11
; %bb.10:
	v_lshlrev_b32_e32 v1, 1, v0
	v_add_co_u32_e64 v2, s[4:5], v6, v1
	v_addc_co_u32_e64 v3, s[4:5], 0, v7, s[4:5]
	flat_load_ushort v13, v[2:3] offset:1024
.LBB869_11:
	;; [unrolled: 12-line block ×7, first 2 shown]
	s_or_b64 exec, exec, s[20:21]
	v_or_b32_e32 v1, 0x800, v0
	v_cmp_gt_u32_e64 s[20:21], s72, v1
	v_mov_b32_e32 v19, v8
	s_and_saveexec_b64 s[22:23], s[20:21]
	s_cbranch_execz .LBB869_23
; %bb.22:
	v_lshlrev_b32_e32 v2, 1, v1
	v_add_co_u32_e64 v2, s[4:5], v6, v2
	v_addc_co_u32_e64 v3, s[4:5], 0, v7, s[4:5]
	flat_load_ushort v19, v[2:3]
.LBB869_23:
	s_or_b64 exec, exec, s[22:23]
	v_or_b32_e32 v2, 0x900, v0
	v_cmp_gt_u32_e64 s[22:23], s72, v2
	v_mov_b32_e32 v31, v8
	s_and_saveexec_b64 s[24:25], s[22:23]
	s_cbranch_execz .LBB869_25
; %bb.24:
	v_lshlrev_b32_e32 v3, 1, v2
	v_add_co_u32_e64 v4, s[4:5], v6, v3
	v_addc_co_u32_e64 v5, s[4:5], 0, v7, s[4:5]
	flat_load_ushort v31, v[4:5]
.LBB869_25:
	;; [unrolled: 12-line block ×13, first 2 shown]
	s_or_b64 exec, exec, s[48:49]
	v_or_b32_e32 v30, 0x1500, v0
	v_cmp_gt_u32_e64 s[48:49], s72, v30
	s_and_saveexec_b64 s[52:53], s[48:49]
	s_cbranch_execz .LBB869_49
; %bb.48:
	v_lshlrev_b32_e32 v8, 1, v30
	v_add_co_u32_e64 v44, s[4:5], v6, v8
	v_addc_co_u32_e64 v45, s[4:5], 0, v7, s[4:5]
	flat_load_ushort v8, v[44:45]
.LBB869_49:
	s_or_b64 exec, exec, s[52:53]
	v_lshlrev_b32_e32 v23, 1, v0
	s_waitcnt vmcnt(0) lgkmcnt(0)
	ds_write_b16 v23, v9
	ds_write_b16 v23, v12 offset:512
	ds_write_b16 v23, v13 offset:1024
	;; [unrolled: 1-line block ×21, first 2 shown]
	s_waitcnt lgkmcnt(0)
	s_barrier
	flat_load_ushort v42, v[6:7]
	v_mad_u32_u24 v44, v0, 42, v23
	s_movk_i32 s4, 0xffd6
	v_mad_i32_i24 v31, v0, s4, v44
	s_movk_i32 s4, 0xff
	v_cmp_ne_u32_e64 s[4:5], s4, v0
	ds_read2_b32 v[18:19], v44 offset1:1
	ds_read2_b32 v[16:17], v44 offset0:2 offset1:3
	ds_read2_b32 v[14:15], v44 offset0:4 offset1:5
	;; [unrolled: 1-line block ×4, first 2 shown]
	ds_read_b32 v45, v44 offset:40
	s_waitcnt lgkmcnt(0)
	ds_write_b16 v31, v18 offset:11776
	s_waitcnt lgkmcnt(0)
	s_barrier
	s_and_saveexec_b64 s[52:53], s[4:5]
	s_cbranch_execz .LBB869_51
; %bb.50:
	s_waitcnt vmcnt(0)
	ds_read_u16 v42, v23 offset:11778
.LBB869_51:
	s_or_b64 exec, exec, s[52:53]
	s_waitcnt lgkmcnt(0)
	s_barrier
	s_waitcnt lgkmcnt(0)
                                        ; implicit-def: $vgpr31
	s_and_saveexec_b64 s[4:5], vcc
	s_cbranch_execz .LBB869_193
; %bb.52:
	v_add_co_u32_e32 v32, vcc, v21, v23
	v_addc_co_u32_e32 v33, vcc, 0, v39, vcc
	flat_load_ushort v31, v[32:33]
	s_or_b64 exec, exec, s[4:5]
                                        ; implicit-def: $vgpr32
	s_and_saveexec_b64 s[4:5], s[6:7]
	s_cbranch_execnz .LBB869_194
.LBB869_53:
	s_or_b64 exec, exec, s[4:5]
                                        ; implicit-def: $vgpr33
	s_and_saveexec_b64 s[4:5], s[8:9]
	s_cbranch_execz .LBB869_195
.LBB869_54:
	v_add_co_u32_e32 v34, vcc, v21, v23
	v_addc_co_u32_e32 v35, vcc, 0, v39, vcc
	flat_load_ushort v33, v[34:35] offset:1024
	s_or_b64 exec, exec, s[4:5]
                                        ; implicit-def: $vgpr34
	s_and_saveexec_b64 s[4:5], s[10:11]
	s_cbranch_execnz .LBB869_196
.LBB869_55:
	s_or_b64 exec, exec, s[4:5]
                                        ; implicit-def: $vgpr35
	s_and_saveexec_b64 s[4:5], s[12:13]
	s_cbranch_execz .LBB869_197
.LBB869_56:
	v_add_co_u32_e32 v36, vcc, v21, v23
	v_addc_co_u32_e32 v37, vcc, 0, v39, vcc
	flat_load_ushort v35, v[36:37] offset:2048
	s_or_b64 exec, exec, s[4:5]
                                        ; implicit-def: $vgpr36
	s_and_saveexec_b64 s[4:5], s[14:15]
	s_cbranch_execnz .LBB869_198
.LBB869_57:
	s_or_b64 exec, exec, s[4:5]
                                        ; implicit-def: $vgpr37
	s_and_saveexec_b64 s[4:5], s[16:17]
	s_cbranch_execz .LBB869_199
.LBB869_58:
	v_add_co_u32_e32 v40, vcc, v21, v23
	v_addc_co_u32_e32 v41, vcc, 0, v39, vcc
	flat_load_ushort v37, v[40:41] offset:3072
	s_or_b64 exec, exec, s[4:5]
                                        ; implicit-def: $vgpr38
	s_and_saveexec_b64 s[4:5], s[18:19]
	s_cbranch_execnz .LBB869_200
.LBB869_59:
	s_or_b64 exec, exec, s[4:5]
                                        ; implicit-def: $vgpr40
	s_and_saveexec_b64 s[4:5], s[20:21]
	s_cbranch_execz .LBB869_201
.LBB869_60:
	v_lshlrev_b32_e32 v1, 1, v1
	v_add_co_u32_e32 v40, vcc, v21, v1
	v_addc_co_u32_e32 v41, vcc, 0, v39, vcc
	flat_load_ushort v40, v[40:41]
	s_or_b64 exec, exec, s[4:5]
                                        ; implicit-def: $vgpr1
	s_and_saveexec_b64 s[4:5], s[22:23]
	s_cbranch_execnz .LBB869_202
.LBB869_61:
	s_or_b64 exec, exec, s[4:5]
                                        ; implicit-def: $vgpr2
	s_and_saveexec_b64 s[4:5], s[24:25]
	s_cbranch_execz .LBB869_203
.LBB869_62:
	v_lshlrev_b32_e32 v2, 1, v3
	v_add_co_u32_e32 v2, vcc, v21, v2
	v_addc_co_u32_e32 v3, vcc, 0, v39, vcc
	flat_load_ushort v2, v[2:3]
	s_or_b64 exec, exec, s[4:5]
                                        ; implicit-def: $vgpr3
	s_and_saveexec_b64 s[4:5], s[26:27]
	s_cbranch_execnz .LBB869_204
.LBB869_63:
	s_or_b64 exec, exec, s[4:5]
                                        ; implicit-def: $vgpr4
	s_and_saveexec_b64 s[4:5], s[28:29]
	s_cbranch_execz .LBB869_205
.LBB869_64:
	v_lshlrev_b32_e32 v4, 1, v5
	v_add_co_u32_e32 v4, vcc, v21, v4
	v_addc_co_u32_e32 v5, vcc, 0, v39, vcc
	flat_load_ushort v4, v[4:5]
	s_or_b64 exec, exec, s[4:5]
                                        ; implicit-def: $vgpr5
	s_and_saveexec_b64 s[4:5], s[30:31]
	s_cbranch_execnz .LBB869_206
.LBB869_65:
	s_or_b64 exec, exec, s[4:5]
                                        ; implicit-def: $vgpr20
	s_and_saveexec_b64 s[4:5], s[34:35]
	s_cbranch_execz .LBB869_207
.LBB869_66:
	v_lshlrev_b32_e32 v20, 1, v22
	v_add_co_u32_e32 v46, vcc, v21, v20
	v_addc_co_u32_e32 v47, vcc, 0, v39, vcc
	flat_load_ushort v20, v[46:47]
	s_or_b64 exec, exec, s[4:5]
                                        ; implicit-def: $vgpr22
	s_and_saveexec_b64 s[4:5], s[36:37]
	s_cbranch_execnz .LBB869_208
.LBB869_67:
	s_or_b64 exec, exec, s[4:5]
                                        ; implicit-def: $vgpr24
	s_and_saveexec_b64 s[4:5], s[38:39]
	s_cbranch_execz .LBB869_209
.LBB869_68:
	v_lshlrev_b32_e32 v24, 1, v25
	v_add_co_u32_e32 v24, vcc, v21, v24
	v_addc_co_u32_e32 v25, vcc, 0, v39, vcc
	flat_load_ushort v24, v[24:25]
	s_or_b64 exec, exec, s[4:5]
                                        ; implicit-def: $vgpr25
	s_and_saveexec_b64 s[4:5], s[40:41]
	s_cbranch_execnz .LBB869_210
.LBB869_69:
	s_or_b64 exec, exec, s[4:5]
                                        ; implicit-def: $vgpr26
	s_and_saveexec_b64 s[4:5], s[42:43]
	s_cbranch_execz .LBB869_211
.LBB869_70:
	v_lshlrev_b32_e32 v26, 1, v27
	v_add_co_u32_e32 v26, vcc, v21, v26
	v_addc_co_u32_e32 v27, vcc, 0, v39, vcc
	flat_load_ushort v26, v[26:27]
	s_or_b64 exec, exec, s[4:5]
                                        ; implicit-def: $vgpr27
	s_and_saveexec_b64 s[4:5], s[44:45]
	s_cbranch_execnz .LBB869_212
.LBB869_71:
	s_or_b64 exec, exec, s[4:5]
                                        ; implicit-def: $vgpr28
	s_and_saveexec_b64 s[4:5], s[46:47]
	s_cbranch_execz .LBB869_73
.LBB869_72:
	v_lshlrev_b32_e32 v28, 1, v29
	v_add_co_u32_e32 v28, vcc, v21, v28
	v_addc_co_u32_e32 v29, vcc, 0, v39, vcc
	flat_load_ushort v28, v[28:29]
.LBB869_73:
	s_or_b64 exec, exec, s[4:5]
	v_mul_u32_u24_e32 v46, 22, v0
                                        ; implicit-def: $vgpr29
	s_and_saveexec_b64 s[4:5], s[48:49]
	s_cbranch_execz .LBB869_75
; %bb.74:
	v_lshlrev_b32_e32 v29, 1, v30
	v_add_co_u32_e32 v48, vcc, v21, v29
	v_addc_co_u32_e32 v49, vcc, 0, v39, vcc
	flat_load_ushort v29, v[48:49]
.LBB869_75:
	s_or_b64 exec, exec, s[4:5]
	s_waitcnt vmcnt(0) lgkmcnt(0)
	ds_write_b16 v23, v31
	ds_write_b16 v23, v32 offset:512
	ds_write_b16 v23, v33 offset:1024
	;; [unrolled: 1-line block ×21, first 2 shown]
	v_cmp_gt_u32_e32 vcc, s72, v46
	s_mov_b64 s[4:5], 0
	s_mov_b32 s71, 0
	v_mov_b32_e32 v1, 0
	s_mov_b64 s[10:11], 0
	v_mov_b32_e32 v22, 0
	v_mov_b32_e32 v23, 0
	;; [unrolled: 1-line block ×20, first 2 shown]
	s_waitcnt lgkmcnt(0)
	s_barrier
	s_waitcnt lgkmcnt(0)
                                        ; implicit-def: $sgpr8_sgpr9
                                        ; implicit-def: $vgpr43
	s_and_saveexec_b64 s[6:7], vcc
	s_cbranch_execz .LBB869_119
; %bb.76:
	ds_read_u16 v1, v44
	v_mov_b32_e32 v22, 0
	v_mov_b32_e32 v3, s70
	v_cmp_eq_u16_sdwa vcc, v18, v22 src0_sel:WORD_1 src1_sel:DWORD
	v_cmp_ne_u16_sdwa s[8:9], v18, v22 src0_sel:WORD_1 src1_sel:DWORD
	s_waitcnt lgkmcnt(0)
	v_cndmask_b32_e32 v1, v3, v1, vcc
	v_or_b32_e32 v2, 1, v46
	v_and_b32_e32 v1, 0xffff, v1
	v_cndmask_b32_e64 v3, 0, 1, s[8:9]
	v_lshl_or_b32 v1, v3, 16, v1
	v_cmp_gt_u32_e32 vcc, s72, v2
	v_mov_b32_e32 v23, 0
	v_mov_b32_e32 v24, 0
	v_mov_b32_e32 v25, 0
	v_mov_b32_e32 v26, 0
	v_mov_b32_e32 v27, 0
	v_mov_b32_e32 v28, 0
	v_mov_b32_e32 v29, 0
	v_mov_b32_e32 v30, 0
	v_mov_b32_e32 v31, 0
	v_mov_b32_e32 v32, 0
	v_mov_b32_e32 v33, 0
	v_mov_b32_e32 v34, 0
	v_mov_b32_e32 v35, 0
	v_mov_b32_e32 v36, 0
	v_mov_b32_e32 v37, 0
	v_mov_b32_e32 v20, 0
	v_mov_b32_e32 v38, 0
	v_mov_b32_e32 v40, 0
	v_mov_b32_e32 v41, 0
                                        ; implicit-def: $sgpr12_sgpr13
                                        ; implicit-def: $vgpr43
	s_and_saveexec_b64 s[8:9], vcc
	s_cbranch_execz .LBB869_118
; %bb.77:
	ds_read_b128 v[2:5], v44 offset:2
	v_mov_b32_e32 v20, s70
	v_cmp_eq_u16_e32 vcc, 0, v19
	v_add_u32_e32 v18, 2, v46
	s_mov_b64 s[14:15], 0
	s_waitcnt lgkmcnt(0)
	v_cndmask_b32_e32 v20, v20, v2, vcc
	v_cmp_ne_u16_e32 vcc, 0, v19
	v_and_b32_e32 v20, 0xffff, v20
	v_cndmask_b32_e64 v22, 0, 1, vcc
	v_lshl_or_b32 v22, v22, 16, v20
	v_cmp_gt_u32_e32 vcc, s72, v18
	v_mov_b32_e32 v23, 0
	v_mov_b32_e32 v24, 0
	;; [unrolled: 1-line block ×19, first 2 shown]
                                        ; implicit-def: $sgpr12_sgpr13
                                        ; implicit-def: $vgpr43
	s_and_saveexec_b64 s[10:11], vcc
	s_cbranch_execz .LBB869_117
; %bb.78:
	v_mov_b32_e32 v24, 0
	v_lshrrev_b32_e32 v2, 16, v2
	v_mov_b32_e32 v20, s70
	v_cmp_eq_u16_sdwa vcc, v19, v24 src0_sel:WORD_1 src1_sel:DWORD
	v_cndmask_b32_e32 v2, v20, v2, vcc
	v_cmp_ne_u16_sdwa s[12:13], v19, v24 src0_sel:WORD_1 src1_sel:DWORD
	v_add_u32_e32 v18, 3, v46
	v_and_b32_e32 v2, 0xffff, v2
	v_cndmask_b32_e64 v19, 0, 1, s[12:13]
	v_lshl_or_b32 v23, v19, 16, v2
	v_cmp_gt_u32_e32 vcc, s72, v18
	v_mov_b32_e32 v25, 0
	v_mov_b32_e32 v26, 0
	v_mov_b32_e32 v27, 0
	v_mov_b32_e32 v28, 0
	v_mov_b32_e32 v29, 0
	v_mov_b32_e32 v30, 0
	v_mov_b32_e32 v31, 0
	v_mov_b32_e32 v32, 0
	v_mov_b32_e32 v33, 0
	v_mov_b32_e32 v34, 0
	v_mov_b32_e32 v35, 0
	v_mov_b32_e32 v36, 0
	v_mov_b32_e32 v37, 0
	v_mov_b32_e32 v20, 0
	v_mov_b32_e32 v38, 0
	v_mov_b32_e32 v40, 0
	v_mov_b32_e32 v41, 0
                                        ; implicit-def: $sgpr16_sgpr17
                                        ; implicit-def: $vgpr43
	s_and_saveexec_b64 s[12:13], vcc
	s_cbranch_execz .LBB869_116
; %bb.79:
	v_mov_b32_e32 v18, s70
	v_cmp_eq_u16_e32 vcc, 0, v16
	v_cndmask_b32_e32 v18, v18, v3, vcc
	v_cmp_ne_u16_e32 vcc, 0, v16
	v_add_u32_e32 v2, 4, v46
	v_and_b32_e32 v18, 0xffff, v18
	v_cndmask_b32_e64 v19, 0, 1, vcc
	v_lshl_or_b32 v24, v19, 16, v18
	v_cmp_gt_u32_e32 vcc, s72, v2
	s_mov_b64 s[18:19], 0
	v_mov_b32_e32 v25, 0
	v_mov_b32_e32 v26, 0
	;; [unrolled: 1-line block ×17, first 2 shown]
                                        ; implicit-def: $sgpr16_sgpr17
                                        ; implicit-def: $vgpr43
	s_and_saveexec_b64 s[14:15], vcc
	s_cbranch_execz .LBB869_115
; %bb.80:
	v_mov_b32_e32 v26, 0
	v_lshrrev_b32_e32 v2, 16, v3
	v_mov_b32_e32 v18, s70
	v_cmp_eq_u16_sdwa vcc, v16, v26 src0_sel:WORD_1 src1_sel:DWORD
	v_cndmask_b32_e32 v2, v18, v2, vcc
	v_cmp_ne_u16_sdwa s[16:17], v16, v26 src0_sel:WORD_1 src1_sel:DWORD
	v_add_u32_e32 v3, 5, v46
	v_and_b32_e32 v2, 0xffff, v2
	v_cndmask_b32_e64 v16, 0, 1, s[16:17]
	v_lshl_or_b32 v25, v16, 16, v2
	v_cmp_gt_u32_e32 vcc, s72, v3
	v_mov_b32_e32 v27, 0
	v_mov_b32_e32 v28, 0
	;; [unrolled: 1-line block ×15, first 2 shown]
                                        ; implicit-def: $sgpr20_sgpr21
                                        ; implicit-def: $vgpr43
	s_and_saveexec_b64 s[16:17], vcc
	s_cbranch_execz .LBB869_114
; %bb.81:
	v_mov_b32_e32 v3, s70
	v_cmp_eq_u16_e32 vcc, 0, v17
	v_cndmask_b32_e32 v3, v3, v4, vcc
	v_cmp_ne_u16_e32 vcc, 0, v17
	v_add_u32_e32 v2, 6, v46
	v_and_b32_e32 v3, 0xffff, v3
	v_cndmask_b32_e64 v16, 0, 1, vcc
	v_lshl_or_b32 v26, v16, 16, v3
	v_cmp_gt_u32_e32 vcc, s72, v2
	s_mov_b64 s[22:23], 0
	v_mov_b32_e32 v27, 0
	v_mov_b32_e32 v28, 0
	;; [unrolled: 1-line block ×15, first 2 shown]
                                        ; implicit-def: $sgpr20_sgpr21
                                        ; implicit-def: $vgpr43
	s_and_saveexec_b64 s[18:19], vcc
	s_cbranch_execz .LBB869_113
; %bb.82:
	v_mov_b32_e32 v28, 0
	v_lshrrev_b32_e32 v2, 16, v4
	v_mov_b32_e32 v4, s70
	v_cmp_eq_u16_sdwa vcc, v17, v28 src0_sel:WORD_1 src1_sel:DWORD
	v_cndmask_b32_e32 v2, v4, v2, vcc
	v_cmp_ne_u16_sdwa s[20:21], v17, v28 src0_sel:WORD_1 src1_sel:DWORD
	v_add_u32_e32 v3, 7, v46
	v_and_b32_e32 v2, 0xffff, v2
	v_cndmask_b32_e64 v4, 0, 1, s[20:21]
	v_lshl_or_b32 v27, v4, 16, v2
	v_cmp_gt_u32_e32 vcc, s72, v3
	v_mov_b32_e32 v29, 0
	v_mov_b32_e32 v30, 0
	;; [unrolled: 1-line block ×13, first 2 shown]
                                        ; implicit-def: $sgpr24_sgpr25
                                        ; implicit-def: $vgpr43
	s_and_saveexec_b64 s[20:21], vcc
	s_cbranch_execz .LBB869_112
; %bb.83:
	v_mov_b32_e32 v3, s70
	v_cmp_eq_u16_e32 vcc, 0, v14
	v_cndmask_b32_e32 v3, v3, v5, vcc
	v_cmp_ne_u16_e32 vcc, 0, v14
	v_add_u32_e32 v2, 8, v46
	v_and_b32_e32 v3, 0xffff, v3
	v_cndmask_b32_e64 v4, 0, 1, vcc
	v_lshl_or_b32 v28, v4, 16, v3
	v_cmp_gt_u32_e32 vcc, s72, v2
	s_mov_b64 s[26:27], 0
	v_mov_b32_e32 v29, 0
	v_mov_b32_e32 v30, 0
	;; [unrolled: 1-line block ×13, first 2 shown]
                                        ; implicit-def: $sgpr24_sgpr25
                                        ; implicit-def: $vgpr43
	s_and_saveexec_b64 s[22:23], vcc
	s_cbranch_execz .LBB869_111
; %bb.84:
	v_mov_b32_e32 v30, 0
	v_lshrrev_b32_e32 v2, 16, v5
	v_mov_b32_e32 v4, s70
	v_cmp_eq_u16_sdwa vcc, v14, v30 src0_sel:WORD_1 src1_sel:DWORD
	v_cndmask_b32_e32 v2, v4, v2, vcc
	v_cmp_ne_u16_sdwa s[24:25], v14, v30 src0_sel:WORD_1 src1_sel:DWORD
	v_add_u32_e32 v3, 9, v46
	v_and_b32_e32 v2, 0xffff, v2
	v_cndmask_b32_e64 v4, 0, 1, s[24:25]
	v_lshl_or_b32 v29, v4, 16, v2
	v_cmp_gt_u32_e32 vcc, s72, v3
	v_mov_b32_e32 v31, 0
	v_mov_b32_e32 v32, 0
	;; [unrolled: 1-line block ×11, first 2 shown]
                                        ; implicit-def: $sgpr28_sgpr29
                                        ; implicit-def: $vgpr43
	s_and_saveexec_b64 s[24:25], vcc
	s_cbranch_execz .LBB869_110
; %bb.85:
	ds_read_b128 v[2:5], v44 offset:18
	v_mov_b32_e32 v16, s70
	v_cmp_eq_u16_e32 vcc, 0, v15
	v_add_u32_e32 v14, 10, v46
	s_mov_b64 s[30:31], 0
	s_waitcnt lgkmcnt(0)
	v_cndmask_b32_e32 v16, v16, v2, vcc
	v_cmp_ne_u16_e32 vcc, 0, v15
	v_and_b32_e32 v16, 0xffff, v16
	v_cndmask_b32_e64 v17, 0, 1, vcc
	v_lshl_or_b32 v30, v17, 16, v16
	v_cmp_gt_u32_e32 vcc, s72, v14
	v_mov_b32_e32 v31, 0
	v_mov_b32_e32 v32, 0
	;; [unrolled: 1-line block ×11, first 2 shown]
                                        ; implicit-def: $sgpr28_sgpr29
                                        ; implicit-def: $vgpr43
	s_and_saveexec_b64 s[26:27], vcc
	s_cbranch_execz .LBB869_109
; %bb.86:
	v_mov_b32_e32 v32, 0
	v_lshrrev_b32_e32 v2, 16, v2
	v_mov_b32_e32 v16, s70
	v_cmp_eq_u16_sdwa vcc, v15, v32 src0_sel:WORD_1 src1_sel:DWORD
	v_cndmask_b32_e32 v2, v16, v2, vcc
	v_cmp_ne_u16_sdwa s[28:29], v15, v32 src0_sel:WORD_1 src1_sel:DWORD
	v_add_u32_e32 v14, 11, v46
	v_and_b32_e32 v2, 0xffff, v2
	v_cndmask_b32_e64 v15, 0, 1, s[28:29]
	v_lshl_or_b32 v31, v15, 16, v2
	v_cmp_gt_u32_e32 vcc, s72, v14
	v_mov_b32_e32 v33, 0
	v_mov_b32_e32 v34, 0
	;; [unrolled: 1-line block ×9, first 2 shown]
                                        ; implicit-def: $sgpr34_sgpr35
                                        ; implicit-def: $vgpr43
	s_and_saveexec_b64 s[28:29], vcc
	s_cbranch_execz .LBB869_108
; %bb.87:
	v_mov_b32_e32 v14, s70
	v_cmp_eq_u16_e32 vcc, 0, v12
	v_cndmask_b32_e32 v14, v14, v3, vcc
	v_cmp_ne_u16_e32 vcc, 0, v12
	v_add_u32_e32 v2, 12, v46
	v_and_b32_e32 v14, 0xffff, v14
	v_cndmask_b32_e64 v15, 0, 1, vcc
	v_lshl_or_b32 v32, v15, 16, v14
	v_cmp_gt_u32_e32 vcc, s72, v2
	s_mov_b64 s[36:37], 0
	v_mov_b32_e32 v33, 0
	v_mov_b32_e32 v34, 0
	;; [unrolled: 1-line block ×9, first 2 shown]
                                        ; implicit-def: $sgpr34_sgpr35
                                        ; implicit-def: $vgpr43
	s_and_saveexec_b64 s[30:31], vcc
	s_cbranch_execz .LBB869_107
; %bb.88:
	v_mov_b32_e32 v34, 0
	v_lshrrev_b32_e32 v2, 16, v3
	v_mov_b32_e32 v14, s70
	v_cmp_eq_u16_sdwa vcc, v12, v34 src0_sel:WORD_1 src1_sel:DWORD
	v_cndmask_b32_e32 v2, v14, v2, vcc
	v_cmp_ne_u16_sdwa s[34:35], v12, v34 src0_sel:WORD_1 src1_sel:DWORD
	v_add_u32_e32 v3, 13, v46
	v_and_b32_e32 v2, 0xffff, v2
	v_cndmask_b32_e64 v12, 0, 1, s[34:35]
	v_lshl_or_b32 v33, v12, 16, v2
	v_cmp_gt_u32_e32 vcc, s72, v3
	v_mov_b32_e32 v35, 0
	v_mov_b32_e32 v36, 0
	;; [unrolled: 1-line block ×7, first 2 shown]
                                        ; implicit-def: $sgpr38_sgpr39
                                        ; implicit-def: $vgpr43
	s_and_saveexec_b64 s[34:35], vcc
	s_cbranch_execz .LBB869_106
; %bb.89:
	v_mov_b32_e32 v3, s70
	v_cmp_eq_u16_e32 vcc, 0, v13
	v_cndmask_b32_e32 v3, v3, v4, vcc
	v_cmp_ne_u16_e32 vcc, 0, v13
	v_add_u32_e32 v2, 14, v46
	v_and_b32_e32 v3, 0xffff, v3
	v_cndmask_b32_e64 v12, 0, 1, vcc
	v_lshl_or_b32 v34, v12, 16, v3
	v_cmp_gt_u32_e32 vcc, s72, v2
	s_mov_b64 s[40:41], 0
	v_mov_b32_e32 v35, 0
	v_mov_b32_e32 v36, 0
	v_mov_b32_e32 v37, 0
	v_mov_b32_e32 v20, 0
	v_mov_b32_e32 v38, 0
	v_mov_b32_e32 v40, 0
	v_mov_b32_e32 v41, 0
                                        ; implicit-def: $sgpr38_sgpr39
                                        ; implicit-def: $vgpr43
	s_and_saveexec_b64 s[36:37], vcc
	s_cbranch_execz .LBB869_105
; %bb.90:
	v_mov_b32_e32 v36, 0
	v_lshrrev_b32_e32 v2, 16, v4
	v_mov_b32_e32 v4, s70
	v_cmp_eq_u16_sdwa vcc, v13, v36 src0_sel:WORD_1 src1_sel:DWORD
	v_cndmask_b32_e32 v2, v4, v2, vcc
	v_cmp_ne_u16_sdwa s[38:39], v13, v36 src0_sel:WORD_1 src1_sel:DWORD
	v_add_u32_e32 v3, 15, v46
	v_and_b32_e32 v2, 0xffff, v2
	v_cndmask_b32_e64 v4, 0, 1, s[38:39]
	v_lshl_or_b32 v35, v4, 16, v2
	v_cmp_gt_u32_e32 vcc, s72, v3
	v_mov_b32_e32 v37, 0
	v_mov_b32_e32 v20, 0
	;; [unrolled: 1-line block ×5, first 2 shown]
                                        ; implicit-def: $sgpr42_sgpr43
                                        ; implicit-def: $vgpr43
	s_and_saveexec_b64 s[38:39], vcc
	s_cbranch_execz .LBB869_104
; %bb.91:
	v_mov_b32_e32 v3, s70
	v_cmp_eq_u16_e32 vcc, 0, v8
	v_cndmask_b32_e32 v3, v3, v5, vcc
	v_cmp_ne_u16_e32 vcc, 0, v8
	v_add_u32_e32 v2, 16, v46
	v_and_b32_e32 v3, 0xffff, v3
	v_cndmask_b32_e64 v4, 0, 1, vcc
	v_lshl_or_b32 v36, v4, 16, v3
	v_cmp_gt_u32_e32 vcc, s72, v2
	s_mov_b64 s[44:45], 0
	v_mov_b32_e32 v37, 0
	v_mov_b32_e32 v20, 0
	;; [unrolled: 1-line block ×5, first 2 shown]
                                        ; implicit-def: $sgpr42_sgpr43
                                        ; implicit-def: $vgpr43
	s_and_saveexec_b64 s[40:41], vcc
	s_cbranch_execz .LBB869_103
; %bb.92:
	v_mov_b32_e32 v20, 0
	v_lshrrev_b32_e32 v2, 16, v5
	v_mov_b32_e32 v4, s70
	v_cmp_eq_u16_sdwa vcc, v8, v20 src0_sel:WORD_1 src1_sel:DWORD
	v_cndmask_b32_e32 v2, v4, v2, vcc
	v_cmp_ne_u16_sdwa s[42:43], v8, v20 src0_sel:WORD_1 src1_sel:DWORD
	v_add_u32_e32 v3, 17, v46
	v_and_b32_e32 v2, 0xffff, v2
	v_cndmask_b32_e64 v4, 0, 1, s[42:43]
	v_lshl_or_b32 v37, v4, 16, v2
	v_cmp_gt_u32_e32 vcc, s72, v3
	v_mov_b32_e32 v38, 0
	v_mov_b32_e32 v40, 0
	;; [unrolled: 1-line block ×3, first 2 shown]
                                        ; implicit-def: $sgpr46_sgpr47
                                        ; implicit-def: $vgpr43
	s_and_saveexec_b64 s[42:43], vcc
	s_cbranch_execz .LBB869_102
; %bb.93:
	ds_read_b64 v[2:3], v44 offset:34
	v_mov_b32_e32 v5, s70
	v_cmp_eq_u16_e32 vcc, 0, v9
	v_add_u32_e32 v4, 18, v46
	s_mov_b64 s[48:49], 0
	s_waitcnt lgkmcnt(0)
	v_cndmask_b32_e32 v5, v5, v2, vcc
	v_cmp_ne_u16_e32 vcc, 0, v9
	v_and_b32_e32 v5, 0xffff, v5
	v_cndmask_b32_e64 v8, 0, 1, vcc
	v_lshl_or_b32 v20, v8, 16, v5
	v_cmp_gt_u32_e32 vcc, s72, v4
	v_mov_b32_e32 v38, 0
	v_mov_b32_e32 v40, 0
	;; [unrolled: 1-line block ×3, first 2 shown]
                                        ; implicit-def: $sgpr46_sgpr47
                                        ; implicit-def: $vgpr43
	s_and_saveexec_b64 s[44:45], vcc
	s_cbranch_execz .LBB869_101
; %bb.94:
	v_mov_b32_e32 v40, 0
	v_lshrrev_b32_e32 v2, 16, v2
	v_mov_b32_e32 v5, s70
	v_cmp_eq_u16_sdwa vcc, v9, v40 src0_sel:WORD_1 src1_sel:DWORD
	v_cndmask_b32_e32 v2, v5, v2, vcc
	v_cmp_ne_u16_sdwa s[46:47], v9, v40 src0_sel:WORD_1 src1_sel:DWORD
	v_add_u32_e32 v4, 19, v46
	v_and_b32_e32 v2, 0xffff, v2
	v_cndmask_b32_e64 v5, 0, 1, s[46:47]
	v_lshl_or_b32 v38, v5, 16, v2
	v_cmp_gt_u32_e32 vcc, s72, v4
	v_mov_b32_e32 v41, 0
                                        ; implicit-def: $sgpr52_sgpr53
                                        ; implicit-def: $vgpr43
	s_and_saveexec_b64 s[46:47], vcc
	s_cbranch_execz .LBB869_100
; %bb.95:
	v_mov_b32_e32 v4, s70
	v_cmp_eq_u16_e32 vcc, 0, v45
	v_cndmask_b32_e32 v4, v4, v3, vcc
	v_cmp_ne_u16_e32 vcc, 0, v45
	v_add_u32_e32 v2, 20, v46
	v_and_b32_e32 v4, 0xffff, v4
	v_cndmask_b32_e64 v5, 0, 1, vcc
	v_lshl_or_b32 v40, v5, 16, v4
	v_cmp_gt_u32_e32 vcc, s72, v2
	s_mov_b64 s[56:57], 0
	v_mov_b32_e32 v41, 0
                                        ; implicit-def: $sgpr64_sgpr65
                                        ; implicit-def: $vgpr43
	s_and_saveexec_b64 s[48:49], vcc
	s_cbranch_execz .LBB869_99
; %bb.96:
	v_lshrrev_b32_e32 v2, 16, v3
	v_mov_b32_e32 v3, 0
	v_mov_b32_e32 v5, s70
	v_cmp_eq_u16_sdwa vcc, v45, v3 src0_sel:WORD_1 src1_sel:DWORD
	v_cndmask_b32_e32 v2, v5, v2, vcc
	v_cmp_ne_u16_sdwa s[52:53], v45, v3 src0_sel:WORD_1 src1_sel:DWORD
	v_add_u32_e32 v4, 21, v46
	v_and_b32_e32 v2, 0xffff, v2
	v_cndmask_b32_e64 v3, 0, 1, s[52:53]
	v_lshl_or_b32 v41, v3, 16, v2
	v_cmp_gt_u32_e32 vcc, s72, v4
	s_mov_b64 s[52:53], 0
                                        ; implicit-def: $sgpr56_sgpr57
                                        ; implicit-def: $vgpr43
	s_and_saveexec_b64 s[64:65], vcc
	s_xor_b64 s[64:65], exec, s[64:65]
	s_cbranch_execz .LBB869_98
; %bb.97:
	ds_read_u16 v2, v44 offset:42
	v_mov_b32_e32 v3, s70
	v_cmp_ne_u16_e32 vcc, 0, v42
	s_mov_b64 s[52:53], exec
	s_and_b64 s[56:57], vcc, exec
	s_waitcnt lgkmcnt(0)
	v_cndmask_b32_e32 v43, v2, v3, vcc
.LBB869_98:
	s_or_b64 exec, exec, s[64:65]
	s_and_b64 s[64:65], s[56:57], exec
	s_and_b64 s[56:57], s[52:53], exec
.LBB869_99:
	s_or_b64 exec, exec, s[48:49]
	s_and_b64 s[52:53], s[64:65], exec
	s_and_b64 s[48:49], s[56:57], exec
.LBB869_100:
	s_or_b64 exec, exec, s[46:47]
	s_and_b64 s[46:47], s[52:53], exec
	s_and_b64 s[48:49], s[48:49], exec
.LBB869_101:
	s_or_b64 exec, exec, s[44:45]
	s_and_b64 s[46:47], s[46:47], exec
	s_and_b64 s[44:45], s[48:49], exec
.LBB869_102:
	s_or_b64 exec, exec, s[42:43]
	s_and_b64 s[42:43], s[46:47], exec
	s_and_b64 s[44:45], s[44:45], exec
.LBB869_103:
	s_or_b64 exec, exec, s[40:41]
	s_and_b64 s[42:43], s[42:43], exec
	s_and_b64 s[40:41], s[44:45], exec
.LBB869_104:
	s_or_b64 exec, exec, s[38:39]
	s_and_b64 s[38:39], s[42:43], exec
	s_and_b64 s[40:41], s[40:41], exec
.LBB869_105:
	s_or_b64 exec, exec, s[36:37]
	s_and_b64 s[38:39], s[38:39], exec
	s_and_b64 s[36:37], s[40:41], exec
.LBB869_106:
	s_or_b64 exec, exec, s[34:35]
	s_and_b64 s[34:35], s[38:39], exec
	s_and_b64 s[36:37], s[36:37], exec
.LBB869_107:
	s_or_b64 exec, exec, s[30:31]
	s_and_b64 s[34:35], s[34:35], exec
	s_and_b64 s[30:31], s[36:37], exec
.LBB869_108:
	s_or_b64 exec, exec, s[28:29]
	s_and_b64 s[28:29], s[34:35], exec
	s_and_b64 s[30:31], s[30:31], exec
.LBB869_109:
	s_or_b64 exec, exec, s[26:27]
	s_and_b64 s[28:29], s[28:29], exec
	s_and_b64 s[26:27], s[30:31], exec
.LBB869_110:
	s_or_b64 exec, exec, s[24:25]
	s_and_b64 s[24:25], s[28:29], exec
	s_and_b64 s[26:27], s[26:27], exec
.LBB869_111:
	s_or_b64 exec, exec, s[22:23]
	s_and_b64 s[24:25], s[24:25], exec
	s_and_b64 s[22:23], s[26:27], exec
.LBB869_112:
	s_or_b64 exec, exec, s[20:21]
	s_and_b64 s[20:21], s[24:25], exec
	s_and_b64 s[22:23], s[22:23], exec
.LBB869_113:
	s_or_b64 exec, exec, s[18:19]
	s_and_b64 s[20:21], s[20:21], exec
	s_and_b64 s[18:19], s[22:23], exec
.LBB869_114:
	s_or_b64 exec, exec, s[16:17]
	s_and_b64 s[16:17], s[20:21], exec
	s_and_b64 s[18:19], s[18:19], exec
.LBB869_115:
	s_or_b64 exec, exec, s[14:15]
	s_and_b64 s[16:17], s[16:17], exec
	s_and_b64 s[14:15], s[18:19], exec
.LBB869_116:
	s_or_b64 exec, exec, s[12:13]
	s_and_b64 s[12:13], s[16:17], exec
	s_and_b64 s[14:15], s[14:15], exec
.LBB869_117:
	s_or_b64 exec, exec, s[10:11]
	s_and_b64 s[12:13], s[12:13], exec
	s_and_b64 s[10:11], s[14:15], exec
.LBB869_118:
	s_or_b64 exec, exec, s[8:9]
	s_and_b64 s[8:9], s[12:13], exec
	s_and_b64 s[10:11], s[10:11], exec
.LBB869_119:
	s_or_b64 exec, exec, s[6:7]
	s_and_b64 vcc, exec, s[4:5]
	v_lshlrev_b32_e32 v42, 1, v0
	s_cbranch_vccnz .LBB869_121
	s_branch .LBB869_126
.LBB869_120:
	s_mov_b64 s[10:11], 0
                                        ; implicit-def: $sgpr8_sgpr9
                                        ; implicit-def: $vgpr43
                                        ; implicit-def: $vgpr1
                                        ; implicit-def: $vgpr22
                                        ; implicit-def: $vgpr23
                                        ; implicit-def: $vgpr24
                                        ; implicit-def: $vgpr25
                                        ; implicit-def: $vgpr26
                                        ; implicit-def: $vgpr27
                                        ; implicit-def: $vgpr28
                                        ; implicit-def: $vgpr29
                                        ; implicit-def: $vgpr30
                                        ; implicit-def: $vgpr31
                                        ; implicit-def: $vgpr32
                                        ; implicit-def: $vgpr33
                                        ; implicit-def: $vgpr34
                                        ; implicit-def: $vgpr35
                                        ; implicit-def: $vgpr36
                                        ; implicit-def: $vgpr37
                                        ; implicit-def: $vgpr20
                                        ; implicit-def: $vgpr38
                                        ; implicit-def: $vgpr40
                                        ; implicit-def: $vgpr41
                                        ; implicit-def: $sgpr71
	s_and_b64 vcc, exec, s[4:5]
	v_lshlrev_b32_e32 v42, 1, v0
	s_cbranch_vccz .LBB869_126
.LBB869_121:
	v_add_co_u32_e32 v2, vcc, v6, v42
	v_addc_co_u32_e32 v3, vcc, 0, v7, vcc
	v_add_co_u32_e32 v4, vcc, 0x1000, v2
	v_addc_co_u32_e32 v5, vcc, 0, v3, vcc
	flat_load_ushort v1, v[2:3]
	flat_load_ushort v8, v[2:3] offset:512
	flat_load_ushort v9, v[2:3] offset:1024
	;; [unrolled: 1-line block ×7, first 2 shown]
	v_add_co_u32_e32 v2, vcc, 0x2000, v2
	v_addc_co_u32_e32 v3, vcc, 0, v3, vcc
	flat_load_ushort v17, v[4:5]
	flat_load_ushort v18, v[4:5] offset:512
	flat_load_ushort v19, v[4:5] offset:1024
	;; [unrolled: 1-line block ×7, first 2 shown]
	s_nop 0
	flat_load_ushort v4, v[2:3]
	flat_load_ushort v5, v[2:3] offset:512
	flat_load_ushort v26, v[2:3] offset:1024
	;; [unrolled: 1-line block ×5, first 2 shown]
	v_add_co_u32_e32 v2, vcc, 0x2000, v6
	v_addc_co_u32_e32 v3, vcc, 0, v7, vcc
	s_movk_i32 s4, 0xffd6
	s_movk_i32 s7, 0x1000
	;; [unrolled: 1-line block ×3, first 2 shown]
	s_waitcnt vmcnt(0) lgkmcnt(0)
	ds_write_b16 v42, v1
	ds_write_b16 v42, v8 offset:512
	ds_write_b16 v42, v9 offset:1024
	ds_write_b16 v42, v12 offset:1536
	ds_write_b16 v42, v13 offset:2048
	ds_write_b16 v42, v14 offset:2560
	ds_write_b16 v42, v15 offset:3072
	ds_write_b16 v42, v16 offset:3584
	ds_write_b16 v42, v17 offset:4096
	ds_write_b16 v42, v18 offset:4608
	ds_write_b16 v42, v19 offset:5120
	ds_write_b16 v42, v20 offset:5632
	ds_write_b16 v42, v22 offset:6144
	ds_write_b16 v42, v23 offset:6656
	ds_write_b16 v42, v24 offset:7168
	ds_write_b16 v42, v25 offset:7680
	ds_write_b16 v42, v4 offset:8192
	ds_write_b16 v42, v5 offset:8704
	ds_write_b16 v42, v26 offset:9216
	ds_write_b16 v42, v27 offset:9728
	ds_write_b16 v42, v28 offset:10240
	ds_write_b16 v42, v29 offset:10752
	s_waitcnt lgkmcnt(0)
	s_barrier
	flat_load_ushort v43, v[2:3] offset:3072
	v_mad_u32_u24 v1, v0, 42, v42
	v_mad_i32_i24 v2, v0, s4, v1
	s_movk_i32 s4, 0xff
	v_cmp_ne_u32_e32 vcc, s4, v0
	ds_read2_b32 v[22:23], v1 offset1:1
	ds_read2_b32 v[18:19], v1 offset0:2 offset1:3
	ds_read2_b32 v[16:17], v1 offset0:4 offset1:5
	;; [unrolled: 1-line block ×4, first 2 shown]
	ds_read_b32 v41, v1 offset:40
	s_waitcnt lgkmcnt(0)
	ds_write_b16 v2, v22 offset:11776
	s_waitcnt lgkmcnt(0)
	s_barrier
	s_and_saveexec_b64 s[4:5], vcc
	s_cbranch_execz .LBB869_123
; %bb.122:
	s_waitcnt vmcnt(0)
	ds_read_u16 v43, v42 offset:11778
.LBB869_123:
	s_or_b64 exec, exec, s[4:5]
	v_add_co_u32_e32 v2, vcc, v21, v42
	v_addc_co_u32_e32 v3, vcc, 0, v39, vcc
	v_add_co_u32_e32 v4, vcc, s7, v2
	v_addc_co_u32_e32 v5, vcc, 0, v3, vcc
	s_waitcnt lgkmcnt(0)
	s_barrier
	flat_load_ushort v6, v[2:3]
	flat_load_ushort v7, v[2:3] offset:512
	flat_load_ushort v8, v[2:3] offset:1024
	flat_load_ushort v9, v[2:3] offset:1536
	flat_load_ushort v20, v[2:3] offset:2048
	flat_load_ushort v21, v[2:3] offset:2560
	flat_load_ushort v24, v[2:3] offset:3072
	flat_load_ushort v25, v[2:3] offset:3584
	v_add_co_u32_e32 v2, vcc, s6, v2
	v_addc_co_u32_e32 v3, vcc, 0, v3, vcc
	flat_load_ushort v26, v[4:5]
	flat_load_ushort v27, v[4:5] offset:512
	flat_load_ushort v28, v[4:5] offset:1024
	;; [unrolled: 1-line block ×7, first 2 shown]
	s_nop 0
	flat_load_ushort v4, v[2:3]
	flat_load_ushort v5, v[2:3] offset:512
	flat_load_ushort v34, v[2:3] offset:1024
	;; [unrolled: 1-line block ×5, first 2 shown]
	v_mov_b32_e32 v44, 0
	v_cmp_eq_u16_sdwa s[6:7], v22, v44 src0_sel:WORD_1 src1_sel:DWORD
	v_mov_b32_e32 v22, 0x10000
	s_waitcnt vmcnt(0) lgkmcnt(0)
	ds_write_b16 v42, v6
	ds_write_b16 v42, v7 offset:512
	ds_write_b16 v42, v8 offset:1024
	;; [unrolled: 1-line block ×21, first 2 shown]
	s_waitcnt lgkmcnt(0)
	s_barrier
	ds_read_b128 v[6:9], v1 offset:2
	ds_read_b128 v[2:5], v1 offset:18
	ds_read_b64 v[20:21], v1 offset:34
	ds_read_u16 v39, v1 offset:42
	v_mov_b32_e32 v24, s70
	s_and_saveexec_b64 s[4:5], s[6:7]
	s_cbranch_execz .LBB869_125
; %bb.124:
	ds_read_u16 v24, v1
	v_mov_b32_e32 v22, 0
.LBB869_125:
	s_or_b64 exec, exec, s[4:5]
	v_mov_b32_e32 v46, s70
	v_cmp_eq_u16_e32 vcc, 0, v23
	s_waitcnt lgkmcnt(3)
	v_lshrrev_b32_e32 v25, 16, v6
	v_cndmask_b32_e32 v6, v46, v6, vcc
	v_cmp_ne_u16_e32 vcc, 0, v23
	s_waitcnt lgkmcnt(0)
	v_or_b32_sdwa v1, v22, v24 dst_sel:DWORD dst_unused:UNUSED_PAD src0_sel:DWORD src1_sel:WORD_0
	v_and_b32_e32 v6, 0xffff, v6
	v_cndmask_b32_e64 v22, 0, 1, vcc
	v_cmp_eq_u16_sdwa vcc, v23, v44 src0_sel:WORD_1 src1_sel:DWORD
	v_lshl_or_b32 v22, v22, 16, v6
	v_cndmask_b32_e32 v6, v46, v25, vcc
	v_cmp_ne_u16_sdwa s[4:5], v23, v44 src0_sel:WORD_1 src1_sel:DWORD
	v_and_b32_e32 v6, 0xffff, v6
	v_cndmask_b32_e64 v23, 0, 1, s[4:5]
	v_cmp_eq_u16_e32 vcc, 0, v18
	v_lshl_or_b32 v23, v23, 16, v6
	v_cndmask_b32_e32 v6, v46, v7, vcc
	v_cmp_ne_u16_e32 vcc, 0, v18
	v_lshrrev_b32_e32 v26, 16, v7
	v_and_b32_e32 v6, 0xffff, v6
	v_cndmask_b32_e64 v7, 0, 1, vcc
	v_cmp_eq_u16_sdwa vcc, v18, v44 src0_sel:WORD_1 src1_sel:DWORD
	v_lshl_or_b32 v24, v7, 16, v6
	v_cndmask_b32_e32 v6, v46, v26, vcc
	v_cmp_ne_u16_sdwa s[4:5], v18, v44 src0_sel:WORD_1 src1_sel:DWORD
	v_and_b32_e32 v6, 0xffff, v6
	v_cndmask_b32_e64 v7, 0, 1, s[4:5]
	v_cmp_eq_u16_e32 vcc, 0, v19
	v_lshl_or_b32 v25, v7, 16, v6
	v_cndmask_b32_e32 v6, v46, v8, vcc
	v_cmp_ne_u16_e32 vcc, 0, v19
	v_lshrrev_b32_e32 v27, 16, v8
	;; [unrolled: 13-line block ×3, first 2 shown]
	v_and_b32_e32 v6, 0xffff, v6
	v_cndmask_b32_e64 v7, 0, 1, vcc
	v_cmp_eq_u16_sdwa vcc, v16, v44 src0_sel:WORD_1 src1_sel:DWORD
	v_lshl_or_b32 v28, v7, 16, v6
	v_cndmask_b32_e32 v6, v46, v29, vcc
	v_cmp_ne_u16_sdwa s[4:5], v16, v44 src0_sel:WORD_1 src1_sel:DWORD
	v_cmp_eq_u16_e32 vcc, 0, v17
	v_lshrrev_b32_e32 v31, 16, v2
	v_and_b32_e32 v6, 0xffff, v6
	v_cndmask_b32_e64 v7, 0, 1, s[4:5]
	v_cndmask_b32_e32 v2, v46, v2, vcc
	v_cmp_ne_u16_e32 vcc, 0, v17
	v_lshl_or_b32 v29, v7, 16, v6
	v_and_b32_e32 v2, 0xffff, v2
	v_cndmask_b32_e64 v6, 0, 1, vcc
	v_cmp_eq_u16_sdwa vcc, v17, v44 src0_sel:WORD_1 src1_sel:DWORD
	v_lshl_or_b32 v30, v6, 16, v2
	v_cndmask_b32_e32 v2, v46, v31, vcc
	v_cmp_ne_u16_sdwa s[4:5], v17, v44 src0_sel:WORD_1 src1_sel:DWORD
	v_and_b32_e32 v2, 0xffff, v2
	v_cndmask_b32_e64 v6, 0, 1, s[4:5]
	v_cmp_eq_u16_e32 vcc, 0, v14
	v_lshl_or_b32 v31, v6, 16, v2
	v_cndmask_b32_e32 v2, v46, v3, vcc
	v_cmp_ne_u16_e32 vcc, 0, v14
	v_lshrrev_b32_e32 v33, 16, v3
	v_and_b32_e32 v2, 0xffff, v2
	v_cndmask_b32_e64 v3, 0, 1, vcc
	v_cmp_eq_u16_sdwa vcc, v14, v44 src0_sel:WORD_1 src1_sel:DWORD
	v_lshl_or_b32 v32, v3, 16, v2
	v_cndmask_b32_e32 v2, v46, v33, vcc
	v_cmp_ne_u16_sdwa s[4:5], v14, v44 src0_sel:WORD_1 src1_sel:DWORD
	v_and_b32_e32 v2, 0xffff, v2
	v_cndmask_b32_e64 v3, 0, 1, s[4:5]
	v_cmp_eq_u16_e32 vcc, 0, v15
	v_lshl_or_b32 v33, v3, 16, v2
	v_cndmask_b32_e32 v2, v46, v4, vcc
	v_cmp_ne_u16_e32 vcc, 0, v15
	v_lshrrev_b32_e32 v35, 16, v4
	v_and_b32_e32 v2, 0xffff, v2
	v_cndmask_b32_e64 v3, 0, 1, vcc
	v_cmp_eq_u16_sdwa vcc, v15, v44 src0_sel:WORD_1 src1_sel:DWORD
	v_lshl_or_b32 v34, v3, 16, v2
	v_cndmask_b32_e32 v2, v46, v35, vcc
	v_cmp_ne_u16_sdwa s[4:5], v15, v44 src0_sel:WORD_1 src1_sel:DWORD
	v_and_b32_e32 v2, 0xffff, v2
	v_cndmask_b32_e64 v3, 0, 1, s[4:5]
	v_cmp_eq_u16_e32 vcc, 0, v12
	v_lshl_or_b32 v35, v3, 16, v2
	v_cndmask_b32_e32 v2, v46, v5, vcc
	v_cmp_ne_u16_e32 vcc, 0, v12
	v_lshrrev_b32_e32 v37, 16, v5
	v_and_b32_e32 v2, 0xffff, v2
	v_cndmask_b32_e64 v3, 0, 1, vcc
	v_cmp_eq_u16_sdwa vcc, v12, v44 src0_sel:WORD_1 src1_sel:DWORD
	v_lshl_or_b32 v36, v3, 16, v2
	v_cndmask_b32_e32 v2, v46, v37, vcc
	v_cmp_ne_u16_sdwa s[4:5], v12, v44 src0_sel:WORD_1 src1_sel:DWORD
	v_and_b32_e32 v2, 0xffff, v2
	v_cndmask_b32_e64 v3, 0, 1, s[4:5]
	v_cmp_eq_u16_e32 vcc, 0, v13
	v_lshl_or_b32 v37, v3, 16, v2
	v_cndmask_b32_e32 v2, v46, v20, vcc
	v_cmp_ne_u16_e32 vcc, 0, v13
	v_lshrrev_b32_e32 v38, 16, v20
	v_and_b32_e32 v2, 0xffff, v2
	v_cndmask_b32_e64 v3, 0, 1, vcc
	v_cmp_eq_u16_sdwa vcc, v13, v44 src0_sel:WORD_1 src1_sel:DWORD
	v_lshl_or_b32 v20, v3, 16, v2
	v_cndmask_b32_e32 v2, v46, v38, vcc
	v_cmp_ne_u16_sdwa s[4:5], v13, v44 src0_sel:WORD_1 src1_sel:DWORD
	v_and_b32_e32 v2, 0xffff, v2
	v_cndmask_b32_e64 v3, 0, 1, s[4:5]
	v_cmp_eq_u16_e32 vcc, 0, v41
	v_lshl_or_b32 v38, v3, 16, v2
	v_cndmask_b32_e32 v2, v46, v21, vcc
	v_cmp_ne_u16_e32 vcc, 0, v41
	v_lshrrev_b32_e32 v45, 16, v21
	v_and_b32_e32 v2, 0xffff, v2
	v_cndmask_b32_e64 v3, 0, 1, vcc
	v_cmp_eq_u16_sdwa vcc, v41, v44 src0_sel:WORD_1 src1_sel:DWORD
	v_lshl_or_b32 v40, v3, 16, v2
	v_cndmask_b32_e32 v2, v46, v45, vcc
	v_cmp_ne_u16_sdwa s[4:5], v41, v44 src0_sel:WORD_1 src1_sel:DWORD
	v_and_b32_e32 v2, 0xffff, v2
	v_cndmask_b32_e64 v3, 0, 1, s[4:5]
	v_cmp_ne_u16_e64 s[8:9], 0, v43
	v_lshl_or_b32 v41, v3, 16, v2
	v_cndmask_b32_e64 v43, v39, v46, s[8:9]
	s_mov_b64 s[10:11], -1
                                        ; implicit-def: $sgpr71
.LBB869_126:
	v_mov_b32_e32 v14, s71
	s_and_saveexec_b64 s[4:5], s[10:11]
; %bb.127:
	v_mov_b32_e32 v2, 0x10000
	v_cndmask_b32_e64 v2, 0, v2, s[8:9]
	v_or_b32_sdwa v14, v2, v43 dst_sel:DWORD dst_unused:UNUSED_PAD src0_sel:DWORD src1_sel:WORD_0
; %bb.128:
	s_or_b64 exec, exec, s[4:5]
	v_or3_b32 v2, v14, v41, v40
	s_cmp_lg_u32 s63, 0
	v_or3_b32 v17, v2, v38, v20
	v_lshrrev_b32_e32 v15, 16, v1
	v_lshrrev_b32_e32 v16, 5, v0
	v_cmp_gt_u32_e32 vcc, 64, v0
	s_barrier
	s_cbranch_scc0 .LBB869_213
; %bb.129:
	s_mov_b32 s4, 0x10000
	v_cmp_gt_u32_e64 s[6:7], s4, v22
	v_cndmask_b32_e64 v2, 0, v1, s[6:7]
	v_add_u16_e32 v2, v2, v22
	v_cmp_gt_u32_e64 s[8:9], s4, v23
	v_cndmask_b32_e64 v2, 0, v2, s[8:9]
	v_add_u16_e32 v2, v2, v23
	v_cmp_gt_u32_e64 s[10:11], s4, v24
	v_cndmask_b32_e64 v2, 0, v2, s[10:11]
	v_add_u16_e32 v2, v2, v24
	v_cmp_gt_u32_e64 s[12:13], s4, v25
	v_cndmask_b32_e64 v2, 0, v2, s[12:13]
	v_add_u16_e32 v2, v2, v25
	v_cmp_gt_u32_e64 s[14:15], s4, v26
	v_cndmask_b32_e64 v2, 0, v2, s[14:15]
	v_add_u16_e32 v2, v2, v26
	v_cmp_gt_u32_e64 s[16:17], s4, v27
	v_cndmask_b32_e64 v2, 0, v2, s[16:17]
	v_add_u16_e32 v2, v2, v27
	v_cmp_gt_u32_e64 s[18:19], s4, v28
	v_cndmask_b32_e64 v2, 0, v2, s[18:19]
	v_add_u16_e32 v2, v2, v28
	v_cmp_gt_u32_e64 s[20:21], s4, v29
	v_cndmask_b32_e64 v2, 0, v2, s[20:21]
	v_add_u16_e32 v2, v2, v29
	v_cmp_gt_u32_e64 s[22:23], s4, v30
	v_cndmask_b32_e64 v2, 0, v2, s[22:23]
	v_add_u16_e32 v2, v2, v30
	v_cmp_gt_u32_e64 s[24:25], s4, v31
	v_cndmask_b32_e64 v2, 0, v2, s[24:25]
	v_add_u16_e32 v2, v2, v31
	v_cmp_gt_u32_e64 s[26:27], s4, v32
	v_cndmask_b32_e64 v2, 0, v2, s[26:27]
	v_add_u16_e32 v2, v2, v32
	v_cmp_gt_u32_e64 s[28:29], s4, v33
	v_cndmask_b32_e64 v2, 0, v2, s[28:29]
	v_add_u16_e32 v2, v2, v33
	v_cmp_gt_u32_e64 s[30:31], s4, v34
	v_cndmask_b32_e64 v2, 0, v2, s[30:31]
	v_add_u16_e32 v2, v2, v34
	v_cmp_gt_u32_e64 s[34:35], s4, v35
	v_cndmask_b32_e64 v2, 0, v2, s[34:35]
	v_add_u16_e32 v2, v2, v35
	v_cmp_gt_u32_e64 s[36:37], s4, v36
	v_cndmask_b32_e64 v2, 0, v2, s[36:37]
	v_add_u16_e32 v2, v2, v36
	v_cmp_gt_u32_e64 s[38:39], s4, v37
	v_cndmask_b32_e64 v2, 0, v2, s[38:39]
	v_add_u16_e32 v2, v2, v37
	v_cmp_gt_u32_e64 s[40:41], s4, v20
	v_cndmask_b32_e64 v2, 0, v2, s[40:41]
	v_add_u16_e32 v2, v2, v20
	v_cmp_gt_u32_e64 s[42:43], s4, v38
	v_cndmask_b32_e64 v2, 0, v2, s[42:43]
	v_add_u16_e32 v2, v2, v38
	v_cmp_gt_u32_e64 s[44:45], s4, v40
	v_cndmask_b32_e64 v2, 0, v2, s[44:45]
	v_add_u16_e32 v2, v2, v40
	v_cmp_gt_u32_e64 s[46:47], s4, v41
	v_cndmask_b32_e64 v2, 0, v2, s[46:47]
	v_add_u16_e32 v2, v2, v41
	v_cmp_gt_u32_e64 s[4:5], s4, v14
	v_cndmask_b32_e64 v2, 0, v2, s[4:5]
	v_add_u16_e32 v18, v2, v14
	v_or3_b32 v2, v17, v37, v36
	v_or3_b32 v2, v2, v35, v34
	;; [unrolled: 1-line block ×8, first 2 shown]
	v_and_b32_e32 v2, 0x10000, v2
	v_cmp_ne_u32_e64 s[4:5], 0, v2
	v_mov_b32_e32 v5, 0x10000
	v_cndmask_b32_e64 v19, v15, 1, s[4:5]
	v_add_lshl_u32 v2, v16, v0, 2
	ds_write_b16 v2, v18
	ds_write_b8 v2, v19 offset:2
	s_waitcnt lgkmcnt(0)
	s_barrier
	s_and_saveexec_b64 s[48:49], vcc
	s_cbranch_execz .LBB869_143
; %bb.130:
	v_lshlrev_b32_e32 v2, 2, v0
	v_lshrrev_b32_e32 v3, 3, v0
	v_add_lshl_u32 v2, v3, v2, 2
	ds_read_b32 v3, v2
	ds_read_u16 v4, v2 offset:4
	ds_read_u8 v6, v2 offset:6
	ds_read_u16 v7, v2 offset:8
	ds_read_u8 v8, v2 offset:10
	;; [unrolled: 2-line block ×3, first 2 shown]
	v_mov_b32_e32 v13, 0
	s_waitcnt lgkmcnt(4)
	v_cmp_eq_u16_sdwa s[4:5], v6, v13 src0_sel:BYTE_0 src1_sel:DWORD
	v_cndmask_b32_e64 v21, 0, v3, s[4:5]
	v_add_u16_e32 v21, v21, v4
	s_waitcnt lgkmcnt(2)
	v_cmp_eq_u16_sdwa s[4:5], v8, v13 src0_sel:BYTE_0 src1_sel:DWORD
	s_waitcnt lgkmcnt(0)
	v_or_b32_e32 v8, v12, v8
	v_cndmask_b32_e64 v13, 0, v21, s[4:5]
	v_or_b32_e32 v6, v8, v6
	v_add_u16_e32 v7, v13, v7
	v_cmp_eq_u16_e64 s[4:5], 0, v12
	v_and_b32_e32 v6, 1, v6
	v_and_b32_e32 v4, 0x10000, v3
	v_cndmask_b32_e64 v13, 0, v7, s[4:5]
	v_cmp_eq_u32_e64 s[4:5], 1, v6
	v_mbcnt_lo_u32_b32 v6, -1, 0
	v_add_u16_e32 v7, v13, v9
	v_cndmask_b32_e64 v21, v4, v5, s[4:5]
	v_add_u16_e32 v9, v13, v9
	v_and_b32_e32 v5, 0xff000000, v3
	v_mbcnt_hi_u32_b32 v6, -1, v6
	v_or_b32_e32 v12, v21, v5
	v_and_b32_e32 v13, 15, v6
	v_or3_b32 v9, v5, v9, v21
	s_movk_i32 s56, 0xff
	v_lshrrev_b32_e32 v8, 16, v12
	v_mov_b32_dpp v21, v9 row_shr:1 row_mask:0xf bank_mask:0xf
	v_cmp_ne_u32_e64 s[4:5], 0, v13
	s_and_saveexec_b64 s[52:53], s[4:5]
	s_cbranch_execz .LBB869_132
; %bb.131:
	v_and_b32_sdwa v8, v12, s56 dst_sel:DWORD dst_unused:UNUSED_PAD src0_sel:WORD_1 src1_sel:DWORD
	v_cmp_eq_u16_e64 s[4:5], 0, v8
	v_and_b32_e32 v8, 0x10000, v12
	v_mov_b32_e32 v12, 1
	v_cndmask_b32_e64 v9, 0, v21, s[4:5]
	v_and_b32_sdwa v12, v21, v12 dst_sel:DWORD dst_unused:UNUSED_PAD src0_sel:WORD_1 src1_sel:DWORD
	v_cmp_ne_u32_e64 s[4:5], 0, v8
	v_cndmask_b32_e64 v8, v12, 1, s[4:5]
	v_add_u16_e32 v39, v9, v7
	v_lshlrev_b32_e32 v12, 16, v8
	v_add_u16_e32 v7, v9, v7
	v_or3_b32 v9, v12, v7, v5
	v_mov_b32_e32 v7, v39
.LBB869_132:
	s_or_b64 exec, exec, s[52:53]
	v_lshrrev_b32_e32 v12, 16, v9
	v_mov_b32_dpp v21, v9 row_shr:2 row_mask:0xf bank_mask:0xf
	v_cmp_lt_u32_e64 s[4:5], 1, v13
	s_and_saveexec_b64 s[52:53], s[4:5]
	s_cbranch_execz .LBB869_134
; %bb.133:
	v_mov_b32_e32 v8, 0
	v_cmp_eq_u16_sdwa s[4:5], v12, v8 src0_sel:BYTE_0 src1_sel:DWORD
	v_and_b32_e32 v8, 0x10000, v9
	v_mov_b32_e32 v9, 1
	v_cndmask_b32_e64 v12, 0, v21, s[4:5]
	v_and_b32_sdwa v9, v21, v9 dst_sel:DWORD dst_unused:UNUSED_PAD src0_sel:WORD_1 src1_sel:DWORD
	v_cmp_ne_u32_e64 s[4:5], 0, v8
	v_cndmask_b32_e64 v8, v9, 1, s[4:5]
	v_add_u16_e32 v39, v12, v7
	v_lshlrev_b32_e32 v9, 16, v8
	v_add_u16_e32 v7, v12, v7
	v_or3_b32 v9, v9, v7, v5
	v_mov_b32_e32 v12, v8
	v_mov_b32_e32 v7, v39
.LBB869_134:
	s_or_b64 exec, exec, s[52:53]
	v_mov_b32_dpp v21, v9 row_shr:4 row_mask:0xf bank_mask:0xf
	v_cmp_lt_u32_e64 s[4:5], 3, v13
	s_and_saveexec_b64 s[52:53], s[4:5]
	s_cbranch_execz .LBB869_136
; %bb.135:
	v_mov_b32_e32 v8, 0
	v_cmp_eq_u16_sdwa s[4:5], v12, v8 src0_sel:BYTE_0 src1_sel:DWORD
	v_and_b32_e32 v8, 1, v12
	v_mov_b32_e32 v12, 1
	v_cndmask_b32_e64 v9, 0, v21, s[4:5]
	v_and_b32_sdwa v12, v21, v12 dst_sel:DWORD dst_unused:UNUSED_PAD src0_sel:WORD_1 src1_sel:DWORD
	v_cmp_eq_u32_e64 s[4:5], 1, v8
	v_cndmask_b32_e64 v8, v12, 1, s[4:5]
	v_add_u16_e32 v39, v9, v7
	v_lshlrev_b32_e32 v12, 16, v8
	v_add_u16_e32 v7, v9, v7
	v_or3_b32 v9, v12, v7, v5
	v_mov_b32_e32 v12, v8
	v_mov_b32_e32 v7, v39
.LBB869_136:
	s_or_b64 exec, exec, s[52:53]
	v_mov_b32_dpp v21, v9 row_shr:8 row_mask:0xf bank_mask:0xf
	v_cmp_lt_u32_e64 s[4:5], 7, v13
	s_and_saveexec_b64 s[52:53], s[4:5]
	s_cbranch_execz .LBB869_138
; %bb.137:
	v_mov_b32_e32 v8, 0
	v_cmp_eq_u16_sdwa s[4:5], v12, v8 src0_sel:BYTE_0 src1_sel:DWORD
	v_and_b32_e32 v8, 1, v12
	v_mov_b32_e32 v12, 1
	v_cndmask_b32_e64 v9, 0, v21, s[4:5]
	v_and_b32_sdwa v12, v21, v12 dst_sel:DWORD dst_unused:UNUSED_PAD src0_sel:WORD_1 src1_sel:DWORD
	v_cmp_eq_u32_e64 s[4:5], 1, v8
	v_cndmask_b32_e64 v8, v12, 1, s[4:5]
	v_add_u16_e32 v13, v9, v7
	v_lshlrev_b32_e32 v12, 16, v8
	v_add_u16_e32 v7, v9, v7
	v_or3_b32 v9, v12, v7, v5
	v_mov_b32_e32 v12, v8
	v_mov_b32_e32 v7, v13
.LBB869_138:
	s_or_b64 exec, exec, s[52:53]
	v_and_b32_e32 v21, 16, v6
	v_mov_b32_dpp v13, v9 row_bcast:15 row_mask:0xf bank_mask:0xf
	v_cmp_ne_u32_e64 s[4:5], 0, v21
	s_and_saveexec_b64 s[52:53], s[4:5]
	s_cbranch_execz .LBB869_140
; %bb.139:
	v_mov_b32_e32 v8, 0
	v_cmp_eq_u16_sdwa s[4:5], v12, v8 src0_sel:BYTE_0 src1_sel:DWORD
	v_and_b32_e32 v8, 1, v12
	v_mov_b32_e32 v12, 1
	v_cndmask_b32_e64 v9, 0, v13, s[4:5]
	v_and_b32_sdwa v12, v13, v12 dst_sel:DWORD dst_unused:UNUSED_PAD src0_sel:WORD_1 src1_sel:DWORD
	v_cmp_eq_u32_e64 s[4:5], 1, v8
	v_cndmask_b32_e64 v8, v12, 1, s[4:5]
	v_add_u16_e32 v21, v9, v7
	v_lshlrev_b32_e32 v12, 16, v8
	v_add_u16_e32 v7, v9, v7
	v_or3_b32 v9, v12, v7, v5
	v_mov_b32_e32 v12, v8
	v_mov_b32_e32 v7, v21
.LBB869_140:
	s_or_b64 exec, exec, s[52:53]
	v_mov_b32_dpp v9, v9 row_bcast:31 row_mask:0xf bank_mask:0xf
	v_cmp_lt_u32_e64 s[4:5], 31, v6
	s_and_saveexec_b64 s[52:53], s[4:5]
; %bb.141:
	v_mov_b32_e32 v8, 0
	v_cmp_eq_u16_sdwa s[4:5], v12, v8 src0_sel:BYTE_0 src1_sel:DWORD
	v_cndmask_b32_e64 v8, 0, v9, s[4:5]
	v_add_u16_e32 v7, v8, v7
	v_and_b32_e32 v8, 1, v12
	v_mov_b32_e32 v12, 1
	v_and_b32_sdwa v9, v9, v12 dst_sel:DWORD dst_unused:UNUSED_PAD src0_sel:WORD_1 src1_sel:DWORD
	v_cmp_eq_u32_e64 s[4:5], 1, v8
	v_cndmask_b32_e64 v8, v9, 1, s[4:5]
; %bb.142:
	s_or_b64 exec, exec, s[52:53]
	v_and_b32_e32 v8, 0xff, v8
	v_lshlrev_b32_e32 v8, 16, v8
	v_and_b32_e32 v7, 0xffff, v7
	v_or3_b32 v5, v8, v7, v5
	v_add_u32_e32 v7, -1, v6
	v_and_b32_e32 v8, 64, v6
	v_cmp_lt_i32_e64 s[4:5], v7, v8
	v_cndmask_b32_e64 v6, v7, v6, s[4:5]
	v_lshlrev_b32_e32 v6, 2, v6
	ds_bpermute_b32 v5, v6, v5
	v_and_b32_e32 v6, 0xff0000, v3
	v_cmp_eq_u32_e64 s[4:5], 0, v6
	; wave barrier
	s_waitcnt lgkmcnt(0)
	v_cndmask_b32_e64 v6, 0, v5, s[4:5]
	v_add_u16_e32 v3, v6, v3
	v_mov_b32_e32 v6, 1
	v_and_b32_sdwa v5, v5, v6 dst_sel:DWORD dst_unused:UNUSED_PAD src0_sel:WORD_1 src1_sel:DWORD
	v_cmp_eq_u32_e64 s[4:5], 0, v4
	v_cndmask_b32_e64 v4, 1, v5, s[4:5]
	v_cndmask_b32_e64 v3, v3, v18, s[0:1]
	;; [unrolled: 1-line block ×3, first 2 shown]
	ds_write_b16 v2, v3
	ds_write_b8 v2, v4 offset:2
	; wave barrier
	ds_read_u16 v5, v2 offset:4
	ds_read_u8 v6, v2 offset:6
	ds_read_u16 v7, v2 offset:8
	ds_read_u8 v8, v2 offset:10
	;; [unrolled: 2-line block ×3, first 2 shown]
	s_waitcnt lgkmcnt(4)
	v_cmp_eq_u16_e64 s[4:5], 0, v6
	v_cndmask_b32_e64 v3, 0, v3, s[4:5]
	v_add_u16_e32 v3, v3, v5
	v_and_b32_e32 v5, 1, v6
	v_cmp_eq_u32_e64 s[4:5], 1, v5
	v_cndmask_b32_e64 v4, v4, 1, s[4:5]
	s_waitcnt lgkmcnt(2)
	v_cmp_eq_u16_e64 s[4:5], 0, v8
	v_and_b32_e32 v5, 1, v8
	ds_write_b16 v2, v3 offset:4
	ds_write_b8 v2, v4 offset:6
	v_cndmask_b32_e64 v3, 0, v3, s[4:5]
	v_cmp_eq_u32_e64 s[4:5], 1, v5
	v_add_u16_e32 v3, v3, v7
	v_cndmask_b32_e64 v4, v4, 1, s[4:5]
	s_waitcnt lgkmcnt(2)
	v_cmp_eq_u16_e64 s[4:5], 0, v12
	ds_write_b16 v2, v3 offset:8
	ds_write_b8 v2, v4 offset:10
	v_cndmask_b32_e64 v3, 0, v3, s[4:5]
	v_and_b32_e32 v5, 1, v12
	v_add_u16_e32 v3, v3, v9
	v_cmp_eq_u32_e64 s[4:5], 1, v5
	v_cndmask_b32_e64 v4, v4, 1, s[4:5]
	ds_write_b16 v2, v3 offset:12
	ds_write_b8 v2, v4 offset:14
.LBB869_143:
	s_or_b64 exec, exec, s[48:49]
	s_waitcnt lgkmcnt(0)
	s_barrier
	s_and_saveexec_b64 s[4:5], s[50:51]
	s_cbranch_execz .LBB869_145
; %bb.144:
	v_add_u32_e32 v2, -1, v0
	v_lshrrev_b32_e32 v3, 5, v2
	v_add_lshl_u32 v2, v3, v2, 2
	ds_read_u16 v18, v2
	ds_read_u8 v19, v2 offset:2
.LBB869_145:
	s_or_b64 exec, exec, s[4:5]
	s_and_saveexec_b64 s[4:5], vcc
	s_cbranch_execz .LBB869_192
; %bb.146:
	v_mov_b32_e32 v13, 0
	ds_read_b32 v2, v13 offset:1048
	v_mbcnt_lo_u32_b32 v3, -1, 0
	v_mbcnt_hi_u32_b32 v5, -1, v3
	s_mov_b32 s57, 0
	v_cmp_eq_u32_e64 s[48:49], 0, v5
	s_and_saveexec_b64 s[52:53], s[48:49]
	s_cbranch_execz .LBB869_148
; %bb.147:
	s_add_i32 s56, s63, 64
	s_lshl_b64 s[56:57], s[56:57], 3
	s_add_u32 s56, s60, s56
	v_mov_b32_e32 v3, 1
	s_addc_u32 s57, s61, s57
	s_waitcnt lgkmcnt(0)
	global_store_dwordx2 v13, v[2:3], s[56:57]
.LBB869_148:
	s_or_b64 exec, exec, s[52:53]
	v_xad_u32 v4, v5, -1, s63
	v_add_u32_e32 v12, 64, v4
	v_lshlrev_b64 v[6:7], 3, v[12:13]
	v_mov_b32_e32 v3, s61
	v_add_co_u32_e32 v6, vcc, s60, v6
	v_addc_co_u32_e32 v7, vcc, v3, v7, vcc
	global_load_dwordx2 v[8:9], v[6:7], off glc
	s_waitcnt vmcnt(0)
	v_cmp_eq_u16_sdwa s[56:57], v9, v13 src0_sel:BYTE_0 src1_sel:DWORD
	s_and_saveexec_b64 s[52:53], s[56:57]
	s_cbranch_execz .LBB869_154
; %bb.149:
	s_mov_b32 s64, 1
	s_mov_b64 s[56:57], 0
	v_mov_b32_e32 v3, 0
.LBB869_150:                            ; =>This Loop Header: Depth=1
                                        ;     Child Loop BB869_151 Depth 2
	s_max_u32 s65, s64, 1
.LBB869_151:                            ;   Parent Loop BB869_150 Depth=1
                                        ; =>  This Inner Loop Header: Depth=2
	s_add_i32 s65, s65, -1
	s_cmp_eq_u32 s65, 0
	s_sleep 1
	s_cbranch_scc0 .LBB869_151
; %bb.152:                              ;   in Loop: Header=BB869_150 Depth=1
	global_load_dwordx2 v[8:9], v[6:7], off glc
	s_cmp_lt_u32 s64, 32
	s_cselect_b64 s[72:73], -1, 0
	s_cmp_lg_u64 s[72:73], 0
	s_addc_u32 s64, s64, 0
	s_waitcnt vmcnt(0)
	v_cmp_ne_u16_sdwa s[72:73], v9, v3 src0_sel:BYTE_0 src1_sel:DWORD
	s_or_b64 s[56:57], s[72:73], s[56:57]
	s_andn2_b64 exec, exec, s[56:57]
	s_cbranch_execnz .LBB869_150
; %bb.153:
	s_or_b64 exec, exec, s[56:57]
.LBB869_154:
	s_or_b64 exec, exec, s[52:53]
	v_mov_b32_e32 v3, 2
	v_cmp_eq_u16_sdwa s[52:53], v9, v3 src0_sel:BYTE_0 src1_sel:DWORD
	v_lshlrev_b64 v[6:7], v5, -1
	v_and_b32_e32 v3, s53, v7
	v_or_b32_e32 v3, 0x80000000, v3
	v_ffbl_b32_e32 v3, v3
	v_add_u32_e32 v13, 32, v3
	v_and_b32_e32 v3, 63, v5
	v_cmp_ne_u32_e32 vcc, 63, v3
	v_addc_co_u32_e32 v21, vcc, 0, v5, vcc
	v_and_b32_e32 v52, 0xffffff, v8
	v_lshlrev_b32_e32 v21, 2, v21
	ds_bpermute_b32 v39, v21, v52
	v_and_b32_e32 v12, s52, v6
	v_ffbl_b32_e32 v12, v12
	v_min_u32_e32 v13, v12, v13
	v_lshrrev_b32_e32 v12, 16, v8
	v_cmp_lt_u32_e32 vcc, v3, v13
	v_bfe_u32 v50, v8, 16, 8
	s_and_saveexec_b64 s[52:53], vcc
	s_cbranch_execz .LBB869_156
; %bb.155:
	v_and_b32_e32 v12, 0xff0000, v8
	v_cmp_eq_u32_e32 vcc, 0, v12
	v_and_b32_e32 v12, 0x10000, v12
	v_mov_b32_e32 v45, 1
	s_waitcnt lgkmcnt(0)
	v_cndmask_b32_e32 v43, 0, v39, vcc
	v_and_b32_sdwa v39, v39, v45 dst_sel:DWORD dst_unused:UNUSED_PAD src0_sel:WORD_1 src1_sel:DWORD
	v_cmp_ne_u32_e32 vcc, 0, v12
	v_cndmask_b32_e64 v12, v39, 1, vcc
	v_add_u16_e32 v44, v43, v8
	v_lshlrev_b32_e32 v39, 16, v12
	v_add_u16_e32 v8, v43, v8
	v_or_b32_e32 v52, v39, v8
	v_mov_b32_e32 v8, v44
	v_mov_b32_e32 v50, v12
.LBB869_156:
	s_or_b64 exec, exec, s[52:53]
	v_cmp_gt_u32_e32 vcc, 62, v3
	s_waitcnt lgkmcnt(0)
	v_cndmask_b32_e64 v39, 0, 1, vcc
	v_lshlrev_b32_e32 v39, 1, v39
	v_add_lshl_u32 v39, v39, v5, 2
	ds_bpermute_b32 v44, v39, v52
	v_add_u32_e32 v43, 2, v3
	v_cmp_le_u32_e32 vcc, v43, v13
	s_and_saveexec_b64 s[52:53], vcc
	s_cbranch_execz .LBB869_158
; %bb.157:
	v_cmp_eq_u16_e32 vcc, 0, v50
	v_and_b32_e32 v12, 1, v50
	v_mov_b32_e32 v47, 1
	s_waitcnt lgkmcnt(0)
	v_cndmask_b32_e32 v45, 0, v44, vcc
	v_and_b32_sdwa v44, v44, v47 dst_sel:DWORD dst_unused:UNUSED_PAD src0_sel:WORD_1 src1_sel:DWORD
	v_cmp_eq_u32_e32 vcc, 1, v12
	v_cndmask_b32_e64 v12, v44, 1, vcc
	v_add_u16_e32 v46, v45, v8
	v_lshlrev_b32_e32 v44, 16, v12
	v_add_u16_e32 v8, v45, v8
	v_or_b32_e32 v52, v44, v8
	v_mov_b32_e32 v8, v46
	v_mov_b32_e32 v50, v12
.LBB869_158:
	s_or_b64 exec, exec, s[52:53]
	v_cmp_gt_u32_e32 vcc, 60, v3
	s_waitcnt lgkmcnt(0)
	v_cndmask_b32_e64 v44, 0, 1, vcc
	v_lshlrev_b32_e32 v44, 2, v44
	v_add_lshl_u32 v44, v44, v5, 2
	ds_bpermute_b32 v46, v44, v52
	v_add_u32_e32 v45, 4, v3
	v_cmp_le_u32_e32 vcc, v45, v13
	s_and_saveexec_b64 s[52:53], vcc
	s_cbranch_execz .LBB869_160
; %bb.159:
	v_cmp_eq_u16_e32 vcc, 0, v50
	v_and_b32_e32 v12, 1, v50
	v_mov_b32_e32 v49, 1
	s_waitcnt lgkmcnt(0)
	v_cndmask_b32_e32 v47, 0, v46, vcc
	v_and_b32_sdwa v46, v46, v49 dst_sel:DWORD dst_unused:UNUSED_PAD src0_sel:WORD_1 src1_sel:DWORD
	v_cmp_eq_u32_e32 vcc, 1, v12
	v_cndmask_b32_e64 v12, v46, 1, vcc
	v_add_u16_e32 v48, v47, v8
	v_lshlrev_b32_e32 v46, 16, v12
	v_add_u16_e32 v8, v47, v8
	v_or_b32_e32 v52, v46, v8
	v_mov_b32_e32 v8, v48
	v_mov_b32_e32 v50, v12
.LBB869_160:
	;; [unrolled: 27-line block ×4, first 2 shown]
	s_or_b64 exec, exec, s[52:53]
	v_cmp_gt_u32_e32 vcc, 32, v3
	s_waitcnt lgkmcnt(0)
	v_cndmask_b32_e64 v51, 0, 1, vcc
	v_lshlrev_b32_e32 v51, 5, v51
	v_add_lshl_u32 v51, v51, v5, 2
	ds_bpermute_b32 v5, v51, v52
	v_add_u32_e32 v52, 32, v3
	v_cmp_le_u32_e32 vcc, v52, v13
	s_and_saveexec_b64 s[52:53], vcc
	s_cbranch_execz .LBB869_166
; %bb.165:
	v_cmp_eq_u16_e32 vcc, 0, v50
	s_waitcnt lgkmcnt(0)
	v_cndmask_b32_e32 v12, 0, v5, vcc
	v_add_u16_e32 v8, v12, v8
	v_and_b32_e32 v12, 1, v50
	v_mov_b32_e32 v13, 1
	v_and_b32_sdwa v5, v5, v13 dst_sel:DWORD dst_unused:UNUSED_PAD src0_sel:WORD_1 src1_sel:DWORD
	v_cmp_eq_u32_e32 vcc, 1, v12
	v_cndmask_b32_e64 v12, v5, 1, vcc
.LBB869_166:
	s_or_b64 exec, exec, s[52:53]
	s_waitcnt lgkmcnt(0)
	v_mov_b32_e32 v5, 0
	v_mov_b32_e32 v54, 2
	;; [unrolled: 1-line block ×3, first 2 shown]
	s_branch .LBB869_168
.LBB869_167:                            ;   in Loop: Header=BB869_168 Depth=1
	s_or_b64 exec, exec, s[52:53]
	v_cmp_eq_u16_sdwa vcc, v50, v5 src0_sel:BYTE_0 src1_sel:DWORD
	v_and_b32_e32 v12, 1, v50
	v_cndmask_b32_e32 v8, 0, v8, vcc
	v_and_b32_e32 v13, 1, v13
	v_cmp_eq_u32_e32 vcc, 1, v12
	v_subrev_u32_e32 v4, 64, v4
	v_add_u16_e32 v8, v8, v53
	v_cndmask_b32_e64 v12, v13, 1, vcc
.LBB869_168:                            ; =>This Loop Header: Depth=1
                                        ;     Child Loop BB869_171 Depth 2
                                        ;       Child Loop BB869_172 Depth 3
	v_cmp_ne_u16_sdwa s[52:53], v9, v54 src0_sel:BYTE_0 src1_sel:DWORD
	v_cndmask_b32_e64 v9, 0, 1, s[52:53]
	;;#ASMSTART
	;;#ASMEND
	v_cmp_ne_u32_e32 vcc, 0, v9
	v_mov_b32_e32 v50, v12
	s_cmp_lg_u64 vcc, exec
	v_mov_b32_e32 v53, v8
	s_cbranch_scc1 .LBB869_187
; %bb.169:                              ;   in Loop: Header=BB869_168 Depth=1
	v_lshlrev_b64 v[8:9], 3, v[4:5]
	v_mov_b32_e32 v13, s61
	v_add_co_u32_e32 v12, vcc, s60, v8
	v_addc_co_u32_e32 v13, vcc, v13, v9, vcc
	global_load_dwordx2 v[8:9], v[12:13], off glc
	s_waitcnt vmcnt(0)
	v_cmp_eq_u16_sdwa s[56:57], v9, v5 src0_sel:BYTE_0 src1_sel:DWORD
	s_and_saveexec_b64 s[52:53], s[56:57]
	s_cbranch_execz .LBB869_175
; %bb.170:                              ;   in Loop: Header=BB869_168 Depth=1
	s_mov_b32 s64, 1
	s_mov_b64 s[56:57], 0
.LBB869_171:                            ;   Parent Loop BB869_168 Depth=1
                                        ; =>  This Loop Header: Depth=2
                                        ;       Child Loop BB869_172 Depth 3
	s_max_u32 s65, s64, 1
.LBB869_172:                            ;   Parent Loop BB869_168 Depth=1
                                        ;     Parent Loop BB869_171 Depth=2
                                        ; =>    This Inner Loop Header: Depth=3
	s_add_i32 s65, s65, -1
	s_cmp_eq_u32 s65, 0
	s_sleep 1
	s_cbranch_scc0 .LBB869_172
; %bb.173:                              ;   in Loop: Header=BB869_171 Depth=2
	global_load_dwordx2 v[8:9], v[12:13], off glc
	s_cmp_lt_u32 s64, 32
	s_cselect_b64 s[72:73], -1, 0
	s_cmp_lg_u64 s[72:73], 0
	s_addc_u32 s64, s64, 0
	s_waitcnt vmcnt(0)
	v_cmp_ne_u16_sdwa s[72:73], v9, v5 src0_sel:BYTE_0 src1_sel:DWORD
	s_or_b64 s[56:57], s[72:73], s[56:57]
	s_andn2_b64 exec, exec, s[56:57]
	s_cbranch_execnz .LBB869_171
; %bb.174:                              ;   in Loop: Header=BB869_168 Depth=1
	s_or_b64 exec, exec, s[56:57]
.LBB869_175:                            ;   in Loop: Header=BB869_168 Depth=1
	s_or_b64 exec, exec, s[52:53]
	v_cmp_eq_u16_sdwa s[52:53], v9, v54 src0_sel:BYTE_0 src1_sel:DWORD
	v_and_b32_e32 v12, s53, v7
	s_waitcnt lgkmcnt(0)
	v_and_b32_e32 v57, 0xffffff, v8
	v_or_b32_e32 v12, 0x80000000, v12
	ds_bpermute_b32 v58, v21, v57
	v_and_b32_e32 v13, s52, v6
	v_ffbl_b32_e32 v12, v12
	v_add_u32_e32 v12, 32, v12
	v_ffbl_b32_e32 v13, v13
	v_min_u32_e32 v12, v13, v12
	v_lshrrev_b32_e32 v13, 16, v8
	v_cmp_lt_u32_e32 vcc, v3, v12
	v_bfe_u32 v56, v8, 16, 8
	s_and_saveexec_b64 s[52:53], vcc
	s_cbranch_execz .LBB869_177
; %bb.176:                              ;   in Loop: Header=BB869_168 Depth=1
	v_and_b32_e32 v13, 0xff0000, v8
	v_cmp_eq_u32_e32 vcc, 0, v13
	v_and_b32_e32 v13, 0x10000, v13
	s_waitcnt lgkmcnt(0)
	v_cndmask_b32_e32 v56, 0, v58, vcc
	v_and_b32_sdwa v57, v58, v55 dst_sel:DWORD dst_unused:UNUSED_PAD src0_sel:WORD_1 src1_sel:DWORD
	v_cmp_ne_u32_e32 vcc, 0, v13
	v_cndmask_b32_e64 v13, v57, 1, vcc
	v_add_u16_e32 v59, v56, v8
	v_lshlrev_b32_e32 v57, 16, v13
	v_add_u16_e32 v8, v56, v8
	v_or_b32_e32 v57, v57, v8
	v_mov_b32_e32 v8, v59
	v_mov_b32_e32 v56, v13
.LBB869_177:                            ;   in Loop: Header=BB869_168 Depth=1
	s_or_b64 exec, exec, s[52:53]
	s_waitcnt lgkmcnt(0)
	ds_bpermute_b32 v58, v39, v57
	v_cmp_le_u32_e32 vcc, v43, v12
	s_and_saveexec_b64 s[52:53], vcc
	s_cbranch_execz .LBB869_179
; %bb.178:                              ;   in Loop: Header=BB869_168 Depth=1
	v_cmp_eq_u16_e32 vcc, 0, v56
	v_and_b32_e32 v13, 1, v56
	s_waitcnt lgkmcnt(0)
	v_cndmask_b32_e32 v57, 0, v58, vcc
	v_and_b32_sdwa v56, v58, v55 dst_sel:DWORD dst_unused:UNUSED_PAD src0_sel:WORD_1 src1_sel:DWORD
	v_cmp_eq_u32_e32 vcc, 1, v13
	v_cndmask_b32_e64 v13, v56, 1, vcc
	v_add_u16_e32 v59, v57, v8
	v_lshlrev_b32_e32 v56, 16, v13
	v_add_u16_e32 v8, v57, v8
	v_or_b32_e32 v57, v56, v8
	v_mov_b32_e32 v8, v59
	v_mov_b32_e32 v56, v13
.LBB869_179:                            ;   in Loop: Header=BB869_168 Depth=1
	s_or_b64 exec, exec, s[52:53]
	s_waitcnt lgkmcnt(0)
	ds_bpermute_b32 v58, v44, v57
	v_cmp_le_u32_e32 vcc, v45, v12
	s_and_saveexec_b64 s[52:53], vcc
	s_cbranch_execz .LBB869_181
; %bb.180:                              ;   in Loop: Header=BB869_168 Depth=1
	v_cmp_eq_u16_e32 vcc, 0, v56
	v_and_b32_e32 v13, 1, v56
	s_waitcnt lgkmcnt(0)
	v_cndmask_b32_e32 v57, 0, v58, vcc
	v_and_b32_sdwa v56, v58, v55 dst_sel:DWORD dst_unused:UNUSED_PAD src0_sel:WORD_1 src1_sel:DWORD
	v_cmp_eq_u32_e32 vcc, 1, v13
	v_cndmask_b32_e64 v13, v56, 1, vcc
	v_add_u16_e32 v59, v57, v8
	v_lshlrev_b32_e32 v56, 16, v13
	v_add_u16_e32 v8, v57, v8
	v_or_b32_e32 v57, v56, v8
	v_mov_b32_e32 v8, v59
	v_mov_b32_e32 v56, v13
.LBB869_181:                            ;   in Loop: Header=BB869_168 Depth=1
	;; [unrolled: 21-line block ×4, first 2 shown]
	s_or_b64 exec, exec, s[52:53]
	ds_bpermute_b32 v57, v51, v57
	v_cmp_le_u32_e32 vcc, v52, v12
	s_and_saveexec_b64 s[52:53], vcc
	s_cbranch_execz .LBB869_167
; %bb.186:                              ;   in Loop: Header=BB869_168 Depth=1
	v_cmp_eq_u16_e32 vcc, 0, v56
	s_waitcnt lgkmcnt(0)
	v_cndmask_b32_e32 v12, 0, v57, vcc
	v_add_u16_e32 v8, v12, v8
	v_and_b32_e32 v12, 1, v56
	v_lshrrev_b32_e32 v13, 16, v57
	v_cmp_eq_u32_e32 vcc, 1, v12
	v_cndmask_b32_e64 v13, v13, 1, vcc
	s_branch .LBB869_167
.LBB869_187:                            ;   in Loop: Header=BB869_168 Depth=1
                                        ; implicit-def: $vgpr12
                                        ; implicit-def: $vgpr8
	s_cbranch_execz .LBB869_168
; %bb.188:
	s_and_saveexec_b64 s[52:53], s[48:49]
	s_cbranch_execz .LBB869_190
; %bb.189:
	v_and_b32_e32 v3, 0xff0000, v2
	s_mov_b32 s49, 0
	v_cmp_eq_u32_e32 vcc, 0, v3
	v_and_b32_e32 v4, 0x10000, v2
	v_mov_b32_e32 v5, 1
	s_add_i32 s48, s63, 64
	v_cndmask_b32_e32 v3, 0, v53, vcc
	v_and_b32_sdwa v5, v50, v5 dst_sel:WORD_1 dst_unused:UNUSED_PAD src0_sel:DWORD src1_sel:DWORD
	v_mov_b32_e32 v6, 0x10000
	v_cmp_eq_u32_e32 vcc, 0, v4
	s_lshl_b64 s[48:49], s[48:49], 3
	v_cndmask_b32_e32 v4, v6, v5, vcc
	s_add_u32 s48, s60, s48
	v_add_u16_e32 v2, v3, v2
	s_addc_u32 s49, s61, s49
	v_mov_b32_e32 v5, 0
	v_or_b32_e32 v2, v4, v2
	v_mov_b32_e32 v3, 2
	global_store_dwordx2 v5, v[2:3], s[48:49]
.LBB869_190:
	s_or_b64 exec, exec, s[52:53]
	s_and_b64 exec, exec, s[0:1]
	s_cbranch_execz .LBB869_192
; %bb.191:
	v_mov_b32_e32 v2, 0
	ds_write_b16 v2, v53
	ds_write_b8 v2, v50 offset:2
.LBB869_192:
	s_or_b64 exec, exec, s[4:5]
	v_mov_b32_e32 v2, 0
	s_waitcnt lgkmcnt(0)
	s_barrier
	ds_read_b32 v3, v2
	v_cmp_eq_u16_sdwa vcc, v19, v2 src0_sel:BYTE_0 src1_sel:DWORD
	s_waitcnt lgkmcnt(0)
	v_cndmask_b32_e32 v2, 0, v3, vcc
	v_add_u16_e32 v2, v2, v18
	v_cndmask_b32_e64 v4, v2, v3, s[0:1]
	v_and_b32_e32 v2, 0xff0000, v1
	v_cmp_eq_u32_e32 vcc, 0, v2
	v_cndmask_b32_e32 v2, 0, v4, vcc
	v_add_u16_e32 v5, v2, v1
	v_cndmask_b32_e64 v2, 0, v5, s[6:7]
	v_add_u16_e32 v6, v2, v22
	v_cndmask_b32_e64 v2, 0, v6, s[8:9]
	;; [unrolled: 2-line block ×20, first 2 shown]
	v_add_u16_e32 v52, v2, v41
	s_branch .LBB869_235
.LBB869_193:
	s_or_b64 exec, exec, s[4:5]
                                        ; implicit-def: $vgpr32
	s_and_saveexec_b64 s[4:5], s[6:7]
	s_cbranch_execz .LBB869_53
.LBB869_194:
	v_add_co_u32_e32 v32, vcc, v21, v23
	v_addc_co_u32_e32 v33, vcc, 0, v39, vcc
	flat_load_ushort v32, v[32:33] offset:512
	s_or_b64 exec, exec, s[4:5]
                                        ; implicit-def: $vgpr33
	s_and_saveexec_b64 s[4:5], s[8:9]
	s_cbranch_execnz .LBB869_54
.LBB869_195:
	s_or_b64 exec, exec, s[4:5]
                                        ; implicit-def: $vgpr34
	s_and_saveexec_b64 s[4:5], s[10:11]
	s_cbranch_execz .LBB869_55
.LBB869_196:
	v_add_co_u32_e32 v34, vcc, v21, v23
	v_addc_co_u32_e32 v35, vcc, 0, v39, vcc
	flat_load_ushort v34, v[34:35] offset:1536
	s_or_b64 exec, exec, s[4:5]
                                        ; implicit-def: $vgpr35
	s_and_saveexec_b64 s[4:5], s[12:13]
	s_cbranch_execnz .LBB869_56
.LBB869_197:
	s_or_b64 exec, exec, s[4:5]
                                        ; implicit-def: $vgpr36
	s_and_saveexec_b64 s[4:5], s[14:15]
	s_cbranch_execz .LBB869_57
.LBB869_198:
	v_add_co_u32_e32 v36, vcc, v21, v23
	v_addc_co_u32_e32 v37, vcc, 0, v39, vcc
	flat_load_ushort v36, v[36:37] offset:2560
	s_or_b64 exec, exec, s[4:5]
                                        ; implicit-def: $vgpr37
	s_and_saveexec_b64 s[4:5], s[16:17]
	s_cbranch_execnz .LBB869_58
.LBB869_199:
	s_or_b64 exec, exec, s[4:5]
                                        ; implicit-def: $vgpr38
	s_and_saveexec_b64 s[4:5], s[18:19]
	s_cbranch_execz .LBB869_59
.LBB869_200:
	v_add_co_u32_e32 v40, vcc, v21, v23
	v_addc_co_u32_e32 v41, vcc, 0, v39, vcc
	flat_load_ushort v38, v[40:41] offset:3584
	s_or_b64 exec, exec, s[4:5]
                                        ; implicit-def: $vgpr40
	s_and_saveexec_b64 s[4:5], s[20:21]
	s_cbranch_execnz .LBB869_60
.LBB869_201:
	s_or_b64 exec, exec, s[4:5]
                                        ; implicit-def: $vgpr1
	s_and_saveexec_b64 s[4:5], s[22:23]
	s_cbranch_execz .LBB869_61
.LBB869_202:
	v_lshlrev_b32_e32 v1, 1, v2
	v_add_co_u32_e32 v46, vcc, v21, v1
	v_addc_co_u32_e32 v47, vcc, 0, v39, vcc
	flat_load_ushort v1, v[46:47]
	s_or_b64 exec, exec, s[4:5]
                                        ; implicit-def: $vgpr2
	s_and_saveexec_b64 s[4:5], s[24:25]
	s_cbranch_execnz .LBB869_62
.LBB869_203:
	s_or_b64 exec, exec, s[4:5]
                                        ; implicit-def: $vgpr3
	s_and_saveexec_b64 s[4:5], s[26:27]
	s_cbranch_execz .LBB869_63
.LBB869_204:
	v_lshlrev_b32_e32 v3, 1, v4
	v_add_co_u32_e32 v46, vcc, v21, v3
	v_addc_co_u32_e32 v47, vcc, 0, v39, vcc
	flat_load_ushort v3, v[46:47]
	s_or_b64 exec, exec, s[4:5]
                                        ; implicit-def: $vgpr4
	s_and_saveexec_b64 s[4:5], s[28:29]
	s_cbranch_execnz .LBB869_64
.LBB869_205:
	s_or_b64 exec, exec, s[4:5]
                                        ; implicit-def: $vgpr5
	s_and_saveexec_b64 s[4:5], s[30:31]
	s_cbranch_execz .LBB869_65
.LBB869_206:
	v_lshlrev_b32_e32 v5, 1, v20
	v_add_co_u32_e32 v46, vcc, v21, v5
	v_addc_co_u32_e32 v47, vcc, 0, v39, vcc
	flat_load_ushort v5, v[46:47]
	s_or_b64 exec, exec, s[4:5]
                                        ; implicit-def: $vgpr20
	s_and_saveexec_b64 s[4:5], s[34:35]
	s_cbranch_execnz .LBB869_66
.LBB869_207:
	s_or_b64 exec, exec, s[4:5]
                                        ; implicit-def: $vgpr22
	s_and_saveexec_b64 s[4:5], s[36:37]
	s_cbranch_execz .LBB869_67
.LBB869_208:
	v_lshlrev_b32_e32 v22, 1, v24
	v_add_co_u32_e32 v46, vcc, v21, v22
	v_addc_co_u32_e32 v47, vcc, 0, v39, vcc
	flat_load_ushort v22, v[46:47]
	s_or_b64 exec, exec, s[4:5]
                                        ; implicit-def: $vgpr24
	s_and_saveexec_b64 s[4:5], s[38:39]
	s_cbranch_execnz .LBB869_68
.LBB869_209:
	s_or_b64 exec, exec, s[4:5]
                                        ; implicit-def: $vgpr25
	s_and_saveexec_b64 s[4:5], s[40:41]
	s_cbranch_execz .LBB869_69
.LBB869_210:
	v_lshlrev_b32_e32 v25, 1, v26
	v_add_co_u32_e32 v46, vcc, v21, v25
	v_addc_co_u32_e32 v47, vcc, 0, v39, vcc
	flat_load_ushort v25, v[46:47]
	s_or_b64 exec, exec, s[4:5]
                                        ; implicit-def: $vgpr26
	s_and_saveexec_b64 s[4:5], s[42:43]
	s_cbranch_execnz .LBB869_70
.LBB869_211:
	s_or_b64 exec, exec, s[4:5]
                                        ; implicit-def: $vgpr27
	s_and_saveexec_b64 s[4:5], s[44:45]
	s_cbranch_execz .LBB869_71
.LBB869_212:
	v_lshlrev_b32_e32 v27, 1, v28
	v_add_co_u32_e32 v46, vcc, v21, v27
	v_addc_co_u32_e32 v47, vcc, 0, v39, vcc
	flat_load_ushort v27, v[46:47]
	s_or_b64 exec, exec, s[4:5]
                                        ; implicit-def: $vgpr28
	s_and_saveexec_b64 s[4:5], s[46:47]
	s_cbranch_execz .LBB869_73
	s_branch .LBB869_72
.LBB869_213:
                                        ; implicit-def: $vgpr4
                                        ; implicit-def: $vgpr5
                                        ; implicit-def: $vgpr6
                                        ; implicit-def: $vgpr7
                                        ; implicit-def: $vgpr8
                                        ; implicit-def: $vgpr9
                                        ; implicit-def: $vgpr12
                                        ; implicit-def: $vgpr13
                                        ; implicit-def: $vgpr18
                                        ; implicit-def: $vgpr19
                                        ; implicit-def: $vgpr21
                                        ; implicit-def: $vgpr39
                                        ; implicit-def: $vgpr43
                                        ; implicit-def: $vgpr44
                                        ; implicit-def: $vgpr45
                                        ; implicit-def: $vgpr46
                                        ; implicit-def: $vgpr47
                                        ; implicit-def: $vgpr48
                                        ; implicit-def: $vgpr49
                                        ; implicit-def: $vgpr50
                                        ; implicit-def: $vgpr51
                                        ; implicit-def: $vgpr52
	s_cbranch_execz .LBB869_235
; %bb.214:
	s_cmp_lg_u64 s[68:69], 0
	s_cselect_b32 s5, s67, 0
	s_cselect_b32 s4, s66, 0
	s_cmp_eq_u64 s[4:5], 0
	v_mov_b32_e32 v2, s70
	s_cbranch_scc1 .LBB869_216
; %bb.215:
	v_mov_b32_e32 v2, 0
	global_load_ushort v2, v2, s[4:5]
.LBB869_216:
	s_mov_b32 s4, 0x10000
	v_cmp_gt_u32_e32 vcc, s4, v22
	v_cndmask_b32_e32 v3, 0, v1, vcc
	v_add_u16_e32 v3, v3, v22
	v_cmp_gt_u32_e64 s[6:7], s4, v23
	v_cndmask_b32_e64 v3, 0, v3, s[6:7]
	v_add_u16_e32 v3, v3, v23
	v_cmp_gt_u32_e64 s[8:9], s4, v24
	v_cndmask_b32_e64 v3, 0, v3, s[8:9]
	;; [unrolled: 3-line block ×20, first 2 shown]
	v_add_u16_e32 v4, v3, v14
	v_or3_b32 v3, v17, v37, v36
	v_or3_b32 v3, v3, v35, v34
	;; [unrolled: 1-line block ×8, first 2 shown]
	v_and_b32_e32 v3, 0x10000, v3
	v_cmp_ne_u32_e64 s[4:5], 0, v3
	v_mov_b32_e32 v8, 0x10000
	v_cndmask_b32_e64 v5, v15, 1, s[4:5]
	v_add_lshl_u32 v3, v16, v0, 2
	v_cmp_gt_u32_e64 s[4:5], 64, v0
	ds_write_b16 v3, v4
	ds_write_b8 v3, v5 offset:2
	s_waitcnt lgkmcnt(0)
	s_barrier
	s_and_saveexec_b64 s[46:47], s[4:5]
	s_cbranch_execz .LBB869_230
; %bb.217:
	v_lshlrev_b32_e32 v3, 2, v0
	v_lshrrev_b32_e32 v6, 3, v0
	v_add_lshl_u32 v3, v6, v3, 2
	ds_read_b32 v6, v3
	ds_read_u16 v7, v3 offset:4
	ds_read_u8 v9, v3 offset:6
	ds_read_u16 v12, v3 offset:8
	ds_read_u8 v13, v3 offset:10
	;; [unrolled: 2-line block ×3, first 2 shown]
	v_mov_b32_e32 v16, 0
	s_waitcnt lgkmcnt(4)
	v_cmp_eq_u16_sdwa s[4:5], v9, v16 src0_sel:BYTE_0 src1_sel:DWORD
	v_cndmask_b32_e64 v17, 0, v6, s[4:5]
	v_add_u16_e32 v17, v17, v7
	s_waitcnt lgkmcnt(2)
	v_cmp_eq_u16_sdwa s[4:5], v13, v16 src0_sel:BYTE_0 src1_sel:DWORD
	s_waitcnt lgkmcnt(0)
	v_or_b32_e32 v13, v15, v13
	v_cndmask_b32_e64 v16, 0, v17, s[4:5]
	v_or_b32_e32 v9, v13, v9
	v_add_u16_e32 v12, v16, v12
	v_cmp_eq_u16_e64 s[4:5], 0, v15
	v_and_b32_e32 v9, 1, v9
	v_and_b32_e32 v7, 0x10000, v6
	v_cndmask_b32_e64 v16, 0, v12, s[4:5]
	v_cmp_eq_u32_e64 s[4:5], 1, v9
	v_mbcnt_lo_u32_b32 v9, -1, 0
	v_add_u16_e32 v12, v16, v14
	v_cndmask_b32_e64 v17, v7, v8, s[4:5]
	v_add_u16_e32 v14, v16, v14
	v_and_b32_e32 v8, 0xff000000, v6
	v_mbcnt_hi_u32_b32 v9, -1, v9
	v_or_b32_e32 v15, v17, v8
	v_and_b32_e32 v16, 15, v9
	v_or3_b32 v14, v8, v14, v17
	s_movk_i32 s52, 0xff
	v_lshrrev_b32_e32 v13, 16, v15
	v_mov_b32_dpp v17, v14 row_shr:1 row_mask:0xf bank_mask:0xf
	v_cmp_ne_u32_e64 s[4:5], 0, v16
	s_and_saveexec_b64 s[48:49], s[4:5]
	s_cbranch_execz .LBB869_219
; %bb.218:
	v_and_b32_sdwa v13, v15, s52 dst_sel:DWORD dst_unused:UNUSED_PAD src0_sel:WORD_1 src1_sel:DWORD
	v_cmp_eq_u16_e64 s[4:5], 0, v13
	v_and_b32_e32 v13, 0x10000, v15
	v_mov_b32_e32 v15, 1
	v_cndmask_b32_e64 v14, 0, v17, s[4:5]
	v_and_b32_sdwa v15, v17, v15 dst_sel:DWORD dst_unused:UNUSED_PAD src0_sel:WORD_1 src1_sel:DWORD
	v_cmp_ne_u32_e64 s[4:5], 0, v13
	v_cndmask_b32_e64 v13, v15, 1, s[4:5]
	v_add_u16_e32 v18, v14, v12
	v_lshlrev_b32_e32 v15, 16, v13
	v_add_u16_e32 v12, v14, v12
	v_or3_b32 v14, v15, v12, v8
	v_mov_b32_e32 v12, v18
.LBB869_219:
	s_or_b64 exec, exec, s[48:49]
	v_lshrrev_b32_e32 v15, 16, v14
	v_mov_b32_dpp v17, v14 row_shr:2 row_mask:0xf bank_mask:0xf
	v_cmp_lt_u32_e64 s[4:5], 1, v16
	s_and_saveexec_b64 s[48:49], s[4:5]
	s_cbranch_execz .LBB869_221
; %bb.220:
	v_mov_b32_e32 v13, 0
	v_cmp_eq_u16_sdwa s[4:5], v15, v13 src0_sel:BYTE_0 src1_sel:DWORD
	v_and_b32_e32 v13, 0x10000, v14
	v_mov_b32_e32 v14, 1
	v_cndmask_b32_e64 v15, 0, v17, s[4:5]
	v_and_b32_sdwa v14, v17, v14 dst_sel:DWORD dst_unused:UNUSED_PAD src0_sel:WORD_1 src1_sel:DWORD
	v_cmp_ne_u32_e64 s[4:5], 0, v13
	v_cndmask_b32_e64 v13, v14, 1, s[4:5]
	v_add_u16_e32 v18, v15, v12
	v_lshlrev_b32_e32 v14, 16, v13
	v_add_u16_e32 v12, v15, v12
	v_or3_b32 v14, v14, v12, v8
	v_mov_b32_e32 v15, v13
	v_mov_b32_e32 v12, v18
.LBB869_221:
	s_or_b64 exec, exec, s[48:49]
	v_mov_b32_dpp v17, v14 row_shr:4 row_mask:0xf bank_mask:0xf
	v_cmp_lt_u32_e64 s[4:5], 3, v16
	s_and_saveexec_b64 s[48:49], s[4:5]
	s_cbranch_execz .LBB869_223
; %bb.222:
	v_mov_b32_e32 v13, 0
	v_cmp_eq_u16_sdwa s[4:5], v15, v13 src0_sel:BYTE_0 src1_sel:DWORD
	v_and_b32_e32 v13, 1, v15
	v_mov_b32_e32 v15, 1
	v_cndmask_b32_e64 v14, 0, v17, s[4:5]
	v_and_b32_sdwa v15, v17, v15 dst_sel:DWORD dst_unused:UNUSED_PAD src0_sel:WORD_1 src1_sel:DWORD
	v_cmp_eq_u32_e64 s[4:5], 1, v13
	v_cndmask_b32_e64 v13, v15, 1, s[4:5]
	v_add_u16_e32 v18, v14, v12
	v_lshlrev_b32_e32 v15, 16, v13
	v_add_u16_e32 v12, v14, v12
	v_or3_b32 v14, v15, v12, v8
	v_mov_b32_e32 v15, v13
	v_mov_b32_e32 v12, v18
.LBB869_223:
	s_or_b64 exec, exec, s[48:49]
	v_mov_b32_dpp v17, v14 row_shr:8 row_mask:0xf bank_mask:0xf
	v_cmp_lt_u32_e64 s[4:5], 7, v16
	s_and_saveexec_b64 s[48:49], s[4:5]
	s_cbranch_execz .LBB869_225
; %bb.224:
	v_mov_b32_e32 v13, 0
	v_cmp_eq_u16_sdwa s[4:5], v15, v13 src0_sel:BYTE_0 src1_sel:DWORD
	v_and_b32_e32 v13, 1, v15
	v_mov_b32_e32 v15, 1
	v_cndmask_b32_e64 v14, 0, v17, s[4:5]
	v_and_b32_sdwa v15, v17, v15 dst_sel:DWORD dst_unused:UNUSED_PAD src0_sel:WORD_1 src1_sel:DWORD
	v_cmp_eq_u32_e64 s[4:5], 1, v13
	v_cndmask_b32_e64 v13, v15, 1, s[4:5]
	v_add_u16_e32 v16, v14, v12
	v_lshlrev_b32_e32 v15, 16, v13
	v_add_u16_e32 v12, v14, v12
	v_or3_b32 v14, v15, v12, v8
	v_mov_b32_e32 v15, v13
	v_mov_b32_e32 v12, v16
.LBB869_225:
	s_or_b64 exec, exec, s[48:49]
	v_and_b32_e32 v17, 16, v9
	v_mov_b32_dpp v16, v14 row_bcast:15 row_mask:0xf bank_mask:0xf
	v_cmp_ne_u32_e64 s[4:5], 0, v17
	s_and_saveexec_b64 s[48:49], s[4:5]
	s_cbranch_execz .LBB869_227
; %bb.226:
	v_mov_b32_e32 v13, 0
	v_cmp_eq_u16_sdwa s[4:5], v15, v13 src0_sel:BYTE_0 src1_sel:DWORD
	v_and_b32_e32 v13, 1, v15
	v_mov_b32_e32 v15, 1
	v_cndmask_b32_e64 v14, 0, v16, s[4:5]
	v_and_b32_sdwa v15, v16, v15 dst_sel:DWORD dst_unused:UNUSED_PAD src0_sel:WORD_1 src1_sel:DWORD
	v_cmp_eq_u32_e64 s[4:5], 1, v13
	v_cndmask_b32_e64 v13, v15, 1, s[4:5]
	v_add_u16_e32 v17, v14, v12
	v_lshlrev_b32_e32 v15, 16, v13
	v_add_u16_e32 v12, v14, v12
	v_or3_b32 v14, v15, v12, v8
	v_mov_b32_e32 v15, v13
	v_mov_b32_e32 v12, v17
.LBB869_227:
	s_or_b64 exec, exec, s[48:49]
	v_mov_b32_dpp v14, v14 row_bcast:31 row_mask:0xf bank_mask:0xf
	v_cmp_lt_u32_e64 s[4:5], 31, v9
	s_and_saveexec_b64 s[48:49], s[4:5]
; %bb.228:
	v_mov_b32_e32 v13, 0
	v_cmp_eq_u16_sdwa s[4:5], v15, v13 src0_sel:BYTE_0 src1_sel:DWORD
	v_cndmask_b32_e64 v13, 0, v14, s[4:5]
	v_add_u16_e32 v12, v13, v12
	v_and_b32_e32 v13, 1, v15
	v_mov_b32_e32 v15, 1
	v_and_b32_sdwa v14, v14, v15 dst_sel:DWORD dst_unused:UNUSED_PAD src0_sel:WORD_1 src1_sel:DWORD
	v_cmp_eq_u32_e64 s[4:5], 1, v13
	v_cndmask_b32_e64 v13, v14, 1, s[4:5]
; %bb.229:
	s_or_b64 exec, exec, s[48:49]
	v_and_b32_e32 v13, 0xff, v13
	v_lshlrev_b32_e32 v13, 16, v13
	v_and_b32_e32 v12, 0xffff, v12
	v_or3_b32 v8, v13, v12, v8
	v_add_u32_e32 v12, -1, v9
	v_and_b32_e32 v13, 64, v9
	v_cmp_lt_i32_e64 s[4:5], v12, v13
	v_cndmask_b32_e64 v9, v12, v9, s[4:5]
	v_lshlrev_b32_e32 v9, 2, v9
	ds_bpermute_b32 v8, v9, v8
	v_and_b32_e32 v9, 0xff0000, v6
	v_cmp_eq_u32_e64 s[4:5], 0, v9
	; wave barrier
	s_waitcnt lgkmcnt(0)
	v_cndmask_b32_e64 v9, 0, v8, s[4:5]
	v_add_u16_e32 v6, v9, v6
	v_mov_b32_e32 v9, 1
	v_and_b32_sdwa v8, v8, v9 dst_sel:DWORD dst_unused:UNUSED_PAD src0_sel:WORD_1 src1_sel:DWORD
	v_cmp_eq_u32_e64 s[4:5], 0, v7
	v_cndmask_b32_e64 v7, 1, v8, s[4:5]
	v_cndmask_b32_e64 v4, v6, v4, s[0:1]
	v_cndmask_b32_e64 v5, v7, v5, s[0:1]
	ds_write_b16 v3, v4
	ds_write_b8 v3, v5 offset:2
	; wave barrier
	ds_read_u16 v6, v3 offset:4
	ds_read_u8 v7, v3 offset:6
	ds_read_u16 v8, v3 offset:8
	ds_read_u8 v9, v3 offset:10
	;; [unrolled: 2-line block ×3, first 2 shown]
	s_waitcnt lgkmcnt(4)
	v_cmp_eq_u16_e64 s[4:5], 0, v7
	v_cndmask_b32_e64 v4, 0, v4, s[4:5]
	v_add_u16_e32 v4, v4, v6
	v_and_b32_e32 v6, 1, v7
	v_cmp_eq_u32_e64 s[4:5], 1, v6
	v_cndmask_b32_e64 v5, v5, 1, s[4:5]
	s_waitcnt lgkmcnt(2)
	v_cmp_eq_u16_e64 s[4:5], 0, v9
	v_and_b32_e32 v6, 1, v9
	ds_write_b16 v3, v4 offset:4
	ds_write_b8 v3, v5 offset:6
	v_cndmask_b32_e64 v4, 0, v4, s[4:5]
	v_cmp_eq_u32_e64 s[4:5], 1, v6
	v_add_u16_e32 v4, v4, v8
	v_cndmask_b32_e64 v5, v5, 1, s[4:5]
	s_waitcnt lgkmcnt(2)
	v_cmp_eq_u16_e64 s[4:5], 0, v13
	ds_write_b16 v3, v4 offset:8
	ds_write_b8 v3, v5 offset:10
	v_cndmask_b32_e64 v4, 0, v4, s[4:5]
	v_and_b32_e32 v6, 1, v13
	v_add_u16_e32 v4, v4, v12
	v_cmp_eq_u32_e64 s[4:5], 1, v6
	v_cndmask_b32_e64 v5, v5, 1, s[4:5]
	ds_write_b16 v3, v4 offset:12
	ds_write_b8 v3, v5 offset:14
.LBB869_230:
	s_or_b64 exec, exec, s[46:47]
	s_waitcnt vmcnt(0)
	v_mov_b32_e32 v4, v2
	s_waitcnt lgkmcnt(0)
	s_barrier
	s_and_saveexec_b64 s[46:47], s[50:51]
	s_cbranch_execz .LBB869_232
; %bb.231:
	v_add_u32_e32 v3, -1, v0
	v_lshrrev_b32_e32 v4, 5, v3
	v_add_lshl_u32 v3, v4, v3, 2
	ds_read_u8 v4, v3 offset:2
	ds_read_u16 v3, v3
	s_waitcnt lgkmcnt(1)
	v_cmp_eq_u16_e64 s[4:5], 0, v4
	v_cndmask_b32_e64 v4, 0, v2, s[4:5]
	s_waitcnt lgkmcnt(0)
	v_add_u16_e32 v4, v4, v3
.LBB869_232:
	s_or_b64 exec, exec, s[46:47]
	v_and_b32_e32 v3, 0xff0000, v1
	v_cmp_eq_u32_e64 s[4:5], 0, v3
	v_cndmask_b32_e64 v3, 0, v4, s[4:5]
	v_add_u16_e32 v5, v3, v1
	v_cndmask_b32_e32 v1, 0, v5, vcc
	v_add_u16_e32 v6, v1, v22
	v_cndmask_b32_e64 v1, 0, v6, s[6:7]
	v_add_u16_e32 v7, v1, v23
	v_cndmask_b32_e64 v1, 0, v7, s[8:9]
	;; [unrolled: 2-line block ×19, first 2 shown]
	s_and_saveexec_b64 s[4:5], s[0:1]
	s_cbranch_execz .LBB869_234
; %bb.233:
	v_mov_b32_e32 v14, 0
	ds_read_u8 v3, v14 offset:1050
	ds_read_u16 v15, v14 offset:1048
	s_waitcnt lgkmcnt(1)
	v_cmp_eq_u32_e32 vcc, 0, v3
	v_cndmask_b32_e32 v2, 0, v2, vcc
	v_lshlrev_b32_e32 v16, 16, v3
	s_waitcnt lgkmcnt(0)
	v_add_u32_e32 v2, v2, v15
	v_or_b32_sdwa v2, v16, v2 dst_sel:DWORD dst_unused:UNUSED_PAD src0_sel:DWORD src1_sel:WORD_0
	v_mov_b32_e32 v3, 2
	global_store_dwordx2 v14, v[2:3], s[60:61] offset:512
.LBB869_234:
	s_or_b64 exec, exec, s[4:5]
	v_add_u16_e32 v52, v1, v41
.LBB869_235:
	s_add_u32 s0, s58, s54
	s_addc_u32 s1, s59, s55
	v_mov_b32_e32 v1, s1
	v_add_co_u32_e32 v10, vcc, s0, v10
	v_addc_co_u32_e32 v11, vcc, v1, v11, vcc
	v_mul_u32_u24_e32 v1, 22, v0
	s_and_b64 vcc, exec, s[2:3]
	v_lshlrev_b32_e32 v14, 1, v1
	s_cbranch_vccz .LBB869_279
; %bb.236:
	s_mov_b32 s0, 0x5040100
	v_perm_b32 v1, v7, v6, s0
	v_perm_b32 v2, v5, v4, s0
	s_barrier
	ds_write2_b32 v14, v2, v1 offset1:1
	v_perm_b32 v1, v13, v12, s0
	v_perm_b32 v2, v9, v8, s0
	ds_write2_b32 v14, v2, v1 offset0:2 offset1:3
	v_perm_b32 v1, v39, v21, s0
	v_perm_b32 v2, v19, v18, s0
	ds_write2_b32 v14, v2, v1 offset0:4 offset1:5
	;; [unrolled: 3-line block ×4, first 2 shown]
	v_perm_b32 v1, v52, v51, s0
	s_movk_i32 s0, 0xffd6
	v_mad_i32_i24 v2, v0, s0, v14
	ds_write_b32 v14, v1 offset:40
	s_waitcnt lgkmcnt(0)
	s_barrier
	ds_read_u16 v38, v2 offset:512
	ds_read_u16 v37, v2 offset:1024
	;; [unrolled: 1-line block ×21, first 2 shown]
	v_add_co_u32_e32 v2, vcc, v10, v42
	s_add_i32 s33, s33, s62
	v_addc_co_u32_e32 v3, vcc, 0, v11, vcc
	v_mov_b32_e32 v1, 0
	v_cmp_gt_u32_e32 vcc, s33, v0
	s_and_saveexec_b64 s[0:1], vcc
	s_cbranch_execz .LBB869_238
; %bb.237:
	v_mul_i32_i24_e32 v40, 0xffffffd6, v0
	v_add_u32_e32 v40, v14, v40
	ds_read_u16 v40, v40
	s_waitcnt lgkmcnt(0)
	flat_store_short v[2:3], v40
.LBB869_238:
	s_or_b64 exec, exec, s[0:1]
	v_or_b32_e32 v40, 0x100, v0
	v_cmp_gt_u32_e32 vcc, s33, v40
	s_and_saveexec_b64 s[0:1], vcc
	s_cbranch_execz .LBB869_240
; %bb.239:
	s_waitcnt lgkmcnt(0)
	flat_store_short v[2:3], v38 offset:512
.LBB869_240:
	s_or_b64 exec, exec, s[0:1]
	s_waitcnt lgkmcnt(0)
	v_or_b32_e32 v38, 0x200, v0
	v_cmp_gt_u32_e32 vcc, s33, v38
	s_and_saveexec_b64 s[0:1], vcc
	s_cbranch_execz .LBB869_242
; %bb.241:
	flat_store_short v[2:3], v37 offset:1024
.LBB869_242:
	s_or_b64 exec, exec, s[0:1]
	v_or_b32_e32 v37, 0x300, v0
	v_cmp_gt_u32_e32 vcc, s33, v37
	s_and_saveexec_b64 s[0:1], vcc
	s_cbranch_execz .LBB869_244
; %bb.243:
	flat_store_short v[2:3], v36 offset:1536
.LBB869_244:
	s_or_b64 exec, exec, s[0:1]
	;; [unrolled: 8-line block ×6, first 2 shown]
	v_or_b32_e32 v32, 0x800, v0
	v_cmp_gt_u32_e32 vcc, s33, v32
	s_and_saveexec_b64 s[0:1], vcc
	s_cbranch_execz .LBB869_254
; %bb.253:
	v_add_co_u32_e32 v32, vcc, 0x1000, v2
	v_addc_co_u32_e32 v33, vcc, 0, v3, vcc
	flat_store_short v[32:33], v31
.LBB869_254:
	s_or_b64 exec, exec, s[0:1]
	v_or_b32_e32 v31, 0x900, v0
	v_cmp_gt_u32_e32 vcc, s33, v31
	s_and_saveexec_b64 s[0:1], vcc
	s_cbranch_execz .LBB869_256
; %bb.255:
	v_add_co_u32_e32 v32, vcc, 0x1000, v2
	v_addc_co_u32_e32 v33, vcc, 0, v3, vcc
	flat_store_short v[32:33], v30 offset:512
.LBB869_256:
	s_or_b64 exec, exec, s[0:1]
	v_or_b32_e32 v30, 0xa00, v0
	v_cmp_gt_u32_e32 vcc, s33, v30
	s_and_saveexec_b64 s[0:1], vcc
	s_cbranch_execz .LBB869_258
; %bb.257:
	v_add_co_u32_e32 v30, vcc, 0x1000, v2
	v_addc_co_u32_e32 v31, vcc, 0, v3, vcc
	flat_store_short v[30:31], v29 offset:1024
.LBB869_258:
	;; [unrolled: 10-line block ×7, first 2 shown]
	s_or_b64 exec, exec, s[0:1]
	v_or_b32_e32 v24, 0x1000, v0
	v_cmp_gt_u32_e32 vcc, s33, v24
	s_and_saveexec_b64 s[0:1], vcc
	s_cbranch_execz .LBB869_270
; %bb.269:
	v_add_co_u32_e32 v24, vcc, 0x2000, v2
	v_addc_co_u32_e32 v25, vcc, 0, v3, vcc
	flat_store_short v[24:25], v23
.LBB869_270:
	s_or_b64 exec, exec, s[0:1]
	v_or_b32_e32 v23, 0x1100, v0
	v_cmp_gt_u32_e32 vcc, s33, v23
	s_and_saveexec_b64 s[0:1], vcc
	s_cbranch_execz .LBB869_272
; %bb.271:
	v_add_co_u32_e32 v24, vcc, 0x2000, v2
	v_addc_co_u32_e32 v25, vcc, 0, v3, vcc
	flat_store_short v[24:25], v22 offset:512
.LBB869_272:
	s_or_b64 exec, exec, s[0:1]
	v_or_b32_e32 v22, 0x1200, v0
	v_cmp_gt_u32_e32 vcc, s33, v22
	s_and_saveexec_b64 s[0:1], vcc
	s_cbranch_execz .LBB869_274
; %bb.273:
	v_add_co_u32_e32 v22, vcc, 0x2000, v2
	v_addc_co_u32_e32 v23, vcc, 0, v3, vcc
	flat_store_short v[22:23], v20 offset:1024
.LBB869_274:
	;; [unrolled: 10-line block ×4, first 2 shown]
	s_or_b64 exec, exec, s[0:1]
	v_or_b32_e32 v2, 0x1500, v0
	v_cmp_gt_u32_e64 s[0:1], s33, v2
	s_branch .LBB869_281
.LBB869_279:
	s_mov_b64 s[0:1], 0
                                        ; implicit-def: $vgpr15
	s_cbranch_execz .LBB869_281
; %bb.280:
	s_mov_b32 s2, 0x5040100
	v_perm_b32 v1, v7, v6, s2
	v_perm_b32 v2, v5, v4, s2
	s_waitcnt lgkmcnt(0)
	s_barrier
	ds_write2_b32 v14, v2, v1 offset1:1
	v_perm_b32 v1, v13, v12, s2
	v_perm_b32 v2, v9, v8, s2
	ds_write2_b32 v14, v2, v1 offset0:2 offset1:3
	v_perm_b32 v1, v39, v21, s2
	v_perm_b32 v2, v19, v18, s2
	ds_write2_b32 v14, v2, v1 offset0:4 offset1:5
	;; [unrolled: 3-line block ×4, first 2 shown]
	v_perm_b32 v1, v52, v51, s2
	s_movk_i32 s2, 0xffd6
	v_mad_i32_i24 v2, v0, s2, v14
	ds_write_b32 v14, v1 offset:40
	s_waitcnt lgkmcnt(0)
	s_barrier
	ds_read_u16 v4, v2
	ds_read_u16 v5, v2 offset:512
	ds_read_u16 v6, v2 offset:1024
	;; [unrolled: 1-line block ×21, first 2 shown]
	v_add_co_u32_e32 v2, vcc, v10, v42
	v_addc_co_u32_e32 v3, vcc, 0, v11, vcc
	s_movk_i32 s2, 0x1000
	s_waitcnt lgkmcnt(0)
	flat_store_short v[2:3], v4
	flat_store_short v[2:3], v5 offset:512
	flat_store_short v[2:3], v6 offset:1024
	;; [unrolled: 1-line block ×7, first 2 shown]
	v_add_co_u32_e32 v4, vcc, s2, v2
	v_addc_co_u32_e32 v5, vcc, 0, v3, vcc
	v_add_co_u32_e32 v2, vcc, 0x2000, v2
	v_mov_b32_e32 v1, 0
	v_addc_co_u32_e32 v3, vcc, 0, v3, vcc
	s_or_b64 s[0:1], s[0:1], exec
	flat_store_short v[4:5], v14
	flat_store_short v[4:5], v16 offset:512
	flat_store_short v[4:5], v17 offset:1024
	flat_store_short v[4:5], v18 offset:1536
	flat_store_short v[4:5], v19 offset:2048
	flat_store_short v[4:5], v20 offset:2560
	flat_store_short v[4:5], v21 offset:3072
	flat_store_short v[4:5], v22 offset:3584
	flat_store_short v[2:3], v23
	flat_store_short v[2:3], v24 offset:512
	flat_store_short v[2:3], v25 offset:1024
	;; [unrolled: 1-line block ×4, first 2 shown]
.LBB869_281:
	s_and_saveexec_b64 s[2:3], s[0:1]
	s_cbranch_execz .LBB869_283
; %bb.282:
	v_lshlrev_b64 v[0:1], 1, v[0:1]
	v_add_co_u32_e32 v0, vcc, v10, v0
	v_addc_co_u32_e32 v1, vcc, v11, v1, vcc
	v_add_co_u32_e32 v0, vcc, 0x2000, v0
	v_addc_co_u32_e32 v1, vcc, 0, v1, vcc
	flat_store_short v[0:1], v15 offset:2560
	s_endpgm
.LBB869_283:
	s_endpgm
	.section	.rodata,"a",@progbits
	.p2align	6, 0x0
	.amdhsa_kernel _ZN7rocprim17ROCPRIM_400000_NS6detail17trampoline_kernelINS0_14default_configENS1_27scan_by_key_config_selectorIssEEZZNS1_16scan_by_key_implILNS1_25lookback_scan_determinismE0ELb1ES3_N6thrust23THRUST_200600_302600_NS6detail15normal_iteratorINS9_10device_ptrIsEEEESE_SE_sNS9_4plusIsEE19head_flag_predicatesEE10hipError_tPvRmT2_T3_T4_T5_mT6_T7_P12ihipStream_tbENKUlT_T0_E_clISt17integral_constantIbLb1EESY_EEDaST_SU_EUlST_E_NS1_11comp_targetILNS1_3genE4ELNS1_11target_archE910ELNS1_3gpuE8ELNS1_3repE0EEENS1_30default_config_static_selectorELNS0_4arch9wavefront6targetE1EEEvT1_
		.amdhsa_group_segment_fixed_size 12288
		.amdhsa_private_segment_fixed_size 0
		.amdhsa_kernarg_size 112
		.amdhsa_user_sgpr_count 6
		.amdhsa_user_sgpr_private_segment_buffer 1
		.amdhsa_user_sgpr_dispatch_ptr 0
		.amdhsa_user_sgpr_queue_ptr 0
		.amdhsa_user_sgpr_kernarg_segment_ptr 1
		.amdhsa_user_sgpr_dispatch_id 0
		.amdhsa_user_sgpr_flat_scratch_init 0
		.amdhsa_user_sgpr_kernarg_preload_length 0
		.amdhsa_user_sgpr_kernarg_preload_offset 0
		.amdhsa_user_sgpr_private_segment_size 0
		.amdhsa_uses_dynamic_stack 0
		.amdhsa_system_sgpr_private_segment_wavefront_offset 0
		.amdhsa_system_sgpr_workgroup_id_x 1
		.amdhsa_system_sgpr_workgroup_id_y 0
		.amdhsa_system_sgpr_workgroup_id_z 0
		.amdhsa_system_sgpr_workgroup_info 0
		.amdhsa_system_vgpr_workitem_id 0
		.amdhsa_next_free_vgpr 60
		.amdhsa_next_free_sgpr 74
		.amdhsa_accum_offset 60
		.amdhsa_reserve_vcc 1
		.amdhsa_reserve_flat_scratch 0
		.amdhsa_float_round_mode_32 0
		.amdhsa_float_round_mode_16_64 0
		.amdhsa_float_denorm_mode_32 3
		.amdhsa_float_denorm_mode_16_64 3
		.amdhsa_dx10_clamp 1
		.amdhsa_ieee_mode 1
		.amdhsa_fp16_overflow 0
		.amdhsa_tg_split 0
		.amdhsa_exception_fp_ieee_invalid_op 0
		.amdhsa_exception_fp_denorm_src 0
		.amdhsa_exception_fp_ieee_div_zero 0
		.amdhsa_exception_fp_ieee_overflow 0
		.amdhsa_exception_fp_ieee_underflow 0
		.amdhsa_exception_fp_ieee_inexact 0
		.amdhsa_exception_int_div_zero 0
	.end_amdhsa_kernel
	.section	.text._ZN7rocprim17ROCPRIM_400000_NS6detail17trampoline_kernelINS0_14default_configENS1_27scan_by_key_config_selectorIssEEZZNS1_16scan_by_key_implILNS1_25lookback_scan_determinismE0ELb1ES3_N6thrust23THRUST_200600_302600_NS6detail15normal_iteratorINS9_10device_ptrIsEEEESE_SE_sNS9_4plusIsEE19head_flag_predicatesEE10hipError_tPvRmT2_T3_T4_T5_mT6_T7_P12ihipStream_tbENKUlT_T0_E_clISt17integral_constantIbLb1EESY_EEDaST_SU_EUlST_E_NS1_11comp_targetILNS1_3genE4ELNS1_11target_archE910ELNS1_3gpuE8ELNS1_3repE0EEENS1_30default_config_static_selectorELNS0_4arch9wavefront6targetE1EEEvT1_,"axG",@progbits,_ZN7rocprim17ROCPRIM_400000_NS6detail17trampoline_kernelINS0_14default_configENS1_27scan_by_key_config_selectorIssEEZZNS1_16scan_by_key_implILNS1_25lookback_scan_determinismE0ELb1ES3_N6thrust23THRUST_200600_302600_NS6detail15normal_iteratorINS9_10device_ptrIsEEEESE_SE_sNS9_4plusIsEE19head_flag_predicatesEE10hipError_tPvRmT2_T3_T4_T5_mT6_T7_P12ihipStream_tbENKUlT_T0_E_clISt17integral_constantIbLb1EESY_EEDaST_SU_EUlST_E_NS1_11comp_targetILNS1_3genE4ELNS1_11target_archE910ELNS1_3gpuE8ELNS1_3repE0EEENS1_30default_config_static_selectorELNS0_4arch9wavefront6targetE1EEEvT1_,comdat
.Lfunc_end869:
	.size	_ZN7rocprim17ROCPRIM_400000_NS6detail17trampoline_kernelINS0_14default_configENS1_27scan_by_key_config_selectorIssEEZZNS1_16scan_by_key_implILNS1_25lookback_scan_determinismE0ELb1ES3_N6thrust23THRUST_200600_302600_NS6detail15normal_iteratorINS9_10device_ptrIsEEEESE_SE_sNS9_4plusIsEE19head_flag_predicatesEE10hipError_tPvRmT2_T3_T4_T5_mT6_T7_P12ihipStream_tbENKUlT_T0_E_clISt17integral_constantIbLb1EESY_EEDaST_SU_EUlST_E_NS1_11comp_targetILNS1_3genE4ELNS1_11target_archE910ELNS1_3gpuE8ELNS1_3repE0EEENS1_30default_config_static_selectorELNS0_4arch9wavefront6targetE1EEEvT1_, .Lfunc_end869-_ZN7rocprim17ROCPRIM_400000_NS6detail17trampoline_kernelINS0_14default_configENS1_27scan_by_key_config_selectorIssEEZZNS1_16scan_by_key_implILNS1_25lookback_scan_determinismE0ELb1ES3_N6thrust23THRUST_200600_302600_NS6detail15normal_iteratorINS9_10device_ptrIsEEEESE_SE_sNS9_4plusIsEE19head_flag_predicatesEE10hipError_tPvRmT2_T3_T4_T5_mT6_T7_P12ihipStream_tbENKUlT_T0_E_clISt17integral_constantIbLb1EESY_EEDaST_SU_EUlST_E_NS1_11comp_targetILNS1_3genE4ELNS1_11target_archE910ELNS1_3gpuE8ELNS1_3repE0EEENS1_30default_config_static_selectorELNS0_4arch9wavefront6targetE1EEEvT1_
                                        ; -- End function
	.section	.AMDGPU.csdata,"",@progbits
; Kernel info:
; codeLenInByte = 16072
; NumSgprs: 78
; NumVgprs: 60
; NumAgprs: 0
; TotalNumVgprs: 60
; ScratchSize: 0
; MemoryBound: 0
; FloatMode: 240
; IeeeMode: 1
; LDSByteSize: 12288 bytes/workgroup (compile time only)
; SGPRBlocks: 9
; VGPRBlocks: 7
; NumSGPRsForWavesPerEU: 78
; NumVGPRsForWavesPerEU: 60
; AccumOffset: 60
; Occupancy: 5
; WaveLimiterHint : 1
; COMPUTE_PGM_RSRC2:SCRATCH_EN: 0
; COMPUTE_PGM_RSRC2:USER_SGPR: 6
; COMPUTE_PGM_RSRC2:TRAP_HANDLER: 0
; COMPUTE_PGM_RSRC2:TGID_X_EN: 1
; COMPUTE_PGM_RSRC2:TGID_Y_EN: 0
; COMPUTE_PGM_RSRC2:TGID_Z_EN: 0
; COMPUTE_PGM_RSRC2:TIDIG_COMP_CNT: 0
; COMPUTE_PGM_RSRC3_GFX90A:ACCUM_OFFSET: 14
; COMPUTE_PGM_RSRC3_GFX90A:TG_SPLIT: 0
	.section	.text._ZN7rocprim17ROCPRIM_400000_NS6detail17trampoline_kernelINS0_14default_configENS1_27scan_by_key_config_selectorIssEEZZNS1_16scan_by_key_implILNS1_25lookback_scan_determinismE0ELb1ES3_N6thrust23THRUST_200600_302600_NS6detail15normal_iteratorINS9_10device_ptrIsEEEESE_SE_sNS9_4plusIsEE19head_flag_predicatesEE10hipError_tPvRmT2_T3_T4_T5_mT6_T7_P12ihipStream_tbENKUlT_T0_E_clISt17integral_constantIbLb1EESY_EEDaST_SU_EUlST_E_NS1_11comp_targetILNS1_3genE3ELNS1_11target_archE908ELNS1_3gpuE7ELNS1_3repE0EEENS1_30default_config_static_selectorELNS0_4arch9wavefront6targetE1EEEvT1_,"axG",@progbits,_ZN7rocprim17ROCPRIM_400000_NS6detail17trampoline_kernelINS0_14default_configENS1_27scan_by_key_config_selectorIssEEZZNS1_16scan_by_key_implILNS1_25lookback_scan_determinismE0ELb1ES3_N6thrust23THRUST_200600_302600_NS6detail15normal_iteratorINS9_10device_ptrIsEEEESE_SE_sNS9_4plusIsEE19head_flag_predicatesEE10hipError_tPvRmT2_T3_T4_T5_mT6_T7_P12ihipStream_tbENKUlT_T0_E_clISt17integral_constantIbLb1EESY_EEDaST_SU_EUlST_E_NS1_11comp_targetILNS1_3genE3ELNS1_11target_archE908ELNS1_3gpuE7ELNS1_3repE0EEENS1_30default_config_static_selectorELNS0_4arch9wavefront6targetE1EEEvT1_,comdat
	.protected	_ZN7rocprim17ROCPRIM_400000_NS6detail17trampoline_kernelINS0_14default_configENS1_27scan_by_key_config_selectorIssEEZZNS1_16scan_by_key_implILNS1_25lookback_scan_determinismE0ELb1ES3_N6thrust23THRUST_200600_302600_NS6detail15normal_iteratorINS9_10device_ptrIsEEEESE_SE_sNS9_4plusIsEE19head_flag_predicatesEE10hipError_tPvRmT2_T3_T4_T5_mT6_T7_P12ihipStream_tbENKUlT_T0_E_clISt17integral_constantIbLb1EESY_EEDaST_SU_EUlST_E_NS1_11comp_targetILNS1_3genE3ELNS1_11target_archE908ELNS1_3gpuE7ELNS1_3repE0EEENS1_30default_config_static_selectorELNS0_4arch9wavefront6targetE1EEEvT1_ ; -- Begin function _ZN7rocprim17ROCPRIM_400000_NS6detail17trampoline_kernelINS0_14default_configENS1_27scan_by_key_config_selectorIssEEZZNS1_16scan_by_key_implILNS1_25lookback_scan_determinismE0ELb1ES3_N6thrust23THRUST_200600_302600_NS6detail15normal_iteratorINS9_10device_ptrIsEEEESE_SE_sNS9_4plusIsEE19head_flag_predicatesEE10hipError_tPvRmT2_T3_T4_T5_mT6_T7_P12ihipStream_tbENKUlT_T0_E_clISt17integral_constantIbLb1EESY_EEDaST_SU_EUlST_E_NS1_11comp_targetILNS1_3genE3ELNS1_11target_archE908ELNS1_3gpuE7ELNS1_3repE0EEENS1_30default_config_static_selectorELNS0_4arch9wavefront6targetE1EEEvT1_
	.globl	_ZN7rocprim17ROCPRIM_400000_NS6detail17trampoline_kernelINS0_14default_configENS1_27scan_by_key_config_selectorIssEEZZNS1_16scan_by_key_implILNS1_25lookback_scan_determinismE0ELb1ES3_N6thrust23THRUST_200600_302600_NS6detail15normal_iteratorINS9_10device_ptrIsEEEESE_SE_sNS9_4plusIsEE19head_flag_predicatesEE10hipError_tPvRmT2_T3_T4_T5_mT6_T7_P12ihipStream_tbENKUlT_T0_E_clISt17integral_constantIbLb1EESY_EEDaST_SU_EUlST_E_NS1_11comp_targetILNS1_3genE3ELNS1_11target_archE908ELNS1_3gpuE7ELNS1_3repE0EEENS1_30default_config_static_selectorELNS0_4arch9wavefront6targetE1EEEvT1_
	.p2align	8
	.type	_ZN7rocprim17ROCPRIM_400000_NS6detail17trampoline_kernelINS0_14default_configENS1_27scan_by_key_config_selectorIssEEZZNS1_16scan_by_key_implILNS1_25lookback_scan_determinismE0ELb1ES3_N6thrust23THRUST_200600_302600_NS6detail15normal_iteratorINS9_10device_ptrIsEEEESE_SE_sNS9_4plusIsEE19head_flag_predicatesEE10hipError_tPvRmT2_T3_T4_T5_mT6_T7_P12ihipStream_tbENKUlT_T0_E_clISt17integral_constantIbLb1EESY_EEDaST_SU_EUlST_E_NS1_11comp_targetILNS1_3genE3ELNS1_11target_archE908ELNS1_3gpuE7ELNS1_3repE0EEENS1_30default_config_static_selectorELNS0_4arch9wavefront6targetE1EEEvT1_,@function
_ZN7rocprim17ROCPRIM_400000_NS6detail17trampoline_kernelINS0_14default_configENS1_27scan_by_key_config_selectorIssEEZZNS1_16scan_by_key_implILNS1_25lookback_scan_determinismE0ELb1ES3_N6thrust23THRUST_200600_302600_NS6detail15normal_iteratorINS9_10device_ptrIsEEEESE_SE_sNS9_4plusIsEE19head_flag_predicatesEE10hipError_tPvRmT2_T3_T4_T5_mT6_T7_P12ihipStream_tbENKUlT_T0_E_clISt17integral_constantIbLb1EESY_EEDaST_SU_EUlST_E_NS1_11comp_targetILNS1_3genE3ELNS1_11target_archE908ELNS1_3gpuE7ELNS1_3repE0EEENS1_30default_config_static_selectorELNS0_4arch9wavefront6targetE1EEEvT1_: ; @_ZN7rocprim17ROCPRIM_400000_NS6detail17trampoline_kernelINS0_14default_configENS1_27scan_by_key_config_selectorIssEEZZNS1_16scan_by_key_implILNS1_25lookback_scan_determinismE0ELb1ES3_N6thrust23THRUST_200600_302600_NS6detail15normal_iteratorINS9_10device_ptrIsEEEESE_SE_sNS9_4plusIsEE19head_flag_predicatesEE10hipError_tPvRmT2_T3_T4_T5_mT6_T7_P12ihipStream_tbENKUlT_T0_E_clISt17integral_constantIbLb1EESY_EEDaST_SU_EUlST_E_NS1_11comp_targetILNS1_3genE3ELNS1_11target_archE908ELNS1_3gpuE7ELNS1_3repE0EEENS1_30default_config_static_selectorELNS0_4arch9wavefront6targetE1EEEvT1_
; %bb.0:
	.section	.rodata,"a",@progbits
	.p2align	6, 0x0
	.amdhsa_kernel _ZN7rocprim17ROCPRIM_400000_NS6detail17trampoline_kernelINS0_14default_configENS1_27scan_by_key_config_selectorIssEEZZNS1_16scan_by_key_implILNS1_25lookback_scan_determinismE0ELb1ES3_N6thrust23THRUST_200600_302600_NS6detail15normal_iteratorINS9_10device_ptrIsEEEESE_SE_sNS9_4plusIsEE19head_flag_predicatesEE10hipError_tPvRmT2_T3_T4_T5_mT6_T7_P12ihipStream_tbENKUlT_T0_E_clISt17integral_constantIbLb1EESY_EEDaST_SU_EUlST_E_NS1_11comp_targetILNS1_3genE3ELNS1_11target_archE908ELNS1_3gpuE7ELNS1_3repE0EEENS1_30default_config_static_selectorELNS0_4arch9wavefront6targetE1EEEvT1_
		.amdhsa_group_segment_fixed_size 0
		.amdhsa_private_segment_fixed_size 0
		.amdhsa_kernarg_size 112
		.amdhsa_user_sgpr_count 6
		.amdhsa_user_sgpr_private_segment_buffer 1
		.amdhsa_user_sgpr_dispatch_ptr 0
		.amdhsa_user_sgpr_queue_ptr 0
		.amdhsa_user_sgpr_kernarg_segment_ptr 1
		.amdhsa_user_sgpr_dispatch_id 0
		.amdhsa_user_sgpr_flat_scratch_init 0
		.amdhsa_user_sgpr_kernarg_preload_length 0
		.amdhsa_user_sgpr_kernarg_preload_offset 0
		.amdhsa_user_sgpr_private_segment_size 0
		.amdhsa_uses_dynamic_stack 0
		.amdhsa_system_sgpr_private_segment_wavefront_offset 0
		.amdhsa_system_sgpr_workgroup_id_x 1
		.amdhsa_system_sgpr_workgroup_id_y 0
		.amdhsa_system_sgpr_workgroup_id_z 0
		.amdhsa_system_sgpr_workgroup_info 0
		.amdhsa_system_vgpr_workitem_id 0
		.amdhsa_next_free_vgpr 1
		.amdhsa_next_free_sgpr 0
		.amdhsa_accum_offset 4
		.amdhsa_reserve_vcc 0
		.amdhsa_reserve_flat_scratch 0
		.amdhsa_float_round_mode_32 0
		.amdhsa_float_round_mode_16_64 0
		.amdhsa_float_denorm_mode_32 3
		.amdhsa_float_denorm_mode_16_64 3
		.amdhsa_dx10_clamp 1
		.amdhsa_ieee_mode 1
		.amdhsa_fp16_overflow 0
		.amdhsa_tg_split 0
		.amdhsa_exception_fp_ieee_invalid_op 0
		.amdhsa_exception_fp_denorm_src 0
		.amdhsa_exception_fp_ieee_div_zero 0
		.amdhsa_exception_fp_ieee_overflow 0
		.amdhsa_exception_fp_ieee_underflow 0
		.amdhsa_exception_fp_ieee_inexact 0
		.amdhsa_exception_int_div_zero 0
	.end_amdhsa_kernel
	.section	.text._ZN7rocprim17ROCPRIM_400000_NS6detail17trampoline_kernelINS0_14default_configENS1_27scan_by_key_config_selectorIssEEZZNS1_16scan_by_key_implILNS1_25lookback_scan_determinismE0ELb1ES3_N6thrust23THRUST_200600_302600_NS6detail15normal_iteratorINS9_10device_ptrIsEEEESE_SE_sNS9_4plusIsEE19head_flag_predicatesEE10hipError_tPvRmT2_T3_T4_T5_mT6_T7_P12ihipStream_tbENKUlT_T0_E_clISt17integral_constantIbLb1EESY_EEDaST_SU_EUlST_E_NS1_11comp_targetILNS1_3genE3ELNS1_11target_archE908ELNS1_3gpuE7ELNS1_3repE0EEENS1_30default_config_static_selectorELNS0_4arch9wavefront6targetE1EEEvT1_,"axG",@progbits,_ZN7rocprim17ROCPRIM_400000_NS6detail17trampoline_kernelINS0_14default_configENS1_27scan_by_key_config_selectorIssEEZZNS1_16scan_by_key_implILNS1_25lookback_scan_determinismE0ELb1ES3_N6thrust23THRUST_200600_302600_NS6detail15normal_iteratorINS9_10device_ptrIsEEEESE_SE_sNS9_4plusIsEE19head_flag_predicatesEE10hipError_tPvRmT2_T3_T4_T5_mT6_T7_P12ihipStream_tbENKUlT_T0_E_clISt17integral_constantIbLb1EESY_EEDaST_SU_EUlST_E_NS1_11comp_targetILNS1_3genE3ELNS1_11target_archE908ELNS1_3gpuE7ELNS1_3repE0EEENS1_30default_config_static_selectorELNS0_4arch9wavefront6targetE1EEEvT1_,comdat
.Lfunc_end870:
	.size	_ZN7rocprim17ROCPRIM_400000_NS6detail17trampoline_kernelINS0_14default_configENS1_27scan_by_key_config_selectorIssEEZZNS1_16scan_by_key_implILNS1_25lookback_scan_determinismE0ELb1ES3_N6thrust23THRUST_200600_302600_NS6detail15normal_iteratorINS9_10device_ptrIsEEEESE_SE_sNS9_4plusIsEE19head_flag_predicatesEE10hipError_tPvRmT2_T3_T4_T5_mT6_T7_P12ihipStream_tbENKUlT_T0_E_clISt17integral_constantIbLb1EESY_EEDaST_SU_EUlST_E_NS1_11comp_targetILNS1_3genE3ELNS1_11target_archE908ELNS1_3gpuE7ELNS1_3repE0EEENS1_30default_config_static_selectorELNS0_4arch9wavefront6targetE1EEEvT1_, .Lfunc_end870-_ZN7rocprim17ROCPRIM_400000_NS6detail17trampoline_kernelINS0_14default_configENS1_27scan_by_key_config_selectorIssEEZZNS1_16scan_by_key_implILNS1_25lookback_scan_determinismE0ELb1ES3_N6thrust23THRUST_200600_302600_NS6detail15normal_iteratorINS9_10device_ptrIsEEEESE_SE_sNS9_4plusIsEE19head_flag_predicatesEE10hipError_tPvRmT2_T3_T4_T5_mT6_T7_P12ihipStream_tbENKUlT_T0_E_clISt17integral_constantIbLb1EESY_EEDaST_SU_EUlST_E_NS1_11comp_targetILNS1_3genE3ELNS1_11target_archE908ELNS1_3gpuE7ELNS1_3repE0EEENS1_30default_config_static_selectorELNS0_4arch9wavefront6targetE1EEEvT1_
                                        ; -- End function
	.section	.AMDGPU.csdata,"",@progbits
; Kernel info:
; codeLenInByte = 0
; NumSgprs: 4
; NumVgprs: 0
; NumAgprs: 0
; TotalNumVgprs: 0
; ScratchSize: 0
; MemoryBound: 0
; FloatMode: 240
; IeeeMode: 1
; LDSByteSize: 0 bytes/workgroup (compile time only)
; SGPRBlocks: 0
; VGPRBlocks: 0
; NumSGPRsForWavesPerEU: 4
; NumVGPRsForWavesPerEU: 1
; AccumOffset: 4
; Occupancy: 8
; WaveLimiterHint : 0
; COMPUTE_PGM_RSRC2:SCRATCH_EN: 0
; COMPUTE_PGM_RSRC2:USER_SGPR: 6
; COMPUTE_PGM_RSRC2:TRAP_HANDLER: 0
; COMPUTE_PGM_RSRC2:TGID_X_EN: 1
; COMPUTE_PGM_RSRC2:TGID_Y_EN: 0
; COMPUTE_PGM_RSRC2:TGID_Z_EN: 0
; COMPUTE_PGM_RSRC2:TIDIG_COMP_CNT: 0
; COMPUTE_PGM_RSRC3_GFX90A:ACCUM_OFFSET: 0
; COMPUTE_PGM_RSRC3_GFX90A:TG_SPLIT: 0
	.section	.text._ZN7rocprim17ROCPRIM_400000_NS6detail17trampoline_kernelINS0_14default_configENS1_27scan_by_key_config_selectorIssEEZZNS1_16scan_by_key_implILNS1_25lookback_scan_determinismE0ELb1ES3_N6thrust23THRUST_200600_302600_NS6detail15normal_iteratorINS9_10device_ptrIsEEEESE_SE_sNS9_4plusIsEE19head_flag_predicatesEE10hipError_tPvRmT2_T3_T4_T5_mT6_T7_P12ihipStream_tbENKUlT_T0_E_clISt17integral_constantIbLb1EESY_EEDaST_SU_EUlST_E_NS1_11comp_targetILNS1_3genE2ELNS1_11target_archE906ELNS1_3gpuE6ELNS1_3repE0EEENS1_30default_config_static_selectorELNS0_4arch9wavefront6targetE1EEEvT1_,"axG",@progbits,_ZN7rocprim17ROCPRIM_400000_NS6detail17trampoline_kernelINS0_14default_configENS1_27scan_by_key_config_selectorIssEEZZNS1_16scan_by_key_implILNS1_25lookback_scan_determinismE0ELb1ES3_N6thrust23THRUST_200600_302600_NS6detail15normal_iteratorINS9_10device_ptrIsEEEESE_SE_sNS9_4plusIsEE19head_flag_predicatesEE10hipError_tPvRmT2_T3_T4_T5_mT6_T7_P12ihipStream_tbENKUlT_T0_E_clISt17integral_constantIbLb1EESY_EEDaST_SU_EUlST_E_NS1_11comp_targetILNS1_3genE2ELNS1_11target_archE906ELNS1_3gpuE6ELNS1_3repE0EEENS1_30default_config_static_selectorELNS0_4arch9wavefront6targetE1EEEvT1_,comdat
	.protected	_ZN7rocprim17ROCPRIM_400000_NS6detail17trampoline_kernelINS0_14default_configENS1_27scan_by_key_config_selectorIssEEZZNS1_16scan_by_key_implILNS1_25lookback_scan_determinismE0ELb1ES3_N6thrust23THRUST_200600_302600_NS6detail15normal_iteratorINS9_10device_ptrIsEEEESE_SE_sNS9_4plusIsEE19head_flag_predicatesEE10hipError_tPvRmT2_T3_T4_T5_mT6_T7_P12ihipStream_tbENKUlT_T0_E_clISt17integral_constantIbLb1EESY_EEDaST_SU_EUlST_E_NS1_11comp_targetILNS1_3genE2ELNS1_11target_archE906ELNS1_3gpuE6ELNS1_3repE0EEENS1_30default_config_static_selectorELNS0_4arch9wavefront6targetE1EEEvT1_ ; -- Begin function _ZN7rocprim17ROCPRIM_400000_NS6detail17trampoline_kernelINS0_14default_configENS1_27scan_by_key_config_selectorIssEEZZNS1_16scan_by_key_implILNS1_25lookback_scan_determinismE0ELb1ES3_N6thrust23THRUST_200600_302600_NS6detail15normal_iteratorINS9_10device_ptrIsEEEESE_SE_sNS9_4plusIsEE19head_flag_predicatesEE10hipError_tPvRmT2_T3_T4_T5_mT6_T7_P12ihipStream_tbENKUlT_T0_E_clISt17integral_constantIbLb1EESY_EEDaST_SU_EUlST_E_NS1_11comp_targetILNS1_3genE2ELNS1_11target_archE906ELNS1_3gpuE6ELNS1_3repE0EEENS1_30default_config_static_selectorELNS0_4arch9wavefront6targetE1EEEvT1_
	.globl	_ZN7rocprim17ROCPRIM_400000_NS6detail17trampoline_kernelINS0_14default_configENS1_27scan_by_key_config_selectorIssEEZZNS1_16scan_by_key_implILNS1_25lookback_scan_determinismE0ELb1ES3_N6thrust23THRUST_200600_302600_NS6detail15normal_iteratorINS9_10device_ptrIsEEEESE_SE_sNS9_4plusIsEE19head_flag_predicatesEE10hipError_tPvRmT2_T3_T4_T5_mT6_T7_P12ihipStream_tbENKUlT_T0_E_clISt17integral_constantIbLb1EESY_EEDaST_SU_EUlST_E_NS1_11comp_targetILNS1_3genE2ELNS1_11target_archE906ELNS1_3gpuE6ELNS1_3repE0EEENS1_30default_config_static_selectorELNS0_4arch9wavefront6targetE1EEEvT1_
	.p2align	8
	.type	_ZN7rocprim17ROCPRIM_400000_NS6detail17trampoline_kernelINS0_14default_configENS1_27scan_by_key_config_selectorIssEEZZNS1_16scan_by_key_implILNS1_25lookback_scan_determinismE0ELb1ES3_N6thrust23THRUST_200600_302600_NS6detail15normal_iteratorINS9_10device_ptrIsEEEESE_SE_sNS9_4plusIsEE19head_flag_predicatesEE10hipError_tPvRmT2_T3_T4_T5_mT6_T7_P12ihipStream_tbENKUlT_T0_E_clISt17integral_constantIbLb1EESY_EEDaST_SU_EUlST_E_NS1_11comp_targetILNS1_3genE2ELNS1_11target_archE906ELNS1_3gpuE6ELNS1_3repE0EEENS1_30default_config_static_selectorELNS0_4arch9wavefront6targetE1EEEvT1_,@function
_ZN7rocprim17ROCPRIM_400000_NS6detail17trampoline_kernelINS0_14default_configENS1_27scan_by_key_config_selectorIssEEZZNS1_16scan_by_key_implILNS1_25lookback_scan_determinismE0ELb1ES3_N6thrust23THRUST_200600_302600_NS6detail15normal_iteratorINS9_10device_ptrIsEEEESE_SE_sNS9_4plusIsEE19head_flag_predicatesEE10hipError_tPvRmT2_T3_T4_T5_mT6_T7_P12ihipStream_tbENKUlT_T0_E_clISt17integral_constantIbLb1EESY_EEDaST_SU_EUlST_E_NS1_11comp_targetILNS1_3genE2ELNS1_11target_archE906ELNS1_3gpuE6ELNS1_3repE0EEENS1_30default_config_static_selectorELNS0_4arch9wavefront6targetE1EEEvT1_: ; @_ZN7rocprim17ROCPRIM_400000_NS6detail17trampoline_kernelINS0_14default_configENS1_27scan_by_key_config_selectorIssEEZZNS1_16scan_by_key_implILNS1_25lookback_scan_determinismE0ELb1ES3_N6thrust23THRUST_200600_302600_NS6detail15normal_iteratorINS9_10device_ptrIsEEEESE_SE_sNS9_4plusIsEE19head_flag_predicatesEE10hipError_tPvRmT2_T3_T4_T5_mT6_T7_P12ihipStream_tbENKUlT_T0_E_clISt17integral_constantIbLb1EESY_EEDaST_SU_EUlST_E_NS1_11comp_targetILNS1_3genE2ELNS1_11target_archE906ELNS1_3gpuE6ELNS1_3repE0EEENS1_30default_config_static_selectorELNS0_4arch9wavefront6targetE1EEEvT1_
; %bb.0:
	.section	.rodata,"a",@progbits
	.p2align	6, 0x0
	.amdhsa_kernel _ZN7rocprim17ROCPRIM_400000_NS6detail17trampoline_kernelINS0_14default_configENS1_27scan_by_key_config_selectorIssEEZZNS1_16scan_by_key_implILNS1_25lookback_scan_determinismE0ELb1ES3_N6thrust23THRUST_200600_302600_NS6detail15normal_iteratorINS9_10device_ptrIsEEEESE_SE_sNS9_4plusIsEE19head_flag_predicatesEE10hipError_tPvRmT2_T3_T4_T5_mT6_T7_P12ihipStream_tbENKUlT_T0_E_clISt17integral_constantIbLb1EESY_EEDaST_SU_EUlST_E_NS1_11comp_targetILNS1_3genE2ELNS1_11target_archE906ELNS1_3gpuE6ELNS1_3repE0EEENS1_30default_config_static_selectorELNS0_4arch9wavefront6targetE1EEEvT1_
		.amdhsa_group_segment_fixed_size 0
		.amdhsa_private_segment_fixed_size 0
		.amdhsa_kernarg_size 112
		.amdhsa_user_sgpr_count 6
		.amdhsa_user_sgpr_private_segment_buffer 1
		.amdhsa_user_sgpr_dispatch_ptr 0
		.amdhsa_user_sgpr_queue_ptr 0
		.amdhsa_user_sgpr_kernarg_segment_ptr 1
		.amdhsa_user_sgpr_dispatch_id 0
		.amdhsa_user_sgpr_flat_scratch_init 0
		.amdhsa_user_sgpr_kernarg_preload_length 0
		.amdhsa_user_sgpr_kernarg_preload_offset 0
		.amdhsa_user_sgpr_private_segment_size 0
		.amdhsa_uses_dynamic_stack 0
		.amdhsa_system_sgpr_private_segment_wavefront_offset 0
		.amdhsa_system_sgpr_workgroup_id_x 1
		.amdhsa_system_sgpr_workgroup_id_y 0
		.amdhsa_system_sgpr_workgroup_id_z 0
		.amdhsa_system_sgpr_workgroup_info 0
		.amdhsa_system_vgpr_workitem_id 0
		.amdhsa_next_free_vgpr 1
		.amdhsa_next_free_sgpr 0
		.amdhsa_accum_offset 4
		.amdhsa_reserve_vcc 0
		.amdhsa_reserve_flat_scratch 0
		.amdhsa_float_round_mode_32 0
		.amdhsa_float_round_mode_16_64 0
		.amdhsa_float_denorm_mode_32 3
		.amdhsa_float_denorm_mode_16_64 3
		.amdhsa_dx10_clamp 1
		.amdhsa_ieee_mode 1
		.amdhsa_fp16_overflow 0
		.amdhsa_tg_split 0
		.amdhsa_exception_fp_ieee_invalid_op 0
		.amdhsa_exception_fp_denorm_src 0
		.amdhsa_exception_fp_ieee_div_zero 0
		.amdhsa_exception_fp_ieee_overflow 0
		.amdhsa_exception_fp_ieee_underflow 0
		.amdhsa_exception_fp_ieee_inexact 0
		.amdhsa_exception_int_div_zero 0
	.end_amdhsa_kernel
	.section	.text._ZN7rocprim17ROCPRIM_400000_NS6detail17trampoline_kernelINS0_14default_configENS1_27scan_by_key_config_selectorIssEEZZNS1_16scan_by_key_implILNS1_25lookback_scan_determinismE0ELb1ES3_N6thrust23THRUST_200600_302600_NS6detail15normal_iteratorINS9_10device_ptrIsEEEESE_SE_sNS9_4plusIsEE19head_flag_predicatesEE10hipError_tPvRmT2_T3_T4_T5_mT6_T7_P12ihipStream_tbENKUlT_T0_E_clISt17integral_constantIbLb1EESY_EEDaST_SU_EUlST_E_NS1_11comp_targetILNS1_3genE2ELNS1_11target_archE906ELNS1_3gpuE6ELNS1_3repE0EEENS1_30default_config_static_selectorELNS0_4arch9wavefront6targetE1EEEvT1_,"axG",@progbits,_ZN7rocprim17ROCPRIM_400000_NS6detail17trampoline_kernelINS0_14default_configENS1_27scan_by_key_config_selectorIssEEZZNS1_16scan_by_key_implILNS1_25lookback_scan_determinismE0ELb1ES3_N6thrust23THRUST_200600_302600_NS6detail15normal_iteratorINS9_10device_ptrIsEEEESE_SE_sNS9_4plusIsEE19head_flag_predicatesEE10hipError_tPvRmT2_T3_T4_T5_mT6_T7_P12ihipStream_tbENKUlT_T0_E_clISt17integral_constantIbLb1EESY_EEDaST_SU_EUlST_E_NS1_11comp_targetILNS1_3genE2ELNS1_11target_archE906ELNS1_3gpuE6ELNS1_3repE0EEENS1_30default_config_static_selectorELNS0_4arch9wavefront6targetE1EEEvT1_,comdat
.Lfunc_end871:
	.size	_ZN7rocprim17ROCPRIM_400000_NS6detail17trampoline_kernelINS0_14default_configENS1_27scan_by_key_config_selectorIssEEZZNS1_16scan_by_key_implILNS1_25lookback_scan_determinismE0ELb1ES3_N6thrust23THRUST_200600_302600_NS6detail15normal_iteratorINS9_10device_ptrIsEEEESE_SE_sNS9_4plusIsEE19head_flag_predicatesEE10hipError_tPvRmT2_T3_T4_T5_mT6_T7_P12ihipStream_tbENKUlT_T0_E_clISt17integral_constantIbLb1EESY_EEDaST_SU_EUlST_E_NS1_11comp_targetILNS1_3genE2ELNS1_11target_archE906ELNS1_3gpuE6ELNS1_3repE0EEENS1_30default_config_static_selectorELNS0_4arch9wavefront6targetE1EEEvT1_, .Lfunc_end871-_ZN7rocprim17ROCPRIM_400000_NS6detail17trampoline_kernelINS0_14default_configENS1_27scan_by_key_config_selectorIssEEZZNS1_16scan_by_key_implILNS1_25lookback_scan_determinismE0ELb1ES3_N6thrust23THRUST_200600_302600_NS6detail15normal_iteratorINS9_10device_ptrIsEEEESE_SE_sNS9_4plusIsEE19head_flag_predicatesEE10hipError_tPvRmT2_T3_T4_T5_mT6_T7_P12ihipStream_tbENKUlT_T0_E_clISt17integral_constantIbLb1EESY_EEDaST_SU_EUlST_E_NS1_11comp_targetILNS1_3genE2ELNS1_11target_archE906ELNS1_3gpuE6ELNS1_3repE0EEENS1_30default_config_static_selectorELNS0_4arch9wavefront6targetE1EEEvT1_
                                        ; -- End function
	.section	.AMDGPU.csdata,"",@progbits
; Kernel info:
; codeLenInByte = 0
; NumSgprs: 4
; NumVgprs: 0
; NumAgprs: 0
; TotalNumVgprs: 0
; ScratchSize: 0
; MemoryBound: 0
; FloatMode: 240
; IeeeMode: 1
; LDSByteSize: 0 bytes/workgroup (compile time only)
; SGPRBlocks: 0
; VGPRBlocks: 0
; NumSGPRsForWavesPerEU: 4
; NumVGPRsForWavesPerEU: 1
; AccumOffset: 4
; Occupancy: 8
; WaveLimiterHint : 0
; COMPUTE_PGM_RSRC2:SCRATCH_EN: 0
; COMPUTE_PGM_RSRC2:USER_SGPR: 6
; COMPUTE_PGM_RSRC2:TRAP_HANDLER: 0
; COMPUTE_PGM_RSRC2:TGID_X_EN: 1
; COMPUTE_PGM_RSRC2:TGID_Y_EN: 0
; COMPUTE_PGM_RSRC2:TGID_Z_EN: 0
; COMPUTE_PGM_RSRC2:TIDIG_COMP_CNT: 0
; COMPUTE_PGM_RSRC3_GFX90A:ACCUM_OFFSET: 0
; COMPUTE_PGM_RSRC3_GFX90A:TG_SPLIT: 0
	.section	.text._ZN7rocprim17ROCPRIM_400000_NS6detail17trampoline_kernelINS0_14default_configENS1_27scan_by_key_config_selectorIssEEZZNS1_16scan_by_key_implILNS1_25lookback_scan_determinismE0ELb1ES3_N6thrust23THRUST_200600_302600_NS6detail15normal_iteratorINS9_10device_ptrIsEEEESE_SE_sNS9_4plusIsEE19head_flag_predicatesEE10hipError_tPvRmT2_T3_T4_T5_mT6_T7_P12ihipStream_tbENKUlT_T0_E_clISt17integral_constantIbLb1EESY_EEDaST_SU_EUlST_E_NS1_11comp_targetILNS1_3genE10ELNS1_11target_archE1200ELNS1_3gpuE4ELNS1_3repE0EEENS1_30default_config_static_selectorELNS0_4arch9wavefront6targetE1EEEvT1_,"axG",@progbits,_ZN7rocprim17ROCPRIM_400000_NS6detail17trampoline_kernelINS0_14default_configENS1_27scan_by_key_config_selectorIssEEZZNS1_16scan_by_key_implILNS1_25lookback_scan_determinismE0ELb1ES3_N6thrust23THRUST_200600_302600_NS6detail15normal_iteratorINS9_10device_ptrIsEEEESE_SE_sNS9_4plusIsEE19head_flag_predicatesEE10hipError_tPvRmT2_T3_T4_T5_mT6_T7_P12ihipStream_tbENKUlT_T0_E_clISt17integral_constantIbLb1EESY_EEDaST_SU_EUlST_E_NS1_11comp_targetILNS1_3genE10ELNS1_11target_archE1200ELNS1_3gpuE4ELNS1_3repE0EEENS1_30default_config_static_selectorELNS0_4arch9wavefront6targetE1EEEvT1_,comdat
	.protected	_ZN7rocprim17ROCPRIM_400000_NS6detail17trampoline_kernelINS0_14default_configENS1_27scan_by_key_config_selectorIssEEZZNS1_16scan_by_key_implILNS1_25lookback_scan_determinismE0ELb1ES3_N6thrust23THRUST_200600_302600_NS6detail15normal_iteratorINS9_10device_ptrIsEEEESE_SE_sNS9_4plusIsEE19head_flag_predicatesEE10hipError_tPvRmT2_T3_T4_T5_mT6_T7_P12ihipStream_tbENKUlT_T0_E_clISt17integral_constantIbLb1EESY_EEDaST_SU_EUlST_E_NS1_11comp_targetILNS1_3genE10ELNS1_11target_archE1200ELNS1_3gpuE4ELNS1_3repE0EEENS1_30default_config_static_selectorELNS0_4arch9wavefront6targetE1EEEvT1_ ; -- Begin function _ZN7rocprim17ROCPRIM_400000_NS6detail17trampoline_kernelINS0_14default_configENS1_27scan_by_key_config_selectorIssEEZZNS1_16scan_by_key_implILNS1_25lookback_scan_determinismE0ELb1ES3_N6thrust23THRUST_200600_302600_NS6detail15normal_iteratorINS9_10device_ptrIsEEEESE_SE_sNS9_4plusIsEE19head_flag_predicatesEE10hipError_tPvRmT2_T3_T4_T5_mT6_T7_P12ihipStream_tbENKUlT_T0_E_clISt17integral_constantIbLb1EESY_EEDaST_SU_EUlST_E_NS1_11comp_targetILNS1_3genE10ELNS1_11target_archE1200ELNS1_3gpuE4ELNS1_3repE0EEENS1_30default_config_static_selectorELNS0_4arch9wavefront6targetE1EEEvT1_
	.globl	_ZN7rocprim17ROCPRIM_400000_NS6detail17trampoline_kernelINS0_14default_configENS1_27scan_by_key_config_selectorIssEEZZNS1_16scan_by_key_implILNS1_25lookback_scan_determinismE0ELb1ES3_N6thrust23THRUST_200600_302600_NS6detail15normal_iteratorINS9_10device_ptrIsEEEESE_SE_sNS9_4plusIsEE19head_flag_predicatesEE10hipError_tPvRmT2_T3_T4_T5_mT6_T7_P12ihipStream_tbENKUlT_T0_E_clISt17integral_constantIbLb1EESY_EEDaST_SU_EUlST_E_NS1_11comp_targetILNS1_3genE10ELNS1_11target_archE1200ELNS1_3gpuE4ELNS1_3repE0EEENS1_30default_config_static_selectorELNS0_4arch9wavefront6targetE1EEEvT1_
	.p2align	8
	.type	_ZN7rocprim17ROCPRIM_400000_NS6detail17trampoline_kernelINS0_14default_configENS1_27scan_by_key_config_selectorIssEEZZNS1_16scan_by_key_implILNS1_25lookback_scan_determinismE0ELb1ES3_N6thrust23THRUST_200600_302600_NS6detail15normal_iteratorINS9_10device_ptrIsEEEESE_SE_sNS9_4plusIsEE19head_flag_predicatesEE10hipError_tPvRmT2_T3_T4_T5_mT6_T7_P12ihipStream_tbENKUlT_T0_E_clISt17integral_constantIbLb1EESY_EEDaST_SU_EUlST_E_NS1_11comp_targetILNS1_3genE10ELNS1_11target_archE1200ELNS1_3gpuE4ELNS1_3repE0EEENS1_30default_config_static_selectorELNS0_4arch9wavefront6targetE1EEEvT1_,@function
_ZN7rocprim17ROCPRIM_400000_NS6detail17trampoline_kernelINS0_14default_configENS1_27scan_by_key_config_selectorIssEEZZNS1_16scan_by_key_implILNS1_25lookback_scan_determinismE0ELb1ES3_N6thrust23THRUST_200600_302600_NS6detail15normal_iteratorINS9_10device_ptrIsEEEESE_SE_sNS9_4plusIsEE19head_flag_predicatesEE10hipError_tPvRmT2_T3_T4_T5_mT6_T7_P12ihipStream_tbENKUlT_T0_E_clISt17integral_constantIbLb1EESY_EEDaST_SU_EUlST_E_NS1_11comp_targetILNS1_3genE10ELNS1_11target_archE1200ELNS1_3gpuE4ELNS1_3repE0EEENS1_30default_config_static_selectorELNS0_4arch9wavefront6targetE1EEEvT1_: ; @_ZN7rocprim17ROCPRIM_400000_NS6detail17trampoline_kernelINS0_14default_configENS1_27scan_by_key_config_selectorIssEEZZNS1_16scan_by_key_implILNS1_25lookback_scan_determinismE0ELb1ES3_N6thrust23THRUST_200600_302600_NS6detail15normal_iteratorINS9_10device_ptrIsEEEESE_SE_sNS9_4plusIsEE19head_flag_predicatesEE10hipError_tPvRmT2_T3_T4_T5_mT6_T7_P12ihipStream_tbENKUlT_T0_E_clISt17integral_constantIbLb1EESY_EEDaST_SU_EUlST_E_NS1_11comp_targetILNS1_3genE10ELNS1_11target_archE1200ELNS1_3gpuE4ELNS1_3repE0EEENS1_30default_config_static_selectorELNS0_4arch9wavefront6targetE1EEEvT1_
; %bb.0:
	.section	.rodata,"a",@progbits
	.p2align	6, 0x0
	.amdhsa_kernel _ZN7rocprim17ROCPRIM_400000_NS6detail17trampoline_kernelINS0_14default_configENS1_27scan_by_key_config_selectorIssEEZZNS1_16scan_by_key_implILNS1_25lookback_scan_determinismE0ELb1ES3_N6thrust23THRUST_200600_302600_NS6detail15normal_iteratorINS9_10device_ptrIsEEEESE_SE_sNS9_4plusIsEE19head_flag_predicatesEE10hipError_tPvRmT2_T3_T4_T5_mT6_T7_P12ihipStream_tbENKUlT_T0_E_clISt17integral_constantIbLb1EESY_EEDaST_SU_EUlST_E_NS1_11comp_targetILNS1_3genE10ELNS1_11target_archE1200ELNS1_3gpuE4ELNS1_3repE0EEENS1_30default_config_static_selectorELNS0_4arch9wavefront6targetE1EEEvT1_
		.amdhsa_group_segment_fixed_size 0
		.amdhsa_private_segment_fixed_size 0
		.amdhsa_kernarg_size 112
		.amdhsa_user_sgpr_count 6
		.amdhsa_user_sgpr_private_segment_buffer 1
		.amdhsa_user_sgpr_dispatch_ptr 0
		.amdhsa_user_sgpr_queue_ptr 0
		.amdhsa_user_sgpr_kernarg_segment_ptr 1
		.amdhsa_user_sgpr_dispatch_id 0
		.amdhsa_user_sgpr_flat_scratch_init 0
		.amdhsa_user_sgpr_kernarg_preload_length 0
		.amdhsa_user_sgpr_kernarg_preload_offset 0
		.amdhsa_user_sgpr_private_segment_size 0
		.amdhsa_uses_dynamic_stack 0
		.amdhsa_system_sgpr_private_segment_wavefront_offset 0
		.amdhsa_system_sgpr_workgroup_id_x 1
		.amdhsa_system_sgpr_workgroup_id_y 0
		.amdhsa_system_sgpr_workgroup_id_z 0
		.amdhsa_system_sgpr_workgroup_info 0
		.amdhsa_system_vgpr_workitem_id 0
		.amdhsa_next_free_vgpr 1
		.amdhsa_next_free_sgpr 0
		.amdhsa_accum_offset 4
		.amdhsa_reserve_vcc 0
		.amdhsa_reserve_flat_scratch 0
		.amdhsa_float_round_mode_32 0
		.amdhsa_float_round_mode_16_64 0
		.amdhsa_float_denorm_mode_32 3
		.amdhsa_float_denorm_mode_16_64 3
		.amdhsa_dx10_clamp 1
		.amdhsa_ieee_mode 1
		.amdhsa_fp16_overflow 0
		.amdhsa_tg_split 0
		.amdhsa_exception_fp_ieee_invalid_op 0
		.amdhsa_exception_fp_denorm_src 0
		.amdhsa_exception_fp_ieee_div_zero 0
		.amdhsa_exception_fp_ieee_overflow 0
		.amdhsa_exception_fp_ieee_underflow 0
		.amdhsa_exception_fp_ieee_inexact 0
		.amdhsa_exception_int_div_zero 0
	.end_amdhsa_kernel
	.section	.text._ZN7rocprim17ROCPRIM_400000_NS6detail17trampoline_kernelINS0_14default_configENS1_27scan_by_key_config_selectorIssEEZZNS1_16scan_by_key_implILNS1_25lookback_scan_determinismE0ELb1ES3_N6thrust23THRUST_200600_302600_NS6detail15normal_iteratorINS9_10device_ptrIsEEEESE_SE_sNS9_4plusIsEE19head_flag_predicatesEE10hipError_tPvRmT2_T3_T4_T5_mT6_T7_P12ihipStream_tbENKUlT_T0_E_clISt17integral_constantIbLb1EESY_EEDaST_SU_EUlST_E_NS1_11comp_targetILNS1_3genE10ELNS1_11target_archE1200ELNS1_3gpuE4ELNS1_3repE0EEENS1_30default_config_static_selectorELNS0_4arch9wavefront6targetE1EEEvT1_,"axG",@progbits,_ZN7rocprim17ROCPRIM_400000_NS6detail17trampoline_kernelINS0_14default_configENS1_27scan_by_key_config_selectorIssEEZZNS1_16scan_by_key_implILNS1_25lookback_scan_determinismE0ELb1ES3_N6thrust23THRUST_200600_302600_NS6detail15normal_iteratorINS9_10device_ptrIsEEEESE_SE_sNS9_4plusIsEE19head_flag_predicatesEE10hipError_tPvRmT2_T3_T4_T5_mT6_T7_P12ihipStream_tbENKUlT_T0_E_clISt17integral_constantIbLb1EESY_EEDaST_SU_EUlST_E_NS1_11comp_targetILNS1_3genE10ELNS1_11target_archE1200ELNS1_3gpuE4ELNS1_3repE0EEENS1_30default_config_static_selectorELNS0_4arch9wavefront6targetE1EEEvT1_,comdat
.Lfunc_end872:
	.size	_ZN7rocprim17ROCPRIM_400000_NS6detail17trampoline_kernelINS0_14default_configENS1_27scan_by_key_config_selectorIssEEZZNS1_16scan_by_key_implILNS1_25lookback_scan_determinismE0ELb1ES3_N6thrust23THRUST_200600_302600_NS6detail15normal_iteratorINS9_10device_ptrIsEEEESE_SE_sNS9_4plusIsEE19head_flag_predicatesEE10hipError_tPvRmT2_T3_T4_T5_mT6_T7_P12ihipStream_tbENKUlT_T0_E_clISt17integral_constantIbLb1EESY_EEDaST_SU_EUlST_E_NS1_11comp_targetILNS1_3genE10ELNS1_11target_archE1200ELNS1_3gpuE4ELNS1_3repE0EEENS1_30default_config_static_selectorELNS0_4arch9wavefront6targetE1EEEvT1_, .Lfunc_end872-_ZN7rocprim17ROCPRIM_400000_NS6detail17trampoline_kernelINS0_14default_configENS1_27scan_by_key_config_selectorIssEEZZNS1_16scan_by_key_implILNS1_25lookback_scan_determinismE0ELb1ES3_N6thrust23THRUST_200600_302600_NS6detail15normal_iteratorINS9_10device_ptrIsEEEESE_SE_sNS9_4plusIsEE19head_flag_predicatesEE10hipError_tPvRmT2_T3_T4_T5_mT6_T7_P12ihipStream_tbENKUlT_T0_E_clISt17integral_constantIbLb1EESY_EEDaST_SU_EUlST_E_NS1_11comp_targetILNS1_3genE10ELNS1_11target_archE1200ELNS1_3gpuE4ELNS1_3repE0EEENS1_30default_config_static_selectorELNS0_4arch9wavefront6targetE1EEEvT1_
                                        ; -- End function
	.section	.AMDGPU.csdata,"",@progbits
; Kernel info:
; codeLenInByte = 0
; NumSgprs: 4
; NumVgprs: 0
; NumAgprs: 0
; TotalNumVgprs: 0
; ScratchSize: 0
; MemoryBound: 0
; FloatMode: 240
; IeeeMode: 1
; LDSByteSize: 0 bytes/workgroup (compile time only)
; SGPRBlocks: 0
; VGPRBlocks: 0
; NumSGPRsForWavesPerEU: 4
; NumVGPRsForWavesPerEU: 1
; AccumOffset: 4
; Occupancy: 8
; WaveLimiterHint : 0
; COMPUTE_PGM_RSRC2:SCRATCH_EN: 0
; COMPUTE_PGM_RSRC2:USER_SGPR: 6
; COMPUTE_PGM_RSRC2:TRAP_HANDLER: 0
; COMPUTE_PGM_RSRC2:TGID_X_EN: 1
; COMPUTE_PGM_RSRC2:TGID_Y_EN: 0
; COMPUTE_PGM_RSRC2:TGID_Z_EN: 0
; COMPUTE_PGM_RSRC2:TIDIG_COMP_CNT: 0
; COMPUTE_PGM_RSRC3_GFX90A:ACCUM_OFFSET: 0
; COMPUTE_PGM_RSRC3_GFX90A:TG_SPLIT: 0
	.section	.text._ZN7rocprim17ROCPRIM_400000_NS6detail17trampoline_kernelINS0_14default_configENS1_27scan_by_key_config_selectorIssEEZZNS1_16scan_by_key_implILNS1_25lookback_scan_determinismE0ELb1ES3_N6thrust23THRUST_200600_302600_NS6detail15normal_iteratorINS9_10device_ptrIsEEEESE_SE_sNS9_4plusIsEE19head_flag_predicatesEE10hipError_tPvRmT2_T3_T4_T5_mT6_T7_P12ihipStream_tbENKUlT_T0_E_clISt17integral_constantIbLb1EESY_EEDaST_SU_EUlST_E_NS1_11comp_targetILNS1_3genE9ELNS1_11target_archE1100ELNS1_3gpuE3ELNS1_3repE0EEENS1_30default_config_static_selectorELNS0_4arch9wavefront6targetE1EEEvT1_,"axG",@progbits,_ZN7rocprim17ROCPRIM_400000_NS6detail17trampoline_kernelINS0_14default_configENS1_27scan_by_key_config_selectorIssEEZZNS1_16scan_by_key_implILNS1_25lookback_scan_determinismE0ELb1ES3_N6thrust23THRUST_200600_302600_NS6detail15normal_iteratorINS9_10device_ptrIsEEEESE_SE_sNS9_4plusIsEE19head_flag_predicatesEE10hipError_tPvRmT2_T3_T4_T5_mT6_T7_P12ihipStream_tbENKUlT_T0_E_clISt17integral_constantIbLb1EESY_EEDaST_SU_EUlST_E_NS1_11comp_targetILNS1_3genE9ELNS1_11target_archE1100ELNS1_3gpuE3ELNS1_3repE0EEENS1_30default_config_static_selectorELNS0_4arch9wavefront6targetE1EEEvT1_,comdat
	.protected	_ZN7rocprim17ROCPRIM_400000_NS6detail17trampoline_kernelINS0_14default_configENS1_27scan_by_key_config_selectorIssEEZZNS1_16scan_by_key_implILNS1_25lookback_scan_determinismE0ELb1ES3_N6thrust23THRUST_200600_302600_NS6detail15normal_iteratorINS9_10device_ptrIsEEEESE_SE_sNS9_4plusIsEE19head_flag_predicatesEE10hipError_tPvRmT2_T3_T4_T5_mT6_T7_P12ihipStream_tbENKUlT_T0_E_clISt17integral_constantIbLb1EESY_EEDaST_SU_EUlST_E_NS1_11comp_targetILNS1_3genE9ELNS1_11target_archE1100ELNS1_3gpuE3ELNS1_3repE0EEENS1_30default_config_static_selectorELNS0_4arch9wavefront6targetE1EEEvT1_ ; -- Begin function _ZN7rocprim17ROCPRIM_400000_NS6detail17trampoline_kernelINS0_14default_configENS1_27scan_by_key_config_selectorIssEEZZNS1_16scan_by_key_implILNS1_25lookback_scan_determinismE0ELb1ES3_N6thrust23THRUST_200600_302600_NS6detail15normal_iteratorINS9_10device_ptrIsEEEESE_SE_sNS9_4plusIsEE19head_flag_predicatesEE10hipError_tPvRmT2_T3_T4_T5_mT6_T7_P12ihipStream_tbENKUlT_T0_E_clISt17integral_constantIbLb1EESY_EEDaST_SU_EUlST_E_NS1_11comp_targetILNS1_3genE9ELNS1_11target_archE1100ELNS1_3gpuE3ELNS1_3repE0EEENS1_30default_config_static_selectorELNS0_4arch9wavefront6targetE1EEEvT1_
	.globl	_ZN7rocprim17ROCPRIM_400000_NS6detail17trampoline_kernelINS0_14default_configENS1_27scan_by_key_config_selectorIssEEZZNS1_16scan_by_key_implILNS1_25lookback_scan_determinismE0ELb1ES3_N6thrust23THRUST_200600_302600_NS6detail15normal_iteratorINS9_10device_ptrIsEEEESE_SE_sNS9_4plusIsEE19head_flag_predicatesEE10hipError_tPvRmT2_T3_T4_T5_mT6_T7_P12ihipStream_tbENKUlT_T0_E_clISt17integral_constantIbLb1EESY_EEDaST_SU_EUlST_E_NS1_11comp_targetILNS1_3genE9ELNS1_11target_archE1100ELNS1_3gpuE3ELNS1_3repE0EEENS1_30default_config_static_selectorELNS0_4arch9wavefront6targetE1EEEvT1_
	.p2align	8
	.type	_ZN7rocprim17ROCPRIM_400000_NS6detail17trampoline_kernelINS0_14default_configENS1_27scan_by_key_config_selectorIssEEZZNS1_16scan_by_key_implILNS1_25lookback_scan_determinismE0ELb1ES3_N6thrust23THRUST_200600_302600_NS6detail15normal_iteratorINS9_10device_ptrIsEEEESE_SE_sNS9_4plusIsEE19head_flag_predicatesEE10hipError_tPvRmT2_T3_T4_T5_mT6_T7_P12ihipStream_tbENKUlT_T0_E_clISt17integral_constantIbLb1EESY_EEDaST_SU_EUlST_E_NS1_11comp_targetILNS1_3genE9ELNS1_11target_archE1100ELNS1_3gpuE3ELNS1_3repE0EEENS1_30default_config_static_selectorELNS0_4arch9wavefront6targetE1EEEvT1_,@function
_ZN7rocprim17ROCPRIM_400000_NS6detail17trampoline_kernelINS0_14default_configENS1_27scan_by_key_config_selectorIssEEZZNS1_16scan_by_key_implILNS1_25lookback_scan_determinismE0ELb1ES3_N6thrust23THRUST_200600_302600_NS6detail15normal_iteratorINS9_10device_ptrIsEEEESE_SE_sNS9_4plusIsEE19head_flag_predicatesEE10hipError_tPvRmT2_T3_T4_T5_mT6_T7_P12ihipStream_tbENKUlT_T0_E_clISt17integral_constantIbLb1EESY_EEDaST_SU_EUlST_E_NS1_11comp_targetILNS1_3genE9ELNS1_11target_archE1100ELNS1_3gpuE3ELNS1_3repE0EEENS1_30default_config_static_selectorELNS0_4arch9wavefront6targetE1EEEvT1_: ; @_ZN7rocprim17ROCPRIM_400000_NS6detail17trampoline_kernelINS0_14default_configENS1_27scan_by_key_config_selectorIssEEZZNS1_16scan_by_key_implILNS1_25lookback_scan_determinismE0ELb1ES3_N6thrust23THRUST_200600_302600_NS6detail15normal_iteratorINS9_10device_ptrIsEEEESE_SE_sNS9_4plusIsEE19head_flag_predicatesEE10hipError_tPvRmT2_T3_T4_T5_mT6_T7_P12ihipStream_tbENKUlT_T0_E_clISt17integral_constantIbLb1EESY_EEDaST_SU_EUlST_E_NS1_11comp_targetILNS1_3genE9ELNS1_11target_archE1100ELNS1_3gpuE3ELNS1_3repE0EEENS1_30default_config_static_selectorELNS0_4arch9wavefront6targetE1EEEvT1_
; %bb.0:
	.section	.rodata,"a",@progbits
	.p2align	6, 0x0
	.amdhsa_kernel _ZN7rocprim17ROCPRIM_400000_NS6detail17trampoline_kernelINS0_14default_configENS1_27scan_by_key_config_selectorIssEEZZNS1_16scan_by_key_implILNS1_25lookback_scan_determinismE0ELb1ES3_N6thrust23THRUST_200600_302600_NS6detail15normal_iteratorINS9_10device_ptrIsEEEESE_SE_sNS9_4plusIsEE19head_flag_predicatesEE10hipError_tPvRmT2_T3_T4_T5_mT6_T7_P12ihipStream_tbENKUlT_T0_E_clISt17integral_constantIbLb1EESY_EEDaST_SU_EUlST_E_NS1_11comp_targetILNS1_3genE9ELNS1_11target_archE1100ELNS1_3gpuE3ELNS1_3repE0EEENS1_30default_config_static_selectorELNS0_4arch9wavefront6targetE1EEEvT1_
		.amdhsa_group_segment_fixed_size 0
		.amdhsa_private_segment_fixed_size 0
		.amdhsa_kernarg_size 112
		.amdhsa_user_sgpr_count 6
		.amdhsa_user_sgpr_private_segment_buffer 1
		.amdhsa_user_sgpr_dispatch_ptr 0
		.amdhsa_user_sgpr_queue_ptr 0
		.amdhsa_user_sgpr_kernarg_segment_ptr 1
		.amdhsa_user_sgpr_dispatch_id 0
		.amdhsa_user_sgpr_flat_scratch_init 0
		.amdhsa_user_sgpr_kernarg_preload_length 0
		.amdhsa_user_sgpr_kernarg_preload_offset 0
		.amdhsa_user_sgpr_private_segment_size 0
		.amdhsa_uses_dynamic_stack 0
		.amdhsa_system_sgpr_private_segment_wavefront_offset 0
		.amdhsa_system_sgpr_workgroup_id_x 1
		.amdhsa_system_sgpr_workgroup_id_y 0
		.amdhsa_system_sgpr_workgroup_id_z 0
		.amdhsa_system_sgpr_workgroup_info 0
		.amdhsa_system_vgpr_workitem_id 0
		.amdhsa_next_free_vgpr 1
		.amdhsa_next_free_sgpr 0
		.amdhsa_accum_offset 4
		.amdhsa_reserve_vcc 0
		.amdhsa_reserve_flat_scratch 0
		.amdhsa_float_round_mode_32 0
		.amdhsa_float_round_mode_16_64 0
		.amdhsa_float_denorm_mode_32 3
		.amdhsa_float_denorm_mode_16_64 3
		.amdhsa_dx10_clamp 1
		.amdhsa_ieee_mode 1
		.amdhsa_fp16_overflow 0
		.amdhsa_tg_split 0
		.amdhsa_exception_fp_ieee_invalid_op 0
		.amdhsa_exception_fp_denorm_src 0
		.amdhsa_exception_fp_ieee_div_zero 0
		.amdhsa_exception_fp_ieee_overflow 0
		.amdhsa_exception_fp_ieee_underflow 0
		.amdhsa_exception_fp_ieee_inexact 0
		.amdhsa_exception_int_div_zero 0
	.end_amdhsa_kernel
	.section	.text._ZN7rocprim17ROCPRIM_400000_NS6detail17trampoline_kernelINS0_14default_configENS1_27scan_by_key_config_selectorIssEEZZNS1_16scan_by_key_implILNS1_25lookback_scan_determinismE0ELb1ES3_N6thrust23THRUST_200600_302600_NS6detail15normal_iteratorINS9_10device_ptrIsEEEESE_SE_sNS9_4plusIsEE19head_flag_predicatesEE10hipError_tPvRmT2_T3_T4_T5_mT6_T7_P12ihipStream_tbENKUlT_T0_E_clISt17integral_constantIbLb1EESY_EEDaST_SU_EUlST_E_NS1_11comp_targetILNS1_3genE9ELNS1_11target_archE1100ELNS1_3gpuE3ELNS1_3repE0EEENS1_30default_config_static_selectorELNS0_4arch9wavefront6targetE1EEEvT1_,"axG",@progbits,_ZN7rocprim17ROCPRIM_400000_NS6detail17trampoline_kernelINS0_14default_configENS1_27scan_by_key_config_selectorIssEEZZNS1_16scan_by_key_implILNS1_25lookback_scan_determinismE0ELb1ES3_N6thrust23THRUST_200600_302600_NS6detail15normal_iteratorINS9_10device_ptrIsEEEESE_SE_sNS9_4plusIsEE19head_flag_predicatesEE10hipError_tPvRmT2_T3_T4_T5_mT6_T7_P12ihipStream_tbENKUlT_T0_E_clISt17integral_constantIbLb1EESY_EEDaST_SU_EUlST_E_NS1_11comp_targetILNS1_3genE9ELNS1_11target_archE1100ELNS1_3gpuE3ELNS1_3repE0EEENS1_30default_config_static_selectorELNS0_4arch9wavefront6targetE1EEEvT1_,comdat
.Lfunc_end873:
	.size	_ZN7rocprim17ROCPRIM_400000_NS6detail17trampoline_kernelINS0_14default_configENS1_27scan_by_key_config_selectorIssEEZZNS1_16scan_by_key_implILNS1_25lookback_scan_determinismE0ELb1ES3_N6thrust23THRUST_200600_302600_NS6detail15normal_iteratorINS9_10device_ptrIsEEEESE_SE_sNS9_4plusIsEE19head_flag_predicatesEE10hipError_tPvRmT2_T3_T4_T5_mT6_T7_P12ihipStream_tbENKUlT_T0_E_clISt17integral_constantIbLb1EESY_EEDaST_SU_EUlST_E_NS1_11comp_targetILNS1_3genE9ELNS1_11target_archE1100ELNS1_3gpuE3ELNS1_3repE0EEENS1_30default_config_static_selectorELNS0_4arch9wavefront6targetE1EEEvT1_, .Lfunc_end873-_ZN7rocprim17ROCPRIM_400000_NS6detail17trampoline_kernelINS0_14default_configENS1_27scan_by_key_config_selectorIssEEZZNS1_16scan_by_key_implILNS1_25lookback_scan_determinismE0ELb1ES3_N6thrust23THRUST_200600_302600_NS6detail15normal_iteratorINS9_10device_ptrIsEEEESE_SE_sNS9_4plusIsEE19head_flag_predicatesEE10hipError_tPvRmT2_T3_T4_T5_mT6_T7_P12ihipStream_tbENKUlT_T0_E_clISt17integral_constantIbLb1EESY_EEDaST_SU_EUlST_E_NS1_11comp_targetILNS1_3genE9ELNS1_11target_archE1100ELNS1_3gpuE3ELNS1_3repE0EEENS1_30default_config_static_selectorELNS0_4arch9wavefront6targetE1EEEvT1_
                                        ; -- End function
	.section	.AMDGPU.csdata,"",@progbits
; Kernel info:
; codeLenInByte = 0
; NumSgprs: 4
; NumVgprs: 0
; NumAgprs: 0
; TotalNumVgprs: 0
; ScratchSize: 0
; MemoryBound: 0
; FloatMode: 240
; IeeeMode: 1
; LDSByteSize: 0 bytes/workgroup (compile time only)
; SGPRBlocks: 0
; VGPRBlocks: 0
; NumSGPRsForWavesPerEU: 4
; NumVGPRsForWavesPerEU: 1
; AccumOffset: 4
; Occupancy: 8
; WaveLimiterHint : 0
; COMPUTE_PGM_RSRC2:SCRATCH_EN: 0
; COMPUTE_PGM_RSRC2:USER_SGPR: 6
; COMPUTE_PGM_RSRC2:TRAP_HANDLER: 0
; COMPUTE_PGM_RSRC2:TGID_X_EN: 1
; COMPUTE_PGM_RSRC2:TGID_Y_EN: 0
; COMPUTE_PGM_RSRC2:TGID_Z_EN: 0
; COMPUTE_PGM_RSRC2:TIDIG_COMP_CNT: 0
; COMPUTE_PGM_RSRC3_GFX90A:ACCUM_OFFSET: 0
; COMPUTE_PGM_RSRC3_GFX90A:TG_SPLIT: 0
	.section	.text._ZN7rocprim17ROCPRIM_400000_NS6detail17trampoline_kernelINS0_14default_configENS1_27scan_by_key_config_selectorIssEEZZNS1_16scan_by_key_implILNS1_25lookback_scan_determinismE0ELb1ES3_N6thrust23THRUST_200600_302600_NS6detail15normal_iteratorINS9_10device_ptrIsEEEESE_SE_sNS9_4plusIsEE19head_flag_predicatesEE10hipError_tPvRmT2_T3_T4_T5_mT6_T7_P12ihipStream_tbENKUlT_T0_E_clISt17integral_constantIbLb1EESY_EEDaST_SU_EUlST_E_NS1_11comp_targetILNS1_3genE8ELNS1_11target_archE1030ELNS1_3gpuE2ELNS1_3repE0EEENS1_30default_config_static_selectorELNS0_4arch9wavefront6targetE1EEEvT1_,"axG",@progbits,_ZN7rocprim17ROCPRIM_400000_NS6detail17trampoline_kernelINS0_14default_configENS1_27scan_by_key_config_selectorIssEEZZNS1_16scan_by_key_implILNS1_25lookback_scan_determinismE0ELb1ES3_N6thrust23THRUST_200600_302600_NS6detail15normal_iteratorINS9_10device_ptrIsEEEESE_SE_sNS9_4plusIsEE19head_flag_predicatesEE10hipError_tPvRmT2_T3_T4_T5_mT6_T7_P12ihipStream_tbENKUlT_T0_E_clISt17integral_constantIbLb1EESY_EEDaST_SU_EUlST_E_NS1_11comp_targetILNS1_3genE8ELNS1_11target_archE1030ELNS1_3gpuE2ELNS1_3repE0EEENS1_30default_config_static_selectorELNS0_4arch9wavefront6targetE1EEEvT1_,comdat
	.protected	_ZN7rocprim17ROCPRIM_400000_NS6detail17trampoline_kernelINS0_14default_configENS1_27scan_by_key_config_selectorIssEEZZNS1_16scan_by_key_implILNS1_25lookback_scan_determinismE0ELb1ES3_N6thrust23THRUST_200600_302600_NS6detail15normal_iteratorINS9_10device_ptrIsEEEESE_SE_sNS9_4plusIsEE19head_flag_predicatesEE10hipError_tPvRmT2_T3_T4_T5_mT6_T7_P12ihipStream_tbENKUlT_T0_E_clISt17integral_constantIbLb1EESY_EEDaST_SU_EUlST_E_NS1_11comp_targetILNS1_3genE8ELNS1_11target_archE1030ELNS1_3gpuE2ELNS1_3repE0EEENS1_30default_config_static_selectorELNS0_4arch9wavefront6targetE1EEEvT1_ ; -- Begin function _ZN7rocprim17ROCPRIM_400000_NS6detail17trampoline_kernelINS0_14default_configENS1_27scan_by_key_config_selectorIssEEZZNS1_16scan_by_key_implILNS1_25lookback_scan_determinismE0ELb1ES3_N6thrust23THRUST_200600_302600_NS6detail15normal_iteratorINS9_10device_ptrIsEEEESE_SE_sNS9_4plusIsEE19head_flag_predicatesEE10hipError_tPvRmT2_T3_T4_T5_mT6_T7_P12ihipStream_tbENKUlT_T0_E_clISt17integral_constantIbLb1EESY_EEDaST_SU_EUlST_E_NS1_11comp_targetILNS1_3genE8ELNS1_11target_archE1030ELNS1_3gpuE2ELNS1_3repE0EEENS1_30default_config_static_selectorELNS0_4arch9wavefront6targetE1EEEvT1_
	.globl	_ZN7rocprim17ROCPRIM_400000_NS6detail17trampoline_kernelINS0_14default_configENS1_27scan_by_key_config_selectorIssEEZZNS1_16scan_by_key_implILNS1_25lookback_scan_determinismE0ELb1ES3_N6thrust23THRUST_200600_302600_NS6detail15normal_iteratorINS9_10device_ptrIsEEEESE_SE_sNS9_4plusIsEE19head_flag_predicatesEE10hipError_tPvRmT2_T3_T4_T5_mT6_T7_P12ihipStream_tbENKUlT_T0_E_clISt17integral_constantIbLb1EESY_EEDaST_SU_EUlST_E_NS1_11comp_targetILNS1_3genE8ELNS1_11target_archE1030ELNS1_3gpuE2ELNS1_3repE0EEENS1_30default_config_static_selectorELNS0_4arch9wavefront6targetE1EEEvT1_
	.p2align	8
	.type	_ZN7rocprim17ROCPRIM_400000_NS6detail17trampoline_kernelINS0_14default_configENS1_27scan_by_key_config_selectorIssEEZZNS1_16scan_by_key_implILNS1_25lookback_scan_determinismE0ELb1ES3_N6thrust23THRUST_200600_302600_NS6detail15normal_iteratorINS9_10device_ptrIsEEEESE_SE_sNS9_4plusIsEE19head_flag_predicatesEE10hipError_tPvRmT2_T3_T4_T5_mT6_T7_P12ihipStream_tbENKUlT_T0_E_clISt17integral_constantIbLb1EESY_EEDaST_SU_EUlST_E_NS1_11comp_targetILNS1_3genE8ELNS1_11target_archE1030ELNS1_3gpuE2ELNS1_3repE0EEENS1_30default_config_static_selectorELNS0_4arch9wavefront6targetE1EEEvT1_,@function
_ZN7rocprim17ROCPRIM_400000_NS6detail17trampoline_kernelINS0_14default_configENS1_27scan_by_key_config_selectorIssEEZZNS1_16scan_by_key_implILNS1_25lookback_scan_determinismE0ELb1ES3_N6thrust23THRUST_200600_302600_NS6detail15normal_iteratorINS9_10device_ptrIsEEEESE_SE_sNS9_4plusIsEE19head_flag_predicatesEE10hipError_tPvRmT2_T3_T4_T5_mT6_T7_P12ihipStream_tbENKUlT_T0_E_clISt17integral_constantIbLb1EESY_EEDaST_SU_EUlST_E_NS1_11comp_targetILNS1_3genE8ELNS1_11target_archE1030ELNS1_3gpuE2ELNS1_3repE0EEENS1_30default_config_static_selectorELNS0_4arch9wavefront6targetE1EEEvT1_: ; @_ZN7rocprim17ROCPRIM_400000_NS6detail17trampoline_kernelINS0_14default_configENS1_27scan_by_key_config_selectorIssEEZZNS1_16scan_by_key_implILNS1_25lookback_scan_determinismE0ELb1ES3_N6thrust23THRUST_200600_302600_NS6detail15normal_iteratorINS9_10device_ptrIsEEEESE_SE_sNS9_4plusIsEE19head_flag_predicatesEE10hipError_tPvRmT2_T3_T4_T5_mT6_T7_P12ihipStream_tbENKUlT_T0_E_clISt17integral_constantIbLb1EESY_EEDaST_SU_EUlST_E_NS1_11comp_targetILNS1_3genE8ELNS1_11target_archE1030ELNS1_3gpuE2ELNS1_3repE0EEENS1_30default_config_static_selectorELNS0_4arch9wavefront6targetE1EEEvT1_
; %bb.0:
	.section	.rodata,"a",@progbits
	.p2align	6, 0x0
	.amdhsa_kernel _ZN7rocprim17ROCPRIM_400000_NS6detail17trampoline_kernelINS0_14default_configENS1_27scan_by_key_config_selectorIssEEZZNS1_16scan_by_key_implILNS1_25lookback_scan_determinismE0ELb1ES3_N6thrust23THRUST_200600_302600_NS6detail15normal_iteratorINS9_10device_ptrIsEEEESE_SE_sNS9_4plusIsEE19head_flag_predicatesEE10hipError_tPvRmT2_T3_T4_T5_mT6_T7_P12ihipStream_tbENKUlT_T0_E_clISt17integral_constantIbLb1EESY_EEDaST_SU_EUlST_E_NS1_11comp_targetILNS1_3genE8ELNS1_11target_archE1030ELNS1_3gpuE2ELNS1_3repE0EEENS1_30default_config_static_selectorELNS0_4arch9wavefront6targetE1EEEvT1_
		.amdhsa_group_segment_fixed_size 0
		.amdhsa_private_segment_fixed_size 0
		.amdhsa_kernarg_size 112
		.amdhsa_user_sgpr_count 6
		.amdhsa_user_sgpr_private_segment_buffer 1
		.amdhsa_user_sgpr_dispatch_ptr 0
		.amdhsa_user_sgpr_queue_ptr 0
		.amdhsa_user_sgpr_kernarg_segment_ptr 1
		.amdhsa_user_sgpr_dispatch_id 0
		.amdhsa_user_sgpr_flat_scratch_init 0
		.amdhsa_user_sgpr_kernarg_preload_length 0
		.amdhsa_user_sgpr_kernarg_preload_offset 0
		.amdhsa_user_sgpr_private_segment_size 0
		.amdhsa_uses_dynamic_stack 0
		.amdhsa_system_sgpr_private_segment_wavefront_offset 0
		.amdhsa_system_sgpr_workgroup_id_x 1
		.amdhsa_system_sgpr_workgroup_id_y 0
		.amdhsa_system_sgpr_workgroup_id_z 0
		.amdhsa_system_sgpr_workgroup_info 0
		.amdhsa_system_vgpr_workitem_id 0
		.amdhsa_next_free_vgpr 1
		.amdhsa_next_free_sgpr 0
		.amdhsa_accum_offset 4
		.amdhsa_reserve_vcc 0
		.amdhsa_reserve_flat_scratch 0
		.amdhsa_float_round_mode_32 0
		.amdhsa_float_round_mode_16_64 0
		.amdhsa_float_denorm_mode_32 3
		.amdhsa_float_denorm_mode_16_64 3
		.amdhsa_dx10_clamp 1
		.amdhsa_ieee_mode 1
		.amdhsa_fp16_overflow 0
		.amdhsa_tg_split 0
		.amdhsa_exception_fp_ieee_invalid_op 0
		.amdhsa_exception_fp_denorm_src 0
		.amdhsa_exception_fp_ieee_div_zero 0
		.amdhsa_exception_fp_ieee_overflow 0
		.amdhsa_exception_fp_ieee_underflow 0
		.amdhsa_exception_fp_ieee_inexact 0
		.amdhsa_exception_int_div_zero 0
	.end_amdhsa_kernel
	.section	.text._ZN7rocprim17ROCPRIM_400000_NS6detail17trampoline_kernelINS0_14default_configENS1_27scan_by_key_config_selectorIssEEZZNS1_16scan_by_key_implILNS1_25lookback_scan_determinismE0ELb1ES3_N6thrust23THRUST_200600_302600_NS6detail15normal_iteratorINS9_10device_ptrIsEEEESE_SE_sNS9_4plusIsEE19head_flag_predicatesEE10hipError_tPvRmT2_T3_T4_T5_mT6_T7_P12ihipStream_tbENKUlT_T0_E_clISt17integral_constantIbLb1EESY_EEDaST_SU_EUlST_E_NS1_11comp_targetILNS1_3genE8ELNS1_11target_archE1030ELNS1_3gpuE2ELNS1_3repE0EEENS1_30default_config_static_selectorELNS0_4arch9wavefront6targetE1EEEvT1_,"axG",@progbits,_ZN7rocprim17ROCPRIM_400000_NS6detail17trampoline_kernelINS0_14default_configENS1_27scan_by_key_config_selectorIssEEZZNS1_16scan_by_key_implILNS1_25lookback_scan_determinismE0ELb1ES3_N6thrust23THRUST_200600_302600_NS6detail15normal_iteratorINS9_10device_ptrIsEEEESE_SE_sNS9_4plusIsEE19head_flag_predicatesEE10hipError_tPvRmT2_T3_T4_T5_mT6_T7_P12ihipStream_tbENKUlT_T0_E_clISt17integral_constantIbLb1EESY_EEDaST_SU_EUlST_E_NS1_11comp_targetILNS1_3genE8ELNS1_11target_archE1030ELNS1_3gpuE2ELNS1_3repE0EEENS1_30default_config_static_selectorELNS0_4arch9wavefront6targetE1EEEvT1_,comdat
.Lfunc_end874:
	.size	_ZN7rocprim17ROCPRIM_400000_NS6detail17trampoline_kernelINS0_14default_configENS1_27scan_by_key_config_selectorIssEEZZNS1_16scan_by_key_implILNS1_25lookback_scan_determinismE0ELb1ES3_N6thrust23THRUST_200600_302600_NS6detail15normal_iteratorINS9_10device_ptrIsEEEESE_SE_sNS9_4plusIsEE19head_flag_predicatesEE10hipError_tPvRmT2_T3_T4_T5_mT6_T7_P12ihipStream_tbENKUlT_T0_E_clISt17integral_constantIbLb1EESY_EEDaST_SU_EUlST_E_NS1_11comp_targetILNS1_3genE8ELNS1_11target_archE1030ELNS1_3gpuE2ELNS1_3repE0EEENS1_30default_config_static_selectorELNS0_4arch9wavefront6targetE1EEEvT1_, .Lfunc_end874-_ZN7rocprim17ROCPRIM_400000_NS6detail17trampoline_kernelINS0_14default_configENS1_27scan_by_key_config_selectorIssEEZZNS1_16scan_by_key_implILNS1_25lookback_scan_determinismE0ELb1ES3_N6thrust23THRUST_200600_302600_NS6detail15normal_iteratorINS9_10device_ptrIsEEEESE_SE_sNS9_4plusIsEE19head_flag_predicatesEE10hipError_tPvRmT2_T3_T4_T5_mT6_T7_P12ihipStream_tbENKUlT_T0_E_clISt17integral_constantIbLb1EESY_EEDaST_SU_EUlST_E_NS1_11comp_targetILNS1_3genE8ELNS1_11target_archE1030ELNS1_3gpuE2ELNS1_3repE0EEENS1_30default_config_static_selectorELNS0_4arch9wavefront6targetE1EEEvT1_
                                        ; -- End function
	.section	.AMDGPU.csdata,"",@progbits
; Kernel info:
; codeLenInByte = 0
; NumSgprs: 4
; NumVgprs: 0
; NumAgprs: 0
; TotalNumVgprs: 0
; ScratchSize: 0
; MemoryBound: 0
; FloatMode: 240
; IeeeMode: 1
; LDSByteSize: 0 bytes/workgroup (compile time only)
; SGPRBlocks: 0
; VGPRBlocks: 0
; NumSGPRsForWavesPerEU: 4
; NumVGPRsForWavesPerEU: 1
; AccumOffset: 4
; Occupancy: 8
; WaveLimiterHint : 0
; COMPUTE_PGM_RSRC2:SCRATCH_EN: 0
; COMPUTE_PGM_RSRC2:USER_SGPR: 6
; COMPUTE_PGM_RSRC2:TRAP_HANDLER: 0
; COMPUTE_PGM_RSRC2:TGID_X_EN: 1
; COMPUTE_PGM_RSRC2:TGID_Y_EN: 0
; COMPUTE_PGM_RSRC2:TGID_Z_EN: 0
; COMPUTE_PGM_RSRC2:TIDIG_COMP_CNT: 0
; COMPUTE_PGM_RSRC3_GFX90A:ACCUM_OFFSET: 0
; COMPUTE_PGM_RSRC3_GFX90A:TG_SPLIT: 0
	.section	.text._ZN7rocprim17ROCPRIM_400000_NS6detail17trampoline_kernelINS0_14default_configENS1_27scan_by_key_config_selectorIssEEZZNS1_16scan_by_key_implILNS1_25lookback_scan_determinismE0ELb1ES3_N6thrust23THRUST_200600_302600_NS6detail15normal_iteratorINS9_10device_ptrIsEEEESE_SE_sNS9_4plusIsEE19head_flag_predicatesEE10hipError_tPvRmT2_T3_T4_T5_mT6_T7_P12ihipStream_tbENKUlT_T0_E_clISt17integral_constantIbLb1EESX_IbLb0EEEEDaST_SU_EUlST_E_NS1_11comp_targetILNS1_3genE0ELNS1_11target_archE4294967295ELNS1_3gpuE0ELNS1_3repE0EEENS1_30default_config_static_selectorELNS0_4arch9wavefront6targetE1EEEvT1_,"axG",@progbits,_ZN7rocprim17ROCPRIM_400000_NS6detail17trampoline_kernelINS0_14default_configENS1_27scan_by_key_config_selectorIssEEZZNS1_16scan_by_key_implILNS1_25lookback_scan_determinismE0ELb1ES3_N6thrust23THRUST_200600_302600_NS6detail15normal_iteratorINS9_10device_ptrIsEEEESE_SE_sNS9_4plusIsEE19head_flag_predicatesEE10hipError_tPvRmT2_T3_T4_T5_mT6_T7_P12ihipStream_tbENKUlT_T0_E_clISt17integral_constantIbLb1EESX_IbLb0EEEEDaST_SU_EUlST_E_NS1_11comp_targetILNS1_3genE0ELNS1_11target_archE4294967295ELNS1_3gpuE0ELNS1_3repE0EEENS1_30default_config_static_selectorELNS0_4arch9wavefront6targetE1EEEvT1_,comdat
	.protected	_ZN7rocprim17ROCPRIM_400000_NS6detail17trampoline_kernelINS0_14default_configENS1_27scan_by_key_config_selectorIssEEZZNS1_16scan_by_key_implILNS1_25lookback_scan_determinismE0ELb1ES3_N6thrust23THRUST_200600_302600_NS6detail15normal_iteratorINS9_10device_ptrIsEEEESE_SE_sNS9_4plusIsEE19head_flag_predicatesEE10hipError_tPvRmT2_T3_T4_T5_mT6_T7_P12ihipStream_tbENKUlT_T0_E_clISt17integral_constantIbLb1EESX_IbLb0EEEEDaST_SU_EUlST_E_NS1_11comp_targetILNS1_3genE0ELNS1_11target_archE4294967295ELNS1_3gpuE0ELNS1_3repE0EEENS1_30default_config_static_selectorELNS0_4arch9wavefront6targetE1EEEvT1_ ; -- Begin function _ZN7rocprim17ROCPRIM_400000_NS6detail17trampoline_kernelINS0_14default_configENS1_27scan_by_key_config_selectorIssEEZZNS1_16scan_by_key_implILNS1_25lookback_scan_determinismE0ELb1ES3_N6thrust23THRUST_200600_302600_NS6detail15normal_iteratorINS9_10device_ptrIsEEEESE_SE_sNS9_4plusIsEE19head_flag_predicatesEE10hipError_tPvRmT2_T3_T4_T5_mT6_T7_P12ihipStream_tbENKUlT_T0_E_clISt17integral_constantIbLb1EESX_IbLb0EEEEDaST_SU_EUlST_E_NS1_11comp_targetILNS1_3genE0ELNS1_11target_archE4294967295ELNS1_3gpuE0ELNS1_3repE0EEENS1_30default_config_static_selectorELNS0_4arch9wavefront6targetE1EEEvT1_
	.globl	_ZN7rocprim17ROCPRIM_400000_NS6detail17trampoline_kernelINS0_14default_configENS1_27scan_by_key_config_selectorIssEEZZNS1_16scan_by_key_implILNS1_25lookback_scan_determinismE0ELb1ES3_N6thrust23THRUST_200600_302600_NS6detail15normal_iteratorINS9_10device_ptrIsEEEESE_SE_sNS9_4plusIsEE19head_flag_predicatesEE10hipError_tPvRmT2_T3_T4_T5_mT6_T7_P12ihipStream_tbENKUlT_T0_E_clISt17integral_constantIbLb1EESX_IbLb0EEEEDaST_SU_EUlST_E_NS1_11comp_targetILNS1_3genE0ELNS1_11target_archE4294967295ELNS1_3gpuE0ELNS1_3repE0EEENS1_30default_config_static_selectorELNS0_4arch9wavefront6targetE1EEEvT1_
	.p2align	8
	.type	_ZN7rocprim17ROCPRIM_400000_NS6detail17trampoline_kernelINS0_14default_configENS1_27scan_by_key_config_selectorIssEEZZNS1_16scan_by_key_implILNS1_25lookback_scan_determinismE0ELb1ES3_N6thrust23THRUST_200600_302600_NS6detail15normal_iteratorINS9_10device_ptrIsEEEESE_SE_sNS9_4plusIsEE19head_flag_predicatesEE10hipError_tPvRmT2_T3_T4_T5_mT6_T7_P12ihipStream_tbENKUlT_T0_E_clISt17integral_constantIbLb1EESX_IbLb0EEEEDaST_SU_EUlST_E_NS1_11comp_targetILNS1_3genE0ELNS1_11target_archE4294967295ELNS1_3gpuE0ELNS1_3repE0EEENS1_30default_config_static_selectorELNS0_4arch9wavefront6targetE1EEEvT1_,@function
_ZN7rocprim17ROCPRIM_400000_NS6detail17trampoline_kernelINS0_14default_configENS1_27scan_by_key_config_selectorIssEEZZNS1_16scan_by_key_implILNS1_25lookback_scan_determinismE0ELb1ES3_N6thrust23THRUST_200600_302600_NS6detail15normal_iteratorINS9_10device_ptrIsEEEESE_SE_sNS9_4plusIsEE19head_flag_predicatesEE10hipError_tPvRmT2_T3_T4_T5_mT6_T7_P12ihipStream_tbENKUlT_T0_E_clISt17integral_constantIbLb1EESX_IbLb0EEEEDaST_SU_EUlST_E_NS1_11comp_targetILNS1_3genE0ELNS1_11target_archE4294967295ELNS1_3gpuE0ELNS1_3repE0EEENS1_30default_config_static_selectorELNS0_4arch9wavefront6targetE1EEEvT1_: ; @_ZN7rocprim17ROCPRIM_400000_NS6detail17trampoline_kernelINS0_14default_configENS1_27scan_by_key_config_selectorIssEEZZNS1_16scan_by_key_implILNS1_25lookback_scan_determinismE0ELb1ES3_N6thrust23THRUST_200600_302600_NS6detail15normal_iteratorINS9_10device_ptrIsEEEESE_SE_sNS9_4plusIsEE19head_flag_predicatesEE10hipError_tPvRmT2_T3_T4_T5_mT6_T7_P12ihipStream_tbENKUlT_T0_E_clISt17integral_constantIbLb1EESX_IbLb0EEEEDaST_SU_EUlST_E_NS1_11comp_targetILNS1_3genE0ELNS1_11target_archE4294967295ELNS1_3gpuE0ELNS1_3repE0EEENS1_30default_config_static_selectorELNS0_4arch9wavefront6targetE1EEEvT1_
; %bb.0:
	.section	.rodata,"a",@progbits
	.p2align	6, 0x0
	.amdhsa_kernel _ZN7rocprim17ROCPRIM_400000_NS6detail17trampoline_kernelINS0_14default_configENS1_27scan_by_key_config_selectorIssEEZZNS1_16scan_by_key_implILNS1_25lookback_scan_determinismE0ELb1ES3_N6thrust23THRUST_200600_302600_NS6detail15normal_iteratorINS9_10device_ptrIsEEEESE_SE_sNS9_4plusIsEE19head_flag_predicatesEE10hipError_tPvRmT2_T3_T4_T5_mT6_T7_P12ihipStream_tbENKUlT_T0_E_clISt17integral_constantIbLb1EESX_IbLb0EEEEDaST_SU_EUlST_E_NS1_11comp_targetILNS1_3genE0ELNS1_11target_archE4294967295ELNS1_3gpuE0ELNS1_3repE0EEENS1_30default_config_static_selectorELNS0_4arch9wavefront6targetE1EEEvT1_
		.amdhsa_group_segment_fixed_size 0
		.amdhsa_private_segment_fixed_size 0
		.amdhsa_kernarg_size 112
		.amdhsa_user_sgpr_count 6
		.amdhsa_user_sgpr_private_segment_buffer 1
		.amdhsa_user_sgpr_dispatch_ptr 0
		.amdhsa_user_sgpr_queue_ptr 0
		.amdhsa_user_sgpr_kernarg_segment_ptr 1
		.amdhsa_user_sgpr_dispatch_id 0
		.amdhsa_user_sgpr_flat_scratch_init 0
		.amdhsa_user_sgpr_kernarg_preload_length 0
		.amdhsa_user_sgpr_kernarg_preload_offset 0
		.amdhsa_user_sgpr_private_segment_size 0
		.amdhsa_uses_dynamic_stack 0
		.amdhsa_system_sgpr_private_segment_wavefront_offset 0
		.amdhsa_system_sgpr_workgroup_id_x 1
		.amdhsa_system_sgpr_workgroup_id_y 0
		.amdhsa_system_sgpr_workgroup_id_z 0
		.amdhsa_system_sgpr_workgroup_info 0
		.amdhsa_system_vgpr_workitem_id 0
		.amdhsa_next_free_vgpr 1
		.amdhsa_next_free_sgpr 0
		.amdhsa_accum_offset 4
		.amdhsa_reserve_vcc 0
		.amdhsa_reserve_flat_scratch 0
		.amdhsa_float_round_mode_32 0
		.amdhsa_float_round_mode_16_64 0
		.amdhsa_float_denorm_mode_32 3
		.amdhsa_float_denorm_mode_16_64 3
		.amdhsa_dx10_clamp 1
		.amdhsa_ieee_mode 1
		.amdhsa_fp16_overflow 0
		.amdhsa_tg_split 0
		.amdhsa_exception_fp_ieee_invalid_op 0
		.amdhsa_exception_fp_denorm_src 0
		.amdhsa_exception_fp_ieee_div_zero 0
		.amdhsa_exception_fp_ieee_overflow 0
		.amdhsa_exception_fp_ieee_underflow 0
		.amdhsa_exception_fp_ieee_inexact 0
		.amdhsa_exception_int_div_zero 0
	.end_amdhsa_kernel
	.section	.text._ZN7rocprim17ROCPRIM_400000_NS6detail17trampoline_kernelINS0_14default_configENS1_27scan_by_key_config_selectorIssEEZZNS1_16scan_by_key_implILNS1_25lookback_scan_determinismE0ELb1ES3_N6thrust23THRUST_200600_302600_NS6detail15normal_iteratorINS9_10device_ptrIsEEEESE_SE_sNS9_4plusIsEE19head_flag_predicatesEE10hipError_tPvRmT2_T3_T4_T5_mT6_T7_P12ihipStream_tbENKUlT_T0_E_clISt17integral_constantIbLb1EESX_IbLb0EEEEDaST_SU_EUlST_E_NS1_11comp_targetILNS1_3genE0ELNS1_11target_archE4294967295ELNS1_3gpuE0ELNS1_3repE0EEENS1_30default_config_static_selectorELNS0_4arch9wavefront6targetE1EEEvT1_,"axG",@progbits,_ZN7rocprim17ROCPRIM_400000_NS6detail17trampoline_kernelINS0_14default_configENS1_27scan_by_key_config_selectorIssEEZZNS1_16scan_by_key_implILNS1_25lookback_scan_determinismE0ELb1ES3_N6thrust23THRUST_200600_302600_NS6detail15normal_iteratorINS9_10device_ptrIsEEEESE_SE_sNS9_4plusIsEE19head_flag_predicatesEE10hipError_tPvRmT2_T3_T4_T5_mT6_T7_P12ihipStream_tbENKUlT_T0_E_clISt17integral_constantIbLb1EESX_IbLb0EEEEDaST_SU_EUlST_E_NS1_11comp_targetILNS1_3genE0ELNS1_11target_archE4294967295ELNS1_3gpuE0ELNS1_3repE0EEENS1_30default_config_static_selectorELNS0_4arch9wavefront6targetE1EEEvT1_,comdat
.Lfunc_end875:
	.size	_ZN7rocprim17ROCPRIM_400000_NS6detail17trampoline_kernelINS0_14default_configENS1_27scan_by_key_config_selectorIssEEZZNS1_16scan_by_key_implILNS1_25lookback_scan_determinismE0ELb1ES3_N6thrust23THRUST_200600_302600_NS6detail15normal_iteratorINS9_10device_ptrIsEEEESE_SE_sNS9_4plusIsEE19head_flag_predicatesEE10hipError_tPvRmT2_T3_T4_T5_mT6_T7_P12ihipStream_tbENKUlT_T0_E_clISt17integral_constantIbLb1EESX_IbLb0EEEEDaST_SU_EUlST_E_NS1_11comp_targetILNS1_3genE0ELNS1_11target_archE4294967295ELNS1_3gpuE0ELNS1_3repE0EEENS1_30default_config_static_selectorELNS0_4arch9wavefront6targetE1EEEvT1_, .Lfunc_end875-_ZN7rocprim17ROCPRIM_400000_NS6detail17trampoline_kernelINS0_14default_configENS1_27scan_by_key_config_selectorIssEEZZNS1_16scan_by_key_implILNS1_25lookback_scan_determinismE0ELb1ES3_N6thrust23THRUST_200600_302600_NS6detail15normal_iteratorINS9_10device_ptrIsEEEESE_SE_sNS9_4plusIsEE19head_flag_predicatesEE10hipError_tPvRmT2_T3_T4_T5_mT6_T7_P12ihipStream_tbENKUlT_T0_E_clISt17integral_constantIbLb1EESX_IbLb0EEEEDaST_SU_EUlST_E_NS1_11comp_targetILNS1_3genE0ELNS1_11target_archE4294967295ELNS1_3gpuE0ELNS1_3repE0EEENS1_30default_config_static_selectorELNS0_4arch9wavefront6targetE1EEEvT1_
                                        ; -- End function
	.section	.AMDGPU.csdata,"",@progbits
; Kernel info:
; codeLenInByte = 0
; NumSgprs: 4
; NumVgprs: 0
; NumAgprs: 0
; TotalNumVgprs: 0
; ScratchSize: 0
; MemoryBound: 0
; FloatMode: 240
; IeeeMode: 1
; LDSByteSize: 0 bytes/workgroup (compile time only)
; SGPRBlocks: 0
; VGPRBlocks: 0
; NumSGPRsForWavesPerEU: 4
; NumVGPRsForWavesPerEU: 1
; AccumOffset: 4
; Occupancy: 8
; WaveLimiterHint : 0
; COMPUTE_PGM_RSRC2:SCRATCH_EN: 0
; COMPUTE_PGM_RSRC2:USER_SGPR: 6
; COMPUTE_PGM_RSRC2:TRAP_HANDLER: 0
; COMPUTE_PGM_RSRC2:TGID_X_EN: 1
; COMPUTE_PGM_RSRC2:TGID_Y_EN: 0
; COMPUTE_PGM_RSRC2:TGID_Z_EN: 0
; COMPUTE_PGM_RSRC2:TIDIG_COMP_CNT: 0
; COMPUTE_PGM_RSRC3_GFX90A:ACCUM_OFFSET: 0
; COMPUTE_PGM_RSRC3_GFX90A:TG_SPLIT: 0
	.section	.text._ZN7rocprim17ROCPRIM_400000_NS6detail17trampoline_kernelINS0_14default_configENS1_27scan_by_key_config_selectorIssEEZZNS1_16scan_by_key_implILNS1_25lookback_scan_determinismE0ELb1ES3_N6thrust23THRUST_200600_302600_NS6detail15normal_iteratorINS9_10device_ptrIsEEEESE_SE_sNS9_4plusIsEE19head_flag_predicatesEE10hipError_tPvRmT2_T3_T4_T5_mT6_T7_P12ihipStream_tbENKUlT_T0_E_clISt17integral_constantIbLb1EESX_IbLb0EEEEDaST_SU_EUlST_E_NS1_11comp_targetILNS1_3genE10ELNS1_11target_archE1201ELNS1_3gpuE5ELNS1_3repE0EEENS1_30default_config_static_selectorELNS0_4arch9wavefront6targetE1EEEvT1_,"axG",@progbits,_ZN7rocprim17ROCPRIM_400000_NS6detail17trampoline_kernelINS0_14default_configENS1_27scan_by_key_config_selectorIssEEZZNS1_16scan_by_key_implILNS1_25lookback_scan_determinismE0ELb1ES3_N6thrust23THRUST_200600_302600_NS6detail15normal_iteratorINS9_10device_ptrIsEEEESE_SE_sNS9_4plusIsEE19head_flag_predicatesEE10hipError_tPvRmT2_T3_T4_T5_mT6_T7_P12ihipStream_tbENKUlT_T0_E_clISt17integral_constantIbLb1EESX_IbLb0EEEEDaST_SU_EUlST_E_NS1_11comp_targetILNS1_3genE10ELNS1_11target_archE1201ELNS1_3gpuE5ELNS1_3repE0EEENS1_30default_config_static_selectorELNS0_4arch9wavefront6targetE1EEEvT1_,comdat
	.protected	_ZN7rocprim17ROCPRIM_400000_NS6detail17trampoline_kernelINS0_14default_configENS1_27scan_by_key_config_selectorIssEEZZNS1_16scan_by_key_implILNS1_25lookback_scan_determinismE0ELb1ES3_N6thrust23THRUST_200600_302600_NS6detail15normal_iteratorINS9_10device_ptrIsEEEESE_SE_sNS9_4plusIsEE19head_flag_predicatesEE10hipError_tPvRmT2_T3_T4_T5_mT6_T7_P12ihipStream_tbENKUlT_T0_E_clISt17integral_constantIbLb1EESX_IbLb0EEEEDaST_SU_EUlST_E_NS1_11comp_targetILNS1_3genE10ELNS1_11target_archE1201ELNS1_3gpuE5ELNS1_3repE0EEENS1_30default_config_static_selectorELNS0_4arch9wavefront6targetE1EEEvT1_ ; -- Begin function _ZN7rocprim17ROCPRIM_400000_NS6detail17trampoline_kernelINS0_14default_configENS1_27scan_by_key_config_selectorIssEEZZNS1_16scan_by_key_implILNS1_25lookback_scan_determinismE0ELb1ES3_N6thrust23THRUST_200600_302600_NS6detail15normal_iteratorINS9_10device_ptrIsEEEESE_SE_sNS9_4plusIsEE19head_flag_predicatesEE10hipError_tPvRmT2_T3_T4_T5_mT6_T7_P12ihipStream_tbENKUlT_T0_E_clISt17integral_constantIbLb1EESX_IbLb0EEEEDaST_SU_EUlST_E_NS1_11comp_targetILNS1_3genE10ELNS1_11target_archE1201ELNS1_3gpuE5ELNS1_3repE0EEENS1_30default_config_static_selectorELNS0_4arch9wavefront6targetE1EEEvT1_
	.globl	_ZN7rocprim17ROCPRIM_400000_NS6detail17trampoline_kernelINS0_14default_configENS1_27scan_by_key_config_selectorIssEEZZNS1_16scan_by_key_implILNS1_25lookback_scan_determinismE0ELb1ES3_N6thrust23THRUST_200600_302600_NS6detail15normal_iteratorINS9_10device_ptrIsEEEESE_SE_sNS9_4plusIsEE19head_flag_predicatesEE10hipError_tPvRmT2_T3_T4_T5_mT6_T7_P12ihipStream_tbENKUlT_T0_E_clISt17integral_constantIbLb1EESX_IbLb0EEEEDaST_SU_EUlST_E_NS1_11comp_targetILNS1_3genE10ELNS1_11target_archE1201ELNS1_3gpuE5ELNS1_3repE0EEENS1_30default_config_static_selectorELNS0_4arch9wavefront6targetE1EEEvT1_
	.p2align	8
	.type	_ZN7rocprim17ROCPRIM_400000_NS6detail17trampoline_kernelINS0_14default_configENS1_27scan_by_key_config_selectorIssEEZZNS1_16scan_by_key_implILNS1_25lookback_scan_determinismE0ELb1ES3_N6thrust23THRUST_200600_302600_NS6detail15normal_iteratorINS9_10device_ptrIsEEEESE_SE_sNS9_4plusIsEE19head_flag_predicatesEE10hipError_tPvRmT2_T3_T4_T5_mT6_T7_P12ihipStream_tbENKUlT_T0_E_clISt17integral_constantIbLb1EESX_IbLb0EEEEDaST_SU_EUlST_E_NS1_11comp_targetILNS1_3genE10ELNS1_11target_archE1201ELNS1_3gpuE5ELNS1_3repE0EEENS1_30default_config_static_selectorELNS0_4arch9wavefront6targetE1EEEvT1_,@function
_ZN7rocprim17ROCPRIM_400000_NS6detail17trampoline_kernelINS0_14default_configENS1_27scan_by_key_config_selectorIssEEZZNS1_16scan_by_key_implILNS1_25lookback_scan_determinismE0ELb1ES3_N6thrust23THRUST_200600_302600_NS6detail15normal_iteratorINS9_10device_ptrIsEEEESE_SE_sNS9_4plusIsEE19head_flag_predicatesEE10hipError_tPvRmT2_T3_T4_T5_mT6_T7_P12ihipStream_tbENKUlT_T0_E_clISt17integral_constantIbLb1EESX_IbLb0EEEEDaST_SU_EUlST_E_NS1_11comp_targetILNS1_3genE10ELNS1_11target_archE1201ELNS1_3gpuE5ELNS1_3repE0EEENS1_30default_config_static_selectorELNS0_4arch9wavefront6targetE1EEEvT1_: ; @_ZN7rocprim17ROCPRIM_400000_NS6detail17trampoline_kernelINS0_14default_configENS1_27scan_by_key_config_selectorIssEEZZNS1_16scan_by_key_implILNS1_25lookback_scan_determinismE0ELb1ES3_N6thrust23THRUST_200600_302600_NS6detail15normal_iteratorINS9_10device_ptrIsEEEESE_SE_sNS9_4plusIsEE19head_flag_predicatesEE10hipError_tPvRmT2_T3_T4_T5_mT6_T7_P12ihipStream_tbENKUlT_T0_E_clISt17integral_constantIbLb1EESX_IbLb0EEEEDaST_SU_EUlST_E_NS1_11comp_targetILNS1_3genE10ELNS1_11target_archE1201ELNS1_3gpuE5ELNS1_3repE0EEENS1_30default_config_static_selectorELNS0_4arch9wavefront6targetE1EEEvT1_
; %bb.0:
	.section	.rodata,"a",@progbits
	.p2align	6, 0x0
	.amdhsa_kernel _ZN7rocprim17ROCPRIM_400000_NS6detail17trampoline_kernelINS0_14default_configENS1_27scan_by_key_config_selectorIssEEZZNS1_16scan_by_key_implILNS1_25lookback_scan_determinismE0ELb1ES3_N6thrust23THRUST_200600_302600_NS6detail15normal_iteratorINS9_10device_ptrIsEEEESE_SE_sNS9_4plusIsEE19head_flag_predicatesEE10hipError_tPvRmT2_T3_T4_T5_mT6_T7_P12ihipStream_tbENKUlT_T0_E_clISt17integral_constantIbLb1EESX_IbLb0EEEEDaST_SU_EUlST_E_NS1_11comp_targetILNS1_3genE10ELNS1_11target_archE1201ELNS1_3gpuE5ELNS1_3repE0EEENS1_30default_config_static_selectorELNS0_4arch9wavefront6targetE1EEEvT1_
		.amdhsa_group_segment_fixed_size 0
		.amdhsa_private_segment_fixed_size 0
		.amdhsa_kernarg_size 112
		.amdhsa_user_sgpr_count 6
		.amdhsa_user_sgpr_private_segment_buffer 1
		.amdhsa_user_sgpr_dispatch_ptr 0
		.amdhsa_user_sgpr_queue_ptr 0
		.amdhsa_user_sgpr_kernarg_segment_ptr 1
		.amdhsa_user_sgpr_dispatch_id 0
		.amdhsa_user_sgpr_flat_scratch_init 0
		.amdhsa_user_sgpr_kernarg_preload_length 0
		.amdhsa_user_sgpr_kernarg_preload_offset 0
		.amdhsa_user_sgpr_private_segment_size 0
		.amdhsa_uses_dynamic_stack 0
		.amdhsa_system_sgpr_private_segment_wavefront_offset 0
		.amdhsa_system_sgpr_workgroup_id_x 1
		.amdhsa_system_sgpr_workgroup_id_y 0
		.amdhsa_system_sgpr_workgroup_id_z 0
		.amdhsa_system_sgpr_workgroup_info 0
		.amdhsa_system_vgpr_workitem_id 0
		.amdhsa_next_free_vgpr 1
		.amdhsa_next_free_sgpr 0
		.amdhsa_accum_offset 4
		.amdhsa_reserve_vcc 0
		.amdhsa_reserve_flat_scratch 0
		.amdhsa_float_round_mode_32 0
		.amdhsa_float_round_mode_16_64 0
		.amdhsa_float_denorm_mode_32 3
		.amdhsa_float_denorm_mode_16_64 3
		.amdhsa_dx10_clamp 1
		.amdhsa_ieee_mode 1
		.amdhsa_fp16_overflow 0
		.amdhsa_tg_split 0
		.amdhsa_exception_fp_ieee_invalid_op 0
		.amdhsa_exception_fp_denorm_src 0
		.amdhsa_exception_fp_ieee_div_zero 0
		.amdhsa_exception_fp_ieee_overflow 0
		.amdhsa_exception_fp_ieee_underflow 0
		.amdhsa_exception_fp_ieee_inexact 0
		.amdhsa_exception_int_div_zero 0
	.end_amdhsa_kernel
	.section	.text._ZN7rocprim17ROCPRIM_400000_NS6detail17trampoline_kernelINS0_14default_configENS1_27scan_by_key_config_selectorIssEEZZNS1_16scan_by_key_implILNS1_25lookback_scan_determinismE0ELb1ES3_N6thrust23THRUST_200600_302600_NS6detail15normal_iteratorINS9_10device_ptrIsEEEESE_SE_sNS9_4plusIsEE19head_flag_predicatesEE10hipError_tPvRmT2_T3_T4_T5_mT6_T7_P12ihipStream_tbENKUlT_T0_E_clISt17integral_constantIbLb1EESX_IbLb0EEEEDaST_SU_EUlST_E_NS1_11comp_targetILNS1_3genE10ELNS1_11target_archE1201ELNS1_3gpuE5ELNS1_3repE0EEENS1_30default_config_static_selectorELNS0_4arch9wavefront6targetE1EEEvT1_,"axG",@progbits,_ZN7rocprim17ROCPRIM_400000_NS6detail17trampoline_kernelINS0_14default_configENS1_27scan_by_key_config_selectorIssEEZZNS1_16scan_by_key_implILNS1_25lookback_scan_determinismE0ELb1ES3_N6thrust23THRUST_200600_302600_NS6detail15normal_iteratorINS9_10device_ptrIsEEEESE_SE_sNS9_4plusIsEE19head_flag_predicatesEE10hipError_tPvRmT2_T3_T4_T5_mT6_T7_P12ihipStream_tbENKUlT_T0_E_clISt17integral_constantIbLb1EESX_IbLb0EEEEDaST_SU_EUlST_E_NS1_11comp_targetILNS1_3genE10ELNS1_11target_archE1201ELNS1_3gpuE5ELNS1_3repE0EEENS1_30default_config_static_selectorELNS0_4arch9wavefront6targetE1EEEvT1_,comdat
.Lfunc_end876:
	.size	_ZN7rocprim17ROCPRIM_400000_NS6detail17trampoline_kernelINS0_14default_configENS1_27scan_by_key_config_selectorIssEEZZNS1_16scan_by_key_implILNS1_25lookback_scan_determinismE0ELb1ES3_N6thrust23THRUST_200600_302600_NS6detail15normal_iteratorINS9_10device_ptrIsEEEESE_SE_sNS9_4plusIsEE19head_flag_predicatesEE10hipError_tPvRmT2_T3_T4_T5_mT6_T7_P12ihipStream_tbENKUlT_T0_E_clISt17integral_constantIbLb1EESX_IbLb0EEEEDaST_SU_EUlST_E_NS1_11comp_targetILNS1_3genE10ELNS1_11target_archE1201ELNS1_3gpuE5ELNS1_3repE0EEENS1_30default_config_static_selectorELNS0_4arch9wavefront6targetE1EEEvT1_, .Lfunc_end876-_ZN7rocprim17ROCPRIM_400000_NS6detail17trampoline_kernelINS0_14default_configENS1_27scan_by_key_config_selectorIssEEZZNS1_16scan_by_key_implILNS1_25lookback_scan_determinismE0ELb1ES3_N6thrust23THRUST_200600_302600_NS6detail15normal_iteratorINS9_10device_ptrIsEEEESE_SE_sNS9_4plusIsEE19head_flag_predicatesEE10hipError_tPvRmT2_T3_T4_T5_mT6_T7_P12ihipStream_tbENKUlT_T0_E_clISt17integral_constantIbLb1EESX_IbLb0EEEEDaST_SU_EUlST_E_NS1_11comp_targetILNS1_3genE10ELNS1_11target_archE1201ELNS1_3gpuE5ELNS1_3repE0EEENS1_30default_config_static_selectorELNS0_4arch9wavefront6targetE1EEEvT1_
                                        ; -- End function
	.section	.AMDGPU.csdata,"",@progbits
; Kernel info:
; codeLenInByte = 0
; NumSgprs: 4
; NumVgprs: 0
; NumAgprs: 0
; TotalNumVgprs: 0
; ScratchSize: 0
; MemoryBound: 0
; FloatMode: 240
; IeeeMode: 1
; LDSByteSize: 0 bytes/workgroup (compile time only)
; SGPRBlocks: 0
; VGPRBlocks: 0
; NumSGPRsForWavesPerEU: 4
; NumVGPRsForWavesPerEU: 1
; AccumOffset: 4
; Occupancy: 8
; WaveLimiterHint : 0
; COMPUTE_PGM_RSRC2:SCRATCH_EN: 0
; COMPUTE_PGM_RSRC2:USER_SGPR: 6
; COMPUTE_PGM_RSRC2:TRAP_HANDLER: 0
; COMPUTE_PGM_RSRC2:TGID_X_EN: 1
; COMPUTE_PGM_RSRC2:TGID_Y_EN: 0
; COMPUTE_PGM_RSRC2:TGID_Z_EN: 0
; COMPUTE_PGM_RSRC2:TIDIG_COMP_CNT: 0
; COMPUTE_PGM_RSRC3_GFX90A:ACCUM_OFFSET: 0
; COMPUTE_PGM_RSRC3_GFX90A:TG_SPLIT: 0
	.section	.text._ZN7rocprim17ROCPRIM_400000_NS6detail17trampoline_kernelINS0_14default_configENS1_27scan_by_key_config_selectorIssEEZZNS1_16scan_by_key_implILNS1_25lookback_scan_determinismE0ELb1ES3_N6thrust23THRUST_200600_302600_NS6detail15normal_iteratorINS9_10device_ptrIsEEEESE_SE_sNS9_4plusIsEE19head_flag_predicatesEE10hipError_tPvRmT2_T3_T4_T5_mT6_T7_P12ihipStream_tbENKUlT_T0_E_clISt17integral_constantIbLb1EESX_IbLb0EEEEDaST_SU_EUlST_E_NS1_11comp_targetILNS1_3genE5ELNS1_11target_archE942ELNS1_3gpuE9ELNS1_3repE0EEENS1_30default_config_static_selectorELNS0_4arch9wavefront6targetE1EEEvT1_,"axG",@progbits,_ZN7rocprim17ROCPRIM_400000_NS6detail17trampoline_kernelINS0_14default_configENS1_27scan_by_key_config_selectorIssEEZZNS1_16scan_by_key_implILNS1_25lookback_scan_determinismE0ELb1ES3_N6thrust23THRUST_200600_302600_NS6detail15normal_iteratorINS9_10device_ptrIsEEEESE_SE_sNS9_4plusIsEE19head_flag_predicatesEE10hipError_tPvRmT2_T3_T4_T5_mT6_T7_P12ihipStream_tbENKUlT_T0_E_clISt17integral_constantIbLb1EESX_IbLb0EEEEDaST_SU_EUlST_E_NS1_11comp_targetILNS1_3genE5ELNS1_11target_archE942ELNS1_3gpuE9ELNS1_3repE0EEENS1_30default_config_static_selectorELNS0_4arch9wavefront6targetE1EEEvT1_,comdat
	.protected	_ZN7rocprim17ROCPRIM_400000_NS6detail17trampoline_kernelINS0_14default_configENS1_27scan_by_key_config_selectorIssEEZZNS1_16scan_by_key_implILNS1_25lookback_scan_determinismE0ELb1ES3_N6thrust23THRUST_200600_302600_NS6detail15normal_iteratorINS9_10device_ptrIsEEEESE_SE_sNS9_4plusIsEE19head_flag_predicatesEE10hipError_tPvRmT2_T3_T4_T5_mT6_T7_P12ihipStream_tbENKUlT_T0_E_clISt17integral_constantIbLb1EESX_IbLb0EEEEDaST_SU_EUlST_E_NS1_11comp_targetILNS1_3genE5ELNS1_11target_archE942ELNS1_3gpuE9ELNS1_3repE0EEENS1_30default_config_static_selectorELNS0_4arch9wavefront6targetE1EEEvT1_ ; -- Begin function _ZN7rocprim17ROCPRIM_400000_NS6detail17trampoline_kernelINS0_14default_configENS1_27scan_by_key_config_selectorIssEEZZNS1_16scan_by_key_implILNS1_25lookback_scan_determinismE0ELb1ES3_N6thrust23THRUST_200600_302600_NS6detail15normal_iteratorINS9_10device_ptrIsEEEESE_SE_sNS9_4plusIsEE19head_flag_predicatesEE10hipError_tPvRmT2_T3_T4_T5_mT6_T7_P12ihipStream_tbENKUlT_T0_E_clISt17integral_constantIbLb1EESX_IbLb0EEEEDaST_SU_EUlST_E_NS1_11comp_targetILNS1_3genE5ELNS1_11target_archE942ELNS1_3gpuE9ELNS1_3repE0EEENS1_30default_config_static_selectorELNS0_4arch9wavefront6targetE1EEEvT1_
	.globl	_ZN7rocprim17ROCPRIM_400000_NS6detail17trampoline_kernelINS0_14default_configENS1_27scan_by_key_config_selectorIssEEZZNS1_16scan_by_key_implILNS1_25lookback_scan_determinismE0ELb1ES3_N6thrust23THRUST_200600_302600_NS6detail15normal_iteratorINS9_10device_ptrIsEEEESE_SE_sNS9_4plusIsEE19head_flag_predicatesEE10hipError_tPvRmT2_T3_T4_T5_mT6_T7_P12ihipStream_tbENKUlT_T0_E_clISt17integral_constantIbLb1EESX_IbLb0EEEEDaST_SU_EUlST_E_NS1_11comp_targetILNS1_3genE5ELNS1_11target_archE942ELNS1_3gpuE9ELNS1_3repE0EEENS1_30default_config_static_selectorELNS0_4arch9wavefront6targetE1EEEvT1_
	.p2align	8
	.type	_ZN7rocprim17ROCPRIM_400000_NS6detail17trampoline_kernelINS0_14default_configENS1_27scan_by_key_config_selectorIssEEZZNS1_16scan_by_key_implILNS1_25lookback_scan_determinismE0ELb1ES3_N6thrust23THRUST_200600_302600_NS6detail15normal_iteratorINS9_10device_ptrIsEEEESE_SE_sNS9_4plusIsEE19head_flag_predicatesEE10hipError_tPvRmT2_T3_T4_T5_mT6_T7_P12ihipStream_tbENKUlT_T0_E_clISt17integral_constantIbLb1EESX_IbLb0EEEEDaST_SU_EUlST_E_NS1_11comp_targetILNS1_3genE5ELNS1_11target_archE942ELNS1_3gpuE9ELNS1_3repE0EEENS1_30default_config_static_selectorELNS0_4arch9wavefront6targetE1EEEvT1_,@function
_ZN7rocprim17ROCPRIM_400000_NS6detail17trampoline_kernelINS0_14default_configENS1_27scan_by_key_config_selectorIssEEZZNS1_16scan_by_key_implILNS1_25lookback_scan_determinismE0ELb1ES3_N6thrust23THRUST_200600_302600_NS6detail15normal_iteratorINS9_10device_ptrIsEEEESE_SE_sNS9_4plusIsEE19head_flag_predicatesEE10hipError_tPvRmT2_T3_T4_T5_mT6_T7_P12ihipStream_tbENKUlT_T0_E_clISt17integral_constantIbLb1EESX_IbLb0EEEEDaST_SU_EUlST_E_NS1_11comp_targetILNS1_3genE5ELNS1_11target_archE942ELNS1_3gpuE9ELNS1_3repE0EEENS1_30default_config_static_selectorELNS0_4arch9wavefront6targetE1EEEvT1_: ; @_ZN7rocprim17ROCPRIM_400000_NS6detail17trampoline_kernelINS0_14default_configENS1_27scan_by_key_config_selectorIssEEZZNS1_16scan_by_key_implILNS1_25lookback_scan_determinismE0ELb1ES3_N6thrust23THRUST_200600_302600_NS6detail15normal_iteratorINS9_10device_ptrIsEEEESE_SE_sNS9_4plusIsEE19head_flag_predicatesEE10hipError_tPvRmT2_T3_T4_T5_mT6_T7_P12ihipStream_tbENKUlT_T0_E_clISt17integral_constantIbLb1EESX_IbLb0EEEEDaST_SU_EUlST_E_NS1_11comp_targetILNS1_3genE5ELNS1_11target_archE942ELNS1_3gpuE9ELNS1_3repE0EEENS1_30default_config_static_selectorELNS0_4arch9wavefront6targetE1EEEvT1_
; %bb.0:
	.section	.rodata,"a",@progbits
	.p2align	6, 0x0
	.amdhsa_kernel _ZN7rocprim17ROCPRIM_400000_NS6detail17trampoline_kernelINS0_14default_configENS1_27scan_by_key_config_selectorIssEEZZNS1_16scan_by_key_implILNS1_25lookback_scan_determinismE0ELb1ES3_N6thrust23THRUST_200600_302600_NS6detail15normal_iteratorINS9_10device_ptrIsEEEESE_SE_sNS9_4plusIsEE19head_flag_predicatesEE10hipError_tPvRmT2_T3_T4_T5_mT6_T7_P12ihipStream_tbENKUlT_T0_E_clISt17integral_constantIbLb1EESX_IbLb0EEEEDaST_SU_EUlST_E_NS1_11comp_targetILNS1_3genE5ELNS1_11target_archE942ELNS1_3gpuE9ELNS1_3repE0EEENS1_30default_config_static_selectorELNS0_4arch9wavefront6targetE1EEEvT1_
		.amdhsa_group_segment_fixed_size 0
		.amdhsa_private_segment_fixed_size 0
		.amdhsa_kernarg_size 112
		.amdhsa_user_sgpr_count 6
		.amdhsa_user_sgpr_private_segment_buffer 1
		.amdhsa_user_sgpr_dispatch_ptr 0
		.amdhsa_user_sgpr_queue_ptr 0
		.amdhsa_user_sgpr_kernarg_segment_ptr 1
		.amdhsa_user_sgpr_dispatch_id 0
		.amdhsa_user_sgpr_flat_scratch_init 0
		.amdhsa_user_sgpr_kernarg_preload_length 0
		.amdhsa_user_sgpr_kernarg_preload_offset 0
		.amdhsa_user_sgpr_private_segment_size 0
		.amdhsa_uses_dynamic_stack 0
		.amdhsa_system_sgpr_private_segment_wavefront_offset 0
		.amdhsa_system_sgpr_workgroup_id_x 1
		.amdhsa_system_sgpr_workgroup_id_y 0
		.amdhsa_system_sgpr_workgroup_id_z 0
		.amdhsa_system_sgpr_workgroup_info 0
		.amdhsa_system_vgpr_workitem_id 0
		.amdhsa_next_free_vgpr 1
		.amdhsa_next_free_sgpr 0
		.amdhsa_accum_offset 4
		.amdhsa_reserve_vcc 0
		.amdhsa_reserve_flat_scratch 0
		.amdhsa_float_round_mode_32 0
		.amdhsa_float_round_mode_16_64 0
		.amdhsa_float_denorm_mode_32 3
		.amdhsa_float_denorm_mode_16_64 3
		.amdhsa_dx10_clamp 1
		.amdhsa_ieee_mode 1
		.amdhsa_fp16_overflow 0
		.amdhsa_tg_split 0
		.amdhsa_exception_fp_ieee_invalid_op 0
		.amdhsa_exception_fp_denorm_src 0
		.amdhsa_exception_fp_ieee_div_zero 0
		.amdhsa_exception_fp_ieee_overflow 0
		.amdhsa_exception_fp_ieee_underflow 0
		.amdhsa_exception_fp_ieee_inexact 0
		.amdhsa_exception_int_div_zero 0
	.end_amdhsa_kernel
	.section	.text._ZN7rocprim17ROCPRIM_400000_NS6detail17trampoline_kernelINS0_14default_configENS1_27scan_by_key_config_selectorIssEEZZNS1_16scan_by_key_implILNS1_25lookback_scan_determinismE0ELb1ES3_N6thrust23THRUST_200600_302600_NS6detail15normal_iteratorINS9_10device_ptrIsEEEESE_SE_sNS9_4plusIsEE19head_flag_predicatesEE10hipError_tPvRmT2_T3_T4_T5_mT6_T7_P12ihipStream_tbENKUlT_T0_E_clISt17integral_constantIbLb1EESX_IbLb0EEEEDaST_SU_EUlST_E_NS1_11comp_targetILNS1_3genE5ELNS1_11target_archE942ELNS1_3gpuE9ELNS1_3repE0EEENS1_30default_config_static_selectorELNS0_4arch9wavefront6targetE1EEEvT1_,"axG",@progbits,_ZN7rocprim17ROCPRIM_400000_NS6detail17trampoline_kernelINS0_14default_configENS1_27scan_by_key_config_selectorIssEEZZNS1_16scan_by_key_implILNS1_25lookback_scan_determinismE0ELb1ES3_N6thrust23THRUST_200600_302600_NS6detail15normal_iteratorINS9_10device_ptrIsEEEESE_SE_sNS9_4plusIsEE19head_flag_predicatesEE10hipError_tPvRmT2_T3_T4_T5_mT6_T7_P12ihipStream_tbENKUlT_T0_E_clISt17integral_constantIbLb1EESX_IbLb0EEEEDaST_SU_EUlST_E_NS1_11comp_targetILNS1_3genE5ELNS1_11target_archE942ELNS1_3gpuE9ELNS1_3repE0EEENS1_30default_config_static_selectorELNS0_4arch9wavefront6targetE1EEEvT1_,comdat
.Lfunc_end877:
	.size	_ZN7rocprim17ROCPRIM_400000_NS6detail17trampoline_kernelINS0_14default_configENS1_27scan_by_key_config_selectorIssEEZZNS1_16scan_by_key_implILNS1_25lookback_scan_determinismE0ELb1ES3_N6thrust23THRUST_200600_302600_NS6detail15normal_iteratorINS9_10device_ptrIsEEEESE_SE_sNS9_4plusIsEE19head_flag_predicatesEE10hipError_tPvRmT2_T3_T4_T5_mT6_T7_P12ihipStream_tbENKUlT_T0_E_clISt17integral_constantIbLb1EESX_IbLb0EEEEDaST_SU_EUlST_E_NS1_11comp_targetILNS1_3genE5ELNS1_11target_archE942ELNS1_3gpuE9ELNS1_3repE0EEENS1_30default_config_static_selectorELNS0_4arch9wavefront6targetE1EEEvT1_, .Lfunc_end877-_ZN7rocprim17ROCPRIM_400000_NS6detail17trampoline_kernelINS0_14default_configENS1_27scan_by_key_config_selectorIssEEZZNS1_16scan_by_key_implILNS1_25lookback_scan_determinismE0ELb1ES3_N6thrust23THRUST_200600_302600_NS6detail15normal_iteratorINS9_10device_ptrIsEEEESE_SE_sNS9_4plusIsEE19head_flag_predicatesEE10hipError_tPvRmT2_T3_T4_T5_mT6_T7_P12ihipStream_tbENKUlT_T0_E_clISt17integral_constantIbLb1EESX_IbLb0EEEEDaST_SU_EUlST_E_NS1_11comp_targetILNS1_3genE5ELNS1_11target_archE942ELNS1_3gpuE9ELNS1_3repE0EEENS1_30default_config_static_selectorELNS0_4arch9wavefront6targetE1EEEvT1_
                                        ; -- End function
	.section	.AMDGPU.csdata,"",@progbits
; Kernel info:
; codeLenInByte = 0
; NumSgprs: 4
; NumVgprs: 0
; NumAgprs: 0
; TotalNumVgprs: 0
; ScratchSize: 0
; MemoryBound: 0
; FloatMode: 240
; IeeeMode: 1
; LDSByteSize: 0 bytes/workgroup (compile time only)
; SGPRBlocks: 0
; VGPRBlocks: 0
; NumSGPRsForWavesPerEU: 4
; NumVGPRsForWavesPerEU: 1
; AccumOffset: 4
; Occupancy: 8
; WaveLimiterHint : 0
; COMPUTE_PGM_RSRC2:SCRATCH_EN: 0
; COMPUTE_PGM_RSRC2:USER_SGPR: 6
; COMPUTE_PGM_RSRC2:TRAP_HANDLER: 0
; COMPUTE_PGM_RSRC2:TGID_X_EN: 1
; COMPUTE_PGM_RSRC2:TGID_Y_EN: 0
; COMPUTE_PGM_RSRC2:TGID_Z_EN: 0
; COMPUTE_PGM_RSRC2:TIDIG_COMP_CNT: 0
; COMPUTE_PGM_RSRC3_GFX90A:ACCUM_OFFSET: 0
; COMPUTE_PGM_RSRC3_GFX90A:TG_SPLIT: 0
	.section	.text._ZN7rocprim17ROCPRIM_400000_NS6detail17trampoline_kernelINS0_14default_configENS1_27scan_by_key_config_selectorIssEEZZNS1_16scan_by_key_implILNS1_25lookback_scan_determinismE0ELb1ES3_N6thrust23THRUST_200600_302600_NS6detail15normal_iteratorINS9_10device_ptrIsEEEESE_SE_sNS9_4plusIsEE19head_flag_predicatesEE10hipError_tPvRmT2_T3_T4_T5_mT6_T7_P12ihipStream_tbENKUlT_T0_E_clISt17integral_constantIbLb1EESX_IbLb0EEEEDaST_SU_EUlST_E_NS1_11comp_targetILNS1_3genE4ELNS1_11target_archE910ELNS1_3gpuE8ELNS1_3repE0EEENS1_30default_config_static_selectorELNS0_4arch9wavefront6targetE1EEEvT1_,"axG",@progbits,_ZN7rocprim17ROCPRIM_400000_NS6detail17trampoline_kernelINS0_14default_configENS1_27scan_by_key_config_selectorIssEEZZNS1_16scan_by_key_implILNS1_25lookback_scan_determinismE0ELb1ES3_N6thrust23THRUST_200600_302600_NS6detail15normal_iteratorINS9_10device_ptrIsEEEESE_SE_sNS9_4plusIsEE19head_flag_predicatesEE10hipError_tPvRmT2_T3_T4_T5_mT6_T7_P12ihipStream_tbENKUlT_T0_E_clISt17integral_constantIbLb1EESX_IbLb0EEEEDaST_SU_EUlST_E_NS1_11comp_targetILNS1_3genE4ELNS1_11target_archE910ELNS1_3gpuE8ELNS1_3repE0EEENS1_30default_config_static_selectorELNS0_4arch9wavefront6targetE1EEEvT1_,comdat
	.protected	_ZN7rocprim17ROCPRIM_400000_NS6detail17trampoline_kernelINS0_14default_configENS1_27scan_by_key_config_selectorIssEEZZNS1_16scan_by_key_implILNS1_25lookback_scan_determinismE0ELb1ES3_N6thrust23THRUST_200600_302600_NS6detail15normal_iteratorINS9_10device_ptrIsEEEESE_SE_sNS9_4plusIsEE19head_flag_predicatesEE10hipError_tPvRmT2_T3_T4_T5_mT6_T7_P12ihipStream_tbENKUlT_T0_E_clISt17integral_constantIbLb1EESX_IbLb0EEEEDaST_SU_EUlST_E_NS1_11comp_targetILNS1_3genE4ELNS1_11target_archE910ELNS1_3gpuE8ELNS1_3repE0EEENS1_30default_config_static_selectorELNS0_4arch9wavefront6targetE1EEEvT1_ ; -- Begin function _ZN7rocprim17ROCPRIM_400000_NS6detail17trampoline_kernelINS0_14default_configENS1_27scan_by_key_config_selectorIssEEZZNS1_16scan_by_key_implILNS1_25lookback_scan_determinismE0ELb1ES3_N6thrust23THRUST_200600_302600_NS6detail15normal_iteratorINS9_10device_ptrIsEEEESE_SE_sNS9_4plusIsEE19head_flag_predicatesEE10hipError_tPvRmT2_T3_T4_T5_mT6_T7_P12ihipStream_tbENKUlT_T0_E_clISt17integral_constantIbLb1EESX_IbLb0EEEEDaST_SU_EUlST_E_NS1_11comp_targetILNS1_3genE4ELNS1_11target_archE910ELNS1_3gpuE8ELNS1_3repE0EEENS1_30default_config_static_selectorELNS0_4arch9wavefront6targetE1EEEvT1_
	.globl	_ZN7rocprim17ROCPRIM_400000_NS6detail17trampoline_kernelINS0_14default_configENS1_27scan_by_key_config_selectorIssEEZZNS1_16scan_by_key_implILNS1_25lookback_scan_determinismE0ELb1ES3_N6thrust23THRUST_200600_302600_NS6detail15normal_iteratorINS9_10device_ptrIsEEEESE_SE_sNS9_4plusIsEE19head_flag_predicatesEE10hipError_tPvRmT2_T3_T4_T5_mT6_T7_P12ihipStream_tbENKUlT_T0_E_clISt17integral_constantIbLb1EESX_IbLb0EEEEDaST_SU_EUlST_E_NS1_11comp_targetILNS1_3genE4ELNS1_11target_archE910ELNS1_3gpuE8ELNS1_3repE0EEENS1_30default_config_static_selectorELNS0_4arch9wavefront6targetE1EEEvT1_
	.p2align	8
	.type	_ZN7rocprim17ROCPRIM_400000_NS6detail17trampoline_kernelINS0_14default_configENS1_27scan_by_key_config_selectorIssEEZZNS1_16scan_by_key_implILNS1_25lookback_scan_determinismE0ELb1ES3_N6thrust23THRUST_200600_302600_NS6detail15normal_iteratorINS9_10device_ptrIsEEEESE_SE_sNS9_4plusIsEE19head_flag_predicatesEE10hipError_tPvRmT2_T3_T4_T5_mT6_T7_P12ihipStream_tbENKUlT_T0_E_clISt17integral_constantIbLb1EESX_IbLb0EEEEDaST_SU_EUlST_E_NS1_11comp_targetILNS1_3genE4ELNS1_11target_archE910ELNS1_3gpuE8ELNS1_3repE0EEENS1_30default_config_static_selectorELNS0_4arch9wavefront6targetE1EEEvT1_,@function
_ZN7rocprim17ROCPRIM_400000_NS6detail17trampoline_kernelINS0_14default_configENS1_27scan_by_key_config_selectorIssEEZZNS1_16scan_by_key_implILNS1_25lookback_scan_determinismE0ELb1ES3_N6thrust23THRUST_200600_302600_NS6detail15normal_iteratorINS9_10device_ptrIsEEEESE_SE_sNS9_4plusIsEE19head_flag_predicatesEE10hipError_tPvRmT2_T3_T4_T5_mT6_T7_P12ihipStream_tbENKUlT_T0_E_clISt17integral_constantIbLb1EESX_IbLb0EEEEDaST_SU_EUlST_E_NS1_11comp_targetILNS1_3genE4ELNS1_11target_archE910ELNS1_3gpuE8ELNS1_3repE0EEENS1_30default_config_static_selectorELNS0_4arch9wavefront6targetE1EEEvT1_: ; @_ZN7rocprim17ROCPRIM_400000_NS6detail17trampoline_kernelINS0_14default_configENS1_27scan_by_key_config_selectorIssEEZZNS1_16scan_by_key_implILNS1_25lookback_scan_determinismE0ELb1ES3_N6thrust23THRUST_200600_302600_NS6detail15normal_iteratorINS9_10device_ptrIsEEEESE_SE_sNS9_4plusIsEE19head_flag_predicatesEE10hipError_tPvRmT2_T3_T4_T5_mT6_T7_P12ihipStream_tbENKUlT_T0_E_clISt17integral_constantIbLb1EESX_IbLb0EEEEDaST_SU_EUlST_E_NS1_11comp_targetILNS1_3genE4ELNS1_11target_archE910ELNS1_3gpuE8ELNS1_3repE0EEENS1_30default_config_static_selectorELNS0_4arch9wavefront6targetE1EEEvT1_
; %bb.0:
	s_load_dwordx8 s[44:51], s[4:5], 0x0
	s_load_dword s7, s[4:5], 0x20
	s_load_dwordx4 s[52:55], s[4:5], 0x28
	s_load_dwordx2 s[64:65], s[4:5], 0x38
	s_load_dword s0, s[4:5], 0x40
	s_load_dwordx4 s[56:59], s[4:5], 0x48
	s_waitcnt lgkmcnt(0)
	s_lshl_b64 s[60:61], s[46:47], 1
	s_add_u32 s2, s44, s60
	s_addc_u32 s3, s45, s61
	s_add_u32 s4, s48, s60
	s_mul_i32 s1, s65, s0
	s_mul_hi_u32 s8, s64, s0
	s_addc_u32 s5, s49, s61
	s_add_i32 s8, s8, s1
	s_mul_i32 s9, s64, s0
	s_mul_i32 s0, s6, 0x1600
	s_mov_b32 s1, 0
	s_lshl_b64 s[62:63], s[0:1], 1
	s_add_u32 s66, s2, s62
	s_addc_u32 s67, s3, s63
	s_add_u32 s55, s4, s62
	s_addc_u32 s72, s5, s63
	;; [unrolled: 2-line block ×3, first 2 shown]
	s_add_u32 s4, s56, -1
	s_addc_u32 s5, s57, -1
	v_pk_mov_b32 v[2:3], s[4:5], s[4:5] op_sel:[0,1]
	v_cmp_ge_u64_e64 s[0:1], s[0:1], v[2:3]
	s_mov_b64 s[2:3], -1
	s_and_b64 vcc, exec, s[0:1]
	s_mul_i32 s33, s4, 0xffffea00
	s_barrier
	s_cbranch_vccz .LBB878_116
; %bb.1:
	v_pk_mov_b32 v[2:3], s[66:67], s[66:67] op_sel:[0,1]
	flat_load_ushort v6, v[2:3]
	s_add_i32 s74, s33, s54
	v_cmp_gt_u32_e32 vcc, s74, v0
	s_waitcnt vmcnt(0) lgkmcnt(0)
	v_mov_b32_e32 v7, v6
	s_and_saveexec_b64 s[4:5], vcc
	s_cbranch_execz .LBB878_3
; %bb.2:
	v_lshlrev_b32_e32 v1, 1, v0
	v_mov_b32_e32 v3, s67
	v_add_co_u32_e64 v2, s[2:3], s66, v1
	v_addc_co_u32_e64 v3, s[2:3], 0, v3, s[2:3]
	flat_load_ushort v7, v[2:3]
.LBB878_3:
	s_or_b64 exec, exec, s[4:5]
	v_or_b32_e32 v1, 0x100, v0
	v_cmp_gt_u32_e64 s[2:3], s74, v1
	v_mov_b32_e32 v8, v6
	s_and_saveexec_b64 s[8:9], s[2:3]
	s_cbranch_execz .LBB878_5
; %bb.4:
	v_lshlrev_b32_e32 v1, 1, v0
	v_mov_b32_e32 v3, s67
	v_add_co_u32_e64 v2, s[4:5], s66, v1
	v_addc_co_u32_e64 v3, s[4:5], 0, v3, s[4:5]
	flat_load_ushort v8, v[2:3] offset:512
.LBB878_5:
	s_or_b64 exec, exec, s[8:9]
	v_or_b32_e32 v1, 0x200, v0
	v_cmp_gt_u32_e64 s[4:5], s74, v1
	v_mov_b32_e32 v9, v6
	s_and_saveexec_b64 s[10:11], s[4:5]
	s_cbranch_execz .LBB878_7
; %bb.6:
	v_lshlrev_b32_e32 v1, 1, v0
	v_mov_b32_e32 v3, s67
	v_add_co_u32_e64 v2, s[8:9], s66, v1
	v_addc_co_u32_e64 v3, s[8:9], 0, v3, s[8:9]
	flat_load_ushort v9, v[2:3] offset:1024
.LBB878_7:
	;; [unrolled: 13-line block ×7, first 2 shown]
	s_or_b64 exec, exec, s[18:19]
	v_or_b32_e32 v1, 0x800, v0
	v_cmp_gt_u32_e64 s[16:17], s74, v1
	v_mov_b32_e32 v15, v6
	s_and_saveexec_b64 s[20:21], s[16:17]
	s_cbranch_execz .LBB878_19
; %bb.18:
	v_lshlrev_b32_e32 v2, 1, v1
	v_mov_b32_e32 v3, s67
	v_add_co_u32_e64 v2, s[18:19], s66, v2
	v_addc_co_u32_e64 v3, s[18:19], 0, v3, s[18:19]
	flat_load_ushort v15, v[2:3]
.LBB878_19:
	s_or_b64 exec, exec, s[20:21]
	v_or_b32_e32 v2, 0x900, v0
	v_cmp_gt_u32_e64 s[18:19], s74, v2
	v_mov_b32_e32 v26, v6
	s_and_saveexec_b64 s[22:23], s[18:19]
	s_cbranch_execz .LBB878_21
; %bb.20:
	v_lshlrev_b32_e32 v3, 1, v2
	v_mov_b32_e32 v5, s67
	v_add_co_u32_e64 v4, s[20:21], s66, v3
	v_addc_co_u32_e64 v5, s[20:21], 0, v5, s[20:21]
	flat_load_ushort v26, v[4:5]
.LBB878_21:
	;; [unrolled: 13-line block ×13, first 2 shown]
	s_or_b64 exec, exec, s[48:49]
	v_or_b32_e32 v25, 0x1500, v0
	v_cmp_gt_u32_e64 s[44:45], s74, v25
	s_and_saveexec_b64 s[56:57], s[44:45]
	s_cbranch_execz .LBB878_45
; %bb.44:
	v_lshlrev_b32_e32 v6, 1, v25
	v_mov_b32_e32 v18, s67
	v_add_co_u32_e64 v38, s[48:49], s66, v6
	v_addc_co_u32_e64 v39, s[48:49], 0, v18, s[48:49]
	flat_load_ushort v6, v[38:39]
.LBB878_45:
	s_or_b64 exec, exec, s[56:57]
	v_lshlrev_b32_e32 v18, 1, v0
	s_waitcnt vmcnt(0) lgkmcnt(0)
	ds_write_b16 v18, v7
	ds_write_b16 v18, v8 offset:512
	ds_write_b16 v18, v9 offset:1024
	;; [unrolled: 1-line block ×21, first 2 shown]
	v_pk_mov_b32 v[6:7], s[66:67], s[66:67] op_sel:[0,1]
	s_waitcnt lgkmcnt(0)
	s_barrier
	flat_load_ushort v36, v[6:7]
	v_mad_u32_u24 v38, v0, 42, v18
	s_movk_i32 s48, 0xffd6
	v_mad_i32_i24 v26, v0, s48, v38
	s_movk_i32 s48, 0xff
	v_cmp_ne_u32_e64 s[48:49], s48, v0
	ds_read2_b32 v[14:15], v38 offset1:1
	ds_read2_b32 v[12:13], v38 offset0:2 offset1:3
	ds_read2_b32 v[10:11], v38 offset0:4 offset1:5
	;; [unrolled: 1-line block ×4, first 2 shown]
	ds_read_b32 v39, v38 offset:40
	s_waitcnt lgkmcnt(0)
	ds_write_b16 v26, v14 offset:11776
	s_waitcnt lgkmcnt(0)
	s_barrier
	s_and_saveexec_b64 s[56:57], s[48:49]
	s_cbranch_execz .LBB878_47
; %bb.46:
	s_waitcnt vmcnt(0)
	ds_read_u16 v36, v18 offset:11778
.LBB878_47:
	s_or_b64 exec, exec, s[56:57]
	s_waitcnt lgkmcnt(0)
	s_barrier
	s_waitcnt lgkmcnt(0)
                                        ; implicit-def: $vgpr26
	s_and_saveexec_b64 s[48:49], vcc
	s_cbranch_execz .LBB878_189
; %bb.48:
	v_mov_b32_e32 v27, s72
	v_add_co_u32_e32 v26, vcc, s55, v18
	v_addc_co_u32_e32 v27, vcc, 0, v27, vcc
	flat_load_ushort v26, v[26:27]
	s_or_b64 exec, exec, s[48:49]
                                        ; implicit-def: $vgpr27
	s_and_saveexec_b64 s[48:49], s[2:3]
	s_cbranch_execnz .LBB878_190
.LBB878_49:
	s_or_b64 exec, exec, s[48:49]
                                        ; implicit-def: $vgpr28
	s_and_saveexec_b64 s[2:3], s[4:5]
	s_cbranch_execz .LBB878_191
.LBB878_50:
	v_mov_b32_e32 v29, s72
	v_add_co_u32_e32 v28, vcc, s55, v18
	v_addc_co_u32_e32 v29, vcc, 0, v29, vcc
	flat_load_ushort v28, v[28:29] offset:1024
	s_or_b64 exec, exec, s[2:3]
                                        ; implicit-def: $vgpr29
	s_and_saveexec_b64 s[2:3], s[46:47]
	s_cbranch_execnz .LBB878_192
.LBB878_51:
	s_or_b64 exec, exec, s[2:3]
                                        ; implicit-def: $vgpr30
	s_and_saveexec_b64 s[2:3], s[8:9]
	s_cbranch_execz .LBB878_193
.LBB878_52:
	v_mov_b32_e32 v31, s72
	v_add_co_u32_e32 v30, vcc, s55, v18
	v_addc_co_u32_e32 v31, vcc, 0, v31, vcc
	flat_load_ushort v30, v[30:31] offset:2048
	s_or_b64 exec, exec, s[2:3]
                                        ; implicit-def: $vgpr31
	s_and_saveexec_b64 s[2:3], s[10:11]
	s_cbranch_execnz .LBB878_194
.LBB878_53:
	s_or_b64 exec, exec, s[2:3]
                                        ; implicit-def: $vgpr32
	s_and_saveexec_b64 s[2:3], s[12:13]
	s_cbranch_execz .LBB878_195
.LBB878_54:
	v_mov_b32_e32 v33, s72
	v_add_co_u32_e32 v32, vcc, s55, v18
	v_addc_co_u32_e32 v33, vcc, 0, v33, vcc
	flat_load_ushort v32, v[32:33] offset:3072
	s_or_b64 exec, exec, s[2:3]
                                        ; implicit-def: $vgpr33
	s_and_saveexec_b64 s[2:3], s[14:15]
	s_cbranch_execnz .LBB878_196
.LBB878_55:
	s_or_b64 exec, exec, s[2:3]
                                        ; implicit-def: $vgpr34
	s_and_saveexec_b64 s[2:3], s[16:17]
	s_cbranch_execz .LBB878_197
.LBB878_56:
	v_lshlrev_b32_e32 v1, 1, v1
	v_mov_b32_e32 v35, s72
	v_add_co_u32_e32 v34, vcc, s55, v1
	v_addc_co_u32_e32 v35, vcc, 0, v35, vcc
	flat_load_ushort v34, v[34:35]
	s_or_b64 exec, exec, s[2:3]
                                        ; implicit-def: $vgpr1
	s_and_saveexec_b64 s[2:3], s[18:19]
	s_cbranch_execnz .LBB878_198
.LBB878_57:
	s_or_b64 exec, exec, s[2:3]
                                        ; implicit-def: $vgpr2
	s_and_saveexec_b64 s[2:3], s[20:21]
	s_cbranch_execz .LBB878_199
.LBB878_58:
	v_lshlrev_b32_e32 v2, 1, v3
	v_mov_b32_e32 v3, s72
	v_add_co_u32_e32 v2, vcc, s55, v2
	v_addc_co_u32_e32 v3, vcc, 0, v3, vcc
	flat_load_ushort v2, v[2:3]
	s_or_b64 exec, exec, s[2:3]
                                        ; implicit-def: $vgpr3
	s_and_saveexec_b64 s[2:3], s[22:23]
	s_cbranch_execnz .LBB878_200
.LBB878_59:
	s_or_b64 exec, exec, s[2:3]
                                        ; implicit-def: $vgpr4
	s_and_saveexec_b64 s[2:3], s[24:25]
	s_cbranch_execz .LBB878_201
.LBB878_60:
	v_lshlrev_b32_e32 v4, 1, v5
	v_mov_b32_e32 v5, s72
	v_add_co_u32_e32 v4, vcc, s55, v4
	v_addc_co_u32_e32 v5, vcc, 0, v5, vcc
	flat_load_ushort v4, v[4:5]
	s_or_b64 exec, exec, s[2:3]
                                        ; implicit-def: $vgpr5
	s_and_saveexec_b64 s[2:3], s[26:27]
	s_cbranch_execnz .LBB878_202
.LBB878_61:
	s_or_b64 exec, exec, s[2:3]
                                        ; implicit-def: $vgpr16
	s_and_saveexec_b64 s[2:3], s[28:29]
	s_cbranch_execz .LBB878_203
.LBB878_62:
	v_lshlrev_b32_e32 v16, 1, v17
	v_mov_b32_e32 v17, s72
	v_add_co_u32_e32 v16, vcc, s55, v16
	v_addc_co_u32_e32 v17, vcc, 0, v17, vcc
	flat_load_ushort v16, v[16:17]
	s_or_b64 exec, exec, s[2:3]
                                        ; implicit-def: $vgpr17
	s_and_saveexec_b64 s[2:3], s[30:31]
	s_cbranch_execnz .LBB878_204
.LBB878_63:
	s_or_b64 exec, exec, s[2:3]
                                        ; implicit-def: $vgpr19
	s_and_saveexec_b64 s[2:3], s[34:35]
	s_cbranch_execz .LBB878_205
.LBB878_64:
	v_lshlrev_b32_e32 v19, 1, v20
	v_mov_b32_e32 v20, s72
	v_add_co_u32_e32 v40, vcc, s55, v19
	v_addc_co_u32_e32 v41, vcc, 0, v20, vcc
	flat_load_ushort v19, v[40:41]
	s_or_b64 exec, exec, s[2:3]
                                        ; implicit-def: $vgpr20
	s_and_saveexec_b64 s[2:3], s[36:37]
	s_cbranch_execnz .LBB878_206
.LBB878_65:
	s_or_b64 exec, exec, s[2:3]
                                        ; implicit-def: $vgpr21
	s_and_saveexec_b64 s[2:3], s[38:39]
	s_cbranch_execz .LBB878_207
.LBB878_66:
	v_lshlrev_b32_e32 v21, 1, v22
	v_mov_b32_e32 v22, s72
	v_add_co_u32_e32 v40, vcc, s55, v21
	v_addc_co_u32_e32 v41, vcc, 0, v22, vcc
	flat_load_ushort v21, v[40:41]
	s_or_b64 exec, exec, s[2:3]
                                        ; implicit-def: $vgpr22
	s_and_saveexec_b64 s[2:3], s[40:41]
	s_cbranch_execnz .LBB878_208
.LBB878_67:
	s_or_b64 exec, exec, s[2:3]
                                        ; implicit-def: $vgpr23
	s_and_saveexec_b64 s[2:3], s[42:43]
	s_cbranch_execz .LBB878_69
.LBB878_68:
	v_lshlrev_b32_e32 v23, 1, v24
	v_mov_b32_e32 v24, s72
	v_add_co_u32_e32 v40, vcc, s55, v23
	v_addc_co_u32_e32 v41, vcc, 0, v24, vcc
	flat_load_ushort v23, v[40:41]
.LBB878_69:
	s_or_b64 exec, exec, s[2:3]
	v_mul_u32_u24_e32 v40, 22, v0
                                        ; implicit-def: $vgpr24
	s_and_saveexec_b64 s[2:3], s[44:45]
	s_cbranch_execz .LBB878_71
; %bb.70:
	v_lshlrev_b32_e32 v24, 1, v25
	v_mov_b32_e32 v25, s72
	v_add_co_u32_e32 v24, vcc, s55, v24
	v_addc_co_u32_e32 v25, vcc, 0, v25, vcc
	flat_load_ushort v24, v[24:25]
.LBB878_71:
	s_or_b64 exec, exec, s[2:3]
	s_waitcnt vmcnt(0) lgkmcnt(0)
	ds_write_b16 v18, v26
	ds_write_b16 v18, v27 offset:512
	ds_write_b16 v18, v28 offset:1024
	;; [unrolled: 1-line block ×21, first 2 shown]
	v_cmp_gt_u32_e32 vcc, s74, v40
	s_mov_b64 s[2:3], 0
	s_mov_b32 s73, 0
	v_mov_b32_e32 v1, 0
	s_mov_b64 s[10:11], 0
	v_mov_b32_e32 v20, 0
	v_mov_b32_e32 v21, 0
	;; [unrolled: 1-line block ×20, first 2 shown]
	s_waitcnt lgkmcnt(0)
	s_barrier
	s_waitcnt lgkmcnt(0)
                                        ; implicit-def: $sgpr8_sgpr9
                                        ; implicit-def: $vgpr37
	s_and_saveexec_b64 s[4:5], vcc
	s_cbranch_execz .LBB878_115
; %bb.72:
	ds_read_u16 v1, v38
	v_mov_b32_e32 v20, 0
	v_mov_b32_e32 v3, s7
	v_cmp_eq_u16_sdwa vcc, v14, v20 src0_sel:WORD_1 src1_sel:DWORD
	v_cmp_ne_u16_sdwa s[8:9], v14, v20 src0_sel:WORD_1 src1_sel:DWORD
	s_waitcnt lgkmcnt(0)
	v_cndmask_b32_e32 v1, v3, v1, vcc
	v_or_b32_e32 v2, 1, v40
	v_and_b32_e32 v1, 0xffff, v1
	v_cndmask_b32_e64 v3, 0, 1, s[8:9]
	v_lshl_or_b32 v1, v3, 16, v1
	v_cmp_gt_u32_e32 vcc, s74, v2
	v_mov_b32_e32 v21, 0
	v_mov_b32_e32 v22, 0
	;; [unrolled: 1-line block ×19, first 2 shown]
                                        ; implicit-def: $sgpr12_sgpr13
                                        ; implicit-def: $vgpr37
	s_and_saveexec_b64 s[8:9], vcc
	s_cbranch_execz .LBB878_114
; %bb.73:
	ds_read_b128 v[2:5], v38 offset:2
	v_mov_b32_e32 v16, s7
	v_cmp_eq_u16_e32 vcc, 0, v15
	v_add_u32_e32 v14, 2, v40
	s_mov_b64 s[14:15], 0
	s_waitcnt lgkmcnt(0)
	v_cndmask_b32_e32 v16, v16, v2, vcc
	v_cmp_ne_u16_e32 vcc, 0, v15
	v_and_b32_e32 v16, 0xffff, v16
	v_cndmask_b32_e64 v17, 0, 1, vcc
	v_lshl_or_b32 v20, v17, 16, v16
	v_cmp_gt_u32_e32 vcc, s74, v14
	v_mov_b32_e32 v21, 0
	v_mov_b32_e32 v22, 0
	;; [unrolled: 1-line block ×19, first 2 shown]
                                        ; implicit-def: $sgpr12_sgpr13
                                        ; implicit-def: $vgpr37
	s_and_saveexec_b64 s[10:11], vcc
	s_cbranch_execz .LBB878_113
; %bb.74:
	v_mov_b32_e32 v22, 0
	v_lshrrev_b32_e32 v2, 16, v2
	v_mov_b32_e32 v16, s7
	v_cmp_eq_u16_sdwa vcc, v15, v22 src0_sel:WORD_1 src1_sel:DWORD
	v_cndmask_b32_e32 v2, v16, v2, vcc
	v_cmp_ne_u16_sdwa s[12:13], v15, v22 src0_sel:WORD_1 src1_sel:DWORD
	v_add_u32_e32 v14, 3, v40
	v_and_b32_e32 v2, 0xffff, v2
	v_cndmask_b32_e64 v15, 0, 1, s[12:13]
	v_lshl_or_b32 v21, v15, 16, v2
	v_cmp_gt_u32_e32 vcc, s74, v14
	v_mov_b32_e32 v16, 0
	v_mov_b32_e32 v23, 0
	;; [unrolled: 1-line block ×17, first 2 shown]
                                        ; implicit-def: $sgpr16_sgpr17
                                        ; implicit-def: $vgpr37
	s_and_saveexec_b64 s[12:13], vcc
	s_cbranch_execz .LBB878_112
; %bb.75:
	v_mov_b32_e32 v14, s7
	v_cmp_eq_u16_e32 vcc, 0, v12
	v_cndmask_b32_e32 v14, v14, v3, vcc
	v_cmp_ne_u16_e32 vcc, 0, v12
	v_add_u32_e32 v2, 4, v40
	v_and_b32_e32 v14, 0xffff, v14
	v_cndmask_b32_e64 v15, 0, 1, vcc
	v_lshl_or_b32 v22, v15, 16, v14
	v_cmp_gt_u32_e32 vcc, s74, v2
	s_mov_b64 s[18:19], 0
	v_mov_b32_e32 v16, 0
	v_mov_b32_e32 v23, 0
	;; [unrolled: 1-line block ×17, first 2 shown]
                                        ; implicit-def: $sgpr16_sgpr17
                                        ; implicit-def: $vgpr37
	s_and_saveexec_b64 s[14:15], vcc
	s_cbranch_execz .LBB878_111
; %bb.76:
	v_mov_b32_e32 v23, 0
	v_lshrrev_b32_e32 v2, 16, v3
	v_mov_b32_e32 v14, s7
	v_cmp_eq_u16_sdwa vcc, v12, v23 src0_sel:WORD_1 src1_sel:DWORD
	v_cndmask_b32_e32 v2, v14, v2, vcc
	v_cmp_ne_u16_sdwa s[16:17], v12, v23 src0_sel:WORD_1 src1_sel:DWORD
	v_add_u32_e32 v3, 5, v40
	v_and_b32_e32 v2, 0xffff, v2
	v_cndmask_b32_e64 v12, 0, 1, s[16:17]
	v_lshl_or_b32 v16, v12, 16, v2
	v_cmp_gt_u32_e32 vcc, s74, v3
	v_mov_b32_e32 v17, 0
	v_mov_b32_e32 v24, 0
	;; [unrolled: 1-line block ×15, first 2 shown]
                                        ; implicit-def: $sgpr20_sgpr21
                                        ; implicit-def: $vgpr37
	s_and_saveexec_b64 s[16:17], vcc
	s_cbranch_execz .LBB878_110
; %bb.77:
	v_mov_b32_e32 v3, s7
	v_cmp_eq_u16_e32 vcc, 0, v13
	v_cndmask_b32_e32 v3, v3, v4, vcc
	v_cmp_ne_u16_e32 vcc, 0, v13
	v_add_u32_e32 v2, 6, v40
	v_and_b32_e32 v3, 0xffff, v3
	v_cndmask_b32_e64 v12, 0, 1, vcc
	v_lshl_or_b32 v23, v12, 16, v3
	v_cmp_gt_u32_e32 vcc, s74, v2
	s_mov_b64 s[22:23], 0
	v_mov_b32_e32 v17, 0
	v_mov_b32_e32 v24, 0
	;; [unrolled: 1-line block ×15, first 2 shown]
                                        ; implicit-def: $sgpr20_sgpr21
                                        ; implicit-def: $vgpr37
	s_and_saveexec_b64 s[18:19], vcc
	s_cbranch_execz .LBB878_109
; %bb.78:
	v_mov_b32_e32 v24, 0
	v_lshrrev_b32_e32 v2, 16, v4
	v_mov_b32_e32 v4, s7
	v_cmp_eq_u16_sdwa vcc, v13, v24 src0_sel:WORD_1 src1_sel:DWORD
	v_cndmask_b32_e32 v2, v4, v2, vcc
	v_cmp_ne_u16_sdwa s[20:21], v13, v24 src0_sel:WORD_1 src1_sel:DWORD
	v_add_u32_e32 v3, 7, v40
	v_and_b32_e32 v2, 0xffff, v2
	v_cndmask_b32_e64 v4, 0, 1, s[20:21]
	v_lshl_or_b32 v17, v4, 16, v2
	v_cmp_gt_u32_e32 vcc, s74, v3
	v_mov_b32_e32 v25, 0
	v_mov_b32_e32 v26, 0
	;; [unrolled: 1-line block ×13, first 2 shown]
                                        ; implicit-def: $sgpr24_sgpr25
                                        ; implicit-def: $vgpr37
	s_and_saveexec_b64 s[20:21], vcc
	s_cbranch_execz .LBB878_108
; %bb.79:
	v_mov_b32_e32 v3, s7
	v_cmp_eq_u16_e32 vcc, 0, v10
	v_cndmask_b32_e32 v3, v3, v5, vcc
	v_cmp_ne_u16_e32 vcc, 0, v10
	v_add_u32_e32 v2, 8, v40
	v_and_b32_e32 v3, 0xffff, v3
	v_cndmask_b32_e64 v4, 0, 1, vcc
	v_lshl_or_b32 v24, v4, 16, v3
	v_cmp_gt_u32_e32 vcc, s74, v2
	s_mov_b64 s[26:27], 0
	v_mov_b32_e32 v25, 0
	v_mov_b32_e32 v26, 0
	;; [unrolled: 1-line block ×13, first 2 shown]
                                        ; implicit-def: $sgpr24_sgpr25
                                        ; implicit-def: $vgpr37
	s_and_saveexec_b64 s[22:23], vcc
	s_cbranch_execz .LBB878_107
; %bb.80:
	v_mov_b32_e32 v26, 0
	v_lshrrev_b32_e32 v2, 16, v5
	v_mov_b32_e32 v4, s7
	v_cmp_eq_u16_sdwa vcc, v10, v26 src0_sel:WORD_1 src1_sel:DWORD
	v_cndmask_b32_e32 v2, v4, v2, vcc
	v_cmp_ne_u16_sdwa s[24:25], v10, v26 src0_sel:WORD_1 src1_sel:DWORD
	v_add_u32_e32 v3, 9, v40
	v_and_b32_e32 v2, 0xffff, v2
	v_cndmask_b32_e64 v4, 0, 1, s[24:25]
	v_lshl_or_b32 v25, v4, 16, v2
	v_cmp_gt_u32_e32 vcc, s74, v3
	v_mov_b32_e32 v27, 0
	v_mov_b32_e32 v28, 0
	;; [unrolled: 1-line block ×11, first 2 shown]
                                        ; implicit-def: $sgpr28_sgpr29
                                        ; implicit-def: $vgpr37
	s_and_saveexec_b64 s[24:25], vcc
	s_cbranch_execz .LBB878_106
; %bb.81:
	ds_read_b128 v[2:5], v38 offset:18
	v_mov_b32_e32 v12, s7
	v_cmp_eq_u16_e32 vcc, 0, v11
	v_add_u32_e32 v10, 10, v40
	s_mov_b64 s[30:31], 0
	s_waitcnt lgkmcnt(0)
	v_cndmask_b32_e32 v12, v12, v2, vcc
	v_cmp_ne_u16_e32 vcc, 0, v11
	v_and_b32_e32 v12, 0xffff, v12
	v_cndmask_b32_e64 v13, 0, 1, vcc
	v_lshl_or_b32 v26, v13, 16, v12
	v_cmp_gt_u32_e32 vcc, s74, v10
	v_mov_b32_e32 v27, 0
	v_mov_b32_e32 v28, 0
	;; [unrolled: 1-line block ×11, first 2 shown]
                                        ; implicit-def: $sgpr28_sgpr29
                                        ; implicit-def: $vgpr37
	s_and_saveexec_b64 s[26:27], vcc
	s_cbranch_execz .LBB878_105
; %bb.82:
	v_mov_b32_e32 v28, 0
	v_lshrrev_b32_e32 v2, 16, v2
	v_mov_b32_e32 v12, s7
	v_cmp_eq_u16_sdwa vcc, v11, v28 src0_sel:WORD_1 src1_sel:DWORD
	v_cndmask_b32_e32 v2, v12, v2, vcc
	v_cmp_ne_u16_sdwa s[28:29], v11, v28 src0_sel:WORD_1 src1_sel:DWORD
	v_add_u32_e32 v10, 11, v40
	v_and_b32_e32 v2, 0xffff, v2
	v_cndmask_b32_e64 v11, 0, 1, s[28:29]
	v_lshl_or_b32 v27, v11, 16, v2
	v_cmp_gt_u32_e32 vcc, s74, v10
	v_mov_b32_e32 v29, 0
	v_mov_b32_e32 v30, 0
	;; [unrolled: 1-line block ×9, first 2 shown]
                                        ; implicit-def: $sgpr34_sgpr35
                                        ; implicit-def: $vgpr37
	s_and_saveexec_b64 s[28:29], vcc
	s_cbranch_execz .LBB878_104
; %bb.83:
	v_mov_b32_e32 v10, s7
	v_cmp_eq_u16_e32 vcc, 0, v8
	v_cndmask_b32_e32 v10, v10, v3, vcc
	v_cmp_ne_u16_e32 vcc, 0, v8
	v_add_u32_e32 v2, 12, v40
	v_and_b32_e32 v10, 0xffff, v10
	v_cndmask_b32_e64 v11, 0, 1, vcc
	v_lshl_or_b32 v28, v11, 16, v10
	v_cmp_gt_u32_e32 vcc, s74, v2
	s_mov_b64 s[36:37], 0
	v_mov_b32_e32 v29, 0
	v_mov_b32_e32 v30, 0
	;; [unrolled: 1-line block ×9, first 2 shown]
                                        ; implicit-def: $sgpr34_sgpr35
                                        ; implicit-def: $vgpr37
	s_and_saveexec_b64 s[30:31], vcc
	s_cbranch_execz .LBB878_103
; %bb.84:
	v_mov_b32_e32 v30, 0
	v_lshrrev_b32_e32 v2, 16, v3
	v_mov_b32_e32 v10, s7
	v_cmp_eq_u16_sdwa vcc, v8, v30 src0_sel:WORD_1 src1_sel:DWORD
	v_cndmask_b32_e32 v2, v10, v2, vcc
	v_cmp_ne_u16_sdwa s[34:35], v8, v30 src0_sel:WORD_1 src1_sel:DWORD
	v_add_u32_e32 v3, 13, v40
	v_and_b32_e32 v2, 0xffff, v2
	v_cndmask_b32_e64 v8, 0, 1, s[34:35]
	v_lshl_or_b32 v29, v8, 16, v2
	v_cmp_gt_u32_e32 vcc, s74, v3
	v_mov_b32_e32 v31, 0
	v_mov_b32_e32 v32, 0
	v_mov_b32_e32 v33, 0
	v_mov_b32_e32 v18, 0
	v_mov_b32_e32 v34, 0
	v_mov_b32_e32 v19, 0
	v_mov_b32_e32 v35, 0
                                        ; implicit-def: $sgpr38_sgpr39
                                        ; implicit-def: $vgpr37
	s_and_saveexec_b64 s[34:35], vcc
	s_cbranch_execz .LBB878_102
; %bb.85:
	v_mov_b32_e32 v3, s7
	v_cmp_eq_u16_e32 vcc, 0, v9
	v_cndmask_b32_e32 v3, v3, v4, vcc
	v_cmp_ne_u16_e32 vcc, 0, v9
	v_add_u32_e32 v2, 14, v40
	v_and_b32_e32 v3, 0xffff, v3
	v_cndmask_b32_e64 v8, 0, 1, vcc
	v_lshl_or_b32 v30, v8, 16, v3
	v_cmp_gt_u32_e32 vcc, s74, v2
	s_mov_b64 s[40:41], 0
	v_mov_b32_e32 v31, 0
	v_mov_b32_e32 v32, 0
	;; [unrolled: 1-line block ×7, first 2 shown]
                                        ; implicit-def: $sgpr38_sgpr39
                                        ; implicit-def: $vgpr37
	s_and_saveexec_b64 s[36:37], vcc
	s_cbranch_execz .LBB878_101
; %bb.86:
	v_mov_b32_e32 v32, 0
	v_lshrrev_b32_e32 v2, 16, v4
	v_mov_b32_e32 v4, s7
	v_cmp_eq_u16_sdwa vcc, v9, v32 src0_sel:WORD_1 src1_sel:DWORD
	v_cndmask_b32_e32 v2, v4, v2, vcc
	v_cmp_ne_u16_sdwa s[38:39], v9, v32 src0_sel:WORD_1 src1_sel:DWORD
	v_add_u32_e32 v3, 15, v40
	v_and_b32_e32 v2, 0xffff, v2
	v_cndmask_b32_e64 v4, 0, 1, s[38:39]
	v_lshl_or_b32 v31, v4, 16, v2
	v_cmp_gt_u32_e32 vcc, s74, v3
	v_mov_b32_e32 v33, 0
	v_mov_b32_e32 v18, 0
	;; [unrolled: 1-line block ×5, first 2 shown]
                                        ; implicit-def: $sgpr42_sgpr43
                                        ; implicit-def: $vgpr37
	s_and_saveexec_b64 s[38:39], vcc
	s_cbranch_execz .LBB878_100
; %bb.87:
	v_mov_b32_e32 v3, s7
	v_cmp_eq_u16_e32 vcc, 0, v6
	v_cndmask_b32_e32 v3, v3, v5, vcc
	v_cmp_ne_u16_e32 vcc, 0, v6
	v_add_u32_e32 v2, 16, v40
	v_and_b32_e32 v3, 0xffff, v3
	v_cndmask_b32_e64 v4, 0, 1, vcc
	v_lshl_or_b32 v32, v4, 16, v3
	v_cmp_gt_u32_e32 vcc, s74, v2
	s_mov_b64 s[44:45], 0
	v_mov_b32_e32 v33, 0
	v_mov_b32_e32 v18, 0
	;; [unrolled: 1-line block ×5, first 2 shown]
                                        ; implicit-def: $sgpr42_sgpr43
                                        ; implicit-def: $vgpr37
	s_and_saveexec_b64 s[40:41], vcc
	s_cbranch_execz .LBB878_99
; %bb.88:
	v_mov_b32_e32 v18, 0
	v_lshrrev_b32_e32 v2, 16, v5
	v_mov_b32_e32 v4, s7
	v_cmp_eq_u16_sdwa vcc, v6, v18 src0_sel:WORD_1 src1_sel:DWORD
	v_cndmask_b32_e32 v2, v4, v2, vcc
	v_cmp_ne_u16_sdwa s[42:43], v6, v18 src0_sel:WORD_1 src1_sel:DWORD
	v_add_u32_e32 v3, 17, v40
	v_and_b32_e32 v2, 0xffff, v2
	v_cndmask_b32_e64 v4, 0, 1, s[42:43]
	v_lshl_or_b32 v33, v4, 16, v2
	v_cmp_gt_u32_e32 vcc, s74, v3
	v_mov_b32_e32 v34, 0
	v_mov_b32_e32 v19, 0
	;; [unrolled: 1-line block ×3, first 2 shown]
                                        ; implicit-def: $sgpr46_sgpr47
                                        ; implicit-def: $vgpr37
	s_and_saveexec_b64 s[42:43], vcc
	s_cbranch_execz .LBB878_98
; %bb.89:
	ds_read_b64 v[2:3], v38 offset:34
	v_mov_b32_e32 v5, s7
	v_cmp_eq_u16_e32 vcc, 0, v7
	v_add_u32_e32 v4, 18, v40
	s_mov_b64 s[48:49], 0
	s_waitcnt lgkmcnt(0)
	v_cndmask_b32_e32 v5, v5, v2, vcc
	v_cmp_ne_u16_e32 vcc, 0, v7
	v_and_b32_e32 v5, 0xffff, v5
	v_cndmask_b32_e64 v6, 0, 1, vcc
	v_lshl_or_b32 v18, v6, 16, v5
	v_cmp_gt_u32_e32 vcc, s74, v4
	v_mov_b32_e32 v34, 0
	v_mov_b32_e32 v19, 0
	;; [unrolled: 1-line block ×3, first 2 shown]
                                        ; implicit-def: $sgpr46_sgpr47
                                        ; implicit-def: $vgpr37
	s_and_saveexec_b64 s[44:45], vcc
	s_cbranch_execz .LBB878_97
; %bb.90:
	v_mov_b32_e32 v19, 0
	v_lshrrev_b32_e32 v2, 16, v2
	v_mov_b32_e32 v5, s7
	v_cmp_eq_u16_sdwa vcc, v7, v19 src0_sel:WORD_1 src1_sel:DWORD
	v_cndmask_b32_e32 v2, v5, v2, vcc
	v_cmp_ne_u16_sdwa s[46:47], v7, v19 src0_sel:WORD_1 src1_sel:DWORD
	v_add_u32_e32 v4, 19, v40
	v_and_b32_e32 v2, 0xffff, v2
	v_cndmask_b32_e64 v5, 0, 1, s[46:47]
	v_lshl_or_b32 v34, v5, 16, v2
	v_cmp_gt_u32_e32 vcc, s74, v4
	v_mov_b32_e32 v35, 0
                                        ; implicit-def: $sgpr56_sgpr57
                                        ; implicit-def: $vgpr37
	s_and_saveexec_b64 s[46:47], vcc
	s_cbranch_execz .LBB878_96
; %bb.91:
	v_mov_b32_e32 v4, s7
	v_cmp_eq_u16_e32 vcc, 0, v39
	v_cndmask_b32_e32 v4, v4, v3, vcc
	v_cmp_ne_u16_e32 vcc, 0, v39
	v_add_u32_e32 v2, 20, v40
	v_and_b32_e32 v4, 0xffff, v4
	v_cndmask_b32_e64 v5, 0, 1, vcc
	v_lshl_or_b32 v19, v5, 16, v4
	v_cmp_gt_u32_e32 vcc, s74, v2
	s_mov_b64 s[68:69], 0
	v_mov_b32_e32 v35, 0
                                        ; implicit-def: $sgpr70_sgpr71
                                        ; implicit-def: $vgpr37
	s_and_saveexec_b64 s[48:49], vcc
	s_cbranch_execz .LBB878_95
; %bb.92:
	v_lshrrev_b32_e32 v2, 16, v3
	v_mov_b32_e32 v3, 0
	v_mov_b32_e32 v5, s7
	v_cmp_eq_u16_sdwa vcc, v39, v3 src0_sel:WORD_1 src1_sel:DWORD
	v_cndmask_b32_e32 v2, v5, v2, vcc
	v_cmp_ne_u16_sdwa s[56:57], v39, v3 src0_sel:WORD_1 src1_sel:DWORD
	v_add_u32_e32 v4, 21, v40
	v_and_b32_e32 v2, 0xffff, v2
	v_cndmask_b32_e64 v3, 0, 1, s[56:57]
	v_lshl_or_b32 v35, v3, 16, v2
	v_cmp_gt_u32_e32 vcc, s74, v4
	s_mov_b64 s[56:57], 0
                                        ; implicit-def: $sgpr68_sgpr69
                                        ; implicit-def: $vgpr37
	s_and_saveexec_b64 s[70:71], vcc
	s_xor_b64 s[70:71], exec, s[70:71]
	s_cbranch_execz .LBB878_94
; %bb.93:
	ds_read_u16 v2, v38 offset:42
	v_mov_b32_e32 v3, s7
	v_cmp_ne_u16_e32 vcc, 0, v36
	s_mov_b64 s[56:57], exec
	s_and_b64 s[68:69], vcc, exec
	s_waitcnt lgkmcnt(0)
	v_cndmask_b32_e32 v37, v2, v3, vcc
.LBB878_94:
	s_or_b64 exec, exec, s[70:71]
	s_and_b64 s[70:71], s[68:69], exec
	s_and_b64 s[68:69], s[56:57], exec
.LBB878_95:
	s_or_b64 exec, exec, s[48:49]
	s_and_b64 s[56:57], s[70:71], exec
	s_and_b64 s[48:49], s[68:69], exec
.LBB878_96:
	s_or_b64 exec, exec, s[46:47]
	s_and_b64 s[46:47], s[56:57], exec
	s_and_b64 s[48:49], s[48:49], exec
.LBB878_97:
	s_or_b64 exec, exec, s[44:45]
	s_and_b64 s[46:47], s[46:47], exec
	s_and_b64 s[44:45], s[48:49], exec
.LBB878_98:
	s_or_b64 exec, exec, s[42:43]
	s_and_b64 s[42:43], s[46:47], exec
	s_and_b64 s[44:45], s[44:45], exec
.LBB878_99:
	s_or_b64 exec, exec, s[40:41]
	s_and_b64 s[42:43], s[42:43], exec
	s_and_b64 s[40:41], s[44:45], exec
.LBB878_100:
	s_or_b64 exec, exec, s[38:39]
	s_and_b64 s[38:39], s[42:43], exec
	s_and_b64 s[40:41], s[40:41], exec
.LBB878_101:
	s_or_b64 exec, exec, s[36:37]
	s_and_b64 s[38:39], s[38:39], exec
	s_and_b64 s[36:37], s[40:41], exec
.LBB878_102:
	s_or_b64 exec, exec, s[34:35]
	s_and_b64 s[34:35], s[38:39], exec
	s_and_b64 s[36:37], s[36:37], exec
.LBB878_103:
	s_or_b64 exec, exec, s[30:31]
	s_and_b64 s[34:35], s[34:35], exec
	s_and_b64 s[30:31], s[36:37], exec
.LBB878_104:
	s_or_b64 exec, exec, s[28:29]
	s_and_b64 s[28:29], s[34:35], exec
	s_and_b64 s[30:31], s[30:31], exec
.LBB878_105:
	s_or_b64 exec, exec, s[26:27]
	s_and_b64 s[28:29], s[28:29], exec
	s_and_b64 s[26:27], s[30:31], exec
.LBB878_106:
	s_or_b64 exec, exec, s[24:25]
	s_and_b64 s[24:25], s[28:29], exec
	s_and_b64 s[26:27], s[26:27], exec
.LBB878_107:
	s_or_b64 exec, exec, s[22:23]
	s_and_b64 s[24:25], s[24:25], exec
	s_and_b64 s[22:23], s[26:27], exec
.LBB878_108:
	s_or_b64 exec, exec, s[20:21]
	s_and_b64 s[20:21], s[24:25], exec
	s_and_b64 s[22:23], s[22:23], exec
.LBB878_109:
	s_or_b64 exec, exec, s[18:19]
	s_and_b64 s[20:21], s[20:21], exec
	s_and_b64 s[18:19], s[22:23], exec
.LBB878_110:
	s_or_b64 exec, exec, s[16:17]
	s_and_b64 s[16:17], s[20:21], exec
	s_and_b64 s[18:19], s[18:19], exec
.LBB878_111:
	s_or_b64 exec, exec, s[14:15]
	s_and_b64 s[16:17], s[16:17], exec
	s_and_b64 s[14:15], s[18:19], exec
.LBB878_112:
	s_or_b64 exec, exec, s[12:13]
	s_and_b64 s[12:13], s[16:17], exec
	s_and_b64 s[14:15], s[14:15], exec
.LBB878_113:
	s_or_b64 exec, exec, s[10:11]
	s_and_b64 s[12:13], s[12:13], exec
	s_and_b64 s[10:11], s[14:15], exec
.LBB878_114:
	s_or_b64 exec, exec, s[8:9]
	s_and_b64 s[8:9], s[12:13], exec
	s_and_b64 s[10:11], s[10:11], exec
.LBB878_115:
	s_or_b64 exec, exec, s[4:5]
	s_and_b64 vcc, exec, s[2:3]
	v_lshlrev_b32_e32 v36, 1, v0
	s_cbranch_vccnz .LBB878_117
	s_branch .LBB878_122
.LBB878_116:
	s_mov_b64 s[10:11], 0
                                        ; implicit-def: $sgpr8_sgpr9
                                        ; implicit-def: $vgpr37
                                        ; implicit-def: $vgpr1
                                        ; implicit-def: $vgpr20
                                        ; implicit-def: $vgpr21
                                        ; implicit-def: $vgpr22
                                        ; implicit-def: $vgpr16
                                        ; implicit-def: $vgpr23
                                        ; implicit-def: $vgpr17
                                        ; implicit-def: $vgpr24
                                        ; implicit-def: $vgpr25
                                        ; implicit-def: $vgpr26
                                        ; implicit-def: $vgpr27
                                        ; implicit-def: $vgpr28
                                        ; implicit-def: $vgpr29
                                        ; implicit-def: $vgpr30
                                        ; implicit-def: $vgpr31
                                        ; implicit-def: $vgpr32
                                        ; implicit-def: $vgpr33
                                        ; implicit-def: $vgpr18
                                        ; implicit-def: $vgpr34
                                        ; implicit-def: $vgpr19
                                        ; implicit-def: $vgpr35
                                        ; implicit-def: $sgpr73
	s_and_b64 vcc, exec, s[2:3]
	v_lshlrev_b32_e32 v36, 1, v0
	s_cbranch_vccz .LBB878_122
.LBB878_117:
	v_mov_b32_e32 v1, s67
	v_add_co_u32_e32 v2, vcc, s66, v36
	v_addc_co_u32_e32 v3, vcc, 0, v1, vcc
	v_add_co_u32_e32 v4, vcc, 0x1000, v2
	v_addc_co_u32_e32 v5, vcc, 0, v3, vcc
	flat_load_ushort v1, v[2:3]
	flat_load_ushort v6, v[2:3] offset:512
	flat_load_ushort v7, v[2:3] offset:1024
	;; [unrolled: 1-line block ×7, first 2 shown]
	v_add_co_u32_e32 v2, vcc, 0x2000, v2
	v_addc_co_u32_e32 v3, vcc, 0, v3, vcc
	flat_load_ushort v13, v[4:5]
	flat_load_ushort v14, v[4:5] offset:512
	flat_load_ushort v15, v[4:5] offset:1024
	;; [unrolled: 1-line block ×7, first 2 shown]
	s_nop 0
	flat_load_ushort v4, v[2:3]
	flat_load_ushort v5, v[2:3] offset:512
	flat_load_ushort v21, v[2:3] offset:1024
	;; [unrolled: 1-line block ×5, first 2 shown]
	v_mov_b32_e32 v2, s66
	v_mov_b32_e32 v3, s67
	v_add_co_u32_e32 v2, vcc, 0x2000, v2
	v_addc_co_u32_e32 v3, vcc, 0, v3, vcc
	s_movk_i32 s2, 0xffd6
	s_movk_i32 s5, 0x1000
	;; [unrolled: 1-line block ×3, first 2 shown]
	s_waitcnt vmcnt(0) lgkmcnt(0)
	ds_write_b16 v36, v1
	ds_write_b16 v36, v6 offset:512
	ds_write_b16 v36, v7 offset:1024
	;; [unrolled: 1-line block ×21, first 2 shown]
	s_waitcnt lgkmcnt(0)
	s_barrier
	flat_load_ushort v37, v[2:3] offset:3072
	v_mad_u32_u24 v1, v0, 42, v36
	v_mad_i32_i24 v2, v0, s2, v1
	s_movk_i32 s2, 0xff
	v_cmp_ne_u32_e32 vcc, s2, v0
	ds_read2_b32 v[20:21], v1 offset1:1
	ds_read2_b32 v[16:17], v1 offset0:2 offset1:3
	ds_read2_b32 v[14:15], v1 offset0:4 offset1:5
	;; [unrolled: 1-line block ×4, first 2 shown]
	ds_read_b32 v35, v1 offset:40
	s_waitcnt lgkmcnt(0)
	ds_write_b16 v2, v20 offset:11776
	s_waitcnt lgkmcnt(0)
	s_barrier
	s_and_saveexec_b64 s[2:3], vcc
	s_cbranch_execz .LBB878_119
; %bb.118:
	s_waitcnt vmcnt(0)
	ds_read_u16 v37, v36 offset:11778
.LBB878_119:
	s_or_b64 exec, exec, s[2:3]
	v_mov_b32_e32 v3, s72
	v_add_co_u32_e32 v2, vcc, s55, v36
	v_addc_co_u32_e32 v3, vcc, 0, v3, vcc
	v_add_co_u32_e32 v4, vcc, s5, v2
	v_addc_co_u32_e32 v5, vcc, 0, v3, vcc
	s_waitcnt lgkmcnt(0)
	s_barrier
	flat_load_ushort v6, v[2:3]
	flat_load_ushort v7, v[2:3] offset:512
	flat_load_ushort v8, v[2:3] offset:1024
	;; [unrolled: 1-line block ×7, first 2 shown]
	v_add_co_u32_e32 v2, vcc, s4, v2
	v_addc_co_u32_e32 v3, vcc, 0, v3, vcc
	flat_load_ushort v24, v[4:5]
	flat_load_ushort v25, v[4:5] offset:512
	flat_load_ushort v26, v[4:5] offset:1024
	;; [unrolled: 1-line block ×7, first 2 shown]
	s_nop 0
	flat_load_ushort v4, v[2:3]
	flat_load_ushort v5, v[2:3] offset:512
	flat_load_ushort v32, v[2:3] offset:1024
	;; [unrolled: 1-line block ×5, first 2 shown]
	v_mov_b32_e32 v39, 0
	v_cmp_eq_u16_sdwa s[4:5], v20, v39 src0_sel:WORD_1 src1_sel:DWORD
	v_mov_b32_e32 v20, 0x10000
	s_waitcnt vmcnt(0) lgkmcnt(0)
	ds_write_b16 v36, v6
	ds_write_b16 v36, v7 offset:512
	ds_write_b16 v36, v8 offset:1024
	;; [unrolled: 1-line block ×21, first 2 shown]
	s_waitcnt lgkmcnt(0)
	s_barrier
	ds_read_b128 v[6:9], v1 offset:2
	ds_read_b128 v[2:5], v1 offset:18
	ds_read_b64 v[18:19], v1 offset:34
	ds_read_u16 v38, v1 offset:42
	v_mov_b32_e32 v22, s7
	s_and_saveexec_b64 s[2:3], s[4:5]
	s_cbranch_execz .LBB878_121
; %bb.120:
	ds_read_u16 v22, v1
	v_mov_b32_e32 v20, 0
.LBB878_121:
	s_or_b64 exec, exec, s[2:3]
	v_mov_b32_e32 v41, s7
	v_cmp_eq_u16_e32 vcc, 0, v21
	s_waitcnt lgkmcnt(3)
	v_lshrrev_b32_e32 v23, 16, v6
	v_cndmask_b32_e32 v6, v41, v6, vcc
	v_cmp_ne_u16_e32 vcc, 0, v21
	s_waitcnt lgkmcnt(0)
	v_or_b32_sdwa v1, v20, v22 dst_sel:DWORD dst_unused:UNUSED_PAD src0_sel:DWORD src1_sel:WORD_0
	v_and_b32_e32 v6, 0xffff, v6
	v_cndmask_b32_e64 v20, 0, 1, vcc
	v_cmp_eq_u16_sdwa vcc, v21, v39 src0_sel:WORD_1 src1_sel:DWORD
	v_lshl_or_b32 v20, v20, 16, v6
	v_cndmask_b32_e32 v6, v41, v23, vcc
	v_cmp_ne_u16_sdwa s[2:3], v21, v39 src0_sel:WORD_1 src1_sel:DWORD
	v_and_b32_e32 v6, 0xffff, v6
	v_cndmask_b32_e64 v21, 0, 1, s[2:3]
	v_cmp_eq_u16_e32 vcc, 0, v16
	v_lshl_or_b32 v21, v21, 16, v6
	v_cndmask_b32_e32 v6, v41, v7, vcc
	v_cmp_ne_u16_e32 vcc, 0, v16
	v_lshrrev_b32_e32 v24, 16, v7
	v_and_b32_e32 v6, 0xffff, v6
	v_cndmask_b32_e64 v7, 0, 1, vcc
	v_cmp_eq_u16_sdwa vcc, v16, v39 src0_sel:WORD_1 src1_sel:DWORD
	v_lshl_or_b32 v22, v7, 16, v6
	v_cndmask_b32_e32 v6, v41, v24, vcc
	v_cmp_ne_u16_sdwa s[2:3], v16, v39 src0_sel:WORD_1 src1_sel:DWORD
	v_and_b32_e32 v6, 0xffff, v6
	v_cndmask_b32_e64 v7, 0, 1, s[2:3]
	v_cmp_eq_u16_e32 vcc, 0, v17
	v_lshl_or_b32 v16, v7, 16, v6
	v_cndmask_b32_e32 v6, v41, v8, vcc
	v_cmp_ne_u16_e32 vcc, 0, v17
	v_lshrrev_b32_e32 v25, 16, v8
	v_and_b32_e32 v6, 0xffff, v6
	v_cndmask_b32_e64 v7, 0, 1, vcc
	v_cmp_eq_u16_sdwa vcc, v17, v39 src0_sel:WORD_1 src1_sel:DWORD
	v_lshl_or_b32 v23, v7, 16, v6
	v_cndmask_b32_e32 v6, v41, v25, vcc
	v_cmp_ne_u16_sdwa s[2:3], v17, v39 src0_sel:WORD_1 src1_sel:DWORD
	v_and_b32_e32 v6, 0xffff, v6
	v_cndmask_b32_e64 v7, 0, 1, s[2:3]
	v_cmp_eq_u16_e32 vcc, 0, v14
	v_lshl_or_b32 v17, v7, 16, v6
	v_cndmask_b32_e32 v6, v41, v9, vcc
	v_cmp_ne_u16_e32 vcc, 0, v14
	v_lshrrev_b32_e32 v26, 16, v9
	v_and_b32_e32 v6, 0xffff, v6
	v_cndmask_b32_e64 v7, 0, 1, vcc
	v_cmp_eq_u16_sdwa vcc, v14, v39 src0_sel:WORD_1 src1_sel:DWORD
	v_lshl_or_b32 v24, v7, 16, v6
	v_cndmask_b32_e32 v6, v41, v26, vcc
	v_cmp_ne_u16_sdwa s[2:3], v14, v39 src0_sel:WORD_1 src1_sel:DWORD
	v_cmp_eq_u16_e32 vcc, 0, v15
	v_lshrrev_b32_e32 v27, 16, v2
	v_and_b32_e32 v6, 0xffff, v6
	v_cndmask_b32_e64 v7, 0, 1, s[2:3]
	v_cndmask_b32_e32 v2, v41, v2, vcc
	v_cmp_ne_u16_e32 vcc, 0, v15
	v_lshl_or_b32 v25, v7, 16, v6
	v_and_b32_e32 v2, 0xffff, v2
	v_cndmask_b32_e64 v6, 0, 1, vcc
	v_cmp_eq_u16_sdwa vcc, v15, v39 src0_sel:WORD_1 src1_sel:DWORD
	v_lshl_or_b32 v26, v6, 16, v2
	v_cndmask_b32_e32 v2, v41, v27, vcc
	v_cmp_ne_u16_sdwa s[2:3], v15, v39 src0_sel:WORD_1 src1_sel:DWORD
	v_and_b32_e32 v2, 0xffff, v2
	v_cndmask_b32_e64 v6, 0, 1, s[2:3]
	v_cmp_eq_u16_e32 vcc, 0, v12
	v_lshl_or_b32 v27, v6, 16, v2
	v_cndmask_b32_e32 v2, v41, v3, vcc
	v_cmp_ne_u16_e32 vcc, 0, v12
	v_lshrrev_b32_e32 v29, 16, v3
	v_and_b32_e32 v2, 0xffff, v2
	v_cndmask_b32_e64 v3, 0, 1, vcc
	v_cmp_eq_u16_sdwa vcc, v12, v39 src0_sel:WORD_1 src1_sel:DWORD
	v_lshl_or_b32 v28, v3, 16, v2
	v_cndmask_b32_e32 v2, v41, v29, vcc
	v_cmp_ne_u16_sdwa s[2:3], v12, v39 src0_sel:WORD_1 src1_sel:DWORD
	v_and_b32_e32 v2, 0xffff, v2
	v_cndmask_b32_e64 v3, 0, 1, s[2:3]
	v_cmp_eq_u16_e32 vcc, 0, v13
	v_lshl_or_b32 v29, v3, 16, v2
	v_cndmask_b32_e32 v2, v41, v4, vcc
	v_cmp_ne_u16_e32 vcc, 0, v13
	v_lshrrev_b32_e32 v31, 16, v4
	;; [unrolled: 13-line block ×5, first 2 shown]
	v_and_b32_e32 v2, 0xffff, v2
	v_cndmask_b32_e64 v3, 0, 1, vcc
	v_cmp_eq_u16_sdwa vcc, v35, v39 src0_sel:WORD_1 src1_sel:DWORD
	v_lshl_or_b32 v19, v3, 16, v2
	v_cndmask_b32_e32 v2, v41, v40, vcc
	v_cmp_ne_u16_sdwa s[2:3], v35, v39 src0_sel:WORD_1 src1_sel:DWORD
	v_and_b32_e32 v2, 0xffff, v2
	v_cndmask_b32_e64 v3, 0, 1, s[2:3]
	v_cmp_ne_u16_e64 s[8:9], 0, v37
	v_lshl_or_b32 v35, v3, 16, v2
	v_cndmask_b32_e64 v37, v38, v41, s[8:9]
	s_mov_b64 s[10:11], -1
                                        ; implicit-def: $sgpr73
.LBB878_122:
	v_mov_b32_e32 v12, s73
	s_and_saveexec_b64 s[2:3], s[10:11]
; %bb.123:
	v_mov_b32_e32 v2, 0x10000
	v_cndmask_b32_e64 v2, 0, v2, s[8:9]
	v_or_b32_sdwa v12, v2, v37 dst_sel:DWORD dst_unused:UNUSED_PAD src0_sel:DWORD src1_sel:WORD_0
; %bb.124:
	s_or_b64 exec, exec, s[2:3]
	v_or3_b32 v2, v12, v35, v19
	s_cmp_lg_u32 s6, 0
	v_or3_b32 v15, v2, v34, v18
	v_lshrrev_b32_e32 v13, 16, v1
	v_lshrrev_b32_e32 v14, 5, v0
	v_cmp_gt_u32_e32 vcc, 64, v0
	s_barrier
	s_cbranch_scc0 .LBB878_209
; %bb.125:
	s_mov_b32 s44, 0x10000
	v_cmp_gt_u32_e64 s[2:3], s44, v20
	v_cndmask_b32_e64 v2, 0, v1, s[2:3]
	v_add_u16_e32 v2, v2, v20
	v_cmp_gt_u32_e64 s[4:5], s44, v21
	v_cndmask_b32_e64 v2, 0, v2, s[4:5]
	v_add_u16_e32 v2, v2, v21
	;; [unrolled: 3-line block ×21, first 2 shown]
	v_or3_b32 v2, v15, v33, v32
	v_or3_b32 v2, v2, v31, v30
	;; [unrolled: 1-line block ×8, first 2 shown]
	v_and_b32_e32 v2, 0x10000, v2
	v_cmp_ne_u32_e64 s[44:45], 0, v2
	v_mov_b32_e32 v5, 0x10000
	v_cndmask_b32_e64 v38, v13, 1, s[44:45]
	v_add_lshl_u32 v2, v14, v0, 2
	ds_write_b16 v2, v37
	ds_write_b8 v2, v38 offset:2
	s_waitcnt lgkmcnt(0)
	s_barrier
	s_and_saveexec_b64 s[46:47], vcc
	s_cbranch_execz .LBB878_139
; %bb.126:
	v_lshlrev_b32_e32 v2, 2, v0
	v_lshrrev_b32_e32 v3, 3, v0
	v_add_lshl_u32 v2, v3, v2, 2
	ds_read_b32 v3, v2
	ds_read_u16 v4, v2 offset:4
	ds_read_u8 v6, v2 offset:6
	ds_read_u16 v7, v2 offset:8
	ds_read_u8 v8, v2 offset:10
	;; [unrolled: 2-line block ×3, first 2 shown]
	v_mov_b32_e32 v11, 0
	s_waitcnt lgkmcnt(4)
	v_cmp_eq_u16_sdwa s[44:45], v6, v11 src0_sel:BYTE_0 src1_sel:DWORD
	v_cndmask_b32_e64 v39, 0, v3, s[44:45]
	v_add_u16_e32 v39, v39, v4
	s_waitcnt lgkmcnt(2)
	v_cmp_eq_u16_sdwa s[44:45], v8, v11 src0_sel:BYTE_0 src1_sel:DWORD
	s_waitcnt lgkmcnt(0)
	v_or_b32_e32 v8, v10, v8
	v_cndmask_b32_e64 v11, 0, v39, s[44:45]
	v_or_b32_e32 v6, v8, v6
	v_add_u16_e32 v7, v11, v7
	v_cmp_eq_u16_e64 s[44:45], 0, v10
	v_and_b32_e32 v6, 1, v6
	v_and_b32_e32 v4, 0x10000, v3
	v_cndmask_b32_e64 v11, 0, v7, s[44:45]
	v_cmp_eq_u32_e64 s[44:45], 1, v6
	v_mbcnt_lo_u32_b32 v6, -1, 0
	v_add_u16_e32 v7, v11, v9
	v_cndmask_b32_e64 v39, v4, v5, s[44:45]
	v_add_u16_e32 v9, v11, v9
	v_and_b32_e32 v5, 0xff000000, v3
	v_mbcnt_hi_u32_b32 v6, -1, v6
	v_or_b32_e32 v10, v39, v5
	v_and_b32_e32 v11, 15, v6
	v_or3_b32 v9, v5, v9, v39
	s_movk_i32 s55, 0xff
	v_lshrrev_b32_e32 v8, 16, v10
	v_mov_b32_dpp v39, v9 row_shr:1 row_mask:0xf bank_mask:0xf
	v_cmp_ne_u32_e64 s[44:45], 0, v11
	s_and_saveexec_b64 s[56:57], s[44:45]
	s_cbranch_execz .LBB878_128
; %bb.127:
	v_and_b32_sdwa v8, v10, s55 dst_sel:DWORD dst_unused:UNUSED_PAD src0_sel:WORD_1 src1_sel:DWORD
	v_cmp_eq_u16_e64 s[44:45], 0, v8
	v_and_b32_e32 v8, 0x10000, v10
	v_mov_b32_e32 v10, 1
	v_cndmask_b32_e64 v9, 0, v39, s[44:45]
	v_and_b32_sdwa v10, v39, v10 dst_sel:DWORD dst_unused:UNUSED_PAD src0_sel:WORD_1 src1_sel:DWORD
	v_cmp_ne_u32_e64 s[44:45], 0, v8
	v_cndmask_b32_e64 v8, v10, 1, s[44:45]
	v_add_u16_e32 v40, v9, v7
	v_lshlrev_b32_e32 v10, 16, v8
	v_add_u16_e32 v7, v9, v7
	v_or3_b32 v9, v10, v7, v5
	v_mov_b32_e32 v7, v40
.LBB878_128:
	s_or_b64 exec, exec, s[56:57]
	v_lshrrev_b32_e32 v10, 16, v9
	v_mov_b32_dpp v39, v9 row_shr:2 row_mask:0xf bank_mask:0xf
	v_cmp_lt_u32_e64 s[44:45], 1, v11
	s_and_saveexec_b64 s[56:57], s[44:45]
	s_cbranch_execz .LBB878_130
; %bb.129:
	v_mov_b32_e32 v8, 0
	v_cmp_eq_u16_sdwa s[44:45], v10, v8 src0_sel:BYTE_0 src1_sel:DWORD
	v_and_b32_e32 v8, 0x10000, v9
	v_mov_b32_e32 v9, 1
	v_cndmask_b32_e64 v10, 0, v39, s[44:45]
	v_and_b32_sdwa v9, v39, v9 dst_sel:DWORD dst_unused:UNUSED_PAD src0_sel:WORD_1 src1_sel:DWORD
	v_cmp_ne_u32_e64 s[44:45], 0, v8
	v_cndmask_b32_e64 v8, v9, 1, s[44:45]
	v_add_u16_e32 v40, v10, v7
	v_lshlrev_b32_e32 v9, 16, v8
	v_add_u16_e32 v7, v10, v7
	v_or3_b32 v9, v9, v7, v5
	v_mov_b32_e32 v10, v8
	v_mov_b32_e32 v7, v40
.LBB878_130:
	s_or_b64 exec, exec, s[56:57]
	v_mov_b32_dpp v39, v9 row_shr:4 row_mask:0xf bank_mask:0xf
	v_cmp_lt_u32_e64 s[44:45], 3, v11
	s_and_saveexec_b64 s[56:57], s[44:45]
	s_cbranch_execz .LBB878_132
; %bb.131:
	v_mov_b32_e32 v8, 0
	v_cmp_eq_u16_sdwa s[44:45], v10, v8 src0_sel:BYTE_0 src1_sel:DWORD
	v_and_b32_e32 v8, 1, v10
	v_mov_b32_e32 v10, 1
	v_cndmask_b32_e64 v9, 0, v39, s[44:45]
	v_and_b32_sdwa v10, v39, v10 dst_sel:DWORD dst_unused:UNUSED_PAD src0_sel:WORD_1 src1_sel:DWORD
	v_cmp_eq_u32_e64 s[44:45], 1, v8
	v_cndmask_b32_e64 v8, v10, 1, s[44:45]
	v_add_u16_e32 v40, v9, v7
	v_lshlrev_b32_e32 v10, 16, v8
	v_add_u16_e32 v7, v9, v7
	v_or3_b32 v9, v10, v7, v5
	v_mov_b32_e32 v10, v8
	v_mov_b32_e32 v7, v40
.LBB878_132:
	s_or_b64 exec, exec, s[56:57]
	v_mov_b32_dpp v39, v9 row_shr:8 row_mask:0xf bank_mask:0xf
	v_cmp_lt_u32_e64 s[44:45], 7, v11
	s_and_saveexec_b64 s[56:57], s[44:45]
	s_cbranch_execz .LBB878_134
; %bb.133:
	v_mov_b32_e32 v8, 0
	v_cmp_eq_u16_sdwa s[44:45], v10, v8 src0_sel:BYTE_0 src1_sel:DWORD
	v_and_b32_e32 v8, 1, v10
	v_mov_b32_e32 v10, 1
	v_cndmask_b32_e64 v9, 0, v39, s[44:45]
	v_and_b32_sdwa v10, v39, v10 dst_sel:DWORD dst_unused:UNUSED_PAD src0_sel:WORD_1 src1_sel:DWORD
	v_cmp_eq_u32_e64 s[44:45], 1, v8
	v_cndmask_b32_e64 v8, v10, 1, s[44:45]
	v_add_u16_e32 v11, v9, v7
	v_lshlrev_b32_e32 v10, 16, v8
	v_add_u16_e32 v7, v9, v7
	v_or3_b32 v9, v10, v7, v5
	v_mov_b32_e32 v10, v8
	v_mov_b32_e32 v7, v11
.LBB878_134:
	s_or_b64 exec, exec, s[56:57]
	v_and_b32_e32 v39, 16, v6
	v_mov_b32_dpp v11, v9 row_bcast:15 row_mask:0xf bank_mask:0xf
	v_cmp_ne_u32_e64 s[44:45], 0, v39
	s_and_saveexec_b64 s[56:57], s[44:45]
	s_cbranch_execz .LBB878_136
; %bb.135:
	v_mov_b32_e32 v8, 0
	v_cmp_eq_u16_sdwa s[44:45], v10, v8 src0_sel:BYTE_0 src1_sel:DWORD
	v_and_b32_e32 v8, 1, v10
	v_mov_b32_e32 v10, 1
	v_cndmask_b32_e64 v9, 0, v11, s[44:45]
	v_and_b32_sdwa v10, v11, v10 dst_sel:DWORD dst_unused:UNUSED_PAD src0_sel:WORD_1 src1_sel:DWORD
	v_cmp_eq_u32_e64 s[44:45], 1, v8
	v_cndmask_b32_e64 v8, v10, 1, s[44:45]
	v_add_u16_e32 v39, v9, v7
	v_lshlrev_b32_e32 v10, 16, v8
	v_add_u16_e32 v7, v9, v7
	v_or3_b32 v9, v10, v7, v5
	v_mov_b32_e32 v10, v8
	v_mov_b32_e32 v7, v39
.LBB878_136:
	s_or_b64 exec, exec, s[56:57]
	v_mov_b32_dpp v9, v9 row_bcast:31 row_mask:0xf bank_mask:0xf
	v_cmp_lt_u32_e64 s[44:45], 31, v6
	s_and_saveexec_b64 s[56:57], s[44:45]
; %bb.137:
	v_mov_b32_e32 v8, 0
	v_cmp_eq_u16_sdwa s[44:45], v10, v8 src0_sel:BYTE_0 src1_sel:DWORD
	v_cndmask_b32_e64 v8, 0, v9, s[44:45]
	v_add_u16_e32 v7, v8, v7
	v_and_b32_e32 v8, 1, v10
	v_mov_b32_e32 v10, 1
	v_and_b32_sdwa v9, v9, v10 dst_sel:DWORD dst_unused:UNUSED_PAD src0_sel:WORD_1 src1_sel:DWORD
	v_cmp_eq_u32_e64 s[44:45], 1, v8
	v_cndmask_b32_e64 v8, v9, 1, s[44:45]
; %bb.138:
	s_or_b64 exec, exec, s[56:57]
	v_and_b32_e32 v8, 0xff, v8
	v_lshlrev_b32_e32 v8, 16, v8
	v_and_b32_e32 v7, 0xffff, v7
	v_or3_b32 v5, v8, v7, v5
	v_add_u32_e32 v7, -1, v6
	v_and_b32_e32 v8, 64, v6
	v_cmp_lt_i32_e64 s[44:45], v7, v8
	v_cndmask_b32_e64 v6, v7, v6, s[44:45]
	v_lshlrev_b32_e32 v6, 2, v6
	ds_bpermute_b32 v5, v6, v5
	v_and_b32_e32 v6, 0xff0000, v3
	v_cmp_eq_u32_e64 s[44:45], 0, v6
	; wave barrier
	s_waitcnt lgkmcnt(0)
	v_cndmask_b32_e64 v6, 0, v5, s[44:45]
	v_add_u16_e32 v3, v6, v3
	v_mov_b32_e32 v6, 1
	v_and_b32_sdwa v5, v5, v6 dst_sel:DWORD dst_unused:UNUSED_PAD src0_sel:WORD_1 src1_sel:DWORD
	v_cmp_eq_u32_e64 s[44:45], 0, v4
	v_cndmask_b32_e64 v4, 1, v5, s[44:45]
	v_cmp_eq_u32_e64 s[44:45], 0, v0
	v_cndmask_b32_e64 v3, v3, v37, s[44:45]
	v_cndmask_b32_e64 v4, v4, v38, s[44:45]
	ds_write_b16 v2, v3
	ds_write_b8 v2, v4 offset:2
	; wave barrier
	ds_read_u16 v5, v2 offset:4
	ds_read_u8 v6, v2 offset:6
	ds_read_u16 v7, v2 offset:8
	ds_read_u8 v8, v2 offset:10
	;; [unrolled: 2-line block ×3, first 2 shown]
	s_waitcnt lgkmcnt(4)
	v_cmp_eq_u16_e64 s[44:45], 0, v6
	v_cndmask_b32_e64 v3, 0, v3, s[44:45]
	v_add_u16_e32 v3, v3, v5
	v_and_b32_e32 v5, 1, v6
	v_cmp_eq_u32_e64 s[44:45], 1, v5
	v_cndmask_b32_e64 v4, v4, 1, s[44:45]
	s_waitcnt lgkmcnt(2)
	v_cmp_eq_u16_e64 s[44:45], 0, v8
	v_and_b32_e32 v5, 1, v8
	ds_write_b16 v2, v3 offset:4
	ds_write_b8 v2, v4 offset:6
	v_cndmask_b32_e64 v3, 0, v3, s[44:45]
	v_cmp_eq_u32_e64 s[44:45], 1, v5
	v_add_u16_e32 v3, v3, v7
	v_cndmask_b32_e64 v4, v4, 1, s[44:45]
	s_waitcnt lgkmcnt(2)
	v_cmp_eq_u16_e64 s[44:45], 0, v10
	ds_write_b16 v2, v3 offset:8
	ds_write_b8 v2, v4 offset:10
	v_cndmask_b32_e64 v3, 0, v3, s[44:45]
	v_and_b32_e32 v5, 1, v10
	v_add_u16_e32 v3, v3, v9
	v_cmp_eq_u32_e64 s[44:45], 1, v5
	v_cndmask_b32_e64 v4, v4, 1, s[44:45]
	ds_write_b16 v2, v3 offset:12
	ds_write_b8 v2, v4 offset:14
.LBB878_139:
	s_or_b64 exec, exec, s[46:47]
	v_cmp_eq_u32_e64 s[44:45], 0, v0
	v_cmp_ne_u32_e64 s[46:47], 0, v0
	s_waitcnt lgkmcnt(0)
	s_barrier
	s_and_saveexec_b64 s[56:57], s[46:47]
	s_cbranch_execz .LBB878_141
; %bb.140:
	v_add_u32_e32 v2, -1, v0
	v_lshrrev_b32_e32 v3, 5, v2
	v_add_lshl_u32 v2, v3, v2, 2
	ds_read_u16 v37, v2
	ds_read_u8 v38, v2 offset:2
.LBB878_141:
	s_or_b64 exec, exec, s[56:57]
	s_and_saveexec_b64 s[56:57], vcc
	s_cbranch_execz .LBB878_188
; %bb.142:
	v_mov_b32_e32 v11, 0
	ds_read_b32 v2, v11 offset:1048
	v_mbcnt_lo_u32_b32 v3, -1, 0
	v_mbcnt_hi_u32_b32 v5, -1, v3
	s_mov_b32 s69, 0
	v_cmp_eq_u32_e64 s[46:47], 0, v5
	s_and_saveexec_b64 s[66:67], s[46:47]
	s_cbranch_execz .LBB878_144
; %bb.143:
	s_add_i32 s68, s6, 64
	s_lshl_b64 s[68:69], s[68:69], 3
	s_add_u32 s68, s52, s68
	v_mov_b32_e32 v3, 1
	s_addc_u32 s69, s53, s69
	s_waitcnt lgkmcnt(0)
	global_store_dwordx2 v11, v[2:3], s[68:69]
.LBB878_144:
	s_or_b64 exec, exec, s[66:67]
	v_xad_u32 v4, v5, -1, s6
	v_add_u32_e32 v10, 64, v4
	v_lshlrev_b64 v[6:7], 3, v[10:11]
	v_mov_b32_e32 v3, s53
	v_add_co_u32_e32 v6, vcc, s52, v6
	v_addc_co_u32_e32 v7, vcc, v3, v7, vcc
	global_load_dwordx2 v[8:9], v[6:7], off glc
	s_waitcnt vmcnt(0)
	v_cmp_eq_u16_sdwa s[68:69], v9, v11 src0_sel:BYTE_0 src1_sel:DWORD
	s_and_saveexec_b64 s[66:67], s[68:69]
	s_cbranch_execz .LBB878_150
; %bb.145:
	s_mov_b32 s55, 1
	s_mov_b64 s[68:69], 0
	v_mov_b32_e32 v3, 0
.LBB878_146:                            ; =>This Loop Header: Depth=1
                                        ;     Child Loop BB878_147 Depth 2
	s_max_u32 s70, s55, 1
.LBB878_147:                            ;   Parent Loop BB878_146 Depth=1
                                        ; =>  This Inner Loop Header: Depth=2
	s_add_i32 s70, s70, -1
	s_cmp_eq_u32 s70, 0
	s_sleep 1
	s_cbranch_scc0 .LBB878_147
; %bb.148:                              ;   in Loop: Header=BB878_146 Depth=1
	global_load_dwordx2 v[8:9], v[6:7], off glc
	s_cmp_lt_u32 s55, 32
	s_cselect_b64 s[70:71], -1, 0
	s_cmp_lg_u64 s[70:71], 0
	s_addc_u32 s55, s55, 0
	s_waitcnt vmcnt(0)
	v_cmp_ne_u16_sdwa s[70:71], v9, v3 src0_sel:BYTE_0 src1_sel:DWORD
	s_or_b64 s[68:69], s[70:71], s[68:69]
	s_andn2_b64 exec, exec, s[68:69]
	s_cbranch_execnz .LBB878_146
; %bb.149:
	s_or_b64 exec, exec, s[68:69]
.LBB878_150:
	s_or_b64 exec, exec, s[66:67]
	v_mov_b32_e32 v3, 2
	v_cmp_eq_u16_sdwa s[66:67], v9, v3 src0_sel:BYTE_0 src1_sel:DWORD
	v_lshlrev_b64 v[6:7], v5, -1
	v_and_b32_e32 v3, s67, v7
	v_or_b32_e32 v3, 0x80000000, v3
	v_ffbl_b32_e32 v3, v3
	v_add_u32_e32 v11, 32, v3
	v_and_b32_e32 v3, 63, v5
	v_cmp_ne_u32_e32 vcc, 63, v3
	v_addc_co_u32_e32 v39, vcc, 0, v5, vcc
	v_and_b32_e32 v50, 0xffffff, v8
	v_lshlrev_b32_e32 v39, 2, v39
	ds_bpermute_b32 v40, v39, v50
	v_and_b32_e32 v10, s66, v6
	v_ffbl_b32_e32 v10, v10
	v_min_u32_e32 v11, v10, v11
	v_lshrrev_b32_e32 v10, 16, v8
	v_cmp_lt_u32_e32 vcc, v3, v11
	v_bfe_u32 v48, v8, 16, 8
	s_and_saveexec_b64 s[66:67], vcc
	s_cbranch_execz .LBB878_152
; %bb.151:
	v_and_b32_e32 v10, 0xff0000, v8
	v_cmp_eq_u32_e32 vcc, 0, v10
	v_and_b32_e32 v10, 0x10000, v10
	v_mov_b32_e32 v43, 1
	s_waitcnt lgkmcnt(0)
	v_cndmask_b32_e32 v41, 0, v40, vcc
	v_and_b32_sdwa v40, v40, v43 dst_sel:DWORD dst_unused:UNUSED_PAD src0_sel:WORD_1 src1_sel:DWORD
	v_cmp_ne_u32_e32 vcc, 0, v10
	v_cndmask_b32_e64 v10, v40, 1, vcc
	v_add_u16_e32 v42, v41, v8
	v_lshlrev_b32_e32 v40, 16, v10
	v_add_u16_e32 v8, v41, v8
	v_or_b32_e32 v50, v40, v8
	v_mov_b32_e32 v8, v42
	v_mov_b32_e32 v48, v10
.LBB878_152:
	s_or_b64 exec, exec, s[66:67]
	v_cmp_gt_u32_e32 vcc, 62, v3
	s_waitcnt lgkmcnt(0)
	v_cndmask_b32_e64 v40, 0, 1, vcc
	v_lshlrev_b32_e32 v40, 1, v40
	v_add_lshl_u32 v40, v40, v5, 2
	ds_bpermute_b32 v42, v40, v50
	v_add_u32_e32 v41, 2, v3
	v_cmp_le_u32_e32 vcc, v41, v11
	s_and_saveexec_b64 s[66:67], vcc
	s_cbranch_execz .LBB878_154
; %bb.153:
	v_cmp_eq_u16_e32 vcc, 0, v48
	v_and_b32_e32 v10, 1, v48
	v_mov_b32_e32 v45, 1
	s_waitcnt lgkmcnt(0)
	v_cndmask_b32_e32 v43, 0, v42, vcc
	v_and_b32_sdwa v42, v42, v45 dst_sel:DWORD dst_unused:UNUSED_PAD src0_sel:WORD_1 src1_sel:DWORD
	v_cmp_eq_u32_e32 vcc, 1, v10
	v_cndmask_b32_e64 v10, v42, 1, vcc
	v_add_u16_e32 v44, v43, v8
	v_lshlrev_b32_e32 v42, 16, v10
	v_add_u16_e32 v8, v43, v8
	v_or_b32_e32 v50, v42, v8
	v_mov_b32_e32 v8, v44
	v_mov_b32_e32 v48, v10
.LBB878_154:
	s_or_b64 exec, exec, s[66:67]
	v_cmp_gt_u32_e32 vcc, 60, v3
	s_waitcnt lgkmcnt(0)
	v_cndmask_b32_e64 v42, 0, 1, vcc
	v_lshlrev_b32_e32 v42, 2, v42
	v_add_lshl_u32 v42, v42, v5, 2
	ds_bpermute_b32 v44, v42, v50
	v_add_u32_e32 v43, 4, v3
	v_cmp_le_u32_e32 vcc, v43, v11
	s_and_saveexec_b64 s[66:67], vcc
	s_cbranch_execz .LBB878_156
; %bb.155:
	v_cmp_eq_u16_e32 vcc, 0, v48
	v_and_b32_e32 v10, 1, v48
	v_mov_b32_e32 v47, 1
	s_waitcnt lgkmcnt(0)
	v_cndmask_b32_e32 v45, 0, v44, vcc
	v_and_b32_sdwa v44, v44, v47 dst_sel:DWORD dst_unused:UNUSED_PAD src0_sel:WORD_1 src1_sel:DWORD
	v_cmp_eq_u32_e32 vcc, 1, v10
	v_cndmask_b32_e64 v10, v44, 1, vcc
	v_add_u16_e32 v46, v45, v8
	v_lshlrev_b32_e32 v44, 16, v10
	v_add_u16_e32 v8, v45, v8
	v_or_b32_e32 v50, v44, v8
	v_mov_b32_e32 v8, v46
	v_mov_b32_e32 v48, v10
.LBB878_156:
	;; [unrolled: 27-line block ×4, first 2 shown]
	s_or_b64 exec, exec, s[66:67]
	v_cmp_gt_u32_e32 vcc, 32, v3
	s_waitcnt lgkmcnt(0)
	v_cndmask_b32_e64 v49, 0, 1, vcc
	v_lshlrev_b32_e32 v49, 5, v49
	v_add_lshl_u32 v49, v49, v5, 2
	ds_bpermute_b32 v5, v49, v50
	v_add_u32_e32 v50, 32, v3
	v_cmp_le_u32_e32 vcc, v50, v11
	s_and_saveexec_b64 s[66:67], vcc
	s_cbranch_execz .LBB878_162
; %bb.161:
	v_cmp_eq_u16_e32 vcc, 0, v48
	s_waitcnt lgkmcnt(0)
	v_cndmask_b32_e32 v10, 0, v5, vcc
	v_add_u16_e32 v8, v10, v8
	v_and_b32_e32 v10, 1, v48
	v_mov_b32_e32 v11, 1
	v_and_b32_sdwa v5, v5, v11 dst_sel:DWORD dst_unused:UNUSED_PAD src0_sel:WORD_1 src1_sel:DWORD
	v_cmp_eq_u32_e32 vcc, 1, v10
	v_cndmask_b32_e64 v10, v5, 1, vcc
.LBB878_162:
	s_or_b64 exec, exec, s[66:67]
	s_waitcnt lgkmcnt(0)
	v_mov_b32_e32 v5, 0
	v_mov_b32_e32 v52, 2
	;; [unrolled: 1-line block ×3, first 2 shown]
	s_branch .LBB878_164
.LBB878_163:                            ;   in Loop: Header=BB878_164 Depth=1
	s_or_b64 exec, exec, s[66:67]
	v_cmp_eq_u16_sdwa vcc, v48, v5 src0_sel:BYTE_0 src1_sel:DWORD
	v_and_b32_e32 v10, 1, v48
	v_cndmask_b32_e32 v8, 0, v8, vcc
	v_and_b32_e32 v11, 1, v11
	v_cmp_eq_u32_e32 vcc, 1, v10
	v_subrev_u32_e32 v4, 64, v4
	v_add_u16_e32 v8, v8, v51
	v_cndmask_b32_e64 v10, v11, 1, vcc
.LBB878_164:                            ; =>This Loop Header: Depth=1
                                        ;     Child Loop BB878_167 Depth 2
                                        ;       Child Loop BB878_168 Depth 3
	v_cmp_ne_u16_sdwa s[66:67], v9, v52 src0_sel:BYTE_0 src1_sel:DWORD
	v_cndmask_b32_e64 v9, 0, 1, s[66:67]
	;;#ASMSTART
	;;#ASMEND
	v_cmp_ne_u32_e32 vcc, 0, v9
	v_mov_b32_e32 v48, v10
	s_cmp_lg_u64 vcc, exec
	v_mov_b32_e32 v51, v8
	s_cbranch_scc1 .LBB878_183
; %bb.165:                              ;   in Loop: Header=BB878_164 Depth=1
	v_lshlrev_b64 v[8:9], 3, v[4:5]
	v_mov_b32_e32 v11, s53
	v_add_co_u32_e32 v10, vcc, s52, v8
	v_addc_co_u32_e32 v11, vcc, v11, v9, vcc
	global_load_dwordx2 v[8:9], v[10:11], off glc
	s_waitcnt vmcnt(0)
	v_cmp_eq_u16_sdwa s[68:69], v9, v5 src0_sel:BYTE_0 src1_sel:DWORD
	s_and_saveexec_b64 s[66:67], s[68:69]
	s_cbranch_execz .LBB878_171
; %bb.166:                              ;   in Loop: Header=BB878_164 Depth=1
	s_mov_b32 s55, 1
	s_mov_b64 s[68:69], 0
.LBB878_167:                            ;   Parent Loop BB878_164 Depth=1
                                        ; =>  This Loop Header: Depth=2
                                        ;       Child Loop BB878_168 Depth 3
	s_max_u32 s70, s55, 1
.LBB878_168:                            ;   Parent Loop BB878_164 Depth=1
                                        ;     Parent Loop BB878_167 Depth=2
                                        ; =>    This Inner Loop Header: Depth=3
	s_add_i32 s70, s70, -1
	s_cmp_eq_u32 s70, 0
	s_sleep 1
	s_cbranch_scc0 .LBB878_168
; %bb.169:                              ;   in Loop: Header=BB878_167 Depth=2
	global_load_dwordx2 v[8:9], v[10:11], off glc
	s_cmp_lt_u32 s55, 32
	s_cselect_b64 s[70:71], -1, 0
	s_cmp_lg_u64 s[70:71], 0
	s_addc_u32 s55, s55, 0
	s_waitcnt vmcnt(0)
	v_cmp_ne_u16_sdwa s[70:71], v9, v5 src0_sel:BYTE_0 src1_sel:DWORD
	s_or_b64 s[68:69], s[70:71], s[68:69]
	s_andn2_b64 exec, exec, s[68:69]
	s_cbranch_execnz .LBB878_167
; %bb.170:                              ;   in Loop: Header=BB878_164 Depth=1
	s_or_b64 exec, exec, s[68:69]
.LBB878_171:                            ;   in Loop: Header=BB878_164 Depth=1
	s_or_b64 exec, exec, s[66:67]
	v_cmp_eq_u16_sdwa s[66:67], v9, v52 src0_sel:BYTE_0 src1_sel:DWORD
	v_and_b32_e32 v10, s67, v7
	s_waitcnt lgkmcnt(0)
	v_and_b32_e32 v55, 0xffffff, v8
	v_or_b32_e32 v10, 0x80000000, v10
	ds_bpermute_b32 v56, v39, v55
	v_and_b32_e32 v11, s66, v6
	v_ffbl_b32_e32 v10, v10
	v_add_u32_e32 v10, 32, v10
	v_ffbl_b32_e32 v11, v11
	v_min_u32_e32 v10, v11, v10
	v_lshrrev_b32_e32 v11, 16, v8
	v_cmp_lt_u32_e32 vcc, v3, v10
	v_bfe_u32 v54, v8, 16, 8
	s_and_saveexec_b64 s[66:67], vcc
	s_cbranch_execz .LBB878_173
; %bb.172:                              ;   in Loop: Header=BB878_164 Depth=1
	v_and_b32_e32 v11, 0xff0000, v8
	v_cmp_eq_u32_e32 vcc, 0, v11
	v_and_b32_e32 v11, 0x10000, v11
	s_waitcnt lgkmcnt(0)
	v_cndmask_b32_e32 v54, 0, v56, vcc
	v_and_b32_sdwa v55, v56, v53 dst_sel:DWORD dst_unused:UNUSED_PAD src0_sel:WORD_1 src1_sel:DWORD
	v_cmp_ne_u32_e32 vcc, 0, v11
	v_cndmask_b32_e64 v11, v55, 1, vcc
	v_add_u16_e32 v57, v54, v8
	v_lshlrev_b32_e32 v55, 16, v11
	v_add_u16_e32 v8, v54, v8
	v_or_b32_e32 v55, v55, v8
	v_mov_b32_e32 v8, v57
	v_mov_b32_e32 v54, v11
.LBB878_173:                            ;   in Loop: Header=BB878_164 Depth=1
	s_or_b64 exec, exec, s[66:67]
	s_waitcnt lgkmcnt(0)
	ds_bpermute_b32 v56, v40, v55
	v_cmp_le_u32_e32 vcc, v41, v10
	s_and_saveexec_b64 s[66:67], vcc
	s_cbranch_execz .LBB878_175
; %bb.174:                              ;   in Loop: Header=BB878_164 Depth=1
	v_cmp_eq_u16_e32 vcc, 0, v54
	v_and_b32_e32 v11, 1, v54
	s_waitcnt lgkmcnt(0)
	v_cndmask_b32_e32 v55, 0, v56, vcc
	v_and_b32_sdwa v54, v56, v53 dst_sel:DWORD dst_unused:UNUSED_PAD src0_sel:WORD_1 src1_sel:DWORD
	v_cmp_eq_u32_e32 vcc, 1, v11
	v_cndmask_b32_e64 v11, v54, 1, vcc
	v_add_u16_e32 v57, v55, v8
	v_lshlrev_b32_e32 v54, 16, v11
	v_add_u16_e32 v8, v55, v8
	v_or_b32_e32 v55, v54, v8
	v_mov_b32_e32 v8, v57
	v_mov_b32_e32 v54, v11
.LBB878_175:                            ;   in Loop: Header=BB878_164 Depth=1
	s_or_b64 exec, exec, s[66:67]
	s_waitcnt lgkmcnt(0)
	ds_bpermute_b32 v56, v42, v55
	v_cmp_le_u32_e32 vcc, v43, v10
	s_and_saveexec_b64 s[66:67], vcc
	s_cbranch_execz .LBB878_177
; %bb.176:                              ;   in Loop: Header=BB878_164 Depth=1
	v_cmp_eq_u16_e32 vcc, 0, v54
	v_and_b32_e32 v11, 1, v54
	s_waitcnt lgkmcnt(0)
	v_cndmask_b32_e32 v55, 0, v56, vcc
	v_and_b32_sdwa v54, v56, v53 dst_sel:DWORD dst_unused:UNUSED_PAD src0_sel:WORD_1 src1_sel:DWORD
	v_cmp_eq_u32_e32 vcc, 1, v11
	v_cndmask_b32_e64 v11, v54, 1, vcc
	v_add_u16_e32 v57, v55, v8
	v_lshlrev_b32_e32 v54, 16, v11
	v_add_u16_e32 v8, v55, v8
	v_or_b32_e32 v55, v54, v8
	v_mov_b32_e32 v8, v57
	v_mov_b32_e32 v54, v11
.LBB878_177:                            ;   in Loop: Header=BB878_164 Depth=1
	;; [unrolled: 21-line block ×4, first 2 shown]
	s_or_b64 exec, exec, s[66:67]
	ds_bpermute_b32 v55, v49, v55
	v_cmp_le_u32_e32 vcc, v50, v10
	s_and_saveexec_b64 s[66:67], vcc
	s_cbranch_execz .LBB878_163
; %bb.182:                              ;   in Loop: Header=BB878_164 Depth=1
	v_cmp_eq_u16_e32 vcc, 0, v54
	s_waitcnt lgkmcnt(0)
	v_cndmask_b32_e32 v10, 0, v55, vcc
	v_add_u16_e32 v8, v10, v8
	v_and_b32_e32 v10, 1, v54
	v_lshrrev_b32_e32 v11, 16, v55
	v_cmp_eq_u32_e32 vcc, 1, v10
	v_cndmask_b32_e64 v11, v11, 1, vcc
	s_branch .LBB878_163
.LBB878_183:                            ;   in Loop: Header=BB878_164 Depth=1
                                        ; implicit-def: $vgpr10
                                        ; implicit-def: $vgpr8
	s_cbranch_execz .LBB878_164
; %bb.184:
	s_and_saveexec_b64 s[66:67], s[46:47]
	s_cbranch_execz .LBB878_186
; %bb.185:
	v_and_b32_e32 v3, 0xff0000, v2
	s_mov_b32 s47, 0
	v_cmp_eq_u32_e32 vcc, 0, v3
	v_and_b32_e32 v4, 0x10000, v2
	v_mov_b32_e32 v5, 1
	s_add_i32 s46, s6, 64
	v_cndmask_b32_e32 v3, 0, v51, vcc
	v_and_b32_sdwa v5, v48, v5 dst_sel:WORD_1 dst_unused:UNUSED_PAD src0_sel:DWORD src1_sel:DWORD
	v_mov_b32_e32 v6, 0x10000
	v_cmp_eq_u32_e32 vcc, 0, v4
	s_lshl_b64 s[46:47], s[46:47], 3
	v_cndmask_b32_e32 v4, v6, v5, vcc
	s_add_u32 s46, s52, s46
	v_add_u16_e32 v2, v3, v2
	s_addc_u32 s47, s53, s47
	v_mov_b32_e32 v5, 0
	v_or_b32_e32 v2, v4, v2
	v_mov_b32_e32 v3, 2
	global_store_dwordx2 v5, v[2:3], s[46:47]
.LBB878_186:
	s_or_b64 exec, exec, s[66:67]
	s_and_b64 exec, exec, s[44:45]
	s_cbranch_execz .LBB878_188
; %bb.187:
	v_mov_b32_e32 v2, 0
	ds_write_b16 v2, v51
	ds_write_b8 v2, v48 offset:2
.LBB878_188:
	s_or_b64 exec, exec, s[56:57]
	v_mov_b32_e32 v2, 0
	s_waitcnt lgkmcnt(0)
	s_barrier
	ds_read_b32 v3, v2
	v_cmp_eq_u16_sdwa vcc, v38, v2 src0_sel:BYTE_0 src1_sel:DWORD
	s_waitcnt lgkmcnt(0)
	v_cndmask_b32_e32 v2, 0, v3, vcc
	v_add_u16_e32 v2, v2, v37
	v_cndmask_b32_e64 v4, v2, v3, s[44:45]
	v_and_b32_e32 v2, 0xff0000, v1
	v_cmp_eq_u32_e32 vcc, 0, v2
	v_cndmask_b32_e32 v2, 0, v4, vcc
	v_add_u16_e32 v5, v2, v1
	v_cndmask_b32_e64 v2, 0, v5, s[2:3]
	v_add_u16_e32 v6, v2, v20
	v_cndmask_b32_e64 v2, 0, v6, s[4:5]
	;; [unrolled: 2-line block ×20, first 2 shown]
	v_add_u16_e32 v50, v2, v35
	s_branch .LBB878_231
.LBB878_189:
	s_or_b64 exec, exec, s[48:49]
                                        ; implicit-def: $vgpr27
	s_and_saveexec_b64 s[48:49], s[2:3]
	s_cbranch_execz .LBB878_49
.LBB878_190:
	v_mov_b32_e32 v27, s72
	v_add_co_u32_e32 v28, vcc, s55, v18
	v_addc_co_u32_e32 v29, vcc, 0, v27, vcc
	flat_load_ushort v27, v[28:29] offset:512
	s_or_b64 exec, exec, s[48:49]
                                        ; implicit-def: $vgpr28
	s_and_saveexec_b64 s[2:3], s[4:5]
	s_cbranch_execnz .LBB878_50
.LBB878_191:
	s_or_b64 exec, exec, s[2:3]
                                        ; implicit-def: $vgpr29
	s_and_saveexec_b64 s[2:3], s[46:47]
	s_cbranch_execz .LBB878_51
.LBB878_192:
	v_mov_b32_e32 v29, s72
	v_add_co_u32_e32 v30, vcc, s55, v18
	v_addc_co_u32_e32 v31, vcc, 0, v29, vcc
	flat_load_ushort v29, v[30:31] offset:1536
	s_or_b64 exec, exec, s[2:3]
                                        ; implicit-def: $vgpr30
	s_and_saveexec_b64 s[2:3], s[8:9]
	s_cbranch_execnz .LBB878_52
.LBB878_193:
	s_or_b64 exec, exec, s[2:3]
                                        ; implicit-def: $vgpr31
	s_and_saveexec_b64 s[2:3], s[10:11]
	s_cbranch_execz .LBB878_53
.LBB878_194:
	v_mov_b32_e32 v31, s72
	v_add_co_u32_e32 v32, vcc, s55, v18
	v_addc_co_u32_e32 v33, vcc, 0, v31, vcc
	flat_load_ushort v31, v[32:33] offset:2560
	s_or_b64 exec, exec, s[2:3]
                                        ; implicit-def: $vgpr32
	s_and_saveexec_b64 s[2:3], s[12:13]
	s_cbranch_execnz .LBB878_54
.LBB878_195:
	s_or_b64 exec, exec, s[2:3]
                                        ; implicit-def: $vgpr33
	s_and_saveexec_b64 s[2:3], s[14:15]
	s_cbranch_execz .LBB878_55
.LBB878_196:
	v_mov_b32_e32 v33, s72
	v_add_co_u32_e32 v34, vcc, s55, v18
	v_addc_co_u32_e32 v35, vcc, 0, v33, vcc
	flat_load_ushort v33, v[34:35] offset:3584
	s_or_b64 exec, exec, s[2:3]
                                        ; implicit-def: $vgpr34
	s_and_saveexec_b64 s[2:3], s[16:17]
	s_cbranch_execnz .LBB878_56
.LBB878_197:
	s_or_b64 exec, exec, s[2:3]
                                        ; implicit-def: $vgpr1
	s_and_saveexec_b64 s[2:3], s[18:19]
	s_cbranch_execz .LBB878_57
.LBB878_198:
	v_lshlrev_b32_e32 v1, 1, v2
	v_mov_b32_e32 v2, s72
	v_add_co_u32_e32 v40, vcc, s55, v1
	v_addc_co_u32_e32 v41, vcc, 0, v2, vcc
	flat_load_ushort v1, v[40:41]
	s_or_b64 exec, exec, s[2:3]
                                        ; implicit-def: $vgpr2
	s_and_saveexec_b64 s[2:3], s[20:21]
	s_cbranch_execnz .LBB878_58
.LBB878_199:
	s_or_b64 exec, exec, s[2:3]
                                        ; implicit-def: $vgpr3
	s_and_saveexec_b64 s[2:3], s[22:23]
	s_cbranch_execz .LBB878_59
.LBB878_200:
	v_lshlrev_b32_e32 v3, 1, v4
	v_mov_b32_e32 v4, s72
	v_add_co_u32_e32 v40, vcc, s55, v3
	v_addc_co_u32_e32 v41, vcc, 0, v4, vcc
	flat_load_ushort v3, v[40:41]
	s_or_b64 exec, exec, s[2:3]
                                        ; implicit-def: $vgpr4
	s_and_saveexec_b64 s[2:3], s[24:25]
	s_cbranch_execnz .LBB878_60
.LBB878_201:
	s_or_b64 exec, exec, s[2:3]
                                        ; implicit-def: $vgpr5
	s_and_saveexec_b64 s[2:3], s[26:27]
	s_cbranch_execz .LBB878_61
.LBB878_202:
	v_lshlrev_b32_e32 v5, 1, v16
	v_mov_b32_e32 v16, s72
	v_add_co_u32_e32 v40, vcc, s55, v5
	v_addc_co_u32_e32 v41, vcc, 0, v16, vcc
	flat_load_ushort v5, v[40:41]
	s_or_b64 exec, exec, s[2:3]
                                        ; implicit-def: $vgpr16
	s_and_saveexec_b64 s[2:3], s[28:29]
	s_cbranch_execnz .LBB878_62
.LBB878_203:
	s_or_b64 exec, exec, s[2:3]
                                        ; implicit-def: $vgpr17
	s_and_saveexec_b64 s[2:3], s[30:31]
	s_cbranch_execz .LBB878_63
.LBB878_204:
	v_lshlrev_b32_e32 v17, 1, v19
	v_mov_b32_e32 v19, s72
	v_add_co_u32_e32 v40, vcc, s55, v17
	v_addc_co_u32_e32 v41, vcc, 0, v19, vcc
	flat_load_ushort v17, v[40:41]
	s_or_b64 exec, exec, s[2:3]
                                        ; implicit-def: $vgpr19
	s_and_saveexec_b64 s[2:3], s[34:35]
	s_cbranch_execnz .LBB878_64
.LBB878_205:
	s_or_b64 exec, exec, s[2:3]
                                        ; implicit-def: $vgpr20
	s_and_saveexec_b64 s[2:3], s[36:37]
	s_cbranch_execz .LBB878_65
.LBB878_206:
	v_lshlrev_b32_e32 v20, 1, v21
	v_mov_b32_e32 v21, s72
	v_add_co_u32_e32 v20, vcc, s55, v20
	v_addc_co_u32_e32 v21, vcc, 0, v21, vcc
	flat_load_ushort v20, v[20:21]
	s_or_b64 exec, exec, s[2:3]
                                        ; implicit-def: $vgpr21
	s_and_saveexec_b64 s[2:3], s[38:39]
	s_cbranch_execnz .LBB878_66
.LBB878_207:
	s_or_b64 exec, exec, s[2:3]
                                        ; implicit-def: $vgpr22
	s_and_saveexec_b64 s[2:3], s[40:41]
	s_cbranch_execz .LBB878_67
.LBB878_208:
	v_lshlrev_b32_e32 v22, 1, v23
	v_mov_b32_e32 v23, s72
	v_add_co_u32_e32 v22, vcc, s55, v22
	v_addc_co_u32_e32 v23, vcc, 0, v23, vcc
	flat_load_ushort v22, v[22:23]
	s_or_b64 exec, exec, s[2:3]
                                        ; implicit-def: $vgpr23
	s_and_saveexec_b64 s[2:3], s[42:43]
	s_cbranch_execz .LBB878_69
	s_branch .LBB878_68
.LBB878_209:
                                        ; implicit-def: $vgpr4
                                        ; implicit-def: $vgpr5
                                        ; implicit-def: $vgpr6
                                        ; implicit-def: $vgpr7
                                        ; implicit-def: $vgpr8
                                        ; implicit-def: $vgpr9
                                        ; implicit-def: $vgpr10
                                        ; implicit-def: $vgpr11
                                        ; implicit-def: $vgpr37
                                        ; implicit-def: $vgpr38
                                        ; implicit-def: $vgpr39
                                        ; implicit-def: $vgpr40
                                        ; implicit-def: $vgpr41
                                        ; implicit-def: $vgpr42
                                        ; implicit-def: $vgpr43
                                        ; implicit-def: $vgpr44
                                        ; implicit-def: $vgpr45
                                        ; implicit-def: $vgpr46
                                        ; implicit-def: $vgpr47
                                        ; implicit-def: $vgpr48
                                        ; implicit-def: $vgpr49
                                        ; implicit-def: $vgpr50
	s_cbranch_execz .LBB878_231
; %bb.210:
	s_cmp_lg_u64 s[64:65], 0
	s_cselect_b32 s3, s59, 0
	s_cselect_b32 s2, s58, 0
	s_cmp_eq_u64 s[2:3], 0
	v_mov_b32_e32 v2, s7
	s_cbranch_scc1 .LBB878_212
; %bb.211:
	v_mov_b32_e32 v2, 0
	global_load_ushort v2, v2, s[2:3]
.LBB878_212:
	s_mov_b32 s42, 0x10000
	v_cmp_gt_u32_e32 vcc, s42, v20
	v_cndmask_b32_e32 v3, 0, v1, vcc
	v_add_u16_e32 v3, v3, v20
	v_cmp_gt_u32_e64 s[2:3], s42, v21
	v_cndmask_b32_e64 v3, 0, v3, s[2:3]
	v_add_u16_e32 v3, v3, v21
	v_cmp_gt_u32_e64 s[4:5], s42, v22
	v_cndmask_b32_e64 v3, 0, v3, s[4:5]
	;; [unrolled: 3-line block ×20, first 2 shown]
	v_add_u16_e32 v4, v3, v12
	v_or3_b32 v3, v15, v33, v32
	v_or3_b32 v3, v3, v31, v30
	;; [unrolled: 1-line block ×8, first 2 shown]
	v_and_b32_e32 v3, 0x10000, v3
	v_cmp_ne_u32_e64 s[42:43], 0, v3
	v_mov_b32_e32 v8, 0x10000
	v_cndmask_b32_e64 v5, v13, 1, s[42:43]
	v_add_lshl_u32 v3, v14, v0, 2
	v_cmp_gt_u32_e64 s[42:43], 64, v0
	ds_write_b16 v3, v4
	ds_write_b8 v3, v5 offset:2
	s_waitcnt lgkmcnt(0)
	s_barrier
	s_and_saveexec_b64 s[44:45], s[42:43]
	s_cbranch_execz .LBB878_226
; %bb.213:
	v_lshlrev_b32_e32 v3, 2, v0
	v_lshrrev_b32_e32 v6, 3, v0
	v_add_lshl_u32 v3, v6, v3, 2
	ds_read_b32 v6, v3
	ds_read_u16 v7, v3 offset:4
	ds_read_u8 v9, v3 offset:6
	ds_read_u16 v10, v3 offset:8
	ds_read_u8 v11, v3 offset:10
	;; [unrolled: 2-line block ×3, first 2 shown]
	v_mov_b32_e32 v14, 0
	s_waitcnt lgkmcnt(4)
	v_cmp_eq_u16_sdwa s[42:43], v9, v14 src0_sel:BYTE_0 src1_sel:DWORD
	v_cndmask_b32_e64 v15, 0, v6, s[42:43]
	v_add_u16_e32 v15, v15, v7
	s_waitcnt lgkmcnt(2)
	v_cmp_eq_u16_sdwa s[42:43], v11, v14 src0_sel:BYTE_0 src1_sel:DWORD
	s_waitcnt lgkmcnt(0)
	v_or_b32_e32 v11, v13, v11
	v_cndmask_b32_e64 v14, 0, v15, s[42:43]
	v_or_b32_e32 v9, v11, v9
	v_add_u16_e32 v10, v14, v10
	v_cmp_eq_u16_e64 s[42:43], 0, v13
	v_and_b32_e32 v9, 1, v9
	v_and_b32_e32 v7, 0x10000, v6
	v_cndmask_b32_e64 v14, 0, v10, s[42:43]
	v_cmp_eq_u32_e64 s[42:43], 1, v9
	v_mbcnt_lo_u32_b32 v9, -1, 0
	v_add_u16_e32 v10, v14, v12
	v_cndmask_b32_e64 v15, v7, v8, s[42:43]
	v_add_u16_e32 v12, v14, v12
	v_and_b32_e32 v8, 0xff000000, v6
	v_mbcnt_hi_u32_b32 v9, -1, v9
	v_or_b32_e32 v13, v15, v8
	v_and_b32_e32 v14, 15, v9
	v_or3_b32 v12, v8, v12, v15
	s_movk_i32 s48, 0xff
	v_lshrrev_b32_e32 v11, 16, v13
	v_mov_b32_dpp v15, v12 row_shr:1 row_mask:0xf bank_mask:0xf
	v_cmp_ne_u32_e64 s[42:43], 0, v14
	s_and_saveexec_b64 s[46:47], s[42:43]
	s_cbranch_execz .LBB878_215
; %bb.214:
	v_and_b32_sdwa v11, v13, s48 dst_sel:DWORD dst_unused:UNUSED_PAD src0_sel:WORD_1 src1_sel:DWORD
	v_cmp_eq_u16_e64 s[42:43], 0, v11
	v_and_b32_e32 v11, 0x10000, v13
	v_mov_b32_e32 v13, 1
	v_cndmask_b32_e64 v12, 0, v15, s[42:43]
	v_and_b32_sdwa v13, v15, v13 dst_sel:DWORD dst_unused:UNUSED_PAD src0_sel:WORD_1 src1_sel:DWORD
	v_cmp_ne_u32_e64 s[42:43], 0, v11
	v_cndmask_b32_e64 v11, v13, 1, s[42:43]
	v_add_u16_e32 v37, v12, v10
	v_lshlrev_b32_e32 v13, 16, v11
	v_add_u16_e32 v10, v12, v10
	v_or3_b32 v12, v13, v10, v8
	v_mov_b32_e32 v10, v37
.LBB878_215:
	s_or_b64 exec, exec, s[46:47]
	v_lshrrev_b32_e32 v13, 16, v12
	v_mov_b32_dpp v15, v12 row_shr:2 row_mask:0xf bank_mask:0xf
	v_cmp_lt_u32_e64 s[42:43], 1, v14
	s_and_saveexec_b64 s[46:47], s[42:43]
	s_cbranch_execz .LBB878_217
; %bb.216:
	v_mov_b32_e32 v11, 0
	v_cmp_eq_u16_sdwa s[42:43], v13, v11 src0_sel:BYTE_0 src1_sel:DWORD
	v_and_b32_e32 v11, 0x10000, v12
	v_mov_b32_e32 v12, 1
	v_cndmask_b32_e64 v13, 0, v15, s[42:43]
	v_and_b32_sdwa v12, v15, v12 dst_sel:DWORD dst_unused:UNUSED_PAD src0_sel:WORD_1 src1_sel:DWORD
	v_cmp_ne_u32_e64 s[42:43], 0, v11
	v_cndmask_b32_e64 v11, v12, 1, s[42:43]
	v_add_u16_e32 v37, v13, v10
	v_lshlrev_b32_e32 v12, 16, v11
	v_add_u16_e32 v10, v13, v10
	v_or3_b32 v12, v12, v10, v8
	v_mov_b32_e32 v13, v11
	v_mov_b32_e32 v10, v37
.LBB878_217:
	s_or_b64 exec, exec, s[46:47]
	v_mov_b32_dpp v15, v12 row_shr:4 row_mask:0xf bank_mask:0xf
	v_cmp_lt_u32_e64 s[42:43], 3, v14
	s_and_saveexec_b64 s[46:47], s[42:43]
	s_cbranch_execz .LBB878_219
; %bb.218:
	v_mov_b32_e32 v11, 0
	v_cmp_eq_u16_sdwa s[42:43], v13, v11 src0_sel:BYTE_0 src1_sel:DWORD
	v_and_b32_e32 v11, 1, v13
	v_mov_b32_e32 v13, 1
	v_cndmask_b32_e64 v12, 0, v15, s[42:43]
	v_and_b32_sdwa v13, v15, v13 dst_sel:DWORD dst_unused:UNUSED_PAD src0_sel:WORD_1 src1_sel:DWORD
	v_cmp_eq_u32_e64 s[42:43], 1, v11
	v_cndmask_b32_e64 v11, v13, 1, s[42:43]
	v_add_u16_e32 v37, v12, v10
	v_lshlrev_b32_e32 v13, 16, v11
	v_add_u16_e32 v10, v12, v10
	v_or3_b32 v12, v13, v10, v8
	v_mov_b32_e32 v13, v11
	v_mov_b32_e32 v10, v37
.LBB878_219:
	s_or_b64 exec, exec, s[46:47]
	v_mov_b32_dpp v15, v12 row_shr:8 row_mask:0xf bank_mask:0xf
	v_cmp_lt_u32_e64 s[42:43], 7, v14
	s_and_saveexec_b64 s[46:47], s[42:43]
	s_cbranch_execz .LBB878_221
; %bb.220:
	v_mov_b32_e32 v11, 0
	v_cmp_eq_u16_sdwa s[42:43], v13, v11 src0_sel:BYTE_0 src1_sel:DWORD
	v_and_b32_e32 v11, 1, v13
	v_mov_b32_e32 v13, 1
	v_cndmask_b32_e64 v12, 0, v15, s[42:43]
	v_and_b32_sdwa v13, v15, v13 dst_sel:DWORD dst_unused:UNUSED_PAD src0_sel:WORD_1 src1_sel:DWORD
	v_cmp_eq_u32_e64 s[42:43], 1, v11
	v_cndmask_b32_e64 v11, v13, 1, s[42:43]
	v_add_u16_e32 v14, v12, v10
	v_lshlrev_b32_e32 v13, 16, v11
	v_add_u16_e32 v10, v12, v10
	v_or3_b32 v12, v13, v10, v8
	v_mov_b32_e32 v13, v11
	v_mov_b32_e32 v10, v14
.LBB878_221:
	s_or_b64 exec, exec, s[46:47]
	v_and_b32_e32 v15, 16, v9
	v_mov_b32_dpp v14, v12 row_bcast:15 row_mask:0xf bank_mask:0xf
	v_cmp_ne_u32_e64 s[42:43], 0, v15
	s_and_saveexec_b64 s[46:47], s[42:43]
	s_cbranch_execz .LBB878_223
; %bb.222:
	v_mov_b32_e32 v11, 0
	v_cmp_eq_u16_sdwa s[42:43], v13, v11 src0_sel:BYTE_0 src1_sel:DWORD
	v_and_b32_e32 v11, 1, v13
	v_mov_b32_e32 v13, 1
	v_cndmask_b32_e64 v12, 0, v14, s[42:43]
	v_and_b32_sdwa v13, v14, v13 dst_sel:DWORD dst_unused:UNUSED_PAD src0_sel:WORD_1 src1_sel:DWORD
	v_cmp_eq_u32_e64 s[42:43], 1, v11
	v_cndmask_b32_e64 v11, v13, 1, s[42:43]
	v_add_u16_e32 v15, v12, v10
	v_lshlrev_b32_e32 v13, 16, v11
	v_add_u16_e32 v10, v12, v10
	v_or3_b32 v12, v13, v10, v8
	v_mov_b32_e32 v13, v11
	v_mov_b32_e32 v10, v15
.LBB878_223:
	s_or_b64 exec, exec, s[46:47]
	v_mov_b32_dpp v12, v12 row_bcast:31 row_mask:0xf bank_mask:0xf
	v_cmp_lt_u32_e64 s[42:43], 31, v9
	s_and_saveexec_b64 s[46:47], s[42:43]
; %bb.224:
	v_mov_b32_e32 v11, 0
	v_cmp_eq_u16_sdwa s[42:43], v13, v11 src0_sel:BYTE_0 src1_sel:DWORD
	v_cndmask_b32_e64 v11, 0, v12, s[42:43]
	v_add_u16_e32 v10, v11, v10
	v_and_b32_e32 v11, 1, v13
	v_mov_b32_e32 v13, 1
	v_and_b32_sdwa v12, v12, v13 dst_sel:DWORD dst_unused:UNUSED_PAD src0_sel:WORD_1 src1_sel:DWORD
	v_cmp_eq_u32_e64 s[42:43], 1, v11
	v_cndmask_b32_e64 v11, v12, 1, s[42:43]
; %bb.225:
	s_or_b64 exec, exec, s[46:47]
	v_and_b32_e32 v11, 0xff, v11
	v_lshlrev_b32_e32 v11, 16, v11
	v_and_b32_e32 v10, 0xffff, v10
	v_or3_b32 v8, v11, v10, v8
	v_add_u32_e32 v10, -1, v9
	v_and_b32_e32 v11, 64, v9
	v_cmp_lt_i32_e64 s[42:43], v10, v11
	v_cndmask_b32_e64 v9, v10, v9, s[42:43]
	v_lshlrev_b32_e32 v9, 2, v9
	ds_bpermute_b32 v8, v9, v8
	v_and_b32_e32 v9, 0xff0000, v6
	v_cmp_eq_u32_e64 s[42:43], 0, v9
	; wave barrier
	s_waitcnt lgkmcnt(0)
	v_cndmask_b32_e64 v9, 0, v8, s[42:43]
	v_add_u16_e32 v6, v9, v6
	v_mov_b32_e32 v9, 1
	v_and_b32_sdwa v8, v8, v9 dst_sel:DWORD dst_unused:UNUSED_PAD src0_sel:WORD_1 src1_sel:DWORD
	v_cmp_eq_u32_e64 s[42:43], 0, v7
	v_cndmask_b32_e64 v7, 1, v8, s[42:43]
	v_cmp_eq_u32_e64 s[42:43], 0, v0
	v_cndmask_b32_e64 v4, v6, v4, s[42:43]
	v_cndmask_b32_e64 v5, v7, v5, s[42:43]
	ds_write_b16 v3, v4
	ds_write_b8 v3, v5 offset:2
	; wave barrier
	ds_read_u16 v6, v3 offset:4
	ds_read_u8 v7, v3 offset:6
	ds_read_u16 v8, v3 offset:8
	ds_read_u8 v9, v3 offset:10
	;; [unrolled: 2-line block ×3, first 2 shown]
	s_waitcnt lgkmcnt(4)
	v_cmp_eq_u16_e64 s[42:43], 0, v7
	v_cndmask_b32_e64 v4, 0, v4, s[42:43]
	v_add_u16_e32 v4, v4, v6
	v_and_b32_e32 v6, 1, v7
	v_cmp_eq_u32_e64 s[42:43], 1, v6
	v_cndmask_b32_e64 v5, v5, 1, s[42:43]
	s_waitcnt lgkmcnt(2)
	v_cmp_eq_u16_e64 s[42:43], 0, v9
	v_and_b32_e32 v6, 1, v9
	ds_write_b16 v3, v4 offset:4
	ds_write_b8 v3, v5 offset:6
	v_cndmask_b32_e64 v4, 0, v4, s[42:43]
	v_cmp_eq_u32_e64 s[42:43], 1, v6
	v_add_u16_e32 v4, v4, v8
	v_cndmask_b32_e64 v5, v5, 1, s[42:43]
	s_waitcnt lgkmcnt(2)
	v_cmp_eq_u16_e64 s[42:43], 0, v11
	ds_write_b16 v3, v4 offset:8
	ds_write_b8 v3, v5 offset:10
	v_cndmask_b32_e64 v4, 0, v4, s[42:43]
	v_and_b32_e32 v6, 1, v11
	v_add_u16_e32 v4, v4, v10
	v_cmp_eq_u32_e64 s[42:43], 1, v6
	v_cndmask_b32_e64 v5, v5, 1, s[42:43]
	ds_write_b16 v3, v4 offset:12
	ds_write_b8 v3, v5 offset:14
.LBB878_226:
	s_or_b64 exec, exec, s[44:45]
	v_cmp_eq_u32_e64 s[42:43], 0, v0
	v_cmp_ne_u32_e64 s[44:45], 0, v0
	s_waitcnt vmcnt(0)
	v_mov_b32_e32 v4, v2
	s_waitcnt lgkmcnt(0)
	s_barrier
	s_and_saveexec_b64 s[46:47], s[44:45]
	s_cbranch_execz .LBB878_228
; %bb.227:
	v_add_u32_e32 v3, -1, v0
	v_lshrrev_b32_e32 v4, 5, v3
	v_add_lshl_u32 v3, v4, v3, 2
	ds_read_u8 v4, v3 offset:2
	ds_read_u16 v3, v3
	s_waitcnt lgkmcnt(1)
	v_cmp_eq_u16_e64 s[44:45], 0, v4
	v_cndmask_b32_e64 v4, 0, v2, s[44:45]
	s_waitcnt lgkmcnt(0)
	v_add_u16_e32 v4, v4, v3
.LBB878_228:
	s_or_b64 exec, exec, s[46:47]
	v_and_b32_e32 v3, 0xff0000, v1
	v_cmp_eq_u32_e64 s[44:45], 0, v3
	v_cndmask_b32_e64 v3, 0, v4, s[44:45]
	v_add_u16_e32 v5, v3, v1
	v_cndmask_b32_e32 v1, 0, v5, vcc
	v_add_u16_e32 v6, v1, v20
	v_cndmask_b32_e64 v1, 0, v6, s[2:3]
	v_add_u16_e32 v7, v1, v21
	v_cndmask_b32_e64 v1, 0, v7, s[4:5]
	v_add_u16_e32 v8, v1, v22
	v_cndmask_b32_e64 v1, 0, v8, s[6:7]
	v_add_u16_e32 v9, v1, v16
	v_cndmask_b32_e64 v1, 0, v9, s[8:9]
	v_add_u16_e32 v10, v1, v23
	v_cndmask_b32_e64 v1, 0, v10, s[10:11]
	v_add_u16_e32 v11, v1, v17
	v_cndmask_b32_e64 v1, 0, v11, s[12:13]
	v_add_u16_e32 v37, v1, v24
	v_cndmask_b32_e64 v1, 0, v37, s[14:15]
	v_add_u16_e32 v38, v1, v25
	v_cndmask_b32_e64 v1, 0, v38, s[16:17]
	v_add_u16_e32 v39, v1, v26
	v_cndmask_b32_e64 v1, 0, v39, s[18:19]
	v_add_u16_e32 v40, v1, v27
	v_cndmask_b32_e64 v1, 0, v40, s[20:21]
	v_add_u16_e32 v41, v1, v28
	v_cndmask_b32_e64 v1, 0, v41, s[22:23]
	v_add_u16_e32 v42, v1, v29
	v_cndmask_b32_e64 v1, 0, v42, s[24:25]
	v_add_u16_e32 v43, v1, v30
	v_cndmask_b32_e64 v1, 0, v43, s[26:27]
	v_add_u16_e32 v44, v1, v31
	v_cndmask_b32_e64 v1, 0, v44, s[28:29]
	v_add_u16_e32 v45, v1, v32
	v_cndmask_b32_e64 v1, 0, v45, s[30:31]
	v_add_u16_e32 v46, v1, v33
	v_cndmask_b32_e64 v1, 0, v46, s[34:35]
	v_add_u16_e32 v47, v1, v18
	v_cndmask_b32_e64 v1, 0, v47, s[36:37]
	v_add_u16_e32 v48, v1, v34
	v_cndmask_b32_e64 v1, 0, v48, s[38:39]
	v_add_u16_e32 v49, v1, v19
	v_cndmask_b32_e64 v1, 0, v49, s[40:41]
	s_and_saveexec_b64 s[2:3], s[42:43]
	s_cbranch_execz .LBB878_230
; %bb.229:
	v_mov_b32_e32 v12, 0
	ds_read_u8 v3, v12 offset:1050
	ds_read_u16 v13, v12 offset:1048
	s_waitcnt lgkmcnt(1)
	v_cmp_eq_u32_e32 vcc, 0, v3
	v_cndmask_b32_e32 v2, 0, v2, vcc
	v_lshlrev_b32_e32 v14, 16, v3
	s_waitcnt lgkmcnt(0)
	v_add_u32_e32 v2, v2, v13
	v_or_b32_sdwa v2, v14, v2 dst_sel:DWORD dst_unused:UNUSED_PAD src0_sel:DWORD src1_sel:WORD_0
	v_mov_b32_e32 v3, 2
	global_store_dwordx2 v12, v[2:3], s[52:53] offset:512
.LBB878_230:
	s_or_b64 exec, exec, s[2:3]
	v_add_u16_e32 v50, v1, v35
.LBB878_231:
	s_add_u32 s2, s50, s60
	s_addc_u32 s3, s51, s61
	s_add_u32 s4, s2, s62
	v_mul_u32_u24_e32 v1, 22, v0
	s_addc_u32 s5, s3, s63
	s_and_b64 vcc, exec, s[0:1]
	v_lshlrev_b32_e32 v12, 1, v1
	s_cbranch_vccz .LBB878_275
; %bb.232:
	s_mov_b32 s0, 0x5040100
	v_perm_b32 v1, v7, v6, s0
	v_perm_b32 v2, v5, v4, s0
	s_barrier
	ds_write2_b32 v12, v2, v1 offset1:1
	v_perm_b32 v1, v11, v10, s0
	v_perm_b32 v2, v9, v8, s0
	ds_write2_b32 v12, v2, v1 offset0:2 offset1:3
	v_perm_b32 v1, v40, v39, s0
	v_perm_b32 v2, v38, v37, s0
	ds_write2_b32 v12, v2, v1 offset0:4 offset1:5
	v_perm_b32 v1, v44, v43, s0
	v_perm_b32 v2, v42, v41, s0
	ds_write2_b32 v12, v2, v1 offset0:6 offset1:7
	v_perm_b32 v1, v48, v47, s0
	v_perm_b32 v2, v46, v45, s0
	ds_write2_b32 v12, v2, v1 offset0:8 offset1:9
	v_perm_b32 v1, v50, v49, s0
	s_movk_i32 s0, 0xffd6
	v_mad_i32_i24 v2, v0, s0, v12
	ds_write_b32 v12, v1 offset:40
	s_waitcnt lgkmcnt(0)
	s_barrier
	ds_read_u16 v33, v2 offset:512
	ds_read_u16 v32, v2 offset:1024
	;; [unrolled: 1-line block ×21, first 2 shown]
	v_mov_b32_e32 v3, s5
	v_add_co_u32_e32 v2, vcc, s4, v36
	s_add_i32 s33, s33, s54
	v_addc_co_u32_e32 v3, vcc, 0, v3, vcc
	v_mov_b32_e32 v1, 0
	v_cmp_gt_u32_e32 vcc, s33, v0
	s_and_saveexec_b64 s[0:1], vcc
	s_cbranch_execz .LBB878_234
; %bb.233:
	v_mul_i32_i24_e32 v34, 0xffffffd6, v0
	v_add_u32_e32 v34, v12, v34
	ds_read_u16 v34, v34
	s_waitcnt lgkmcnt(0)
	flat_store_short v[2:3], v34
.LBB878_234:
	s_or_b64 exec, exec, s[0:1]
	v_or_b32_e32 v34, 0x100, v0
	v_cmp_gt_u32_e32 vcc, s33, v34
	s_and_saveexec_b64 s[0:1], vcc
	s_cbranch_execz .LBB878_236
; %bb.235:
	s_waitcnt lgkmcnt(0)
	flat_store_short v[2:3], v33 offset:512
.LBB878_236:
	s_or_b64 exec, exec, s[0:1]
	s_waitcnt lgkmcnt(0)
	v_or_b32_e32 v33, 0x200, v0
	v_cmp_gt_u32_e32 vcc, s33, v33
	s_and_saveexec_b64 s[0:1], vcc
	s_cbranch_execz .LBB878_238
; %bb.237:
	flat_store_short v[2:3], v32 offset:1024
.LBB878_238:
	s_or_b64 exec, exec, s[0:1]
	v_or_b32_e32 v32, 0x300, v0
	v_cmp_gt_u32_e32 vcc, s33, v32
	s_and_saveexec_b64 s[0:1], vcc
	s_cbranch_execz .LBB878_240
; %bb.239:
	flat_store_short v[2:3], v31 offset:1536
.LBB878_240:
	s_or_b64 exec, exec, s[0:1]
	;; [unrolled: 8-line block ×6, first 2 shown]
	v_or_b32_e32 v27, 0x800, v0
	v_cmp_gt_u32_e32 vcc, s33, v27
	s_and_saveexec_b64 s[0:1], vcc
	s_cbranch_execz .LBB878_250
; %bb.249:
	v_add_co_u32_e32 v28, vcc, 0x1000, v2
	v_addc_co_u32_e32 v29, vcc, 0, v3, vcc
	flat_store_short v[28:29], v26
.LBB878_250:
	s_or_b64 exec, exec, s[0:1]
	v_or_b32_e32 v26, 0x900, v0
	v_cmp_gt_u32_e32 vcc, s33, v26
	s_and_saveexec_b64 s[0:1], vcc
	s_cbranch_execz .LBB878_252
; %bb.251:
	v_add_co_u32_e32 v26, vcc, 0x1000, v2
	v_addc_co_u32_e32 v27, vcc, 0, v3, vcc
	flat_store_short v[26:27], v25 offset:512
.LBB878_252:
	s_or_b64 exec, exec, s[0:1]
	v_or_b32_e32 v25, 0xa00, v0
	v_cmp_gt_u32_e32 vcc, s33, v25
	s_and_saveexec_b64 s[0:1], vcc
	s_cbranch_execz .LBB878_254
; %bb.253:
	v_add_co_u32_e32 v26, vcc, 0x1000, v2
	v_addc_co_u32_e32 v27, vcc, 0, v3, vcc
	flat_store_short v[26:27], v24 offset:1024
.LBB878_254:
	;; [unrolled: 10-line block ×7, first 2 shown]
	s_or_b64 exec, exec, s[0:1]
	v_or_b32_e32 v19, 0x1000, v0
	v_cmp_gt_u32_e32 vcc, s33, v19
	s_and_saveexec_b64 s[0:1], vcc
	s_cbranch_execz .LBB878_266
; %bb.265:
	v_add_co_u32_e32 v20, vcc, 0x2000, v2
	v_addc_co_u32_e32 v21, vcc, 0, v3, vcc
	flat_store_short v[20:21], v18
.LBB878_266:
	s_or_b64 exec, exec, s[0:1]
	v_or_b32_e32 v18, 0x1100, v0
	v_cmp_gt_u32_e32 vcc, s33, v18
	s_and_saveexec_b64 s[0:1], vcc
	s_cbranch_execz .LBB878_268
; %bb.267:
	v_add_co_u32_e32 v18, vcc, 0x2000, v2
	v_addc_co_u32_e32 v19, vcc, 0, v3, vcc
	flat_store_short v[18:19], v17 offset:512
.LBB878_268:
	s_or_b64 exec, exec, s[0:1]
	v_or_b32_e32 v17, 0x1200, v0
	v_cmp_gt_u32_e32 vcc, s33, v17
	s_and_saveexec_b64 s[0:1], vcc
	s_cbranch_execz .LBB878_270
; %bb.269:
	v_add_co_u32_e32 v18, vcc, 0x2000, v2
	v_addc_co_u32_e32 v19, vcc, 0, v3, vcc
	flat_store_short v[18:19], v16 offset:1024
.LBB878_270:
	;; [unrolled: 10-line block ×4, first 2 shown]
	s_or_b64 exec, exec, s[0:1]
	v_or_b32_e32 v2, 0x1500, v0
	v_cmp_gt_u32_e64 s[0:1], s33, v2
	s_branch .LBB878_277
.LBB878_275:
	s_mov_b64 s[0:1], 0
                                        ; implicit-def: $vgpr13
	s_cbranch_execz .LBB878_277
; %bb.276:
	s_mov_b32 s2, 0x5040100
	v_perm_b32 v1, v7, v6, s2
	v_perm_b32 v2, v5, v4, s2
	s_waitcnt lgkmcnt(0)
	s_barrier
	ds_write2_b32 v12, v2, v1 offset1:1
	v_perm_b32 v1, v11, v10, s2
	v_perm_b32 v2, v9, v8, s2
	ds_write2_b32 v12, v2, v1 offset0:2 offset1:3
	v_perm_b32 v1, v40, v39, s2
	v_perm_b32 v2, v38, v37, s2
	ds_write2_b32 v12, v2, v1 offset0:4 offset1:5
	;; [unrolled: 3-line block ×4, first 2 shown]
	v_perm_b32 v1, v50, v49, s2
	s_movk_i32 s2, 0xffd6
	v_mad_i32_i24 v2, v0, s2, v12
	ds_write_b32 v12, v1 offset:40
	s_waitcnt lgkmcnt(0)
	s_barrier
	ds_read_u16 v4, v2
	ds_read_u16 v5, v2 offset:512
	ds_read_u16 v6, v2 offset:1024
	;; [unrolled: 1-line block ×21, first 2 shown]
	v_mov_b32_e32 v3, s5
	v_add_co_u32_e32 v2, vcc, s4, v36
	v_addc_co_u32_e32 v3, vcc, 0, v3, vcc
	s_movk_i32 s2, 0x1000
	s_waitcnt lgkmcnt(0)
	flat_store_short v[2:3], v4
	flat_store_short v[2:3], v5 offset:512
	flat_store_short v[2:3], v6 offset:1024
	;; [unrolled: 1-line block ×7, first 2 shown]
	v_add_co_u32_e32 v4, vcc, s2, v2
	v_addc_co_u32_e32 v5, vcc, 0, v3, vcc
	v_add_co_u32_e32 v2, vcc, 0x2000, v2
	v_mov_b32_e32 v1, 0
	v_addc_co_u32_e32 v3, vcc, 0, v3, vcc
	s_or_b64 s[0:1], s[0:1], exec
	flat_store_short v[4:5], v12
	flat_store_short v[4:5], v14 offset:512
	flat_store_short v[4:5], v15 offset:1024
	;; [unrolled: 1-line block ×7, first 2 shown]
	flat_store_short v[2:3], v21
	flat_store_short v[2:3], v22 offset:512
	flat_store_short v[2:3], v23 offset:1024
	;; [unrolled: 1-line block ×4, first 2 shown]
.LBB878_277:
	s_and_saveexec_b64 s[2:3], s[0:1]
	s_cbranch_execz .LBB878_279
; %bb.278:
	v_lshlrev_b64 v[0:1], 1, v[0:1]
	v_mov_b32_e32 v2, s5
	v_add_co_u32_e32 v0, vcc, s4, v0
	v_addc_co_u32_e32 v1, vcc, v2, v1, vcc
	v_add_co_u32_e32 v0, vcc, 0x2000, v0
	v_addc_co_u32_e32 v1, vcc, 0, v1, vcc
	flat_store_short v[0:1], v13 offset:2560
	s_endpgm
.LBB878_279:
	s_endpgm
	.section	.rodata,"a",@progbits
	.p2align	6, 0x0
	.amdhsa_kernel _ZN7rocprim17ROCPRIM_400000_NS6detail17trampoline_kernelINS0_14default_configENS1_27scan_by_key_config_selectorIssEEZZNS1_16scan_by_key_implILNS1_25lookback_scan_determinismE0ELb1ES3_N6thrust23THRUST_200600_302600_NS6detail15normal_iteratorINS9_10device_ptrIsEEEESE_SE_sNS9_4plusIsEE19head_flag_predicatesEE10hipError_tPvRmT2_T3_T4_T5_mT6_T7_P12ihipStream_tbENKUlT_T0_E_clISt17integral_constantIbLb1EESX_IbLb0EEEEDaST_SU_EUlST_E_NS1_11comp_targetILNS1_3genE4ELNS1_11target_archE910ELNS1_3gpuE8ELNS1_3repE0EEENS1_30default_config_static_selectorELNS0_4arch9wavefront6targetE1EEEvT1_
		.amdhsa_group_segment_fixed_size 12288
		.amdhsa_private_segment_fixed_size 0
		.amdhsa_kernarg_size 112
		.amdhsa_user_sgpr_count 6
		.amdhsa_user_sgpr_private_segment_buffer 1
		.amdhsa_user_sgpr_dispatch_ptr 0
		.amdhsa_user_sgpr_queue_ptr 0
		.amdhsa_user_sgpr_kernarg_segment_ptr 1
		.amdhsa_user_sgpr_dispatch_id 0
		.amdhsa_user_sgpr_flat_scratch_init 0
		.amdhsa_user_sgpr_kernarg_preload_length 0
		.amdhsa_user_sgpr_kernarg_preload_offset 0
		.amdhsa_user_sgpr_private_segment_size 0
		.amdhsa_uses_dynamic_stack 0
		.amdhsa_system_sgpr_private_segment_wavefront_offset 0
		.amdhsa_system_sgpr_workgroup_id_x 1
		.amdhsa_system_sgpr_workgroup_id_y 0
		.amdhsa_system_sgpr_workgroup_id_z 0
		.amdhsa_system_sgpr_workgroup_info 0
		.amdhsa_system_vgpr_workitem_id 0
		.amdhsa_next_free_vgpr 58
		.amdhsa_next_free_sgpr 75
		.amdhsa_accum_offset 60
		.amdhsa_reserve_vcc 1
		.amdhsa_reserve_flat_scratch 0
		.amdhsa_float_round_mode_32 0
		.amdhsa_float_round_mode_16_64 0
		.amdhsa_float_denorm_mode_32 3
		.amdhsa_float_denorm_mode_16_64 3
		.amdhsa_dx10_clamp 1
		.amdhsa_ieee_mode 1
		.amdhsa_fp16_overflow 0
		.amdhsa_tg_split 0
		.amdhsa_exception_fp_ieee_invalid_op 0
		.amdhsa_exception_fp_denorm_src 0
		.amdhsa_exception_fp_ieee_div_zero 0
		.amdhsa_exception_fp_ieee_overflow 0
		.amdhsa_exception_fp_ieee_underflow 0
		.amdhsa_exception_fp_ieee_inexact 0
		.amdhsa_exception_int_div_zero 0
	.end_amdhsa_kernel
	.section	.text._ZN7rocprim17ROCPRIM_400000_NS6detail17trampoline_kernelINS0_14default_configENS1_27scan_by_key_config_selectorIssEEZZNS1_16scan_by_key_implILNS1_25lookback_scan_determinismE0ELb1ES3_N6thrust23THRUST_200600_302600_NS6detail15normal_iteratorINS9_10device_ptrIsEEEESE_SE_sNS9_4plusIsEE19head_flag_predicatesEE10hipError_tPvRmT2_T3_T4_T5_mT6_T7_P12ihipStream_tbENKUlT_T0_E_clISt17integral_constantIbLb1EESX_IbLb0EEEEDaST_SU_EUlST_E_NS1_11comp_targetILNS1_3genE4ELNS1_11target_archE910ELNS1_3gpuE8ELNS1_3repE0EEENS1_30default_config_static_selectorELNS0_4arch9wavefront6targetE1EEEvT1_,"axG",@progbits,_ZN7rocprim17ROCPRIM_400000_NS6detail17trampoline_kernelINS0_14default_configENS1_27scan_by_key_config_selectorIssEEZZNS1_16scan_by_key_implILNS1_25lookback_scan_determinismE0ELb1ES3_N6thrust23THRUST_200600_302600_NS6detail15normal_iteratorINS9_10device_ptrIsEEEESE_SE_sNS9_4plusIsEE19head_flag_predicatesEE10hipError_tPvRmT2_T3_T4_T5_mT6_T7_P12ihipStream_tbENKUlT_T0_E_clISt17integral_constantIbLb1EESX_IbLb0EEEEDaST_SU_EUlST_E_NS1_11comp_targetILNS1_3genE4ELNS1_11target_archE910ELNS1_3gpuE8ELNS1_3repE0EEENS1_30default_config_static_selectorELNS0_4arch9wavefront6targetE1EEEvT1_,comdat
.Lfunc_end878:
	.size	_ZN7rocprim17ROCPRIM_400000_NS6detail17trampoline_kernelINS0_14default_configENS1_27scan_by_key_config_selectorIssEEZZNS1_16scan_by_key_implILNS1_25lookback_scan_determinismE0ELb1ES3_N6thrust23THRUST_200600_302600_NS6detail15normal_iteratorINS9_10device_ptrIsEEEESE_SE_sNS9_4plusIsEE19head_flag_predicatesEE10hipError_tPvRmT2_T3_T4_T5_mT6_T7_P12ihipStream_tbENKUlT_T0_E_clISt17integral_constantIbLb1EESX_IbLb0EEEEDaST_SU_EUlST_E_NS1_11comp_targetILNS1_3genE4ELNS1_11target_archE910ELNS1_3gpuE8ELNS1_3repE0EEENS1_30default_config_static_selectorELNS0_4arch9wavefront6targetE1EEEvT1_, .Lfunc_end878-_ZN7rocprim17ROCPRIM_400000_NS6detail17trampoline_kernelINS0_14default_configENS1_27scan_by_key_config_selectorIssEEZZNS1_16scan_by_key_implILNS1_25lookback_scan_determinismE0ELb1ES3_N6thrust23THRUST_200600_302600_NS6detail15normal_iteratorINS9_10device_ptrIsEEEESE_SE_sNS9_4plusIsEE19head_flag_predicatesEE10hipError_tPvRmT2_T3_T4_T5_mT6_T7_P12ihipStream_tbENKUlT_T0_E_clISt17integral_constantIbLb1EESX_IbLb0EEEEDaST_SU_EUlST_E_NS1_11comp_targetILNS1_3genE4ELNS1_11target_archE910ELNS1_3gpuE8ELNS1_3repE0EEENS1_30default_config_static_selectorELNS0_4arch9wavefront6targetE1EEEvT1_
                                        ; -- End function
	.section	.AMDGPU.csdata,"",@progbits
; Kernel info:
; codeLenInByte = 16180
; NumSgprs: 79
; NumVgprs: 58
; NumAgprs: 0
; TotalNumVgprs: 58
; ScratchSize: 0
; MemoryBound: 0
; FloatMode: 240
; IeeeMode: 1
; LDSByteSize: 12288 bytes/workgroup (compile time only)
; SGPRBlocks: 9
; VGPRBlocks: 7
; NumSGPRsForWavesPerEU: 79
; NumVGPRsForWavesPerEU: 58
; AccumOffset: 60
; Occupancy: 5
; WaveLimiterHint : 1
; COMPUTE_PGM_RSRC2:SCRATCH_EN: 0
; COMPUTE_PGM_RSRC2:USER_SGPR: 6
; COMPUTE_PGM_RSRC2:TRAP_HANDLER: 0
; COMPUTE_PGM_RSRC2:TGID_X_EN: 1
; COMPUTE_PGM_RSRC2:TGID_Y_EN: 0
; COMPUTE_PGM_RSRC2:TGID_Z_EN: 0
; COMPUTE_PGM_RSRC2:TIDIG_COMP_CNT: 0
; COMPUTE_PGM_RSRC3_GFX90A:ACCUM_OFFSET: 14
; COMPUTE_PGM_RSRC3_GFX90A:TG_SPLIT: 0
	.section	.text._ZN7rocprim17ROCPRIM_400000_NS6detail17trampoline_kernelINS0_14default_configENS1_27scan_by_key_config_selectorIssEEZZNS1_16scan_by_key_implILNS1_25lookback_scan_determinismE0ELb1ES3_N6thrust23THRUST_200600_302600_NS6detail15normal_iteratorINS9_10device_ptrIsEEEESE_SE_sNS9_4plusIsEE19head_flag_predicatesEE10hipError_tPvRmT2_T3_T4_T5_mT6_T7_P12ihipStream_tbENKUlT_T0_E_clISt17integral_constantIbLb1EESX_IbLb0EEEEDaST_SU_EUlST_E_NS1_11comp_targetILNS1_3genE3ELNS1_11target_archE908ELNS1_3gpuE7ELNS1_3repE0EEENS1_30default_config_static_selectorELNS0_4arch9wavefront6targetE1EEEvT1_,"axG",@progbits,_ZN7rocprim17ROCPRIM_400000_NS6detail17trampoline_kernelINS0_14default_configENS1_27scan_by_key_config_selectorIssEEZZNS1_16scan_by_key_implILNS1_25lookback_scan_determinismE0ELb1ES3_N6thrust23THRUST_200600_302600_NS6detail15normal_iteratorINS9_10device_ptrIsEEEESE_SE_sNS9_4plusIsEE19head_flag_predicatesEE10hipError_tPvRmT2_T3_T4_T5_mT6_T7_P12ihipStream_tbENKUlT_T0_E_clISt17integral_constantIbLb1EESX_IbLb0EEEEDaST_SU_EUlST_E_NS1_11comp_targetILNS1_3genE3ELNS1_11target_archE908ELNS1_3gpuE7ELNS1_3repE0EEENS1_30default_config_static_selectorELNS0_4arch9wavefront6targetE1EEEvT1_,comdat
	.protected	_ZN7rocprim17ROCPRIM_400000_NS6detail17trampoline_kernelINS0_14default_configENS1_27scan_by_key_config_selectorIssEEZZNS1_16scan_by_key_implILNS1_25lookback_scan_determinismE0ELb1ES3_N6thrust23THRUST_200600_302600_NS6detail15normal_iteratorINS9_10device_ptrIsEEEESE_SE_sNS9_4plusIsEE19head_flag_predicatesEE10hipError_tPvRmT2_T3_T4_T5_mT6_T7_P12ihipStream_tbENKUlT_T0_E_clISt17integral_constantIbLb1EESX_IbLb0EEEEDaST_SU_EUlST_E_NS1_11comp_targetILNS1_3genE3ELNS1_11target_archE908ELNS1_3gpuE7ELNS1_3repE0EEENS1_30default_config_static_selectorELNS0_4arch9wavefront6targetE1EEEvT1_ ; -- Begin function _ZN7rocprim17ROCPRIM_400000_NS6detail17trampoline_kernelINS0_14default_configENS1_27scan_by_key_config_selectorIssEEZZNS1_16scan_by_key_implILNS1_25lookback_scan_determinismE0ELb1ES3_N6thrust23THRUST_200600_302600_NS6detail15normal_iteratorINS9_10device_ptrIsEEEESE_SE_sNS9_4plusIsEE19head_flag_predicatesEE10hipError_tPvRmT2_T3_T4_T5_mT6_T7_P12ihipStream_tbENKUlT_T0_E_clISt17integral_constantIbLb1EESX_IbLb0EEEEDaST_SU_EUlST_E_NS1_11comp_targetILNS1_3genE3ELNS1_11target_archE908ELNS1_3gpuE7ELNS1_3repE0EEENS1_30default_config_static_selectorELNS0_4arch9wavefront6targetE1EEEvT1_
	.globl	_ZN7rocprim17ROCPRIM_400000_NS6detail17trampoline_kernelINS0_14default_configENS1_27scan_by_key_config_selectorIssEEZZNS1_16scan_by_key_implILNS1_25lookback_scan_determinismE0ELb1ES3_N6thrust23THRUST_200600_302600_NS6detail15normal_iteratorINS9_10device_ptrIsEEEESE_SE_sNS9_4plusIsEE19head_flag_predicatesEE10hipError_tPvRmT2_T3_T4_T5_mT6_T7_P12ihipStream_tbENKUlT_T0_E_clISt17integral_constantIbLb1EESX_IbLb0EEEEDaST_SU_EUlST_E_NS1_11comp_targetILNS1_3genE3ELNS1_11target_archE908ELNS1_3gpuE7ELNS1_3repE0EEENS1_30default_config_static_selectorELNS0_4arch9wavefront6targetE1EEEvT1_
	.p2align	8
	.type	_ZN7rocprim17ROCPRIM_400000_NS6detail17trampoline_kernelINS0_14default_configENS1_27scan_by_key_config_selectorIssEEZZNS1_16scan_by_key_implILNS1_25lookback_scan_determinismE0ELb1ES3_N6thrust23THRUST_200600_302600_NS6detail15normal_iteratorINS9_10device_ptrIsEEEESE_SE_sNS9_4plusIsEE19head_flag_predicatesEE10hipError_tPvRmT2_T3_T4_T5_mT6_T7_P12ihipStream_tbENKUlT_T0_E_clISt17integral_constantIbLb1EESX_IbLb0EEEEDaST_SU_EUlST_E_NS1_11comp_targetILNS1_3genE3ELNS1_11target_archE908ELNS1_3gpuE7ELNS1_3repE0EEENS1_30default_config_static_selectorELNS0_4arch9wavefront6targetE1EEEvT1_,@function
_ZN7rocprim17ROCPRIM_400000_NS6detail17trampoline_kernelINS0_14default_configENS1_27scan_by_key_config_selectorIssEEZZNS1_16scan_by_key_implILNS1_25lookback_scan_determinismE0ELb1ES3_N6thrust23THRUST_200600_302600_NS6detail15normal_iteratorINS9_10device_ptrIsEEEESE_SE_sNS9_4plusIsEE19head_flag_predicatesEE10hipError_tPvRmT2_T3_T4_T5_mT6_T7_P12ihipStream_tbENKUlT_T0_E_clISt17integral_constantIbLb1EESX_IbLb0EEEEDaST_SU_EUlST_E_NS1_11comp_targetILNS1_3genE3ELNS1_11target_archE908ELNS1_3gpuE7ELNS1_3repE0EEENS1_30default_config_static_selectorELNS0_4arch9wavefront6targetE1EEEvT1_: ; @_ZN7rocprim17ROCPRIM_400000_NS6detail17trampoline_kernelINS0_14default_configENS1_27scan_by_key_config_selectorIssEEZZNS1_16scan_by_key_implILNS1_25lookback_scan_determinismE0ELb1ES3_N6thrust23THRUST_200600_302600_NS6detail15normal_iteratorINS9_10device_ptrIsEEEESE_SE_sNS9_4plusIsEE19head_flag_predicatesEE10hipError_tPvRmT2_T3_T4_T5_mT6_T7_P12ihipStream_tbENKUlT_T0_E_clISt17integral_constantIbLb1EESX_IbLb0EEEEDaST_SU_EUlST_E_NS1_11comp_targetILNS1_3genE3ELNS1_11target_archE908ELNS1_3gpuE7ELNS1_3repE0EEENS1_30default_config_static_selectorELNS0_4arch9wavefront6targetE1EEEvT1_
; %bb.0:
	.section	.rodata,"a",@progbits
	.p2align	6, 0x0
	.amdhsa_kernel _ZN7rocprim17ROCPRIM_400000_NS6detail17trampoline_kernelINS0_14default_configENS1_27scan_by_key_config_selectorIssEEZZNS1_16scan_by_key_implILNS1_25lookback_scan_determinismE0ELb1ES3_N6thrust23THRUST_200600_302600_NS6detail15normal_iteratorINS9_10device_ptrIsEEEESE_SE_sNS9_4plusIsEE19head_flag_predicatesEE10hipError_tPvRmT2_T3_T4_T5_mT6_T7_P12ihipStream_tbENKUlT_T0_E_clISt17integral_constantIbLb1EESX_IbLb0EEEEDaST_SU_EUlST_E_NS1_11comp_targetILNS1_3genE3ELNS1_11target_archE908ELNS1_3gpuE7ELNS1_3repE0EEENS1_30default_config_static_selectorELNS0_4arch9wavefront6targetE1EEEvT1_
		.amdhsa_group_segment_fixed_size 0
		.amdhsa_private_segment_fixed_size 0
		.amdhsa_kernarg_size 112
		.amdhsa_user_sgpr_count 6
		.amdhsa_user_sgpr_private_segment_buffer 1
		.amdhsa_user_sgpr_dispatch_ptr 0
		.amdhsa_user_sgpr_queue_ptr 0
		.amdhsa_user_sgpr_kernarg_segment_ptr 1
		.amdhsa_user_sgpr_dispatch_id 0
		.amdhsa_user_sgpr_flat_scratch_init 0
		.amdhsa_user_sgpr_kernarg_preload_length 0
		.amdhsa_user_sgpr_kernarg_preload_offset 0
		.amdhsa_user_sgpr_private_segment_size 0
		.amdhsa_uses_dynamic_stack 0
		.amdhsa_system_sgpr_private_segment_wavefront_offset 0
		.amdhsa_system_sgpr_workgroup_id_x 1
		.amdhsa_system_sgpr_workgroup_id_y 0
		.amdhsa_system_sgpr_workgroup_id_z 0
		.amdhsa_system_sgpr_workgroup_info 0
		.amdhsa_system_vgpr_workitem_id 0
		.amdhsa_next_free_vgpr 1
		.amdhsa_next_free_sgpr 0
		.amdhsa_accum_offset 4
		.amdhsa_reserve_vcc 0
		.amdhsa_reserve_flat_scratch 0
		.amdhsa_float_round_mode_32 0
		.amdhsa_float_round_mode_16_64 0
		.amdhsa_float_denorm_mode_32 3
		.amdhsa_float_denorm_mode_16_64 3
		.amdhsa_dx10_clamp 1
		.amdhsa_ieee_mode 1
		.amdhsa_fp16_overflow 0
		.amdhsa_tg_split 0
		.amdhsa_exception_fp_ieee_invalid_op 0
		.amdhsa_exception_fp_denorm_src 0
		.amdhsa_exception_fp_ieee_div_zero 0
		.amdhsa_exception_fp_ieee_overflow 0
		.amdhsa_exception_fp_ieee_underflow 0
		.amdhsa_exception_fp_ieee_inexact 0
		.amdhsa_exception_int_div_zero 0
	.end_amdhsa_kernel
	.section	.text._ZN7rocprim17ROCPRIM_400000_NS6detail17trampoline_kernelINS0_14default_configENS1_27scan_by_key_config_selectorIssEEZZNS1_16scan_by_key_implILNS1_25lookback_scan_determinismE0ELb1ES3_N6thrust23THRUST_200600_302600_NS6detail15normal_iteratorINS9_10device_ptrIsEEEESE_SE_sNS9_4plusIsEE19head_flag_predicatesEE10hipError_tPvRmT2_T3_T4_T5_mT6_T7_P12ihipStream_tbENKUlT_T0_E_clISt17integral_constantIbLb1EESX_IbLb0EEEEDaST_SU_EUlST_E_NS1_11comp_targetILNS1_3genE3ELNS1_11target_archE908ELNS1_3gpuE7ELNS1_3repE0EEENS1_30default_config_static_selectorELNS0_4arch9wavefront6targetE1EEEvT1_,"axG",@progbits,_ZN7rocprim17ROCPRIM_400000_NS6detail17trampoline_kernelINS0_14default_configENS1_27scan_by_key_config_selectorIssEEZZNS1_16scan_by_key_implILNS1_25lookback_scan_determinismE0ELb1ES3_N6thrust23THRUST_200600_302600_NS6detail15normal_iteratorINS9_10device_ptrIsEEEESE_SE_sNS9_4plusIsEE19head_flag_predicatesEE10hipError_tPvRmT2_T3_T4_T5_mT6_T7_P12ihipStream_tbENKUlT_T0_E_clISt17integral_constantIbLb1EESX_IbLb0EEEEDaST_SU_EUlST_E_NS1_11comp_targetILNS1_3genE3ELNS1_11target_archE908ELNS1_3gpuE7ELNS1_3repE0EEENS1_30default_config_static_selectorELNS0_4arch9wavefront6targetE1EEEvT1_,comdat
.Lfunc_end879:
	.size	_ZN7rocprim17ROCPRIM_400000_NS6detail17trampoline_kernelINS0_14default_configENS1_27scan_by_key_config_selectorIssEEZZNS1_16scan_by_key_implILNS1_25lookback_scan_determinismE0ELb1ES3_N6thrust23THRUST_200600_302600_NS6detail15normal_iteratorINS9_10device_ptrIsEEEESE_SE_sNS9_4plusIsEE19head_flag_predicatesEE10hipError_tPvRmT2_T3_T4_T5_mT6_T7_P12ihipStream_tbENKUlT_T0_E_clISt17integral_constantIbLb1EESX_IbLb0EEEEDaST_SU_EUlST_E_NS1_11comp_targetILNS1_3genE3ELNS1_11target_archE908ELNS1_3gpuE7ELNS1_3repE0EEENS1_30default_config_static_selectorELNS0_4arch9wavefront6targetE1EEEvT1_, .Lfunc_end879-_ZN7rocprim17ROCPRIM_400000_NS6detail17trampoline_kernelINS0_14default_configENS1_27scan_by_key_config_selectorIssEEZZNS1_16scan_by_key_implILNS1_25lookback_scan_determinismE0ELb1ES3_N6thrust23THRUST_200600_302600_NS6detail15normal_iteratorINS9_10device_ptrIsEEEESE_SE_sNS9_4plusIsEE19head_flag_predicatesEE10hipError_tPvRmT2_T3_T4_T5_mT6_T7_P12ihipStream_tbENKUlT_T0_E_clISt17integral_constantIbLb1EESX_IbLb0EEEEDaST_SU_EUlST_E_NS1_11comp_targetILNS1_3genE3ELNS1_11target_archE908ELNS1_3gpuE7ELNS1_3repE0EEENS1_30default_config_static_selectorELNS0_4arch9wavefront6targetE1EEEvT1_
                                        ; -- End function
	.section	.AMDGPU.csdata,"",@progbits
; Kernel info:
; codeLenInByte = 0
; NumSgprs: 4
; NumVgprs: 0
; NumAgprs: 0
; TotalNumVgprs: 0
; ScratchSize: 0
; MemoryBound: 0
; FloatMode: 240
; IeeeMode: 1
; LDSByteSize: 0 bytes/workgroup (compile time only)
; SGPRBlocks: 0
; VGPRBlocks: 0
; NumSGPRsForWavesPerEU: 4
; NumVGPRsForWavesPerEU: 1
; AccumOffset: 4
; Occupancy: 8
; WaveLimiterHint : 0
; COMPUTE_PGM_RSRC2:SCRATCH_EN: 0
; COMPUTE_PGM_RSRC2:USER_SGPR: 6
; COMPUTE_PGM_RSRC2:TRAP_HANDLER: 0
; COMPUTE_PGM_RSRC2:TGID_X_EN: 1
; COMPUTE_PGM_RSRC2:TGID_Y_EN: 0
; COMPUTE_PGM_RSRC2:TGID_Z_EN: 0
; COMPUTE_PGM_RSRC2:TIDIG_COMP_CNT: 0
; COMPUTE_PGM_RSRC3_GFX90A:ACCUM_OFFSET: 0
; COMPUTE_PGM_RSRC3_GFX90A:TG_SPLIT: 0
	.section	.text._ZN7rocprim17ROCPRIM_400000_NS6detail17trampoline_kernelINS0_14default_configENS1_27scan_by_key_config_selectorIssEEZZNS1_16scan_by_key_implILNS1_25lookback_scan_determinismE0ELb1ES3_N6thrust23THRUST_200600_302600_NS6detail15normal_iteratorINS9_10device_ptrIsEEEESE_SE_sNS9_4plusIsEE19head_flag_predicatesEE10hipError_tPvRmT2_T3_T4_T5_mT6_T7_P12ihipStream_tbENKUlT_T0_E_clISt17integral_constantIbLb1EESX_IbLb0EEEEDaST_SU_EUlST_E_NS1_11comp_targetILNS1_3genE2ELNS1_11target_archE906ELNS1_3gpuE6ELNS1_3repE0EEENS1_30default_config_static_selectorELNS0_4arch9wavefront6targetE1EEEvT1_,"axG",@progbits,_ZN7rocprim17ROCPRIM_400000_NS6detail17trampoline_kernelINS0_14default_configENS1_27scan_by_key_config_selectorIssEEZZNS1_16scan_by_key_implILNS1_25lookback_scan_determinismE0ELb1ES3_N6thrust23THRUST_200600_302600_NS6detail15normal_iteratorINS9_10device_ptrIsEEEESE_SE_sNS9_4plusIsEE19head_flag_predicatesEE10hipError_tPvRmT2_T3_T4_T5_mT6_T7_P12ihipStream_tbENKUlT_T0_E_clISt17integral_constantIbLb1EESX_IbLb0EEEEDaST_SU_EUlST_E_NS1_11comp_targetILNS1_3genE2ELNS1_11target_archE906ELNS1_3gpuE6ELNS1_3repE0EEENS1_30default_config_static_selectorELNS0_4arch9wavefront6targetE1EEEvT1_,comdat
	.protected	_ZN7rocprim17ROCPRIM_400000_NS6detail17trampoline_kernelINS0_14default_configENS1_27scan_by_key_config_selectorIssEEZZNS1_16scan_by_key_implILNS1_25lookback_scan_determinismE0ELb1ES3_N6thrust23THRUST_200600_302600_NS6detail15normal_iteratorINS9_10device_ptrIsEEEESE_SE_sNS9_4plusIsEE19head_flag_predicatesEE10hipError_tPvRmT2_T3_T4_T5_mT6_T7_P12ihipStream_tbENKUlT_T0_E_clISt17integral_constantIbLb1EESX_IbLb0EEEEDaST_SU_EUlST_E_NS1_11comp_targetILNS1_3genE2ELNS1_11target_archE906ELNS1_3gpuE6ELNS1_3repE0EEENS1_30default_config_static_selectorELNS0_4arch9wavefront6targetE1EEEvT1_ ; -- Begin function _ZN7rocprim17ROCPRIM_400000_NS6detail17trampoline_kernelINS0_14default_configENS1_27scan_by_key_config_selectorIssEEZZNS1_16scan_by_key_implILNS1_25lookback_scan_determinismE0ELb1ES3_N6thrust23THRUST_200600_302600_NS6detail15normal_iteratorINS9_10device_ptrIsEEEESE_SE_sNS9_4plusIsEE19head_flag_predicatesEE10hipError_tPvRmT2_T3_T4_T5_mT6_T7_P12ihipStream_tbENKUlT_T0_E_clISt17integral_constantIbLb1EESX_IbLb0EEEEDaST_SU_EUlST_E_NS1_11comp_targetILNS1_3genE2ELNS1_11target_archE906ELNS1_3gpuE6ELNS1_3repE0EEENS1_30default_config_static_selectorELNS0_4arch9wavefront6targetE1EEEvT1_
	.globl	_ZN7rocprim17ROCPRIM_400000_NS6detail17trampoline_kernelINS0_14default_configENS1_27scan_by_key_config_selectorIssEEZZNS1_16scan_by_key_implILNS1_25lookback_scan_determinismE0ELb1ES3_N6thrust23THRUST_200600_302600_NS6detail15normal_iteratorINS9_10device_ptrIsEEEESE_SE_sNS9_4plusIsEE19head_flag_predicatesEE10hipError_tPvRmT2_T3_T4_T5_mT6_T7_P12ihipStream_tbENKUlT_T0_E_clISt17integral_constantIbLb1EESX_IbLb0EEEEDaST_SU_EUlST_E_NS1_11comp_targetILNS1_3genE2ELNS1_11target_archE906ELNS1_3gpuE6ELNS1_3repE0EEENS1_30default_config_static_selectorELNS0_4arch9wavefront6targetE1EEEvT1_
	.p2align	8
	.type	_ZN7rocprim17ROCPRIM_400000_NS6detail17trampoline_kernelINS0_14default_configENS1_27scan_by_key_config_selectorIssEEZZNS1_16scan_by_key_implILNS1_25lookback_scan_determinismE0ELb1ES3_N6thrust23THRUST_200600_302600_NS6detail15normal_iteratorINS9_10device_ptrIsEEEESE_SE_sNS9_4plusIsEE19head_flag_predicatesEE10hipError_tPvRmT2_T3_T4_T5_mT6_T7_P12ihipStream_tbENKUlT_T0_E_clISt17integral_constantIbLb1EESX_IbLb0EEEEDaST_SU_EUlST_E_NS1_11comp_targetILNS1_3genE2ELNS1_11target_archE906ELNS1_3gpuE6ELNS1_3repE0EEENS1_30default_config_static_selectorELNS0_4arch9wavefront6targetE1EEEvT1_,@function
_ZN7rocprim17ROCPRIM_400000_NS6detail17trampoline_kernelINS0_14default_configENS1_27scan_by_key_config_selectorIssEEZZNS1_16scan_by_key_implILNS1_25lookback_scan_determinismE0ELb1ES3_N6thrust23THRUST_200600_302600_NS6detail15normal_iteratorINS9_10device_ptrIsEEEESE_SE_sNS9_4plusIsEE19head_flag_predicatesEE10hipError_tPvRmT2_T3_T4_T5_mT6_T7_P12ihipStream_tbENKUlT_T0_E_clISt17integral_constantIbLb1EESX_IbLb0EEEEDaST_SU_EUlST_E_NS1_11comp_targetILNS1_3genE2ELNS1_11target_archE906ELNS1_3gpuE6ELNS1_3repE0EEENS1_30default_config_static_selectorELNS0_4arch9wavefront6targetE1EEEvT1_: ; @_ZN7rocprim17ROCPRIM_400000_NS6detail17trampoline_kernelINS0_14default_configENS1_27scan_by_key_config_selectorIssEEZZNS1_16scan_by_key_implILNS1_25lookback_scan_determinismE0ELb1ES3_N6thrust23THRUST_200600_302600_NS6detail15normal_iteratorINS9_10device_ptrIsEEEESE_SE_sNS9_4plusIsEE19head_flag_predicatesEE10hipError_tPvRmT2_T3_T4_T5_mT6_T7_P12ihipStream_tbENKUlT_T0_E_clISt17integral_constantIbLb1EESX_IbLb0EEEEDaST_SU_EUlST_E_NS1_11comp_targetILNS1_3genE2ELNS1_11target_archE906ELNS1_3gpuE6ELNS1_3repE0EEENS1_30default_config_static_selectorELNS0_4arch9wavefront6targetE1EEEvT1_
; %bb.0:
	.section	.rodata,"a",@progbits
	.p2align	6, 0x0
	.amdhsa_kernel _ZN7rocprim17ROCPRIM_400000_NS6detail17trampoline_kernelINS0_14default_configENS1_27scan_by_key_config_selectorIssEEZZNS1_16scan_by_key_implILNS1_25lookback_scan_determinismE0ELb1ES3_N6thrust23THRUST_200600_302600_NS6detail15normal_iteratorINS9_10device_ptrIsEEEESE_SE_sNS9_4plusIsEE19head_flag_predicatesEE10hipError_tPvRmT2_T3_T4_T5_mT6_T7_P12ihipStream_tbENKUlT_T0_E_clISt17integral_constantIbLb1EESX_IbLb0EEEEDaST_SU_EUlST_E_NS1_11comp_targetILNS1_3genE2ELNS1_11target_archE906ELNS1_3gpuE6ELNS1_3repE0EEENS1_30default_config_static_selectorELNS0_4arch9wavefront6targetE1EEEvT1_
		.amdhsa_group_segment_fixed_size 0
		.amdhsa_private_segment_fixed_size 0
		.amdhsa_kernarg_size 112
		.amdhsa_user_sgpr_count 6
		.amdhsa_user_sgpr_private_segment_buffer 1
		.amdhsa_user_sgpr_dispatch_ptr 0
		.amdhsa_user_sgpr_queue_ptr 0
		.amdhsa_user_sgpr_kernarg_segment_ptr 1
		.amdhsa_user_sgpr_dispatch_id 0
		.amdhsa_user_sgpr_flat_scratch_init 0
		.amdhsa_user_sgpr_kernarg_preload_length 0
		.amdhsa_user_sgpr_kernarg_preload_offset 0
		.amdhsa_user_sgpr_private_segment_size 0
		.amdhsa_uses_dynamic_stack 0
		.amdhsa_system_sgpr_private_segment_wavefront_offset 0
		.amdhsa_system_sgpr_workgroup_id_x 1
		.amdhsa_system_sgpr_workgroup_id_y 0
		.amdhsa_system_sgpr_workgroup_id_z 0
		.amdhsa_system_sgpr_workgroup_info 0
		.amdhsa_system_vgpr_workitem_id 0
		.amdhsa_next_free_vgpr 1
		.amdhsa_next_free_sgpr 0
		.amdhsa_accum_offset 4
		.amdhsa_reserve_vcc 0
		.amdhsa_reserve_flat_scratch 0
		.amdhsa_float_round_mode_32 0
		.amdhsa_float_round_mode_16_64 0
		.amdhsa_float_denorm_mode_32 3
		.amdhsa_float_denorm_mode_16_64 3
		.amdhsa_dx10_clamp 1
		.amdhsa_ieee_mode 1
		.amdhsa_fp16_overflow 0
		.amdhsa_tg_split 0
		.amdhsa_exception_fp_ieee_invalid_op 0
		.amdhsa_exception_fp_denorm_src 0
		.amdhsa_exception_fp_ieee_div_zero 0
		.amdhsa_exception_fp_ieee_overflow 0
		.amdhsa_exception_fp_ieee_underflow 0
		.amdhsa_exception_fp_ieee_inexact 0
		.amdhsa_exception_int_div_zero 0
	.end_amdhsa_kernel
	.section	.text._ZN7rocprim17ROCPRIM_400000_NS6detail17trampoline_kernelINS0_14default_configENS1_27scan_by_key_config_selectorIssEEZZNS1_16scan_by_key_implILNS1_25lookback_scan_determinismE0ELb1ES3_N6thrust23THRUST_200600_302600_NS6detail15normal_iteratorINS9_10device_ptrIsEEEESE_SE_sNS9_4plusIsEE19head_flag_predicatesEE10hipError_tPvRmT2_T3_T4_T5_mT6_T7_P12ihipStream_tbENKUlT_T0_E_clISt17integral_constantIbLb1EESX_IbLb0EEEEDaST_SU_EUlST_E_NS1_11comp_targetILNS1_3genE2ELNS1_11target_archE906ELNS1_3gpuE6ELNS1_3repE0EEENS1_30default_config_static_selectorELNS0_4arch9wavefront6targetE1EEEvT1_,"axG",@progbits,_ZN7rocprim17ROCPRIM_400000_NS6detail17trampoline_kernelINS0_14default_configENS1_27scan_by_key_config_selectorIssEEZZNS1_16scan_by_key_implILNS1_25lookback_scan_determinismE0ELb1ES3_N6thrust23THRUST_200600_302600_NS6detail15normal_iteratorINS9_10device_ptrIsEEEESE_SE_sNS9_4plusIsEE19head_flag_predicatesEE10hipError_tPvRmT2_T3_T4_T5_mT6_T7_P12ihipStream_tbENKUlT_T0_E_clISt17integral_constantIbLb1EESX_IbLb0EEEEDaST_SU_EUlST_E_NS1_11comp_targetILNS1_3genE2ELNS1_11target_archE906ELNS1_3gpuE6ELNS1_3repE0EEENS1_30default_config_static_selectorELNS0_4arch9wavefront6targetE1EEEvT1_,comdat
.Lfunc_end880:
	.size	_ZN7rocprim17ROCPRIM_400000_NS6detail17trampoline_kernelINS0_14default_configENS1_27scan_by_key_config_selectorIssEEZZNS1_16scan_by_key_implILNS1_25lookback_scan_determinismE0ELb1ES3_N6thrust23THRUST_200600_302600_NS6detail15normal_iteratorINS9_10device_ptrIsEEEESE_SE_sNS9_4plusIsEE19head_flag_predicatesEE10hipError_tPvRmT2_T3_T4_T5_mT6_T7_P12ihipStream_tbENKUlT_T0_E_clISt17integral_constantIbLb1EESX_IbLb0EEEEDaST_SU_EUlST_E_NS1_11comp_targetILNS1_3genE2ELNS1_11target_archE906ELNS1_3gpuE6ELNS1_3repE0EEENS1_30default_config_static_selectorELNS0_4arch9wavefront6targetE1EEEvT1_, .Lfunc_end880-_ZN7rocprim17ROCPRIM_400000_NS6detail17trampoline_kernelINS0_14default_configENS1_27scan_by_key_config_selectorIssEEZZNS1_16scan_by_key_implILNS1_25lookback_scan_determinismE0ELb1ES3_N6thrust23THRUST_200600_302600_NS6detail15normal_iteratorINS9_10device_ptrIsEEEESE_SE_sNS9_4plusIsEE19head_flag_predicatesEE10hipError_tPvRmT2_T3_T4_T5_mT6_T7_P12ihipStream_tbENKUlT_T0_E_clISt17integral_constantIbLb1EESX_IbLb0EEEEDaST_SU_EUlST_E_NS1_11comp_targetILNS1_3genE2ELNS1_11target_archE906ELNS1_3gpuE6ELNS1_3repE0EEENS1_30default_config_static_selectorELNS0_4arch9wavefront6targetE1EEEvT1_
                                        ; -- End function
	.section	.AMDGPU.csdata,"",@progbits
; Kernel info:
; codeLenInByte = 0
; NumSgprs: 4
; NumVgprs: 0
; NumAgprs: 0
; TotalNumVgprs: 0
; ScratchSize: 0
; MemoryBound: 0
; FloatMode: 240
; IeeeMode: 1
; LDSByteSize: 0 bytes/workgroup (compile time only)
; SGPRBlocks: 0
; VGPRBlocks: 0
; NumSGPRsForWavesPerEU: 4
; NumVGPRsForWavesPerEU: 1
; AccumOffset: 4
; Occupancy: 8
; WaveLimiterHint : 0
; COMPUTE_PGM_RSRC2:SCRATCH_EN: 0
; COMPUTE_PGM_RSRC2:USER_SGPR: 6
; COMPUTE_PGM_RSRC2:TRAP_HANDLER: 0
; COMPUTE_PGM_RSRC2:TGID_X_EN: 1
; COMPUTE_PGM_RSRC2:TGID_Y_EN: 0
; COMPUTE_PGM_RSRC2:TGID_Z_EN: 0
; COMPUTE_PGM_RSRC2:TIDIG_COMP_CNT: 0
; COMPUTE_PGM_RSRC3_GFX90A:ACCUM_OFFSET: 0
; COMPUTE_PGM_RSRC3_GFX90A:TG_SPLIT: 0
	.section	.text._ZN7rocprim17ROCPRIM_400000_NS6detail17trampoline_kernelINS0_14default_configENS1_27scan_by_key_config_selectorIssEEZZNS1_16scan_by_key_implILNS1_25lookback_scan_determinismE0ELb1ES3_N6thrust23THRUST_200600_302600_NS6detail15normal_iteratorINS9_10device_ptrIsEEEESE_SE_sNS9_4plusIsEE19head_flag_predicatesEE10hipError_tPvRmT2_T3_T4_T5_mT6_T7_P12ihipStream_tbENKUlT_T0_E_clISt17integral_constantIbLb1EESX_IbLb0EEEEDaST_SU_EUlST_E_NS1_11comp_targetILNS1_3genE10ELNS1_11target_archE1200ELNS1_3gpuE4ELNS1_3repE0EEENS1_30default_config_static_selectorELNS0_4arch9wavefront6targetE1EEEvT1_,"axG",@progbits,_ZN7rocprim17ROCPRIM_400000_NS6detail17trampoline_kernelINS0_14default_configENS1_27scan_by_key_config_selectorIssEEZZNS1_16scan_by_key_implILNS1_25lookback_scan_determinismE0ELb1ES3_N6thrust23THRUST_200600_302600_NS6detail15normal_iteratorINS9_10device_ptrIsEEEESE_SE_sNS9_4plusIsEE19head_flag_predicatesEE10hipError_tPvRmT2_T3_T4_T5_mT6_T7_P12ihipStream_tbENKUlT_T0_E_clISt17integral_constantIbLb1EESX_IbLb0EEEEDaST_SU_EUlST_E_NS1_11comp_targetILNS1_3genE10ELNS1_11target_archE1200ELNS1_3gpuE4ELNS1_3repE0EEENS1_30default_config_static_selectorELNS0_4arch9wavefront6targetE1EEEvT1_,comdat
	.protected	_ZN7rocprim17ROCPRIM_400000_NS6detail17trampoline_kernelINS0_14default_configENS1_27scan_by_key_config_selectorIssEEZZNS1_16scan_by_key_implILNS1_25lookback_scan_determinismE0ELb1ES3_N6thrust23THRUST_200600_302600_NS6detail15normal_iteratorINS9_10device_ptrIsEEEESE_SE_sNS9_4plusIsEE19head_flag_predicatesEE10hipError_tPvRmT2_T3_T4_T5_mT6_T7_P12ihipStream_tbENKUlT_T0_E_clISt17integral_constantIbLb1EESX_IbLb0EEEEDaST_SU_EUlST_E_NS1_11comp_targetILNS1_3genE10ELNS1_11target_archE1200ELNS1_3gpuE4ELNS1_3repE0EEENS1_30default_config_static_selectorELNS0_4arch9wavefront6targetE1EEEvT1_ ; -- Begin function _ZN7rocprim17ROCPRIM_400000_NS6detail17trampoline_kernelINS0_14default_configENS1_27scan_by_key_config_selectorIssEEZZNS1_16scan_by_key_implILNS1_25lookback_scan_determinismE0ELb1ES3_N6thrust23THRUST_200600_302600_NS6detail15normal_iteratorINS9_10device_ptrIsEEEESE_SE_sNS9_4plusIsEE19head_flag_predicatesEE10hipError_tPvRmT2_T3_T4_T5_mT6_T7_P12ihipStream_tbENKUlT_T0_E_clISt17integral_constantIbLb1EESX_IbLb0EEEEDaST_SU_EUlST_E_NS1_11comp_targetILNS1_3genE10ELNS1_11target_archE1200ELNS1_3gpuE4ELNS1_3repE0EEENS1_30default_config_static_selectorELNS0_4arch9wavefront6targetE1EEEvT1_
	.globl	_ZN7rocprim17ROCPRIM_400000_NS6detail17trampoline_kernelINS0_14default_configENS1_27scan_by_key_config_selectorIssEEZZNS1_16scan_by_key_implILNS1_25lookback_scan_determinismE0ELb1ES3_N6thrust23THRUST_200600_302600_NS6detail15normal_iteratorINS9_10device_ptrIsEEEESE_SE_sNS9_4plusIsEE19head_flag_predicatesEE10hipError_tPvRmT2_T3_T4_T5_mT6_T7_P12ihipStream_tbENKUlT_T0_E_clISt17integral_constantIbLb1EESX_IbLb0EEEEDaST_SU_EUlST_E_NS1_11comp_targetILNS1_3genE10ELNS1_11target_archE1200ELNS1_3gpuE4ELNS1_3repE0EEENS1_30default_config_static_selectorELNS0_4arch9wavefront6targetE1EEEvT1_
	.p2align	8
	.type	_ZN7rocprim17ROCPRIM_400000_NS6detail17trampoline_kernelINS0_14default_configENS1_27scan_by_key_config_selectorIssEEZZNS1_16scan_by_key_implILNS1_25lookback_scan_determinismE0ELb1ES3_N6thrust23THRUST_200600_302600_NS6detail15normal_iteratorINS9_10device_ptrIsEEEESE_SE_sNS9_4plusIsEE19head_flag_predicatesEE10hipError_tPvRmT2_T3_T4_T5_mT6_T7_P12ihipStream_tbENKUlT_T0_E_clISt17integral_constantIbLb1EESX_IbLb0EEEEDaST_SU_EUlST_E_NS1_11comp_targetILNS1_3genE10ELNS1_11target_archE1200ELNS1_3gpuE4ELNS1_3repE0EEENS1_30default_config_static_selectorELNS0_4arch9wavefront6targetE1EEEvT1_,@function
_ZN7rocprim17ROCPRIM_400000_NS6detail17trampoline_kernelINS0_14default_configENS1_27scan_by_key_config_selectorIssEEZZNS1_16scan_by_key_implILNS1_25lookback_scan_determinismE0ELb1ES3_N6thrust23THRUST_200600_302600_NS6detail15normal_iteratorINS9_10device_ptrIsEEEESE_SE_sNS9_4plusIsEE19head_flag_predicatesEE10hipError_tPvRmT2_T3_T4_T5_mT6_T7_P12ihipStream_tbENKUlT_T0_E_clISt17integral_constantIbLb1EESX_IbLb0EEEEDaST_SU_EUlST_E_NS1_11comp_targetILNS1_3genE10ELNS1_11target_archE1200ELNS1_3gpuE4ELNS1_3repE0EEENS1_30default_config_static_selectorELNS0_4arch9wavefront6targetE1EEEvT1_: ; @_ZN7rocprim17ROCPRIM_400000_NS6detail17trampoline_kernelINS0_14default_configENS1_27scan_by_key_config_selectorIssEEZZNS1_16scan_by_key_implILNS1_25lookback_scan_determinismE0ELb1ES3_N6thrust23THRUST_200600_302600_NS6detail15normal_iteratorINS9_10device_ptrIsEEEESE_SE_sNS9_4plusIsEE19head_flag_predicatesEE10hipError_tPvRmT2_T3_T4_T5_mT6_T7_P12ihipStream_tbENKUlT_T0_E_clISt17integral_constantIbLb1EESX_IbLb0EEEEDaST_SU_EUlST_E_NS1_11comp_targetILNS1_3genE10ELNS1_11target_archE1200ELNS1_3gpuE4ELNS1_3repE0EEENS1_30default_config_static_selectorELNS0_4arch9wavefront6targetE1EEEvT1_
; %bb.0:
	.section	.rodata,"a",@progbits
	.p2align	6, 0x0
	.amdhsa_kernel _ZN7rocprim17ROCPRIM_400000_NS6detail17trampoline_kernelINS0_14default_configENS1_27scan_by_key_config_selectorIssEEZZNS1_16scan_by_key_implILNS1_25lookback_scan_determinismE0ELb1ES3_N6thrust23THRUST_200600_302600_NS6detail15normal_iteratorINS9_10device_ptrIsEEEESE_SE_sNS9_4plusIsEE19head_flag_predicatesEE10hipError_tPvRmT2_T3_T4_T5_mT6_T7_P12ihipStream_tbENKUlT_T0_E_clISt17integral_constantIbLb1EESX_IbLb0EEEEDaST_SU_EUlST_E_NS1_11comp_targetILNS1_3genE10ELNS1_11target_archE1200ELNS1_3gpuE4ELNS1_3repE0EEENS1_30default_config_static_selectorELNS0_4arch9wavefront6targetE1EEEvT1_
		.amdhsa_group_segment_fixed_size 0
		.amdhsa_private_segment_fixed_size 0
		.amdhsa_kernarg_size 112
		.amdhsa_user_sgpr_count 6
		.amdhsa_user_sgpr_private_segment_buffer 1
		.amdhsa_user_sgpr_dispatch_ptr 0
		.amdhsa_user_sgpr_queue_ptr 0
		.amdhsa_user_sgpr_kernarg_segment_ptr 1
		.amdhsa_user_sgpr_dispatch_id 0
		.amdhsa_user_sgpr_flat_scratch_init 0
		.amdhsa_user_sgpr_kernarg_preload_length 0
		.amdhsa_user_sgpr_kernarg_preload_offset 0
		.amdhsa_user_sgpr_private_segment_size 0
		.amdhsa_uses_dynamic_stack 0
		.amdhsa_system_sgpr_private_segment_wavefront_offset 0
		.amdhsa_system_sgpr_workgroup_id_x 1
		.amdhsa_system_sgpr_workgroup_id_y 0
		.amdhsa_system_sgpr_workgroup_id_z 0
		.amdhsa_system_sgpr_workgroup_info 0
		.amdhsa_system_vgpr_workitem_id 0
		.amdhsa_next_free_vgpr 1
		.amdhsa_next_free_sgpr 0
		.amdhsa_accum_offset 4
		.amdhsa_reserve_vcc 0
		.amdhsa_reserve_flat_scratch 0
		.amdhsa_float_round_mode_32 0
		.amdhsa_float_round_mode_16_64 0
		.amdhsa_float_denorm_mode_32 3
		.amdhsa_float_denorm_mode_16_64 3
		.amdhsa_dx10_clamp 1
		.amdhsa_ieee_mode 1
		.amdhsa_fp16_overflow 0
		.amdhsa_tg_split 0
		.amdhsa_exception_fp_ieee_invalid_op 0
		.amdhsa_exception_fp_denorm_src 0
		.amdhsa_exception_fp_ieee_div_zero 0
		.amdhsa_exception_fp_ieee_overflow 0
		.amdhsa_exception_fp_ieee_underflow 0
		.amdhsa_exception_fp_ieee_inexact 0
		.amdhsa_exception_int_div_zero 0
	.end_amdhsa_kernel
	.section	.text._ZN7rocprim17ROCPRIM_400000_NS6detail17trampoline_kernelINS0_14default_configENS1_27scan_by_key_config_selectorIssEEZZNS1_16scan_by_key_implILNS1_25lookback_scan_determinismE0ELb1ES3_N6thrust23THRUST_200600_302600_NS6detail15normal_iteratorINS9_10device_ptrIsEEEESE_SE_sNS9_4plusIsEE19head_flag_predicatesEE10hipError_tPvRmT2_T3_T4_T5_mT6_T7_P12ihipStream_tbENKUlT_T0_E_clISt17integral_constantIbLb1EESX_IbLb0EEEEDaST_SU_EUlST_E_NS1_11comp_targetILNS1_3genE10ELNS1_11target_archE1200ELNS1_3gpuE4ELNS1_3repE0EEENS1_30default_config_static_selectorELNS0_4arch9wavefront6targetE1EEEvT1_,"axG",@progbits,_ZN7rocprim17ROCPRIM_400000_NS6detail17trampoline_kernelINS0_14default_configENS1_27scan_by_key_config_selectorIssEEZZNS1_16scan_by_key_implILNS1_25lookback_scan_determinismE0ELb1ES3_N6thrust23THRUST_200600_302600_NS6detail15normal_iteratorINS9_10device_ptrIsEEEESE_SE_sNS9_4plusIsEE19head_flag_predicatesEE10hipError_tPvRmT2_T3_T4_T5_mT6_T7_P12ihipStream_tbENKUlT_T0_E_clISt17integral_constantIbLb1EESX_IbLb0EEEEDaST_SU_EUlST_E_NS1_11comp_targetILNS1_3genE10ELNS1_11target_archE1200ELNS1_3gpuE4ELNS1_3repE0EEENS1_30default_config_static_selectorELNS0_4arch9wavefront6targetE1EEEvT1_,comdat
.Lfunc_end881:
	.size	_ZN7rocprim17ROCPRIM_400000_NS6detail17trampoline_kernelINS0_14default_configENS1_27scan_by_key_config_selectorIssEEZZNS1_16scan_by_key_implILNS1_25lookback_scan_determinismE0ELb1ES3_N6thrust23THRUST_200600_302600_NS6detail15normal_iteratorINS9_10device_ptrIsEEEESE_SE_sNS9_4plusIsEE19head_flag_predicatesEE10hipError_tPvRmT2_T3_T4_T5_mT6_T7_P12ihipStream_tbENKUlT_T0_E_clISt17integral_constantIbLb1EESX_IbLb0EEEEDaST_SU_EUlST_E_NS1_11comp_targetILNS1_3genE10ELNS1_11target_archE1200ELNS1_3gpuE4ELNS1_3repE0EEENS1_30default_config_static_selectorELNS0_4arch9wavefront6targetE1EEEvT1_, .Lfunc_end881-_ZN7rocprim17ROCPRIM_400000_NS6detail17trampoline_kernelINS0_14default_configENS1_27scan_by_key_config_selectorIssEEZZNS1_16scan_by_key_implILNS1_25lookback_scan_determinismE0ELb1ES3_N6thrust23THRUST_200600_302600_NS6detail15normal_iteratorINS9_10device_ptrIsEEEESE_SE_sNS9_4plusIsEE19head_flag_predicatesEE10hipError_tPvRmT2_T3_T4_T5_mT6_T7_P12ihipStream_tbENKUlT_T0_E_clISt17integral_constantIbLb1EESX_IbLb0EEEEDaST_SU_EUlST_E_NS1_11comp_targetILNS1_3genE10ELNS1_11target_archE1200ELNS1_3gpuE4ELNS1_3repE0EEENS1_30default_config_static_selectorELNS0_4arch9wavefront6targetE1EEEvT1_
                                        ; -- End function
	.section	.AMDGPU.csdata,"",@progbits
; Kernel info:
; codeLenInByte = 0
; NumSgprs: 4
; NumVgprs: 0
; NumAgprs: 0
; TotalNumVgprs: 0
; ScratchSize: 0
; MemoryBound: 0
; FloatMode: 240
; IeeeMode: 1
; LDSByteSize: 0 bytes/workgroup (compile time only)
; SGPRBlocks: 0
; VGPRBlocks: 0
; NumSGPRsForWavesPerEU: 4
; NumVGPRsForWavesPerEU: 1
; AccumOffset: 4
; Occupancy: 8
; WaveLimiterHint : 0
; COMPUTE_PGM_RSRC2:SCRATCH_EN: 0
; COMPUTE_PGM_RSRC2:USER_SGPR: 6
; COMPUTE_PGM_RSRC2:TRAP_HANDLER: 0
; COMPUTE_PGM_RSRC2:TGID_X_EN: 1
; COMPUTE_PGM_RSRC2:TGID_Y_EN: 0
; COMPUTE_PGM_RSRC2:TGID_Z_EN: 0
; COMPUTE_PGM_RSRC2:TIDIG_COMP_CNT: 0
; COMPUTE_PGM_RSRC3_GFX90A:ACCUM_OFFSET: 0
; COMPUTE_PGM_RSRC3_GFX90A:TG_SPLIT: 0
	.section	.text._ZN7rocprim17ROCPRIM_400000_NS6detail17trampoline_kernelINS0_14default_configENS1_27scan_by_key_config_selectorIssEEZZNS1_16scan_by_key_implILNS1_25lookback_scan_determinismE0ELb1ES3_N6thrust23THRUST_200600_302600_NS6detail15normal_iteratorINS9_10device_ptrIsEEEESE_SE_sNS9_4plusIsEE19head_flag_predicatesEE10hipError_tPvRmT2_T3_T4_T5_mT6_T7_P12ihipStream_tbENKUlT_T0_E_clISt17integral_constantIbLb1EESX_IbLb0EEEEDaST_SU_EUlST_E_NS1_11comp_targetILNS1_3genE9ELNS1_11target_archE1100ELNS1_3gpuE3ELNS1_3repE0EEENS1_30default_config_static_selectorELNS0_4arch9wavefront6targetE1EEEvT1_,"axG",@progbits,_ZN7rocprim17ROCPRIM_400000_NS6detail17trampoline_kernelINS0_14default_configENS1_27scan_by_key_config_selectorIssEEZZNS1_16scan_by_key_implILNS1_25lookback_scan_determinismE0ELb1ES3_N6thrust23THRUST_200600_302600_NS6detail15normal_iteratorINS9_10device_ptrIsEEEESE_SE_sNS9_4plusIsEE19head_flag_predicatesEE10hipError_tPvRmT2_T3_T4_T5_mT6_T7_P12ihipStream_tbENKUlT_T0_E_clISt17integral_constantIbLb1EESX_IbLb0EEEEDaST_SU_EUlST_E_NS1_11comp_targetILNS1_3genE9ELNS1_11target_archE1100ELNS1_3gpuE3ELNS1_3repE0EEENS1_30default_config_static_selectorELNS0_4arch9wavefront6targetE1EEEvT1_,comdat
	.protected	_ZN7rocprim17ROCPRIM_400000_NS6detail17trampoline_kernelINS0_14default_configENS1_27scan_by_key_config_selectorIssEEZZNS1_16scan_by_key_implILNS1_25lookback_scan_determinismE0ELb1ES3_N6thrust23THRUST_200600_302600_NS6detail15normal_iteratorINS9_10device_ptrIsEEEESE_SE_sNS9_4plusIsEE19head_flag_predicatesEE10hipError_tPvRmT2_T3_T4_T5_mT6_T7_P12ihipStream_tbENKUlT_T0_E_clISt17integral_constantIbLb1EESX_IbLb0EEEEDaST_SU_EUlST_E_NS1_11comp_targetILNS1_3genE9ELNS1_11target_archE1100ELNS1_3gpuE3ELNS1_3repE0EEENS1_30default_config_static_selectorELNS0_4arch9wavefront6targetE1EEEvT1_ ; -- Begin function _ZN7rocprim17ROCPRIM_400000_NS6detail17trampoline_kernelINS0_14default_configENS1_27scan_by_key_config_selectorIssEEZZNS1_16scan_by_key_implILNS1_25lookback_scan_determinismE0ELb1ES3_N6thrust23THRUST_200600_302600_NS6detail15normal_iteratorINS9_10device_ptrIsEEEESE_SE_sNS9_4plusIsEE19head_flag_predicatesEE10hipError_tPvRmT2_T3_T4_T5_mT6_T7_P12ihipStream_tbENKUlT_T0_E_clISt17integral_constantIbLb1EESX_IbLb0EEEEDaST_SU_EUlST_E_NS1_11comp_targetILNS1_3genE9ELNS1_11target_archE1100ELNS1_3gpuE3ELNS1_3repE0EEENS1_30default_config_static_selectorELNS0_4arch9wavefront6targetE1EEEvT1_
	.globl	_ZN7rocprim17ROCPRIM_400000_NS6detail17trampoline_kernelINS0_14default_configENS1_27scan_by_key_config_selectorIssEEZZNS1_16scan_by_key_implILNS1_25lookback_scan_determinismE0ELb1ES3_N6thrust23THRUST_200600_302600_NS6detail15normal_iteratorINS9_10device_ptrIsEEEESE_SE_sNS9_4plusIsEE19head_flag_predicatesEE10hipError_tPvRmT2_T3_T4_T5_mT6_T7_P12ihipStream_tbENKUlT_T0_E_clISt17integral_constantIbLb1EESX_IbLb0EEEEDaST_SU_EUlST_E_NS1_11comp_targetILNS1_3genE9ELNS1_11target_archE1100ELNS1_3gpuE3ELNS1_3repE0EEENS1_30default_config_static_selectorELNS0_4arch9wavefront6targetE1EEEvT1_
	.p2align	8
	.type	_ZN7rocprim17ROCPRIM_400000_NS6detail17trampoline_kernelINS0_14default_configENS1_27scan_by_key_config_selectorIssEEZZNS1_16scan_by_key_implILNS1_25lookback_scan_determinismE0ELb1ES3_N6thrust23THRUST_200600_302600_NS6detail15normal_iteratorINS9_10device_ptrIsEEEESE_SE_sNS9_4plusIsEE19head_flag_predicatesEE10hipError_tPvRmT2_T3_T4_T5_mT6_T7_P12ihipStream_tbENKUlT_T0_E_clISt17integral_constantIbLb1EESX_IbLb0EEEEDaST_SU_EUlST_E_NS1_11comp_targetILNS1_3genE9ELNS1_11target_archE1100ELNS1_3gpuE3ELNS1_3repE0EEENS1_30default_config_static_selectorELNS0_4arch9wavefront6targetE1EEEvT1_,@function
_ZN7rocprim17ROCPRIM_400000_NS6detail17trampoline_kernelINS0_14default_configENS1_27scan_by_key_config_selectorIssEEZZNS1_16scan_by_key_implILNS1_25lookback_scan_determinismE0ELb1ES3_N6thrust23THRUST_200600_302600_NS6detail15normal_iteratorINS9_10device_ptrIsEEEESE_SE_sNS9_4plusIsEE19head_flag_predicatesEE10hipError_tPvRmT2_T3_T4_T5_mT6_T7_P12ihipStream_tbENKUlT_T0_E_clISt17integral_constantIbLb1EESX_IbLb0EEEEDaST_SU_EUlST_E_NS1_11comp_targetILNS1_3genE9ELNS1_11target_archE1100ELNS1_3gpuE3ELNS1_3repE0EEENS1_30default_config_static_selectorELNS0_4arch9wavefront6targetE1EEEvT1_: ; @_ZN7rocprim17ROCPRIM_400000_NS6detail17trampoline_kernelINS0_14default_configENS1_27scan_by_key_config_selectorIssEEZZNS1_16scan_by_key_implILNS1_25lookback_scan_determinismE0ELb1ES3_N6thrust23THRUST_200600_302600_NS6detail15normal_iteratorINS9_10device_ptrIsEEEESE_SE_sNS9_4plusIsEE19head_flag_predicatesEE10hipError_tPvRmT2_T3_T4_T5_mT6_T7_P12ihipStream_tbENKUlT_T0_E_clISt17integral_constantIbLb1EESX_IbLb0EEEEDaST_SU_EUlST_E_NS1_11comp_targetILNS1_3genE9ELNS1_11target_archE1100ELNS1_3gpuE3ELNS1_3repE0EEENS1_30default_config_static_selectorELNS0_4arch9wavefront6targetE1EEEvT1_
; %bb.0:
	.section	.rodata,"a",@progbits
	.p2align	6, 0x0
	.amdhsa_kernel _ZN7rocprim17ROCPRIM_400000_NS6detail17trampoline_kernelINS0_14default_configENS1_27scan_by_key_config_selectorIssEEZZNS1_16scan_by_key_implILNS1_25lookback_scan_determinismE0ELb1ES3_N6thrust23THRUST_200600_302600_NS6detail15normal_iteratorINS9_10device_ptrIsEEEESE_SE_sNS9_4plusIsEE19head_flag_predicatesEE10hipError_tPvRmT2_T3_T4_T5_mT6_T7_P12ihipStream_tbENKUlT_T0_E_clISt17integral_constantIbLb1EESX_IbLb0EEEEDaST_SU_EUlST_E_NS1_11comp_targetILNS1_3genE9ELNS1_11target_archE1100ELNS1_3gpuE3ELNS1_3repE0EEENS1_30default_config_static_selectorELNS0_4arch9wavefront6targetE1EEEvT1_
		.amdhsa_group_segment_fixed_size 0
		.amdhsa_private_segment_fixed_size 0
		.amdhsa_kernarg_size 112
		.amdhsa_user_sgpr_count 6
		.amdhsa_user_sgpr_private_segment_buffer 1
		.amdhsa_user_sgpr_dispatch_ptr 0
		.amdhsa_user_sgpr_queue_ptr 0
		.amdhsa_user_sgpr_kernarg_segment_ptr 1
		.amdhsa_user_sgpr_dispatch_id 0
		.amdhsa_user_sgpr_flat_scratch_init 0
		.amdhsa_user_sgpr_kernarg_preload_length 0
		.amdhsa_user_sgpr_kernarg_preload_offset 0
		.amdhsa_user_sgpr_private_segment_size 0
		.amdhsa_uses_dynamic_stack 0
		.amdhsa_system_sgpr_private_segment_wavefront_offset 0
		.amdhsa_system_sgpr_workgroup_id_x 1
		.amdhsa_system_sgpr_workgroup_id_y 0
		.amdhsa_system_sgpr_workgroup_id_z 0
		.amdhsa_system_sgpr_workgroup_info 0
		.amdhsa_system_vgpr_workitem_id 0
		.amdhsa_next_free_vgpr 1
		.amdhsa_next_free_sgpr 0
		.amdhsa_accum_offset 4
		.amdhsa_reserve_vcc 0
		.amdhsa_reserve_flat_scratch 0
		.amdhsa_float_round_mode_32 0
		.amdhsa_float_round_mode_16_64 0
		.amdhsa_float_denorm_mode_32 3
		.amdhsa_float_denorm_mode_16_64 3
		.amdhsa_dx10_clamp 1
		.amdhsa_ieee_mode 1
		.amdhsa_fp16_overflow 0
		.amdhsa_tg_split 0
		.amdhsa_exception_fp_ieee_invalid_op 0
		.amdhsa_exception_fp_denorm_src 0
		.amdhsa_exception_fp_ieee_div_zero 0
		.amdhsa_exception_fp_ieee_overflow 0
		.amdhsa_exception_fp_ieee_underflow 0
		.amdhsa_exception_fp_ieee_inexact 0
		.amdhsa_exception_int_div_zero 0
	.end_amdhsa_kernel
	.section	.text._ZN7rocprim17ROCPRIM_400000_NS6detail17trampoline_kernelINS0_14default_configENS1_27scan_by_key_config_selectorIssEEZZNS1_16scan_by_key_implILNS1_25lookback_scan_determinismE0ELb1ES3_N6thrust23THRUST_200600_302600_NS6detail15normal_iteratorINS9_10device_ptrIsEEEESE_SE_sNS9_4plusIsEE19head_flag_predicatesEE10hipError_tPvRmT2_T3_T4_T5_mT6_T7_P12ihipStream_tbENKUlT_T0_E_clISt17integral_constantIbLb1EESX_IbLb0EEEEDaST_SU_EUlST_E_NS1_11comp_targetILNS1_3genE9ELNS1_11target_archE1100ELNS1_3gpuE3ELNS1_3repE0EEENS1_30default_config_static_selectorELNS0_4arch9wavefront6targetE1EEEvT1_,"axG",@progbits,_ZN7rocprim17ROCPRIM_400000_NS6detail17trampoline_kernelINS0_14default_configENS1_27scan_by_key_config_selectorIssEEZZNS1_16scan_by_key_implILNS1_25lookback_scan_determinismE0ELb1ES3_N6thrust23THRUST_200600_302600_NS6detail15normal_iteratorINS9_10device_ptrIsEEEESE_SE_sNS9_4plusIsEE19head_flag_predicatesEE10hipError_tPvRmT2_T3_T4_T5_mT6_T7_P12ihipStream_tbENKUlT_T0_E_clISt17integral_constantIbLb1EESX_IbLb0EEEEDaST_SU_EUlST_E_NS1_11comp_targetILNS1_3genE9ELNS1_11target_archE1100ELNS1_3gpuE3ELNS1_3repE0EEENS1_30default_config_static_selectorELNS0_4arch9wavefront6targetE1EEEvT1_,comdat
.Lfunc_end882:
	.size	_ZN7rocprim17ROCPRIM_400000_NS6detail17trampoline_kernelINS0_14default_configENS1_27scan_by_key_config_selectorIssEEZZNS1_16scan_by_key_implILNS1_25lookback_scan_determinismE0ELb1ES3_N6thrust23THRUST_200600_302600_NS6detail15normal_iteratorINS9_10device_ptrIsEEEESE_SE_sNS9_4plusIsEE19head_flag_predicatesEE10hipError_tPvRmT2_T3_T4_T5_mT6_T7_P12ihipStream_tbENKUlT_T0_E_clISt17integral_constantIbLb1EESX_IbLb0EEEEDaST_SU_EUlST_E_NS1_11comp_targetILNS1_3genE9ELNS1_11target_archE1100ELNS1_3gpuE3ELNS1_3repE0EEENS1_30default_config_static_selectorELNS0_4arch9wavefront6targetE1EEEvT1_, .Lfunc_end882-_ZN7rocprim17ROCPRIM_400000_NS6detail17trampoline_kernelINS0_14default_configENS1_27scan_by_key_config_selectorIssEEZZNS1_16scan_by_key_implILNS1_25lookback_scan_determinismE0ELb1ES3_N6thrust23THRUST_200600_302600_NS6detail15normal_iteratorINS9_10device_ptrIsEEEESE_SE_sNS9_4plusIsEE19head_flag_predicatesEE10hipError_tPvRmT2_T3_T4_T5_mT6_T7_P12ihipStream_tbENKUlT_T0_E_clISt17integral_constantIbLb1EESX_IbLb0EEEEDaST_SU_EUlST_E_NS1_11comp_targetILNS1_3genE9ELNS1_11target_archE1100ELNS1_3gpuE3ELNS1_3repE0EEENS1_30default_config_static_selectorELNS0_4arch9wavefront6targetE1EEEvT1_
                                        ; -- End function
	.section	.AMDGPU.csdata,"",@progbits
; Kernel info:
; codeLenInByte = 0
; NumSgprs: 4
; NumVgprs: 0
; NumAgprs: 0
; TotalNumVgprs: 0
; ScratchSize: 0
; MemoryBound: 0
; FloatMode: 240
; IeeeMode: 1
; LDSByteSize: 0 bytes/workgroup (compile time only)
; SGPRBlocks: 0
; VGPRBlocks: 0
; NumSGPRsForWavesPerEU: 4
; NumVGPRsForWavesPerEU: 1
; AccumOffset: 4
; Occupancy: 8
; WaveLimiterHint : 0
; COMPUTE_PGM_RSRC2:SCRATCH_EN: 0
; COMPUTE_PGM_RSRC2:USER_SGPR: 6
; COMPUTE_PGM_RSRC2:TRAP_HANDLER: 0
; COMPUTE_PGM_RSRC2:TGID_X_EN: 1
; COMPUTE_PGM_RSRC2:TGID_Y_EN: 0
; COMPUTE_PGM_RSRC2:TGID_Z_EN: 0
; COMPUTE_PGM_RSRC2:TIDIG_COMP_CNT: 0
; COMPUTE_PGM_RSRC3_GFX90A:ACCUM_OFFSET: 0
; COMPUTE_PGM_RSRC3_GFX90A:TG_SPLIT: 0
	.section	.text._ZN7rocprim17ROCPRIM_400000_NS6detail17trampoline_kernelINS0_14default_configENS1_27scan_by_key_config_selectorIssEEZZNS1_16scan_by_key_implILNS1_25lookback_scan_determinismE0ELb1ES3_N6thrust23THRUST_200600_302600_NS6detail15normal_iteratorINS9_10device_ptrIsEEEESE_SE_sNS9_4plusIsEE19head_flag_predicatesEE10hipError_tPvRmT2_T3_T4_T5_mT6_T7_P12ihipStream_tbENKUlT_T0_E_clISt17integral_constantIbLb1EESX_IbLb0EEEEDaST_SU_EUlST_E_NS1_11comp_targetILNS1_3genE8ELNS1_11target_archE1030ELNS1_3gpuE2ELNS1_3repE0EEENS1_30default_config_static_selectorELNS0_4arch9wavefront6targetE1EEEvT1_,"axG",@progbits,_ZN7rocprim17ROCPRIM_400000_NS6detail17trampoline_kernelINS0_14default_configENS1_27scan_by_key_config_selectorIssEEZZNS1_16scan_by_key_implILNS1_25lookback_scan_determinismE0ELb1ES3_N6thrust23THRUST_200600_302600_NS6detail15normal_iteratorINS9_10device_ptrIsEEEESE_SE_sNS9_4plusIsEE19head_flag_predicatesEE10hipError_tPvRmT2_T3_T4_T5_mT6_T7_P12ihipStream_tbENKUlT_T0_E_clISt17integral_constantIbLb1EESX_IbLb0EEEEDaST_SU_EUlST_E_NS1_11comp_targetILNS1_3genE8ELNS1_11target_archE1030ELNS1_3gpuE2ELNS1_3repE0EEENS1_30default_config_static_selectorELNS0_4arch9wavefront6targetE1EEEvT1_,comdat
	.protected	_ZN7rocprim17ROCPRIM_400000_NS6detail17trampoline_kernelINS0_14default_configENS1_27scan_by_key_config_selectorIssEEZZNS1_16scan_by_key_implILNS1_25lookback_scan_determinismE0ELb1ES3_N6thrust23THRUST_200600_302600_NS6detail15normal_iteratorINS9_10device_ptrIsEEEESE_SE_sNS9_4plusIsEE19head_flag_predicatesEE10hipError_tPvRmT2_T3_T4_T5_mT6_T7_P12ihipStream_tbENKUlT_T0_E_clISt17integral_constantIbLb1EESX_IbLb0EEEEDaST_SU_EUlST_E_NS1_11comp_targetILNS1_3genE8ELNS1_11target_archE1030ELNS1_3gpuE2ELNS1_3repE0EEENS1_30default_config_static_selectorELNS0_4arch9wavefront6targetE1EEEvT1_ ; -- Begin function _ZN7rocprim17ROCPRIM_400000_NS6detail17trampoline_kernelINS0_14default_configENS1_27scan_by_key_config_selectorIssEEZZNS1_16scan_by_key_implILNS1_25lookback_scan_determinismE0ELb1ES3_N6thrust23THRUST_200600_302600_NS6detail15normal_iteratorINS9_10device_ptrIsEEEESE_SE_sNS9_4plusIsEE19head_flag_predicatesEE10hipError_tPvRmT2_T3_T4_T5_mT6_T7_P12ihipStream_tbENKUlT_T0_E_clISt17integral_constantIbLb1EESX_IbLb0EEEEDaST_SU_EUlST_E_NS1_11comp_targetILNS1_3genE8ELNS1_11target_archE1030ELNS1_3gpuE2ELNS1_3repE0EEENS1_30default_config_static_selectorELNS0_4arch9wavefront6targetE1EEEvT1_
	.globl	_ZN7rocprim17ROCPRIM_400000_NS6detail17trampoline_kernelINS0_14default_configENS1_27scan_by_key_config_selectorIssEEZZNS1_16scan_by_key_implILNS1_25lookback_scan_determinismE0ELb1ES3_N6thrust23THRUST_200600_302600_NS6detail15normal_iteratorINS9_10device_ptrIsEEEESE_SE_sNS9_4plusIsEE19head_flag_predicatesEE10hipError_tPvRmT2_T3_T4_T5_mT6_T7_P12ihipStream_tbENKUlT_T0_E_clISt17integral_constantIbLb1EESX_IbLb0EEEEDaST_SU_EUlST_E_NS1_11comp_targetILNS1_3genE8ELNS1_11target_archE1030ELNS1_3gpuE2ELNS1_3repE0EEENS1_30default_config_static_selectorELNS0_4arch9wavefront6targetE1EEEvT1_
	.p2align	8
	.type	_ZN7rocprim17ROCPRIM_400000_NS6detail17trampoline_kernelINS0_14default_configENS1_27scan_by_key_config_selectorIssEEZZNS1_16scan_by_key_implILNS1_25lookback_scan_determinismE0ELb1ES3_N6thrust23THRUST_200600_302600_NS6detail15normal_iteratorINS9_10device_ptrIsEEEESE_SE_sNS9_4plusIsEE19head_flag_predicatesEE10hipError_tPvRmT2_T3_T4_T5_mT6_T7_P12ihipStream_tbENKUlT_T0_E_clISt17integral_constantIbLb1EESX_IbLb0EEEEDaST_SU_EUlST_E_NS1_11comp_targetILNS1_3genE8ELNS1_11target_archE1030ELNS1_3gpuE2ELNS1_3repE0EEENS1_30default_config_static_selectorELNS0_4arch9wavefront6targetE1EEEvT1_,@function
_ZN7rocprim17ROCPRIM_400000_NS6detail17trampoline_kernelINS0_14default_configENS1_27scan_by_key_config_selectorIssEEZZNS1_16scan_by_key_implILNS1_25lookback_scan_determinismE0ELb1ES3_N6thrust23THRUST_200600_302600_NS6detail15normal_iteratorINS9_10device_ptrIsEEEESE_SE_sNS9_4plusIsEE19head_flag_predicatesEE10hipError_tPvRmT2_T3_T4_T5_mT6_T7_P12ihipStream_tbENKUlT_T0_E_clISt17integral_constantIbLb1EESX_IbLb0EEEEDaST_SU_EUlST_E_NS1_11comp_targetILNS1_3genE8ELNS1_11target_archE1030ELNS1_3gpuE2ELNS1_3repE0EEENS1_30default_config_static_selectorELNS0_4arch9wavefront6targetE1EEEvT1_: ; @_ZN7rocprim17ROCPRIM_400000_NS6detail17trampoline_kernelINS0_14default_configENS1_27scan_by_key_config_selectorIssEEZZNS1_16scan_by_key_implILNS1_25lookback_scan_determinismE0ELb1ES3_N6thrust23THRUST_200600_302600_NS6detail15normal_iteratorINS9_10device_ptrIsEEEESE_SE_sNS9_4plusIsEE19head_flag_predicatesEE10hipError_tPvRmT2_T3_T4_T5_mT6_T7_P12ihipStream_tbENKUlT_T0_E_clISt17integral_constantIbLb1EESX_IbLb0EEEEDaST_SU_EUlST_E_NS1_11comp_targetILNS1_3genE8ELNS1_11target_archE1030ELNS1_3gpuE2ELNS1_3repE0EEENS1_30default_config_static_selectorELNS0_4arch9wavefront6targetE1EEEvT1_
; %bb.0:
	.section	.rodata,"a",@progbits
	.p2align	6, 0x0
	.amdhsa_kernel _ZN7rocprim17ROCPRIM_400000_NS6detail17trampoline_kernelINS0_14default_configENS1_27scan_by_key_config_selectorIssEEZZNS1_16scan_by_key_implILNS1_25lookback_scan_determinismE0ELb1ES3_N6thrust23THRUST_200600_302600_NS6detail15normal_iteratorINS9_10device_ptrIsEEEESE_SE_sNS9_4plusIsEE19head_flag_predicatesEE10hipError_tPvRmT2_T3_T4_T5_mT6_T7_P12ihipStream_tbENKUlT_T0_E_clISt17integral_constantIbLb1EESX_IbLb0EEEEDaST_SU_EUlST_E_NS1_11comp_targetILNS1_3genE8ELNS1_11target_archE1030ELNS1_3gpuE2ELNS1_3repE0EEENS1_30default_config_static_selectorELNS0_4arch9wavefront6targetE1EEEvT1_
		.amdhsa_group_segment_fixed_size 0
		.amdhsa_private_segment_fixed_size 0
		.amdhsa_kernarg_size 112
		.amdhsa_user_sgpr_count 6
		.amdhsa_user_sgpr_private_segment_buffer 1
		.amdhsa_user_sgpr_dispatch_ptr 0
		.amdhsa_user_sgpr_queue_ptr 0
		.amdhsa_user_sgpr_kernarg_segment_ptr 1
		.amdhsa_user_sgpr_dispatch_id 0
		.amdhsa_user_sgpr_flat_scratch_init 0
		.amdhsa_user_sgpr_kernarg_preload_length 0
		.amdhsa_user_sgpr_kernarg_preload_offset 0
		.amdhsa_user_sgpr_private_segment_size 0
		.amdhsa_uses_dynamic_stack 0
		.amdhsa_system_sgpr_private_segment_wavefront_offset 0
		.amdhsa_system_sgpr_workgroup_id_x 1
		.amdhsa_system_sgpr_workgroup_id_y 0
		.amdhsa_system_sgpr_workgroup_id_z 0
		.amdhsa_system_sgpr_workgroup_info 0
		.amdhsa_system_vgpr_workitem_id 0
		.amdhsa_next_free_vgpr 1
		.amdhsa_next_free_sgpr 0
		.amdhsa_accum_offset 4
		.amdhsa_reserve_vcc 0
		.amdhsa_reserve_flat_scratch 0
		.amdhsa_float_round_mode_32 0
		.amdhsa_float_round_mode_16_64 0
		.amdhsa_float_denorm_mode_32 3
		.amdhsa_float_denorm_mode_16_64 3
		.amdhsa_dx10_clamp 1
		.amdhsa_ieee_mode 1
		.amdhsa_fp16_overflow 0
		.amdhsa_tg_split 0
		.amdhsa_exception_fp_ieee_invalid_op 0
		.amdhsa_exception_fp_denorm_src 0
		.amdhsa_exception_fp_ieee_div_zero 0
		.amdhsa_exception_fp_ieee_overflow 0
		.amdhsa_exception_fp_ieee_underflow 0
		.amdhsa_exception_fp_ieee_inexact 0
		.amdhsa_exception_int_div_zero 0
	.end_amdhsa_kernel
	.section	.text._ZN7rocprim17ROCPRIM_400000_NS6detail17trampoline_kernelINS0_14default_configENS1_27scan_by_key_config_selectorIssEEZZNS1_16scan_by_key_implILNS1_25lookback_scan_determinismE0ELb1ES3_N6thrust23THRUST_200600_302600_NS6detail15normal_iteratorINS9_10device_ptrIsEEEESE_SE_sNS9_4plusIsEE19head_flag_predicatesEE10hipError_tPvRmT2_T3_T4_T5_mT6_T7_P12ihipStream_tbENKUlT_T0_E_clISt17integral_constantIbLb1EESX_IbLb0EEEEDaST_SU_EUlST_E_NS1_11comp_targetILNS1_3genE8ELNS1_11target_archE1030ELNS1_3gpuE2ELNS1_3repE0EEENS1_30default_config_static_selectorELNS0_4arch9wavefront6targetE1EEEvT1_,"axG",@progbits,_ZN7rocprim17ROCPRIM_400000_NS6detail17trampoline_kernelINS0_14default_configENS1_27scan_by_key_config_selectorIssEEZZNS1_16scan_by_key_implILNS1_25lookback_scan_determinismE0ELb1ES3_N6thrust23THRUST_200600_302600_NS6detail15normal_iteratorINS9_10device_ptrIsEEEESE_SE_sNS9_4plusIsEE19head_flag_predicatesEE10hipError_tPvRmT2_T3_T4_T5_mT6_T7_P12ihipStream_tbENKUlT_T0_E_clISt17integral_constantIbLb1EESX_IbLb0EEEEDaST_SU_EUlST_E_NS1_11comp_targetILNS1_3genE8ELNS1_11target_archE1030ELNS1_3gpuE2ELNS1_3repE0EEENS1_30default_config_static_selectorELNS0_4arch9wavefront6targetE1EEEvT1_,comdat
.Lfunc_end883:
	.size	_ZN7rocprim17ROCPRIM_400000_NS6detail17trampoline_kernelINS0_14default_configENS1_27scan_by_key_config_selectorIssEEZZNS1_16scan_by_key_implILNS1_25lookback_scan_determinismE0ELb1ES3_N6thrust23THRUST_200600_302600_NS6detail15normal_iteratorINS9_10device_ptrIsEEEESE_SE_sNS9_4plusIsEE19head_flag_predicatesEE10hipError_tPvRmT2_T3_T4_T5_mT6_T7_P12ihipStream_tbENKUlT_T0_E_clISt17integral_constantIbLb1EESX_IbLb0EEEEDaST_SU_EUlST_E_NS1_11comp_targetILNS1_3genE8ELNS1_11target_archE1030ELNS1_3gpuE2ELNS1_3repE0EEENS1_30default_config_static_selectorELNS0_4arch9wavefront6targetE1EEEvT1_, .Lfunc_end883-_ZN7rocprim17ROCPRIM_400000_NS6detail17trampoline_kernelINS0_14default_configENS1_27scan_by_key_config_selectorIssEEZZNS1_16scan_by_key_implILNS1_25lookback_scan_determinismE0ELb1ES3_N6thrust23THRUST_200600_302600_NS6detail15normal_iteratorINS9_10device_ptrIsEEEESE_SE_sNS9_4plusIsEE19head_flag_predicatesEE10hipError_tPvRmT2_T3_T4_T5_mT6_T7_P12ihipStream_tbENKUlT_T0_E_clISt17integral_constantIbLb1EESX_IbLb0EEEEDaST_SU_EUlST_E_NS1_11comp_targetILNS1_3genE8ELNS1_11target_archE1030ELNS1_3gpuE2ELNS1_3repE0EEENS1_30default_config_static_selectorELNS0_4arch9wavefront6targetE1EEEvT1_
                                        ; -- End function
	.section	.AMDGPU.csdata,"",@progbits
; Kernel info:
; codeLenInByte = 0
; NumSgprs: 4
; NumVgprs: 0
; NumAgprs: 0
; TotalNumVgprs: 0
; ScratchSize: 0
; MemoryBound: 0
; FloatMode: 240
; IeeeMode: 1
; LDSByteSize: 0 bytes/workgroup (compile time only)
; SGPRBlocks: 0
; VGPRBlocks: 0
; NumSGPRsForWavesPerEU: 4
; NumVGPRsForWavesPerEU: 1
; AccumOffset: 4
; Occupancy: 8
; WaveLimiterHint : 0
; COMPUTE_PGM_RSRC2:SCRATCH_EN: 0
; COMPUTE_PGM_RSRC2:USER_SGPR: 6
; COMPUTE_PGM_RSRC2:TRAP_HANDLER: 0
; COMPUTE_PGM_RSRC2:TGID_X_EN: 1
; COMPUTE_PGM_RSRC2:TGID_Y_EN: 0
; COMPUTE_PGM_RSRC2:TGID_Z_EN: 0
; COMPUTE_PGM_RSRC2:TIDIG_COMP_CNT: 0
; COMPUTE_PGM_RSRC3_GFX90A:ACCUM_OFFSET: 0
; COMPUTE_PGM_RSRC3_GFX90A:TG_SPLIT: 0
	.section	.text._ZN7rocprim17ROCPRIM_400000_NS6detail17trampoline_kernelINS0_14default_configENS1_27scan_by_key_config_selectorIssEEZZNS1_16scan_by_key_implILNS1_25lookback_scan_determinismE0ELb1ES3_N6thrust23THRUST_200600_302600_NS6detail15normal_iteratorINS9_10device_ptrIsEEEESE_SE_sNS9_4plusIsEE19head_flag_predicatesEE10hipError_tPvRmT2_T3_T4_T5_mT6_T7_P12ihipStream_tbENKUlT_T0_E_clISt17integral_constantIbLb0EESX_IbLb1EEEEDaST_SU_EUlST_E_NS1_11comp_targetILNS1_3genE0ELNS1_11target_archE4294967295ELNS1_3gpuE0ELNS1_3repE0EEENS1_30default_config_static_selectorELNS0_4arch9wavefront6targetE1EEEvT1_,"axG",@progbits,_ZN7rocprim17ROCPRIM_400000_NS6detail17trampoline_kernelINS0_14default_configENS1_27scan_by_key_config_selectorIssEEZZNS1_16scan_by_key_implILNS1_25lookback_scan_determinismE0ELb1ES3_N6thrust23THRUST_200600_302600_NS6detail15normal_iteratorINS9_10device_ptrIsEEEESE_SE_sNS9_4plusIsEE19head_flag_predicatesEE10hipError_tPvRmT2_T3_T4_T5_mT6_T7_P12ihipStream_tbENKUlT_T0_E_clISt17integral_constantIbLb0EESX_IbLb1EEEEDaST_SU_EUlST_E_NS1_11comp_targetILNS1_3genE0ELNS1_11target_archE4294967295ELNS1_3gpuE0ELNS1_3repE0EEENS1_30default_config_static_selectorELNS0_4arch9wavefront6targetE1EEEvT1_,comdat
	.protected	_ZN7rocprim17ROCPRIM_400000_NS6detail17trampoline_kernelINS0_14default_configENS1_27scan_by_key_config_selectorIssEEZZNS1_16scan_by_key_implILNS1_25lookback_scan_determinismE0ELb1ES3_N6thrust23THRUST_200600_302600_NS6detail15normal_iteratorINS9_10device_ptrIsEEEESE_SE_sNS9_4plusIsEE19head_flag_predicatesEE10hipError_tPvRmT2_T3_T4_T5_mT6_T7_P12ihipStream_tbENKUlT_T0_E_clISt17integral_constantIbLb0EESX_IbLb1EEEEDaST_SU_EUlST_E_NS1_11comp_targetILNS1_3genE0ELNS1_11target_archE4294967295ELNS1_3gpuE0ELNS1_3repE0EEENS1_30default_config_static_selectorELNS0_4arch9wavefront6targetE1EEEvT1_ ; -- Begin function _ZN7rocprim17ROCPRIM_400000_NS6detail17trampoline_kernelINS0_14default_configENS1_27scan_by_key_config_selectorIssEEZZNS1_16scan_by_key_implILNS1_25lookback_scan_determinismE0ELb1ES3_N6thrust23THRUST_200600_302600_NS6detail15normal_iteratorINS9_10device_ptrIsEEEESE_SE_sNS9_4plusIsEE19head_flag_predicatesEE10hipError_tPvRmT2_T3_T4_T5_mT6_T7_P12ihipStream_tbENKUlT_T0_E_clISt17integral_constantIbLb0EESX_IbLb1EEEEDaST_SU_EUlST_E_NS1_11comp_targetILNS1_3genE0ELNS1_11target_archE4294967295ELNS1_3gpuE0ELNS1_3repE0EEENS1_30default_config_static_selectorELNS0_4arch9wavefront6targetE1EEEvT1_
	.globl	_ZN7rocprim17ROCPRIM_400000_NS6detail17trampoline_kernelINS0_14default_configENS1_27scan_by_key_config_selectorIssEEZZNS1_16scan_by_key_implILNS1_25lookback_scan_determinismE0ELb1ES3_N6thrust23THRUST_200600_302600_NS6detail15normal_iteratorINS9_10device_ptrIsEEEESE_SE_sNS9_4plusIsEE19head_flag_predicatesEE10hipError_tPvRmT2_T3_T4_T5_mT6_T7_P12ihipStream_tbENKUlT_T0_E_clISt17integral_constantIbLb0EESX_IbLb1EEEEDaST_SU_EUlST_E_NS1_11comp_targetILNS1_3genE0ELNS1_11target_archE4294967295ELNS1_3gpuE0ELNS1_3repE0EEENS1_30default_config_static_selectorELNS0_4arch9wavefront6targetE1EEEvT1_
	.p2align	8
	.type	_ZN7rocprim17ROCPRIM_400000_NS6detail17trampoline_kernelINS0_14default_configENS1_27scan_by_key_config_selectorIssEEZZNS1_16scan_by_key_implILNS1_25lookback_scan_determinismE0ELb1ES3_N6thrust23THRUST_200600_302600_NS6detail15normal_iteratorINS9_10device_ptrIsEEEESE_SE_sNS9_4plusIsEE19head_flag_predicatesEE10hipError_tPvRmT2_T3_T4_T5_mT6_T7_P12ihipStream_tbENKUlT_T0_E_clISt17integral_constantIbLb0EESX_IbLb1EEEEDaST_SU_EUlST_E_NS1_11comp_targetILNS1_3genE0ELNS1_11target_archE4294967295ELNS1_3gpuE0ELNS1_3repE0EEENS1_30default_config_static_selectorELNS0_4arch9wavefront6targetE1EEEvT1_,@function
_ZN7rocprim17ROCPRIM_400000_NS6detail17trampoline_kernelINS0_14default_configENS1_27scan_by_key_config_selectorIssEEZZNS1_16scan_by_key_implILNS1_25lookback_scan_determinismE0ELb1ES3_N6thrust23THRUST_200600_302600_NS6detail15normal_iteratorINS9_10device_ptrIsEEEESE_SE_sNS9_4plusIsEE19head_flag_predicatesEE10hipError_tPvRmT2_T3_T4_T5_mT6_T7_P12ihipStream_tbENKUlT_T0_E_clISt17integral_constantIbLb0EESX_IbLb1EEEEDaST_SU_EUlST_E_NS1_11comp_targetILNS1_3genE0ELNS1_11target_archE4294967295ELNS1_3gpuE0ELNS1_3repE0EEENS1_30default_config_static_selectorELNS0_4arch9wavefront6targetE1EEEvT1_: ; @_ZN7rocprim17ROCPRIM_400000_NS6detail17trampoline_kernelINS0_14default_configENS1_27scan_by_key_config_selectorIssEEZZNS1_16scan_by_key_implILNS1_25lookback_scan_determinismE0ELb1ES3_N6thrust23THRUST_200600_302600_NS6detail15normal_iteratorINS9_10device_ptrIsEEEESE_SE_sNS9_4plusIsEE19head_flag_predicatesEE10hipError_tPvRmT2_T3_T4_T5_mT6_T7_P12ihipStream_tbENKUlT_T0_E_clISt17integral_constantIbLb0EESX_IbLb1EEEEDaST_SU_EUlST_E_NS1_11comp_targetILNS1_3genE0ELNS1_11target_archE4294967295ELNS1_3gpuE0ELNS1_3repE0EEENS1_30default_config_static_selectorELNS0_4arch9wavefront6targetE1EEEvT1_
; %bb.0:
	.section	.rodata,"a",@progbits
	.p2align	6, 0x0
	.amdhsa_kernel _ZN7rocprim17ROCPRIM_400000_NS6detail17trampoline_kernelINS0_14default_configENS1_27scan_by_key_config_selectorIssEEZZNS1_16scan_by_key_implILNS1_25lookback_scan_determinismE0ELb1ES3_N6thrust23THRUST_200600_302600_NS6detail15normal_iteratorINS9_10device_ptrIsEEEESE_SE_sNS9_4plusIsEE19head_flag_predicatesEE10hipError_tPvRmT2_T3_T4_T5_mT6_T7_P12ihipStream_tbENKUlT_T0_E_clISt17integral_constantIbLb0EESX_IbLb1EEEEDaST_SU_EUlST_E_NS1_11comp_targetILNS1_3genE0ELNS1_11target_archE4294967295ELNS1_3gpuE0ELNS1_3repE0EEENS1_30default_config_static_selectorELNS0_4arch9wavefront6targetE1EEEvT1_
		.amdhsa_group_segment_fixed_size 0
		.amdhsa_private_segment_fixed_size 0
		.amdhsa_kernarg_size 112
		.amdhsa_user_sgpr_count 6
		.amdhsa_user_sgpr_private_segment_buffer 1
		.amdhsa_user_sgpr_dispatch_ptr 0
		.amdhsa_user_sgpr_queue_ptr 0
		.amdhsa_user_sgpr_kernarg_segment_ptr 1
		.amdhsa_user_sgpr_dispatch_id 0
		.amdhsa_user_sgpr_flat_scratch_init 0
		.amdhsa_user_sgpr_kernarg_preload_length 0
		.amdhsa_user_sgpr_kernarg_preload_offset 0
		.amdhsa_user_sgpr_private_segment_size 0
		.amdhsa_uses_dynamic_stack 0
		.amdhsa_system_sgpr_private_segment_wavefront_offset 0
		.amdhsa_system_sgpr_workgroup_id_x 1
		.amdhsa_system_sgpr_workgroup_id_y 0
		.amdhsa_system_sgpr_workgroup_id_z 0
		.amdhsa_system_sgpr_workgroup_info 0
		.amdhsa_system_vgpr_workitem_id 0
		.amdhsa_next_free_vgpr 1
		.amdhsa_next_free_sgpr 0
		.amdhsa_accum_offset 4
		.amdhsa_reserve_vcc 0
		.amdhsa_reserve_flat_scratch 0
		.amdhsa_float_round_mode_32 0
		.amdhsa_float_round_mode_16_64 0
		.amdhsa_float_denorm_mode_32 3
		.amdhsa_float_denorm_mode_16_64 3
		.amdhsa_dx10_clamp 1
		.amdhsa_ieee_mode 1
		.amdhsa_fp16_overflow 0
		.amdhsa_tg_split 0
		.amdhsa_exception_fp_ieee_invalid_op 0
		.amdhsa_exception_fp_denorm_src 0
		.amdhsa_exception_fp_ieee_div_zero 0
		.amdhsa_exception_fp_ieee_overflow 0
		.amdhsa_exception_fp_ieee_underflow 0
		.amdhsa_exception_fp_ieee_inexact 0
		.amdhsa_exception_int_div_zero 0
	.end_amdhsa_kernel
	.section	.text._ZN7rocprim17ROCPRIM_400000_NS6detail17trampoline_kernelINS0_14default_configENS1_27scan_by_key_config_selectorIssEEZZNS1_16scan_by_key_implILNS1_25lookback_scan_determinismE0ELb1ES3_N6thrust23THRUST_200600_302600_NS6detail15normal_iteratorINS9_10device_ptrIsEEEESE_SE_sNS9_4plusIsEE19head_flag_predicatesEE10hipError_tPvRmT2_T3_T4_T5_mT6_T7_P12ihipStream_tbENKUlT_T0_E_clISt17integral_constantIbLb0EESX_IbLb1EEEEDaST_SU_EUlST_E_NS1_11comp_targetILNS1_3genE0ELNS1_11target_archE4294967295ELNS1_3gpuE0ELNS1_3repE0EEENS1_30default_config_static_selectorELNS0_4arch9wavefront6targetE1EEEvT1_,"axG",@progbits,_ZN7rocprim17ROCPRIM_400000_NS6detail17trampoline_kernelINS0_14default_configENS1_27scan_by_key_config_selectorIssEEZZNS1_16scan_by_key_implILNS1_25lookback_scan_determinismE0ELb1ES3_N6thrust23THRUST_200600_302600_NS6detail15normal_iteratorINS9_10device_ptrIsEEEESE_SE_sNS9_4plusIsEE19head_flag_predicatesEE10hipError_tPvRmT2_T3_T4_T5_mT6_T7_P12ihipStream_tbENKUlT_T0_E_clISt17integral_constantIbLb0EESX_IbLb1EEEEDaST_SU_EUlST_E_NS1_11comp_targetILNS1_3genE0ELNS1_11target_archE4294967295ELNS1_3gpuE0ELNS1_3repE0EEENS1_30default_config_static_selectorELNS0_4arch9wavefront6targetE1EEEvT1_,comdat
.Lfunc_end884:
	.size	_ZN7rocprim17ROCPRIM_400000_NS6detail17trampoline_kernelINS0_14default_configENS1_27scan_by_key_config_selectorIssEEZZNS1_16scan_by_key_implILNS1_25lookback_scan_determinismE0ELb1ES3_N6thrust23THRUST_200600_302600_NS6detail15normal_iteratorINS9_10device_ptrIsEEEESE_SE_sNS9_4plusIsEE19head_flag_predicatesEE10hipError_tPvRmT2_T3_T4_T5_mT6_T7_P12ihipStream_tbENKUlT_T0_E_clISt17integral_constantIbLb0EESX_IbLb1EEEEDaST_SU_EUlST_E_NS1_11comp_targetILNS1_3genE0ELNS1_11target_archE4294967295ELNS1_3gpuE0ELNS1_3repE0EEENS1_30default_config_static_selectorELNS0_4arch9wavefront6targetE1EEEvT1_, .Lfunc_end884-_ZN7rocprim17ROCPRIM_400000_NS6detail17trampoline_kernelINS0_14default_configENS1_27scan_by_key_config_selectorIssEEZZNS1_16scan_by_key_implILNS1_25lookback_scan_determinismE0ELb1ES3_N6thrust23THRUST_200600_302600_NS6detail15normal_iteratorINS9_10device_ptrIsEEEESE_SE_sNS9_4plusIsEE19head_flag_predicatesEE10hipError_tPvRmT2_T3_T4_T5_mT6_T7_P12ihipStream_tbENKUlT_T0_E_clISt17integral_constantIbLb0EESX_IbLb1EEEEDaST_SU_EUlST_E_NS1_11comp_targetILNS1_3genE0ELNS1_11target_archE4294967295ELNS1_3gpuE0ELNS1_3repE0EEENS1_30default_config_static_selectorELNS0_4arch9wavefront6targetE1EEEvT1_
                                        ; -- End function
	.section	.AMDGPU.csdata,"",@progbits
; Kernel info:
; codeLenInByte = 0
; NumSgprs: 4
; NumVgprs: 0
; NumAgprs: 0
; TotalNumVgprs: 0
; ScratchSize: 0
; MemoryBound: 0
; FloatMode: 240
; IeeeMode: 1
; LDSByteSize: 0 bytes/workgroup (compile time only)
; SGPRBlocks: 0
; VGPRBlocks: 0
; NumSGPRsForWavesPerEU: 4
; NumVGPRsForWavesPerEU: 1
; AccumOffset: 4
; Occupancy: 8
; WaveLimiterHint : 0
; COMPUTE_PGM_RSRC2:SCRATCH_EN: 0
; COMPUTE_PGM_RSRC2:USER_SGPR: 6
; COMPUTE_PGM_RSRC2:TRAP_HANDLER: 0
; COMPUTE_PGM_RSRC2:TGID_X_EN: 1
; COMPUTE_PGM_RSRC2:TGID_Y_EN: 0
; COMPUTE_PGM_RSRC2:TGID_Z_EN: 0
; COMPUTE_PGM_RSRC2:TIDIG_COMP_CNT: 0
; COMPUTE_PGM_RSRC3_GFX90A:ACCUM_OFFSET: 0
; COMPUTE_PGM_RSRC3_GFX90A:TG_SPLIT: 0
	.section	.text._ZN7rocprim17ROCPRIM_400000_NS6detail17trampoline_kernelINS0_14default_configENS1_27scan_by_key_config_selectorIssEEZZNS1_16scan_by_key_implILNS1_25lookback_scan_determinismE0ELb1ES3_N6thrust23THRUST_200600_302600_NS6detail15normal_iteratorINS9_10device_ptrIsEEEESE_SE_sNS9_4plusIsEE19head_flag_predicatesEE10hipError_tPvRmT2_T3_T4_T5_mT6_T7_P12ihipStream_tbENKUlT_T0_E_clISt17integral_constantIbLb0EESX_IbLb1EEEEDaST_SU_EUlST_E_NS1_11comp_targetILNS1_3genE10ELNS1_11target_archE1201ELNS1_3gpuE5ELNS1_3repE0EEENS1_30default_config_static_selectorELNS0_4arch9wavefront6targetE1EEEvT1_,"axG",@progbits,_ZN7rocprim17ROCPRIM_400000_NS6detail17trampoline_kernelINS0_14default_configENS1_27scan_by_key_config_selectorIssEEZZNS1_16scan_by_key_implILNS1_25lookback_scan_determinismE0ELb1ES3_N6thrust23THRUST_200600_302600_NS6detail15normal_iteratorINS9_10device_ptrIsEEEESE_SE_sNS9_4plusIsEE19head_flag_predicatesEE10hipError_tPvRmT2_T3_T4_T5_mT6_T7_P12ihipStream_tbENKUlT_T0_E_clISt17integral_constantIbLb0EESX_IbLb1EEEEDaST_SU_EUlST_E_NS1_11comp_targetILNS1_3genE10ELNS1_11target_archE1201ELNS1_3gpuE5ELNS1_3repE0EEENS1_30default_config_static_selectorELNS0_4arch9wavefront6targetE1EEEvT1_,comdat
	.protected	_ZN7rocprim17ROCPRIM_400000_NS6detail17trampoline_kernelINS0_14default_configENS1_27scan_by_key_config_selectorIssEEZZNS1_16scan_by_key_implILNS1_25lookback_scan_determinismE0ELb1ES3_N6thrust23THRUST_200600_302600_NS6detail15normal_iteratorINS9_10device_ptrIsEEEESE_SE_sNS9_4plusIsEE19head_flag_predicatesEE10hipError_tPvRmT2_T3_T4_T5_mT6_T7_P12ihipStream_tbENKUlT_T0_E_clISt17integral_constantIbLb0EESX_IbLb1EEEEDaST_SU_EUlST_E_NS1_11comp_targetILNS1_3genE10ELNS1_11target_archE1201ELNS1_3gpuE5ELNS1_3repE0EEENS1_30default_config_static_selectorELNS0_4arch9wavefront6targetE1EEEvT1_ ; -- Begin function _ZN7rocprim17ROCPRIM_400000_NS6detail17trampoline_kernelINS0_14default_configENS1_27scan_by_key_config_selectorIssEEZZNS1_16scan_by_key_implILNS1_25lookback_scan_determinismE0ELb1ES3_N6thrust23THRUST_200600_302600_NS6detail15normal_iteratorINS9_10device_ptrIsEEEESE_SE_sNS9_4plusIsEE19head_flag_predicatesEE10hipError_tPvRmT2_T3_T4_T5_mT6_T7_P12ihipStream_tbENKUlT_T0_E_clISt17integral_constantIbLb0EESX_IbLb1EEEEDaST_SU_EUlST_E_NS1_11comp_targetILNS1_3genE10ELNS1_11target_archE1201ELNS1_3gpuE5ELNS1_3repE0EEENS1_30default_config_static_selectorELNS0_4arch9wavefront6targetE1EEEvT1_
	.globl	_ZN7rocprim17ROCPRIM_400000_NS6detail17trampoline_kernelINS0_14default_configENS1_27scan_by_key_config_selectorIssEEZZNS1_16scan_by_key_implILNS1_25lookback_scan_determinismE0ELb1ES3_N6thrust23THRUST_200600_302600_NS6detail15normal_iteratorINS9_10device_ptrIsEEEESE_SE_sNS9_4plusIsEE19head_flag_predicatesEE10hipError_tPvRmT2_T3_T4_T5_mT6_T7_P12ihipStream_tbENKUlT_T0_E_clISt17integral_constantIbLb0EESX_IbLb1EEEEDaST_SU_EUlST_E_NS1_11comp_targetILNS1_3genE10ELNS1_11target_archE1201ELNS1_3gpuE5ELNS1_3repE0EEENS1_30default_config_static_selectorELNS0_4arch9wavefront6targetE1EEEvT1_
	.p2align	8
	.type	_ZN7rocprim17ROCPRIM_400000_NS6detail17trampoline_kernelINS0_14default_configENS1_27scan_by_key_config_selectorIssEEZZNS1_16scan_by_key_implILNS1_25lookback_scan_determinismE0ELb1ES3_N6thrust23THRUST_200600_302600_NS6detail15normal_iteratorINS9_10device_ptrIsEEEESE_SE_sNS9_4plusIsEE19head_flag_predicatesEE10hipError_tPvRmT2_T3_T4_T5_mT6_T7_P12ihipStream_tbENKUlT_T0_E_clISt17integral_constantIbLb0EESX_IbLb1EEEEDaST_SU_EUlST_E_NS1_11comp_targetILNS1_3genE10ELNS1_11target_archE1201ELNS1_3gpuE5ELNS1_3repE0EEENS1_30default_config_static_selectorELNS0_4arch9wavefront6targetE1EEEvT1_,@function
_ZN7rocprim17ROCPRIM_400000_NS6detail17trampoline_kernelINS0_14default_configENS1_27scan_by_key_config_selectorIssEEZZNS1_16scan_by_key_implILNS1_25lookback_scan_determinismE0ELb1ES3_N6thrust23THRUST_200600_302600_NS6detail15normal_iteratorINS9_10device_ptrIsEEEESE_SE_sNS9_4plusIsEE19head_flag_predicatesEE10hipError_tPvRmT2_T3_T4_T5_mT6_T7_P12ihipStream_tbENKUlT_T0_E_clISt17integral_constantIbLb0EESX_IbLb1EEEEDaST_SU_EUlST_E_NS1_11comp_targetILNS1_3genE10ELNS1_11target_archE1201ELNS1_3gpuE5ELNS1_3repE0EEENS1_30default_config_static_selectorELNS0_4arch9wavefront6targetE1EEEvT1_: ; @_ZN7rocprim17ROCPRIM_400000_NS6detail17trampoline_kernelINS0_14default_configENS1_27scan_by_key_config_selectorIssEEZZNS1_16scan_by_key_implILNS1_25lookback_scan_determinismE0ELb1ES3_N6thrust23THRUST_200600_302600_NS6detail15normal_iteratorINS9_10device_ptrIsEEEESE_SE_sNS9_4plusIsEE19head_flag_predicatesEE10hipError_tPvRmT2_T3_T4_T5_mT6_T7_P12ihipStream_tbENKUlT_T0_E_clISt17integral_constantIbLb0EESX_IbLb1EEEEDaST_SU_EUlST_E_NS1_11comp_targetILNS1_3genE10ELNS1_11target_archE1201ELNS1_3gpuE5ELNS1_3repE0EEENS1_30default_config_static_selectorELNS0_4arch9wavefront6targetE1EEEvT1_
; %bb.0:
	.section	.rodata,"a",@progbits
	.p2align	6, 0x0
	.amdhsa_kernel _ZN7rocprim17ROCPRIM_400000_NS6detail17trampoline_kernelINS0_14default_configENS1_27scan_by_key_config_selectorIssEEZZNS1_16scan_by_key_implILNS1_25lookback_scan_determinismE0ELb1ES3_N6thrust23THRUST_200600_302600_NS6detail15normal_iteratorINS9_10device_ptrIsEEEESE_SE_sNS9_4plusIsEE19head_flag_predicatesEE10hipError_tPvRmT2_T3_T4_T5_mT6_T7_P12ihipStream_tbENKUlT_T0_E_clISt17integral_constantIbLb0EESX_IbLb1EEEEDaST_SU_EUlST_E_NS1_11comp_targetILNS1_3genE10ELNS1_11target_archE1201ELNS1_3gpuE5ELNS1_3repE0EEENS1_30default_config_static_selectorELNS0_4arch9wavefront6targetE1EEEvT1_
		.amdhsa_group_segment_fixed_size 0
		.amdhsa_private_segment_fixed_size 0
		.amdhsa_kernarg_size 112
		.amdhsa_user_sgpr_count 6
		.amdhsa_user_sgpr_private_segment_buffer 1
		.amdhsa_user_sgpr_dispatch_ptr 0
		.amdhsa_user_sgpr_queue_ptr 0
		.amdhsa_user_sgpr_kernarg_segment_ptr 1
		.amdhsa_user_sgpr_dispatch_id 0
		.amdhsa_user_sgpr_flat_scratch_init 0
		.amdhsa_user_sgpr_kernarg_preload_length 0
		.amdhsa_user_sgpr_kernarg_preload_offset 0
		.amdhsa_user_sgpr_private_segment_size 0
		.amdhsa_uses_dynamic_stack 0
		.amdhsa_system_sgpr_private_segment_wavefront_offset 0
		.amdhsa_system_sgpr_workgroup_id_x 1
		.amdhsa_system_sgpr_workgroup_id_y 0
		.amdhsa_system_sgpr_workgroup_id_z 0
		.amdhsa_system_sgpr_workgroup_info 0
		.amdhsa_system_vgpr_workitem_id 0
		.amdhsa_next_free_vgpr 1
		.amdhsa_next_free_sgpr 0
		.amdhsa_accum_offset 4
		.amdhsa_reserve_vcc 0
		.amdhsa_reserve_flat_scratch 0
		.amdhsa_float_round_mode_32 0
		.amdhsa_float_round_mode_16_64 0
		.amdhsa_float_denorm_mode_32 3
		.amdhsa_float_denorm_mode_16_64 3
		.amdhsa_dx10_clamp 1
		.amdhsa_ieee_mode 1
		.amdhsa_fp16_overflow 0
		.amdhsa_tg_split 0
		.amdhsa_exception_fp_ieee_invalid_op 0
		.amdhsa_exception_fp_denorm_src 0
		.amdhsa_exception_fp_ieee_div_zero 0
		.amdhsa_exception_fp_ieee_overflow 0
		.amdhsa_exception_fp_ieee_underflow 0
		.amdhsa_exception_fp_ieee_inexact 0
		.amdhsa_exception_int_div_zero 0
	.end_amdhsa_kernel
	.section	.text._ZN7rocprim17ROCPRIM_400000_NS6detail17trampoline_kernelINS0_14default_configENS1_27scan_by_key_config_selectorIssEEZZNS1_16scan_by_key_implILNS1_25lookback_scan_determinismE0ELb1ES3_N6thrust23THRUST_200600_302600_NS6detail15normal_iteratorINS9_10device_ptrIsEEEESE_SE_sNS9_4plusIsEE19head_flag_predicatesEE10hipError_tPvRmT2_T3_T4_T5_mT6_T7_P12ihipStream_tbENKUlT_T0_E_clISt17integral_constantIbLb0EESX_IbLb1EEEEDaST_SU_EUlST_E_NS1_11comp_targetILNS1_3genE10ELNS1_11target_archE1201ELNS1_3gpuE5ELNS1_3repE0EEENS1_30default_config_static_selectorELNS0_4arch9wavefront6targetE1EEEvT1_,"axG",@progbits,_ZN7rocprim17ROCPRIM_400000_NS6detail17trampoline_kernelINS0_14default_configENS1_27scan_by_key_config_selectorIssEEZZNS1_16scan_by_key_implILNS1_25lookback_scan_determinismE0ELb1ES3_N6thrust23THRUST_200600_302600_NS6detail15normal_iteratorINS9_10device_ptrIsEEEESE_SE_sNS9_4plusIsEE19head_flag_predicatesEE10hipError_tPvRmT2_T3_T4_T5_mT6_T7_P12ihipStream_tbENKUlT_T0_E_clISt17integral_constantIbLb0EESX_IbLb1EEEEDaST_SU_EUlST_E_NS1_11comp_targetILNS1_3genE10ELNS1_11target_archE1201ELNS1_3gpuE5ELNS1_3repE0EEENS1_30default_config_static_selectorELNS0_4arch9wavefront6targetE1EEEvT1_,comdat
.Lfunc_end885:
	.size	_ZN7rocprim17ROCPRIM_400000_NS6detail17trampoline_kernelINS0_14default_configENS1_27scan_by_key_config_selectorIssEEZZNS1_16scan_by_key_implILNS1_25lookback_scan_determinismE0ELb1ES3_N6thrust23THRUST_200600_302600_NS6detail15normal_iteratorINS9_10device_ptrIsEEEESE_SE_sNS9_4plusIsEE19head_flag_predicatesEE10hipError_tPvRmT2_T3_T4_T5_mT6_T7_P12ihipStream_tbENKUlT_T0_E_clISt17integral_constantIbLb0EESX_IbLb1EEEEDaST_SU_EUlST_E_NS1_11comp_targetILNS1_3genE10ELNS1_11target_archE1201ELNS1_3gpuE5ELNS1_3repE0EEENS1_30default_config_static_selectorELNS0_4arch9wavefront6targetE1EEEvT1_, .Lfunc_end885-_ZN7rocprim17ROCPRIM_400000_NS6detail17trampoline_kernelINS0_14default_configENS1_27scan_by_key_config_selectorIssEEZZNS1_16scan_by_key_implILNS1_25lookback_scan_determinismE0ELb1ES3_N6thrust23THRUST_200600_302600_NS6detail15normal_iteratorINS9_10device_ptrIsEEEESE_SE_sNS9_4plusIsEE19head_flag_predicatesEE10hipError_tPvRmT2_T3_T4_T5_mT6_T7_P12ihipStream_tbENKUlT_T0_E_clISt17integral_constantIbLb0EESX_IbLb1EEEEDaST_SU_EUlST_E_NS1_11comp_targetILNS1_3genE10ELNS1_11target_archE1201ELNS1_3gpuE5ELNS1_3repE0EEENS1_30default_config_static_selectorELNS0_4arch9wavefront6targetE1EEEvT1_
                                        ; -- End function
	.section	.AMDGPU.csdata,"",@progbits
; Kernel info:
; codeLenInByte = 0
; NumSgprs: 4
; NumVgprs: 0
; NumAgprs: 0
; TotalNumVgprs: 0
; ScratchSize: 0
; MemoryBound: 0
; FloatMode: 240
; IeeeMode: 1
; LDSByteSize: 0 bytes/workgroup (compile time only)
; SGPRBlocks: 0
; VGPRBlocks: 0
; NumSGPRsForWavesPerEU: 4
; NumVGPRsForWavesPerEU: 1
; AccumOffset: 4
; Occupancy: 8
; WaveLimiterHint : 0
; COMPUTE_PGM_RSRC2:SCRATCH_EN: 0
; COMPUTE_PGM_RSRC2:USER_SGPR: 6
; COMPUTE_PGM_RSRC2:TRAP_HANDLER: 0
; COMPUTE_PGM_RSRC2:TGID_X_EN: 1
; COMPUTE_PGM_RSRC2:TGID_Y_EN: 0
; COMPUTE_PGM_RSRC2:TGID_Z_EN: 0
; COMPUTE_PGM_RSRC2:TIDIG_COMP_CNT: 0
; COMPUTE_PGM_RSRC3_GFX90A:ACCUM_OFFSET: 0
; COMPUTE_PGM_RSRC3_GFX90A:TG_SPLIT: 0
	.section	.text._ZN7rocprim17ROCPRIM_400000_NS6detail17trampoline_kernelINS0_14default_configENS1_27scan_by_key_config_selectorIssEEZZNS1_16scan_by_key_implILNS1_25lookback_scan_determinismE0ELb1ES3_N6thrust23THRUST_200600_302600_NS6detail15normal_iteratorINS9_10device_ptrIsEEEESE_SE_sNS9_4plusIsEE19head_flag_predicatesEE10hipError_tPvRmT2_T3_T4_T5_mT6_T7_P12ihipStream_tbENKUlT_T0_E_clISt17integral_constantIbLb0EESX_IbLb1EEEEDaST_SU_EUlST_E_NS1_11comp_targetILNS1_3genE5ELNS1_11target_archE942ELNS1_3gpuE9ELNS1_3repE0EEENS1_30default_config_static_selectorELNS0_4arch9wavefront6targetE1EEEvT1_,"axG",@progbits,_ZN7rocprim17ROCPRIM_400000_NS6detail17trampoline_kernelINS0_14default_configENS1_27scan_by_key_config_selectorIssEEZZNS1_16scan_by_key_implILNS1_25lookback_scan_determinismE0ELb1ES3_N6thrust23THRUST_200600_302600_NS6detail15normal_iteratorINS9_10device_ptrIsEEEESE_SE_sNS9_4plusIsEE19head_flag_predicatesEE10hipError_tPvRmT2_T3_T4_T5_mT6_T7_P12ihipStream_tbENKUlT_T0_E_clISt17integral_constantIbLb0EESX_IbLb1EEEEDaST_SU_EUlST_E_NS1_11comp_targetILNS1_3genE5ELNS1_11target_archE942ELNS1_3gpuE9ELNS1_3repE0EEENS1_30default_config_static_selectorELNS0_4arch9wavefront6targetE1EEEvT1_,comdat
	.protected	_ZN7rocprim17ROCPRIM_400000_NS6detail17trampoline_kernelINS0_14default_configENS1_27scan_by_key_config_selectorIssEEZZNS1_16scan_by_key_implILNS1_25lookback_scan_determinismE0ELb1ES3_N6thrust23THRUST_200600_302600_NS6detail15normal_iteratorINS9_10device_ptrIsEEEESE_SE_sNS9_4plusIsEE19head_flag_predicatesEE10hipError_tPvRmT2_T3_T4_T5_mT6_T7_P12ihipStream_tbENKUlT_T0_E_clISt17integral_constantIbLb0EESX_IbLb1EEEEDaST_SU_EUlST_E_NS1_11comp_targetILNS1_3genE5ELNS1_11target_archE942ELNS1_3gpuE9ELNS1_3repE0EEENS1_30default_config_static_selectorELNS0_4arch9wavefront6targetE1EEEvT1_ ; -- Begin function _ZN7rocprim17ROCPRIM_400000_NS6detail17trampoline_kernelINS0_14default_configENS1_27scan_by_key_config_selectorIssEEZZNS1_16scan_by_key_implILNS1_25lookback_scan_determinismE0ELb1ES3_N6thrust23THRUST_200600_302600_NS6detail15normal_iteratorINS9_10device_ptrIsEEEESE_SE_sNS9_4plusIsEE19head_flag_predicatesEE10hipError_tPvRmT2_T3_T4_T5_mT6_T7_P12ihipStream_tbENKUlT_T0_E_clISt17integral_constantIbLb0EESX_IbLb1EEEEDaST_SU_EUlST_E_NS1_11comp_targetILNS1_3genE5ELNS1_11target_archE942ELNS1_3gpuE9ELNS1_3repE0EEENS1_30default_config_static_selectorELNS0_4arch9wavefront6targetE1EEEvT1_
	.globl	_ZN7rocprim17ROCPRIM_400000_NS6detail17trampoline_kernelINS0_14default_configENS1_27scan_by_key_config_selectorIssEEZZNS1_16scan_by_key_implILNS1_25lookback_scan_determinismE0ELb1ES3_N6thrust23THRUST_200600_302600_NS6detail15normal_iteratorINS9_10device_ptrIsEEEESE_SE_sNS9_4plusIsEE19head_flag_predicatesEE10hipError_tPvRmT2_T3_T4_T5_mT6_T7_P12ihipStream_tbENKUlT_T0_E_clISt17integral_constantIbLb0EESX_IbLb1EEEEDaST_SU_EUlST_E_NS1_11comp_targetILNS1_3genE5ELNS1_11target_archE942ELNS1_3gpuE9ELNS1_3repE0EEENS1_30default_config_static_selectorELNS0_4arch9wavefront6targetE1EEEvT1_
	.p2align	8
	.type	_ZN7rocprim17ROCPRIM_400000_NS6detail17trampoline_kernelINS0_14default_configENS1_27scan_by_key_config_selectorIssEEZZNS1_16scan_by_key_implILNS1_25lookback_scan_determinismE0ELb1ES3_N6thrust23THRUST_200600_302600_NS6detail15normal_iteratorINS9_10device_ptrIsEEEESE_SE_sNS9_4plusIsEE19head_flag_predicatesEE10hipError_tPvRmT2_T3_T4_T5_mT6_T7_P12ihipStream_tbENKUlT_T0_E_clISt17integral_constantIbLb0EESX_IbLb1EEEEDaST_SU_EUlST_E_NS1_11comp_targetILNS1_3genE5ELNS1_11target_archE942ELNS1_3gpuE9ELNS1_3repE0EEENS1_30default_config_static_selectorELNS0_4arch9wavefront6targetE1EEEvT1_,@function
_ZN7rocprim17ROCPRIM_400000_NS6detail17trampoline_kernelINS0_14default_configENS1_27scan_by_key_config_selectorIssEEZZNS1_16scan_by_key_implILNS1_25lookback_scan_determinismE0ELb1ES3_N6thrust23THRUST_200600_302600_NS6detail15normal_iteratorINS9_10device_ptrIsEEEESE_SE_sNS9_4plusIsEE19head_flag_predicatesEE10hipError_tPvRmT2_T3_T4_T5_mT6_T7_P12ihipStream_tbENKUlT_T0_E_clISt17integral_constantIbLb0EESX_IbLb1EEEEDaST_SU_EUlST_E_NS1_11comp_targetILNS1_3genE5ELNS1_11target_archE942ELNS1_3gpuE9ELNS1_3repE0EEENS1_30default_config_static_selectorELNS0_4arch9wavefront6targetE1EEEvT1_: ; @_ZN7rocprim17ROCPRIM_400000_NS6detail17trampoline_kernelINS0_14default_configENS1_27scan_by_key_config_selectorIssEEZZNS1_16scan_by_key_implILNS1_25lookback_scan_determinismE0ELb1ES3_N6thrust23THRUST_200600_302600_NS6detail15normal_iteratorINS9_10device_ptrIsEEEESE_SE_sNS9_4plusIsEE19head_flag_predicatesEE10hipError_tPvRmT2_T3_T4_T5_mT6_T7_P12ihipStream_tbENKUlT_T0_E_clISt17integral_constantIbLb0EESX_IbLb1EEEEDaST_SU_EUlST_E_NS1_11comp_targetILNS1_3genE5ELNS1_11target_archE942ELNS1_3gpuE9ELNS1_3repE0EEENS1_30default_config_static_selectorELNS0_4arch9wavefront6targetE1EEEvT1_
; %bb.0:
	.section	.rodata,"a",@progbits
	.p2align	6, 0x0
	.amdhsa_kernel _ZN7rocprim17ROCPRIM_400000_NS6detail17trampoline_kernelINS0_14default_configENS1_27scan_by_key_config_selectorIssEEZZNS1_16scan_by_key_implILNS1_25lookback_scan_determinismE0ELb1ES3_N6thrust23THRUST_200600_302600_NS6detail15normal_iteratorINS9_10device_ptrIsEEEESE_SE_sNS9_4plusIsEE19head_flag_predicatesEE10hipError_tPvRmT2_T3_T4_T5_mT6_T7_P12ihipStream_tbENKUlT_T0_E_clISt17integral_constantIbLb0EESX_IbLb1EEEEDaST_SU_EUlST_E_NS1_11comp_targetILNS1_3genE5ELNS1_11target_archE942ELNS1_3gpuE9ELNS1_3repE0EEENS1_30default_config_static_selectorELNS0_4arch9wavefront6targetE1EEEvT1_
		.amdhsa_group_segment_fixed_size 0
		.amdhsa_private_segment_fixed_size 0
		.amdhsa_kernarg_size 112
		.amdhsa_user_sgpr_count 6
		.amdhsa_user_sgpr_private_segment_buffer 1
		.amdhsa_user_sgpr_dispatch_ptr 0
		.amdhsa_user_sgpr_queue_ptr 0
		.amdhsa_user_sgpr_kernarg_segment_ptr 1
		.amdhsa_user_sgpr_dispatch_id 0
		.amdhsa_user_sgpr_flat_scratch_init 0
		.amdhsa_user_sgpr_kernarg_preload_length 0
		.amdhsa_user_sgpr_kernarg_preload_offset 0
		.amdhsa_user_sgpr_private_segment_size 0
		.amdhsa_uses_dynamic_stack 0
		.amdhsa_system_sgpr_private_segment_wavefront_offset 0
		.amdhsa_system_sgpr_workgroup_id_x 1
		.amdhsa_system_sgpr_workgroup_id_y 0
		.amdhsa_system_sgpr_workgroup_id_z 0
		.amdhsa_system_sgpr_workgroup_info 0
		.amdhsa_system_vgpr_workitem_id 0
		.amdhsa_next_free_vgpr 1
		.amdhsa_next_free_sgpr 0
		.amdhsa_accum_offset 4
		.amdhsa_reserve_vcc 0
		.amdhsa_reserve_flat_scratch 0
		.amdhsa_float_round_mode_32 0
		.amdhsa_float_round_mode_16_64 0
		.amdhsa_float_denorm_mode_32 3
		.amdhsa_float_denorm_mode_16_64 3
		.amdhsa_dx10_clamp 1
		.amdhsa_ieee_mode 1
		.amdhsa_fp16_overflow 0
		.amdhsa_tg_split 0
		.amdhsa_exception_fp_ieee_invalid_op 0
		.amdhsa_exception_fp_denorm_src 0
		.amdhsa_exception_fp_ieee_div_zero 0
		.amdhsa_exception_fp_ieee_overflow 0
		.amdhsa_exception_fp_ieee_underflow 0
		.amdhsa_exception_fp_ieee_inexact 0
		.amdhsa_exception_int_div_zero 0
	.end_amdhsa_kernel
	.section	.text._ZN7rocprim17ROCPRIM_400000_NS6detail17trampoline_kernelINS0_14default_configENS1_27scan_by_key_config_selectorIssEEZZNS1_16scan_by_key_implILNS1_25lookback_scan_determinismE0ELb1ES3_N6thrust23THRUST_200600_302600_NS6detail15normal_iteratorINS9_10device_ptrIsEEEESE_SE_sNS9_4plusIsEE19head_flag_predicatesEE10hipError_tPvRmT2_T3_T4_T5_mT6_T7_P12ihipStream_tbENKUlT_T0_E_clISt17integral_constantIbLb0EESX_IbLb1EEEEDaST_SU_EUlST_E_NS1_11comp_targetILNS1_3genE5ELNS1_11target_archE942ELNS1_3gpuE9ELNS1_3repE0EEENS1_30default_config_static_selectorELNS0_4arch9wavefront6targetE1EEEvT1_,"axG",@progbits,_ZN7rocprim17ROCPRIM_400000_NS6detail17trampoline_kernelINS0_14default_configENS1_27scan_by_key_config_selectorIssEEZZNS1_16scan_by_key_implILNS1_25lookback_scan_determinismE0ELb1ES3_N6thrust23THRUST_200600_302600_NS6detail15normal_iteratorINS9_10device_ptrIsEEEESE_SE_sNS9_4plusIsEE19head_flag_predicatesEE10hipError_tPvRmT2_T3_T4_T5_mT6_T7_P12ihipStream_tbENKUlT_T0_E_clISt17integral_constantIbLb0EESX_IbLb1EEEEDaST_SU_EUlST_E_NS1_11comp_targetILNS1_3genE5ELNS1_11target_archE942ELNS1_3gpuE9ELNS1_3repE0EEENS1_30default_config_static_selectorELNS0_4arch9wavefront6targetE1EEEvT1_,comdat
.Lfunc_end886:
	.size	_ZN7rocprim17ROCPRIM_400000_NS6detail17trampoline_kernelINS0_14default_configENS1_27scan_by_key_config_selectorIssEEZZNS1_16scan_by_key_implILNS1_25lookback_scan_determinismE0ELb1ES3_N6thrust23THRUST_200600_302600_NS6detail15normal_iteratorINS9_10device_ptrIsEEEESE_SE_sNS9_4plusIsEE19head_flag_predicatesEE10hipError_tPvRmT2_T3_T4_T5_mT6_T7_P12ihipStream_tbENKUlT_T0_E_clISt17integral_constantIbLb0EESX_IbLb1EEEEDaST_SU_EUlST_E_NS1_11comp_targetILNS1_3genE5ELNS1_11target_archE942ELNS1_3gpuE9ELNS1_3repE0EEENS1_30default_config_static_selectorELNS0_4arch9wavefront6targetE1EEEvT1_, .Lfunc_end886-_ZN7rocprim17ROCPRIM_400000_NS6detail17trampoline_kernelINS0_14default_configENS1_27scan_by_key_config_selectorIssEEZZNS1_16scan_by_key_implILNS1_25lookback_scan_determinismE0ELb1ES3_N6thrust23THRUST_200600_302600_NS6detail15normal_iteratorINS9_10device_ptrIsEEEESE_SE_sNS9_4plusIsEE19head_flag_predicatesEE10hipError_tPvRmT2_T3_T4_T5_mT6_T7_P12ihipStream_tbENKUlT_T0_E_clISt17integral_constantIbLb0EESX_IbLb1EEEEDaST_SU_EUlST_E_NS1_11comp_targetILNS1_3genE5ELNS1_11target_archE942ELNS1_3gpuE9ELNS1_3repE0EEENS1_30default_config_static_selectorELNS0_4arch9wavefront6targetE1EEEvT1_
                                        ; -- End function
	.section	.AMDGPU.csdata,"",@progbits
; Kernel info:
; codeLenInByte = 0
; NumSgprs: 4
; NumVgprs: 0
; NumAgprs: 0
; TotalNumVgprs: 0
; ScratchSize: 0
; MemoryBound: 0
; FloatMode: 240
; IeeeMode: 1
; LDSByteSize: 0 bytes/workgroup (compile time only)
; SGPRBlocks: 0
; VGPRBlocks: 0
; NumSGPRsForWavesPerEU: 4
; NumVGPRsForWavesPerEU: 1
; AccumOffset: 4
; Occupancy: 8
; WaveLimiterHint : 0
; COMPUTE_PGM_RSRC2:SCRATCH_EN: 0
; COMPUTE_PGM_RSRC2:USER_SGPR: 6
; COMPUTE_PGM_RSRC2:TRAP_HANDLER: 0
; COMPUTE_PGM_RSRC2:TGID_X_EN: 1
; COMPUTE_PGM_RSRC2:TGID_Y_EN: 0
; COMPUTE_PGM_RSRC2:TGID_Z_EN: 0
; COMPUTE_PGM_RSRC2:TIDIG_COMP_CNT: 0
; COMPUTE_PGM_RSRC3_GFX90A:ACCUM_OFFSET: 0
; COMPUTE_PGM_RSRC3_GFX90A:TG_SPLIT: 0
	.section	.text._ZN7rocprim17ROCPRIM_400000_NS6detail17trampoline_kernelINS0_14default_configENS1_27scan_by_key_config_selectorIssEEZZNS1_16scan_by_key_implILNS1_25lookback_scan_determinismE0ELb1ES3_N6thrust23THRUST_200600_302600_NS6detail15normal_iteratorINS9_10device_ptrIsEEEESE_SE_sNS9_4plusIsEE19head_flag_predicatesEE10hipError_tPvRmT2_T3_T4_T5_mT6_T7_P12ihipStream_tbENKUlT_T0_E_clISt17integral_constantIbLb0EESX_IbLb1EEEEDaST_SU_EUlST_E_NS1_11comp_targetILNS1_3genE4ELNS1_11target_archE910ELNS1_3gpuE8ELNS1_3repE0EEENS1_30default_config_static_selectorELNS0_4arch9wavefront6targetE1EEEvT1_,"axG",@progbits,_ZN7rocprim17ROCPRIM_400000_NS6detail17trampoline_kernelINS0_14default_configENS1_27scan_by_key_config_selectorIssEEZZNS1_16scan_by_key_implILNS1_25lookback_scan_determinismE0ELb1ES3_N6thrust23THRUST_200600_302600_NS6detail15normal_iteratorINS9_10device_ptrIsEEEESE_SE_sNS9_4plusIsEE19head_flag_predicatesEE10hipError_tPvRmT2_T3_T4_T5_mT6_T7_P12ihipStream_tbENKUlT_T0_E_clISt17integral_constantIbLb0EESX_IbLb1EEEEDaST_SU_EUlST_E_NS1_11comp_targetILNS1_3genE4ELNS1_11target_archE910ELNS1_3gpuE8ELNS1_3repE0EEENS1_30default_config_static_selectorELNS0_4arch9wavefront6targetE1EEEvT1_,comdat
	.protected	_ZN7rocprim17ROCPRIM_400000_NS6detail17trampoline_kernelINS0_14default_configENS1_27scan_by_key_config_selectorIssEEZZNS1_16scan_by_key_implILNS1_25lookback_scan_determinismE0ELb1ES3_N6thrust23THRUST_200600_302600_NS6detail15normal_iteratorINS9_10device_ptrIsEEEESE_SE_sNS9_4plusIsEE19head_flag_predicatesEE10hipError_tPvRmT2_T3_T4_T5_mT6_T7_P12ihipStream_tbENKUlT_T0_E_clISt17integral_constantIbLb0EESX_IbLb1EEEEDaST_SU_EUlST_E_NS1_11comp_targetILNS1_3genE4ELNS1_11target_archE910ELNS1_3gpuE8ELNS1_3repE0EEENS1_30default_config_static_selectorELNS0_4arch9wavefront6targetE1EEEvT1_ ; -- Begin function _ZN7rocprim17ROCPRIM_400000_NS6detail17trampoline_kernelINS0_14default_configENS1_27scan_by_key_config_selectorIssEEZZNS1_16scan_by_key_implILNS1_25lookback_scan_determinismE0ELb1ES3_N6thrust23THRUST_200600_302600_NS6detail15normal_iteratorINS9_10device_ptrIsEEEESE_SE_sNS9_4plusIsEE19head_flag_predicatesEE10hipError_tPvRmT2_T3_T4_T5_mT6_T7_P12ihipStream_tbENKUlT_T0_E_clISt17integral_constantIbLb0EESX_IbLb1EEEEDaST_SU_EUlST_E_NS1_11comp_targetILNS1_3genE4ELNS1_11target_archE910ELNS1_3gpuE8ELNS1_3repE0EEENS1_30default_config_static_selectorELNS0_4arch9wavefront6targetE1EEEvT1_
	.globl	_ZN7rocprim17ROCPRIM_400000_NS6detail17trampoline_kernelINS0_14default_configENS1_27scan_by_key_config_selectorIssEEZZNS1_16scan_by_key_implILNS1_25lookback_scan_determinismE0ELb1ES3_N6thrust23THRUST_200600_302600_NS6detail15normal_iteratorINS9_10device_ptrIsEEEESE_SE_sNS9_4plusIsEE19head_flag_predicatesEE10hipError_tPvRmT2_T3_T4_T5_mT6_T7_P12ihipStream_tbENKUlT_T0_E_clISt17integral_constantIbLb0EESX_IbLb1EEEEDaST_SU_EUlST_E_NS1_11comp_targetILNS1_3genE4ELNS1_11target_archE910ELNS1_3gpuE8ELNS1_3repE0EEENS1_30default_config_static_selectorELNS0_4arch9wavefront6targetE1EEEvT1_
	.p2align	8
	.type	_ZN7rocprim17ROCPRIM_400000_NS6detail17trampoline_kernelINS0_14default_configENS1_27scan_by_key_config_selectorIssEEZZNS1_16scan_by_key_implILNS1_25lookback_scan_determinismE0ELb1ES3_N6thrust23THRUST_200600_302600_NS6detail15normal_iteratorINS9_10device_ptrIsEEEESE_SE_sNS9_4plusIsEE19head_flag_predicatesEE10hipError_tPvRmT2_T3_T4_T5_mT6_T7_P12ihipStream_tbENKUlT_T0_E_clISt17integral_constantIbLb0EESX_IbLb1EEEEDaST_SU_EUlST_E_NS1_11comp_targetILNS1_3genE4ELNS1_11target_archE910ELNS1_3gpuE8ELNS1_3repE0EEENS1_30default_config_static_selectorELNS0_4arch9wavefront6targetE1EEEvT1_,@function
_ZN7rocprim17ROCPRIM_400000_NS6detail17trampoline_kernelINS0_14default_configENS1_27scan_by_key_config_selectorIssEEZZNS1_16scan_by_key_implILNS1_25lookback_scan_determinismE0ELb1ES3_N6thrust23THRUST_200600_302600_NS6detail15normal_iteratorINS9_10device_ptrIsEEEESE_SE_sNS9_4plusIsEE19head_flag_predicatesEE10hipError_tPvRmT2_T3_T4_T5_mT6_T7_P12ihipStream_tbENKUlT_T0_E_clISt17integral_constantIbLb0EESX_IbLb1EEEEDaST_SU_EUlST_E_NS1_11comp_targetILNS1_3genE4ELNS1_11target_archE910ELNS1_3gpuE8ELNS1_3repE0EEENS1_30default_config_static_selectorELNS0_4arch9wavefront6targetE1EEEvT1_: ; @_ZN7rocprim17ROCPRIM_400000_NS6detail17trampoline_kernelINS0_14default_configENS1_27scan_by_key_config_selectorIssEEZZNS1_16scan_by_key_implILNS1_25lookback_scan_determinismE0ELb1ES3_N6thrust23THRUST_200600_302600_NS6detail15normal_iteratorINS9_10device_ptrIsEEEESE_SE_sNS9_4plusIsEE19head_flag_predicatesEE10hipError_tPvRmT2_T3_T4_T5_mT6_T7_P12ihipStream_tbENKUlT_T0_E_clISt17integral_constantIbLb0EESX_IbLb1EEEEDaST_SU_EUlST_E_NS1_11comp_targetILNS1_3genE4ELNS1_11target_archE910ELNS1_3gpuE8ELNS1_3repE0EEENS1_30default_config_static_selectorELNS0_4arch9wavefront6targetE1EEEvT1_
; %bb.0:
	s_load_dword s70, s[4:5], 0x20
	s_load_dwordx4 s[60:63], s[4:5], 0x28
	s_load_dwordx2 s[68:69], s[4:5], 0x38
	v_cmp_ne_u32_e64 s[50:51], 0, v0
	v_cmp_eq_u32_e64 s[0:1], 0, v0
	s_and_saveexec_b64 s[2:3], s[0:1]
	s_cbranch_execz .LBB887_4
; %bb.1:
	s_mov_b64 s[8:9], exec
	v_mbcnt_lo_u32_b32 v1, s8, 0
	v_mbcnt_hi_u32_b32 v1, s9, v1
	v_cmp_eq_u32_e32 vcc, 0, v1
                                        ; implicit-def: $vgpr2
	s_and_saveexec_b64 s[6:7], vcc
	s_cbranch_execz .LBB887_3
; %bb.2:
	s_load_dwordx2 s[10:11], s[4:5], 0x68
	s_bcnt1_i32_b64 s8, s[8:9]
	v_mov_b32_e32 v2, 0
	v_mov_b32_e32 v3, s8
	s_waitcnt lgkmcnt(0)
	global_atomic_add v2, v2, v3, s[10:11] glc
.LBB887_3:
	s_or_b64 exec, exec, s[6:7]
	s_waitcnt vmcnt(0)
	v_readfirstlane_b32 s6, v2
	v_add_u32_e32 v1, s6, v1
	v_mov_b32_e32 v2, 0
	ds_write_b32 v2, v1
.LBB887_4:
	s_or_b64 exec, exec, s[2:3]
	s_load_dwordx8 s[52:59], s[4:5], 0x0
	s_load_dword s2, s[4:5], 0x40
	s_load_dwordx4 s[64:67], s[4:5], 0x48
	v_mov_b32_e32 v3, 0
	s_waitcnt lgkmcnt(0)
	s_lshl_b64 s[54:55], s[54:55], 1
	s_barrier
	ds_read_b32 v1, v3
	s_add_u32 s3, s52, s54
	s_addc_u32 s4, s53, s55
	s_add_u32 s5, s56, s54
	s_mul_i32 s7, s69, s2
	s_mul_hi_u32 s8, s68, s2
	s_addc_u32 s6, s57, s55
	s_add_i32 s7, s8, s7
	s_movk_i32 s8, 0x1600
	s_waitcnt lgkmcnt(0)
	v_mul_lo_u32 v2, v1, s8
	v_lshlrev_b64 v[10:11], 1, v[2:3]
	v_mov_b32_e32 v2, s4
	v_add_co_u32_e32 v6, vcc, s3, v10
	v_addc_co_u32_e32 v7, vcc, v2, v11, vcc
	v_mov_b32_e32 v2, s6
	v_add_co_u32_e32 v21, vcc, s5, v10
	s_mul_i32 s2, s68, s2
	v_addc_co_u32_e32 v38, vcc, v2, v11, vcc
	v_mov_b32_e32 v3, s7
	v_add_co_u32_e32 v2, vcc, s2, v1
	s_add_u32 s6, s64, -1
	v_addc_co_u32_e32 v3, vcc, 0, v3, vcc
	s_addc_u32 s7, s65, -1
	v_cmp_le_u64_e64 s[2:3], s[6:7], v[2:3]
	v_readfirstlane_b32 s63, v1
	s_mov_b64 s[4:5], -1
	s_and_b64 vcc, exec, s[2:3]
	s_mul_i32 s33, s6, 0xffffea00
	s_barrier
	s_barrier
	s_cbranch_vccz .LBB887_120
; %bb.5:
	flat_load_ushort v8, v[6:7]
	s_add_i32 s72, s33, s62
	v_cmp_gt_u32_e32 vcc, s72, v0
	s_waitcnt vmcnt(0) lgkmcnt(0)
	v_mov_b32_e32 v9, v8
	s_and_saveexec_b64 s[6:7], vcc
	s_cbranch_execz .LBB887_7
; %bb.6:
	v_lshlrev_b32_e32 v1, 1, v0
	v_add_co_u32_e64 v2, s[4:5], v6, v1
	v_addc_co_u32_e64 v3, s[4:5], 0, v7, s[4:5]
	flat_load_ushort v9, v[2:3]
.LBB887_7:
	s_or_b64 exec, exec, s[6:7]
	v_or_b32_e32 v1, 0x100, v0
	v_cmp_gt_u32_e64 s[6:7], s72, v1
	v_mov_b32_e32 v12, v8
	s_and_saveexec_b64 s[8:9], s[6:7]
	s_cbranch_execz .LBB887_9
; %bb.8:
	v_lshlrev_b32_e32 v1, 1, v0
	v_add_co_u32_e64 v2, s[4:5], v6, v1
	v_addc_co_u32_e64 v3, s[4:5], 0, v7, s[4:5]
	flat_load_ushort v12, v[2:3] offset:512
.LBB887_9:
	s_or_b64 exec, exec, s[8:9]
	v_or_b32_e32 v1, 0x200, v0
	v_cmp_gt_u32_e64 s[8:9], s72, v1
	v_mov_b32_e32 v13, v8
	s_and_saveexec_b64 s[10:11], s[8:9]
	s_cbranch_execz .LBB887_11
; %bb.10:
	v_lshlrev_b32_e32 v1, 1, v0
	v_add_co_u32_e64 v2, s[4:5], v6, v1
	v_addc_co_u32_e64 v3, s[4:5], 0, v7, s[4:5]
	flat_load_ushort v13, v[2:3] offset:1024
.LBB887_11:
	;; [unrolled: 12-line block ×7, first 2 shown]
	s_or_b64 exec, exec, s[20:21]
	v_or_b32_e32 v1, 0x800, v0
	v_cmp_gt_u32_e64 s[20:21], s72, v1
	v_lshlrev_b32_e32 v1, 1, v1
	v_mov_b32_e32 v19, v8
	s_and_saveexec_b64 s[22:23], s[20:21]
	s_cbranch_execz .LBB887_23
; %bb.22:
	v_add_co_u32_e64 v2, s[4:5], v6, v1
	v_addc_co_u32_e64 v3, s[4:5], 0, v7, s[4:5]
	flat_load_ushort v19, v[2:3]
.LBB887_23:
	s_or_b64 exec, exec, s[22:23]
	v_or_b32_e32 v2, 0x900, v0
	v_cmp_gt_u32_e64 s[22:23], s72, v2
	v_lshlrev_b32_e32 v2, 1, v2
	v_mov_b32_e32 v31, v8
	s_and_saveexec_b64 s[24:25], s[22:23]
	s_cbranch_execz .LBB887_25
; %bb.24:
	v_add_co_u32_e64 v4, s[4:5], v6, v2
	v_addc_co_u32_e64 v5, s[4:5], 0, v7, s[4:5]
	flat_load_ushort v31, v[4:5]
.LBB887_25:
	;; [unrolled: 12-line block ×13, first 2 shown]
	s_or_b64 exec, exec, s[48:49]
	v_or_b32_e32 v25, 0x1500, v0
	v_cmp_gt_u32_e64 s[48:49], s72, v25
	v_lshlrev_b32_e32 v30, 1, v25
	s_and_saveexec_b64 s[52:53], s[48:49]
	s_cbranch_execz .LBB887_49
; %bb.48:
	v_add_co_u32_e64 v44, s[4:5], v6, v30
	v_addc_co_u32_e64 v45, s[4:5], 0, v7, s[4:5]
	flat_load_ushort v8, v[44:45]
.LBB887_49:
	s_or_b64 exec, exec, s[52:53]
	v_lshlrev_b32_e32 v25, 1, v0
	s_waitcnt vmcnt(0) lgkmcnt(0)
	ds_write_b16 v25, v9
	ds_write_b16 v25, v12 offset:512
	ds_write_b16 v25, v13 offset:1024
	;; [unrolled: 1-line block ×21, first 2 shown]
	s_waitcnt lgkmcnt(0)
	s_barrier
	flat_load_ushort v42, v[6:7]
	v_mad_u32_u24 v44, v0, 42, v25
	s_movk_i32 s4, 0xffd6
	v_mad_i32_i24 v31, v0, s4, v44
	s_movk_i32 s4, 0xff
	v_cmp_ne_u32_e64 s[4:5], s4, v0
	ds_read2_b32 v[18:19], v44 offset1:1
	ds_read2_b32 v[16:17], v44 offset0:2 offset1:3
	ds_read2_b32 v[14:15], v44 offset0:4 offset1:5
	;; [unrolled: 1-line block ×4, first 2 shown]
	ds_read_b32 v45, v44 offset:40
	s_waitcnt lgkmcnt(0)
	ds_write_b16 v31, v18 offset:11776
	s_waitcnt lgkmcnt(0)
	s_barrier
	s_and_saveexec_b64 s[52:53], s[4:5]
	s_cbranch_execz .LBB887_51
; %bb.50:
	s_waitcnt vmcnt(0)
	ds_read_u16 v42, v25 offset:11778
.LBB887_51:
	s_or_b64 exec, exec, s[52:53]
	s_waitcnt lgkmcnt(0)
	s_barrier
	s_waitcnt lgkmcnt(0)
                                        ; implicit-def: $vgpr31
	s_and_saveexec_b64 s[4:5], vcc
	s_cbranch_execz .LBB887_189
; %bb.52:
	v_add_co_u32_e32 v32, vcc, v21, v25
	v_addc_co_u32_e32 v33, vcc, 0, v38, vcc
	flat_load_ushort v31, v[32:33]
	s_or_b64 exec, exec, s[4:5]
                                        ; implicit-def: $vgpr32
	s_and_saveexec_b64 s[4:5], s[6:7]
	s_cbranch_execnz .LBB887_190
.LBB887_53:
	s_or_b64 exec, exec, s[4:5]
                                        ; implicit-def: $vgpr33
	s_and_saveexec_b64 s[4:5], s[8:9]
	s_cbranch_execz .LBB887_191
.LBB887_54:
	v_add_co_u32_e32 v34, vcc, v21, v25
	v_addc_co_u32_e32 v35, vcc, 0, v38, vcc
	flat_load_ushort v33, v[34:35] offset:1024
	s_or_b64 exec, exec, s[4:5]
                                        ; implicit-def: $vgpr34
	s_and_saveexec_b64 s[4:5], s[10:11]
	s_cbranch_execnz .LBB887_192
.LBB887_55:
	s_or_b64 exec, exec, s[4:5]
                                        ; implicit-def: $vgpr35
	s_and_saveexec_b64 s[4:5], s[12:13]
	s_cbranch_execz .LBB887_193
.LBB887_56:
	v_add_co_u32_e32 v36, vcc, v21, v25
	v_addc_co_u32_e32 v37, vcc, 0, v38, vcc
	flat_load_ushort v35, v[36:37] offset:2048
	s_or_b64 exec, exec, s[4:5]
                                        ; implicit-def: $vgpr36
	s_and_saveexec_b64 s[4:5], s[14:15]
	s_cbranch_execnz .LBB887_194
.LBB887_57:
	s_or_b64 exec, exec, s[4:5]
                                        ; implicit-def: $vgpr37
	s_and_saveexec_b64 s[4:5], s[16:17]
	s_cbranch_execz .LBB887_195
.LBB887_58:
	v_add_co_u32_e32 v40, vcc, v21, v25
	v_addc_co_u32_e32 v41, vcc, 0, v38, vcc
	flat_load_ushort v37, v[40:41] offset:3072
	s_or_b64 exec, exec, s[4:5]
                                        ; implicit-def: $vgpr39
	s_and_saveexec_b64 s[4:5], s[18:19]
	s_cbranch_execnz .LBB887_196
.LBB887_59:
	s_or_b64 exec, exec, s[4:5]
                                        ; implicit-def: $vgpr40
	s_and_saveexec_b64 s[4:5], s[20:21]
	s_cbranch_execz .LBB887_197
.LBB887_60:
	v_add_co_u32_e32 v40, vcc, v21, v1
	v_addc_co_u32_e32 v41, vcc, 0, v38, vcc
	flat_load_ushort v40, v[40:41]
	s_or_b64 exec, exec, s[4:5]
                                        ; implicit-def: $vgpr1
	s_and_saveexec_b64 s[4:5], s[22:23]
	s_cbranch_execnz .LBB887_198
.LBB887_61:
	s_or_b64 exec, exec, s[4:5]
                                        ; implicit-def: $vgpr2
	s_and_saveexec_b64 s[4:5], s[24:25]
	s_cbranch_execz .LBB887_199
.LBB887_62:
	v_add_co_u32_e32 v2, vcc, v21, v3
	v_addc_co_u32_e32 v3, vcc, 0, v38, vcc
	flat_load_ushort v2, v[2:3]
	s_or_b64 exec, exec, s[4:5]
                                        ; implicit-def: $vgpr3
	s_and_saveexec_b64 s[4:5], s[26:27]
	s_cbranch_execnz .LBB887_200
.LBB887_63:
	s_or_b64 exec, exec, s[4:5]
                                        ; implicit-def: $vgpr4
	s_and_saveexec_b64 s[4:5], s[28:29]
	s_cbranch_execz .LBB887_201
.LBB887_64:
	v_add_co_u32_e32 v4, vcc, v21, v5
	v_addc_co_u32_e32 v5, vcc, 0, v38, vcc
	flat_load_ushort v4, v[4:5]
	s_or_b64 exec, exec, s[4:5]
                                        ; implicit-def: $vgpr5
	s_and_saveexec_b64 s[4:5], s[30:31]
	s_cbranch_execnz .LBB887_202
.LBB887_65:
	s_or_b64 exec, exec, s[4:5]
                                        ; implicit-def: $vgpr20
	s_and_saveexec_b64 s[4:5], s[34:35]
	s_cbranch_execz .LBB887_203
.LBB887_66:
	v_add_co_u32_e32 v46, vcc, v21, v22
	v_addc_co_u32_e32 v47, vcc, 0, v38, vcc
	flat_load_ushort v20, v[46:47]
	s_or_b64 exec, exec, s[4:5]
                                        ; implicit-def: $vgpr22
	s_and_saveexec_b64 s[4:5], s[36:37]
	s_cbranch_execnz .LBB887_204
.LBB887_67:
	s_or_b64 exec, exec, s[4:5]
                                        ; implicit-def: $vgpr23
	s_and_saveexec_b64 s[4:5], s[38:39]
	s_cbranch_execz .LBB887_205
.LBB887_68:
	v_add_co_u32_e32 v46, vcc, v21, v24
	v_addc_co_u32_e32 v47, vcc, 0, v38, vcc
	flat_load_ushort v23, v[46:47]
	s_or_b64 exec, exec, s[4:5]
                                        ; implicit-def: $vgpr24
	s_and_saveexec_b64 s[4:5], s[40:41]
	s_cbranch_execnz .LBB887_206
.LBB887_69:
	s_or_b64 exec, exec, s[4:5]
                                        ; implicit-def: $vgpr26
	s_and_saveexec_b64 s[4:5], s[42:43]
	s_cbranch_execz .LBB887_207
.LBB887_70:
	v_add_co_u32_e32 v26, vcc, v21, v27
	v_addc_co_u32_e32 v27, vcc, 0, v38, vcc
	flat_load_ushort v26, v[26:27]
	s_or_b64 exec, exec, s[4:5]
                                        ; implicit-def: $vgpr27
	s_and_saveexec_b64 s[4:5], s[44:45]
	s_cbranch_execnz .LBB887_208
.LBB887_71:
	s_or_b64 exec, exec, s[4:5]
                                        ; implicit-def: $vgpr28
	s_and_saveexec_b64 s[4:5], s[46:47]
	s_cbranch_execz .LBB887_73
.LBB887_72:
	v_add_co_u32_e32 v28, vcc, v21, v29
	v_addc_co_u32_e32 v29, vcc, 0, v38, vcc
	flat_load_ushort v28, v[28:29]
.LBB887_73:
	s_or_b64 exec, exec, s[4:5]
	v_mul_u32_u24_e32 v46, 22, v0
                                        ; implicit-def: $vgpr29
	s_and_saveexec_b64 s[4:5], s[48:49]
	s_cbranch_execz .LBB887_75
; %bb.74:
	v_add_co_u32_e32 v48, vcc, v21, v30
	v_addc_co_u32_e32 v49, vcc, 0, v38, vcc
	flat_load_ushort v29, v[48:49]
.LBB887_75:
	s_or_b64 exec, exec, s[4:5]
	s_waitcnt vmcnt(0) lgkmcnt(0)
	ds_write_b16 v25, v31
	ds_write_b16 v25, v32 offset:512
	ds_write_b16 v25, v33 offset:1024
	;; [unrolled: 1-line block ×21, first 2 shown]
	v_cmp_gt_u32_e32 vcc, s72, v46
	s_mov_b64 s[4:5], 0
	s_mov_b32 s71, 0
	v_mov_b32_e32 v1, 0
	s_mov_b64 s[10:11], 0
	v_mov_b32_e32 v22, 0
	v_mov_b32_e32 v23, 0
	;; [unrolled: 1-line block ×20, first 2 shown]
	s_waitcnt lgkmcnt(0)
	s_barrier
	s_waitcnt lgkmcnt(0)
                                        ; implicit-def: $sgpr8_sgpr9
                                        ; implicit-def: $vgpr43
	s_and_saveexec_b64 s[6:7], vcc
	s_cbranch_execz .LBB887_119
; %bb.76:
	ds_read_u16 v1, v44
	v_mov_b32_e32 v22, 0
	v_mov_b32_e32 v3, s70
	v_cmp_eq_u16_sdwa vcc, v18, v22 src0_sel:WORD_1 src1_sel:DWORD
	v_cmp_ne_u16_sdwa s[8:9], v18, v22 src0_sel:WORD_1 src1_sel:DWORD
	s_waitcnt lgkmcnt(0)
	v_cndmask_b32_e32 v1, v3, v1, vcc
	v_or_b32_e32 v2, 1, v46
	v_and_b32_e32 v1, 0xffff, v1
	v_cndmask_b32_e64 v3, 0, 1, s[8:9]
	v_lshl_or_b32 v1, v3, 16, v1
	v_cmp_gt_u32_e32 vcc, s72, v2
	v_mov_b32_e32 v23, 0
	v_mov_b32_e32 v24, 0
	;; [unrolled: 1-line block ×19, first 2 shown]
                                        ; implicit-def: $sgpr12_sgpr13
                                        ; implicit-def: $vgpr43
	s_and_saveexec_b64 s[8:9], vcc
	s_cbranch_execz .LBB887_118
; %bb.77:
	ds_read_b128 v[2:5], v44 offset:2
	v_mov_b32_e32 v20, s70
	v_cmp_eq_u16_e32 vcc, 0, v19
	v_add_u32_e32 v18, 2, v46
	s_mov_b64 s[14:15], 0
	s_waitcnt lgkmcnt(0)
	v_cndmask_b32_e32 v20, v20, v2, vcc
	v_cmp_ne_u16_e32 vcc, 0, v19
	v_and_b32_e32 v20, 0xffff, v20
	v_cndmask_b32_e64 v22, 0, 1, vcc
	v_lshl_or_b32 v22, v22, 16, v20
	v_cmp_gt_u32_e32 vcc, s72, v18
	v_mov_b32_e32 v23, 0
	v_mov_b32_e32 v24, 0
	;; [unrolled: 1-line block ×19, first 2 shown]
                                        ; implicit-def: $sgpr12_sgpr13
                                        ; implicit-def: $vgpr43
	s_and_saveexec_b64 s[10:11], vcc
	s_cbranch_execz .LBB887_117
; %bb.78:
	v_mov_b32_e32 v24, 0
	v_lshrrev_b32_e32 v2, 16, v2
	v_mov_b32_e32 v20, s70
	v_cmp_eq_u16_sdwa vcc, v19, v24 src0_sel:WORD_1 src1_sel:DWORD
	v_cndmask_b32_e32 v2, v20, v2, vcc
	v_cmp_ne_u16_sdwa s[12:13], v19, v24 src0_sel:WORD_1 src1_sel:DWORD
	v_add_u32_e32 v18, 3, v46
	v_and_b32_e32 v2, 0xffff, v2
	v_cndmask_b32_e64 v19, 0, 1, s[12:13]
	v_lshl_or_b32 v23, v19, 16, v2
	v_cmp_gt_u32_e32 vcc, s72, v18
	v_mov_b32_e32 v25, 0
	v_mov_b32_e32 v26, 0
	;; [unrolled: 1-line block ×17, first 2 shown]
                                        ; implicit-def: $sgpr16_sgpr17
                                        ; implicit-def: $vgpr43
	s_and_saveexec_b64 s[12:13], vcc
	s_cbranch_execz .LBB887_116
; %bb.79:
	v_mov_b32_e32 v18, s70
	v_cmp_eq_u16_e32 vcc, 0, v16
	v_cndmask_b32_e32 v18, v18, v3, vcc
	v_cmp_ne_u16_e32 vcc, 0, v16
	v_add_u32_e32 v2, 4, v46
	v_and_b32_e32 v18, 0xffff, v18
	v_cndmask_b32_e64 v19, 0, 1, vcc
	v_lshl_or_b32 v24, v19, 16, v18
	v_cmp_gt_u32_e32 vcc, s72, v2
	s_mov_b64 s[18:19], 0
	v_mov_b32_e32 v25, 0
	v_mov_b32_e32 v26, 0
	v_mov_b32_e32 v27, 0
	v_mov_b32_e32 v28, 0
	v_mov_b32_e32 v29, 0
	v_mov_b32_e32 v30, 0
	v_mov_b32_e32 v31, 0
	v_mov_b32_e32 v32, 0
	v_mov_b32_e32 v33, 0
	v_mov_b32_e32 v34, 0
	v_mov_b32_e32 v35, 0
	v_mov_b32_e32 v36, 0
	v_mov_b32_e32 v37, 0
	v_mov_b32_e32 v20, 0
	v_mov_b32_e32 v39, 0
	v_mov_b32_e32 v40, 0
	v_mov_b32_e32 v41, 0
                                        ; implicit-def: $sgpr16_sgpr17
                                        ; implicit-def: $vgpr43
	s_and_saveexec_b64 s[14:15], vcc
	s_cbranch_execz .LBB887_115
; %bb.80:
	v_mov_b32_e32 v26, 0
	v_lshrrev_b32_e32 v2, 16, v3
	v_mov_b32_e32 v18, s70
	v_cmp_eq_u16_sdwa vcc, v16, v26 src0_sel:WORD_1 src1_sel:DWORD
	v_cndmask_b32_e32 v2, v18, v2, vcc
	v_cmp_ne_u16_sdwa s[16:17], v16, v26 src0_sel:WORD_1 src1_sel:DWORD
	v_add_u32_e32 v3, 5, v46
	v_and_b32_e32 v2, 0xffff, v2
	v_cndmask_b32_e64 v16, 0, 1, s[16:17]
	v_lshl_or_b32 v25, v16, 16, v2
	v_cmp_gt_u32_e32 vcc, s72, v3
	v_mov_b32_e32 v27, 0
	v_mov_b32_e32 v28, 0
	;; [unrolled: 1-line block ×15, first 2 shown]
                                        ; implicit-def: $sgpr20_sgpr21
                                        ; implicit-def: $vgpr43
	s_and_saveexec_b64 s[16:17], vcc
	s_cbranch_execz .LBB887_114
; %bb.81:
	v_mov_b32_e32 v3, s70
	v_cmp_eq_u16_e32 vcc, 0, v17
	v_cndmask_b32_e32 v3, v3, v4, vcc
	v_cmp_ne_u16_e32 vcc, 0, v17
	v_add_u32_e32 v2, 6, v46
	v_and_b32_e32 v3, 0xffff, v3
	v_cndmask_b32_e64 v16, 0, 1, vcc
	v_lshl_or_b32 v26, v16, 16, v3
	v_cmp_gt_u32_e32 vcc, s72, v2
	s_mov_b64 s[22:23], 0
	v_mov_b32_e32 v27, 0
	v_mov_b32_e32 v28, 0
	;; [unrolled: 1-line block ×15, first 2 shown]
                                        ; implicit-def: $sgpr20_sgpr21
                                        ; implicit-def: $vgpr43
	s_and_saveexec_b64 s[18:19], vcc
	s_cbranch_execz .LBB887_113
; %bb.82:
	v_mov_b32_e32 v28, 0
	v_lshrrev_b32_e32 v2, 16, v4
	v_mov_b32_e32 v4, s70
	v_cmp_eq_u16_sdwa vcc, v17, v28 src0_sel:WORD_1 src1_sel:DWORD
	v_cndmask_b32_e32 v2, v4, v2, vcc
	v_cmp_ne_u16_sdwa s[20:21], v17, v28 src0_sel:WORD_1 src1_sel:DWORD
	v_add_u32_e32 v3, 7, v46
	v_and_b32_e32 v2, 0xffff, v2
	v_cndmask_b32_e64 v4, 0, 1, s[20:21]
	v_lshl_or_b32 v27, v4, 16, v2
	v_cmp_gt_u32_e32 vcc, s72, v3
	v_mov_b32_e32 v29, 0
	v_mov_b32_e32 v30, 0
	;; [unrolled: 1-line block ×13, first 2 shown]
                                        ; implicit-def: $sgpr24_sgpr25
                                        ; implicit-def: $vgpr43
	s_and_saveexec_b64 s[20:21], vcc
	s_cbranch_execz .LBB887_112
; %bb.83:
	v_mov_b32_e32 v3, s70
	v_cmp_eq_u16_e32 vcc, 0, v14
	v_cndmask_b32_e32 v3, v3, v5, vcc
	v_cmp_ne_u16_e32 vcc, 0, v14
	v_add_u32_e32 v2, 8, v46
	v_and_b32_e32 v3, 0xffff, v3
	v_cndmask_b32_e64 v4, 0, 1, vcc
	v_lshl_or_b32 v28, v4, 16, v3
	v_cmp_gt_u32_e32 vcc, s72, v2
	s_mov_b64 s[26:27], 0
	v_mov_b32_e32 v29, 0
	v_mov_b32_e32 v30, 0
	;; [unrolled: 1-line block ×13, first 2 shown]
                                        ; implicit-def: $sgpr24_sgpr25
                                        ; implicit-def: $vgpr43
	s_and_saveexec_b64 s[22:23], vcc
	s_cbranch_execz .LBB887_111
; %bb.84:
	v_mov_b32_e32 v30, 0
	v_lshrrev_b32_e32 v2, 16, v5
	v_mov_b32_e32 v4, s70
	v_cmp_eq_u16_sdwa vcc, v14, v30 src0_sel:WORD_1 src1_sel:DWORD
	v_cndmask_b32_e32 v2, v4, v2, vcc
	v_cmp_ne_u16_sdwa s[24:25], v14, v30 src0_sel:WORD_1 src1_sel:DWORD
	v_add_u32_e32 v3, 9, v46
	v_and_b32_e32 v2, 0xffff, v2
	v_cndmask_b32_e64 v4, 0, 1, s[24:25]
	v_lshl_or_b32 v29, v4, 16, v2
	v_cmp_gt_u32_e32 vcc, s72, v3
	v_mov_b32_e32 v31, 0
	v_mov_b32_e32 v32, 0
	;; [unrolled: 1-line block ×11, first 2 shown]
                                        ; implicit-def: $sgpr28_sgpr29
                                        ; implicit-def: $vgpr43
	s_and_saveexec_b64 s[24:25], vcc
	s_cbranch_execz .LBB887_110
; %bb.85:
	ds_read_b128 v[2:5], v44 offset:18
	v_mov_b32_e32 v16, s70
	v_cmp_eq_u16_e32 vcc, 0, v15
	v_add_u32_e32 v14, 10, v46
	s_mov_b64 s[30:31], 0
	s_waitcnt lgkmcnt(0)
	v_cndmask_b32_e32 v16, v16, v2, vcc
	v_cmp_ne_u16_e32 vcc, 0, v15
	v_and_b32_e32 v16, 0xffff, v16
	v_cndmask_b32_e64 v17, 0, 1, vcc
	v_lshl_or_b32 v30, v17, 16, v16
	v_cmp_gt_u32_e32 vcc, s72, v14
	v_mov_b32_e32 v31, 0
	v_mov_b32_e32 v32, 0
	;; [unrolled: 1-line block ×11, first 2 shown]
                                        ; implicit-def: $sgpr28_sgpr29
                                        ; implicit-def: $vgpr43
	s_and_saveexec_b64 s[26:27], vcc
	s_cbranch_execz .LBB887_109
; %bb.86:
	v_mov_b32_e32 v32, 0
	v_lshrrev_b32_e32 v2, 16, v2
	v_mov_b32_e32 v16, s70
	v_cmp_eq_u16_sdwa vcc, v15, v32 src0_sel:WORD_1 src1_sel:DWORD
	v_cndmask_b32_e32 v2, v16, v2, vcc
	v_cmp_ne_u16_sdwa s[28:29], v15, v32 src0_sel:WORD_1 src1_sel:DWORD
	v_add_u32_e32 v14, 11, v46
	v_and_b32_e32 v2, 0xffff, v2
	v_cndmask_b32_e64 v15, 0, 1, s[28:29]
	v_lshl_or_b32 v31, v15, 16, v2
	v_cmp_gt_u32_e32 vcc, s72, v14
	v_mov_b32_e32 v33, 0
	v_mov_b32_e32 v34, 0
	v_mov_b32_e32 v35, 0
	v_mov_b32_e32 v36, 0
	v_mov_b32_e32 v37, 0
	v_mov_b32_e32 v20, 0
	v_mov_b32_e32 v39, 0
	v_mov_b32_e32 v40, 0
	v_mov_b32_e32 v41, 0
                                        ; implicit-def: $sgpr34_sgpr35
                                        ; implicit-def: $vgpr43
	s_and_saveexec_b64 s[28:29], vcc
	s_cbranch_execz .LBB887_108
; %bb.87:
	v_mov_b32_e32 v14, s70
	v_cmp_eq_u16_e32 vcc, 0, v12
	v_cndmask_b32_e32 v14, v14, v3, vcc
	v_cmp_ne_u16_e32 vcc, 0, v12
	v_add_u32_e32 v2, 12, v46
	v_and_b32_e32 v14, 0xffff, v14
	v_cndmask_b32_e64 v15, 0, 1, vcc
	v_lshl_or_b32 v32, v15, 16, v14
	v_cmp_gt_u32_e32 vcc, s72, v2
	s_mov_b64 s[36:37], 0
	v_mov_b32_e32 v33, 0
	v_mov_b32_e32 v34, 0
	;; [unrolled: 1-line block ×9, first 2 shown]
                                        ; implicit-def: $sgpr34_sgpr35
                                        ; implicit-def: $vgpr43
	s_and_saveexec_b64 s[30:31], vcc
	s_cbranch_execz .LBB887_107
; %bb.88:
	v_mov_b32_e32 v34, 0
	v_lshrrev_b32_e32 v2, 16, v3
	v_mov_b32_e32 v14, s70
	v_cmp_eq_u16_sdwa vcc, v12, v34 src0_sel:WORD_1 src1_sel:DWORD
	v_cndmask_b32_e32 v2, v14, v2, vcc
	v_cmp_ne_u16_sdwa s[34:35], v12, v34 src0_sel:WORD_1 src1_sel:DWORD
	v_add_u32_e32 v3, 13, v46
	v_and_b32_e32 v2, 0xffff, v2
	v_cndmask_b32_e64 v12, 0, 1, s[34:35]
	v_lshl_or_b32 v33, v12, 16, v2
	v_cmp_gt_u32_e32 vcc, s72, v3
	v_mov_b32_e32 v35, 0
	v_mov_b32_e32 v36, 0
	;; [unrolled: 1-line block ×7, first 2 shown]
                                        ; implicit-def: $sgpr38_sgpr39
                                        ; implicit-def: $vgpr43
	s_and_saveexec_b64 s[34:35], vcc
	s_cbranch_execz .LBB887_106
; %bb.89:
	v_mov_b32_e32 v3, s70
	v_cmp_eq_u16_e32 vcc, 0, v13
	v_cndmask_b32_e32 v3, v3, v4, vcc
	v_cmp_ne_u16_e32 vcc, 0, v13
	v_add_u32_e32 v2, 14, v46
	v_and_b32_e32 v3, 0xffff, v3
	v_cndmask_b32_e64 v12, 0, 1, vcc
	v_lshl_or_b32 v34, v12, 16, v3
	v_cmp_gt_u32_e32 vcc, s72, v2
	s_mov_b64 s[40:41], 0
	v_mov_b32_e32 v35, 0
	v_mov_b32_e32 v36, 0
	v_mov_b32_e32 v37, 0
	v_mov_b32_e32 v20, 0
	v_mov_b32_e32 v39, 0
	v_mov_b32_e32 v40, 0
	v_mov_b32_e32 v41, 0
                                        ; implicit-def: $sgpr38_sgpr39
                                        ; implicit-def: $vgpr43
	s_and_saveexec_b64 s[36:37], vcc
	s_cbranch_execz .LBB887_105
; %bb.90:
	v_mov_b32_e32 v36, 0
	v_lshrrev_b32_e32 v2, 16, v4
	v_mov_b32_e32 v4, s70
	v_cmp_eq_u16_sdwa vcc, v13, v36 src0_sel:WORD_1 src1_sel:DWORD
	v_cndmask_b32_e32 v2, v4, v2, vcc
	v_cmp_ne_u16_sdwa s[38:39], v13, v36 src0_sel:WORD_1 src1_sel:DWORD
	v_add_u32_e32 v3, 15, v46
	v_and_b32_e32 v2, 0xffff, v2
	v_cndmask_b32_e64 v4, 0, 1, s[38:39]
	v_lshl_or_b32 v35, v4, 16, v2
	v_cmp_gt_u32_e32 vcc, s72, v3
	v_mov_b32_e32 v37, 0
	v_mov_b32_e32 v20, 0
	;; [unrolled: 1-line block ×5, first 2 shown]
                                        ; implicit-def: $sgpr42_sgpr43
                                        ; implicit-def: $vgpr43
	s_and_saveexec_b64 s[38:39], vcc
	s_cbranch_execz .LBB887_104
; %bb.91:
	v_mov_b32_e32 v3, s70
	v_cmp_eq_u16_e32 vcc, 0, v8
	v_cndmask_b32_e32 v3, v3, v5, vcc
	v_cmp_ne_u16_e32 vcc, 0, v8
	v_add_u32_e32 v2, 16, v46
	v_and_b32_e32 v3, 0xffff, v3
	v_cndmask_b32_e64 v4, 0, 1, vcc
	v_lshl_or_b32 v36, v4, 16, v3
	v_cmp_gt_u32_e32 vcc, s72, v2
	s_mov_b64 s[44:45], 0
	v_mov_b32_e32 v37, 0
	v_mov_b32_e32 v20, 0
	;; [unrolled: 1-line block ×5, first 2 shown]
                                        ; implicit-def: $sgpr42_sgpr43
                                        ; implicit-def: $vgpr43
	s_and_saveexec_b64 s[40:41], vcc
	s_cbranch_execz .LBB887_103
; %bb.92:
	v_mov_b32_e32 v20, 0
	v_lshrrev_b32_e32 v2, 16, v5
	v_mov_b32_e32 v4, s70
	v_cmp_eq_u16_sdwa vcc, v8, v20 src0_sel:WORD_1 src1_sel:DWORD
	v_cndmask_b32_e32 v2, v4, v2, vcc
	v_cmp_ne_u16_sdwa s[42:43], v8, v20 src0_sel:WORD_1 src1_sel:DWORD
	v_add_u32_e32 v3, 17, v46
	v_and_b32_e32 v2, 0xffff, v2
	v_cndmask_b32_e64 v4, 0, 1, s[42:43]
	v_lshl_or_b32 v37, v4, 16, v2
	v_cmp_gt_u32_e32 vcc, s72, v3
	v_mov_b32_e32 v39, 0
	v_mov_b32_e32 v40, 0
	;; [unrolled: 1-line block ×3, first 2 shown]
                                        ; implicit-def: $sgpr46_sgpr47
                                        ; implicit-def: $vgpr43
	s_and_saveexec_b64 s[42:43], vcc
	s_cbranch_execz .LBB887_102
; %bb.93:
	ds_read_b64 v[2:3], v44 offset:34
	v_mov_b32_e32 v5, s70
	v_cmp_eq_u16_e32 vcc, 0, v9
	v_add_u32_e32 v4, 18, v46
	s_mov_b64 s[48:49], 0
	s_waitcnt lgkmcnt(0)
	v_cndmask_b32_e32 v5, v5, v2, vcc
	v_cmp_ne_u16_e32 vcc, 0, v9
	v_and_b32_e32 v5, 0xffff, v5
	v_cndmask_b32_e64 v8, 0, 1, vcc
	v_lshl_or_b32 v20, v8, 16, v5
	v_cmp_gt_u32_e32 vcc, s72, v4
	v_mov_b32_e32 v39, 0
	v_mov_b32_e32 v40, 0
	;; [unrolled: 1-line block ×3, first 2 shown]
                                        ; implicit-def: $sgpr46_sgpr47
                                        ; implicit-def: $vgpr43
	s_and_saveexec_b64 s[44:45], vcc
	s_cbranch_execz .LBB887_101
; %bb.94:
	v_mov_b32_e32 v40, 0
	v_lshrrev_b32_e32 v2, 16, v2
	v_mov_b32_e32 v5, s70
	v_cmp_eq_u16_sdwa vcc, v9, v40 src0_sel:WORD_1 src1_sel:DWORD
	v_cndmask_b32_e32 v2, v5, v2, vcc
	v_cmp_ne_u16_sdwa s[46:47], v9, v40 src0_sel:WORD_1 src1_sel:DWORD
	v_add_u32_e32 v4, 19, v46
	v_and_b32_e32 v2, 0xffff, v2
	v_cndmask_b32_e64 v5, 0, 1, s[46:47]
	v_lshl_or_b32 v39, v5, 16, v2
	v_cmp_gt_u32_e32 vcc, s72, v4
	v_mov_b32_e32 v41, 0
                                        ; implicit-def: $sgpr52_sgpr53
                                        ; implicit-def: $vgpr43
	s_and_saveexec_b64 s[46:47], vcc
	s_cbranch_execz .LBB887_100
; %bb.95:
	v_mov_b32_e32 v4, s70
	v_cmp_eq_u16_e32 vcc, 0, v45
	v_cndmask_b32_e32 v4, v4, v3, vcc
	v_cmp_ne_u16_e32 vcc, 0, v45
	v_add_u32_e32 v2, 20, v46
	v_and_b32_e32 v4, 0xffff, v4
	v_cndmask_b32_e64 v5, 0, 1, vcc
	v_lshl_or_b32 v40, v5, 16, v4
	v_cmp_gt_u32_e32 vcc, s72, v2
	s_mov_b64 s[56:57], 0
	v_mov_b32_e32 v41, 0
                                        ; implicit-def: $sgpr64_sgpr65
                                        ; implicit-def: $vgpr43
	s_and_saveexec_b64 s[48:49], vcc
	s_cbranch_execz .LBB887_99
; %bb.96:
	v_lshrrev_b32_e32 v2, 16, v3
	v_mov_b32_e32 v3, 0
	v_mov_b32_e32 v5, s70
	v_cmp_eq_u16_sdwa vcc, v45, v3 src0_sel:WORD_1 src1_sel:DWORD
	v_cndmask_b32_e32 v2, v5, v2, vcc
	v_cmp_ne_u16_sdwa s[52:53], v45, v3 src0_sel:WORD_1 src1_sel:DWORD
	v_add_u32_e32 v4, 21, v46
	v_and_b32_e32 v2, 0xffff, v2
	v_cndmask_b32_e64 v3, 0, 1, s[52:53]
	v_lshl_or_b32 v41, v3, 16, v2
	v_cmp_gt_u32_e32 vcc, s72, v4
	s_mov_b64 s[52:53], 0
                                        ; implicit-def: $sgpr56_sgpr57
                                        ; implicit-def: $vgpr43
	s_and_saveexec_b64 s[64:65], vcc
	s_xor_b64 s[64:65], exec, s[64:65]
	s_cbranch_execz .LBB887_98
; %bb.97:
	ds_read_u16 v2, v44 offset:42
	v_mov_b32_e32 v3, s70
	v_cmp_ne_u16_e32 vcc, 0, v42
	s_mov_b64 s[52:53], exec
	s_and_b64 s[56:57], vcc, exec
	s_waitcnt lgkmcnt(0)
	v_cndmask_b32_e32 v43, v2, v3, vcc
.LBB887_98:
	s_or_b64 exec, exec, s[64:65]
	s_and_b64 s[64:65], s[56:57], exec
	s_and_b64 s[56:57], s[52:53], exec
.LBB887_99:
	s_or_b64 exec, exec, s[48:49]
	s_and_b64 s[52:53], s[64:65], exec
	s_and_b64 s[48:49], s[56:57], exec
.LBB887_100:
	s_or_b64 exec, exec, s[46:47]
	s_and_b64 s[46:47], s[52:53], exec
	s_and_b64 s[48:49], s[48:49], exec
.LBB887_101:
	s_or_b64 exec, exec, s[44:45]
	s_and_b64 s[46:47], s[46:47], exec
	s_and_b64 s[44:45], s[48:49], exec
.LBB887_102:
	s_or_b64 exec, exec, s[42:43]
	s_and_b64 s[42:43], s[46:47], exec
	s_and_b64 s[44:45], s[44:45], exec
.LBB887_103:
	s_or_b64 exec, exec, s[40:41]
	s_and_b64 s[42:43], s[42:43], exec
	s_and_b64 s[40:41], s[44:45], exec
.LBB887_104:
	s_or_b64 exec, exec, s[38:39]
	s_and_b64 s[38:39], s[42:43], exec
	s_and_b64 s[40:41], s[40:41], exec
.LBB887_105:
	s_or_b64 exec, exec, s[36:37]
	s_and_b64 s[38:39], s[38:39], exec
	s_and_b64 s[36:37], s[40:41], exec
.LBB887_106:
	s_or_b64 exec, exec, s[34:35]
	s_and_b64 s[34:35], s[38:39], exec
	s_and_b64 s[36:37], s[36:37], exec
.LBB887_107:
	s_or_b64 exec, exec, s[30:31]
	s_and_b64 s[34:35], s[34:35], exec
	s_and_b64 s[30:31], s[36:37], exec
.LBB887_108:
	s_or_b64 exec, exec, s[28:29]
	s_and_b64 s[28:29], s[34:35], exec
	s_and_b64 s[30:31], s[30:31], exec
.LBB887_109:
	s_or_b64 exec, exec, s[26:27]
	s_and_b64 s[28:29], s[28:29], exec
	s_and_b64 s[26:27], s[30:31], exec
.LBB887_110:
	s_or_b64 exec, exec, s[24:25]
	s_and_b64 s[24:25], s[28:29], exec
	s_and_b64 s[26:27], s[26:27], exec
.LBB887_111:
	s_or_b64 exec, exec, s[22:23]
	s_and_b64 s[24:25], s[24:25], exec
	s_and_b64 s[22:23], s[26:27], exec
.LBB887_112:
	s_or_b64 exec, exec, s[20:21]
	s_and_b64 s[20:21], s[24:25], exec
	s_and_b64 s[22:23], s[22:23], exec
.LBB887_113:
	s_or_b64 exec, exec, s[18:19]
	s_and_b64 s[20:21], s[20:21], exec
	s_and_b64 s[18:19], s[22:23], exec
.LBB887_114:
	s_or_b64 exec, exec, s[16:17]
	s_and_b64 s[16:17], s[20:21], exec
	s_and_b64 s[18:19], s[18:19], exec
.LBB887_115:
	s_or_b64 exec, exec, s[14:15]
	s_and_b64 s[16:17], s[16:17], exec
	s_and_b64 s[14:15], s[18:19], exec
.LBB887_116:
	s_or_b64 exec, exec, s[12:13]
	s_and_b64 s[12:13], s[16:17], exec
	s_and_b64 s[14:15], s[14:15], exec
.LBB887_117:
	s_or_b64 exec, exec, s[10:11]
	s_and_b64 s[12:13], s[12:13], exec
	s_and_b64 s[10:11], s[14:15], exec
.LBB887_118:
	s_or_b64 exec, exec, s[8:9]
	s_and_b64 s[8:9], s[12:13], exec
	s_and_b64 s[10:11], s[10:11], exec
.LBB887_119:
	s_or_b64 exec, exec, s[6:7]
	s_and_b64 vcc, exec, s[4:5]
	v_lshlrev_b32_e32 v42, 1, v0
	s_cbranch_vccnz .LBB887_121
	s_branch .LBB887_126
.LBB887_120:
	s_mov_b64 s[10:11], 0
                                        ; implicit-def: $sgpr8_sgpr9
                                        ; implicit-def: $vgpr43
                                        ; implicit-def: $vgpr1
                                        ; implicit-def: $vgpr22
                                        ; implicit-def: $vgpr23
                                        ; implicit-def: $vgpr24
                                        ; implicit-def: $vgpr25
                                        ; implicit-def: $vgpr26
                                        ; implicit-def: $vgpr27
                                        ; implicit-def: $vgpr28
                                        ; implicit-def: $vgpr29
                                        ; implicit-def: $vgpr30
                                        ; implicit-def: $vgpr31
                                        ; implicit-def: $vgpr32
                                        ; implicit-def: $vgpr33
                                        ; implicit-def: $vgpr34
                                        ; implicit-def: $vgpr35
                                        ; implicit-def: $vgpr36
                                        ; implicit-def: $vgpr37
                                        ; implicit-def: $vgpr20
                                        ; implicit-def: $vgpr39
                                        ; implicit-def: $vgpr40
                                        ; implicit-def: $vgpr41
                                        ; implicit-def: $sgpr71
	s_and_b64 vcc, exec, s[4:5]
	v_lshlrev_b32_e32 v42, 1, v0
	s_cbranch_vccz .LBB887_126
.LBB887_121:
	v_add_co_u32_e32 v2, vcc, v6, v42
	v_addc_co_u32_e32 v3, vcc, 0, v7, vcc
	v_add_co_u32_e32 v4, vcc, 0x1000, v2
	v_addc_co_u32_e32 v5, vcc, 0, v3, vcc
	flat_load_ushort v1, v[2:3]
	flat_load_ushort v8, v[2:3] offset:512
	flat_load_ushort v9, v[2:3] offset:1024
	;; [unrolled: 1-line block ×7, first 2 shown]
	v_add_co_u32_e32 v2, vcc, 0x2000, v2
	v_addc_co_u32_e32 v3, vcc, 0, v3, vcc
	flat_load_ushort v17, v[4:5]
	flat_load_ushort v18, v[4:5] offset:512
	flat_load_ushort v19, v[4:5] offset:1024
	;; [unrolled: 1-line block ×7, first 2 shown]
	s_nop 0
	flat_load_ushort v4, v[2:3]
	flat_load_ushort v5, v[2:3] offset:512
	flat_load_ushort v26, v[2:3] offset:1024
	;; [unrolled: 1-line block ×5, first 2 shown]
	v_add_co_u32_e32 v2, vcc, 0x2000, v6
	v_addc_co_u32_e32 v3, vcc, 0, v7, vcc
	s_movk_i32 s4, 0xffd6
	s_movk_i32 s7, 0x1000
	;; [unrolled: 1-line block ×3, first 2 shown]
	s_waitcnt vmcnt(0) lgkmcnt(0)
	ds_write_b16 v42, v1
	ds_write_b16 v42, v8 offset:512
	ds_write_b16 v42, v9 offset:1024
	;; [unrolled: 1-line block ×21, first 2 shown]
	s_waitcnt lgkmcnt(0)
	s_barrier
	flat_load_ushort v43, v[2:3] offset:3072
	v_mad_u32_u24 v1, v0, 42, v42
	v_mad_i32_i24 v2, v0, s4, v1
	s_movk_i32 s4, 0xff
	v_cmp_ne_u32_e32 vcc, s4, v0
	ds_read2_b32 v[22:23], v1 offset1:1
	ds_read2_b32 v[18:19], v1 offset0:2 offset1:3
	ds_read2_b32 v[16:17], v1 offset0:4 offset1:5
	;; [unrolled: 1-line block ×4, first 2 shown]
	ds_read_b32 v41, v1 offset:40
	s_waitcnt lgkmcnt(0)
	ds_write_b16 v2, v22 offset:11776
	s_waitcnt lgkmcnt(0)
	s_barrier
	s_and_saveexec_b64 s[4:5], vcc
	s_cbranch_execz .LBB887_123
; %bb.122:
	s_waitcnt vmcnt(0)
	ds_read_u16 v43, v42 offset:11778
.LBB887_123:
	s_or_b64 exec, exec, s[4:5]
	v_add_co_u32_e32 v2, vcc, v21, v42
	v_addc_co_u32_e32 v3, vcc, 0, v38, vcc
	v_add_co_u32_e32 v4, vcc, s7, v2
	v_addc_co_u32_e32 v5, vcc, 0, v3, vcc
	s_waitcnt lgkmcnt(0)
	s_barrier
	flat_load_ushort v6, v[2:3]
	flat_load_ushort v7, v[2:3] offset:512
	flat_load_ushort v8, v[2:3] offset:1024
	flat_load_ushort v9, v[2:3] offset:1536
	flat_load_ushort v20, v[2:3] offset:2048
	flat_load_ushort v21, v[2:3] offset:2560
	flat_load_ushort v24, v[2:3] offset:3072
	flat_load_ushort v25, v[2:3] offset:3584
	v_add_co_u32_e32 v2, vcc, s6, v2
	v_addc_co_u32_e32 v3, vcc, 0, v3, vcc
	flat_load_ushort v26, v[4:5]
	flat_load_ushort v27, v[4:5] offset:512
	flat_load_ushort v28, v[4:5] offset:1024
	;; [unrolled: 1-line block ×7, first 2 shown]
	s_nop 0
	flat_load_ushort v4, v[2:3]
	flat_load_ushort v5, v[2:3] offset:512
	flat_load_ushort v34, v[2:3] offset:1024
	;; [unrolled: 1-line block ×5, first 2 shown]
	v_mov_b32_e32 v44, 0
	v_cmp_eq_u16_sdwa s[6:7], v22, v44 src0_sel:WORD_1 src1_sel:DWORD
	v_mov_b32_e32 v22, 0x10000
	s_waitcnt vmcnt(0) lgkmcnt(0)
	ds_write_b16 v42, v6
	ds_write_b16 v42, v7 offset:512
	ds_write_b16 v42, v8 offset:1024
	;; [unrolled: 1-line block ×21, first 2 shown]
	s_waitcnt lgkmcnt(0)
	s_barrier
	ds_read_b128 v[6:9], v1 offset:2
	ds_read_b128 v[2:5], v1 offset:18
	ds_read_b64 v[20:21], v1 offset:34
	ds_read_u16 v38, v1 offset:42
	v_mov_b32_e32 v24, s70
	s_and_saveexec_b64 s[4:5], s[6:7]
	s_cbranch_execz .LBB887_125
; %bb.124:
	ds_read_u16 v24, v1
	v_mov_b32_e32 v22, 0
.LBB887_125:
	s_or_b64 exec, exec, s[4:5]
	v_mov_b32_e32 v46, s70
	v_cmp_eq_u16_e32 vcc, 0, v23
	s_waitcnt lgkmcnt(3)
	v_lshrrev_b32_e32 v25, 16, v6
	v_cndmask_b32_e32 v6, v46, v6, vcc
	v_cmp_ne_u16_e32 vcc, 0, v23
	s_waitcnt lgkmcnt(0)
	v_or_b32_sdwa v1, v22, v24 dst_sel:DWORD dst_unused:UNUSED_PAD src0_sel:DWORD src1_sel:WORD_0
	v_and_b32_e32 v6, 0xffff, v6
	v_cndmask_b32_e64 v22, 0, 1, vcc
	v_cmp_eq_u16_sdwa vcc, v23, v44 src0_sel:WORD_1 src1_sel:DWORD
	v_lshl_or_b32 v22, v22, 16, v6
	v_cndmask_b32_e32 v6, v46, v25, vcc
	v_cmp_ne_u16_sdwa s[4:5], v23, v44 src0_sel:WORD_1 src1_sel:DWORD
	v_and_b32_e32 v6, 0xffff, v6
	v_cndmask_b32_e64 v23, 0, 1, s[4:5]
	v_cmp_eq_u16_e32 vcc, 0, v18
	v_lshl_or_b32 v23, v23, 16, v6
	v_cndmask_b32_e32 v6, v46, v7, vcc
	v_cmp_ne_u16_e32 vcc, 0, v18
	v_lshrrev_b32_e32 v26, 16, v7
	v_and_b32_e32 v6, 0xffff, v6
	v_cndmask_b32_e64 v7, 0, 1, vcc
	v_cmp_eq_u16_sdwa vcc, v18, v44 src0_sel:WORD_1 src1_sel:DWORD
	v_lshl_or_b32 v24, v7, 16, v6
	v_cndmask_b32_e32 v6, v46, v26, vcc
	v_cmp_ne_u16_sdwa s[4:5], v18, v44 src0_sel:WORD_1 src1_sel:DWORD
	v_and_b32_e32 v6, 0xffff, v6
	v_cndmask_b32_e64 v7, 0, 1, s[4:5]
	v_cmp_eq_u16_e32 vcc, 0, v19
	v_lshl_or_b32 v25, v7, 16, v6
	v_cndmask_b32_e32 v6, v46, v8, vcc
	v_cmp_ne_u16_e32 vcc, 0, v19
	v_lshrrev_b32_e32 v27, 16, v8
	;; [unrolled: 13-line block ×3, first 2 shown]
	v_and_b32_e32 v6, 0xffff, v6
	v_cndmask_b32_e64 v7, 0, 1, vcc
	v_cmp_eq_u16_sdwa vcc, v16, v44 src0_sel:WORD_1 src1_sel:DWORD
	v_lshl_or_b32 v28, v7, 16, v6
	v_cndmask_b32_e32 v6, v46, v29, vcc
	v_cmp_ne_u16_sdwa s[4:5], v16, v44 src0_sel:WORD_1 src1_sel:DWORD
	v_cmp_eq_u16_e32 vcc, 0, v17
	v_lshrrev_b32_e32 v31, 16, v2
	v_and_b32_e32 v6, 0xffff, v6
	v_cndmask_b32_e64 v7, 0, 1, s[4:5]
	v_cndmask_b32_e32 v2, v46, v2, vcc
	v_cmp_ne_u16_e32 vcc, 0, v17
	v_lshl_or_b32 v29, v7, 16, v6
	v_and_b32_e32 v2, 0xffff, v2
	v_cndmask_b32_e64 v6, 0, 1, vcc
	v_cmp_eq_u16_sdwa vcc, v17, v44 src0_sel:WORD_1 src1_sel:DWORD
	v_lshl_or_b32 v30, v6, 16, v2
	v_cndmask_b32_e32 v2, v46, v31, vcc
	v_cmp_ne_u16_sdwa s[4:5], v17, v44 src0_sel:WORD_1 src1_sel:DWORD
	v_and_b32_e32 v2, 0xffff, v2
	v_cndmask_b32_e64 v6, 0, 1, s[4:5]
	v_cmp_eq_u16_e32 vcc, 0, v14
	v_lshl_or_b32 v31, v6, 16, v2
	v_cndmask_b32_e32 v2, v46, v3, vcc
	v_cmp_ne_u16_e32 vcc, 0, v14
	v_lshrrev_b32_e32 v33, 16, v3
	v_and_b32_e32 v2, 0xffff, v2
	v_cndmask_b32_e64 v3, 0, 1, vcc
	v_cmp_eq_u16_sdwa vcc, v14, v44 src0_sel:WORD_1 src1_sel:DWORD
	v_lshl_or_b32 v32, v3, 16, v2
	v_cndmask_b32_e32 v2, v46, v33, vcc
	v_cmp_ne_u16_sdwa s[4:5], v14, v44 src0_sel:WORD_1 src1_sel:DWORD
	v_and_b32_e32 v2, 0xffff, v2
	v_cndmask_b32_e64 v3, 0, 1, s[4:5]
	v_cmp_eq_u16_e32 vcc, 0, v15
	v_lshl_or_b32 v33, v3, 16, v2
	v_cndmask_b32_e32 v2, v46, v4, vcc
	v_cmp_ne_u16_e32 vcc, 0, v15
	v_lshrrev_b32_e32 v35, 16, v4
	;; [unrolled: 13-line block ×5, first 2 shown]
	v_and_b32_e32 v2, 0xffff, v2
	v_cndmask_b32_e64 v3, 0, 1, vcc
	v_cmp_eq_u16_sdwa vcc, v41, v44 src0_sel:WORD_1 src1_sel:DWORD
	v_lshl_or_b32 v40, v3, 16, v2
	v_cndmask_b32_e32 v2, v46, v45, vcc
	v_cmp_ne_u16_sdwa s[4:5], v41, v44 src0_sel:WORD_1 src1_sel:DWORD
	v_and_b32_e32 v2, 0xffff, v2
	v_cndmask_b32_e64 v3, 0, 1, s[4:5]
	v_cmp_ne_u16_e64 s[8:9], 0, v43
	v_lshl_or_b32 v41, v3, 16, v2
	v_cndmask_b32_e64 v43, v38, v46, s[8:9]
	s_mov_b64 s[10:11], -1
                                        ; implicit-def: $sgpr71
.LBB887_126:
	v_mov_b32_e32 v14, s71
	s_and_saveexec_b64 s[4:5], s[10:11]
; %bb.127:
	v_mov_b32_e32 v2, 0x10000
	v_cndmask_b32_e64 v2, 0, v2, s[8:9]
	v_or_b32_sdwa v14, v2, v43 dst_sel:DWORD dst_unused:UNUSED_PAD src0_sel:DWORD src1_sel:WORD_0
; %bb.128:
	s_or_b64 exec, exec, s[4:5]
	v_or3_b32 v2, v14, v41, v40
	s_cmp_lg_u32 s63, 0
	v_or3_b32 v17, v2, v39, v20
	v_lshrrev_b32_e32 v15, 16, v1
	v_lshrrev_b32_e32 v16, 5, v0
	v_cmp_gt_u32_e32 vcc, 64, v0
	s_barrier
	s_cbranch_scc0 .LBB887_209
; %bb.129:
	s_mov_b32 s4, 0x10000
	v_cmp_gt_u32_e64 s[6:7], s4, v22
	v_cndmask_b32_e64 v2, 0, v1, s[6:7]
	v_add_u16_e32 v2, v2, v22
	v_cmp_gt_u32_e64 s[8:9], s4, v23
	v_cndmask_b32_e64 v2, 0, v2, s[8:9]
	v_add_u16_e32 v2, v2, v23
	;; [unrolled: 3-line block ×21, first 2 shown]
	v_or3_b32 v2, v17, v37, v36
	v_or3_b32 v2, v2, v35, v34
	;; [unrolled: 1-line block ×8, first 2 shown]
	v_and_b32_e32 v2, 0x10000, v2
	v_cmp_ne_u32_e64 s[4:5], 0, v2
	v_mov_b32_e32 v5, 0x10000
	v_cndmask_b32_e64 v19, v15, 1, s[4:5]
	v_add_lshl_u32 v2, v16, v0, 2
	ds_write_b16 v2, v18
	ds_write_b8 v2, v19 offset:2
	s_waitcnt lgkmcnt(0)
	s_barrier
	s_and_saveexec_b64 s[48:49], vcc
	s_cbranch_execz .LBB887_143
; %bb.130:
	v_lshlrev_b32_e32 v2, 2, v0
	v_lshrrev_b32_e32 v3, 3, v0
	v_add_lshl_u32 v2, v3, v2, 2
	ds_read_b32 v3, v2
	ds_read_u16 v4, v2 offset:4
	ds_read_u8 v6, v2 offset:6
	ds_read_u16 v7, v2 offset:8
	ds_read_u8 v8, v2 offset:10
	;; [unrolled: 2-line block ×3, first 2 shown]
	v_mov_b32_e32 v13, 0
	s_waitcnt lgkmcnt(4)
	v_cmp_eq_u16_sdwa s[4:5], v6, v13 src0_sel:BYTE_0 src1_sel:DWORD
	v_cndmask_b32_e64 v21, 0, v3, s[4:5]
	v_add_u16_e32 v21, v21, v4
	s_waitcnt lgkmcnt(2)
	v_cmp_eq_u16_sdwa s[4:5], v8, v13 src0_sel:BYTE_0 src1_sel:DWORD
	s_waitcnt lgkmcnt(0)
	v_or_b32_e32 v8, v12, v8
	v_cndmask_b32_e64 v13, 0, v21, s[4:5]
	v_or_b32_e32 v6, v8, v6
	v_add_u16_e32 v7, v13, v7
	v_cmp_eq_u16_e64 s[4:5], 0, v12
	v_and_b32_e32 v6, 1, v6
	v_and_b32_e32 v4, 0x10000, v3
	v_cndmask_b32_e64 v13, 0, v7, s[4:5]
	v_cmp_eq_u32_e64 s[4:5], 1, v6
	v_mbcnt_lo_u32_b32 v6, -1, 0
	v_add_u16_e32 v7, v13, v9
	v_cndmask_b32_e64 v21, v4, v5, s[4:5]
	v_add_u16_e32 v9, v13, v9
	v_and_b32_e32 v5, 0xff000000, v3
	v_mbcnt_hi_u32_b32 v6, -1, v6
	v_or_b32_e32 v12, v21, v5
	v_and_b32_e32 v13, 15, v6
	v_or3_b32 v9, v5, v9, v21
	s_movk_i32 s56, 0xff
	v_lshrrev_b32_e32 v8, 16, v12
	v_mov_b32_dpp v21, v9 row_shr:1 row_mask:0xf bank_mask:0xf
	v_cmp_ne_u32_e64 s[4:5], 0, v13
	s_and_saveexec_b64 s[52:53], s[4:5]
	s_cbranch_execz .LBB887_132
; %bb.131:
	v_and_b32_sdwa v8, v12, s56 dst_sel:DWORD dst_unused:UNUSED_PAD src0_sel:WORD_1 src1_sel:DWORD
	v_cmp_eq_u16_e64 s[4:5], 0, v8
	v_and_b32_e32 v8, 0x10000, v12
	v_mov_b32_e32 v12, 1
	v_cndmask_b32_e64 v9, 0, v21, s[4:5]
	v_and_b32_sdwa v12, v21, v12 dst_sel:DWORD dst_unused:UNUSED_PAD src0_sel:WORD_1 src1_sel:DWORD
	v_cmp_ne_u32_e64 s[4:5], 0, v8
	v_cndmask_b32_e64 v8, v12, 1, s[4:5]
	v_add_u16_e32 v38, v9, v7
	v_lshlrev_b32_e32 v12, 16, v8
	v_add_u16_e32 v7, v9, v7
	v_or3_b32 v9, v12, v7, v5
	v_mov_b32_e32 v7, v38
.LBB887_132:
	s_or_b64 exec, exec, s[52:53]
	v_lshrrev_b32_e32 v12, 16, v9
	v_mov_b32_dpp v21, v9 row_shr:2 row_mask:0xf bank_mask:0xf
	v_cmp_lt_u32_e64 s[4:5], 1, v13
	s_and_saveexec_b64 s[52:53], s[4:5]
	s_cbranch_execz .LBB887_134
; %bb.133:
	v_mov_b32_e32 v8, 0
	v_cmp_eq_u16_sdwa s[4:5], v12, v8 src0_sel:BYTE_0 src1_sel:DWORD
	v_and_b32_e32 v8, 0x10000, v9
	v_mov_b32_e32 v9, 1
	v_cndmask_b32_e64 v12, 0, v21, s[4:5]
	v_and_b32_sdwa v9, v21, v9 dst_sel:DWORD dst_unused:UNUSED_PAD src0_sel:WORD_1 src1_sel:DWORD
	v_cmp_ne_u32_e64 s[4:5], 0, v8
	v_cndmask_b32_e64 v8, v9, 1, s[4:5]
	v_add_u16_e32 v38, v12, v7
	v_lshlrev_b32_e32 v9, 16, v8
	v_add_u16_e32 v7, v12, v7
	v_or3_b32 v9, v9, v7, v5
	v_mov_b32_e32 v12, v8
	v_mov_b32_e32 v7, v38
.LBB887_134:
	s_or_b64 exec, exec, s[52:53]
	v_mov_b32_dpp v21, v9 row_shr:4 row_mask:0xf bank_mask:0xf
	v_cmp_lt_u32_e64 s[4:5], 3, v13
	s_and_saveexec_b64 s[52:53], s[4:5]
	s_cbranch_execz .LBB887_136
; %bb.135:
	v_mov_b32_e32 v8, 0
	v_cmp_eq_u16_sdwa s[4:5], v12, v8 src0_sel:BYTE_0 src1_sel:DWORD
	v_and_b32_e32 v8, 1, v12
	v_mov_b32_e32 v12, 1
	v_cndmask_b32_e64 v9, 0, v21, s[4:5]
	v_and_b32_sdwa v12, v21, v12 dst_sel:DWORD dst_unused:UNUSED_PAD src0_sel:WORD_1 src1_sel:DWORD
	v_cmp_eq_u32_e64 s[4:5], 1, v8
	v_cndmask_b32_e64 v8, v12, 1, s[4:5]
	v_add_u16_e32 v38, v9, v7
	v_lshlrev_b32_e32 v12, 16, v8
	v_add_u16_e32 v7, v9, v7
	v_or3_b32 v9, v12, v7, v5
	v_mov_b32_e32 v12, v8
	v_mov_b32_e32 v7, v38
.LBB887_136:
	s_or_b64 exec, exec, s[52:53]
	v_mov_b32_dpp v21, v9 row_shr:8 row_mask:0xf bank_mask:0xf
	v_cmp_lt_u32_e64 s[4:5], 7, v13
	s_and_saveexec_b64 s[52:53], s[4:5]
	s_cbranch_execz .LBB887_138
; %bb.137:
	v_mov_b32_e32 v8, 0
	v_cmp_eq_u16_sdwa s[4:5], v12, v8 src0_sel:BYTE_0 src1_sel:DWORD
	v_and_b32_e32 v8, 1, v12
	v_mov_b32_e32 v12, 1
	v_cndmask_b32_e64 v9, 0, v21, s[4:5]
	v_and_b32_sdwa v12, v21, v12 dst_sel:DWORD dst_unused:UNUSED_PAD src0_sel:WORD_1 src1_sel:DWORD
	v_cmp_eq_u32_e64 s[4:5], 1, v8
	v_cndmask_b32_e64 v8, v12, 1, s[4:5]
	v_add_u16_e32 v13, v9, v7
	v_lshlrev_b32_e32 v12, 16, v8
	v_add_u16_e32 v7, v9, v7
	v_or3_b32 v9, v12, v7, v5
	v_mov_b32_e32 v12, v8
	v_mov_b32_e32 v7, v13
.LBB887_138:
	s_or_b64 exec, exec, s[52:53]
	v_and_b32_e32 v21, 16, v6
	v_mov_b32_dpp v13, v9 row_bcast:15 row_mask:0xf bank_mask:0xf
	v_cmp_ne_u32_e64 s[4:5], 0, v21
	s_and_saveexec_b64 s[52:53], s[4:5]
	s_cbranch_execz .LBB887_140
; %bb.139:
	v_mov_b32_e32 v8, 0
	v_cmp_eq_u16_sdwa s[4:5], v12, v8 src0_sel:BYTE_0 src1_sel:DWORD
	v_and_b32_e32 v8, 1, v12
	v_mov_b32_e32 v12, 1
	v_cndmask_b32_e64 v9, 0, v13, s[4:5]
	v_and_b32_sdwa v12, v13, v12 dst_sel:DWORD dst_unused:UNUSED_PAD src0_sel:WORD_1 src1_sel:DWORD
	v_cmp_eq_u32_e64 s[4:5], 1, v8
	v_cndmask_b32_e64 v8, v12, 1, s[4:5]
	v_add_u16_e32 v21, v9, v7
	v_lshlrev_b32_e32 v12, 16, v8
	v_add_u16_e32 v7, v9, v7
	v_or3_b32 v9, v12, v7, v5
	v_mov_b32_e32 v12, v8
	v_mov_b32_e32 v7, v21
.LBB887_140:
	s_or_b64 exec, exec, s[52:53]
	v_mov_b32_dpp v9, v9 row_bcast:31 row_mask:0xf bank_mask:0xf
	v_cmp_lt_u32_e64 s[4:5], 31, v6
	s_and_saveexec_b64 s[52:53], s[4:5]
; %bb.141:
	v_mov_b32_e32 v8, 0
	v_cmp_eq_u16_sdwa s[4:5], v12, v8 src0_sel:BYTE_0 src1_sel:DWORD
	v_cndmask_b32_e64 v8, 0, v9, s[4:5]
	v_add_u16_e32 v7, v8, v7
	v_and_b32_e32 v8, 1, v12
	v_mov_b32_e32 v12, 1
	v_and_b32_sdwa v9, v9, v12 dst_sel:DWORD dst_unused:UNUSED_PAD src0_sel:WORD_1 src1_sel:DWORD
	v_cmp_eq_u32_e64 s[4:5], 1, v8
	v_cndmask_b32_e64 v8, v9, 1, s[4:5]
; %bb.142:
	s_or_b64 exec, exec, s[52:53]
	v_and_b32_e32 v8, 0xff, v8
	v_lshlrev_b32_e32 v8, 16, v8
	v_and_b32_e32 v7, 0xffff, v7
	v_or3_b32 v5, v8, v7, v5
	v_add_u32_e32 v7, -1, v6
	v_and_b32_e32 v8, 64, v6
	v_cmp_lt_i32_e64 s[4:5], v7, v8
	v_cndmask_b32_e64 v6, v7, v6, s[4:5]
	v_lshlrev_b32_e32 v6, 2, v6
	ds_bpermute_b32 v5, v6, v5
	v_and_b32_e32 v6, 0xff0000, v3
	v_cmp_eq_u32_e64 s[4:5], 0, v6
	; wave barrier
	s_waitcnt lgkmcnt(0)
	v_cndmask_b32_e64 v6, 0, v5, s[4:5]
	v_add_u16_e32 v3, v6, v3
	v_mov_b32_e32 v6, 1
	v_and_b32_sdwa v5, v5, v6 dst_sel:DWORD dst_unused:UNUSED_PAD src0_sel:WORD_1 src1_sel:DWORD
	v_cmp_eq_u32_e64 s[4:5], 0, v4
	v_cndmask_b32_e64 v4, 1, v5, s[4:5]
	v_cndmask_b32_e64 v3, v3, v18, s[0:1]
	v_cndmask_b32_e64 v4, v4, v19, s[0:1]
	ds_write_b16 v2, v3
	ds_write_b8 v2, v4 offset:2
	; wave barrier
	ds_read_u16 v5, v2 offset:4
	ds_read_u8 v6, v2 offset:6
	ds_read_u16 v7, v2 offset:8
	ds_read_u8 v8, v2 offset:10
	;; [unrolled: 2-line block ×3, first 2 shown]
	s_waitcnt lgkmcnt(4)
	v_cmp_eq_u16_e64 s[4:5], 0, v6
	v_cndmask_b32_e64 v3, 0, v3, s[4:5]
	v_add_u16_e32 v3, v3, v5
	v_and_b32_e32 v5, 1, v6
	v_cmp_eq_u32_e64 s[4:5], 1, v5
	v_cndmask_b32_e64 v4, v4, 1, s[4:5]
	s_waitcnt lgkmcnt(2)
	v_cmp_eq_u16_e64 s[4:5], 0, v8
	v_and_b32_e32 v5, 1, v8
	ds_write_b16 v2, v3 offset:4
	ds_write_b8 v2, v4 offset:6
	v_cndmask_b32_e64 v3, 0, v3, s[4:5]
	v_cmp_eq_u32_e64 s[4:5], 1, v5
	v_add_u16_e32 v3, v3, v7
	v_cndmask_b32_e64 v4, v4, 1, s[4:5]
	s_waitcnt lgkmcnt(2)
	v_cmp_eq_u16_e64 s[4:5], 0, v12
	ds_write_b16 v2, v3 offset:8
	ds_write_b8 v2, v4 offset:10
	v_cndmask_b32_e64 v3, 0, v3, s[4:5]
	v_and_b32_e32 v5, 1, v12
	v_add_u16_e32 v3, v3, v9
	v_cmp_eq_u32_e64 s[4:5], 1, v5
	v_cndmask_b32_e64 v4, v4, 1, s[4:5]
	ds_write_b16 v2, v3 offset:12
	ds_write_b8 v2, v4 offset:14
.LBB887_143:
	s_or_b64 exec, exec, s[48:49]
	s_waitcnt lgkmcnt(0)
	s_barrier
	s_and_saveexec_b64 s[4:5], s[50:51]
	s_cbranch_execz .LBB887_145
; %bb.144:
	v_add_u32_e32 v2, -1, v0
	v_lshrrev_b32_e32 v3, 5, v2
	v_add_lshl_u32 v2, v3, v2, 2
	ds_read_u16 v18, v2
	ds_read_u8 v19, v2 offset:2
.LBB887_145:
	s_or_b64 exec, exec, s[4:5]
	s_and_saveexec_b64 s[4:5], vcc
	s_cbranch_execz .LBB887_188
; %bb.146:
	v_mov_b32_e32 v9, 0
	ds_read_b32 v2, v9 offset:1048
	v_mbcnt_lo_u32_b32 v3, -1, 0
	v_mbcnt_hi_u32_b32 v5, -1, v3
	s_mov_b32 s57, 0
	v_cmp_eq_u32_e64 s[48:49], 0, v5
	s_and_saveexec_b64 s[52:53], s[48:49]
	s_cbranch_execz .LBB887_148
; %bb.147:
	s_add_i32 s56, s63, 64
	s_lshl_b64 s[56:57], s[56:57], 3
	s_add_u32 s56, s60, s56
	v_mov_b32_e32 v3, 1
	s_addc_u32 s57, s61, s57
	s_waitcnt lgkmcnt(0)
	global_store_dwordx2 v9, v[2:3], s[56:57]
.LBB887_148:
	s_or_b64 exec, exec, s[52:53]
	v_xad_u32 v4, v5, -1, s63
	v_add_u32_e32 v8, 64, v4
	v_lshlrev_b64 v[6:7], 3, v[8:9]
	v_mov_b32_e32 v3, s61
	v_add_co_u32_e32 v12, vcc, s60, v6
	v_addc_co_u32_e32 v13, vcc, v3, v7, vcc
	global_load_dwordx2 v[6:7], v[12:13], off glc
	s_waitcnt vmcnt(0)
	v_cmp_eq_u16_sdwa s[56:57], v7, v9 src0_sel:BYTE_0 src1_sel:DWORD
	s_and_saveexec_b64 s[52:53], s[56:57]
	s_cbranch_execz .LBB887_152
; %bb.149:
	s_mov_b64 s[56:57], 0
	v_mov_b32_e32 v3, 0
.LBB887_150:                            ; =>This Inner Loop Header: Depth=1
	global_load_dwordx2 v[6:7], v[12:13], off glc
	s_waitcnt vmcnt(0)
	v_cmp_ne_u16_sdwa s[64:65], v7, v3 src0_sel:BYTE_0 src1_sel:DWORD
	s_or_b64 s[56:57], s[64:65], s[56:57]
	s_andn2_b64 exec, exec, s[56:57]
	s_cbranch_execnz .LBB887_150
; %bb.151:
	s_or_b64 exec, exec, s[56:57]
.LBB887_152:
	s_or_b64 exec, exec, s[52:53]
	v_mov_b32_e32 v3, 2
	v_cmp_eq_u16_sdwa s[52:53], v7, v3 src0_sel:BYTE_0 src1_sel:DWORD
	v_lshlrev_b64 v[8:9], v5, -1
	v_and_b32_e32 v3, s53, v9
	v_or_b32_e32 v3, 0x80000000, v3
	v_ffbl_b32_e32 v3, v3
	v_add_u32_e32 v13, 32, v3
	v_and_b32_e32 v3, 63, v5
	v_cmp_ne_u32_e32 vcc, 63, v3
	v_addc_co_u32_e32 v21, vcc, 0, v5, vcc
	v_and_b32_e32 v52, 0xffffff, v6
	v_lshlrev_b32_e32 v21, 2, v21
	ds_bpermute_b32 v38, v21, v52
	v_and_b32_e32 v12, s52, v8
	v_ffbl_b32_e32 v12, v12
	v_min_u32_e32 v13, v12, v13
	v_lshrrev_b32_e32 v12, 16, v6
	v_cmp_lt_u32_e32 vcc, v3, v13
	v_bfe_u32 v50, v6, 16, 8
	s_and_saveexec_b64 s[52:53], vcc
	s_cbranch_execz .LBB887_154
; %bb.153:
	v_and_b32_e32 v12, 0xff0000, v6
	v_cmp_eq_u32_e32 vcc, 0, v12
	v_and_b32_e32 v12, 0x10000, v12
	v_mov_b32_e32 v45, 1
	s_waitcnt lgkmcnt(0)
	v_cndmask_b32_e32 v43, 0, v38, vcc
	v_and_b32_sdwa v38, v38, v45 dst_sel:DWORD dst_unused:UNUSED_PAD src0_sel:WORD_1 src1_sel:DWORD
	v_cmp_ne_u32_e32 vcc, 0, v12
	v_cndmask_b32_e64 v12, v38, 1, vcc
	v_add_u16_e32 v44, v43, v6
	v_lshlrev_b32_e32 v38, 16, v12
	v_add_u16_e32 v6, v43, v6
	v_or_b32_e32 v52, v38, v6
	v_mov_b32_e32 v6, v44
	v_mov_b32_e32 v50, v12
.LBB887_154:
	s_or_b64 exec, exec, s[52:53]
	v_cmp_gt_u32_e32 vcc, 62, v3
	s_waitcnt lgkmcnt(0)
	v_cndmask_b32_e64 v38, 0, 1, vcc
	v_lshlrev_b32_e32 v38, 1, v38
	v_add_lshl_u32 v38, v38, v5, 2
	ds_bpermute_b32 v44, v38, v52
	v_add_u32_e32 v43, 2, v3
	v_cmp_le_u32_e32 vcc, v43, v13
	s_and_saveexec_b64 s[52:53], vcc
	s_cbranch_execz .LBB887_156
; %bb.155:
	v_cmp_eq_u16_e32 vcc, 0, v50
	v_and_b32_e32 v12, 1, v50
	v_mov_b32_e32 v47, 1
	s_waitcnt lgkmcnt(0)
	v_cndmask_b32_e32 v45, 0, v44, vcc
	v_and_b32_sdwa v44, v44, v47 dst_sel:DWORD dst_unused:UNUSED_PAD src0_sel:WORD_1 src1_sel:DWORD
	v_cmp_eq_u32_e32 vcc, 1, v12
	v_cndmask_b32_e64 v12, v44, 1, vcc
	v_add_u16_e32 v46, v45, v6
	v_lshlrev_b32_e32 v44, 16, v12
	v_add_u16_e32 v6, v45, v6
	v_or_b32_e32 v52, v44, v6
	v_mov_b32_e32 v6, v46
	v_mov_b32_e32 v50, v12
.LBB887_156:
	s_or_b64 exec, exec, s[52:53]
	v_cmp_gt_u32_e32 vcc, 60, v3
	s_waitcnt lgkmcnt(0)
	v_cndmask_b32_e64 v44, 0, 1, vcc
	v_lshlrev_b32_e32 v44, 2, v44
	v_add_lshl_u32 v44, v44, v5, 2
	ds_bpermute_b32 v46, v44, v52
	v_add_u32_e32 v45, 4, v3
	v_cmp_le_u32_e32 vcc, v45, v13
	s_and_saveexec_b64 s[52:53], vcc
	s_cbranch_execz .LBB887_158
; %bb.157:
	v_cmp_eq_u16_e32 vcc, 0, v50
	v_and_b32_e32 v12, 1, v50
	v_mov_b32_e32 v49, 1
	s_waitcnt lgkmcnt(0)
	v_cndmask_b32_e32 v47, 0, v46, vcc
	v_and_b32_sdwa v46, v46, v49 dst_sel:DWORD dst_unused:UNUSED_PAD src0_sel:WORD_1 src1_sel:DWORD
	v_cmp_eq_u32_e32 vcc, 1, v12
	v_cndmask_b32_e64 v12, v46, 1, vcc
	v_add_u16_e32 v48, v47, v6
	v_lshlrev_b32_e32 v46, 16, v12
	v_add_u16_e32 v6, v47, v6
	v_or_b32_e32 v52, v46, v6
	v_mov_b32_e32 v6, v48
	v_mov_b32_e32 v50, v12
.LBB887_158:
	;; [unrolled: 27-line block ×4, first 2 shown]
	s_or_b64 exec, exec, s[52:53]
	v_cmp_gt_u32_e32 vcc, 32, v3
	s_waitcnt lgkmcnt(0)
	v_cndmask_b32_e64 v51, 0, 1, vcc
	v_lshlrev_b32_e32 v51, 5, v51
	v_add_lshl_u32 v51, v51, v5, 2
	ds_bpermute_b32 v5, v51, v52
	v_add_u32_e32 v52, 32, v3
	v_cmp_le_u32_e32 vcc, v52, v13
	s_and_saveexec_b64 s[52:53], vcc
	s_cbranch_execz .LBB887_164
; %bb.163:
	v_cmp_eq_u16_e32 vcc, 0, v50
	s_waitcnt lgkmcnt(0)
	v_cndmask_b32_e32 v12, 0, v5, vcc
	v_add_u16_e32 v6, v12, v6
	v_and_b32_e32 v12, 1, v50
	v_mov_b32_e32 v13, 1
	v_and_b32_sdwa v5, v5, v13 dst_sel:DWORD dst_unused:UNUSED_PAD src0_sel:WORD_1 src1_sel:DWORD
	v_cmp_eq_u32_e32 vcc, 1, v12
	v_cndmask_b32_e64 v12, v5, 1, vcc
.LBB887_164:
	s_or_b64 exec, exec, s[52:53]
	s_waitcnt lgkmcnt(0)
	v_mov_b32_e32 v5, 0
	v_mov_b32_e32 v54, 2
	;; [unrolled: 1-line block ×3, first 2 shown]
	s_branch .LBB887_166
.LBB887_165:                            ;   in Loop: Header=BB887_166 Depth=1
	s_or_b64 exec, exec, s[52:53]
	v_cmp_eq_u16_sdwa vcc, v50, v5 src0_sel:BYTE_0 src1_sel:DWORD
	v_and_b32_e32 v12, 1, v50
	v_cndmask_b32_e32 v6, 0, v6, vcc
	v_and_b32_e32 v13, 1, v13
	v_cmp_eq_u32_e32 vcc, 1, v12
	v_subrev_u32_e32 v4, 64, v4
	v_add_u16_e32 v6, v6, v53
	v_cndmask_b32_e64 v12, v13, 1, vcc
.LBB887_166:                            ; =>This Loop Header: Depth=1
                                        ;     Child Loop BB887_169 Depth 2
	v_cmp_ne_u16_sdwa s[52:53], v7, v54 src0_sel:BYTE_0 src1_sel:DWORD
	v_cndmask_b32_e64 v7, 0, 1, s[52:53]
	;;#ASMSTART
	;;#ASMEND
	v_cmp_ne_u32_e32 vcc, 0, v7
	v_mov_b32_e32 v50, v12
	s_cmp_lg_u64 vcc, exec
	v_mov_b32_e32 v53, v6
	s_cbranch_scc1 .LBB887_183
; %bb.167:                              ;   in Loop: Header=BB887_166 Depth=1
	v_lshlrev_b64 v[6:7], 3, v[4:5]
	v_mov_b32_e32 v13, s61
	v_add_co_u32_e32 v12, vcc, s60, v6
	v_addc_co_u32_e32 v13, vcc, v13, v7, vcc
	global_load_dwordx2 v[6:7], v[12:13], off glc
	s_waitcnt vmcnt(0)
	v_cmp_eq_u16_sdwa s[56:57], v7, v5 src0_sel:BYTE_0 src1_sel:DWORD
	s_and_saveexec_b64 s[52:53], s[56:57]
	s_cbranch_execz .LBB887_171
; %bb.168:                              ;   in Loop: Header=BB887_166 Depth=1
	s_mov_b64 s[56:57], 0
.LBB887_169:                            ;   Parent Loop BB887_166 Depth=1
                                        ; =>  This Inner Loop Header: Depth=2
	global_load_dwordx2 v[6:7], v[12:13], off glc
	s_waitcnt vmcnt(0)
	v_cmp_ne_u16_sdwa s[64:65], v7, v5 src0_sel:BYTE_0 src1_sel:DWORD
	s_or_b64 s[56:57], s[64:65], s[56:57]
	s_andn2_b64 exec, exec, s[56:57]
	s_cbranch_execnz .LBB887_169
; %bb.170:                              ;   in Loop: Header=BB887_166 Depth=1
	s_or_b64 exec, exec, s[56:57]
.LBB887_171:                            ;   in Loop: Header=BB887_166 Depth=1
	s_or_b64 exec, exec, s[52:53]
	v_cmp_eq_u16_sdwa s[52:53], v7, v54 src0_sel:BYTE_0 src1_sel:DWORD
	v_and_b32_e32 v12, s53, v9
	s_waitcnt lgkmcnt(0)
	v_and_b32_e32 v57, 0xffffff, v6
	v_or_b32_e32 v12, 0x80000000, v12
	ds_bpermute_b32 v58, v21, v57
	v_and_b32_e32 v13, s52, v8
	v_ffbl_b32_e32 v12, v12
	v_add_u32_e32 v12, 32, v12
	v_ffbl_b32_e32 v13, v13
	v_min_u32_e32 v12, v13, v12
	v_lshrrev_b32_e32 v13, 16, v6
	v_cmp_lt_u32_e32 vcc, v3, v12
	v_bfe_u32 v56, v6, 16, 8
	s_and_saveexec_b64 s[52:53], vcc
	s_cbranch_execz .LBB887_173
; %bb.172:                              ;   in Loop: Header=BB887_166 Depth=1
	v_and_b32_e32 v13, 0xff0000, v6
	v_cmp_eq_u32_e32 vcc, 0, v13
	v_and_b32_e32 v13, 0x10000, v13
	s_waitcnt lgkmcnt(0)
	v_cndmask_b32_e32 v56, 0, v58, vcc
	v_and_b32_sdwa v57, v58, v55 dst_sel:DWORD dst_unused:UNUSED_PAD src0_sel:WORD_1 src1_sel:DWORD
	v_cmp_ne_u32_e32 vcc, 0, v13
	v_cndmask_b32_e64 v13, v57, 1, vcc
	v_add_u16_e32 v59, v56, v6
	v_lshlrev_b32_e32 v57, 16, v13
	v_add_u16_e32 v6, v56, v6
	v_or_b32_e32 v57, v57, v6
	v_mov_b32_e32 v6, v59
	v_mov_b32_e32 v56, v13
.LBB887_173:                            ;   in Loop: Header=BB887_166 Depth=1
	s_or_b64 exec, exec, s[52:53]
	s_waitcnt lgkmcnt(0)
	ds_bpermute_b32 v58, v38, v57
	v_cmp_le_u32_e32 vcc, v43, v12
	s_and_saveexec_b64 s[52:53], vcc
	s_cbranch_execz .LBB887_175
; %bb.174:                              ;   in Loop: Header=BB887_166 Depth=1
	v_cmp_eq_u16_e32 vcc, 0, v56
	v_and_b32_e32 v13, 1, v56
	s_waitcnt lgkmcnt(0)
	v_cndmask_b32_e32 v57, 0, v58, vcc
	v_and_b32_sdwa v56, v58, v55 dst_sel:DWORD dst_unused:UNUSED_PAD src0_sel:WORD_1 src1_sel:DWORD
	v_cmp_eq_u32_e32 vcc, 1, v13
	v_cndmask_b32_e64 v13, v56, 1, vcc
	v_add_u16_e32 v59, v57, v6
	v_lshlrev_b32_e32 v56, 16, v13
	v_add_u16_e32 v6, v57, v6
	v_or_b32_e32 v57, v56, v6
	v_mov_b32_e32 v6, v59
	v_mov_b32_e32 v56, v13
.LBB887_175:                            ;   in Loop: Header=BB887_166 Depth=1
	s_or_b64 exec, exec, s[52:53]
	s_waitcnt lgkmcnt(0)
	ds_bpermute_b32 v58, v44, v57
	v_cmp_le_u32_e32 vcc, v45, v12
	s_and_saveexec_b64 s[52:53], vcc
	s_cbranch_execz .LBB887_177
; %bb.176:                              ;   in Loop: Header=BB887_166 Depth=1
	v_cmp_eq_u16_e32 vcc, 0, v56
	v_and_b32_e32 v13, 1, v56
	s_waitcnt lgkmcnt(0)
	v_cndmask_b32_e32 v57, 0, v58, vcc
	v_and_b32_sdwa v56, v58, v55 dst_sel:DWORD dst_unused:UNUSED_PAD src0_sel:WORD_1 src1_sel:DWORD
	v_cmp_eq_u32_e32 vcc, 1, v13
	v_cndmask_b32_e64 v13, v56, 1, vcc
	v_add_u16_e32 v59, v57, v6
	v_lshlrev_b32_e32 v56, 16, v13
	v_add_u16_e32 v6, v57, v6
	v_or_b32_e32 v57, v56, v6
	v_mov_b32_e32 v6, v59
	v_mov_b32_e32 v56, v13
.LBB887_177:                            ;   in Loop: Header=BB887_166 Depth=1
	;; [unrolled: 21-line block ×4, first 2 shown]
	s_or_b64 exec, exec, s[52:53]
	ds_bpermute_b32 v57, v51, v57
	v_cmp_le_u32_e32 vcc, v52, v12
	s_and_saveexec_b64 s[52:53], vcc
	s_cbranch_execz .LBB887_165
; %bb.182:                              ;   in Loop: Header=BB887_166 Depth=1
	v_cmp_eq_u16_e32 vcc, 0, v56
	s_waitcnt lgkmcnt(0)
	v_cndmask_b32_e32 v12, 0, v57, vcc
	v_add_u16_e32 v6, v12, v6
	v_and_b32_e32 v12, 1, v56
	v_lshrrev_b32_e32 v13, 16, v57
	v_cmp_eq_u32_e32 vcc, 1, v12
	v_cndmask_b32_e64 v13, v13, 1, vcc
	s_branch .LBB887_165
.LBB887_183:                            ;   in Loop: Header=BB887_166 Depth=1
                                        ; implicit-def: $vgpr12
                                        ; implicit-def: $vgpr6
	s_cbranch_execz .LBB887_166
; %bb.184:
	s_and_saveexec_b64 s[52:53], s[48:49]
	s_cbranch_execz .LBB887_186
; %bb.185:
	v_and_b32_e32 v3, 0xff0000, v2
	s_mov_b32 s49, 0
	v_cmp_eq_u32_e32 vcc, 0, v3
	v_and_b32_e32 v4, 0x10000, v2
	v_mov_b32_e32 v5, 1
	s_add_i32 s48, s63, 64
	v_cndmask_b32_e32 v3, 0, v53, vcc
	v_and_b32_sdwa v5, v50, v5 dst_sel:WORD_1 dst_unused:UNUSED_PAD src0_sel:DWORD src1_sel:DWORD
	v_mov_b32_e32 v6, 0x10000
	v_cmp_eq_u32_e32 vcc, 0, v4
	s_lshl_b64 s[48:49], s[48:49], 3
	v_cndmask_b32_e32 v4, v6, v5, vcc
	s_add_u32 s48, s60, s48
	v_add_u16_e32 v2, v3, v2
	s_addc_u32 s49, s61, s49
	v_mov_b32_e32 v5, 0
	v_or_b32_e32 v2, v4, v2
	v_mov_b32_e32 v3, 2
	global_store_dwordx2 v5, v[2:3], s[48:49]
.LBB887_186:
	s_or_b64 exec, exec, s[52:53]
	s_and_b64 exec, exec, s[0:1]
	s_cbranch_execz .LBB887_188
; %bb.187:
	v_mov_b32_e32 v2, 0
	ds_write_b16 v2, v53
	ds_write_b8 v2, v50 offset:2
.LBB887_188:
	s_or_b64 exec, exec, s[4:5]
	v_mov_b32_e32 v2, 0
	s_waitcnt lgkmcnt(0)
	s_barrier
	ds_read_b32 v3, v2
	v_cmp_eq_u16_sdwa vcc, v19, v2 src0_sel:BYTE_0 src1_sel:DWORD
	s_waitcnt lgkmcnt(0)
	v_cndmask_b32_e32 v2, 0, v3, vcc
	v_add_u16_e32 v2, v2, v18
	v_cndmask_b32_e64 v4, v2, v3, s[0:1]
	v_and_b32_e32 v2, 0xff0000, v1
	v_cmp_eq_u32_e32 vcc, 0, v2
	v_cndmask_b32_e32 v2, 0, v4, vcc
	v_add_u16_e32 v5, v2, v1
	v_cndmask_b32_e64 v2, 0, v5, s[6:7]
	v_add_u16_e32 v6, v2, v22
	v_cndmask_b32_e64 v2, 0, v6, s[8:9]
	;; [unrolled: 2-line block ×20, first 2 shown]
	v_add_u16_e32 v52, v2, v41
	s_branch .LBB887_231
.LBB887_189:
	s_or_b64 exec, exec, s[4:5]
                                        ; implicit-def: $vgpr32
	s_and_saveexec_b64 s[4:5], s[6:7]
	s_cbranch_execz .LBB887_53
.LBB887_190:
	v_add_co_u32_e32 v32, vcc, v21, v25
	v_addc_co_u32_e32 v33, vcc, 0, v38, vcc
	flat_load_ushort v32, v[32:33] offset:512
	s_or_b64 exec, exec, s[4:5]
                                        ; implicit-def: $vgpr33
	s_and_saveexec_b64 s[4:5], s[8:9]
	s_cbranch_execnz .LBB887_54
.LBB887_191:
	s_or_b64 exec, exec, s[4:5]
                                        ; implicit-def: $vgpr34
	s_and_saveexec_b64 s[4:5], s[10:11]
	s_cbranch_execz .LBB887_55
.LBB887_192:
	v_add_co_u32_e32 v34, vcc, v21, v25
	v_addc_co_u32_e32 v35, vcc, 0, v38, vcc
	flat_load_ushort v34, v[34:35] offset:1536
	s_or_b64 exec, exec, s[4:5]
                                        ; implicit-def: $vgpr35
	s_and_saveexec_b64 s[4:5], s[12:13]
	s_cbranch_execnz .LBB887_56
.LBB887_193:
	s_or_b64 exec, exec, s[4:5]
                                        ; implicit-def: $vgpr36
	s_and_saveexec_b64 s[4:5], s[14:15]
	s_cbranch_execz .LBB887_57
.LBB887_194:
	v_add_co_u32_e32 v36, vcc, v21, v25
	v_addc_co_u32_e32 v37, vcc, 0, v38, vcc
	flat_load_ushort v36, v[36:37] offset:2560
	s_or_b64 exec, exec, s[4:5]
                                        ; implicit-def: $vgpr37
	s_and_saveexec_b64 s[4:5], s[16:17]
	s_cbranch_execnz .LBB887_58
.LBB887_195:
	s_or_b64 exec, exec, s[4:5]
                                        ; implicit-def: $vgpr39
	s_and_saveexec_b64 s[4:5], s[18:19]
	s_cbranch_execz .LBB887_59
.LBB887_196:
	v_add_co_u32_e32 v40, vcc, v21, v25
	v_addc_co_u32_e32 v41, vcc, 0, v38, vcc
	flat_load_ushort v39, v[40:41] offset:3584
	s_or_b64 exec, exec, s[4:5]
                                        ; implicit-def: $vgpr40
	s_and_saveexec_b64 s[4:5], s[20:21]
	s_cbranch_execnz .LBB887_60
.LBB887_197:
	s_or_b64 exec, exec, s[4:5]
                                        ; implicit-def: $vgpr1
	s_and_saveexec_b64 s[4:5], s[22:23]
	s_cbranch_execz .LBB887_61
.LBB887_198:
	v_add_co_u32_e32 v46, vcc, v21, v2
	v_addc_co_u32_e32 v47, vcc, 0, v38, vcc
	flat_load_ushort v1, v[46:47]
	s_or_b64 exec, exec, s[4:5]
                                        ; implicit-def: $vgpr2
	s_and_saveexec_b64 s[4:5], s[24:25]
	s_cbranch_execnz .LBB887_62
.LBB887_199:
	s_or_b64 exec, exec, s[4:5]
                                        ; implicit-def: $vgpr3
	s_and_saveexec_b64 s[4:5], s[26:27]
	s_cbranch_execz .LBB887_63
.LBB887_200:
	v_add_co_u32_e32 v46, vcc, v21, v4
	v_addc_co_u32_e32 v47, vcc, 0, v38, vcc
	flat_load_ushort v3, v[46:47]
	s_or_b64 exec, exec, s[4:5]
                                        ; implicit-def: $vgpr4
	s_and_saveexec_b64 s[4:5], s[28:29]
	s_cbranch_execnz .LBB887_64
.LBB887_201:
	s_or_b64 exec, exec, s[4:5]
                                        ; implicit-def: $vgpr5
	s_and_saveexec_b64 s[4:5], s[30:31]
	s_cbranch_execz .LBB887_65
.LBB887_202:
	v_add_co_u32_e32 v46, vcc, v21, v20
	v_addc_co_u32_e32 v47, vcc, 0, v38, vcc
	flat_load_ushort v5, v[46:47]
	s_or_b64 exec, exec, s[4:5]
                                        ; implicit-def: $vgpr20
	s_and_saveexec_b64 s[4:5], s[34:35]
	s_cbranch_execnz .LBB887_66
.LBB887_203:
	s_or_b64 exec, exec, s[4:5]
                                        ; implicit-def: $vgpr22
	s_and_saveexec_b64 s[4:5], s[36:37]
	s_cbranch_execz .LBB887_67
.LBB887_204:
	v_add_co_u32_e32 v22, vcc, v21, v23
	v_addc_co_u32_e32 v23, vcc, 0, v38, vcc
	flat_load_ushort v22, v[22:23]
	s_or_b64 exec, exec, s[4:5]
                                        ; implicit-def: $vgpr23
	s_and_saveexec_b64 s[4:5], s[38:39]
	s_cbranch_execnz .LBB887_68
.LBB887_205:
	s_or_b64 exec, exec, s[4:5]
                                        ; implicit-def: $vgpr24
	s_and_saveexec_b64 s[4:5], s[40:41]
	s_cbranch_execz .LBB887_69
.LBB887_206:
	v_add_co_u32_e32 v46, vcc, v21, v26
	v_addc_co_u32_e32 v47, vcc, 0, v38, vcc
	flat_load_ushort v24, v[46:47]
	s_or_b64 exec, exec, s[4:5]
                                        ; implicit-def: $vgpr26
	s_and_saveexec_b64 s[4:5], s[42:43]
	s_cbranch_execnz .LBB887_70
.LBB887_207:
	s_or_b64 exec, exec, s[4:5]
                                        ; implicit-def: $vgpr27
	s_and_saveexec_b64 s[4:5], s[44:45]
	s_cbranch_execz .LBB887_71
.LBB887_208:
	v_add_co_u32_e32 v46, vcc, v21, v28
	v_addc_co_u32_e32 v47, vcc, 0, v38, vcc
	flat_load_ushort v27, v[46:47]
	s_or_b64 exec, exec, s[4:5]
                                        ; implicit-def: $vgpr28
	s_and_saveexec_b64 s[4:5], s[46:47]
	s_cbranch_execz .LBB887_73
	s_branch .LBB887_72
.LBB887_209:
                                        ; implicit-def: $vgpr4
                                        ; implicit-def: $vgpr5
                                        ; implicit-def: $vgpr6
                                        ; implicit-def: $vgpr7
                                        ; implicit-def: $vgpr8
                                        ; implicit-def: $vgpr9
                                        ; implicit-def: $vgpr12
                                        ; implicit-def: $vgpr13
                                        ; implicit-def: $vgpr18
                                        ; implicit-def: $vgpr19
                                        ; implicit-def: $vgpr21
                                        ; implicit-def: $vgpr38
                                        ; implicit-def: $vgpr43
                                        ; implicit-def: $vgpr44
                                        ; implicit-def: $vgpr45
                                        ; implicit-def: $vgpr46
                                        ; implicit-def: $vgpr47
                                        ; implicit-def: $vgpr48
                                        ; implicit-def: $vgpr49
                                        ; implicit-def: $vgpr50
                                        ; implicit-def: $vgpr51
                                        ; implicit-def: $vgpr52
	s_cbranch_execz .LBB887_231
; %bb.210:
	s_cmp_lg_u64 s[68:69], 0
	s_cselect_b32 s5, s67, 0
	s_cselect_b32 s4, s66, 0
	s_cmp_eq_u64 s[4:5], 0
	v_mov_b32_e32 v2, s70
	s_cbranch_scc1 .LBB887_212
; %bb.211:
	v_mov_b32_e32 v2, 0
	global_load_ushort v2, v2, s[4:5]
.LBB887_212:
	s_mov_b32 s4, 0x10000
	v_cmp_gt_u32_e32 vcc, s4, v22
	v_cndmask_b32_e32 v3, 0, v1, vcc
	v_add_u16_e32 v3, v3, v22
	v_cmp_gt_u32_e64 s[6:7], s4, v23
	v_cndmask_b32_e64 v3, 0, v3, s[6:7]
	v_add_u16_e32 v3, v3, v23
	v_cmp_gt_u32_e64 s[8:9], s4, v24
	v_cndmask_b32_e64 v3, 0, v3, s[8:9]
	;; [unrolled: 3-line block ×20, first 2 shown]
	v_add_u16_e32 v4, v3, v14
	v_or3_b32 v3, v17, v37, v36
	v_or3_b32 v3, v3, v35, v34
	;; [unrolled: 1-line block ×8, first 2 shown]
	v_and_b32_e32 v3, 0x10000, v3
	v_cmp_ne_u32_e64 s[4:5], 0, v3
	v_mov_b32_e32 v8, 0x10000
	v_cndmask_b32_e64 v5, v15, 1, s[4:5]
	v_add_lshl_u32 v3, v16, v0, 2
	v_cmp_gt_u32_e64 s[4:5], 64, v0
	ds_write_b16 v3, v4
	ds_write_b8 v3, v5 offset:2
	s_waitcnt lgkmcnt(0)
	s_barrier
	s_and_saveexec_b64 s[46:47], s[4:5]
	s_cbranch_execz .LBB887_226
; %bb.213:
	v_lshlrev_b32_e32 v3, 2, v0
	v_lshrrev_b32_e32 v6, 3, v0
	v_add_lshl_u32 v3, v6, v3, 2
	ds_read_b32 v6, v3
	ds_read_u16 v7, v3 offset:4
	ds_read_u8 v9, v3 offset:6
	ds_read_u16 v12, v3 offset:8
	ds_read_u8 v13, v3 offset:10
	;; [unrolled: 2-line block ×3, first 2 shown]
	v_mov_b32_e32 v16, 0
	s_waitcnt lgkmcnt(4)
	v_cmp_eq_u16_sdwa s[4:5], v9, v16 src0_sel:BYTE_0 src1_sel:DWORD
	v_cndmask_b32_e64 v17, 0, v6, s[4:5]
	v_add_u16_e32 v17, v17, v7
	s_waitcnt lgkmcnt(2)
	v_cmp_eq_u16_sdwa s[4:5], v13, v16 src0_sel:BYTE_0 src1_sel:DWORD
	s_waitcnt lgkmcnt(0)
	v_or_b32_e32 v13, v15, v13
	v_cndmask_b32_e64 v16, 0, v17, s[4:5]
	v_or_b32_e32 v9, v13, v9
	v_add_u16_e32 v12, v16, v12
	v_cmp_eq_u16_e64 s[4:5], 0, v15
	v_and_b32_e32 v9, 1, v9
	v_and_b32_e32 v7, 0x10000, v6
	v_cndmask_b32_e64 v16, 0, v12, s[4:5]
	v_cmp_eq_u32_e64 s[4:5], 1, v9
	v_mbcnt_lo_u32_b32 v9, -1, 0
	v_add_u16_e32 v12, v16, v14
	v_cndmask_b32_e64 v17, v7, v8, s[4:5]
	v_add_u16_e32 v14, v16, v14
	v_and_b32_e32 v8, 0xff000000, v6
	v_mbcnt_hi_u32_b32 v9, -1, v9
	v_or_b32_e32 v15, v17, v8
	v_and_b32_e32 v16, 15, v9
	v_or3_b32 v14, v8, v14, v17
	s_movk_i32 s52, 0xff
	v_lshrrev_b32_e32 v13, 16, v15
	v_mov_b32_dpp v17, v14 row_shr:1 row_mask:0xf bank_mask:0xf
	v_cmp_ne_u32_e64 s[4:5], 0, v16
	s_and_saveexec_b64 s[48:49], s[4:5]
	s_cbranch_execz .LBB887_215
; %bb.214:
	v_and_b32_sdwa v13, v15, s52 dst_sel:DWORD dst_unused:UNUSED_PAD src0_sel:WORD_1 src1_sel:DWORD
	v_cmp_eq_u16_e64 s[4:5], 0, v13
	v_and_b32_e32 v13, 0x10000, v15
	v_mov_b32_e32 v15, 1
	v_cndmask_b32_e64 v14, 0, v17, s[4:5]
	v_and_b32_sdwa v15, v17, v15 dst_sel:DWORD dst_unused:UNUSED_PAD src0_sel:WORD_1 src1_sel:DWORD
	v_cmp_ne_u32_e64 s[4:5], 0, v13
	v_cndmask_b32_e64 v13, v15, 1, s[4:5]
	v_add_u16_e32 v18, v14, v12
	v_lshlrev_b32_e32 v15, 16, v13
	v_add_u16_e32 v12, v14, v12
	v_or3_b32 v14, v15, v12, v8
	v_mov_b32_e32 v12, v18
.LBB887_215:
	s_or_b64 exec, exec, s[48:49]
	v_lshrrev_b32_e32 v15, 16, v14
	v_mov_b32_dpp v17, v14 row_shr:2 row_mask:0xf bank_mask:0xf
	v_cmp_lt_u32_e64 s[4:5], 1, v16
	s_and_saveexec_b64 s[48:49], s[4:5]
	s_cbranch_execz .LBB887_217
; %bb.216:
	v_mov_b32_e32 v13, 0
	v_cmp_eq_u16_sdwa s[4:5], v15, v13 src0_sel:BYTE_0 src1_sel:DWORD
	v_and_b32_e32 v13, 0x10000, v14
	v_mov_b32_e32 v14, 1
	v_cndmask_b32_e64 v15, 0, v17, s[4:5]
	v_and_b32_sdwa v14, v17, v14 dst_sel:DWORD dst_unused:UNUSED_PAD src0_sel:WORD_1 src1_sel:DWORD
	v_cmp_ne_u32_e64 s[4:5], 0, v13
	v_cndmask_b32_e64 v13, v14, 1, s[4:5]
	v_add_u16_e32 v18, v15, v12
	v_lshlrev_b32_e32 v14, 16, v13
	v_add_u16_e32 v12, v15, v12
	v_or3_b32 v14, v14, v12, v8
	v_mov_b32_e32 v15, v13
	v_mov_b32_e32 v12, v18
.LBB887_217:
	s_or_b64 exec, exec, s[48:49]
	v_mov_b32_dpp v17, v14 row_shr:4 row_mask:0xf bank_mask:0xf
	v_cmp_lt_u32_e64 s[4:5], 3, v16
	s_and_saveexec_b64 s[48:49], s[4:5]
	s_cbranch_execz .LBB887_219
; %bb.218:
	v_mov_b32_e32 v13, 0
	v_cmp_eq_u16_sdwa s[4:5], v15, v13 src0_sel:BYTE_0 src1_sel:DWORD
	v_and_b32_e32 v13, 1, v15
	v_mov_b32_e32 v15, 1
	v_cndmask_b32_e64 v14, 0, v17, s[4:5]
	v_and_b32_sdwa v15, v17, v15 dst_sel:DWORD dst_unused:UNUSED_PAD src0_sel:WORD_1 src1_sel:DWORD
	v_cmp_eq_u32_e64 s[4:5], 1, v13
	v_cndmask_b32_e64 v13, v15, 1, s[4:5]
	v_add_u16_e32 v18, v14, v12
	v_lshlrev_b32_e32 v15, 16, v13
	v_add_u16_e32 v12, v14, v12
	v_or3_b32 v14, v15, v12, v8
	v_mov_b32_e32 v15, v13
	v_mov_b32_e32 v12, v18
.LBB887_219:
	s_or_b64 exec, exec, s[48:49]
	v_mov_b32_dpp v17, v14 row_shr:8 row_mask:0xf bank_mask:0xf
	v_cmp_lt_u32_e64 s[4:5], 7, v16
	s_and_saveexec_b64 s[48:49], s[4:5]
	s_cbranch_execz .LBB887_221
; %bb.220:
	v_mov_b32_e32 v13, 0
	v_cmp_eq_u16_sdwa s[4:5], v15, v13 src0_sel:BYTE_0 src1_sel:DWORD
	v_and_b32_e32 v13, 1, v15
	v_mov_b32_e32 v15, 1
	v_cndmask_b32_e64 v14, 0, v17, s[4:5]
	v_and_b32_sdwa v15, v17, v15 dst_sel:DWORD dst_unused:UNUSED_PAD src0_sel:WORD_1 src1_sel:DWORD
	v_cmp_eq_u32_e64 s[4:5], 1, v13
	v_cndmask_b32_e64 v13, v15, 1, s[4:5]
	v_add_u16_e32 v16, v14, v12
	v_lshlrev_b32_e32 v15, 16, v13
	v_add_u16_e32 v12, v14, v12
	v_or3_b32 v14, v15, v12, v8
	v_mov_b32_e32 v15, v13
	v_mov_b32_e32 v12, v16
.LBB887_221:
	s_or_b64 exec, exec, s[48:49]
	v_and_b32_e32 v17, 16, v9
	v_mov_b32_dpp v16, v14 row_bcast:15 row_mask:0xf bank_mask:0xf
	v_cmp_ne_u32_e64 s[4:5], 0, v17
	s_and_saveexec_b64 s[48:49], s[4:5]
	s_cbranch_execz .LBB887_223
; %bb.222:
	v_mov_b32_e32 v13, 0
	v_cmp_eq_u16_sdwa s[4:5], v15, v13 src0_sel:BYTE_0 src1_sel:DWORD
	v_and_b32_e32 v13, 1, v15
	v_mov_b32_e32 v15, 1
	v_cndmask_b32_e64 v14, 0, v16, s[4:5]
	v_and_b32_sdwa v15, v16, v15 dst_sel:DWORD dst_unused:UNUSED_PAD src0_sel:WORD_1 src1_sel:DWORD
	v_cmp_eq_u32_e64 s[4:5], 1, v13
	v_cndmask_b32_e64 v13, v15, 1, s[4:5]
	v_add_u16_e32 v17, v14, v12
	v_lshlrev_b32_e32 v15, 16, v13
	v_add_u16_e32 v12, v14, v12
	v_or3_b32 v14, v15, v12, v8
	v_mov_b32_e32 v15, v13
	v_mov_b32_e32 v12, v17
.LBB887_223:
	s_or_b64 exec, exec, s[48:49]
	v_mov_b32_dpp v14, v14 row_bcast:31 row_mask:0xf bank_mask:0xf
	v_cmp_lt_u32_e64 s[4:5], 31, v9
	s_and_saveexec_b64 s[48:49], s[4:5]
; %bb.224:
	v_mov_b32_e32 v13, 0
	v_cmp_eq_u16_sdwa s[4:5], v15, v13 src0_sel:BYTE_0 src1_sel:DWORD
	v_cndmask_b32_e64 v13, 0, v14, s[4:5]
	v_add_u16_e32 v12, v13, v12
	v_and_b32_e32 v13, 1, v15
	v_mov_b32_e32 v15, 1
	v_and_b32_sdwa v14, v14, v15 dst_sel:DWORD dst_unused:UNUSED_PAD src0_sel:WORD_1 src1_sel:DWORD
	v_cmp_eq_u32_e64 s[4:5], 1, v13
	v_cndmask_b32_e64 v13, v14, 1, s[4:5]
; %bb.225:
	s_or_b64 exec, exec, s[48:49]
	v_and_b32_e32 v13, 0xff, v13
	v_lshlrev_b32_e32 v13, 16, v13
	v_and_b32_e32 v12, 0xffff, v12
	v_or3_b32 v8, v13, v12, v8
	v_add_u32_e32 v12, -1, v9
	v_and_b32_e32 v13, 64, v9
	v_cmp_lt_i32_e64 s[4:5], v12, v13
	v_cndmask_b32_e64 v9, v12, v9, s[4:5]
	v_lshlrev_b32_e32 v9, 2, v9
	ds_bpermute_b32 v8, v9, v8
	v_and_b32_e32 v9, 0xff0000, v6
	v_cmp_eq_u32_e64 s[4:5], 0, v9
	; wave barrier
	s_waitcnt lgkmcnt(0)
	v_cndmask_b32_e64 v9, 0, v8, s[4:5]
	v_add_u16_e32 v6, v9, v6
	v_mov_b32_e32 v9, 1
	v_and_b32_sdwa v8, v8, v9 dst_sel:DWORD dst_unused:UNUSED_PAD src0_sel:WORD_1 src1_sel:DWORD
	v_cmp_eq_u32_e64 s[4:5], 0, v7
	v_cndmask_b32_e64 v7, 1, v8, s[4:5]
	v_cndmask_b32_e64 v4, v6, v4, s[0:1]
	;; [unrolled: 1-line block ×3, first 2 shown]
	ds_write_b16 v3, v4
	ds_write_b8 v3, v5 offset:2
	; wave barrier
	ds_read_u16 v6, v3 offset:4
	ds_read_u8 v7, v3 offset:6
	ds_read_u16 v8, v3 offset:8
	ds_read_u8 v9, v3 offset:10
	;; [unrolled: 2-line block ×3, first 2 shown]
	s_waitcnt lgkmcnt(4)
	v_cmp_eq_u16_e64 s[4:5], 0, v7
	v_cndmask_b32_e64 v4, 0, v4, s[4:5]
	v_add_u16_e32 v4, v4, v6
	v_and_b32_e32 v6, 1, v7
	v_cmp_eq_u32_e64 s[4:5], 1, v6
	v_cndmask_b32_e64 v5, v5, 1, s[4:5]
	s_waitcnt lgkmcnt(2)
	v_cmp_eq_u16_e64 s[4:5], 0, v9
	v_and_b32_e32 v6, 1, v9
	ds_write_b16 v3, v4 offset:4
	ds_write_b8 v3, v5 offset:6
	v_cndmask_b32_e64 v4, 0, v4, s[4:5]
	v_cmp_eq_u32_e64 s[4:5], 1, v6
	v_add_u16_e32 v4, v4, v8
	v_cndmask_b32_e64 v5, v5, 1, s[4:5]
	s_waitcnt lgkmcnt(2)
	v_cmp_eq_u16_e64 s[4:5], 0, v13
	ds_write_b16 v3, v4 offset:8
	ds_write_b8 v3, v5 offset:10
	v_cndmask_b32_e64 v4, 0, v4, s[4:5]
	v_and_b32_e32 v6, 1, v13
	v_add_u16_e32 v4, v4, v12
	v_cmp_eq_u32_e64 s[4:5], 1, v6
	v_cndmask_b32_e64 v5, v5, 1, s[4:5]
	ds_write_b16 v3, v4 offset:12
	ds_write_b8 v3, v5 offset:14
.LBB887_226:
	s_or_b64 exec, exec, s[46:47]
	s_waitcnt vmcnt(0)
	v_mov_b32_e32 v4, v2
	s_waitcnt lgkmcnt(0)
	s_barrier
	s_and_saveexec_b64 s[46:47], s[50:51]
	s_cbranch_execz .LBB887_228
; %bb.227:
	v_add_u32_e32 v3, -1, v0
	v_lshrrev_b32_e32 v4, 5, v3
	v_add_lshl_u32 v3, v4, v3, 2
	ds_read_u8 v4, v3 offset:2
	ds_read_u16 v3, v3
	s_waitcnt lgkmcnt(1)
	v_cmp_eq_u16_e64 s[4:5], 0, v4
	v_cndmask_b32_e64 v4, 0, v2, s[4:5]
	s_waitcnt lgkmcnt(0)
	v_add_u16_e32 v4, v4, v3
.LBB887_228:
	s_or_b64 exec, exec, s[46:47]
	v_and_b32_e32 v3, 0xff0000, v1
	v_cmp_eq_u32_e64 s[4:5], 0, v3
	v_cndmask_b32_e64 v3, 0, v4, s[4:5]
	v_add_u16_e32 v5, v3, v1
	v_cndmask_b32_e32 v1, 0, v5, vcc
	v_add_u16_e32 v6, v1, v22
	v_cndmask_b32_e64 v1, 0, v6, s[6:7]
	v_add_u16_e32 v7, v1, v23
	v_cndmask_b32_e64 v1, 0, v7, s[8:9]
	v_add_u16_e32 v8, v1, v24
	v_cndmask_b32_e64 v1, 0, v8, s[10:11]
	v_add_u16_e32 v9, v1, v25
	v_cndmask_b32_e64 v1, 0, v9, s[12:13]
	v_add_u16_e32 v12, v1, v26
	v_cndmask_b32_e64 v1, 0, v12, s[14:15]
	v_add_u16_e32 v13, v1, v27
	v_cndmask_b32_e64 v1, 0, v13, s[16:17]
	v_add_u16_e32 v18, v1, v28
	v_cndmask_b32_e64 v1, 0, v18, s[18:19]
	v_add_u16_e32 v19, v1, v29
	v_cndmask_b32_e64 v1, 0, v19, s[20:21]
	v_add_u16_e32 v21, v1, v30
	v_cndmask_b32_e64 v1, 0, v21, s[22:23]
	v_add_u16_e32 v38, v1, v31
	v_cndmask_b32_e64 v1, 0, v38, s[24:25]
	v_add_u16_e32 v43, v1, v32
	v_cndmask_b32_e64 v1, 0, v43, s[26:27]
	v_add_u16_e32 v44, v1, v33
	v_cndmask_b32_e64 v1, 0, v44, s[28:29]
	v_add_u16_e32 v45, v1, v34
	v_cndmask_b32_e64 v1, 0, v45, s[30:31]
	v_add_u16_e32 v46, v1, v35
	v_cndmask_b32_e64 v1, 0, v46, s[34:35]
	v_add_u16_e32 v47, v1, v36
	v_cndmask_b32_e64 v1, 0, v47, s[36:37]
	v_add_u16_e32 v48, v1, v37
	v_cndmask_b32_e64 v1, 0, v48, s[38:39]
	v_add_u16_e32 v49, v1, v20
	v_cndmask_b32_e64 v1, 0, v49, s[40:41]
	v_add_u16_e32 v50, v1, v39
	v_cndmask_b32_e64 v1, 0, v50, s[42:43]
	v_add_u16_e32 v51, v1, v40
	v_cndmask_b32_e64 v1, 0, v51, s[44:45]
	s_and_saveexec_b64 s[4:5], s[0:1]
	s_cbranch_execz .LBB887_230
; %bb.229:
	v_mov_b32_e32 v14, 0
	ds_read_u8 v3, v14 offset:1050
	ds_read_u16 v15, v14 offset:1048
	s_waitcnt lgkmcnt(1)
	v_cmp_eq_u32_e32 vcc, 0, v3
	v_cndmask_b32_e32 v2, 0, v2, vcc
	v_lshlrev_b32_e32 v16, 16, v3
	s_waitcnt lgkmcnt(0)
	v_add_u32_e32 v2, v2, v15
	v_or_b32_sdwa v2, v16, v2 dst_sel:DWORD dst_unused:UNUSED_PAD src0_sel:DWORD src1_sel:WORD_0
	v_mov_b32_e32 v3, 2
	global_store_dwordx2 v14, v[2:3], s[60:61] offset:512
.LBB887_230:
	s_or_b64 exec, exec, s[4:5]
	v_add_u16_e32 v52, v1, v41
.LBB887_231:
	s_add_u32 s0, s58, s54
	s_addc_u32 s1, s59, s55
	v_mov_b32_e32 v1, s1
	v_add_co_u32_e32 v10, vcc, s0, v10
	v_addc_co_u32_e32 v11, vcc, v1, v11, vcc
	v_mul_u32_u24_e32 v1, 22, v0
	s_and_b64 vcc, exec, s[2:3]
	v_lshlrev_b32_e32 v14, 1, v1
	s_cbranch_vccz .LBB887_275
; %bb.232:
	s_mov_b32 s0, 0x5040100
	v_perm_b32 v1, v7, v6, s0
	v_perm_b32 v2, v5, v4, s0
	s_barrier
	ds_write2_b32 v14, v2, v1 offset1:1
	v_perm_b32 v1, v13, v12, s0
	v_perm_b32 v2, v9, v8, s0
	ds_write2_b32 v14, v2, v1 offset0:2 offset1:3
	v_perm_b32 v1, v38, v21, s0
	v_perm_b32 v2, v19, v18, s0
	ds_write2_b32 v14, v2, v1 offset0:4 offset1:5
	;; [unrolled: 3-line block ×4, first 2 shown]
	v_perm_b32 v1, v52, v51, s0
	s_movk_i32 s0, 0xffd6
	v_mad_i32_i24 v2, v0, s0, v14
	ds_write_b32 v14, v1 offset:40
	s_waitcnt lgkmcnt(0)
	s_barrier
	ds_read_u16 v39, v2 offset:512
	ds_read_u16 v37, v2 offset:1024
	;; [unrolled: 1-line block ×21, first 2 shown]
	v_add_co_u32_e32 v2, vcc, v10, v42
	s_add_i32 s33, s33, s62
	v_addc_co_u32_e32 v3, vcc, 0, v11, vcc
	v_mov_b32_e32 v1, 0
	v_cmp_gt_u32_e32 vcc, s33, v0
	s_and_saveexec_b64 s[0:1], vcc
	s_cbranch_execz .LBB887_234
; %bb.233:
	v_mul_i32_i24_e32 v40, 0xffffffd6, v0
	v_add_u32_e32 v40, v14, v40
	ds_read_u16 v40, v40
	s_waitcnt lgkmcnt(0)
	flat_store_short v[2:3], v40
.LBB887_234:
	s_or_b64 exec, exec, s[0:1]
	v_or_b32_e32 v40, 0x100, v0
	v_cmp_gt_u32_e32 vcc, s33, v40
	s_and_saveexec_b64 s[0:1], vcc
	s_cbranch_execz .LBB887_236
; %bb.235:
	s_waitcnt lgkmcnt(0)
	flat_store_short v[2:3], v39 offset:512
.LBB887_236:
	s_or_b64 exec, exec, s[0:1]
	s_waitcnt lgkmcnt(0)
	v_or_b32_e32 v39, 0x200, v0
	v_cmp_gt_u32_e32 vcc, s33, v39
	s_and_saveexec_b64 s[0:1], vcc
	s_cbranch_execz .LBB887_238
; %bb.237:
	flat_store_short v[2:3], v37 offset:1024
.LBB887_238:
	s_or_b64 exec, exec, s[0:1]
	v_or_b32_e32 v37, 0x300, v0
	v_cmp_gt_u32_e32 vcc, s33, v37
	s_and_saveexec_b64 s[0:1], vcc
	s_cbranch_execz .LBB887_240
; %bb.239:
	flat_store_short v[2:3], v36 offset:1536
.LBB887_240:
	s_or_b64 exec, exec, s[0:1]
	;; [unrolled: 8-line block ×6, first 2 shown]
	v_or_b32_e32 v32, 0x800, v0
	v_cmp_gt_u32_e32 vcc, s33, v32
	s_and_saveexec_b64 s[0:1], vcc
	s_cbranch_execz .LBB887_250
; %bb.249:
	v_add_co_u32_e32 v32, vcc, 0x1000, v2
	v_addc_co_u32_e32 v33, vcc, 0, v3, vcc
	flat_store_short v[32:33], v31
.LBB887_250:
	s_or_b64 exec, exec, s[0:1]
	v_or_b32_e32 v31, 0x900, v0
	v_cmp_gt_u32_e32 vcc, s33, v31
	s_and_saveexec_b64 s[0:1], vcc
	s_cbranch_execz .LBB887_252
; %bb.251:
	v_add_co_u32_e32 v32, vcc, 0x1000, v2
	v_addc_co_u32_e32 v33, vcc, 0, v3, vcc
	flat_store_short v[32:33], v30 offset:512
.LBB887_252:
	s_or_b64 exec, exec, s[0:1]
	v_or_b32_e32 v30, 0xa00, v0
	v_cmp_gt_u32_e32 vcc, s33, v30
	s_and_saveexec_b64 s[0:1], vcc
	s_cbranch_execz .LBB887_254
; %bb.253:
	v_add_co_u32_e32 v30, vcc, 0x1000, v2
	v_addc_co_u32_e32 v31, vcc, 0, v3, vcc
	flat_store_short v[30:31], v29 offset:1024
.LBB887_254:
	;; [unrolled: 10-line block ×7, first 2 shown]
	s_or_b64 exec, exec, s[0:1]
	v_or_b32_e32 v24, 0x1000, v0
	v_cmp_gt_u32_e32 vcc, s33, v24
	s_and_saveexec_b64 s[0:1], vcc
	s_cbranch_execz .LBB887_266
; %bb.265:
	v_add_co_u32_e32 v24, vcc, 0x2000, v2
	v_addc_co_u32_e32 v25, vcc, 0, v3, vcc
	flat_store_short v[24:25], v23
.LBB887_266:
	s_or_b64 exec, exec, s[0:1]
	v_or_b32_e32 v23, 0x1100, v0
	v_cmp_gt_u32_e32 vcc, s33, v23
	s_and_saveexec_b64 s[0:1], vcc
	s_cbranch_execz .LBB887_268
; %bb.267:
	v_add_co_u32_e32 v24, vcc, 0x2000, v2
	v_addc_co_u32_e32 v25, vcc, 0, v3, vcc
	flat_store_short v[24:25], v22 offset:512
.LBB887_268:
	s_or_b64 exec, exec, s[0:1]
	v_or_b32_e32 v22, 0x1200, v0
	v_cmp_gt_u32_e32 vcc, s33, v22
	s_and_saveexec_b64 s[0:1], vcc
	s_cbranch_execz .LBB887_270
; %bb.269:
	v_add_co_u32_e32 v22, vcc, 0x2000, v2
	v_addc_co_u32_e32 v23, vcc, 0, v3, vcc
	flat_store_short v[22:23], v20 offset:1024
.LBB887_270:
	;; [unrolled: 10-line block ×4, first 2 shown]
	s_or_b64 exec, exec, s[0:1]
	v_or_b32_e32 v2, 0x1500, v0
	v_cmp_gt_u32_e64 s[0:1], s33, v2
	s_branch .LBB887_277
.LBB887_275:
	s_mov_b64 s[0:1], 0
                                        ; implicit-def: $vgpr15
	s_cbranch_execz .LBB887_277
; %bb.276:
	s_mov_b32 s2, 0x5040100
	v_perm_b32 v1, v7, v6, s2
	v_perm_b32 v2, v5, v4, s2
	s_waitcnt lgkmcnt(0)
	s_barrier
	ds_write2_b32 v14, v2, v1 offset1:1
	v_perm_b32 v1, v13, v12, s2
	v_perm_b32 v2, v9, v8, s2
	ds_write2_b32 v14, v2, v1 offset0:2 offset1:3
	v_perm_b32 v1, v38, v21, s2
	v_perm_b32 v2, v19, v18, s2
	ds_write2_b32 v14, v2, v1 offset0:4 offset1:5
	;; [unrolled: 3-line block ×4, first 2 shown]
	v_perm_b32 v1, v52, v51, s2
	s_movk_i32 s2, 0xffd6
	v_mad_i32_i24 v2, v0, s2, v14
	ds_write_b32 v14, v1 offset:40
	s_waitcnt lgkmcnt(0)
	s_barrier
	ds_read_u16 v4, v2
	ds_read_u16 v5, v2 offset:512
	ds_read_u16 v6, v2 offset:1024
	;; [unrolled: 1-line block ×21, first 2 shown]
	v_add_co_u32_e32 v2, vcc, v10, v42
	v_addc_co_u32_e32 v3, vcc, 0, v11, vcc
	s_movk_i32 s2, 0x1000
	s_waitcnt lgkmcnt(0)
	flat_store_short v[2:3], v4
	flat_store_short v[2:3], v5 offset:512
	flat_store_short v[2:3], v6 offset:1024
	;; [unrolled: 1-line block ×7, first 2 shown]
	v_add_co_u32_e32 v4, vcc, s2, v2
	v_addc_co_u32_e32 v5, vcc, 0, v3, vcc
	v_add_co_u32_e32 v2, vcc, 0x2000, v2
	v_mov_b32_e32 v1, 0
	v_addc_co_u32_e32 v3, vcc, 0, v3, vcc
	s_or_b64 s[0:1], s[0:1], exec
	flat_store_short v[4:5], v14
	flat_store_short v[4:5], v16 offset:512
	flat_store_short v[4:5], v17 offset:1024
	;; [unrolled: 1-line block ×7, first 2 shown]
	flat_store_short v[2:3], v23
	flat_store_short v[2:3], v24 offset:512
	flat_store_short v[2:3], v25 offset:1024
	;; [unrolled: 1-line block ×4, first 2 shown]
.LBB887_277:
	s_and_saveexec_b64 s[2:3], s[0:1]
	s_cbranch_execz .LBB887_279
; %bb.278:
	v_lshlrev_b64 v[0:1], 1, v[0:1]
	v_add_co_u32_e32 v0, vcc, v10, v0
	v_addc_co_u32_e32 v1, vcc, v11, v1, vcc
	v_add_co_u32_e32 v0, vcc, 0x2000, v0
	v_addc_co_u32_e32 v1, vcc, 0, v1, vcc
	flat_store_short v[0:1], v15 offset:2560
	s_endpgm
.LBB887_279:
	s_endpgm
	.section	.rodata,"a",@progbits
	.p2align	6, 0x0
	.amdhsa_kernel _ZN7rocprim17ROCPRIM_400000_NS6detail17trampoline_kernelINS0_14default_configENS1_27scan_by_key_config_selectorIssEEZZNS1_16scan_by_key_implILNS1_25lookback_scan_determinismE0ELb1ES3_N6thrust23THRUST_200600_302600_NS6detail15normal_iteratorINS9_10device_ptrIsEEEESE_SE_sNS9_4plusIsEE19head_flag_predicatesEE10hipError_tPvRmT2_T3_T4_T5_mT6_T7_P12ihipStream_tbENKUlT_T0_E_clISt17integral_constantIbLb0EESX_IbLb1EEEEDaST_SU_EUlST_E_NS1_11comp_targetILNS1_3genE4ELNS1_11target_archE910ELNS1_3gpuE8ELNS1_3repE0EEENS1_30default_config_static_selectorELNS0_4arch9wavefront6targetE1EEEvT1_
		.amdhsa_group_segment_fixed_size 12288
		.amdhsa_private_segment_fixed_size 0
		.amdhsa_kernarg_size 112
		.amdhsa_user_sgpr_count 6
		.amdhsa_user_sgpr_private_segment_buffer 1
		.amdhsa_user_sgpr_dispatch_ptr 0
		.amdhsa_user_sgpr_queue_ptr 0
		.amdhsa_user_sgpr_kernarg_segment_ptr 1
		.amdhsa_user_sgpr_dispatch_id 0
		.amdhsa_user_sgpr_flat_scratch_init 0
		.amdhsa_user_sgpr_kernarg_preload_length 0
		.amdhsa_user_sgpr_kernarg_preload_offset 0
		.amdhsa_user_sgpr_private_segment_size 0
		.amdhsa_uses_dynamic_stack 0
		.amdhsa_system_sgpr_private_segment_wavefront_offset 0
		.amdhsa_system_sgpr_workgroup_id_x 1
		.amdhsa_system_sgpr_workgroup_id_y 0
		.amdhsa_system_sgpr_workgroup_id_z 0
		.amdhsa_system_sgpr_workgroup_info 0
		.amdhsa_system_vgpr_workitem_id 0
		.amdhsa_next_free_vgpr 60
		.amdhsa_next_free_sgpr 73
		.amdhsa_accum_offset 60
		.amdhsa_reserve_vcc 1
		.amdhsa_reserve_flat_scratch 0
		.amdhsa_float_round_mode_32 0
		.amdhsa_float_round_mode_16_64 0
		.amdhsa_float_denorm_mode_32 3
		.amdhsa_float_denorm_mode_16_64 3
		.amdhsa_dx10_clamp 1
		.amdhsa_ieee_mode 1
		.amdhsa_fp16_overflow 0
		.amdhsa_tg_split 0
		.amdhsa_exception_fp_ieee_invalid_op 0
		.amdhsa_exception_fp_denorm_src 0
		.amdhsa_exception_fp_ieee_div_zero 0
		.amdhsa_exception_fp_ieee_overflow 0
		.amdhsa_exception_fp_ieee_underflow 0
		.amdhsa_exception_fp_ieee_inexact 0
		.amdhsa_exception_int_div_zero 0
	.end_amdhsa_kernel
	.section	.text._ZN7rocprim17ROCPRIM_400000_NS6detail17trampoline_kernelINS0_14default_configENS1_27scan_by_key_config_selectorIssEEZZNS1_16scan_by_key_implILNS1_25lookback_scan_determinismE0ELb1ES3_N6thrust23THRUST_200600_302600_NS6detail15normal_iteratorINS9_10device_ptrIsEEEESE_SE_sNS9_4plusIsEE19head_flag_predicatesEE10hipError_tPvRmT2_T3_T4_T5_mT6_T7_P12ihipStream_tbENKUlT_T0_E_clISt17integral_constantIbLb0EESX_IbLb1EEEEDaST_SU_EUlST_E_NS1_11comp_targetILNS1_3genE4ELNS1_11target_archE910ELNS1_3gpuE8ELNS1_3repE0EEENS1_30default_config_static_selectorELNS0_4arch9wavefront6targetE1EEEvT1_,"axG",@progbits,_ZN7rocprim17ROCPRIM_400000_NS6detail17trampoline_kernelINS0_14default_configENS1_27scan_by_key_config_selectorIssEEZZNS1_16scan_by_key_implILNS1_25lookback_scan_determinismE0ELb1ES3_N6thrust23THRUST_200600_302600_NS6detail15normal_iteratorINS9_10device_ptrIsEEEESE_SE_sNS9_4plusIsEE19head_flag_predicatesEE10hipError_tPvRmT2_T3_T4_T5_mT6_T7_P12ihipStream_tbENKUlT_T0_E_clISt17integral_constantIbLb0EESX_IbLb1EEEEDaST_SU_EUlST_E_NS1_11comp_targetILNS1_3genE4ELNS1_11target_archE910ELNS1_3gpuE8ELNS1_3repE0EEENS1_30default_config_static_selectorELNS0_4arch9wavefront6targetE1EEEvT1_,comdat
.Lfunc_end887:
	.size	_ZN7rocprim17ROCPRIM_400000_NS6detail17trampoline_kernelINS0_14default_configENS1_27scan_by_key_config_selectorIssEEZZNS1_16scan_by_key_implILNS1_25lookback_scan_determinismE0ELb1ES3_N6thrust23THRUST_200600_302600_NS6detail15normal_iteratorINS9_10device_ptrIsEEEESE_SE_sNS9_4plusIsEE19head_flag_predicatesEE10hipError_tPvRmT2_T3_T4_T5_mT6_T7_P12ihipStream_tbENKUlT_T0_E_clISt17integral_constantIbLb0EESX_IbLb1EEEEDaST_SU_EUlST_E_NS1_11comp_targetILNS1_3genE4ELNS1_11target_archE910ELNS1_3gpuE8ELNS1_3repE0EEENS1_30default_config_static_selectorELNS0_4arch9wavefront6targetE1EEEvT1_, .Lfunc_end887-_ZN7rocprim17ROCPRIM_400000_NS6detail17trampoline_kernelINS0_14default_configENS1_27scan_by_key_config_selectorIssEEZZNS1_16scan_by_key_implILNS1_25lookback_scan_determinismE0ELb1ES3_N6thrust23THRUST_200600_302600_NS6detail15normal_iteratorINS9_10device_ptrIsEEEESE_SE_sNS9_4plusIsEE19head_flag_predicatesEE10hipError_tPvRmT2_T3_T4_T5_mT6_T7_P12ihipStream_tbENKUlT_T0_E_clISt17integral_constantIbLb0EESX_IbLb1EEEEDaST_SU_EUlST_E_NS1_11comp_targetILNS1_3genE4ELNS1_11target_archE910ELNS1_3gpuE8ELNS1_3repE0EEENS1_30default_config_static_selectorELNS0_4arch9wavefront6targetE1EEEvT1_
                                        ; -- End function
	.section	.AMDGPU.csdata,"",@progbits
; Kernel info:
; codeLenInByte = 15936
; NumSgprs: 77
; NumVgprs: 60
; NumAgprs: 0
; TotalNumVgprs: 60
; ScratchSize: 0
; MemoryBound: 0
; FloatMode: 240
; IeeeMode: 1
; LDSByteSize: 12288 bytes/workgroup (compile time only)
; SGPRBlocks: 9
; VGPRBlocks: 7
; NumSGPRsForWavesPerEU: 77
; NumVGPRsForWavesPerEU: 60
; AccumOffset: 60
; Occupancy: 5
; WaveLimiterHint : 1
; COMPUTE_PGM_RSRC2:SCRATCH_EN: 0
; COMPUTE_PGM_RSRC2:USER_SGPR: 6
; COMPUTE_PGM_RSRC2:TRAP_HANDLER: 0
; COMPUTE_PGM_RSRC2:TGID_X_EN: 1
; COMPUTE_PGM_RSRC2:TGID_Y_EN: 0
; COMPUTE_PGM_RSRC2:TGID_Z_EN: 0
; COMPUTE_PGM_RSRC2:TIDIG_COMP_CNT: 0
; COMPUTE_PGM_RSRC3_GFX90A:ACCUM_OFFSET: 14
; COMPUTE_PGM_RSRC3_GFX90A:TG_SPLIT: 0
	.section	.text._ZN7rocprim17ROCPRIM_400000_NS6detail17trampoline_kernelINS0_14default_configENS1_27scan_by_key_config_selectorIssEEZZNS1_16scan_by_key_implILNS1_25lookback_scan_determinismE0ELb1ES3_N6thrust23THRUST_200600_302600_NS6detail15normal_iteratorINS9_10device_ptrIsEEEESE_SE_sNS9_4plusIsEE19head_flag_predicatesEE10hipError_tPvRmT2_T3_T4_T5_mT6_T7_P12ihipStream_tbENKUlT_T0_E_clISt17integral_constantIbLb0EESX_IbLb1EEEEDaST_SU_EUlST_E_NS1_11comp_targetILNS1_3genE3ELNS1_11target_archE908ELNS1_3gpuE7ELNS1_3repE0EEENS1_30default_config_static_selectorELNS0_4arch9wavefront6targetE1EEEvT1_,"axG",@progbits,_ZN7rocprim17ROCPRIM_400000_NS6detail17trampoline_kernelINS0_14default_configENS1_27scan_by_key_config_selectorIssEEZZNS1_16scan_by_key_implILNS1_25lookback_scan_determinismE0ELb1ES3_N6thrust23THRUST_200600_302600_NS6detail15normal_iteratorINS9_10device_ptrIsEEEESE_SE_sNS9_4plusIsEE19head_flag_predicatesEE10hipError_tPvRmT2_T3_T4_T5_mT6_T7_P12ihipStream_tbENKUlT_T0_E_clISt17integral_constantIbLb0EESX_IbLb1EEEEDaST_SU_EUlST_E_NS1_11comp_targetILNS1_3genE3ELNS1_11target_archE908ELNS1_3gpuE7ELNS1_3repE0EEENS1_30default_config_static_selectorELNS0_4arch9wavefront6targetE1EEEvT1_,comdat
	.protected	_ZN7rocprim17ROCPRIM_400000_NS6detail17trampoline_kernelINS0_14default_configENS1_27scan_by_key_config_selectorIssEEZZNS1_16scan_by_key_implILNS1_25lookback_scan_determinismE0ELb1ES3_N6thrust23THRUST_200600_302600_NS6detail15normal_iteratorINS9_10device_ptrIsEEEESE_SE_sNS9_4plusIsEE19head_flag_predicatesEE10hipError_tPvRmT2_T3_T4_T5_mT6_T7_P12ihipStream_tbENKUlT_T0_E_clISt17integral_constantIbLb0EESX_IbLb1EEEEDaST_SU_EUlST_E_NS1_11comp_targetILNS1_3genE3ELNS1_11target_archE908ELNS1_3gpuE7ELNS1_3repE0EEENS1_30default_config_static_selectorELNS0_4arch9wavefront6targetE1EEEvT1_ ; -- Begin function _ZN7rocprim17ROCPRIM_400000_NS6detail17trampoline_kernelINS0_14default_configENS1_27scan_by_key_config_selectorIssEEZZNS1_16scan_by_key_implILNS1_25lookback_scan_determinismE0ELb1ES3_N6thrust23THRUST_200600_302600_NS6detail15normal_iteratorINS9_10device_ptrIsEEEESE_SE_sNS9_4plusIsEE19head_flag_predicatesEE10hipError_tPvRmT2_T3_T4_T5_mT6_T7_P12ihipStream_tbENKUlT_T0_E_clISt17integral_constantIbLb0EESX_IbLb1EEEEDaST_SU_EUlST_E_NS1_11comp_targetILNS1_3genE3ELNS1_11target_archE908ELNS1_3gpuE7ELNS1_3repE0EEENS1_30default_config_static_selectorELNS0_4arch9wavefront6targetE1EEEvT1_
	.globl	_ZN7rocprim17ROCPRIM_400000_NS6detail17trampoline_kernelINS0_14default_configENS1_27scan_by_key_config_selectorIssEEZZNS1_16scan_by_key_implILNS1_25lookback_scan_determinismE0ELb1ES3_N6thrust23THRUST_200600_302600_NS6detail15normal_iteratorINS9_10device_ptrIsEEEESE_SE_sNS9_4plusIsEE19head_flag_predicatesEE10hipError_tPvRmT2_T3_T4_T5_mT6_T7_P12ihipStream_tbENKUlT_T0_E_clISt17integral_constantIbLb0EESX_IbLb1EEEEDaST_SU_EUlST_E_NS1_11comp_targetILNS1_3genE3ELNS1_11target_archE908ELNS1_3gpuE7ELNS1_3repE0EEENS1_30default_config_static_selectorELNS0_4arch9wavefront6targetE1EEEvT1_
	.p2align	8
	.type	_ZN7rocprim17ROCPRIM_400000_NS6detail17trampoline_kernelINS0_14default_configENS1_27scan_by_key_config_selectorIssEEZZNS1_16scan_by_key_implILNS1_25lookback_scan_determinismE0ELb1ES3_N6thrust23THRUST_200600_302600_NS6detail15normal_iteratorINS9_10device_ptrIsEEEESE_SE_sNS9_4plusIsEE19head_flag_predicatesEE10hipError_tPvRmT2_T3_T4_T5_mT6_T7_P12ihipStream_tbENKUlT_T0_E_clISt17integral_constantIbLb0EESX_IbLb1EEEEDaST_SU_EUlST_E_NS1_11comp_targetILNS1_3genE3ELNS1_11target_archE908ELNS1_3gpuE7ELNS1_3repE0EEENS1_30default_config_static_selectorELNS0_4arch9wavefront6targetE1EEEvT1_,@function
_ZN7rocprim17ROCPRIM_400000_NS6detail17trampoline_kernelINS0_14default_configENS1_27scan_by_key_config_selectorIssEEZZNS1_16scan_by_key_implILNS1_25lookback_scan_determinismE0ELb1ES3_N6thrust23THRUST_200600_302600_NS6detail15normal_iteratorINS9_10device_ptrIsEEEESE_SE_sNS9_4plusIsEE19head_flag_predicatesEE10hipError_tPvRmT2_T3_T4_T5_mT6_T7_P12ihipStream_tbENKUlT_T0_E_clISt17integral_constantIbLb0EESX_IbLb1EEEEDaST_SU_EUlST_E_NS1_11comp_targetILNS1_3genE3ELNS1_11target_archE908ELNS1_3gpuE7ELNS1_3repE0EEENS1_30default_config_static_selectorELNS0_4arch9wavefront6targetE1EEEvT1_: ; @_ZN7rocprim17ROCPRIM_400000_NS6detail17trampoline_kernelINS0_14default_configENS1_27scan_by_key_config_selectorIssEEZZNS1_16scan_by_key_implILNS1_25lookback_scan_determinismE0ELb1ES3_N6thrust23THRUST_200600_302600_NS6detail15normal_iteratorINS9_10device_ptrIsEEEESE_SE_sNS9_4plusIsEE19head_flag_predicatesEE10hipError_tPvRmT2_T3_T4_T5_mT6_T7_P12ihipStream_tbENKUlT_T0_E_clISt17integral_constantIbLb0EESX_IbLb1EEEEDaST_SU_EUlST_E_NS1_11comp_targetILNS1_3genE3ELNS1_11target_archE908ELNS1_3gpuE7ELNS1_3repE0EEENS1_30default_config_static_selectorELNS0_4arch9wavefront6targetE1EEEvT1_
; %bb.0:
	.section	.rodata,"a",@progbits
	.p2align	6, 0x0
	.amdhsa_kernel _ZN7rocprim17ROCPRIM_400000_NS6detail17trampoline_kernelINS0_14default_configENS1_27scan_by_key_config_selectorIssEEZZNS1_16scan_by_key_implILNS1_25lookback_scan_determinismE0ELb1ES3_N6thrust23THRUST_200600_302600_NS6detail15normal_iteratorINS9_10device_ptrIsEEEESE_SE_sNS9_4plusIsEE19head_flag_predicatesEE10hipError_tPvRmT2_T3_T4_T5_mT6_T7_P12ihipStream_tbENKUlT_T0_E_clISt17integral_constantIbLb0EESX_IbLb1EEEEDaST_SU_EUlST_E_NS1_11comp_targetILNS1_3genE3ELNS1_11target_archE908ELNS1_3gpuE7ELNS1_3repE0EEENS1_30default_config_static_selectorELNS0_4arch9wavefront6targetE1EEEvT1_
		.amdhsa_group_segment_fixed_size 0
		.amdhsa_private_segment_fixed_size 0
		.amdhsa_kernarg_size 112
		.amdhsa_user_sgpr_count 6
		.amdhsa_user_sgpr_private_segment_buffer 1
		.amdhsa_user_sgpr_dispatch_ptr 0
		.amdhsa_user_sgpr_queue_ptr 0
		.amdhsa_user_sgpr_kernarg_segment_ptr 1
		.amdhsa_user_sgpr_dispatch_id 0
		.amdhsa_user_sgpr_flat_scratch_init 0
		.amdhsa_user_sgpr_kernarg_preload_length 0
		.amdhsa_user_sgpr_kernarg_preload_offset 0
		.amdhsa_user_sgpr_private_segment_size 0
		.amdhsa_uses_dynamic_stack 0
		.amdhsa_system_sgpr_private_segment_wavefront_offset 0
		.amdhsa_system_sgpr_workgroup_id_x 1
		.amdhsa_system_sgpr_workgroup_id_y 0
		.amdhsa_system_sgpr_workgroup_id_z 0
		.amdhsa_system_sgpr_workgroup_info 0
		.amdhsa_system_vgpr_workitem_id 0
		.amdhsa_next_free_vgpr 1
		.amdhsa_next_free_sgpr 0
		.amdhsa_accum_offset 4
		.amdhsa_reserve_vcc 0
		.amdhsa_reserve_flat_scratch 0
		.amdhsa_float_round_mode_32 0
		.amdhsa_float_round_mode_16_64 0
		.amdhsa_float_denorm_mode_32 3
		.amdhsa_float_denorm_mode_16_64 3
		.amdhsa_dx10_clamp 1
		.amdhsa_ieee_mode 1
		.amdhsa_fp16_overflow 0
		.amdhsa_tg_split 0
		.amdhsa_exception_fp_ieee_invalid_op 0
		.amdhsa_exception_fp_denorm_src 0
		.amdhsa_exception_fp_ieee_div_zero 0
		.amdhsa_exception_fp_ieee_overflow 0
		.amdhsa_exception_fp_ieee_underflow 0
		.amdhsa_exception_fp_ieee_inexact 0
		.amdhsa_exception_int_div_zero 0
	.end_amdhsa_kernel
	.section	.text._ZN7rocprim17ROCPRIM_400000_NS6detail17trampoline_kernelINS0_14default_configENS1_27scan_by_key_config_selectorIssEEZZNS1_16scan_by_key_implILNS1_25lookback_scan_determinismE0ELb1ES3_N6thrust23THRUST_200600_302600_NS6detail15normal_iteratorINS9_10device_ptrIsEEEESE_SE_sNS9_4plusIsEE19head_flag_predicatesEE10hipError_tPvRmT2_T3_T4_T5_mT6_T7_P12ihipStream_tbENKUlT_T0_E_clISt17integral_constantIbLb0EESX_IbLb1EEEEDaST_SU_EUlST_E_NS1_11comp_targetILNS1_3genE3ELNS1_11target_archE908ELNS1_3gpuE7ELNS1_3repE0EEENS1_30default_config_static_selectorELNS0_4arch9wavefront6targetE1EEEvT1_,"axG",@progbits,_ZN7rocprim17ROCPRIM_400000_NS6detail17trampoline_kernelINS0_14default_configENS1_27scan_by_key_config_selectorIssEEZZNS1_16scan_by_key_implILNS1_25lookback_scan_determinismE0ELb1ES3_N6thrust23THRUST_200600_302600_NS6detail15normal_iteratorINS9_10device_ptrIsEEEESE_SE_sNS9_4plusIsEE19head_flag_predicatesEE10hipError_tPvRmT2_T3_T4_T5_mT6_T7_P12ihipStream_tbENKUlT_T0_E_clISt17integral_constantIbLb0EESX_IbLb1EEEEDaST_SU_EUlST_E_NS1_11comp_targetILNS1_3genE3ELNS1_11target_archE908ELNS1_3gpuE7ELNS1_3repE0EEENS1_30default_config_static_selectorELNS0_4arch9wavefront6targetE1EEEvT1_,comdat
.Lfunc_end888:
	.size	_ZN7rocprim17ROCPRIM_400000_NS6detail17trampoline_kernelINS0_14default_configENS1_27scan_by_key_config_selectorIssEEZZNS1_16scan_by_key_implILNS1_25lookback_scan_determinismE0ELb1ES3_N6thrust23THRUST_200600_302600_NS6detail15normal_iteratorINS9_10device_ptrIsEEEESE_SE_sNS9_4plusIsEE19head_flag_predicatesEE10hipError_tPvRmT2_T3_T4_T5_mT6_T7_P12ihipStream_tbENKUlT_T0_E_clISt17integral_constantIbLb0EESX_IbLb1EEEEDaST_SU_EUlST_E_NS1_11comp_targetILNS1_3genE3ELNS1_11target_archE908ELNS1_3gpuE7ELNS1_3repE0EEENS1_30default_config_static_selectorELNS0_4arch9wavefront6targetE1EEEvT1_, .Lfunc_end888-_ZN7rocprim17ROCPRIM_400000_NS6detail17trampoline_kernelINS0_14default_configENS1_27scan_by_key_config_selectorIssEEZZNS1_16scan_by_key_implILNS1_25lookback_scan_determinismE0ELb1ES3_N6thrust23THRUST_200600_302600_NS6detail15normal_iteratorINS9_10device_ptrIsEEEESE_SE_sNS9_4plusIsEE19head_flag_predicatesEE10hipError_tPvRmT2_T3_T4_T5_mT6_T7_P12ihipStream_tbENKUlT_T0_E_clISt17integral_constantIbLb0EESX_IbLb1EEEEDaST_SU_EUlST_E_NS1_11comp_targetILNS1_3genE3ELNS1_11target_archE908ELNS1_3gpuE7ELNS1_3repE0EEENS1_30default_config_static_selectorELNS0_4arch9wavefront6targetE1EEEvT1_
                                        ; -- End function
	.section	.AMDGPU.csdata,"",@progbits
; Kernel info:
; codeLenInByte = 0
; NumSgprs: 4
; NumVgprs: 0
; NumAgprs: 0
; TotalNumVgprs: 0
; ScratchSize: 0
; MemoryBound: 0
; FloatMode: 240
; IeeeMode: 1
; LDSByteSize: 0 bytes/workgroup (compile time only)
; SGPRBlocks: 0
; VGPRBlocks: 0
; NumSGPRsForWavesPerEU: 4
; NumVGPRsForWavesPerEU: 1
; AccumOffset: 4
; Occupancy: 8
; WaveLimiterHint : 0
; COMPUTE_PGM_RSRC2:SCRATCH_EN: 0
; COMPUTE_PGM_RSRC2:USER_SGPR: 6
; COMPUTE_PGM_RSRC2:TRAP_HANDLER: 0
; COMPUTE_PGM_RSRC2:TGID_X_EN: 1
; COMPUTE_PGM_RSRC2:TGID_Y_EN: 0
; COMPUTE_PGM_RSRC2:TGID_Z_EN: 0
; COMPUTE_PGM_RSRC2:TIDIG_COMP_CNT: 0
; COMPUTE_PGM_RSRC3_GFX90A:ACCUM_OFFSET: 0
; COMPUTE_PGM_RSRC3_GFX90A:TG_SPLIT: 0
	.section	.text._ZN7rocprim17ROCPRIM_400000_NS6detail17trampoline_kernelINS0_14default_configENS1_27scan_by_key_config_selectorIssEEZZNS1_16scan_by_key_implILNS1_25lookback_scan_determinismE0ELb1ES3_N6thrust23THRUST_200600_302600_NS6detail15normal_iteratorINS9_10device_ptrIsEEEESE_SE_sNS9_4plusIsEE19head_flag_predicatesEE10hipError_tPvRmT2_T3_T4_T5_mT6_T7_P12ihipStream_tbENKUlT_T0_E_clISt17integral_constantIbLb0EESX_IbLb1EEEEDaST_SU_EUlST_E_NS1_11comp_targetILNS1_3genE2ELNS1_11target_archE906ELNS1_3gpuE6ELNS1_3repE0EEENS1_30default_config_static_selectorELNS0_4arch9wavefront6targetE1EEEvT1_,"axG",@progbits,_ZN7rocprim17ROCPRIM_400000_NS6detail17trampoline_kernelINS0_14default_configENS1_27scan_by_key_config_selectorIssEEZZNS1_16scan_by_key_implILNS1_25lookback_scan_determinismE0ELb1ES3_N6thrust23THRUST_200600_302600_NS6detail15normal_iteratorINS9_10device_ptrIsEEEESE_SE_sNS9_4plusIsEE19head_flag_predicatesEE10hipError_tPvRmT2_T3_T4_T5_mT6_T7_P12ihipStream_tbENKUlT_T0_E_clISt17integral_constantIbLb0EESX_IbLb1EEEEDaST_SU_EUlST_E_NS1_11comp_targetILNS1_3genE2ELNS1_11target_archE906ELNS1_3gpuE6ELNS1_3repE0EEENS1_30default_config_static_selectorELNS0_4arch9wavefront6targetE1EEEvT1_,comdat
	.protected	_ZN7rocprim17ROCPRIM_400000_NS6detail17trampoline_kernelINS0_14default_configENS1_27scan_by_key_config_selectorIssEEZZNS1_16scan_by_key_implILNS1_25lookback_scan_determinismE0ELb1ES3_N6thrust23THRUST_200600_302600_NS6detail15normal_iteratorINS9_10device_ptrIsEEEESE_SE_sNS9_4plusIsEE19head_flag_predicatesEE10hipError_tPvRmT2_T3_T4_T5_mT6_T7_P12ihipStream_tbENKUlT_T0_E_clISt17integral_constantIbLb0EESX_IbLb1EEEEDaST_SU_EUlST_E_NS1_11comp_targetILNS1_3genE2ELNS1_11target_archE906ELNS1_3gpuE6ELNS1_3repE0EEENS1_30default_config_static_selectorELNS0_4arch9wavefront6targetE1EEEvT1_ ; -- Begin function _ZN7rocprim17ROCPRIM_400000_NS6detail17trampoline_kernelINS0_14default_configENS1_27scan_by_key_config_selectorIssEEZZNS1_16scan_by_key_implILNS1_25lookback_scan_determinismE0ELb1ES3_N6thrust23THRUST_200600_302600_NS6detail15normal_iteratorINS9_10device_ptrIsEEEESE_SE_sNS9_4plusIsEE19head_flag_predicatesEE10hipError_tPvRmT2_T3_T4_T5_mT6_T7_P12ihipStream_tbENKUlT_T0_E_clISt17integral_constantIbLb0EESX_IbLb1EEEEDaST_SU_EUlST_E_NS1_11comp_targetILNS1_3genE2ELNS1_11target_archE906ELNS1_3gpuE6ELNS1_3repE0EEENS1_30default_config_static_selectorELNS0_4arch9wavefront6targetE1EEEvT1_
	.globl	_ZN7rocprim17ROCPRIM_400000_NS6detail17trampoline_kernelINS0_14default_configENS1_27scan_by_key_config_selectorIssEEZZNS1_16scan_by_key_implILNS1_25lookback_scan_determinismE0ELb1ES3_N6thrust23THRUST_200600_302600_NS6detail15normal_iteratorINS9_10device_ptrIsEEEESE_SE_sNS9_4plusIsEE19head_flag_predicatesEE10hipError_tPvRmT2_T3_T4_T5_mT6_T7_P12ihipStream_tbENKUlT_T0_E_clISt17integral_constantIbLb0EESX_IbLb1EEEEDaST_SU_EUlST_E_NS1_11comp_targetILNS1_3genE2ELNS1_11target_archE906ELNS1_3gpuE6ELNS1_3repE0EEENS1_30default_config_static_selectorELNS0_4arch9wavefront6targetE1EEEvT1_
	.p2align	8
	.type	_ZN7rocprim17ROCPRIM_400000_NS6detail17trampoline_kernelINS0_14default_configENS1_27scan_by_key_config_selectorIssEEZZNS1_16scan_by_key_implILNS1_25lookback_scan_determinismE0ELb1ES3_N6thrust23THRUST_200600_302600_NS6detail15normal_iteratorINS9_10device_ptrIsEEEESE_SE_sNS9_4plusIsEE19head_flag_predicatesEE10hipError_tPvRmT2_T3_T4_T5_mT6_T7_P12ihipStream_tbENKUlT_T0_E_clISt17integral_constantIbLb0EESX_IbLb1EEEEDaST_SU_EUlST_E_NS1_11comp_targetILNS1_3genE2ELNS1_11target_archE906ELNS1_3gpuE6ELNS1_3repE0EEENS1_30default_config_static_selectorELNS0_4arch9wavefront6targetE1EEEvT1_,@function
_ZN7rocprim17ROCPRIM_400000_NS6detail17trampoline_kernelINS0_14default_configENS1_27scan_by_key_config_selectorIssEEZZNS1_16scan_by_key_implILNS1_25lookback_scan_determinismE0ELb1ES3_N6thrust23THRUST_200600_302600_NS6detail15normal_iteratorINS9_10device_ptrIsEEEESE_SE_sNS9_4plusIsEE19head_flag_predicatesEE10hipError_tPvRmT2_T3_T4_T5_mT6_T7_P12ihipStream_tbENKUlT_T0_E_clISt17integral_constantIbLb0EESX_IbLb1EEEEDaST_SU_EUlST_E_NS1_11comp_targetILNS1_3genE2ELNS1_11target_archE906ELNS1_3gpuE6ELNS1_3repE0EEENS1_30default_config_static_selectorELNS0_4arch9wavefront6targetE1EEEvT1_: ; @_ZN7rocprim17ROCPRIM_400000_NS6detail17trampoline_kernelINS0_14default_configENS1_27scan_by_key_config_selectorIssEEZZNS1_16scan_by_key_implILNS1_25lookback_scan_determinismE0ELb1ES3_N6thrust23THRUST_200600_302600_NS6detail15normal_iteratorINS9_10device_ptrIsEEEESE_SE_sNS9_4plusIsEE19head_flag_predicatesEE10hipError_tPvRmT2_T3_T4_T5_mT6_T7_P12ihipStream_tbENKUlT_T0_E_clISt17integral_constantIbLb0EESX_IbLb1EEEEDaST_SU_EUlST_E_NS1_11comp_targetILNS1_3genE2ELNS1_11target_archE906ELNS1_3gpuE6ELNS1_3repE0EEENS1_30default_config_static_selectorELNS0_4arch9wavefront6targetE1EEEvT1_
; %bb.0:
	.section	.rodata,"a",@progbits
	.p2align	6, 0x0
	.amdhsa_kernel _ZN7rocprim17ROCPRIM_400000_NS6detail17trampoline_kernelINS0_14default_configENS1_27scan_by_key_config_selectorIssEEZZNS1_16scan_by_key_implILNS1_25lookback_scan_determinismE0ELb1ES3_N6thrust23THRUST_200600_302600_NS6detail15normal_iteratorINS9_10device_ptrIsEEEESE_SE_sNS9_4plusIsEE19head_flag_predicatesEE10hipError_tPvRmT2_T3_T4_T5_mT6_T7_P12ihipStream_tbENKUlT_T0_E_clISt17integral_constantIbLb0EESX_IbLb1EEEEDaST_SU_EUlST_E_NS1_11comp_targetILNS1_3genE2ELNS1_11target_archE906ELNS1_3gpuE6ELNS1_3repE0EEENS1_30default_config_static_selectorELNS0_4arch9wavefront6targetE1EEEvT1_
		.amdhsa_group_segment_fixed_size 0
		.amdhsa_private_segment_fixed_size 0
		.amdhsa_kernarg_size 112
		.amdhsa_user_sgpr_count 6
		.amdhsa_user_sgpr_private_segment_buffer 1
		.amdhsa_user_sgpr_dispatch_ptr 0
		.amdhsa_user_sgpr_queue_ptr 0
		.amdhsa_user_sgpr_kernarg_segment_ptr 1
		.amdhsa_user_sgpr_dispatch_id 0
		.amdhsa_user_sgpr_flat_scratch_init 0
		.amdhsa_user_sgpr_kernarg_preload_length 0
		.amdhsa_user_sgpr_kernarg_preload_offset 0
		.amdhsa_user_sgpr_private_segment_size 0
		.amdhsa_uses_dynamic_stack 0
		.amdhsa_system_sgpr_private_segment_wavefront_offset 0
		.amdhsa_system_sgpr_workgroup_id_x 1
		.amdhsa_system_sgpr_workgroup_id_y 0
		.amdhsa_system_sgpr_workgroup_id_z 0
		.amdhsa_system_sgpr_workgroup_info 0
		.amdhsa_system_vgpr_workitem_id 0
		.amdhsa_next_free_vgpr 1
		.amdhsa_next_free_sgpr 0
		.amdhsa_accum_offset 4
		.amdhsa_reserve_vcc 0
		.amdhsa_reserve_flat_scratch 0
		.amdhsa_float_round_mode_32 0
		.amdhsa_float_round_mode_16_64 0
		.amdhsa_float_denorm_mode_32 3
		.amdhsa_float_denorm_mode_16_64 3
		.amdhsa_dx10_clamp 1
		.amdhsa_ieee_mode 1
		.amdhsa_fp16_overflow 0
		.amdhsa_tg_split 0
		.amdhsa_exception_fp_ieee_invalid_op 0
		.amdhsa_exception_fp_denorm_src 0
		.amdhsa_exception_fp_ieee_div_zero 0
		.amdhsa_exception_fp_ieee_overflow 0
		.amdhsa_exception_fp_ieee_underflow 0
		.amdhsa_exception_fp_ieee_inexact 0
		.amdhsa_exception_int_div_zero 0
	.end_amdhsa_kernel
	.section	.text._ZN7rocprim17ROCPRIM_400000_NS6detail17trampoline_kernelINS0_14default_configENS1_27scan_by_key_config_selectorIssEEZZNS1_16scan_by_key_implILNS1_25lookback_scan_determinismE0ELb1ES3_N6thrust23THRUST_200600_302600_NS6detail15normal_iteratorINS9_10device_ptrIsEEEESE_SE_sNS9_4plusIsEE19head_flag_predicatesEE10hipError_tPvRmT2_T3_T4_T5_mT6_T7_P12ihipStream_tbENKUlT_T0_E_clISt17integral_constantIbLb0EESX_IbLb1EEEEDaST_SU_EUlST_E_NS1_11comp_targetILNS1_3genE2ELNS1_11target_archE906ELNS1_3gpuE6ELNS1_3repE0EEENS1_30default_config_static_selectorELNS0_4arch9wavefront6targetE1EEEvT1_,"axG",@progbits,_ZN7rocprim17ROCPRIM_400000_NS6detail17trampoline_kernelINS0_14default_configENS1_27scan_by_key_config_selectorIssEEZZNS1_16scan_by_key_implILNS1_25lookback_scan_determinismE0ELb1ES3_N6thrust23THRUST_200600_302600_NS6detail15normal_iteratorINS9_10device_ptrIsEEEESE_SE_sNS9_4plusIsEE19head_flag_predicatesEE10hipError_tPvRmT2_T3_T4_T5_mT6_T7_P12ihipStream_tbENKUlT_T0_E_clISt17integral_constantIbLb0EESX_IbLb1EEEEDaST_SU_EUlST_E_NS1_11comp_targetILNS1_3genE2ELNS1_11target_archE906ELNS1_3gpuE6ELNS1_3repE0EEENS1_30default_config_static_selectorELNS0_4arch9wavefront6targetE1EEEvT1_,comdat
.Lfunc_end889:
	.size	_ZN7rocprim17ROCPRIM_400000_NS6detail17trampoline_kernelINS0_14default_configENS1_27scan_by_key_config_selectorIssEEZZNS1_16scan_by_key_implILNS1_25lookback_scan_determinismE0ELb1ES3_N6thrust23THRUST_200600_302600_NS6detail15normal_iteratorINS9_10device_ptrIsEEEESE_SE_sNS9_4plusIsEE19head_flag_predicatesEE10hipError_tPvRmT2_T3_T4_T5_mT6_T7_P12ihipStream_tbENKUlT_T0_E_clISt17integral_constantIbLb0EESX_IbLb1EEEEDaST_SU_EUlST_E_NS1_11comp_targetILNS1_3genE2ELNS1_11target_archE906ELNS1_3gpuE6ELNS1_3repE0EEENS1_30default_config_static_selectorELNS0_4arch9wavefront6targetE1EEEvT1_, .Lfunc_end889-_ZN7rocprim17ROCPRIM_400000_NS6detail17trampoline_kernelINS0_14default_configENS1_27scan_by_key_config_selectorIssEEZZNS1_16scan_by_key_implILNS1_25lookback_scan_determinismE0ELb1ES3_N6thrust23THRUST_200600_302600_NS6detail15normal_iteratorINS9_10device_ptrIsEEEESE_SE_sNS9_4plusIsEE19head_flag_predicatesEE10hipError_tPvRmT2_T3_T4_T5_mT6_T7_P12ihipStream_tbENKUlT_T0_E_clISt17integral_constantIbLb0EESX_IbLb1EEEEDaST_SU_EUlST_E_NS1_11comp_targetILNS1_3genE2ELNS1_11target_archE906ELNS1_3gpuE6ELNS1_3repE0EEENS1_30default_config_static_selectorELNS0_4arch9wavefront6targetE1EEEvT1_
                                        ; -- End function
	.section	.AMDGPU.csdata,"",@progbits
; Kernel info:
; codeLenInByte = 0
; NumSgprs: 4
; NumVgprs: 0
; NumAgprs: 0
; TotalNumVgprs: 0
; ScratchSize: 0
; MemoryBound: 0
; FloatMode: 240
; IeeeMode: 1
; LDSByteSize: 0 bytes/workgroup (compile time only)
; SGPRBlocks: 0
; VGPRBlocks: 0
; NumSGPRsForWavesPerEU: 4
; NumVGPRsForWavesPerEU: 1
; AccumOffset: 4
; Occupancy: 8
; WaveLimiterHint : 0
; COMPUTE_PGM_RSRC2:SCRATCH_EN: 0
; COMPUTE_PGM_RSRC2:USER_SGPR: 6
; COMPUTE_PGM_RSRC2:TRAP_HANDLER: 0
; COMPUTE_PGM_RSRC2:TGID_X_EN: 1
; COMPUTE_PGM_RSRC2:TGID_Y_EN: 0
; COMPUTE_PGM_RSRC2:TGID_Z_EN: 0
; COMPUTE_PGM_RSRC2:TIDIG_COMP_CNT: 0
; COMPUTE_PGM_RSRC3_GFX90A:ACCUM_OFFSET: 0
; COMPUTE_PGM_RSRC3_GFX90A:TG_SPLIT: 0
	.section	.text._ZN7rocprim17ROCPRIM_400000_NS6detail17trampoline_kernelINS0_14default_configENS1_27scan_by_key_config_selectorIssEEZZNS1_16scan_by_key_implILNS1_25lookback_scan_determinismE0ELb1ES3_N6thrust23THRUST_200600_302600_NS6detail15normal_iteratorINS9_10device_ptrIsEEEESE_SE_sNS9_4plusIsEE19head_flag_predicatesEE10hipError_tPvRmT2_T3_T4_T5_mT6_T7_P12ihipStream_tbENKUlT_T0_E_clISt17integral_constantIbLb0EESX_IbLb1EEEEDaST_SU_EUlST_E_NS1_11comp_targetILNS1_3genE10ELNS1_11target_archE1200ELNS1_3gpuE4ELNS1_3repE0EEENS1_30default_config_static_selectorELNS0_4arch9wavefront6targetE1EEEvT1_,"axG",@progbits,_ZN7rocprim17ROCPRIM_400000_NS6detail17trampoline_kernelINS0_14default_configENS1_27scan_by_key_config_selectorIssEEZZNS1_16scan_by_key_implILNS1_25lookback_scan_determinismE0ELb1ES3_N6thrust23THRUST_200600_302600_NS6detail15normal_iteratorINS9_10device_ptrIsEEEESE_SE_sNS9_4plusIsEE19head_flag_predicatesEE10hipError_tPvRmT2_T3_T4_T5_mT6_T7_P12ihipStream_tbENKUlT_T0_E_clISt17integral_constantIbLb0EESX_IbLb1EEEEDaST_SU_EUlST_E_NS1_11comp_targetILNS1_3genE10ELNS1_11target_archE1200ELNS1_3gpuE4ELNS1_3repE0EEENS1_30default_config_static_selectorELNS0_4arch9wavefront6targetE1EEEvT1_,comdat
	.protected	_ZN7rocprim17ROCPRIM_400000_NS6detail17trampoline_kernelINS0_14default_configENS1_27scan_by_key_config_selectorIssEEZZNS1_16scan_by_key_implILNS1_25lookback_scan_determinismE0ELb1ES3_N6thrust23THRUST_200600_302600_NS6detail15normal_iteratorINS9_10device_ptrIsEEEESE_SE_sNS9_4plusIsEE19head_flag_predicatesEE10hipError_tPvRmT2_T3_T4_T5_mT6_T7_P12ihipStream_tbENKUlT_T0_E_clISt17integral_constantIbLb0EESX_IbLb1EEEEDaST_SU_EUlST_E_NS1_11comp_targetILNS1_3genE10ELNS1_11target_archE1200ELNS1_3gpuE4ELNS1_3repE0EEENS1_30default_config_static_selectorELNS0_4arch9wavefront6targetE1EEEvT1_ ; -- Begin function _ZN7rocprim17ROCPRIM_400000_NS6detail17trampoline_kernelINS0_14default_configENS1_27scan_by_key_config_selectorIssEEZZNS1_16scan_by_key_implILNS1_25lookback_scan_determinismE0ELb1ES3_N6thrust23THRUST_200600_302600_NS6detail15normal_iteratorINS9_10device_ptrIsEEEESE_SE_sNS9_4plusIsEE19head_flag_predicatesEE10hipError_tPvRmT2_T3_T4_T5_mT6_T7_P12ihipStream_tbENKUlT_T0_E_clISt17integral_constantIbLb0EESX_IbLb1EEEEDaST_SU_EUlST_E_NS1_11comp_targetILNS1_3genE10ELNS1_11target_archE1200ELNS1_3gpuE4ELNS1_3repE0EEENS1_30default_config_static_selectorELNS0_4arch9wavefront6targetE1EEEvT1_
	.globl	_ZN7rocprim17ROCPRIM_400000_NS6detail17trampoline_kernelINS0_14default_configENS1_27scan_by_key_config_selectorIssEEZZNS1_16scan_by_key_implILNS1_25lookback_scan_determinismE0ELb1ES3_N6thrust23THRUST_200600_302600_NS6detail15normal_iteratorINS9_10device_ptrIsEEEESE_SE_sNS9_4plusIsEE19head_flag_predicatesEE10hipError_tPvRmT2_T3_T4_T5_mT6_T7_P12ihipStream_tbENKUlT_T0_E_clISt17integral_constantIbLb0EESX_IbLb1EEEEDaST_SU_EUlST_E_NS1_11comp_targetILNS1_3genE10ELNS1_11target_archE1200ELNS1_3gpuE4ELNS1_3repE0EEENS1_30default_config_static_selectorELNS0_4arch9wavefront6targetE1EEEvT1_
	.p2align	8
	.type	_ZN7rocprim17ROCPRIM_400000_NS6detail17trampoline_kernelINS0_14default_configENS1_27scan_by_key_config_selectorIssEEZZNS1_16scan_by_key_implILNS1_25lookback_scan_determinismE0ELb1ES3_N6thrust23THRUST_200600_302600_NS6detail15normal_iteratorINS9_10device_ptrIsEEEESE_SE_sNS9_4plusIsEE19head_flag_predicatesEE10hipError_tPvRmT2_T3_T4_T5_mT6_T7_P12ihipStream_tbENKUlT_T0_E_clISt17integral_constantIbLb0EESX_IbLb1EEEEDaST_SU_EUlST_E_NS1_11comp_targetILNS1_3genE10ELNS1_11target_archE1200ELNS1_3gpuE4ELNS1_3repE0EEENS1_30default_config_static_selectorELNS0_4arch9wavefront6targetE1EEEvT1_,@function
_ZN7rocprim17ROCPRIM_400000_NS6detail17trampoline_kernelINS0_14default_configENS1_27scan_by_key_config_selectorIssEEZZNS1_16scan_by_key_implILNS1_25lookback_scan_determinismE0ELb1ES3_N6thrust23THRUST_200600_302600_NS6detail15normal_iteratorINS9_10device_ptrIsEEEESE_SE_sNS9_4plusIsEE19head_flag_predicatesEE10hipError_tPvRmT2_T3_T4_T5_mT6_T7_P12ihipStream_tbENKUlT_T0_E_clISt17integral_constantIbLb0EESX_IbLb1EEEEDaST_SU_EUlST_E_NS1_11comp_targetILNS1_3genE10ELNS1_11target_archE1200ELNS1_3gpuE4ELNS1_3repE0EEENS1_30default_config_static_selectorELNS0_4arch9wavefront6targetE1EEEvT1_: ; @_ZN7rocprim17ROCPRIM_400000_NS6detail17trampoline_kernelINS0_14default_configENS1_27scan_by_key_config_selectorIssEEZZNS1_16scan_by_key_implILNS1_25lookback_scan_determinismE0ELb1ES3_N6thrust23THRUST_200600_302600_NS6detail15normal_iteratorINS9_10device_ptrIsEEEESE_SE_sNS9_4plusIsEE19head_flag_predicatesEE10hipError_tPvRmT2_T3_T4_T5_mT6_T7_P12ihipStream_tbENKUlT_T0_E_clISt17integral_constantIbLb0EESX_IbLb1EEEEDaST_SU_EUlST_E_NS1_11comp_targetILNS1_3genE10ELNS1_11target_archE1200ELNS1_3gpuE4ELNS1_3repE0EEENS1_30default_config_static_selectorELNS0_4arch9wavefront6targetE1EEEvT1_
; %bb.0:
	.section	.rodata,"a",@progbits
	.p2align	6, 0x0
	.amdhsa_kernel _ZN7rocprim17ROCPRIM_400000_NS6detail17trampoline_kernelINS0_14default_configENS1_27scan_by_key_config_selectorIssEEZZNS1_16scan_by_key_implILNS1_25lookback_scan_determinismE0ELb1ES3_N6thrust23THRUST_200600_302600_NS6detail15normal_iteratorINS9_10device_ptrIsEEEESE_SE_sNS9_4plusIsEE19head_flag_predicatesEE10hipError_tPvRmT2_T3_T4_T5_mT6_T7_P12ihipStream_tbENKUlT_T0_E_clISt17integral_constantIbLb0EESX_IbLb1EEEEDaST_SU_EUlST_E_NS1_11comp_targetILNS1_3genE10ELNS1_11target_archE1200ELNS1_3gpuE4ELNS1_3repE0EEENS1_30default_config_static_selectorELNS0_4arch9wavefront6targetE1EEEvT1_
		.amdhsa_group_segment_fixed_size 0
		.amdhsa_private_segment_fixed_size 0
		.amdhsa_kernarg_size 112
		.amdhsa_user_sgpr_count 6
		.amdhsa_user_sgpr_private_segment_buffer 1
		.amdhsa_user_sgpr_dispatch_ptr 0
		.amdhsa_user_sgpr_queue_ptr 0
		.amdhsa_user_sgpr_kernarg_segment_ptr 1
		.amdhsa_user_sgpr_dispatch_id 0
		.amdhsa_user_sgpr_flat_scratch_init 0
		.amdhsa_user_sgpr_kernarg_preload_length 0
		.amdhsa_user_sgpr_kernarg_preload_offset 0
		.amdhsa_user_sgpr_private_segment_size 0
		.amdhsa_uses_dynamic_stack 0
		.amdhsa_system_sgpr_private_segment_wavefront_offset 0
		.amdhsa_system_sgpr_workgroup_id_x 1
		.amdhsa_system_sgpr_workgroup_id_y 0
		.amdhsa_system_sgpr_workgroup_id_z 0
		.amdhsa_system_sgpr_workgroup_info 0
		.amdhsa_system_vgpr_workitem_id 0
		.amdhsa_next_free_vgpr 1
		.amdhsa_next_free_sgpr 0
		.amdhsa_accum_offset 4
		.amdhsa_reserve_vcc 0
		.amdhsa_reserve_flat_scratch 0
		.amdhsa_float_round_mode_32 0
		.amdhsa_float_round_mode_16_64 0
		.amdhsa_float_denorm_mode_32 3
		.amdhsa_float_denorm_mode_16_64 3
		.amdhsa_dx10_clamp 1
		.amdhsa_ieee_mode 1
		.amdhsa_fp16_overflow 0
		.amdhsa_tg_split 0
		.amdhsa_exception_fp_ieee_invalid_op 0
		.amdhsa_exception_fp_denorm_src 0
		.amdhsa_exception_fp_ieee_div_zero 0
		.amdhsa_exception_fp_ieee_overflow 0
		.amdhsa_exception_fp_ieee_underflow 0
		.amdhsa_exception_fp_ieee_inexact 0
		.amdhsa_exception_int_div_zero 0
	.end_amdhsa_kernel
	.section	.text._ZN7rocprim17ROCPRIM_400000_NS6detail17trampoline_kernelINS0_14default_configENS1_27scan_by_key_config_selectorIssEEZZNS1_16scan_by_key_implILNS1_25lookback_scan_determinismE0ELb1ES3_N6thrust23THRUST_200600_302600_NS6detail15normal_iteratorINS9_10device_ptrIsEEEESE_SE_sNS9_4plusIsEE19head_flag_predicatesEE10hipError_tPvRmT2_T3_T4_T5_mT6_T7_P12ihipStream_tbENKUlT_T0_E_clISt17integral_constantIbLb0EESX_IbLb1EEEEDaST_SU_EUlST_E_NS1_11comp_targetILNS1_3genE10ELNS1_11target_archE1200ELNS1_3gpuE4ELNS1_3repE0EEENS1_30default_config_static_selectorELNS0_4arch9wavefront6targetE1EEEvT1_,"axG",@progbits,_ZN7rocprim17ROCPRIM_400000_NS6detail17trampoline_kernelINS0_14default_configENS1_27scan_by_key_config_selectorIssEEZZNS1_16scan_by_key_implILNS1_25lookback_scan_determinismE0ELb1ES3_N6thrust23THRUST_200600_302600_NS6detail15normal_iteratorINS9_10device_ptrIsEEEESE_SE_sNS9_4plusIsEE19head_flag_predicatesEE10hipError_tPvRmT2_T3_T4_T5_mT6_T7_P12ihipStream_tbENKUlT_T0_E_clISt17integral_constantIbLb0EESX_IbLb1EEEEDaST_SU_EUlST_E_NS1_11comp_targetILNS1_3genE10ELNS1_11target_archE1200ELNS1_3gpuE4ELNS1_3repE0EEENS1_30default_config_static_selectorELNS0_4arch9wavefront6targetE1EEEvT1_,comdat
.Lfunc_end890:
	.size	_ZN7rocprim17ROCPRIM_400000_NS6detail17trampoline_kernelINS0_14default_configENS1_27scan_by_key_config_selectorIssEEZZNS1_16scan_by_key_implILNS1_25lookback_scan_determinismE0ELb1ES3_N6thrust23THRUST_200600_302600_NS6detail15normal_iteratorINS9_10device_ptrIsEEEESE_SE_sNS9_4plusIsEE19head_flag_predicatesEE10hipError_tPvRmT2_T3_T4_T5_mT6_T7_P12ihipStream_tbENKUlT_T0_E_clISt17integral_constantIbLb0EESX_IbLb1EEEEDaST_SU_EUlST_E_NS1_11comp_targetILNS1_3genE10ELNS1_11target_archE1200ELNS1_3gpuE4ELNS1_3repE0EEENS1_30default_config_static_selectorELNS0_4arch9wavefront6targetE1EEEvT1_, .Lfunc_end890-_ZN7rocprim17ROCPRIM_400000_NS6detail17trampoline_kernelINS0_14default_configENS1_27scan_by_key_config_selectorIssEEZZNS1_16scan_by_key_implILNS1_25lookback_scan_determinismE0ELb1ES3_N6thrust23THRUST_200600_302600_NS6detail15normal_iteratorINS9_10device_ptrIsEEEESE_SE_sNS9_4plusIsEE19head_flag_predicatesEE10hipError_tPvRmT2_T3_T4_T5_mT6_T7_P12ihipStream_tbENKUlT_T0_E_clISt17integral_constantIbLb0EESX_IbLb1EEEEDaST_SU_EUlST_E_NS1_11comp_targetILNS1_3genE10ELNS1_11target_archE1200ELNS1_3gpuE4ELNS1_3repE0EEENS1_30default_config_static_selectorELNS0_4arch9wavefront6targetE1EEEvT1_
                                        ; -- End function
	.section	.AMDGPU.csdata,"",@progbits
; Kernel info:
; codeLenInByte = 0
; NumSgprs: 4
; NumVgprs: 0
; NumAgprs: 0
; TotalNumVgprs: 0
; ScratchSize: 0
; MemoryBound: 0
; FloatMode: 240
; IeeeMode: 1
; LDSByteSize: 0 bytes/workgroup (compile time only)
; SGPRBlocks: 0
; VGPRBlocks: 0
; NumSGPRsForWavesPerEU: 4
; NumVGPRsForWavesPerEU: 1
; AccumOffset: 4
; Occupancy: 8
; WaveLimiterHint : 0
; COMPUTE_PGM_RSRC2:SCRATCH_EN: 0
; COMPUTE_PGM_RSRC2:USER_SGPR: 6
; COMPUTE_PGM_RSRC2:TRAP_HANDLER: 0
; COMPUTE_PGM_RSRC2:TGID_X_EN: 1
; COMPUTE_PGM_RSRC2:TGID_Y_EN: 0
; COMPUTE_PGM_RSRC2:TGID_Z_EN: 0
; COMPUTE_PGM_RSRC2:TIDIG_COMP_CNT: 0
; COMPUTE_PGM_RSRC3_GFX90A:ACCUM_OFFSET: 0
; COMPUTE_PGM_RSRC3_GFX90A:TG_SPLIT: 0
	.section	.text._ZN7rocprim17ROCPRIM_400000_NS6detail17trampoline_kernelINS0_14default_configENS1_27scan_by_key_config_selectorIssEEZZNS1_16scan_by_key_implILNS1_25lookback_scan_determinismE0ELb1ES3_N6thrust23THRUST_200600_302600_NS6detail15normal_iteratorINS9_10device_ptrIsEEEESE_SE_sNS9_4plusIsEE19head_flag_predicatesEE10hipError_tPvRmT2_T3_T4_T5_mT6_T7_P12ihipStream_tbENKUlT_T0_E_clISt17integral_constantIbLb0EESX_IbLb1EEEEDaST_SU_EUlST_E_NS1_11comp_targetILNS1_3genE9ELNS1_11target_archE1100ELNS1_3gpuE3ELNS1_3repE0EEENS1_30default_config_static_selectorELNS0_4arch9wavefront6targetE1EEEvT1_,"axG",@progbits,_ZN7rocprim17ROCPRIM_400000_NS6detail17trampoline_kernelINS0_14default_configENS1_27scan_by_key_config_selectorIssEEZZNS1_16scan_by_key_implILNS1_25lookback_scan_determinismE0ELb1ES3_N6thrust23THRUST_200600_302600_NS6detail15normal_iteratorINS9_10device_ptrIsEEEESE_SE_sNS9_4plusIsEE19head_flag_predicatesEE10hipError_tPvRmT2_T3_T4_T5_mT6_T7_P12ihipStream_tbENKUlT_T0_E_clISt17integral_constantIbLb0EESX_IbLb1EEEEDaST_SU_EUlST_E_NS1_11comp_targetILNS1_3genE9ELNS1_11target_archE1100ELNS1_3gpuE3ELNS1_3repE0EEENS1_30default_config_static_selectorELNS0_4arch9wavefront6targetE1EEEvT1_,comdat
	.protected	_ZN7rocprim17ROCPRIM_400000_NS6detail17trampoline_kernelINS0_14default_configENS1_27scan_by_key_config_selectorIssEEZZNS1_16scan_by_key_implILNS1_25lookback_scan_determinismE0ELb1ES3_N6thrust23THRUST_200600_302600_NS6detail15normal_iteratorINS9_10device_ptrIsEEEESE_SE_sNS9_4plusIsEE19head_flag_predicatesEE10hipError_tPvRmT2_T3_T4_T5_mT6_T7_P12ihipStream_tbENKUlT_T0_E_clISt17integral_constantIbLb0EESX_IbLb1EEEEDaST_SU_EUlST_E_NS1_11comp_targetILNS1_3genE9ELNS1_11target_archE1100ELNS1_3gpuE3ELNS1_3repE0EEENS1_30default_config_static_selectorELNS0_4arch9wavefront6targetE1EEEvT1_ ; -- Begin function _ZN7rocprim17ROCPRIM_400000_NS6detail17trampoline_kernelINS0_14default_configENS1_27scan_by_key_config_selectorIssEEZZNS1_16scan_by_key_implILNS1_25lookback_scan_determinismE0ELb1ES3_N6thrust23THRUST_200600_302600_NS6detail15normal_iteratorINS9_10device_ptrIsEEEESE_SE_sNS9_4plusIsEE19head_flag_predicatesEE10hipError_tPvRmT2_T3_T4_T5_mT6_T7_P12ihipStream_tbENKUlT_T0_E_clISt17integral_constantIbLb0EESX_IbLb1EEEEDaST_SU_EUlST_E_NS1_11comp_targetILNS1_3genE9ELNS1_11target_archE1100ELNS1_3gpuE3ELNS1_3repE0EEENS1_30default_config_static_selectorELNS0_4arch9wavefront6targetE1EEEvT1_
	.globl	_ZN7rocprim17ROCPRIM_400000_NS6detail17trampoline_kernelINS0_14default_configENS1_27scan_by_key_config_selectorIssEEZZNS1_16scan_by_key_implILNS1_25lookback_scan_determinismE0ELb1ES3_N6thrust23THRUST_200600_302600_NS6detail15normal_iteratorINS9_10device_ptrIsEEEESE_SE_sNS9_4plusIsEE19head_flag_predicatesEE10hipError_tPvRmT2_T3_T4_T5_mT6_T7_P12ihipStream_tbENKUlT_T0_E_clISt17integral_constantIbLb0EESX_IbLb1EEEEDaST_SU_EUlST_E_NS1_11comp_targetILNS1_3genE9ELNS1_11target_archE1100ELNS1_3gpuE3ELNS1_3repE0EEENS1_30default_config_static_selectorELNS0_4arch9wavefront6targetE1EEEvT1_
	.p2align	8
	.type	_ZN7rocprim17ROCPRIM_400000_NS6detail17trampoline_kernelINS0_14default_configENS1_27scan_by_key_config_selectorIssEEZZNS1_16scan_by_key_implILNS1_25lookback_scan_determinismE0ELb1ES3_N6thrust23THRUST_200600_302600_NS6detail15normal_iteratorINS9_10device_ptrIsEEEESE_SE_sNS9_4plusIsEE19head_flag_predicatesEE10hipError_tPvRmT2_T3_T4_T5_mT6_T7_P12ihipStream_tbENKUlT_T0_E_clISt17integral_constantIbLb0EESX_IbLb1EEEEDaST_SU_EUlST_E_NS1_11comp_targetILNS1_3genE9ELNS1_11target_archE1100ELNS1_3gpuE3ELNS1_3repE0EEENS1_30default_config_static_selectorELNS0_4arch9wavefront6targetE1EEEvT1_,@function
_ZN7rocprim17ROCPRIM_400000_NS6detail17trampoline_kernelINS0_14default_configENS1_27scan_by_key_config_selectorIssEEZZNS1_16scan_by_key_implILNS1_25lookback_scan_determinismE0ELb1ES3_N6thrust23THRUST_200600_302600_NS6detail15normal_iteratorINS9_10device_ptrIsEEEESE_SE_sNS9_4plusIsEE19head_flag_predicatesEE10hipError_tPvRmT2_T3_T4_T5_mT6_T7_P12ihipStream_tbENKUlT_T0_E_clISt17integral_constantIbLb0EESX_IbLb1EEEEDaST_SU_EUlST_E_NS1_11comp_targetILNS1_3genE9ELNS1_11target_archE1100ELNS1_3gpuE3ELNS1_3repE0EEENS1_30default_config_static_selectorELNS0_4arch9wavefront6targetE1EEEvT1_: ; @_ZN7rocprim17ROCPRIM_400000_NS6detail17trampoline_kernelINS0_14default_configENS1_27scan_by_key_config_selectorIssEEZZNS1_16scan_by_key_implILNS1_25lookback_scan_determinismE0ELb1ES3_N6thrust23THRUST_200600_302600_NS6detail15normal_iteratorINS9_10device_ptrIsEEEESE_SE_sNS9_4plusIsEE19head_flag_predicatesEE10hipError_tPvRmT2_T3_T4_T5_mT6_T7_P12ihipStream_tbENKUlT_T0_E_clISt17integral_constantIbLb0EESX_IbLb1EEEEDaST_SU_EUlST_E_NS1_11comp_targetILNS1_3genE9ELNS1_11target_archE1100ELNS1_3gpuE3ELNS1_3repE0EEENS1_30default_config_static_selectorELNS0_4arch9wavefront6targetE1EEEvT1_
; %bb.0:
	.section	.rodata,"a",@progbits
	.p2align	6, 0x0
	.amdhsa_kernel _ZN7rocprim17ROCPRIM_400000_NS6detail17trampoline_kernelINS0_14default_configENS1_27scan_by_key_config_selectorIssEEZZNS1_16scan_by_key_implILNS1_25lookback_scan_determinismE0ELb1ES3_N6thrust23THRUST_200600_302600_NS6detail15normal_iteratorINS9_10device_ptrIsEEEESE_SE_sNS9_4plusIsEE19head_flag_predicatesEE10hipError_tPvRmT2_T3_T4_T5_mT6_T7_P12ihipStream_tbENKUlT_T0_E_clISt17integral_constantIbLb0EESX_IbLb1EEEEDaST_SU_EUlST_E_NS1_11comp_targetILNS1_3genE9ELNS1_11target_archE1100ELNS1_3gpuE3ELNS1_3repE0EEENS1_30default_config_static_selectorELNS0_4arch9wavefront6targetE1EEEvT1_
		.amdhsa_group_segment_fixed_size 0
		.amdhsa_private_segment_fixed_size 0
		.amdhsa_kernarg_size 112
		.amdhsa_user_sgpr_count 6
		.amdhsa_user_sgpr_private_segment_buffer 1
		.amdhsa_user_sgpr_dispatch_ptr 0
		.amdhsa_user_sgpr_queue_ptr 0
		.amdhsa_user_sgpr_kernarg_segment_ptr 1
		.amdhsa_user_sgpr_dispatch_id 0
		.amdhsa_user_sgpr_flat_scratch_init 0
		.amdhsa_user_sgpr_kernarg_preload_length 0
		.amdhsa_user_sgpr_kernarg_preload_offset 0
		.amdhsa_user_sgpr_private_segment_size 0
		.amdhsa_uses_dynamic_stack 0
		.amdhsa_system_sgpr_private_segment_wavefront_offset 0
		.amdhsa_system_sgpr_workgroup_id_x 1
		.amdhsa_system_sgpr_workgroup_id_y 0
		.amdhsa_system_sgpr_workgroup_id_z 0
		.amdhsa_system_sgpr_workgroup_info 0
		.amdhsa_system_vgpr_workitem_id 0
		.amdhsa_next_free_vgpr 1
		.amdhsa_next_free_sgpr 0
		.amdhsa_accum_offset 4
		.amdhsa_reserve_vcc 0
		.amdhsa_reserve_flat_scratch 0
		.amdhsa_float_round_mode_32 0
		.amdhsa_float_round_mode_16_64 0
		.amdhsa_float_denorm_mode_32 3
		.amdhsa_float_denorm_mode_16_64 3
		.amdhsa_dx10_clamp 1
		.amdhsa_ieee_mode 1
		.amdhsa_fp16_overflow 0
		.amdhsa_tg_split 0
		.amdhsa_exception_fp_ieee_invalid_op 0
		.amdhsa_exception_fp_denorm_src 0
		.amdhsa_exception_fp_ieee_div_zero 0
		.amdhsa_exception_fp_ieee_overflow 0
		.amdhsa_exception_fp_ieee_underflow 0
		.amdhsa_exception_fp_ieee_inexact 0
		.amdhsa_exception_int_div_zero 0
	.end_amdhsa_kernel
	.section	.text._ZN7rocprim17ROCPRIM_400000_NS6detail17trampoline_kernelINS0_14default_configENS1_27scan_by_key_config_selectorIssEEZZNS1_16scan_by_key_implILNS1_25lookback_scan_determinismE0ELb1ES3_N6thrust23THRUST_200600_302600_NS6detail15normal_iteratorINS9_10device_ptrIsEEEESE_SE_sNS9_4plusIsEE19head_flag_predicatesEE10hipError_tPvRmT2_T3_T4_T5_mT6_T7_P12ihipStream_tbENKUlT_T0_E_clISt17integral_constantIbLb0EESX_IbLb1EEEEDaST_SU_EUlST_E_NS1_11comp_targetILNS1_3genE9ELNS1_11target_archE1100ELNS1_3gpuE3ELNS1_3repE0EEENS1_30default_config_static_selectorELNS0_4arch9wavefront6targetE1EEEvT1_,"axG",@progbits,_ZN7rocprim17ROCPRIM_400000_NS6detail17trampoline_kernelINS0_14default_configENS1_27scan_by_key_config_selectorIssEEZZNS1_16scan_by_key_implILNS1_25lookback_scan_determinismE0ELb1ES3_N6thrust23THRUST_200600_302600_NS6detail15normal_iteratorINS9_10device_ptrIsEEEESE_SE_sNS9_4plusIsEE19head_flag_predicatesEE10hipError_tPvRmT2_T3_T4_T5_mT6_T7_P12ihipStream_tbENKUlT_T0_E_clISt17integral_constantIbLb0EESX_IbLb1EEEEDaST_SU_EUlST_E_NS1_11comp_targetILNS1_3genE9ELNS1_11target_archE1100ELNS1_3gpuE3ELNS1_3repE0EEENS1_30default_config_static_selectorELNS0_4arch9wavefront6targetE1EEEvT1_,comdat
.Lfunc_end891:
	.size	_ZN7rocprim17ROCPRIM_400000_NS6detail17trampoline_kernelINS0_14default_configENS1_27scan_by_key_config_selectorIssEEZZNS1_16scan_by_key_implILNS1_25lookback_scan_determinismE0ELb1ES3_N6thrust23THRUST_200600_302600_NS6detail15normal_iteratorINS9_10device_ptrIsEEEESE_SE_sNS9_4plusIsEE19head_flag_predicatesEE10hipError_tPvRmT2_T3_T4_T5_mT6_T7_P12ihipStream_tbENKUlT_T0_E_clISt17integral_constantIbLb0EESX_IbLb1EEEEDaST_SU_EUlST_E_NS1_11comp_targetILNS1_3genE9ELNS1_11target_archE1100ELNS1_3gpuE3ELNS1_3repE0EEENS1_30default_config_static_selectorELNS0_4arch9wavefront6targetE1EEEvT1_, .Lfunc_end891-_ZN7rocprim17ROCPRIM_400000_NS6detail17trampoline_kernelINS0_14default_configENS1_27scan_by_key_config_selectorIssEEZZNS1_16scan_by_key_implILNS1_25lookback_scan_determinismE0ELb1ES3_N6thrust23THRUST_200600_302600_NS6detail15normal_iteratorINS9_10device_ptrIsEEEESE_SE_sNS9_4plusIsEE19head_flag_predicatesEE10hipError_tPvRmT2_T3_T4_T5_mT6_T7_P12ihipStream_tbENKUlT_T0_E_clISt17integral_constantIbLb0EESX_IbLb1EEEEDaST_SU_EUlST_E_NS1_11comp_targetILNS1_3genE9ELNS1_11target_archE1100ELNS1_3gpuE3ELNS1_3repE0EEENS1_30default_config_static_selectorELNS0_4arch9wavefront6targetE1EEEvT1_
                                        ; -- End function
	.section	.AMDGPU.csdata,"",@progbits
; Kernel info:
; codeLenInByte = 0
; NumSgprs: 4
; NumVgprs: 0
; NumAgprs: 0
; TotalNumVgprs: 0
; ScratchSize: 0
; MemoryBound: 0
; FloatMode: 240
; IeeeMode: 1
; LDSByteSize: 0 bytes/workgroup (compile time only)
; SGPRBlocks: 0
; VGPRBlocks: 0
; NumSGPRsForWavesPerEU: 4
; NumVGPRsForWavesPerEU: 1
; AccumOffset: 4
; Occupancy: 8
; WaveLimiterHint : 0
; COMPUTE_PGM_RSRC2:SCRATCH_EN: 0
; COMPUTE_PGM_RSRC2:USER_SGPR: 6
; COMPUTE_PGM_RSRC2:TRAP_HANDLER: 0
; COMPUTE_PGM_RSRC2:TGID_X_EN: 1
; COMPUTE_PGM_RSRC2:TGID_Y_EN: 0
; COMPUTE_PGM_RSRC2:TGID_Z_EN: 0
; COMPUTE_PGM_RSRC2:TIDIG_COMP_CNT: 0
; COMPUTE_PGM_RSRC3_GFX90A:ACCUM_OFFSET: 0
; COMPUTE_PGM_RSRC3_GFX90A:TG_SPLIT: 0
	.section	.text._ZN7rocprim17ROCPRIM_400000_NS6detail17trampoline_kernelINS0_14default_configENS1_27scan_by_key_config_selectorIssEEZZNS1_16scan_by_key_implILNS1_25lookback_scan_determinismE0ELb1ES3_N6thrust23THRUST_200600_302600_NS6detail15normal_iteratorINS9_10device_ptrIsEEEESE_SE_sNS9_4plusIsEE19head_flag_predicatesEE10hipError_tPvRmT2_T3_T4_T5_mT6_T7_P12ihipStream_tbENKUlT_T0_E_clISt17integral_constantIbLb0EESX_IbLb1EEEEDaST_SU_EUlST_E_NS1_11comp_targetILNS1_3genE8ELNS1_11target_archE1030ELNS1_3gpuE2ELNS1_3repE0EEENS1_30default_config_static_selectorELNS0_4arch9wavefront6targetE1EEEvT1_,"axG",@progbits,_ZN7rocprim17ROCPRIM_400000_NS6detail17trampoline_kernelINS0_14default_configENS1_27scan_by_key_config_selectorIssEEZZNS1_16scan_by_key_implILNS1_25lookback_scan_determinismE0ELb1ES3_N6thrust23THRUST_200600_302600_NS6detail15normal_iteratorINS9_10device_ptrIsEEEESE_SE_sNS9_4plusIsEE19head_flag_predicatesEE10hipError_tPvRmT2_T3_T4_T5_mT6_T7_P12ihipStream_tbENKUlT_T0_E_clISt17integral_constantIbLb0EESX_IbLb1EEEEDaST_SU_EUlST_E_NS1_11comp_targetILNS1_3genE8ELNS1_11target_archE1030ELNS1_3gpuE2ELNS1_3repE0EEENS1_30default_config_static_selectorELNS0_4arch9wavefront6targetE1EEEvT1_,comdat
	.protected	_ZN7rocprim17ROCPRIM_400000_NS6detail17trampoline_kernelINS0_14default_configENS1_27scan_by_key_config_selectorIssEEZZNS1_16scan_by_key_implILNS1_25lookback_scan_determinismE0ELb1ES3_N6thrust23THRUST_200600_302600_NS6detail15normal_iteratorINS9_10device_ptrIsEEEESE_SE_sNS9_4plusIsEE19head_flag_predicatesEE10hipError_tPvRmT2_T3_T4_T5_mT6_T7_P12ihipStream_tbENKUlT_T0_E_clISt17integral_constantIbLb0EESX_IbLb1EEEEDaST_SU_EUlST_E_NS1_11comp_targetILNS1_3genE8ELNS1_11target_archE1030ELNS1_3gpuE2ELNS1_3repE0EEENS1_30default_config_static_selectorELNS0_4arch9wavefront6targetE1EEEvT1_ ; -- Begin function _ZN7rocprim17ROCPRIM_400000_NS6detail17trampoline_kernelINS0_14default_configENS1_27scan_by_key_config_selectorIssEEZZNS1_16scan_by_key_implILNS1_25lookback_scan_determinismE0ELb1ES3_N6thrust23THRUST_200600_302600_NS6detail15normal_iteratorINS9_10device_ptrIsEEEESE_SE_sNS9_4plusIsEE19head_flag_predicatesEE10hipError_tPvRmT2_T3_T4_T5_mT6_T7_P12ihipStream_tbENKUlT_T0_E_clISt17integral_constantIbLb0EESX_IbLb1EEEEDaST_SU_EUlST_E_NS1_11comp_targetILNS1_3genE8ELNS1_11target_archE1030ELNS1_3gpuE2ELNS1_3repE0EEENS1_30default_config_static_selectorELNS0_4arch9wavefront6targetE1EEEvT1_
	.globl	_ZN7rocprim17ROCPRIM_400000_NS6detail17trampoline_kernelINS0_14default_configENS1_27scan_by_key_config_selectorIssEEZZNS1_16scan_by_key_implILNS1_25lookback_scan_determinismE0ELb1ES3_N6thrust23THRUST_200600_302600_NS6detail15normal_iteratorINS9_10device_ptrIsEEEESE_SE_sNS9_4plusIsEE19head_flag_predicatesEE10hipError_tPvRmT2_T3_T4_T5_mT6_T7_P12ihipStream_tbENKUlT_T0_E_clISt17integral_constantIbLb0EESX_IbLb1EEEEDaST_SU_EUlST_E_NS1_11comp_targetILNS1_3genE8ELNS1_11target_archE1030ELNS1_3gpuE2ELNS1_3repE0EEENS1_30default_config_static_selectorELNS0_4arch9wavefront6targetE1EEEvT1_
	.p2align	8
	.type	_ZN7rocprim17ROCPRIM_400000_NS6detail17trampoline_kernelINS0_14default_configENS1_27scan_by_key_config_selectorIssEEZZNS1_16scan_by_key_implILNS1_25lookback_scan_determinismE0ELb1ES3_N6thrust23THRUST_200600_302600_NS6detail15normal_iteratorINS9_10device_ptrIsEEEESE_SE_sNS9_4plusIsEE19head_flag_predicatesEE10hipError_tPvRmT2_T3_T4_T5_mT6_T7_P12ihipStream_tbENKUlT_T0_E_clISt17integral_constantIbLb0EESX_IbLb1EEEEDaST_SU_EUlST_E_NS1_11comp_targetILNS1_3genE8ELNS1_11target_archE1030ELNS1_3gpuE2ELNS1_3repE0EEENS1_30default_config_static_selectorELNS0_4arch9wavefront6targetE1EEEvT1_,@function
_ZN7rocprim17ROCPRIM_400000_NS6detail17trampoline_kernelINS0_14default_configENS1_27scan_by_key_config_selectorIssEEZZNS1_16scan_by_key_implILNS1_25lookback_scan_determinismE0ELb1ES3_N6thrust23THRUST_200600_302600_NS6detail15normal_iteratorINS9_10device_ptrIsEEEESE_SE_sNS9_4plusIsEE19head_flag_predicatesEE10hipError_tPvRmT2_T3_T4_T5_mT6_T7_P12ihipStream_tbENKUlT_T0_E_clISt17integral_constantIbLb0EESX_IbLb1EEEEDaST_SU_EUlST_E_NS1_11comp_targetILNS1_3genE8ELNS1_11target_archE1030ELNS1_3gpuE2ELNS1_3repE0EEENS1_30default_config_static_selectorELNS0_4arch9wavefront6targetE1EEEvT1_: ; @_ZN7rocprim17ROCPRIM_400000_NS6detail17trampoline_kernelINS0_14default_configENS1_27scan_by_key_config_selectorIssEEZZNS1_16scan_by_key_implILNS1_25lookback_scan_determinismE0ELb1ES3_N6thrust23THRUST_200600_302600_NS6detail15normal_iteratorINS9_10device_ptrIsEEEESE_SE_sNS9_4plusIsEE19head_flag_predicatesEE10hipError_tPvRmT2_T3_T4_T5_mT6_T7_P12ihipStream_tbENKUlT_T0_E_clISt17integral_constantIbLb0EESX_IbLb1EEEEDaST_SU_EUlST_E_NS1_11comp_targetILNS1_3genE8ELNS1_11target_archE1030ELNS1_3gpuE2ELNS1_3repE0EEENS1_30default_config_static_selectorELNS0_4arch9wavefront6targetE1EEEvT1_
; %bb.0:
	.section	.rodata,"a",@progbits
	.p2align	6, 0x0
	.amdhsa_kernel _ZN7rocprim17ROCPRIM_400000_NS6detail17trampoline_kernelINS0_14default_configENS1_27scan_by_key_config_selectorIssEEZZNS1_16scan_by_key_implILNS1_25lookback_scan_determinismE0ELb1ES3_N6thrust23THRUST_200600_302600_NS6detail15normal_iteratorINS9_10device_ptrIsEEEESE_SE_sNS9_4plusIsEE19head_flag_predicatesEE10hipError_tPvRmT2_T3_T4_T5_mT6_T7_P12ihipStream_tbENKUlT_T0_E_clISt17integral_constantIbLb0EESX_IbLb1EEEEDaST_SU_EUlST_E_NS1_11comp_targetILNS1_3genE8ELNS1_11target_archE1030ELNS1_3gpuE2ELNS1_3repE0EEENS1_30default_config_static_selectorELNS0_4arch9wavefront6targetE1EEEvT1_
		.amdhsa_group_segment_fixed_size 0
		.amdhsa_private_segment_fixed_size 0
		.amdhsa_kernarg_size 112
		.amdhsa_user_sgpr_count 6
		.amdhsa_user_sgpr_private_segment_buffer 1
		.amdhsa_user_sgpr_dispatch_ptr 0
		.amdhsa_user_sgpr_queue_ptr 0
		.amdhsa_user_sgpr_kernarg_segment_ptr 1
		.amdhsa_user_sgpr_dispatch_id 0
		.amdhsa_user_sgpr_flat_scratch_init 0
		.amdhsa_user_sgpr_kernarg_preload_length 0
		.amdhsa_user_sgpr_kernarg_preload_offset 0
		.amdhsa_user_sgpr_private_segment_size 0
		.amdhsa_uses_dynamic_stack 0
		.amdhsa_system_sgpr_private_segment_wavefront_offset 0
		.amdhsa_system_sgpr_workgroup_id_x 1
		.amdhsa_system_sgpr_workgroup_id_y 0
		.amdhsa_system_sgpr_workgroup_id_z 0
		.amdhsa_system_sgpr_workgroup_info 0
		.amdhsa_system_vgpr_workitem_id 0
		.amdhsa_next_free_vgpr 1
		.amdhsa_next_free_sgpr 0
		.amdhsa_accum_offset 4
		.amdhsa_reserve_vcc 0
		.amdhsa_reserve_flat_scratch 0
		.amdhsa_float_round_mode_32 0
		.amdhsa_float_round_mode_16_64 0
		.amdhsa_float_denorm_mode_32 3
		.amdhsa_float_denorm_mode_16_64 3
		.amdhsa_dx10_clamp 1
		.amdhsa_ieee_mode 1
		.amdhsa_fp16_overflow 0
		.amdhsa_tg_split 0
		.amdhsa_exception_fp_ieee_invalid_op 0
		.amdhsa_exception_fp_denorm_src 0
		.amdhsa_exception_fp_ieee_div_zero 0
		.amdhsa_exception_fp_ieee_overflow 0
		.amdhsa_exception_fp_ieee_underflow 0
		.amdhsa_exception_fp_ieee_inexact 0
		.amdhsa_exception_int_div_zero 0
	.end_amdhsa_kernel
	.section	.text._ZN7rocprim17ROCPRIM_400000_NS6detail17trampoline_kernelINS0_14default_configENS1_27scan_by_key_config_selectorIssEEZZNS1_16scan_by_key_implILNS1_25lookback_scan_determinismE0ELb1ES3_N6thrust23THRUST_200600_302600_NS6detail15normal_iteratorINS9_10device_ptrIsEEEESE_SE_sNS9_4plusIsEE19head_flag_predicatesEE10hipError_tPvRmT2_T3_T4_T5_mT6_T7_P12ihipStream_tbENKUlT_T0_E_clISt17integral_constantIbLb0EESX_IbLb1EEEEDaST_SU_EUlST_E_NS1_11comp_targetILNS1_3genE8ELNS1_11target_archE1030ELNS1_3gpuE2ELNS1_3repE0EEENS1_30default_config_static_selectorELNS0_4arch9wavefront6targetE1EEEvT1_,"axG",@progbits,_ZN7rocprim17ROCPRIM_400000_NS6detail17trampoline_kernelINS0_14default_configENS1_27scan_by_key_config_selectorIssEEZZNS1_16scan_by_key_implILNS1_25lookback_scan_determinismE0ELb1ES3_N6thrust23THRUST_200600_302600_NS6detail15normal_iteratorINS9_10device_ptrIsEEEESE_SE_sNS9_4plusIsEE19head_flag_predicatesEE10hipError_tPvRmT2_T3_T4_T5_mT6_T7_P12ihipStream_tbENKUlT_T0_E_clISt17integral_constantIbLb0EESX_IbLb1EEEEDaST_SU_EUlST_E_NS1_11comp_targetILNS1_3genE8ELNS1_11target_archE1030ELNS1_3gpuE2ELNS1_3repE0EEENS1_30default_config_static_selectorELNS0_4arch9wavefront6targetE1EEEvT1_,comdat
.Lfunc_end892:
	.size	_ZN7rocprim17ROCPRIM_400000_NS6detail17trampoline_kernelINS0_14default_configENS1_27scan_by_key_config_selectorIssEEZZNS1_16scan_by_key_implILNS1_25lookback_scan_determinismE0ELb1ES3_N6thrust23THRUST_200600_302600_NS6detail15normal_iteratorINS9_10device_ptrIsEEEESE_SE_sNS9_4plusIsEE19head_flag_predicatesEE10hipError_tPvRmT2_T3_T4_T5_mT6_T7_P12ihipStream_tbENKUlT_T0_E_clISt17integral_constantIbLb0EESX_IbLb1EEEEDaST_SU_EUlST_E_NS1_11comp_targetILNS1_3genE8ELNS1_11target_archE1030ELNS1_3gpuE2ELNS1_3repE0EEENS1_30default_config_static_selectorELNS0_4arch9wavefront6targetE1EEEvT1_, .Lfunc_end892-_ZN7rocprim17ROCPRIM_400000_NS6detail17trampoline_kernelINS0_14default_configENS1_27scan_by_key_config_selectorIssEEZZNS1_16scan_by_key_implILNS1_25lookback_scan_determinismE0ELb1ES3_N6thrust23THRUST_200600_302600_NS6detail15normal_iteratorINS9_10device_ptrIsEEEESE_SE_sNS9_4plusIsEE19head_flag_predicatesEE10hipError_tPvRmT2_T3_T4_T5_mT6_T7_P12ihipStream_tbENKUlT_T0_E_clISt17integral_constantIbLb0EESX_IbLb1EEEEDaST_SU_EUlST_E_NS1_11comp_targetILNS1_3genE8ELNS1_11target_archE1030ELNS1_3gpuE2ELNS1_3repE0EEENS1_30default_config_static_selectorELNS0_4arch9wavefront6targetE1EEEvT1_
                                        ; -- End function
	.section	.AMDGPU.csdata,"",@progbits
; Kernel info:
; codeLenInByte = 0
; NumSgprs: 4
; NumVgprs: 0
; NumAgprs: 0
; TotalNumVgprs: 0
; ScratchSize: 0
; MemoryBound: 0
; FloatMode: 240
; IeeeMode: 1
; LDSByteSize: 0 bytes/workgroup (compile time only)
; SGPRBlocks: 0
; VGPRBlocks: 0
; NumSGPRsForWavesPerEU: 4
; NumVGPRsForWavesPerEU: 1
; AccumOffset: 4
; Occupancy: 8
; WaveLimiterHint : 0
; COMPUTE_PGM_RSRC2:SCRATCH_EN: 0
; COMPUTE_PGM_RSRC2:USER_SGPR: 6
; COMPUTE_PGM_RSRC2:TRAP_HANDLER: 0
; COMPUTE_PGM_RSRC2:TGID_X_EN: 1
; COMPUTE_PGM_RSRC2:TGID_Y_EN: 0
; COMPUTE_PGM_RSRC2:TGID_Z_EN: 0
; COMPUTE_PGM_RSRC2:TIDIG_COMP_CNT: 0
; COMPUTE_PGM_RSRC3_GFX90A:ACCUM_OFFSET: 0
; COMPUTE_PGM_RSRC3_GFX90A:TG_SPLIT: 0
	.section	.text._ZN7rocprim17ROCPRIM_400000_NS6detail17trampoline_kernelINS0_14default_configENS1_27scan_by_key_config_selectorIxxEEZZNS1_16scan_by_key_implILNS1_25lookback_scan_determinismE0ELb0ES3_N6thrust23THRUST_200600_302600_NS6detail15normal_iteratorINS9_10device_ptrIxEEEENS9_18transform_iteratorINS9_6negateIxEESE_NS9_11use_defaultESI_EESE_xNS9_4plusIvEENS9_8equal_toIvEExEE10hipError_tPvRmT2_T3_T4_T5_mT6_T7_P12ihipStream_tbENKUlT_T0_E_clISt17integral_constantIbLb0EES14_EEDaSZ_S10_EUlSZ_E_NS1_11comp_targetILNS1_3genE0ELNS1_11target_archE4294967295ELNS1_3gpuE0ELNS1_3repE0EEENS1_30default_config_static_selectorELNS0_4arch9wavefront6targetE1EEEvT1_,"axG",@progbits,_ZN7rocprim17ROCPRIM_400000_NS6detail17trampoline_kernelINS0_14default_configENS1_27scan_by_key_config_selectorIxxEEZZNS1_16scan_by_key_implILNS1_25lookback_scan_determinismE0ELb0ES3_N6thrust23THRUST_200600_302600_NS6detail15normal_iteratorINS9_10device_ptrIxEEEENS9_18transform_iteratorINS9_6negateIxEESE_NS9_11use_defaultESI_EESE_xNS9_4plusIvEENS9_8equal_toIvEExEE10hipError_tPvRmT2_T3_T4_T5_mT6_T7_P12ihipStream_tbENKUlT_T0_E_clISt17integral_constantIbLb0EES14_EEDaSZ_S10_EUlSZ_E_NS1_11comp_targetILNS1_3genE0ELNS1_11target_archE4294967295ELNS1_3gpuE0ELNS1_3repE0EEENS1_30default_config_static_selectorELNS0_4arch9wavefront6targetE1EEEvT1_,comdat
	.protected	_ZN7rocprim17ROCPRIM_400000_NS6detail17trampoline_kernelINS0_14default_configENS1_27scan_by_key_config_selectorIxxEEZZNS1_16scan_by_key_implILNS1_25lookback_scan_determinismE0ELb0ES3_N6thrust23THRUST_200600_302600_NS6detail15normal_iteratorINS9_10device_ptrIxEEEENS9_18transform_iteratorINS9_6negateIxEESE_NS9_11use_defaultESI_EESE_xNS9_4plusIvEENS9_8equal_toIvEExEE10hipError_tPvRmT2_T3_T4_T5_mT6_T7_P12ihipStream_tbENKUlT_T0_E_clISt17integral_constantIbLb0EES14_EEDaSZ_S10_EUlSZ_E_NS1_11comp_targetILNS1_3genE0ELNS1_11target_archE4294967295ELNS1_3gpuE0ELNS1_3repE0EEENS1_30default_config_static_selectorELNS0_4arch9wavefront6targetE1EEEvT1_ ; -- Begin function _ZN7rocprim17ROCPRIM_400000_NS6detail17trampoline_kernelINS0_14default_configENS1_27scan_by_key_config_selectorIxxEEZZNS1_16scan_by_key_implILNS1_25lookback_scan_determinismE0ELb0ES3_N6thrust23THRUST_200600_302600_NS6detail15normal_iteratorINS9_10device_ptrIxEEEENS9_18transform_iteratorINS9_6negateIxEESE_NS9_11use_defaultESI_EESE_xNS9_4plusIvEENS9_8equal_toIvEExEE10hipError_tPvRmT2_T3_T4_T5_mT6_T7_P12ihipStream_tbENKUlT_T0_E_clISt17integral_constantIbLb0EES14_EEDaSZ_S10_EUlSZ_E_NS1_11comp_targetILNS1_3genE0ELNS1_11target_archE4294967295ELNS1_3gpuE0ELNS1_3repE0EEENS1_30default_config_static_selectorELNS0_4arch9wavefront6targetE1EEEvT1_
	.globl	_ZN7rocprim17ROCPRIM_400000_NS6detail17trampoline_kernelINS0_14default_configENS1_27scan_by_key_config_selectorIxxEEZZNS1_16scan_by_key_implILNS1_25lookback_scan_determinismE0ELb0ES3_N6thrust23THRUST_200600_302600_NS6detail15normal_iteratorINS9_10device_ptrIxEEEENS9_18transform_iteratorINS9_6negateIxEESE_NS9_11use_defaultESI_EESE_xNS9_4plusIvEENS9_8equal_toIvEExEE10hipError_tPvRmT2_T3_T4_T5_mT6_T7_P12ihipStream_tbENKUlT_T0_E_clISt17integral_constantIbLb0EES14_EEDaSZ_S10_EUlSZ_E_NS1_11comp_targetILNS1_3genE0ELNS1_11target_archE4294967295ELNS1_3gpuE0ELNS1_3repE0EEENS1_30default_config_static_selectorELNS0_4arch9wavefront6targetE1EEEvT1_
	.p2align	8
	.type	_ZN7rocprim17ROCPRIM_400000_NS6detail17trampoline_kernelINS0_14default_configENS1_27scan_by_key_config_selectorIxxEEZZNS1_16scan_by_key_implILNS1_25lookback_scan_determinismE0ELb0ES3_N6thrust23THRUST_200600_302600_NS6detail15normal_iteratorINS9_10device_ptrIxEEEENS9_18transform_iteratorINS9_6negateIxEESE_NS9_11use_defaultESI_EESE_xNS9_4plusIvEENS9_8equal_toIvEExEE10hipError_tPvRmT2_T3_T4_T5_mT6_T7_P12ihipStream_tbENKUlT_T0_E_clISt17integral_constantIbLb0EES14_EEDaSZ_S10_EUlSZ_E_NS1_11comp_targetILNS1_3genE0ELNS1_11target_archE4294967295ELNS1_3gpuE0ELNS1_3repE0EEENS1_30default_config_static_selectorELNS0_4arch9wavefront6targetE1EEEvT1_,@function
_ZN7rocprim17ROCPRIM_400000_NS6detail17trampoline_kernelINS0_14default_configENS1_27scan_by_key_config_selectorIxxEEZZNS1_16scan_by_key_implILNS1_25lookback_scan_determinismE0ELb0ES3_N6thrust23THRUST_200600_302600_NS6detail15normal_iteratorINS9_10device_ptrIxEEEENS9_18transform_iteratorINS9_6negateIxEESE_NS9_11use_defaultESI_EESE_xNS9_4plusIvEENS9_8equal_toIvEExEE10hipError_tPvRmT2_T3_T4_T5_mT6_T7_P12ihipStream_tbENKUlT_T0_E_clISt17integral_constantIbLb0EES14_EEDaSZ_S10_EUlSZ_E_NS1_11comp_targetILNS1_3genE0ELNS1_11target_archE4294967295ELNS1_3gpuE0ELNS1_3repE0EEENS1_30default_config_static_selectorELNS0_4arch9wavefront6targetE1EEEvT1_: ; @_ZN7rocprim17ROCPRIM_400000_NS6detail17trampoline_kernelINS0_14default_configENS1_27scan_by_key_config_selectorIxxEEZZNS1_16scan_by_key_implILNS1_25lookback_scan_determinismE0ELb0ES3_N6thrust23THRUST_200600_302600_NS6detail15normal_iteratorINS9_10device_ptrIxEEEENS9_18transform_iteratorINS9_6negateIxEESE_NS9_11use_defaultESI_EESE_xNS9_4plusIvEENS9_8equal_toIvEExEE10hipError_tPvRmT2_T3_T4_T5_mT6_T7_P12ihipStream_tbENKUlT_T0_E_clISt17integral_constantIbLb0EES14_EEDaSZ_S10_EUlSZ_E_NS1_11comp_targetILNS1_3genE0ELNS1_11target_archE4294967295ELNS1_3gpuE0ELNS1_3repE0EEENS1_30default_config_static_selectorELNS0_4arch9wavefront6targetE1EEEvT1_
; %bb.0:
	.section	.rodata,"a",@progbits
	.p2align	6, 0x0
	.amdhsa_kernel _ZN7rocprim17ROCPRIM_400000_NS6detail17trampoline_kernelINS0_14default_configENS1_27scan_by_key_config_selectorIxxEEZZNS1_16scan_by_key_implILNS1_25lookback_scan_determinismE0ELb0ES3_N6thrust23THRUST_200600_302600_NS6detail15normal_iteratorINS9_10device_ptrIxEEEENS9_18transform_iteratorINS9_6negateIxEESE_NS9_11use_defaultESI_EESE_xNS9_4plusIvEENS9_8equal_toIvEExEE10hipError_tPvRmT2_T3_T4_T5_mT6_T7_P12ihipStream_tbENKUlT_T0_E_clISt17integral_constantIbLb0EES14_EEDaSZ_S10_EUlSZ_E_NS1_11comp_targetILNS1_3genE0ELNS1_11target_archE4294967295ELNS1_3gpuE0ELNS1_3repE0EEENS1_30default_config_static_selectorELNS0_4arch9wavefront6targetE1EEEvT1_
		.amdhsa_group_segment_fixed_size 0
		.amdhsa_private_segment_fixed_size 0
		.amdhsa_kernarg_size 144
		.amdhsa_user_sgpr_count 6
		.amdhsa_user_sgpr_private_segment_buffer 1
		.amdhsa_user_sgpr_dispatch_ptr 0
		.amdhsa_user_sgpr_queue_ptr 0
		.amdhsa_user_sgpr_kernarg_segment_ptr 1
		.amdhsa_user_sgpr_dispatch_id 0
		.amdhsa_user_sgpr_flat_scratch_init 0
		.amdhsa_user_sgpr_kernarg_preload_length 0
		.amdhsa_user_sgpr_kernarg_preload_offset 0
		.amdhsa_user_sgpr_private_segment_size 0
		.amdhsa_uses_dynamic_stack 0
		.amdhsa_system_sgpr_private_segment_wavefront_offset 0
		.amdhsa_system_sgpr_workgroup_id_x 1
		.amdhsa_system_sgpr_workgroup_id_y 0
		.amdhsa_system_sgpr_workgroup_id_z 0
		.amdhsa_system_sgpr_workgroup_info 0
		.amdhsa_system_vgpr_workitem_id 0
		.amdhsa_next_free_vgpr 1
		.amdhsa_next_free_sgpr 0
		.amdhsa_accum_offset 4
		.amdhsa_reserve_vcc 0
		.amdhsa_reserve_flat_scratch 0
		.amdhsa_float_round_mode_32 0
		.amdhsa_float_round_mode_16_64 0
		.amdhsa_float_denorm_mode_32 3
		.amdhsa_float_denorm_mode_16_64 3
		.amdhsa_dx10_clamp 1
		.amdhsa_ieee_mode 1
		.amdhsa_fp16_overflow 0
		.amdhsa_tg_split 0
		.amdhsa_exception_fp_ieee_invalid_op 0
		.amdhsa_exception_fp_denorm_src 0
		.amdhsa_exception_fp_ieee_div_zero 0
		.amdhsa_exception_fp_ieee_overflow 0
		.amdhsa_exception_fp_ieee_underflow 0
		.amdhsa_exception_fp_ieee_inexact 0
		.amdhsa_exception_int_div_zero 0
	.end_amdhsa_kernel
	.section	.text._ZN7rocprim17ROCPRIM_400000_NS6detail17trampoline_kernelINS0_14default_configENS1_27scan_by_key_config_selectorIxxEEZZNS1_16scan_by_key_implILNS1_25lookback_scan_determinismE0ELb0ES3_N6thrust23THRUST_200600_302600_NS6detail15normal_iteratorINS9_10device_ptrIxEEEENS9_18transform_iteratorINS9_6negateIxEESE_NS9_11use_defaultESI_EESE_xNS9_4plusIvEENS9_8equal_toIvEExEE10hipError_tPvRmT2_T3_T4_T5_mT6_T7_P12ihipStream_tbENKUlT_T0_E_clISt17integral_constantIbLb0EES14_EEDaSZ_S10_EUlSZ_E_NS1_11comp_targetILNS1_3genE0ELNS1_11target_archE4294967295ELNS1_3gpuE0ELNS1_3repE0EEENS1_30default_config_static_selectorELNS0_4arch9wavefront6targetE1EEEvT1_,"axG",@progbits,_ZN7rocprim17ROCPRIM_400000_NS6detail17trampoline_kernelINS0_14default_configENS1_27scan_by_key_config_selectorIxxEEZZNS1_16scan_by_key_implILNS1_25lookback_scan_determinismE0ELb0ES3_N6thrust23THRUST_200600_302600_NS6detail15normal_iteratorINS9_10device_ptrIxEEEENS9_18transform_iteratorINS9_6negateIxEESE_NS9_11use_defaultESI_EESE_xNS9_4plusIvEENS9_8equal_toIvEExEE10hipError_tPvRmT2_T3_T4_T5_mT6_T7_P12ihipStream_tbENKUlT_T0_E_clISt17integral_constantIbLb0EES14_EEDaSZ_S10_EUlSZ_E_NS1_11comp_targetILNS1_3genE0ELNS1_11target_archE4294967295ELNS1_3gpuE0ELNS1_3repE0EEENS1_30default_config_static_selectorELNS0_4arch9wavefront6targetE1EEEvT1_,comdat
.Lfunc_end893:
	.size	_ZN7rocprim17ROCPRIM_400000_NS6detail17trampoline_kernelINS0_14default_configENS1_27scan_by_key_config_selectorIxxEEZZNS1_16scan_by_key_implILNS1_25lookback_scan_determinismE0ELb0ES3_N6thrust23THRUST_200600_302600_NS6detail15normal_iteratorINS9_10device_ptrIxEEEENS9_18transform_iteratorINS9_6negateIxEESE_NS9_11use_defaultESI_EESE_xNS9_4plusIvEENS9_8equal_toIvEExEE10hipError_tPvRmT2_T3_T4_T5_mT6_T7_P12ihipStream_tbENKUlT_T0_E_clISt17integral_constantIbLb0EES14_EEDaSZ_S10_EUlSZ_E_NS1_11comp_targetILNS1_3genE0ELNS1_11target_archE4294967295ELNS1_3gpuE0ELNS1_3repE0EEENS1_30default_config_static_selectorELNS0_4arch9wavefront6targetE1EEEvT1_, .Lfunc_end893-_ZN7rocprim17ROCPRIM_400000_NS6detail17trampoline_kernelINS0_14default_configENS1_27scan_by_key_config_selectorIxxEEZZNS1_16scan_by_key_implILNS1_25lookback_scan_determinismE0ELb0ES3_N6thrust23THRUST_200600_302600_NS6detail15normal_iteratorINS9_10device_ptrIxEEEENS9_18transform_iteratorINS9_6negateIxEESE_NS9_11use_defaultESI_EESE_xNS9_4plusIvEENS9_8equal_toIvEExEE10hipError_tPvRmT2_T3_T4_T5_mT6_T7_P12ihipStream_tbENKUlT_T0_E_clISt17integral_constantIbLb0EES14_EEDaSZ_S10_EUlSZ_E_NS1_11comp_targetILNS1_3genE0ELNS1_11target_archE4294967295ELNS1_3gpuE0ELNS1_3repE0EEENS1_30default_config_static_selectorELNS0_4arch9wavefront6targetE1EEEvT1_
                                        ; -- End function
	.section	.AMDGPU.csdata,"",@progbits
; Kernel info:
; codeLenInByte = 0
; NumSgprs: 4
; NumVgprs: 0
; NumAgprs: 0
; TotalNumVgprs: 0
; ScratchSize: 0
; MemoryBound: 0
; FloatMode: 240
; IeeeMode: 1
; LDSByteSize: 0 bytes/workgroup (compile time only)
; SGPRBlocks: 0
; VGPRBlocks: 0
; NumSGPRsForWavesPerEU: 4
; NumVGPRsForWavesPerEU: 1
; AccumOffset: 4
; Occupancy: 8
; WaveLimiterHint : 0
; COMPUTE_PGM_RSRC2:SCRATCH_EN: 0
; COMPUTE_PGM_RSRC2:USER_SGPR: 6
; COMPUTE_PGM_RSRC2:TRAP_HANDLER: 0
; COMPUTE_PGM_RSRC2:TGID_X_EN: 1
; COMPUTE_PGM_RSRC2:TGID_Y_EN: 0
; COMPUTE_PGM_RSRC2:TGID_Z_EN: 0
; COMPUTE_PGM_RSRC2:TIDIG_COMP_CNT: 0
; COMPUTE_PGM_RSRC3_GFX90A:ACCUM_OFFSET: 0
; COMPUTE_PGM_RSRC3_GFX90A:TG_SPLIT: 0
	.section	.text._ZN7rocprim17ROCPRIM_400000_NS6detail17trampoline_kernelINS0_14default_configENS1_27scan_by_key_config_selectorIxxEEZZNS1_16scan_by_key_implILNS1_25lookback_scan_determinismE0ELb0ES3_N6thrust23THRUST_200600_302600_NS6detail15normal_iteratorINS9_10device_ptrIxEEEENS9_18transform_iteratorINS9_6negateIxEESE_NS9_11use_defaultESI_EESE_xNS9_4plusIvEENS9_8equal_toIvEExEE10hipError_tPvRmT2_T3_T4_T5_mT6_T7_P12ihipStream_tbENKUlT_T0_E_clISt17integral_constantIbLb0EES14_EEDaSZ_S10_EUlSZ_E_NS1_11comp_targetILNS1_3genE10ELNS1_11target_archE1201ELNS1_3gpuE5ELNS1_3repE0EEENS1_30default_config_static_selectorELNS0_4arch9wavefront6targetE1EEEvT1_,"axG",@progbits,_ZN7rocprim17ROCPRIM_400000_NS6detail17trampoline_kernelINS0_14default_configENS1_27scan_by_key_config_selectorIxxEEZZNS1_16scan_by_key_implILNS1_25lookback_scan_determinismE0ELb0ES3_N6thrust23THRUST_200600_302600_NS6detail15normal_iteratorINS9_10device_ptrIxEEEENS9_18transform_iteratorINS9_6negateIxEESE_NS9_11use_defaultESI_EESE_xNS9_4plusIvEENS9_8equal_toIvEExEE10hipError_tPvRmT2_T3_T4_T5_mT6_T7_P12ihipStream_tbENKUlT_T0_E_clISt17integral_constantIbLb0EES14_EEDaSZ_S10_EUlSZ_E_NS1_11comp_targetILNS1_3genE10ELNS1_11target_archE1201ELNS1_3gpuE5ELNS1_3repE0EEENS1_30default_config_static_selectorELNS0_4arch9wavefront6targetE1EEEvT1_,comdat
	.protected	_ZN7rocprim17ROCPRIM_400000_NS6detail17trampoline_kernelINS0_14default_configENS1_27scan_by_key_config_selectorIxxEEZZNS1_16scan_by_key_implILNS1_25lookback_scan_determinismE0ELb0ES3_N6thrust23THRUST_200600_302600_NS6detail15normal_iteratorINS9_10device_ptrIxEEEENS9_18transform_iteratorINS9_6negateIxEESE_NS9_11use_defaultESI_EESE_xNS9_4plusIvEENS9_8equal_toIvEExEE10hipError_tPvRmT2_T3_T4_T5_mT6_T7_P12ihipStream_tbENKUlT_T0_E_clISt17integral_constantIbLb0EES14_EEDaSZ_S10_EUlSZ_E_NS1_11comp_targetILNS1_3genE10ELNS1_11target_archE1201ELNS1_3gpuE5ELNS1_3repE0EEENS1_30default_config_static_selectorELNS0_4arch9wavefront6targetE1EEEvT1_ ; -- Begin function _ZN7rocprim17ROCPRIM_400000_NS6detail17trampoline_kernelINS0_14default_configENS1_27scan_by_key_config_selectorIxxEEZZNS1_16scan_by_key_implILNS1_25lookback_scan_determinismE0ELb0ES3_N6thrust23THRUST_200600_302600_NS6detail15normal_iteratorINS9_10device_ptrIxEEEENS9_18transform_iteratorINS9_6negateIxEESE_NS9_11use_defaultESI_EESE_xNS9_4plusIvEENS9_8equal_toIvEExEE10hipError_tPvRmT2_T3_T4_T5_mT6_T7_P12ihipStream_tbENKUlT_T0_E_clISt17integral_constantIbLb0EES14_EEDaSZ_S10_EUlSZ_E_NS1_11comp_targetILNS1_3genE10ELNS1_11target_archE1201ELNS1_3gpuE5ELNS1_3repE0EEENS1_30default_config_static_selectorELNS0_4arch9wavefront6targetE1EEEvT1_
	.globl	_ZN7rocprim17ROCPRIM_400000_NS6detail17trampoline_kernelINS0_14default_configENS1_27scan_by_key_config_selectorIxxEEZZNS1_16scan_by_key_implILNS1_25lookback_scan_determinismE0ELb0ES3_N6thrust23THRUST_200600_302600_NS6detail15normal_iteratorINS9_10device_ptrIxEEEENS9_18transform_iteratorINS9_6negateIxEESE_NS9_11use_defaultESI_EESE_xNS9_4plusIvEENS9_8equal_toIvEExEE10hipError_tPvRmT2_T3_T4_T5_mT6_T7_P12ihipStream_tbENKUlT_T0_E_clISt17integral_constantIbLb0EES14_EEDaSZ_S10_EUlSZ_E_NS1_11comp_targetILNS1_3genE10ELNS1_11target_archE1201ELNS1_3gpuE5ELNS1_3repE0EEENS1_30default_config_static_selectorELNS0_4arch9wavefront6targetE1EEEvT1_
	.p2align	8
	.type	_ZN7rocprim17ROCPRIM_400000_NS6detail17trampoline_kernelINS0_14default_configENS1_27scan_by_key_config_selectorIxxEEZZNS1_16scan_by_key_implILNS1_25lookback_scan_determinismE0ELb0ES3_N6thrust23THRUST_200600_302600_NS6detail15normal_iteratorINS9_10device_ptrIxEEEENS9_18transform_iteratorINS9_6negateIxEESE_NS9_11use_defaultESI_EESE_xNS9_4plusIvEENS9_8equal_toIvEExEE10hipError_tPvRmT2_T3_T4_T5_mT6_T7_P12ihipStream_tbENKUlT_T0_E_clISt17integral_constantIbLb0EES14_EEDaSZ_S10_EUlSZ_E_NS1_11comp_targetILNS1_3genE10ELNS1_11target_archE1201ELNS1_3gpuE5ELNS1_3repE0EEENS1_30default_config_static_selectorELNS0_4arch9wavefront6targetE1EEEvT1_,@function
_ZN7rocprim17ROCPRIM_400000_NS6detail17trampoline_kernelINS0_14default_configENS1_27scan_by_key_config_selectorIxxEEZZNS1_16scan_by_key_implILNS1_25lookback_scan_determinismE0ELb0ES3_N6thrust23THRUST_200600_302600_NS6detail15normal_iteratorINS9_10device_ptrIxEEEENS9_18transform_iteratorINS9_6negateIxEESE_NS9_11use_defaultESI_EESE_xNS9_4plusIvEENS9_8equal_toIvEExEE10hipError_tPvRmT2_T3_T4_T5_mT6_T7_P12ihipStream_tbENKUlT_T0_E_clISt17integral_constantIbLb0EES14_EEDaSZ_S10_EUlSZ_E_NS1_11comp_targetILNS1_3genE10ELNS1_11target_archE1201ELNS1_3gpuE5ELNS1_3repE0EEENS1_30default_config_static_selectorELNS0_4arch9wavefront6targetE1EEEvT1_: ; @_ZN7rocprim17ROCPRIM_400000_NS6detail17trampoline_kernelINS0_14default_configENS1_27scan_by_key_config_selectorIxxEEZZNS1_16scan_by_key_implILNS1_25lookback_scan_determinismE0ELb0ES3_N6thrust23THRUST_200600_302600_NS6detail15normal_iteratorINS9_10device_ptrIxEEEENS9_18transform_iteratorINS9_6negateIxEESE_NS9_11use_defaultESI_EESE_xNS9_4plusIvEENS9_8equal_toIvEExEE10hipError_tPvRmT2_T3_T4_T5_mT6_T7_P12ihipStream_tbENKUlT_T0_E_clISt17integral_constantIbLb0EES14_EEDaSZ_S10_EUlSZ_E_NS1_11comp_targetILNS1_3genE10ELNS1_11target_archE1201ELNS1_3gpuE5ELNS1_3repE0EEENS1_30default_config_static_selectorELNS0_4arch9wavefront6targetE1EEEvT1_
; %bb.0:
	.section	.rodata,"a",@progbits
	.p2align	6, 0x0
	.amdhsa_kernel _ZN7rocprim17ROCPRIM_400000_NS6detail17trampoline_kernelINS0_14default_configENS1_27scan_by_key_config_selectorIxxEEZZNS1_16scan_by_key_implILNS1_25lookback_scan_determinismE0ELb0ES3_N6thrust23THRUST_200600_302600_NS6detail15normal_iteratorINS9_10device_ptrIxEEEENS9_18transform_iteratorINS9_6negateIxEESE_NS9_11use_defaultESI_EESE_xNS9_4plusIvEENS9_8equal_toIvEExEE10hipError_tPvRmT2_T3_T4_T5_mT6_T7_P12ihipStream_tbENKUlT_T0_E_clISt17integral_constantIbLb0EES14_EEDaSZ_S10_EUlSZ_E_NS1_11comp_targetILNS1_3genE10ELNS1_11target_archE1201ELNS1_3gpuE5ELNS1_3repE0EEENS1_30default_config_static_selectorELNS0_4arch9wavefront6targetE1EEEvT1_
		.amdhsa_group_segment_fixed_size 0
		.amdhsa_private_segment_fixed_size 0
		.amdhsa_kernarg_size 144
		.amdhsa_user_sgpr_count 6
		.amdhsa_user_sgpr_private_segment_buffer 1
		.amdhsa_user_sgpr_dispatch_ptr 0
		.amdhsa_user_sgpr_queue_ptr 0
		.amdhsa_user_sgpr_kernarg_segment_ptr 1
		.amdhsa_user_sgpr_dispatch_id 0
		.amdhsa_user_sgpr_flat_scratch_init 0
		.amdhsa_user_sgpr_kernarg_preload_length 0
		.amdhsa_user_sgpr_kernarg_preload_offset 0
		.amdhsa_user_sgpr_private_segment_size 0
		.amdhsa_uses_dynamic_stack 0
		.amdhsa_system_sgpr_private_segment_wavefront_offset 0
		.amdhsa_system_sgpr_workgroup_id_x 1
		.amdhsa_system_sgpr_workgroup_id_y 0
		.amdhsa_system_sgpr_workgroup_id_z 0
		.amdhsa_system_sgpr_workgroup_info 0
		.amdhsa_system_vgpr_workitem_id 0
		.amdhsa_next_free_vgpr 1
		.amdhsa_next_free_sgpr 0
		.amdhsa_accum_offset 4
		.amdhsa_reserve_vcc 0
		.amdhsa_reserve_flat_scratch 0
		.amdhsa_float_round_mode_32 0
		.amdhsa_float_round_mode_16_64 0
		.amdhsa_float_denorm_mode_32 3
		.amdhsa_float_denorm_mode_16_64 3
		.amdhsa_dx10_clamp 1
		.amdhsa_ieee_mode 1
		.amdhsa_fp16_overflow 0
		.amdhsa_tg_split 0
		.amdhsa_exception_fp_ieee_invalid_op 0
		.amdhsa_exception_fp_denorm_src 0
		.amdhsa_exception_fp_ieee_div_zero 0
		.amdhsa_exception_fp_ieee_overflow 0
		.amdhsa_exception_fp_ieee_underflow 0
		.amdhsa_exception_fp_ieee_inexact 0
		.amdhsa_exception_int_div_zero 0
	.end_amdhsa_kernel
	.section	.text._ZN7rocprim17ROCPRIM_400000_NS6detail17trampoline_kernelINS0_14default_configENS1_27scan_by_key_config_selectorIxxEEZZNS1_16scan_by_key_implILNS1_25lookback_scan_determinismE0ELb0ES3_N6thrust23THRUST_200600_302600_NS6detail15normal_iteratorINS9_10device_ptrIxEEEENS9_18transform_iteratorINS9_6negateIxEESE_NS9_11use_defaultESI_EESE_xNS9_4plusIvEENS9_8equal_toIvEExEE10hipError_tPvRmT2_T3_T4_T5_mT6_T7_P12ihipStream_tbENKUlT_T0_E_clISt17integral_constantIbLb0EES14_EEDaSZ_S10_EUlSZ_E_NS1_11comp_targetILNS1_3genE10ELNS1_11target_archE1201ELNS1_3gpuE5ELNS1_3repE0EEENS1_30default_config_static_selectorELNS0_4arch9wavefront6targetE1EEEvT1_,"axG",@progbits,_ZN7rocprim17ROCPRIM_400000_NS6detail17trampoline_kernelINS0_14default_configENS1_27scan_by_key_config_selectorIxxEEZZNS1_16scan_by_key_implILNS1_25lookback_scan_determinismE0ELb0ES3_N6thrust23THRUST_200600_302600_NS6detail15normal_iteratorINS9_10device_ptrIxEEEENS9_18transform_iteratorINS9_6negateIxEESE_NS9_11use_defaultESI_EESE_xNS9_4plusIvEENS9_8equal_toIvEExEE10hipError_tPvRmT2_T3_T4_T5_mT6_T7_P12ihipStream_tbENKUlT_T0_E_clISt17integral_constantIbLb0EES14_EEDaSZ_S10_EUlSZ_E_NS1_11comp_targetILNS1_3genE10ELNS1_11target_archE1201ELNS1_3gpuE5ELNS1_3repE0EEENS1_30default_config_static_selectorELNS0_4arch9wavefront6targetE1EEEvT1_,comdat
.Lfunc_end894:
	.size	_ZN7rocprim17ROCPRIM_400000_NS6detail17trampoline_kernelINS0_14default_configENS1_27scan_by_key_config_selectorIxxEEZZNS1_16scan_by_key_implILNS1_25lookback_scan_determinismE0ELb0ES3_N6thrust23THRUST_200600_302600_NS6detail15normal_iteratorINS9_10device_ptrIxEEEENS9_18transform_iteratorINS9_6negateIxEESE_NS9_11use_defaultESI_EESE_xNS9_4plusIvEENS9_8equal_toIvEExEE10hipError_tPvRmT2_T3_T4_T5_mT6_T7_P12ihipStream_tbENKUlT_T0_E_clISt17integral_constantIbLb0EES14_EEDaSZ_S10_EUlSZ_E_NS1_11comp_targetILNS1_3genE10ELNS1_11target_archE1201ELNS1_3gpuE5ELNS1_3repE0EEENS1_30default_config_static_selectorELNS0_4arch9wavefront6targetE1EEEvT1_, .Lfunc_end894-_ZN7rocprim17ROCPRIM_400000_NS6detail17trampoline_kernelINS0_14default_configENS1_27scan_by_key_config_selectorIxxEEZZNS1_16scan_by_key_implILNS1_25lookback_scan_determinismE0ELb0ES3_N6thrust23THRUST_200600_302600_NS6detail15normal_iteratorINS9_10device_ptrIxEEEENS9_18transform_iteratorINS9_6negateIxEESE_NS9_11use_defaultESI_EESE_xNS9_4plusIvEENS9_8equal_toIvEExEE10hipError_tPvRmT2_T3_T4_T5_mT6_T7_P12ihipStream_tbENKUlT_T0_E_clISt17integral_constantIbLb0EES14_EEDaSZ_S10_EUlSZ_E_NS1_11comp_targetILNS1_3genE10ELNS1_11target_archE1201ELNS1_3gpuE5ELNS1_3repE0EEENS1_30default_config_static_selectorELNS0_4arch9wavefront6targetE1EEEvT1_
                                        ; -- End function
	.section	.AMDGPU.csdata,"",@progbits
; Kernel info:
; codeLenInByte = 0
; NumSgprs: 4
; NumVgprs: 0
; NumAgprs: 0
; TotalNumVgprs: 0
; ScratchSize: 0
; MemoryBound: 0
; FloatMode: 240
; IeeeMode: 1
; LDSByteSize: 0 bytes/workgroup (compile time only)
; SGPRBlocks: 0
; VGPRBlocks: 0
; NumSGPRsForWavesPerEU: 4
; NumVGPRsForWavesPerEU: 1
; AccumOffset: 4
; Occupancy: 8
; WaveLimiterHint : 0
; COMPUTE_PGM_RSRC2:SCRATCH_EN: 0
; COMPUTE_PGM_RSRC2:USER_SGPR: 6
; COMPUTE_PGM_RSRC2:TRAP_HANDLER: 0
; COMPUTE_PGM_RSRC2:TGID_X_EN: 1
; COMPUTE_PGM_RSRC2:TGID_Y_EN: 0
; COMPUTE_PGM_RSRC2:TGID_Z_EN: 0
; COMPUTE_PGM_RSRC2:TIDIG_COMP_CNT: 0
; COMPUTE_PGM_RSRC3_GFX90A:ACCUM_OFFSET: 0
; COMPUTE_PGM_RSRC3_GFX90A:TG_SPLIT: 0
	.section	.text._ZN7rocprim17ROCPRIM_400000_NS6detail17trampoline_kernelINS0_14default_configENS1_27scan_by_key_config_selectorIxxEEZZNS1_16scan_by_key_implILNS1_25lookback_scan_determinismE0ELb0ES3_N6thrust23THRUST_200600_302600_NS6detail15normal_iteratorINS9_10device_ptrIxEEEENS9_18transform_iteratorINS9_6negateIxEESE_NS9_11use_defaultESI_EESE_xNS9_4plusIvEENS9_8equal_toIvEExEE10hipError_tPvRmT2_T3_T4_T5_mT6_T7_P12ihipStream_tbENKUlT_T0_E_clISt17integral_constantIbLb0EES14_EEDaSZ_S10_EUlSZ_E_NS1_11comp_targetILNS1_3genE5ELNS1_11target_archE942ELNS1_3gpuE9ELNS1_3repE0EEENS1_30default_config_static_selectorELNS0_4arch9wavefront6targetE1EEEvT1_,"axG",@progbits,_ZN7rocprim17ROCPRIM_400000_NS6detail17trampoline_kernelINS0_14default_configENS1_27scan_by_key_config_selectorIxxEEZZNS1_16scan_by_key_implILNS1_25lookback_scan_determinismE0ELb0ES3_N6thrust23THRUST_200600_302600_NS6detail15normal_iteratorINS9_10device_ptrIxEEEENS9_18transform_iteratorINS9_6negateIxEESE_NS9_11use_defaultESI_EESE_xNS9_4plusIvEENS9_8equal_toIvEExEE10hipError_tPvRmT2_T3_T4_T5_mT6_T7_P12ihipStream_tbENKUlT_T0_E_clISt17integral_constantIbLb0EES14_EEDaSZ_S10_EUlSZ_E_NS1_11comp_targetILNS1_3genE5ELNS1_11target_archE942ELNS1_3gpuE9ELNS1_3repE0EEENS1_30default_config_static_selectorELNS0_4arch9wavefront6targetE1EEEvT1_,comdat
	.protected	_ZN7rocprim17ROCPRIM_400000_NS6detail17trampoline_kernelINS0_14default_configENS1_27scan_by_key_config_selectorIxxEEZZNS1_16scan_by_key_implILNS1_25lookback_scan_determinismE0ELb0ES3_N6thrust23THRUST_200600_302600_NS6detail15normal_iteratorINS9_10device_ptrIxEEEENS9_18transform_iteratorINS9_6negateIxEESE_NS9_11use_defaultESI_EESE_xNS9_4plusIvEENS9_8equal_toIvEExEE10hipError_tPvRmT2_T3_T4_T5_mT6_T7_P12ihipStream_tbENKUlT_T0_E_clISt17integral_constantIbLb0EES14_EEDaSZ_S10_EUlSZ_E_NS1_11comp_targetILNS1_3genE5ELNS1_11target_archE942ELNS1_3gpuE9ELNS1_3repE0EEENS1_30default_config_static_selectorELNS0_4arch9wavefront6targetE1EEEvT1_ ; -- Begin function _ZN7rocprim17ROCPRIM_400000_NS6detail17trampoline_kernelINS0_14default_configENS1_27scan_by_key_config_selectorIxxEEZZNS1_16scan_by_key_implILNS1_25lookback_scan_determinismE0ELb0ES3_N6thrust23THRUST_200600_302600_NS6detail15normal_iteratorINS9_10device_ptrIxEEEENS9_18transform_iteratorINS9_6negateIxEESE_NS9_11use_defaultESI_EESE_xNS9_4plusIvEENS9_8equal_toIvEExEE10hipError_tPvRmT2_T3_T4_T5_mT6_T7_P12ihipStream_tbENKUlT_T0_E_clISt17integral_constantIbLb0EES14_EEDaSZ_S10_EUlSZ_E_NS1_11comp_targetILNS1_3genE5ELNS1_11target_archE942ELNS1_3gpuE9ELNS1_3repE0EEENS1_30default_config_static_selectorELNS0_4arch9wavefront6targetE1EEEvT1_
	.globl	_ZN7rocprim17ROCPRIM_400000_NS6detail17trampoline_kernelINS0_14default_configENS1_27scan_by_key_config_selectorIxxEEZZNS1_16scan_by_key_implILNS1_25lookback_scan_determinismE0ELb0ES3_N6thrust23THRUST_200600_302600_NS6detail15normal_iteratorINS9_10device_ptrIxEEEENS9_18transform_iteratorINS9_6negateIxEESE_NS9_11use_defaultESI_EESE_xNS9_4plusIvEENS9_8equal_toIvEExEE10hipError_tPvRmT2_T3_T4_T5_mT6_T7_P12ihipStream_tbENKUlT_T0_E_clISt17integral_constantIbLb0EES14_EEDaSZ_S10_EUlSZ_E_NS1_11comp_targetILNS1_3genE5ELNS1_11target_archE942ELNS1_3gpuE9ELNS1_3repE0EEENS1_30default_config_static_selectorELNS0_4arch9wavefront6targetE1EEEvT1_
	.p2align	8
	.type	_ZN7rocprim17ROCPRIM_400000_NS6detail17trampoline_kernelINS0_14default_configENS1_27scan_by_key_config_selectorIxxEEZZNS1_16scan_by_key_implILNS1_25lookback_scan_determinismE0ELb0ES3_N6thrust23THRUST_200600_302600_NS6detail15normal_iteratorINS9_10device_ptrIxEEEENS9_18transform_iteratorINS9_6negateIxEESE_NS9_11use_defaultESI_EESE_xNS9_4plusIvEENS9_8equal_toIvEExEE10hipError_tPvRmT2_T3_T4_T5_mT6_T7_P12ihipStream_tbENKUlT_T0_E_clISt17integral_constantIbLb0EES14_EEDaSZ_S10_EUlSZ_E_NS1_11comp_targetILNS1_3genE5ELNS1_11target_archE942ELNS1_3gpuE9ELNS1_3repE0EEENS1_30default_config_static_selectorELNS0_4arch9wavefront6targetE1EEEvT1_,@function
_ZN7rocprim17ROCPRIM_400000_NS6detail17trampoline_kernelINS0_14default_configENS1_27scan_by_key_config_selectorIxxEEZZNS1_16scan_by_key_implILNS1_25lookback_scan_determinismE0ELb0ES3_N6thrust23THRUST_200600_302600_NS6detail15normal_iteratorINS9_10device_ptrIxEEEENS9_18transform_iteratorINS9_6negateIxEESE_NS9_11use_defaultESI_EESE_xNS9_4plusIvEENS9_8equal_toIvEExEE10hipError_tPvRmT2_T3_T4_T5_mT6_T7_P12ihipStream_tbENKUlT_T0_E_clISt17integral_constantIbLb0EES14_EEDaSZ_S10_EUlSZ_E_NS1_11comp_targetILNS1_3genE5ELNS1_11target_archE942ELNS1_3gpuE9ELNS1_3repE0EEENS1_30default_config_static_selectorELNS0_4arch9wavefront6targetE1EEEvT1_: ; @_ZN7rocprim17ROCPRIM_400000_NS6detail17trampoline_kernelINS0_14default_configENS1_27scan_by_key_config_selectorIxxEEZZNS1_16scan_by_key_implILNS1_25lookback_scan_determinismE0ELb0ES3_N6thrust23THRUST_200600_302600_NS6detail15normal_iteratorINS9_10device_ptrIxEEEENS9_18transform_iteratorINS9_6negateIxEESE_NS9_11use_defaultESI_EESE_xNS9_4plusIvEENS9_8equal_toIvEExEE10hipError_tPvRmT2_T3_T4_T5_mT6_T7_P12ihipStream_tbENKUlT_T0_E_clISt17integral_constantIbLb0EES14_EEDaSZ_S10_EUlSZ_E_NS1_11comp_targetILNS1_3genE5ELNS1_11target_archE942ELNS1_3gpuE9ELNS1_3repE0EEENS1_30default_config_static_selectorELNS0_4arch9wavefront6targetE1EEEvT1_
; %bb.0:
	.section	.rodata,"a",@progbits
	.p2align	6, 0x0
	.amdhsa_kernel _ZN7rocprim17ROCPRIM_400000_NS6detail17trampoline_kernelINS0_14default_configENS1_27scan_by_key_config_selectorIxxEEZZNS1_16scan_by_key_implILNS1_25lookback_scan_determinismE0ELb0ES3_N6thrust23THRUST_200600_302600_NS6detail15normal_iteratorINS9_10device_ptrIxEEEENS9_18transform_iteratorINS9_6negateIxEESE_NS9_11use_defaultESI_EESE_xNS9_4plusIvEENS9_8equal_toIvEExEE10hipError_tPvRmT2_T3_T4_T5_mT6_T7_P12ihipStream_tbENKUlT_T0_E_clISt17integral_constantIbLb0EES14_EEDaSZ_S10_EUlSZ_E_NS1_11comp_targetILNS1_3genE5ELNS1_11target_archE942ELNS1_3gpuE9ELNS1_3repE0EEENS1_30default_config_static_selectorELNS0_4arch9wavefront6targetE1EEEvT1_
		.amdhsa_group_segment_fixed_size 0
		.amdhsa_private_segment_fixed_size 0
		.amdhsa_kernarg_size 144
		.amdhsa_user_sgpr_count 6
		.amdhsa_user_sgpr_private_segment_buffer 1
		.amdhsa_user_sgpr_dispatch_ptr 0
		.amdhsa_user_sgpr_queue_ptr 0
		.amdhsa_user_sgpr_kernarg_segment_ptr 1
		.amdhsa_user_sgpr_dispatch_id 0
		.amdhsa_user_sgpr_flat_scratch_init 0
		.amdhsa_user_sgpr_kernarg_preload_length 0
		.amdhsa_user_sgpr_kernarg_preload_offset 0
		.amdhsa_user_sgpr_private_segment_size 0
		.amdhsa_uses_dynamic_stack 0
		.amdhsa_system_sgpr_private_segment_wavefront_offset 0
		.amdhsa_system_sgpr_workgroup_id_x 1
		.amdhsa_system_sgpr_workgroup_id_y 0
		.amdhsa_system_sgpr_workgroup_id_z 0
		.amdhsa_system_sgpr_workgroup_info 0
		.amdhsa_system_vgpr_workitem_id 0
		.amdhsa_next_free_vgpr 1
		.amdhsa_next_free_sgpr 0
		.amdhsa_accum_offset 4
		.amdhsa_reserve_vcc 0
		.amdhsa_reserve_flat_scratch 0
		.amdhsa_float_round_mode_32 0
		.amdhsa_float_round_mode_16_64 0
		.amdhsa_float_denorm_mode_32 3
		.amdhsa_float_denorm_mode_16_64 3
		.amdhsa_dx10_clamp 1
		.amdhsa_ieee_mode 1
		.amdhsa_fp16_overflow 0
		.amdhsa_tg_split 0
		.amdhsa_exception_fp_ieee_invalid_op 0
		.amdhsa_exception_fp_denorm_src 0
		.amdhsa_exception_fp_ieee_div_zero 0
		.amdhsa_exception_fp_ieee_overflow 0
		.amdhsa_exception_fp_ieee_underflow 0
		.amdhsa_exception_fp_ieee_inexact 0
		.amdhsa_exception_int_div_zero 0
	.end_amdhsa_kernel
	.section	.text._ZN7rocprim17ROCPRIM_400000_NS6detail17trampoline_kernelINS0_14default_configENS1_27scan_by_key_config_selectorIxxEEZZNS1_16scan_by_key_implILNS1_25lookback_scan_determinismE0ELb0ES3_N6thrust23THRUST_200600_302600_NS6detail15normal_iteratorINS9_10device_ptrIxEEEENS9_18transform_iteratorINS9_6negateIxEESE_NS9_11use_defaultESI_EESE_xNS9_4plusIvEENS9_8equal_toIvEExEE10hipError_tPvRmT2_T3_T4_T5_mT6_T7_P12ihipStream_tbENKUlT_T0_E_clISt17integral_constantIbLb0EES14_EEDaSZ_S10_EUlSZ_E_NS1_11comp_targetILNS1_3genE5ELNS1_11target_archE942ELNS1_3gpuE9ELNS1_3repE0EEENS1_30default_config_static_selectorELNS0_4arch9wavefront6targetE1EEEvT1_,"axG",@progbits,_ZN7rocprim17ROCPRIM_400000_NS6detail17trampoline_kernelINS0_14default_configENS1_27scan_by_key_config_selectorIxxEEZZNS1_16scan_by_key_implILNS1_25lookback_scan_determinismE0ELb0ES3_N6thrust23THRUST_200600_302600_NS6detail15normal_iteratorINS9_10device_ptrIxEEEENS9_18transform_iteratorINS9_6negateIxEESE_NS9_11use_defaultESI_EESE_xNS9_4plusIvEENS9_8equal_toIvEExEE10hipError_tPvRmT2_T3_T4_T5_mT6_T7_P12ihipStream_tbENKUlT_T0_E_clISt17integral_constantIbLb0EES14_EEDaSZ_S10_EUlSZ_E_NS1_11comp_targetILNS1_3genE5ELNS1_11target_archE942ELNS1_3gpuE9ELNS1_3repE0EEENS1_30default_config_static_selectorELNS0_4arch9wavefront6targetE1EEEvT1_,comdat
.Lfunc_end895:
	.size	_ZN7rocprim17ROCPRIM_400000_NS6detail17trampoline_kernelINS0_14default_configENS1_27scan_by_key_config_selectorIxxEEZZNS1_16scan_by_key_implILNS1_25lookback_scan_determinismE0ELb0ES3_N6thrust23THRUST_200600_302600_NS6detail15normal_iteratorINS9_10device_ptrIxEEEENS9_18transform_iteratorINS9_6negateIxEESE_NS9_11use_defaultESI_EESE_xNS9_4plusIvEENS9_8equal_toIvEExEE10hipError_tPvRmT2_T3_T4_T5_mT6_T7_P12ihipStream_tbENKUlT_T0_E_clISt17integral_constantIbLb0EES14_EEDaSZ_S10_EUlSZ_E_NS1_11comp_targetILNS1_3genE5ELNS1_11target_archE942ELNS1_3gpuE9ELNS1_3repE0EEENS1_30default_config_static_selectorELNS0_4arch9wavefront6targetE1EEEvT1_, .Lfunc_end895-_ZN7rocprim17ROCPRIM_400000_NS6detail17trampoline_kernelINS0_14default_configENS1_27scan_by_key_config_selectorIxxEEZZNS1_16scan_by_key_implILNS1_25lookback_scan_determinismE0ELb0ES3_N6thrust23THRUST_200600_302600_NS6detail15normal_iteratorINS9_10device_ptrIxEEEENS9_18transform_iteratorINS9_6negateIxEESE_NS9_11use_defaultESI_EESE_xNS9_4plusIvEENS9_8equal_toIvEExEE10hipError_tPvRmT2_T3_T4_T5_mT6_T7_P12ihipStream_tbENKUlT_T0_E_clISt17integral_constantIbLb0EES14_EEDaSZ_S10_EUlSZ_E_NS1_11comp_targetILNS1_3genE5ELNS1_11target_archE942ELNS1_3gpuE9ELNS1_3repE0EEENS1_30default_config_static_selectorELNS0_4arch9wavefront6targetE1EEEvT1_
                                        ; -- End function
	.section	.AMDGPU.csdata,"",@progbits
; Kernel info:
; codeLenInByte = 0
; NumSgprs: 4
; NumVgprs: 0
; NumAgprs: 0
; TotalNumVgprs: 0
; ScratchSize: 0
; MemoryBound: 0
; FloatMode: 240
; IeeeMode: 1
; LDSByteSize: 0 bytes/workgroup (compile time only)
; SGPRBlocks: 0
; VGPRBlocks: 0
; NumSGPRsForWavesPerEU: 4
; NumVGPRsForWavesPerEU: 1
; AccumOffset: 4
; Occupancy: 8
; WaveLimiterHint : 0
; COMPUTE_PGM_RSRC2:SCRATCH_EN: 0
; COMPUTE_PGM_RSRC2:USER_SGPR: 6
; COMPUTE_PGM_RSRC2:TRAP_HANDLER: 0
; COMPUTE_PGM_RSRC2:TGID_X_EN: 1
; COMPUTE_PGM_RSRC2:TGID_Y_EN: 0
; COMPUTE_PGM_RSRC2:TGID_Z_EN: 0
; COMPUTE_PGM_RSRC2:TIDIG_COMP_CNT: 0
; COMPUTE_PGM_RSRC3_GFX90A:ACCUM_OFFSET: 0
; COMPUTE_PGM_RSRC3_GFX90A:TG_SPLIT: 0
	.section	.text._ZN7rocprim17ROCPRIM_400000_NS6detail17trampoline_kernelINS0_14default_configENS1_27scan_by_key_config_selectorIxxEEZZNS1_16scan_by_key_implILNS1_25lookback_scan_determinismE0ELb0ES3_N6thrust23THRUST_200600_302600_NS6detail15normal_iteratorINS9_10device_ptrIxEEEENS9_18transform_iteratorINS9_6negateIxEESE_NS9_11use_defaultESI_EESE_xNS9_4plusIvEENS9_8equal_toIvEExEE10hipError_tPvRmT2_T3_T4_T5_mT6_T7_P12ihipStream_tbENKUlT_T0_E_clISt17integral_constantIbLb0EES14_EEDaSZ_S10_EUlSZ_E_NS1_11comp_targetILNS1_3genE4ELNS1_11target_archE910ELNS1_3gpuE8ELNS1_3repE0EEENS1_30default_config_static_selectorELNS0_4arch9wavefront6targetE1EEEvT1_,"axG",@progbits,_ZN7rocprim17ROCPRIM_400000_NS6detail17trampoline_kernelINS0_14default_configENS1_27scan_by_key_config_selectorIxxEEZZNS1_16scan_by_key_implILNS1_25lookback_scan_determinismE0ELb0ES3_N6thrust23THRUST_200600_302600_NS6detail15normal_iteratorINS9_10device_ptrIxEEEENS9_18transform_iteratorINS9_6negateIxEESE_NS9_11use_defaultESI_EESE_xNS9_4plusIvEENS9_8equal_toIvEExEE10hipError_tPvRmT2_T3_T4_T5_mT6_T7_P12ihipStream_tbENKUlT_T0_E_clISt17integral_constantIbLb0EES14_EEDaSZ_S10_EUlSZ_E_NS1_11comp_targetILNS1_3genE4ELNS1_11target_archE910ELNS1_3gpuE8ELNS1_3repE0EEENS1_30default_config_static_selectorELNS0_4arch9wavefront6targetE1EEEvT1_,comdat
	.protected	_ZN7rocprim17ROCPRIM_400000_NS6detail17trampoline_kernelINS0_14default_configENS1_27scan_by_key_config_selectorIxxEEZZNS1_16scan_by_key_implILNS1_25lookback_scan_determinismE0ELb0ES3_N6thrust23THRUST_200600_302600_NS6detail15normal_iteratorINS9_10device_ptrIxEEEENS9_18transform_iteratorINS9_6negateIxEESE_NS9_11use_defaultESI_EESE_xNS9_4plusIvEENS9_8equal_toIvEExEE10hipError_tPvRmT2_T3_T4_T5_mT6_T7_P12ihipStream_tbENKUlT_T0_E_clISt17integral_constantIbLb0EES14_EEDaSZ_S10_EUlSZ_E_NS1_11comp_targetILNS1_3genE4ELNS1_11target_archE910ELNS1_3gpuE8ELNS1_3repE0EEENS1_30default_config_static_selectorELNS0_4arch9wavefront6targetE1EEEvT1_ ; -- Begin function _ZN7rocprim17ROCPRIM_400000_NS6detail17trampoline_kernelINS0_14default_configENS1_27scan_by_key_config_selectorIxxEEZZNS1_16scan_by_key_implILNS1_25lookback_scan_determinismE0ELb0ES3_N6thrust23THRUST_200600_302600_NS6detail15normal_iteratorINS9_10device_ptrIxEEEENS9_18transform_iteratorINS9_6negateIxEESE_NS9_11use_defaultESI_EESE_xNS9_4plusIvEENS9_8equal_toIvEExEE10hipError_tPvRmT2_T3_T4_T5_mT6_T7_P12ihipStream_tbENKUlT_T0_E_clISt17integral_constantIbLb0EES14_EEDaSZ_S10_EUlSZ_E_NS1_11comp_targetILNS1_3genE4ELNS1_11target_archE910ELNS1_3gpuE8ELNS1_3repE0EEENS1_30default_config_static_selectorELNS0_4arch9wavefront6targetE1EEEvT1_
	.globl	_ZN7rocprim17ROCPRIM_400000_NS6detail17trampoline_kernelINS0_14default_configENS1_27scan_by_key_config_selectorIxxEEZZNS1_16scan_by_key_implILNS1_25lookback_scan_determinismE0ELb0ES3_N6thrust23THRUST_200600_302600_NS6detail15normal_iteratorINS9_10device_ptrIxEEEENS9_18transform_iteratorINS9_6negateIxEESE_NS9_11use_defaultESI_EESE_xNS9_4plusIvEENS9_8equal_toIvEExEE10hipError_tPvRmT2_T3_T4_T5_mT6_T7_P12ihipStream_tbENKUlT_T0_E_clISt17integral_constantIbLb0EES14_EEDaSZ_S10_EUlSZ_E_NS1_11comp_targetILNS1_3genE4ELNS1_11target_archE910ELNS1_3gpuE8ELNS1_3repE0EEENS1_30default_config_static_selectorELNS0_4arch9wavefront6targetE1EEEvT1_
	.p2align	8
	.type	_ZN7rocprim17ROCPRIM_400000_NS6detail17trampoline_kernelINS0_14default_configENS1_27scan_by_key_config_selectorIxxEEZZNS1_16scan_by_key_implILNS1_25lookback_scan_determinismE0ELb0ES3_N6thrust23THRUST_200600_302600_NS6detail15normal_iteratorINS9_10device_ptrIxEEEENS9_18transform_iteratorINS9_6negateIxEESE_NS9_11use_defaultESI_EESE_xNS9_4plusIvEENS9_8equal_toIvEExEE10hipError_tPvRmT2_T3_T4_T5_mT6_T7_P12ihipStream_tbENKUlT_T0_E_clISt17integral_constantIbLb0EES14_EEDaSZ_S10_EUlSZ_E_NS1_11comp_targetILNS1_3genE4ELNS1_11target_archE910ELNS1_3gpuE8ELNS1_3repE0EEENS1_30default_config_static_selectorELNS0_4arch9wavefront6targetE1EEEvT1_,@function
_ZN7rocprim17ROCPRIM_400000_NS6detail17trampoline_kernelINS0_14default_configENS1_27scan_by_key_config_selectorIxxEEZZNS1_16scan_by_key_implILNS1_25lookback_scan_determinismE0ELb0ES3_N6thrust23THRUST_200600_302600_NS6detail15normal_iteratorINS9_10device_ptrIxEEEENS9_18transform_iteratorINS9_6negateIxEESE_NS9_11use_defaultESI_EESE_xNS9_4plusIvEENS9_8equal_toIvEExEE10hipError_tPvRmT2_T3_T4_T5_mT6_T7_P12ihipStream_tbENKUlT_T0_E_clISt17integral_constantIbLb0EES14_EEDaSZ_S10_EUlSZ_E_NS1_11comp_targetILNS1_3genE4ELNS1_11target_archE910ELNS1_3gpuE8ELNS1_3repE0EEENS1_30default_config_static_selectorELNS0_4arch9wavefront6targetE1EEEvT1_: ; @_ZN7rocprim17ROCPRIM_400000_NS6detail17trampoline_kernelINS0_14default_configENS1_27scan_by_key_config_selectorIxxEEZZNS1_16scan_by_key_implILNS1_25lookback_scan_determinismE0ELb0ES3_N6thrust23THRUST_200600_302600_NS6detail15normal_iteratorINS9_10device_ptrIxEEEENS9_18transform_iteratorINS9_6negateIxEESE_NS9_11use_defaultESI_EESE_xNS9_4plusIvEENS9_8equal_toIvEExEE10hipError_tPvRmT2_T3_T4_T5_mT6_T7_P12ihipStream_tbENKUlT_T0_E_clISt17integral_constantIbLb0EES14_EEDaSZ_S10_EUlSZ_E_NS1_11comp_targetILNS1_3genE4ELNS1_11target_archE910ELNS1_3gpuE8ELNS1_3repE0EEENS1_30default_config_static_selectorELNS0_4arch9wavefront6targetE1EEEvT1_
; %bb.0:
	s_load_dwordx4 s[0:3], s[4:5], 0x0
	s_load_dwordx2 s[8:9], s[4:5], 0x10
	s_load_dwordx8 s[48:55], s[4:5], 0x38
	s_load_dwordx2 s[66:67], s[4:5], 0x58
	s_load_dword s7, s[4:5], 0x60
	s_load_dwordx8 s[56:63], s[4:5], 0x68
	s_waitcnt lgkmcnt(0)
	s_lshl_b64 s[64:65], s[2:3], 3
	s_add_u32 s2, s0, s64
	s_addc_u32 s3, s1, s65
	s_add_u32 s8, s8, s64
	s_mul_i32 s0, s67, s7
	s_mul_hi_u32 s1, s66, s7
	s_addc_u32 s9, s9, s65
	s_add_i32 s10, s1, s0
	s_cmp_lg_u64 s[60:61], 0
	s_mul_i32 s0, s6, 0x4c0
	s_mov_b32 s1, 0
	s_cselect_b64 s[70:71], -1, 0
	s_lshl_b64 s[60:61], s[0:1], 3
	s_add_u32 s68, s2, s60
	s_addc_u32 s69, s3, s61
	s_add_u32 s46, s8, s60
	s_mul_i32 s7, s66, s7
	s_addc_u32 s47, s9, s61
	s_add_u32 s72, s7, s6
	s_addc_u32 s73, s10, 0
	s_add_u32 s2, s56, -1
	s_addc_u32 s3, s57, -1
	v_pk_mov_b32 v[2:3], s[2:3], s[2:3] op_sel:[0,1]
	v_cmp_ge_u64_e64 s[0:1], s[72:73], v[2:3]
	s_mov_b64 s[12:13], 0
	s_mov_b64 s[8:9], -1
	s_and_b64 vcc, exec, s[0:1]
	s_mul_i32 s33, s2, 0xfffffb40
	s_waitcnt lgkmcnt(0)
	; wave barrier
	s_cbranch_vccz .LBB896_102
; %bb.1:
	v_pk_mov_b32 v[2:3], s[68:69], s[68:69] op_sel:[0,1]
	flat_load_dwordx2 v[2:3], v[2:3]
	s_add_i32 s55, s33, s54
	v_cmp_gt_u32_e64 s[2:3], s55, v0
	s_waitcnt vmcnt(0) lgkmcnt(0)
	v_pk_mov_b32 v[4:5], v[2:3], v[2:3] op_sel:[0,1]
	s_and_saveexec_b64 s[8:9], s[2:3]
	s_cbranch_execz .LBB896_3
; %bb.2:
	v_lshlrev_b32_e32 v1, 3, v0
	v_mov_b32_e32 v5, s69
	v_add_co_u32_e32 v4, vcc, s68, v1
	v_addc_co_u32_e32 v5, vcc, 0, v5, vcc
	flat_load_dwordx2 v[4:5], v[4:5]
.LBB896_3:
	s_or_b64 exec, exec, s[8:9]
	v_or_b32_e32 v1, 64, v0
	v_cmp_gt_u32_e64 s[44:45], s55, v1
	v_pk_mov_b32 v[6:7], v[2:3], v[2:3] op_sel:[0,1]
	s_and_saveexec_b64 s[8:9], s[44:45]
	s_cbranch_execz .LBB896_5
; %bb.4:
	v_lshlrev_b32_e32 v1, 3, v0
	v_mov_b32_e32 v7, s69
	v_add_co_u32_e32 v6, vcc, s68, v1
	v_addc_co_u32_e32 v7, vcc, 0, v7, vcc
	flat_load_dwordx2 v[6:7], v[6:7] offset:512
.LBB896_5:
	s_or_b64 exec, exec, s[8:9]
	v_or_b32_e32 v1, 0x80, v0
	v_cmp_gt_u32_e64 s[8:9], s55, v1
	v_pk_mov_b32 v[8:9], v[2:3], v[2:3] op_sel:[0,1]
	s_and_saveexec_b64 s[10:11], s[8:9]
	s_cbranch_execz .LBB896_7
; %bb.6:
	v_lshlrev_b32_e32 v1, 3, v0
	v_mov_b32_e32 v9, s69
	v_add_co_u32_e32 v8, vcc, s68, v1
	v_addc_co_u32_e32 v9, vcc, 0, v9, vcc
	flat_load_dwordx2 v[8:9], v[8:9] offset:1024
.LBB896_7:
	;; [unrolled: 13-line block ×7, first 2 shown]
	s_or_b64 exec, exec, s[20:21]
	v_or_b32_e32 v1, 0x200, v0
	v_cmp_gt_u32_e64 s[20:21], s55, v1
	v_lshlrev_b32_e32 v1, 3, v1
	v_pk_mov_b32 v[20:21], v[2:3], v[2:3] op_sel:[0,1]
	s_and_saveexec_b64 s[22:23], s[20:21]
	s_cbranch_execz .LBB896_19
; %bb.18:
	v_mov_b32_e32 v21, s69
	v_add_co_u32_e32 v20, vcc, s68, v1
	v_addc_co_u32_e32 v21, vcc, 0, v21, vcc
	flat_load_dwordx2 v[20:21], v[20:21]
.LBB896_19:
	s_or_b64 exec, exec, s[22:23]
	v_or_b32_e32 v22, 0x240, v0
	v_cmp_gt_u32_e64 s[22:23], s55, v22
	v_lshlrev_b32_e32 v40, 3, v22
	v_pk_mov_b32 v[22:23], v[2:3], v[2:3] op_sel:[0,1]
	s_and_saveexec_b64 s[24:25], s[22:23]
	s_cbranch_execz .LBB896_21
; %bb.20:
	v_mov_b32_e32 v23, s69
	v_add_co_u32_e32 v22, vcc, s68, v40
	v_addc_co_u32_e32 v23, vcc, 0, v23, vcc
	flat_load_dwordx2 v[22:23], v[22:23]
.LBB896_21:
	;; [unrolled: 13-line block ×10, first 2 shown]
	s_or_b64 exec, exec, s[42:43]
	v_or_b32_e32 v48, 0x480, v0
	v_cmp_gt_u32_e64 s[42:43], s55, v48
	v_lshlrev_b32_e32 v51, 3, v48
	s_and_saveexec_b64 s[56:57], s[42:43]
	s_cbranch_execz .LBB896_39
; %bb.38:
	v_mov_b32_e32 v3, s69
	v_add_co_u32_e32 v2, vcc, s68, v51
	v_addc_co_u32_e32 v3, vcc, 0, v3, vcc
	flat_load_dwordx2 v[2:3], v[2:3]
.LBB896_39:
	s_or_b64 exec, exec, s[56:57]
	v_lshlrev_b32_e32 v50, 3, v0
	s_movk_i32 s7, 0x90
	v_mad_u32_u24 v48, v0, s7, v50
	s_waitcnt vmcnt(0) lgkmcnt(0)
	ds_write2st64_b64 v50, v[4:5], v[6:7] offset1:1
	ds_write2st64_b64 v50, v[8:9], v[10:11] offset0:2 offset1:3
	ds_write2st64_b64 v50, v[12:13], v[14:15] offset0:4 offset1:5
	;; [unrolled: 1-line block ×8, first 2 shown]
	ds_write_b64 v50, v[2:3] offset:9216
	s_waitcnt lgkmcnt(0)
	; wave barrier
	s_waitcnt lgkmcnt(0)
	ds_read2_b64 v[106:109], v48 offset1:1
	ds_read2_b64 v[102:105], v48 offset0:2 offset1:3
	ds_read2_b64 v[98:101], v48 offset0:4 offset1:5
	;; [unrolled: 1-line block ×8, first 2 shown]
	ds_read_b64 v[4:5], v48 offset:144
	s_cmp_eq_u64 s[72:73], 0
	s_mov_b64 s[56:57], s[68:69]
	s_cbranch_scc1 .LBB896_43
; %bb.40:
	s_andn2_b64 vcc, exec, s[70:71]
	s_cbranch_vccnz .LBB896_255
; %bb.41:
	s_lshl_b64 s[56:57], s[72:73], 3
	s_add_u32 s7, s62, s56
	s_addc_u32 s57, s63, s57
	s_add_u32 s56, s7, -8
	s_addc_u32 s57, s57, -1
	s_cbranch_execnz .LBB896_43
.LBB896_42:
	s_add_u32 s56, s68, -8
	s_addc_u32 s57, s69, -1
.LBB896_43:
	v_pk_mov_b32 v[2:3], s[56:57], s[56:57] op_sel:[0,1]
	flat_load_dwordx2 v[8:9], v[2:3]
	s_movk_i32 s7, 0xff70
	v_mad_i32_i24 v2, v0, s7, v48
	v_cmp_ne_u32_e32 vcc, 0, v0
	s_waitcnt lgkmcnt(0)
	ds_write_b64 v2, v[4:5] offset:9728
	s_waitcnt lgkmcnt(0)
	; wave barrier
	s_waitcnt lgkmcnt(0)
	s_and_saveexec_b64 s[56:57], vcc
	s_cbranch_execz .LBB896_45
; %bb.44:
	v_mul_i32_i24_e32 v2, 0xffffff70, v0
	v_add_u32_e32 v2, v48, v2
	s_waitcnt vmcnt(0)
	ds_read_b64 v[8:9], v2 offset:9720
.LBB896_45:
	s_or_b64 exec, exec, s[56:57]
	s_waitcnt lgkmcnt(0)
	; wave barrier
	s_waitcnt lgkmcnt(0)
                                        ; implicit-def: $vgpr2_vgpr3
	s_and_saveexec_b64 s[56:57], s[2:3]
	s_cbranch_execnz .LBB896_237
; %bb.46:
	s_or_b64 exec, exec, s[56:57]
                                        ; implicit-def: $vgpr6_vgpr7
	s_and_saveexec_b64 s[2:3], s[44:45]
	s_cbranch_execnz .LBB896_238
.LBB896_47:
	s_or_b64 exec, exec, s[2:3]
                                        ; implicit-def: $vgpr10_vgpr11
	s_and_saveexec_b64 s[2:3], s[8:9]
	s_cbranch_execnz .LBB896_239
.LBB896_48:
	s_or_b64 exec, exec, s[2:3]
                                        ; implicit-def: $vgpr12_vgpr13
	s_and_saveexec_b64 s[2:3], s[10:11]
	s_cbranch_execnz .LBB896_240
.LBB896_49:
	s_or_b64 exec, exec, s[2:3]
                                        ; implicit-def: $vgpr14_vgpr15
	s_and_saveexec_b64 s[2:3], s[12:13]
	s_cbranch_execnz .LBB896_241
.LBB896_50:
	s_or_b64 exec, exec, s[2:3]
                                        ; implicit-def: $vgpr16_vgpr17
	s_and_saveexec_b64 s[2:3], s[14:15]
	s_cbranch_execnz .LBB896_242
.LBB896_51:
	s_or_b64 exec, exec, s[2:3]
                                        ; implicit-def: $vgpr18_vgpr19
	s_and_saveexec_b64 s[2:3], s[16:17]
	s_cbranch_execnz .LBB896_243
.LBB896_52:
	s_or_b64 exec, exec, s[2:3]
                                        ; implicit-def: $vgpr20_vgpr21
	s_and_saveexec_b64 s[2:3], s[18:19]
	s_cbranch_execnz .LBB896_244
.LBB896_53:
	s_or_b64 exec, exec, s[2:3]
                                        ; implicit-def: $vgpr22_vgpr23
	s_and_saveexec_b64 s[2:3], s[20:21]
	s_cbranch_execnz .LBB896_245
.LBB896_54:
	s_or_b64 exec, exec, s[2:3]
                                        ; implicit-def: $vgpr24_vgpr25
	s_and_saveexec_b64 s[2:3], s[22:23]
	s_cbranch_execnz .LBB896_246
.LBB896_55:
	s_or_b64 exec, exec, s[2:3]
                                        ; implicit-def: $vgpr26_vgpr27
	s_and_saveexec_b64 s[2:3], s[24:25]
	s_cbranch_execnz .LBB896_247
.LBB896_56:
	s_or_b64 exec, exec, s[2:3]
                                        ; implicit-def: $vgpr28_vgpr29
	s_and_saveexec_b64 s[2:3], s[26:27]
	s_cbranch_execnz .LBB896_248
.LBB896_57:
	s_or_b64 exec, exec, s[2:3]
                                        ; implicit-def: $vgpr30_vgpr31
	s_and_saveexec_b64 s[2:3], s[28:29]
	s_cbranch_execnz .LBB896_249
.LBB896_58:
	s_or_b64 exec, exec, s[2:3]
                                        ; implicit-def: $vgpr32_vgpr33
	s_and_saveexec_b64 s[2:3], s[30:31]
	s_cbranch_execnz .LBB896_250
.LBB896_59:
	s_or_b64 exec, exec, s[2:3]
                                        ; implicit-def: $vgpr34_vgpr35
	s_and_saveexec_b64 s[2:3], s[34:35]
	s_cbranch_execnz .LBB896_251
.LBB896_60:
	s_or_b64 exec, exec, s[2:3]
                                        ; implicit-def: $vgpr36_vgpr37
	s_and_saveexec_b64 s[2:3], s[36:37]
	s_cbranch_execnz .LBB896_252
.LBB896_61:
	s_or_b64 exec, exec, s[2:3]
                                        ; implicit-def: $vgpr38_vgpr39
	s_and_saveexec_b64 s[2:3], s[38:39]
	s_cbranch_execnz .LBB896_253
.LBB896_62:
	s_or_b64 exec, exec, s[2:3]
                                        ; implicit-def: $vgpr40_vgpr41
	s_and_saveexec_b64 s[2:3], s[40:41]
	s_cbranch_execnz .LBB896_254
.LBB896_63:
	s_or_b64 exec, exec, s[2:3]
                                        ; implicit-def: $vgpr42_vgpr43
	s_and_saveexec_b64 s[2:3], s[42:43]
	s_cbranch_execz .LBB896_65
.LBB896_64:
	global_load_dwordx2 v[42:43], v51, s[46:47]
	s_waitcnt vmcnt(0)
	v_sub_co_u32_e32 v42, vcc, 0, v42
	v_subb_co_u32_e32 v43, vcc, 0, v43, vcc
.LBB896_65:
	s_or_b64 exec, exec, s[2:3]
	v_mul_u32_u24_e32 v49, 19, v0
	ds_write2st64_b64 v50, v[2:3], v[6:7] offset1:1
	ds_write2st64_b64 v50, v[10:11], v[12:13] offset0:2 offset1:3
	ds_write2st64_b64 v50, v[14:15], v[16:17] offset0:4 offset1:5
	;; [unrolled: 1-line block ×8, first 2 shown]
	ds_write_b64 v50, v[42:43] offset:9216
	v_pk_mov_b32 v[6:7], 0, 0
	v_cmp_gt_u32_e32 vcc, s55, v49
	s_mov_b64 s[12:13], 0
	s_mov_b64 s[8:9], 0
	s_mov_b32 s7, 0
	v_mov_b32_e32 v110, 0
	v_mov_b32_e32 v126, 0
	v_pk_mov_b32 v[62:63], v[6:7], v[6:7] op_sel:[0,1]
	v_mov_b32_e32 v125, 0
	v_pk_mov_b32 v[70:71], v[6:7], v[6:7] op_sel:[0,1]
	;; [unrolled: 2-line block ×17, first 2 shown]
	s_waitcnt lgkmcnt(0)
	; wave barrier
	s_waitcnt lgkmcnt(0)
                                        ; implicit-def: $sgpr2_sgpr3
	s_and_saveexec_b64 s[10:11], vcc
	s_cbranch_execz .LBB896_101
; %bb.66:
	ds_read_b64 v[2:3], v48
	s_waitcnt vmcnt(0) lgkmcnt(0)
	v_cmp_ne_u64_e32 vcc, v[8:9], v[106:107]
	v_add_u32_e32 v6, 1, v49
	v_cndmask_b32_e64 v1, 0, 1, vcc
	v_cmp_gt_u32_e32 vcc, s55, v6
	v_pk_mov_b32 v[6:7], 0, 0
	s_mov_b64 s[14:15], 0
	s_mov_b64 s[2:3], 0
	v_mov_b32_e32 v110, 0
	v_mov_b32_e32 v126, 0
	v_pk_mov_b32 v[62:63], v[6:7], v[6:7] op_sel:[0,1]
	v_mov_b32_e32 v125, 0
	v_pk_mov_b32 v[70:71], v[6:7], v[6:7] op_sel:[0,1]
	;; [unrolled: 2-line block ×16, first 2 shown]
                                        ; implicit-def: $sgpr16_sgpr17
	s_and_saveexec_b64 s[12:13], vcc
	s_cbranch_execz .LBB896_100
; %bb.67:
	ds_read2_b64 v[14:17], v48 offset0:1 offset1:2
	v_cmp_ne_u64_e32 vcc, v[106:107], v[108:109]
	v_add_u32_e32 v6, 2, v49
	v_cndmask_b32_e64 v112, 0, 1, vcc
	v_cmp_gt_u32_e32 vcc, s55, v6
	v_pk_mov_b32 v[6:7], 0, 0
	s_mov_b64 s[18:19], 0
	v_mov_b32_e32 v110, 0
	v_mov_b32_e32 v126, 0
	v_pk_mov_b32 v[62:63], v[6:7], v[6:7] op_sel:[0,1]
	v_mov_b32_e32 v125, 0
	v_pk_mov_b32 v[70:71], v[6:7], v[6:7] op_sel:[0,1]
	;; [unrolled: 2-line block ×15, first 2 shown]
                                        ; implicit-def: $sgpr16_sgpr17
	s_and_saveexec_b64 s[14:15], vcc
	s_cbranch_execz .LBB896_99
; %bb.68:
	v_cmp_ne_u64_e32 vcc, v[108:109], v[102:103]
	v_add_u32_e32 v6, 3, v49
	v_cndmask_b32_e64 v111, 0, 1, vcc
	v_cmp_gt_u32_e32 vcc, s55, v6
	v_pk_mov_b32 v[6:7], 0, 0
	s_waitcnt lgkmcnt(0)
	v_mov_b32_e32 v10, v16
	v_mov_b32_e32 v11, v17
	;; [unrolled: 1-line block ×4, first 2 shown]
	v_pk_mov_b32 v[62:63], v[6:7], v[6:7] op_sel:[0,1]
	v_mov_b32_e32 v125, 0
	v_pk_mov_b32 v[70:71], v[6:7], v[6:7] op_sel:[0,1]
	v_mov_b32_e32 v124, 0
	;; [unrolled: 2-line block ×13, first 2 shown]
	v_pk_mov_b32 v[22:23], v[6:7], v[6:7] op_sel:[0,1]
                                        ; implicit-def: $sgpr20_sgpr21
	s_and_saveexec_b64 s[16:17], vcc
	s_cbranch_execz .LBB896_98
; %bb.69:
	ds_read2_b64 v[22:25], v48 offset0:3 offset1:4
	v_cmp_ne_u64_e32 vcc, v[102:103], v[104:105]
	v_add_u32_e32 v6, 4, v49
	v_cndmask_b32_e64 v113, 0, 1, vcc
	v_cmp_gt_u32_e32 vcc, s55, v6
	v_pk_mov_b32 v[6:7], 0, 0
	s_mov_b64 s[22:23], 0
	v_mov_b32_e32 v110, 0
	v_mov_b32_e32 v126, 0
	v_pk_mov_b32 v[62:63], v[6:7], v[6:7] op_sel:[0,1]
	v_mov_b32_e32 v125, 0
	v_pk_mov_b32 v[70:71], v[6:7], v[6:7] op_sel:[0,1]
	;; [unrolled: 2-line block ×13, first 2 shown]
                                        ; implicit-def: $sgpr20_sgpr21
	s_and_saveexec_b64 s[18:19], vcc
	s_cbranch_execz .LBB896_97
; %bb.70:
	v_cmp_ne_u64_e32 vcc, v[104:105], v[98:99]
	v_add_u32_e32 v6, 5, v49
	v_cndmask_b32_e64 v114, 0, 1, vcc
	v_cmp_gt_u32_e32 vcc, s55, v6
	v_pk_mov_b32 v[6:7], 0, 0
	s_waitcnt lgkmcnt(0)
	v_mov_b32_e32 v18, v24
	v_mov_b32_e32 v19, v25
	;; [unrolled: 1-line block ×4, first 2 shown]
	v_pk_mov_b32 v[62:63], v[6:7], v[6:7] op_sel:[0,1]
	v_mov_b32_e32 v125, 0
	v_pk_mov_b32 v[70:71], v[6:7], v[6:7] op_sel:[0,1]
	v_mov_b32_e32 v124, 0
	;; [unrolled: 2-line block ×11, first 2 shown]
	v_pk_mov_b32 v[34:35], v[6:7], v[6:7] op_sel:[0,1]
                                        ; implicit-def: $sgpr24_sgpr25
	s_and_saveexec_b64 s[20:21], vcc
	s_cbranch_execz .LBB896_96
; %bb.71:
	ds_read2_b64 v[34:37], v48 offset0:5 offset1:6
	v_cmp_ne_u64_e32 vcc, v[98:99], v[100:101]
	v_add_u32_e32 v6, 6, v49
	v_cndmask_b32_e64 v115, 0, 1, vcc
	v_cmp_gt_u32_e32 vcc, s55, v6
	v_pk_mov_b32 v[6:7], 0, 0
	s_mov_b64 s[26:27], 0
	v_mov_b32_e32 v110, 0
	v_mov_b32_e32 v126, 0
	v_pk_mov_b32 v[62:63], v[6:7], v[6:7] op_sel:[0,1]
	v_mov_b32_e32 v125, 0
	v_pk_mov_b32 v[70:71], v[6:7], v[6:7] op_sel:[0,1]
	;; [unrolled: 2-line block ×11, first 2 shown]
                                        ; implicit-def: $sgpr24_sgpr25
	s_and_saveexec_b64 s[22:23], vcc
	s_cbranch_execz .LBB896_95
; %bb.72:
	v_cmp_ne_u64_e32 vcc, v[100:101], v[94:95]
	v_add_u32_e32 v6, 7, v49
	v_cndmask_b32_e64 v116, 0, 1, vcc
	v_cmp_gt_u32_e32 vcc, s55, v6
	v_pk_mov_b32 v[6:7], 0, 0
	s_waitcnt lgkmcnt(0)
	v_mov_b32_e32 v26, v36
	v_mov_b32_e32 v27, v37
	;; [unrolled: 1-line block ×4, first 2 shown]
	v_pk_mov_b32 v[62:63], v[6:7], v[6:7] op_sel:[0,1]
	v_mov_b32_e32 v125, 0
	v_pk_mov_b32 v[70:71], v[6:7], v[6:7] op_sel:[0,1]
	v_mov_b32_e32 v124, 0
	;; [unrolled: 2-line block ×9, first 2 shown]
	v_pk_mov_b32 v[42:43], v[6:7], v[6:7] op_sel:[0,1]
                                        ; implicit-def: $sgpr28_sgpr29
	s_and_saveexec_b64 s[24:25], vcc
	s_cbranch_execz .LBB896_94
; %bb.73:
	ds_read2_b64 v[42:45], v48 offset0:7 offset1:8
	v_cmp_ne_u64_e32 vcc, v[94:95], v[96:97]
	v_add_u32_e32 v6, 8, v49
	v_cndmask_b32_e64 v117, 0, 1, vcc
	v_cmp_gt_u32_e32 vcc, s55, v6
	v_pk_mov_b32 v[6:7], 0, 0
	s_mov_b64 s[30:31], 0
	v_mov_b32_e32 v110, 0
	v_mov_b32_e32 v126, 0
	v_pk_mov_b32 v[62:63], v[6:7], v[6:7] op_sel:[0,1]
	v_mov_b32_e32 v125, 0
	v_pk_mov_b32 v[70:71], v[6:7], v[6:7] op_sel:[0,1]
	;; [unrolled: 2-line block ×9, first 2 shown]
                                        ; implicit-def: $sgpr28_sgpr29
	s_and_saveexec_b64 s[26:27], vcc
	s_cbranch_execz .LBB896_93
; %bb.74:
	v_cmp_ne_u64_e32 vcc, v[96:97], v[90:91]
	v_add_u32_e32 v6, 9, v49
	v_cndmask_b32_e64 v118, 0, 1, vcc
	v_cmp_gt_u32_e32 vcc, s55, v6
	v_pk_mov_b32 v[6:7], 0, 0
	s_waitcnt lgkmcnt(0)
	v_mov_b32_e32 v30, v44
	v_mov_b32_e32 v31, v45
	;; [unrolled: 1-line block ×4, first 2 shown]
	v_pk_mov_b32 v[62:63], v[6:7], v[6:7] op_sel:[0,1]
	v_mov_b32_e32 v125, 0
	v_pk_mov_b32 v[70:71], v[6:7], v[6:7] op_sel:[0,1]
	v_mov_b32_e32 v124, 0
	;; [unrolled: 2-line block ×7, first 2 shown]
	v_pk_mov_b32 v[50:51], v[6:7], v[6:7] op_sel:[0,1]
                                        ; implicit-def: $sgpr34_sgpr35
	s_and_saveexec_b64 s[28:29], vcc
	s_cbranch_execz .LBB896_92
; %bb.75:
	ds_read2_b64 v[50:53], v48 offset0:9 offset1:10
	v_cmp_ne_u64_e32 vcc, v[90:91], v[92:93]
	v_add_u32_e32 v6, 10, v49
	v_cndmask_b32_e64 v119, 0, 1, vcc
	v_cmp_gt_u32_e32 vcc, s55, v6
	v_pk_mov_b32 v[6:7], 0, 0
	s_mov_b64 s[36:37], 0
	v_mov_b32_e32 v110, 0
	v_mov_b32_e32 v126, 0
	v_pk_mov_b32 v[62:63], v[6:7], v[6:7] op_sel:[0,1]
	v_mov_b32_e32 v125, 0
	v_pk_mov_b32 v[70:71], v[6:7], v[6:7] op_sel:[0,1]
	v_mov_b32_e32 v124, 0
	v_pk_mov_b32 v[54:55], v[6:7], v[6:7] op_sel:[0,1]
	v_mov_b32_e32 v123, 0
	v_pk_mov_b32 v[66:67], v[6:7], v[6:7] op_sel:[0,1]
	v_mov_b32_e32 v122, 0
	v_pk_mov_b32 v[46:47], v[6:7], v[6:7] op_sel:[0,1]
	v_mov_b32_e32 v121, 0
	v_pk_mov_b32 v[58:59], v[6:7], v[6:7] op_sel:[0,1]
	v_mov_b32_e32 v120, 0
	v_pk_mov_b32 v[38:39], v[6:7], v[6:7] op_sel:[0,1]
                                        ; implicit-def: $sgpr34_sgpr35
	s_and_saveexec_b64 s[30:31], vcc
	s_cbranch_execz .LBB896_91
; %bb.76:
	v_cmp_ne_u64_e32 vcc, v[92:93], v[86:87]
	v_add_u32_e32 v6, 11, v49
	v_cndmask_b32_e64 v120, 0, 1, vcc
	v_cmp_gt_u32_e32 vcc, s55, v6
	v_pk_mov_b32 v[6:7], 0, 0
	s_waitcnt lgkmcnt(0)
	v_mov_b32_e32 v38, v52
	v_mov_b32_e32 v39, v53
	;; [unrolled: 1-line block ×4, first 2 shown]
	v_pk_mov_b32 v[62:63], v[6:7], v[6:7] op_sel:[0,1]
	v_mov_b32_e32 v125, 0
	v_pk_mov_b32 v[70:71], v[6:7], v[6:7] op_sel:[0,1]
	v_mov_b32_e32 v124, 0
	;; [unrolled: 2-line block ×5, first 2 shown]
	v_pk_mov_b32 v[58:59], v[6:7], v[6:7] op_sel:[0,1]
                                        ; implicit-def: $sgpr38_sgpr39
	s_and_saveexec_b64 s[34:35], vcc
	s_cbranch_execz .LBB896_90
; %bb.77:
	ds_read2_b64 v[58:61], v48 offset0:11 offset1:12
	v_cmp_ne_u64_e32 vcc, v[86:87], v[88:89]
	v_add_u32_e32 v6, 12, v49
	v_cndmask_b32_e64 v121, 0, 1, vcc
	v_cmp_gt_u32_e32 vcc, s55, v6
	v_pk_mov_b32 v[6:7], 0, 0
	s_mov_b64 s[40:41], 0
	v_mov_b32_e32 v110, 0
	v_mov_b32_e32 v126, 0
	v_pk_mov_b32 v[62:63], v[6:7], v[6:7] op_sel:[0,1]
	v_mov_b32_e32 v125, 0
	v_pk_mov_b32 v[70:71], v[6:7], v[6:7] op_sel:[0,1]
	;; [unrolled: 2-line block ×5, first 2 shown]
                                        ; implicit-def: $sgpr38_sgpr39
	s_and_saveexec_b64 s[36:37], vcc
	s_cbranch_execz .LBB896_89
; %bb.78:
	v_cmp_ne_u64_e32 vcc, v[88:89], v[82:83]
	v_add_u32_e32 v6, 13, v49
	v_cndmask_b32_e64 v122, 0, 1, vcc
	v_cmp_gt_u32_e32 vcc, s55, v6
	v_pk_mov_b32 v[6:7], 0, 0
	s_waitcnt lgkmcnt(0)
	v_mov_b32_e32 v46, v60
	v_mov_b32_e32 v47, v61
	;; [unrolled: 1-line block ×4, first 2 shown]
	v_pk_mov_b32 v[62:63], v[6:7], v[6:7] op_sel:[0,1]
	v_mov_b32_e32 v125, 0
	v_pk_mov_b32 v[70:71], v[6:7], v[6:7] op_sel:[0,1]
	v_mov_b32_e32 v124, 0
	;; [unrolled: 2-line block ×3, first 2 shown]
	v_pk_mov_b32 v[66:67], v[6:7], v[6:7] op_sel:[0,1]
                                        ; implicit-def: $sgpr42_sgpr43
	s_and_saveexec_b64 s[38:39], vcc
	s_cbranch_execz .LBB896_88
; %bb.79:
	ds_read2_b64 v[66:69], v48 offset0:13 offset1:14
	v_cmp_ne_u64_e32 vcc, v[82:83], v[84:85]
	v_add_u32_e32 v6, 14, v49
	v_cndmask_b32_e64 v123, 0, 1, vcc
	v_cmp_gt_u32_e32 vcc, s55, v6
	v_pk_mov_b32 v[6:7], 0, 0
	s_mov_b64 s[44:45], 0
	v_mov_b32_e32 v110, 0
	v_mov_b32_e32 v126, 0
	v_pk_mov_b32 v[62:63], v[6:7], v[6:7] op_sel:[0,1]
	v_mov_b32_e32 v125, 0
	v_pk_mov_b32 v[70:71], v[6:7], v[6:7] op_sel:[0,1]
	;; [unrolled: 2-line block ×3, first 2 shown]
                                        ; implicit-def: $sgpr42_sgpr43
	s_and_saveexec_b64 s[40:41], vcc
	s_cbranch_execz .LBB896_87
; %bb.80:
	v_cmp_ne_u64_e32 vcc, v[84:85], v[78:79]
	v_add_u32_e32 v6, 15, v49
	v_cndmask_b32_e64 v124, 0, 1, vcc
	v_cmp_gt_u32_e32 vcc, s55, v6
	v_pk_mov_b32 v[6:7], 0, 0
	s_waitcnt lgkmcnt(0)
	v_mov_b32_e32 v54, v68
	v_mov_b32_e32 v55, v69
	;; [unrolled: 1-line block ×4, first 2 shown]
	v_pk_mov_b32 v[62:63], v[6:7], v[6:7] op_sel:[0,1]
	v_mov_b32_e32 v125, 0
	v_pk_mov_b32 v[70:71], v[6:7], v[6:7] op_sel:[0,1]
                                        ; implicit-def: $sgpr56_sgpr57
	s_and_saveexec_b64 s[42:43], vcc
	s_cbranch_execz .LBB896_86
; %bb.81:
	ds_read2_b64 v[70:73], v48 offset0:15 offset1:16
	v_cmp_ne_u64_e32 vcc, v[78:79], v[80:81]
	v_add_u32_e32 v6, 16, v49
	v_cndmask_b32_e64 v125, 0, 1, vcc
	v_cmp_gt_u32_e32 vcc, s55, v6
	v_pk_mov_b32 v[6:7], 0, 0
	s_mov_b64 s[56:57], 0
	v_mov_b32_e32 v110, 0
	v_mov_b32_e32 v126, 0
	v_pk_mov_b32 v[62:63], v[6:7], v[6:7] op_sel:[0,1]
                                        ; implicit-def: $sgpr74_sgpr75
	s_and_saveexec_b64 s[44:45], vcc
	s_cbranch_execz .LBB896_85
; %bb.82:
	v_cmp_ne_u64_e32 vcc, v[80:81], v[74:75]
	v_add_u32_e32 v6, 17, v49
	s_waitcnt lgkmcnt(0)
	v_mov_b32_e32 v62, v72
	v_mov_b32_e32 v63, v73
	v_cndmask_b32_e64 v126, 0, 1, vcc
	v_cmp_gt_u32_e32 vcc, s55, v6
	v_mov_b32_e32 v110, 0
	v_pk_mov_b32 v[6:7], 0, 0
                                        ; implicit-def: $sgpr74_sgpr75
	s_and_saveexec_b64 s[2:3], vcc
	s_xor_b64 s[76:77], exec, s[2:3]
	s_cbranch_execz .LBB896_84
; %bb.83:
	ds_read2_b64 v[6:9], v48 offset0:17 offset1:18
	v_cmp_ne_u64_e32 vcc, v[76:77], v[4:5]
	v_cmp_ne_u64_e64 s[2:3], v[74:75], v[76:77]
	v_add_u32_e32 v4, 18, v49
	v_cndmask_b32_e64 v110, 0, 1, s[2:3]
	v_cmp_gt_u32_e64 s[2:3], s55, v4
	s_and_b64 s[74:75], vcc, exec
	s_and_b64 s[56:57], s[2:3], exec
	s_waitcnt lgkmcnt(0)
	v_pk_mov_b32 v[64:65], v[6:7], v[6:7] op_sel:[0,1]
.LBB896_84:
	s_or_b64 exec, exec, s[76:77]
	s_and_b64 s[74:75], s[74:75], exec
	s_and_b64 s[2:3], s[56:57], exec
.LBB896_85:
	s_or_b64 exec, exec, s[44:45]
	s_and_b64 s[56:57], s[74:75], exec
	s_and_b64 s[44:45], s[2:3], exec
	s_waitcnt lgkmcnt(0)
	v_pk_mov_b32 v[56:57], v[70:71], v[70:71] op_sel:[0,1]
	v_pk_mov_b32 v[48:49], v[66:67], v[66:67] op_sel:[0,1]
	;; [unrolled: 1-line block ×8, first 2 shown]
.LBB896_86:
	s_or_b64 exec, exec, s[42:43]
	s_and_b64 s[42:43], s[56:57], exec
	s_and_b64 s[2:3], s[44:45], exec
.LBB896_87:
	s_or_b64 exec, exec, s[40:41]
	s_and_b64 s[42:43], s[42:43], exec
	s_and_b64 s[40:41], s[2:3], exec
.LBB896_88:
	s_or_b64 exec, exec, s[38:39]
	s_and_b64 s[38:39], s[42:43], exec
	s_and_b64 s[2:3], s[40:41], exec
.LBB896_89:
	s_or_b64 exec, exec, s[36:37]
	s_and_b64 s[38:39], s[38:39], exec
	s_and_b64 s[36:37], s[2:3], exec
.LBB896_90:
	s_or_b64 exec, exec, s[34:35]
	s_and_b64 s[34:35], s[38:39], exec
	s_and_b64 s[2:3], s[36:37], exec
.LBB896_91:
	s_or_b64 exec, exec, s[30:31]
	s_and_b64 s[34:35], s[34:35], exec
	s_and_b64 s[30:31], s[2:3], exec
.LBB896_92:
	s_or_b64 exec, exec, s[28:29]
	s_and_b64 s[28:29], s[34:35], exec
	s_and_b64 s[2:3], s[30:31], exec
.LBB896_93:
	s_or_b64 exec, exec, s[26:27]
	s_and_b64 s[28:29], s[28:29], exec
	s_and_b64 s[26:27], s[2:3], exec
.LBB896_94:
	s_or_b64 exec, exec, s[24:25]
	s_and_b64 s[24:25], s[28:29], exec
	s_and_b64 s[2:3], s[26:27], exec
.LBB896_95:
	s_or_b64 exec, exec, s[22:23]
	s_and_b64 s[24:25], s[24:25], exec
	s_and_b64 s[22:23], s[2:3], exec
.LBB896_96:
	s_or_b64 exec, exec, s[20:21]
	s_and_b64 s[20:21], s[24:25], exec
	s_and_b64 s[2:3], s[22:23], exec
.LBB896_97:
	s_or_b64 exec, exec, s[18:19]
	s_and_b64 s[20:21], s[20:21], exec
	s_and_b64 s[18:19], s[2:3], exec
.LBB896_98:
	s_or_b64 exec, exec, s[16:17]
	s_and_b64 s[16:17], s[20:21], exec
	s_and_b64 s[2:3], s[18:19], exec
.LBB896_99:
	s_or_b64 exec, exec, s[14:15]
	s_and_b64 s[16:17], s[16:17], exec
	s_and_b64 s[14:15], s[2:3], exec
.LBB896_100:
	s_or_b64 exec, exec, s[12:13]
	s_and_b64 s[2:3], s[16:17], exec
	s_and_b64 s[12:13], s[14:15], exec
.LBB896_101:
	s_or_b64 exec, exec, s[10:11]
	s_mov_b64 s[10:11], 0
	s_and_b64 vcc, exec, s[8:9]
	v_lshlrev_b32_e32 v127, 3, v0
	s_cbranch_vccnz .LBB896_103
	s_branch .LBB896_111
.LBB896_102:
                                        ; implicit-def: $sgpr2_sgpr3
                                        ; implicit-def: $vgpr8_vgpr9
                                        ; implicit-def: $vgpr110
                                        ; implicit-def: $vgpr64_vgpr65
                                        ; implicit-def: $vgpr126
                                        ; implicit-def: $vgpr125
                                        ; implicit-def: $vgpr56_vgpr57
                                        ; implicit-def: $vgpr124
                                        ; implicit-def: $vgpr123
                                        ; implicit-def: $vgpr48_vgpr49
                                        ; implicit-def: $vgpr122
                                        ; implicit-def: $vgpr121
                                        ; implicit-def: $vgpr40_vgpr41
                                        ; implicit-def: $vgpr120
                                        ; implicit-def: $vgpr119
                                        ; implicit-def: $vgpr32_vgpr33
                                        ; implicit-def: $vgpr118
                                        ; implicit-def: $vgpr117
                                        ; implicit-def: $vgpr28_vgpr29
                                        ; implicit-def: $vgpr116
                                        ; implicit-def: $vgpr115
                                        ; implicit-def: $vgpr20_vgpr21
                                        ; implicit-def: $vgpr114
                                        ; implicit-def: $vgpr113
                                        ; implicit-def: $vgpr12_vgpr13
                                        ; implicit-def: $vgpr111
                                        ; implicit-def: $vgpr112
                                        ; implicit-def: $vgpr4_vgpr5
                                        ; implicit-def: $vgpr1
                                        ; implicit-def: $sgpr7
                                        ; implicit-def: $sgpr10_sgpr11
                                        ; implicit-def: $vgpr70_vgpr71
                                        ; implicit-def: $vgpr66_vgpr67
                                        ; implicit-def: $vgpr58_vgpr59
                                        ; implicit-def: $vgpr50_vgpr51
                                        ; implicit-def: $vgpr42_vgpr43
                                        ; implicit-def: $vgpr34_vgpr35
                                        ; implicit-def: $vgpr22_vgpr23
                                        ; implicit-def: $vgpr14_vgpr15
	s_and_b64 vcc, exec, s[8:9]
	v_lshlrev_b32_e32 v127, 3, v0
	s_cbranch_vccz .LBB896_111
.LBB896_103:
	v_mov_b32_e32 v1, s69
	v_add_co_u32_e32 v2, vcc, s68, v127
	v_addc_co_u32_e32 v3, vcc, 0, v1, vcc
	v_add_co_u32_e32 v20, vcc, 0x1000, v2
	v_addc_co_u32_e32 v21, vcc, 0, v3, vcc
	flat_load_dwordx2 v[4:5], v[2:3]
	flat_load_dwordx2 v[6:7], v[2:3] offset:512
	s_waitcnt vmcnt(0) lgkmcnt(0)
	flat_load_dwordx2 v[8:9], v[2:3] offset:1024
	flat_load_dwordx2 v[10:11], v[2:3] offset:1536
	;; [unrolled: 1-line block ×6, first 2 shown]
	v_add_co_u32_e32 v2, vcc, 0x2000, v2
	v_addc_co_u32_e32 v3, vcc, 0, v3, vcc
	flat_load_dwordx2 v[22:23], v[20:21]
	flat_load_dwordx2 v[24:25], v[20:21] offset:512
	flat_load_dwordx2 v[26:27], v[20:21] offset:1024
	;; [unrolled: 1-line block ×7, first 2 shown]
	s_nop 0
	flat_load_dwordx2 v[20:21], v[2:3]
	flat_load_dwordx2 v[38:39], v[2:3] offset:512
	flat_load_dwordx2 v[40:41], v[2:3] offset:1024
	s_movk_i32 s2, 0x90
	v_mad_u32_u24 v1, v0, s2, v127
	s_cmp_eq_u64 s[72:73], 0
	ds_write2st64_b64 v127, v[4:5], v[6:7] offset1:1
	s_waitcnt vmcnt(0) lgkmcnt(0)
	ds_write2st64_b64 v127, v[8:9], v[10:11] offset0:2 offset1:3
	ds_write2st64_b64 v127, v[12:13], v[14:15] offset0:4 offset1:5
	;; [unrolled: 1-line block ×8, first 2 shown]
	ds_write_b64 v127, v[40:41] offset:9216
	s_waitcnt lgkmcnt(0)
	; wave barrier
	s_waitcnt lgkmcnt(0)
	ds_read2_b64 v[14:17], v1 offset1:1
	ds_read2_b64 v[2:5], v1 offset0:2 offset1:3
	ds_read2_b64 v[6:9], v1 offset0:4 offset1:5
	;; [unrolled: 1-line block ×8, first 2 shown]
	ds_read_b64 v[38:39], v1 offset:144
	s_cbranch_scc1 .LBB896_108
; %bb.104:
	s_andn2_b64 vcc, exec, s[70:71]
	s_cbranch_vccnz .LBB896_256
; %bb.105:
	s_lshl_b64 s[2:3], s[72:73], 3
	s_add_u32 s2, s62, s2
	s_addc_u32 s3, s63, s3
	s_add_u32 s2, s2, -8
	s_addc_u32 s3, s3, -1
	s_cbranch_execnz .LBB896_107
.LBB896_106:
	s_add_u32 s2, s68, -8
	s_addc_u32 s3, s69, -1
.LBB896_107:
	s_mov_b64 s[68:69], s[2:3]
.LBB896_108:
	v_pk_mov_b32 v[40:41], s[68:69], s[68:69] op_sel:[0,1]
	flat_load_dwordx2 v[42:43], v[40:41]
	s_movk_i32 s2, 0xff70
	v_mad_i32_i24 v40, v0, s2, v1
	v_cmp_ne_u32_e32 vcc, 0, v0
	s_waitcnt lgkmcnt(0)
	ds_write_b64 v40, v[38:39] offset:9728
	s_waitcnt lgkmcnt(0)
	; wave barrier
	s_waitcnt lgkmcnt(0)
	s_and_saveexec_b64 s[2:3], vcc
	s_cbranch_execz .LBB896_110
; %bb.109:
	v_mul_i32_i24_e32 v40, 0xffffff70, v0
	v_add_u32_e32 v40, v1, v40
	s_waitcnt vmcnt(0)
	ds_read_b64 v[42:43], v40 offset:9720
.LBB896_110:
	s_or_b64 exec, exec, s[2:3]
	s_waitcnt lgkmcnt(0)
	; wave barrier
	s_waitcnt lgkmcnt(0)
	global_load_dwordx2 v[40:41], v127, s[46:47]
	global_load_dwordx2 v[44:45], v127, s[46:47] offset:512
	global_load_dwordx2 v[46:47], v127, s[46:47] offset:1024
	global_load_dwordx2 v[48:49], v127, s[46:47] offset:1536
	global_load_dwordx2 v[50:51], v127, s[46:47] offset:2048
	v_mov_b32_e32 v58, s47
	global_load_dwordx2 v[52:53], v127, s[46:47] offset:2560
	global_load_dwordx2 v[54:55], v127, s[46:47] offset:3072
	global_load_dwordx2 v[56:57], v127, s[46:47] offset:3584
	v_add_co_u32_e32 v62, vcc, s46, v127
	s_movk_i32 s3, 0x2000
	v_addc_co_u32_e32 v63, vcc, 0, v58, vcc
	v_add_co_u32_e32 v58, vcc, s3, v62
	s_movk_i32 s2, 0x1000
	v_addc_co_u32_e32 v59, vcc, 0, v63, vcc
	global_load_dwordx2 v[60:61], v[58:59], off offset:-4096
	v_add_co_u32_e32 v62, vcc, s2, v62
	v_addc_co_u32_e32 v63, vcc, 0, v63, vcc
	global_load_dwordx2 v[64:65], v[62:63], off offset:512
	v_cmp_ne_u64_e64 s[2:3], v[36:37], v[38:39]
	v_cmp_ne_u64_e32 vcc, v[34:35], v[36:37]
	global_load_dwordx2 v[36:37], v[62:63], off offset:1024
	v_cndmask_b32_e64 v110, 0, 1, vcc
	v_cmp_ne_u64_e32 vcc, v[32:33], v[34:35]
	global_load_dwordx2 v[34:35], v[62:63], off offset:1536
	v_cndmask_b32_e64 v126, 0, 1, vcc
	v_cmp_ne_u64_e32 vcc, v[30:31], v[32:33]
	v_cndmask_b32_e64 v125, 0, 1, vcc
	v_cmp_ne_u64_e32 vcc, v[28:29], v[30:31]
	global_load_dwordx2 v[30:31], v[62:63], off offset:2048
	v_cndmask_b32_e64 v124, 0, 1, vcc
	v_cmp_ne_u64_e32 vcc, v[26:27], v[28:29]
	global_load_dwordx2 v[28:29], v[62:63], off offset:2560
	v_cndmask_b32_e64 v123, 0, 1, vcc
	v_cmp_ne_u64_e32 vcc, v[24:25], v[26:27]
	v_cndmask_b32_e64 v122, 0, 1, vcc
	;; [unrolled: 8-line block ×3, first 2 shown]
	v_cmp_ne_u64_e32 vcc, v[12:13], v[18:19]
	global_load_dwordx2 v[18:19], v[58:59], off
	v_cndmask_b32_e64 v118, 0, 1, vcc
	v_cmp_ne_u64_e32 vcc, v[10:11], v[12:13]
	global_load_dwordx2 v[12:13], v[58:59], off offset:512
	v_cndmask_b32_e64 v117, 0, 1, vcc
	v_cmp_ne_u64_e32 vcc, v[8:9], v[10:11]
	v_cndmask_b32_e64 v116, 0, 1, vcc
	v_cmp_ne_u64_e32 vcc, v[6:7], v[8:9]
	global_load_dwordx2 v[8:9], v[58:59], off offset:1024
	v_cndmask_b32_e64 v115, 0, 1, vcc
	v_cmp_ne_u64_e32 vcc, v[4:5], v[6:7]
	v_cndmask_b32_e64 v114, 0, 1, vcc
	v_cmp_ne_u64_e32 vcc, v[2:3], v[4:5]
	;; [unrolled: 2-line block ×3, first 2 shown]
	v_cndmask_b32_e64 v111, 0, 1, vcc
	s_mov_b64 s[12:13], -1
                                        ; implicit-def: $sgpr7
                                        ; implicit-def: $sgpr10_sgpr11
                                        ; implicit-def: $vgpr70_vgpr71
                                        ; implicit-def: $vgpr66_vgpr67
                                        ; implicit-def: $vgpr58_vgpr59
	s_waitcnt vmcnt(0)
	v_sub_co_u32_e32 v2, vcc, 0, v40
	v_subb_co_u32_e32 v3, vcc, 0, v41, vcc
	v_sub_co_u32_e32 v4, vcc, 0, v44
	v_subb_co_u32_e32 v5, vcc, 0, v45, vcc
	;; [unrolled: 2-line block ×19, first 2 shown]
	ds_write2st64_b64 v127, v[2:3], v[4:5] offset1:1
	ds_write2st64_b64 v127, v[6:7], v[10:11] offset0:2 offset1:3
	ds_write2st64_b64 v127, v[20:21], v[26:27] offset0:4 offset1:5
	;; [unrolled: 1-line block ×8, first 2 shown]
	ds_write_b64 v127, v[8:9] offset:9216
	s_waitcnt lgkmcnt(0)
	; wave barrier
	s_waitcnt lgkmcnt(0)
	ds_read2_b64 v[2:5], v1 offset1:1
	ds_read2_b64 v[10:13], v1 offset0:2 offset1:3
	ds_read2_b64 v[18:21], v1 offset0:4 offset1:5
	;; [unrolled: 1-line block ×8, first 2 shown]
	ds_read_b64 v[8:9], v1 offset:144
	v_cmp_ne_u64_e32 vcc, v[14:15], v[16:17]
	v_cndmask_b32_e64 v112, 0, 1, vcc
	v_cmp_ne_u64_e32 vcc, v[42:43], v[14:15]
	v_cndmask_b32_e64 v1, 0, 1, vcc
                                        ; implicit-def: $vgpr50_vgpr51
                                        ; implicit-def: $vgpr42_vgpr43
                                        ; implicit-def: $vgpr34_vgpr35
                                        ; implicit-def: $vgpr22_vgpr23
                                        ; implicit-def: $vgpr14_vgpr15
.LBB896_111:
	s_waitcnt lgkmcnt(0)
	v_pk_mov_b32 v[16:17], s[10:11], s[10:11] op_sel:[0,1]
	v_mov_b32_e32 v36, s7
	s_and_saveexec_b64 s[8:9], s[12:13]
	s_cbranch_execz .LBB896_113
; %bb.112:
	v_cndmask_b32_e64 v36, 0, 1, s[2:3]
	v_pk_mov_b32 v[14:15], v[4:5], v[4:5] op_sel:[0,1]
	v_pk_mov_b32 v[22:23], v[12:13], v[12:13] op_sel:[0,1]
	;; [unrolled: 1-line block ×9, first 2 shown]
	s_waitcnt vmcnt(0)
	v_pk_mov_b32 v[16:17], v[8:9], v[8:9] op_sel:[0,1]
.LBB896_113:
	s_or_b64 exec, exec, s[8:9]
	v_or_b32_e32 v4, v36, v110
	s_cmp_lg_u32 s6, 0
	v_or_b32_e32 v29, v4, v126
	v_mbcnt_lo_u32_b32 v28, -1, 0
	s_waitcnt lgkmcnt(0)
	; wave barrier
	s_cbranch_scc0 .LBB896_172
; %bb.114:
	v_mov_b32_e32 v4, 0
	v_cmp_eq_u16_sdwa s[40:41], v112, v4 src0_sel:BYTE_0 src1_sel:DWORD
	s_waitcnt vmcnt(0)
	v_cndmask_b32_e64 v9, 0, v2, s[40:41]
	v_cndmask_b32_e64 v5, 0, v3, s[40:41]
	v_add_co_u32_e32 v9, vcc, v9, v14
	v_cmp_eq_u16_sdwa s[38:39], v111, v4 src0_sel:BYTE_0 src1_sel:DWORD
	v_addc_co_u32_e32 v5, vcc, v5, v15, vcc
	v_cndmask_b32_e64 v9, 0, v9, s[38:39]
	v_cndmask_b32_e64 v5, 0, v5, s[38:39]
	v_add_co_u32_e32 v9, vcc, v9, v10
	v_cmp_eq_u16_sdwa s[36:37], v113, v4 src0_sel:BYTE_0 src1_sel:DWORD
	v_addc_co_u32_e32 v5, vcc, v5, v11, vcc
	;; [unrolled: 5-line block ×16, first 2 shown]
	v_cndmask_b32_e64 v9, 0, v9, s[44:45]
	v_add_co_u32_e32 v9, vcc, v9, v6
	v_cmp_eq_u16_sdwa s[2:3], v36, v4 src0_sel:BYTE_0 src1_sel:DWORD
	v_cndmask_b32_e64 v4, 0, v9, s[2:3]
	v_or_b32_e32 v9, v29, v125
	v_or_b32_e32 v9, v9, v124
	;; [unrolled: 1-line block ×12, first 2 shown]
	v_cndmask_b32_e64 v5, 0, v5, s[44:45]
	v_or_b32_e32 v9, v9, v113
	v_addc_co_u32_e32 v5, vcc, v5, v7, vcc
	v_or_b32_e32 v9, v9, v111
	v_cndmask_b32_e64 v5, 0, v5, s[2:3]
	v_add_co_u32_e32 v4, vcc, v4, v16
	v_or_b32_e32 v9, v9, v112
	v_addc_co_u32_e32 v5, vcc, v5, v17, vcc
	v_and_b32_e32 v9, 1, v9
	v_and_b32_e32 v8, 0xff, v1
	v_cmp_eq_u32_e32 vcc, 1, v9
	v_mbcnt_hi_u32_b32 v9, -1, v28
	v_cndmask_b32_e64 v8, v8, 1, vcc
	v_and_b32_e32 v12, 15, v9
	v_mov_b32_dpp v20, v4 row_shr:1 row_mask:0xf bank_mask:0xf
	v_mov_b32_dpp v21, v5 row_shr:1 row_mask:0xf bank_mask:0xf
	;; [unrolled: 1-line block ×3, first 2 shown]
	v_cmp_ne_u32_e32 vcc, 0, v12
	s_and_saveexec_b64 s[42:43], vcc
; %bb.115:
	v_cmp_eq_u32_e32 vcc, 0, v8
	v_cndmask_b32_e32 v20, 0, v20, vcc
	v_cndmask_b32_e32 v21, 0, v21, vcc
	v_add_co_u32_e32 v4, vcc, v20, v4
	v_addc_co_u32_e32 v5, vcc, v21, v5, vcc
	v_and_or_b32 v8, v13, 1, v8
; %bb.116:
	s_or_b64 exec, exec, s[42:43]
	v_mov_b32_dpp v20, v4 row_shr:2 row_mask:0xf bank_mask:0xf
	v_mov_b32_dpp v21, v5 row_shr:2 row_mask:0xf bank_mask:0xf
	v_mov_b32_dpp v13, v8 row_shr:2 row_mask:0xf bank_mask:0xf
	v_cmp_lt_u32_e32 vcc, 1, v12
	s_and_saveexec_b64 s[42:43], vcc
; %bb.117:
	v_cmp_eq_u32_e32 vcc, 0, v8
	v_cndmask_b32_e32 v20, 0, v20, vcc
	v_cndmask_b32_e32 v21, 0, v21, vcc
	v_add_co_u32_e32 v4, vcc, v20, v4
	v_or_b32_e32 v8, v13, v8
	v_addc_co_u32_e32 v5, vcc, v21, v5, vcc
	v_and_b32_e32 v8, 1, v8
; %bb.118:
	s_or_b64 exec, exec, s[42:43]
	v_mov_b32_dpp v20, v4 row_shr:4 row_mask:0xf bank_mask:0xf
	v_mov_b32_dpp v21, v5 row_shr:4 row_mask:0xf bank_mask:0xf
	v_mov_b32_dpp v13, v8 row_shr:4 row_mask:0xf bank_mask:0xf
	v_cmp_lt_u32_e32 vcc, 3, v12
	s_and_saveexec_b64 s[42:43], vcc
; %bb.119:
	v_cmp_eq_u32_e32 vcc, 0, v8
	v_cndmask_b32_e32 v20, 0, v20, vcc
	v_cndmask_b32_e32 v21, 0, v21, vcc
	v_add_co_u32_e32 v4, vcc, v20, v4
	v_or_b32_e32 v8, v13, v8
	v_addc_co_u32_e32 v5, vcc, v21, v5, vcc
	v_and_b32_e32 v8, 1, v8
	;; [unrolled: 15-line block ×3, first 2 shown]
; %bb.122:
	s_or_b64 exec, exec, s[42:43]
	v_and_b32_e32 v21, 16, v9
	v_mov_b32_dpp v13, v4 row_bcast:15 row_mask:0xf bank_mask:0xf
	v_mov_b32_dpp v20, v5 row_bcast:15 row_mask:0xf bank_mask:0xf
	;; [unrolled: 1-line block ×3, first 2 shown]
	v_cmp_ne_u32_e32 vcc, 0, v21
	s_and_saveexec_b64 s[42:43], vcc
; %bb.123:
	v_cmp_eq_u32_e32 vcc, 0, v8
	v_cndmask_b32_e32 v13, 0, v13, vcc
	v_cndmask_b32_e32 v20, 0, v20, vcc
	v_add_co_u32_e32 v4, vcc, v13, v4
	v_or_b32_e32 v8, v12, v8
	v_addc_co_u32_e32 v5, vcc, v20, v5, vcc
	v_and_b32_e32 v8, 1, v8
; %bb.124:
	s_or_b64 exec, exec, s[42:43]
	v_mov_b32_dpp v20, v4 row_bcast:31 row_mask:0xf bank_mask:0xf
	v_mov_b32_dpp v21, v5 row_bcast:31 row_mask:0xf bank_mask:0xf
	;; [unrolled: 1-line block ×3, first 2 shown]
	v_cmp_lt_u32_e32 vcc, 31, v9
	v_mov_b32_e32 v12, v8
	s_and_saveexec_b64 s[42:43], vcc
; %bb.125:
	v_cmp_eq_u32_e32 vcc, 0, v8
	v_cndmask_b32_e32 v20, 0, v20, vcc
	v_cndmask_b32_e32 v12, 0, v21, vcc
	v_add_co_u32_e32 v4, vcc, v20, v4
	v_or_b32_e32 v8, v13, v8
	v_addc_co_u32_e32 v5, vcc, v12, v5, vcc
	v_and_b32_e32 v12, 1, v8
	v_and_b32_e32 v8, 1, v8
; %bb.126:
	s_or_b64 exec, exec, s[42:43]
	v_cmp_eq_u32_e32 vcc, 63, v0
	s_and_saveexec_b64 s[42:43], vcc
	s_cbranch_execz .LBB896_128
; %bb.127:
	v_mov_b32_e32 v13, 0
	ds_write_b64 v13, v[4:5]
	ds_write_b8 v13, v12 offset:8
.LBB896_128:
	s_or_b64 exec, exec, s[42:43]
	v_add_u32_e32 v12, -1, v9
	v_and_b32_e32 v13, 64, v9
	v_cmp_lt_i32_e32 vcc, v12, v13
	v_cndmask_b32_e32 v12, v12, v9, vcc
	v_lshlrev_b32_e32 v12, 2, v12
	ds_bpermute_b32 v33, v12, v4
	ds_bpermute_b32 v37, v12, v5
	;; [unrolled: 1-line block ×3, first 2 shown]
	v_cmp_gt_u32_e32 vcc, 64, v0
	s_waitcnt lgkmcnt(0)
	; wave barrier
	s_waitcnt lgkmcnt(0)
	s_and_saveexec_b64 s[56:57], vcc
	s_cbranch_execz .LBB896_171
; %bb.129:
	v_mov_b32_e32 v13, 0
	ds_read_b64 v[4:5], v13
	ds_read_u8 v40, v13 offset:8
	s_mov_b32 s63, 0
	v_cmp_eq_u32_e64 s[42:43], 0, v9
	s_and_saveexec_b64 s[46:47], s[42:43]
	s_cbranch_execz .LBB896_131
; %bb.130:
	s_add_i32 s62, s6, 64
	s_lshl_b64 s[68:69], s[62:63], 4
	s_add_u32 s68, s48, s68
	s_addc_u32 s69, s49, s69
	v_mov_b32_e32 v8, s62
	v_mov_b32_e32 v12, 1
	s_waitcnt lgkmcnt(1)
	global_store_dwordx2 v13, v[4:5], s[68:69]
	s_waitcnt lgkmcnt(0)
	global_store_byte v13, v40, s[68:69] offset:8
	s_waitcnt vmcnt(0)
	buffer_wbinvl1_vol
	global_store_byte v8, v12, s[52:53]
.LBB896_131:
	s_or_b64 exec, exec, s[46:47]
	v_xad_u32 v8, v9, -1, s6
	v_add_u32_e32 v12, 64, v8
	global_load_ubyte v41, v12, s[52:53] glc
	s_waitcnt vmcnt(0)
	v_cmp_eq_u16_e32 vcc, 0, v41
	s_and_saveexec_b64 s[46:47], vcc
	s_cbranch_execz .LBB896_135
; %bb.132:
	v_mov_b32_e32 v21, s53
	v_add_co_u32_e32 v20, vcc, s52, v12
	v_addc_co_u32_e32 v21, vcc, 0, v21, vcc
	s_mov_b64 s[62:63], 0
.LBB896_133:                            ; =>This Inner Loop Header: Depth=1
	global_load_ubyte v41, v[20:21], off glc
	s_waitcnt vmcnt(0)
	v_cmp_ne_u16_e32 vcc, 0, v41
	s_or_b64 s[62:63], vcc, s[62:63]
	s_andn2_b64 exec, exec, s[62:63]
	s_cbranch_execnz .LBB896_133
; %bb.134:
	s_or_b64 exec, exec, s[62:63]
.LBB896_135:
	s_or_b64 exec, exec, s[46:47]
	v_mov_b32_e32 v20, s51
	v_mov_b32_e32 v21, s49
	v_cmp_eq_u16_e32 vcc, 1, v41
	v_cndmask_b32_e32 v20, v20, v21, vcc
	v_mov_b32_e32 v21, s50
	v_mov_b32_e32 v24, s48
	v_cndmask_b32_e32 v21, v21, v24, vcc
	v_lshlrev_b64 v[12:13], 4, v[12:13]
	v_add_co_u32_e32 v12, vcc, v21, v12
	v_addc_co_u32_e32 v13, vcc, v20, v13, vcc
	s_waitcnt lgkmcnt(0)
	buffer_wbinvl1_vol
	global_load_dwordx2 v[24:25], v[12:13], off
	global_load_ubyte v72, v[12:13], off offset:8
	v_cmp_eq_u16_e32 vcc, 2, v41
	v_lshlrev_b64 v[12:13], v9, -1
	v_and_b32_e32 v44, 63, v9
	v_and_b32_e32 v20, vcc_hi, v13
	v_and_b32_e32 v53, vcc_lo, v12
	v_cmp_ne_u32_e32 vcc, 63, v44
	v_addc_co_u32_e32 v21, vcc, 0, v9, vcc
	v_lshlrev_b32_e32 v45, 2, v21
	v_or_b32_e32 v20, 0x80000000, v20
	v_ffbl_b32_e32 v20, v20
	v_add_u32_e32 v20, 32, v20
	v_ffbl_b32_e32 v53, v53
	v_min_u32_e32 v20, v53, v20
	v_cmp_lt_u32_e32 vcc, v44, v20
	s_waitcnt vmcnt(1)
	ds_bpermute_b32 v49, v45, v24
	s_waitcnt vmcnt(0)
	v_and_b32_e32 v21, 1, v72
	ds_bpermute_b32 v52, v45, v25
	ds_bpermute_b32 v48, v45, v21
	s_and_saveexec_b64 s[46:47], vcc
	s_cbranch_execz .LBB896_137
; %bb.136:
	v_mov_b32_e32 v21, 0
	v_cmp_eq_u16_sdwa vcc, v72, v21 src0_sel:BYTE_0 src1_sel:DWORD
	s_waitcnt lgkmcnt(2)
	v_cndmask_b32_e32 v49, 0, v49, vcc
	s_waitcnt lgkmcnt(1)
	v_cndmask_b32_e32 v21, 0, v52, vcc
	v_add_co_u32_e32 v24, vcc, v49, v24
	v_addc_co_u32_e32 v25, vcc, v21, v25, vcc
	s_waitcnt lgkmcnt(0)
	v_and_b32_e32 v21, 1, v48
	v_or_b32_e32 v72, v21, v72
	v_and_b32_e32 v21, 0xff, v72
.LBB896_137:
	s_or_b64 exec, exec, s[46:47]
	v_cmp_gt_u32_e32 vcc, 62, v44
	s_waitcnt lgkmcnt(0)
	v_cndmask_b32_e64 v48, 0, 1, vcc
	v_lshlrev_b32_e32 v48, 1, v48
	v_add_lshl_u32 v48, v48, v9, 2
	ds_bpermute_b32 v53, v48, v24
	ds_bpermute_b32 v56, v48, v25
	ds_bpermute_b32 v52, v48, v21
	v_add_u32_e32 v49, 2, v44
	v_cmp_le_u32_e32 vcc, v49, v20
	s_and_saveexec_b64 s[62:63], vcc
	s_cbranch_execz .LBB896_139
; %bb.138:
	v_mov_b32_e32 v21, 0
	v_cmp_eq_u16_sdwa vcc, v72, v21 src0_sel:BYTE_0 src1_sel:DWORD
	s_waitcnt lgkmcnt(2)
	v_cndmask_b32_e32 v53, 0, v53, vcc
	s_waitcnt lgkmcnt(1)
	v_cndmask_b32_e32 v21, 0, v56, vcc
	v_add_co_u32_e32 v24, vcc, v53, v24
	v_addc_co_u32_e32 v25, vcc, v21, v25, vcc
	v_and_b32_e32 v21, 1, v72
	v_cmp_eq_u32_e32 vcc, 1, v21
	s_waitcnt lgkmcnt(0)
	v_and_b32_e32 v21, 1, v52
	v_cmp_eq_u32_e64 s[46:47], 1, v21
	s_or_b64 s[46:47], vcc, s[46:47]
	v_cndmask_b32_e64 v72, 0, 1, s[46:47]
	v_cndmask_b32_e64 v21, 0, 1, s[46:47]
.LBB896_139:
	s_or_b64 exec, exec, s[62:63]
	v_cmp_gt_u32_e32 vcc, 60, v44
	s_waitcnt lgkmcnt(0)
	v_cndmask_b32_e64 v52, 0, 1, vcc
	v_lshlrev_b32_e32 v52, 2, v52
	v_add_lshl_u32 v52, v52, v9, 2
	ds_bpermute_b32 v57, v52, v24
	ds_bpermute_b32 v60, v52, v25
	ds_bpermute_b32 v56, v52, v21
	v_add_u32_e32 v53, 4, v44
	v_cmp_le_u32_e32 vcc, v53, v20
	s_and_saveexec_b64 s[62:63], vcc
	s_cbranch_execz .LBB896_141
; %bb.140:
	v_mov_b32_e32 v21, 0
	v_cmp_eq_u16_sdwa vcc, v72, v21 src0_sel:BYTE_0 src1_sel:DWORD
	s_waitcnt lgkmcnt(2)
	v_cndmask_b32_e32 v57, 0, v57, vcc
	s_waitcnt lgkmcnt(1)
	v_cndmask_b32_e32 v21, 0, v60, vcc
	v_add_co_u32_e32 v24, vcc, v57, v24
	v_addc_co_u32_e32 v25, vcc, v21, v25, vcc
	v_and_b32_e32 v21, 1, v72
	v_cmp_eq_u32_e32 vcc, 1, v21
	s_waitcnt lgkmcnt(0)
	v_and_b32_e32 v21, 1, v56
	v_cmp_eq_u32_e64 s[46:47], 1, v21
	s_or_b64 s[46:47], vcc, s[46:47]
	v_cndmask_b32_e64 v72, 0, 1, s[46:47]
	v_cndmask_b32_e64 v21, 0, 1, s[46:47]
.LBB896_141:
	;; [unrolled: 31-line block ×4, first 2 shown]
	s_or_b64 exec, exec, s[62:63]
	v_cmp_gt_u32_e32 vcc, 32, v44
	s_waitcnt lgkmcnt(0)
	v_cndmask_b32_e64 v64, 0, 1, vcc
	v_lshlrev_b32_e32 v64, 5, v64
	v_add_lshl_u32 v65, v64, v9, 2
	ds_bpermute_b32 v64, v65, v24
	ds_bpermute_b32 v69, v65, v25
	ds_bpermute_b32 v9, v65, v21
	v_add_u32_e32 v68, 32, v44
	v_cmp_le_u32_e32 vcc, v68, v20
	s_and_saveexec_b64 s[62:63], vcc
	s_cbranch_execz .LBB896_147
; %bb.146:
	v_mov_b32_e32 v20, 0
	v_cmp_eq_u16_sdwa vcc, v72, v20 src0_sel:BYTE_0 src1_sel:DWORD
	s_waitcnt lgkmcnt(2)
	v_cndmask_b32_e32 v21, 0, v64, vcc
	s_waitcnt lgkmcnt(1)
	v_cndmask_b32_e32 v20, 0, v69, vcc
	v_add_co_u32_e32 v24, vcc, v21, v24
	v_addc_co_u32_e32 v25, vcc, v20, v25, vcc
	v_and_b32_e32 v20, 1, v72
	s_waitcnt lgkmcnt(0)
	v_and_b32_e32 v9, 1, v9
	v_cmp_eq_u32_e32 vcc, 1, v20
	v_cmp_eq_u32_e64 s[46:47], 1, v9
	s_or_b64 s[46:47], vcc, s[46:47]
	v_cndmask_b32_e64 v72, 0, 1, s[46:47]
.LBB896_147:
	s_or_b64 exec, exec, s[62:63]
	s_waitcnt lgkmcnt(0)
	v_mov_b32_e32 v9, 0
	v_mov_b32_e32 v69, 2
	s_branch .LBB896_149
.LBB896_148:                            ;   in Loop: Header=BB896_149 Depth=1
	s_or_b64 exec, exec, s[68:69]
	v_cmp_eq_u16_sdwa vcc, v64, v9 src0_sel:BYTE_0 src1_sel:DWORD
	v_cndmask_b32_e32 v24, 0, v24, vcc
	v_cndmask_b32_e32 v25, 0, v25, vcc
	v_add_co_u32_e32 v24, vcc, v24, v20
	v_addc_co_u32_e32 v25, vcc, v25, v21, vcc
	v_and_b32_e32 v72, 1, v64
	v_cmp_eq_u32_e32 vcc, 1, v72
	s_or_b64 s[46:47], vcc, s[62:63]
	v_subrev_u32_e32 v8, 64, v8
	v_cndmask_b32_e64 v72, 0, 1, s[46:47]
.LBB896_149:                            ; =>This Loop Header: Depth=1
                                        ;     Child Loop BB896_152 Depth 2
	v_cmp_ne_u16_sdwa s[46:47], v41, v69 src0_sel:BYTE_0 src1_sel:DWORD
	v_cndmask_b32_e64 v20, 0, 1, s[46:47]
	;;#ASMSTART
	;;#ASMEND
	v_cmp_ne_u32_e32 vcc, 0, v20
	v_mov_b32_e32 v64, v72
	s_cmp_lg_u64 vcc, exec
	v_pk_mov_b32 v[20:21], v[24:25], v[24:25] op_sel:[0,1]
	s_cbranch_scc1 .LBB896_166
; %bb.150:                              ;   in Loop: Header=BB896_149 Depth=1
	global_load_ubyte v41, v8, s[52:53] glc
	s_waitcnt vmcnt(0)
	v_cmp_eq_u16_e32 vcc, 0, v41
	s_and_saveexec_b64 s[46:47], vcc
	s_cbranch_execz .LBB896_154
; %bb.151:                              ;   in Loop: Header=BB896_149 Depth=1
	v_mov_b32_e32 v25, s53
	v_add_co_u32_e32 v24, vcc, s52, v8
	v_addc_co_u32_e32 v25, vcc, 0, v25, vcc
	s_mov_b64 s[62:63], 0
.LBB896_152:                            ;   Parent Loop BB896_149 Depth=1
                                        ; =>  This Inner Loop Header: Depth=2
	global_load_ubyte v41, v[24:25], off glc
	s_waitcnt vmcnt(0)
	v_cmp_ne_u16_e32 vcc, 0, v41
	s_or_b64 s[62:63], vcc, s[62:63]
	s_andn2_b64 exec, exec, s[62:63]
	s_cbranch_execnz .LBB896_152
; %bb.153:                              ;   in Loop: Header=BB896_149 Depth=1
	s_or_b64 exec, exec, s[62:63]
.LBB896_154:                            ;   in Loop: Header=BB896_149 Depth=1
	s_or_b64 exec, exec, s[46:47]
	v_mov_b32_e32 v24, s51
	v_mov_b32_e32 v25, s49
	v_cmp_eq_u16_e32 vcc, 1, v41
	v_cndmask_b32_e32 v73, v24, v25, vcc
	v_mov_b32_e32 v24, s50
	v_mov_b32_e32 v25, s48
	v_cndmask_b32_e32 v72, v24, v25, vcc
	v_lshlrev_b64 v[24:25], 4, v[8:9]
	v_add_co_u32_e32 v72, vcc, v72, v24
	v_addc_co_u32_e32 v73, vcc, v73, v25, vcc
	buffer_wbinvl1_vol
	global_load_dwordx2 v[24:25], v[72:73], off
	s_nop 0
	global_load_ubyte v72, v[72:73], off offset:8
	v_cmp_eq_u16_e32 vcc, 2, v41
	v_and_b32_e32 v73, vcc_hi, v13
	v_or_b32_e32 v73, 0x80000000, v73
	v_and_b32_e32 v78, vcc_lo, v12
	v_ffbl_b32_e32 v73, v73
	v_add_u32_e32 v73, 32, v73
	v_ffbl_b32_e32 v78, v78
	v_min_u32_e32 v73, v78, v73
	v_cmp_lt_u32_e32 vcc, v44, v73
	s_waitcnt vmcnt(1) lgkmcnt(1)
	ds_bpermute_b32 v76, v45, v24
	s_waitcnt vmcnt(0) lgkmcnt(1)
	v_and_b32_e32 v74, 1, v72
	ds_bpermute_b32 v77, v45, v25
	ds_bpermute_b32 v75, v45, v74
	s_and_saveexec_b64 s[46:47], vcc
	s_cbranch_execz .LBB896_156
; %bb.155:                              ;   in Loop: Header=BB896_149 Depth=1
	v_cmp_eq_u16_sdwa vcc, v72, v9 src0_sel:BYTE_0 src1_sel:DWORD
	s_waitcnt lgkmcnt(2)
	v_cndmask_b32_e32 v76, 0, v76, vcc
	s_waitcnt lgkmcnt(1)
	v_cndmask_b32_e32 v74, 0, v77, vcc
	v_add_co_u32_e32 v24, vcc, v76, v24
	v_addc_co_u32_e32 v25, vcc, v74, v25, vcc
	s_waitcnt lgkmcnt(0)
	v_and_b32_e32 v74, 1, v75
	v_or_b32_e32 v72, v74, v72
	v_and_b32_e32 v74, 0xff, v72
.LBB896_156:                            ;   in Loop: Header=BB896_149 Depth=1
	s_or_b64 exec, exec, s[46:47]
	s_waitcnt lgkmcnt(2)
	ds_bpermute_b32 v76, v48, v24
	s_waitcnt lgkmcnt(2)
	ds_bpermute_b32 v77, v48, v25
	;; [unrolled: 2-line block ×3, first 2 shown]
	v_and_b32_e32 v78, 1, v72
	v_cmp_le_u32_e32 vcc, v49, v73
	v_cmp_eq_u32_e64 s[62:63], 1, v78
	s_and_saveexec_b64 s[46:47], vcc
	s_cbranch_execz .LBB896_158
; %bb.157:                              ;   in Loop: Header=BB896_149 Depth=1
	v_cmp_eq_u16_sdwa vcc, v72, v9 src0_sel:BYTE_0 src1_sel:DWORD
	s_waitcnt lgkmcnt(2)
	v_cndmask_b32_e32 v74, 0, v76, vcc
	s_waitcnt lgkmcnt(1)
	v_cndmask_b32_e32 v72, 0, v77, vcc
	v_add_co_u32_e32 v24, vcc, v74, v24
	v_addc_co_u32_e32 v25, vcc, v72, v25, vcc
	s_waitcnt lgkmcnt(0)
	v_and_b32_e32 v72, 1, v75
	v_cmp_eq_u32_e32 vcc, 1, v72
	s_or_b64 s[68:69], s[62:63], vcc
	v_cndmask_b32_e64 v72, 0, 1, s[68:69]
	v_cndmask_b32_e64 v74, 0, 1, s[68:69]
	s_andn2_b64 s[62:63], s[62:63], exec
	s_and_b64 s[68:69], s[68:69], exec
	s_or_b64 s[62:63], s[62:63], s[68:69]
.LBB896_158:                            ;   in Loop: Header=BB896_149 Depth=1
	s_or_b64 exec, exec, s[46:47]
	s_waitcnt lgkmcnt(2)
	ds_bpermute_b32 v76, v52, v24
	s_waitcnt lgkmcnt(2)
	ds_bpermute_b32 v77, v52, v25
	s_waitcnt lgkmcnt(2)
	ds_bpermute_b32 v75, v52, v74
	v_cmp_le_u32_e32 vcc, v53, v73
	s_and_saveexec_b64 s[68:69], vcc
	s_cbranch_execz .LBB896_160
; %bb.159:                              ;   in Loop: Header=BB896_149 Depth=1
	v_cmp_eq_u16_sdwa vcc, v72, v9 src0_sel:BYTE_0 src1_sel:DWORD
	s_waitcnt lgkmcnt(2)
	v_cndmask_b32_e32 v76, 0, v76, vcc
	s_waitcnt lgkmcnt(1)
	v_cndmask_b32_e32 v74, 0, v77, vcc
	v_add_co_u32_e32 v24, vcc, v76, v24
	v_addc_co_u32_e32 v25, vcc, v74, v25, vcc
	v_and_b32_e32 v72, 1, v72
	v_cmp_eq_u32_e32 vcc, 1, v72
	s_waitcnt lgkmcnt(0)
	v_and_b32_e32 v72, 1, v75
	v_cmp_eq_u32_e64 s[46:47], 1, v72
	s_or_b64 s[46:47], vcc, s[46:47]
	v_cndmask_b32_e64 v72, 0, 1, s[46:47]
	v_cndmask_b32_e64 v74, 0, 1, s[46:47]
	s_andn2_b64 s[62:63], s[62:63], exec
	s_and_b64 s[46:47], s[46:47], exec
	s_or_b64 s[62:63], s[62:63], s[46:47]
.LBB896_160:                            ;   in Loop: Header=BB896_149 Depth=1
	s_or_b64 exec, exec, s[68:69]
	s_waitcnt lgkmcnt(2)
	ds_bpermute_b32 v76, v56, v24
	s_waitcnt lgkmcnt(2)
	ds_bpermute_b32 v77, v56, v25
	s_waitcnt lgkmcnt(2)
	ds_bpermute_b32 v75, v56, v74
	v_cmp_le_u32_e32 vcc, v57, v73
	s_and_saveexec_b64 s[68:69], vcc
	s_cbranch_execz .LBB896_162
; %bb.161:                              ;   in Loop: Header=BB896_149 Depth=1
	v_cmp_eq_u16_sdwa vcc, v72, v9 src0_sel:BYTE_0 src1_sel:DWORD
	s_waitcnt lgkmcnt(2)
	v_cndmask_b32_e32 v76, 0, v76, vcc
	s_waitcnt lgkmcnt(1)
	v_cndmask_b32_e32 v74, 0, v77, vcc
	v_add_co_u32_e32 v24, vcc, v76, v24
	v_addc_co_u32_e32 v25, vcc, v74, v25, vcc
	v_and_b32_e32 v72, 1, v72
	v_cmp_eq_u32_e32 vcc, 1, v72
	s_waitcnt lgkmcnt(0)
	v_and_b32_e32 v72, 1, v75
	v_cmp_eq_u32_e64 s[46:47], 1, v72
	s_or_b64 s[46:47], vcc, s[46:47]
	v_cndmask_b32_e64 v72, 0, 1, s[46:47]
	v_cndmask_b32_e64 v74, 0, 1, s[46:47]
	s_andn2_b64 s[62:63], s[62:63], exec
	s_and_b64 s[46:47], s[46:47], exec
	s_or_b64 s[62:63], s[62:63], s[46:47]
.LBB896_162:                            ;   in Loop: Header=BB896_149 Depth=1
	s_or_b64 exec, exec, s[68:69]
	s_waitcnt lgkmcnt(2)
	ds_bpermute_b32 v76, v60, v24
	s_waitcnt lgkmcnt(2)
	ds_bpermute_b32 v77, v60, v25
	s_waitcnt lgkmcnt(2)
	ds_bpermute_b32 v75, v60, v74
	v_cmp_le_u32_e32 vcc, v61, v73
	s_and_saveexec_b64 s[68:69], vcc
	s_cbranch_execz .LBB896_164
; %bb.163:                              ;   in Loop: Header=BB896_149 Depth=1
	v_cmp_eq_u16_sdwa vcc, v72, v9 src0_sel:BYTE_0 src1_sel:DWORD
	s_waitcnt lgkmcnt(2)
	v_cndmask_b32_e32 v76, 0, v76, vcc
	s_waitcnt lgkmcnt(1)
	v_cndmask_b32_e32 v74, 0, v77, vcc
	v_add_co_u32_e32 v24, vcc, v76, v24
	v_addc_co_u32_e32 v25, vcc, v74, v25, vcc
	v_and_b32_e32 v72, 1, v72
	v_cmp_eq_u32_e32 vcc, 1, v72
	s_waitcnt lgkmcnt(0)
	v_and_b32_e32 v72, 1, v75
	v_cmp_eq_u32_e64 s[46:47], 1, v72
	s_or_b64 s[46:47], vcc, s[46:47]
	v_cndmask_b32_e64 v72, 0, 1, s[46:47]
	v_cndmask_b32_e64 v74, 0, 1, s[46:47]
	s_andn2_b64 s[62:63], s[62:63], exec
	s_and_b64 s[46:47], s[46:47], exec
	s_or_b64 s[62:63], s[62:63], s[46:47]
.LBB896_164:                            ;   in Loop: Header=BB896_149 Depth=1
	s_or_b64 exec, exec, s[68:69]
	s_waitcnt lgkmcnt(0)
	ds_bpermute_b32 v75, v65, v24
	ds_bpermute_b32 v76, v65, v25
	;; [unrolled: 1-line block ×3, first 2 shown]
	v_cmp_le_u32_e32 vcc, v68, v73
	s_and_saveexec_b64 s[68:69], vcc
	s_cbranch_execz .LBB896_148
; %bb.165:                              ;   in Loop: Header=BB896_149 Depth=1
	v_cmp_eq_u16_sdwa vcc, v72, v9 src0_sel:BYTE_0 src1_sel:DWORD
	s_waitcnt lgkmcnt(2)
	v_cndmask_b32_e32 v75, 0, v75, vcc
	s_waitcnt lgkmcnt(1)
	v_cndmask_b32_e32 v73, 0, v76, vcc
	v_add_co_u32_e32 v24, vcc, v75, v24
	v_addc_co_u32_e32 v25, vcc, v73, v25, vcc
	v_and_b32_e32 v72, 1, v72
	v_cmp_eq_u32_e32 vcc, 1, v72
	s_waitcnt lgkmcnt(0)
	v_and_b32_e32 v72, 1, v74
	v_cmp_eq_u32_e64 s[46:47], 1, v72
	s_or_b64 s[46:47], vcc, s[46:47]
	s_andn2_b64 s[62:63], s[62:63], exec
	s_and_b64 s[46:47], s[46:47], exec
	s_or_b64 s[62:63], s[62:63], s[46:47]
	s_branch .LBB896_148
.LBB896_166:                            ;   in Loop: Header=BB896_149 Depth=1
                                        ; implicit-def: $vgpr72
                                        ; implicit-def: $vgpr24_vgpr25
                                        ; implicit-def: $vgpr41
	s_cbranch_execz .LBB896_149
; %bb.167:
	s_and_saveexec_b64 s[46:47], s[42:43]
	s_cbranch_execz .LBB896_169
; %bb.168:
	v_mov_b32_e32 v8, 0
	s_mov_b32 s7, 0
	v_cmp_eq_u16_sdwa vcc, v40, v8 src0_sel:BYTE_0 src1_sel:DWORD
	s_add_i32 s6, s6, 64
	v_cndmask_b32_e32 v12, 0, v20, vcc
	s_lshl_b64 s[42:43], s[6:7], 4
	v_cndmask_b32_e32 v9, 0, v21, vcc
	v_add_co_u32_e32 v4, vcc, v12, v4
	s_add_u32 s42, s50, s42
	v_addc_co_u32_e32 v5, vcc, v9, v5, vcc
	v_or_b32_e32 v9, v40, v64
	s_addc_u32 s43, s51, s43
	v_and_b32_e32 v9, 1, v9
	global_store_dwordx2 v8, v[4:5], s[42:43]
	global_store_byte v8, v9, s[42:43] offset:8
	v_mov_b32_e32 v4, s6
	v_mov_b32_e32 v5, 2
	s_waitcnt vmcnt(0) lgkmcnt(0)
	buffer_wbinvl1_vol
	global_store_byte v4, v5, s[52:53]
.LBB896_169:
	s_or_b64 exec, exec, s[46:47]
	v_cmp_eq_u32_e32 vcc, 0, v0
	s_and_b64 exec, exec, vcc
	s_cbranch_execz .LBB896_171
; %bb.170:
	v_mov_b32_e32 v4, 0
	ds_write_b64 v4, v[20:21]
	ds_write_b8 v4, v64 offset:8
.LBB896_171:
	s_or_b64 exec, exec, s[56:57]
	v_mov_b32_e32 v8, 0
	v_cmp_eq_u16_sdwa vcc, v1, v8 src0_sel:BYTE_0 src1_sel:DWORD
	v_and_b32_e32 v13, 1, v1
	v_cndmask_b32_e32 v9, 0, v33, vcc
	v_cndmask_b32_e32 v12, 0, v37, vcc
	v_cmp_eq_u32_e32 vcc, 1, v13
	v_and_b32_e32 v13, 1, v32
	v_cmp_eq_u32_e64 s[6:7], 1, v13
	s_waitcnt lgkmcnt(0)
	; wave barrier
	s_waitcnt lgkmcnt(0)
	ds_read_b64 v[4:5], v8
	s_or_b64 s[6:7], vcc, s[6:7]
	v_cmp_eq_u32_e32 vcc, 0, v0
	v_cndmask_b32_e64 v13, 0, 1, s[6:7]
	v_cndmask_b32_e64 v9, v9, 0, vcc
	v_cndmask_b32_e32 v13, v13, v1, vcc
	v_cndmask_b32_e64 v12, v12, 0, vcc
	v_add_co_u32_e32 v9, vcc, v9, v2
	v_addc_co_u32_e32 v12, vcc, v12, v3, vcc
	v_cmp_eq_u16_sdwa vcc, v13, v8 src0_sel:BYTE_0 src1_sel:DWORD
	s_waitcnt lgkmcnt(0)
	v_cndmask_b32_e32 v4, 0, v4, vcc
	v_cndmask_b32_e32 v5, 0, v5, vcc
	v_add_co_u32_e32 v102, vcc, v9, v4
	v_addc_co_u32_e32 v103, vcc, v12, v5, vcc
	v_cndmask_b32_e64 v5, 0, v102, s[40:41]
	v_cndmask_b32_e64 v4, 0, v103, s[40:41]
	v_add_co_u32_e32 v40, vcc, v5, v14
	v_addc_co_u32_e32 v41, vcc, v4, v15, vcc
	v_cndmask_b32_e64 v5, 0, v40, s[38:39]
	v_cndmask_b32_e64 v4, 0, v41, s[38:39]
	;; [unrolled: 4-line block ×18, first 2 shown]
	v_add_co_u32_e32 v108, vcc, v5, v16
	v_addc_co_u32_e32 v109, vcc, v4, v17, vcc
	s_load_dwordx2 s[44:45], s[4:5], 0x20
	s_branch .LBB896_194
.LBB896_172:
                                        ; implicit-def: $vgpr100_vgpr101_vgpr102_vgpr103
                                        ; implicit-def: $vgpr108_vgpr109
                                        ; implicit-def: $vgpr106_vgpr107
                                        ; implicit-def: $vgpr68_vgpr69
                                        ; implicit-def: $vgpr64_vgpr65
                                        ; implicit-def: $vgpr60_vgpr61
                                        ; implicit-def: $vgpr56_vgpr57
                                        ; implicit-def: $vgpr52_vgpr53
                                        ; implicit-def: $vgpr48_vgpr49
                                        ; implicit-def: $vgpr44_vgpr45
                                        ; implicit-def: $vgpr40_vgpr41
                                        ; implicit-def: $vgpr96_vgpr97_vgpr98_vgpr99
                                        ; implicit-def: $vgpr92_vgpr93_vgpr94_vgpr95
                                        ; implicit-def: $vgpr88_vgpr89_vgpr90_vgpr91
                                        ; implicit-def: $vgpr84_vgpr85_vgpr86_vgpr87
                                        ; implicit-def: $vgpr80_vgpr81_vgpr82_vgpr83
                                        ; implicit-def: $vgpr76_vgpr77_vgpr78_vgpr79
                                        ; implicit-def: $vgpr72_vgpr73_vgpr74_vgpr75
                                        ; implicit-def: $vgpr102_vgpr103_vgpr104_vgpr105
	s_load_dwordx2 s[44:45], s[4:5], 0x20
	s_cbranch_execz .LBB896_194
; %bb.173:
	s_cmp_lg_u64 s[66:67], 0
	s_cselect_b32 s5, s59, 0
	s_cselect_b32 s4, s58, 0
	s_cmp_lg_u64 s[4:5], 0
	s_cselect_b64 s[6:7], -1, 0
	v_cmp_eq_u32_e32 vcc, 0, v0
	v_cmp_ne_u32_e64 s[2:3], 0, v0
	s_and_b64 s[8:9], vcc, s[6:7]
	s_and_saveexec_b64 s[6:7], s[8:9]
	s_cbranch_execz .LBB896_175
; %bb.174:
	s_waitcnt vmcnt(0)
	v_mov_b32_e32 v8, 0
	global_load_dwordx2 v[4:5], v8, s[4:5]
	global_load_ubyte v9, v8, s[4:5] offset:8
	v_cmp_eq_u16_sdwa s[4:5], v1, v8 src0_sel:BYTE_0 src1_sel:DWORD
	s_waitcnt vmcnt(1)
	v_cndmask_b32_e64 v4, 0, v4, s[4:5]
	v_cndmask_b32_e64 v5, 0, v5, s[4:5]
	s_waitcnt vmcnt(0)
	v_or_b32_e32 v1, v1, v9
	v_add_co_u32_e64 v2, s[4:5], v4, v2
	v_addc_co_u32_e64 v3, s[4:5], v5, v3, s[4:5]
	v_and_b32_e32 v1, 1, v1
.LBB896_175:
	s_or_b64 exec, exec, s[6:7]
	v_mov_b32_e32 v5, 0
	v_cmp_eq_u16_sdwa s[4:5], v112, v5 src0_sel:BYTE_0 src1_sel:DWORD
	s_waitcnt vmcnt(0)
	v_cndmask_b32_e64 v9, 0, v2, s[4:5]
	v_cndmask_b32_e64 v8, 0, v3, s[4:5]
	v_add_co_u32_e64 v40, s[6:7], v9, v14
	v_addc_co_u32_e64 v41, s[6:7], v8, v15, s[6:7]
	v_cmp_eq_u16_sdwa s[6:7], v111, v5 src0_sel:BYTE_0 src1_sel:DWORD
	v_cndmask_b32_e64 v9, 0, v40, s[6:7]
	v_cndmask_b32_e64 v8, 0, v41, s[6:7]
	v_add_co_u32_e64 v72, s[8:9], v9, v10
	v_addc_co_u32_e64 v73, s[8:9], v8, v11, s[8:9]
	v_cmp_eq_u16_sdwa s[8:9], v113, v5 src0_sel:BYTE_0 src1_sel:DWORD
	;; [unrolled: 5-line block ×17, first 2 shown]
	v_cndmask_b32_e64 v8, 0, v106, s[40:41]
	v_cndmask_b32_e64 v5, 0, v107, s[40:41]
	v_add_co_u32_e64 v108, s[42:43], v8, v16
	v_addc_co_u32_e64 v109, s[42:43], v5, v17, s[42:43]
	v_or_b32_e32 v5, v29, v125
	v_or_b32_e32 v5, v5, v124
	;; [unrolled: 1-line block ×15, first 2 shown]
	v_and_b32_e32 v5, 1, v5
	v_and_b32_e32 v4, 0xff, v1
	v_cmp_eq_u32_e64 s[42:43], 1, v5
	v_mbcnt_hi_u32_b32 v12, -1, v28
	v_cndmask_b32_e64 v13, v4, 1, s[42:43]
	v_and_b32_e32 v20, 15, v12
	v_mov_b32_dpp v24, v108 row_shr:1 row_mask:0xf bank_mask:0xf
	v_mov_b32_dpp v25, v109 row_shr:1 row_mask:0xf bank_mask:0xf
	;; [unrolled: 1-line block ×3, first 2 shown]
	v_cmp_ne_u32_e64 s[42:43], 0, v20
	v_pk_mov_b32 v[4:5], v[108:109], v[108:109] op_sel:[0,1]
	v_mov_b32_e32 v9, v109
	v_mov_b32_e32 v8, v108
	s_and_saveexec_b64 s[46:47], s[42:43]
; %bb.176:
	v_cmp_eq_u32_e64 s[42:43], 0, v13
	v_cndmask_b32_e64 v4, 0, v24, s[42:43]
	v_cndmask_b32_e64 v5, 0, v25, s[42:43]
	v_add_co_u32_e64 v4, s[42:43], v108, v4
	v_addc_co_u32_e64 v5, s[42:43], v109, v5, s[42:43]
	v_and_or_b32 v13, v21, 1, v13
	v_mov_b32_e32 v9, v5
	v_mov_b32_e32 v8, v4
; %bb.177:
	s_or_b64 exec, exec, s[46:47]
	s_nop 0
	v_mov_b32_dpp v24, v8 row_shr:2 row_mask:0xf bank_mask:0xf
	v_mov_b32_dpp v25, v9 row_shr:2 row_mask:0xf bank_mask:0xf
	v_mov_b32_dpp v21, v13 row_shr:2 row_mask:0xf bank_mask:0xf
	v_cmp_lt_u32_e64 s[42:43], 1, v20
	s_and_saveexec_b64 s[46:47], s[42:43]
; %bb.178:
	v_cmp_eq_u32_e64 s[42:43], 0, v13
	v_cndmask_b32_e64 v8, 0, v24, s[42:43]
	v_cndmask_b32_e64 v9, 0, v25, s[42:43]
	v_add_co_u32_e64 v8, s[42:43], v8, v4
	v_addc_co_u32_e64 v9, s[42:43], v9, v5, s[42:43]
	v_or_b32_e32 v4, v21, v13
	v_and_b32_e32 v13, 1, v4
	v_pk_mov_b32 v[4:5], v[8:9], v[8:9] op_sel:[0,1]
; %bb.179:
	s_or_b64 exec, exec, s[46:47]
	v_mov_b32_dpp v24, v8 row_shr:4 row_mask:0xf bank_mask:0xf
	v_mov_b32_dpp v25, v9 row_shr:4 row_mask:0xf bank_mask:0xf
	v_mov_b32_dpp v21, v13 row_shr:4 row_mask:0xf bank_mask:0xf
	v_cmp_lt_u32_e64 s[42:43], 3, v20
	s_and_saveexec_b64 s[46:47], s[42:43]
; %bb.180:
	v_cmp_eq_u32_e64 s[42:43], 0, v13
	v_cndmask_b32_e64 v8, 0, v24, s[42:43]
	v_cndmask_b32_e64 v9, 0, v25, s[42:43]
	v_add_co_u32_e64 v8, s[42:43], v8, v4
	v_addc_co_u32_e64 v9, s[42:43], v9, v5, s[42:43]
	v_or_b32_e32 v4, v21, v13
	v_and_b32_e32 v13, 1, v4
	v_pk_mov_b32 v[4:5], v[8:9], v[8:9] op_sel:[0,1]
; %bb.181:
	s_or_b64 exec, exec, s[46:47]
	;; [unrolled: 16-line block ×3, first 2 shown]
	v_and_b32_e32 v25, 16, v12
	v_mov_b32_dpp v21, v8 row_bcast:15 row_mask:0xf bank_mask:0xf
	v_mov_b32_dpp v24, v9 row_bcast:15 row_mask:0xf bank_mask:0xf
	;; [unrolled: 1-line block ×3, first 2 shown]
	v_cmp_ne_u32_e64 s[42:43], 0, v25
	s_and_saveexec_b64 s[46:47], s[42:43]
; %bb.184:
	v_cmp_eq_u32_e64 s[42:43], 0, v13
	v_cndmask_b32_e64 v9, 0, v21, s[42:43]
	v_cndmask_b32_e64 v8, 0, v24, s[42:43]
	v_add_co_u32_e64 v4, s[42:43], v9, v4
	v_addc_co_u32_e64 v5, s[42:43], v8, v5, s[42:43]
	v_or_b32_e32 v8, v20, v13
	v_and_b32_e32 v13, 1, v8
	v_mov_b32_e32 v9, v5
	v_mov_b32_e32 v8, v4
; %bb.185:
	s_or_b64 exec, exec, s[46:47]
	s_nop 0
	v_mov_b32_dpp v20, v8 row_bcast:31 row_mask:0xf bank_mask:0xf
	v_mov_b32_dpp v9, v9 row_bcast:31 row_mask:0xf bank_mask:0xf
	;; [unrolled: 1-line block ×3, first 2 shown]
	v_cmp_lt_u32_e64 s[42:43], 31, v12
	s_and_saveexec_b64 s[46:47], s[42:43]
; %bb.186:
	v_cmp_eq_u32_e64 s[42:43], 0, v13
	v_cndmask_b32_e64 v20, 0, v20, s[42:43]
	v_cndmask_b32_e64 v9, 0, v9, s[42:43]
	v_add_co_u32_e64 v4, s[42:43], v20, v4
	v_or_b32_e32 v8, v8, v13
	v_addc_co_u32_e64 v5, s[42:43], v9, v5, s[42:43]
	v_and_b32_e32 v13, 1, v8
; %bb.187:
	s_or_b64 exec, exec, s[46:47]
	v_cmp_eq_u32_e64 s[42:43], 63, v0
	s_and_saveexec_b64 s[46:47], s[42:43]
	s_cbranch_execz .LBB896_189
; %bb.188:
	v_mov_b32_e32 v8, 0
	ds_write_b64 v8, v[4:5]
	ds_write_b8 v8, v13 offset:8
.LBB896_189:
	s_or_b64 exec, exec, s[46:47]
	v_add_u32_e32 v8, -1, v12
	v_and_b32_e32 v9, 64, v12
	v_cmp_lt_i32_e64 s[42:43], v8, v9
	v_cndmask_b32_e64 v8, v8, v12, s[42:43]
	v_lshlrev_b32_e32 v8, 2, v8
	ds_bpermute_b32 v4, v8, v4
	ds_bpermute_b32 v5, v8, v5
	s_waitcnt lgkmcnt(0)
	; wave barrier
	s_waitcnt lgkmcnt(0)
	s_and_saveexec_b64 s[42:43], s[2:3]
	s_cbranch_execz .LBB896_191
; %bb.190:
	v_mov_b32_e32 v8, 0
	v_cmp_eq_u16_sdwa s[2:3], v1, v8 src0_sel:BYTE_0 src1_sel:DWORD
	v_cndmask_b32_e64 v4, 0, v4, s[2:3]
	v_cndmask_b32_e64 v1, 0, v5, s[2:3]
	v_add_co_u32_e64 v2, s[2:3], v4, v2
	v_addc_co_u32_e64 v3, s[2:3], v1, v3, s[2:3]
	v_cndmask_b32_e64 v4, 0, v2, s[4:5]
	v_cndmask_b32_e64 v1, 0, v3, s[4:5]
	v_add_co_u32_e64 v40, s[2:3], v4, v14
	v_addc_co_u32_e64 v41, s[2:3], v1, v15, s[2:3]
	v_cndmask_b32_e64 v4, 0, v40, s[6:7]
	v_cndmask_b32_e64 v1, 0, v41, s[6:7]
	v_add_co_u32_e64 v72, s[2:3], v4, v10
	v_addc_co_u32_e64 v73, s[2:3], v1, v11, s[2:3]
	v_cndmask_b32_e64 v4, 0, v72, s[8:9]
	v_cndmask_b32_e64 v1, 0, v73, s[8:9]
	v_add_co_u32_e64 v44, s[2:3], v4, v22
	v_addc_co_u32_e64 v45, s[2:3], v1, v23, s[2:3]
	v_cndmask_b32_e64 v4, 0, v44, s[10:11]
	v_cndmask_b32_e64 v1, 0, v45, s[10:11]
	v_add_co_u32_e64 v76, s[2:3], v4, v18
	v_addc_co_u32_e64 v77, s[2:3], v1, v19, s[2:3]
	v_cndmask_b32_e64 v4, 0, v76, s[12:13]
	v_cndmask_b32_e64 v1, 0, v77, s[12:13]
	v_add_co_u32_e64 v48, s[2:3], v4, v34
	v_addc_co_u32_e64 v49, s[2:3], v1, v35, s[2:3]
	v_cndmask_b32_e64 v4, 0, v48, s[14:15]
	v_cndmask_b32_e64 v1, 0, v49, s[14:15]
	v_add_co_u32_e64 v80, s[2:3], v4, v26
	v_addc_co_u32_e64 v81, s[2:3], v1, v27, s[2:3]
	v_cndmask_b32_e64 v4, 0, v80, s[16:17]
	v_cndmask_b32_e64 v1, 0, v81, s[16:17]
	v_add_co_u32_e64 v52, s[2:3], v4, v42
	v_addc_co_u32_e64 v53, s[2:3], v1, v43, s[2:3]
	v_cndmask_b32_e64 v4, 0, v52, s[18:19]
	v_cndmask_b32_e64 v1, 0, v53, s[18:19]
	v_add_co_u32_e64 v84, s[2:3], v4, v30
	v_addc_co_u32_e64 v85, s[2:3], v1, v31, s[2:3]
	v_cndmask_b32_e64 v4, 0, v84, s[20:21]
	v_cndmask_b32_e64 v1, 0, v85, s[20:21]
	v_add_co_u32_e64 v56, s[2:3], v4, v50
	v_addc_co_u32_e64 v57, s[2:3], v1, v51, s[2:3]
	v_cndmask_b32_e64 v4, 0, v56, s[22:23]
	v_cndmask_b32_e64 v1, 0, v57, s[22:23]
	v_add_co_u32_e64 v88, s[2:3], v4, v38
	v_addc_co_u32_e64 v89, s[2:3], v1, v39, s[2:3]
	v_cndmask_b32_e64 v4, 0, v88, s[24:25]
	v_cndmask_b32_e64 v1, 0, v89, s[24:25]
	v_add_co_u32_e64 v60, s[2:3], v4, v58
	v_addc_co_u32_e64 v61, s[2:3], v1, v59, s[2:3]
	v_cndmask_b32_e64 v4, 0, v60, s[26:27]
	v_cndmask_b32_e64 v1, 0, v61, s[26:27]
	v_add_co_u32_e64 v92, s[2:3], v4, v46
	v_addc_co_u32_e64 v93, s[2:3], v1, v47, s[2:3]
	v_cndmask_b32_e64 v4, 0, v92, s[28:29]
	v_cndmask_b32_e64 v1, 0, v93, s[28:29]
	v_add_co_u32_e64 v64, s[2:3], v4, v66
	v_addc_co_u32_e64 v65, s[2:3], v1, v67, s[2:3]
	v_cndmask_b32_e64 v4, 0, v64, s[30:31]
	v_cndmask_b32_e64 v1, 0, v65, s[30:31]
	v_add_co_u32_e64 v96, s[2:3], v4, v54
	v_addc_co_u32_e64 v97, s[2:3], v1, v55, s[2:3]
	v_cndmask_b32_e64 v4, 0, v96, s[34:35]
	v_cndmask_b32_e64 v1, 0, v97, s[34:35]
	v_add_co_u32_e64 v68, s[2:3], v4, v70
	v_addc_co_u32_e64 v69, s[2:3], v1, v71, s[2:3]
	v_cndmask_b32_e64 v4, 0, v68, s[36:37]
	v_cndmask_b32_e64 v1, 0, v69, s[36:37]
	v_add_co_u32_e64 v100, s[2:3], v4, v62
	v_addc_co_u32_e64 v101, s[2:3], v1, v63, s[2:3]
	v_cndmask_b32_e64 v4, 0, v100, s[38:39]
	v_cndmask_b32_e64 v1, 0, v101, s[38:39]
	v_add_co_u32_e64 v106, s[2:3], v4, v6
	v_addc_co_u32_e64 v107, s[2:3], v1, v7, s[2:3]
	v_cndmask_b32_e64 v4, 0, v106, s[40:41]
	v_cndmask_b32_e64 v1, 0, v107, s[40:41]
	v_add_co_u32_e64 v108, s[2:3], v4, v16
	v_addc_co_u32_e64 v109, s[2:3], v1, v17, s[2:3]
	;;#ASMSTART
	;;#ASMEND
.LBB896_191:
	s_or_b64 exec, exec, s[42:43]
	s_and_saveexec_b64 s[2:3], vcc
	s_cbranch_execz .LBB896_193
; %bb.192:
	v_mov_b32_e32 v1, 0
	ds_read_b64 v[4:5], v1
	ds_read_u8 v6, v1 offset:8
	v_mov_b32_e32 v7, 2
	s_waitcnt lgkmcnt(1)
	global_store_dwordx2 v1, v[4:5], s[50:51] offset:1024
	s_waitcnt lgkmcnt(0)
	global_store_byte v1, v6, s[50:51] offset:1032
	s_waitcnt vmcnt(0)
	buffer_wbinvl1_vol
	global_store_byte v1, v7, s[52:53] offset:64
.LBB896_193:
	s_or_b64 exec, exec, s[2:3]
	v_pk_mov_b32 v[102:103], v[2:3], v[2:3] op_sel:[0,1]
.LBB896_194:
	s_waitcnt lgkmcnt(0)
	s_add_u32 s2, s44, s64
	s_addc_u32 s3, s45, s65
	s_add_u32 s4, s2, s60
	s_addc_u32 s5, s3, s61
	s_and_b64 vcc, exec, s[0:1]
	s_cbranch_vccz .LBB896_232
; %bb.195:
	s_movk_i32 s0, 0x98
	v_mul_i32_i24_e32 v43, 0xffffff70, v0
	v_mul_u32_u24_e32 v42, 0x98, v0
	v_mad_u32_u24 v2, v0, s0, v43
	s_waitcnt lgkmcnt(0)
	; wave barrier
	ds_write2_b64 v42, v[102:103], v[40:41] offset1:1
	ds_write2_b64 v42, v[72:73], v[44:45] offset0:2 offset1:3
	ds_write2_b64 v42, v[76:77], v[48:49] offset0:4 offset1:5
	;; [unrolled: 1-line block ×8, first 2 shown]
	ds_write_b64 v42, v[108:109] offset:144
	s_waitcnt lgkmcnt(0)
	; wave barrier
	s_waitcnt lgkmcnt(0)
	ds_read2st64_b64 v[34:37], v2 offset0:1 offset1:2
	ds_read2st64_b64 v[30:33], v2 offset0:3 offset1:4
	;; [unrolled: 1-line block ×7, first 2 shown]
	s_waitcnt vmcnt(0)
	ds_read2st64_b64 v[6:9], v2 offset0:15 offset1:16
	ds_read2st64_b64 v[2:5], v2 offset0:17 offset1:18
	v_mov_b32_e32 v39, s5
	v_add_co_u32_e32 v38, vcc, s4, v127
	s_add_i32 s33, s33, s54
	v_addc_co_u32_e32 v39, vcc, 0, v39, vcc
	v_mov_b32_e32 v1, 0
	v_cmp_gt_u32_e32 vcc, s33, v0
	s_and_saveexec_b64 s[0:1], vcc
	s_cbranch_execz .LBB896_197
; %bb.196:
	v_add_u32_e32 v42, v42, v43
	ds_read_b64 v[42:43], v42
	s_waitcnt lgkmcnt(0)
	flat_store_dwordx2 v[38:39], v[42:43]
.LBB896_197:
	s_or_b64 exec, exec, s[0:1]
	v_or_b32_e32 v42, 64, v0
	v_cmp_gt_u32_e32 vcc, s33, v42
	s_and_saveexec_b64 s[0:1], vcc
	s_cbranch_execz .LBB896_199
; %bb.198:
	s_waitcnt lgkmcnt(0)
	flat_store_dwordx2 v[38:39], v[34:35] offset:512
.LBB896_199:
	s_or_b64 exec, exec, s[0:1]
	s_waitcnt lgkmcnt(0)
	v_or_b32_e32 v34, 0x80, v0
	v_cmp_gt_u32_e32 vcc, s33, v34
	s_and_saveexec_b64 s[0:1], vcc
	s_cbranch_execz .LBB896_201
; %bb.200:
	flat_store_dwordx2 v[38:39], v[36:37] offset:1024
.LBB896_201:
	s_or_b64 exec, exec, s[0:1]
	v_or_b32_e32 v34, 0xc0, v0
	v_cmp_gt_u32_e32 vcc, s33, v34
	s_and_saveexec_b64 s[0:1], vcc
	s_cbranch_execz .LBB896_203
; %bb.202:
	flat_store_dwordx2 v[38:39], v[30:31] offset:1536
.LBB896_203:
	s_or_b64 exec, exec, s[0:1]
	;; [unrolled: 8-line block ×6, first 2 shown]
	v_or_b32_e32 v22, 0x200, v0
	v_cmp_gt_u32_e32 vcc, s33, v22
	s_and_saveexec_b64 s[0:1], vcc
	s_cbranch_execz .LBB896_213
; %bb.212:
	v_add_co_u32_e32 v22, vcc, 0x1000, v38
	v_addc_co_u32_e32 v23, vcc, 0, v39, vcc
	flat_store_dwordx2 v[22:23], v[24:25]
.LBB896_213:
	s_or_b64 exec, exec, s[0:1]
	v_or_b32_e32 v22, 0x240, v0
	v_cmp_gt_u32_e32 vcc, s33, v22
	s_and_saveexec_b64 s[0:1], vcc
	s_cbranch_execz .LBB896_215
; %bb.214:
	v_add_co_u32_e32 v22, vcc, 0x1000, v38
	v_addc_co_u32_e32 v23, vcc, 0, v39, vcc
	flat_store_dwordx2 v[22:23], v[18:19] offset:512
.LBB896_215:
	s_or_b64 exec, exec, s[0:1]
	v_or_b32_e32 v18, 0x280, v0
	v_cmp_gt_u32_e32 vcc, s33, v18
	s_and_saveexec_b64 s[0:1], vcc
	s_cbranch_execz .LBB896_217
; %bb.216:
	v_add_co_u32_e32 v18, vcc, 0x1000, v38
	v_addc_co_u32_e32 v19, vcc, 0, v39, vcc
	flat_store_dwordx2 v[18:19], v[20:21] offset:1024
.LBB896_217:
	;; [unrolled: 10-line block ×7, first 2 shown]
	s_or_b64 exec, exec, s[0:1]
	v_or_b32_e32 v6, 0x400, v0
	v_cmp_gt_u32_e32 vcc, s33, v6
	s_and_saveexec_b64 s[0:1], vcc
	s_cbranch_execz .LBB896_229
; %bb.228:
	v_add_co_u32_e32 v6, vcc, 0x2000, v38
	v_addc_co_u32_e32 v7, vcc, 0, v39, vcc
	flat_store_dwordx2 v[6:7], v[8:9]
.LBB896_229:
	s_or_b64 exec, exec, s[0:1]
	v_or_b32_e32 v6, 0x440, v0
	v_cmp_gt_u32_e32 vcc, s33, v6
	s_and_saveexec_b64 s[0:1], vcc
	s_cbranch_execz .LBB896_231
; %bb.230:
	v_add_co_u32_e32 v6, vcc, 0x2000, v38
	v_addc_co_u32_e32 v7, vcc, 0, v39, vcc
	flat_store_dwordx2 v[6:7], v[2:3] offset:512
.LBB896_231:
	s_or_b64 exec, exec, s[0:1]
	v_or_b32_e32 v2, 0x480, v0
	v_cmp_gt_u32_e64 s[0:1], s33, v2
	s_branch .LBB896_234
.LBB896_232:
	s_mov_b64 s[0:1], 0
                                        ; implicit-def: $vgpr4_vgpr5
	s_cbranch_execz .LBB896_234
; %bb.233:
	s_movk_i32 s2, 0x98
	v_mul_i32_i24_e32 v2, 0xffffff70, v0
	v_mul_u32_u24_e32 v1, 0x98, v0
	v_mad_u32_u24 v2, v0, s2, v2
	s_waitcnt lgkmcnt(0)
	; wave barrier
	s_waitcnt lgkmcnt(0)
	ds_write2_b64 v1, v[102:103], v[40:41] offset1:1
	ds_write2_b64 v1, v[72:73], v[44:45] offset0:2 offset1:3
	ds_write2_b64 v1, v[76:77], v[48:49] offset0:4 offset1:5
	;; [unrolled: 1-line block ×8, first 2 shown]
	ds_write_b64 v1, v[108:109] offset:144
	s_waitcnt lgkmcnt(0)
	; wave barrier
	s_waitcnt vmcnt(0) lgkmcnt(0)
	ds_read2st64_b64 v[6:9], v2 offset1:1
	ds_read2st64_b64 v[10:13], v2 offset0:2 offset1:3
	ds_read2st64_b64 v[14:17], v2 offset0:4 offset1:5
	ds_read2st64_b64 v[18:21], v2 offset0:6 offset1:7
	ds_read2st64_b64 v[22:25], v2 offset0:8 offset1:9
	ds_read2st64_b64 v[26:29], v2 offset0:10 offset1:11
	ds_read2st64_b64 v[30:33], v2 offset0:12 offset1:13
	ds_read2st64_b64 v[34:37], v2 offset0:14 offset1:15
	ds_read2st64_b64 v[38:41], v2 offset0:16 offset1:17
	ds_read_b64 v[4:5], v2 offset:9216
	v_mov_b32_e32 v3, s5
	v_add_co_u32_e32 v2, vcc, s4, v127
	v_addc_co_u32_e32 v3, vcc, 0, v3, vcc
	s_movk_i32 s2, 0x1000
	s_waitcnt lgkmcnt(9)
	flat_store_dwordx2 v[2:3], v[6:7]
	flat_store_dwordx2 v[2:3], v[8:9] offset:512
	s_waitcnt lgkmcnt(0)
	flat_store_dwordx2 v[2:3], v[10:11] offset:1024
	flat_store_dwordx2 v[2:3], v[12:13] offset:1536
	;; [unrolled: 1-line block ×6, first 2 shown]
	v_add_co_u32_e32 v6, vcc, s2, v2
	v_addc_co_u32_e32 v7, vcc, 0, v3, vcc
	v_add_co_u32_e32 v2, vcc, 0x2000, v2
	v_mov_b32_e32 v1, 0
	v_addc_co_u32_e32 v3, vcc, 0, v3, vcc
	s_or_b64 s[0:1], s[0:1], exec
	flat_store_dwordx2 v[6:7], v[22:23]
	flat_store_dwordx2 v[6:7], v[24:25] offset:512
	flat_store_dwordx2 v[6:7], v[26:27] offset:1024
	;; [unrolled: 1-line block ×7, first 2 shown]
	flat_store_dwordx2 v[2:3], v[38:39]
	flat_store_dwordx2 v[2:3], v[40:41] offset:512
.LBB896_234:
	s_and_saveexec_b64 s[2:3], s[0:1]
	s_cbranch_execnz .LBB896_236
; %bb.235:
	s_endpgm
.LBB896_236:
	v_lshlrev_b64 v[0:1], 3, v[0:1]
	v_mov_b32_e32 v2, s5
	v_add_co_u32_e32 v0, vcc, s4, v0
	v_addc_co_u32_e32 v1, vcc, v2, v1, vcc
	v_add_co_u32_e32 v0, vcc, 0x2000, v0
	v_addc_co_u32_e32 v1, vcc, 0, v1, vcc
	flat_store_dwordx2 v[0:1], v[4:5] offset:1024
	s_endpgm
.LBB896_237:
	global_load_dwordx2 v[2:3], v50, s[46:47]
	s_waitcnt vmcnt(0)
	v_sub_co_u32_e32 v2, vcc, 0, v2
	v_subb_co_u32_e32 v3, vcc, 0, v3, vcc
	s_or_b64 exec, exec, s[56:57]
                                        ; implicit-def: $vgpr6_vgpr7
	s_and_saveexec_b64 s[2:3], s[44:45]
	s_cbranch_execz .LBB896_47
.LBB896_238:
	global_load_dwordx2 v[6:7], v50, s[46:47] offset:512
	s_waitcnt vmcnt(0)
	v_sub_co_u32_e32 v6, vcc, 0, v6
	v_subb_co_u32_e32 v7, vcc, 0, v7, vcc
	s_or_b64 exec, exec, s[2:3]
                                        ; implicit-def: $vgpr10_vgpr11
	s_and_saveexec_b64 s[2:3], s[8:9]
	s_cbranch_execz .LBB896_48
.LBB896_239:
	global_load_dwordx2 v[10:11], v50, s[46:47] offset:1024
	s_waitcnt vmcnt(0)
	v_sub_co_u32_e32 v10, vcc, 0, v10
	v_subb_co_u32_e32 v11, vcc, 0, v11, vcc
	s_or_b64 exec, exec, s[2:3]
                                        ; implicit-def: $vgpr12_vgpr13
	s_and_saveexec_b64 s[2:3], s[10:11]
	s_cbranch_execz .LBB896_49
.LBB896_240:
	global_load_dwordx2 v[12:13], v50, s[46:47] offset:1536
	s_waitcnt vmcnt(0)
	v_sub_co_u32_e32 v12, vcc, 0, v12
	v_subb_co_u32_e32 v13, vcc, 0, v13, vcc
	s_or_b64 exec, exec, s[2:3]
                                        ; implicit-def: $vgpr14_vgpr15
	s_and_saveexec_b64 s[2:3], s[12:13]
	s_cbranch_execz .LBB896_50
.LBB896_241:
	global_load_dwordx2 v[14:15], v50, s[46:47] offset:2048
	s_waitcnt vmcnt(0)
	v_sub_co_u32_e32 v14, vcc, 0, v14
	v_subb_co_u32_e32 v15, vcc, 0, v15, vcc
	s_or_b64 exec, exec, s[2:3]
                                        ; implicit-def: $vgpr16_vgpr17
	s_and_saveexec_b64 s[2:3], s[14:15]
	s_cbranch_execz .LBB896_51
.LBB896_242:
	global_load_dwordx2 v[16:17], v50, s[46:47] offset:2560
	s_waitcnt vmcnt(0)
	v_sub_co_u32_e32 v16, vcc, 0, v16
	v_subb_co_u32_e32 v17, vcc, 0, v17, vcc
	s_or_b64 exec, exec, s[2:3]
                                        ; implicit-def: $vgpr18_vgpr19
	s_and_saveexec_b64 s[2:3], s[16:17]
	s_cbranch_execz .LBB896_52
.LBB896_243:
	global_load_dwordx2 v[18:19], v50, s[46:47] offset:3072
	s_waitcnt vmcnt(0)
	v_sub_co_u32_e32 v18, vcc, 0, v18
	v_subb_co_u32_e32 v19, vcc, 0, v19, vcc
	s_or_b64 exec, exec, s[2:3]
                                        ; implicit-def: $vgpr20_vgpr21
	s_and_saveexec_b64 s[2:3], s[18:19]
	s_cbranch_execz .LBB896_53
.LBB896_244:
	global_load_dwordx2 v[20:21], v50, s[46:47] offset:3584
	s_waitcnt vmcnt(0)
	v_sub_co_u32_e32 v20, vcc, 0, v20
	v_subb_co_u32_e32 v21, vcc, 0, v21, vcc
	s_or_b64 exec, exec, s[2:3]
                                        ; implicit-def: $vgpr22_vgpr23
	s_and_saveexec_b64 s[2:3], s[20:21]
	s_cbranch_execz .LBB896_54
.LBB896_245:
	global_load_dwordx2 v[22:23], v1, s[46:47]
	s_waitcnt vmcnt(0)
	v_sub_co_u32_e32 v22, vcc, 0, v22
	v_subb_co_u32_e32 v23, vcc, 0, v23, vcc
	s_or_b64 exec, exec, s[2:3]
                                        ; implicit-def: $vgpr24_vgpr25
	s_and_saveexec_b64 s[2:3], s[22:23]
	s_cbranch_execz .LBB896_55
.LBB896_246:
	global_load_dwordx2 v[24:25], v40, s[46:47]
	s_waitcnt vmcnt(0)
	v_sub_co_u32_e32 v24, vcc, 0, v24
	v_subb_co_u32_e32 v25, vcc, 0, v25, vcc
	s_or_b64 exec, exec, s[2:3]
                                        ; implicit-def: $vgpr26_vgpr27
	s_and_saveexec_b64 s[2:3], s[24:25]
	s_cbranch_execz .LBB896_56
.LBB896_247:
	global_load_dwordx2 v[26:27], v41, s[46:47]
	s_waitcnt vmcnt(0)
	v_sub_co_u32_e32 v26, vcc, 0, v26
	v_subb_co_u32_e32 v27, vcc, 0, v27, vcc
	s_or_b64 exec, exec, s[2:3]
                                        ; implicit-def: $vgpr28_vgpr29
	s_and_saveexec_b64 s[2:3], s[26:27]
	s_cbranch_execz .LBB896_57
.LBB896_248:
	global_load_dwordx2 v[28:29], v42, s[46:47]
	s_waitcnt vmcnt(0)
	v_sub_co_u32_e32 v28, vcc, 0, v28
	v_subb_co_u32_e32 v29, vcc, 0, v29, vcc
	s_or_b64 exec, exec, s[2:3]
                                        ; implicit-def: $vgpr30_vgpr31
	s_and_saveexec_b64 s[2:3], s[28:29]
	s_cbranch_execz .LBB896_58
.LBB896_249:
	global_load_dwordx2 v[30:31], v43, s[46:47]
	s_waitcnt vmcnt(0)
	v_sub_co_u32_e32 v30, vcc, 0, v30
	v_subb_co_u32_e32 v31, vcc, 0, v31, vcc
	s_or_b64 exec, exec, s[2:3]
                                        ; implicit-def: $vgpr32_vgpr33
	s_and_saveexec_b64 s[2:3], s[30:31]
	s_cbranch_execz .LBB896_59
.LBB896_250:
	global_load_dwordx2 v[32:33], v44, s[46:47]
	s_waitcnt vmcnt(0)
	v_sub_co_u32_e32 v32, vcc, 0, v32
	v_subb_co_u32_e32 v33, vcc, 0, v33, vcc
	s_or_b64 exec, exec, s[2:3]
                                        ; implicit-def: $vgpr34_vgpr35
	s_and_saveexec_b64 s[2:3], s[34:35]
	s_cbranch_execz .LBB896_60
.LBB896_251:
	global_load_dwordx2 v[34:35], v45, s[46:47]
	s_waitcnt vmcnt(0)
	v_sub_co_u32_e32 v34, vcc, 0, v34
	v_subb_co_u32_e32 v35, vcc, 0, v35, vcc
	s_or_b64 exec, exec, s[2:3]
                                        ; implicit-def: $vgpr36_vgpr37
	s_and_saveexec_b64 s[2:3], s[36:37]
	s_cbranch_execz .LBB896_61
.LBB896_252:
	global_load_dwordx2 v[36:37], v46, s[46:47]
	s_waitcnt vmcnt(0)
	v_sub_co_u32_e32 v36, vcc, 0, v36
	v_subb_co_u32_e32 v37, vcc, 0, v37, vcc
	s_or_b64 exec, exec, s[2:3]
                                        ; implicit-def: $vgpr38_vgpr39
	s_and_saveexec_b64 s[2:3], s[38:39]
	s_cbranch_execz .LBB896_62
.LBB896_253:
	global_load_dwordx2 v[38:39], v47, s[46:47]
	s_waitcnt vmcnt(0)
	v_sub_co_u32_e32 v38, vcc, 0, v38
	v_subb_co_u32_e32 v39, vcc, 0, v39, vcc
	s_or_b64 exec, exec, s[2:3]
                                        ; implicit-def: $vgpr40_vgpr41
	s_and_saveexec_b64 s[2:3], s[40:41]
	s_cbranch_execz .LBB896_63
.LBB896_254:
	global_load_dwordx2 v[40:41], v49, s[46:47]
	s_waitcnt vmcnt(0)
	v_sub_co_u32_e32 v40, vcc, 0, v40
	v_subb_co_u32_e32 v41, vcc, 0, v41, vcc
	s_or_b64 exec, exec, s[2:3]
                                        ; implicit-def: $vgpr42_vgpr43
	s_and_saveexec_b64 s[2:3], s[42:43]
	s_cbranch_execnz .LBB896_64
	s_branch .LBB896_65
.LBB896_255:
                                        ; implicit-def: $sgpr56_sgpr57
	s_branch .LBB896_42
.LBB896_256:
                                        ; implicit-def: $sgpr2_sgpr3
	s_branch .LBB896_106
	.section	.rodata,"a",@progbits
	.p2align	6, 0x0
	.amdhsa_kernel _ZN7rocprim17ROCPRIM_400000_NS6detail17trampoline_kernelINS0_14default_configENS1_27scan_by_key_config_selectorIxxEEZZNS1_16scan_by_key_implILNS1_25lookback_scan_determinismE0ELb0ES3_N6thrust23THRUST_200600_302600_NS6detail15normal_iteratorINS9_10device_ptrIxEEEENS9_18transform_iteratorINS9_6negateIxEESE_NS9_11use_defaultESI_EESE_xNS9_4plusIvEENS9_8equal_toIvEExEE10hipError_tPvRmT2_T3_T4_T5_mT6_T7_P12ihipStream_tbENKUlT_T0_E_clISt17integral_constantIbLb0EES14_EEDaSZ_S10_EUlSZ_E_NS1_11comp_targetILNS1_3genE4ELNS1_11target_archE910ELNS1_3gpuE8ELNS1_3repE0EEENS1_30default_config_static_selectorELNS0_4arch9wavefront6targetE1EEEvT1_
		.amdhsa_group_segment_fixed_size 10752
		.amdhsa_private_segment_fixed_size 0
		.amdhsa_kernarg_size 144
		.amdhsa_user_sgpr_count 6
		.amdhsa_user_sgpr_private_segment_buffer 1
		.amdhsa_user_sgpr_dispatch_ptr 0
		.amdhsa_user_sgpr_queue_ptr 0
		.amdhsa_user_sgpr_kernarg_segment_ptr 1
		.amdhsa_user_sgpr_dispatch_id 0
		.amdhsa_user_sgpr_flat_scratch_init 0
		.amdhsa_user_sgpr_kernarg_preload_length 0
		.amdhsa_user_sgpr_kernarg_preload_offset 0
		.amdhsa_user_sgpr_private_segment_size 0
		.amdhsa_uses_dynamic_stack 0
		.amdhsa_system_sgpr_private_segment_wavefront_offset 0
		.amdhsa_system_sgpr_workgroup_id_x 1
		.amdhsa_system_sgpr_workgroup_id_y 0
		.amdhsa_system_sgpr_workgroup_id_z 0
		.amdhsa_system_sgpr_workgroup_info 0
		.amdhsa_system_vgpr_workitem_id 0
		.amdhsa_next_free_vgpr 128
		.amdhsa_next_free_sgpr 78
		.amdhsa_accum_offset 128
		.amdhsa_reserve_vcc 1
		.amdhsa_reserve_flat_scratch 0
		.amdhsa_float_round_mode_32 0
		.amdhsa_float_round_mode_16_64 0
		.amdhsa_float_denorm_mode_32 3
		.amdhsa_float_denorm_mode_16_64 3
		.amdhsa_dx10_clamp 1
		.amdhsa_ieee_mode 1
		.amdhsa_fp16_overflow 0
		.amdhsa_tg_split 0
		.amdhsa_exception_fp_ieee_invalid_op 0
		.amdhsa_exception_fp_denorm_src 0
		.amdhsa_exception_fp_ieee_div_zero 0
		.amdhsa_exception_fp_ieee_overflow 0
		.amdhsa_exception_fp_ieee_underflow 0
		.amdhsa_exception_fp_ieee_inexact 0
		.amdhsa_exception_int_div_zero 0
	.end_amdhsa_kernel
	.section	.text._ZN7rocprim17ROCPRIM_400000_NS6detail17trampoline_kernelINS0_14default_configENS1_27scan_by_key_config_selectorIxxEEZZNS1_16scan_by_key_implILNS1_25lookback_scan_determinismE0ELb0ES3_N6thrust23THRUST_200600_302600_NS6detail15normal_iteratorINS9_10device_ptrIxEEEENS9_18transform_iteratorINS9_6negateIxEESE_NS9_11use_defaultESI_EESE_xNS9_4plusIvEENS9_8equal_toIvEExEE10hipError_tPvRmT2_T3_T4_T5_mT6_T7_P12ihipStream_tbENKUlT_T0_E_clISt17integral_constantIbLb0EES14_EEDaSZ_S10_EUlSZ_E_NS1_11comp_targetILNS1_3genE4ELNS1_11target_archE910ELNS1_3gpuE8ELNS1_3repE0EEENS1_30default_config_static_selectorELNS0_4arch9wavefront6targetE1EEEvT1_,"axG",@progbits,_ZN7rocprim17ROCPRIM_400000_NS6detail17trampoline_kernelINS0_14default_configENS1_27scan_by_key_config_selectorIxxEEZZNS1_16scan_by_key_implILNS1_25lookback_scan_determinismE0ELb0ES3_N6thrust23THRUST_200600_302600_NS6detail15normal_iteratorINS9_10device_ptrIxEEEENS9_18transform_iteratorINS9_6negateIxEESE_NS9_11use_defaultESI_EESE_xNS9_4plusIvEENS9_8equal_toIvEExEE10hipError_tPvRmT2_T3_T4_T5_mT6_T7_P12ihipStream_tbENKUlT_T0_E_clISt17integral_constantIbLb0EES14_EEDaSZ_S10_EUlSZ_E_NS1_11comp_targetILNS1_3genE4ELNS1_11target_archE910ELNS1_3gpuE8ELNS1_3repE0EEENS1_30default_config_static_selectorELNS0_4arch9wavefront6targetE1EEEvT1_,comdat
.Lfunc_end896:
	.size	_ZN7rocprim17ROCPRIM_400000_NS6detail17trampoline_kernelINS0_14default_configENS1_27scan_by_key_config_selectorIxxEEZZNS1_16scan_by_key_implILNS1_25lookback_scan_determinismE0ELb0ES3_N6thrust23THRUST_200600_302600_NS6detail15normal_iteratorINS9_10device_ptrIxEEEENS9_18transform_iteratorINS9_6negateIxEESE_NS9_11use_defaultESI_EESE_xNS9_4plusIvEENS9_8equal_toIvEExEE10hipError_tPvRmT2_T3_T4_T5_mT6_T7_P12ihipStream_tbENKUlT_T0_E_clISt17integral_constantIbLb0EES14_EEDaSZ_S10_EUlSZ_E_NS1_11comp_targetILNS1_3genE4ELNS1_11target_archE910ELNS1_3gpuE8ELNS1_3repE0EEENS1_30default_config_static_selectorELNS0_4arch9wavefront6targetE1EEEvT1_, .Lfunc_end896-_ZN7rocprim17ROCPRIM_400000_NS6detail17trampoline_kernelINS0_14default_configENS1_27scan_by_key_config_selectorIxxEEZZNS1_16scan_by_key_implILNS1_25lookback_scan_determinismE0ELb0ES3_N6thrust23THRUST_200600_302600_NS6detail15normal_iteratorINS9_10device_ptrIxEEEENS9_18transform_iteratorINS9_6negateIxEESE_NS9_11use_defaultESI_EESE_xNS9_4plusIvEENS9_8equal_toIvEExEE10hipError_tPvRmT2_T3_T4_T5_mT6_T7_P12ihipStream_tbENKUlT_T0_E_clISt17integral_constantIbLb0EES14_EEDaSZ_S10_EUlSZ_E_NS1_11comp_targetILNS1_3genE4ELNS1_11target_archE910ELNS1_3gpuE8ELNS1_3repE0EEENS1_30default_config_static_selectorELNS0_4arch9wavefront6targetE1EEEvT1_
                                        ; -- End function
	.section	.AMDGPU.csdata,"",@progbits
; Kernel info:
; codeLenInByte = 15124
; NumSgprs: 82
; NumVgprs: 128
; NumAgprs: 0
; TotalNumVgprs: 128
; ScratchSize: 0
; MemoryBound: 0
; FloatMode: 240
; IeeeMode: 1
; LDSByteSize: 10752 bytes/workgroup (compile time only)
; SGPRBlocks: 10
; VGPRBlocks: 15
; NumSGPRsForWavesPerEU: 82
; NumVGPRsForWavesPerEU: 128
; AccumOffset: 128
; Occupancy: 2
; WaveLimiterHint : 1
; COMPUTE_PGM_RSRC2:SCRATCH_EN: 0
; COMPUTE_PGM_RSRC2:USER_SGPR: 6
; COMPUTE_PGM_RSRC2:TRAP_HANDLER: 0
; COMPUTE_PGM_RSRC2:TGID_X_EN: 1
; COMPUTE_PGM_RSRC2:TGID_Y_EN: 0
; COMPUTE_PGM_RSRC2:TGID_Z_EN: 0
; COMPUTE_PGM_RSRC2:TIDIG_COMP_CNT: 0
; COMPUTE_PGM_RSRC3_GFX90A:ACCUM_OFFSET: 31
; COMPUTE_PGM_RSRC3_GFX90A:TG_SPLIT: 0
	.section	.text._ZN7rocprim17ROCPRIM_400000_NS6detail17trampoline_kernelINS0_14default_configENS1_27scan_by_key_config_selectorIxxEEZZNS1_16scan_by_key_implILNS1_25lookback_scan_determinismE0ELb0ES3_N6thrust23THRUST_200600_302600_NS6detail15normal_iteratorINS9_10device_ptrIxEEEENS9_18transform_iteratorINS9_6negateIxEESE_NS9_11use_defaultESI_EESE_xNS9_4plusIvEENS9_8equal_toIvEExEE10hipError_tPvRmT2_T3_T4_T5_mT6_T7_P12ihipStream_tbENKUlT_T0_E_clISt17integral_constantIbLb0EES14_EEDaSZ_S10_EUlSZ_E_NS1_11comp_targetILNS1_3genE3ELNS1_11target_archE908ELNS1_3gpuE7ELNS1_3repE0EEENS1_30default_config_static_selectorELNS0_4arch9wavefront6targetE1EEEvT1_,"axG",@progbits,_ZN7rocprim17ROCPRIM_400000_NS6detail17trampoline_kernelINS0_14default_configENS1_27scan_by_key_config_selectorIxxEEZZNS1_16scan_by_key_implILNS1_25lookback_scan_determinismE0ELb0ES3_N6thrust23THRUST_200600_302600_NS6detail15normal_iteratorINS9_10device_ptrIxEEEENS9_18transform_iteratorINS9_6negateIxEESE_NS9_11use_defaultESI_EESE_xNS9_4plusIvEENS9_8equal_toIvEExEE10hipError_tPvRmT2_T3_T4_T5_mT6_T7_P12ihipStream_tbENKUlT_T0_E_clISt17integral_constantIbLb0EES14_EEDaSZ_S10_EUlSZ_E_NS1_11comp_targetILNS1_3genE3ELNS1_11target_archE908ELNS1_3gpuE7ELNS1_3repE0EEENS1_30default_config_static_selectorELNS0_4arch9wavefront6targetE1EEEvT1_,comdat
	.protected	_ZN7rocprim17ROCPRIM_400000_NS6detail17trampoline_kernelINS0_14default_configENS1_27scan_by_key_config_selectorIxxEEZZNS1_16scan_by_key_implILNS1_25lookback_scan_determinismE0ELb0ES3_N6thrust23THRUST_200600_302600_NS6detail15normal_iteratorINS9_10device_ptrIxEEEENS9_18transform_iteratorINS9_6negateIxEESE_NS9_11use_defaultESI_EESE_xNS9_4plusIvEENS9_8equal_toIvEExEE10hipError_tPvRmT2_T3_T4_T5_mT6_T7_P12ihipStream_tbENKUlT_T0_E_clISt17integral_constantIbLb0EES14_EEDaSZ_S10_EUlSZ_E_NS1_11comp_targetILNS1_3genE3ELNS1_11target_archE908ELNS1_3gpuE7ELNS1_3repE0EEENS1_30default_config_static_selectorELNS0_4arch9wavefront6targetE1EEEvT1_ ; -- Begin function _ZN7rocprim17ROCPRIM_400000_NS6detail17trampoline_kernelINS0_14default_configENS1_27scan_by_key_config_selectorIxxEEZZNS1_16scan_by_key_implILNS1_25lookback_scan_determinismE0ELb0ES3_N6thrust23THRUST_200600_302600_NS6detail15normal_iteratorINS9_10device_ptrIxEEEENS9_18transform_iteratorINS9_6negateIxEESE_NS9_11use_defaultESI_EESE_xNS9_4plusIvEENS9_8equal_toIvEExEE10hipError_tPvRmT2_T3_T4_T5_mT6_T7_P12ihipStream_tbENKUlT_T0_E_clISt17integral_constantIbLb0EES14_EEDaSZ_S10_EUlSZ_E_NS1_11comp_targetILNS1_3genE3ELNS1_11target_archE908ELNS1_3gpuE7ELNS1_3repE0EEENS1_30default_config_static_selectorELNS0_4arch9wavefront6targetE1EEEvT1_
	.globl	_ZN7rocprim17ROCPRIM_400000_NS6detail17trampoline_kernelINS0_14default_configENS1_27scan_by_key_config_selectorIxxEEZZNS1_16scan_by_key_implILNS1_25lookback_scan_determinismE0ELb0ES3_N6thrust23THRUST_200600_302600_NS6detail15normal_iteratorINS9_10device_ptrIxEEEENS9_18transform_iteratorINS9_6negateIxEESE_NS9_11use_defaultESI_EESE_xNS9_4plusIvEENS9_8equal_toIvEExEE10hipError_tPvRmT2_T3_T4_T5_mT6_T7_P12ihipStream_tbENKUlT_T0_E_clISt17integral_constantIbLb0EES14_EEDaSZ_S10_EUlSZ_E_NS1_11comp_targetILNS1_3genE3ELNS1_11target_archE908ELNS1_3gpuE7ELNS1_3repE0EEENS1_30default_config_static_selectorELNS0_4arch9wavefront6targetE1EEEvT1_
	.p2align	8
	.type	_ZN7rocprim17ROCPRIM_400000_NS6detail17trampoline_kernelINS0_14default_configENS1_27scan_by_key_config_selectorIxxEEZZNS1_16scan_by_key_implILNS1_25lookback_scan_determinismE0ELb0ES3_N6thrust23THRUST_200600_302600_NS6detail15normal_iteratorINS9_10device_ptrIxEEEENS9_18transform_iteratorINS9_6negateIxEESE_NS9_11use_defaultESI_EESE_xNS9_4plusIvEENS9_8equal_toIvEExEE10hipError_tPvRmT2_T3_T4_T5_mT6_T7_P12ihipStream_tbENKUlT_T0_E_clISt17integral_constantIbLb0EES14_EEDaSZ_S10_EUlSZ_E_NS1_11comp_targetILNS1_3genE3ELNS1_11target_archE908ELNS1_3gpuE7ELNS1_3repE0EEENS1_30default_config_static_selectorELNS0_4arch9wavefront6targetE1EEEvT1_,@function
_ZN7rocprim17ROCPRIM_400000_NS6detail17trampoline_kernelINS0_14default_configENS1_27scan_by_key_config_selectorIxxEEZZNS1_16scan_by_key_implILNS1_25lookback_scan_determinismE0ELb0ES3_N6thrust23THRUST_200600_302600_NS6detail15normal_iteratorINS9_10device_ptrIxEEEENS9_18transform_iteratorINS9_6negateIxEESE_NS9_11use_defaultESI_EESE_xNS9_4plusIvEENS9_8equal_toIvEExEE10hipError_tPvRmT2_T3_T4_T5_mT6_T7_P12ihipStream_tbENKUlT_T0_E_clISt17integral_constantIbLb0EES14_EEDaSZ_S10_EUlSZ_E_NS1_11comp_targetILNS1_3genE3ELNS1_11target_archE908ELNS1_3gpuE7ELNS1_3repE0EEENS1_30default_config_static_selectorELNS0_4arch9wavefront6targetE1EEEvT1_: ; @_ZN7rocprim17ROCPRIM_400000_NS6detail17trampoline_kernelINS0_14default_configENS1_27scan_by_key_config_selectorIxxEEZZNS1_16scan_by_key_implILNS1_25lookback_scan_determinismE0ELb0ES3_N6thrust23THRUST_200600_302600_NS6detail15normal_iteratorINS9_10device_ptrIxEEEENS9_18transform_iteratorINS9_6negateIxEESE_NS9_11use_defaultESI_EESE_xNS9_4plusIvEENS9_8equal_toIvEExEE10hipError_tPvRmT2_T3_T4_T5_mT6_T7_P12ihipStream_tbENKUlT_T0_E_clISt17integral_constantIbLb0EES14_EEDaSZ_S10_EUlSZ_E_NS1_11comp_targetILNS1_3genE3ELNS1_11target_archE908ELNS1_3gpuE7ELNS1_3repE0EEENS1_30default_config_static_selectorELNS0_4arch9wavefront6targetE1EEEvT1_
; %bb.0:
	.section	.rodata,"a",@progbits
	.p2align	6, 0x0
	.amdhsa_kernel _ZN7rocprim17ROCPRIM_400000_NS6detail17trampoline_kernelINS0_14default_configENS1_27scan_by_key_config_selectorIxxEEZZNS1_16scan_by_key_implILNS1_25lookback_scan_determinismE0ELb0ES3_N6thrust23THRUST_200600_302600_NS6detail15normal_iteratorINS9_10device_ptrIxEEEENS9_18transform_iteratorINS9_6negateIxEESE_NS9_11use_defaultESI_EESE_xNS9_4plusIvEENS9_8equal_toIvEExEE10hipError_tPvRmT2_T3_T4_T5_mT6_T7_P12ihipStream_tbENKUlT_T0_E_clISt17integral_constantIbLb0EES14_EEDaSZ_S10_EUlSZ_E_NS1_11comp_targetILNS1_3genE3ELNS1_11target_archE908ELNS1_3gpuE7ELNS1_3repE0EEENS1_30default_config_static_selectorELNS0_4arch9wavefront6targetE1EEEvT1_
		.amdhsa_group_segment_fixed_size 0
		.amdhsa_private_segment_fixed_size 0
		.amdhsa_kernarg_size 144
		.amdhsa_user_sgpr_count 6
		.amdhsa_user_sgpr_private_segment_buffer 1
		.amdhsa_user_sgpr_dispatch_ptr 0
		.amdhsa_user_sgpr_queue_ptr 0
		.amdhsa_user_sgpr_kernarg_segment_ptr 1
		.amdhsa_user_sgpr_dispatch_id 0
		.amdhsa_user_sgpr_flat_scratch_init 0
		.amdhsa_user_sgpr_kernarg_preload_length 0
		.amdhsa_user_sgpr_kernarg_preload_offset 0
		.amdhsa_user_sgpr_private_segment_size 0
		.amdhsa_uses_dynamic_stack 0
		.amdhsa_system_sgpr_private_segment_wavefront_offset 0
		.amdhsa_system_sgpr_workgroup_id_x 1
		.amdhsa_system_sgpr_workgroup_id_y 0
		.amdhsa_system_sgpr_workgroup_id_z 0
		.amdhsa_system_sgpr_workgroup_info 0
		.amdhsa_system_vgpr_workitem_id 0
		.amdhsa_next_free_vgpr 1
		.amdhsa_next_free_sgpr 0
		.amdhsa_accum_offset 4
		.amdhsa_reserve_vcc 0
		.amdhsa_reserve_flat_scratch 0
		.amdhsa_float_round_mode_32 0
		.amdhsa_float_round_mode_16_64 0
		.amdhsa_float_denorm_mode_32 3
		.amdhsa_float_denorm_mode_16_64 3
		.amdhsa_dx10_clamp 1
		.amdhsa_ieee_mode 1
		.amdhsa_fp16_overflow 0
		.amdhsa_tg_split 0
		.amdhsa_exception_fp_ieee_invalid_op 0
		.amdhsa_exception_fp_denorm_src 0
		.amdhsa_exception_fp_ieee_div_zero 0
		.amdhsa_exception_fp_ieee_overflow 0
		.amdhsa_exception_fp_ieee_underflow 0
		.amdhsa_exception_fp_ieee_inexact 0
		.amdhsa_exception_int_div_zero 0
	.end_amdhsa_kernel
	.section	.text._ZN7rocprim17ROCPRIM_400000_NS6detail17trampoline_kernelINS0_14default_configENS1_27scan_by_key_config_selectorIxxEEZZNS1_16scan_by_key_implILNS1_25lookback_scan_determinismE0ELb0ES3_N6thrust23THRUST_200600_302600_NS6detail15normal_iteratorINS9_10device_ptrIxEEEENS9_18transform_iteratorINS9_6negateIxEESE_NS9_11use_defaultESI_EESE_xNS9_4plusIvEENS9_8equal_toIvEExEE10hipError_tPvRmT2_T3_T4_T5_mT6_T7_P12ihipStream_tbENKUlT_T0_E_clISt17integral_constantIbLb0EES14_EEDaSZ_S10_EUlSZ_E_NS1_11comp_targetILNS1_3genE3ELNS1_11target_archE908ELNS1_3gpuE7ELNS1_3repE0EEENS1_30default_config_static_selectorELNS0_4arch9wavefront6targetE1EEEvT1_,"axG",@progbits,_ZN7rocprim17ROCPRIM_400000_NS6detail17trampoline_kernelINS0_14default_configENS1_27scan_by_key_config_selectorIxxEEZZNS1_16scan_by_key_implILNS1_25lookback_scan_determinismE0ELb0ES3_N6thrust23THRUST_200600_302600_NS6detail15normal_iteratorINS9_10device_ptrIxEEEENS9_18transform_iteratorINS9_6negateIxEESE_NS9_11use_defaultESI_EESE_xNS9_4plusIvEENS9_8equal_toIvEExEE10hipError_tPvRmT2_T3_T4_T5_mT6_T7_P12ihipStream_tbENKUlT_T0_E_clISt17integral_constantIbLb0EES14_EEDaSZ_S10_EUlSZ_E_NS1_11comp_targetILNS1_3genE3ELNS1_11target_archE908ELNS1_3gpuE7ELNS1_3repE0EEENS1_30default_config_static_selectorELNS0_4arch9wavefront6targetE1EEEvT1_,comdat
.Lfunc_end897:
	.size	_ZN7rocprim17ROCPRIM_400000_NS6detail17trampoline_kernelINS0_14default_configENS1_27scan_by_key_config_selectorIxxEEZZNS1_16scan_by_key_implILNS1_25lookback_scan_determinismE0ELb0ES3_N6thrust23THRUST_200600_302600_NS6detail15normal_iteratorINS9_10device_ptrIxEEEENS9_18transform_iteratorINS9_6negateIxEESE_NS9_11use_defaultESI_EESE_xNS9_4plusIvEENS9_8equal_toIvEExEE10hipError_tPvRmT2_T3_T4_T5_mT6_T7_P12ihipStream_tbENKUlT_T0_E_clISt17integral_constantIbLb0EES14_EEDaSZ_S10_EUlSZ_E_NS1_11comp_targetILNS1_3genE3ELNS1_11target_archE908ELNS1_3gpuE7ELNS1_3repE0EEENS1_30default_config_static_selectorELNS0_4arch9wavefront6targetE1EEEvT1_, .Lfunc_end897-_ZN7rocprim17ROCPRIM_400000_NS6detail17trampoline_kernelINS0_14default_configENS1_27scan_by_key_config_selectorIxxEEZZNS1_16scan_by_key_implILNS1_25lookback_scan_determinismE0ELb0ES3_N6thrust23THRUST_200600_302600_NS6detail15normal_iteratorINS9_10device_ptrIxEEEENS9_18transform_iteratorINS9_6negateIxEESE_NS9_11use_defaultESI_EESE_xNS9_4plusIvEENS9_8equal_toIvEExEE10hipError_tPvRmT2_T3_T4_T5_mT6_T7_P12ihipStream_tbENKUlT_T0_E_clISt17integral_constantIbLb0EES14_EEDaSZ_S10_EUlSZ_E_NS1_11comp_targetILNS1_3genE3ELNS1_11target_archE908ELNS1_3gpuE7ELNS1_3repE0EEENS1_30default_config_static_selectorELNS0_4arch9wavefront6targetE1EEEvT1_
                                        ; -- End function
	.section	.AMDGPU.csdata,"",@progbits
; Kernel info:
; codeLenInByte = 0
; NumSgprs: 4
; NumVgprs: 0
; NumAgprs: 0
; TotalNumVgprs: 0
; ScratchSize: 0
; MemoryBound: 0
; FloatMode: 240
; IeeeMode: 1
; LDSByteSize: 0 bytes/workgroup (compile time only)
; SGPRBlocks: 0
; VGPRBlocks: 0
; NumSGPRsForWavesPerEU: 4
; NumVGPRsForWavesPerEU: 1
; AccumOffset: 4
; Occupancy: 8
; WaveLimiterHint : 0
; COMPUTE_PGM_RSRC2:SCRATCH_EN: 0
; COMPUTE_PGM_RSRC2:USER_SGPR: 6
; COMPUTE_PGM_RSRC2:TRAP_HANDLER: 0
; COMPUTE_PGM_RSRC2:TGID_X_EN: 1
; COMPUTE_PGM_RSRC2:TGID_Y_EN: 0
; COMPUTE_PGM_RSRC2:TGID_Z_EN: 0
; COMPUTE_PGM_RSRC2:TIDIG_COMP_CNT: 0
; COMPUTE_PGM_RSRC3_GFX90A:ACCUM_OFFSET: 0
; COMPUTE_PGM_RSRC3_GFX90A:TG_SPLIT: 0
	.section	.text._ZN7rocprim17ROCPRIM_400000_NS6detail17trampoline_kernelINS0_14default_configENS1_27scan_by_key_config_selectorIxxEEZZNS1_16scan_by_key_implILNS1_25lookback_scan_determinismE0ELb0ES3_N6thrust23THRUST_200600_302600_NS6detail15normal_iteratorINS9_10device_ptrIxEEEENS9_18transform_iteratorINS9_6negateIxEESE_NS9_11use_defaultESI_EESE_xNS9_4plusIvEENS9_8equal_toIvEExEE10hipError_tPvRmT2_T3_T4_T5_mT6_T7_P12ihipStream_tbENKUlT_T0_E_clISt17integral_constantIbLb0EES14_EEDaSZ_S10_EUlSZ_E_NS1_11comp_targetILNS1_3genE2ELNS1_11target_archE906ELNS1_3gpuE6ELNS1_3repE0EEENS1_30default_config_static_selectorELNS0_4arch9wavefront6targetE1EEEvT1_,"axG",@progbits,_ZN7rocprim17ROCPRIM_400000_NS6detail17trampoline_kernelINS0_14default_configENS1_27scan_by_key_config_selectorIxxEEZZNS1_16scan_by_key_implILNS1_25lookback_scan_determinismE0ELb0ES3_N6thrust23THRUST_200600_302600_NS6detail15normal_iteratorINS9_10device_ptrIxEEEENS9_18transform_iteratorINS9_6negateIxEESE_NS9_11use_defaultESI_EESE_xNS9_4plusIvEENS9_8equal_toIvEExEE10hipError_tPvRmT2_T3_T4_T5_mT6_T7_P12ihipStream_tbENKUlT_T0_E_clISt17integral_constantIbLb0EES14_EEDaSZ_S10_EUlSZ_E_NS1_11comp_targetILNS1_3genE2ELNS1_11target_archE906ELNS1_3gpuE6ELNS1_3repE0EEENS1_30default_config_static_selectorELNS0_4arch9wavefront6targetE1EEEvT1_,comdat
	.protected	_ZN7rocprim17ROCPRIM_400000_NS6detail17trampoline_kernelINS0_14default_configENS1_27scan_by_key_config_selectorIxxEEZZNS1_16scan_by_key_implILNS1_25lookback_scan_determinismE0ELb0ES3_N6thrust23THRUST_200600_302600_NS6detail15normal_iteratorINS9_10device_ptrIxEEEENS9_18transform_iteratorINS9_6negateIxEESE_NS9_11use_defaultESI_EESE_xNS9_4plusIvEENS9_8equal_toIvEExEE10hipError_tPvRmT2_T3_T4_T5_mT6_T7_P12ihipStream_tbENKUlT_T0_E_clISt17integral_constantIbLb0EES14_EEDaSZ_S10_EUlSZ_E_NS1_11comp_targetILNS1_3genE2ELNS1_11target_archE906ELNS1_3gpuE6ELNS1_3repE0EEENS1_30default_config_static_selectorELNS0_4arch9wavefront6targetE1EEEvT1_ ; -- Begin function _ZN7rocprim17ROCPRIM_400000_NS6detail17trampoline_kernelINS0_14default_configENS1_27scan_by_key_config_selectorIxxEEZZNS1_16scan_by_key_implILNS1_25lookback_scan_determinismE0ELb0ES3_N6thrust23THRUST_200600_302600_NS6detail15normal_iteratorINS9_10device_ptrIxEEEENS9_18transform_iteratorINS9_6negateIxEESE_NS9_11use_defaultESI_EESE_xNS9_4plusIvEENS9_8equal_toIvEExEE10hipError_tPvRmT2_T3_T4_T5_mT6_T7_P12ihipStream_tbENKUlT_T0_E_clISt17integral_constantIbLb0EES14_EEDaSZ_S10_EUlSZ_E_NS1_11comp_targetILNS1_3genE2ELNS1_11target_archE906ELNS1_3gpuE6ELNS1_3repE0EEENS1_30default_config_static_selectorELNS0_4arch9wavefront6targetE1EEEvT1_
	.globl	_ZN7rocprim17ROCPRIM_400000_NS6detail17trampoline_kernelINS0_14default_configENS1_27scan_by_key_config_selectorIxxEEZZNS1_16scan_by_key_implILNS1_25lookback_scan_determinismE0ELb0ES3_N6thrust23THRUST_200600_302600_NS6detail15normal_iteratorINS9_10device_ptrIxEEEENS9_18transform_iteratorINS9_6negateIxEESE_NS9_11use_defaultESI_EESE_xNS9_4plusIvEENS9_8equal_toIvEExEE10hipError_tPvRmT2_T3_T4_T5_mT6_T7_P12ihipStream_tbENKUlT_T0_E_clISt17integral_constantIbLb0EES14_EEDaSZ_S10_EUlSZ_E_NS1_11comp_targetILNS1_3genE2ELNS1_11target_archE906ELNS1_3gpuE6ELNS1_3repE0EEENS1_30default_config_static_selectorELNS0_4arch9wavefront6targetE1EEEvT1_
	.p2align	8
	.type	_ZN7rocprim17ROCPRIM_400000_NS6detail17trampoline_kernelINS0_14default_configENS1_27scan_by_key_config_selectorIxxEEZZNS1_16scan_by_key_implILNS1_25lookback_scan_determinismE0ELb0ES3_N6thrust23THRUST_200600_302600_NS6detail15normal_iteratorINS9_10device_ptrIxEEEENS9_18transform_iteratorINS9_6negateIxEESE_NS9_11use_defaultESI_EESE_xNS9_4plusIvEENS9_8equal_toIvEExEE10hipError_tPvRmT2_T3_T4_T5_mT6_T7_P12ihipStream_tbENKUlT_T0_E_clISt17integral_constantIbLb0EES14_EEDaSZ_S10_EUlSZ_E_NS1_11comp_targetILNS1_3genE2ELNS1_11target_archE906ELNS1_3gpuE6ELNS1_3repE0EEENS1_30default_config_static_selectorELNS0_4arch9wavefront6targetE1EEEvT1_,@function
_ZN7rocprim17ROCPRIM_400000_NS6detail17trampoline_kernelINS0_14default_configENS1_27scan_by_key_config_selectorIxxEEZZNS1_16scan_by_key_implILNS1_25lookback_scan_determinismE0ELb0ES3_N6thrust23THRUST_200600_302600_NS6detail15normal_iteratorINS9_10device_ptrIxEEEENS9_18transform_iteratorINS9_6negateIxEESE_NS9_11use_defaultESI_EESE_xNS9_4plusIvEENS9_8equal_toIvEExEE10hipError_tPvRmT2_T3_T4_T5_mT6_T7_P12ihipStream_tbENKUlT_T0_E_clISt17integral_constantIbLb0EES14_EEDaSZ_S10_EUlSZ_E_NS1_11comp_targetILNS1_3genE2ELNS1_11target_archE906ELNS1_3gpuE6ELNS1_3repE0EEENS1_30default_config_static_selectorELNS0_4arch9wavefront6targetE1EEEvT1_: ; @_ZN7rocprim17ROCPRIM_400000_NS6detail17trampoline_kernelINS0_14default_configENS1_27scan_by_key_config_selectorIxxEEZZNS1_16scan_by_key_implILNS1_25lookback_scan_determinismE0ELb0ES3_N6thrust23THRUST_200600_302600_NS6detail15normal_iteratorINS9_10device_ptrIxEEEENS9_18transform_iteratorINS9_6negateIxEESE_NS9_11use_defaultESI_EESE_xNS9_4plusIvEENS9_8equal_toIvEExEE10hipError_tPvRmT2_T3_T4_T5_mT6_T7_P12ihipStream_tbENKUlT_T0_E_clISt17integral_constantIbLb0EES14_EEDaSZ_S10_EUlSZ_E_NS1_11comp_targetILNS1_3genE2ELNS1_11target_archE906ELNS1_3gpuE6ELNS1_3repE0EEENS1_30default_config_static_selectorELNS0_4arch9wavefront6targetE1EEEvT1_
; %bb.0:
	.section	.rodata,"a",@progbits
	.p2align	6, 0x0
	.amdhsa_kernel _ZN7rocprim17ROCPRIM_400000_NS6detail17trampoline_kernelINS0_14default_configENS1_27scan_by_key_config_selectorIxxEEZZNS1_16scan_by_key_implILNS1_25lookback_scan_determinismE0ELb0ES3_N6thrust23THRUST_200600_302600_NS6detail15normal_iteratorINS9_10device_ptrIxEEEENS9_18transform_iteratorINS9_6negateIxEESE_NS9_11use_defaultESI_EESE_xNS9_4plusIvEENS9_8equal_toIvEExEE10hipError_tPvRmT2_T3_T4_T5_mT6_T7_P12ihipStream_tbENKUlT_T0_E_clISt17integral_constantIbLb0EES14_EEDaSZ_S10_EUlSZ_E_NS1_11comp_targetILNS1_3genE2ELNS1_11target_archE906ELNS1_3gpuE6ELNS1_3repE0EEENS1_30default_config_static_selectorELNS0_4arch9wavefront6targetE1EEEvT1_
		.amdhsa_group_segment_fixed_size 0
		.amdhsa_private_segment_fixed_size 0
		.amdhsa_kernarg_size 144
		.amdhsa_user_sgpr_count 6
		.amdhsa_user_sgpr_private_segment_buffer 1
		.amdhsa_user_sgpr_dispatch_ptr 0
		.amdhsa_user_sgpr_queue_ptr 0
		.amdhsa_user_sgpr_kernarg_segment_ptr 1
		.amdhsa_user_sgpr_dispatch_id 0
		.amdhsa_user_sgpr_flat_scratch_init 0
		.amdhsa_user_sgpr_kernarg_preload_length 0
		.amdhsa_user_sgpr_kernarg_preload_offset 0
		.amdhsa_user_sgpr_private_segment_size 0
		.amdhsa_uses_dynamic_stack 0
		.amdhsa_system_sgpr_private_segment_wavefront_offset 0
		.amdhsa_system_sgpr_workgroup_id_x 1
		.amdhsa_system_sgpr_workgroup_id_y 0
		.amdhsa_system_sgpr_workgroup_id_z 0
		.amdhsa_system_sgpr_workgroup_info 0
		.amdhsa_system_vgpr_workitem_id 0
		.amdhsa_next_free_vgpr 1
		.amdhsa_next_free_sgpr 0
		.amdhsa_accum_offset 4
		.amdhsa_reserve_vcc 0
		.amdhsa_reserve_flat_scratch 0
		.amdhsa_float_round_mode_32 0
		.amdhsa_float_round_mode_16_64 0
		.amdhsa_float_denorm_mode_32 3
		.amdhsa_float_denorm_mode_16_64 3
		.amdhsa_dx10_clamp 1
		.amdhsa_ieee_mode 1
		.amdhsa_fp16_overflow 0
		.amdhsa_tg_split 0
		.amdhsa_exception_fp_ieee_invalid_op 0
		.amdhsa_exception_fp_denorm_src 0
		.amdhsa_exception_fp_ieee_div_zero 0
		.amdhsa_exception_fp_ieee_overflow 0
		.amdhsa_exception_fp_ieee_underflow 0
		.amdhsa_exception_fp_ieee_inexact 0
		.amdhsa_exception_int_div_zero 0
	.end_amdhsa_kernel
	.section	.text._ZN7rocprim17ROCPRIM_400000_NS6detail17trampoline_kernelINS0_14default_configENS1_27scan_by_key_config_selectorIxxEEZZNS1_16scan_by_key_implILNS1_25lookback_scan_determinismE0ELb0ES3_N6thrust23THRUST_200600_302600_NS6detail15normal_iteratorINS9_10device_ptrIxEEEENS9_18transform_iteratorINS9_6negateIxEESE_NS9_11use_defaultESI_EESE_xNS9_4plusIvEENS9_8equal_toIvEExEE10hipError_tPvRmT2_T3_T4_T5_mT6_T7_P12ihipStream_tbENKUlT_T0_E_clISt17integral_constantIbLb0EES14_EEDaSZ_S10_EUlSZ_E_NS1_11comp_targetILNS1_3genE2ELNS1_11target_archE906ELNS1_3gpuE6ELNS1_3repE0EEENS1_30default_config_static_selectorELNS0_4arch9wavefront6targetE1EEEvT1_,"axG",@progbits,_ZN7rocprim17ROCPRIM_400000_NS6detail17trampoline_kernelINS0_14default_configENS1_27scan_by_key_config_selectorIxxEEZZNS1_16scan_by_key_implILNS1_25lookback_scan_determinismE0ELb0ES3_N6thrust23THRUST_200600_302600_NS6detail15normal_iteratorINS9_10device_ptrIxEEEENS9_18transform_iteratorINS9_6negateIxEESE_NS9_11use_defaultESI_EESE_xNS9_4plusIvEENS9_8equal_toIvEExEE10hipError_tPvRmT2_T3_T4_T5_mT6_T7_P12ihipStream_tbENKUlT_T0_E_clISt17integral_constantIbLb0EES14_EEDaSZ_S10_EUlSZ_E_NS1_11comp_targetILNS1_3genE2ELNS1_11target_archE906ELNS1_3gpuE6ELNS1_3repE0EEENS1_30default_config_static_selectorELNS0_4arch9wavefront6targetE1EEEvT1_,comdat
.Lfunc_end898:
	.size	_ZN7rocprim17ROCPRIM_400000_NS6detail17trampoline_kernelINS0_14default_configENS1_27scan_by_key_config_selectorIxxEEZZNS1_16scan_by_key_implILNS1_25lookback_scan_determinismE0ELb0ES3_N6thrust23THRUST_200600_302600_NS6detail15normal_iteratorINS9_10device_ptrIxEEEENS9_18transform_iteratorINS9_6negateIxEESE_NS9_11use_defaultESI_EESE_xNS9_4plusIvEENS9_8equal_toIvEExEE10hipError_tPvRmT2_T3_T4_T5_mT6_T7_P12ihipStream_tbENKUlT_T0_E_clISt17integral_constantIbLb0EES14_EEDaSZ_S10_EUlSZ_E_NS1_11comp_targetILNS1_3genE2ELNS1_11target_archE906ELNS1_3gpuE6ELNS1_3repE0EEENS1_30default_config_static_selectorELNS0_4arch9wavefront6targetE1EEEvT1_, .Lfunc_end898-_ZN7rocprim17ROCPRIM_400000_NS6detail17trampoline_kernelINS0_14default_configENS1_27scan_by_key_config_selectorIxxEEZZNS1_16scan_by_key_implILNS1_25lookback_scan_determinismE0ELb0ES3_N6thrust23THRUST_200600_302600_NS6detail15normal_iteratorINS9_10device_ptrIxEEEENS9_18transform_iteratorINS9_6negateIxEESE_NS9_11use_defaultESI_EESE_xNS9_4plusIvEENS9_8equal_toIvEExEE10hipError_tPvRmT2_T3_T4_T5_mT6_T7_P12ihipStream_tbENKUlT_T0_E_clISt17integral_constantIbLb0EES14_EEDaSZ_S10_EUlSZ_E_NS1_11comp_targetILNS1_3genE2ELNS1_11target_archE906ELNS1_3gpuE6ELNS1_3repE0EEENS1_30default_config_static_selectorELNS0_4arch9wavefront6targetE1EEEvT1_
                                        ; -- End function
	.section	.AMDGPU.csdata,"",@progbits
; Kernel info:
; codeLenInByte = 0
; NumSgprs: 4
; NumVgprs: 0
; NumAgprs: 0
; TotalNumVgprs: 0
; ScratchSize: 0
; MemoryBound: 0
; FloatMode: 240
; IeeeMode: 1
; LDSByteSize: 0 bytes/workgroup (compile time only)
; SGPRBlocks: 0
; VGPRBlocks: 0
; NumSGPRsForWavesPerEU: 4
; NumVGPRsForWavesPerEU: 1
; AccumOffset: 4
; Occupancy: 8
; WaveLimiterHint : 0
; COMPUTE_PGM_RSRC2:SCRATCH_EN: 0
; COMPUTE_PGM_RSRC2:USER_SGPR: 6
; COMPUTE_PGM_RSRC2:TRAP_HANDLER: 0
; COMPUTE_PGM_RSRC2:TGID_X_EN: 1
; COMPUTE_PGM_RSRC2:TGID_Y_EN: 0
; COMPUTE_PGM_RSRC2:TGID_Z_EN: 0
; COMPUTE_PGM_RSRC2:TIDIG_COMP_CNT: 0
; COMPUTE_PGM_RSRC3_GFX90A:ACCUM_OFFSET: 0
; COMPUTE_PGM_RSRC3_GFX90A:TG_SPLIT: 0
	.section	.text._ZN7rocprim17ROCPRIM_400000_NS6detail17trampoline_kernelINS0_14default_configENS1_27scan_by_key_config_selectorIxxEEZZNS1_16scan_by_key_implILNS1_25lookback_scan_determinismE0ELb0ES3_N6thrust23THRUST_200600_302600_NS6detail15normal_iteratorINS9_10device_ptrIxEEEENS9_18transform_iteratorINS9_6negateIxEESE_NS9_11use_defaultESI_EESE_xNS9_4plusIvEENS9_8equal_toIvEExEE10hipError_tPvRmT2_T3_T4_T5_mT6_T7_P12ihipStream_tbENKUlT_T0_E_clISt17integral_constantIbLb0EES14_EEDaSZ_S10_EUlSZ_E_NS1_11comp_targetILNS1_3genE10ELNS1_11target_archE1200ELNS1_3gpuE4ELNS1_3repE0EEENS1_30default_config_static_selectorELNS0_4arch9wavefront6targetE1EEEvT1_,"axG",@progbits,_ZN7rocprim17ROCPRIM_400000_NS6detail17trampoline_kernelINS0_14default_configENS1_27scan_by_key_config_selectorIxxEEZZNS1_16scan_by_key_implILNS1_25lookback_scan_determinismE0ELb0ES3_N6thrust23THRUST_200600_302600_NS6detail15normal_iteratorINS9_10device_ptrIxEEEENS9_18transform_iteratorINS9_6negateIxEESE_NS9_11use_defaultESI_EESE_xNS9_4plusIvEENS9_8equal_toIvEExEE10hipError_tPvRmT2_T3_T4_T5_mT6_T7_P12ihipStream_tbENKUlT_T0_E_clISt17integral_constantIbLb0EES14_EEDaSZ_S10_EUlSZ_E_NS1_11comp_targetILNS1_3genE10ELNS1_11target_archE1200ELNS1_3gpuE4ELNS1_3repE0EEENS1_30default_config_static_selectorELNS0_4arch9wavefront6targetE1EEEvT1_,comdat
	.protected	_ZN7rocprim17ROCPRIM_400000_NS6detail17trampoline_kernelINS0_14default_configENS1_27scan_by_key_config_selectorIxxEEZZNS1_16scan_by_key_implILNS1_25lookback_scan_determinismE0ELb0ES3_N6thrust23THRUST_200600_302600_NS6detail15normal_iteratorINS9_10device_ptrIxEEEENS9_18transform_iteratorINS9_6negateIxEESE_NS9_11use_defaultESI_EESE_xNS9_4plusIvEENS9_8equal_toIvEExEE10hipError_tPvRmT2_T3_T4_T5_mT6_T7_P12ihipStream_tbENKUlT_T0_E_clISt17integral_constantIbLb0EES14_EEDaSZ_S10_EUlSZ_E_NS1_11comp_targetILNS1_3genE10ELNS1_11target_archE1200ELNS1_3gpuE4ELNS1_3repE0EEENS1_30default_config_static_selectorELNS0_4arch9wavefront6targetE1EEEvT1_ ; -- Begin function _ZN7rocprim17ROCPRIM_400000_NS6detail17trampoline_kernelINS0_14default_configENS1_27scan_by_key_config_selectorIxxEEZZNS1_16scan_by_key_implILNS1_25lookback_scan_determinismE0ELb0ES3_N6thrust23THRUST_200600_302600_NS6detail15normal_iteratorINS9_10device_ptrIxEEEENS9_18transform_iteratorINS9_6negateIxEESE_NS9_11use_defaultESI_EESE_xNS9_4plusIvEENS9_8equal_toIvEExEE10hipError_tPvRmT2_T3_T4_T5_mT6_T7_P12ihipStream_tbENKUlT_T0_E_clISt17integral_constantIbLb0EES14_EEDaSZ_S10_EUlSZ_E_NS1_11comp_targetILNS1_3genE10ELNS1_11target_archE1200ELNS1_3gpuE4ELNS1_3repE0EEENS1_30default_config_static_selectorELNS0_4arch9wavefront6targetE1EEEvT1_
	.globl	_ZN7rocprim17ROCPRIM_400000_NS6detail17trampoline_kernelINS0_14default_configENS1_27scan_by_key_config_selectorIxxEEZZNS1_16scan_by_key_implILNS1_25lookback_scan_determinismE0ELb0ES3_N6thrust23THRUST_200600_302600_NS6detail15normal_iteratorINS9_10device_ptrIxEEEENS9_18transform_iteratorINS9_6negateIxEESE_NS9_11use_defaultESI_EESE_xNS9_4plusIvEENS9_8equal_toIvEExEE10hipError_tPvRmT2_T3_T4_T5_mT6_T7_P12ihipStream_tbENKUlT_T0_E_clISt17integral_constantIbLb0EES14_EEDaSZ_S10_EUlSZ_E_NS1_11comp_targetILNS1_3genE10ELNS1_11target_archE1200ELNS1_3gpuE4ELNS1_3repE0EEENS1_30default_config_static_selectorELNS0_4arch9wavefront6targetE1EEEvT1_
	.p2align	8
	.type	_ZN7rocprim17ROCPRIM_400000_NS6detail17trampoline_kernelINS0_14default_configENS1_27scan_by_key_config_selectorIxxEEZZNS1_16scan_by_key_implILNS1_25lookback_scan_determinismE0ELb0ES3_N6thrust23THRUST_200600_302600_NS6detail15normal_iteratorINS9_10device_ptrIxEEEENS9_18transform_iteratorINS9_6negateIxEESE_NS9_11use_defaultESI_EESE_xNS9_4plusIvEENS9_8equal_toIvEExEE10hipError_tPvRmT2_T3_T4_T5_mT6_T7_P12ihipStream_tbENKUlT_T0_E_clISt17integral_constantIbLb0EES14_EEDaSZ_S10_EUlSZ_E_NS1_11comp_targetILNS1_3genE10ELNS1_11target_archE1200ELNS1_3gpuE4ELNS1_3repE0EEENS1_30default_config_static_selectorELNS0_4arch9wavefront6targetE1EEEvT1_,@function
_ZN7rocprim17ROCPRIM_400000_NS6detail17trampoline_kernelINS0_14default_configENS1_27scan_by_key_config_selectorIxxEEZZNS1_16scan_by_key_implILNS1_25lookback_scan_determinismE0ELb0ES3_N6thrust23THRUST_200600_302600_NS6detail15normal_iteratorINS9_10device_ptrIxEEEENS9_18transform_iteratorINS9_6negateIxEESE_NS9_11use_defaultESI_EESE_xNS9_4plusIvEENS9_8equal_toIvEExEE10hipError_tPvRmT2_T3_T4_T5_mT6_T7_P12ihipStream_tbENKUlT_T0_E_clISt17integral_constantIbLb0EES14_EEDaSZ_S10_EUlSZ_E_NS1_11comp_targetILNS1_3genE10ELNS1_11target_archE1200ELNS1_3gpuE4ELNS1_3repE0EEENS1_30default_config_static_selectorELNS0_4arch9wavefront6targetE1EEEvT1_: ; @_ZN7rocprim17ROCPRIM_400000_NS6detail17trampoline_kernelINS0_14default_configENS1_27scan_by_key_config_selectorIxxEEZZNS1_16scan_by_key_implILNS1_25lookback_scan_determinismE0ELb0ES3_N6thrust23THRUST_200600_302600_NS6detail15normal_iteratorINS9_10device_ptrIxEEEENS9_18transform_iteratorINS9_6negateIxEESE_NS9_11use_defaultESI_EESE_xNS9_4plusIvEENS9_8equal_toIvEExEE10hipError_tPvRmT2_T3_T4_T5_mT6_T7_P12ihipStream_tbENKUlT_T0_E_clISt17integral_constantIbLb0EES14_EEDaSZ_S10_EUlSZ_E_NS1_11comp_targetILNS1_3genE10ELNS1_11target_archE1200ELNS1_3gpuE4ELNS1_3repE0EEENS1_30default_config_static_selectorELNS0_4arch9wavefront6targetE1EEEvT1_
; %bb.0:
	.section	.rodata,"a",@progbits
	.p2align	6, 0x0
	.amdhsa_kernel _ZN7rocprim17ROCPRIM_400000_NS6detail17trampoline_kernelINS0_14default_configENS1_27scan_by_key_config_selectorIxxEEZZNS1_16scan_by_key_implILNS1_25lookback_scan_determinismE0ELb0ES3_N6thrust23THRUST_200600_302600_NS6detail15normal_iteratorINS9_10device_ptrIxEEEENS9_18transform_iteratorINS9_6negateIxEESE_NS9_11use_defaultESI_EESE_xNS9_4plusIvEENS9_8equal_toIvEExEE10hipError_tPvRmT2_T3_T4_T5_mT6_T7_P12ihipStream_tbENKUlT_T0_E_clISt17integral_constantIbLb0EES14_EEDaSZ_S10_EUlSZ_E_NS1_11comp_targetILNS1_3genE10ELNS1_11target_archE1200ELNS1_3gpuE4ELNS1_3repE0EEENS1_30default_config_static_selectorELNS0_4arch9wavefront6targetE1EEEvT1_
		.amdhsa_group_segment_fixed_size 0
		.amdhsa_private_segment_fixed_size 0
		.amdhsa_kernarg_size 144
		.amdhsa_user_sgpr_count 6
		.amdhsa_user_sgpr_private_segment_buffer 1
		.amdhsa_user_sgpr_dispatch_ptr 0
		.amdhsa_user_sgpr_queue_ptr 0
		.amdhsa_user_sgpr_kernarg_segment_ptr 1
		.amdhsa_user_sgpr_dispatch_id 0
		.amdhsa_user_sgpr_flat_scratch_init 0
		.amdhsa_user_sgpr_kernarg_preload_length 0
		.amdhsa_user_sgpr_kernarg_preload_offset 0
		.amdhsa_user_sgpr_private_segment_size 0
		.amdhsa_uses_dynamic_stack 0
		.amdhsa_system_sgpr_private_segment_wavefront_offset 0
		.amdhsa_system_sgpr_workgroup_id_x 1
		.amdhsa_system_sgpr_workgroup_id_y 0
		.amdhsa_system_sgpr_workgroup_id_z 0
		.amdhsa_system_sgpr_workgroup_info 0
		.amdhsa_system_vgpr_workitem_id 0
		.amdhsa_next_free_vgpr 1
		.amdhsa_next_free_sgpr 0
		.amdhsa_accum_offset 4
		.amdhsa_reserve_vcc 0
		.amdhsa_reserve_flat_scratch 0
		.amdhsa_float_round_mode_32 0
		.amdhsa_float_round_mode_16_64 0
		.amdhsa_float_denorm_mode_32 3
		.amdhsa_float_denorm_mode_16_64 3
		.amdhsa_dx10_clamp 1
		.amdhsa_ieee_mode 1
		.amdhsa_fp16_overflow 0
		.amdhsa_tg_split 0
		.amdhsa_exception_fp_ieee_invalid_op 0
		.amdhsa_exception_fp_denorm_src 0
		.amdhsa_exception_fp_ieee_div_zero 0
		.amdhsa_exception_fp_ieee_overflow 0
		.amdhsa_exception_fp_ieee_underflow 0
		.amdhsa_exception_fp_ieee_inexact 0
		.amdhsa_exception_int_div_zero 0
	.end_amdhsa_kernel
	.section	.text._ZN7rocprim17ROCPRIM_400000_NS6detail17trampoline_kernelINS0_14default_configENS1_27scan_by_key_config_selectorIxxEEZZNS1_16scan_by_key_implILNS1_25lookback_scan_determinismE0ELb0ES3_N6thrust23THRUST_200600_302600_NS6detail15normal_iteratorINS9_10device_ptrIxEEEENS9_18transform_iteratorINS9_6negateIxEESE_NS9_11use_defaultESI_EESE_xNS9_4plusIvEENS9_8equal_toIvEExEE10hipError_tPvRmT2_T3_T4_T5_mT6_T7_P12ihipStream_tbENKUlT_T0_E_clISt17integral_constantIbLb0EES14_EEDaSZ_S10_EUlSZ_E_NS1_11comp_targetILNS1_3genE10ELNS1_11target_archE1200ELNS1_3gpuE4ELNS1_3repE0EEENS1_30default_config_static_selectorELNS0_4arch9wavefront6targetE1EEEvT1_,"axG",@progbits,_ZN7rocprim17ROCPRIM_400000_NS6detail17trampoline_kernelINS0_14default_configENS1_27scan_by_key_config_selectorIxxEEZZNS1_16scan_by_key_implILNS1_25lookback_scan_determinismE0ELb0ES3_N6thrust23THRUST_200600_302600_NS6detail15normal_iteratorINS9_10device_ptrIxEEEENS9_18transform_iteratorINS9_6negateIxEESE_NS9_11use_defaultESI_EESE_xNS9_4plusIvEENS9_8equal_toIvEExEE10hipError_tPvRmT2_T3_T4_T5_mT6_T7_P12ihipStream_tbENKUlT_T0_E_clISt17integral_constantIbLb0EES14_EEDaSZ_S10_EUlSZ_E_NS1_11comp_targetILNS1_3genE10ELNS1_11target_archE1200ELNS1_3gpuE4ELNS1_3repE0EEENS1_30default_config_static_selectorELNS0_4arch9wavefront6targetE1EEEvT1_,comdat
.Lfunc_end899:
	.size	_ZN7rocprim17ROCPRIM_400000_NS6detail17trampoline_kernelINS0_14default_configENS1_27scan_by_key_config_selectorIxxEEZZNS1_16scan_by_key_implILNS1_25lookback_scan_determinismE0ELb0ES3_N6thrust23THRUST_200600_302600_NS6detail15normal_iteratorINS9_10device_ptrIxEEEENS9_18transform_iteratorINS9_6negateIxEESE_NS9_11use_defaultESI_EESE_xNS9_4plusIvEENS9_8equal_toIvEExEE10hipError_tPvRmT2_T3_T4_T5_mT6_T7_P12ihipStream_tbENKUlT_T0_E_clISt17integral_constantIbLb0EES14_EEDaSZ_S10_EUlSZ_E_NS1_11comp_targetILNS1_3genE10ELNS1_11target_archE1200ELNS1_3gpuE4ELNS1_3repE0EEENS1_30default_config_static_selectorELNS0_4arch9wavefront6targetE1EEEvT1_, .Lfunc_end899-_ZN7rocprim17ROCPRIM_400000_NS6detail17trampoline_kernelINS0_14default_configENS1_27scan_by_key_config_selectorIxxEEZZNS1_16scan_by_key_implILNS1_25lookback_scan_determinismE0ELb0ES3_N6thrust23THRUST_200600_302600_NS6detail15normal_iteratorINS9_10device_ptrIxEEEENS9_18transform_iteratorINS9_6negateIxEESE_NS9_11use_defaultESI_EESE_xNS9_4plusIvEENS9_8equal_toIvEExEE10hipError_tPvRmT2_T3_T4_T5_mT6_T7_P12ihipStream_tbENKUlT_T0_E_clISt17integral_constantIbLb0EES14_EEDaSZ_S10_EUlSZ_E_NS1_11comp_targetILNS1_3genE10ELNS1_11target_archE1200ELNS1_3gpuE4ELNS1_3repE0EEENS1_30default_config_static_selectorELNS0_4arch9wavefront6targetE1EEEvT1_
                                        ; -- End function
	.section	.AMDGPU.csdata,"",@progbits
; Kernel info:
; codeLenInByte = 0
; NumSgprs: 4
; NumVgprs: 0
; NumAgprs: 0
; TotalNumVgprs: 0
; ScratchSize: 0
; MemoryBound: 0
; FloatMode: 240
; IeeeMode: 1
; LDSByteSize: 0 bytes/workgroup (compile time only)
; SGPRBlocks: 0
; VGPRBlocks: 0
; NumSGPRsForWavesPerEU: 4
; NumVGPRsForWavesPerEU: 1
; AccumOffset: 4
; Occupancy: 8
; WaveLimiterHint : 0
; COMPUTE_PGM_RSRC2:SCRATCH_EN: 0
; COMPUTE_PGM_RSRC2:USER_SGPR: 6
; COMPUTE_PGM_RSRC2:TRAP_HANDLER: 0
; COMPUTE_PGM_RSRC2:TGID_X_EN: 1
; COMPUTE_PGM_RSRC2:TGID_Y_EN: 0
; COMPUTE_PGM_RSRC2:TGID_Z_EN: 0
; COMPUTE_PGM_RSRC2:TIDIG_COMP_CNT: 0
; COMPUTE_PGM_RSRC3_GFX90A:ACCUM_OFFSET: 0
; COMPUTE_PGM_RSRC3_GFX90A:TG_SPLIT: 0
	.section	.text._ZN7rocprim17ROCPRIM_400000_NS6detail17trampoline_kernelINS0_14default_configENS1_27scan_by_key_config_selectorIxxEEZZNS1_16scan_by_key_implILNS1_25lookback_scan_determinismE0ELb0ES3_N6thrust23THRUST_200600_302600_NS6detail15normal_iteratorINS9_10device_ptrIxEEEENS9_18transform_iteratorINS9_6negateIxEESE_NS9_11use_defaultESI_EESE_xNS9_4plusIvEENS9_8equal_toIvEExEE10hipError_tPvRmT2_T3_T4_T5_mT6_T7_P12ihipStream_tbENKUlT_T0_E_clISt17integral_constantIbLb0EES14_EEDaSZ_S10_EUlSZ_E_NS1_11comp_targetILNS1_3genE9ELNS1_11target_archE1100ELNS1_3gpuE3ELNS1_3repE0EEENS1_30default_config_static_selectorELNS0_4arch9wavefront6targetE1EEEvT1_,"axG",@progbits,_ZN7rocprim17ROCPRIM_400000_NS6detail17trampoline_kernelINS0_14default_configENS1_27scan_by_key_config_selectorIxxEEZZNS1_16scan_by_key_implILNS1_25lookback_scan_determinismE0ELb0ES3_N6thrust23THRUST_200600_302600_NS6detail15normal_iteratorINS9_10device_ptrIxEEEENS9_18transform_iteratorINS9_6negateIxEESE_NS9_11use_defaultESI_EESE_xNS9_4plusIvEENS9_8equal_toIvEExEE10hipError_tPvRmT2_T3_T4_T5_mT6_T7_P12ihipStream_tbENKUlT_T0_E_clISt17integral_constantIbLb0EES14_EEDaSZ_S10_EUlSZ_E_NS1_11comp_targetILNS1_3genE9ELNS1_11target_archE1100ELNS1_3gpuE3ELNS1_3repE0EEENS1_30default_config_static_selectorELNS0_4arch9wavefront6targetE1EEEvT1_,comdat
	.protected	_ZN7rocprim17ROCPRIM_400000_NS6detail17trampoline_kernelINS0_14default_configENS1_27scan_by_key_config_selectorIxxEEZZNS1_16scan_by_key_implILNS1_25lookback_scan_determinismE0ELb0ES3_N6thrust23THRUST_200600_302600_NS6detail15normal_iteratorINS9_10device_ptrIxEEEENS9_18transform_iteratorINS9_6negateIxEESE_NS9_11use_defaultESI_EESE_xNS9_4plusIvEENS9_8equal_toIvEExEE10hipError_tPvRmT2_T3_T4_T5_mT6_T7_P12ihipStream_tbENKUlT_T0_E_clISt17integral_constantIbLb0EES14_EEDaSZ_S10_EUlSZ_E_NS1_11comp_targetILNS1_3genE9ELNS1_11target_archE1100ELNS1_3gpuE3ELNS1_3repE0EEENS1_30default_config_static_selectorELNS0_4arch9wavefront6targetE1EEEvT1_ ; -- Begin function _ZN7rocprim17ROCPRIM_400000_NS6detail17trampoline_kernelINS0_14default_configENS1_27scan_by_key_config_selectorIxxEEZZNS1_16scan_by_key_implILNS1_25lookback_scan_determinismE0ELb0ES3_N6thrust23THRUST_200600_302600_NS6detail15normal_iteratorINS9_10device_ptrIxEEEENS9_18transform_iteratorINS9_6negateIxEESE_NS9_11use_defaultESI_EESE_xNS9_4plusIvEENS9_8equal_toIvEExEE10hipError_tPvRmT2_T3_T4_T5_mT6_T7_P12ihipStream_tbENKUlT_T0_E_clISt17integral_constantIbLb0EES14_EEDaSZ_S10_EUlSZ_E_NS1_11comp_targetILNS1_3genE9ELNS1_11target_archE1100ELNS1_3gpuE3ELNS1_3repE0EEENS1_30default_config_static_selectorELNS0_4arch9wavefront6targetE1EEEvT1_
	.globl	_ZN7rocprim17ROCPRIM_400000_NS6detail17trampoline_kernelINS0_14default_configENS1_27scan_by_key_config_selectorIxxEEZZNS1_16scan_by_key_implILNS1_25lookback_scan_determinismE0ELb0ES3_N6thrust23THRUST_200600_302600_NS6detail15normal_iteratorINS9_10device_ptrIxEEEENS9_18transform_iteratorINS9_6negateIxEESE_NS9_11use_defaultESI_EESE_xNS9_4plusIvEENS9_8equal_toIvEExEE10hipError_tPvRmT2_T3_T4_T5_mT6_T7_P12ihipStream_tbENKUlT_T0_E_clISt17integral_constantIbLb0EES14_EEDaSZ_S10_EUlSZ_E_NS1_11comp_targetILNS1_3genE9ELNS1_11target_archE1100ELNS1_3gpuE3ELNS1_3repE0EEENS1_30default_config_static_selectorELNS0_4arch9wavefront6targetE1EEEvT1_
	.p2align	8
	.type	_ZN7rocprim17ROCPRIM_400000_NS6detail17trampoline_kernelINS0_14default_configENS1_27scan_by_key_config_selectorIxxEEZZNS1_16scan_by_key_implILNS1_25lookback_scan_determinismE0ELb0ES3_N6thrust23THRUST_200600_302600_NS6detail15normal_iteratorINS9_10device_ptrIxEEEENS9_18transform_iteratorINS9_6negateIxEESE_NS9_11use_defaultESI_EESE_xNS9_4plusIvEENS9_8equal_toIvEExEE10hipError_tPvRmT2_T3_T4_T5_mT6_T7_P12ihipStream_tbENKUlT_T0_E_clISt17integral_constantIbLb0EES14_EEDaSZ_S10_EUlSZ_E_NS1_11comp_targetILNS1_3genE9ELNS1_11target_archE1100ELNS1_3gpuE3ELNS1_3repE0EEENS1_30default_config_static_selectorELNS0_4arch9wavefront6targetE1EEEvT1_,@function
_ZN7rocprim17ROCPRIM_400000_NS6detail17trampoline_kernelINS0_14default_configENS1_27scan_by_key_config_selectorIxxEEZZNS1_16scan_by_key_implILNS1_25lookback_scan_determinismE0ELb0ES3_N6thrust23THRUST_200600_302600_NS6detail15normal_iteratorINS9_10device_ptrIxEEEENS9_18transform_iteratorINS9_6negateIxEESE_NS9_11use_defaultESI_EESE_xNS9_4plusIvEENS9_8equal_toIvEExEE10hipError_tPvRmT2_T3_T4_T5_mT6_T7_P12ihipStream_tbENKUlT_T0_E_clISt17integral_constantIbLb0EES14_EEDaSZ_S10_EUlSZ_E_NS1_11comp_targetILNS1_3genE9ELNS1_11target_archE1100ELNS1_3gpuE3ELNS1_3repE0EEENS1_30default_config_static_selectorELNS0_4arch9wavefront6targetE1EEEvT1_: ; @_ZN7rocprim17ROCPRIM_400000_NS6detail17trampoline_kernelINS0_14default_configENS1_27scan_by_key_config_selectorIxxEEZZNS1_16scan_by_key_implILNS1_25lookback_scan_determinismE0ELb0ES3_N6thrust23THRUST_200600_302600_NS6detail15normal_iteratorINS9_10device_ptrIxEEEENS9_18transform_iteratorINS9_6negateIxEESE_NS9_11use_defaultESI_EESE_xNS9_4plusIvEENS9_8equal_toIvEExEE10hipError_tPvRmT2_T3_T4_T5_mT6_T7_P12ihipStream_tbENKUlT_T0_E_clISt17integral_constantIbLb0EES14_EEDaSZ_S10_EUlSZ_E_NS1_11comp_targetILNS1_3genE9ELNS1_11target_archE1100ELNS1_3gpuE3ELNS1_3repE0EEENS1_30default_config_static_selectorELNS0_4arch9wavefront6targetE1EEEvT1_
; %bb.0:
	.section	.rodata,"a",@progbits
	.p2align	6, 0x0
	.amdhsa_kernel _ZN7rocprim17ROCPRIM_400000_NS6detail17trampoline_kernelINS0_14default_configENS1_27scan_by_key_config_selectorIxxEEZZNS1_16scan_by_key_implILNS1_25lookback_scan_determinismE0ELb0ES3_N6thrust23THRUST_200600_302600_NS6detail15normal_iteratorINS9_10device_ptrIxEEEENS9_18transform_iteratorINS9_6negateIxEESE_NS9_11use_defaultESI_EESE_xNS9_4plusIvEENS9_8equal_toIvEExEE10hipError_tPvRmT2_T3_T4_T5_mT6_T7_P12ihipStream_tbENKUlT_T0_E_clISt17integral_constantIbLb0EES14_EEDaSZ_S10_EUlSZ_E_NS1_11comp_targetILNS1_3genE9ELNS1_11target_archE1100ELNS1_3gpuE3ELNS1_3repE0EEENS1_30default_config_static_selectorELNS0_4arch9wavefront6targetE1EEEvT1_
		.amdhsa_group_segment_fixed_size 0
		.amdhsa_private_segment_fixed_size 0
		.amdhsa_kernarg_size 144
		.amdhsa_user_sgpr_count 6
		.amdhsa_user_sgpr_private_segment_buffer 1
		.amdhsa_user_sgpr_dispatch_ptr 0
		.amdhsa_user_sgpr_queue_ptr 0
		.amdhsa_user_sgpr_kernarg_segment_ptr 1
		.amdhsa_user_sgpr_dispatch_id 0
		.amdhsa_user_sgpr_flat_scratch_init 0
		.amdhsa_user_sgpr_kernarg_preload_length 0
		.amdhsa_user_sgpr_kernarg_preload_offset 0
		.amdhsa_user_sgpr_private_segment_size 0
		.amdhsa_uses_dynamic_stack 0
		.amdhsa_system_sgpr_private_segment_wavefront_offset 0
		.amdhsa_system_sgpr_workgroup_id_x 1
		.amdhsa_system_sgpr_workgroup_id_y 0
		.amdhsa_system_sgpr_workgroup_id_z 0
		.amdhsa_system_sgpr_workgroup_info 0
		.amdhsa_system_vgpr_workitem_id 0
		.amdhsa_next_free_vgpr 1
		.amdhsa_next_free_sgpr 0
		.amdhsa_accum_offset 4
		.amdhsa_reserve_vcc 0
		.amdhsa_reserve_flat_scratch 0
		.amdhsa_float_round_mode_32 0
		.amdhsa_float_round_mode_16_64 0
		.amdhsa_float_denorm_mode_32 3
		.amdhsa_float_denorm_mode_16_64 3
		.amdhsa_dx10_clamp 1
		.amdhsa_ieee_mode 1
		.amdhsa_fp16_overflow 0
		.amdhsa_tg_split 0
		.amdhsa_exception_fp_ieee_invalid_op 0
		.amdhsa_exception_fp_denorm_src 0
		.amdhsa_exception_fp_ieee_div_zero 0
		.amdhsa_exception_fp_ieee_overflow 0
		.amdhsa_exception_fp_ieee_underflow 0
		.amdhsa_exception_fp_ieee_inexact 0
		.amdhsa_exception_int_div_zero 0
	.end_amdhsa_kernel
	.section	.text._ZN7rocprim17ROCPRIM_400000_NS6detail17trampoline_kernelINS0_14default_configENS1_27scan_by_key_config_selectorIxxEEZZNS1_16scan_by_key_implILNS1_25lookback_scan_determinismE0ELb0ES3_N6thrust23THRUST_200600_302600_NS6detail15normal_iteratorINS9_10device_ptrIxEEEENS9_18transform_iteratorINS9_6negateIxEESE_NS9_11use_defaultESI_EESE_xNS9_4plusIvEENS9_8equal_toIvEExEE10hipError_tPvRmT2_T3_T4_T5_mT6_T7_P12ihipStream_tbENKUlT_T0_E_clISt17integral_constantIbLb0EES14_EEDaSZ_S10_EUlSZ_E_NS1_11comp_targetILNS1_3genE9ELNS1_11target_archE1100ELNS1_3gpuE3ELNS1_3repE0EEENS1_30default_config_static_selectorELNS0_4arch9wavefront6targetE1EEEvT1_,"axG",@progbits,_ZN7rocprim17ROCPRIM_400000_NS6detail17trampoline_kernelINS0_14default_configENS1_27scan_by_key_config_selectorIxxEEZZNS1_16scan_by_key_implILNS1_25lookback_scan_determinismE0ELb0ES3_N6thrust23THRUST_200600_302600_NS6detail15normal_iteratorINS9_10device_ptrIxEEEENS9_18transform_iteratorINS9_6negateIxEESE_NS9_11use_defaultESI_EESE_xNS9_4plusIvEENS9_8equal_toIvEExEE10hipError_tPvRmT2_T3_T4_T5_mT6_T7_P12ihipStream_tbENKUlT_T0_E_clISt17integral_constantIbLb0EES14_EEDaSZ_S10_EUlSZ_E_NS1_11comp_targetILNS1_3genE9ELNS1_11target_archE1100ELNS1_3gpuE3ELNS1_3repE0EEENS1_30default_config_static_selectorELNS0_4arch9wavefront6targetE1EEEvT1_,comdat
.Lfunc_end900:
	.size	_ZN7rocprim17ROCPRIM_400000_NS6detail17trampoline_kernelINS0_14default_configENS1_27scan_by_key_config_selectorIxxEEZZNS1_16scan_by_key_implILNS1_25lookback_scan_determinismE0ELb0ES3_N6thrust23THRUST_200600_302600_NS6detail15normal_iteratorINS9_10device_ptrIxEEEENS9_18transform_iteratorINS9_6negateIxEESE_NS9_11use_defaultESI_EESE_xNS9_4plusIvEENS9_8equal_toIvEExEE10hipError_tPvRmT2_T3_T4_T5_mT6_T7_P12ihipStream_tbENKUlT_T0_E_clISt17integral_constantIbLb0EES14_EEDaSZ_S10_EUlSZ_E_NS1_11comp_targetILNS1_3genE9ELNS1_11target_archE1100ELNS1_3gpuE3ELNS1_3repE0EEENS1_30default_config_static_selectorELNS0_4arch9wavefront6targetE1EEEvT1_, .Lfunc_end900-_ZN7rocprim17ROCPRIM_400000_NS6detail17trampoline_kernelINS0_14default_configENS1_27scan_by_key_config_selectorIxxEEZZNS1_16scan_by_key_implILNS1_25lookback_scan_determinismE0ELb0ES3_N6thrust23THRUST_200600_302600_NS6detail15normal_iteratorINS9_10device_ptrIxEEEENS9_18transform_iteratorINS9_6negateIxEESE_NS9_11use_defaultESI_EESE_xNS9_4plusIvEENS9_8equal_toIvEExEE10hipError_tPvRmT2_T3_T4_T5_mT6_T7_P12ihipStream_tbENKUlT_T0_E_clISt17integral_constantIbLb0EES14_EEDaSZ_S10_EUlSZ_E_NS1_11comp_targetILNS1_3genE9ELNS1_11target_archE1100ELNS1_3gpuE3ELNS1_3repE0EEENS1_30default_config_static_selectorELNS0_4arch9wavefront6targetE1EEEvT1_
                                        ; -- End function
	.section	.AMDGPU.csdata,"",@progbits
; Kernel info:
; codeLenInByte = 0
; NumSgprs: 4
; NumVgprs: 0
; NumAgprs: 0
; TotalNumVgprs: 0
; ScratchSize: 0
; MemoryBound: 0
; FloatMode: 240
; IeeeMode: 1
; LDSByteSize: 0 bytes/workgroup (compile time only)
; SGPRBlocks: 0
; VGPRBlocks: 0
; NumSGPRsForWavesPerEU: 4
; NumVGPRsForWavesPerEU: 1
; AccumOffset: 4
; Occupancy: 8
; WaveLimiterHint : 0
; COMPUTE_PGM_RSRC2:SCRATCH_EN: 0
; COMPUTE_PGM_RSRC2:USER_SGPR: 6
; COMPUTE_PGM_RSRC2:TRAP_HANDLER: 0
; COMPUTE_PGM_RSRC2:TGID_X_EN: 1
; COMPUTE_PGM_RSRC2:TGID_Y_EN: 0
; COMPUTE_PGM_RSRC2:TGID_Z_EN: 0
; COMPUTE_PGM_RSRC2:TIDIG_COMP_CNT: 0
; COMPUTE_PGM_RSRC3_GFX90A:ACCUM_OFFSET: 0
; COMPUTE_PGM_RSRC3_GFX90A:TG_SPLIT: 0
	.section	.text._ZN7rocprim17ROCPRIM_400000_NS6detail17trampoline_kernelINS0_14default_configENS1_27scan_by_key_config_selectorIxxEEZZNS1_16scan_by_key_implILNS1_25lookback_scan_determinismE0ELb0ES3_N6thrust23THRUST_200600_302600_NS6detail15normal_iteratorINS9_10device_ptrIxEEEENS9_18transform_iteratorINS9_6negateIxEESE_NS9_11use_defaultESI_EESE_xNS9_4plusIvEENS9_8equal_toIvEExEE10hipError_tPvRmT2_T3_T4_T5_mT6_T7_P12ihipStream_tbENKUlT_T0_E_clISt17integral_constantIbLb0EES14_EEDaSZ_S10_EUlSZ_E_NS1_11comp_targetILNS1_3genE8ELNS1_11target_archE1030ELNS1_3gpuE2ELNS1_3repE0EEENS1_30default_config_static_selectorELNS0_4arch9wavefront6targetE1EEEvT1_,"axG",@progbits,_ZN7rocprim17ROCPRIM_400000_NS6detail17trampoline_kernelINS0_14default_configENS1_27scan_by_key_config_selectorIxxEEZZNS1_16scan_by_key_implILNS1_25lookback_scan_determinismE0ELb0ES3_N6thrust23THRUST_200600_302600_NS6detail15normal_iteratorINS9_10device_ptrIxEEEENS9_18transform_iteratorINS9_6negateIxEESE_NS9_11use_defaultESI_EESE_xNS9_4plusIvEENS9_8equal_toIvEExEE10hipError_tPvRmT2_T3_T4_T5_mT6_T7_P12ihipStream_tbENKUlT_T0_E_clISt17integral_constantIbLb0EES14_EEDaSZ_S10_EUlSZ_E_NS1_11comp_targetILNS1_3genE8ELNS1_11target_archE1030ELNS1_3gpuE2ELNS1_3repE0EEENS1_30default_config_static_selectorELNS0_4arch9wavefront6targetE1EEEvT1_,comdat
	.protected	_ZN7rocprim17ROCPRIM_400000_NS6detail17trampoline_kernelINS0_14default_configENS1_27scan_by_key_config_selectorIxxEEZZNS1_16scan_by_key_implILNS1_25lookback_scan_determinismE0ELb0ES3_N6thrust23THRUST_200600_302600_NS6detail15normal_iteratorINS9_10device_ptrIxEEEENS9_18transform_iteratorINS9_6negateIxEESE_NS9_11use_defaultESI_EESE_xNS9_4plusIvEENS9_8equal_toIvEExEE10hipError_tPvRmT2_T3_T4_T5_mT6_T7_P12ihipStream_tbENKUlT_T0_E_clISt17integral_constantIbLb0EES14_EEDaSZ_S10_EUlSZ_E_NS1_11comp_targetILNS1_3genE8ELNS1_11target_archE1030ELNS1_3gpuE2ELNS1_3repE0EEENS1_30default_config_static_selectorELNS0_4arch9wavefront6targetE1EEEvT1_ ; -- Begin function _ZN7rocprim17ROCPRIM_400000_NS6detail17trampoline_kernelINS0_14default_configENS1_27scan_by_key_config_selectorIxxEEZZNS1_16scan_by_key_implILNS1_25lookback_scan_determinismE0ELb0ES3_N6thrust23THRUST_200600_302600_NS6detail15normal_iteratorINS9_10device_ptrIxEEEENS9_18transform_iteratorINS9_6negateIxEESE_NS9_11use_defaultESI_EESE_xNS9_4plusIvEENS9_8equal_toIvEExEE10hipError_tPvRmT2_T3_T4_T5_mT6_T7_P12ihipStream_tbENKUlT_T0_E_clISt17integral_constantIbLb0EES14_EEDaSZ_S10_EUlSZ_E_NS1_11comp_targetILNS1_3genE8ELNS1_11target_archE1030ELNS1_3gpuE2ELNS1_3repE0EEENS1_30default_config_static_selectorELNS0_4arch9wavefront6targetE1EEEvT1_
	.globl	_ZN7rocprim17ROCPRIM_400000_NS6detail17trampoline_kernelINS0_14default_configENS1_27scan_by_key_config_selectorIxxEEZZNS1_16scan_by_key_implILNS1_25lookback_scan_determinismE0ELb0ES3_N6thrust23THRUST_200600_302600_NS6detail15normal_iteratorINS9_10device_ptrIxEEEENS9_18transform_iteratorINS9_6negateIxEESE_NS9_11use_defaultESI_EESE_xNS9_4plusIvEENS9_8equal_toIvEExEE10hipError_tPvRmT2_T3_T4_T5_mT6_T7_P12ihipStream_tbENKUlT_T0_E_clISt17integral_constantIbLb0EES14_EEDaSZ_S10_EUlSZ_E_NS1_11comp_targetILNS1_3genE8ELNS1_11target_archE1030ELNS1_3gpuE2ELNS1_3repE0EEENS1_30default_config_static_selectorELNS0_4arch9wavefront6targetE1EEEvT1_
	.p2align	8
	.type	_ZN7rocprim17ROCPRIM_400000_NS6detail17trampoline_kernelINS0_14default_configENS1_27scan_by_key_config_selectorIxxEEZZNS1_16scan_by_key_implILNS1_25lookback_scan_determinismE0ELb0ES3_N6thrust23THRUST_200600_302600_NS6detail15normal_iteratorINS9_10device_ptrIxEEEENS9_18transform_iteratorINS9_6negateIxEESE_NS9_11use_defaultESI_EESE_xNS9_4plusIvEENS9_8equal_toIvEExEE10hipError_tPvRmT2_T3_T4_T5_mT6_T7_P12ihipStream_tbENKUlT_T0_E_clISt17integral_constantIbLb0EES14_EEDaSZ_S10_EUlSZ_E_NS1_11comp_targetILNS1_3genE8ELNS1_11target_archE1030ELNS1_3gpuE2ELNS1_3repE0EEENS1_30default_config_static_selectorELNS0_4arch9wavefront6targetE1EEEvT1_,@function
_ZN7rocprim17ROCPRIM_400000_NS6detail17trampoline_kernelINS0_14default_configENS1_27scan_by_key_config_selectorIxxEEZZNS1_16scan_by_key_implILNS1_25lookback_scan_determinismE0ELb0ES3_N6thrust23THRUST_200600_302600_NS6detail15normal_iteratorINS9_10device_ptrIxEEEENS9_18transform_iteratorINS9_6negateIxEESE_NS9_11use_defaultESI_EESE_xNS9_4plusIvEENS9_8equal_toIvEExEE10hipError_tPvRmT2_T3_T4_T5_mT6_T7_P12ihipStream_tbENKUlT_T0_E_clISt17integral_constantIbLb0EES14_EEDaSZ_S10_EUlSZ_E_NS1_11comp_targetILNS1_3genE8ELNS1_11target_archE1030ELNS1_3gpuE2ELNS1_3repE0EEENS1_30default_config_static_selectorELNS0_4arch9wavefront6targetE1EEEvT1_: ; @_ZN7rocprim17ROCPRIM_400000_NS6detail17trampoline_kernelINS0_14default_configENS1_27scan_by_key_config_selectorIxxEEZZNS1_16scan_by_key_implILNS1_25lookback_scan_determinismE0ELb0ES3_N6thrust23THRUST_200600_302600_NS6detail15normal_iteratorINS9_10device_ptrIxEEEENS9_18transform_iteratorINS9_6negateIxEESE_NS9_11use_defaultESI_EESE_xNS9_4plusIvEENS9_8equal_toIvEExEE10hipError_tPvRmT2_T3_T4_T5_mT6_T7_P12ihipStream_tbENKUlT_T0_E_clISt17integral_constantIbLb0EES14_EEDaSZ_S10_EUlSZ_E_NS1_11comp_targetILNS1_3genE8ELNS1_11target_archE1030ELNS1_3gpuE2ELNS1_3repE0EEENS1_30default_config_static_selectorELNS0_4arch9wavefront6targetE1EEEvT1_
; %bb.0:
	.section	.rodata,"a",@progbits
	.p2align	6, 0x0
	.amdhsa_kernel _ZN7rocprim17ROCPRIM_400000_NS6detail17trampoline_kernelINS0_14default_configENS1_27scan_by_key_config_selectorIxxEEZZNS1_16scan_by_key_implILNS1_25lookback_scan_determinismE0ELb0ES3_N6thrust23THRUST_200600_302600_NS6detail15normal_iteratorINS9_10device_ptrIxEEEENS9_18transform_iteratorINS9_6negateIxEESE_NS9_11use_defaultESI_EESE_xNS9_4plusIvEENS9_8equal_toIvEExEE10hipError_tPvRmT2_T3_T4_T5_mT6_T7_P12ihipStream_tbENKUlT_T0_E_clISt17integral_constantIbLb0EES14_EEDaSZ_S10_EUlSZ_E_NS1_11comp_targetILNS1_3genE8ELNS1_11target_archE1030ELNS1_3gpuE2ELNS1_3repE0EEENS1_30default_config_static_selectorELNS0_4arch9wavefront6targetE1EEEvT1_
		.amdhsa_group_segment_fixed_size 0
		.amdhsa_private_segment_fixed_size 0
		.amdhsa_kernarg_size 144
		.amdhsa_user_sgpr_count 6
		.amdhsa_user_sgpr_private_segment_buffer 1
		.amdhsa_user_sgpr_dispatch_ptr 0
		.amdhsa_user_sgpr_queue_ptr 0
		.amdhsa_user_sgpr_kernarg_segment_ptr 1
		.amdhsa_user_sgpr_dispatch_id 0
		.amdhsa_user_sgpr_flat_scratch_init 0
		.amdhsa_user_sgpr_kernarg_preload_length 0
		.amdhsa_user_sgpr_kernarg_preload_offset 0
		.amdhsa_user_sgpr_private_segment_size 0
		.amdhsa_uses_dynamic_stack 0
		.amdhsa_system_sgpr_private_segment_wavefront_offset 0
		.amdhsa_system_sgpr_workgroup_id_x 1
		.amdhsa_system_sgpr_workgroup_id_y 0
		.amdhsa_system_sgpr_workgroup_id_z 0
		.amdhsa_system_sgpr_workgroup_info 0
		.amdhsa_system_vgpr_workitem_id 0
		.amdhsa_next_free_vgpr 1
		.amdhsa_next_free_sgpr 0
		.amdhsa_accum_offset 4
		.amdhsa_reserve_vcc 0
		.amdhsa_reserve_flat_scratch 0
		.amdhsa_float_round_mode_32 0
		.amdhsa_float_round_mode_16_64 0
		.amdhsa_float_denorm_mode_32 3
		.amdhsa_float_denorm_mode_16_64 3
		.amdhsa_dx10_clamp 1
		.amdhsa_ieee_mode 1
		.amdhsa_fp16_overflow 0
		.amdhsa_tg_split 0
		.amdhsa_exception_fp_ieee_invalid_op 0
		.amdhsa_exception_fp_denorm_src 0
		.amdhsa_exception_fp_ieee_div_zero 0
		.amdhsa_exception_fp_ieee_overflow 0
		.amdhsa_exception_fp_ieee_underflow 0
		.amdhsa_exception_fp_ieee_inexact 0
		.amdhsa_exception_int_div_zero 0
	.end_amdhsa_kernel
	.section	.text._ZN7rocprim17ROCPRIM_400000_NS6detail17trampoline_kernelINS0_14default_configENS1_27scan_by_key_config_selectorIxxEEZZNS1_16scan_by_key_implILNS1_25lookback_scan_determinismE0ELb0ES3_N6thrust23THRUST_200600_302600_NS6detail15normal_iteratorINS9_10device_ptrIxEEEENS9_18transform_iteratorINS9_6negateIxEESE_NS9_11use_defaultESI_EESE_xNS9_4plusIvEENS9_8equal_toIvEExEE10hipError_tPvRmT2_T3_T4_T5_mT6_T7_P12ihipStream_tbENKUlT_T0_E_clISt17integral_constantIbLb0EES14_EEDaSZ_S10_EUlSZ_E_NS1_11comp_targetILNS1_3genE8ELNS1_11target_archE1030ELNS1_3gpuE2ELNS1_3repE0EEENS1_30default_config_static_selectorELNS0_4arch9wavefront6targetE1EEEvT1_,"axG",@progbits,_ZN7rocprim17ROCPRIM_400000_NS6detail17trampoline_kernelINS0_14default_configENS1_27scan_by_key_config_selectorIxxEEZZNS1_16scan_by_key_implILNS1_25lookback_scan_determinismE0ELb0ES3_N6thrust23THRUST_200600_302600_NS6detail15normal_iteratorINS9_10device_ptrIxEEEENS9_18transform_iteratorINS9_6negateIxEESE_NS9_11use_defaultESI_EESE_xNS9_4plusIvEENS9_8equal_toIvEExEE10hipError_tPvRmT2_T3_T4_T5_mT6_T7_P12ihipStream_tbENKUlT_T0_E_clISt17integral_constantIbLb0EES14_EEDaSZ_S10_EUlSZ_E_NS1_11comp_targetILNS1_3genE8ELNS1_11target_archE1030ELNS1_3gpuE2ELNS1_3repE0EEENS1_30default_config_static_selectorELNS0_4arch9wavefront6targetE1EEEvT1_,comdat
.Lfunc_end901:
	.size	_ZN7rocprim17ROCPRIM_400000_NS6detail17trampoline_kernelINS0_14default_configENS1_27scan_by_key_config_selectorIxxEEZZNS1_16scan_by_key_implILNS1_25lookback_scan_determinismE0ELb0ES3_N6thrust23THRUST_200600_302600_NS6detail15normal_iteratorINS9_10device_ptrIxEEEENS9_18transform_iteratorINS9_6negateIxEESE_NS9_11use_defaultESI_EESE_xNS9_4plusIvEENS9_8equal_toIvEExEE10hipError_tPvRmT2_T3_T4_T5_mT6_T7_P12ihipStream_tbENKUlT_T0_E_clISt17integral_constantIbLb0EES14_EEDaSZ_S10_EUlSZ_E_NS1_11comp_targetILNS1_3genE8ELNS1_11target_archE1030ELNS1_3gpuE2ELNS1_3repE0EEENS1_30default_config_static_selectorELNS0_4arch9wavefront6targetE1EEEvT1_, .Lfunc_end901-_ZN7rocprim17ROCPRIM_400000_NS6detail17trampoline_kernelINS0_14default_configENS1_27scan_by_key_config_selectorIxxEEZZNS1_16scan_by_key_implILNS1_25lookback_scan_determinismE0ELb0ES3_N6thrust23THRUST_200600_302600_NS6detail15normal_iteratorINS9_10device_ptrIxEEEENS9_18transform_iteratorINS9_6negateIxEESE_NS9_11use_defaultESI_EESE_xNS9_4plusIvEENS9_8equal_toIvEExEE10hipError_tPvRmT2_T3_T4_T5_mT6_T7_P12ihipStream_tbENKUlT_T0_E_clISt17integral_constantIbLb0EES14_EEDaSZ_S10_EUlSZ_E_NS1_11comp_targetILNS1_3genE8ELNS1_11target_archE1030ELNS1_3gpuE2ELNS1_3repE0EEENS1_30default_config_static_selectorELNS0_4arch9wavefront6targetE1EEEvT1_
                                        ; -- End function
	.section	.AMDGPU.csdata,"",@progbits
; Kernel info:
; codeLenInByte = 0
; NumSgprs: 4
; NumVgprs: 0
; NumAgprs: 0
; TotalNumVgprs: 0
; ScratchSize: 0
; MemoryBound: 0
; FloatMode: 240
; IeeeMode: 1
; LDSByteSize: 0 bytes/workgroup (compile time only)
; SGPRBlocks: 0
; VGPRBlocks: 0
; NumSGPRsForWavesPerEU: 4
; NumVGPRsForWavesPerEU: 1
; AccumOffset: 4
; Occupancy: 8
; WaveLimiterHint : 0
; COMPUTE_PGM_RSRC2:SCRATCH_EN: 0
; COMPUTE_PGM_RSRC2:USER_SGPR: 6
; COMPUTE_PGM_RSRC2:TRAP_HANDLER: 0
; COMPUTE_PGM_RSRC2:TGID_X_EN: 1
; COMPUTE_PGM_RSRC2:TGID_Y_EN: 0
; COMPUTE_PGM_RSRC2:TGID_Z_EN: 0
; COMPUTE_PGM_RSRC2:TIDIG_COMP_CNT: 0
; COMPUTE_PGM_RSRC3_GFX90A:ACCUM_OFFSET: 0
; COMPUTE_PGM_RSRC3_GFX90A:TG_SPLIT: 0
	.section	.text._ZN7rocprim17ROCPRIM_400000_NS6detail17trampoline_kernelINS0_14default_configENS1_27scan_by_key_config_selectorIxxEEZZNS1_16scan_by_key_implILNS1_25lookback_scan_determinismE0ELb0ES3_N6thrust23THRUST_200600_302600_NS6detail15normal_iteratorINS9_10device_ptrIxEEEENS9_18transform_iteratorINS9_6negateIxEESE_NS9_11use_defaultESI_EESE_xNS9_4plusIvEENS9_8equal_toIvEExEE10hipError_tPvRmT2_T3_T4_T5_mT6_T7_P12ihipStream_tbENKUlT_T0_E_clISt17integral_constantIbLb1EES14_EEDaSZ_S10_EUlSZ_E_NS1_11comp_targetILNS1_3genE0ELNS1_11target_archE4294967295ELNS1_3gpuE0ELNS1_3repE0EEENS1_30default_config_static_selectorELNS0_4arch9wavefront6targetE1EEEvT1_,"axG",@progbits,_ZN7rocprim17ROCPRIM_400000_NS6detail17trampoline_kernelINS0_14default_configENS1_27scan_by_key_config_selectorIxxEEZZNS1_16scan_by_key_implILNS1_25lookback_scan_determinismE0ELb0ES3_N6thrust23THRUST_200600_302600_NS6detail15normal_iteratorINS9_10device_ptrIxEEEENS9_18transform_iteratorINS9_6negateIxEESE_NS9_11use_defaultESI_EESE_xNS9_4plusIvEENS9_8equal_toIvEExEE10hipError_tPvRmT2_T3_T4_T5_mT6_T7_P12ihipStream_tbENKUlT_T0_E_clISt17integral_constantIbLb1EES14_EEDaSZ_S10_EUlSZ_E_NS1_11comp_targetILNS1_3genE0ELNS1_11target_archE4294967295ELNS1_3gpuE0ELNS1_3repE0EEENS1_30default_config_static_selectorELNS0_4arch9wavefront6targetE1EEEvT1_,comdat
	.protected	_ZN7rocprim17ROCPRIM_400000_NS6detail17trampoline_kernelINS0_14default_configENS1_27scan_by_key_config_selectorIxxEEZZNS1_16scan_by_key_implILNS1_25lookback_scan_determinismE0ELb0ES3_N6thrust23THRUST_200600_302600_NS6detail15normal_iteratorINS9_10device_ptrIxEEEENS9_18transform_iteratorINS9_6negateIxEESE_NS9_11use_defaultESI_EESE_xNS9_4plusIvEENS9_8equal_toIvEExEE10hipError_tPvRmT2_T3_T4_T5_mT6_T7_P12ihipStream_tbENKUlT_T0_E_clISt17integral_constantIbLb1EES14_EEDaSZ_S10_EUlSZ_E_NS1_11comp_targetILNS1_3genE0ELNS1_11target_archE4294967295ELNS1_3gpuE0ELNS1_3repE0EEENS1_30default_config_static_selectorELNS0_4arch9wavefront6targetE1EEEvT1_ ; -- Begin function _ZN7rocprim17ROCPRIM_400000_NS6detail17trampoline_kernelINS0_14default_configENS1_27scan_by_key_config_selectorIxxEEZZNS1_16scan_by_key_implILNS1_25lookback_scan_determinismE0ELb0ES3_N6thrust23THRUST_200600_302600_NS6detail15normal_iteratorINS9_10device_ptrIxEEEENS9_18transform_iteratorINS9_6negateIxEESE_NS9_11use_defaultESI_EESE_xNS9_4plusIvEENS9_8equal_toIvEExEE10hipError_tPvRmT2_T3_T4_T5_mT6_T7_P12ihipStream_tbENKUlT_T0_E_clISt17integral_constantIbLb1EES14_EEDaSZ_S10_EUlSZ_E_NS1_11comp_targetILNS1_3genE0ELNS1_11target_archE4294967295ELNS1_3gpuE0ELNS1_3repE0EEENS1_30default_config_static_selectorELNS0_4arch9wavefront6targetE1EEEvT1_
	.globl	_ZN7rocprim17ROCPRIM_400000_NS6detail17trampoline_kernelINS0_14default_configENS1_27scan_by_key_config_selectorIxxEEZZNS1_16scan_by_key_implILNS1_25lookback_scan_determinismE0ELb0ES3_N6thrust23THRUST_200600_302600_NS6detail15normal_iteratorINS9_10device_ptrIxEEEENS9_18transform_iteratorINS9_6negateIxEESE_NS9_11use_defaultESI_EESE_xNS9_4plusIvEENS9_8equal_toIvEExEE10hipError_tPvRmT2_T3_T4_T5_mT6_T7_P12ihipStream_tbENKUlT_T0_E_clISt17integral_constantIbLb1EES14_EEDaSZ_S10_EUlSZ_E_NS1_11comp_targetILNS1_3genE0ELNS1_11target_archE4294967295ELNS1_3gpuE0ELNS1_3repE0EEENS1_30default_config_static_selectorELNS0_4arch9wavefront6targetE1EEEvT1_
	.p2align	8
	.type	_ZN7rocprim17ROCPRIM_400000_NS6detail17trampoline_kernelINS0_14default_configENS1_27scan_by_key_config_selectorIxxEEZZNS1_16scan_by_key_implILNS1_25lookback_scan_determinismE0ELb0ES3_N6thrust23THRUST_200600_302600_NS6detail15normal_iteratorINS9_10device_ptrIxEEEENS9_18transform_iteratorINS9_6negateIxEESE_NS9_11use_defaultESI_EESE_xNS9_4plusIvEENS9_8equal_toIvEExEE10hipError_tPvRmT2_T3_T4_T5_mT6_T7_P12ihipStream_tbENKUlT_T0_E_clISt17integral_constantIbLb1EES14_EEDaSZ_S10_EUlSZ_E_NS1_11comp_targetILNS1_3genE0ELNS1_11target_archE4294967295ELNS1_3gpuE0ELNS1_3repE0EEENS1_30default_config_static_selectorELNS0_4arch9wavefront6targetE1EEEvT1_,@function
_ZN7rocprim17ROCPRIM_400000_NS6detail17trampoline_kernelINS0_14default_configENS1_27scan_by_key_config_selectorIxxEEZZNS1_16scan_by_key_implILNS1_25lookback_scan_determinismE0ELb0ES3_N6thrust23THRUST_200600_302600_NS6detail15normal_iteratorINS9_10device_ptrIxEEEENS9_18transform_iteratorINS9_6negateIxEESE_NS9_11use_defaultESI_EESE_xNS9_4plusIvEENS9_8equal_toIvEExEE10hipError_tPvRmT2_T3_T4_T5_mT6_T7_P12ihipStream_tbENKUlT_T0_E_clISt17integral_constantIbLb1EES14_EEDaSZ_S10_EUlSZ_E_NS1_11comp_targetILNS1_3genE0ELNS1_11target_archE4294967295ELNS1_3gpuE0ELNS1_3repE0EEENS1_30default_config_static_selectorELNS0_4arch9wavefront6targetE1EEEvT1_: ; @_ZN7rocprim17ROCPRIM_400000_NS6detail17trampoline_kernelINS0_14default_configENS1_27scan_by_key_config_selectorIxxEEZZNS1_16scan_by_key_implILNS1_25lookback_scan_determinismE0ELb0ES3_N6thrust23THRUST_200600_302600_NS6detail15normal_iteratorINS9_10device_ptrIxEEEENS9_18transform_iteratorINS9_6negateIxEESE_NS9_11use_defaultESI_EESE_xNS9_4plusIvEENS9_8equal_toIvEExEE10hipError_tPvRmT2_T3_T4_T5_mT6_T7_P12ihipStream_tbENKUlT_T0_E_clISt17integral_constantIbLb1EES14_EEDaSZ_S10_EUlSZ_E_NS1_11comp_targetILNS1_3genE0ELNS1_11target_archE4294967295ELNS1_3gpuE0ELNS1_3repE0EEENS1_30default_config_static_selectorELNS0_4arch9wavefront6targetE1EEEvT1_
; %bb.0:
	.section	.rodata,"a",@progbits
	.p2align	6, 0x0
	.amdhsa_kernel _ZN7rocprim17ROCPRIM_400000_NS6detail17trampoline_kernelINS0_14default_configENS1_27scan_by_key_config_selectorIxxEEZZNS1_16scan_by_key_implILNS1_25lookback_scan_determinismE0ELb0ES3_N6thrust23THRUST_200600_302600_NS6detail15normal_iteratorINS9_10device_ptrIxEEEENS9_18transform_iteratorINS9_6negateIxEESE_NS9_11use_defaultESI_EESE_xNS9_4plusIvEENS9_8equal_toIvEExEE10hipError_tPvRmT2_T3_T4_T5_mT6_T7_P12ihipStream_tbENKUlT_T0_E_clISt17integral_constantIbLb1EES14_EEDaSZ_S10_EUlSZ_E_NS1_11comp_targetILNS1_3genE0ELNS1_11target_archE4294967295ELNS1_3gpuE0ELNS1_3repE0EEENS1_30default_config_static_selectorELNS0_4arch9wavefront6targetE1EEEvT1_
		.amdhsa_group_segment_fixed_size 0
		.amdhsa_private_segment_fixed_size 0
		.amdhsa_kernarg_size 144
		.amdhsa_user_sgpr_count 6
		.amdhsa_user_sgpr_private_segment_buffer 1
		.amdhsa_user_sgpr_dispatch_ptr 0
		.amdhsa_user_sgpr_queue_ptr 0
		.amdhsa_user_sgpr_kernarg_segment_ptr 1
		.amdhsa_user_sgpr_dispatch_id 0
		.amdhsa_user_sgpr_flat_scratch_init 0
		.amdhsa_user_sgpr_kernarg_preload_length 0
		.amdhsa_user_sgpr_kernarg_preload_offset 0
		.amdhsa_user_sgpr_private_segment_size 0
		.amdhsa_uses_dynamic_stack 0
		.amdhsa_system_sgpr_private_segment_wavefront_offset 0
		.amdhsa_system_sgpr_workgroup_id_x 1
		.amdhsa_system_sgpr_workgroup_id_y 0
		.amdhsa_system_sgpr_workgroup_id_z 0
		.amdhsa_system_sgpr_workgroup_info 0
		.amdhsa_system_vgpr_workitem_id 0
		.amdhsa_next_free_vgpr 1
		.amdhsa_next_free_sgpr 0
		.amdhsa_accum_offset 4
		.amdhsa_reserve_vcc 0
		.amdhsa_reserve_flat_scratch 0
		.amdhsa_float_round_mode_32 0
		.amdhsa_float_round_mode_16_64 0
		.amdhsa_float_denorm_mode_32 3
		.amdhsa_float_denorm_mode_16_64 3
		.amdhsa_dx10_clamp 1
		.amdhsa_ieee_mode 1
		.amdhsa_fp16_overflow 0
		.amdhsa_tg_split 0
		.amdhsa_exception_fp_ieee_invalid_op 0
		.amdhsa_exception_fp_denorm_src 0
		.amdhsa_exception_fp_ieee_div_zero 0
		.amdhsa_exception_fp_ieee_overflow 0
		.amdhsa_exception_fp_ieee_underflow 0
		.amdhsa_exception_fp_ieee_inexact 0
		.amdhsa_exception_int_div_zero 0
	.end_amdhsa_kernel
	.section	.text._ZN7rocprim17ROCPRIM_400000_NS6detail17trampoline_kernelINS0_14default_configENS1_27scan_by_key_config_selectorIxxEEZZNS1_16scan_by_key_implILNS1_25lookback_scan_determinismE0ELb0ES3_N6thrust23THRUST_200600_302600_NS6detail15normal_iteratorINS9_10device_ptrIxEEEENS9_18transform_iteratorINS9_6negateIxEESE_NS9_11use_defaultESI_EESE_xNS9_4plusIvEENS9_8equal_toIvEExEE10hipError_tPvRmT2_T3_T4_T5_mT6_T7_P12ihipStream_tbENKUlT_T0_E_clISt17integral_constantIbLb1EES14_EEDaSZ_S10_EUlSZ_E_NS1_11comp_targetILNS1_3genE0ELNS1_11target_archE4294967295ELNS1_3gpuE0ELNS1_3repE0EEENS1_30default_config_static_selectorELNS0_4arch9wavefront6targetE1EEEvT1_,"axG",@progbits,_ZN7rocprim17ROCPRIM_400000_NS6detail17trampoline_kernelINS0_14default_configENS1_27scan_by_key_config_selectorIxxEEZZNS1_16scan_by_key_implILNS1_25lookback_scan_determinismE0ELb0ES3_N6thrust23THRUST_200600_302600_NS6detail15normal_iteratorINS9_10device_ptrIxEEEENS9_18transform_iteratorINS9_6negateIxEESE_NS9_11use_defaultESI_EESE_xNS9_4plusIvEENS9_8equal_toIvEExEE10hipError_tPvRmT2_T3_T4_T5_mT6_T7_P12ihipStream_tbENKUlT_T0_E_clISt17integral_constantIbLb1EES14_EEDaSZ_S10_EUlSZ_E_NS1_11comp_targetILNS1_3genE0ELNS1_11target_archE4294967295ELNS1_3gpuE0ELNS1_3repE0EEENS1_30default_config_static_selectorELNS0_4arch9wavefront6targetE1EEEvT1_,comdat
.Lfunc_end902:
	.size	_ZN7rocprim17ROCPRIM_400000_NS6detail17trampoline_kernelINS0_14default_configENS1_27scan_by_key_config_selectorIxxEEZZNS1_16scan_by_key_implILNS1_25lookback_scan_determinismE0ELb0ES3_N6thrust23THRUST_200600_302600_NS6detail15normal_iteratorINS9_10device_ptrIxEEEENS9_18transform_iteratorINS9_6negateIxEESE_NS9_11use_defaultESI_EESE_xNS9_4plusIvEENS9_8equal_toIvEExEE10hipError_tPvRmT2_T3_T4_T5_mT6_T7_P12ihipStream_tbENKUlT_T0_E_clISt17integral_constantIbLb1EES14_EEDaSZ_S10_EUlSZ_E_NS1_11comp_targetILNS1_3genE0ELNS1_11target_archE4294967295ELNS1_3gpuE0ELNS1_3repE0EEENS1_30default_config_static_selectorELNS0_4arch9wavefront6targetE1EEEvT1_, .Lfunc_end902-_ZN7rocprim17ROCPRIM_400000_NS6detail17trampoline_kernelINS0_14default_configENS1_27scan_by_key_config_selectorIxxEEZZNS1_16scan_by_key_implILNS1_25lookback_scan_determinismE0ELb0ES3_N6thrust23THRUST_200600_302600_NS6detail15normal_iteratorINS9_10device_ptrIxEEEENS9_18transform_iteratorINS9_6negateIxEESE_NS9_11use_defaultESI_EESE_xNS9_4plusIvEENS9_8equal_toIvEExEE10hipError_tPvRmT2_T3_T4_T5_mT6_T7_P12ihipStream_tbENKUlT_T0_E_clISt17integral_constantIbLb1EES14_EEDaSZ_S10_EUlSZ_E_NS1_11comp_targetILNS1_3genE0ELNS1_11target_archE4294967295ELNS1_3gpuE0ELNS1_3repE0EEENS1_30default_config_static_selectorELNS0_4arch9wavefront6targetE1EEEvT1_
                                        ; -- End function
	.section	.AMDGPU.csdata,"",@progbits
; Kernel info:
; codeLenInByte = 0
; NumSgprs: 4
; NumVgprs: 0
; NumAgprs: 0
; TotalNumVgprs: 0
; ScratchSize: 0
; MemoryBound: 0
; FloatMode: 240
; IeeeMode: 1
; LDSByteSize: 0 bytes/workgroup (compile time only)
; SGPRBlocks: 0
; VGPRBlocks: 0
; NumSGPRsForWavesPerEU: 4
; NumVGPRsForWavesPerEU: 1
; AccumOffset: 4
; Occupancy: 8
; WaveLimiterHint : 0
; COMPUTE_PGM_RSRC2:SCRATCH_EN: 0
; COMPUTE_PGM_RSRC2:USER_SGPR: 6
; COMPUTE_PGM_RSRC2:TRAP_HANDLER: 0
; COMPUTE_PGM_RSRC2:TGID_X_EN: 1
; COMPUTE_PGM_RSRC2:TGID_Y_EN: 0
; COMPUTE_PGM_RSRC2:TGID_Z_EN: 0
; COMPUTE_PGM_RSRC2:TIDIG_COMP_CNT: 0
; COMPUTE_PGM_RSRC3_GFX90A:ACCUM_OFFSET: 0
; COMPUTE_PGM_RSRC3_GFX90A:TG_SPLIT: 0
	.section	.text._ZN7rocprim17ROCPRIM_400000_NS6detail17trampoline_kernelINS0_14default_configENS1_27scan_by_key_config_selectorIxxEEZZNS1_16scan_by_key_implILNS1_25lookback_scan_determinismE0ELb0ES3_N6thrust23THRUST_200600_302600_NS6detail15normal_iteratorINS9_10device_ptrIxEEEENS9_18transform_iteratorINS9_6negateIxEESE_NS9_11use_defaultESI_EESE_xNS9_4plusIvEENS9_8equal_toIvEExEE10hipError_tPvRmT2_T3_T4_T5_mT6_T7_P12ihipStream_tbENKUlT_T0_E_clISt17integral_constantIbLb1EES14_EEDaSZ_S10_EUlSZ_E_NS1_11comp_targetILNS1_3genE10ELNS1_11target_archE1201ELNS1_3gpuE5ELNS1_3repE0EEENS1_30default_config_static_selectorELNS0_4arch9wavefront6targetE1EEEvT1_,"axG",@progbits,_ZN7rocprim17ROCPRIM_400000_NS6detail17trampoline_kernelINS0_14default_configENS1_27scan_by_key_config_selectorIxxEEZZNS1_16scan_by_key_implILNS1_25lookback_scan_determinismE0ELb0ES3_N6thrust23THRUST_200600_302600_NS6detail15normal_iteratorINS9_10device_ptrIxEEEENS9_18transform_iteratorINS9_6negateIxEESE_NS9_11use_defaultESI_EESE_xNS9_4plusIvEENS9_8equal_toIvEExEE10hipError_tPvRmT2_T3_T4_T5_mT6_T7_P12ihipStream_tbENKUlT_T0_E_clISt17integral_constantIbLb1EES14_EEDaSZ_S10_EUlSZ_E_NS1_11comp_targetILNS1_3genE10ELNS1_11target_archE1201ELNS1_3gpuE5ELNS1_3repE0EEENS1_30default_config_static_selectorELNS0_4arch9wavefront6targetE1EEEvT1_,comdat
	.protected	_ZN7rocprim17ROCPRIM_400000_NS6detail17trampoline_kernelINS0_14default_configENS1_27scan_by_key_config_selectorIxxEEZZNS1_16scan_by_key_implILNS1_25lookback_scan_determinismE0ELb0ES3_N6thrust23THRUST_200600_302600_NS6detail15normal_iteratorINS9_10device_ptrIxEEEENS9_18transform_iteratorINS9_6negateIxEESE_NS9_11use_defaultESI_EESE_xNS9_4plusIvEENS9_8equal_toIvEExEE10hipError_tPvRmT2_T3_T4_T5_mT6_T7_P12ihipStream_tbENKUlT_T0_E_clISt17integral_constantIbLb1EES14_EEDaSZ_S10_EUlSZ_E_NS1_11comp_targetILNS1_3genE10ELNS1_11target_archE1201ELNS1_3gpuE5ELNS1_3repE0EEENS1_30default_config_static_selectorELNS0_4arch9wavefront6targetE1EEEvT1_ ; -- Begin function _ZN7rocprim17ROCPRIM_400000_NS6detail17trampoline_kernelINS0_14default_configENS1_27scan_by_key_config_selectorIxxEEZZNS1_16scan_by_key_implILNS1_25lookback_scan_determinismE0ELb0ES3_N6thrust23THRUST_200600_302600_NS6detail15normal_iteratorINS9_10device_ptrIxEEEENS9_18transform_iteratorINS9_6negateIxEESE_NS9_11use_defaultESI_EESE_xNS9_4plusIvEENS9_8equal_toIvEExEE10hipError_tPvRmT2_T3_T4_T5_mT6_T7_P12ihipStream_tbENKUlT_T0_E_clISt17integral_constantIbLb1EES14_EEDaSZ_S10_EUlSZ_E_NS1_11comp_targetILNS1_3genE10ELNS1_11target_archE1201ELNS1_3gpuE5ELNS1_3repE0EEENS1_30default_config_static_selectorELNS0_4arch9wavefront6targetE1EEEvT1_
	.globl	_ZN7rocprim17ROCPRIM_400000_NS6detail17trampoline_kernelINS0_14default_configENS1_27scan_by_key_config_selectorIxxEEZZNS1_16scan_by_key_implILNS1_25lookback_scan_determinismE0ELb0ES3_N6thrust23THRUST_200600_302600_NS6detail15normal_iteratorINS9_10device_ptrIxEEEENS9_18transform_iteratorINS9_6negateIxEESE_NS9_11use_defaultESI_EESE_xNS9_4plusIvEENS9_8equal_toIvEExEE10hipError_tPvRmT2_T3_T4_T5_mT6_T7_P12ihipStream_tbENKUlT_T0_E_clISt17integral_constantIbLb1EES14_EEDaSZ_S10_EUlSZ_E_NS1_11comp_targetILNS1_3genE10ELNS1_11target_archE1201ELNS1_3gpuE5ELNS1_3repE0EEENS1_30default_config_static_selectorELNS0_4arch9wavefront6targetE1EEEvT1_
	.p2align	8
	.type	_ZN7rocprim17ROCPRIM_400000_NS6detail17trampoline_kernelINS0_14default_configENS1_27scan_by_key_config_selectorIxxEEZZNS1_16scan_by_key_implILNS1_25lookback_scan_determinismE0ELb0ES3_N6thrust23THRUST_200600_302600_NS6detail15normal_iteratorINS9_10device_ptrIxEEEENS9_18transform_iteratorINS9_6negateIxEESE_NS9_11use_defaultESI_EESE_xNS9_4plusIvEENS9_8equal_toIvEExEE10hipError_tPvRmT2_T3_T4_T5_mT6_T7_P12ihipStream_tbENKUlT_T0_E_clISt17integral_constantIbLb1EES14_EEDaSZ_S10_EUlSZ_E_NS1_11comp_targetILNS1_3genE10ELNS1_11target_archE1201ELNS1_3gpuE5ELNS1_3repE0EEENS1_30default_config_static_selectorELNS0_4arch9wavefront6targetE1EEEvT1_,@function
_ZN7rocprim17ROCPRIM_400000_NS6detail17trampoline_kernelINS0_14default_configENS1_27scan_by_key_config_selectorIxxEEZZNS1_16scan_by_key_implILNS1_25lookback_scan_determinismE0ELb0ES3_N6thrust23THRUST_200600_302600_NS6detail15normal_iteratorINS9_10device_ptrIxEEEENS9_18transform_iteratorINS9_6negateIxEESE_NS9_11use_defaultESI_EESE_xNS9_4plusIvEENS9_8equal_toIvEExEE10hipError_tPvRmT2_T3_T4_T5_mT6_T7_P12ihipStream_tbENKUlT_T0_E_clISt17integral_constantIbLb1EES14_EEDaSZ_S10_EUlSZ_E_NS1_11comp_targetILNS1_3genE10ELNS1_11target_archE1201ELNS1_3gpuE5ELNS1_3repE0EEENS1_30default_config_static_selectorELNS0_4arch9wavefront6targetE1EEEvT1_: ; @_ZN7rocprim17ROCPRIM_400000_NS6detail17trampoline_kernelINS0_14default_configENS1_27scan_by_key_config_selectorIxxEEZZNS1_16scan_by_key_implILNS1_25lookback_scan_determinismE0ELb0ES3_N6thrust23THRUST_200600_302600_NS6detail15normal_iteratorINS9_10device_ptrIxEEEENS9_18transform_iteratorINS9_6negateIxEESE_NS9_11use_defaultESI_EESE_xNS9_4plusIvEENS9_8equal_toIvEExEE10hipError_tPvRmT2_T3_T4_T5_mT6_T7_P12ihipStream_tbENKUlT_T0_E_clISt17integral_constantIbLb1EES14_EEDaSZ_S10_EUlSZ_E_NS1_11comp_targetILNS1_3genE10ELNS1_11target_archE1201ELNS1_3gpuE5ELNS1_3repE0EEENS1_30default_config_static_selectorELNS0_4arch9wavefront6targetE1EEEvT1_
; %bb.0:
	.section	.rodata,"a",@progbits
	.p2align	6, 0x0
	.amdhsa_kernel _ZN7rocprim17ROCPRIM_400000_NS6detail17trampoline_kernelINS0_14default_configENS1_27scan_by_key_config_selectorIxxEEZZNS1_16scan_by_key_implILNS1_25lookback_scan_determinismE0ELb0ES3_N6thrust23THRUST_200600_302600_NS6detail15normal_iteratorINS9_10device_ptrIxEEEENS9_18transform_iteratorINS9_6negateIxEESE_NS9_11use_defaultESI_EESE_xNS9_4plusIvEENS9_8equal_toIvEExEE10hipError_tPvRmT2_T3_T4_T5_mT6_T7_P12ihipStream_tbENKUlT_T0_E_clISt17integral_constantIbLb1EES14_EEDaSZ_S10_EUlSZ_E_NS1_11comp_targetILNS1_3genE10ELNS1_11target_archE1201ELNS1_3gpuE5ELNS1_3repE0EEENS1_30default_config_static_selectorELNS0_4arch9wavefront6targetE1EEEvT1_
		.amdhsa_group_segment_fixed_size 0
		.amdhsa_private_segment_fixed_size 0
		.amdhsa_kernarg_size 144
		.amdhsa_user_sgpr_count 6
		.amdhsa_user_sgpr_private_segment_buffer 1
		.amdhsa_user_sgpr_dispatch_ptr 0
		.amdhsa_user_sgpr_queue_ptr 0
		.amdhsa_user_sgpr_kernarg_segment_ptr 1
		.amdhsa_user_sgpr_dispatch_id 0
		.amdhsa_user_sgpr_flat_scratch_init 0
		.amdhsa_user_sgpr_kernarg_preload_length 0
		.amdhsa_user_sgpr_kernarg_preload_offset 0
		.amdhsa_user_sgpr_private_segment_size 0
		.amdhsa_uses_dynamic_stack 0
		.amdhsa_system_sgpr_private_segment_wavefront_offset 0
		.amdhsa_system_sgpr_workgroup_id_x 1
		.amdhsa_system_sgpr_workgroup_id_y 0
		.amdhsa_system_sgpr_workgroup_id_z 0
		.amdhsa_system_sgpr_workgroup_info 0
		.amdhsa_system_vgpr_workitem_id 0
		.amdhsa_next_free_vgpr 1
		.amdhsa_next_free_sgpr 0
		.amdhsa_accum_offset 4
		.amdhsa_reserve_vcc 0
		.amdhsa_reserve_flat_scratch 0
		.amdhsa_float_round_mode_32 0
		.amdhsa_float_round_mode_16_64 0
		.amdhsa_float_denorm_mode_32 3
		.amdhsa_float_denorm_mode_16_64 3
		.amdhsa_dx10_clamp 1
		.amdhsa_ieee_mode 1
		.amdhsa_fp16_overflow 0
		.amdhsa_tg_split 0
		.amdhsa_exception_fp_ieee_invalid_op 0
		.amdhsa_exception_fp_denorm_src 0
		.amdhsa_exception_fp_ieee_div_zero 0
		.amdhsa_exception_fp_ieee_overflow 0
		.amdhsa_exception_fp_ieee_underflow 0
		.amdhsa_exception_fp_ieee_inexact 0
		.amdhsa_exception_int_div_zero 0
	.end_amdhsa_kernel
	.section	.text._ZN7rocprim17ROCPRIM_400000_NS6detail17trampoline_kernelINS0_14default_configENS1_27scan_by_key_config_selectorIxxEEZZNS1_16scan_by_key_implILNS1_25lookback_scan_determinismE0ELb0ES3_N6thrust23THRUST_200600_302600_NS6detail15normal_iteratorINS9_10device_ptrIxEEEENS9_18transform_iteratorINS9_6negateIxEESE_NS9_11use_defaultESI_EESE_xNS9_4plusIvEENS9_8equal_toIvEExEE10hipError_tPvRmT2_T3_T4_T5_mT6_T7_P12ihipStream_tbENKUlT_T0_E_clISt17integral_constantIbLb1EES14_EEDaSZ_S10_EUlSZ_E_NS1_11comp_targetILNS1_3genE10ELNS1_11target_archE1201ELNS1_3gpuE5ELNS1_3repE0EEENS1_30default_config_static_selectorELNS0_4arch9wavefront6targetE1EEEvT1_,"axG",@progbits,_ZN7rocprim17ROCPRIM_400000_NS6detail17trampoline_kernelINS0_14default_configENS1_27scan_by_key_config_selectorIxxEEZZNS1_16scan_by_key_implILNS1_25lookback_scan_determinismE0ELb0ES3_N6thrust23THRUST_200600_302600_NS6detail15normal_iteratorINS9_10device_ptrIxEEEENS9_18transform_iteratorINS9_6negateIxEESE_NS9_11use_defaultESI_EESE_xNS9_4plusIvEENS9_8equal_toIvEExEE10hipError_tPvRmT2_T3_T4_T5_mT6_T7_P12ihipStream_tbENKUlT_T0_E_clISt17integral_constantIbLb1EES14_EEDaSZ_S10_EUlSZ_E_NS1_11comp_targetILNS1_3genE10ELNS1_11target_archE1201ELNS1_3gpuE5ELNS1_3repE0EEENS1_30default_config_static_selectorELNS0_4arch9wavefront6targetE1EEEvT1_,comdat
.Lfunc_end903:
	.size	_ZN7rocprim17ROCPRIM_400000_NS6detail17trampoline_kernelINS0_14default_configENS1_27scan_by_key_config_selectorIxxEEZZNS1_16scan_by_key_implILNS1_25lookback_scan_determinismE0ELb0ES3_N6thrust23THRUST_200600_302600_NS6detail15normal_iteratorINS9_10device_ptrIxEEEENS9_18transform_iteratorINS9_6negateIxEESE_NS9_11use_defaultESI_EESE_xNS9_4plusIvEENS9_8equal_toIvEExEE10hipError_tPvRmT2_T3_T4_T5_mT6_T7_P12ihipStream_tbENKUlT_T0_E_clISt17integral_constantIbLb1EES14_EEDaSZ_S10_EUlSZ_E_NS1_11comp_targetILNS1_3genE10ELNS1_11target_archE1201ELNS1_3gpuE5ELNS1_3repE0EEENS1_30default_config_static_selectorELNS0_4arch9wavefront6targetE1EEEvT1_, .Lfunc_end903-_ZN7rocprim17ROCPRIM_400000_NS6detail17trampoline_kernelINS0_14default_configENS1_27scan_by_key_config_selectorIxxEEZZNS1_16scan_by_key_implILNS1_25lookback_scan_determinismE0ELb0ES3_N6thrust23THRUST_200600_302600_NS6detail15normal_iteratorINS9_10device_ptrIxEEEENS9_18transform_iteratorINS9_6negateIxEESE_NS9_11use_defaultESI_EESE_xNS9_4plusIvEENS9_8equal_toIvEExEE10hipError_tPvRmT2_T3_T4_T5_mT6_T7_P12ihipStream_tbENKUlT_T0_E_clISt17integral_constantIbLb1EES14_EEDaSZ_S10_EUlSZ_E_NS1_11comp_targetILNS1_3genE10ELNS1_11target_archE1201ELNS1_3gpuE5ELNS1_3repE0EEENS1_30default_config_static_selectorELNS0_4arch9wavefront6targetE1EEEvT1_
                                        ; -- End function
	.section	.AMDGPU.csdata,"",@progbits
; Kernel info:
; codeLenInByte = 0
; NumSgprs: 4
; NumVgprs: 0
; NumAgprs: 0
; TotalNumVgprs: 0
; ScratchSize: 0
; MemoryBound: 0
; FloatMode: 240
; IeeeMode: 1
; LDSByteSize: 0 bytes/workgroup (compile time only)
; SGPRBlocks: 0
; VGPRBlocks: 0
; NumSGPRsForWavesPerEU: 4
; NumVGPRsForWavesPerEU: 1
; AccumOffset: 4
; Occupancy: 8
; WaveLimiterHint : 0
; COMPUTE_PGM_RSRC2:SCRATCH_EN: 0
; COMPUTE_PGM_RSRC2:USER_SGPR: 6
; COMPUTE_PGM_RSRC2:TRAP_HANDLER: 0
; COMPUTE_PGM_RSRC2:TGID_X_EN: 1
; COMPUTE_PGM_RSRC2:TGID_Y_EN: 0
; COMPUTE_PGM_RSRC2:TGID_Z_EN: 0
; COMPUTE_PGM_RSRC2:TIDIG_COMP_CNT: 0
; COMPUTE_PGM_RSRC3_GFX90A:ACCUM_OFFSET: 0
; COMPUTE_PGM_RSRC3_GFX90A:TG_SPLIT: 0
	.section	.text._ZN7rocprim17ROCPRIM_400000_NS6detail17trampoline_kernelINS0_14default_configENS1_27scan_by_key_config_selectorIxxEEZZNS1_16scan_by_key_implILNS1_25lookback_scan_determinismE0ELb0ES3_N6thrust23THRUST_200600_302600_NS6detail15normal_iteratorINS9_10device_ptrIxEEEENS9_18transform_iteratorINS9_6negateIxEESE_NS9_11use_defaultESI_EESE_xNS9_4plusIvEENS9_8equal_toIvEExEE10hipError_tPvRmT2_T3_T4_T5_mT6_T7_P12ihipStream_tbENKUlT_T0_E_clISt17integral_constantIbLb1EES14_EEDaSZ_S10_EUlSZ_E_NS1_11comp_targetILNS1_3genE5ELNS1_11target_archE942ELNS1_3gpuE9ELNS1_3repE0EEENS1_30default_config_static_selectorELNS0_4arch9wavefront6targetE1EEEvT1_,"axG",@progbits,_ZN7rocprim17ROCPRIM_400000_NS6detail17trampoline_kernelINS0_14default_configENS1_27scan_by_key_config_selectorIxxEEZZNS1_16scan_by_key_implILNS1_25lookback_scan_determinismE0ELb0ES3_N6thrust23THRUST_200600_302600_NS6detail15normal_iteratorINS9_10device_ptrIxEEEENS9_18transform_iteratorINS9_6negateIxEESE_NS9_11use_defaultESI_EESE_xNS9_4plusIvEENS9_8equal_toIvEExEE10hipError_tPvRmT2_T3_T4_T5_mT6_T7_P12ihipStream_tbENKUlT_T0_E_clISt17integral_constantIbLb1EES14_EEDaSZ_S10_EUlSZ_E_NS1_11comp_targetILNS1_3genE5ELNS1_11target_archE942ELNS1_3gpuE9ELNS1_3repE0EEENS1_30default_config_static_selectorELNS0_4arch9wavefront6targetE1EEEvT1_,comdat
	.protected	_ZN7rocprim17ROCPRIM_400000_NS6detail17trampoline_kernelINS0_14default_configENS1_27scan_by_key_config_selectorIxxEEZZNS1_16scan_by_key_implILNS1_25lookback_scan_determinismE0ELb0ES3_N6thrust23THRUST_200600_302600_NS6detail15normal_iteratorINS9_10device_ptrIxEEEENS9_18transform_iteratorINS9_6negateIxEESE_NS9_11use_defaultESI_EESE_xNS9_4plusIvEENS9_8equal_toIvEExEE10hipError_tPvRmT2_T3_T4_T5_mT6_T7_P12ihipStream_tbENKUlT_T0_E_clISt17integral_constantIbLb1EES14_EEDaSZ_S10_EUlSZ_E_NS1_11comp_targetILNS1_3genE5ELNS1_11target_archE942ELNS1_3gpuE9ELNS1_3repE0EEENS1_30default_config_static_selectorELNS0_4arch9wavefront6targetE1EEEvT1_ ; -- Begin function _ZN7rocprim17ROCPRIM_400000_NS6detail17trampoline_kernelINS0_14default_configENS1_27scan_by_key_config_selectorIxxEEZZNS1_16scan_by_key_implILNS1_25lookback_scan_determinismE0ELb0ES3_N6thrust23THRUST_200600_302600_NS6detail15normal_iteratorINS9_10device_ptrIxEEEENS9_18transform_iteratorINS9_6negateIxEESE_NS9_11use_defaultESI_EESE_xNS9_4plusIvEENS9_8equal_toIvEExEE10hipError_tPvRmT2_T3_T4_T5_mT6_T7_P12ihipStream_tbENKUlT_T0_E_clISt17integral_constantIbLb1EES14_EEDaSZ_S10_EUlSZ_E_NS1_11comp_targetILNS1_3genE5ELNS1_11target_archE942ELNS1_3gpuE9ELNS1_3repE0EEENS1_30default_config_static_selectorELNS0_4arch9wavefront6targetE1EEEvT1_
	.globl	_ZN7rocprim17ROCPRIM_400000_NS6detail17trampoline_kernelINS0_14default_configENS1_27scan_by_key_config_selectorIxxEEZZNS1_16scan_by_key_implILNS1_25lookback_scan_determinismE0ELb0ES3_N6thrust23THRUST_200600_302600_NS6detail15normal_iteratorINS9_10device_ptrIxEEEENS9_18transform_iteratorINS9_6negateIxEESE_NS9_11use_defaultESI_EESE_xNS9_4plusIvEENS9_8equal_toIvEExEE10hipError_tPvRmT2_T3_T4_T5_mT6_T7_P12ihipStream_tbENKUlT_T0_E_clISt17integral_constantIbLb1EES14_EEDaSZ_S10_EUlSZ_E_NS1_11comp_targetILNS1_3genE5ELNS1_11target_archE942ELNS1_3gpuE9ELNS1_3repE0EEENS1_30default_config_static_selectorELNS0_4arch9wavefront6targetE1EEEvT1_
	.p2align	8
	.type	_ZN7rocprim17ROCPRIM_400000_NS6detail17trampoline_kernelINS0_14default_configENS1_27scan_by_key_config_selectorIxxEEZZNS1_16scan_by_key_implILNS1_25lookback_scan_determinismE0ELb0ES3_N6thrust23THRUST_200600_302600_NS6detail15normal_iteratorINS9_10device_ptrIxEEEENS9_18transform_iteratorINS9_6negateIxEESE_NS9_11use_defaultESI_EESE_xNS9_4plusIvEENS9_8equal_toIvEExEE10hipError_tPvRmT2_T3_T4_T5_mT6_T7_P12ihipStream_tbENKUlT_T0_E_clISt17integral_constantIbLb1EES14_EEDaSZ_S10_EUlSZ_E_NS1_11comp_targetILNS1_3genE5ELNS1_11target_archE942ELNS1_3gpuE9ELNS1_3repE0EEENS1_30default_config_static_selectorELNS0_4arch9wavefront6targetE1EEEvT1_,@function
_ZN7rocprim17ROCPRIM_400000_NS6detail17trampoline_kernelINS0_14default_configENS1_27scan_by_key_config_selectorIxxEEZZNS1_16scan_by_key_implILNS1_25lookback_scan_determinismE0ELb0ES3_N6thrust23THRUST_200600_302600_NS6detail15normal_iteratorINS9_10device_ptrIxEEEENS9_18transform_iteratorINS9_6negateIxEESE_NS9_11use_defaultESI_EESE_xNS9_4plusIvEENS9_8equal_toIvEExEE10hipError_tPvRmT2_T3_T4_T5_mT6_T7_P12ihipStream_tbENKUlT_T0_E_clISt17integral_constantIbLb1EES14_EEDaSZ_S10_EUlSZ_E_NS1_11comp_targetILNS1_3genE5ELNS1_11target_archE942ELNS1_3gpuE9ELNS1_3repE0EEENS1_30default_config_static_selectorELNS0_4arch9wavefront6targetE1EEEvT1_: ; @_ZN7rocprim17ROCPRIM_400000_NS6detail17trampoline_kernelINS0_14default_configENS1_27scan_by_key_config_selectorIxxEEZZNS1_16scan_by_key_implILNS1_25lookback_scan_determinismE0ELb0ES3_N6thrust23THRUST_200600_302600_NS6detail15normal_iteratorINS9_10device_ptrIxEEEENS9_18transform_iteratorINS9_6negateIxEESE_NS9_11use_defaultESI_EESE_xNS9_4plusIvEENS9_8equal_toIvEExEE10hipError_tPvRmT2_T3_T4_T5_mT6_T7_P12ihipStream_tbENKUlT_T0_E_clISt17integral_constantIbLb1EES14_EEDaSZ_S10_EUlSZ_E_NS1_11comp_targetILNS1_3genE5ELNS1_11target_archE942ELNS1_3gpuE9ELNS1_3repE0EEENS1_30default_config_static_selectorELNS0_4arch9wavefront6targetE1EEEvT1_
; %bb.0:
	.section	.rodata,"a",@progbits
	.p2align	6, 0x0
	.amdhsa_kernel _ZN7rocprim17ROCPRIM_400000_NS6detail17trampoline_kernelINS0_14default_configENS1_27scan_by_key_config_selectorIxxEEZZNS1_16scan_by_key_implILNS1_25lookback_scan_determinismE0ELb0ES3_N6thrust23THRUST_200600_302600_NS6detail15normal_iteratorINS9_10device_ptrIxEEEENS9_18transform_iteratorINS9_6negateIxEESE_NS9_11use_defaultESI_EESE_xNS9_4plusIvEENS9_8equal_toIvEExEE10hipError_tPvRmT2_T3_T4_T5_mT6_T7_P12ihipStream_tbENKUlT_T0_E_clISt17integral_constantIbLb1EES14_EEDaSZ_S10_EUlSZ_E_NS1_11comp_targetILNS1_3genE5ELNS1_11target_archE942ELNS1_3gpuE9ELNS1_3repE0EEENS1_30default_config_static_selectorELNS0_4arch9wavefront6targetE1EEEvT1_
		.amdhsa_group_segment_fixed_size 0
		.amdhsa_private_segment_fixed_size 0
		.amdhsa_kernarg_size 144
		.amdhsa_user_sgpr_count 6
		.amdhsa_user_sgpr_private_segment_buffer 1
		.amdhsa_user_sgpr_dispatch_ptr 0
		.amdhsa_user_sgpr_queue_ptr 0
		.amdhsa_user_sgpr_kernarg_segment_ptr 1
		.amdhsa_user_sgpr_dispatch_id 0
		.amdhsa_user_sgpr_flat_scratch_init 0
		.amdhsa_user_sgpr_kernarg_preload_length 0
		.amdhsa_user_sgpr_kernarg_preload_offset 0
		.amdhsa_user_sgpr_private_segment_size 0
		.amdhsa_uses_dynamic_stack 0
		.amdhsa_system_sgpr_private_segment_wavefront_offset 0
		.amdhsa_system_sgpr_workgroup_id_x 1
		.amdhsa_system_sgpr_workgroup_id_y 0
		.amdhsa_system_sgpr_workgroup_id_z 0
		.amdhsa_system_sgpr_workgroup_info 0
		.amdhsa_system_vgpr_workitem_id 0
		.amdhsa_next_free_vgpr 1
		.amdhsa_next_free_sgpr 0
		.amdhsa_accum_offset 4
		.amdhsa_reserve_vcc 0
		.amdhsa_reserve_flat_scratch 0
		.amdhsa_float_round_mode_32 0
		.amdhsa_float_round_mode_16_64 0
		.amdhsa_float_denorm_mode_32 3
		.amdhsa_float_denorm_mode_16_64 3
		.amdhsa_dx10_clamp 1
		.amdhsa_ieee_mode 1
		.amdhsa_fp16_overflow 0
		.amdhsa_tg_split 0
		.amdhsa_exception_fp_ieee_invalid_op 0
		.amdhsa_exception_fp_denorm_src 0
		.amdhsa_exception_fp_ieee_div_zero 0
		.amdhsa_exception_fp_ieee_overflow 0
		.amdhsa_exception_fp_ieee_underflow 0
		.amdhsa_exception_fp_ieee_inexact 0
		.amdhsa_exception_int_div_zero 0
	.end_amdhsa_kernel
	.section	.text._ZN7rocprim17ROCPRIM_400000_NS6detail17trampoline_kernelINS0_14default_configENS1_27scan_by_key_config_selectorIxxEEZZNS1_16scan_by_key_implILNS1_25lookback_scan_determinismE0ELb0ES3_N6thrust23THRUST_200600_302600_NS6detail15normal_iteratorINS9_10device_ptrIxEEEENS9_18transform_iteratorINS9_6negateIxEESE_NS9_11use_defaultESI_EESE_xNS9_4plusIvEENS9_8equal_toIvEExEE10hipError_tPvRmT2_T3_T4_T5_mT6_T7_P12ihipStream_tbENKUlT_T0_E_clISt17integral_constantIbLb1EES14_EEDaSZ_S10_EUlSZ_E_NS1_11comp_targetILNS1_3genE5ELNS1_11target_archE942ELNS1_3gpuE9ELNS1_3repE0EEENS1_30default_config_static_selectorELNS0_4arch9wavefront6targetE1EEEvT1_,"axG",@progbits,_ZN7rocprim17ROCPRIM_400000_NS6detail17trampoline_kernelINS0_14default_configENS1_27scan_by_key_config_selectorIxxEEZZNS1_16scan_by_key_implILNS1_25lookback_scan_determinismE0ELb0ES3_N6thrust23THRUST_200600_302600_NS6detail15normal_iteratorINS9_10device_ptrIxEEEENS9_18transform_iteratorINS9_6negateIxEESE_NS9_11use_defaultESI_EESE_xNS9_4plusIvEENS9_8equal_toIvEExEE10hipError_tPvRmT2_T3_T4_T5_mT6_T7_P12ihipStream_tbENKUlT_T0_E_clISt17integral_constantIbLb1EES14_EEDaSZ_S10_EUlSZ_E_NS1_11comp_targetILNS1_3genE5ELNS1_11target_archE942ELNS1_3gpuE9ELNS1_3repE0EEENS1_30default_config_static_selectorELNS0_4arch9wavefront6targetE1EEEvT1_,comdat
.Lfunc_end904:
	.size	_ZN7rocprim17ROCPRIM_400000_NS6detail17trampoline_kernelINS0_14default_configENS1_27scan_by_key_config_selectorIxxEEZZNS1_16scan_by_key_implILNS1_25lookback_scan_determinismE0ELb0ES3_N6thrust23THRUST_200600_302600_NS6detail15normal_iteratorINS9_10device_ptrIxEEEENS9_18transform_iteratorINS9_6negateIxEESE_NS9_11use_defaultESI_EESE_xNS9_4plusIvEENS9_8equal_toIvEExEE10hipError_tPvRmT2_T3_T4_T5_mT6_T7_P12ihipStream_tbENKUlT_T0_E_clISt17integral_constantIbLb1EES14_EEDaSZ_S10_EUlSZ_E_NS1_11comp_targetILNS1_3genE5ELNS1_11target_archE942ELNS1_3gpuE9ELNS1_3repE0EEENS1_30default_config_static_selectorELNS0_4arch9wavefront6targetE1EEEvT1_, .Lfunc_end904-_ZN7rocprim17ROCPRIM_400000_NS6detail17trampoline_kernelINS0_14default_configENS1_27scan_by_key_config_selectorIxxEEZZNS1_16scan_by_key_implILNS1_25lookback_scan_determinismE0ELb0ES3_N6thrust23THRUST_200600_302600_NS6detail15normal_iteratorINS9_10device_ptrIxEEEENS9_18transform_iteratorINS9_6negateIxEESE_NS9_11use_defaultESI_EESE_xNS9_4plusIvEENS9_8equal_toIvEExEE10hipError_tPvRmT2_T3_T4_T5_mT6_T7_P12ihipStream_tbENKUlT_T0_E_clISt17integral_constantIbLb1EES14_EEDaSZ_S10_EUlSZ_E_NS1_11comp_targetILNS1_3genE5ELNS1_11target_archE942ELNS1_3gpuE9ELNS1_3repE0EEENS1_30default_config_static_selectorELNS0_4arch9wavefront6targetE1EEEvT1_
                                        ; -- End function
	.section	.AMDGPU.csdata,"",@progbits
; Kernel info:
; codeLenInByte = 0
; NumSgprs: 4
; NumVgprs: 0
; NumAgprs: 0
; TotalNumVgprs: 0
; ScratchSize: 0
; MemoryBound: 0
; FloatMode: 240
; IeeeMode: 1
; LDSByteSize: 0 bytes/workgroup (compile time only)
; SGPRBlocks: 0
; VGPRBlocks: 0
; NumSGPRsForWavesPerEU: 4
; NumVGPRsForWavesPerEU: 1
; AccumOffset: 4
; Occupancy: 8
; WaveLimiterHint : 0
; COMPUTE_PGM_RSRC2:SCRATCH_EN: 0
; COMPUTE_PGM_RSRC2:USER_SGPR: 6
; COMPUTE_PGM_RSRC2:TRAP_HANDLER: 0
; COMPUTE_PGM_RSRC2:TGID_X_EN: 1
; COMPUTE_PGM_RSRC2:TGID_Y_EN: 0
; COMPUTE_PGM_RSRC2:TGID_Z_EN: 0
; COMPUTE_PGM_RSRC2:TIDIG_COMP_CNT: 0
; COMPUTE_PGM_RSRC3_GFX90A:ACCUM_OFFSET: 0
; COMPUTE_PGM_RSRC3_GFX90A:TG_SPLIT: 0
	.section	.text._ZN7rocprim17ROCPRIM_400000_NS6detail17trampoline_kernelINS0_14default_configENS1_27scan_by_key_config_selectorIxxEEZZNS1_16scan_by_key_implILNS1_25lookback_scan_determinismE0ELb0ES3_N6thrust23THRUST_200600_302600_NS6detail15normal_iteratorINS9_10device_ptrIxEEEENS9_18transform_iteratorINS9_6negateIxEESE_NS9_11use_defaultESI_EESE_xNS9_4plusIvEENS9_8equal_toIvEExEE10hipError_tPvRmT2_T3_T4_T5_mT6_T7_P12ihipStream_tbENKUlT_T0_E_clISt17integral_constantIbLb1EES14_EEDaSZ_S10_EUlSZ_E_NS1_11comp_targetILNS1_3genE4ELNS1_11target_archE910ELNS1_3gpuE8ELNS1_3repE0EEENS1_30default_config_static_selectorELNS0_4arch9wavefront6targetE1EEEvT1_,"axG",@progbits,_ZN7rocprim17ROCPRIM_400000_NS6detail17trampoline_kernelINS0_14default_configENS1_27scan_by_key_config_selectorIxxEEZZNS1_16scan_by_key_implILNS1_25lookback_scan_determinismE0ELb0ES3_N6thrust23THRUST_200600_302600_NS6detail15normal_iteratorINS9_10device_ptrIxEEEENS9_18transform_iteratorINS9_6negateIxEESE_NS9_11use_defaultESI_EESE_xNS9_4plusIvEENS9_8equal_toIvEExEE10hipError_tPvRmT2_T3_T4_T5_mT6_T7_P12ihipStream_tbENKUlT_T0_E_clISt17integral_constantIbLb1EES14_EEDaSZ_S10_EUlSZ_E_NS1_11comp_targetILNS1_3genE4ELNS1_11target_archE910ELNS1_3gpuE8ELNS1_3repE0EEENS1_30default_config_static_selectorELNS0_4arch9wavefront6targetE1EEEvT1_,comdat
	.protected	_ZN7rocprim17ROCPRIM_400000_NS6detail17trampoline_kernelINS0_14default_configENS1_27scan_by_key_config_selectorIxxEEZZNS1_16scan_by_key_implILNS1_25lookback_scan_determinismE0ELb0ES3_N6thrust23THRUST_200600_302600_NS6detail15normal_iteratorINS9_10device_ptrIxEEEENS9_18transform_iteratorINS9_6negateIxEESE_NS9_11use_defaultESI_EESE_xNS9_4plusIvEENS9_8equal_toIvEExEE10hipError_tPvRmT2_T3_T4_T5_mT6_T7_P12ihipStream_tbENKUlT_T0_E_clISt17integral_constantIbLb1EES14_EEDaSZ_S10_EUlSZ_E_NS1_11comp_targetILNS1_3genE4ELNS1_11target_archE910ELNS1_3gpuE8ELNS1_3repE0EEENS1_30default_config_static_selectorELNS0_4arch9wavefront6targetE1EEEvT1_ ; -- Begin function _ZN7rocprim17ROCPRIM_400000_NS6detail17trampoline_kernelINS0_14default_configENS1_27scan_by_key_config_selectorIxxEEZZNS1_16scan_by_key_implILNS1_25lookback_scan_determinismE0ELb0ES3_N6thrust23THRUST_200600_302600_NS6detail15normal_iteratorINS9_10device_ptrIxEEEENS9_18transform_iteratorINS9_6negateIxEESE_NS9_11use_defaultESI_EESE_xNS9_4plusIvEENS9_8equal_toIvEExEE10hipError_tPvRmT2_T3_T4_T5_mT6_T7_P12ihipStream_tbENKUlT_T0_E_clISt17integral_constantIbLb1EES14_EEDaSZ_S10_EUlSZ_E_NS1_11comp_targetILNS1_3genE4ELNS1_11target_archE910ELNS1_3gpuE8ELNS1_3repE0EEENS1_30default_config_static_selectorELNS0_4arch9wavefront6targetE1EEEvT1_
	.globl	_ZN7rocprim17ROCPRIM_400000_NS6detail17trampoline_kernelINS0_14default_configENS1_27scan_by_key_config_selectorIxxEEZZNS1_16scan_by_key_implILNS1_25lookback_scan_determinismE0ELb0ES3_N6thrust23THRUST_200600_302600_NS6detail15normal_iteratorINS9_10device_ptrIxEEEENS9_18transform_iteratorINS9_6negateIxEESE_NS9_11use_defaultESI_EESE_xNS9_4plusIvEENS9_8equal_toIvEExEE10hipError_tPvRmT2_T3_T4_T5_mT6_T7_P12ihipStream_tbENKUlT_T0_E_clISt17integral_constantIbLb1EES14_EEDaSZ_S10_EUlSZ_E_NS1_11comp_targetILNS1_3genE4ELNS1_11target_archE910ELNS1_3gpuE8ELNS1_3repE0EEENS1_30default_config_static_selectorELNS0_4arch9wavefront6targetE1EEEvT1_
	.p2align	8
	.type	_ZN7rocprim17ROCPRIM_400000_NS6detail17trampoline_kernelINS0_14default_configENS1_27scan_by_key_config_selectorIxxEEZZNS1_16scan_by_key_implILNS1_25lookback_scan_determinismE0ELb0ES3_N6thrust23THRUST_200600_302600_NS6detail15normal_iteratorINS9_10device_ptrIxEEEENS9_18transform_iteratorINS9_6negateIxEESE_NS9_11use_defaultESI_EESE_xNS9_4plusIvEENS9_8equal_toIvEExEE10hipError_tPvRmT2_T3_T4_T5_mT6_T7_P12ihipStream_tbENKUlT_T0_E_clISt17integral_constantIbLb1EES14_EEDaSZ_S10_EUlSZ_E_NS1_11comp_targetILNS1_3genE4ELNS1_11target_archE910ELNS1_3gpuE8ELNS1_3repE0EEENS1_30default_config_static_selectorELNS0_4arch9wavefront6targetE1EEEvT1_,@function
_ZN7rocprim17ROCPRIM_400000_NS6detail17trampoline_kernelINS0_14default_configENS1_27scan_by_key_config_selectorIxxEEZZNS1_16scan_by_key_implILNS1_25lookback_scan_determinismE0ELb0ES3_N6thrust23THRUST_200600_302600_NS6detail15normal_iteratorINS9_10device_ptrIxEEEENS9_18transform_iteratorINS9_6negateIxEESE_NS9_11use_defaultESI_EESE_xNS9_4plusIvEENS9_8equal_toIvEExEE10hipError_tPvRmT2_T3_T4_T5_mT6_T7_P12ihipStream_tbENKUlT_T0_E_clISt17integral_constantIbLb1EES14_EEDaSZ_S10_EUlSZ_E_NS1_11comp_targetILNS1_3genE4ELNS1_11target_archE910ELNS1_3gpuE8ELNS1_3repE0EEENS1_30default_config_static_selectorELNS0_4arch9wavefront6targetE1EEEvT1_: ; @_ZN7rocprim17ROCPRIM_400000_NS6detail17trampoline_kernelINS0_14default_configENS1_27scan_by_key_config_selectorIxxEEZZNS1_16scan_by_key_implILNS1_25lookback_scan_determinismE0ELb0ES3_N6thrust23THRUST_200600_302600_NS6detail15normal_iteratorINS9_10device_ptrIxEEEENS9_18transform_iteratorINS9_6negateIxEESE_NS9_11use_defaultESI_EESE_xNS9_4plusIvEENS9_8equal_toIvEExEE10hipError_tPvRmT2_T3_T4_T5_mT6_T7_P12ihipStream_tbENKUlT_T0_E_clISt17integral_constantIbLb1EES14_EEDaSZ_S10_EUlSZ_E_NS1_11comp_targetILNS1_3genE4ELNS1_11target_archE910ELNS1_3gpuE8ELNS1_3repE0EEENS1_30default_config_static_selectorELNS0_4arch9wavefront6targetE1EEEvT1_
; %bb.0:
	s_load_dwordx4 s[8:11], s[4:5], 0x0
	s_load_dwordx2 s[2:3], s[4:5], 0x10
	s_load_dwordx2 s[64:65], s[4:5], 0x20
	s_load_dwordx8 s[48:55], s[4:5], 0x38
	s_load_dwordx2 s[68:69], s[4:5], 0x58
	v_cmp_ne_u32_e64 s[46:47], 0, v0
	v_cmp_eq_u32_e64 s[0:1], 0, v0
	s_and_saveexec_b64 s[6:7], s[0:1]
	s_cbranch_execz .LBB905_4
; %bb.1:
	s_mov_b64 s[14:15], exec
	v_mbcnt_lo_u32_b32 v1, s14, 0
	v_mbcnt_hi_u32_b32 v1, s15, v1
	v_cmp_eq_u32_e32 vcc, 0, v1
                                        ; implicit-def: $vgpr2
	s_and_saveexec_b64 s[12:13], vcc
	s_cbranch_execz .LBB905_3
; %bb.2:
	s_load_dwordx2 s[16:17], s[4:5], 0x88
	s_bcnt1_i32_b64 s14, s[14:15]
	v_mov_b32_e32 v2, 0
	v_mov_b32_e32 v3, s14
	s_waitcnt lgkmcnt(0)
	global_atomic_add v2, v2, v3, s[16:17] glc
.LBB905_3:
	s_or_b64 exec, exec, s[12:13]
	s_waitcnt vmcnt(0)
	v_readfirstlane_b32 s12, v2
	v_add_u32_e32 v1, s12, v1
	v_mov_b32_e32 v2, 0
	ds_write_b32 v2, v1
.LBB905_4:
	s_or_b64 exec, exec, s[6:7]
	v_mov_b32_e32 v1, 0
	s_load_dword s6, s[4:5], 0x60
	s_load_dwordx8 s[56:63], s[4:5], 0x68
	s_waitcnt lgkmcnt(0)
	s_lshl_b64 s[66:67], s[10:11], 3
	s_waitcnt lgkmcnt(0)
	; wave barrier
	ds_read_b32 v1, v1
	s_add_u32 s4, s8, s66
	s_addc_u32 s5, s9, s67
	s_add_u32 s7, s2, s66
	s_addc_u32 s8, s3, s67
	s_mul_i32 s2, s69, s6
	s_mul_hi_u32 s3, s68, s6
	s_add_i32 s9, s3, s2
	s_waitcnt lgkmcnt(0)
	v_readfirstlane_b32 s55, v1
	s_cmp_lg_u64 s[60:61], 0
	s_mov_b32 s3, 0
	s_mul_i32 s2, s55, 0x4c0
	s_cselect_b64 s[74:75], -1, 0
	s_lshl_b64 s[60:61], s[2:3], 3
	s_add_u32 s72, s4, s60
	s_addc_u32 s73, s5, s61
	s_add_u32 s70, s7, s60
	s_mul_i32 s6, s68, s6
	s_addc_u32 s71, s8, s61
	s_add_u32 s76, s6, s55
	s_addc_u32 s77, s9, 0
	s_add_u32 s4, s56, -1
	s_addc_u32 s5, s57, -1
	v_pk_mov_b32 v[2:3], s[4:5], s[4:5] op_sel:[0,1]
	v_cmp_ge_u64_e64 s[2:3], s[76:77], v[2:3]
	s_mov_b64 s[10:11], 0
	s_mov_b64 s[6:7], -1
	s_and_b64 vcc, exec, s[2:3]
	s_mul_i32 s33, s4, 0xfffffb40
	s_waitcnt lgkmcnt(0)
	; wave barrier
	s_waitcnt lgkmcnt(0)
	s_waitcnt lgkmcnt(0)
	; wave barrier
	s_cbranch_vccz .LBB905_106
; %bb.5:
	v_pk_mov_b32 v[2:3], s[72:73], s[72:73] op_sel:[0,1]
	flat_load_dwordx2 v[2:3], v[2:3]
	s_add_i32 s81, s33, s54
	v_cmp_gt_u32_e64 s[6:7], s81, v0
	s_waitcnt vmcnt(0) lgkmcnt(0)
	v_pk_mov_b32 v[4:5], v[2:3], v[2:3] op_sel:[0,1]
	s_and_saveexec_b64 s[4:5], s[6:7]
	s_cbranch_execz .LBB905_7
; %bb.6:
	v_lshlrev_b32_e32 v1, 3, v0
	v_mov_b32_e32 v5, s73
	v_add_co_u32_e32 v4, vcc, s72, v1
	v_addc_co_u32_e32 v5, vcc, 0, v5, vcc
	flat_load_dwordx2 v[4:5], v[4:5]
.LBB905_7:
	s_or_b64 exec, exec, s[4:5]
	v_or_b32_e32 v1, 64, v0
	v_cmp_gt_u32_e64 s[8:9], s81, v1
	v_pk_mov_b32 v[6:7], v[2:3], v[2:3] op_sel:[0,1]
	s_and_saveexec_b64 s[4:5], s[8:9]
	s_cbranch_execz .LBB905_9
; %bb.8:
	v_lshlrev_b32_e32 v1, 3, v0
	v_mov_b32_e32 v7, s73
	v_add_co_u32_e32 v6, vcc, s72, v1
	v_addc_co_u32_e32 v7, vcc, 0, v7, vcc
	flat_load_dwordx2 v[6:7], v[6:7] offset:512
.LBB905_9:
	s_or_b64 exec, exec, s[4:5]
	v_or_b32_e32 v1, 0x80, v0
	v_cmp_gt_u32_e64 s[10:11], s81, v1
	v_pk_mov_b32 v[8:9], v[2:3], v[2:3] op_sel:[0,1]
	s_and_saveexec_b64 s[4:5], s[10:11]
	s_cbranch_execz .LBB905_11
; %bb.10:
	v_lshlrev_b32_e32 v1, 3, v0
	v_mov_b32_e32 v9, s73
	v_add_co_u32_e32 v8, vcc, s72, v1
	v_addc_co_u32_e32 v9, vcc, 0, v9, vcc
	flat_load_dwordx2 v[8:9], v[8:9] offset:1024
.LBB905_11:
	s_or_b64 exec, exec, s[4:5]
	v_or_b32_e32 v1, 0xc0, v0
	v_cmp_gt_u32_e64 s[12:13], s81, v1
	v_pk_mov_b32 v[10:11], v[2:3], v[2:3] op_sel:[0,1]
	s_and_saveexec_b64 s[4:5], s[12:13]
	s_cbranch_execz .LBB905_13
; %bb.12:
	v_lshlrev_b32_e32 v1, 3, v0
	v_mov_b32_e32 v11, s73
	v_add_co_u32_e32 v10, vcc, s72, v1
	v_addc_co_u32_e32 v11, vcc, 0, v11, vcc
	flat_load_dwordx2 v[10:11], v[10:11] offset:1536
.LBB905_13:
	s_or_b64 exec, exec, s[4:5]
	v_or_b32_e32 v1, 0x100, v0
	v_cmp_gt_u32_e64 s[14:15], s81, v1
	v_pk_mov_b32 v[12:13], v[2:3], v[2:3] op_sel:[0,1]
	s_and_saveexec_b64 s[4:5], s[14:15]
	s_cbranch_execz .LBB905_15
; %bb.14:
	v_lshlrev_b32_e32 v1, 3, v0
	v_mov_b32_e32 v13, s73
	v_add_co_u32_e32 v12, vcc, s72, v1
	v_addc_co_u32_e32 v13, vcc, 0, v13, vcc
	flat_load_dwordx2 v[12:13], v[12:13] offset:2048
.LBB905_15:
	s_or_b64 exec, exec, s[4:5]
	v_or_b32_e32 v1, 0x140, v0
	v_cmp_gt_u32_e64 s[16:17], s81, v1
	v_pk_mov_b32 v[14:15], v[2:3], v[2:3] op_sel:[0,1]
	s_and_saveexec_b64 s[4:5], s[16:17]
	s_cbranch_execz .LBB905_17
; %bb.16:
	v_lshlrev_b32_e32 v1, 3, v0
	v_mov_b32_e32 v15, s73
	v_add_co_u32_e32 v14, vcc, s72, v1
	v_addc_co_u32_e32 v15, vcc, 0, v15, vcc
	flat_load_dwordx2 v[14:15], v[14:15] offset:2560
.LBB905_17:
	s_or_b64 exec, exec, s[4:5]
	v_or_b32_e32 v1, 0x180, v0
	v_cmp_gt_u32_e64 s[18:19], s81, v1
	v_pk_mov_b32 v[16:17], v[2:3], v[2:3] op_sel:[0,1]
	s_and_saveexec_b64 s[4:5], s[18:19]
	s_cbranch_execz .LBB905_19
; %bb.18:
	v_lshlrev_b32_e32 v1, 3, v0
	v_mov_b32_e32 v17, s73
	v_add_co_u32_e32 v16, vcc, s72, v1
	v_addc_co_u32_e32 v17, vcc, 0, v17, vcc
	flat_load_dwordx2 v[16:17], v[16:17] offset:3072
.LBB905_19:
	s_or_b64 exec, exec, s[4:5]
	v_or_b32_e32 v1, 0x1c0, v0
	v_cmp_gt_u32_e64 s[20:21], s81, v1
	v_pk_mov_b32 v[18:19], v[2:3], v[2:3] op_sel:[0,1]
	s_and_saveexec_b64 s[4:5], s[20:21]
	s_cbranch_execz .LBB905_21
; %bb.20:
	v_lshlrev_b32_e32 v1, 3, v0
	v_mov_b32_e32 v19, s73
	v_add_co_u32_e32 v18, vcc, s72, v1
	v_addc_co_u32_e32 v19, vcc, 0, v19, vcc
	flat_load_dwordx2 v[18:19], v[18:19] offset:3584
.LBB905_21:
	s_or_b64 exec, exec, s[4:5]
	v_or_b32_e32 v1, 0x200, v0
	v_cmp_gt_u32_e64 s[22:23], s81, v1
	v_pk_mov_b32 v[20:21], v[2:3], v[2:3] op_sel:[0,1]
	s_and_saveexec_b64 s[4:5], s[22:23]
	s_cbranch_execz .LBB905_23
; %bb.22:
	v_lshlrev_b32_e32 v20, 3, v1
	v_mov_b32_e32 v21, s73
	v_add_co_u32_e32 v20, vcc, s72, v20
	v_addc_co_u32_e32 v21, vcc, 0, v21, vcc
	flat_load_dwordx2 v[20:21], v[20:21]
.LBB905_23:
	s_or_b64 exec, exec, s[4:5]
	v_or_b32_e32 v40, 0x240, v0
	v_cmp_gt_u32_e64 s[24:25], s81, v40
	v_pk_mov_b32 v[22:23], v[2:3], v[2:3] op_sel:[0,1]
	s_and_saveexec_b64 s[4:5], s[24:25]
	s_cbranch_execz .LBB905_25
; %bb.24:
	v_lshlrev_b32_e32 v22, 3, v40
	v_mov_b32_e32 v23, s73
	v_add_co_u32_e32 v22, vcc, s72, v22
	v_addc_co_u32_e32 v23, vcc, 0, v23, vcc
	flat_load_dwordx2 v[22:23], v[22:23]
.LBB905_25:
	;; [unrolled: 13-line block ×10, first 2 shown]
	s_or_b64 exec, exec, s[4:5]
	v_or_b32_e32 v50, 0x480, v0
	v_cmp_gt_u32_e64 s[44:45], s81, v50
	s_and_saveexec_b64 s[4:5], s[44:45]
	s_cbranch_execz .LBB905_43
; %bb.42:
	v_lshlrev_b32_e32 v2, 3, v50
	v_mov_b32_e32 v3, s73
	v_add_co_u32_e32 v2, vcc, s72, v2
	v_addc_co_u32_e32 v3, vcc, 0, v3, vcc
	flat_load_dwordx2 v[2:3], v[2:3]
.LBB905_43:
	s_or_b64 exec, exec, s[4:5]
	v_lshlrev_b32_e32 v51, 3, v0
	s_movk_i32 s4, 0x90
	v_mad_u32_u24 v48, v0, s4, v51
	s_waitcnt vmcnt(0) lgkmcnt(0)
	ds_write2st64_b64 v51, v[4:5], v[6:7] offset1:1
	ds_write2st64_b64 v51, v[8:9], v[10:11] offset0:2 offset1:3
	ds_write2st64_b64 v51, v[12:13], v[14:15] offset0:4 offset1:5
	;; [unrolled: 1-line block ×8, first 2 shown]
	ds_write_b64 v51, v[2:3] offset:9216
	s_waitcnt lgkmcnt(0)
	; wave barrier
	s_waitcnt lgkmcnt(0)
	ds_read2_b64 v[106:109], v48 offset1:1
	ds_read2_b64 v[102:105], v48 offset0:2 offset1:3
	ds_read2_b64 v[98:101], v48 offset0:4 offset1:5
	;; [unrolled: 1-line block ×8, first 2 shown]
	ds_read_b64 v[4:5], v48 offset:144
	s_cmp_eq_u64 s[76:77], 0
	s_mov_b64 s[4:5], s[72:73]
	s_cbranch_scc1 .LBB905_47
; %bb.44:
	s_andn2_b64 vcc, exec, s[74:75]
	s_cbranch_vccnz .LBB905_263
; %bb.45:
	s_lshl_b64 s[4:5], s[76:77], 3
	s_add_u32 s4, s62, s4
	s_addc_u32 s5, s63, s5
	s_add_u32 s4, s4, -8
	s_addc_u32 s5, s5, -1
	s_cbranch_execnz .LBB905_47
.LBB905_46:
	s_add_u32 s4, s72, -8
	s_addc_u32 s5, s73, -1
.LBB905_47:
	v_pk_mov_b32 v[2:3], s[4:5], s[4:5] op_sel:[0,1]
	flat_load_dwordx2 v[8:9], v[2:3]
	s_movk_i32 s4, 0xff70
	v_mad_i32_i24 v2, v0, s4, v48
	s_waitcnt lgkmcnt(0)
	ds_write_b64 v2, v[4:5] offset:9728
	s_waitcnt lgkmcnt(0)
	; wave barrier
	s_waitcnt lgkmcnt(0)
	s_and_saveexec_b64 s[4:5], s[46:47]
	s_cbranch_execz .LBB905_49
; %bb.48:
	v_mul_i32_i24_e32 v2, 0xffffff70, v0
	v_add_u32_e32 v2, v48, v2
	s_waitcnt vmcnt(0)
	ds_read_b64 v[8:9], v2 offset:9720
.LBB905_49:
	s_or_b64 exec, exec, s[4:5]
	s_waitcnt lgkmcnt(0)
	; wave barrier
	s_waitcnt lgkmcnt(0)
                                        ; implicit-def: $vgpr2_vgpr3
	s_and_saveexec_b64 s[4:5], s[6:7]
	s_cbranch_execnz .LBB905_245
; %bb.50:
	s_or_b64 exec, exec, s[4:5]
                                        ; implicit-def: $vgpr6_vgpr7
	s_and_saveexec_b64 s[4:5], s[8:9]
	s_cbranch_execnz .LBB905_246
.LBB905_51:
	s_or_b64 exec, exec, s[4:5]
                                        ; implicit-def: $vgpr10_vgpr11
	s_and_saveexec_b64 s[4:5], s[10:11]
	s_cbranch_execnz .LBB905_247
.LBB905_52:
	s_or_b64 exec, exec, s[4:5]
                                        ; implicit-def: $vgpr12_vgpr13
	s_and_saveexec_b64 s[4:5], s[12:13]
	s_cbranch_execnz .LBB905_248
.LBB905_53:
	s_or_b64 exec, exec, s[4:5]
                                        ; implicit-def: $vgpr14_vgpr15
	s_and_saveexec_b64 s[4:5], s[14:15]
	s_cbranch_execnz .LBB905_249
.LBB905_54:
	s_or_b64 exec, exec, s[4:5]
                                        ; implicit-def: $vgpr16_vgpr17
	s_and_saveexec_b64 s[4:5], s[16:17]
	s_cbranch_execnz .LBB905_250
.LBB905_55:
	s_or_b64 exec, exec, s[4:5]
                                        ; implicit-def: $vgpr18_vgpr19
	s_and_saveexec_b64 s[4:5], s[18:19]
	s_cbranch_execnz .LBB905_251
.LBB905_56:
	s_or_b64 exec, exec, s[4:5]
                                        ; implicit-def: $vgpr20_vgpr21
	s_and_saveexec_b64 s[4:5], s[20:21]
	s_cbranch_execnz .LBB905_252
.LBB905_57:
	s_or_b64 exec, exec, s[4:5]
                                        ; implicit-def: $vgpr22_vgpr23
	s_and_saveexec_b64 s[4:5], s[22:23]
	s_cbranch_execnz .LBB905_253
.LBB905_58:
	s_or_b64 exec, exec, s[4:5]
                                        ; implicit-def: $vgpr24_vgpr25
	s_and_saveexec_b64 s[4:5], s[24:25]
	s_cbranch_execnz .LBB905_254
.LBB905_59:
	s_or_b64 exec, exec, s[4:5]
                                        ; implicit-def: $vgpr26_vgpr27
	s_and_saveexec_b64 s[4:5], s[26:27]
	s_cbranch_execnz .LBB905_255
.LBB905_60:
	s_or_b64 exec, exec, s[4:5]
                                        ; implicit-def: $vgpr28_vgpr29
	s_and_saveexec_b64 s[4:5], s[28:29]
	s_cbranch_execnz .LBB905_256
.LBB905_61:
	s_or_b64 exec, exec, s[4:5]
                                        ; implicit-def: $vgpr30_vgpr31
	s_and_saveexec_b64 s[4:5], s[30:31]
	s_cbranch_execnz .LBB905_257
.LBB905_62:
	s_or_b64 exec, exec, s[4:5]
                                        ; implicit-def: $vgpr32_vgpr33
	s_and_saveexec_b64 s[4:5], s[34:35]
	s_cbranch_execnz .LBB905_258
.LBB905_63:
	s_or_b64 exec, exec, s[4:5]
                                        ; implicit-def: $vgpr34_vgpr35
	s_and_saveexec_b64 s[4:5], s[36:37]
	s_cbranch_execnz .LBB905_259
.LBB905_64:
	s_or_b64 exec, exec, s[4:5]
                                        ; implicit-def: $vgpr36_vgpr37
	s_and_saveexec_b64 s[4:5], s[38:39]
	s_cbranch_execnz .LBB905_260
.LBB905_65:
	s_or_b64 exec, exec, s[4:5]
                                        ; implicit-def: $vgpr38_vgpr39
	s_and_saveexec_b64 s[4:5], s[40:41]
	s_cbranch_execnz .LBB905_261
.LBB905_66:
	s_or_b64 exec, exec, s[4:5]
                                        ; implicit-def: $vgpr40_vgpr41
	s_and_saveexec_b64 s[4:5], s[42:43]
	s_cbranch_execnz .LBB905_262
.LBB905_67:
	s_or_b64 exec, exec, s[4:5]
                                        ; implicit-def: $vgpr42_vgpr43
	s_and_saveexec_b64 s[4:5], s[44:45]
	s_cbranch_execz .LBB905_69
.LBB905_68:
	v_lshlrev_b32_e32 v1, 3, v50
	global_load_dwordx2 v[42:43], v1, s[70:71]
	s_waitcnt vmcnt(0)
	v_sub_co_u32_e32 v42, vcc, 0, v42
	v_subb_co_u32_e32 v43, vcc, 0, v43, vcc
.LBB905_69:
	s_or_b64 exec, exec, s[4:5]
	v_mul_u32_u24_e32 v49, 19, v0
	ds_write2st64_b64 v51, v[2:3], v[6:7] offset1:1
	ds_write2st64_b64 v51, v[10:11], v[12:13] offset0:2 offset1:3
	ds_write2st64_b64 v51, v[14:15], v[16:17] offset0:4 offset1:5
	ds_write2st64_b64 v51, v[18:19], v[20:21] offset0:6 offset1:7
	ds_write2st64_b64 v51, v[22:23], v[24:25] offset0:8 offset1:9
	ds_write2st64_b64 v51, v[26:27], v[28:29] offset0:10 offset1:11
	ds_write2st64_b64 v51, v[30:31], v[32:33] offset0:12 offset1:13
	ds_write2st64_b64 v51, v[34:35], v[36:37] offset0:14 offset1:15
	ds_write2st64_b64 v51, v[38:39], v[40:41] offset0:16 offset1:17
	ds_write_b64 v51, v[42:43] offset:9216
	v_pk_mov_b32 v[6:7], 0, 0
	v_cmp_gt_u32_e32 vcc, s81, v49
	s_mov_b64 s[10:11], 0
	s_mov_b64 s[6:7], 0
	s_mov_b32 s80, 0
	v_mov_b32_e32 v110, 0
	v_mov_b32_e32 v126, 0
	v_pk_mov_b32 v[62:63], v[6:7], v[6:7] op_sel:[0,1]
	v_mov_b32_e32 v125, 0
	v_pk_mov_b32 v[70:71], v[6:7], v[6:7] op_sel:[0,1]
	;; [unrolled: 2-line block ×17, first 2 shown]
	s_waitcnt lgkmcnt(0)
	; wave barrier
	s_waitcnt lgkmcnt(0)
                                        ; implicit-def: $sgpr4_sgpr5
	s_and_saveexec_b64 s[8:9], vcc
	s_cbranch_execz .LBB905_105
; %bb.70:
	ds_read_b64 v[2:3], v48
	s_waitcnt vmcnt(0) lgkmcnt(0)
	v_cmp_ne_u64_e32 vcc, v[8:9], v[106:107]
	v_add_u32_e32 v6, 1, v49
	v_cndmask_b32_e64 v1, 0, 1, vcc
	v_cmp_gt_u32_e32 vcc, s81, v6
	v_pk_mov_b32 v[6:7], 0, 0
	s_mov_b64 s[12:13], 0
	s_mov_b64 s[4:5], 0
	v_mov_b32_e32 v110, 0
	v_mov_b32_e32 v126, 0
	v_pk_mov_b32 v[62:63], v[6:7], v[6:7] op_sel:[0,1]
	v_mov_b32_e32 v125, 0
	v_pk_mov_b32 v[70:71], v[6:7], v[6:7] op_sel:[0,1]
	;; [unrolled: 2-line block ×16, first 2 shown]
                                        ; implicit-def: $sgpr14_sgpr15
	s_and_saveexec_b64 s[10:11], vcc
	s_cbranch_execz .LBB905_104
; %bb.71:
	ds_read2_b64 v[14:17], v48 offset0:1 offset1:2
	v_cmp_ne_u64_e32 vcc, v[106:107], v[108:109]
	v_add_u32_e32 v6, 2, v49
	v_cndmask_b32_e64 v112, 0, 1, vcc
	v_cmp_gt_u32_e32 vcc, s81, v6
	v_pk_mov_b32 v[6:7], 0, 0
	s_mov_b64 s[16:17], 0
	v_mov_b32_e32 v110, 0
	v_mov_b32_e32 v126, 0
	v_pk_mov_b32 v[62:63], v[6:7], v[6:7] op_sel:[0,1]
	v_mov_b32_e32 v125, 0
	v_pk_mov_b32 v[70:71], v[6:7], v[6:7] op_sel:[0,1]
	;; [unrolled: 2-line block ×15, first 2 shown]
                                        ; implicit-def: $sgpr14_sgpr15
	s_and_saveexec_b64 s[12:13], vcc
	s_cbranch_execz .LBB905_103
; %bb.72:
	v_cmp_ne_u64_e32 vcc, v[108:109], v[102:103]
	v_add_u32_e32 v6, 3, v49
	v_cndmask_b32_e64 v111, 0, 1, vcc
	v_cmp_gt_u32_e32 vcc, s81, v6
	v_pk_mov_b32 v[6:7], 0, 0
	s_waitcnt lgkmcnt(0)
	v_mov_b32_e32 v10, v16
	v_mov_b32_e32 v11, v17
	;; [unrolled: 1-line block ×4, first 2 shown]
	v_pk_mov_b32 v[62:63], v[6:7], v[6:7] op_sel:[0,1]
	v_mov_b32_e32 v125, 0
	v_pk_mov_b32 v[70:71], v[6:7], v[6:7] op_sel:[0,1]
	v_mov_b32_e32 v124, 0
	;; [unrolled: 2-line block ×13, first 2 shown]
	v_pk_mov_b32 v[22:23], v[6:7], v[6:7] op_sel:[0,1]
                                        ; implicit-def: $sgpr18_sgpr19
	s_and_saveexec_b64 s[14:15], vcc
	s_cbranch_execz .LBB905_102
; %bb.73:
	ds_read2_b64 v[22:25], v48 offset0:3 offset1:4
	v_cmp_ne_u64_e32 vcc, v[102:103], v[104:105]
	v_add_u32_e32 v6, 4, v49
	v_cndmask_b32_e64 v113, 0, 1, vcc
	v_cmp_gt_u32_e32 vcc, s81, v6
	v_pk_mov_b32 v[6:7], 0, 0
	s_mov_b64 s[20:21], 0
	v_mov_b32_e32 v110, 0
	v_mov_b32_e32 v126, 0
	v_pk_mov_b32 v[62:63], v[6:7], v[6:7] op_sel:[0,1]
	v_mov_b32_e32 v125, 0
	v_pk_mov_b32 v[70:71], v[6:7], v[6:7] op_sel:[0,1]
	;; [unrolled: 2-line block ×13, first 2 shown]
                                        ; implicit-def: $sgpr18_sgpr19
	s_and_saveexec_b64 s[16:17], vcc
	s_cbranch_execz .LBB905_101
; %bb.74:
	v_cmp_ne_u64_e32 vcc, v[104:105], v[98:99]
	v_add_u32_e32 v6, 5, v49
	v_cndmask_b32_e64 v114, 0, 1, vcc
	v_cmp_gt_u32_e32 vcc, s81, v6
	v_pk_mov_b32 v[6:7], 0, 0
	s_waitcnt lgkmcnt(0)
	v_mov_b32_e32 v18, v24
	v_mov_b32_e32 v19, v25
	;; [unrolled: 1-line block ×4, first 2 shown]
	v_pk_mov_b32 v[62:63], v[6:7], v[6:7] op_sel:[0,1]
	v_mov_b32_e32 v125, 0
	v_pk_mov_b32 v[70:71], v[6:7], v[6:7] op_sel:[0,1]
	v_mov_b32_e32 v124, 0
	;; [unrolled: 2-line block ×11, first 2 shown]
	v_pk_mov_b32 v[34:35], v[6:7], v[6:7] op_sel:[0,1]
                                        ; implicit-def: $sgpr22_sgpr23
	s_and_saveexec_b64 s[18:19], vcc
	s_cbranch_execz .LBB905_100
; %bb.75:
	ds_read2_b64 v[34:37], v48 offset0:5 offset1:6
	v_cmp_ne_u64_e32 vcc, v[98:99], v[100:101]
	v_add_u32_e32 v6, 6, v49
	v_cndmask_b32_e64 v115, 0, 1, vcc
	v_cmp_gt_u32_e32 vcc, s81, v6
	v_pk_mov_b32 v[6:7], 0, 0
	s_mov_b64 s[24:25], 0
	v_mov_b32_e32 v110, 0
	v_mov_b32_e32 v126, 0
	v_pk_mov_b32 v[62:63], v[6:7], v[6:7] op_sel:[0,1]
	v_mov_b32_e32 v125, 0
	v_pk_mov_b32 v[70:71], v[6:7], v[6:7] op_sel:[0,1]
	;; [unrolled: 2-line block ×11, first 2 shown]
                                        ; implicit-def: $sgpr22_sgpr23
	s_and_saveexec_b64 s[20:21], vcc
	s_cbranch_execz .LBB905_99
; %bb.76:
	v_cmp_ne_u64_e32 vcc, v[100:101], v[94:95]
	v_add_u32_e32 v6, 7, v49
	v_cndmask_b32_e64 v116, 0, 1, vcc
	v_cmp_gt_u32_e32 vcc, s81, v6
	v_pk_mov_b32 v[6:7], 0, 0
	s_waitcnt lgkmcnt(0)
	v_mov_b32_e32 v26, v36
	v_mov_b32_e32 v27, v37
	;; [unrolled: 1-line block ×4, first 2 shown]
	v_pk_mov_b32 v[62:63], v[6:7], v[6:7] op_sel:[0,1]
	v_mov_b32_e32 v125, 0
	v_pk_mov_b32 v[70:71], v[6:7], v[6:7] op_sel:[0,1]
	v_mov_b32_e32 v124, 0
	;; [unrolled: 2-line block ×9, first 2 shown]
	v_pk_mov_b32 v[42:43], v[6:7], v[6:7] op_sel:[0,1]
                                        ; implicit-def: $sgpr26_sgpr27
	s_and_saveexec_b64 s[22:23], vcc
	s_cbranch_execz .LBB905_98
; %bb.77:
	ds_read2_b64 v[42:45], v48 offset0:7 offset1:8
	v_cmp_ne_u64_e32 vcc, v[94:95], v[96:97]
	v_add_u32_e32 v6, 8, v49
	v_cndmask_b32_e64 v117, 0, 1, vcc
	v_cmp_gt_u32_e32 vcc, s81, v6
	v_pk_mov_b32 v[6:7], 0, 0
	s_mov_b64 s[28:29], 0
	v_mov_b32_e32 v110, 0
	v_mov_b32_e32 v126, 0
	v_pk_mov_b32 v[62:63], v[6:7], v[6:7] op_sel:[0,1]
	v_mov_b32_e32 v125, 0
	v_pk_mov_b32 v[70:71], v[6:7], v[6:7] op_sel:[0,1]
	v_mov_b32_e32 v124, 0
	v_pk_mov_b32 v[54:55], v[6:7], v[6:7] op_sel:[0,1]
	v_mov_b32_e32 v123, 0
	v_pk_mov_b32 v[66:67], v[6:7], v[6:7] op_sel:[0,1]
	v_mov_b32_e32 v122, 0
	v_pk_mov_b32 v[46:47], v[6:7], v[6:7] op_sel:[0,1]
	v_mov_b32_e32 v121, 0
	v_pk_mov_b32 v[58:59], v[6:7], v[6:7] op_sel:[0,1]
	v_mov_b32_e32 v120, 0
	v_pk_mov_b32 v[38:39], v[6:7], v[6:7] op_sel:[0,1]
	v_mov_b32_e32 v119, 0
	v_pk_mov_b32 v[50:51], v[6:7], v[6:7] op_sel:[0,1]
	v_mov_b32_e32 v118, 0
	v_pk_mov_b32 v[30:31], v[6:7], v[6:7] op_sel:[0,1]
                                        ; implicit-def: $sgpr26_sgpr27
	s_and_saveexec_b64 s[24:25], vcc
	s_cbranch_execz .LBB905_97
; %bb.78:
	v_cmp_ne_u64_e32 vcc, v[96:97], v[90:91]
	v_add_u32_e32 v6, 9, v49
	v_cndmask_b32_e64 v118, 0, 1, vcc
	v_cmp_gt_u32_e32 vcc, s81, v6
	v_pk_mov_b32 v[6:7], 0, 0
	s_waitcnt lgkmcnt(0)
	v_mov_b32_e32 v30, v44
	v_mov_b32_e32 v31, v45
	;; [unrolled: 1-line block ×4, first 2 shown]
	v_pk_mov_b32 v[62:63], v[6:7], v[6:7] op_sel:[0,1]
	v_mov_b32_e32 v125, 0
	v_pk_mov_b32 v[70:71], v[6:7], v[6:7] op_sel:[0,1]
	v_mov_b32_e32 v124, 0
	;; [unrolled: 2-line block ×7, first 2 shown]
	v_pk_mov_b32 v[50:51], v[6:7], v[6:7] op_sel:[0,1]
                                        ; implicit-def: $sgpr30_sgpr31
	s_and_saveexec_b64 s[26:27], vcc
	s_cbranch_execz .LBB905_96
; %bb.79:
	ds_read2_b64 v[50:53], v48 offset0:9 offset1:10
	v_cmp_ne_u64_e32 vcc, v[90:91], v[92:93]
	v_add_u32_e32 v6, 10, v49
	v_cndmask_b32_e64 v119, 0, 1, vcc
	v_cmp_gt_u32_e32 vcc, s81, v6
	v_pk_mov_b32 v[6:7], 0, 0
	s_mov_b64 s[34:35], 0
	v_mov_b32_e32 v110, 0
	v_mov_b32_e32 v126, 0
	v_pk_mov_b32 v[62:63], v[6:7], v[6:7] op_sel:[0,1]
	v_mov_b32_e32 v125, 0
	v_pk_mov_b32 v[70:71], v[6:7], v[6:7] op_sel:[0,1]
	;; [unrolled: 2-line block ×7, first 2 shown]
                                        ; implicit-def: $sgpr30_sgpr31
	s_and_saveexec_b64 s[28:29], vcc
	s_cbranch_execz .LBB905_95
; %bb.80:
	v_cmp_ne_u64_e32 vcc, v[92:93], v[86:87]
	v_add_u32_e32 v6, 11, v49
	v_cndmask_b32_e64 v120, 0, 1, vcc
	v_cmp_gt_u32_e32 vcc, s81, v6
	v_pk_mov_b32 v[6:7], 0, 0
	s_waitcnt lgkmcnt(0)
	v_mov_b32_e32 v38, v52
	v_mov_b32_e32 v39, v53
	;; [unrolled: 1-line block ×4, first 2 shown]
	v_pk_mov_b32 v[62:63], v[6:7], v[6:7] op_sel:[0,1]
	v_mov_b32_e32 v125, 0
	v_pk_mov_b32 v[70:71], v[6:7], v[6:7] op_sel:[0,1]
	v_mov_b32_e32 v124, 0
	;; [unrolled: 2-line block ×5, first 2 shown]
	v_pk_mov_b32 v[58:59], v[6:7], v[6:7] op_sel:[0,1]
                                        ; implicit-def: $sgpr36_sgpr37
	s_and_saveexec_b64 s[30:31], vcc
	s_cbranch_execz .LBB905_94
; %bb.81:
	ds_read2_b64 v[58:61], v48 offset0:11 offset1:12
	v_cmp_ne_u64_e32 vcc, v[86:87], v[88:89]
	v_add_u32_e32 v6, 12, v49
	v_cndmask_b32_e64 v121, 0, 1, vcc
	v_cmp_gt_u32_e32 vcc, s81, v6
	v_pk_mov_b32 v[6:7], 0, 0
	s_mov_b64 s[38:39], 0
	v_mov_b32_e32 v110, 0
	v_mov_b32_e32 v126, 0
	v_pk_mov_b32 v[62:63], v[6:7], v[6:7] op_sel:[0,1]
	v_mov_b32_e32 v125, 0
	v_pk_mov_b32 v[70:71], v[6:7], v[6:7] op_sel:[0,1]
	;; [unrolled: 2-line block ×5, first 2 shown]
                                        ; implicit-def: $sgpr36_sgpr37
	s_and_saveexec_b64 s[34:35], vcc
	s_cbranch_execz .LBB905_93
; %bb.82:
	v_cmp_ne_u64_e32 vcc, v[88:89], v[82:83]
	v_add_u32_e32 v6, 13, v49
	v_cndmask_b32_e64 v122, 0, 1, vcc
	v_cmp_gt_u32_e32 vcc, s81, v6
	v_pk_mov_b32 v[6:7], 0, 0
	s_waitcnt lgkmcnt(0)
	v_mov_b32_e32 v46, v60
	v_mov_b32_e32 v47, v61
	;; [unrolled: 1-line block ×4, first 2 shown]
	v_pk_mov_b32 v[62:63], v[6:7], v[6:7] op_sel:[0,1]
	v_mov_b32_e32 v125, 0
	v_pk_mov_b32 v[70:71], v[6:7], v[6:7] op_sel:[0,1]
	v_mov_b32_e32 v124, 0
	;; [unrolled: 2-line block ×3, first 2 shown]
	v_pk_mov_b32 v[66:67], v[6:7], v[6:7] op_sel:[0,1]
                                        ; implicit-def: $sgpr40_sgpr41
	s_and_saveexec_b64 s[36:37], vcc
	s_cbranch_execz .LBB905_92
; %bb.83:
	ds_read2_b64 v[66:69], v48 offset0:13 offset1:14
	v_cmp_ne_u64_e32 vcc, v[82:83], v[84:85]
	v_add_u32_e32 v6, 14, v49
	v_cndmask_b32_e64 v123, 0, 1, vcc
	v_cmp_gt_u32_e32 vcc, s81, v6
	v_pk_mov_b32 v[6:7], 0, 0
	s_mov_b64 s[42:43], 0
	v_mov_b32_e32 v110, 0
	v_mov_b32_e32 v126, 0
	v_pk_mov_b32 v[62:63], v[6:7], v[6:7] op_sel:[0,1]
	v_mov_b32_e32 v125, 0
	v_pk_mov_b32 v[70:71], v[6:7], v[6:7] op_sel:[0,1]
	;; [unrolled: 2-line block ×3, first 2 shown]
                                        ; implicit-def: $sgpr40_sgpr41
	s_and_saveexec_b64 s[38:39], vcc
	s_cbranch_execz .LBB905_91
; %bb.84:
	v_cmp_ne_u64_e32 vcc, v[84:85], v[78:79]
	v_add_u32_e32 v6, 15, v49
	v_cndmask_b32_e64 v124, 0, 1, vcc
	v_cmp_gt_u32_e32 vcc, s81, v6
	v_pk_mov_b32 v[6:7], 0, 0
	s_waitcnt lgkmcnt(0)
	v_mov_b32_e32 v54, v68
	v_mov_b32_e32 v55, v69
	;; [unrolled: 1-line block ×4, first 2 shown]
	v_pk_mov_b32 v[62:63], v[6:7], v[6:7] op_sel:[0,1]
	v_mov_b32_e32 v125, 0
	v_pk_mov_b32 v[70:71], v[6:7], v[6:7] op_sel:[0,1]
                                        ; implicit-def: $sgpr44_sgpr45
	s_and_saveexec_b64 s[40:41], vcc
	s_cbranch_execz .LBB905_90
; %bb.85:
	ds_read2_b64 v[70:73], v48 offset0:15 offset1:16
	v_cmp_ne_u64_e32 vcc, v[78:79], v[80:81]
	v_add_u32_e32 v6, 16, v49
	v_cndmask_b32_e64 v125, 0, 1, vcc
	v_cmp_gt_u32_e32 vcc, s81, v6
	v_pk_mov_b32 v[6:7], 0, 0
	s_mov_b64 s[44:45], 0
	v_mov_b32_e32 v110, 0
	v_mov_b32_e32 v126, 0
	v_pk_mov_b32 v[62:63], v[6:7], v[6:7] op_sel:[0,1]
                                        ; implicit-def: $sgpr56_sgpr57
	s_and_saveexec_b64 s[42:43], vcc
	s_cbranch_execz .LBB905_89
; %bb.86:
	v_cmp_ne_u64_e32 vcc, v[80:81], v[74:75]
	v_add_u32_e32 v6, 17, v49
	s_waitcnt lgkmcnt(0)
	v_mov_b32_e32 v62, v72
	v_mov_b32_e32 v63, v73
	v_cndmask_b32_e64 v126, 0, 1, vcc
	v_cmp_gt_u32_e32 vcc, s81, v6
	v_mov_b32_e32 v110, 0
	v_pk_mov_b32 v[6:7], 0, 0
                                        ; implicit-def: $sgpr56_sgpr57
	s_and_saveexec_b64 s[4:5], vcc
	s_xor_b64 s[78:79], exec, s[4:5]
	s_cbranch_execz .LBB905_88
; %bb.87:
	ds_read2_b64 v[6:9], v48 offset0:17 offset1:18
	v_cmp_ne_u64_e32 vcc, v[76:77], v[4:5]
	v_cmp_ne_u64_e64 s[4:5], v[74:75], v[76:77]
	v_add_u32_e32 v4, 18, v49
	v_cndmask_b32_e64 v110, 0, 1, s[4:5]
	v_cmp_gt_u32_e64 s[4:5], s81, v4
	s_and_b64 s[56:57], vcc, exec
	s_and_b64 s[44:45], s[4:5], exec
	s_waitcnt lgkmcnt(0)
	v_pk_mov_b32 v[64:65], v[6:7], v[6:7] op_sel:[0,1]
.LBB905_88:
	s_or_b64 exec, exec, s[78:79]
	s_and_b64 s[56:57], s[56:57], exec
	s_and_b64 s[4:5], s[44:45], exec
.LBB905_89:
	s_or_b64 exec, exec, s[42:43]
	s_and_b64 s[44:45], s[56:57], exec
	s_and_b64 s[42:43], s[4:5], exec
	s_waitcnt lgkmcnt(0)
	v_pk_mov_b32 v[56:57], v[70:71], v[70:71] op_sel:[0,1]
	v_pk_mov_b32 v[48:49], v[66:67], v[66:67] op_sel:[0,1]
	;; [unrolled: 1-line block ×8, first 2 shown]
.LBB905_90:
	s_or_b64 exec, exec, s[40:41]
	s_and_b64 s[40:41], s[44:45], exec
	s_and_b64 s[4:5], s[42:43], exec
.LBB905_91:
	s_or_b64 exec, exec, s[38:39]
	s_and_b64 s[40:41], s[40:41], exec
	s_and_b64 s[38:39], s[4:5], exec
.LBB905_92:
	s_or_b64 exec, exec, s[36:37]
	s_and_b64 s[36:37], s[40:41], exec
	s_and_b64 s[4:5], s[38:39], exec
.LBB905_93:
	s_or_b64 exec, exec, s[34:35]
	s_and_b64 s[36:37], s[36:37], exec
	s_and_b64 s[34:35], s[4:5], exec
.LBB905_94:
	s_or_b64 exec, exec, s[30:31]
	s_and_b64 s[30:31], s[36:37], exec
	s_and_b64 s[4:5], s[34:35], exec
.LBB905_95:
	s_or_b64 exec, exec, s[28:29]
	s_and_b64 s[30:31], s[30:31], exec
	s_and_b64 s[28:29], s[4:5], exec
.LBB905_96:
	s_or_b64 exec, exec, s[26:27]
	s_and_b64 s[26:27], s[30:31], exec
	s_and_b64 s[4:5], s[28:29], exec
.LBB905_97:
	s_or_b64 exec, exec, s[24:25]
	s_and_b64 s[26:27], s[26:27], exec
	s_and_b64 s[24:25], s[4:5], exec
.LBB905_98:
	s_or_b64 exec, exec, s[22:23]
	s_and_b64 s[22:23], s[26:27], exec
	s_and_b64 s[4:5], s[24:25], exec
.LBB905_99:
	s_or_b64 exec, exec, s[20:21]
	s_and_b64 s[22:23], s[22:23], exec
	s_and_b64 s[20:21], s[4:5], exec
.LBB905_100:
	s_or_b64 exec, exec, s[18:19]
	s_and_b64 s[18:19], s[22:23], exec
	s_and_b64 s[4:5], s[20:21], exec
.LBB905_101:
	s_or_b64 exec, exec, s[16:17]
	s_and_b64 s[18:19], s[18:19], exec
	s_and_b64 s[16:17], s[4:5], exec
.LBB905_102:
	s_or_b64 exec, exec, s[14:15]
	s_and_b64 s[14:15], s[18:19], exec
	s_and_b64 s[4:5], s[16:17], exec
.LBB905_103:
	s_or_b64 exec, exec, s[12:13]
	s_and_b64 s[14:15], s[14:15], exec
	s_and_b64 s[12:13], s[4:5], exec
.LBB905_104:
	s_or_b64 exec, exec, s[10:11]
	s_and_b64 s[4:5], s[14:15], exec
	s_and_b64 s[10:11], s[12:13], exec
.LBB905_105:
	s_or_b64 exec, exec, s[8:9]
	s_mov_b64 s[8:9], 0
	s_and_b64 vcc, exec, s[6:7]
	v_lshlrev_b32_e32 v127, 3, v0
	s_cbranch_vccnz .LBB905_107
	s_branch .LBB905_115
.LBB905_106:
                                        ; implicit-def: $sgpr4_sgpr5
                                        ; implicit-def: $vgpr8_vgpr9
                                        ; implicit-def: $vgpr110
                                        ; implicit-def: $vgpr64_vgpr65
                                        ; implicit-def: $vgpr126
                                        ; implicit-def: $vgpr125
                                        ; implicit-def: $vgpr56_vgpr57
                                        ; implicit-def: $vgpr124
                                        ; implicit-def: $vgpr123
                                        ; implicit-def: $vgpr48_vgpr49
                                        ; implicit-def: $vgpr122
                                        ; implicit-def: $vgpr121
                                        ; implicit-def: $vgpr40_vgpr41
                                        ; implicit-def: $vgpr120
                                        ; implicit-def: $vgpr119
                                        ; implicit-def: $vgpr32_vgpr33
                                        ; implicit-def: $vgpr118
                                        ; implicit-def: $vgpr117
                                        ; implicit-def: $vgpr28_vgpr29
                                        ; implicit-def: $vgpr116
                                        ; implicit-def: $vgpr115
                                        ; implicit-def: $vgpr20_vgpr21
                                        ; implicit-def: $vgpr114
                                        ; implicit-def: $vgpr113
                                        ; implicit-def: $vgpr12_vgpr13
                                        ; implicit-def: $vgpr111
                                        ; implicit-def: $vgpr112
                                        ; implicit-def: $vgpr4_vgpr5
                                        ; implicit-def: $vgpr1
                                        ; implicit-def: $sgpr80
                                        ; implicit-def: $sgpr8_sgpr9
                                        ; implicit-def: $vgpr70_vgpr71
                                        ; implicit-def: $vgpr66_vgpr67
                                        ; implicit-def: $vgpr58_vgpr59
                                        ; implicit-def: $vgpr50_vgpr51
                                        ; implicit-def: $vgpr42_vgpr43
                                        ; implicit-def: $vgpr34_vgpr35
                                        ; implicit-def: $vgpr22_vgpr23
                                        ; implicit-def: $vgpr14_vgpr15
	s_and_b64 vcc, exec, s[6:7]
	v_lshlrev_b32_e32 v127, 3, v0
	s_cbranch_vccz .LBB905_115
.LBB905_107:
	v_mov_b32_e32 v1, s73
	v_add_co_u32_e32 v2, vcc, s72, v127
	v_addc_co_u32_e32 v3, vcc, 0, v1, vcc
	v_add_co_u32_e32 v20, vcc, 0x1000, v2
	v_addc_co_u32_e32 v21, vcc, 0, v3, vcc
	flat_load_dwordx2 v[4:5], v[2:3]
	flat_load_dwordx2 v[6:7], v[2:3] offset:512
	s_waitcnt vmcnt(0) lgkmcnt(0)
	flat_load_dwordx2 v[8:9], v[2:3] offset:1024
	flat_load_dwordx2 v[10:11], v[2:3] offset:1536
	;; [unrolled: 1-line block ×6, first 2 shown]
	v_add_co_u32_e32 v2, vcc, 0x2000, v2
	v_addc_co_u32_e32 v3, vcc, 0, v3, vcc
	flat_load_dwordx2 v[22:23], v[20:21]
	flat_load_dwordx2 v[24:25], v[20:21] offset:512
	flat_load_dwordx2 v[26:27], v[20:21] offset:1024
	;; [unrolled: 1-line block ×7, first 2 shown]
	s_nop 0
	flat_load_dwordx2 v[20:21], v[2:3]
	flat_load_dwordx2 v[38:39], v[2:3] offset:512
	flat_load_dwordx2 v[40:41], v[2:3] offset:1024
	s_movk_i32 s4, 0x90
	v_mad_u32_u24 v1, v0, s4, v127
	s_cmp_eq_u64 s[76:77], 0
	ds_write2st64_b64 v127, v[4:5], v[6:7] offset1:1
	s_waitcnt vmcnt(0) lgkmcnt(0)
	ds_write2st64_b64 v127, v[8:9], v[10:11] offset0:2 offset1:3
	ds_write2st64_b64 v127, v[12:13], v[14:15] offset0:4 offset1:5
	;; [unrolled: 1-line block ×8, first 2 shown]
	ds_write_b64 v127, v[40:41] offset:9216
	s_waitcnt lgkmcnt(0)
	; wave barrier
	s_waitcnt lgkmcnt(0)
	ds_read2_b64 v[14:17], v1 offset1:1
	ds_read2_b64 v[2:5], v1 offset0:2 offset1:3
	ds_read2_b64 v[6:9], v1 offset0:4 offset1:5
	;; [unrolled: 1-line block ×8, first 2 shown]
	ds_read_b64 v[38:39], v1 offset:144
	s_cbranch_scc1 .LBB905_112
; %bb.108:
	s_andn2_b64 vcc, exec, s[74:75]
	s_cbranch_vccnz .LBB905_264
; %bb.109:
	s_lshl_b64 s[4:5], s[76:77], 3
	s_add_u32 s4, s62, s4
	s_addc_u32 s5, s63, s5
	s_add_u32 s4, s4, -8
	s_addc_u32 s5, s5, -1
	s_cbranch_execnz .LBB905_111
.LBB905_110:
	s_add_u32 s4, s72, -8
	s_addc_u32 s5, s73, -1
.LBB905_111:
	s_mov_b64 s[72:73], s[4:5]
.LBB905_112:
	v_pk_mov_b32 v[40:41], s[72:73], s[72:73] op_sel:[0,1]
	flat_load_dwordx2 v[42:43], v[40:41]
	s_movk_i32 s4, 0xff70
	v_mad_i32_i24 v40, v0, s4, v1
	s_waitcnt lgkmcnt(0)
	ds_write_b64 v40, v[38:39] offset:9728
	s_waitcnt lgkmcnt(0)
	; wave barrier
	s_waitcnt lgkmcnt(0)
	s_and_saveexec_b64 s[4:5], s[46:47]
	s_cbranch_execz .LBB905_114
; %bb.113:
	v_mul_i32_i24_e32 v40, 0xffffff70, v0
	v_add_u32_e32 v40, v1, v40
	s_waitcnt vmcnt(0)
	ds_read_b64 v[42:43], v40 offset:9720
.LBB905_114:
	s_or_b64 exec, exec, s[4:5]
	s_waitcnt lgkmcnt(0)
	; wave barrier
	s_waitcnt lgkmcnt(0)
	global_load_dwordx2 v[40:41], v127, s[70:71]
	global_load_dwordx2 v[44:45], v127, s[70:71] offset:512
	global_load_dwordx2 v[46:47], v127, s[70:71] offset:1024
	;; [unrolled: 1-line block ×4, first 2 shown]
	v_mov_b32_e32 v58, s71
	global_load_dwordx2 v[52:53], v127, s[70:71] offset:2560
	global_load_dwordx2 v[54:55], v127, s[70:71] offset:3072
	;; [unrolled: 1-line block ×3, first 2 shown]
	v_add_co_u32_e32 v62, vcc, s70, v127
	s_movk_i32 s5, 0x2000
	v_addc_co_u32_e32 v63, vcc, 0, v58, vcc
	v_add_co_u32_e32 v58, vcc, s5, v62
	s_movk_i32 s4, 0x1000
	v_addc_co_u32_e32 v59, vcc, 0, v63, vcc
	global_load_dwordx2 v[60:61], v[58:59], off offset:-4096
	v_add_co_u32_e32 v62, vcc, s4, v62
	v_addc_co_u32_e32 v63, vcc, 0, v63, vcc
	global_load_dwordx2 v[64:65], v[62:63], off offset:512
	v_cmp_ne_u64_e64 s[4:5], v[36:37], v[38:39]
	v_cmp_ne_u64_e32 vcc, v[34:35], v[36:37]
	global_load_dwordx2 v[36:37], v[62:63], off offset:1024
	v_cndmask_b32_e64 v110, 0, 1, vcc
	v_cmp_ne_u64_e32 vcc, v[32:33], v[34:35]
	global_load_dwordx2 v[34:35], v[62:63], off offset:1536
	v_cndmask_b32_e64 v126, 0, 1, vcc
	v_cmp_ne_u64_e32 vcc, v[30:31], v[32:33]
	v_cndmask_b32_e64 v125, 0, 1, vcc
	v_cmp_ne_u64_e32 vcc, v[28:29], v[30:31]
	global_load_dwordx2 v[30:31], v[62:63], off offset:2048
	v_cndmask_b32_e64 v124, 0, 1, vcc
	v_cmp_ne_u64_e32 vcc, v[26:27], v[28:29]
	global_load_dwordx2 v[28:29], v[62:63], off offset:2560
	v_cndmask_b32_e64 v123, 0, 1, vcc
	v_cmp_ne_u64_e32 vcc, v[24:25], v[26:27]
	v_cndmask_b32_e64 v122, 0, 1, vcc
	;; [unrolled: 8-line block ×3, first 2 shown]
	v_cmp_ne_u64_e32 vcc, v[12:13], v[18:19]
	global_load_dwordx2 v[18:19], v[58:59], off
	v_cndmask_b32_e64 v118, 0, 1, vcc
	v_cmp_ne_u64_e32 vcc, v[10:11], v[12:13]
	global_load_dwordx2 v[12:13], v[58:59], off offset:512
	v_cndmask_b32_e64 v117, 0, 1, vcc
	v_cmp_ne_u64_e32 vcc, v[8:9], v[10:11]
	v_cndmask_b32_e64 v116, 0, 1, vcc
	v_cmp_ne_u64_e32 vcc, v[6:7], v[8:9]
	global_load_dwordx2 v[8:9], v[58:59], off offset:1024
	v_cndmask_b32_e64 v115, 0, 1, vcc
	v_cmp_ne_u64_e32 vcc, v[4:5], v[6:7]
	v_cndmask_b32_e64 v114, 0, 1, vcc
	v_cmp_ne_u64_e32 vcc, v[2:3], v[4:5]
	;; [unrolled: 2-line block ×3, first 2 shown]
	v_cndmask_b32_e64 v111, 0, 1, vcc
	s_mov_b64 s[10:11], -1
                                        ; implicit-def: $sgpr80
                                        ; implicit-def: $sgpr8_sgpr9
                                        ; implicit-def: $vgpr70_vgpr71
                                        ; implicit-def: $vgpr66_vgpr67
                                        ; implicit-def: $vgpr58_vgpr59
	s_waitcnt vmcnt(0)
	v_sub_co_u32_e32 v2, vcc, 0, v40
	v_subb_co_u32_e32 v3, vcc, 0, v41, vcc
	v_sub_co_u32_e32 v4, vcc, 0, v44
	v_subb_co_u32_e32 v5, vcc, 0, v45, vcc
	;; [unrolled: 2-line block ×19, first 2 shown]
	ds_write2st64_b64 v127, v[2:3], v[4:5] offset1:1
	ds_write2st64_b64 v127, v[6:7], v[10:11] offset0:2 offset1:3
	ds_write2st64_b64 v127, v[20:21], v[26:27] offset0:4 offset1:5
	;; [unrolled: 1-line block ×8, first 2 shown]
	ds_write_b64 v127, v[8:9] offset:9216
	s_waitcnt lgkmcnt(0)
	; wave barrier
	s_waitcnt lgkmcnt(0)
	ds_read2_b64 v[2:5], v1 offset1:1
	ds_read2_b64 v[10:13], v1 offset0:2 offset1:3
	ds_read2_b64 v[18:21], v1 offset0:4 offset1:5
	;; [unrolled: 1-line block ×8, first 2 shown]
	ds_read_b64 v[8:9], v1 offset:144
	v_cmp_ne_u64_e32 vcc, v[14:15], v[16:17]
	v_cndmask_b32_e64 v112, 0, 1, vcc
	v_cmp_ne_u64_e32 vcc, v[42:43], v[14:15]
	v_cndmask_b32_e64 v1, 0, 1, vcc
                                        ; implicit-def: $vgpr50_vgpr51
                                        ; implicit-def: $vgpr42_vgpr43
                                        ; implicit-def: $vgpr34_vgpr35
                                        ; implicit-def: $vgpr22_vgpr23
                                        ; implicit-def: $vgpr14_vgpr15
.LBB905_115:
	s_waitcnt lgkmcnt(0)
	v_pk_mov_b32 v[16:17], s[8:9], s[8:9] op_sel:[0,1]
	v_mov_b32_e32 v36, s80
	s_and_saveexec_b64 s[6:7], s[10:11]
	s_cbranch_execz .LBB905_117
; %bb.116:
	v_cndmask_b32_e64 v36, 0, 1, s[4:5]
	v_pk_mov_b32 v[14:15], v[4:5], v[4:5] op_sel:[0,1]
	v_pk_mov_b32 v[22:23], v[12:13], v[12:13] op_sel:[0,1]
	;; [unrolled: 1-line block ×9, first 2 shown]
	s_waitcnt vmcnt(0)
	v_pk_mov_b32 v[16:17], v[8:9], v[8:9] op_sel:[0,1]
.LBB905_117:
	s_or_b64 exec, exec, s[6:7]
	v_or_b32_e32 v4, v36, v110
	s_cmp_lg_u32 s55, 0
	v_or_b32_e32 v29, v4, v126
	v_mbcnt_lo_u32_b32 v28, -1, 0
	s_waitcnt lgkmcnt(0)
	; wave barrier
	s_cbranch_scc0 .LBB905_180
; %bb.118:
	v_mov_b32_e32 v4, 0
	v_cmp_eq_u16_sdwa s[42:43], v112, v4 src0_sel:BYTE_0 src1_sel:DWORD
	s_waitcnt vmcnt(0)
	v_cndmask_b32_e64 v9, 0, v2, s[42:43]
	v_cndmask_b32_e64 v5, 0, v3, s[42:43]
	v_add_co_u32_e32 v9, vcc, v9, v14
	v_cmp_eq_u16_sdwa s[40:41], v111, v4 src0_sel:BYTE_0 src1_sel:DWORD
	v_addc_co_u32_e32 v5, vcc, v5, v15, vcc
	v_cndmask_b32_e64 v9, 0, v9, s[40:41]
	v_cndmask_b32_e64 v5, 0, v5, s[40:41]
	v_add_co_u32_e32 v9, vcc, v9, v10
	v_cmp_eq_u16_sdwa s[38:39], v113, v4 src0_sel:BYTE_0 src1_sel:DWORD
	v_addc_co_u32_e32 v5, vcc, v5, v11, vcc
	;; [unrolled: 5-line block ×16, first 2 shown]
	v_cndmask_b32_e64 v9, 0, v9, s[8:9]
	v_add_co_u32_e32 v9, vcc, v9, v6
	v_cmp_eq_u16_sdwa s[6:7], v36, v4 src0_sel:BYTE_0 src1_sel:DWORD
	v_cndmask_b32_e64 v4, 0, v9, s[6:7]
	v_or_b32_e32 v9, v29, v125
	v_or_b32_e32 v9, v9, v124
	v_or_b32_e32 v9, v9, v123
	v_or_b32_e32 v9, v9, v122
	v_or_b32_e32 v9, v9, v121
	v_or_b32_e32 v9, v9, v120
	v_or_b32_e32 v9, v9, v119
	v_or_b32_e32 v9, v9, v118
	v_or_b32_e32 v9, v9, v117
	v_or_b32_e32 v9, v9, v116
	v_or_b32_e32 v9, v9, v115
	v_or_b32_e32 v9, v9, v114
	v_cndmask_b32_e64 v5, 0, v5, s[8:9]
	v_or_b32_e32 v9, v9, v113
	v_addc_co_u32_e32 v5, vcc, v5, v7, vcc
	v_or_b32_e32 v9, v9, v111
	v_cndmask_b32_e64 v5, 0, v5, s[6:7]
	v_add_co_u32_e32 v4, vcc, v4, v16
	v_or_b32_e32 v9, v9, v112
	v_addc_co_u32_e32 v5, vcc, v5, v17, vcc
	v_and_b32_e32 v9, 1, v9
	v_and_b32_e32 v8, 0xff, v1
	v_cmp_eq_u32_e32 vcc, 1, v9
	v_mbcnt_hi_u32_b32 v9, -1, v28
	v_cndmask_b32_e64 v8, v8, 1, vcc
	v_and_b32_e32 v12, 15, v9
	v_mov_b32_dpp v20, v4 row_shr:1 row_mask:0xf bank_mask:0xf
	v_mov_b32_dpp v21, v5 row_shr:1 row_mask:0xf bank_mask:0xf
	;; [unrolled: 1-line block ×3, first 2 shown]
	v_cmp_ne_u32_e32 vcc, 0, v12
	s_and_saveexec_b64 s[4:5], vcc
; %bb.119:
	v_cmp_eq_u32_e32 vcc, 0, v8
	v_cndmask_b32_e32 v20, 0, v20, vcc
	v_cndmask_b32_e32 v21, 0, v21, vcc
	v_add_co_u32_e32 v4, vcc, v20, v4
	v_addc_co_u32_e32 v5, vcc, v21, v5, vcc
	v_and_or_b32 v8, v13, 1, v8
; %bb.120:
	s_or_b64 exec, exec, s[4:5]
	v_mov_b32_dpp v20, v4 row_shr:2 row_mask:0xf bank_mask:0xf
	v_mov_b32_dpp v21, v5 row_shr:2 row_mask:0xf bank_mask:0xf
	v_mov_b32_dpp v13, v8 row_shr:2 row_mask:0xf bank_mask:0xf
	v_cmp_lt_u32_e32 vcc, 1, v12
	s_and_saveexec_b64 s[4:5], vcc
; %bb.121:
	v_cmp_eq_u32_e32 vcc, 0, v8
	v_cndmask_b32_e32 v20, 0, v20, vcc
	v_cndmask_b32_e32 v21, 0, v21, vcc
	v_add_co_u32_e32 v4, vcc, v20, v4
	v_or_b32_e32 v8, v13, v8
	v_addc_co_u32_e32 v5, vcc, v21, v5, vcc
	v_and_b32_e32 v8, 1, v8
; %bb.122:
	s_or_b64 exec, exec, s[4:5]
	v_mov_b32_dpp v20, v4 row_shr:4 row_mask:0xf bank_mask:0xf
	v_mov_b32_dpp v21, v5 row_shr:4 row_mask:0xf bank_mask:0xf
	v_mov_b32_dpp v13, v8 row_shr:4 row_mask:0xf bank_mask:0xf
	v_cmp_lt_u32_e32 vcc, 3, v12
	s_and_saveexec_b64 s[4:5], vcc
; %bb.123:
	v_cmp_eq_u32_e32 vcc, 0, v8
	v_cndmask_b32_e32 v20, 0, v20, vcc
	v_cndmask_b32_e32 v21, 0, v21, vcc
	v_add_co_u32_e32 v4, vcc, v20, v4
	v_or_b32_e32 v8, v13, v8
	v_addc_co_u32_e32 v5, vcc, v21, v5, vcc
	v_and_b32_e32 v8, 1, v8
	;; [unrolled: 15-line block ×3, first 2 shown]
; %bb.126:
	s_or_b64 exec, exec, s[4:5]
	v_and_b32_e32 v21, 16, v9
	v_mov_b32_dpp v13, v4 row_bcast:15 row_mask:0xf bank_mask:0xf
	v_mov_b32_dpp v20, v5 row_bcast:15 row_mask:0xf bank_mask:0xf
	v_mov_b32_dpp v12, v8 row_bcast:15 row_mask:0xf bank_mask:0xf
	v_cmp_ne_u32_e32 vcc, 0, v21
	s_and_saveexec_b64 s[4:5], vcc
; %bb.127:
	v_cmp_eq_u32_e32 vcc, 0, v8
	v_cndmask_b32_e32 v13, 0, v13, vcc
	v_cndmask_b32_e32 v20, 0, v20, vcc
	v_add_co_u32_e32 v4, vcc, v13, v4
	v_or_b32_e32 v8, v12, v8
	v_addc_co_u32_e32 v5, vcc, v20, v5, vcc
	v_and_b32_e32 v8, 1, v8
; %bb.128:
	s_or_b64 exec, exec, s[4:5]
	v_mov_b32_dpp v20, v4 row_bcast:31 row_mask:0xf bank_mask:0xf
	v_mov_b32_dpp v21, v5 row_bcast:31 row_mask:0xf bank_mask:0xf
	;; [unrolled: 1-line block ×3, first 2 shown]
	v_cmp_lt_u32_e32 vcc, 31, v9
	v_mov_b32_e32 v12, v8
	s_and_saveexec_b64 s[4:5], vcc
; %bb.129:
	v_cmp_eq_u32_e32 vcc, 0, v8
	v_cndmask_b32_e32 v20, 0, v20, vcc
	v_cndmask_b32_e32 v12, 0, v21, vcc
	v_add_co_u32_e32 v4, vcc, v20, v4
	v_or_b32_e32 v8, v13, v8
	v_addc_co_u32_e32 v5, vcc, v12, v5, vcc
	v_and_b32_e32 v12, 1, v8
	v_and_b32_e32 v8, 1, v8
; %bb.130:
	s_or_b64 exec, exec, s[4:5]
	v_cmp_eq_u32_e32 vcc, 63, v0
	s_and_saveexec_b64 s[4:5], vcc
	s_cbranch_execz .LBB905_132
; %bb.131:
	v_mov_b32_e32 v13, 0
	ds_write_b64 v13, v[4:5]
	ds_write_b8 v13, v12 offset:8
.LBB905_132:
	s_or_b64 exec, exec, s[4:5]
	v_add_u32_e32 v12, -1, v9
	v_and_b32_e32 v13, 64, v9
	v_cmp_lt_i32_e32 vcc, v12, v13
	v_cndmask_b32_e32 v12, v12, v9, vcc
	v_lshlrev_b32_e32 v12, 2, v12
	ds_bpermute_b32 v33, v12, v4
	ds_bpermute_b32 v37, v12, v5
	;; [unrolled: 1-line block ×3, first 2 shown]
	v_cmp_gt_u32_e32 vcc, 64, v0
	s_waitcnt lgkmcnt(0)
	; wave barrier
	s_waitcnt lgkmcnt(0)
	s_and_saveexec_b64 s[56:57], vcc
	s_cbranch_execz .LBB905_179
; %bb.133:
	v_mov_b32_e32 v13, 0
	ds_read_b64 v[4:5], v13
	ds_read_u8 v40, v13 offset:8
	s_mov_b32 s63, 0
	v_cmp_eq_u32_e64 s[44:45], 0, v9
	s_and_saveexec_b64 s[4:5], s[44:45]
	s_cbranch_execz .LBB905_135
; %bb.134:
	s_add_i32 s62, s55, 64
	s_lshl_b64 s[70:71], s[62:63], 4
	s_add_u32 s70, s48, s70
	s_addc_u32 s71, s49, s71
	v_mov_b32_e32 v8, s62
	v_mov_b32_e32 v12, 1
	s_waitcnt lgkmcnt(1)
	global_store_dwordx2 v13, v[4:5], s[70:71]
	s_waitcnt lgkmcnt(0)
	global_store_byte v13, v40, s[70:71] offset:8
	s_waitcnt vmcnt(0)
	buffer_wbinvl1_vol
	global_store_byte v8, v12, s[52:53]
.LBB905_135:
	s_or_b64 exec, exec, s[4:5]
	v_xad_u32 v8, v9, -1, s55
	v_add_u32_e32 v12, 64, v8
	global_load_ubyte v41, v12, s[52:53] glc
	s_waitcnt vmcnt(0)
	v_cmp_eq_u16_e32 vcc, 0, v41
	s_and_saveexec_b64 s[4:5], vcc
	s_cbranch_execz .LBB905_141
; %bb.136:
	v_mov_b32_e32 v21, s53
	v_add_co_u32_e32 v20, vcc, s52, v12
	v_addc_co_u32_e32 v21, vcc, 0, v21, vcc
	s_mov_b32 s70, 1
	s_mov_b64 s[62:63], 0
.LBB905_137:                            ; =>This Loop Header: Depth=1
                                        ;     Child Loop BB905_138 Depth 2
	s_max_u32 s71, s70, 1
.LBB905_138:                            ;   Parent Loop BB905_137 Depth=1
                                        ; =>  This Inner Loop Header: Depth=2
	s_add_i32 s71, s71, -1
	s_cmp_eq_u32 s71, 0
	s_sleep 1
	s_cbranch_scc0 .LBB905_138
; %bb.139:                              ;   in Loop: Header=BB905_137 Depth=1
	global_load_ubyte v41, v[20:21], off glc
	s_cmp_lt_u32 s70, 32
	s_cselect_b64 s[72:73], -1, 0
	s_cmp_lg_u64 s[72:73], 0
	s_addc_u32 s70, s70, 0
	s_waitcnt vmcnt(0)
	v_cmp_ne_u16_e32 vcc, 0, v41
	s_or_b64 s[62:63], vcc, s[62:63]
	s_andn2_b64 exec, exec, s[62:63]
	s_cbranch_execnz .LBB905_137
; %bb.140:
	s_or_b64 exec, exec, s[62:63]
.LBB905_141:
	s_or_b64 exec, exec, s[4:5]
	v_mov_b32_e32 v20, s51
	v_mov_b32_e32 v21, s49
	v_cmp_eq_u16_e32 vcc, 1, v41
	v_cndmask_b32_e32 v20, v20, v21, vcc
	v_mov_b32_e32 v21, s50
	v_mov_b32_e32 v24, s48
	v_cndmask_b32_e32 v21, v21, v24, vcc
	v_lshlrev_b64 v[12:13], 4, v[12:13]
	v_add_co_u32_e32 v12, vcc, v21, v12
	v_addc_co_u32_e32 v13, vcc, v20, v13, vcc
	s_waitcnt lgkmcnt(0)
	buffer_wbinvl1_vol
	global_load_dwordx2 v[24:25], v[12:13], off
	global_load_ubyte v72, v[12:13], off offset:8
	v_cmp_eq_u16_e32 vcc, 2, v41
	v_lshlrev_b64 v[12:13], v9, -1
	v_and_b32_e32 v44, 63, v9
	v_and_b32_e32 v20, vcc_hi, v13
	v_and_b32_e32 v53, vcc_lo, v12
	v_cmp_ne_u32_e32 vcc, 63, v44
	v_addc_co_u32_e32 v21, vcc, 0, v9, vcc
	v_lshlrev_b32_e32 v45, 2, v21
	v_or_b32_e32 v20, 0x80000000, v20
	v_ffbl_b32_e32 v20, v20
	v_add_u32_e32 v20, 32, v20
	v_ffbl_b32_e32 v53, v53
	v_min_u32_e32 v20, v53, v20
	v_cmp_lt_u32_e32 vcc, v44, v20
	s_waitcnt vmcnt(1)
	ds_bpermute_b32 v49, v45, v24
	s_waitcnt vmcnt(0)
	v_and_b32_e32 v21, 1, v72
	ds_bpermute_b32 v52, v45, v25
	ds_bpermute_b32 v48, v45, v21
	s_and_saveexec_b64 s[4:5], vcc
	s_cbranch_execz .LBB905_143
; %bb.142:
	v_mov_b32_e32 v21, 0
	v_cmp_eq_u16_sdwa vcc, v72, v21 src0_sel:BYTE_0 src1_sel:DWORD
	s_waitcnt lgkmcnt(2)
	v_cndmask_b32_e32 v49, 0, v49, vcc
	s_waitcnt lgkmcnt(1)
	v_cndmask_b32_e32 v21, 0, v52, vcc
	v_add_co_u32_e32 v24, vcc, v49, v24
	v_addc_co_u32_e32 v25, vcc, v21, v25, vcc
	s_waitcnt lgkmcnt(0)
	v_and_b32_e32 v21, 1, v48
	v_or_b32_e32 v72, v21, v72
	v_and_b32_e32 v21, 0xff, v72
.LBB905_143:
	s_or_b64 exec, exec, s[4:5]
	v_cmp_gt_u32_e32 vcc, 62, v44
	s_waitcnt lgkmcnt(0)
	v_cndmask_b32_e64 v48, 0, 1, vcc
	v_lshlrev_b32_e32 v48, 1, v48
	v_add_lshl_u32 v48, v48, v9, 2
	ds_bpermute_b32 v53, v48, v24
	ds_bpermute_b32 v56, v48, v25
	ds_bpermute_b32 v52, v48, v21
	v_add_u32_e32 v49, 2, v44
	v_cmp_le_u32_e32 vcc, v49, v20
	s_and_saveexec_b64 s[62:63], vcc
	s_cbranch_execz .LBB905_145
; %bb.144:
	v_mov_b32_e32 v21, 0
	v_cmp_eq_u16_sdwa vcc, v72, v21 src0_sel:BYTE_0 src1_sel:DWORD
	s_waitcnt lgkmcnt(2)
	v_cndmask_b32_e32 v53, 0, v53, vcc
	s_waitcnt lgkmcnt(1)
	v_cndmask_b32_e32 v21, 0, v56, vcc
	v_add_co_u32_e32 v24, vcc, v53, v24
	v_addc_co_u32_e32 v25, vcc, v21, v25, vcc
	v_and_b32_e32 v21, 1, v72
	v_cmp_eq_u32_e32 vcc, 1, v21
	s_waitcnt lgkmcnt(0)
	v_and_b32_e32 v21, 1, v52
	v_cmp_eq_u32_e64 s[4:5], 1, v21
	s_or_b64 s[4:5], vcc, s[4:5]
	v_cndmask_b32_e64 v72, 0, 1, s[4:5]
	v_cndmask_b32_e64 v21, 0, 1, s[4:5]
.LBB905_145:
	s_or_b64 exec, exec, s[62:63]
	v_cmp_gt_u32_e32 vcc, 60, v44
	s_waitcnt lgkmcnt(0)
	v_cndmask_b32_e64 v52, 0, 1, vcc
	v_lshlrev_b32_e32 v52, 2, v52
	v_add_lshl_u32 v52, v52, v9, 2
	ds_bpermute_b32 v57, v52, v24
	ds_bpermute_b32 v60, v52, v25
	ds_bpermute_b32 v56, v52, v21
	v_add_u32_e32 v53, 4, v44
	v_cmp_le_u32_e32 vcc, v53, v20
	s_and_saveexec_b64 s[62:63], vcc
	s_cbranch_execz .LBB905_147
; %bb.146:
	v_mov_b32_e32 v21, 0
	v_cmp_eq_u16_sdwa vcc, v72, v21 src0_sel:BYTE_0 src1_sel:DWORD
	s_waitcnt lgkmcnt(2)
	v_cndmask_b32_e32 v57, 0, v57, vcc
	s_waitcnt lgkmcnt(1)
	v_cndmask_b32_e32 v21, 0, v60, vcc
	v_add_co_u32_e32 v24, vcc, v57, v24
	v_addc_co_u32_e32 v25, vcc, v21, v25, vcc
	v_and_b32_e32 v21, 1, v72
	v_cmp_eq_u32_e32 vcc, 1, v21
	s_waitcnt lgkmcnt(0)
	v_and_b32_e32 v21, 1, v56
	v_cmp_eq_u32_e64 s[4:5], 1, v21
	s_or_b64 s[4:5], vcc, s[4:5]
	v_cndmask_b32_e64 v72, 0, 1, s[4:5]
	v_cndmask_b32_e64 v21, 0, 1, s[4:5]
.LBB905_147:
	s_or_b64 exec, exec, s[62:63]
	v_cmp_gt_u32_e32 vcc, 56, v44
	s_waitcnt lgkmcnt(0)
	v_cndmask_b32_e64 v56, 0, 1, vcc
	v_lshlrev_b32_e32 v56, 3, v56
	v_add_lshl_u32 v56, v56, v9, 2
	ds_bpermute_b32 v61, v56, v24
	ds_bpermute_b32 v64, v56, v25
	ds_bpermute_b32 v60, v56, v21
	v_add_u32_e32 v57, 8, v44
	v_cmp_le_u32_e32 vcc, v57, v20
	s_and_saveexec_b64 s[62:63], vcc
	s_cbranch_execz .LBB905_149
; %bb.148:
	v_mov_b32_e32 v21, 0
	v_cmp_eq_u16_sdwa vcc, v72, v21 src0_sel:BYTE_0 src1_sel:DWORD
	s_waitcnt lgkmcnt(2)
	v_cndmask_b32_e32 v61, 0, v61, vcc
	s_waitcnt lgkmcnt(1)
	v_cndmask_b32_e32 v21, 0, v64, vcc
	v_add_co_u32_e32 v24, vcc, v61, v24
	v_addc_co_u32_e32 v25, vcc, v21, v25, vcc
	v_and_b32_e32 v21, 1, v72
	v_cmp_eq_u32_e32 vcc, 1, v21
	s_waitcnt lgkmcnt(0)
	v_and_b32_e32 v21, 1, v60
	v_cmp_eq_u32_e64 s[4:5], 1, v21
	s_or_b64 s[4:5], vcc, s[4:5]
	v_cndmask_b32_e64 v72, 0, 1, s[4:5]
	v_cndmask_b32_e64 v21, 0, 1, s[4:5]
.LBB905_149:
	s_or_b64 exec, exec, s[62:63]
	v_cmp_gt_u32_e32 vcc, 48, v44
	s_waitcnt lgkmcnt(0)
	v_cndmask_b32_e64 v60, 0, 1, vcc
	v_lshlrev_b32_e32 v60, 4, v60
	v_add_lshl_u32 v60, v60, v9, 2
	ds_bpermute_b32 v65, v60, v24
	ds_bpermute_b32 v68, v60, v25
	ds_bpermute_b32 v64, v60, v21
	v_add_u32_e32 v61, 16, v44
	v_cmp_le_u32_e32 vcc, v61, v20
	s_and_saveexec_b64 s[62:63], vcc
	s_cbranch_execz .LBB905_151
; %bb.150:
	v_mov_b32_e32 v21, 0
	v_cmp_eq_u16_sdwa vcc, v72, v21 src0_sel:BYTE_0 src1_sel:DWORD
	s_waitcnt lgkmcnt(2)
	v_cndmask_b32_e32 v65, 0, v65, vcc
	s_waitcnt lgkmcnt(1)
	v_cndmask_b32_e32 v21, 0, v68, vcc
	v_add_co_u32_e32 v24, vcc, v65, v24
	v_addc_co_u32_e32 v25, vcc, v21, v25, vcc
	v_and_b32_e32 v21, 1, v72
	v_cmp_eq_u32_e32 vcc, 1, v21
	s_waitcnt lgkmcnt(0)
	v_and_b32_e32 v21, 1, v64
	v_cmp_eq_u32_e64 s[4:5], 1, v21
	s_or_b64 s[4:5], vcc, s[4:5]
	v_cndmask_b32_e64 v72, 0, 1, s[4:5]
	v_cndmask_b32_e64 v21, 0, 1, s[4:5]
.LBB905_151:
	s_or_b64 exec, exec, s[62:63]
	v_cmp_gt_u32_e32 vcc, 32, v44
	s_waitcnt lgkmcnt(0)
	v_cndmask_b32_e64 v64, 0, 1, vcc
	v_lshlrev_b32_e32 v64, 5, v64
	v_add_lshl_u32 v65, v64, v9, 2
	ds_bpermute_b32 v64, v65, v24
	ds_bpermute_b32 v69, v65, v25
	;; [unrolled: 1-line block ×3, first 2 shown]
	v_add_u32_e32 v68, 32, v44
	v_cmp_le_u32_e32 vcc, v68, v20
	s_and_saveexec_b64 s[62:63], vcc
	s_cbranch_execz .LBB905_153
; %bb.152:
	v_mov_b32_e32 v20, 0
	v_cmp_eq_u16_sdwa vcc, v72, v20 src0_sel:BYTE_0 src1_sel:DWORD
	s_waitcnt lgkmcnt(2)
	v_cndmask_b32_e32 v21, 0, v64, vcc
	s_waitcnt lgkmcnt(1)
	v_cndmask_b32_e32 v20, 0, v69, vcc
	v_add_co_u32_e32 v24, vcc, v21, v24
	v_addc_co_u32_e32 v25, vcc, v20, v25, vcc
	v_and_b32_e32 v20, 1, v72
	s_waitcnt lgkmcnt(0)
	v_and_b32_e32 v9, 1, v9
	v_cmp_eq_u32_e32 vcc, 1, v20
	v_cmp_eq_u32_e64 s[4:5], 1, v9
	s_or_b64 s[4:5], vcc, s[4:5]
	v_cndmask_b32_e64 v72, 0, 1, s[4:5]
.LBB905_153:
	s_or_b64 exec, exec, s[62:63]
	s_waitcnt lgkmcnt(0)
	v_mov_b32_e32 v9, 0
	v_mov_b32_e32 v69, 2
	s_branch .LBB905_155
.LBB905_154:                            ;   in Loop: Header=BB905_155 Depth=1
	s_or_b64 exec, exec, s[70:71]
	v_cmp_eq_u16_sdwa vcc, v64, v9 src0_sel:BYTE_0 src1_sel:DWORD
	v_cndmask_b32_e32 v24, 0, v24, vcc
	v_cndmask_b32_e32 v25, 0, v25, vcc
	v_add_co_u32_e32 v24, vcc, v24, v20
	v_addc_co_u32_e32 v25, vcc, v25, v21, vcc
	v_and_b32_e32 v72, 1, v64
	v_cmp_eq_u32_e32 vcc, 1, v72
	s_or_b64 s[4:5], vcc, s[62:63]
	v_subrev_u32_e32 v8, 64, v8
	v_cndmask_b32_e64 v72, 0, 1, s[4:5]
.LBB905_155:                            ; =>This Loop Header: Depth=1
                                        ;     Child Loop BB905_158 Depth 2
                                        ;       Child Loop BB905_159 Depth 3
	v_cmp_ne_u16_sdwa s[4:5], v41, v69 src0_sel:BYTE_0 src1_sel:DWORD
	v_cndmask_b32_e64 v20, 0, 1, s[4:5]
	;;#ASMSTART
	;;#ASMEND
	v_cmp_ne_u32_e32 vcc, 0, v20
	v_mov_b32_e32 v64, v72
	s_cmp_lg_u64 vcc, exec
	v_pk_mov_b32 v[20:21], v[24:25], v[24:25] op_sel:[0,1]
	s_cbranch_scc1 .LBB905_174
; %bb.156:                              ;   in Loop: Header=BB905_155 Depth=1
	global_load_ubyte v41, v8, s[52:53] glc
	s_waitcnt vmcnt(0)
	v_cmp_eq_u16_e32 vcc, 0, v41
	s_and_saveexec_b64 s[4:5], vcc
	s_cbranch_execz .LBB905_162
; %bb.157:                              ;   in Loop: Header=BB905_155 Depth=1
	v_mov_b32_e32 v25, s53
	v_add_co_u32_e32 v24, vcc, s52, v8
	v_addc_co_u32_e32 v25, vcc, 0, v25, vcc
	s_mov_b32 s70, 1
	s_mov_b64 s[62:63], 0
.LBB905_158:                            ;   Parent Loop BB905_155 Depth=1
                                        ; =>  This Loop Header: Depth=2
                                        ;       Child Loop BB905_159 Depth 3
	s_max_u32 s71, s70, 1
.LBB905_159:                            ;   Parent Loop BB905_155 Depth=1
                                        ;     Parent Loop BB905_158 Depth=2
                                        ; =>    This Inner Loop Header: Depth=3
	s_add_i32 s71, s71, -1
	s_cmp_eq_u32 s71, 0
	s_sleep 1
	s_cbranch_scc0 .LBB905_159
; %bb.160:                              ;   in Loop: Header=BB905_158 Depth=2
	global_load_ubyte v41, v[24:25], off glc
	s_cmp_lt_u32 s70, 32
	s_cselect_b64 s[72:73], -1, 0
	s_cmp_lg_u64 s[72:73], 0
	s_addc_u32 s70, s70, 0
	s_waitcnt vmcnt(0)
	v_cmp_ne_u16_e32 vcc, 0, v41
	s_or_b64 s[62:63], vcc, s[62:63]
	s_andn2_b64 exec, exec, s[62:63]
	s_cbranch_execnz .LBB905_158
; %bb.161:                              ;   in Loop: Header=BB905_155 Depth=1
	s_or_b64 exec, exec, s[62:63]
.LBB905_162:                            ;   in Loop: Header=BB905_155 Depth=1
	s_or_b64 exec, exec, s[4:5]
	v_mov_b32_e32 v24, s51
	v_mov_b32_e32 v25, s49
	v_cmp_eq_u16_e32 vcc, 1, v41
	v_cndmask_b32_e32 v73, v24, v25, vcc
	v_mov_b32_e32 v24, s50
	v_mov_b32_e32 v25, s48
	v_cndmask_b32_e32 v72, v24, v25, vcc
	v_lshlrev_b64 v[24:25], 4, v[8:9]
	v_add_co_u32_e32 v72, vcc, v72, v24
	v_addc_co_u32_e32 v73, vcc, v73, v25, vcc
	buffer_wbinvl1_vol
	global_load_dwordx2 v[24:25], v[72:73], off
	s_nop 0
	global_load_ubyte v72, v[72:73], off offset:8
	v_cmp_eq_u16_e32 vcc, 2, v41
	v_and_b32_e32 v73, vcc_hi, v13
	v_or_b32_e32 v73, 0x80000000, v73
	v_and_b32_e32 v78, vcc_lo, v12
	v_ffbl_b32_e32 v73, v73
	v_add_u32_e32 v73, 32, v73
	v_ffbl_b32_e32 v78, v78
	v_min_u32_e32 v73, v78, v73
	v_cmp_lt_u32_e32 vcc, v44, v73
	s_waitcnt vmcnt(1) lgkmcnt(1)
	ds_bpermute_b32 v76, v45, v24
	s_waitcnt vmcnt(0) lgkmcnt(1)
	v_and_b32_e32 v74, 1, v72
	ds_bpermute_b32 v77, v45, v25
	ds_bpermute_b32 v75, v45, v74
	s_and_saveexec_b64 s[4:5], vcc
	s_cbranch_execz .LBB905_164
; %bb.163:                              ;   in Loop: Header=BB905_155 Depth=1
	v_cmp_eq_u16_sdwa vcc, v72, v9 src0_sel:BYTE_0 src1_sel:DWORD
	s_waitcnt lgkmcnt(2)
	v_cndmask_b32_e32 v76, 0, v76, vcc
	s_waitcnt lgkmcnt(1)
	v_cndmask_b32_e32 v74, 0, v77, vcc
	v_add_co_u32_e32 v24, vcc, v76, v24
	v_addc_co_u32_e32 v25, vcc, v74, v25, vcc
	s_waitcnt lgkmcnt(0)
	v_and_b32_e32 v74, 1, v75
	v_or_b32_e32 v72, v74, v72
	v_and_b32_e32 v74, 0xff, v72
.LBB905_164:                            ;   in Loop: Header=BB905_155 Depth=1
	s_or_b64 exec, exec, s[4:5]
	s_waitcnt lgkmcnt(2)
	ds_bpermute_b32 v76, v48, v24
	s_waitcnt lgkmcnt(2)
	ds_bpermute_b32 v77, v48, v25
	;; [unrolled: 2-line block ×3, first 2 shown]
	v_and_b32_e32 v78, 1, v72
	v_cmp_le_u32_e32 vcc, v49, v73
	v_cmp_eq_u32_e64 s[62:63], 1, v78
	s_and_saveexec_b64 s[4:5], vcc
	s_cbranch_execz .LBB905_166
; %bb.165:                              ;   in Loop: Header=BB905_155 Depth=1
	v_cmp_eq_u16_sdwa vcc, v72, v9 src0_sel:BYTE_0 src1_sel:DWORD
	s_waitcnt lgkmcnt(2)
	v_cndmask_b32_e32 v74, 0, v76, vcc
	s_waitcnt lgkmcnt(1)
	v_cndmask_b32_e32 v72, 0, v77, vcc
	v_add_co_u32_e32 v24, vcc, v74, v24
	v_addc_co_u32_e32 v25, vcc, v72, v25, vcc
	s_waitcnt lgkmcnt(0)
	v_and_b32_e32 v72, 1, v75
	v_cmp_eq_u32_e32 vcc, 1, v72
	s_or_b64 s[70:71], s[62:63], vcc
	v_cndmask_b32_e64 v72, 0, 1, s[70:71]
	v_cndmask_b32_e64 v74, 0, 1, s[70:71]
	s_andn2_b64 s[62:63], s[62:63], exec
	s_and_b64 s[70:71], s[70:71], exec
	s_or_b64 s[62:63], s[62:63], s[70:71]
.LBB905_166:                            ;   in Loop: Header=BB905_155 Depth=1
	s_or_b64 exec, exec, s[4:5]
	s_waitcnt lgkmcnt(2)
	ds_bpermute_b32 v76, v52, v24
	s_waitcnt lgkmcnt(2)
	ds_bpermute_b32 v77, v52, v25
	s_waitcnt lgkmcnt(2)
	ds_bpermute_b32 v75, v52, v74
	v_cmp_le_u32_e32 vcc, v53, v73
	s_and_saveexec_b64 s[70:71], vcc
	s_cbranch_execz .LBB905_168
; %bb.167:                              ;   in Loop: Header=BB905_155 Depth=1
	v_cmp_eq_u16_sdwa vcc, v72, v9 src0_sel:BYTE_0 src1_sel:DWORD
	s_waitcnt lgkmcnt(2)
	v_cndmask_b32_e32 v76, 0, v76, vcc
	s_waitcnt lgkmcnt(1)
	v_cndmask_b32_e32 v74, 0, v77, vcc
	v_add_co_u32_e32 v24, vcc, v76, v24
	v_addc_co_u32_e32 v25, vcc, v74, v25, vcc
	v_and_b32_e32 v72, 1, v72
	v_cmp_eq_u32_e32 vcc, 1, v72
	s_waitcnt lgkmcnt(0)
	v_and_b32_e32 v72, 1, v75
	v_cmp_eq_u32_e64 s[4:5], 1, v72
	s_or_b64 s[4:5], vcc, s[4:5]
	v_cndmask_b32_e64 v72, 0, 1, s[4:5]
	v_cndmask_b32_e64 v74, 0, 1, s[4:5]
	s_andn2_b64 s[62:63], s[62:63], exec
	s_and_b64 s[4:5], s[4:5], exec
	s_or_b64 s[62:63], s[62:63], s[4:5]
.LBB905_168:                            ;   in Loop: Header=BB905_155 Depth=1
	s_or_b64 exec, exec, s[70:71]
	s_waitcnt lgkmcnt(2)
	ds_bpermute_b32 v76, v56, v24
	s_waitcnt lgkmcnt(2)
	ds_bpermute_b32 v77, v56, v25
	s_waitcnt lgkmcnt(2)
	ds_bpermute_b32 v75, v56, v74
	v_cmp_le_u32_e32 vcc, v57, v73
	s_and_saveexec_b64 s[70:71], vcc
	s_cbranch_execz .LBB905_170
; %bb.169:                              ;   in Loop: Header=BB905_155 Depth=1
	v_cmp_eq_u16_sdwa vcc, v72, v9 src0_sel:BYTE_0 src1_sel:DWORD
	s_waitcnt lgkmcnt(2)
	v_cndmask_b32_e32 v76, 0, v76, vcc
	s_waitcnt lgkmcnt(1)
	v_cndmask_b32_e32 v74, 0, v77, vcc
	v_add_co_u32_e32 v24, vcc, v76, v24
	v_addc_co_u32_e32 v25, vcc, v74, v25, vcc
	v_and_b32_e32 v72, 1, v72
	v_cmp_eq_u32_e32 vcc, 1, v72
	s_waitcnt lgkmcnt(0)
	v_and_b32_e32 v72, 1, v75
	v_cmp_eq_u32_e64 s[4:5], 1, v72
	s_or_b64 s[4:5], vcc, s[4:5]
	v_cndmask_b32_e64 v72, 0, 1, s[4:5]
	v_cndmask_b32_e64 v74, 0, 1, s[4:5]
	s_andn2_b64 s[62:63], s[62:63], exec
	s_and_b64 s[4:5], s[4:5], exec
	s_or_b64 s[62:63], s[62:63], s[4:5]
.LBB905_170:                            ;   in Loop: Header=BB905_155 Depth=1
	;; [unrolled: 30-line block ×3, first 2 shown]
	s_or_b64 exec, exec, s[70:71]
	s_waitcnt lgkmcnt(0)
	ds_bpermute_b32 v75, v65, v24
	ds_bpermute_b32 v76, v65, v25
	;; [unrolled: 1-line block ×3, first 2 shown]
	v_cmp_le_u32_e32 vcc, v68, v73
	s_and_saveexec_b64 s[70:71], vcc
	s_cbranch_execz .LBB905_154
; %bb.173:                              ;   in Loop: Header=BB905_155 Depth=1
	v_cmp_eq_u16_sdwa vcc, v72, v9 src0_sel:BYTE_0 src1_sel:DWORD
	s_waitcnt lgkmcnt(2)
	v_cndmask_b32_e32 v75, 0, v75, vcc
	s_waitcnt lgkmcnt(1)
	v_cndmask_b32_e32 v73, 0, v76, vcc
	v_add_co_u32_e32 v24, vcc, v75, v24
	v_addc_co_u32_e32 v25, vcc, v73, v25, vcc
	v_and_b32_e32 v72, 1, v72
	v_cmp_eq_u32_e32 vcc, 1, v72
	s_waitcnt lgkmcnt(0)
	v_and_b32_e32 v72, 1, v74
	v_cmp_eq_u32_e64 s[4:5], 1, v72
	s_or_b64 s[4:5], vcc, s[4:5]
	s_andn2_b64 s[62:63], s[62:63], exec
	s_and_b64 s[4:5], s[4:5], exec
	s_or_b64 s[62:63], s[62:63], s[4:5]
	s_branch .LBB905_154
.LBB905_174:                            ;   in Loop: Header=BB905_155 Depth=1
                                        ; implicit-def: $vgpr72
                                        ; implicit-def: $vgpr24_vgpr25
                                        ; implicit-def: $vgpr41
	s_cbranch_execz .LBB905_155
; %bb.175:
	s_and_saveexec_b64 s[4:5], s[44:45]
	s_cbranch_execz .LBB905_177
; %bb.176:
	v_mov_b32_e32 v8, 0
	s_mov_b32 s45, 0
	v_cmp_eq_u16_sdwa vcc, v40, v8 src0_sel:BYTE_0 src1_sel:DWORD
	s_add_i32 s44, s55, 64
	v_cndmask_b32_e32 v12, 0, v20, vcc
	s_lshl_b64 s[48:49], s[44:45], 4
	v_cndmask_b32_e32 v9, 0, v21, vcc
	v_add_co_u32_e32 v4, vcc, v12, v4
	s_add_u32 s48, s50, s48
	v_addc_co_u32_e32 v5, vcc, v9, v5, vcc
	v_or_b32_e32 v9, v40, v64
	s_addc_u32 s49, s51, s49
	v_and_b32_e32 v9, 1, v9
	global_store_dwordx2 v8, v[4:5], s[48:49]
	global_store_byte v8, v9, s[48:49] offset:8
	v_mov_b32_e32 v4, s44
	v_mov_b32_e32 v5, 2
	s_waitcnt vmcnt(0) lgkmcnt(0)
	buffer_wbinvl1_vol
	global_store_byte v4, v5, s[52:53]
.LBB905_177:
	s_or_b64 exec, exec, s[4:5]
	s_and_b64 exec, exec, s[0:1]
	s_cbranch_execz .LBB905_179
; %bb.178:
	v_mov_b32_e32 v4, 0
	ds_write_b64 v4, v[20:21]
	ds_write_b8 v4, v64 offset:8
.LBB905_179:
	s_or_b64 exec, exec, s[56:57]
	v_mov_b32_e32 v8, 0
	v_cmp_eq_u16_sdwa vcc, v1, v8 src0_sel:BYTE_0 src1_sel:DWORD
	v_and_b32_e32 v13, 1, v1
	v_cndmask_b32_e32 v9, 0, v33, vcc
	v_cndmask_b32_e32 v12, 0, v37, vcc
	v_cmp_eq_u32_e32 vcc, 1, v13
	v_and_b32_e32 v13, 1, v32
	s_waitcnt lgkmcnt(0)
	; wave barrier
	s_waitcnt lgkmcnt(0)
	ds_read_b64 v[4:5], v8
	v_cmp_eq_u32_e64 s[4:5], 1, v13
	s_or_b64 s[4:5], vcc, s[4:5]
	v_cndmask_b32_e64 v9, v9, 0, s[0:1]
	v_cndmask_b32_e64 v13, 0, 1, s[4:5]
	;; [unrolled: 1-line block ×3, first 2 shown]
	v_add_co_u32_e32 v9, vcc, v9, v2
	v_cndmask_b32_e64 v13, v13, v1, s[0:1]
	v_addc_co_u32_e32 v12, vcc, v12, v3, vcc
	v_cmp_eq_u16_sdwa vcc, v13, v8 src0_sel:BYTE_0 src1_sel:DWORD
	s_waitcnt lgkmcnt(0)
	v_cndmask_b32_e32 v4, 0, v4, vcc
	v_cndmask_b32_e32 v5, 0, v5, vcc
	v_add_co_u32_e32 v102, vcc, v9, v4
	v_addc_co_u32_e32 v103, vcc, v12, v5, vcc
	v_cndmask_b32_e64 v5, 0, v102, s[42:43]
	v_cndmask_b32_e64 v4, 0, v103, s[42:43]
	v_add_co_u32_e32 v40, vcc, v5, v14
	v_addc_co_u32_e32 v41, vcc, v4, v15, vcc
	v_cndmask_b32_e64 v5, 0, v40, s[40:41]
	v_cndmask_b32_e64 v4, 0, v41, s[40:41]
	;; [unrolled: 4-line block ×18, first 2 shown]
	v_add_co_u32_e32 v108, vcc, v5, v16
	v_addc_co_u32_e32 v109, vcc, v4, v17, vcc
	s_branch .LBB905_202
.LBB905_180:
                                        ; implicit-def: $vgpr100_vgpr101_vgpr102_vgpr103
                                        ; implicit-def: $vgpr108_vgpr109
                                        ; implicit-def: $vgpr106_vgpr107
                                        ; implicit-def: $vgpr68_vgpr69
                                        ; implicit-def: $vgpr64_vgpr65
                                        ; implicit-def: $vgpr60_vgpr61
                                        ; implicit-def: $vgpr56_vgpr57
                                        ; implicit-def: $vgpr52_vgpr53
                                        ; implicit-def: $vgpr48_vgpr49
                                        ; implicit-def: $vgpr44_vgpr45
                                        ; implicit-def: $vgpr40_vgpr41
                                        ; implicit-def: $vgpr96_vgpr97_vgpr98_vgpr99
                                        ; implicit-def: $vgpr92_vgpr93_vgpr94_vgpr95
                                        ; implicit-def: $vgpr88_vgpr89_vgpr90_vgpr91
                                        ; implicit-def: $vgpr84_vgpr85_vgpr86_vgpr87
                                        ; implicit-def: $vgpr80_vgpr81_vgpr82_vgpr83
                                        ; implicit-def: $vgpr76_vgpr77_vgpr78_vgpr79
                                        ; implicit-def: $vgpr72_vgpr73_vgpr74_vgpr75
                                        ; implicit-def: $vgpr102_vgpr103_vgpr104_vgpr105
	s_cbranch_execz .LBB905_202
; %bb.181:
	s_cmp_lg_u64 s[68:69], 0
	s_cselect_b32 s7, s59, 0
	s_cselect_b32 s6, s58, 0
	s_cmp_lg_u64 s[6:7], 0
	s_cselect_b64 s[4:5], -1, 0
	s_and_b64 s[8:9], s[0:1], s[4:5]
	s_and_saveexec_b64 s[4:5], s[8:9]
	s_cbranch_execz .LBB905_183
; %bb.182:
	s_waitcnt vmcnt(0)
	v_mov_b32_e32 v8, 0
	global_load_dwordx2 v[4:5], v8, s[6:7]
	global_load_ubyte v9, v8, s[6:7] offset:8
	v_cmp_eq_u16_sdwa vcc, v1, v8 src0_sel:BYTE_0 src1_sel:DWORD
	s_waitcnt vmcnt(1)
	v_cndmask_b32_e32 v4, 0, v4, vcc
	v_cndmask_b32_e32 v5, 0, v5, vcc
	s_waitcnt vmcnt(0)
	v_or_b32_e32 v1, v1, v9
	v_add_co_u32_e32 v2, vcc, v4, v2
	v_addc_co_u32_e32 v3, vcc, v5, v3, vcc
	v_and_b32_e32 v1, 1, v1
.LBB905_183:
	s_or_b64 exec, exec, s[4:5]
	v_mov_b32_e32 v5, 0
	v_cmp_eq_u16_sdwa vcc, v112, v5 src0_sel:BYTE_0 src1_sel:DWORD
	s_waitcnt vmcnt(0)
	v_cndmask_b32_e32 v9, 0, v2, vcc
	v_cndmask_b32_e32 v8, 0, v3, vcc
	v_add_co_u32_e64 v40, s[4:5], v9, v14
	v_cmp_eq_u16_sdwa s[6:7], v111, v5 src0_sel:BYTE_0 src1_sel:DWORD
	v_addc_co_u32_e64 v41, s[4:5], v8, v15, s[4:5]
	v_cndmask_b32_e64 v9, 0, v40, s[6:7]
	v_cndmask_b32_e64 v8, 0, v41, s[6:7]
	v_add_co_u32_e64 v72, s[4:5], v9, v10
	v_cmp_eq_u16_sdwa s[8:9], v113, v5 src0_sel:BYTE_0 src1_sel:DWORD
	v_addc_co_u32_e64 v73, s[4:5], v8, v11, s[4:5]
	v_cndmask_b32_e64 v9, 0, v72, s[8:9]
	v_cndmask_b32_e64 v8, 0, v73, s[8:9]
	v_add_co_u32_e64 v44, s[4:5], v9, v22
	v_cmp_eq_u16_sdwa s[10:11], v114, v5 src0_sel:BYTE_0 src1_sel:DWORD
	v_addc_co_u32_e64 v45, s[4:5], v8, v23, s[4:5]
	v_cndmask_b32_e64 v9, 0, v44, s[10:11]
	v_cndmask_b32_e64 v8, 0, v45, s[10:11]
	v_add_co_u32_e64 v76, s[4:5], v9, v18
	v_cmp_eq_u16_sdwa s[12:13], v115, v5 src0_sel:BYTE_0 src1_sel:DWORD
	v_addc_co_u32_e64 v77, s[4:5], v8, v19, s[4:5]
	v_cndmask_b32_e64 v9, 0, v76, s[12:13]
	v_cndmask_b32_e64 v8, 0, v77, s[12:13]
	v_add_co_u32_e64 v48, s[4:5], v9, v34
	v_cmp_eq_u16_sdwa s[14:15], v116, v5 src0_sel:BYTE_0 src1_sel:DWORD
	v_addc_co_u32_e64 v49, s[4:5], v8, v35, s[4:5]
	v_cndmask_b32_e64 v9, 0, v48, s[14:15]
	v_cndmask_b32_e64 v8, 0, v49, s[14:15]
	v_add_co_u32_e64 v80, s[4:5], v9, v26
	v_cmp_eq_u16_sdwa s[16:17], v117, v5 src0_sel:BYTE_0 src1_sel:DWORD
	v_addc_co_u32_e64 v81, s[4:5], v8, v27, s[4:5]
	v_cndmask_b32_e64 v9, 0, v80, s[16:17]
	v_cndmask_b32_e64 v8, 0, v81, s[16:17]
	v_add_co_u32_e64 v52, s[4:5], v9, v42
	v_cmp_eq_u16_sdwa s[18:19], v118, v5 src0_sel:BYTE_0 src1_sel:DWORD
	v_addc_co_u32_e64 v53, s[4:5], v8, v43, s[4:5]
	v_cndmask_b32_e64 v9, 0, v52, s[18:19]
	v_cndmask_b32_e64 v8, 0, v53, s[18:19]
	v_add_co_u32_e64 v84, s[4:5], v9, v30
	v_cmp_eq_u16_sdwa s[20:21], v119, v5 src0_sel:BYTE_0 src1_sel:DWORD
	v_addc_co_u32_e64 v85, s[4:5], v8, v31, s[4:5]
	v_cndmask_b32_e64 v9, 0, v84, s[20:21]
	v_cndmask_b32_e64 v8, 0, v85, s[20:21]
	v_add_co_u32_e64 v56, s[4:5], v9, v50
	v_cmp_eq_u16_sdwa s[22:23], v120, v5 src0_sel:BYTE_0 src1_sel:DWORD
	v_addc_co_u32_e64 v57, s[4:5], v8, v51, s[4:5]
	v_cndmask_b32_e64 v9, 0, v56, s[22:23]
	v_cndmask_b32_e64 v8, 0, v57, s[22:23]
	v_add_co_u32_e64 v88, s[4:5], v9, v38
	v_cmp_eq_u16_sdwa s[24:25], v121, v5 src0_sel:BYTE_0 src1_sel:DWORD
	v_addc_co_u32_e64 v89, s[4:5], v8, v39, s[4:5]
	v_cndmask_b32_e64 v9, 0, v88, s[24:25]
	v_cndmask_b32_e64 v8, 0, v89, s[24:25]
	v_add_co_u32_e64 v60, s[4:5], v9, v58
	v_cmp_eq_u16_sdwa s[26:27], v122, v5 src0_sel:BYTE_0 src1_sel:DWORD
	v_addc_co_u32_e64 v61, s[4:5], v8, v59, s[4:5]
	v_cndmask_b32_e64 v9, 0, v60, s[26:27]
	v_cndmask_b32_e64 v8, 0, v61, s[26:27]
	v_add_co_u32_e64 v92, s[4:5], v9, v46
	v_cmp_eq_u16_sdwa s[28:29], v123, v5 src0_sel:BYTE_0 src1_sel:DWORD
	v_addc_co_u32_e64 v93, s[4:5], v8, v47, s[4:5]
	v_cndmask_b32_e64 v9, 0, v92, s[28:29]
	v_cndmask_b32_e64 v8, 0, v93, s[28:29]
	v_add_co_u32_e64 v64, s[4:5], v9, v66
	v_cmp_eq_u16_sdwa s[30:31], v124, v5 src0_sel:BYTE_0 src1_sel:DWORD
	v_addc_co_u32_e64 v65, s[4:5], v8, v67, s[4:5]
	v_cndmask_b32_e64 v9, 0, v64, s[30:31]
	v_cndmask_b32_e64 v8, 0, v65, s[30:31]
	v_add_co_u32_e64 v96, s[4:5], v9, v54
	v_cmp_eq_u16_sdwa s[34:35], v125, v5 src0_sel:BYTE_0 src1_sel:DWORD
	v_addc_co_u32_e64 v97, s[4:5], v8, v55, s[4:5]
	v_cndmask_b32_e64 v9, 0, v96, s[34:35]
	v_cndmask_b32_e64 v8, 0, v97, s[34:35]
	v_add_co_u32_e64 v68, s[4:5], v9, v70
	v_cmp_eq_u16_sdwa s[36:37], v126, v5 src0_sel:BYTE_0 src1_sel:DWORD
	v_addc_co_u32_e64 v69, s[4:5], v8, v71, s[4:5]
	v_cndmask_b32_e64 v9, 0, v68, s[36:37]
	v_cndmask_b32_e64 v8, 0, v69, s[36:37]
	v_add_co_u32_e64 v100, s[4:5], v9, v62
	v_cmp_eq_u16_sdwa s[38:39], v110, v5 src0_sel:BYTE_0 src1_sel:DWORD
	v_addc_co_u32_e64 v101, s[4:5], v8, v63, s[4:5]
	v_cndmask_b32_e64 v9, 0, v100, s[38:39]
	v_cndmask_b32_e64 v8, 0, v101, s[38:39]
	v_add_co_u32_e64 v106, s[4:5], v9, v6
	v_cmp_eq_u16_sdwa s[40:41], v36, v5 src0_sel:BYTE_0 src1_sel:DWORD
	v_addc_co_u32_e64 v107, s[4:5], v8, v7, s[4:5]
	v_cndmask_b32_e64 v8, 0, v106, s[40:41]
	v_cndmask_b32_e64 v5, 0, v107, s[40:41]
	v_add_co_u32_e64 v108, s[4:5], v8, v16
	v_addc_co_u32_e64 v109, s[4:5], v5, v17, s[4:5]
	v_or_b32_e32 v5, v29, v125
	v_or_b32_e32 v5, v5, v124
	;; [unrolled: 1-line block ×15, first 2 shown]
	v_and_b32_e32 v5, 1, v5
	v_and_b32_e32 v4, 0xff, v1
	v_cmp_eq_u32_e64 s[4:5], 1, v5
	v_mbcnt_hi_u32_b32 v12, -1, v28
	v_cndmask_b32_e64 v13, v4, 1, s[4:5]
	v_and_b32_e32 v20, 15, v12
	v_mov_b32_dpp v24, v108 row_shr:1 row_mask:0xf bank_mask:0xf
	v_mov_b32_dpp v25, v109 row_shr:1 row_mask:0xf bank_mask:0xf
	;; [unrolled: 1-line block ×3, first 2 shown]
	v_cmp_ne_u32_e64 s[4:5], 0, v20
	v_pk_mov_b32 v[4:5], v[108:109], v[108:109] op_sel:[0,1]
	v_mov_b32_e32 v9, v109
	v_mov_b32_e32 v8, v108
	s_and_saveexec_b64 s[42:43], s[4:5]
; %bb.184:
	v_cmp_eq_u32_e64 s[4:5], 0, v13
	v_cndmask_b32_e64 v4, 0, v24, s[4:5]
	v_cndmask_b32_e64 v5, 0, v25, s[4:5]
	v_add_co_u32_e64 v4, s[4:5], v108, v4
	v_addc_co_u32_e64 v5, s[4:5], v109, v5, s[4:5]
	v_and_or_b32 v13, v21, 1, v13
	v_mov_b32_e32 v9, v5
	v_mov_b32_e32 v8, v4
; %bb.185:
	s_or_b64 exec, exec, s[42:43]
	s_nop 0
	v_mov_b32_dpp v24, v8 row_shr:2 row_mask:0xf bank_mask:0xf
	v_mov_b32_dpp v25, v9 row_shr:2 row_mask:0xf bank_mask:0xf
	v_mov_b32_dpp v21, v13 row_shr:2 row_mask:0xf bank_mask:0xf
	v_cmp_lt_u32_e64 s[4:5], 1, v20
	s_and_saveexec_b64 s[42:43], s[4:5]
; %bb.186:
	v_cmp_eq_u32_e64 s[4:5], 0, v13
	v_cndmask_b32_e64 v8, 0, v24, s[4:5]
	v_cndmask_b32_e64 v9, 0, v25, s[4:5]
	v_add_co_u32_e64 v8, s[4:5], v8, v4
	v_addc_co_u32_e64 v9, s[4:5], v9, v5, s[4:5]
	v_or_b32_e32 v4, v21, v13
	v_and_b32_e32 v13, 1, v4
	v_pk_mov_b32 v[4:5], v[8:9], v[8:9] op_sel:[0,1]
; %bb.187:
	s_or_b64 exec, exec, s[42:43]
	v_mov_b32_dpp v24, v8 row_shr:4 row_mask:0xf bank_mask:0xf
	v_mov_b32_dpp v25, v9 row_shr:4 row_mask:0xf bank_mask:0xf
	v_mov_b32_dpp v21, v13 row_shr:4 row_mask:0xf bank_mask:0xf
	v_cmp_lt_u32_e64 s[4:5], 3, v20
	s_and_saveexec_b64 s[42:43], s[4:5]
; %bb.188:
	v_cmp_eq_u32_e64 s[4:5], 0, v13
	v_cndmask_b32_e64 v8, 0, v24, s[4:5]
	v_cndmask_b32_e64 v9, 0, v25, s[4:5]
	v_add_co_u32_e64 v8, s[4:5], v8, v4
	v_addc_co_u32_e64 v9, s[4:5], v9, v5, s[4:5]
	v_or_b32_e32 v4, v21, v13
	v_and_b32_e32 v13, 1, v4
	v_pk_mov_b32 v[4:5], v[8:9], v[8:9] op_sel:[0,1]
; %bb.189:
	s_or_b64 exec, exec, s[42:43]
	;; [unrolled: 16-line block ×3, first 2 shown]
	v_and_b32_e32 v25, 16, v12
	v_mov_b32_dpp v21, v8 row_bcast:15 row_mask:0xf bank_mask:0xf
	v_mov_b32_dpp v24, v9 row_bcast:15 row_mask:0xf bank_mask:0xf
	;; [unrolled: 1-line block ×3, first 2 shown]
	v_cmp_ne_u32_e64 s[4:5], 0, v25
	s_and_saveexec_b64 s[42:43], s[4:5]
; %bb.192:
	v_cmp_eq_u32_e64 s[4:5], 0, v13
	v_cndmask_b32_e64 v9, 0, v21, s[4:5]
	v_cndmask_b32_e64 v8, 0, v24, s[4:5]
	v_add_co_u32_e64 v4, s[4:5], v9, v4
	v_addc_co_u32_e64 v5, s[4:5], v8, v5, s[4:5]
	v_or_b32_e32 v8, v20, v13
	v_and_b32_e32 v13, 1, v8
	v_mov_b32_e32 v9, v5
	v_mov_b32_e32 v8, v4
; %bb.193:
	s_or_b64 exec, exec, s[42:43]
	s_nop 0
	v_mov_b32_dpp v20, v8 row_bcast:31 row_mask:0xf bank_mask:0xf
	v_mov_b32_dpp v9, v9 row_bcast:31 row_mask:0xf bank_mask:0xf
	;; [unrolled: 1-line block ×3, first 2 shown]
	v_cmp_lt_u32_e64 s[4:5], 31, v12
	s_and_saveexec_b64 s[42:43], s[4:5]
; %bb.194:
	v_cmp_eq_u32_e64 s[4:5], 0, v13
	v_cndmask_b32_e64 v20, 0, v20, s[4:5]
	v_cndmask_b32_e64 v9, 0, v9, s[4:5]
	v_add_co_u32_e64 v4, s[4:5], v20, v4
	v_or_b32_e32 v8, v8, v13
	v_addc_co_u32_e64 v5, s[4:5], v9, v5, s[4:5]
	v_and_b32_e32 v13, 1, v8
; %bb.195:
	s_or_b64 exec, exec, s[42:43]
	v_cmp_eq_u32_e64 s[4:5], 63, v0
	s_and_saveexec_b64 s[42:43], s[4:5]
	s_cbranch_execz .LBB905_197
; %bb.196:
	v_mov_b32_e32 v8, 0
	ds_write_b64 v8, v[4:5]
	ds_write_b8 v8, v13 offset:8
.LBB905_197:
	s_or_b64 exec, exec, s[42:43]
	v_add_u32_e32 v8, -1, v12
	v_and_b32_e32 v9, 64, v12
	v_cmp_lt_i32_e64 s[4:5], v8, v9
	v_cndmask_b32_e64 v8, v8, v12, s[4:5]
	v_lshlrev_b32_e32 v8, 2, v8
	ds_bpermute_b32 v4, v8, v4
	ds_bpermute_b32 v5, v8, v5
	s_waitcnt lgkmcnt(0)
	; wave barrier
	s_waitcnt lgkmcnt(0)
	s_and_saveexec_b64 s[42:43], s[46:47]
	s_cbranch_execz .LBB905_199
; %bb.198:
	v_mov_b32_e32 v8, 0
	v_cmp_eq_u16_sdwa s[4:5], v1, v8 src0_sel:BYTE_0 src1_sel:DWORD
	v_cndmask_b32_e64 v4, 0, v4, s[4:5]
	v_cndmask_b32_e64 v1, 0, v5, s[4:5]
	v_add_co_u32_e64 v2, s[4:5], v4, v2
	v_addc_co_u32_e64 v3, s[4:5], v1, v3, s[4:5]
	v_cndmask_b32_e32 v4, 0, v2, vcc
	v_cndmask_b32_e32 v1, 0, v3, vcc
	v_add_co_u32_e32 v40, vcc, v4, v14
	v_addc_co_u32_e32 v41, vcc, v1, v15, vcc
	v_cndmask_b32_e64 v4, 0, v40, s[6:7]
	v_cndmask_b32_e64 v1, 0, v41, s[6:7]
	v_add_co_u32_e32 v72, vcc, v4, v10
	v_addc_co_u32_e32 v73, vcc, v1, v11, vcc
	v_cndmask_b32_e64 v4, 0, v72, s[8:9]
	v_cndmask_b32_e64 v1, 0, v73, s[8:9]
	;; [unrolled: 4-line block ×17, first 2 shown]
	v_add_co_u32_e32 v108, vcc, v4, v16
	v_addc_co_u32_e32 v109, vcc, v1, v17, vcc
	;;#ASMSTART
	;;#ASMEND
.LBB905_199:
	s_or_b64 exec, exec, s[42:43]
	s_and_saveexec_b64 s[4:5], s[0:1]
	s_cbranch_execz .LBB905_201
; %bb.200:
	v_mov_b32_e32 v1, 0
	ds_read_b64 v[4:5], v1
	ds_read_u8 v6, v1 offset:8
	v_mov_b32_e32 v7, 2
	s_waitcnt lgkmcnt(1)
	global_store_dwordx2 v1, v[4:5], s[50:51] offset:1024
	s_waitcnt lgkmcnt(0)
	global_store_byte v1, v6, s[50:51] offset:1032
	s_waitcnt vmcnt(0)
	buffer_wbinvl1_vol
	global_store_byte v1, v7, s[52:53] offset:64
.LBB905_201:
	s_or_b64 exec, exec, s[4:5]
	v_pk_mov_b32 v[102:103], v[2:3], v[2:3] op_sel:[0,1]
.LBB905_202:
	s_add_u32 s0, s64, s66
	s_addc_u32 s1, s65, s67
	s_add_u32 s4, s0, s60
	s_addc_u32 s5, s1, s61
	s_and_b64 vcc, exec, s[2:3]
	s_cbranch_vccz .LBB905_240
; %bb.203:
	s_movk_i32 s0, 0x98
	v_mul_i32_i24_e32 v43, 0xffffff70, v0
	v_mul_u32_u24_e32 v42, 0x98, v0
	v_mad_u32_u24 v2, v0, s0, v43
	s_waitcnt lgkmcnt(0)
	; wave barrier
	ds_write2_b64 v42, v[102:103], v[40:41] offset1:1
	ds_write2_b64 v42, v[72:73], v[44:45] offset0:2 offset1:3
	ds_write2_b64 v42, v[76:77], v[48:49] offset0:4 offset1:5
	;; [unrolled: 1-line block ×8, first 2 shown]
	ds_write_b64 v42, v[108:109] offset:144
	s_waitcnt lgkmcnt(0)
	; wave barrier
	s_waitcnt lgkmcnt(0)
	ds_read2st64_b64 v[34:37], v2 offset0:1 offset1:2
	ds_read2st64_b64 v[30:33], v2 offset0:3 offset1:4
	;; [unrolled: 1-line block ×7, first 2 shown]
	s_waitcnt vmcnt(0)
	ds_read2st64_b64 v[6:9], v2 offset0:15 offset1:16
	ds_read2st64_b64 v[2:5], v2 offset0:17 offset1:18
	v_mov_b32_e32 v39, s5
	v_add_co_u32_e32 v38, vcc, s4, v127
	s_add_i32 s33, s33, s54
	v_addc_co_u32_e32 v39, vcc, 0, v39, vcc
	v_mov_b32_e32 v1, 0
	v_cmp_gt_u32_e32 vcc, s33, v0
	s_and_saveexec_b64 s[0:1], vcc
	s_cbranch_execz .LBB905_205
; %bb.204:
	v_add_u32_e32 v42, v42, v43
	ds_read_b64 v[42:43], v42
	s_waitcnt lgkmcnt(0)
	flat_store_dwordx2 v[38:39], v[42:43]
.LBB905_205:
	s_or_b64 exec, exec, s[0:1]
	v_or_b32_e32 v42, 64, v0
	v_cmp_gt_u32_e32 vcc, s33, v42
	s_and_saveexec_b64 s[0:1], vcc
	s_cbranch_execz .LBB905_207
; %bb.206:
	s_waitcnt lgkmcnt(0)
	flat_store_dwordx2 v[38:39], v[34:35] offset:512
.LBB905_207:
	s_or_b64 exec, exec, s[0:1]
	s_waitcnt lgkmcnt(0)
	v_or_b32_e32 v34, 0x80, v0
	v_cmp_gt_u32_e32 vcc, s33, v34
	s_and_saveexec_b64 s[0:1], vcc
	s_cbranch_execz .LBB905_209
; %bb.208:
	flat_store_dwordx2 v[38:39], v[36:37] offset:1024
.LBB905_209:
	s_or_b64 exec, exec, s[0:1]
	v_or_b32_e32 v34, 0xc0, v0
	v_cmp_gt_u32_e32 vcc, s33, v34
	s_and_saveexec_b64 s[0:1], vcc
	s_cbranch_execz .LBB905_211
; %bb.210:
	flat_store_dwordx2 v[38:39], v[30:31] offset:1536
.LBB905_211:
	s_or_b64 exec, exec, s[0:1]
	;; [unrolled: 8-line block ×6, first 2 shown]
	v_or_b32_e32 v22, 0x200, v0
	v_cmp_gt_u32_e32 vcc, s33, v22
	s_and_saveexec_b64 s[0:1], vcc
	s_cbranch_execz .LBB905_221
; %bb.220:
	v_add_co_u32_e32 v22, vcc, 0x1000, v38
	v_addc_co_u32_e32 v23, vcc, 0, v39, vcc
	flat_store_dwordx2 v[22:23], v[24:25]
.LBB905_221:
	s_or_b64 exec, exec, s[0:1]
	v_or_b32_e32 v22, 0x240, v0
	v_cmp_gt_u32_e32 vcc, s33, v22
	s_and_saveexec_b64 s[0:1], vcc
	s_cbranch_execz .LBB905_223
; %bb.222:
	v_add_co_u32_e32 v22, vcc, 0x1000, v38
	v_addc_co_u32_e32 v23, vcc, 0, v39, vcc
	flat_store_dwordx2 v[22:23], v[18:19] offset:512
.LBB905_223:
	s_or_b64 exec, exec, s[0:1]
	v_or_b32_e32 v18, 0x280, v0
	v_cmp_gt_u32_e32 vcc, s33, v18
	s_and_saveexec_b64 s[0:1], vcc
	s_cbranch_execz .LBB905_225
; %bb.224:
	v_add_co_u32_e32 v18, vcc, 0x1000, v38
	v_addc_co_u32_e32 v19, vcc, 0, v39, vcc
	flat_store_dwordx2 v[18:19], v[20:21] offset:1024
.LBB905_225:
	;; [unrolled: 10-line block ×7, first 2 shown]
	s_or_b64 exec, exec, s[0:1]
	v_or_b32_e32 v6, 0x400, v0
	v_cmp_gt_u32_e32 vcc, s33, v6
	s_and_saveexec_b64 s[0:1], vcc
	s_cbranch_execz .LBB905_237
; %bb.236:
	v_add_co_u32_e32 v6, vcc, 0x2000, v38
	v_addc_co_u32_e32 v7, vcc, 0, v39, vcc
	flat_store_dwordx2 v[6:7], v[8:9]
.LBB905_237:
	s_or_b64 exec, exec, s[0:1]
	v_or_b32_e32 v6, 0x440, v0
	v_cmp_gt_u32_e32 vcc, s33, v6
	s_and_saveexec_b64 s[0:1], vcc
	s_cbranch_execz .LBB905_239
; %bb.238:
	v_add_co_u32_e32 v6, vcc, 0x2000, v38
	v_addc_co_u32_e32 v7, vcc, 0, v39, vcc
	flat_store_dwordx2 v[6:7], v[2:3] offset:512
.LBB905_239:
	s_or_b64 exec, exec, s[0:1]
	v_or_b32_e32 v2, 0x480, v0
	v_cmp_gt_u32_e64 s[0:1], s33, v2
	s_branch .LBB905_242
.LBB905_240:
	s_mov_b64 s[0:1], 0
                                        ; implicit-def: $vgpr4_vgpr5
	s_cbranch_execz .LBB905_242
; %bb.241:
	s_movk_i32 s2, 0x98
	v_mul_i32_i24_e32 v2, 0xffffff70, v0
	v_mul_u32_u24_e32 v1, 0x98, v0
	v_mad_u32_u24 v2, v0, s2, v2
	s_waitcnt lgkmcnt(0)
	; wave barrier
	s_waitcnt lgkmcnt(0)
	ds_write2_b64 v1, v[102:103], v[40:41] offset1:1
	ds_write2_b64 v1, v[72:73], v[44:45] offset0:2 offset1:3
	ds_write2_b64 v1, v[76:77], v[48:49] offset0:4 offset1:5
	;; [unrolled: 1-line block ×8, first 2 shown]
	ds_write_b64 v1, v[108:109] offset:144
	s_waitcnt lgkmcnt(0)
	; wave barrier
	s_waitcnt vmcnt(0) lgkmcnt(0)
	ds_read2st64_b64 v[6:9], v2 offset1:1
	ds_read2st64_b64 v[10:13], v2 offset0:2 offset1:3
	ds_read2st64_b64 v[14:17], v2 offset0:4 offset1:5
	ds_read2st64_b64 v[18:21], v2 offset0:6 offset1:7
	ds_read2st64_b64 v[22:25], v2 offset0:8 offset1:9
	ds_read2st64_b64 v[26:29], v2 offset0:10 offset1:11
	ds_read2st64_b64 v[30:33], v2 offset0:12 offset1:13
	ds_read2st64_b64 v[34:37], v2 offset0:14 offset1:15
	ds_read2st64_b64 v[38:41], v2 offset0:16 offset1:17
	ds_read_b64 v[4:5], v2 offset:9216
	v_mov_b32_e32 v3, s5
	v_add_co_u32_e32 v2, vcc, s4, v127
	v_addc_co_u32_e32 v3, vcc, 0, v3, vcc
	s_movk_i32 s2, 0x1000
	s_waitcnt lgkmcnt(9)
	flat_store_dwordx2 v[2:3], v[6:7]
	flat_store_dwordx2 v[2:3], v[8:9] offset:512
	s_waitcnt lgkmcnt(0)
	flat_store_dwordx2 v[2:3], v[10:11] offset:1024
	flat_store_dwordx2 v[2:3], v[12:13] offset:1536
	flat_store_dwordx2 v[2:3], v[14:15] offset:2048
	flat_store_dwordx2 v[2:3], v[16:17] offset:2560
	flat_store_dwordx2 v[2:3], v[18:19] offset:3072
	flat_store_dwordx2 v[2:3], v[20:21] offset:3584
	v_add_co_u32_e32 v6, vcc, s2, v2
	v_addc_co_u32_e32 v7, vcc, 0, v3, vcc
	v_add_co_u32_e32 v2, vcc, 0x2000, v2
	v_mov_b32_e32 v1, 0
	v_addc_co_u32_e32 v3, vcc, 0, v3, vcc
	s_or_b64 s[0:1], s[0:1], exec
	flat_store_dwordx2 v[6:7], v[22:23]
	flat_store_dwordx2 v[6:7], v[24:25] offset:512
	flat_store_dwordx2 v[6:7], v[26:27] offset:1024
	;; [unrolled: 1-line block ×7, first 2 shown]
	flat_store_dwordx2 v[2:3], v[38:39]
	flat_store_dwordx2 v[2:3], v[40:41] offset:512
.LBB905_242:
	s_and_saveexec_b64 s[2:3], s[0:1]
	s_cbranch_execnz .LBB905_244
; %bb.243:
	s_endpgm
.LBB905_244:
	v_lshlrev_b64 v[0:1], 3, v[0:1]
	v_mov_b32_e32 v2, s5
	v_add_co_u32_e32 v0, vcc, s4, v0
	v_addc_co_u32_e32 v1, vcc, v2, v1, vcc
	v_add_co_u32_e32 v0, vcc, 0x2000, v0
	v_addc_co_u32_e32 v1, vcc, 0, v1, vcc
	flat_store_dwordx2 v[0:1], v[4:5] offset:1024
	s_endpgm
.LBB905_245:
	global_load_dwordx2 v[2:3], v51, s[70:71]
	s_waitcnt vmcnt(0)
	v_sub_co_u32_e32 v2, vcc, 0, v2
	v_subb_co_u32_e32 v3, vcc, 0, v3, vcc
	s_or_b64 exec, exec, s[4:5]
                                        ; implicit-def: $vgpr6_vgpr7
	s_and_saveexec_b64 s[4:5], s[8:9]
	s_cbranch_execz .LBB905_51
.LBB905_246:
	global_load_dwordx2 v[6:7], v51, s[70:71] offset:512
	s_waitcnt vmcnt(0)
	v_sub_co_u32_e32 v6, vcc, 0, v6
	v_subb_co_u32_e32 v7, vcc, 0, v7, vcc
	s_or_b64 exec, exec, s[4:5]
                                        ; implicit-def: $vgpr10_vgpr11
	s_and_saveexec_b64 s[4:5], s[10:11]
	s_cbranch_execz .LBB905_52
.LBB905_247:
	global_load_dwordx2 v[10:11], v51, s[70:71] offset:1024
	s_waitcnt vmcnt(0)
	v_sub_co_u32_e32 v10, vcc, 0, v10
	v_subb_co_u32_e32 v11, vcc, 0, v11, vcc
	s_or_b64 exec, exec, s[4:5]
                                        ; implicit-def: $vgpr12_vgpr13
	s_and_saveexec_b64 s[4:5], s[12:13]
	s_cbranch_execz .LBB905_53
.LBB905_248:
	global_load_dwordx2 v[12:13], v51, s[70:71] offset:1536
	s_waitcnt vmcnt(0)
	v_sub_co_u32_e32 v12, vcc, 0, v12
	v_subb_co_u32_e32 v13, vcc, 0, v13, vcc
	s_or_b64 exec, exec, s[4:5]
                                        ; implicit-def: $vgpr14_vgpr15
	s_and_saveexec_b64 s[4:5], s[14:15]
	s_cbranch_execz .LBB905_54
.LBB905_249:
	global_load_dwordx2 v[14:15], v51, s[70:71] offset:2048
	s_waitcnt vmcnt(0)
	v_sub_co_u32_e32 v14, vcc, 0, v14
	v_subb_co_u32_e32 v15, vcc, 0, v15, vcc
	s_or_b64 exec, exec, s[4:5]
                                        ; implicit-def: $vgpr16_vgpr17
	s_and_saveexec_b64 s[4:5], s[16:17]
	s_cbranch_execz .LBB905_55
.LBB905_250:
	global_load_dwordx2 v[16:17], v51, s[70:71] offset:2560
	s_waitcnt vmcnt(0)
	v_sub_co_u32_e32 v16, vcc, 0, v16
	v_subb_co_u32_e32 v17, vcc, 0, v17, vcc
	s_or_b64 exec, exec, s[4:5]
                                        ; implicit-def: $vgpr18_vgpr19
	s_and_saveexec_b64 s[4:5], s[18:19]
	s_cbranch_execz .LBB905_56
.LBB905_251:
	global_load_dwordx2 v[18:19], v51, s[70:71] offset:3072
	s_waitcnt vmcnt(0)
	v_sub_co_u32_e32 v18, vcc, 0, v18
	v_subb_co_u32_e32 v19, vcc, 0, v19, vcc
	s_or_b64 exec, exec, s[4:5]
                                        ; implicit-def: $vgpr20_vgpr21
	s_and_saveexec_b64 s[4:5], s[20:21]
	s_cbranch_execz .LBB905_57
.LBB905_252:
	global_load_dwordx2 v[20:21], v51, s[70:71] offset:3584
	s_waitcnt vmcnt(0)
	v_sub_co_u32_e32 v20, vcc, 0, v20
	v_subb_co_u32_e32 v21, vcc, 0, v21, vcc
	s_or_b64 exec, exec, s[4:5]
                                        ; implicit-def: $vgpr22_vgpr23
	s_and_saveexec_b64 s[4:5], s[22:23]
	s_cbranch_execz .LBB905_58
.LBB905_253:
	v_lshlrev_b32_e32 v1, 3, v1
	global_load_dwordx2 v[22:23], v1, s[70:71]
	s_waitcnt vmcnt(0)
	v_sub_co_u32_e32 v22, vcc, 0, v22
	v_subb_co_u32_e32 v23, vcc, 0, v23, vcc
	s_or_b64 exec, exec, s[4:5]
                                        ; implicit-def: $vgpr24_vgpr25
	s_and_saveexec_b64 s[4:5], s[24:25]
	s_cbranch_execz .LBB905_59
.LBB905_254:
	v_lshlrev_b32_e32 v1, 3, v40
	global_load_dwordx2 v[24:25], v1, s[70:71]
	s_waitcnt vmcnt(0)
	v_sub_co_u32_e32 v24, vcc, 0, v24
	v_subb_co_u32_e32 v25, vcc, 0, v25, vcc
	s_or_b64 exec, exec, s[4:5]
                                        ; implicit-def: $vgpr26_vgpr27
	s_and_saveexec_b64 s[4:5], s[26:27]
	s_cbranch_execz .LBB905_60
.LBB905_255:
	v_lshlrev_b32_e32 v1, 3, v41
	global_load_dwordx2 v[26:27], v1, s[70:71]
	s_waitcnt vmcnt(0)
	v_sub_co_u32_e32 v26, vcc, 0, v26
	v_subb_co_u32_e32 v27, vcc, 0, v27, vcc
	s_or_b64 exec, exec, s[4:5]
                                        ; implicit-def: $vgpr28_vgpr29
	s_and_saveexec_b64 s[4:5], s[28:29]
	s_cbranch_execz .LBB905_61
.LBB905_256:
	v_lshlrev_b32_e32 v1, 3, v42
	global_load_dwordx2 v[28:29], v1, s[70:71]
	s_waitcnt vmcnt(0)
	v_sub_co_u32_e32 v28, vcc, 0, v28
	v_subb_co_u32_e32 v29, vcc, 0, v29, vcc
	s_or_b64 exec, exec, s[4:5]
                                        ; implicit-def: $vgpr30_vgpr31
	s_and_saveexec_b64 s[4:5], s[30:31]
	s_cbranch_execz .LBB905_62
.LBB905_257:
	v_lshlrev_b32_e32 v1, 3, v43
	global_load_dwordx2 v[30:31], v1, s[70:71]
	s_waitcnt vmcnt(0)
	v_sub_co_u32_e32 v30, vcc, 0, v30
	v_subb_co_u32_e32 v31, vcc, 0, v31, vcc
	s_or_b64 exec, exec, s[4:5]
                                        ; implicit-def: $vgpr32_vgpr33
	s_and_saveexec_b64 s[4:5], s[34:35]
	s_cbranch_execz .LBB905_63
.LBB905_258:
	v_lshlrev_b32_e32 v1, 3, v44
	global_load_dwordx2 v[32:33], v1, s[70:71]
	s_waitcnt vmcnt(0)
	v_sub_co_u32_e32 v32, vcc, 0, v32
	v_subb_co_u32_e32 v33, vcc, 0, v33, vcc
	s_or_b64 exec, exec, s[4:5]
                                        ; implicit-def: $vgpr34_vgpr35
	s_and_saveexec_b64 s[4:5], s[36:37]
	s_cbranch_execz .LBB905_64
.LBB905_259:
	v_lshlrev_b32_e32 v1, 3, v45
	global_load_dwordx2 v[34:35], v1, s[70:71]
	s_waitcnt vmcnt(0)
	v_sub_co_u32_e32 v34, vcc, 0, v34
	v_subb_co_u32_e32 v35, vcc, 0, v35, vcc
	s_or_b64 exec, exec, s[4:5]
                                        ; implicit-def: $vgpr36_vgpr37
	s_and_saveexec_b64 s[4:5], s[38:39]
	s_cbranch_execz .LBB905_65
.LBB905_260:
	v_lshlrev_b32_e32 v1, 3, v46
	global_load_dwordx2 v[36:37], v1, s[70:71]
	s_waitcnt vmcnt(0)
	v_sub_co_u32_e32 v36, vcc, 0, v36
	v_subb_co_u32_e32 v37, vcc, 0, v37, vcc
	s_or_b64 exec, exec, s[4:5]
                                        ; implicit-def: $vgpr38_vgpr39
	s_and_saveexec_b64 s[4:5], s[40:41]
	s_cbranch_execz .LBB905_66
.LBB905_261:
	v_lshlrev_b32_e32 v1, 3, v47
	global_load_dwordx2 v[38:39], v1, s[70:71]
	s_waitcnt vmcnt(0)
	v_sub_co_u32_e32 v38, vcc, 0, v38
	v_subb_co_u32_e32 v39, vcc, 0, v39, vcc
	s_or_b64 exec, exec, s[4:5]
                                        ; implicit-def: $vgpr40_vgpr41
	s_and_saveexec_b64 s[4:5], s[42:43]
	s_cbranch_execz .LBB905_67
.LBB905_262:
	v_lshlrev_b32_e32 v1, 3, v49
	global_load_dwordx2 v[40:41], v1, s[70:71]
	s_waitcnt vmcnt(0)
	v_sub_co_u32_e32 v40, vcc, 0, v40
	v_subb_co_u32_e32 v41, vcc, 0, v41, vcc
	s_or_b64 exec, exec, s[4:5]
                                        ; implicit-def: $vgpr42_vgpr43
	s_and_saveexec_b64 s[4:5], s[44:45]
	s_cbranch_execnz .LBB905_68
	s_branch .LBB905_69
.LBB905_263:
                                        ; implicit-def: $sgpr4_sgpr5
	s_branch .LBB905_46
.LBB905_264:
                                        ; implicit-def: $sgpr4_sgpr5
	s_branch .LBB905_110
	.section	.rodata,"a",@progbits
	.p2align	6, 0x0
	.amdhsa_kernel _ZN7rocprim17ROCPRIM_400000_NS6detail17trampoline_kernelINS0_14default_configENS1_27scan_by_key_config_selectorIxxEEZZNS1_16scan_by_key_implILNS1_25lookback_scan_determinismE0ELb0ES3_N6thrust23THRUST_200600_302600_NS6detail15normal_iteratorINS9_10device_ptrIxEEEENS9_18transform_iteratorINS9_6negateIxEESE_NS9_11use_defaultESI_EESE_xNS9_4plusIvEENS9_8equal_toIvEExEE10hipError_tPvRmT2_T3_T4_T5_mT6_T7_P12ihipStream_tbENKUlT_T0_E_clISt17integral_constantIbLb1EES14_EEDaSZ_S10_EUlSZ_E_NS1_11comp_targetILNS1_3genE4ELNS1_11target_archE910ELNS1_3gpuE8ELNS1_3repE0EEENS1_30default_config_static_selectorELNS0_4arch9wavefront6targetE1EEEvT1_
		.amdhsa_group_segment_fixed_size 10752
		.amdhsa_private_segment_fixed_size 0
		.amdhsa_kernarg_size 144
		.amdhsa_user_sgpr_count 6
		.amdhsa_user_sgpr_private_segment_buffer 1
		.amdhsa_user_sgpr_dispatch_ptr 0
		.amdhsa_user_sgpr_queue_ptr 0
		.amdhsa_user_sgpr_kernarg_segment_ptr 1
		.amdhsa_user_sgpr_dispatch_id 0
		.amdhsa_user_sgpr_flat_scratch_init 0
		.amdhsa_user_sgpr_kernarg_preload_length 0
		.amdhsa_user_sgpr_kernarg_preload_offset 0
		.amdhsa_user_sgpr_private_segment_size 0
		.amdhsa_uses_dynamic_stack 0
		.amdhsa_system_sgpr_private_segment_wavefront_offset 0
		.amdhsa_system_sgpr_workgroup_id_x 1
		.amdhsa_system_sgpr_workgroup_id_y 0
		.amdhsa_system_sgpr_workgroup_id_z 0
		.amdhsa_system_sgpr_workgroup_info 0
		.amdhsa_system_vgpr_workitem_id 0
		.amdhsa_next_free_vgpr 128
		.amdhsa_next_free_sgpr 82
		.amdhsa_accum_offset 128
		.amdhsa_reserve_vcc 1
		.amdhsa_reserve_flat_scratch 0
		.amdhsa_float_round_mode_32 0
		.amdhsa_float_round_mode_16_64 0
		.amdhsa_float_denorm_mode_32 3
		.amdhsa_float_denorm_mode_16_64 3
		.amdhsa_dx10_clamp 1
		.amdhsa_ieee_mode 1
		.amdhsa_fp16_overflow 0
		.amdhsa_tg_split 0
		.amdhsa_exception_fp_ieee_invalid_op 0
		.amdhsa_exception_fp_denorm_src 0
		.amdhsa_exception_fp_ieee_div_zero 0
		.amdhsa_exception_fp_ieee_overflow 0
		.amdhsa_exception_fp_ieee_underflow 0
		.amdhsa_exception_fp_ieee_inexact 0
		.amdhsa_exception_int_div_zero 0
	.end_amdhsa_kernel
	.section	.text._ZN7rocprim17ROCPRIM_400000_NS6detail17trampoline_kernelINS0_14default_configENS1_27scan_by_key_config_selectorIxxEEZZNS1_16scan_by_key_implILNS1_25lookback_scan_determinismE0ELb0ES3_N6thrust23THRUST_200600_302600_NS6detail15normal_iteratorINS9_10device_ptrIxEEEENS9_18transform_iteratorINS9_6negateIxEESE_NS9_11use_defaultESI_EESE_xNS9_4plusIvEENS9_8equal_toIvEExEE10hipError_tPvRmT2_T3_T4_T5_mT6_T7_P12ihipStream_tbENKUlT_T0_E_clISt17integral_constantIbLb1EES14_EEDaSZ_S10_EUlSZ_E_NS1_11comp_targetILNS1_3genE4ELNS1_11target_archE910ELNS1_3gpuE8ELNS1_3repE0EEENS1_30default_config_static_selectorELNS0_4arch9wavefront6targetE1EEEvT1_,"axG",@progbits,_ZN7rocprim17ROCPRIM_400000_NS6detail17trampoline_kernelINS0_14default_configENS1_27scan_by_key_config_selectorIxxEEZZNS1_16scan_by_key_implILNS1_25lookback_scan_determinismE0ELb0ES3_N6thrust23THRUST_200600_302600_NS6detail15normal_iteratorINS9_10device_ptrIxEEEENS9_18transform_iteratorINS9_6negateIxEESE_NS9_11use_defaultESI_EESE_xNS9_4plusIvEENS9_8equal_toIvEExEE10hipError_tPvRmT2_T3_T4_T5_mT6_T7_P12ihipStream_tbENKUlT_T0_E_clISt17integral_constantIbLb1EES14_EEDaSZ_S10_EUlSZ_E_NS1_11comp_targetILNS1_3genE4ELNS1_11target_archE910ELNS1_3gpuE8ELNS1_3repE0EEENS1_30default_config_static_selectorELNS0_4arch9wavefront6targetE1EEEvT1_,comdat
.Lfunc_end905:
	.size	_ZN7rocprim17ROCPRIM_400000_NS6detail17trampoline_kernelINS0_14default_configENS1_27scan_by_key_config_selectorIxxEEZZNS1_16scan_by_key_implILNS1_25lookback_scan_determinismE0ELb0ES3_N6thrust23THRUST_200600_302600_NS6detail15normal_iteratorINS9_10device_ptrIxEEEENS9_18transform_iteratorINS9_6negateIxEESE_NS9_11use_defaultESI_EESE_xNS9_4plusIvEENS9_8equal_toIvEExEE10hipError_tPvRmT2_T3_T4_T5_mT6_T7_P12ihipStream_tbENKUlT_T0_E_clISt17integral_constantIbLb1EES14_EEDaSZ_S10_EUlSZ_E_NS1_11comp_targetILNS1_3genE4ELNS1_11target_archE910ELNS1_3gpuE8ELNS1_3repE0EEENS1_30default_config_static_selectorELNS0_4arch9wavefront6targetE1EEEvT1_, .Lfunc_end905-_ZN7rocprim17ROCPRIM_400000_NS6detail17trampoline_kernelINS0_14default_configENS1_27scan_by_key_config_selectorIxxEEZZNS1_16scan_by_key_implILNS1_25lookback_scan_determinismE0ELb0ES3_N6thrust23THRUST_200600_302600_NS6detail15normal_iteratorINS9_10device_ptrIxEEEENS9_18transform_iteratorINS9_6negateIxEESE_NS9_11use_defaultESI_EESE_xNS9_4plusIvEENS9_8equal_toIvEExEE10hipError_tPvRmT2_T3_T4_T5_mT6_T7_P12ihipStream_tbENKUlT_T0_E_clISt17integral_constantIbLb1EES14_EEDaSZ_S10_EUlSZ_E_NS1_11comp_targetILNS1_3genE4ELNS1_11target_archE910ELNS1_3gpuE8ELNS1_3repE0EEENS1_30default_config_static_selectorELNS0_4arch9wavefront6targetE1EEEvT1_
                                        ; -- End function
	.section	.AMDGPU.csdata,"",@progbits
; Kernel info:
; codeLenInByte = 15188
; NumSgprs: 86
; NumVgprs: 128
; NumAgprs: 0
; TotalNumVgprs: 128
; ScratchSize: 0
; MemoryBound: 0
; FloatMode: 240
; IeeeMode: 1
; LDSByteSize: 10752 bytes/workgroup (compile time only)
; SGPRBlocks: 10
; VGPRBlocks: 15
; NumSGPRsForWavesPerEU: 86
; NumVGPRsForWavesPerEU: 128
; AccumOffset: 128
; Occupancy: 2
; WaveLimiterHint : 1
; COMPUTE_PGM_RSRC2:SCRATCH_EN: 0
; COMPUTE_PGM_RSRC2:USER_SGPR: 6
; COMPUTE_PGM_RSRC2:TRAP_HANDLER: 0
; COMPUTE_PGM_RSRC2:TGID_X_EN: 1
; COMPUTE_PGM_RSRC2:TGID_Y_EN: 0
; COMPUTE_PGM_RSRC2:TGID_Z_EN: 0
; COMPUTE_PGM_RSRC2:TIDIG_COMP_CNT: 0
; COMPUTE_PGM_RSRC3_GFX90A:ACCUM_OFFSET: 31
; COMPUTE_PGM_RSRC3_GFX90A:TG_SPLIT: 0
	.section	.text._ZN7rocprim17ROCPRIM_400000_NS6detail17trampoline_kernelINS0_14default_configENS1_27scan_by_key_config_selectorIxxEEZZNS1_16scan_by_key_implILNS1_25lookback_scan_determinismE0ELb0ES3_N6thrust23THRUST_200600_302600_NS6detail15normal_iteratorINS9_10device_ptrIxEEEENS9_18transform_iteratorINS9_6negateIxEESE_NS9_11use_defaultESI_EESE_xNS9_4plusIvEENS9_8equal_toIvEExEE10hipError_tPvRmT2_T3_T4_T5_mT6_T7_P12ihipStream_tbENKUlT_T0_E_clISt17integral_constantIbLb1EES14_EEDaSZ_S10_EUlSZ_E_NS1_11comp_targetILNS1_3genE3ELNS1_11target_archE908ELNS1_3gpuE7ELNS1_3repE0EEENS1_30default_config_static_selectorELNS0_4arch9wavefront6targetE1EEEvT1_,"axG",@progbits,_ZN7rocprim17ROCPRIM_400000_NS6detail17trampoline_kernelINS0_14default_configENS1_27scan_by_key_config_selectorIxxEEZZNS1_16scan_by_key_implILNS1_25lookback_scan_determinismE0ELb0ES3_N6thrust23THRUST_200600_302600_NS6detail15normal_iteratorINS9_10device_ptrIxEEEENS9_18transform_iteratorINS9_6negateIxEESE_NS9_11use_defaultESI_EESE_xNS9_4plusIvEENS9_8equal_toIvEExEE10hipError_tPvRmT2_T3_T4_T5_mT6_T7_P12ihipStream_tbENKUlT_T0_E_clISt17integral_constantIbLb1EES14_EEDaSZ_S10_EUlSZ_E_NS1_11comp_targetILNS1_3genE3ELNS1_11target_archE908ELNS1_3gpuE7ELNS1_3repE0EEENS1_30default_config_static_selectorELNS0_4arch9wavefront6targetE1EEEvT1_,comdat
	.protected	_ZN7rocprim17ROCPRIM_400000_NS6detail17trampoline_kernelINS0_14default_configENS1_27scan_by_key_config_selectorIxxEEZZNS1_16scan_by_key_implILNS1_25lookback_scan_determinismE0ELb0ES3_N6thrust23THRUST_200600_302600_NS6detail15normal_iteratorINS9_10device_ptrIxEEEENS9_18transform_iteratorINS9_6negateIxEESE_NS9_11use_defaultESI_EESE_xNS9_4plusIvEENS9_8equal_toIvEExEE10hipError_tPvRmT2_T3_T4_T5_mT6_T7_P12ihipStream_tbENKUlT_T0_E_clISt17integral_constantIbLb1EES14_EEDaSZ_S10_EUlSZ_E_NS1_11comp_targetILNS1_3genE3ELNS1_11target_archE908ELNS1_3gpuE7ELNS1_3repE0EEENS1_30default_config_static_selectorELNS0_4arch9wavefront6targetE1EEEvT1_ ; -- Begin function _ZN7rocprim17ROCPRIM_400000_NS6detail17trampoline_kernelINS0_14default_configENS1_27scan_by_key_config_selectorIxxEEZZNS1_16scan_by_key_implILNS1_25lookback_scan_determinismE0ELb0ES3_N6thrust23THRUST_200600_302600_NS6detail15normal_iteratorINS9_10device_ptrIxEEEENS9_18transform_iteratorINS9_6negateIxEESE_NS9_11use_defaultESI_EESE_xNS9_4plusIvEENS9_8equal_toIvEExEE10hipError_tPvRmT2_T3_T4_T5_mT6_T7_P12ihipStream_tbENKUlT_T0_E_clISt17integral_constantIbLb1EES14_EEDaSZ_S10_EUlSZ_E_NS1_11comp_targetILNS1_3genE3ELNS1_11target_archE908ELNS1_3gpuE7ELNS1_3repE0EEENS1_30default_config_static_selectorELNS0_4arch9wavefront6targetE1EEEvT1_
	.globl	_ZN7rocprim17ROCPRIM_400000_NS6detail17trampoline_kernelINS0_14default_configENS1_27scan_by_key_config_selectorIxxEEZZNS1_16scan_by_key_implILNS1_25lookback_scan_determinismE0ELb0ES3_N6thrust23THRUST_200600_302600_NS6detail15normal_iteratorINS9_10device_ptrIxEEEENS9_18transform_iteratorINS9_6negateIxEESE_NS9_11use_defaultESI_EESE_xNS9_4plusIvEENS9_8equal_toIvEExEE10hipError_tPvRmT2_T3_T4_T5_mT6_T7_P12ihipStream_tbENKUlT_T0_E_clISt17integral_constantIbLb1EES14_EEDaSZ_S10_EUlSZ_E_NS1_11comp_targetILNS1_3genE3ELNS1_11target_archE908ELNS1_3gpuE7ELNS1_3repE0EEENS1_30default_config_static_selectorELNS0_4arch9wavefront6targetE1EEEvT1_
	.p2align	8
	.type	_ZN7rocprim17ROCPRIM_400000_NS6detail17trampoline_kernelINS0_14default_configENS1_27scan_by_key_config_selectorIxxEEZZNS1_16scan_by_key_implILNS1_25lookback_scan_determinismE0ELb0ES3_N6thrust23THRUST_200600_302600_NS6detail15normal_iteratorINS9_10device_ptrIxEEEENS9_18transform_iteratorINS9_6negateIxEESE_NS9_11use_defaultESI_EESE_xNS9_4plusIvEENS9_8equal_toIvEExEE10hipError_tPvRmT2_T3_T4_T5_mT6_T7_P12ihipStream_tbENKUlT_T0_E_clISt17integral_constantIbLb1EES14_EEDaSZ_S10_EUlSZ_E_NS1_11comp_targetILNS1_3genE3ELNS1_11target_archE908ELNS1_3gpuE7ELNS1_3repE0EEENS1_30default_config_static_selectorELNS0_4arch9wavefront6targetE1EEEvT1_,@function
_ZN7rocprim17ROCPRIM_400000_NS6detail17trampoline_kernelINS0_14default_configENS1_27scan_by_key_config_selectorIxxEEZZNS1_16scan_by_key_implILNS1_25lookback_scan_determinismE0ELb0ES3_N6thrust23THRUST_200600_302600_NS6detail15normal_iteratorINS9_10device_ptrIxEEEENS9_18transform_iteratorINS9_6negateIxEESE_NS9_11use_defaultESI_EESE_xNS9_4plusIvEENS9_8equal_toIvEExEE10hipError_tPvRmT2_T3_T4_T5_mT6_T7_P12ihipStream_tbENKUlT_T0_E_clISt17integral_constantIbLb1EES14_EEDaSZ_S10_EUlSZ_E_NS1_11comp_targetILNS1_3genE3ELNS1_11target_archE908ELNS1_3gpuE7ELNS1_3repE0EEENS1_30default_config_static_selectorELNS0_4arch9wavefront6targetE1EEEvT1_: ; @_ZN7rocprim17ROCPRIM_400000_NS6detail17trampoline_kernelINS0_14default_configENS1_27scan_by_key_config_selectorIxxEEZZNS1_16scan_by_key_implILNS1_25lookback_scan_determinismE0ELb0ES3_N6thrust23THRUST_200600_302600_NS6detail15normal_iteratorINS9_10device_ptrIxEEEENS9_18transform_iteratorINS9_6negateIxEESE_NS9_11use_defaultESI_EESE_xNS9_4plusIvEENS9_8equal_toIvEExEE10hipError_tPvRmT2_T3_T4_T5_mT6_T7_P12ihipStream_tbENKUlT_T0_E_clISt17integral_constantIbLb1EES14_EEDaSZ_S10_EUlSZ_E_NS1_11comp_targetILNS1_3genE3ELNS1_11target_archE908ELNS1_3gpuE7ELNS1_3repE0EEENS1_30default_config_static_selectorELNS0_4arch9wavefront6targetE1EEEvT1_
; %bb.0:
	.section	.rodata,"a",@progbits
	.p2align	6, 0x0
	.amdhsa_kernel _ZN7rocprim17ROCPRIM_400000_NS6detail17trampoline_kernelINS0_14default_configENS1_27scan_by_key_config_selectorIxxEEZZNS1_16scan_by_key_implILNS1_25lookback_scan_determinismE0ELb0ES3_N6thrust23THRUST_200600_302600_NS6detail15normal_iteratorINS9_10device_ptrIxEEEENS9_18transform_iteratorINS9_6negateIxEESE_NS9_11use_defaultESI_EESE_xNS9_4plusIvEENS9_8equal_toIvEExEE10hipError_tPvRmT2_T3_T4_T5_mT6_T7_P12ihipStream_tbENKUlT_T0_E_clISt17integral_constantIbLb1EES14_EEDaSZ_S10_EUlSZ_E_NS1_11comp_targetILNS1_3genE3ELNS1_11target_archE908ELNS1_3gpuE7ELNS1_3repE0EEENS1_30default_config_static_selectorELNS0_4arch9wavefront6targetE1EEEvT1_
		.amdhsa_group_segment_fixed_size 0
		.amdhsa_private_segment_fixed_size 0
		.amdhsa_kernarg_size 144
		.amdhsa_user_sgpr_count 6
		.amdhsa_user_sgpr_private_segment_buffer 1
		.amdhsa_user_sgpr_dispatch_ptr 0
		.amdhsa_user_sgpr_queue_ptr 0
		.amdhsa_user_sgpr_kernarg_segment_ptr 1
		.amdhsa_user_sgpr_dispatch_id 0
		.amdhsa_user_sgpr_flat_scratch_init 0
		.amdhsa_user_sgpr_kernarg_preload_length 0
		.amdhsa_user_sgpr_kernarg_preload_offset 0
		.amdhsa_user_sgpr_private_segment_size 0
		.amdhsa_uses_dynamic_stack 0
		.amdhsa_system_sgpr_private_segment_wavefront_offset 0
		.amdhsa_system_sgpr_workgroup_id_x 1
		.amdhsa_system_sgpr_workgroup_id_y 0
		.amdhsa_system_sgpr_workgroup_id_z 0
		.amdhsa_system_sgpr_workgroup_info 0
		.amdhsa_system_vgpr_workitem_id 0
		.amdhsa_next_free_vgpr 1
		.amdhsa_next_free_sgpr 0
		.amdhsa_accum_offset 4
		.amdhsa_reserve_vcc 0
		.amdhsa_reserve_flat_scratch 0
		.amdhsa_float_round_mode_32 0
		.amdhsa_float_round_mode_16_64 0
		.amdhsa_float_denorm_mode_32 3
		.amdhsa_float_denorm_mode_16_64 3
		.amdhsa_dx10_clamp 1
		.amdhsa_ieee_mode 1
		.amdhsa_fp16_overflow 0
		.amdhsa_tg_split 0
		.amdhsa_exception_fp_ieee_invalid_op 0
		.amdhsa_exception_fp_denorm_src 0
		.amdhsa_exception_fp_ieee_div_zero 0
		.amdhsa_exception_fp_ieee_overflow 0
		.amdhsa_exception_fp_ieee_underflow 0
		.amdhsa_exception_fp_ieee_inexact 0
		.amdhsa_exception_int_div_zero 0
	.end_amdhsa_kernel
	.section	.text._ZN7rocprim17ROCPRIM_400000_NS6detail17trampoline_kernelINS0_14default_configENS1_27scan_by_key_config_selectorIxxEEZZNS1_16scan_by_key_implILNS1_25lookback_scan_determinismE0ELb0ES3_N6thrust23THRUST_200600_302600_NS6detail15normal_iteratorINS9_10device_ptrIxEEEENS9_18transform_iteratorINS9_6negateIxEESE_NS9_11use_defaultESI_EESE_xNS9_4plusIvEENS9_8equal_toIvEExEE10hipError_tPvRmT2_T3_T4_T5_mT6_T7_P12ihipStream_tbENKUlT_T0_E_clISt17integral_constantIbLb1EES14_EEDaSZ_S10_EUlSZ_E_NS1_11comp_targetILNS1_3genE3ELNS1_11target_archE908ELNS1_3gpuE7ELNS1_3repE0EEENS1_30default_config_static_selectorELNS0_4arch9wavefront6targetE1EEEvT1_,"axG",@progbits,_ZN7rocprim17ROCPRIM_400000_NS6detail17trampoline_kernelINS0_14default_configENS1_27scan_by_key_config_selectorIxxEEZZNS1_16scan_by_key_implILNS1_25lookback_scan_determinismE0ELb0ES3_N6thrust23THRUST_200600_302600_NS6detail15normal_iteratorINS9_10device_ptrIxEEEENS9_18transform_iteratorINS9_6negateIxEESE_NS9_11use_defaultESI_EESE_xNS9_4plusIvEENS9_8equal_toIvEExEE10hipError_tPvRmT2_T3_T4_T5_mT6_T7_P12ihipStream_tbENKUlT_T0_E_clISt17integral_constantIbLb1EES14_EEDaSZ_S10_EUlSZ_E_NS1_11comp_targetILNS1_3genE3ELNS1_11target_archE908ELNS1_3gpuE7ELNS1_3repE0EEENS1_30default_config_static_selectorELNS0_4arch9wavefront6targetE1EEEvT1_,comdat
.Lfunc_end906:
	.size	_ZN7rocprim17ROCPRIM_400000_NS6detail17trampoline_kernelINS0_14default_configENS1_27scan_by_key_config_selectorIxxEEZZNS1_16scan_by_key_implILNS1_25lookback_scan_determinismE0ELb0ES3_N6thrust23THRUST_200600_302600_NS6detail15normal_iteratorINS9_10device_ptrIxEEEENS9_18transform_iteratorINS9_6negateIxEESE_NS9_11use_defaultESI_EESE_xNS9_4plusIvEENS9_8equal_toIvEExEE10hipError_tPvRmT2_T3_T4_T5_mT6_T7_P12ihipStream_tbENKUlT_T0_E_clISt17integral_constantIbLb1EES14_EEDaSZ_S10_EUlSZ_E_NS1_11comp_targetILNS1_3genE3ELNS1_11target_archE908ELNS1_3gpuE7ELNS1_3repE0EEENS1_30default_config_static_selectorELNS0_4arch9wavefront6targetE1EEEvT1_, .Lfunc_end906-_ZN7rocprim17ROCPRIM_400000_NS6detail17trampoline_kernelINS0_14default_configENS1_27scan_by_key_config_selectorIxxEEZZNS1_16scan_by_key_implILNS1_25lookback_scan_determinismE0ELb0ES3_N6thrust23THRUST_200600_302600_NS6detail15normal_iteratorINS9_10device_ptrIxEEEENS9_18transform_iteratorINS9_6negateIxEESE_NS9_11use_defaultESI_EESE_xNS9_4plusIvEENS9_8equal_toIvEExEE10hipError_tPvRmT2_T3_T4_T5_mT6_T7_P12ihipStream_tbENKUlT_T0_E_clISt17integral_constantIbLb1EES14_EEDaSZ_S10_EUlSZ_E_NS1_11comp_targetILNS1_3genE3ELNS1_11target_archE908ELNS1_3gpuE7ELNS1_3repE0EEENS1_30default_config_static_selectorELNS0_4arch9wavefront6targetE1EEEvT1_
                                        ; -- End function
	.section	.AMDGPU.csdata,"",@progbits
; Kernel info:
; codeLenInByte = 0
; NumSgprs: 4
; NumVgprs: 0
; NumAgprs: 0
; TotalNumVgprs: 0
; ScratchSize: 0
; MemoryBound: 0
; FloatMode: 240
; IeeeMode: 1
; LDSByteSize: 0 bytes/workgroup (compile time only)
; SGPRBlocks: 0
; VGPRBlocks: 0
; NumSGPRsForWavesPerEU: 4
; NumVGPRsForWavesPerEU: 1
; AccumOffset: 4
; Occupancy: 8
; WaveLimiterHint : 0
; COMPUTE_PGM_RSRC2:SCRATCH_EN: 0
; COMPUTE_PGM_RSRC2:USER_SGPR: 6
; COMPUTE_PGM_RSRC2:TRAP_HANDLER: 0
; COMPUTE_PGM_RSRC2:TGID_X_EN: 1
; COMPUTE_PGM_RSRC2:TGID_Y_EN: 0
; COMPUTE_PGM_RSRC2:TGID_Z_EN: 0
; COMPUTE_PGM_RSRC2:TIDIG_COMP_CNT: 0
; COMPUTE_PGM_RSRC3_GFX90A:ACCUM_OFFSET: 0
; COMPUTE_PGM_RSRC3_GFX90A:TG_SPLIT: 0
	.section	.text._ZN7rocprim17ROCPRIM_400000_NS6detail17trampoline_kernelINS0_14default_configENS1_27scan_by_key_config_selectorIxxEEZZNS1_16scan_by_key_implILNS1_25lookback_scan_determinismE0ELb0ES3_N6thrust23THRUST_200600_302600_NS6detail15normal_iteratorINS9_10device_ptrIxEEEENS9_18transform_iteratorINS9_6negateIxEESE_NS9_11use_defaultESI_EESE_xNS9_4plusIvEENS9_8equal_toIvEExEE10hipError_tPvRmT2_T3_T4_T5_mT6_T7_P12ihipStream_tbENKUlT_T0_E_clISt17integral_constantIbLb1EES14_EEDaSZ_S10_EUlSZ_E_NS1_11comp_targetILNS1_3genE2ELNS1_11target_archE906ELNS1_3gpuE6ELNS1_3repE0EEENS1_30default_config_static_selectorELNS0_4arch9wavefront6targetE1EEEvT1_,"axG",@progbits,_ZN7rocprim17ROCPRIM_400000_NS6detail17trampoline_kernelINS0_14default_configENS1_27scan_by_key_config_selectorIxxEEZZNS1_16scan_by_key_implILNS1_25lookback_scan_determinismE0ELb0ES3_N6thrust23THRUST_200600_302600_NS6detail15normal_iteratorINS9_10device_ptrIxEEEENS9_18transform_iteratorINS9_6negateIxEESE_NS9_11use_defaultESI_EESE_xNS9_4plusIvEENS9_8equal_toIvEExEE10hipError_tPvRmT2_T3_T4_T5_mT6_T7_P12ihipStream_tbENKUlT_T0_E_clISt17integral_constantIbLb1EES14_EEDaSZ_S10_EUlSZ_E_NS1_11comp_targetILNS1_3genE2ELNS1_11target_archE906ELNS1_3gpuE6ELNS1_3repE0EEENS1_30default_config_static_selectorELNS0_4arch9wavefront6targetE1EEEvT1_,comdat
	.protected	_ZN7rocprim17ROCPRIM_400000_NS6detail17trampoline_kernelINS0_14default_configENS1_27scan_by_key_config_selectorIxxEEZZNS1_16scan_by_key_implILNS1_25lookback_scan_determinismE0ELb0ES3_N6thrust23THRUST_200600_302600_NS6detail15normal_iteratorINS9_10device_ptrIxEEEENS9_18transform_iteratorINS9_6negateIxEESE_NS9_11use_defaultESI_EESE_xNS9_4plusIvEENS9_8equal_toIvEExEE10hipError_tPvRmT2_T3_T4_T5_mT6_T7_P12ihipStream_tbENKUlT_T0_E_clISt17integral_constantIbLb1EES14_EEDaSZ_S10_EUlSZ_E_NS1_11comp_targetILNS1_3genE2ELNS1_11target_archE906ELNS1_3gpuE6ELNS1_3repE0EEENS1_30default_config_static_selectorELNS0_4arch9wavefront6targetE1EEEvT1_ ; -- Begin function _ZN7rocprim17ROCPRIM_400000_NS6detail17trampoline_kernelINS0_14default_configENS1_27scan_by_key_config_selectorIxxEEZZNS1_16scan_by_key_implILNS1_25lookback_scan_determinismE0ELb0ES3_N6thrust23THRUST_200600_302600_NS6detail15normal_iteratorINS9_10device_ptrIxEEEENS9_18transform_iteratorINS9_6negateIxEESE_NS9_11use_defaultESI_EESE_xNS9_4plusIvEENS9_8equal_toIvEExEE10hipError_tPvRmT2_T3_T4_T5_mT6_T7_P12ihipStream_tbENKUlT_T0_E_clISt17integral_constantIbLb1EES14_EEDaSZ_S10_EUlSZ_E_NS1_11comp_targetILNS1_3genE2ELNS1_11target_archE906ELNS1_3gpuE6ELNS1_3repE0EEENS1_30default_config_static_selectorELNS0_4arch9wavefront6targetE1EEEvT1_
	.globl	_ZN7rocprim17ROCPRIM_400000_NS6detail17trampoline_kernelINS0_14default_configENS1_27scan_by_key_config_selectorIxxEEZZNS1_16scan_by_key_implILNS1_25lookback_scan_determinismE0ELb0ES3_N6thrust23THRUST_200600_302600_NS6detail15normal_iteratorINS9_10device_ptrIxEEEENS9_18transform_iteratorINS9_6negateIxEESE_NS9_11use_defaultESI_EESE_xNS9_4plusIvEENS9_8equal_toIvEExEE10hipError_tPvRmT2_T3_T4_T5_mT6_T7_P12ihipStream_tbENKUlT_T0_E_clISt17integral_constantIbLb1EES14_EEDaSZ_S10_EUlSZ_E_NS1_11comp_targetILNS1_3genE2ELNS1_11target_archE906ELNS1_3gpuE6ELNS1_3repE0EEENS1_30default_config_static_selectorELNS0_4arch9wavefront6targetE1EEEvT1_
	.p2align	8
	.type	_ZN7rocprim17ROCPRIM_400000_NS6detail17trampoline_kernelINS0_14default_configENS1_27scan_by_key_config_selectorIxxEEZZNS1_16scan_by_key_implILNS1_25lookback_scan_determinismE0ELb0ES3_N6thrust23THRUST_200600_302600_NS6detail15normal_iteratorINS9_10device_ptrIxEEEENS9_18transform_iteratorINS9_6negateIxEESE_NS9_11use_defaultESI_EESE_xNS9_4plusIvEENS9_8equal_toIvEExEE10hipError_tPvRmT2_T3_T4_T5_mT6_T7_P12ihipStream_tbENKUlT_T0_E_clISt17integral_constantIbLb1EES14_EEDaSZ_S10_EUlSZ_E_NS1_11comp_targetILNS1_3genE2ELNS1_11target_archE906ELNS1_3gpuE6ELNS1_3repE0EEENS1_30default_config_static_selectorELNS0_4arch9wavefront6targetE1EEEvT1_,@function
_ZN7rocprim17ROCPRIM_400000_NS6detail17trampoline_kernelINS0_14default_configENS1_27scan_by_key_config_selectorIxxEEZZNS1_16scan_by_key_implILNS1_25lookback_scan_determinismE0ELb0ES3_N6thrust23THRUST_200600_302600_NS6detail15normal_iteratorINS9_10device_ptrIxEEEENS9_18transform_iteratorINS9_6negateIxEESE_NS9_11use_defaultESI_EESE_xNS9_4plusIvEENS9_8equal_toIvEExEE10hipError_tPvRmT2_T3_T4_T5_mT6_T7_P12ihipStream_tbENKUlT_T0_E_clISt17integral_constantIbLb1EES14_EEDaSZ_S10_EUlSZ_E_NS1_11comp_targetILNS1_3genE2ELNS1_11target_archE906ELNS1_3gpuE6ELNS1_3repE0EEENS1_30default_config_static_selectorELNS0_4arch9wavefront6targetE1EEEvT1_: ; @_ZN7rocprim17ROCPRIM_400000_NS6detail17trampoline_kernelINS0_14default_configENS1_27scan_by_key_config_selectorIxxEEZZNS1_16scan_by_key_implILNS1_25lookback_scan_determinismE0ELb0ES3_N6thrust23THRUST_200600_302600_NS6detail15normal_iteratorINS9_10device_ptrIxEEEENS9_18transform_iteratorINS9_6negateIxEESE_NS9_11use_defaultESI_EESE_xNS9_4plusIvEENS9_8equal_toIvEExEE10hipError_tPvRmT2_T3_T4_T5_mT6_T7_P12ihipStream_tbENKUlT_T0_E_clISt17integral_constantIbLb1EES14_EEDaSZ_S10_EUlSZ_E_NS1_11comp_targetILNS1_3genE2ELNS1_11target_archE906ELNS1_3gpuE6ELNS1_3repE0EEENS1_30default_config_static_selectorELNS0_4arch9wavefront6targetE1EEEvT1_
; %bb.0:
	.section	.rodata,"a",@progbits
	.p2align	6, 0x0
	.amdhsa_kernel _ZN7rocprim17ROCPRIM_400000_NS6detail17trampoline_kernelINS0_14default_configENS1_27scan_by_key_config_selectorIxxEEZZNS1_16scan_by_key_implILNS1_25lookback_scan_determinismE0ELb0ES3_N6thrust23THRUST_200600_302600_NS6detail15normal_iteratorINS9_10device_ptrIxEEEENS9_18transform_iteratorINS9_6negateIxEESE_NS9_11use_defaultESI_EESE_xNS9_4plusIvEENS9_8equal_toIvEExEE10hipError_tPvRmT2_T3_T4_T5_mT6_T7_P12ihipStream_tbENKUlT_T0_E_clISt17integral_constantIbLb1EES14_EEDaSZ_S10_EUlSZ_E_NS1_11comp_targetILNS1_3genE2ELNS1_11target_archE906ELNS1_3gpuE6ELNS1_3repE0EEENS1_30default_config_static_selectorELNS0_4arch9wavefront6targetE1EEEvT1_
		.amdhsa_group_segment_fixed_size 0
		.amdhsa_private_segment_fixed_size 0
		.amdhsa_kernarg_size 144
		.amdhsa_user_sgpr_count 6
		.amdhsa_user_sgpr_private_segment_buffer 1
		.amdhsa_user_sgpr_dispatch_ptr 0
		.amdhsa_user_sgpr_queue_ptr 0
		.amdhsa_user_sgpr_kernarg_segment_ptr 1
		.amdhsa_user_sgpr_dispatch_id 0
		.amdhsa_user_sgpr_flat_scratch_init 0
		.amdhsa_user_sgpr_kernarg_preload_length 0
		.amdhsa_user_sgpr_kernarg_preload_offset 0
		.amdhsa_user_sgpr_private_segment_size 0
		.amdhsa_uses_dynamic_stack 0
		.amdhsa_system_sgpr_private_segment_wavefront_offset 0
		.amdhsa_system_sgpr_workgroup_id_x 1
		.amdhsa_system_sgpr_workgroup_id_y 0
		.amdhsa_system_sgpr_workgroup_id_z 0
		.amdhsa_system_sgpr_workgroup_info 0
		.amdhsa_system_vgpr_workitem_id 0
		.amdhsa_next_free_vgpr 1
		.amdhsa_next_free_sgpr 0
		.amdhsa_accum_offset 4
		.amdhsa_reserve_vcc 0
		.amdhsa_reserve_flat_scratch 0
		.amdhsa_float_round_mode_32 0
		.amdhsa_float_round_mode_16_64 0
		.amdhsa_float_denorm_mode_32 3
		.amdhsa_float_denorm_mode_16_64 3
		.amdhsa_dx10_clamp 1
		.amdhsa_ieee_mode 1
		.amdhsa_fp16_overflow 0
		.amdhsa_tg_split 0
		.amdhsa_exception_fp_ieee_invalid_op 0
		.amdhsa_exception_fp_denorm_src 0
		.amdhsa_exception_fp_ieee_div_zero 0
		.amdhsa_exception_fp_ieee_overflow 0
		.amdhsa_exception_fp_ieee_underflow 0
		.amdhsa_exception_fp_ieee_inexact 0
		.amdhsa_exception_int_div_zero 0
	.end_amdhsa_kernel
	.section	.text._ZN7rocprim17ROCPRIM_400000_NS6detail17trampoline_kernelINS0_14default_configENS1_27scan_by_key_config_selectorIxxEEZZNS1_16scan_by_key_implILNS1_25lookback_scan_determinismE0ELb0ES3_N6thrust23THRUST_200600_302600_NS6detail15normal_iteratorINS9_10device_ptrIxEEEENS9_18transform_iteratorINS9_6negateIxEESE_NS9_11use_defaultESI_EESE_xNS9_4plusIvEENS9_8equal_toIvEExEE10hipError_tPvRmT2_T3_T4_T5_mT6_T7_P12ihipStream_tbENKUlT_T0_E_clISt17integral_constantIbLb1EES14_EEDaSZ_S10_EUlSZ_E_NS1_11comp_targetILNS1_3genE2ELNS1_11target_archE906ELNS1_3gpuE6ELNS1_3repE0EEENS1_30default_config_static_selectorELNS0_4arch9wavefront6targetE1EEEvT1_,"axG",@progbits,_ZN7rocprim17ROCPRIM_400000_NS6detail17trampoline_kernelINS0_14default_configENS1_27scan_by_key_config_selectorIxxEEZZNS1_16scan_by_key_implILNS1_25lookback_scan_determinismE0ELb0ES3_N6thrust23THRUST_200600_302600_NS6detail15normal_iteratorINS9_10device_ptrIxEEEENS9_18transform_iteratorINS9_6negateIxEESE_NS9_11use_defaultESI_EESE_xNS9_4plusIvEENS9_8equal_toIvEExEE10hipError_tPvRmT2_T3_T4_T5_mT6_T7_P12ihipStream_tbENKUlT_T0_E_clISt17integral_constantIbLb1EES14_EEDaSZ_S10_EUlSZ_E_NS1_11comp_targetILNS1_3genE2ELNS1_11target_archE906ELNS1_3gpuE6ELNS1_3repE0EEENS1_30default_config_static_selectorELNS0_4arch9wavefront6targetE1EEEvT1_,comdat
.Lfunc_end907:
	.size	_ZN7rocprim17ROCPRIM_400000_NS6detail17trampoline_kernelINS0_14default_configENS1_27scan_by_key_config_selectorIxxEEZZNS1_16scan_by_key_implILNS1_25lookback_scan_determinismE0ELb0ES3_N6thrust23THRUST_200600_302600_NS6detail15normal_iteratorINS9_10device_ptrIxEEEENS9_18transform_iteratorINS9_6negateIxEESE_NS9_11use_defaultESI_EESE_xNS9_4plusIvEENS9_8equal_toIvEExEE10hipError_tPvRmT2_T3_T4_T5_mT6_T7_P12ihipStream_tbENKUlT_T0_E_clISt17integral_constantIbLb1EES14_EEDaSZ_S10_EUlSZ_E_NS1_11comp_targetILNS1_3genE2ELNS1_11target_archE906ELNS1_3gpuE6ELNS1_3repE0EEENS1_30default_config_static_selectorELNS0_4arch9wavefront6targetE1EEEvT1_, .Lfunc_end907-_ZN7rocprim17ROCPRIM_400000_NS6detail17trampoline_kernelINS0_14default_configENS1_27scan_by_key_config_selectorIxxEEZZNS1_16scan_by_key_implILNS1_25lookback_scan_determinismE0ELb0ES3_N6thrust23THRUST_200600_302600_NS6detail15normal_iteratorINS9_10device_ptrIxEEEENS9_18transform_iteratorINS9_6negateIxEESE_NS9_11use_defaultESI_EESE_xNS9_4plusIvEENS9_8equal_toIvEExEE10hipError_tPvRmT2_T3_T4_T5_mT6_T7_P12ihipStream_tbENKUlT_T0_E_clISt17integral_constantIbLb1EES14_EEDaSZ_S10_EUlSZ_E_NS1_11comp_targetILNS1_3genE2ELNS1_11target_archE906ELNS1_3gpuE6ELNS1_3repE0EEENS1_30default_config_static_selectorELNS0_4arch9wavefront6targetE1EEEvT1_
                                        ; -- End function
	.section	.AMDGPU.csdata,"",@progbits
; Kernel info:
; codeLenInByte = 0
; NumSgprs: 4
; NumVgprs: 0
; NumAgprs: 0
; TotalNumVgprs: 0
; ScratchSize: 0
; MemoryBound: 0
; FloatMode: 240
; IeeeMode: 1
; LDSByteSize: 0 bytes/workgroup (compile time only)
; SGPRBlocks: 0
; VGPRBlocks: 0
; NumSGPRsForWavesPerEU: 4
; NumVGPRsForWavesPerEU: 1
; AccumOffset: 4
; Occupancy: 8
; WaveLimiterHint : 0
; COMPUTE_PGM_RSRC2:SCRATCH_EN: 0
; COMPUTE_PGM_RSRC2:USER_SGPR: 6
; COMPUTE_PGM_RSRC2:TRAP_HANDLER: 0
; COMPUTE_PGM_RSRC2:TGID_X_EN: 1
; COMPUTE_PGM_RSRC2:TGID_Y_EN: 0
; COMPUTE_PGM_RSRC2:TGID_Z_EN: 0
; COMPUTE_PGM_RSRC2:TIDIG_COMP_CNT: 0
; COMPUTE_PGM_RSRC3_GFX90A:ACCUM_OFFSET: 0
; COMPUTE_PGM_RSRC3_GFX90A:TG_SPLIT: 0
	.section	.text._ZN7rocprim17ROCPRIM_400000_NS6detail17trampoline_kernelINS0_14default_configENS1_27scan_by_key_config_selectorIxxEEZZNS1_16scan_by_key_implILNS1_25lookback_scan_determinismE0ELb0ES3_N6thrust23THRUST_200600_302600_NS6detail15normal_iteratorINS9_10device_ptrIxEEEENS9_18transform_iteratorINS9_6negateIxEESE_NS9_11use_defaultESI_EESE_xNS9_4plusIvEENS9_8equal_toIvEExEE10hipError_tPvRmT2_T3_T4_T5_mT6_T7_P12ihipStream_tbENKUlT_T0_E_clISt17integral_constantIbLb1EES14_EEDaSZ_S10_EUlSZ_E_NS1_11comp_targetILNS1_3genE10ELNS1_11target_archE1200ELNS1_3gpuE4ELNS1_3repE0EEENS1_30default_config_static_selectorELNS0_4arch9wavefront6targetE1EEEvT1_,"axG",@progbits,_ZN7rocprim17ROCPRIM_400000_NS6detail17trampoline_kernelINS0_14default_configENS1_27scan_by_key_config_selectorIxxEEZZNS1_16scan_by_key_implILNS1_25lookback_scan_determinismE0ELb0ES3_N6thrust23THRUST_200600_302600_NS6detail15normal_iteratorINS9_10device_ptrIxEEEENS9_18transform_iteratorINS9_6negateIxEESE_NS9_11use_defaultESI_EESE_xNS9_4plusIvEENS9_8equal_toIvEExEE10hipError_tPvRmT2_T3_T4_T5_mT6_T7_P12ihipStream_tbENKUlT_T0_E_clISt17integral_constantIbLb1EES14_EEDaSZ_S10_EUlSZ_E_NS1_11comp_targetILNS1_3genE10ELNS1_11target_archE1200ELNS1_3gpuE4ELNS1_3repE0EEENS1_30default_config_static_selectorELNS0_4arch9wavefront6targetE1EEEvT1_,comdat
	.protected	_ZN7rocprim17ROCPRIM_400000_NS6detail17trampoline_kernelINS0_14default_configENS1_27scan_by_key_config_selectorIxxEEZZNS1_16scan_by_key_implILNS1_25lookback_scan_determinismE0ELb0ES3_N6thrust23THRUST_200600_302600_NS6detail15normal_iteratorINS9_10device_ptrIxEEEENS9_18transform_iteratorINS9_6negateIxEESE_NS9_11use_defaultESI_EESE_xNS9_4plusIvEENS9_8equal_toIvEExEE10hipError_tPvRmT2_T3_T4_T5_mT6_T7_P12ihipStream_tbENKUlT_T0_E_clISt17integral_constantIbLb1EES14_EEDaSZ_S10_EUlSZ_E_NS1_11comp_targetILNS1_3genE10ELNS1_11target_archE1200ELNS1_3gpuE4ELNS1_3repE0EEENS1_30default_config_static_selectorELNS0_4arch9wavefront6targetE1EEEvT1_ ; -- Begin function _ZN7rocprim17ROCPRIM_400000_NS6detail17trampoline_kernelINS0_14default_configENS1_27scan_by_key_config_selectorIxxEEZZNS1_16scan_by_key_implILNS1_25lookback_scan_determinismE0ELb0ES3_N6thrust23THRUST_200600_302600_NS6detail15normal_iteratorINS9_10device_ptrIxEEEENS9_18transform_iteratorINS9_6negateIxEESE_NS9_11use_defaultESI_EESE_xNS9_4plusIvEENS9_8equal_toIvEExEE10hipError_tPvRmT2_T3_T4_T5_mT6_T7_P12ihipStream_tbENKUlT_T0_E_clISt17integral_constantIbLb1EES14_EEDaSZ_S10_EUlSZ_E_NS1_11comp_targetILNS1_3genE10ELNS1_11target_archE1200ELNS1_3gpuE4ELNS1_3repE0EEENS1_30default_config_static_selectorELNS0_4arch9wavefront6targetE1EEEvT1_
	.globl	_ZN7rocprim17ROCPRIM_400000_NS6detail17trampoline_kernelINS0_14default_configENS1_27scan_by_key_config_selectorIxxEEZZNS1_16scan_by_key_implILNS1_25lookback_scan_determinismE0ELb0ES3_N6thrust23THRUST_200600_302600_NS6detail15normal_iteratorINS9_10device_ptrIxEEEENS9_18transform_iteratorINS9_6negateIxEESE_NS9_11use_defaultESI_EESE_xNS9_4plusIvEENS9_8equal_toIvEExEE10hipError_tPvRmT2_T3_T4_T5_mT6_T7_P12ihipStream_tbENKUlT_T0_E_clISt17integral_constantIbLb1EES14_EEDaSZ_S10_EUlSZ_E_NS1_11comp_targetILNS1_3genE10ELNS1_11target_archE1200ELNS1_3gpuE4ELNS1_3repE0EEENS1_30default_config_static_selectorELNS0_4arch9wavefront6targetE1EEEvT1_
	.p2align	8
	.type	_ZN7rocprim17ROCPRIM_400000_NS6detail17trampoline_kernelINS0_14default_configENS1_27scan_by_key_config_selectorIxxEEZZNS1_16scan_by_key_implILNS1_25lookback_scan_determinismE0ELb0ES3_N6thrust23THRUST_200600_302600_NS6detail15normal_iteratorINS9_10device_ptrIxEEEENS9_18transform_iteratorINS9_6negateIxEESE_NS9_11use_defaultESI_EESE_xNS9_4plusIvEENS9_8equal_toIvEExEE10hipError_tPvRmT2_T3_T4_T5_mT6_T7_P12ihipStream_tbENKUlT_T0_E_clISt17integral_constantIbLb1EES14_EEDaSZ_S10_EUlSZ_E_NS1_11comp_targetILNS1_3genE10ELNS1_11target_archE1200ELNS1_3gpuE4ELNS1_3repE0EEENS1_30default_config_static_selectorELNS0_4arch9wavefront6targetE1EEEvT1_,@function
_ZN7rocprim17ROCPRIM_400000_NS6detail17trampoline_kernelINS0_14default_configENS1_27scan_by_key_config_selectorIxxEEZZNS1_16scan_by_key_implILNS1_25lookback_scan_determinismE0ELb0ES3_N6thrust23THRUST_200600_302600_NS6detail15normal_iteratorINS9_10device_ptrIxEEEENS9_18transform_iteratorINS9_6negateIxEESE_NS9_11use_defaultESI_EESE_xNS9_4plusIvEENS9_8equal_toIvEExEE10hipError_tPvRmT2_T3_T4_T5_mT6_T7_P12ihipStream_tbENKUlT_T0_E_clISt17integral_constantIbLb1EES14_EEDaSZ_S10_EUlSZ_E_NS1_11comp_targetILNS1_3genE10ELNS1_11target_archE1200ELNS1_3gpuE4ELNS1_3repE0EEENS1_30default_config_static_selectorELNS0_4arch9wavefront6targetE1EEEvT1_: ; @_ZN7rocprim17ROCPRIM_400000_NS6detail17trampoline_kernelINS0_14default_configENS1_27scan_by_key_config_selectorIxxEEZZNS1_16scan_by_key_implILNS1_25lookback_scan_determinismE0ELb0ES3_N6thrust23THRUST_200600_302600_NS6detail15normal_iteratorINS9_10device_ptrIxEEEENS9_18transform_iteratorINS9_6negateIxEESE_NS9_11use_defaultESI_EESE_xNS9_4plusIvEENS9_8equal_toIvEExEE10hipError_tPvRmT2_T3_T4_T5_mT6_T7_P12ihipStream_tbENKUlT_T0_E_clISt17integral_constantIbLb1EES14_EEDaSZ_S10_EUlSZ_E_NS1_11comp_targetILNS1_3genE10ELNS1_11target_archE1200ELNS1_3gpuE4ELNS1_3repE0EEENS1_30default_config_static_selectorELNS0_4arch9wavefront6targetE1EEEvT1_
; %bb.0:
	.section	.rodata,"a",@progbits
	.p2align	6, 0x0
	.amdhsa_kernel _ZN7rocprim17ROCPRIM_400000_NS6detail17trampoline_kernelINS0_14default_configENS1_27scan_by_key_config_selectorIxxEEZZNS1_16scan_by_key_implILNS1_25lookback_scan_determinismE0ELb0ES3_N6thrust23THRUST_200600_302600_NS6detail15normal_iteratorINS9_10device_ptrIxEEEENS9_18transform_iteratorINS9_6negateIxEESE_NS9_11use_defaultESI_EESE_xNS9_4plusIvEENS9_8equal_toIvEExEE10hipError_tPvRmT2_T3_T4_T5_mT6_T7_P12ihipStream_tbENKUlT_T0_E_clISt17integral_constantIbLb1EES14_EEDaSZ_S10_EUlSZ_E_NS1_11comp_targetILNS1_3genE10ELNS1_11target_archE1200ELNS1_3gpuE4ELNS1_3repE0EEENS1_30default_config_static_selectorELNS0_4arch9wavefront6targetE1EEEvT1_
		.amdhsa_group_segment_fixed_size 0
		.amdhsa_private_segment_fixed_size 0
		.amdhsa_kernarg_size 144
		.amdhsa_user_sgpr_count 6
		.amdhsa_user_sgpr_private_segment_buffer 1
		.amdhsa_user_sgpr_dispatch_ptr 0
		.amdhsa_user_sgpr_queue_ptr 0
		.amdhsa_user_sgpr_kernarg_segment_ptr 1
		.amdhsa_user_sgpr_dispatch_id 0
		.amdhsa_user_sgpr_flat_scratch_init 0
		.amdhsa_user_sgpr_kernarg_preload_length 0
		.amdhsa_user_sgpr_kernarg_preload_offset 0
		.amdhsa_user_sgpr_private_segment_size 0
		.amdhsa_uses_dynamic_stack 0
		.amdhsa_system_sgpr_private_segment_wavefront_offset 0
		.amdhsa_system_sgpr_workgroup_id_x 1
		.amdhsa_system_sgpr_workgroup_id_y 0
		.amdhsa_system_sgpr_workgroup_id_z 0
		.amdhsa_system_sgpr_workgroup_info 0
		.amdhsa_system_vgpr_workitem_id 0
		.amdhsa_next_free_vgpr 1
		.amdhsa_next_free_sgpr 0
		.amdhsa_accum_offset 4
		.amdhsa_reserve_vcc 0
		.amdhsa_reserve_flat_scratch 0
		.amdhsa_float_round_mode_32 0
		.amdhsa_float_round_mode_16_64 0
		.amdhsa_float_denorm_mode_32 3
		.amdhsa_float_denorm_mode_16_64 3
		.amdhsa_dx10_clamp 1
		.amdhsa_ieee_mode 1
		.amdhsa_fp16_overflow 0
		.amdhsa_tg_split 0
		.amdhsa_exception_fp_ieee_invalid_op 0
		.amdhsa_exception_fp_denorm_src 0
		.amdhsa_exception_fp_ieee_div_zero 0
		.amdhsa_exception_fp_ieee_overflow 0
		.amdhsa_exception_fp_ieee_underflow 0
		.amdhsa_exception_fp_ieee_inexact 0
		.amdhsa_exception_int_div_zero 0
	.end_amdhsa_kernel
	.section	.text._ZN7rocprim17ROCPRIM_400000_NS6detail17trampoline_kernelINS0_14default_configENS1_27scan_by_key_config_selectorIxxEEZZNS1_16scan_by_key_implILNS1_25lookback_scan_determinismE0ELb0ES3_N6thrust23THRUST_200600_302600_NS6detail15normal_iteratorINS9_10device_ptrIxEEEENS9_18transform_iteratorINS9_6negateIxEESE_NS9_11use_defaultESI_EESE_xNS9_4plusIvEENS9_8equal_toIvEExEE10hipError_tPvRmT2_T3_T4_T5_mT6_T7_P12ihipStream_tbENKUlT_T0_E_clISt17integral_constantIbLb1EES14_EEDaSZ_S10_EUlSZ_E_NS1_11comp_targetILNS1_3genE10ELNS1_11target_archE1200ELNS1_3gpuE4ELNS1_3repE0EEENS1_30default_config_static_selectorELNS0_4arch9wavefront6targetE1EEEvT1_,"axG",@progbits,_ZN7rocprim17ROCPRIM_400000_NS6detail17trampoline_kernelINS0_14default_configENS1_27scan_by_key_config_selectorIxxEEZZNS1_16scan_by_key_implILNS1_25lookback_scan_determinismE0ELb0ES3_N6thrust23THRUST_200600_302600_NS6detail15normal_iteratorINS9_10device_ptrIxEEEENS9_18transform_iteratorINS9_6negateIxEESE_NS9_11use_defaultESI_EESE_xNS9_4plusIvEENS9_8equal_toIvEExEE10hipError_tPvRmT2_T3_T4_T5_mT6_T7_P12ihipStream_tbENKUlT_T0_E_clISt17integral_constantIbLb1EES14_EEDaSZ_S10_EUlSZ_E_NS1_11comp_targetILNS1_3genE10ELNS1_11target_archE1200ELNS1_3gpuE4ELNS1_3repE0EEENS1_30default_config_static_selectorELNS0_4arch9wavefront6targetE1EEEvT1_,comdat
.Lfunc_end908:
	.size	_ZN7rocprim17ROCPRIM_400000_NS6detail17trampoline_kernelINS0_14default_configENS1_27scan_by_key_config_selectorIxxEEZZNS1_16scan_by_key_implILNS1_25lookback_scan_determinismE0ELb0ES3_N6thrust23THRUST_200600_302600_NS6detail15normal_iteratorINS9_10device_ptrIxEEEENS9_18transform_iteratorINS9_6negateIxEESE_NS9_11use_defaultESI_EESE_xNS9_4plusIvEENS9_8equal_toIvEExEE10hipError_tPvRmT2_T3_T4_T5_mT6_T7_P12ihipStream_tbENKUlT_T0_E_clISt17integral_constantIbLb1EES14_EEDaSZ_S10_EUlSZ_E_NS1_11comp_targetILNS1_3genE10ELNS1_11target_archE1200ELNS1_3gpuE4ELNS1_3repE0EEENS1_30default_config_static_selectorELNS0_4arch9wavefront6targetE1EEEvT1_, .Lfunc_end908-_ZN7rocprim17ROCPRIM_400000_NS6detail17trampoline_kernelINS0_14default_configENS1_27scan_by_key_config_selectorIxxEEZZNS1_16scan_by_key_implILNS1_25lookback_scan_determinismE0ELb0ES3_N6thrust23THRUST_200600_302600_NS6detail15normal_iteratorINS9_10device_ptrIxEEEENS9_18transform_iteratorINS9_6negateIxEESE_NS9_11use_defaultESI_EESE_xNS9_4plusIvEENS9_8equal_toIvEExEE10hipError_tPvRmT2_T3_T4_T5_mT6_T7_P12ihipStream_tbENKUlT_T0_E_clISt17integral_constantIbLb1EES14_EEDaSZ_S10_EUlSZ_E_NS1_11comp_targetILNS1_3genE10ELNS1_11target_archE1200ELNS1_3gpuE4ELNS1_3repE0EEENS1_30default_config_static_selectorELNS0_4arch9wavefront6targetE1EEEvT1_
                                        ; -- End function
	.section	.AMDGPU.csdata,"",@progbits
; Kernel info:
; codeLenInByte = 0
; NumSgprs: 4
; NumVgprs: 0
; NumAgprs: 0
; TotalNumVgprs: 0
; ScratchSize: 0
; MemoryBound: 0
; FloatMode: 240
; IeeeMode: 1
; LDSByteSize: 0 bytes/workgroup (compile time only)
; SGPRBlocks: 0
; VGPRBlocks: 0
; NumSGPRsForWavesPerEU: 4
; NumVGPRsForWavesPerEU: 1
; AccumOffset: 4
; Occupancy: 8
; WaveLimiterHint : 0
; COMPUTE_PGM_RSRC2:SCRATCH_EN: 0
; COMPUTE_PGM_RSRC2:USER_SGPR: 6
; COMPUTE_PGM_RSRC2:TRAP_HANDLER: 0
; COMPUTE_PGM_RSRC2:TGID_X_EN: 1
; COMPUTE_PGM_RSRC2:TGID_Y_EN: 0
; COMPUTE_PGM_RSRC2:TGID_Z_EN: 0
; COMPUTE_PGM_RSRC2:TIDIG_COMP_CNT: 0
; COMPUTE_PGM_RSRC3_GFX90A:ACCUM_OFFSET: 0
; COMPUTE_PGM_RSRC3_GFX90A:TG_SPLIT: 0
	.section	.text._ZN7rocprim17ROCPRIM_400000_NS6detail17trampoline_kernelINS0_14default_configENS1_27scan_by_key_config_selectorIxxEEZZNS1_16scan_by_key_implILNS1_25lookback_scan_determinismE0ELb0ES3_N6thrust23THRUST_200600_302600_NS6detail15normal_iteratorINS9_10device_ptrIxEEEENS9_18transform_iteratorINS9_6negateIxEESE_NS9_11use_defaultESI_EESE_xNS9_4plusIvEENS9_8equal_toIvEExEE10hipError_tPvRmT2_T3_T4_T5_mT6_T7_P12ihipStream_tbENKUlT_T0_E_clISt17integral_constantIbLb1EES14_EEDaSZ_S10_EUlSZ_E_NS1_11comp_targetILNS1_3genE9ELNS1_11target_archE1100ELNS1_3gpuE3ELNS1_3repE0EEENS1_30default_config_static_selectorELNS0_4arch9wavefront6targetE1EEEvT1_,"axG",@progbits,_ZN7rocprim17ROCPRIM_400000_NS6detail17trampoline_kernelINS0_14default_configENS1_27scan_by_key_config_selectorIxxEEZZNS1_16scan_by_key_implILNS1_25lookback_scan_determinismE0ELb0ES3_N6thrust23THRUST_200600_302600_NS6detail15normal_iteratorINS9_10device_ptrIxEEEENS9_18transform_iteratorINS9_6negateIxEESE_NS9_11use_defaultESI_EESE_xNS9_4plusIvEENS9_8equal_toIvEExEE10hipError_tPvRmT2_T3_T4_T5_mT6_T7_P12ihipStream_tbENKUlT_T0_E_clISt17integral_constantIbLb1EES14_EEDaSZ_S10_EUlSZ_E_NS1_11comp_targetILNS1_3genE9ELNS1_11target_archE1100ELNS1_3gpuE3ELNS1_3repE0EEENS1_30default_config_static_selectorELNS0_4arch9wavefront6targetE1EEEvT1_,comdat
	.protected	_ZN7rocprim17ROCPRIM_400000_NS6detail17trampoline_kernelINS0_14default_configENS1_27scan_by_key_config_selectorIxxEEZZNS1_16scan_by_key_implILNS1_25lookback_scan_determinismE0ELb0ES3_N6thrust23THRUST_200600_302600_NS6detail15normal_iteratorINS9_10device_ptrIxEEEENS9_18transform_iteratorINS9_6negateIxEESE_NS9_11use_defaultESI_EESE_xNS9_4plusIvEENS9_8equal_toIvEExEE10hipError_tPvRmT2_T3_T4_T5_mT6_T7_P12ihipStream_tbENKUlT_T0_E_clISt17integral_constantIbLb1EES14_EEDaSZ_S10_EUlSZ_E_NS1_11comp_targetILNS1_3genE9ELNS1_11target_archE1100ELNS1_3gpuE3ELNS1_3repE0EEENS1_30default_config_static_selectorELNS0_4arch9wavefront6targetE1EEEvT1_ ; -- Begin function _ZN7rocprim17ROCPRIM_400000_NS6detail17trampoline_kernelINS0_14default_configENS1_27scan_by_key_config_selectorIxxEEZZNS1_16scan_by_key_implILNS1_25lookback_scan_determinismE0ELb0ES3_N6thrust23THRUST_200600_302600_NS6detail15normal_iteratorINS9_10device_ptrIxEEEENS9_18transform_iteratorINS9_6negateIxEESE_NS9_11use_defaultESI_EESE_xNS9_4plusIvEENS9_8equal_toIvEExEE10hipError_tPvRmT2_T3_T4_T5_mT6_T7_P12ihipStream_tbENKUlT_T0_E_clISt17integral_constantIbLb1EES14_EEDaSZ_S10_EUlSZ_E_NS1_11comp_targetILNS1_3genE9ELNS1_11target_archE1100ELNS1_3gpuE3ELNS1_3repE0EEENS1_30default_config_static_selectorELNS0_4arch9wavefront6targetE1EEEvT1_
	.globl	_ZN7rocprim17ROCPRIM_400000_NS6detail17trampoline_kernelINS0_14default_configENS1_27scan_by_key_config_selectorIxxEEZZNS1_16scan_by_key_implILNS1_25lookback_scan_determinismE0ELb0ES3_N6thrust23THRUST_200600_302600_NS6detail15normal_iteratorINS9_10device_ptrIxEEEENS9_18transform_iteratorINS9_6negateIxEESE_NS9_11use_defaultESI_EESE_xNS9_4plusIvEENS9_8equal_toIvEExEE10hipError_tPvRmT2_T3_T4_T5_mT6_T7_P12ihipStream_tbENKUlT_T0_E_clISt17integral_constantIbLb1EES14_EEDaSZ_S10_EUlSZ_E_NS1_11comp_targetILNS1_3genE9ELNS1_11target_archE1100ELNS1_3gpuE3ELNS1_3repE0EEENS1_30default_config_static_selectorELNS0_4arch9wavefront6targetE1EEEvT1_
	.p2align	8
	.type	_ZN7rocprim17ROCPRIM_400000_NS6detail17trampoline_kernelINS0_14default_configENS1_27scan_by_key_config_selectorIxxEEZZNS1_16scan_by_key_implILNS1_25lookback_scan_determinismE0ELb0ES3_N6thrust23THRUST_200600_302600_NS6detail15normal_iteratorINS9_10device_ptrIxEEEENS9_18transform_iteratorINS9_6negateIxEESE_NS9_11use_defaultESI_EESE_xNS9_4plusIvEENS9_8equal_toIvEExEE10hipError_tPvRmT2_T3_T4_T5_mT6_T7_P12ihipStream_tbENKUlT_T0_E_clISt17integral_constantIbLb1EES14_EEDaSZ_S10_EUlSZ_E_NS1_11comp_targetILNS1_3genE9ELNS1_11target_archE1100ELNS1_3gpuE3ELNS1_3repE0EEENS1_30default_config_static_selectorELNS0_4arch9wavefront6targetE1EEEvT1_,@function
_ZN7rocprim17ROCPRIM_400000_NS6detail17trampoline_kernelINS0_14default_configENS1_27scan_by_key_config_selectorIxxEEZZNS1_16scan_by_key_implILNS1_25lookback_scan_determinismE0ELb0ES3_N6thrust23THRUST_200600_302600_NS6detail15normal_iteratorINS9_10device_ptrIxEEEENS9_18transform_iteratorINS9_6negateIxEESE_NS9_11use_defaultESI_EESE_xNS9_4plusIvEENS9_8equal_toIvEExEE10hipError_tPvRmT2_T3_T4_T5_mT6_T7_P12ihipStream_tbENKUlT_T0_E_clISt17integral_constantIbLb1EES14_EEDaSZ_S10_EUlSZ_E_NS1_11comp_targetILNS1_3genE9ELNS1_11target_archE1100ELNS1_3gpuE3ELNS1_3repE0EEENS1_30default_config_static_selectorELNS0_4arch9wavefront6targetE1EEEvT1_: ; @_ZN7rocprim17ROCPRIM_400000_NS6detail17trampoline_kernelINS0_14default_configENS1_27scan_by_key_config_selectorIxxEEZZNS1_16scan_by_key_implILNS1_25lookback_scan_determinismE0ELb0ES3_N6thrust23THRUST_200600_302600_NS6detail15normal_iteratorINS9_10device_ptrIxEEEENS9_18transform_iteratorINS9_6negateIxEESE_NS9_11use_defaultESI_EESE_xNS9_4plusIvEENS9_8equal_toIvEExEE10hipError_tPvRmT2_T3_T4_T5_mT6_T7_P12ihipStream_tbENKUlT_T0_E_clISt17integral_constantIbLb1EES14_EEDaSZ_S10_EUlSZ_E_NS1_11comp_targetILNS1_3genE9ELNS1_11target_archE1100ELNS1_3gpuE3ELNS1_3repE0EEENS1_30default_config_static_selectorELNS0_4arch9wavefront6targetE1EEEvT1_
; %bb.0:
	.section	.rodata,"a",@progbits
	.p2align	6, 0x0
	.amdhsa_kernel _ZN7rocprim17ROCPRIM_400000_NS6detail17trampoline_kernelINS0_14default_configENS1_27scan_by_key_config_selectorIxxEEZZNS1_16scan_by_key_implILNS1_25lookback_scan_determinismE0ELb0ES3_N6thrust23THRUST_200600_302600_NS6detail15normal_iteratorINS9_10device_ptrIxEEEENS9_18transform_iteratorINS9_6negateIxEESE_NS9_11use_defaultESI_EESE_xNS9_4plusIvEENS9_8equal_toIvEExEE10hipError_tPvRmT2_T3_T4_T5_mT6_T7_P12ihipStream_tbENKUlT_T0_E_clISt17integral_constantIbLb1EES14_EEDaSZ_S10_EUlSZ_E_NS1_11comp_targetILNS1_3genE9ELNS1_11target_archE1100ELNS1_3gpuE3ELNS1_3repE0EEENS1_30default_config_static_selectorELNS0_4arch9wavefront6targetE1EEEvT1_
		.amdhsa_group_segment_fixed_size 0
		.amdhsa_private_segment_fixed_size 0
		.amdhsa_kernarg_size 144
		.amdhsa_user_sgpr_count 6
		.amdhsa_user_sgpr_private_segment_buffer 1
		.amdhsa_user_sgpr_dispatch_ptr 0
		.amdhsa_user_sgpr_queue_ptr 0
		.amdhsa_user_sgpr_kernarg_segment_ptr 1
		.amdhsa_user_sgpr_dispatch_id 0
		.amdhsa_user_sgpr_flat_scratch_init 0
		.amdhsa_user_sgpr_kernarg_preload_length 0
		.amdhsa_user_sgpr_kernarg_preload_offset 0
		.amdhsa_user_sgpr_private_segment_size 0
		.amdhsa_uses_dynamic_stack 0
		.amdhsa_system_sgpr_private_segment_wavefront_offset 0
		.amdhsa_system_sgpr_workgroup_id_x 1
		.amdhsa_system_sgpr_workgroup_id_y 0
		.amdhsa_system_sgpr_workgroup_id_z 0
		.amdhsa_system_sgpr_workgroup_info 0
		.amdhsa_system_vgpr_workitem_id 0
		.amdhsa_next_free_vgpr 1
		.amdhsa_next_free_sgpr 0
		.amdhsa_accum_offset 4
		.amdhsa_reserve_vcc 0
		.amdhsa_reserve_flat_scratch 0
		.amdhsa_float_round_mode_32 0
		.amdhsa_float_round_mode_16_64 0
		.amdhsa_float_denorm_mode_32 3
		.amdhsa_float_denorm_mode_16_64 3
		.amdhsa_dx10_clamp 1
		.amdhsa_ieee_mode 1
		.amdhsa_fp16_overflow 0
		.amdhsa_tg_split 0
		.amdhsa_exception_fp_ieee_invalid_op 0
		.amdhsa_exception_fp_denorm_src 0
		.amdhsa_exception_fp_ieee_div_zero 0
		.amdhsa_exception_fp_ieee_overflow 0
		.amdhsa_exception_fp_ieee_underflow 0
		.amdhsa_exception_fp_ieee_inexact 0
		.amdhsa_exception_int_div_zero 0
	.end_amdhsa_kernel
	.section	.text._ZN7rocprim17ROCPRIM_400000_NS6detail17trampoline_kernelINS0_14default_configENS1_27scan_by_key_config_selectorIxxEEZZNS1_16scan_by_key_implILNS1_25lookback_scan_determinismE0ELb0ES3_N6thrust23THRUST_200600_302600_NS6detail15normal_iteratorINS9_10device_ptrIxEEEENS9_18transform_iteratorINS9_6negateIxEESE_NS9_11use_defaultESI_EESE_xNS9_4plusIvEENS9_8equal_toIvEExEE10hipError_tPvRmT2_T3_T4_T5_mT6_T7_P12ihipStream_tbENKUlT_T0_E_clISt17integral_constantIbLb1EES14_EEDaSZ_S10_EUlSZ_E_NS1_11comp_targetILNS1_3genE9ELNS1_11target_archE1100ELNS1_3gpuE3ELNS1_3repE0EEENS1_30default_config_static_selectorELNS0_4arch9wavefront6targetE1EEEvT1_,"axG",@progbits,_ZN7rocprim17ROCPRIM_400000_NS6detail17trampoline_kernelINS0_14default_configENS1_27scan_by_key_config_selectorIxxEEZZNS1_16scan_by_key_implILNS1_25lookback_scan_determinismE0ELb0ES3_N6thrust23THRUST_200600_302600_NS6detail15normal_iteratorINS9_10device_ptrIxEEEENS9_18transform_iteratorINS9_6negateIxEESE_NS9_11use_defaultESI_EESE_xNS9_4plusIvEENS9_8equal_toIvEExEE10hipError_tPvRmT2_T3_T4_T5_mT6_T7_P12ihipStream_tbENKUlT_T0_E_clISt17integral_constantIbLb1EES14_EEDaSZ_S10_EUlSZ_E_NS1_11comp_targetILNS1_3genE9ELNS1_11target_archE1100ELNS1_3gpuE3ELNS1_3repE0EEENS1_30default_config_static_selectorELNS0_4arch9wavefront6targetE1EEEvT1_,comdat
.Lfunc_end909:
	.size	_ZN7rocprim17ROCPRIM_400000_NS6detail17trampoline_kernelINS0_14default_configENS1_27scan_by_key_config_selectorIxxEEZZNS1_16scan_by_key_implILNS1_25lookback_scan_determinismE0ELb0ES3_N6thrust23THRUST_200600_302600_NS6detail15normal_iteratorINS9_10device_ptrIxEEEENS9_18transform_iteratorINS9_6negateIxEESE_NS9_11use_defaultESI_EESE_xNS9_4plusIvEENS9_8equal_toIvEExEE10hipError_tPvRmT2_T3_T4_T5_mT6_T7_P12ihipStream_tbENKUlT_T0_E_clISt17integral_constantIbLb1EES14_EEDaSZ_S10_EUlSZ_E_NS1_11comp_targetILNS1_3genE9ELNS1_11target_archE1100ELNS1_3gpuE3ELNS1_3repE0EEENS1_30default_config_static_selectorELNS0_4arch9wavefront6targetE1EEEvT1_, .Lfunc_end909-_ZN7rocprim17ROCPRIM_400000_NS6detail17trampoline_kernelINS0_14default_configENS1_27scan_by_key_config_selectorIxxEEZZNS1_16scan_by_key_implILNS1_25lookback_scan_determinismE0ELb0ES3_N6thrust23THRUST_200600_302600_NS6detail15normal_iteratorINS9_10device_ptrIxEEEENS9_18transform_iteratorINS9_6negateIxEESE_NS9_11use_defaultESI_EESE_xNS9_4plusIvEENS9_8equal_toIvEExEE10hipError_tPvRmT2_T3_T4_T5_mT6_T7_P12ihipStream_tbENKUlT_T0_E_clISt17integral_constantIbLb1EES14_EEDaSZ_S10_EUlSZ_E_NS1_11comp_targetILNS1_3genE9ELNS1_11target_archE1100ELNS1_3gpuE3ELNS1_3repE0EEENS1_30default_config_static_selectorELNS0_4arch9wavefront6targetE1EEEvT1_
                                        ; -- End function
	.section	.AMDGPU.csdata,"",@progbits
; Kernel info:
; codeLenInByte = 0
; NumSgprs: 4
; NumVgprs: 0
; NumAgprs: 0
; TotalNumVgprs: 0
; ScratchSize: 0
; MemoryBound: 0
; FloatMode: 240
; IeeeMode: 1
; LDSByteSize: 0 bytes/workgroup (compile time only)
; SGPRBlocks: 0
; VGPRBlocks: 0
; NumSGPRsForWavesPerEU: 4
; NumVGPRsForWavesPerEU: 1
; AccumOffset: 4
; Occupancy: 8
; WaveLimiterHint : 0
; COMPUTE_PGM_RSRC2:SCRATCH_EN: 0
; COMPUTE_PGM_RSRC2:USER_SGPR: 6
; COMPUTE_PGM_RSRC2:TRAP_HANDLER: 0
; COMPUTE_PGM_RSRC2:TGID_X_EN: 1
; COMPUTE_PGM_RSRC2:TGID_Y_EN: 0
; COMPUTE_PGM_RSRC2:TGID_Z_EN: 0
; COMPUTE_PGM_RSRC2:TIDIG_COMP_CNT: 0
; COMPUTE_PGM_RSRC3_GFX90A:ACCUM_OFFSET: 0
; COMPUTE_PGM_RSRC3_GFX90A:TG_SPLIT: 0
	.section	.text._ZN7rocprim17ROCPRIM_400000_NS6detail17trampoline_kernelINS0_14default_configENS1_27scan_by_key_config_selectorIxxEEZZNS1_16scan_by_key_implILNS1_25lookback_scan_determinismE0ELb0ES3_N6thrust23THRUST_200600_302600_NS6detail15normal_iteratorINS9_10device_ptrIxEEEENS9_18transform_iteratorINS9_6negateIxEESE_NS9_11use_defaultESI_EESE_xNS9_4plusIvEENS9_8equal_toIvEExEE10hipError_tPvRmT2_T3_T4_T5_mT6_T7_P12ihipStream_tbENKUlT_T0_E_clISt17integral_constantIbLb1EES14_EEDaSZ_S10_EUlSZ_E_NS1_11comp_targetILNS1_3genE8ELNS1_11target_archE1030ELNS1_3gpuE2ELNS1_3repE0EEENS1_30default_config_static_selectorELNS0_4arch9wavefront6targetE1EEEvT1_,"axG",@progbits,_ZN7rocprim17ROCPRIM_400000_NS6detail17trampoline_kernelINS0_14default_configENS1_27scan_by_key_config_selectorIxxEEZZNS1_16scan_by_key_implILNS1_25lookback_scan_determinismE0ELb0ES3_N6thrust23THRUST_200600_302600_NS6detail15normal_iteratorINS9_10device_ptrIxEEEENS9_18transform_iteratorINS9_6negateIxEESE_NS9_11use_defaultESI_EESE_xNS9_4plusIvEENS9_8equal_toIvEExEE10hipError_tPvRmT2_T3_T4_T5_mT6_T7_P12ihipStream_tbENKUlT_T0_E_clISt17integral_constantIbLb1EES14_EEDaSZ_S10_EUlSZ_E_NS1_11comp_targetILNS1_3genE8ELNS1_11target_archE1030ELNS1_3gpuE2ELNS1_3repE0EEENS1_30default_config_static_selectorELNS0_4arch9wavefront6targetE1EEEvT1_,comdat
	.protected	_ZN7rocprim17ROCPRIM_400000_NS6detail17trampoline_kernelINS0_14default_configENS1_27scan_by_key_config_selectorIxxEEZZNS1_16scan_by_key_implILNS1_25lookback_scan_determinismE0ELb0ES3_N6thrust23THRUST_200600_302600_NS6detail15normal_iteratorINS9_10device_ptrIxEEEENS9_18transform_iteratorINS9_6negateIxEESE_NS9_11use_defaultESI_EESE_xNS9_4plusIvEENS9_8equal_toIvEExEE10hipError_tPvRmT2_T3_T4_T5_mT6_T7_P12ihipStream_tbENKUlT_T0_E_clISt17integral_constantIbLb1EES14_EEDaSZ_S10_EUlSZ_E_NS1_11comp_targetILNS1_3genE8ELNS1_11target_archE1030ELNS1_3gpuE2ELNS1_3repE0EEENS1_30default_config_static_selectorELNS0_4arch9wavefront6targetE1EEEvT1_ ; -- Begin function _ZN7rocprim17ROCPRIM_400000_NS6detail17trampoline_kernelINS0_14default_configENS1_27scan_by_key_config_selectorIxxEEZZNS1_16scan_by_key_implILNS1_25lookback_scan_determinismE0ELb0ES3_N6thrust23THRUST_200600_302600_NS6detail15normal_iteratorINS9_10device_ptrIxEEEENS9_18transform_iteratorINS9_6negateIxEESE_NS9_11use_defaultESI_EESE_xNS9_4plusIvEENS9_8equal_toIvEExEE10hipError_tPvRmT2_T3_T4_T5_mT6_T7_P12ihipStream_tbENKUlT_T0_E_clISt17integral_constantIbLb1EES14_EEDaSZ_S10_EUlSZ_E_NS1_11comp_targetILNS1_3genE8ELNS1_11target_archE1030ELNS1_3gpuE2ELNS1_3repE0EEENS1_30default_config_static_selectorELNS0_4arch9wavefront6targetE1EEEvT1_
	.globl	_ZN7rocprim17ROCPRIM_400000_NS6detail17trampoline_kernelINS0_14default_configENS1_27scan_by_key_config_selectorIxxEEZZNS1_16scan_by_key_implILNS1_25lookback_scan_determinismE0ELb0ES3_N6thrust23THRUST_200600_302600_NS6detail15normal_iteratorINS9_10device_ptrIxEEEENS9_18transform_iteratorINS9_6negateIxEESE_NS9_11use_defaultESI_EESE_xNS9_4plusIvEENS9_8equal_toIvEExEE10hipError_tPvRmT2_T3_T4_T5_mT6_T7_P12ihipStream_tbENKUlT_T0_E_clISt17integral_constantIbLb1EES14_EEDaSZ_S10_EUlSZ_E_NS1_11comp_targetILNS1_3genE8ELNS1_11target_archE1030ELNS1_3gpuE2ELNS1_3repE0EEENS1_30default_config_static_selectorELNS0_4arch9wavefront6targetE1EEEvT1_
	.p2align	8
	.type	_ZN7rocprim17ROCPRIM_400000_NS6detail17trampoline_kernelINS0_14default_configENS1_27scan_by_key_config_selectorIxxEEZZNS1_16scan_by_key_implILNS1_25lookback_scan_determinismE0ELb0ES3_N6thrust23THRUST_200600_302600_NS6detail15normal_iteratorINS9_10device_ptrIxEEEENS9_18transform_iteratorINS9_6negateIxEESE_NS9_11use_defaultESI_EESE_xNS9_4plusIvEENS9_8equal_toIvEExEE10hipError_tPvRmT2_T3_T4_T5_mT6_T7_P12ihipStream_tbENKUlT_T0_E_clISt17integral_constantIbLb1EES14_EEDaSZ_S10_EUlSZ_E_NS1_11comp_targetILNS1_3genE8ELNS1_11target_archE1030ELNS1_3gpuE2ELNS1_3repE0EEENS1_30default_config_static_selectorELNS0_4arch9wavefront6targetE1EEEvT1_,@function
_ZN7rocprim17ROCPRIM_400000_NS6detail17trampoline_kernelINS0_14default_configENS1_27scan_by_key_config_selectorIxxEEZZNS1_16scan_by_key_implILNS1_25lookback_scan_determinismE0ELb0ES3_N6thrust23THRUST_200600_302600_NS6detail15normal_iteratorINS9_10device_ptrIxEEEENS9_18transform_iteratorINS9_6negateIxEESE_NS9_11use_defaultESI_EESE_xNS9_4plusIvEENS9_8equal_toIvEExEE10hipError_tPvRmT2_T3_T4_T5_mT6_T7_P12ihipStream_tbENKUlT_T0_E_clISt17integral_constantIbLb1EES14_EEDaSZ_S10_EUlSZ_E_NS1_11comp_targetILNS1_3genE8ELNS1_11target_archE1030ELNS1_3gpuE2ELNS1_3repE0EEENS1_30default_config_static_selectorELNS0_4arch9wavefront6targetE1EEEvT1_: ; @_ZN7rocprim17ROCPRIM_400000_NS6detail17trampoline_kernelINS0_14default_configENS1_27scan_by_key_config_selectorIxxEEZZNS1_16scan_by_key_implILNS1_25lookback_scan_determinismE0ELb0ES3_N6thrust23THRUST_200600_302600_NS6detail15normal_iteratorINS9_10device_ptrIxEEEENS9_18transform_iteratorINS9_6negateIxEESE_NS9_11use_defaultESI_EESE_xNS9_4plusIvEENS9_8equal_toIvEExEE10hipError_tPvRmT2_T3_T4_T5_mT6_T7_P12ihipStream_tbENKUlT_T0_E_clISt17integral_constantIbLb1EES14_EEDaSZ_S10_EUlSZ_E_NS1_11comp_targetILNS1_3genE8ELNS1_11target_archE1030ELNS1_3gpuE2ELNS1_3repE0EEENS1_30default_config_static_selectorELNS0_4arch9wavefront6targetE1EEEvT1_
; %bb.0:
	.section	.rodata,"a",@progbits
	.p2align	6, 0x0
	.amdhsa_kernel _ZN7rocprim17ROCPRIM_400000_NS6detail17trampoline_kernelINS0_14default_configENS1_27scan_by_key_config_selectorIxxEEZZNS1_16scan_by_key_implILNS1_25lookback_scan_determinismE0ELb0ES3_N6thrust23THRUST_200600_302600_NS6detail15normal_iteratorINS9_10device_ptrIxEEEENS9_18transform_iteratorINS9_6negateIxEESE_NS9_11use_defaultESI_EESE_xNS9_4plusIvEENS9_8equal_toIvEExEE10hipError_tPvRmT2_T3_T4_T5_mT6_T7_P12ihipStream_tbENKUlT_T0_E_clISt17integral_constantIbLb1EES14_EEDaSZ_S10_EUlSZ_E_NS1_11comp_targetILNS1_3genE8ELNS1_11target_archE1030ELNS1_3gpuE2ELNS1_3repE0EEENS1_30default_config_static_selectorELNS0_4arch9wavefront6targetE1EEEvT1_
		.amdhsa_group_segment_fixed_size 0
		.amdhsa_private_segment_fixed_size 0
		.amdhsa_kernarg_size 144
		.amdhsa_user_sgpr_count 6
		.amdhsa_user_sgpr_private_segment_buffer 1
		.amdhsa_user_sgpr_dispatch_ptr 0
		.amdhsa_user_sgpr_queue_ptr 0
		.amdhsa_user_sgpr_kernarg_segment_ptr 1
		.amdhsa_user_sgpr_dispatch_id 0
		.amdhsa_user_sgpr_flat_scratch_init 0
		.amdhsa_user_sgpr_kernarg_preload_length 0
		.amdhsa_user_sgpr_kernarg_preload_offset 0
		.amdhsa_user_sgpr_private_segment_size 0
		.amdhsa_uses_dynamic_stack 0
		.amdhsa_system_sgpr_private_segment_wavefront_offset 0
		.amdhsa_system_sgpr_workgroup_id_x 1
		.amdhsa_system_sgpr_workgroup_id_y 0
		.amdhsa_system_sgpr_workgroup_id_z 0
		.amdhsa_system_sgpr_workgroup_info 0
		.amdhsa_system_vgpr_workitem_id 0
		.amdhsa_next_free_vgpr 1
		.amdhsa_next_free_sgpr 0
		.amdhsa_accum_offset 4
		.amdhsa_reserve_vcc 0
		.amdhsa_reserve_flat_scratch 0
		.amdhsa_float_round_mode_32 0
		.amdhsa_float_round_mode_16_64 0
		.amdhsa_float_denorm_mode_32 3
		.amdhsa_float_denorm_mode_16_64 3
		.amdhsa_dx10_clamp 1
		.amdhsa_ieee_mode 1
		.amdhsa_fp16_overflow 0
		.amdhsa_tg_split 0
		.amdhsa_exception_fp_ieee_invalid_op 0
		.amdhsa_exception_fp_denorm_src 0
		.amdhsa_exception_fp_ieee_div_zero 0
		.amdhsa_exception_fp_ieee_overflow 0
		.amdhsa_exception_fp_ieee_underflow 0
		.amdhsa_exception_fp_ieee_inexact 0
		.amdhsa_exception_int_div_zero 0
	.end_amdhsa_kernel
	.section	.text._ZN7rocprim17ROCPRIM_400000_NS6detail17trampoline_kernelINS0_14default_configENS1_27scan_by_key_config_selectorIxxEEZZNS1_16scan_by_key_implILNS1_25lookback_scan_determinismE0ELb0ES3_N6thrust23THRUST_200600_302600_NS6detail15normal_iteratorINS9_10device_ptrIxEEEENS9_18transform_iteratorINS9_6negateIxEESE_NS9_11use_defaultESI_EESE_xNS9_4plusIvEENS9_8equal_toIvEExEE10hipError_tPvRmT2_T3_T4_T5_mT6_T7_P12ihipStream_tbENKUlT_T0_E_clISt17integral_constantIbLb1EES14_EEDaSZ_S10_EUlSZ_E_NS1_11comp_targetILNS1_3genE8ELNS1_11target_archE1030ELNS1_3gpuE2ELNS1_3repE0EEENS1_30default_config_static_selectorELNS0_4arch9wavefront6targetE1EEEvT1_,"axG",@progbits,_ZN7rocprim17ROCPRIM_400000_NS6detail17trampoline_kernelINS0_14default_configENS1_27scan_by_key_config_selectorIxxEEZZNS1_16scan_by_key_implILNS1_25lookback_scan_determinismE0ELb0ES3_N6thrust23THRUST_200600_302600_NS6detail15normal_iteratorINS9_10device_ptrIxEEEENS9_18transform_iteratorINS9_6negateIxEESE_NS9_11use_defaultESI_EESE_xNS9_4plusIvEENS9_8equal_toIvEExEE10hipError_tPvRmT2_T3_T4_T5_mT6_T7_P12ihipStream_tbENKUlT_T0_E_clISt17integral_constantIbLb1EES14_EEDaSZ_S10_EUlSZ_E_NS1_11comp_targetILNS1_3genE8ELNS1_11target_archE1030ELNS1_3gpuE2ELNS1_3repE0EEENS1_30default_config_static_selectorELNS0_4arch9wavefront6targetE1EEEvT1_,comdat
.Lfunc_end910:
	.size	_ZN7rocprim17ROCPRIM_400000_NS6detail17trampoline_kernelINS0_14default_configENS1_27scan_by_key_config_selectorIxxEEZZNS1_16scan_by_key_implILNS1_25lookback_scan_determinismE0ELb0ES3_N6thrust23THRUST_200600_302600_NS6detail15normal_iteratorINS9_10device_ptrIxEEEENS9_18transform_iteratorINS9_6negateIxEESE_NS9_11use_defaultESI_EESE_xNS9_4plusIvEENS9_8equal_toIvEExEE10hipError_tPvRmT2_T3_T4_T5_mT6_T7_P12ihipStream_tbENKUlT_T0_E_clISt17integral_constantIbLb1EES14_EEDaSZ_S10_EUlSZ_E_NS1_11comp_targetILNS1_3genE8ELNS1_11target_archE1030ELNS1_3gpuE2ELNS1_3repE0EEENS1_30default_config_static_selectorELNS0_4arch9wavefront6targetE1EEEvT1_, .Lfunc_end910-_ZN7rocprim17ROCPRIM_400000_NS6detail17trampoline_kernelINS0_14default_configENS1_27scan_by_key_config_selectorIxxEEZZNS1_16scan_by_key_implILNS1_25lookback_scan_determinismE0ELb0ES3_N6thrust23THRUST_200600_302600_NS6detail15normal_iteratorINS9_10device_ptrIxEEEENS9_18transform_iteratorINS9_6negateIxEESE_NS9_11use_defaultESI_EESE_xNS9_4plusIvEENS9_8equal_toIvEExEE10hipError_tPvRmT2_T3_T4_T5_mT6_T7_P12ihipStream_tbENKUlT_T0_E_clISt17integral_constantIbLb1EES14_EEDaSZ_S10_EUlSZ_E_NS1_11comp_targetILNS1_3genE8ELNS1_11target_archE1030ELNS1_3gpuE2ELNS1_3repE0EEENS1_30default_config_static_selectorELNS0_4arch9wavefront6targetE1EEEvT1_
                                        ; -- End function
	.section	.AMDGPU.csdata,"",@progbits
; Kernel info:
; codeLenInByte = 0
; NumSgprs: 4
; NumVgprs: 0
; NumAgprs: 0
; TotalNumVgprs: 0
; ScratchSize: 0
; MemoryBound: 0
; FloatMode: 240
; IeeeMode: 1
; LDSByteSize: 0 bytes/workgroup (compile time only)
; SGPRBlocks: 0
; VGPRBlocks: 0
; NumSGPRsForWavesPerEU: 4
; NumVGPRsForWavesPerEU: 1
; AccumOffset: 4
; Occupancy: 8
; WaveLimiterHint : 0
; COMPUTE_PGM_RSRC2:SCRATCH_EN: 0
; COMPUTE_PGM_RSRC2:USER_SGPR: 6
; COMPUTE_PGM_RSRC2:TRAP_HANDLER: 0
; COMPUTE_PGM_RSRC2:TGID_X_EN: 1
; COMPUTE_PGM_RSRC2:TGID_Y_EN: 0
; COMPUTE_PGM_RSRC2:TGID_Z_EN: 0
; COMPUTE_PGM_RSRC2:TIDIG_COMP_CNT: 0
; COMPUTE_PGM_RSRC3_GFX90A:ACCUM_OFFSET: 0
; COMPUTE_PGM_RSRC3_GFX90A:TG_SPLIT: 0
	.section	.text._ZN7rocprim17ROCPRIM_400000_NS6detail17trampoline_kernelINS0_14default_configENS1_27scan_by_key_config_selectorIxxEEZZNS1_16scan_by_key_implILNS1_25lookback_scan_determinismE0ELb0ES3_N6thrust23THRUST_200600_302600_NS6detail15normal_iteratorINS9_10device_ptrIxEEEENS9_18transform_iteratorINS9_6negateIxEESE_NS9_11use_defaultESI_EESE_xNS9_4plusIvEENS9_8equal_toIvEExEE10hipError_tPvRmT2_T3_T4_T5_mT6_T7_P12ihipStream_tbENKUlT_T0_E_clISt17integral_constantIbLb1EES13_IbLb0EEEEDaSZ_S10_EUlSZ_E_NS1_11comp_targetILNS1_3genE0ELNS1_11target_archE4294967295ELNS1_3gpuE0ELNS1_3repE0EEENS1_30default_config_static_selectorELNS0_4arch9wavefront6targetE1EEEvT1_,"axG",@progbits,_ZN7rocprim17ROCPRIM_400000_NS6detail17trampoline_kernelINS0_14default_configENS1_27scan_by_key_config_selectorIxxEEZZNS1_16scan_by_key_implILNS1_25lookback_scan_determinismE0ELb0ES3_N6thrust23THRUST_200600_302600_NS6detail15normal_iteratorINS9_10device_ptrIxEEEENS9_18transform_iteratorINS9_6negateIxEESE_NS9_11use_defaultESI_EESE_xNS9_4plusIvEENS9_8equal_toIvEExEE10hipError_tPvRmT2_T3_T4_T5_mT6_T7_P12ihipStream_tbENKUlT_T0_E_clISt17integral_constantIbLb1EES13_IbLb0EEEEDaSZ_S10_EUlSZ_E_NS1_11comp_targetILNS1_3genE0ELNS1_11target_archE4294967295ELNS1_3gpuE0ELNS1_3repE0EEENS1_30default_config_static_selectorELNS0_4arch9wavefront6targetE1EEEvT1_,comdat
	.protected	_ZN7rocprim17ROCPRIM_400000_NS6detail17trampoline_kernelINS0_14default_configENS1_27scan_by_key_config_selectorIxxEEZZNS1_16scan_by_key_implILNS1_25lookback_scan_determinismE0ELb0ES3_N6thrust23THRUST_200600_302600_NS6detail15normal_iteratorINS9_10device_ptrIxEEEENS9_18transform_iteratorINS9_6negateIxEESE_NS9_11use_defaultESI_EESE_xNS9_4plusIvEENS9_8equal_toIvEExEE10hipError_tPvRmT2_T3_T4_T5_mT6_T7_P12ihipStream_tbENKUlT_T0_E_clISt17integral_constantIbLb1EES13_IbLb0EEEEDaSZ_S10_EUlSZ_E_NS1_11comp_targetILNS1_3genE0ELNS1_11target_archE4294967295ELNS1_3gpuE0ELNS1_3repE0EEENS1_30default_config_static_selectorELNS0_4arch9wavefront6targetE1EEEvT1_ ; -- Begin function _ZN7rocprim17ROCPRIM_400000_NS6detail17trampoline_kernelINS0_14default_configENS1_27scan_by_key_config_selectorIxxEEZZNS1_16scan_by_key_implILNS1_25lookback_scan_determinismE0ELb0ES3_N6thrust23THRUST_200600_302600_NS6detail15normal_iteratorINS9_10device_ptrIxEEEENS9_18transform_iteratorINS9_6negateIxEESE_NS9_11use_defaultESI_EESE_xNS9_4plusIvEENS9_8equal_toIvEExEE10hipError_tPvRmT2_T3_T4_T5_mT6_T7_P12ihipStream_tbENKUlT_T0_E_clISt17integral_constantIbLb1EES13_IbLb0EEEEDaSZ_S10_EUlSZ_E_NS1_11comp_targetILNS1_3genE0ELNS1_11target_archE4294967295ELNS1_3gpuE0ELNS1_3repE0EEENS1_30default_config_static_selectorELNS0_4arch9wavefront6targetE1EEEvT1_
	.globl	_ZN7rocprim17ROCPRIM_400000_NS6detail17trampoline_kernelINS0_14default_configENS1_27scan_by_key_config_selectorIxxEEZZNS1_16scan_by_key_implILNS1_25lookback_scan_determinismE0ELb0ES3_N6thrust23THRUST_200600_302600_NS6detail15normal_iteratorINS9_10device_ptrIxEEEENS9_18transform_iteratorINS9_6negateIxEESE_NS9_11use_defaultESI_EESE_xNS9_4plusIvEENS9_8equal_toIvEExEE10hipError_tPvRmT2_T3_T4_T5_mT6_T7_P12ihipStream_tbENKUlT_T0_E_clISt17integral_constantIbLb1EES13_IbLb0EEEEDaSZ_S10_EUlSZ_E_NS1_11comp_targetILNS1_3genE0ELNS1_11target_archE4294967295ELNS1_3gpuE0ELNS1_3repE0EEENS1_30default_config_static_selectorELNS0_4arch9wavefront6targetE1EEEvT1_
	.p2align	8
	.type	_ZN7rocprim17ROCPRIM_400000_NS6detail17trampoline_kernelINS0_14default_configENS1_27scan_by_key_config_selectorIxxEEZZNS1_16scan_by_key_implILNS1_25lookback_scan_determinismE0ELb0ES3_N6thrust23THRUST_200600_302600_NS6detail15normal_iteratorINS9_10device_ptrIxEEEENS9_18transform_iteratorINS9_6negateIxEESE_NS9_11use_defaultESI_EESE_xNS9_4plusIvEENS9_8equal_toIvEExEE10hipError_tPvRmT2_T3_T4_T5_mT6_T7_P12ihipStream_tbENKUlT_T0_E_clISt17integral_constantIbLb1EES13_IbLb0EEEEDaSZ_S10_EUlSZ_E_NS1_11comp_targetILNS1_3genE0ELNS1_11target_archE4294967295ELNS1_3gpuE0ELNS1_3repE0EEENS1_30default_config_static_selectorELNS0_4arch9wavefront6targetE1EEEvT1_,@function
_ZN7rocprim17ROCPRIM_400000_NS6detail17trampoline_kernelINS0_14default_configENS1_27scan_by_key_config_selectorIxxEEZZNS1_16scan_by_key_implILNS1_25lookback_scan_determinismE0ELb0ES3_N6thrust23THRUST_200600_302600_NS6detail15normal_iteratorINS9_10device_ptrIxEEEENS9_18transform_iteratorINS9_6negateIxEESE_NS9_11use_defaultESI_EESE_xNS9_4plusIvEENS9_8equal_toIvEExEE10hipError_tPvRmT2_T3_T4_T5_mT6_T7_P12ihipStream_tbENKUlT_T0_E_clISt17integral_constantIbLb1EES13_IbLb0EEEEDaSZ_S10_EUlSZ_E_NS1_11comp_targetILNS1_3genE0ELNS1_11target_archE4294967295ELNS1_3gpuE0ELNS1_3repE0EEENS1_30default_config_static_selectorELNS0_4arch9wavefront6targetE1EEEvT1_: ; @_ZN7rocprim17ROCPRIM_400000_NS6detail17trampoline_kernelINS0_14default_configENS1_27scan_by_key_config_selectorIxxEEZZNS1_16scan_by_key_implILNS1_25lookback_scan_determinismE0ELb0ES3_N6thrust23THRUST_200600_302600_NS6detail15normal_iteratorINS9_10device_ptrIxEEEENS9_18transform_iteratorINS9_6negateIxEESE_NS9_11use_defaultESI_EESE_xNS9_4plusIvEENS9_8equal_toIvEExEE10hipError_tPvRmT2_T3_T4_T5_mT6_T7_P12ihipStream_tbENKUlT_T0_E_clISt17integral_constantIbLb1EES13_IbLb0EEEEDaSZ_S10_EUlSZ_E_NS1_11comp_targetILNS1_3genE0ELNS1_11target_archE4294967295ELNS1_3gpuE0ELNS1_3repE0EEENS1_30default_config_static_selectorELNS0_4arch9wavefront6targetE1EEEvT1_
; %bb.0:
	.section	.rodata,"a",@progbits
	.p2align	6, 0x0
	.amdhsa_kernel _ZN7rocprim17ROCPRIM_400000_NS6detail17trampoline_kernelINS0_14default_configENS1_27scan_by_key_config_selectorIxxEEZZNS1_16scan_by_key_implILNS1_25lookback_scan_determinismE0ELb0ES3_N6thrust23THRUST_200600_302600_NS6detail15normal_iteratorINS9_10device_ptrIxEEEENS9_18transform_iteratorINS9_6negateIxEESE_NS9_11use_defaultESI_EESE_xNS9_4plusIvEENS9_8equal_toIvEExEE10hipError_tPvRmT2_T3_T4_T5_mT6_T7_P12ihipStream_tbENKUlT_T0_E_clISt17integral_constantIbLb1EES13_IbLb0EEEEDaSZ_S10_EUlSZ_E_NS1_11comp_targetILNS1_3genE0ELNS1_11target_archE4294967295ELNS1_3gpuE0ELNS1_3repE0EEENS1_30default_config_static_selectorELNS0_4arch9wavefront6targetE1EEEvT1_
		.amdhsa_group_segment_fixed_size 0
		.amdhsa_private_segment_fixed_size 0
		.amdhsa_kernarg_size 144
		.amdhsa_user_sgpr_count 6
		.amdhsa_user_sgpr_private_segment_buffer 1
		.amdhsa_user_sgpr_dispatch_ptr 0
		.amdhsa_user_sgpr_queue_ptr 0
		.amdhsa_user_sgpr_kernarg_segment_ptr 1
		.amdhsa_user_sgpr_dispatch_id 0
		.amdhsa_user_sgpr_flat_scratch_init 0
		.amdhsa_user_sgpr_kernarg_preload_length 0
		.amdhsa_user_sgpr_kernarg_preload_offset 0
		.amdhsa_user_sgpr_private_segment_size 0
		.amdhsa_uses_dynamic_stack 0
		.amdhsa_system_sgpr_private_segment_wavefront_offset 0
		.amdhsa_system_sgpr_workgroup_id_x 1
		.amdhsa_system_sgpr_workgroup_id_y 0
		.amdhsa_system_sgpr_workgroup_id_z 0
		.amdhsa_system_sgpr_workgroup_info 0
		.amdhsa_system_vgpr_workitem_id 0
		.amdhsa_next_free_vgpr 1
		.amdhsa_next_free_sgpr 0
		.amdhsa_accum_offset 4
		.amdhsa_reserve_vcc 0
		.amdhsa_reserve_flat_scratch 0
		.amdhsa_float_round_mode_32 0
		.amdhsa_float_round_mode_16_64 0
		.amdhsa_float_denorm_mode_32 3
		.amdhsa_float_denorm_mode_16_64 3
		.amdhsa_dx10_clamp 1
		.amdhsa_ieee_mode 1
		.amdhsa_fp16_overflow 0
		.amdhsa_tg_split 0
		.amdhsa_exception_fp_ieee_invalid_op 0
		.amdhsa_exception_fp_denorm_src 0
		.amdhsa_exception_fp_ieee_div_zero 0
		.amdhsa_exception_fp_ieee_overflow 0
		.amdhsa_exception_fp_ieee_underflow 0
		.amdhsa_exception_fp_ieee_inexact 0
		.amdhsa_exception_int_div_zero 0
	.end_amdhsa_kernel
	.section	.text._ZN7rocprim17ROCPRIM_400000_NS6detail17trampoline_kernelINS0_14default_configENS1_27scan_by_key_config_selectorIxxEEZZNS1_16scan_by_key_implILNS1_25lookback_scan_determinismE0ELb0ES3_N6thrust23THRUST_200600_302600_NS6detail15normal_iteratorINS9_10device_ptrIxEEEENS9_18transform_iteratorINS9_6negateIxEESE_NS9_11use_defaultESI_EESE_xNS9_4plusIvEENS9_8equal_toIvEExEE10hipError_tPvRmT2_T3_T4_T5_mT6_T7_P12ihipStream_tbENKUlT_T0_E_clISt17integral_constantIbLb1EES13_IbLb0EEEEDaSZ_S10_EUlSZ_E_NS1_11comp_targetILNS1_3genE0ELNS1_11target_archE4294967295ELNS1_3gpuE0ELNS1_3repE0EEENS1_30default_config_static_selectorELNS0_4arch9wavefront6targetE1EEEvT1_,"axG",@progbits,_ZN7rocprim17ROCPRIM_400000_NS6detail17trampoline_kernelINS0_14default_configENS1_27scan_by_key_config_selectorIxxEEZZNS1_16scan_by_key_implILNS1_25lookback_scan_determinismE0ELb0ES3_N6thrust23THRUST_200600_302600_NS6detail15normal_iteratorINS9_10device_ptrIxEEEENS9_18transform_iteratorINS9_6negateIxEESE_NS9_11use_defaultESI_EESE_xNS9_4plusIvEENS9_8equal_toIvEExEE10hipError_tPvRmT2_T3_T4_T5_mT6_T7_P12ihipStream_tbENKUlT_T0_E_clISt17integral_constantIbLb1EES13_IbLb0EEEEDaSZ_S10_EUlSZ_E_NS1_11comp_targetILNS1_3genE0ELNS1_11target_archE4294967295ELNS1_3gpuE0ELNS1_3repE0EEENS1_30default_config_static_selectorELNS0_4arch9wavefront6targetE1EEEvT1_,comdat
.Lfunc_end911:
	.size	_ZN7rocprim17ROCPRIM_400000_NS6detail17trampoline_kernelINS0_14default_configENS1_27scan_by_key_config_selectorIxxEEZZNS1_16scan_by_key_implILNS1_25lookback_scan_determinismE0ELb0ES3_N6thrust23THRUST_200600_302600_NS6detail15normal_iteratorINS9_10device_ptrIxEEEENS9_18transform_iteratorINS9_6negateIxEESE_NS9_11use_defaultESI_EESE_xNS9_4plusIvEENS9_8equal_toIvEExEE10hipError_tPvRmT2_T3_T4_T5_mT6_T7_P12ihipStream_tbENKUlT_T0_E_clISt17integral_constantIbLb1EES13_IbLb0EEEEDaSZ_S10_EUlSZ_E_NS1_11comp_targetILNS1_3genE0ELNS1_11target_archE4294967295ELNS1_3gpuE0ELNS1_3repE0EEENS1_30default_config_static_selectorELNS0_4arch9wavefront6targetE1EEEvT1_, .Lfunc_end911-_ZN7rocprim17ROCPRIM_400000_NS6detail17trampoline_kernelINS0_14default_configENS1_27scan_by_key_config_selectorIxxEEZZNS1_16scan_by_key_implILNS1_25lookback_scan_determinismE0ELb0ES3_N6thrust23THRUST_200600_302600_NS6detail15normal_iteratorINS9_10device_ptrIxEEEENS9_18transform_iteratorINS9_6negateIxEESE_NS9_11use_defaultESI_EESE_xNS9_4plusIvEENS9_8equal_toIvEExEE10hipError_tPvRmT2_T3_T4_T5_mT6_T7_P12ihipStream_tbENKUlT_T0_E_clISt17integral_constantIbLb1EES13_IbLb0EEEEDaSZ_S10_EUlSZ_E_NS1_11comp_targetILNS1_3genE0ELNS1_11target_archE4294967295ELNS1_3gpuE0ELNS1_3repE0EEENS1_30default_config_static_selectorELNS0_4arch9wavefront6targetE1EEEvT1_
                                        ; -- End function
	.section	.AMDGPU.csdata,"",@progbits
; Kernel info:
; codeLenInByte = 0
; NumSgprs: 4
; NumVgprs: 0
; NumAgprs: 0
; TotalNumVgprs: 0
; ScratchSize: 0
; MemoryBound: 0
; FloatMode: 240
; IeeeMode: 1
; LDSByteSize: 0 bytes/workgroup (compile time only)
; SGPRBlocks: 0
; VGPRBlocks: 0
; NumSGPRsForWavesPerEU: 4
; NumVGPRsForWavesPerEU: 1
; AccumOffset: 4
; Occupancy: 8
; WaveLimiterHint : 0
; COMPUTE_PGM_RSRC2:SCRATCH_EN: 0
; COMPUTE_PGM_RSRC2:USER_SGPR: 6
; COMPUTE_PGM_RSRC2:TRAP_HANDLER: 0
; COMPUTE_PGM_RSRC2:TGID_X_EN: 1
; COMPUTE_PGM_RSRC2:TGID_Y_EN: 0
; COMPUTE_PGM_RSRC2:TGID_Z_EN: 0
; COMPUTE_PGM_RSRC2:TIDIG_COMP_CNT: 0
; COMPUTE_PGM_RSRC3_GFX90A:ACCUM_OFFSET: 0
; COMPUTE_PGM_RSRC3_GFX90A:TG_SPLIT: 0
	.section	.text._ZN7rocprim17ROCPRIM_400000_NS6detail17trampoline_kernelINS0_14default_configENS1_27scan_by_key_config_selectorIxxEEZZNS1_16scan_by_key_implILNS1_25lookback_scan_determinismE0ELb0ES3_N6thrust23THRUST_200600_302600_NS6detail15normal_iteratorINS9_10device_ptrIxEEEENS9_18transform_iteratorINS9_6negateIxEESE_NS9_11use_defaultESI_EESE_xNS9_4plusIvEENS9_8equal_toIvEExEE10hipError_tPvRmT2_T3_T4_T5_mT6_T7_P12ihipStream_tbENKUlT_T0_E_clISt17integral_constantIbLb1EES13_IbLb0EEEEDaSZ_S10_EUlSZ_E_NS1_11comp_targetILNS1_3genE10ELNS1_11target_archE1201ELNS1_3gpuE5ELNS1_3repE0EEENS1_30default_config_static_selectorELNS0_4arch9wavefront6targetE1EEEvT1_,"axG",@progbits,_ZN7rocprim17ROCPRIM_400000_NS6detail17trampoline_kernelINS0_14default_configENS1_27scan_by_key_config_selectorIxxEEZZNS1_16scan_by_key_implILNS1_25lookback_scan_determinismE0ELb0ES3_N6thrust23THRUST_200600_302600_NS6detail15normal_iteratorINS9_10device_ptrIxEEEENS9_18transform_iteratorINS9_6negateIxEESE_NS9_11use_defaultESI_EESE_xNS9_4plusIvEENS9_8equal_toIvEExEE10hipError_tPvRmT2_T3_T4_T5_mT6_T7_P12ihipStream_tbENKUlT_T0_E_clISt17integral_constantIbLb1EES13_IbLb0EEEEDaSZ_S10_EUlSZ_E_NS1_11comp_targetILNS1_3genE10ELNS1_11target_archE1201ELNS1_3gpuE5ELNS1_3repE0EEENS1_30default_config_static_selectorELNS0_4arch9wavefront6targetE1EEEvT1_,comdat
	.protected	_ZN7rocprim17ROCPRIM_400000_NS6detail17trampoline_kernelINS0_14default_configENS1_27scan_by_key_config_selectorIxxEEZZNS1_16scan_by_key_implILNS1_25lookback_scan_determinismE0ELb0ES3_N6thrust23THRUST_200600_302600_NS6detail15normal_iteratorINS9_10device_ptrIxEEEENS9_18transform_iteratorINS9_6negateIxEESE_NS9_11use_defaultESI_EESE_xNS9_4plusIvEENS9_8equal_toIvEExEE10hipError_tPvRmT2_T3_T4_T5_mT6_T7_P12ihipStream_tbENKUlT_T0_E_clISt17integral_constantIbLb1EES13_IbLb0EEEEDaSZ_S10_EUlSZ_E_NS1_11comp_targetILNS1_3genE10ELNS1_11target_archE1201ELNS1_3gpuE5ELNS1_3repE0EEENS1_30default_config_static_selectorELNS0_4arch9wavefront6targetE1EEEvT1_ ; -- Begin function _ZN7rocprim17ROCPRIM_400000_NS6detail17trampoline_kernelINS0_14default_configENS1_27scan_by_key_config_selectorIxxEEZZNS1_16scan_by_key_implILNS1_25lookback_scan_determinismE0ELb0ES3_N6thrust23THRUST_200600_302600_NS6detail15normal_iteratorINS9_10device_ptrIxEEEENS9_18transform_iteratorINS9_6negateIxEESE_NS9_11use_defaultESI_EESE_xNS9_4plusIvEENS9_8equal_toIvEExEE10hipError_tPvRmT2_T3_T4_T5_mT6_T7_P12ihipStream_tbENKUlT_T0_E_clISt17integral_constantIbLb1EES13_IbLb0EEEEDaSZ_S10_EUlSZ_E_NS1_11comp_targetILNS1_3genE10ELNS1_11target_archE1201ELNS1_3gpuE5ELNS1_3repE0EEENS1_30default_config_static_selectorELNS0_4arch9wavefront6targetE1EEEvT1_
	.globl	_ZN7rocprim17ROCPRIM_400000_NS6detail17trampoline_kernelINS0_14default_configENS1_27scan_by_key_config_selectorIxxEEZZNS1_16scan_by_key_implILNS1_25lookback_scan_determinismE0ELb0ES3_N6thrust23THRUST_200600_302600_NS6detail15normal_iteratorINS9_10device_ptrIxEEEENS9_18transform_iteratorINS9_6negateIxEESE_NS9_11use_defaultESI_EESE_xNS9_4plusIvEENS9_8equal_toIvEExEE10hipError_tPvRmT2_T3_T4_T5_mT6_T7_P12ihipStream_tbENKUlT_T0_E_clISt17integral_constantIbLb1EES13_IbLb0EEEEDaSZ_S10_EUlSZ_E_NS1_11comp_targetILNS1_3genE10ELNS1_11target_archE1201ELNS1_3gpuE5ELNS1_3repE0EEENS1_30default_config_static_selectorELNS0_4arch9wavefront6targetE1EEEvT1_
	.p2align	8
	.type	_ZN7rocprim17ROCPRIM_400000_NS6detail17trampoline_kernelINS0_14default_configENS1_27scan_by_key_config_selectorIxxEEZZNS1_16scan_by_key_implILNS1_25lookback_scan_determinismE0ELb0ES3_N6thrust23THRUST_200600_302600_NS6detail15normal_iteratorINS9_10device_ptrIxEEEENS9_18transform_iteratorINS9_6negateIxEESE_NS9_11use_defaultESI_EESE_xNS9_4plusIvEENS9_8equal_toIvEExEE10hipError_tPvRmT2_T3_T4_T5_mT6_T7_P12ihipStream_tbENKUlT_T0_E_clISt17integral_constantIbLb1EES13_IbLb0EEEEDaSZ_S10_EUlSZ_E_NS1_11comp_targetILNS1_3genE10ELNS1_11target_archE1201ELNS1_3gpuE5ELNS1_3repE0EEENS1_30default_config_static_selectorELNS0_4arch9wavefront6targetE1EEEvT1_,@function
_ZN7rocprim17ROCPRIM_400000_NS6detail17trampoline_kernelINS0_14default_configENS1_27scan_by_key_config_selectorIxxEEZZNS1_16scan_by_key_implILNS1_25lookback_scan_determinismE0ELb0ES3_N6thrust23THRUST_200600_302600_NS6detail15normal_iteratorINS9_10device_ptrIxEEEENS9_18transform_iteratorINS9_6negateIxEESE_NS9_11use_defaultESI_EESE_xNS9_4plusIvEENS9_8equal_toIvEExEE10hipError_tPvRmT2_T3_T4_T5_mT6_T7_P12ihipStream_tbENKUlT_T0_E_clISt17integral_constantIbLb1EES13_IbLb0EEEEDaSZ_S10_EUlSZ_E_NS1_11comp_targetILNS1_3genE10ELNS1_11target_archE1201ELNS1_3gpuE5ELNS1_3repE0EEENS1_30default_config_static_selectorELNS0_4arch9wavefront6targetE1EEEvT1_: ; @_ZN7rocprim17ROCPRIM_400000_NS6detail17trampoline_kernelINS0_14default_configENS1_27scan_by_key_config_selectorIxxEEZZNS1_16scan_by_key_implILNS1_25lookback_scan_determinismE0ELb0ES3_N6thrust23THRUST_200600_302600_NS6detail15normal_iteratorINS9_10device_ptrIxEEEENS9_18transform_iteratorINS9_6negateIxEESE_NS9_11use_defaultESI_EESE_xNS9_4plusIvEENS9_8equal_toIvEExEE10hipError_tPvRmT2_T3_T4_T5_mT6_T7_P12ihipStream_tbENKUlT_T0_E_clISt17integral_constantIbLb1EES13_IbLb0EEEEDaSZ_S10_EUlSZ_E_NS1_11comp_targetILNS1_3genE10ELNS1_11target_archE1201ELNS1_3gpuE5ELNS1_3repE0EEENS1_30default_config_static_selectorELNS0_4arch9wavefront6targetE1EEEvT1_
; %bb.0:
	.section	.rodata,"a",@progbits
	.p2align	6, 0x0
	.amdhsa_kernel _ZN7rocprim17ROCPRIM_400000_NS6detail17trampoline_kernelINS0_14default_configENS1_27scan_by_key_config_selectorIxxEEZZNS1_16scan_by_key_implILNS1_25lookback_scan_determinismE0ELb0ES3_N6thrust23THRUST_200600_302600_NS6detail15normal_iteratorINS9_10device_ptrIxEEEENS9_18transform_iteratorINS9_6negateIxEESE_NS9_11use_defaultESI_EESE_xNS9_4plusIvEENS9_8equal_toIvEExEE10hipError_tPvRmT2_T3_T4_T5_mT6_T7_P12ihipStream_tbENKUlT_T0_E_clISt17integral_constantIbLb1EES13_IbLb0EEEEDaSZ_S10_EUlSZ_E_NS1_11comp_targetILNS1_3genE10ELNS1_11target_archE1201ELNS1_3gpuE5ELNS1_3repE0EEENS1_30default_config_static_selectorELNS0_4arch9wavefront6targetE1EEEvT1_
		.amdhsa_group_segment_fixed_size 0
		.amdhsa_private_segment_fixed_size 0
		.amdhsa_kernarg_size 144
		.amdhsa_user_sgpr_count 6
		.amdhsa_user_sgpr_private_segment_buffer 1
		.amdhsa_user_sgpr_dispatch_ptr 0
		.amdhsa_user_sgpr_queue_ptr 0
		.amdhsa_user_sgpr_kernarg_segment_ptr 1
		.amdhsa_user_sgpr_dispatch_id 0
		.amdhsa_user_sgpr_flat_scratch_init 0
		.amdhsa_user_sgpr_kernarg_preload_length 0
		.amdhsa_user_sgpr_kernarg_preload_offset 0
		.amdhsa_user_sgpr_private_segment_size 0
		.amdhsa_uses_dynamic_stack 0
		.amdhsa_system_sgpr_private_segment_wavefront_offset 0
		.amdhsa_system_sgpr_workgroup_id_x 1
		.amdhsa_system_sgpr_workgroup_id_y 0
		.amdhsa_system_sgpr_workgroup_id_z 0
		.amdhsa_system_sgpr_workgroup_info 0
		.amdhsa_system_vgpr_workitem_id 0
		.amdhsa_next_free_vgpr 1
		.amdhsa_next_free_sgpr 0
		.amdhsa_accum_offset 4
		.amdhsa_reserve_vcc 0
		.amdhsa_reserve_flat_scratch 0
		.amdhsa_float_round_mode_32 0
		.amdhsa_float_round_mode_16_64 0
		.amdhsa_float_denorm_mode_32 3
		.amdhsa_float_denorm_mode_16_64 3
		.amdhsa_dx10_clamp 1
		.amdhsa_ieee_mode 1
		.amdhsa_fp16_overflow 0
		.amdhsa_tg_split 0
		.amdhsa_exception_fp_ieee_invalid_op 0
		.amdhsa_exception_fp_denorm_src 0
		.amdhsa_exception_fp_ieee_div_zero 0
		.amdhsa_exception_fp_ieee_overflow 0
		.amdhsa_exception_fp_ieee_underflow 0
		.amdhsa_exception_fp_ieee_inexact 0
		.amdhsa_exception_int_div_zero 0
	.end_amdhsa_kernel
	.section	.text._ZN7rocprim17ROCPRIM_400000_NS6detail17trampoline_kernelINS0_14default_configENS1_27scan_by_key_config_selectorIxxEEZZNS1_16scan_by_key_implILNS1_25lookback_scan_determinismE0ELb0ES3_N6thrust23THRUST_200600_302600_NS6detail15normal_iteratorINS9_10device_ptrIxEEEENS9_18transform_iteratorINS9_6negateIxEESE_NS9_11use_defaultESI_EESE_xNS9_4plusIvEENS9_8equal_toIvEExEE10hipError_tPvRmT2_T3_T4_T5_mT6_T7_P12ihipStream_tbENKUlT_T0_E_clISt17integral_constantIbLb1EES13_IbLb0EEEEDaSZ_S10_EUlSZ_E_NS1_11comp_targetILNS1_3genE10ELNS1_11target_archE1201ELNS1_3gpuE5ELNS1_3repE0EEENS1_30default_config_static_selectorELNS0_4arch9wavefront6targetE1EEEvT1_,"axG",@progbits,_ZN7rocprim17ROCPRIM_400000_NS6detail17trampoline_kernelINS0_14default_configENS1_27scan_by_key_config_selectorIxxEEZZNS1_16scan_by_key_implILNS1_25lookback_scan_determinismE0ELb0ES3_N6thrust23THRUST_200600_302600_NS6detail15normal_iteratorINS9_10device_ptrIxEEEENS9_18transform_iteratorINS9_6negateIxEESE_NS9_11use_defaultESI_EESE_xNS9_4plusIvEENS9_8equal_toIvEExEE10hipError_tPvRmT2_T3_T4_T5_mT6_T7_P12ihipStream_tbENKUlT_T0_E_clISt17integral_constantIbLb1EES13_IbLb0EEEEDaSZ_S10_EUlSZ_E_NS1_11comp_targetILNS1_3genE10ELNS1_11target_archE1201ELNS1_3gpuE5ELNS1_3repE0EEENS1_30default_config_static_selectorELNS0_4arch9wavefront6targetE1EEEvT1_,comdat
.Lfunc_end912:
	.size	_ZN7rocprim17ROCPRIM_400000_NS6detail17trampoline_kernelINS0_14default_configENS1_27scan_by_key_config_selectorIxxEEZZNS1_16scan_by_key_implILNS1_25lookback_scan_determinismE0ELb0ES3_N6thrust23THRUST_200600_302600_NS6detail15normal_iteratorINS9_10device_ptrIxEEEENS9_18transform_iteratorINS9_6negateIxEESE_NS9_11use_defaultESI_EESE_xNS9_4plusIvEENS9_8equal_toIvEExEE10hipError_tPvRmT2_T3_T4_T5_mT6_T7_P12ihipStream_tbENKUlT_T0_E_clISt17integral_constantIbLb1EES13_IbLb0EEEEDaSZ_S10_EUlSZ_E_NS1_11comp_targetILNS1_3genE10ELNS1_11target_archE1201ELNS1_3gpuE5ELNS1_3repE0EEENS1_30default_config_static_selectorELNS0_4arch9wavefront6targetE1EEEvT1_, .Lfunc_end912-_ZN7rocprim17ROCPRIM_400000_NS6detail17trampoline_kernelINS0_14default_configENS1_27scan_by_key_config_selectorIxxEEZZNS1_16scan_by_key_implILNS1_25lookback_scan_determinismE0ELb0ES3_N6thrust23THRUST_200600_302600_NS6detail15normal_iteratorINS9_10device_ptrIxEEEENS9_18transform_iteratorINS9_6negateIxEESE_NS9_11use_defaultESI_EESE_xNS9_4plusIvEENS9_8equal_toIvEExEE10hipError_tPvRmT2_T3_T4_T5_mT6_T7_P12ihipStream_tbENKUlT_T0_E_clISt17integral_constantIbLb1EES13_IbLb0EEEEDaSZ_S10_EUlSZ_E_NS1_11comp_targetILNS1_3genE10ELNS1_11target_archE1201ELNS1_3gpuE5ELNS1_3repE0EEENS1_30default_config_static_selectorELNS0_4arch9wavefront6targetE1EEEvT1_
                                        ; -- End function
	.section	.AMDGPU.csdata,"",@progbits
; Kernel info:
; codeLenInByte = 0
; NumSgprs: 4
; NumVgprs: 0
; NumAgprs: 0
; TotalNumVgprs: 0
; ScratchSize: 0
; MemoryBound: 0
; FloatMode: 240
; IeeeMode: 1
; LDSByteSize: 0 bytes/workgroup (compile time only)
; SGPRBlocks: 0
; VGPRBlocks: 0
; NumSGPRsForWavesPerEU: 4
; NumVGPRsForWavesPerEU: 1
; AccumOffset: 4
; Occupancy: 8
; WaveLimiterHint : 0
; COMPUTE_PGM_RSRC2:SCRATCH_EN: 0
; COMPUTE_PGM_RSRC2:USER_SGPR: 6
; COMPUTE_PGM_RSRC2:TRAP_HANDLER: 0
; COMPUTE_PGM_RSRC2:TGID_X_EN: 1
; COMPUTE_PGM_RSRC2:TGID_Y_EN: 0
; COMPUTE_PGM_RSRC2:TGID_Z_EN: 0
; COMPUTE_PGM_RSRC2:TIDIG_COMP_CNT: 0
; COMPUTE_PGM_RSRC3_GFX90A:ACCUM_OFFSET: 0
; COMPUTE_PGM_RSRC3_GFX90A:TG_SPLIT: 0
	.section	.text._ZN7rocprim17ROCPRIM_400000_NS6detail17trampoline_kernelINS0_14default_configENS1_27scan_by_key_config_selectorIxxEEZZNS1_16scan_by_key_implILNS1_25lookback_scan_determinismE0ELb0ES3_N6thrust23THRUST_200600_302600_NS6detail15normal_iteratorINS9_10device_ptrIxEEEENS9_18transform_iteratorINS9_6negateIxEESE_NS9_11use_defaultESI_EESE_xNS9_4plusIvEENS9_8equal_toIvEExEE10hipError_tPvRmT2_T3_T4_T5_mT6_T7_P12ihipStream_tbENKUlT_T0_E_clISt17integral_constantIbLb1EES13_IbLb0EEEEDaSZ_S10_EUlSZ_E_NS1_11comp_targetILNS1_3genE5ELNS1_11target_archE942ELNS1_3gpuE9ELNS1_3repE0EEENS1_30default_config_static_selectorELNS0_4arch9wavefront6targetE1EEEvT1_,"axG",@progbits,_ZN7rocprim17ROCPRIM_400000_NS6detail17trampoline_kernelINS0_14default_configENS1_27scan_by_key_config_selectorIxxEEZZNS1_16scan_by_key_implILNS1_25lookback_scan_determinismE0ELb0ES3_N6thrust23THRUST_200600_302600_NS6detail15normal_iteratorINS9_10device_ptrIxEEEENS9_18transform_iteratorINS9_6negateIxEESE_NS9_11use_defaultESI_EESE_xNS9_4plusIvEENS9_8equal_toIvEExEE10hipError_tPvRmT2_T3_T4_T5_mT6_T7_P12ihipStream_tbENKUlT_T0_E_clISt17integral_constantIbLb1EES13_IbLb0EEEEDaSZ_S10_EUlSZ_E_NS1_11comp_targetILNS1_3genE5ELNS1_11target_archE942ELNS1_3gpuE9ELNS1_3repE0EEENS1_30default_config_static_selectorELNS0_4arch9wavefront6targetE1EEEvT1_,comdat
	.protected	_ZN7rocprim17ROCPRIM_400000_NS6detail17trampoline_kernelINS0_14default_configENS1_27scan_by_key_config_selectorIxxEEZZNS1_16scan_by_key_implILNS1_25lookback_scan_determinismE0ELb0ES3_N6thrust23THRUST_200600_302600_NS6detail15normal_iteratorINS9_10device_ptrIxEEEENS9_18transform_iteratorINS9_6negateIxEESE_NS9_11use_defaultESI_EESE_xNS9_4plusIvEENS9_8equal_toIvEExEE10hipError_tPvRmT2_T3_T4_T5_mT6_T7_P12ihipStream_tbENKUlT_T0_E_clISt17integral_constantIbLb1EES13_IbLb0EEEEDaSZ_S10_EUlSZ_E_NS1_11comp_targetILNS1_3genE5ELNS1_11target_archE942ELNS1_3gpuE9ELNS1_3repE0EEENS1_30default_config_static_selectorELNS0_4arch9wavefront6targetE1EEEvT1_ ; -- Begin function _ZN7rocprim17ROCPRIM_400000_NS6detail17trampoline_kernelINS0_14default_configENS1_27scan_by_key_config_selectorIxxEEZZNS1_16scan_by_key_implILNS1_25lookback_scan_determinismE0ELb0ES3_N6thrust23THRUST_200600_302600_NS6detail15normal_iteratorINS9_10device_ptrIxEEEENS9_18transform_iteratorINS9_6negateIxEESE_NS9_11use_defaultESI_EESE_xNS9_4plusIvEENS9_8equal_toIvEExEE10hipError_tPvRmT2_T3_T4_T5_mT6_T7_P12ihipStream_tbENKUlT_T0_E_clISt17integral_constantIbLb1EES13_IbLb0EEEEDaSZ_S10_EUlSZ_E_NS1_11comp_targetILNS1_3genE5ELNS1_11target_archE942ELNS1_3gpuE9ELNS1_3repE0EEENS1_30default_config_static_selectorELNS0_4arch9wavefront6targetE1EEEvT1_
	.globl	_ZN7rocprim17ROCPRIM_400000_NS6detail17trampoline_kernelINS0_14default_configENS1_27scan_by_key_config_selectorIxxEEZZNS1_16scan_by_key_implILNS1_25lookback_scan_determinismE0ELb0ES3_N6thrust23THRUST_200600_302600_NS6detail15normal_iteratorINS9_10device_ptrIxEEEENS9_18transform_iteratorINS9_6negateIxEESE_NS9_11use_defaultESI_EESE_xNS9_4plusIvEENS9_8equal_toIvEExEE10hipError_tPvRmT2_T3_T4_T5_mT6_T7_P12ihipStream_tbENKUlT_T0_E_clISt17integral_constantIbLb1EES13_IbLb0EEEEDaSZ_S10_EUlSZ_E_NS1_11comp_targetILNS1_3genE5ELNS1_11target_archE942ELNS1_3gpuE9ELNS1_3repE0EEENS1_30default_config_static_selectorELNS0_4arch9wavefront6targetE1EEEvT1_
	.p2align	8
	.type	_ZN7rocprim17ROCPRIM_400000_NS6detail17trampoline_kernelINS0_14default_configENS1_27scan_by_key_config_selectorIxxEEZZNS1_16scan_by_key_implILNS1_25lookback_scan_determinismE0ELb0ES3_N6thrust23THRUST_200600_302600_NS6detail15normal_iteratorINS9_10device_ptrIxEEEENS9_18transform_iteratorINS9_6negateIxEESE_NS9_11use_defaultESI_EESE_xNS9_4plusIvEENS9_8equal_toIvEExEE10hipError_tPvRmT2_T3_T4_T5_mT6_T7_P12ihipStream_tbENKUlT_T0_E_clISt17integral_constantIbLb1EES13_IbLb0EEEEDaSZ_S10_EUlSZ_E_NS1_11comp_targetILNS1_3genE5ELNS1_11target_archE942ELNS1_3gpuE9ELNS1_3repE0EEENS1_30default_config_static_selectorELNS0_4arch9wavefront6targetE1EEEvT1_,@function
_ZN7rocprim17ROCPRIM_400000_NS6detail17trampoline_kernelINS0_14default_configENS1_27scan_by_key_config_selectorIxxEEZZNS1_16scan_by_key_implILNS1_25lookback_scan_determinismE0ELb0ES3_N6thrust23THRUST_200600_302600_NS6detail15normal_iteratorINS9_10device_ptrIxEEEENS9_18transform_iteratorINS9_6negateIxEESE_NS9_11use_defaultESI_EESE_xNS9_4plusIvEENS9_8equal_toIvEExEE10hipError_tPvRmT2_T3_T4_T5_mT6_T7_P12ihipStream_tbENKUlT_T0_E_clISt17integral_constantIbLb1EES13_IbLb0EEEEDaSZ_S10_EUlSZ_E_NS1_11comp_targetILNS1_3genE5ELNS1_11target_archE942ELNS1_3gpuE9ELNS1_3repE0EEENS1_30default_config_static_selectorELNS0_4arch9wavefront6targetE1EEEvT1_: ; @_ZN7rocprim17ROCPRIM_400000_NS6detail17trampoline_kernelINS0_14default_configENS1_27scan_by_key_config_selectorIxxEEZZNS1_16scan_by_key_implILNS1_25lookback_scan_determinismE0ELb0ES3_N6thrust23THRUST_200600_302600_NS6detail15normal_iteratorINS9_10device_ptrIxEEEENS9_18transform_iteratorINS9_6negateIxEESE_NS9_11use_defaultESI_EESE_xNS9_4plusIvEENS9_8equal_toIvEExEE10hipError_tPvRmT2_T3_T4_T5_mT6_T7_P12ihipStream_tbENKUlT_T0_E_clISt17integral_constantIbLb1EES13_IbLb0EEEEDaSZ_S10_EUlSZ_E_NS1_11comp_targetILNS1_3genE5ELNS1_11target_archE942ELNS1_3gpuE9ELNS1_3repE0EEENS1_30default_config_static_selectorELNS0_4arch9wavefront6targetE1EEEvT1_
; %bb.0:
	.section	.rodata,"a",@progbits
	.p2align	6, 0x0
	.amdhsa_kernel _ZN7rocprim17ROCPRIM_400000_NS6detail17trampoline_kernelINS0_14default_configENS1_27scan_by_key_config_selectorIxxEEZZNS1_16scan_by_key_implILNS1_25lookback_scan_determinismE0ELb0ES3_N6thrust23THRUST_200600_302600_NS6detail15normal_iteratorINS9_10device_ptrIxEEEENS9_18transform_iteratorINS9_6negateIxEESE_NS9_11use_defaultESI_EESE_xNS9_4plusIvEENS9_8equal_toIvEExEE10hipError_tPvRmT2_T3_T4_T5_mT6_T7_P12ihipStream_tbENKUlT_T0_E_clISt17integral_constantIbLb1EES13_IbLb0EEEEDaSZ_S10_EUlSZ_E_NS1_11comp_targetILNS1_3genE5ELNS1_11target_archE942ELNS1_3gpuE9ELNS1_3repE0EEENS1_30default_config_static_selectorELNS0_4arch9wavefront6targetE1EEEvT1_
		.amdhsa_group_segment_fixed_size 0
		.amdhsa_private_segment_fixed_size 0
		.amdhsa_kernarg_size 144
		.amdhsa_user_sgpr_count 6
		.amdhsa_user_sgpr_private_segment_buffer 1
		.amdhsa_user_sgpr_dispatch_ptr 0
		.amdhsa_user_sgpr_queue_ptr 0
		.amdhsa_user_sgpr_kernarg_segment_ptr 1
		.amdhsa_user_sgpr_dispatch_id 0
		.amdhsa_user_sgpr_flat_scratch_init 0
		.amdhsa_user_sgpr_kernarg_preload_length 0
		.amdhsa_user_sgpr_kernarg_preload_offset 0
		.amdhsa_user_sgpr_private_segment_size 0
		.amdhsa_uses_dynamic_stack 0
		.amdhsa_system_sgpr_private_segment_wavefront_offset 0
		.amdhsa_system_sgpr_workgroup_id_x 1
		.amdhsa_system_sgpr_workgroup_id_y 0
		.amdhsa_system_sgpr_workgroup_id_z 0
		.amdhsa_system_sgpr_workgroup_info 0
		.amdhsa_system_vgpr_workitem_id 0
		.amdhsa_next_free_vgpr 1
		.amdhsa_next_free_sgpr 0
		.amdhsa_accum_offset 4
		.amdhsa_reserve_vcc 0
		.amdhsa_reserve_flat_scratch 0
		.amdhsa_float_round_mode_32 0
		.amdhsa_float_round_mode_16_64 0
		.amdhsa_float_denorm_mode_32 3
		.amdhsa_float_denorm_mode_16_64 3
		.amdhsa_dx10_clamp 1
		.amdhsa_ieee_mode 1
		.amdhsa_fp16_overflow 0
		.amdhsa_tg_split 0
		.amdhsa_exception_fp_ieee_invalid_op 0
		.amdhsa_exception_fp_denorm_src 0
		.amdhsa_exception_fp_ieee_div_zero 0
		.amdhsa_exception_fp_ieee_overflow 0
		.amdhsa_exception_fp_ieee_underflow 0
		.amdhsa_exception_fp_ieee_inexact 0
		.amdhsa_exception_int_div_zero 0
	.end_amdhsa_kernel
	.section	.text._ZN7rocprim17ROCPRIM_400000_NS6detail17trampoline_kernelINS0_14default_configENS1_27scan_by_key_config_selectorIxxEEZZNS1_16scan_by_key_implILNS1_25lookback_scan_determinismE0ELb0ES3_N6thrust23THRUST_200600_302600_NS6detail15normal_iteratorINS9_10device_ptrIxEEEENS9_18transform_iteratorINS9_6negateIxEESE_NS9_11use_defaultESI_EESE_xNS9_4plusIvEENS9_8equal_toIvEExEE10hipError_tPvRmT2_T3_T4_T5_mT6_T7_P12ihipStream_tbENKUlT_T0_E_clISt17integral_constantIbLb1EES13_IbLb0EEEEDaSZ_S10_EUlSZ_E_NS1_11comp_targetILNS1_3genE5ELNS1_11target_archE942ELNS1_3gpuE9ELNS1_3repE0EEENS1_30default_config_static_selectorELNS0_4arch9wavefront6targetE1EEEvT1_,"axG",@progbits,_ZN7rocprim17ROCPRIM_400000_NS6detail17trampoline_kernelINS0_14default_configENS1_27scan_by_key_config_selectorIxxEEZZNS1_16scan_by_key_implILNS1_25lookback_scan_determinismE0ELb0ES3_N6thrust23THRUST_200600_302600_NS6detail15normal_iteratorINS9_10device_ptrIxEEEENS9_18transform_iteratorINS9_6negateIxEESE_NS9_11use_defaultESI_EESE_xNS9_4plusIvEENS9_8equal_toIvEExEE10hipError_tPvRmT2_T3_T4_T5_mT6_T7_P12ihipStream_tbENKUlT_T0_E_clISt17integral_constantIbLb1EES13_IbLb0EEEEDaSZ_S10_EUlSZ_E_NS1_11comp_targetILNS1_3genE5ELNS1_11target_archE942ELNS1_3gpuE9ELNS1_3repE0EEENS1_30default_config_static_selectorELNS0_4arch9wavefront6targetE1EEEvT1_,comdat
.Lfunc_end913:
	.size	_ZN7rocprim17ROCPRIM_400000_NS6detail17trampoline_kernelINS0_14default_configENS1_27scan_by_key_config_selectorIxxEEZZNS1_16scan_by_key_implILNS1_25lookback_scan_determinismE0ELb0ES3_N6thrust23THRUST_200600_302600_NS6detail15normal_iteratorINS9_10device_ptrIxEEEENS9_18transform_iteratorINS9_6negateIxEESE_NS9_11use_defaultESI_EESE_xNS9_4plusIvEENS9_8equal_toIvEExEE10hipError_tPvRmT2_T3_T4_T5_mT6_T7_P12ihipStream_tbENKUlT_T0_E_clISt17integral_constantIbLb1EES13_IbLb0EEEEDaSZ_S10_EUlSZ_E_NS1_11comp_targetILNS1_3genE5ELNS1_11target_archE942ELNS1_3gpuE9ELNS1_3repE0EEENS1_30default_config_static_selectorELNS0_4arch9wavefront6targetE1EEEvT1_, .Lfunc_end913-_ZN7rocprim17ROCPRIM_400000_NS6detail17trampoline_kernelINS0_14default_configENS1_27scan_by_key_config_selectorIxxEEZZNS1_16scan_by_key_implILNS1_25lookback_scan_determinismE0ELb0ES3_N6thrust23THRUST_200600_302600_NS6detail15normal_iteratorINS9_10device_ptrIxEEEENS9_18transform_iteratorINS9_6negateIxEESE_NS9_11use_defaultESI_EESE_xNS9_4plusIvEENS9_8equal_toIvEExEE10hipError_tPvRmT2_T3_T4_T5_mT6_T7_P12ihipStream_tbENKUlT_T0_E_clISt17integral_constantIbLb1EES13_IbLb0EEEEDaSZ_S10_EUlSZ_E_NS1_11comp_targetILNS1_3genE5ELNS1_11target_archE942ELNS1_3gpuE9ELNS1_3repE0EEENS1_30default_config_static_selectorELNS0_4arch9wavefront6targetE1EEEvT1_
                                        ; -- End function
	.section	.AMDGPU.csdata,"",@progbits
; Kernel info:
; codeLenInByte = 0
; NumSgprs: 4
; NumVgprs: 0
; NumAgprs: 0
; TotalNumVgprs: 0
; ScratchSize: 0
; MemoryBound: 0
; FloatMode: 240
; IeeeMode: 1
; LDSByteSize: 0 bytes/workgroup (compile time only)
; SGPRBlocks: 0
; VGPRBlocks: 0
; NumSGPRsForWavesPerEU: 4
; NumVGPRsForWavesPerEU: 1
; AccumOffset: 4
; Occupancy: 8
; WaveLimiterHint : 0
; COMPUTE_PGM_RSRC2:SCRATCH_EN: 0
; COMPUTE_PGM_RSRC2:USER_SGPR: 6
; COMPUTE_PGM_RSRC2:TRAP_HANDLER: 0
; COMPUTE_PGM_RSRC2:TGID_X_EN: 1
; COMPUTE_PGM_RSRC2:TGID_Y_EN: 0
; COMPUTE_PGM_RSRC2:TGID_Z_EN: 0
; COMPUTE_PGM_RSRC2:TIDIG_COMP_CNT: 0
; COMPUTE_PGM_RSRC3_GFX90A:ACCUM_OFFSET: 0
; COMPUTE_PGM_RSRC3_GFX90A:TG_SPLIT: 0
	.section	.text._ZN7rocprim17ROCPRIM_400000_NS6detail17trampoline_kernelINS0_14default_configENS1_27scan_by_key_config_selectorIxxEEZZNS1_16scan_by_key_implILNS1_25lookback_scan_determinismE0ELb0ES3_N6thrust23THRUST_200600_302600_NS6detail15normal_iteratorINS9_10device_ptrIxEEEENS9_18transform_iteratorINS9_6negateIxEESE_NS9_11use_defaultESI_EESE_xNS9_4plusIvEENS9_8equal_toIvEExEE10hipError_tPvRmT2_T3_T4_T5_mT6_T7_P12ihipStream_tbENKUlT_T0_E_clISt17integral_constantIbLb1EES13_IbLb0EEEEDaSZ_S10_EUlSZ_E_NS1_11comp_targetILNS1_3genE4ELNS1_11target_archE910ELNS1_3gpuE8ELNS1_3repE0EEENS1_30default_config_static_selectorELNS0_4arch9wavefront6targetE1EEEvT1_,"axG",@progbits,_ZN7rocprim17ROCPRIM_400000_NS6detail17trampoline_kernelINS0_14default_configENS1_27scan_by_key_config_selectorIxxEEZZNS1_16scan_by_key_implILNS1_25lookback_scan_determinismE0ELb0ES3_N6thrust23THRUST_200600_302600_NS6detail15normal_iteratorINS9_10device_ptrIxEEEENS9_18transform_iteratorINS9_6negateIxEESE_NS9_11use_defaultESI_EESE_xNS9_4plusIvEENS9_8equal_toIvEExEE10hipError_tPvRmT2_T3_T4_T5_mT6_T7_P12ihipStream_tbENKUlT_T0_E_clISt17integral_constantIbLb1EES13_IbLb0EEEEDaSZ_S10_EUlSZ_E_NS1_11comp_targetILNS1_3genE4ELNS1_11target_archE910ELNS1_3gpuE8ELNS1_3repE0EEENS1_30default_config_static_selectorELNS0_4arch9wavefront6targetE1EEEvT1_,comdat
	.protected	_ZN7rocprim17ROCPRIM_400000_NS6detail17trampoline_kernelINS0_14default_configENS1_27scan_by_key_config_selectorIxxEEZZNS1_16scan_by_key_implILNS1_25lookback_scan_determinismE0ELb0ES3_N6thrust23THRUST_200600_302600_NS6detail15normal_iteratorINS9_10device_ptrIxEEEENS9_18transform_iteratorINS9_6negateIxEESE_NS9_11use_defaultESI_EESE_xNS9_4plusIvEENS9_8equal_toIvEExEE10hipError_tPvRmT2_T3_T4_T5_mT6_T7_P12ihipStream_tbENKUlT_T0_E_clISt17integral_constantIbLb1EES13_IbLb0EEEEDaSZ_S10_EUlSZ_E_NS1_11comp_targetILNS1_3genE4ELNS1_11target_archE910ELNS1_3gpuE8ELNS1_3repE0EEENS1_30default_config_static_selectorELNS0_4arch9wavefront6targetE1EEEvT1_ ; -- Begin function _ZN7rocprim17ROCPRIM_400000_NS6detail17trampoline_kernelINS0_14default_configENS1_27scan_by_key_config_selectorIxxEEZZNS1_16scan_by_key_implILNS1_25lookback_scan_determinismE0ELb0ES3_N6thrust23THRUST_200600_302600_NS6detail15normal_iteratorINS9_10device_ptrIxEEEENS9_18transform_iteratorINS9_6negateIxEESE_NS9_11use_defaultESI_EESE_xNS9_4plusIvEENS9_8equal_toIvEExEE10hipError_tPvRmT2_T3_T4_T5_mT6_T7_P12ihipStream_tbENKUlT_T0_E_clISt17integral_constantIbLb1EES13_IbLb0EEEEDaSZ_S10_EUlSZ_E_NS1_11comp_targetILNS1_3genE4ELNS1_11target_archE910ELNS1_3gpuE8ELNS1_3repE0EEENS1_30default_config_static_selectorELNS0_4arch9wavefront6targetE1EEEvT1_
	.globl	_ZN7rocprim17ROCPRIM_400000_NS6detail17trampoline_kernelINS0_14default_configENS1_27scan_by_key_config_selectorIxxEEZZNS1_16scan_by_key_implILNS1_25lookback_scan_determinismE0ELb0ES3_N6thrust23THRUST_200600_302600_NS6detail15normal_iteratorINS9_10device_ptrIxEEEENS9_18transform_iteratorINS9_6negateIxEESE_NS9_11use_defaultESI_EESE_xNS9_4plusIvEENS9_8equal_toIvEExEE10hipError_tPvRmT2_T3_T4_T5_mT6_T7_P12ihipStream_tbENKUlT_T0_E_clISt17integral_constantIbLb1EES13_IbLb0EEEEDaSZ_S10_EUlSZ_E_NS1_11comp_targetILNS1_3genE4ELNS1_11target_archE910ELNS1_3gpuE8ELNS1_3repE0EEENS1_30default_config_static_selectorELNS0_4arch9wavefront6targetE1EEEvT1_
	.p2align	8
	.type	_ZN7rocprim17ROCPRIM_400000_NS6detail17trampoline_kernelINS0_14default_configENS1_27scan_by_key_config_selectorIxxEEZZNS1_16scan_by_key_implILNS1_25lookback_scan_determinismE0ELb0ES3_N6thrust23THRUST_200600_302600_NS6detail15normal_iteratorINS9_10device_ptrIxEEEENS9_18transform_iteratorINS9_6negateIxEESE_NS9_11use_defaultESI_EESE_xNS9_4plusIvEENS9_8equal_toIvEExEE10hipError_tPvRmT2_T3_T4_T5_mT6_T7_P12ihipStream_tbENKUlT_T0_E_clISt17integral_constantIbLb1EES13_IbLb0EEEEDaSZ_S10_EUlSZ_E_NS1_11comp_targetILNS1_3genE4ELNS1_11target_archE910ELNS1_3gpuE8ELNS1_3repE0EEENS1_30default_config_static_selectorELNS0_4arch9wavefront6targetE1EEEvT1_,@function
_ZN7rocprim17ROCPRIM_400000_NS6detail17trampoline_kernelINS0_14default_configENS1_27scan_by_key_config_selectorIxxEEZZNS1_16scan_by_key_implILNS1_25lookback_scan_determinismE0ELb0ES3_N6thrust23THRUST_200600_302600_NS6detail15normal_iteratorINS9_10device_ptrIxEEEENS9_18transform_iteratorINS9_6negateIxEESE_NS9_11use_defaultESI_EESE_xNS9_4plusIvEENS9_8equal_toIvEExEE10hipError_tPvRmT2_T3_T4_T5_mT6_T7_P12ihipStream_tbENKUlT_T0_E_clISt17integral_constantIbLb1EES13_IbLb0EEEEDaSZ_S10_EUlSZ_E_NS1_11comp_targetILNS1_3genE4ELNS1_11target_archE910ELNS1_3gpuE8ELNS1_3repE0EEENS1_30default_config_static_selectorELNS0_4arch9wavefront6targetE1EEEvT1_: ; @_ZN7rocprim17ROCPRIM_400000_NS6detail17trampoline_kernelINS0_14default_configENS1_27scan_by_key_config_selectorIxxEEZZNS1_16scan_by_key_implILNS1_25lookback_scan_determinismE0ELb0ES3_N6thrust23THRUST_200600_302600_NS6detail15normal_iteratorINS9_10device_ptrIxEEEENS9_18transform_iteratorINS9_6negateIxEESE_NS9_11use_defaultESI_EESE_xNS9_4plusIvEENS9_8equal_toIvEExEE10hipError_tPvRmT2_T3_T4_T5_mT6_T7_P12ihipStream_tbENKUlT_T0_E_clISt17integral_constantIbLb1EES13_IbLb0EEEEDaSZ_S10_EUlSZ_E_NS1_11comp_targetILNS1_3genE4ELNS1_11target_archE910ELNS1_3gpuE8ELNS1_3repE0EEENS1_30default_config_static_selectorELNS0_4arch9wavefront6targetE1EEEvT1_
; %bb.0:
	s_load_dwordx4 s[0:3], s[4:5], 0x0
	s_load_dwordx2 s[8:9], s[4:5], 0x10
	s_load_dwordx8 s[48:55], s[4:5], 0x38
	s_load_dwordx2 s[66:67], s[4:5], 0x58
	s_load_dword s7, s[4:5], 0x60
	s_load_dwordx8 s[56:63], s[4:5], 0x68
	s_waitcnt lgkmcnt(0)
	s_lshl_b64 s[64:65], s[2:3], 3
	s_add_u32 s2, s0, s64
	s_addc_u32 s3, s1, s65
	s_add_u32 s8, s8, s64
	s_mul_i32 s0, s67, s7
	s_mul_hi_u32 s1, s66, s7
	s_addc_u32 s9, s9, s65
	s_add_i32 s10, s1, s0
	s_cmp_lg_u64 s[60:61], 0
	s_mul_i32 s0, s6, 0x4c0
	s_mov_b32 s1, 0
	s_cselect_b64 s[70:71], -1, 0
	s_lshl_b64 s[60:61], s[0:1], 3
	s_add_u32 s68, s2, s60
	s_addc_u32 s69, s3, s61
	s_add_u32 s46, s8, s60
	s_mul_i32 s7, s66, s7
	s_addc_u32 s47, s9, s61
	s_add_u32 s72, s7, s6
	s_addc_u32 s73, s10, 0
	s_add_u32 s2, s56, -1
	s_addc_u32 s3, s57, -1
	v_pk_mov_b32 v[2:3], s[2:3], s[2:3] op_sel:[0,1]
	v_cmp_ge_u64_e64 s[0:1], s[72:73], v[2:3]
	s_mov_b64 s[12:13], 0
	s_mov_b64 s[8:9], -1
	s_and_b64 vcc, exec, s[0:1]
	s_mul_i32 s33, s2, 0xfffffb40
	s_waitcnt lgkmcnt(0)
	; wave barrier
	s_cbranch_vccz .LBB914_102
; %bb.1:
	v_pk_mov_b32 v[2:3], s[68:69], s[68:69] op_sel:[0,1]
	flat_load_dwordx2 v[2:3], v[2:3]
	s_add_i32 s55, s33, s54
	v_cmp_gt_u32_e64 s[2:3], s55, v0
	s_waitcnt vmcnt(0) lgkmcnt(0)
	v_pk_mov_b32 v[4:5], v[2:3], v[2:3] op_sel:[0,1]
	s_and_saveexec_b64 s[8:9], s[2:3]
	s_cbranch_execz .LBB914_3
; %bb.2:
	v_lshlrev_b32_e32 v1, 3, v0
	v_mov_b32_e32 v5, s69
	v_add_co_u32_e32 v4, vcc, s68, v1
	v_addc_co_u32_e32 v5, vcc, 0, v5, vcc
	flat_load_dwordx2 v[4:5], v[4:5]
.LBB914_3:
	s_or_b64 exec, exec, s[8:9]
	v_or_b32_e32 v1, 64, v0
	v_cmp_gt_u32_e64 s[44:45], s55, v1
	v_pk_mov_b32 v[6:7], v[2:3], v[2:3] op_sel:[0,1]
	s_and_saveexec_b64 s[8:9], s[44:45]
	s_cbranch_execz .LBB914_5
; %bb.4:
	v_lshlrev_b32_e32 v1, 3, v0
	v_mov_b32_e32 v7, s69
	v_add_co_u32_e32 v6, vcc, s68, v1
	v_addc_co_u32_e32 v7, vcc, 0, v7, vcc
	flat_load_dwordx2 v[6:7], v[6:7] offset:512
.LBB914_5:
	s_or_b64 exec, exec, s[8:9]
	v_or_b32_e32 v1, 0x80, v0
	v_cmp_gt_u32_e64 s[8:9], s55, v1
	v_pk_mov_b32 v[8:9], v[2:3], v[2:3] op_sel:[0,1]
	s_and_saveexec_b64 s[10:11], s[8:9]
	s_cbranch_execz .LBB914_7
; %bb.6:
	v_lshlrev_b32_e32 v1, 3, v0
	v_mov_b32_e32 v9, s69
	v_add_co_u32_e32 v8, vcc, s68, v1
	v_addc_co_u32_e32 v9, vcc, 0, v9, vcc
	flat_load_dwordx2 v[8:9], v[8:9] offset:1024
.LBB914_7:
	;; [unrolled: 13-line block ×7, first 2 shown]
	s_or_b64 exec, exec, s[20:21]
	v_or_b32_e32 v1, 0x200, v0
	v_cmp_gt_u32_e64 s[20:21], s55, v1
	v_pk_mov_b32 v[20:21], v[2:3], v[2:3] op_sel:[0,1]
	s_and_saveexec_b64 s[22:23], s[20:21]
	s_cbranch_execz .LBB914_19
; %bb.18:
	v_lshlrev_b32_e32 v20, 3, v1
	v_mov_b32_e32 v21, s69
	v_add_co_u32_e32 v20, vcc, s68, v20
	v_addc_co_u32_e32 v21, vcc, 0, v21, vcc
	flat_load_dwordx2 v[20:21], v[20:21]
.LBB914_19:
	s_or_b64 exec, exec, s[22:23]
	v_or_b32_e32 v40, 0x240, v0
	v_cmp_gt_u32_e64 s[22:23], s55, v40
	v_pk_mov_b32 v[22:23], v[2:3], v[2:3] op_sel:[0,1]
	s_and_saveexec_b64 s[24:25], s[22:23]
	s_cbranch_execz .LBB914_21
; %bb.20:
	v_lshlrev_b32_e32 v22, 3, v40
	v_mov_b32_e32 v23, s69
	v_add_co_u32_e32 v22, vcc, s68, v22
	v_addc_co_u32_e32 v23, vcc, 0, v23, vcc
	flat_load_dwordx2 v[22:23], v[22:23]
.LBB914_21:
	;; [unrolled: 13-line block ×10, first 2 shown]
	s_or_b64 exec, exec, s[42:43]
	v_or_b32_e32 v50, 0x480, v0
	v_cmp_gt_u32_e64 s[42:43], s55, v50
	s_and_saveexec_b64 s[56:57], s[42:43]
	s_cbranch_execz .LBB914_39
; %bb.38:
	v_lshlrev_b32_e32 v2, 3, v50
	v_mov_b32_e32 v3, s69
	v_add_co_u32_e32 v2, vcc, s68, v2
	v_addc_co_u32_e32 v3, vcc, 0, v3, vcc
	flat_load_dwordx2 v[2:3], v[2:3]
.LBB914_39:
	s_or_b64 exec, exec, s[56:57]
	v_lshlrev_b32_e32 v51, 3, v0
	s_movk_i32 s7, 0x90
	v_mad_u32_u24 v48, v0, s7, v51
	s_waitcnt vmcnt(0) lgkmcnt(0)
	ds_write2st64_b64 v51, v[4:5], v[6:7] offset1:1
	ds_write2st64_b64 v51, v[8:9], v[10:11] offset0:2 offset1:3
	ds_write2st64_b64 v51, v[12:13], v[14:15] offset0:4 offset1:5
	;; [unrolled: 1-line block ×8, first 2 shown]
	ds_write_b64 v51, v[2:3] offset:9216
	s_waitcnt lgkmcnt(0)
	; wave barrier
	s_waitcnt lgkmcnt(0)
	ds_read2_b64 v[106:109], v48 offset1:1
	ds_read2_b64 v[102:105], v48 offset0:2 offset1:3
	ds_read2_b64 v[98:101], v48 offset0:4 offset1:5
	;; [unrolled: 1-line block ×8, first 2 shown]
	ds_read_b64 v[4:5], v48 offset:144
	s_cmp_eq_u64 s[72:73], 0
	s_mov_b64 s[56:57], s[68:69]
	s_cbranch_scc1 .LBB914_43
; %bb.40:
	s_andn2_b64 vcc, exec, s[70:71]
	s_cbranch_vccnz .LBB914_259
; %bb.41:
	s_lshl_b64 s[56:57], s[72:73], 3
	s_add_u32 s7, s62, s56
	s_addc_u32 s57, s63, s57
	s_add_u32 s56, s7, -8
	s_addc_u32 s57, s57, -1
	s_cbranch_execnz .LBB914_43
.LBB914_42:
	s_add_u32 s56, s68, -8
	s_addc_u32 s57, s69, -1
.LBB914_43:
	v_pk_mov_b32 v[2:3], s[56:57], s[56:57] op_sel:[0,1]
	flat_load_dwordx2 v[8:9], v[2:3]
	s_movk_i32 s7, 0xff70
	v_mad_i32_i24 v2, v0, s7, v48
	v_cmp_ne_u32_e32 vcc, 0, v0
	s_waitcnt lgkmcnt(0)
	ds_write_b64 v2, v[4:5] offset:9728
	s_waitcnt lgkmcnt(0)
	; wave barrier
	s_waitcnt lgkmcnt(0)
	s_and_saveexec_b64 s[56:57], vcc
	s_cbranch_execz .LBB914_45
; %bb.44:
	v_mul_i32_i24_e32 v2, 0xffffff70, v0
	v_add_u32_e32 v2, v48, v2
	s_waitcnt vmcnt(0)
	ds_read_b64 v[8:9], v2 offset:9720
.LBB914_45:
	s_or_b64 exec, exec, s[56:57]
	s_waitcnt lgkmcnt(0)
	; wave barrier
	s_waitcnt lgkmcnt(0)
                                        ; implicit-def: $vgpr2_vgpr3
	s_and_saveexec_b64 s[56:57], s[2:3]
	s_cbranch_execnz .LBB914_241
; %bb.46:
	s_or_b64 exec, exec, s[56:57]
                                        ; implicit-def: $vgpr6_vgpr7
	s_and_saveexec_b64 s[2:3], s[44:45]
	s_cbranch_execnz .LBB914_242
.LBB914_47:
	s_or_b64 exec, exec, s[2:3]
                                        ; implicit-def: $vgpr10_vgpr11
	s_and_saveexec_b64 s[2:3], s[8:9]
	s_cbranch_execnz .LBB914_243
.LBB914_48:
	s_or_b64 exec, exec, s[2:3]
                                        ; implicit-def: $vgpr12_vgpr13
	s_and_saveexec_b64 s[2:3], s[10:11]
	s_cbranch_execnz .LBB914_244
.LBB914_49:
	s_or_b64 exec, exec, s[2:3]
                                        ; implicit-def: $vgpr14_vgpr15
	s_and_saveexec_b64 s[2:3], s[12:13]
	s_cbranch_execnz .LBB914_245
.LBB914_50:
	s_or_b64 exec, exec, s[2:3]
                                        ; implicit-def: $vgpr16_vgpr17
	s_and_saveexec_b64 s[2:3], s[14:15]
	s_cbranch_execnz .LBB914_246
.LBB914_51:
	s_or_b64 exec, exec, s[2:3]
                                        ; implicit-def: $vgpr18_vgpr19
	s_and_saveexec_b64 s[2:3], s[16:17]
	s_cbranch_execnz .LBB914_247
.LBB914_52:
	s_or_b64 exec, exec, s[2:3]
                                        ; implicit-def: $vgpr20_vgpr21
	s_and_saveexec_b64 s[2:3], s[18:19]
	s_cbranch_execnz .LBB914_248
.LBB914_53:
	s_or_b64 exec, exec, s[2:3]
                                        ; implicit-def: $vgpr22_vgpr23
	s_and_saveexec_b64 s[2:3], s[20:21]
	s_cbranch_execnz .LBB914_249
.LBB914_54:
	s_or_b64 exec, exec, s[2:3]
                                        ; implicit-def: $vgpr24_vgpr25
	s_and_saveexec_b64 s[2:3], s[22:23]
	s_cbranch_execnz .LBB914_250
.LBB914_55:
	s_or_b64 exec, exec, s[2:3]
                                        ; implicit-def: $vgpr26_vgpr27
	s_and_saveexec_b64 s[2:3], s[24:25]
	s_cbranch_execnz .LBB914_251
.LBB914_56:
	s_or_b64 exec, exec, s[2:3]
                                        ; implicit-def: $vgpr28_vgpr29
	s_and_saveexec_b64 s[2:3], s[26:27]
	s_cbranch_execnz .LBB914_252
.LBB914_57:
	s_or_b64 exec, exec, s[2:3]
                                        ; implicit-def: $vgpr30_vgpr31
	s_and_saveexec_b64 s[2:3], s[28:29]
	s_cbranch_execnz .LBB914_253
.LBB914_58:
	s_or_b64 exec, exec, s[2:3]
                                        ; implicit-def: $vgpr32_vgpr33
	s_and_saveexec_b64 s[2:3], s[30:31]
	s_cbranch_execnz .LBB914_254
.LBB914_59:
	s_or_b64 exec, exec, s[2:3]
                                        ; implicit-def: $vgpr34_vgpr35
	s_and_saveexec_b64 s[2:3], s[34:35]
	s_cbranch_execnz .LBB914_255
.LBB914_60:
	s_or_b64 exec, exec, s[2:3]
                                        ; implicit-def: $vgpr36_vgpr37
	s_and_saveexec_b64 s[2:3], s[36:37]
	s_cbranch_execnz .LBB914_256
.LBB914_61:
	s_or_b64 exec, exec, s[2:3]
                                        ; implicit-def: $vgpr38_vgpr39
	s_and_saveexec_b64 s[2:3], s[38:39]
	s_cbranch_execnz .LBB914_257
.LBB914_62:
	s_or_b64 exec, exec, s[2:3]
                                        ; implicit-def: $vgpr40_vgpr41
	s_and_saveexec_b64 s[2:3], s[40:41]
	s_cbranch_execnz .LBB914_258
.LBB914_63:
	s_or_b64 exec, exec, s[2:3]
                                        ; implicit-def: $vgpr42_vgpr43
	s_and_saveexec_b64 s[2:3], s[42:43]
	s_cbranch_execz .LBB914_65
.LBB914_64:
	v_lshlrev_b32_e32 v1, 3, v50
	global_load_dwordx2 v[42:43], v1, s[46:47]
	s_waitcnt vmcnt(0)
	v_sub_co_u32_e32 v42, vcc, 0, v42
	v_subb_co_u32_e32 v43, vcc, 0, v43, vcc
.LBB914_65:
	s_or_b64 exec, exec, s[2:3]
	v_mul_u32_u24_e32 v49, 19, v0
	ds_write2st64_b64 v51, v[2:3], v[6:7] offset1:1
	ds_write2st64_b64 v51, v[10:11], v[12:13] offset0:2 offset1:3
	ds_write2st64_b64 v51, v[14:15], v[16:17] offset0:4 offset1:5
	;; [unrolled: 1-line block ×8, first 2 shown]
	ds_write_b64 v51, v[42:43] offset:9216
	v_pk_mov_b32 v[6:7], 0, 0
	v_cmp_gt_u32_e32 vcc, s55, v49
	s_mov_b64 s[12:13], 0
	s_mov_b64 s[8:9], 0
	s_mov_b32 s7, 0
	v_mov_b32_e32 v110, 0
	v_mov_b32_e32 v126, 0
	v_pk_mov_b32 v[62:63], v[6:7], v[6:7] op_sel:[0,1]
	v_mov_b32_e32 v125, 0
	v_pk_mov_b32 v[70:71], v[6:7], v[6:7] op_sel:[0,1]
	;; [unrolled: 2-line block ×17, first 2 shown]
	s_waitcnt lgkmcnt(0)
	; wave barrier
	s_waitcnt lgkmcnt(0)
                                        ; implicit-def: $sgpr2_sgpr3
	s_and_saveexec_b64 s[10:11], vcc
	s_cbranch_execz .LBB914_101
; %bb.66:
	ds_read_b64 v[2:3], v48
	s_waitcnt vmcnt(0) lgkmcnt(0)
	v_cmp_ne_u64_e32 vcc, v[8:9], v[106:107]
	v_add_u32_e32 v6, 1, v49
	v_cndmask_b32_e64 v1, 0, 1, vcc
	v_cmp_gt_u32_e32 vcc, s55, v6
	v_pk_mov_b32 v[6:7], 0, 0
	s_mov_b64 s[14:15], 0
	s_mov_b64 s[2:3], 0
	v_mov_b32_e32 v110, 0
	v_mov_b32_e32 v126, 0
	v_pk_mov_b32 v[62:63], v[6:7], v[6:7] op_sel:[0,1]
	v_mov_b32_e32 v125, 0
	v_pk_mov_b32 v[70:71], v[6:7], v[6:7] op_sel:[0,1]
	;; [unrolled: 2-line block ×16, first 2 shown]
                                        ; implicit-def: $sgpr16_sgpr17
	s_and_saveexec_b64 s[12:13], vcc
	s_cbranch_execz .LBB914_100
; %bb.67:
	ds_read2_b64 v[14:17], v48 offset0:1 offset1:2
	v_cmp_ne_u64_e32 vcc, v[106:107], v[108:109]
	v_add_u32_e32 v6, 2, v49
	v_cndmask_b32_e64 v112, 0, 1, vcc
	v_cmp_gt_u32_e32 vcc, s55, v6
	v_pk_mov_b32 v[6:7], 0, 0
	s_mov_b64 s[18:19], 0
	v_mov_b32_e32 v110, 0
	v_mov_b32_e32 v126, 0
	v_pk_mov_b32 v[62:63], v[6:7], v[6:7] op_sel:[0,1]
	v_mov_b32_e32 v125, 0
	v_pk_mov_b32 v[70:71], v[6:7], v[6:7] op_sel:[0,1]
	;; [unrolled: 2-line block ×15, first 2 shown]
                                        ; implicit-def: $sgpr16_sgpr17
	s_and_saveexec_b64 s[14:15], vcc
	s_cbranch_execz .LBB914_99
; %bb.68:
	v_cmp_ne_u64_e32 vcc, v[108:109], v[102:103]
	v_add_u32_e32 v6, 3, v49
	v_cndmask_b32_e64 v111, 0, 1, vcc
	v_cmp_gt_u32_e32 vcc, s55, v6
	v_pk_mov_b32 v[6:7], 0, 0
	s_waitcnt lgkmcnt(0)
	v_mov_b32_e32 v10, v16
	v_mov_b32_e32 v11, v17
	;; [unrolled: 1-line block ×4, first 2 shown]
	v_pk_mov_b32 v[62:63], v[6:7], v[6:7] op_sel:[0,1]
	v_mov_b32_e32 v125, 0
	v_pk_mov_b32 v[70:71], v[6:7], v[6:7] op_sel:[0,1]
	v_mov_b32_e32 v124, 0
	;; [unrolled: 2-line block ×13, first 2 shown]
	v_pk_mov_b32 v[22:23], v[6:7], v[6:7] op_sel:[0,1]
                                        ; implicit-def: $sgpr20_sgpr21
	s_and_saveexec_b64 s[16:17], vcc
	s_cbranch_execz .LBB914_98
; %bb.69:
	ds_read2_b64 v[22:25], v48 offset0:3 offset1:4
	v_cmp_ne_u64_e32 vcc, v[102:103], v[104:105]
	v_add_u32_e32 v6, 4, v49
	v_cndmask_b32_e64 v113, 0, 1, vcc
	v_cmp_gt_u32_e32 vcc, s55, v6
	v_pk_mov_b32 v[6:7], 0, 0
	s_mov_b64 s[22:23], 0
	v_mov_b32_e32 v110, 0
	v_mov_b32_e32 v126, 0
	v_pk_mov_b32 v[62:63], v[6:7], v[6:7] op_sel:[0,1]
	v_mov_b32_e32 v125, 0
	v_pk_mov_b32 v[70:71], v[6:7], v[6:7] op_sel:[0,1]
	;; [unrolled: 2-line block ×13, first 2 shown]
                                        ; implicit-def: $sgpr20_sgpr21
	s_and_saveexec_b64 s[18:19], vcc
	s_cbranch_execz .LBB914_97
; %bb.70:
	v_cmp_ne_u64_e32 vcc, v[104:105], v[98:99]
	v_add_u32_e32 v6, 5, v49
	v_cndmask_b32_e64 v114, 0, 1, vcc
	v_cmp_gt_u32_e32 vcc, s55, v6
	v_pk_mov_b32 v[6:7], 0, 0
	s_waitcnt lgkmcnt(0)
	v_mov_b32_e32 v18, v24
	v_mov_b32_e32 v19, v25
	;; [unrolled: 1-line block ×4, first 2 shown]
	v_pk_mov_b32 v[62:63], v[6:7], v[6:7] op_sel:[0,1]
	v_mov_b32_e32 v125, 0
	v_pk_mov_b32 v[70:71], v[6:7], v[6:7] op_sel:[0,1]
	v_mov_b32_e32 v124, 0
	;; [unrolled: 2-line block ×11, first 2 shown]
	v_pk_mov_b32 v[34:35], v[6:7], v[6:7] op_sel:[0,1]
                                        ; implicit-def: $sgpr24_sgpr25
	s_and_saveexec_b64 s[20:21], vcc
	s_cbranch_execz .LBB914_96
; %bb.71:
	ds_read2_b64 v[34:37], v48 offset0:5 offset1:6
	v_cmp_ne_u64_e32 vcc, v[98:99], v[100:101]
	v_add_u32_e32 v6, 6, v49
	v_cndmask_b32_e64 v115, 0, 1, vcc
	v_cmp_gt_u32_e32 vcc, s55, v6
	v_pk_mov_b32 v[6:7], 0, 0
	s_mov_b64 s[26:27], 0
	v_mov_b32_e32 v110, 0
	v_mov_b32_e32 v126, 0
	v_pk_mov_b32 v[62:63], v[6:7], v[6:7] op_sel:[0,1]
	v_mov_b32_e32 v125, 0
	v_pk_mov_b32 v[70:71], v[6:7], v[6:7] op_sel:[0,1]
	;; [unrolled: 2-line block ×11, first 2 shown]
                                        ; implicit-def: $sgpr24_sgpr25
	s_and_saveexec_b64 s[22:23], vcc
	s_cbranch_execz .LBB914_95
; %bb.72:
	v_cmp_ne_u64_e32 vcc, v[100:101], v[94:95]
	v_add_u32_e32 v6, 7, v49
	v_cndmask_b32_e64 v116, 0, 1, vcc
	v_cmp_gt_u32_e32 vcc, s55, v6
	v_pk_mov_b32 v[6:7], 0, 0
	s_waitcnt lgkmcnt(0)
	v_mov_b32_e32 v26, v36
	v_mov_b32_e32 v27, v37
	;; [unrolled: 1-line block ×4, first 2 shown]
	v_pk_mov_b32 v[62:63], v[6:7], v[6:7] op_sel:[0,1]
	v_mov_b32_e32 v125, 0
	v_pk_mov_b32 v[70:71], v[6:7], v[6:7] op_sel:[0,1]
	v_mov_b32_e32 v124, 0
	;; [unrolled: 2-line block ×9, first 2 shown]
	v_pk_mov_b32 v[42:43], v[6:7], v[6:7] op_sel:[0,1]
                                        ; implicit-def: $sgpr28_sgpr29
	s_and_saveexec_b64 s[24:25], vcc
	s_cbranch_execz .LBB914_94
; %bb.73:
	ds_read2_b64 v[42:45], v48 offset0:7 offset1:8
	v_cmp_ne_u64_e32 vcc, v[94:95], v[96:97]
	v_add_u32_e32 v6, 8, v49
	v_cndmask_b32_e64 v117, 0, 1, vcc
	v_cmp_gt_u32_e32 vcc, s55, v6
	v_pk_mov_b32 v[6:7], 0, 0
	s_mov_b64 s[30:31], 0
	v_mov_b32_e32 v110, 0
	v_mov_b32_e32 v126, 0
	v_pk_mov_b32 v[62:63], v[6:7], v[6:7] op_sel:[0,1]
	v_mov_b32_e32 v125, 0
	v_pk_mov_b32 v[70:71], v[6:7], v[6:7] op_sel:[0,1]
	;; [unrolled: 2-line block ×9, first 2 shown]
                                        ; implicit-def: $sgpr28_sgpr29
	s_and_saveexec_b64 s[26:27], vcc
	s_cbranch_execz .LBB914_93
; %bb.74:
	v_cmp_ne_u64_e32 vcc, v[96:97], v[90:91]
	v_add_u32_e32 v6, 9, v49
	v_cndmask_b32_e64 v118, 0, 1, vcc
	v_cmp_gt_u32_e32 vcc, s55, v6
	v_pk_mov_b32 v[6:7], 0, 0
	s_waitcnt lgkmcnt(0)
	v_mov_b32_e32 v30, v44
	v_mov_b32_e32 v31, v45
	;; [unrolled: 1-line block ×4, first 2 shown]
	v_pk_mov_b32 v[62:63], v[6:7], v[6:7] op_sel:[0,1]
	v_mov_b32_e32 v125, 0
	v_pk_mov_b32 v[70:71], v[6:7], v[6:7] op_sel:[0,1]
	v_mov_b32_e32 v124, 0
	;; [unrolled: 2-line block ×7, first 2 shown]
	v_pk_mov_b32 v[50:51], v[6:7], v[6:7] op_sel:[0,1]
                                        ; implicit-def: $sgpr34_sgpr35
	s_and_saveexec_b64 s[28:29], vcc
	s_cbranch_execz .LBB914_92
; %bb.75:
	ds_read2_b64 v[50:53], v48 offset0:9 offset1:10
	v_cmp_ne_u64_e32 vcc, v[90:91], v[92:93]
	v_add_u32_e32 v6, 10, v49
	v_cndmask_b32_e64 v119, 0, 1, vcc
	v_cmp_gt_u32_e32 vcc, s55, v6
	v_pk_mov_b32 v[6:7], 0, 0
	s_mov_b64 s[36:37], 0
	v_mov_b32_e32 v110, 0
	v_mov_b32_e32 v126, 0
	v_pk_mov_b32 v[62:63], v[6:7], v[6:7] op_sel:[0,1]
	v_mov_b32_e32 v125, 0
	v_pk_mov_b32 v[70:71], v[6:7], v[6:7] op_sel:[0,1]
	;; [unrolled: 2-line block ×7, first 2 shown]
                                        ; implicit-def: $sgpr34_sgpr35
	s_and_saveexec_b64 s[30:31], vcc
	s_cbranch_execz .LBB914_91
; %bb.76:
	v_cmp_ne_u64_e32 vcc, v[92:93], v[86:87]
	v_add_u32_e32 v6, 11, v49
	v_cndmask_b32_e64 v120, 0, 1, vcc
	v_cmp_gt_u32_e32 vcc, s55, v6
	v_pk_mov_b32 v[6:7], 0, 0
	s_waitcnt lgkmcnt(0)
	v_mov_b32_e32 v38, v52
	v_mov_b32_e32 v39, v53
	;; [unrolled: 1-line block ×4, first 2 shown]
	v_pk_mov_b32 v[62:63], v[6:7], v[6:7] op_sel:[0,1]
	v_mov_b32_e32 v125, 0
	v_pk_mov_b32 v[70:71], v[6:7], v[6:7] op_sel:[0,1]
	v_mov_b32_e32 v124, 0
	;; [unrolled: 2-line block ×5, first 2 shown]
	v_pk_mov_b32 v[58:59], v[6:7], v[6:7] op_sel:[0,1]
                                        ; implicit-def: $sgpr38_sgpr39
	s_and_saveexec_b64 s[34:35], vcc
	s_cbranch_execz .LBB914_90
; %bb.77:
	ds_read2_b64 v[58:61], v48 offset0:11 offset1:12
	v_cmp_ne_u64_e32 vcc, v[86:87], v[88:89]
	v_add_u32_e32 v6, 12, v49
	v_cndmask_b32_e64 v121, 0, 1, vcc
	v_cmp_gt_u32_e32 vcc, s55, v6
	v_pk_mov_b32 v[6:7], 0, 0
	s_mov_b64 s[40:41], 0
	v_mov_b32_e32 v110, 0
	v_mov_b32_e32 v126, 0
	v_pk_mov_b32 v[62:63], v[6:7], v[6:7] op_sel:[0,1]
	v_mov_b32_e32 v125, 0
	v_pk_mov_b32 v[70:71], v[6:7], v[6:7] op_sel:[0,1]
	;; [unrolled: 2-line block ×5, first 2 shown]
                                        ; implicit-def: $sgpr38_sgpr39
	s_and_saveexec_b64 s[36:37], vcc
	s_cbranch_execz .LBB914_89
; %bb.78:
	v_cmp_ne_u64_e32 vcc, v[88:89], v[82:83]
	v_add_u32_e32 v6, 13, v49
	v_cndmask_b32_e64 v122, 0, 1, vcc
	v_cmp_gt_u32_e32 vcc, s55, v6
	v_pk_mov_b32 v[6:7], 0, 0
	s_waitcnt lgkmcnt(0)
	v_mov_b32_e32 v46, v60
	v_mov_b32_e32 v47, v61
	;; [unrolled: 1-line block ×4, first 2 shown]
	v_pk_mov_b32 v[62:63], v[6:7], v[6:7] op_sel:[0,1]
	v_mov_b32_e32 v125, 0
	v_pk_mov_b32 v[70:71], v[6:7], v[6:7] op_sel:[0,1]
	v_mov_b32_e32 v124, 0
	;; [unrolled: 2-line block ×3, first 2 shown]
	v_pk_mov_b32 v[66:67], v[6:7], v[6:7] op_sel:[0,1]
                                        ; implicit-def: $sgpr42_sgpr43
	s_and_saveexec_b64 s[38:39], vcc
	s_cbranch_execz .LBB914_88
; %bb.79:
	ds_read2_b64 v[66:69], v48 offset0:13 offset1:14
	v_cmp_ne_u64_e32 vcc, v[82:83], v[84:85]
	v_add_u32_e32 v6, 14, v49
	v_cndmask_b32_e64 v123, 0, 1, vcc
	v_cmp_gt_u32_e32 vcc, s55, v6
	v_pk_mov_b32 v[6:7], 0, 0
	s_mov_b64 s[44:45], 0
	v_mov_b32_e32 v110, 0
	v_mov_b32_e32 v126, 0
	v_pk_mov_b32 v[62:63], v[6:7], v[6:7] op_sel:[0,1]
	v_mov_b32_e32 v125, 0
	v_pk_mov_b32 v[70:71], v[6:7], v[6:7] op_sel:[0,1]
	;; [unrolled: 2-line block ×3, first 2 shown]
                                        ; implicit-def: $sgpr42_sgpr43
	s_and_saveexec_b64 s[40:41], vcc
	s_cbranch_execz .LBB914_87
; %bb.80:
	v_cmp_ne_u64_e32 vcc, v[84:85], v[78:79]
	v_add_u32_e32 v6, 15, v49
	v_cndmask_b32_e64 v124, 0, 1, vcc
	v_cmp_gt_u32_e32 vcc, s55, v6
	v_pk_mov_b32 v[6:7], 0, 0
	s_waitcnt lgkmcnt(0)
	v_mov_b32_e32 v54, v68
	v_mov_b32_e32 v55, v69
	;; [unrolled: 1-line block ×4, first 2 shown]
	v_pk_mov_b32 v[62:63], v[6:7], v[6:7] op_sel:[0,1]
	v_mov_b32_e32 v125, 0
	v_pk_mov_b32 v[70:71], v[6:7], v[6:7] op_sel:[0,1]
                                        ; implicit-def: $sgpr56_sgpr57
	s_and_saveexec_b64 s[42:43], vcc
	s_cbranch_execz .LBB914_86
; %bb.81:
	ds_read2_b64 v[70:73], v48 offset0:15 offset1:16
	v_cmp_ne_u64_e32 vcc, v[78:79], v[80:81]
	v_add_u32_e32 v6, 16, v49
	v_cndmask_b32_e64 v125, 0, 1, vcc
	v_cmp_gt_u32_e32 vcc, s55, v6
	v_pk_mov_b32 v[6:7], 0, 0
	s_mov_b64 s[56:57], 0
	v_mov_b32_e32 v110, 0
	v_mov_b32_e32 v126, 0
	v_pk_mov_b32 v[62:63], v[6:7], v[6:7] op_sel:[0,1]
                                        ; implicit-def: $sgpr74_sgpr75
	s_and_saveexec_b64 s[44:45], vcc
	s_cbranch_execz .LBB914_85
; %bb.82:
	v_cmp_ne_u64_e32 vcc, v[80:81], v[74:75]
	v_add_u32_e32 v6, 17, v49
	s_waitcnt lgkmcnt(0)
	v_mov_b32_e32 v62, v72
	v_mov_b32_e32 v63, v73
	v_cndmask_b32_e64 v126, 0, 1, vcc
	v_cmp_gt_u32_e32 vcc, s55, v6
	v_mov_b32_e32 v110, 0
	v_pk_mov_b32 v[6:7], 0, 0
                                        ; implicit-def: $sgpr74_sgpr75
	s_and_saveexec_b64 s[2:3], vcc
	s_xor_b64 s[76:77], exec, s[2:3]
	s_cbranch_execz .LBB914_84
; %bb.83:
	ds_read2_b64 v[6:9], v48 offset0:17 offset1:18
	v_cmp_ne_u64_e32 vcc, v[76:77], v[4:5]
	v_cmp_ne_u64_e64 s[2:3], v[74:75], v[76:77]
	v_add_u32_e32 v4, 18, v49
	v_cndmask_b32_e64 v110, 0, 1, s[2:3]
	v_cmp_gt_u32_e64 s[2:3], s55, v4
	s_and_b64 s[74:75], vcc, exec
	s_and_b64 s[56:57], s[2:3], exec
	s_waitcnt lgkmcnt(0)
	v_pk_mov_b32 v[64:65], v[6:7], v[6:7] op_sel:[0,1]
.LBB914_84:
	s_or_b64 exec, exec, s[76:77]
	s_and_b64 s[74:75], s[74:75], exec
	s_and_b64 s[2:3], s[56:57], exec
.LBB914_85:
	s_or_b64 exec, exec, s[44:45]
	s_and_b64 s[56:57], s[74:75], exec
	s_and_b64 s[44:45], s[2:3], exec
	s_waitcnt lgkmcnt(0)
	v_pk_mov_b32 v[56:57], v[70:71], v[70:71] op_sel:[0,1]
	v_pk_mov_b32 v[48:49], v[66:67], v[66:67] op_sel:[0,1]
	;; [unrolled: 1-line block ×8, first 2 shown]
.LBB914_86:
	s_or_b64 exec, exec, s[42:43]
	s_and_b64 s[42:43], s[56:57], exec
	s_and_b64 s[2:3], s[44:45], exec
.LBB914_87:
	s_or_b64 exec, exec, s[40:41]
	s_and_b64 s[42:43], s[42:43], exec
	s_and_b64 s[40:41], s[2:3], exec
.LBB914_88:
	s_or_b64 exec, exec, s[38:39]
	s_and_b64 s[38:39], s[42:43], exec
	s_and_b64 s[2:3], s[40:41], exec
.LBB914_89:
	s_or_b64 exec, exec, s[36:37]
	s_and_b64 s[38:39], s[38:39], exec
	s_and_b64 s[36:37], s[2:3], exec
.LBB914_90:
	s_or_b64 exec, exec, s[34:35]
	s_and_b64 s[34:35], s[38:39], exec
	s_and_b64 s[2:3], s[36:37], exec
.LBB914_91:
	s_or_b64 exec, exec, s[30:31]
	s_and_b64 s[34:35], s[34:35], exec
	s_and_b64 s[30:31], s[2:3], exec
.LBB914_92:
	s_or_b64 exec, exec, s[28:29]
	s_and_b64 s[28:29], s[34:35], exec
	s_and_b64 s[2:3], s[30:31], exec
.LBB914_93:
	s_or_b64 exec, exec, s[26:27]
	s_and_b64 s[28:29], s[28:29], exec
	s_and_b64 s[26:27], s[2:3], exec
.LBB914_94:
	s_or_b64 exec, exec, s[24:25]
	s_and_b64 s[24:25], s[28:29], exec
	s_and_b64 s[2:3], s[26:27], exec
.LBB914_95:
	s_or_b64 exec, exec, s[22:23]
	s_and_b64 s[24:25], s[24:25], exec
	s_and_b64 s[22:23], s[2:3], exec
.LBB914_96:
	s_or_b64 exec, exec, s[20:21]
	s_and_b64 s[20:21], s[24:25], exec
	s_and_b64 s[2:3], s[22:23], exec
.LBB914_97:
	s_or_b64 exec, exec, s[18:19]
	s_and_b64 s[20:21], s[20:21], exec
	s_and_b64 s[18:19], s[2:3], exec
.LBB914_98:
	s_or_b64 exec, exec, s[16:17]
	s_and_b64 s[16:17], s[20:21], exec
	s_and_b64 s[2:3], s[18:19], exec
.LBB914_99:
	s_or_b64 exec, exec, s[14:15]
	s_and_b64 s[16:17], s[16:17], exec
	s_and_b64 s[14:15], s[2:3], exec
.LBB914_100:
	s_or_b64 exec, exec, s[12:13]
	s_and_b64 s[2:3], s[16:17], exec
	s_and_b64 s[12:13], s[14:15], exec
.LBB914_101:
	s_or_b64 exec, exec, s[10:11]
	s_mov_b64 s[10:11], 0
	s_and_b64 vcc, exec, s[8:9]
	v_lshlrev_b32_e32 v127, 3, v0
	s_cbranch_vccnz .LBB914_103
	s_branch .LBB914_111
.LBB914_102:
                                        ; implicit-def: $sgpr2_sgpr3
                                        ; implicit-def: $vgpr8_vgpr9
                                        ; implicit-def: $vgpr110
                                        ; implicit-def: $vgpr64_vgpr65
                                        ; implicit-def: $vgpr126
                                        ; implicit-def: $vgpr125
                                        ; implicit-def: $vgpr56_vgpr57
                                        ; implicit-def: $vgpr124
                                        ; implicit-def: $vgpr123
                                        ; implicit-def: $vgpr48_vgpr49
                                        ; implicit-def: $vgpr122
                                        ; implicit-def: $vgpr121
                                        ; implicit-def: $vgpr40_vgpr41
                                        ; implicit-def: $vgpr120
                                        ; implicit-def: $vgpr119
                                        ; implicit-def: $vgpr32_vgpr33
                                        ; implicit-def: $vgpr118
                                        ; implicit-def: $vgpr117
                                        ; implicit-def: $vgpr28_vgpr29
                                        ; implicit-def: $vgpr116
                                        ; implicit-def: $vgpr115
                                        ; implicit-def: $vgpr20_vgpr21
                                        ; implicit-def: $vgpr114
                                        ; implicit-def: $vgpr113
                                        ; implicit-def: $vgpr12_vgpr13
                                        ; implicit-def: $vgpr111
                                        ; implicit-def: $vgpr112
                                        ; implicit-def: $vgpr4_vgpr5
                                        ; implicit-def: $vgpr1
                                        ; implicit-def: $sgpr7
                                        ; implicit-def: $sgpr10_sgpr11
                                        ; implicit-def: $vgpr70_vgpr71
                                        ; implicit-def: $vgpr66_vgpr67
                                        ; implicit-def: $vgpr58_vgpr59
                                        ; implicit-def: $vgpr50_vgpr51
                                        ; implicit-def: $vgpr42_vgpr43
                                        ; implicit-def: $vgpr34_vgpr35
                                        ; implicit-def: $vgpr22_vgpr23
                                        ; implicit-def: $vgpr14_vgpr15
	s_and_b64 vcc, exec, s[8:9]
	v_lshlrev_b32_e32 v127, 3, v0
	s_cbranch_vccz .LBB914_111
.LBB914_103:
	v_mov_b32_e32 v1, s69
	v_add_co_u32_e32 v2, vcc, s68, v127
	v_addc_co_u32_e32 v3, vcc, 0, v1, vcc
	v_add_co_u32_e32 v20, vcc, 0x1000, v2
	v_addc_co_u32_e32 v21, vcc, 0, v3, vcc
	flat_load_dwordx2 v[4:5], v[2:3]
	flat_load_dwordx2 v[6:7], v[2:3] offset:512
	s_waitcnt vmcnt(0) lgkmcnt(0)
	flat_load_dwordx2 v[8:9], v[2:3] offset:1024
	flat_load_dwordx2 v[10:11], v[2:3] offset:1536
	;; [unrolled: 1-line block ×6, first 2 shown]
	v_add_co_u32_e32 v2, vcc, 0x2000, v2
	v_addc_co_u32_e32 v3, vcc, 0, v3, vcc
	flat_load_dwordx2 v[22:23], v[20:21]
	flat_load_dwordx2 v[24:25], v[20:21] offset:512
	flat_load_dwordx2 v[26:27], v[20:21] offset:1024
	;; [unrolled: 1-line block ×7, first 2 shown]
	s_nop 0
	flat_load_dwordx2 v[20:21], v[2:3]
	flat_load_dwordx2 v[38:39], v[2:3] offset:512
	flat_load_dwordx2 v[40:41], v[2:3] offset:1024
	s_movk_i32 s2, 0x90
	v_mad_u32_u24 v1, v0, s2, v127
	s_cmp_eq_u64 s[72:73], 0
	ds_write2st64_b64 v127, v[4:5], v[6:7] offset1:1
	s_waitcnt vmcnt(0) lgkmcnt(0)
	ds_write2st64_b64 v127, v[8:9], v[10:11] offset0:2 offset1:3
	ds_write2st64_b64 v127, v[12:13], v[14:15] offset0:4 offset1:5
	;; [unrolled: 1-line block ×8, first 2 shown]
	ds_write_b64 v127, v[40:41] offset:9216
	s_waitcnt lgkmcnt(0)
	; wave barrier
	s_waitcnt lgkmcnt(0)
	ds_read2_b64 v[14:17], v1 offset1:1
	ds_read2_b64 v[2:5], v1 offset0:2 offset1:3
	ds_read2_b64 v[6:9], v1 offset0:4 offset1:5
	;; [unrolled: 1-line block ×8, first 2 shown]
	ds_read_b64 v[38:39], v1 offset:144
	s_cbranch_scc1 .LBB914_108
; %bb.104:
	s_andn2_b64 vcc, exec, s[70:71]
	s_cbranch_vccnz .LBB914_260
; %bb.105:
	s_lshl_b64 s[2:3], s[72:73], 3
	s_add_u32 s2, s62, s2
	s_addc_u32 s3, s63, s3
	s_add_u32 s2, s2, -8
	s_addc_u32 s3, s3, -1
	s_cbranch_execnz .LBB914_107
.LBB914_106:
	s_add_u32 s2, s68, -8
	s_addc_u32 s3, s69, -1
.LBB914_107:
	s_mov_b64 s[68:69], s[2:3]
.LBB914_108:
	v_pk_mov_b32 v[40:41], s[68:69], s[68:69] op_sel:[0,1]
	flat_load_dwordx2 v[42:43], v[40:41]
	s_movk_i32 s2, 0xff70
	v_mad_i32_i24 v40, v0, s2, v1
	v_cmp_ne_u32_e32 vcc, 0, v0
	s_waitcnt lgkmcnt(0)
	ds_write_b64 v40, v[38:39] offset:9728
	s_waitcnt lgkmcnt(0)
	; wave barrier
	s_waitcnt lgkmcnt(0)
	s_and_saveexec_b64 s[2:3], vcc
	s_cbranch_execz .LBB914_110
; %bb.109:
	v_mul_i32_i24_e32 v40, 0xffffff70, v0
	v_add_u32_e32 v40, v1, v40
	s_waitcnt vmcnt(0)
	ds_read_b64 v[42:43], v40 offset:9720
.LBB914_110:
	s_or_b64 exec, exec, s[2:3]
	s_waitcnt lgkmcnt(0)
	; wave barrier
	s_waitcnt lgkmcnt(0)
	global_load_dwordx2 v[40:41], v127, s[46:47]
	global_load_dwordx2 v[44:45], v127, s[46:47] offset:512
	global_load_dwordx2 v[46:47], v127, s[46:47] offset:1024
	;; [unrolled: 1-line block ×4, first 2 shown]
	v_mov_b32_e32 v58, s47
	global_load_dwordx2 v[52:53], v127, s[46:47] offset:2560
	global_load_dwordx2 v[54:55], v127, s[46:47] offset:3072
	;; [unrolled: 1-line block ×3, first 2 shown]
	v_add_co_u32_e32 v62, vcc, s46, v127
	s_movk_i32 s3, 0x2000
	v_addc_co_u32_e32 v63, vcc, 0, v58, vcc
	v_add_co_u32_e32 v58, vcc, s3, v62
	s_movk_i32 s2, 0x1000
	v_addc_co_u32_e32 v59, vcc, 0, v63, vcc
	global_load_dwordx2 v[60:61], v[58:59], off offset:-4096
	v_add_co_u32_e32 v62, vcc, s2, v62
	v_addc_co_u32_e32 v63, vcc, 0, v63, vcc
	global_load_dwordx2 v[64:65], v[62:63], off offset:512
	v_cmp_ne_u64_e64 s[2:3], v[36:37], v[38:39]
	v_cmp_ne_u64_e32 vcc, v[34:35], v[36:37]
	global_load_dwordx2 v[36:37], v[62:63], off offset:1024
	v_cndmask_b32_e64 v110, 0, 1, vcc
	v_cmp_ne_u64_e32 vcc, v[32:33], v[34:35]
	global_load_dwordx2 v[34:35], v[62:63], off offset:1536
	v_cndmask_b32_e64 v126, 0, 1, vcc
	v_cmp_ne_u64_e32 vcc, v[30:31], v[32:33]
	v_cndmask_b32_e64 v125, 0, 1, vcc
	v_cmp_ne_u64_e32 vcc, v[28:29], v[30:31]
	global_load_dwordx2 v[30:31], v[62:63], off offset:2048
	v_cndmask_b32_e64 v124, 0, 1, vcc
	v_cmp_ne_u64_e32 vcc, v[26:27], v[28:29]
	global_load_dwordx2 v[28:29], v[62:63], off offset:2560
	v_cndmask_b32_e64 v123, 0, 1, vcc
	v_cmp_ne_u64_e32 vcc, v[24:25], v[26:27]
	v_cndmask_b32_e64 v122, 0, 1, vcc
	;; [unrolled: 8-line block ×3, first 2 shown]
	v_cmp_ne_u64_e32 vcc, v[12:13], v[18:19]
	global_load_dwordx2 v[18:19], v[58:59], off
	v_cndmask_b32_e64 v118, 0, 1, vcc
	v_cmp_ne_u64_e32 vcc, v[10:11], v[12:13]
	global_load_dwordx2 v[12:13], v[58:59], off offset:512
	v_cndmask_b32_e64 v117, 0, 1, vcc
	v_cmp_ne_u64_e32 vcc, v[8:9], v[10:11]
	v_cndmask_b32_e64 v116, 0, 1, vcc
	v_cmp_ne_u64_e32 vcc, v[6:7], v[8:9]
	global_load_dwordx2 v[8:9], v[58:59], off offset:1024
	v_cndmask_b32_e64 v115, 0, 1, vcc
	v_cmp_ne_u64_e32 vcc, v[4:5], v[6:7]
	v_cndmask_b32_e64 v114, 0, 1, vcc
	v_cmp_ne_u64_e32 vcc, v[2:3], v[4:5]
	v_cndmask_b32_e64 v113, 0, 1, vcc
	v_cmp_ne_u64_e32 vcc, v[16:17], v[2:3]
	v_cndmask_b32_e64 v111, 0, 1, vcc
	s_mov_b64 s[12:13], -1
                                        ; implicit-def: $sgpr7
                                        ; implicit-def: $sgpr10_sgpr11
                                        ; implicit-def: $vgpr70_vgpr71
                                        ; implicit-def: $vgpr66_vgpr67
                                        ; implicit-def: $vgpr58_vgpr59
	s_waitcnt vmcnt(0)
	v_sub_co_u32_e32 v2, vcc, 0, v40
	v_subb_co_u32_e32 v3, vcc, 0, v41, vcc
	v_sub_co_u32_e32 v4, vcc, 0, v44
	v_subb_co_u32_e32 v5, vcc, 0, v45, vcc
	;; [unrolled: 2-line block ×19, first 2 shown]
	ds_write2st64_b64 v127, v[2:3], v[4:5] offset1:1
	ds_write2st64_b64 v127, v[6:7], v[10:11] offset0:2 offset1:3
	ds_write2st64_b64 v127, v[20:21], v[26:27] offset0:4 offset1:5
	;; [unrolled: 1-line block ×8, first 2 shown]
	ds_write_b64 v127, v[8:9] offset:9216
	s_waitcnt lgkmcnt(0)
	; wave barrier
	s_waitcnt lgkmcnt(0)
	ds_read2_b64 v[2:5], v1 offset1:1
	ds_read2_b64 v[10:13], v1 offset0:2 offset1:3
	ds_read2_b64 v[18:21], v1 offset0:4 offset1:5
	;; [unrolled: 1-line block ×8, first 2 shown]
	ds_read_b64 v[8:9], v1 offset:144
	v_cmp_ne_u64_e32 vcc, v[14:15], v[16:17]
	v_cndmask_b32_e64 v112, 0, 1, vcc
	v_cmp_ne_u64_e32 vcc, v[42:43], v[14:15]
	v_cndmask_b32_e64 v1, 0, 1, vcc
                                        ; implicit-def: $vgpr50_vgpr51
                                        ; implicit-def: $vgpr42_vgpr43
                                        ; implicit-def: $vgpr34_vgpr35
                                        ; implicit-def: $vgpr22_vgpr23
                                        ; implicit-def: $vgpr14_vgpr15
.LBB914_111:
	s_waitcnt lgkmcnt(0)
	v_pk_mov_b32 v[16:17], s[10:11], s[10:11] op_sel:[0,1]
	v_mov_b32_e32 v36, s7
	s_and_saveexec_b64 s[8:9], s[12:13]
	s_cbranch_execz .LBB914_113
; %bb.112:
	v_cndmask_b32_e64 v36, 0, 1, s[2:3]
	v_pk_mov_b32 v[14:15], v[4:5], v[4:5] op_sel:[0,1]
	v_pk_mov_b32 v[22:23], v[12:13], v[12:13] op_sel:[0,1]
	;; [unrolled: 1-line block ×9, first 2 shown]
	s_waitcnt vmcnt(0)
	v_pk_mov_b32 v[16:17], v[8:9], v[8:9] op_sel:[0,1]
.LBB914_113:
	s_or_b64 exec, exec, s[8:9]
	v_or_b32_e32 v4, v36, v110
	s_cmp_lg_u32 s6, 0
	v_or_b32_e32 v29, v4, v126
	v_mbcnt_lo_u32_b32 v28, -1, 0
	s_waitcnt lgkmcnt(0)
	; wave barrier
	s_cbranch_scc0 .LBB914_176
; %bb.114:
	v_mov_b32_e32 v4, 0
	v_cmp_eq_u16_sdwa s[40:41], v112, v4 src0_sel:BYTE_0 src1_sel:DWORD
	s_waitcnt vmcnt(0)
	v_cndmask_b32_e64 v9, 0, v2, s[40:41]
	v_cndmask_b32_e64 v5, 0, v3, s[40:41]
	v_add_co_u32_e32 v9, vcc, v9, v14
	v_cmp_eq_u16_sdwa s[38:39], v111, v4 src0_sel:BYTE_0 src1_sel:DWORD
	v_addc_co_u32_e32 v5, vcc, v5, v15, vcc
	v_cndmask_b32_e64 v9, 0, v9, s[38:39]
	v_cndmask_b32_e64 v5, 0, v5, s[38:39]
	v_add_co_u32_e32 v9, vcc, v9, v10
	v_cmp_eq_u16_sdwa s[36:37], v113, v4 src0_sel:BYTE_0 src1_sel:DWORD
	v_addc_co_u32_e32 v5, vcc, v5, v11, vcc
	v_cndmask_b32_e64 v9, 0, v9, s[36:37]
	v_cndmask_b32_e64 v5, 0, v5, s[36:37]
	v_add_co_u32_e32 v9, vcc, v9, v22
	v_cmp_eq_u16_sdwa s[34:35], v114, v4 src0_sel:BYTE_0 src1_sel:DWORD
	v_addc_co_u32_e32 v5, vcc, v5, v23, vcc
	v_cndmask_b32_e64 v9, 0, v9, s[34:35]
	v_cndmask_b32_e64 v5, 0, v5, s[34:35]
	v_add_co_u32_e32 v9, vcc, v9, v18
	v_cmp_eq_u16_sdwa s[30:31], v115, v4 src0_sel:BYTE_0 src1_sel:DWORD
	v_addc_co_u32_e32 v5, vcc, v5, v19, vcc
	v_cndmask_b32_e64 v9, 0, v9, s[30:31]
	v_cndmask_b32_e64 v5, 0, v5, s[30:31]
	v_add_co_u32_e32 v9, vcc, v9, v34
	v_cmp_eq_u16_sdwa s[28:29], v116, v4 src0_sel:BYTE_0 src1_sel:DWORD
	v_addc_co_u32_e32 v5, vcc, v5, v35, vcc
	v_cndmask_b32_e64 v9, 0, v9, s[28:29]
	v_cndmask_b32_e64 v5, 0, v5, s[28:29]
	v_add_co_u32_e32 v9, vcc, v9, v26
	v_cmp_eq_u16_sdwa s[26:27], v117, v4 src0_sel:BYTE_0 src1_sel:DWORD
	v_addc_co_u32_e32 v5, vcc, v5, v27, vcc
	v_cndmask_b32_e64 v9, 0, v9, s[26:27]
	v_cndmask_b32_e64 v5, 0, v5, s[26:27]
	v_add_co_u32_e32 v9, vcc, v9, v42
	v_cmp_eq_u16_sdwa s[24:25], v118, v4 src0_sel:BYTE_0 src1_sel:DWORD
	v_addc_co_u32_e32 v5, vcc, v5, v43, vcc
	v_cndmask_b32_e64 v9, 0, v9, s[24:25]
	v_cndmask_b32_e64 v5, 0, v5, s[24:25]
	v_add_co_u32_e32 v9, vcc, v9, v30
	v_cmp_eq_u16_sdwa s[22:23], v119, v4 src0_sel:BYTE_0 src1_sel:DWORD
	v_addc_co_u32_e32 v5, vcc, v5, v31, vcc
	v_cndmask_b32_e64 v9, 0, v9, s[22:23]
	v_cndmask_b32_e64 v5, 0, v5, s[22:23]
	v_add_co_u32_e32 v9, vcc, v9, v50
	v_cmp_eq_u16_sdwa s[20:21], v120, v4 src0_sel:BYTE_0 src1_sel:DWORD
	v_addc_co_u32_e32 v5, vcc, v5, v51, vcc
	v_cndmask_b32_e64 v9, 0, v9, s[20:21]
	v_cndmask_b32_e64 v5, 0, v5, s[20:21]
	v_add_co_u32_e32 v9, vcc, v9, v38
	v_cmp_eq_u16_sdwa s[18:19], v121, v4 src0_sel:BYTE_0 src1_sel:DWORD
	v_addc_co_u32_e32 v5, vcc, v5, v39, vcc
	v_cndmask_b32_e64 v9, 0, v9, s[18:19]
	v_cndmask_b32_e64 v5, 0, v5, s[18:19]
	v_add_co_u32_e32 v9, vcc, v9, v58
	v_cmp_eq_u16_sdwa s[16:17], v122, v4 src0_sel:BYTE_0 src1_sel:DWORD
	v_addc_co_u32_e32 v5, vcc, v5, v59, vcc
	v_cndmask_b32_e64 v9, 0, v9, s[16:17]
	v_cndmask_b32_e64 v5, 0, v5, s[16:17]
	v_add_co_u32_e32 v9, vcc, v9, v46
	v_cmp_eq_u16_sdwa s[14:15], v123, v4 src0_sel:BYTE_0 src1_sel:DWORD
	v_addc_co_u32_e32 v5, vcc, v5, v47, vcc
	v_cndmask_b32_e64 v9, 0, v9, s[14:15]
	v_cndmask_b32_e64 v5, 0, v5, s[14:15]
	v_add_co_u32_e32 v9, vcc, v9, v66
	v_cmp_eq_u16_sdwa s[12:13], v124, v4 src0_sel:BYTE_0 src1_sel:DWORD
	v_addc_co_u32_e32 v5, vcc, v5, v67, vcc
	v_cndmask_b32_e64 v9, 0, v9, s[12:13]
	v_cndmask_b32_e64 v5, 0, v5, s[12:13]
	v_add_co_u32_e32 v9, vcc, v9, v54
	v_cmp_eq_u16_sdwa s[10:11], v125, v4 src0_sel:BYTE_0 src1_sel:DWORD
	v_addc_co_u32_e32 v5, vcc, v5, v55, vcc
	v_cndmask_b32_e64 v9, 0, v9, s[10:11]
	v_cndmask_b32_e64 v5, 0, v5, s[10:11]
	v_add_co_u32_e32 v9, vcc, v9, v70
	v_cmp_eq_u16_sdwa s[8:9], v126, v4 src0_sel:BYTE_0 src1_sel:DWORD
	v_addc_co_u32_e32 v5, vcc, v5, v71, vcc
	v_cndmask_b32_e64 v9, 0, v9, s[8:9]
	v_cndmask_b32_e64 v5, 0, v5, s[8:9]
	v_add_co_u32_e32 v9, vcc, v9, v62
	v_cmp_eq_u16_sdwa s[44:45], v110, v4 src0_sel:BYTE_0 src1_sel:DWORD
	v_addc_co_u32_e32 v5, vcc, v5, v63, vcc
	v_cndmask_b32_e64 v9, 0, v9, s[44:45]
	v_add_co_u32_e32 v9, vcc, v9, v6
	v_cmp_eq_u16_sdwa s[2:3], v36, v4 src0_sel:BYTE_0 src1_sel:DWORD
	v_cndmask_b32_e64 v4, 0, v9, s[2:3]
	v_or_b32_e32 v9, v29, v125
	v_or_b32_e32 v9, v9, v124
	;; [unrolled: 1-line block ×12, first 2 shown]
	v_cndmask_b32_e64 v5, 0, v5, s[44:45]
	v_or_b32_e32 v9, v9, v113
	v_addc_co_u32_e32 v5, vcc, v5, v7, vcc
	v_or_b32_e32 v9, v9, v111
	v_cndmask_b32_e64 v5, 0, v5, s[2:3]
	v_add_co_u32_e32 v4, vcc, v4, v16
	v_or_b32_e32 v9, v9, v112
	v_addc_co_u32_e32 v5, vcc, v5, v17, vcc
	v_and_b32_e32 v9, 1, v9
	v_and_b32_e32 v8, 0xff, v1
	v_cmp_eq_u32_e32 vcc, 1, v9
	v_mbcnt_hi_u32_b32 v9, -1, v28
	v_cndmask_b32_e64 v8, v8, 1, vcc
	v_and_b32_e32 v12, 15, v9
	v_mov_b32_dpp v20, v4 row_shr:1 row_mask:0xf bank_mask:0xf
	v_mov_b32_dpp v21, v5 row_shr:1 row_mask:0xf bank_mask:0xf
	;; [unrolled: 1-line block ×3, first 2 shown]
	v_cmp_ne_u32_e32 vcc, 0, v12
	s_and_saveexec_b64 s[42:43], vcc
; %bb.115:
	v_cmp_eq_u32_e32 vcc, 0, v8
	v_cndmask_b32_e32 v20, 0, v20, vcc
	v_cndmask_b32_e32 v21, 0, v21, vcc
	v_add_co_u32_e32 v4, vcc, v20, v4
	v_addc_co_u32_e32 v5, vcc, v21, v5, vcc
	v_and_or_b32 v8, v13, 1, v8
; %bb.116:
	s_or_b64 exec, exec, s[42:43]
	v_mov_b32_dpp v20, v4 row_shr:2 row_mask:0xf bank_mask:0xf
	v_mov_b32_dpp v21, v5 row_shr:2 row_mask:0xf bank_mask:0xf
	v_mov_b32_dpp v13, v8 row_shr:2 row_mask:0xf bank_mask:0xf
	v_cmp_lt_u32_e32 vcc, 1, v12
	s_and_saveexec_b64 s[42:43], vcc
; %bb.117:
	v_cmp_eq_u32_e32 vcc, 0, v8
	v_cndmask_b32_e32 v20, 0, v20, vcc
	v_cndmask_b32_e32 v21, 0, v21, vcc
	v_add_co_u32_e32 v4, vcc, v20, v4
	v_or_b32_e32 v8, v13, v8
	v_addc_co_u32_e32 v5, vcc, v21, v5, vcc
	v_and_b32_e32 v8, 1, v8
; %bb.118:
	s_or_b64 exec, exec, s[42:43]
	v_mov_b32_dpp v20, v4 row_shr:4 row_mask:0xf bank_mask:0xf
	v_mov_b32_dpp v21, v5 row_shr:4 row_mask:0xf bank_mask:0xf
	v_mov_b32_dpp v13, v8 row_shr:4 row_mask:0xf bank_mask:0xf
	v_cmp_lt_u32_e32 vcc, 3, v12
	s_and_saveexec_b64 s[42:43], vcc
; %bb.119:
	v_cmp_eq_u32_e32 vcc, 0, v8
	v_cndmask_b32_e32 v20, 0, v20, vcc
	v_cndmask_b32_e32 v21, 0, v21, vcc
	v_add_co_u32_e32 v4, vcc, v20, v4
	v_or_b32_e32 v8, v13, v8
	v_addc_co_u32_e32 v5, vcc, v21, v5, vcc
	v_and_b32_e32 v8, 1, v8
	;; [unrolled: 15-line block ×3, first 2 shown]
; %bb.122:
	s_or_b64 exec, exec, s[42:43]
	v_and_b32_e32 v21, 16, v9
	v_mov_b32_dpp v13, v4 row_bcast:15 row_mask:0xf bank_mask:0xf
	v_mov_b32_dpp v20, v5 row_bcast:15 row_mask:0xf bank_mask:0xf
	;; [unrolled: 1-line block ×3, first 2 shown]
	v_cmp_ne_u32_e32 vcc, 0, v21
	s_and_saveexec_b64 s[42:43], vcc
; %bb.123:
	v_cmp_eq_u32_e32 vcc, 0, v8
	v_cndmask_b32_e32 v13, 0, v13, vcc
	v_cndmask_b32_e32 v20, 0, v20, vcc
	v_add_co_u32_e32 v4, vcc, v13, v4
	v_or_b32_e32 v8, v12, v8
	v_addc_co_u32_e32 v5, vcc, v20, v5, vcc
	v_and_b32_e32 v8, 1, v8
; %bb.124:
	s_or_b64 exec, exec, s[42:43]
	v_mov_b32_dpp v20, v4 row_bcast:31 row_mask:0xf bank_mask:0xf
	v_mov_b32_dpp v21, v5 row_bcast:31 row_mask:0xf bank_mask:0xf
	;; [unrolled: 1-line block ×3, first 2 shown]
	v_cmp_lt_u32_e32 vcc, 31, v9
	v_mov_b32_e32 v12, v8
	s_and_saveexec_b64 s[42:43], vcc
; %bb.125:
	v_cmp_eq_u32_e32 vcc, 0, v8
	v_cndmask_b32_e32 v20, 0, v20, vcc
	v_cndmask_b32_e32 v12, 0, v21, vcc
	v_add_co_u32_e32 v4, vcc, v20, v4
	v_or_b32_e32 v8, v13, v8
	v_addc_co_u32_e32 v5, vcc, v12, v5, vcc
	v_and_b32_e32 v12, 1, v8
	v_and_b32_e32 v8, 1, v8
; %bb.126:
	s_or_b64 exec, exec, s[42:43]
	v_cmp_eq_u32_e32 vcc, 63, v0
	s_and_saveexec_b64 s[42:43], vcc
	s_cbranch_execz .LBB914_128
; %bb.127:
	v_mov_b32_e32 v13, 0
	ds_write_b64 v13, v[4:5]
	ds_write_b8 v13, v12 offset:8
.LBB914_128:
	s_or_b64 exec, exec, s[42:43]
	v_add_u32_e32 v12, -1, v9
	v_and_b32_e32 v13, 64, v9
	v_cmp_lt_i32_e32 vcc, v12, v13
	v_cndmask_b32_e32 v12, v12, v9, vcc
	v_lshlrev_b32_e32 v12, 2, v12
	ds_bpermute_b32 v33, v12, v4
	ds_bpermute_b32 v37, v12, v5
	;; [unrolled: 1-line block ×3, first 2 shown]
	v_cmp_gt_u32_e32 vcc, 64, v0
	s_waitcnt lgkmcnt(0)
	; wave barrier
	s_waitcnt lgkmcnt(0)
	s_and_saveexec_b64 s[56:57], vcc
	s_cbranch_execz .LBB914_175
; %bb.129:
	v_mov_b32_e32 v13, 0
	ds_read_b64 v[4:5], v13
	ds_read_u8 v40, v13 offset:8
	s_mov_b32 s63, 0
	v_cmp_eq_u32_e64 s[42:43], 0, v9
	s_and_saveexec_b64 s[46:47], s[42:43]
	s_cbranch_execz .LBB914_131
; %bb.130:
	s_add_i32 s62, s6, 64
	s_lshl_b64 s[68:69], s[62:63], 4
	s_add_u32 s68, s48, s68
	s_addc_u32 s69, s49, s69
	v_mov_b32_e32 v8, s62
	v_mov_b32_e32 v12, 1
	s_waitcnt lgkmcnt(1)
	global_store_dwordx2 v13, v[4:5], s[68:69]
	s_waitcnt lgkmcnt(0)
	global_store_byte v13, v40, s[68:69] offset:8
	s_waitcnt vmcnt(0)
	buffer_wbinvl1_vol
	global_store_byte v8, v12, s[52:53]
.LBB914_131:
	s_or_b64 exec, exec, s[46:47]
	v_xad_u32 v8, v9, -1, s6
	v_add_u32_e32 v12, 64, v8
	global_load_ubyte v41, v12, s[52:53] glc
	s_waitcnt vmcnt(0)
	v_cmp_eq_u16_e32 vcc, 0, v41
	s_and_saveexec_b64 s[46:47], vcc
	s_cbranch_execz .LBB914_137
; %bb.132:
	v_mov_b32_e32 v21, s53
	v_add_co_u32_e32 v20, vcc, s52, v12
	v_addc_co_u32_e32 v21, vcc, 0, v21, vcc
	s_mov_b32 s7, 1
	s_mov_b64 s[62:63], 0
.LBB914_133:                            ; =>This Loop Header: Depth=1
                                        ;     Child Loop BB914_134 Depth 2
	s_max_u32 s55, s7, 1
.LBB914_134:                            ;   Parent Loop BB914_133 Depth=1
                                        ; =>  This Inner Loop Header: Depth=2
	s_add_i32 s55, s55, -1
	s_cmp_eq_u32 s55, 0
	s_sleep 1
	s_cbranch_scc0 .LBB914_134
; %bb.135:                              ;   in Loop: Header=BB914_133 Depth=1
	global_load_ubyte v41, v[20:21], off glc
	s_cmp_lt_u32 s7, 32
	s_cselect_b64 s[68:69], -1, 0
	s_cmp_lg_u64 s[68:69], 0
	s_addc_u32 s7, s7, 0
	s_waitcnt vmcnt(0)
	v_cmp_ne_u16_e32 vcc, 0, v41
	s_or_b64 s[62:63], vcc, s[62:63]
	s_andn2_b64 exec, exec, s[62:63]
	s_cbranch_execnz .LBB914_133
; %bb.136:
	s_or_b64 exec, exec, s[62:63]
.LBB914_137:
	s_or_b64 exec, exec, s[46:47]
	v_mov_b32_e32 v20, s51
	v_mov_b32_e32 v21, s49
	v_cmp_eq_u16_e32 vcc, 1, v41
	v_cndmask_b32_e32 v20, v20, v21, vcc
	v_mov_b32_e32 v21, s50
	v_mov_b32_e32 v24, s48
	v_cndmask_b32_e32 v21, v21, v24, vcc
	v_lshlrev_b64 v[12:13], 4, v[12:13]
	v_add_co_u32_e32 v12, vcc, v21, v12
	v_addc_co_u32_e32 v13, vcc, v20, v13, vcc
	s_waitcnt lgkmcnt(0)
	buffer_wbinvl1_vol
	global_load_dwordx2 v[24:25], v[12:13], off
	global_load_ubyte v72, v[12:13], off offset:8
	v_cmp_eq_u16_e32 vcc, 2, v41
	v_lshlrev_b64 v[12:13], v9, -1
	v_and_b32_e32 v44, 63, v9
	v_and_b32_e32 v20, vcc_hi, v13
	v_and_b32_e32 v53, vcc_lo, v12
	v_cmp_ne_u32_e32 vcc, 63, v44
	v_addc_co_u32_e32 v21, vcc, 0, v9, vcc
	v_lshlrev_b32_e32 v45, 2, v21
	v_or_b32_e32 v20, 0x80000000, v20
	v_ffbl_b32_e32 v20, v20
	v_add_u32_e32 v20, 32, v20
	v_ffbl_b32_e32 v53, v53
	v_min_u32_e32 v20, v53, v20
	v_cmp_lt_u32_e32 vcc, v44, v20
	s_waitcnt vmcnt(1)
	ds_bpermute_b32 v49, v45, v24
	s_waitcnt vmcnt(0)
	v_and_b32_e32 v21, 1, v72
	ds_bpermute_b32 v52, v45, v25
	ds_bpermute_b32 v48, v45, v21
	s_and_saveexec_b64 s[46:47], vcc
	s_cbranch_execz .LBB914_139
; %bb.138:
	v_mov_b32_e32 v21, 0
	v_cmp_eq_u16_sdwa vcc, v72, v21 src0_sel:BYTE_0 src1_sel:DWORD
	s_waitcnt lgkmcnt(2)
	v_cndmask_b32_e32 v49, 0, v49, vcc
	s_waitcnt lgkmcnt(1)
	v_cndmask_b32_e32 v21, 0, v52, vcc
	v_add_co_u32_e32 v24, vcc, v49, v24
	v_addc_co_u32_e32 v25, vcc, v21, v25, vcc
	s_waitcnt lgkmcnt(0)
	v_and_b32_e32 v21, 1, v48
	v_or_b32_e32 v72, v21, v72
	v_and_b32_e32 v21, 0xff, v72
.LBB914_139:
	s_or_b64 exec, exec, s[46:47]
	v_cmp_gt_u32_e32 vcc, 62, v44
	s_waitcnt lgkmcnt(0)
	v_cndmask_b32_e64 v48, 0, 1, vcc
	v_lshlrev_b32_e32 v48, 1, v48
	v_add_lshl_u32 v48, v48, v9, 2
	ds_bpermute_b32 v53, v48, v24
	ds_bpermute_b32 v56, v48, v25
	ds_bpermute_b32 v52, v48, v21
	v_add_u32_e32 v49, 2, v44
	v_cmp_le_u32_e32 vcc, v49, v20
	s_and_saveexec_b64 s[62:63], vcc
	s_cbranch_execz .LBB914_141
; %bb.140:
	v_mov_b32_e32 v21, 0
	v_cmp_eq_u16_sdwa vcc, v72, v21 src0_sel:BYTE_0 src1_sel:DWORD
	s_waitcnt lgkmcnt(2)
	v_cndmask_b32_e32 v53, 0, v53, vcc
	s_waitcnt lgkmcnt(1)
	v_cndmask_b32_e32 v21, 0, v56, vcc
	v_add_co_u32_e32 v24, vcc, v53, v24
	v_addc_co_u32_e32 v25, vcc, v21, v25, vcc
	v_and_b32_e32 v21, 1, v72
	v_cmp_eq_u32_e32 vcc, 1, v21
	s_waitcnt lgkmcnt(0)
	v_and_b32_e32 v21, 1, v52
	v_cmp_eq_u32_e64 s[46:47], 1, v21
	s_or_b64 s[46:47], vcc, s[46:47]
	v_cndmask_b32_e64 v72, 0, 1, s[46:47]
	v_cndmask_b32_e64 v21, 0, 1, s[46:47]
.LBB914_141:
	s_or_b64 exec, exec, s[62:63]
	v_cmp_gt_u32_e32 vcc, 60, v44
	s_waitcnt lgkmcnt(0)
	v_cndmask_b32_e64 v52, 0, 1, vcc
	v_lshlrev_b32_e32 v52, 2, v52
	v_add_lshl_u32 v52, v52, v9, 2
	ds_bpermute_b32 v57, v52, v24
	ds_bpermute_b32 v60, v52, v25
	ds_bpermute_b32 v56, v52, v21
	v_add_u32_e32 v53, 4, v44
	v_cmp_le_u32_e32 vcc, v53, v20
	s_and_saveexec_b64 s[62:63], vcc
	s_cbranch_execz .LBB914_143
; %bb.142:
	v_mov_b32_e32 v21, 0
	v_cmp_eq_u16_sdwa vcc, v72, v21 src0_sel:BYTE_0 src1_sel:DWORD
	s_waitcnt lgkmcnt(2)
	v_cndmask_b32_e32 v57, 0, v57, vcc
	s_waitcnt lgkmcnt(1)
	v_cndmask_b32_e32 v21, 0, v60, vcc
	v_add_co_u32_e32 v24, vcc, v57, v24
	v_addc_co_u32_e32 v25, vcc, v21, v25, vcc
	v_and_b32_e32 v21, 1, v72
	v_cmp_eq_u32_e32 vcc, 1, v21
	s_waitcnt lgkmcnt(0)
	v_and_b32_e32 v21, 1, v56
	v_cmp_eq_u32_e64 s[46:47], 1, v21
	s_or_b64 s[46:47], vcc, s[46:47]
	v_cndmask_b32_e64 v72, 0, 1, s[46:47]
	v_cndmask_b32_e64 v21, 0, 1, s[46:47]
.LBB914_143:
	;; [unrolled: 31-line block ×4, first 2 shown]
	s_or_b64 exec, exec, s[62:63]
	v_cmp_gt_u32_e32 vcc, 32, v44
	s_waitcnt lgkmcnt(0)
	v_cndmask_b32_e64 v64, 0, 1, vcc
	v_lshlrev_b32_e32 v64, 5, v64
	v_add_lshl_u32 v65, v64, v9, 2
	ds_bpermute_b32 v64, v65, v24
	ds_bpermute_b32 v69, v65, v25
	;; [unrolled: 1-line block ×3, first 2 shown]
	v_add_u32_e32 v68, 32, v44
	v_cmp_le_u32_e32 vcc, v68, v20
	s_and_saveexec_b64 s[62:63], vcc
	s_cbranch_execz .LBB914_149
; %bb.148:
	v_mov_b32_e32 v20, 0
	v_cmp_eq_u16_sdwa vcc, v72, v20 src0_sel:BYTE_0 src1_sel:DWORD
	s_waitcnt lgkmcnt(2)
	v_cndmask_b32_e32 v21, 0, v64, vcc
	s_waitcnt lgkmcnt(1)
	v_cndmask_b32_e32 v20, 0, v69, vcc
	v_add_co_u32_e32 v24, vcc, v21, v24
	v_addc_co_u32_e32 v25, vcc, v20, v25, vcc
	v_and_b32_e32 v20, 1, v72
	s_waitcnt lgkmcnt(0)
	v_and_b32_e32 v9, 1, v9
	v_cmp_eq_u32_e32 vcc, 1, v20
	v_cmp_eq_u32_e64 s[46:47], 1, v9
	s_or_b64 s[46:47], vcc, s[46:47]
	v_cndmask_b32_e64 v72, 0, 1, s[46:47]
.LBB914_149:
	s_or_b64 exec, exec, s[62:63]
	s_waitcnt lgkmcnt(0)
	v_mov_b32_e32 v9, 0
	v_mov_b32_e32 v69, 2
	s_branch .LBB914_151
.LBB914_150:                            ;   in Loop: Header=BB914_151 Depth=1
	s_or_b64 exec, exec, s[68:69]
	v_cmp_eq_u16_sdwa vcc, v64, v9 src0_sel:BYTE_0 src1_sel:DWORD
	v_cndmask_b32_e32 v24, 0, v24, vcc
	v_cndmask_b32_e32 v25, 0, v25, vcc
	v_add_co_u32_e32 v24, vcc, v24, v20
	v_addc_co_u32_e32 v25, vcc, v25, v21, vcc
	v_and_b32_e32 v72, 1, v64
	v_cmp_eq_u32_e32 vcc, 1, v72
	s_or_b64 s[46:47], vcc, s[62:63]
	v_subrev_u32_e32 v8, 64, v8
	v_cndmask_b32_e64 v72, 0, 1, s[46:47]
.LBB914_151:                            ; =>This Loop Header: Depth=1
                                        ;     Child Loop BB914_154 Depth 2
                                        ;       Child Loop BB914_155 Depth 3
	v_cmp_ne_u16_sdwa s[46:47], v41, v69 src0_sel:BYTE_0 src1_sel:DWORD
	v_cndmask_b32_e64 v20, 0, 1, s[46:47]
	;;#ASMSTART
	;;#ASMEND
	v_cmp_ne_u32_e32 vcc, 0, v20
	v_mov_b32_e32 v64, v72
	s_cmp_lg_u64 vcc, exec
	v_pk_mov_b32 v[20:21], v[24:25], v[24:25] op_sel:[0,1]
	s_cbranch_scc1 .LBB914_170
; %bb.152:                              ;   in Loop: Header=BB914_151 Depth=1
	global_load_ubyte v41, v8, s[52:53] glc
	s_waitcnt vmcnt(0)
	v_cmp_eq_u16_e32 vcc, 0, v41
	s_and_saveexec_b64 s[46:47], vcc
	s_cbranch_execz .LBB914_158
; %bb.153:                              ;   in Loop: Header=BB914_151 Depth=1
	v_mov_b32_e32 v25, s53
	v_add_co_u32_e32 v24, vcc, s52, v8
	v_addc_co_u32_e32 v25, vcc, 0, v25, vcc
	s_mov_b32 s7, 1
	s_mov_b64 s[62:63], 0
.LBB914_154:                            ;   Parent Loop BB914_151 Depth=1
                                        ; =>  This Loop Header: Depth=2
                                        ;       Child Loop BB914_155 Depth 3
	s_max_u32 s55, s7, 1
.LBB914_155:                            ;   Parent Loop BB914_151 Depth=1
                                        ;     Parent Loop BB914_154 Depth=2
                                        ; =>    This Inner Loop Header: Depth=3
	s_add_i32 s55, s55, -1
	s_cmp_eq_u32 s55, 0
	s_sleep 1
	s_cbranch_scc0 .LBB914_155
; %bb.156:                              ;   in Loop: Header=BB914_154 Depth=2
	global_load_ubyte v41, v[24:25], off glc
	s_cmp_lt_u32 s7, 32
	s_cselect_b64 s[68:69], -1, 0
	s_cmp_lg_u64 s[68:69], 0
	s_addc_u32 s7, s7, 0
	s_waitcnt vmcnt(0)
	v_cmp_ne_u16_e32 vcc, 0, v41
	s_or_b64 s[62:63], vcc, s[62:63]
	s_andn2_b64 exec, exec, s[62:63]
	s_cbranch_execnz .LBB914_154
; %bb.157:                              ;   in Loop: Header=BB914_151 Depth=1
	s_or_b64 exec, exec, s[62:63]
.LBB914_158:                            ;   in Loop: Header=BB914_151 Depth=1
	s_or_b64 exec, exec, s[46:47]
	v_mov_b32_e32 v24, s51
	v_mov_b32_e32 v25, s49
	v_cmp_eq_u16_e32 vcc, 1, v41
	v_cndmask_b32_e32 v73, v24, v25, vcc
	v_mov_b32_e32 v24, s50
	v_mov_b32_e32 v25, s48
	v_cndmask_b32_e32 v72, v24, v25, vcc
	v_lshlrev_b64 v[24:25], 4, v[8:9]
	v_add_co_u32_e32 v72, vcc, v72, v24
	v_addc_co_u32_e32 v73, vcc, v73, v25, vcc
	buffer_wbinvl1_vol
	global_load_dwordx2 v[24:25], v[72:73], off
	s_nop 0
	global_load_ubyte v72, v[72:73], off offset:8
	v_cmp_eq_u16_e32 vcc, 2, v41
	v_and_b32_e32 v73, vcc_hi, v13
	v_or_b32_e32 v73, 0x80000000, v73
	v_and_b32_e32 v78, vcc_lo, v12
	v_ffbl_b32_e32 v73, v73
	v_add_u32_e32 v73, 32, v73
	v_ffbl_b32_e32 v78, v78
	v_min_u32_e32 v73, v78, v73
	v_cmp_lt_u32_e32 vcc, v44, v73
	s_waitcnt vmcnt(1) lgkmcnt(1)
	ds_bpermute_b32 v76, v45, v24
	s_waitcnt vmcnt(0) lgkmcnt(1)
	v_and_b32_e32 v74, 1, v72
	ds_bpermute_b32 v77, v45, v25
	ds_bpermute_b32 v75, v45, v74
	s_and_saveexec_b64 s[46:47], vcc
	s_cbranch_execz .LBB914_160
; %bb.159:                              ;   in Loop: Header=BB914_151 Depth=1
	v_cmp_eq_u16_sdwa vcc, v72, v9 src0_sel:BYTE_0 src1_sel:DWORD
	s_waitcnt lgkmcnt(2)
	v_cndmask_b32_e32 v76, 0, v76, vcc
	s_waitcnt lgkmcnt(1)
	v_cndmask_b32_e32 v74, 0, v77, vcc
	v_add_co_u32_e32 v24, vcc, v76, v24
	v_addc_co_u32_e32 v25, vcc, v74, v25, vcc
	s_waitcnt lgkmcnt(0)
	v_and_b32_e32 v74, 1, v75
	v_or_b32_e32 v72, v74, v72
	v_and_b32_e32 v74, 0xff, v72
.LBB914_160:                            ;   in Loop: Header=BB914_151 Depth=1
	s_or_b64 exec, exec, s[46:47]
	s_waitcnt lgkmcnt(2)
	ds_bpermute_b32 v76, v48, v24
	s_waitcnt lgkmcnt(2)
	ds_bpermute_b32 v77, v48, v25
	;; [unrolled: 2-line block ×3, first 2 shown]
	v_and_b32_e32 v78, 1, v72
	v_cmp_le_u32_e32 vcc, v49, v73
	v_cmp_eq_u32_e64 s[62:63], 1, v78
	s_and_saveexec_b64 s[46:47], vcc
	s_cbranch_execz .LBB914_162
; %bb.161:                              ;   in Loop: Header=BB914_151 Depth=1
	v_cmp_eq_u16_sdwa vcc, v72, v9 src0_sel:BYTE_0 src1_sel:DWORD
	s_waitcnt lgkmcnt(2)
	v_cndmask_b32_e32 v74, 0, v76, vcc
	s_waitcnt lgkmcnt(1)
	v_cndmask_b32_e32 v72, 0, v77, vcc
	v_add_co_u32_e32 v24, vcc, v74, v24
	v_addc_co_u32_e32 v25, vcc, v72, v25, vcc
	s_waitcnt lgkmcnt(0)
	v_and_b32_e32 v72, 1, v75
	v_cmp_eq_u32_e32 vcc, 1, v72
	s_or_b64 s[68:69], s[62:63], vcc
	v_cndmask_b32_e64 v72, 0, 1, s[68:69]
	v_cndmask_b32_e64 v74, 0, 1, s[68:69]
	s_andn2_b64 s[62:63], s[62:63], exec
	s_and_b64 s[68:69], s[68:69], exec
	s_or_b64 s[62:63], s[62:63], s[68:69]
.LBB914_162:                            ;   in Loop: Header=BB914_151 Depth=1
	s_or_b64 exec, exec, s[46:47]
	s_waitcnt lgkmcnt(2)
	ds_bpermute_b32 v76, v52, v24
	s_waitcnt lgkmcnt(2)
	ds_bpermute_b32 v77, v52, v25
	s_waitcnt lgkmcnt(2)
	ds_bpermute_b32 v75, v52, v74
	v_cmp_le_u32_e32 vcc, v53, v73
	s_and_saveexec_b64 s[68:69], vcc
	s_cbranch_execz .LBB914_164
; %bb.163:                              ;   in Loop: Header=BB914_151 Depth=1
	v_cmp_eq_u16_sdwa vcc, v72, v9 src0_sel:BYTE_0 src1_sel:DWORD
	s_waitcnt lgkmcnt(2)
	v_cndmask_b32_e32 v76, 0, v76, vcc
	s_waitcnt lgkmcnt(1)
	v_cndmask_b32_e32 v74, 0, v77, vcc
	v_add_co_u32_e32 v24, vcc, v76, v24
	v_addc_co_u32_e32 v25, vcc, v74, v25, vcc
	v_and_b32_e32 v72, 1, v72
	v_cmp_eq_u32_e32 vcc, 1, v72
	s_waitcnt lgkmcnt(0)
	v_and_b32_e32 v72, 1, v75
	v_cmp_eq_u32_e64 s[46:47], 1, v72
	s_or_b64 s[46:47], vcc, s[46:47]
	v_cndmask_b32_e64 v72, 0, 1, s[46:47]
	v_cndmask_b32_e64 v74, 0, 1, s[46:47]
	s_andn2_b64 s[62:63], s[62:63], exec
	s_and_b64 s[46:47], s[46:47], exec
	s_or_b64 s[62:63], s[62:63], s[46:47]
.LBB914_164:                            ;   in Loop: Header=BB914_151 Depth=1
	s_or_b64 exec, exec, s[68:69]
	s_waitcnt lgkmcnt(2)
	ds_bpermute_b32 v76, v56, v24
	s_waitcnt lgkmcnt(2)
	ds_bpermute_b32 v77, v56, v25
	s_waitcnt lgkmcnt(2)
	ds_bpermute_b32 v75, v56, v74
	v_cmp_le_u32_e32 vcc, v57, v73
	s_and_saveexec_b64 s[68:69], vcc
	s_cbranch_execz .LBB914_166
; %bb.165:                              ;   in Loop: Header=BB914_151 Depth=1
	v_cmp_eq_u16_sdwa vcc, v72, v9 src0_sel:BYTE_0 src1_sel:DWORD
	s_waitcnt lgkmcnt(2)
	v_cndmask_b32_e32 v76, 0, v76, vcc
	s_waitcnt lgkmcnt(1)
	v_cndmask_b32_e32 v74, 0, v77, vcc
	v_add_co_u32_e32 v24, vcc, v76, v24
	v_addc_co_u32_e32 v25, vcc, v74, v25, vcc
	v_and_b32_e32 v72, 1, v72
	v_cmp_eq_u32_e32 vcc, 1, v72
	s_waitcnt lgkmcnt(0)
	v_and_b32_e32 v72, 1, v75
	v_cmp_eq_u32_e64 s[46:47], 1, v72
	s_or_b64 s[46:47], vcc, s[46:47]
	v_cndmask_b32_e64 v72, 0, 1, s[46:47]
	v_cndmask_b32_e64 v74, 0, 1, s[46:47]
	s_andn2_b64 s[62:63], s[62:63], exec
	s_and_b64 s[46:47], s[46:47], exec
	s_or_b64 s[62:63], s[62:63], s[46:47]
.LBB914_166:                            ;   in Loop: Header=BB914_151 Depth=1
	;; [unrolled: 30-line block ×3, first 2 shown]
	s_or_b64 exec, exec, s[68:69]
	s_waitcnt lgkmcnt(0)
	ds_bpermute_b32 v75, v65, v24
	ds_bpermute_b32 v76, v65, v25
	ds_bpermute_b32 v74, v65, v74
	v_cmp_le_u32_e32 vcc, v68, v73
	s_and_saveexec_b64 s[68:69], vcc
	s_cbranch_execz .LBB914_150
; %bb.169:                              ;   in Loop: Header=BB914_151 Depth=1
	v_cmp_eq_u16_sdwa vcc, v72, v9 src0_sel:BYTE_0 src1_sel:DWORD
	s_waitcnt lgkmcnt(2)
	v_cndmask_b32_e32 v75, 0, v75, vcc
	s_waitcnt lgkmcnt(1)
	v_cndmask_b32_e32 v73, 0, v76, vcc
	v_add_co_u32_e32 v24, vcc, v75, v24
	v_addc_co_u32_e32 v25, vcc, v73, v25, vcc
	v_and_b32_e32 v72, 1, v72
	v_cmp_eq_u32_e32 vcc, 1, v72
	s_waitcnt lgkmcnt(0)
	v_and_b32_e32 v72, 1, v74
	v_cmp_eq_u32_e64 s[46:47], 1, v72
	s_or_b64 s[46:47], vcc, s[46:47]
	s_andn2_b64 s[62:63], s[62:63], exec
	s_and_b64 s[46:47], s[46:47], exec
	s_or_b64 s[62:63], s[62:63], s[46:47]
	s_branch .LBB914_150
.LBB914_170:                            ;   in Loop: Header=BB914_151 Depth=1
                                        ; implicit-def: $vgpr72
                                        ; implicit-def: $vgpr24_vgpr25
                                        ; implicit-def: $vgpr41
	s_cbranch_execz .LBB914_151
; %bb.171:
	s_and_saveexec_b64 s[46:47], s[42:43]
	s_cbranch_execz .LBB914_173
; %bb.172:
	v_mov_b32_e32 v8, 0
	s_mov_b32 s7, 0
	v_cmp_eq_u16_sdwa vcc, v40, v8 src0_sel:BYTE_0 src1_sel:DWORD
	s_add_i32 s6, s6, 64
	v_cndmask_b32_e32 v12, 0, v20, vcc
	s_lshl_b64 s[42:43], s[6:7], 4
	v_cndmask_b32_e32 v9, 0, v21, vcc
	v_add_co_u32_e32 v4, vcc, v12, v4
	s_add_u32 s42, s50, s42
	v_addc_co_u32_e32 v5, vcc, v9, v5, vcc
	v_or_b32_e32 v9, v40, v64
	s_addc_u32 s43, s51, s43
	v_and_b32_e32 v9, 1, v9
	global_store_dwordx2 v8, v[4:5], s[42:43]
	global_store_byte v8, v9, s[42:43] offset:8
	v_mov_b32_e32 v4, s6
	v_mov_b32_e32 v5, 2
	s_waitcnt vmcnt(0) lgkmcnt(0)
	buffer_wbinvl1_vol
	global_store_byte v4, v5, s[52:53]
.LBB914_173:
	s_or_b64 exec, exec, s[46:47]
	v_cmp_eq_u32_e32 vcc, 0, v0
	s_and_b64 exec, exec, vcc
	s_cbranch_execz .LBB914_175
; %bb.174:
	v_mov_b32_e32 v4, 0
	ds_write_b64 v4, v[20:21]
	ds_write_b8 v4, v64 offset:8
.LBB914_175:
	s_or_b64 exec, exec, s[56:57]
	v_mov_b32_e32 v8, 0
	v_cmp_eq_u16_sdwa vcc, v1, v8 src0_sel:BYTE_0 src1_sel:DWORD
	v_and_b32_e32 v13, 1, v1
	v_cndmask_b32_e32 v9, 0, v33, vcc
	v_cndmask_b32_e32 v12, 0, v37, vcc
	v_cmp_eq_u32_e32 vcc, 1, v13
	v_and_b32_e32 v13, 1, v32
	v_cmp_eq_u32_e64 s[6:7], 1, v13
	s_waitcnt lgkmcnt(0)
	; wave barrier
	s_waitcnt lgkmcnt(0)
	ds_read_b64 v[4:5], v8
	s_or_b64 s[6:7], vcc, s[6:7]
	v_cmp_eq_u32_e32 vcc, 0, v0
	v_cndmask_b32_e64 v13, 0, 1, s[6:7]
	v_cndmask_b32_e64 v9, v9, 0, vcc
	v_cndmask_b32_e32 v13, v13, v1, vcc
	v_cndmask_b32_e64 v12, v12, 0, vcc
	v_add_co_u32_e32 v9, vcc, v9, v2
	v_addc_co_u32_e32 v12, vcc, v12, v3, vcc
	v_cmp_eq_u16_sdwa vcc, v13, v8 src0_sel:BYTE_0 src1_sel:DWORD
	s_waitcnt lgkmcnt(0)
	v_cndmask_b32_e32 v4, 0, v4, vcc
	v_cndmask_b32_e32 v5, 0, v5, vcc
	v_add_co_u32_e32 v102, vcc, v9, v4
	v_addc_co_u32_e32 v103, vcc, v12, v5, vcc
	v_cndmask_b32_e64 v5, 0, v102, s[40:41]
	v_cndmask_b32_e64 v4, 0, v103, s[40:41]
	v_add_co_u32_e32 v40, vcc, v5, v14
	v_addc_co_u32_e32 v41, vcc, v4, v15, vcc
	v_cndmask_b32_e64 v5, 0, v40, s[38:39]
	v_cndmask_b32_e64 v4, 0, v41, s[38:39]
	v_add_co_u32_e32 v72, vcc, v5, v10
	v_addc_co_u32_e32 v73, vcc, v4, v11, vcc
	v_cndmask_b32_e64 v5, 0, v72, s[36:37]
	v_cndmask_b32_e64 v4, 0, v73, s[36:37]
	v_add_co_u32_e32 v44, vcc, v5, v22
	v_addc_co_u32_e32 v45, vcc, v4, v23, vcc
	v_cndmask_b32_e64 v5, 0, v44, s[34:35]
	v_cndmask_b32_e64 v4, 0, v45, s[34:35]
	v_add_co_u32_e32 v76, vcc, v5, v18
	v_addc_co_u32_e32 v77, vcc, v4, v19, vcc
	v_cndmask_b32_e64 v5, 0, v76, s[30:31]
	v_cndmask_b32_e64 v4, 0, v77, s[30:31]
	v_add_co_u32_e32 v48, vcc, v5, v34
	v_addc_co_u32_e32 v49, vcc, v4, v35, vcc
	v_cndmask_b32_e64 v5, 0, v48, s[28:29]
	v_cndmask_b32_e64 v4, 0, v49, s[28:29]
	v_add_co_u32_e32 v80, vcc, v5, v26
	v_addc_co_u32_e32 v81, vcc, v4, v27, vcc
	v_cndmask_b32_e64 v5, 0, v80, s[26:27]
	v_cndmask_b32_e64 v4, 0, v81, s[26:27]
	v_add_co_u32_e32 v52, vcc, v5, v42
	v_addc_co_u32_e32 v53, vcc, v4, v43, vcc
	v_cndmask_b32_e64 v5, 0, v52, s[24:25]
	v_cndmask_b32_e64 v4, 0, v53, s[24:25]
	v_add_co_u32_e32 v84, vcc, v5, v30
	v_addc_co_u32_e32 v85, vcc, v4, v31, vcc
	v_cndmask_b32_e64 v5, 0, v84, s[22:23]
	v_cndmask_b32_e64 v4, 0, v85, s[22:23]
	v_add_co_u32_e32 v56, vcc, v5, v50
	v_addc_co_u32_e32 v57, vcc, v4, v51, vcc
	v_cndmask_b32_e64 v5, 0, v56, s[20:21]
	v_cndmask_b32_e64 v4, 0, v57, s[20:21]
	v_add_co_u32_e32 v88, vcc, v5, v38
	v_addc_co_u32_e32 v89, vcc, v4, v39, vcc
	v_cndmask_b32_e64 v5, 0, v88, s[18:19]
	v_cndmask_b32_e64 v4, 0, v89, s[18:19]
	v_add_co_u32_e32 v60, vcc, v5, v58
	v_addc_co_u32_e32 v61, vcc, v4, v59, vcc
	v_cndmask_b32_e64 v5, 0, v60, s[16:17]
	v_cndmask_b32_e64 v4, 0, v61, s[16:17]
	v_add_co_u32_e32 v92, vcc, v5, v46
	v_addc_co_u32_e32 v93, vcc, v4, v47, vcc
	v_cndmask_b32_e64 v5, 0, v92, s[14:15]
	v_cndmask_b32_e64 v4, 0, v93, s[14:15]
	v_add_co_u32_e32 v64, vcc, v5, v66
	v_addc_co_u32_e32 v65, vcc, v4, v67, vcc
	v_cndmask_b32_e64 v5, 0, v64, s[12:13]
	v_cndmask_b32_e64 v4, 0, v65, s[12:13]
	v_add_co_u32_e32 v96, vcc, v5, v54
	v_addc_co_u32_e32 v97, vcc, v4, v55, vcc
	v_cndmask_b32_e64 v5, 0, v96, s[10:11]
	v_cndmask_b32_e64 v4, 0, v97, s[10:11]
	v_add_co_u32_e32 v68, vcc, v5, v70
	v_addc_co_u32_e32 v69, vcc, v4, v71, vcc
	v_cndmask_b32_e64 v5, 0, v68, s[8:9]
	v_cndmask_b32_e64 v4, 0, v69, s[8:9]
	v_add_co_u32_e32 v100, vcc, v5, v62
	v_addc_co_u32_e32 v101, vcc, v4, v63, vcc
	v_cndmask_b32_e64 v5, 0, v100, s[44:45]
	v_cndmask_b32_e64 v4, 0, v101, s[44:45]
	v_add_co_u32_e32 v106, vcc, v5, v6
	v_addc_co_u32_e32 v107, vcc, v4, v7, vcc
	v_cndmask_b32_e64 v5, 0, v106, s[2:3]
	v_cndmask_b32_e64 v4, 0, v107, s[2:3]
	v_add_co_u32_e32 v108, vcc, v5, v16
	v_addc_co_u32_e32 v109, vcc, v4, v17, vcc
	s_load_dwordx2 s[44:45], s[4:5], 0x20
	s_branch .LBB914_198
.LBB914_176:
                                        ; implicit-def: $vgpr100_vgpr101_vgpr102_vgpr103
                                        ; implicit-def: $vgpr108_vgpr109
                                        ; implicit-def: $vgpr106_vgpr107
                                        ; implicit-def: $vgpr68_vgpr69
                                        ; implicit-def: $vgpr64_vgpr65
                                        ; implicit-def: $vgpr60_vgpr61
                                        ; implicit-def: $vgpr56_vgpr57
                                        ; implicit-def: $vgpr52_vgpr53
                                        ; implicit-def: $vgpr48_vgpr49
                                        ; implicit-def: $vgpr44_vgpr45
                                        ; implicit-def: $vgpr40_vgpr41
                                        ; implicit-def: $vgpr96_vgpr97_vgpr98_vgpr99
                                        ; implicit-def: $vgpr92_vgpr93_vgpr94_vgpr95
                                        ; implicit-def: $vgpr88_vgpr89_vgpr90_vgpr91
                                        ; implicit-def: $vgpr84_vgpr85_vgpr86_vgpr87
                                        ; implicit-def: $vgpr80_vgpr81_vgpr82_vgpr83
                                        ; implicit-def: $vgpr76_vgpr77_vgpr78_vgpr79
                                        ; implicit-def: $vgpr72_vgpr73_vgpr74_vgpr75
                                        ; implicit-def: $vgpr102_vgpr103_vgpr104_vgpr105
	s_load_dwordx2 s[44:45], s[4:5], 0x20
	s_cbranch_execz .LBB914_198
; %bb.177:
	s_cmp_lg_u64 s[66:67], 0
	s_cselect_b32 s5, s59, 0
	s_cselect_b32 s4, s58, 0
	s_cmp_lg_u64 s[4:5], 0
	s_cselect_b64 s[6:7], -1, 0
	v_cmp_eq_u32_e32 vcc, 0, v0
	v_cmp_ne_u32_e64 s[2:3], 0, v0
	s_and_b64 s[8:9], vcc, s[6:7]
	s_and_saveexec_b64 s[6:7], s[8:9]
	s_cbranch_execz .LBB914_179
; %bb.178:
	s_waitcnt vmcnt(0)
	v_mov_b32_e32 v8, 0
	global_load_dwordx2 v[4:5], v8, s[4:5]
	global_load_ubyte v9, v8, s[4:5] offset:8
	v_cmp_eq_u16_sdwa s[4:5], v1, v8 src0_sel:BYTE_0 src1_sel:DWORD
	s_waitcnt vmcnt(1)
	v_cndmask_b32_e64 v4, 0, v4, s[4:5]
	v_cndmask_b32_e64 v5, 0, v5, s[4:5]
	s_waitcnt vmcnt(0)
	v_or_b32_e32 v1, v1, v9
	v_add_co_u32_e64 v2, s[4:5], v4, v2
	v_addc_co_u32_e64 v3, s[4:5], v5, v3, s[4:5]
	v_and_b32_e32 v1, 1, v1
.LBB914_179:
	s_or_b64 exec, exec, s[6:7]
	v_mov_b32_e32 v5, 0
	v_cmp_eq_u16_sdwa s[4:5], v112, v5 src0_sel:BYTE_0 src1_sel:DWORD
	s_waitcnt vmcnt(0)
	v_cndmask_b32_e64 v9, 0, v2, s[4:5]
	v_cndmask_b32_e64 v8, 0, v3, s[4:5]
	v_add_co_u32_e64 v40, s[6:7], v9, v14
	v_addc_co_u32_e64 v41, s[6:7], v8, v15, s[6:7]
	v_cmp_eq_u16_sdwa s[6:7], v111, v5 src0_sel:BYTE_0 src1_sel:DWORD
	v_cndmask_b32_e64 v9, 0, v40, s[6:7]
	v_cndmask_b32_e64 v8, 0, v41, s[6:7]
	v_add_co_u32_e64 v72, s[8:9], v9, v10
	v_addc_co_u32_e64 v73, s[8:9], v8, v11, s[8:9]
	v_cmp_eq_u16_sdwa s[8:9], v113, v5 src0_sel:BYTE_0 src1_sel:DWORD
	;; [unrolled: 5-line block ×17, first 2 shown]
	v_cndmask_b32_e64 v8, 0, v106, s[40:41]
	v_cndmask_b32_e64 v5, 0, v107, s[40:41]
	v_add_co_u32_e64 v108, s[42:43], v8, v16
	v_addc_co_u32_e64 v109, s[42:43], v5, v17, s[42:43]
	v_or_b32_e32 v5, v29, v125
	v_or_b32_e32 v5, v5, v124
	;; [unrolled: 1-line block ×15, first 2 shown]
	v_and_b32_e32 v5, 1, v5
	v_and_b32_e32 v4, 0xff, v1
	v_cmp_eq_u32_e64 s[42:43], 1, v5
	v_mbcnt_hi_u32_b32 v12, -1, v28
	v_cndmask_b32_e64 v13, v4, 1, s[42:43]
	v_and_b32_e32 v20, 15, v12
	v_mov_b32_dpp v24, v108 row_shr:1 row_mask:0xf bank_mask:0xf
	v_mov_b32_dpp v25, v109 row_shr:1 row_mask:0xf bank_mask:0xf
	v_mov_b32_dpp v21, v13 row_shr:1 row_mask:0xf bank_mask:0xf
	v_cmp_ne_u32_e64 s[42:43], 0, v20
	v_pk_mov_b32 v[4:5], v[108:109], v[108:109] op_sel:[0,1]
	v_mov_b32_e32 v9, v109
	v_mov_b32_e32 v8, v108
	s_and_saveexec_b64 s[46:47], s[42:43]
; %bb.180:
	v_cmp_eq_u32_e64 s[42:43], 0, v13
	v_cndmask_b32_e64 v4, 0, v24, s[42:43]
	v_cndmask_b32_e64 v5, 0, v25, s[42:43]
	v_add_co_u32_e64 v4, s[42:43], v108, v4
	v_addc_co_u32_e64 v5, s[42:43], v109, v5, s[42:43]
	v_and_or_b32 v13, v21, 1, v13
	v_mov_b32_e32 v9, v5
	v_mov_b32_e32 v8, v4
; %bb.181:
	s_or_b64 exec, exec, s[46:47]
	s_nop 0
	v_mov_b32_dpp v24, v8 row_shr:2 row_mask:0xf bank_mask:0xf
	v_mov_b32_dpp v25, v9 row_shr:2 row_mask:0xf bank_mask:0xf
	v_mov_b32_dpp v21, v13 row_shr:2 row_mask:0xf bank_mask:0xf
	v_cmp_lt_u32_e64 s[42:43], 1, v20
	s_and_saveexec_b64 s[46:47], s[42:43]
; %bb.182:
	v_cmp_eq_u32_e64 s[42:43], 0, v13
	v_cndmask_b32_e64 v8, 0, v24, s[42:43]
	v_cndmask_b32_e64 v9, 0, v25, s[42:43]
	v_add_co_u32_e64 v8, s[42:43], v8, v4
	v_addc_co_u32_e64 v9, s[42:43], v9, v5, s[42:43]
	v_or_b32_e32 v4, v21, v13
	v_and_b32_e32 v13, 1, v4
	v_pk_mov_b32 v[4:5], v[8:9], v[8:9] op_sel:[0,1]
; %bb.183:
	s_or_b64 exec, exec, s[46:47]
	v_mov_b32_dpp v24, v8 row_shr:4 row_mask:0xf bank_mask:0xf
	v_mov_b32_dpp v25, v9 row_shr:4 row_mask:0xf bank_mask:0xf
	v_mov_b32_dpp v21, v13 row_shr:4 row_mask:0xf bank_mask:0xf
	v_cmp_lt_u32_e64 s[42:43], 3, v20
	s_and_saveexec_b64 s[46:47], s[42:43]
; %bb.184:
	v_cmp_eq_u32_e64 s[42:43], 0, v13
	v_cndmask_b32_e64 v8, 0, v24, s[42:43]
	v_cndmask_b32_e64 v9, 0, v25, s[42:43]
	v_add_co_u32_e64 v8, s[42:43], v8, v4
	v_addc_co_u32_e64 v9, s[42:43], v9, v5, s[42:43]
	v_or_b32_e32 v4, v21, v13
	v_and_b32_e32 v13, 1, v4
	v_pk_mov_b32 v[4:5], v[8:9], v[8:9] op_sel:[0,1]
; %bb.185:
	s_or_b64 exec, exec, s[46:47]
	;; [unrolled: 16-line block ×3, first 2 shown]
	v_and_b32_e32 v25, 16, v12
	v_mov_b32_dpp v21, v8 row_bcast:15 row_mask:0xf bank_mask:0xf
	v_mov_b32_dpp v24, v9 row_bcast:15 row_mask:0xf bank_mask:0xf
	;; [unrolled: 1-line block ×3, first 2 shown]
	v_cmp_ne_u32_e64 s[42:43], 0, v25
	s_and_saveexec_b64 s[46:47], s[42:43]
; %bb.188:
	v_cmp_eq_u32_e64 s[42:43], 0, v13
	v_cndmask_b32_e64 v9, 0, v21, s[42:43]
	v_cndmask_b32_e64 v8, 0, v24, s[42:43]
	v_add_co_u32_e64 v4, s[42:43], v9, v4
	v_addc_co_u32_e64 v5, s[42:43], v8, v5, s[42:43]
	v_or_b32_e32 v8, v20, v13
	v_and_b32_e32 v13, 1, v8
	v_mov_b32_e32 v9, v5
	v_mov_b32_e32 v8, v4
; %bb.189:
	s_or_b64 exec, exec, s[46:47]
	s_nop 0
	v_mov_b32_dpp v20, v8 row_bcast:31 row_mask:0xf bank_mask:0xf
	v_mov_b32_dpp v9, v9 row_bcast:31 row_mask:0xf bank_mask:0xf
	;; [unrolled: 1-line block ×3, first 2 shown]
	v_cmp_lt_u32_e64 s[42:43], 31, v12
	s_and_saveexec_b64 s[46:47], s[42:43]
; %bb.190:
	v_cmp_eq_u32_e64 s[42:43], 0, v13
	v_cndmask_b32_e64 v20, 0, v20, s[42:43]
	v_cndmask_b32_e64 v9, 0, v9, s[42:43]
	v_add_co_u32_e64 v4, s[42:43], v20, v4
	v_or_b32_e32 v8, v8, v13
	v_addc_co_u32_e64 v5, s[42:43], v9, v5, s[42:43]
	v_and_b32_e32 v13, 1, v8
; %bb.191:
	s_or_b64 exec, exec, s[46:47]
	v_cmp_eq_u32_e64 s[42:43], 63, v0
	s_and_saveexec_b64 s[46:47], s[42:43]
	s_cbranch_execz .LBB914_193
; %bb.192:
	v_mov_b32_e32 v8, 0
	ds_write_b64 v8, v[4:5]
	ds_write_b8 v8, v13 offset:8
.LBB914_193:
	s_or_b64 exec, exec, s[46:47]
	v_add_u32_e32 v8, -1, v12
	v_and_b32_e32 v9, 64, v12
	v_cmp_lt_i32_e64 s[42:43], v8, v9
	v_cndmask_b32_e64 v8, v8, v12, s[42:43]
	v_lshlrev_b32_e32 v8, 2, v8
	ds_bpermute_b32 v4, v8, v4
	ds_bpermute_b32 v5, v8, v5
	s_waitcnt lgkmcnt(0)
	; wave barrier
	s_waitcnt lgkmcnt(0)
	s_and_saveexec_b64 s[42:43], s[2:3]
	s_cbranch_execz .LBB914_195
; %bb.194:
	v_mov_b32_e32 v8, 0
	v_cmp_eq_u16_sdwa s[2:3], v1, v8 src0_sel:BYTE_0 src1_sel:DWORD
	v_cndmask_b32_e64 v4, 0, v4, s[2:3]
	v_cndmask_b32_e64 v1, 0, v5, s[2:3]
	v_add_co_u32_e64 v2, s[2:3], v4, v2
	v_addc_co_u32_e64 v3, s[2:3], v1, v3, s[2:3]
	v_cndmask_b32_e64 v4, 0, v2, s[4:5]
	v_cndmask_b32_e64 v1, 0, v3, s[4:5]
	v_add_co_u32_e64 v40, s[2:3], v4, v14
	v_addc_co_u32_e64 v41, s[2:3], v1, v15, s[2:3]
	;; [unrolled: 4-line block ×19, first 2 shown]
	;;#ASMSTART
	;;#ASMEND
.LBB914_195:
	s_or_b64 exec, exec, s[42:43]
	s_and_saveexec_b64 s[2:3], vcc
	s_cbranch_execz .LBB914_197
; %bb.196:
	v_mov_b32_e32 v1, 0
	ds_read_b64 v[4:5], v1
	ds_read_u8 v6, v1 offset:8
	v_mov_b32_e32 v7, 2
	s_waitcnt lgkmcnt(1)
	global_store_dwordx2 v1, v[4:5], s[50:51] offset:1024
	s_waitcnt lgkmcnt(0)
	global_store_byte v1, v6, s[50:51] offset:1032
	s_waitcnt vmcnt(0)
	buffer_wbinvl1_vol
	global_store_byte v1, v7, s[52:53] offset:64
.LBB914_197:
	s_or_b64 exec, exec, s[2:3]
	v_pk_mov_b32 v[102:103], v[2:3], v[2:3] op_sel:[0,1]
.LBB914_198:
	s_waitcnt lgkmcnt(0)
	s_add_u32 s2, s44, s64
	s_addc_u32 s3, s45, s65
	s_add_u32 s4, s2, s60
	s_addc_u32 s5, s3, s61
	s_and_b64 vcc, exec, s[0:1]
	s_cbranch_vccz .LBB914_236
; %bb.199:
	s_movk_i32 s0, 0x98
	v_mul_i32_i24_e32 v43, 0xffffff70, v0
	v_mul_u32_u24_e32 v42, 0x98, v0
	v_mad_u32_u24 v2, v0, s0, v43
	s_waitcnt lgkmcnt(0)
	; wave barrier
	ds_write2_b64 v42, v[102:103], v[40:41] offset1:1
	ds_write2_b64 v42, v[72:73], v[44:45] offset0:2 offset1:3
	ds_write2_b64 v42, v[76:77], v[48:49] offset0:4 offset1:5
	;; [unrolled: 1-line block ×8, first 2 shown]
	ds_write_b64 v42, v[108:109] offset:144
	s_waitcnt lgkmcnt(0)
	; wave barrier
	s_waitcnt lgkmcnt(0)
	ds_read2st64_b64 v[34:37], v2 offset0:1 offset1:2
	ds_read2st64_b64 v[30:33], v2 offset0:3 offset1:4
	;; [unrolled: 1-line block ×7, first 2 shown]
	s_waitcnt vmcnt(0)
	ds_read2st64_b64 v[6:9], v2 offset0:15 offset1:16
	ds_read2st64_b64 v[2:5], v2 offset0:17 offset1:18
	v_mov_b32_e32 v39, s5
	v_add_co_u32_e32 v38, vcc, s4, v127
	s_add_i32 s33, s33, s54
	v_addc_co_u32_e32 v39, vcc, 0, v39, vcc
	v_mov_b32_e32 v1, 0
	v_cmp_gt_u32_e32 vcc, s33, v0
	s_and_saveexec_b64 s[0:1], vcc
	s_cbranch_execz .LBB914_201
; %bb.200:
	v_add_u32_e32 v42, v42, v43
	ds_read_b64 v[42:43], v42
	s_waitcnt lgkmcnt(0)
	flat_store_dwordx2 v[38:39], v[42:43]
.LBB914_201:
	s_or_b64 exec, exec, s[0:1]
	v_or_b32_e32 v42, 64, v0
	v_cmp_gt_u32_e32 vcc, s33, v42
	s_and_saveexec_b64 s[0:1], vcc
	s_cbranch_execz .LBB914_203
; %bb.202:
	s_waitcnt lgkmcnt(0)
	flat_store_dwordx2 v[38:39], v[34:35] offset:512
.LBB914_203:
	s_or_b64 exec, exec, s[0:1]
	s_waitcnt lgkmcnt(0)
	v_or_b32_e32 v34, 0x80, v0
	v_cmp_gt_u32_e32 vcc, s33, v34
	s_and_saveexec_b64 s[0:1], vcc
	s_cbranch_execz .LBB914_205
; %bb.204:
	flat_store_dwordx2 v[38:39], v[36:37] offset:1024
.LBB914_205:
	s_or_b64 exec, exec, s[0:1]
	v_or_b32_e32 v34, 0xc0, v0
	v_cmp_gt_u32_e32 vcc, s33, v34
	s_and_saveexec_b64 s[0:1], vcc
	s_cbranch_execz .LBB914_207
; %bb.206:
	flat_store_dwordx2 v[38:39], v[30:31] offset:1536
.LBB914_207:
	s_or_b64 exec, exec, s[0:1]
	;; [unrolled: 8-line block ×6, first 2 shown]
	v_or_b32_e32 v22, 0x200, v0
	v_cmp_gt_u32_e32 vcc, s33, v22
	s_and_saveexec_b64 s[0:1], vcc
	s_cbranch_execz .LBB914_217
; %bb.216:
	v_add_co_u32_e32 v22, vcc, 0x1000, v38
	v_addc_co_u32_e32 v23, vcc, 0, v39, vcc
	flat_store_dwordx2 v[22:23], v[24:25]
.LBB914_217:
	s_or_b64 exec, exec, s[0:1]
	v_or_b32_e32 v22, 0x240, v0
	v_cmp_gt_u32_e32 vcc, s33, v22
	s_and_saveexec_b64 s[0:1], vcc
	s_cbranch_execz .LBB914_219
; %bb.218:
	v_add_co_u32_e32 v22, vcc, 0x1000, v38
	v_addc_co_u32_e32 v23, vcc, 0, v39, vcc
	flat_store_dwordx2 v[22:23], v[18:19] offset:512
.LBB914_219:
	s_or_b64 exec, exec, s[0:1]
	v_or_b32_e32 v18, 0x280, v0
	v_cmp_gt_u32_e32 vcc, s33, v18
	s_and_saveexec_b64 s[0:1], vcc
	s_cbranch_execz .LBB914_221
; %bb.220:
	v_add_co_u32_e32 v18, vcc, 0x1000, v38
	v_addc_co_u32_e32 v19, vcc, 0, v39, vcc
	flat_store_dwordx2 v[18:19], v[20:21] offset:1024
.LBB914_221:
	;; [unrolled: 10-line block ×7, first 2 shown]
	s_or_b64 exec, exec, s[0:1]
	v_or_b32_e32 v6, 0x400, v0
	v_cmp_gt_u32_e32 vcc, s33, v6
	s_and_saveexec_b64 s[0:1], vcc
	s_cbranch_execz .LBB914_233
; %bb.232:
	v_add_co_u32_e32 v6, vcc, 0x2000, v38
	v_addc_co_u32_e32 v7, vcc, 0, v39, vcc
	flat_store_dwordx2 v[6:7], v[8:9]
.LBB914_233:
	s_or_b64 exec, exec, s[0:1]
	v_or_b32_e32 v6, 0x440, v0
	v_cmp_gt_u32_e32 vcc, s33, v6
	s_and_saveexec_b64 s[0:1], vcc
	s_cbranch_execz .LBB914_235
; %bb.234:
	v_add_co_u32_e32 v6, vcc, 0x2000, v38
	v_addc_co_u32_e32 v7, vcc, 0, v39, vcc
	flat_store_dwordx2 v[6:7], v[2:3] offset:512
.LBB914_235:
	s_or_b64 exec, exec, s[0:1]
	v_or_b32_e32 v2, 0x480, v0
	v_cmp_gt_u32_e64 s[0:1], s33, v2
	s_branch .LBB914_238
.LBB914_236:
	s_mov_b64 s[0:1], 0
                                        ; implicit-def: $vgpr4_vgpr5
	s_cbranch_execz .LBB914_238
; %bb.237:
	s_movk_i32 s2, 0x98
	v_mul_i32_i24_e32 v2, 0xffffff70, v0
	v_mul_u32_u24_e32 v1, 0x98, v0
	v_mad_u32_u24 v2, v0, s2, v2
	s_waitcnt lgkmcnt(0)
	; wave barrier
	s_waitcnt lgkmcnt(0)
	ds_write2_b64 v1, v[102:103], v[40:41] offset1:1
	ds_write2_b64 v1, v[72:73], v[44:45] offset0:2 offset1:3
	ds_write2_b64 v1, v[76:77], v[48:49] offset0:4 offset1:5
	ds_write2_b64 v1, v[80:81], v[52:53] offset0:6 offset1:7
	ds_write2_b64 v1, v[84:85], v[56:57] offset0:8 offset1:9
	ds_write2_b64 v1, v[88:89], v[60:61] offset0:10 offset1:11
	ds_write2_b64 v1, v[92:93], v[64:65] offset0:12 offset1:13
	ds_write2_b64 v1, v[96:97], v[68:69] offset0:14 offset1:15
	ds_write2_b64 v1, v[100:101], v[106:107] offset0:16 offset1:17
	ds_write_b64 v1, v[108:109] offset:144
	s_waitcnt lgkmcnt(0)
	; wave barrier
	s_waitcnt vmcnt(0) lgkmcnt(0)
	ds_read2st64_b64 v[6:9], v2 offset1:1
	ds_read2st64_b64 v[10:13], v2 offset0:2 offset1:3
	ds_read2st64_b64 v[14:17], v2 offset0:4 offset1:5
	;; [unrolled: 1-line block ×8, first 2 shown]
	ds_read_b64 v[4:5], v2 offset:9216
	v_mov_b32_e32 v3, s5
	v_add_co_u32_e32 v2, vcc, s4, v127
	v_addc_co_u32_e32 v3, vcc, 0, v3, vcc
	s_movk_i32 s2, 0x1000
	s_waitcnt lgkmcnt(9)
	flat_store_dwordx2 v[2:3], v[6:7]
	flat_store_dwordx2 v[2:3], v[8:9] offset:512
	s_waitcnt lgkmcnt(0)
	flat_store_dwordx2 v[2:3], v[10:11] offset:1024
	flat_store_dwordx2 v[2:3], v[12:13] offset:1536
	;; [unrolled: 1-line block ×6, first 2 shown]
	v_add_co_u32_e32 v6, vcc, s2, v2
	v_addc_co_u32_e32 v7, vcc, 0, v3, vcc
	v_add_co_u32_e32 v2, vcc, 0x2000, v2
	v_mov_b32_e32 v1, 0
	v_addc_co_u32_e32 v3, vcc, 0, v3, vcc
	s_or_b64 s[0:1], s[0:1], exec
	flat_store_dwordx2 v[6:7], v[22:23]
	flat_store_dwordx2 v[6:7], v[24:25] offset:512
	flat_store_dwordx2 v[6:7], v[26:27] offset:1024
	;; [unrolled: 1-line block ×7, first 2 shown]
	flat_store_dwordx2 v[2:3], v[38:39]
	flat_store_dwordx2 v[2:3], v[40:41] offset:512
.LBB914_238:
	s_and_saveexec_b64 s[2:3], s[0:1]
	s_cbranch_execnz .LBB914_240
; %bb.239:
	s_endpgm
.LBB914_240:
	v_lshlrev_b64 v[0:1], 3, v[0:1]
	v_mov_b32_e32 v2, s5
	v_add_co_u32_e32 v0, vcc, s4, v0
	v_addc_co_u32_e32 v1, vcc, v2, v1, vcc
	v_add_co_u32_e32 v0, vcc, 0x2000, v0
	v_addc_co_u32_e32 v1, vcc, 0, v1, vcc
	flat_store_dwordx2 v[0:1], v[4:5] offset:1024
	s_endpgm
.LBB914_241:
	global_load_dwordx2 v[2:3], v51, s[46:47]
	s_waitcnt vmcnt(0)
	v_sub_co_u32_e32 v2, vcc, 0, v2
	v_subb_co_u32_e32 v3, vcc, 0, v3, vcc
	s_or_b64 exec, exec, s[56:57]
                                        ; implicit-def: $vgpr6_vgpr7
	s_and_saveexec_b64 s[2:3], s[44:45]
	s_cbranch_execz .LBB914_47
.LBB914_242:
	global_load_dwordx2 v[6:7], v51, s[46:47] offset:512
	s_waitcnt vmcnt(0)
	v_sub_co_u32_e32 v6, vcc, 0, v6
	v_subb_co_u32_e32 v7, vcc, 0, v7, vcc
	s_or_b64 exec, exec, s[2:3]
                                        ; implicit-def: $vgpr10_vgpr11
	s_and_saveexec_b64 s[2:3], s[8:9]
	s_cbranch_execz .LBB914_48
.LBB914_243:
	global_load_dwordx2 v[10:11], v51, s[46:47] offset:1024
	s_waitcnt vmcnt(0)
	v_sub_co_u32_e32 v10, vcc, 0, v10
	v_subb_co_u32_e32 v11, vcc, 0, v11, vcc
	s_or_b64 exec, exec, s[2:3]
                                        ; implicit-def: $vgpr12_vgpr13
	s_and_saveexec_b64 s[2:3], s[10:11]
	s_cbranch_execz .LBB914_49
.LBB914_244:
	global_load_dwordx2 v[12:13], v51, s[46:47] offset:1536
	s_waitcnt vmcnt(0)
	v_sub_co_u32_e32 v12, vcc, 0, v12
	v_subb_co_u32_e32 v13, vcc, 0, v13, vcc
	s_or_b64 exec, exec, s[2:3]
                                        ; implicit-def: $vgpr14_vgpr15
	s_and_saveexec_b64 s[2:3], s[12:13]
	s_cbranch_execz .LBB914_50
.LBB914_245:
	global_load_dwordx2 v[14:15], v51, s[46:47] offset:2048
	s_waitcnt vmcnt(0)
	v_sub_co_u32_e32 v14, vcc, 0, v14
	v_subb_co_u32_e32 v15, vcc, 0, v15, vcc
	s_or_b64 exec, exec, s[2:3]
                                        ; implicit-def: $vgpr16_vgpr17
	s_and_saveexec_b64 s[2:3], s[14:15]
	s_cbranch_execz .LBB914_51
.LBB914_246:
	global_load_dwordx2 v[16:17], v51, s[46:47] offset:2560
	s_waitcnt vmcnt(0)
	v_sub_co_u32_e32 v16, vcc, 0, v16
	v_subb_co_u32_e32 v17, vcc, 0, v17, vcc
	s_or_b64 exec, exec, s[2:3]
                                        ; implicit-def: $vgpr18_vgpr19
	s_and_saveexec_b64 s[2:3], s[16:17]
	s_cbranch_execz .LBB914_52
.LBB914_247:
	global_load_dwordx2 v[18:19], v51, s[46:47] offset:3072
	s_waitcnt vmcnt(0)
	v_sub_co_u32_e32 v18, vcc, 0, v18
	v_subb_co_u32_e32 v19, vcc, 0, v19, vcc
	s_or_b64 exec, exec, s[2:3]
                                        ; implicit-def: $vgpr20_vgpr21
	s_and_saveexec_b64 s[2:3], s[18:19]
	s_cbranch_execz .LBB914_53
.LBB914_248:
	global_load_dwordx2 v[20:21], v51, s[46:47] offset:3584
	s_waitcnt vmcnt(0)
	v_sub_co_u32_e32 v20, vcc, 0, v20
	v_subb_co_u32_e32 v21, vcc, 0, v21, vcc
	s_or_b64 exec, exec, s[2:3]
                                        ; implicit-def: $vgpr22_vgpr23
	s_and_saveexec_b64 s[2:3], s[20:21]
	s_cbranch_execz .LBB914_54
.LBB914_249:
	v_lshlrev_b32_e32 v1, 3, v1
	global_load_dwordx2 v[22:23], v1, s[46:47]
	s_waitcnt vmcnt(0)
	v_sub_co_u32_e32 v22, vcc, 0, v22
	v_subb_co_u32_e32 v23, vcc, 0, v23, vcc
	s_or_b64 exec, exec, s[2:3]
                                        ; implicit-def: $vgpr24_vgpr25
	s_and_saveexec_b64 s[2:3], s[22:23]
	s_cbranch_execz .LBB914_55
.LBB914_250:
	v_lshlrev_b32_e32 v1, 3, v40
	global_load_dwordx2 v[24:25], v1, s[46:47]
	s_waitcnt vmcnt(0)
	v_sub_co_u32_e32 v24, vcc, 0, v24
	v_subb_co_u32_e32 v25, vcc, 0, v25, vcc
	s_or_b64 exec, exec, s[2:3]
                                        ; implicit-def: $vgpr26_vgpr27
	s_and_saveexec_b64 s[2:3], s[24:25]
	s_cbranch_execz .LBB914_56
.LBB914_251:
	v_lshlrev_b32_e32 v1, 3, v41
	global_load_dwordx2 v[26:27], v1, s[46:47]
	s_waitcnt vmcnt(0)
	v_sub_co_u32_e32 v26, vcc, 0, v26
	v_subb_co_u32_e32 v27, vcc, 0, v27, vcc
	s_or_b64 exec, exec, s[2:3]
                                        ; implicit-def: $vgpr28_vgpr29
	s_and_saveexec_b64 s[2:3], s[26:27]
	s_cbranch_execz .LBB914_57
.LBB914_252:
	v_lshlrev_b32_e32 v1, 3, v42
	global_load_dwordx2 v[28:29], v1, s[46:47]
	s_waitcnt vmcnt(0)
	v_sub_co_u32_e32 v28, vcc, 0, v28
	v_subb_co_u32_e32 v29, vcc, 0, v29, vcc
	s_or_b64 exec, exec, s[2:3]
                                        ; implicit-def: $vgpr30_vgpr31
	s_and_saveexec_b64 s[2:3], s[28:29]
	s_cbranch_execz .LBB914_58
.LBB914_253:
	v_lshlrev_b32_e32 v1, 3, v43
	global_load_dwordx2 v[30:31], v1, s[46:47]
	s_waitcnt vmcnt(0)
	v_sub_co_u32_e32 v30, vcc, 0, v30
	v_subb_co_u32_e32 v31, vcc, 0, v31, vcc
	s_or_b64 exec, exec, s[2:3]
                                        ; implicit-def: $vgpr32_vgpr33
	s_and_saveexec_b64 s[2:3], s[30:31]
	s_cbranch_execz .LBB914_59
.LBB914_254:
	v_lshlrev_b32_e32 v1, 3, v44
	global_load_dwordx2 v[32:33], v1, s[46:47]
	s_waitcnt vmcnt(0)
	v_sub_co_u32_e32 v32, vcc, 0, v32
	v_subb_co_u32_e32 v33, vcc, 0, v33, vcc
	s_or_b64 exec, exec, s[2:3]
                                        ; implicit-def: $vgpr34_vgpr35
	s_and_saveexec_b64 s[2:3], s[34:35]
	s_cbranch_execz .LBB914_60
.LBB914_255:
	v_lshlrev_b32_e32 v1, 3, v45
	global_load_dwordx2 v[34:35], v1, s[46:47]
	s_waitcnt vmcnt(0)
	v_sub_co_u32_e32 v34, vcc, 0, v34
	v_subb_co_u32_e32 v35, vcc, 0, v35, vcc
	s_or_b64 exec, exec, s[2:3]
                                        ; implicit-def: $vgpr36_vgpr37
	s_and_saveexec_b64 s[2:3], s[36:37]
	s_cbranch_execz .LBB914_61
.LBB914_256:
	v_lshlrev_b32_e32 v1, 3, v46
	global_load_dwordx2 v[36:37], v1, s[46:47]
	s_waitcnt vmcnt(0)
	v_sub_co_u32_e32 v36, vcc, 0, v36
	v_subb_co_u32_e32 v37, vcc, 0, v37, vcc
	s_or_b64 exec, exec, s[2:3]
                                        ; implicit-def: $vgpr38_vgpr39
	s_and_saveexec_b64 s[2:3], s[38:39]
	s_cbranch_execz .LBB914_62
.LBB914_257:
	v_lshlrev_b32_e32 v1, 3, v47
	global_load_dwordx2 v[38:39], v1, s[46:47]
	s_waitcnt vmcnt(0)
	v_sub_co_u32_e32 v38, vcc, 0, v38
	v_subb_co_u32_e32 v39, vcc, 0, v39, vcc
	s_or_b64 exec, exec, s[2:3]
                                        ; implicit-def: $vgpr40_vgpr41
	s_and_saveexec_b64 s[2:3], s[40:41]
	s_cbranch_execz .LBB914_63
.LBB914_258:
	v_lshlrev_b32_e32 v1, 3, v49
	global_load_dwordx2 v[40:41], v1, s[46:47]
	s_waitcnt vmcnt(0)
	v_sub_co_u32_e32 v40, vcc, 0, v40
	v_subb_co_u32_e32 v41, vcc, 0, v41, vcc
	s_or_b64 exec, exec, s[2:3]
                                        ; implicit-def: $vgpr42_vgpr43
	s_and_saveexec_b64 s[2:3], s[42:43]
	s_cbranch_execnz .LBB914_64
	s_branch .LBB914_65
.LBB914_259:
                                        ; implicit-def: $sgpr56_sgpr57
	s_branch .LBB914_42
.LBB914_260:
                                        ; implicit-def: $sgpr2_sgpr3
	s_branch .LBB914_106
	.section	.rodata,"a",@progbits
	.p2align	6, 0x0
	.amdhsa_kernel _ZN7rocprim17ROCPRIM_400000_NS6detail17trampoline_kernelINS0_14default_configENS1_27scan_by_key_config_selectorIxxEEZZNS1_16scan_by_key_implILNS1_25lookback_scan_determinismE0ELb0ES3_N6thrust23THRUST_200600_302600_NS6detail15normal_iteratorINS9_10device_ptrIxEEEENS9_18transform_iteratorINS9_6negateIxEESE_NS9_11use_defaultESI_EESE_xNS9_4plusIvEENS9_8equal_toIvEExEE10hipError_tPvRmT2_T3_T4_T5_mT6_T7_P12ihipStream_tbENKUlT_T0_E_clISt17integral_constantIbLb1EES13_IbLb0EEEEDaSZ_S10_EUlSZ_E_NS1_11comp_targetILNS1_3genE4ELNS1_11target_archE910ELNS1_3gpuE8ELNS1_3repE0EEENS1_30default_config_static_selectorELNS0_4arch9wavefront6targetE1EEEvT1_
		.amdhsa_group_segment_fixed_size 10752
		.amdhsa_private_segment_fixed_size 0
		.amdhsa_kernarg_size 144
		.amdhsa_user_sgpr_count 6
		.amdhsa_user_sgpr_private_segment_buffer 1
		.amdhsa_user_sgpr_dispatch_ptr 0
		.amdhsa_user_sgpr_queue_ptr 0
		.amdhsa_user_sgpr_kernarg_segment_ptr 1
		.amdhsa_user_sgpr_dispatch_id 0
		.amdhsa_user_sgpr_flat_scratch_init 0
		.amdhsa_user_sgpr_kernarg_preload_length 0
		.amdhsa_user_sgpr_kernarg_preload_offset 0
		.amdhsa_user_sgpr_private_segment_size 0
		.amdhsa_uses_dynamic_stack 0
		.amdhsa_system_sgpr_private_segment_wavefront_offset 0
		.amdhsa_system_sgpr_workgroup_id_x 1
		.amdhsa_system_sgpr_workgroup_id_y 0
		.amdhsa_system_sgpr_workgroup_id_z 0
		.amdhsa_system_sgpr_workgroup_info 0
		.amdhsa_system_vgpr_workitem_id 0
		.amdhsa_next_free_vgpr 128
		.amdhsa_next_free_sgpr 78
		.amdhsa_accum_offset 128
		.amdhsa_reserve_vcc 1
		.amdhsa_reserve_flat_scratch 0
		.amdhsa_float_round_mode_32 0
		.amdhsa_float_round_mode_16_64 0
		.amdhsa_float_denorm_mode_32 3
		.amdhsa_float_denorm_mode_16_64 3
		.amdhsa_dx10_clamp 1
		.amdhsa_ieee_mode 1
		.amdhsa_fp16_overflow 0
		.amdhsa_tg_split 0
		.amdhsa_exception_fp_ieee_invalid_op 0
		.amdhsa_exception_fp_denorm_src 0
		.amdhsa_exception_fp_ieee_div_zero 0
		.amdhsa_exception_fp_ieee_overflow 0
		.amdhsa_exception_fp_ieee_underflow 0
		.amdhsa_exception_fp_ieee_inexact 0
		.amdhsa_exception_int_div_zero 0
	.end_amdhsa_kernel
	.section	.text._ZN7rocprim17ROCPRIM_400000_NS6detail17trampoline_kernelINS0_14default_configENS1_27scan_by_key_config_selectorIxxEEZZNS1_16scan_by_key_implILNS1_25lookback_scan_determinismE0ELb0ES3_N6thrust23THRUST_200600_302600_NS6detail15normal_iteratorINS9_10device_ptrIxEEEENS9_18transform_iteratorINS9_6negateIxEESE_NS9_11use_defaultESI_EESE_xNS9_4plusIvEENS9_8equal_toIvEExEE10hipError_tPvRmT2_T3_T4_T5_mT6_T7_P12ihipStream_tbENKUlT_T0_E_clISt17integral_constantIbLb1EES13_IbLb0EEEEDaSZ_S10_EUlSZ_E_NS1_11comp_targetILNS1_3genE4ELNS1_11target_archE910ELNS1_3gpuE8ELNS1_3repE0EEENS1_30default_config_static_selectorELNS0_4arch9wavefront6targetE1EEEvT1_,"axG",@progbits,_ZN7rocprim17ROCPRIM_400000_NS6detail17trampoline_kernelINS0_14default_configENS1_27scan_by_key_config_selectorIxxEEZZNS1_16scan_by_key_implILNS1_25lookback_scan_determinismE0ELb0ES3_N6thrust23THRUST_200600_302600_NS6detail15normal_iteratorINS9_10device_ptrIxEEEENS9_18transform_iteratorINS9_6negateIxEESE_NS9_11use_defaultESI_EESE_xNS9_4plusIvEENS9_8equal_toIvEExEE10hipError_tPvRmT2_T3_T4_T5_mT6_T7_P12ihipStream_tbENKUlT_T0_E_clISt17integral_constantIbLb1EES13_IbLb0EEEEDaSZ_S10_EUlSZ_E_NS1_11comp_targetILNS1_3genE4ELNS1_11target_archE910ELNS1_3gpuE8ELNS1_3repE0EEENS1_30default_config_static_selectorELNS0_4arch9wavefront6targetE1EEEvT1_,comdat
.Lfunc_end914:
	.size	_ZN7rocprim17ROCPRIM_400000_NS6detail17trampoline_kernelINS0_14default_configENS1_27scan_by_key_config_selectorIxxEEZZNS1_16scan_by_key_implILNS1_25lookback_scan_determinismE0ELb0ES3_N6thrust23THRUST_200600_302600_NS6detail15normal_iteratorINS9_10device_ptrIxEEEENS9_18transform_iteratorINS9_6negateIxEESE_NS9_11use_defaultESI_EESE_xNS9_4plusIvEENS9_8equal_toIvEExEE10hipError_tPvRmT2_T3_T4_T5_mT6_T7_P12ihipStream_tbENKUlT_T0_E_clISt17integral_constantIbLb1EES13_IbLb0EEEEDaSZ_S10_EUlSZ_E_NS1_11comp_targetILNS1_3genE4ELNS1_11target_archE910ELNS1_3gpuE8ELNS1_3repE0EEENS1_30default_config_static_selectorELNS0_4arch9wavefront6targetE1EEEvT1_, .Lfunc_end914-_ZN7rocprim17ROCPRIM_400000_NS6detail17trampoline_kernelINS0_14default_configENS1_27scan_by_key_config_selectorIxxEEZZNS1_16scan_by_key_implILNS1_25lookback_scan_determinismE0ELb0ES3_N6thrust23THRUST_200600_302600_NS6detail15normal_iteratorINS9_10device_ptrIxEEEENS9_18transform_iteratorINS9_6negateIxEESE_NS9_11use_defaultESI_EESE_xNS9_4plusIvEENS9_8equal_toIvEExEE10hipError_tPvRmT2_T3_T4_T5_mT6_T7_P12ihipStream_tbENKUlT_T0_E_clISt17integral_constantIbLb1EES13_IbLb0EEEEDaSZ_S10_EUlSZ_E_NS1_11comp_targetILNS1_3genE4ELNS1_11target_archE910ELNS1_3gpuE8ELNS1_3repE0EEENS1_30default_config_static_selectorELNS0_4arch9wavefront6targetE1EEEvT1_
                                        ; -- End function
	.section	.AMDGPU.csdata,"",@progbits
; Kernel info:
; codeLenInByte = 15248
; NumSgprs: 82
; NumVgprs: 128
; NumAgprs: 0
; TotalNumVgprs: 128
; ScratchSize: 0
; MemoryBound: 0
; FloatMode: 240
; IeeeMode: 1
; LDSByteSize: 10752 bytes/workgroup (compile time only)
; SGPRBlocks: 10
; VGPRBlocks: 15
; NumSGPRsForWavesPerEU: 82
; NumVGPRsForWavesPerEU: 128
; AccumOffset: 128
; Occupancy: 2
; WaveLimiterHint : 1
; COMPUTE_PGM_RSRC2:SCRATCH_EN: 0
; COMPUTE_PGM_RSRC2:USER_SGPR: 6
; COMPUTE_PGM_RSRC2:TRAP_HANDLER: 0
; COMPUTE_PGM_RSRC2:TGID_X_EN: 1
; COMPUTE_PGM_RSRC2:TGID_Y_EN: 0
; COMPUTE_PGM_RSRC2:TGID_Z_EN: 0
; COMPUTE_PGM_RSRC2:TIDIG_COMP_CNT: 0
; COMPUTE_PGM_RSRC3_GFX90A:ACCUM_OFFSET: 31
; COMPUTE_PGM_RSRC3_GFX90A:TG_SPLIT: 0
	.section	.text._ZN7rocprim17ROCPRIM_400000_NS6detail17trampoline_kernelINS0_14default_configENS1_27scan_by_key_config_selectorIxxEEZZNS1_16scan_by_key_implILNS1_25lookback_scan_determinismE0ELb0ES3_N6thrust23THRUST_200600_302600_NS6detail15normal_iteratorINS9_10device_ptrIxEEEENS9_18transform_iteratorINS9_6negateIxEESE_NS9_11use_defaultESI_EESE_xNS9_4plusIvEENS9_8equal_toIvEExEE10hipError_tPvRmT2_T3_T4_T5_mT6_T7_P12ihipStream_tbENKUlT_T0_E_clISt17integral_constantIbLb1EES13_IbLb0EEEEDaSZ_S10_EUlSZ_E_NS1_11comp_targetILNS1_3genE3ELNS1_11target_archE908ELNS1_3gpuE7ELNS1_3repE0EEENS1_30default_config_static_selectorELNS0_4arch9wavefront6targetE1EEEvT1_,"axG",@progbits,_ZN7rocprim17ROCPRIM_400000_NS6detail17trampoline_kernelINS0_14default_configENS1_27scan_by_key_config_selectorIxxEEZZNS1_16scan_by_key_implILNS1_25lookback_scan_determinismE0ELb0ES3_N6thrust23THRUST_200600_302600_NS6detail15normal_iteratorINS9_10device_ptrIxEEEENS9_18transform_iteratorINS9_6negateIxEESE_NS9_11use_defaultESI_EESE_xNS9_4plusIvEENS9_8equal_toIvEExEE10hipError_tPvRmT2_T3_T4_T5_mT6_T7_P12ihipStream_tbENKUlT_T0_E_clISt17integral_constantIbLb1EES13_IbLb0EEEEDaSZ_S10_EUlSZ_E_NS1_11comp_targetILNS1_3genE3ELNS1_11target_archE908ELNS1_3gpuE7ELNS1_3repE0EEENS1_30default_config_static_selectorELNS0_4arch9wavefront6targetE1EEEvT1_,comdat
	.protected	_ZN7rocprim17ROCPRIM_400000_NS6detail17trampoline_kernelINS0_14default_configENS1_27scan_by_key_config_selectorIxxEEZZNS1_16scan_by_key_implILNS1_25lookback_scan_determinismE0ELb0ES3_N6thrust23THRUST_200600_302600_NS6detail15normal_iteratorINS9_10device_ptrIxEEEENS9_18transform_iteratorINS9_6negateIxEESE_NS9_11use_defaultESI_EESE_xNS9_4plusIvEENS9_8equal_toIvEExEE10hipError_tPvRmT2_T3_T4_T5_mT6_T7_P12ihipStream_tbENKUlT_T0_E_clISt17integral_constantIbLb1EES13_IbLb0EEEEDaSZ_S10_EUlSZ_E_NS1_11comp_targetILNS1_3genE3ELNS1_11target_archE908ELNS1_3gpuE7ELNS1_3repE0EEENS1_30default_config_static_selectorELNS0_4arch9wavefront6targetE1EEEvT1_ ; -- Begin function _ZN7rocprim17ROCPRIM_400000_NS6detail17trampoline_kernelINS0_14default_configENS1_27scan_by_key_config_selectorIxxEEZZNS1_16scan_by_key_implILNS1_25lookback_scan_determinismE0ELb0ES3_N6thrust23THRUST_200600_302600_NS6detail15normal_iteratorINS9_10device_ptrIxEEEENS9_18transform_iteratorINS9_6negateIxEESE_NS9_11use_defaultESI_EESE_xNS9_4plusIvEENS9_8equal_toIvEExEE10hipError_tPvRmT2_T3_T4_T5_mT6_T7_P12ihipStream_tbENKUlT_T0_E_clISt17integral_constantIbLb1EES13_IbLb0EEEEDaSZ_S10_EUlSZ_E_NS1_11comp_targetILNS1_3genE3ELNS1_11target_archE908ELNS1_3gpuE7ELNS1_3repE0EEENS1_30default_config_static_selectorELNS0_4arch9wavefront6targetE1EEEvT1_
	.globl	_ZN7rocprim17ROCPRIM_400000_NS6detail17trampoline_kernelINS0_14default_configENS1_27scan_by_key_config_selectorIxxEEZZNS1_16scan_by_key_implILNS1_25lookback_scan_determinismE0ELb0ES3_N6thrust23THRUST_200600_302600_NS6detail15normal_iteratorINS9_10device_ptrIxEEEENS9_18transform_iteratorINS9_6negateIxEESE_NS9_11use_defaultESI_EESE_xNS9_4plusIvEENS9_8equal_toIvEExEE10hipError_tPvRmT2_T3_T4_T5_mT6_T7_P12ihipStream_tbENKUlT_T0_E_clISt17integral_constantIbLb1EES13_IbLb0EEEEDaSZ_S10_EUlSZ_E_NS1_11comp_targetILNS1_3genE3ELNS1_11target_archE908ELNS1_3gpuE7ELNS1_3repE0EEENS1_30default_config_static_selectorELNS0_4arch9wavefront6targetE1EEEvT1_
	.p2align	8
	.type	_ZN7rocprim17ROCPRIM_400000_NS6detail17trampoline_kernelINS0_14default_configENS1_27scan_by_key_config_selectorIxxEEZZNS1_16scan_by_key_implILNS1_25lookback_scan_determinismE0ELb0ES3_N6thrust23THRUST_200600_302600_NS6detail15normal_iteratorINS9_10device_ptrIxEEEENS9_18transform_iteratorINS9_6negateIxEESE_NS9_11use_defaultESI_EESE_xNS9_4plusIvEENS9_8equal_toIvEExEE10hipError_tPvRmT2_T3_T4_T5_mT6_T7_P12ihipStream_tbENKUlT_T0_E_clISt17integral_constantIbLb1EES13_IbLb0EEEEDaSZ_S10_EUlSZ_E_NS1_11comp_targetILNS1_3genE3ELNS1_11target_archE908ELNS1_3gpuE7ELNS1_3repE0EEENS1_30default_config_static_selectorELNS0_4arch9wavefront6targetE1EEEvT1_,@function
_ZN7rocprim17ROCPRIM_400000_NS6detail17trampoline_kernelINS0_14default_configENS1_27scan_by_key_config_selectorIxxEEZZNS1_16scan_by_key_implILNS1_25lookback_scan_determinismE0ELb0ES3_N6thrust23THRUST_200600_302600_NS6detail15normal_iteratorINS9_10device_ptrIxEEEENS9_18transform_iteratorINS9_6negateIxEESE_NS9_11use_defaultESI_EESE_xNS9_4plusIvEENS9_8equal_toIvEExEE10hipError_tPvRmT2_T3_T4_T5_mT6_T7_P12ihipStream_tbENKUlT_T0_E_clISt17integral_constantIbLb1EES13_IbLb0EEEEDaSZ_S10_EUlSZ_E_NS1_11comp_targetILNS1_3genE3ELNS1_11target_archE908ELNS1_3gpuE7ELNS1_3repE0EEENS1_30default_config_static_selectorELNS0_4arch9wavefront6targetE1EEEvT1_: ; @_ZN7rocprim17ROCPRIM_400000_NS6detail17trampoline_kernelINS0_14default_configENS1_27scan_by_key_config_selectorIxxEEZZNS1_16scan_by_key_implILNS1_25lookback_scan_determinismE0ELb0ES3_N6thrust23THRUST_200600_302600_NS6detail15normal_iteratorINS9_10device_ptrIxEEEENS9_18transform_iteratorINS9_6negateIxEESE_NS9_11use_defaultESI_EESE_xNS9_4plusIvEENS9_8equal_toIvEExEE10hipError_tPvRmT2_T3_T4_T5_mT6_T7_P12ihipStream_tbENKUlT_T0_E_clISt17integral_constantIbLb1EES13_IbLb0EEEEDaSZ_S10_EUlSZ_E_NS1_11comp_targetILNS1_3genE3ELNS1_11target_archE908ELNS1_3gpuE7ELNS1_3repE0EEENS1_30default_config_static_selectorELNS0_4arch9wavefront6targetE1EEEvT1_
; %bb.0:
	.section	.rodata,"a",@progbits
	.p2align	6, 0x0
	.amdhsa_kernel _ZN7rocprim17ROCPRIM_400000_NS6detail17trampoline_kernelINS0_14default_configENS1_27scan_by_key_config_selectorIxxEEZZNS1_16scan_by_key_implILNS1_25lookback_scan_determinismE0ELb0ES3_N6thrust23THRUST_200600_302600_NS6detail15normal_iteratorINS9_10device_ptrIxEEEENS9_18transform_iteratorINS9_6negateIxEESE_NS9_11use_defaultESI_EESE_xNS9_4plusIvEENS9_8equal_toIvEExEE10hipError_tPvRmT2_T3_T4_T5_mT6_T7_P12ihipStream_tbENKUlT_T0_E_clISt17integral_constantIbLb1EES13_IbLb0EEEEDaSZ_S10_EUlSZ_E_NS1_11comp_targetILNS1_3genE3ELNS1_11target_archE908ELNS1_3gpuE7ELNS1_3repE0EEENS1_30default_config_static_selectorELNS0_4arch9wavefront6targetE1EEEvT1_
		.amdhsa_group_segment_fixed_size 0
		.amdhsa_private_segment_fixed_size 0
		.amdhsa_kernarg_size 144
		.amdhsa_user_sgpr_count 6
		.amdhsa_user_sgpr_private_segment_buffer 1
		.amdhsa_user_sgpr_dispatch_ptr 0
		.amdhsa_user_sgpr_queue_ptr 0
		.amdhsa_user_sgpr_kernarg_segment_ptr 1
		.amdhsa_user_sgpr_dispatch_id 0
		.amdhsa_user_sgpr_flat_scratch_init 0
		.amdhsa_user_sgpr_kernarg_preload_length 0
		.amdhsa_user_sgpr_kernarg_preload_offset 0
		.amdhsa_user_sgpr_private_segment_size 0
		.amdhsa_uses_dynamic_stack 0
		.amdhsa_system_sgpr_private_segment_wavefront_offset 0
		.amdhsa_system_sgpr_workgroup_id_x 1
		.amdhsa_system_sgpr_workgroup_id_y 0
		.amdhsa_system_sgpr_workgroup_id_z 0
		.amdhsa_system_sgpr_workgroup_info 0
		.amdhsa_system_vgpr_workitem_id 0
		.amdhsa_next_free_vgpr 1
		.amdhsa_next_free_sgpr 0
		.amdhsa_accum_offset 4
		.amdhsa_reserve_vcc 0
		.amdhsa_reserve_flat_scratch 0
		.amdhsa_float_round_mode_32 0
		.amdhsa_float_round_mode_16_64 0
		.amdhsa_float_denorm_mode_32 3
		.amdhsa_float_denorm_mode_16_64 3
		.amdhsa_dx10_clamp 1
		.amdhsa_ieee_mode 1
		.amdhsa_fp16_overflow 0
		.amdhsa_tg_split 0
		.amdhsa_exception_fp_ieee_invalid_op 0
		.amdhsa_exception_fp_denorm_src 0
		.amdhsa_exception_fp_ieee_div_zero 0
		.amdhsa_exception_fp_ieee_overflow 0
		.amdhsa_exception_fp_ieee_underflow 0
		.amdhsa_exception_fp_ieee_inexact 0
		.amdhsa_exception_int_div_zero 0
	.end_amdhsa_kernel
	.section	.text._ZN7rocprim17ROCPRIM_400000_NS6detail17trampoline_kernelINS0_14default_configENS1_27scan_by_key_config_selectorIxxEEZZNS1_16scan_by_key_implILNS1_25lookback_scan_determinismE0ELb0ES3_N6thrust23THRUST_200600_302600_NS6detail15normal_iteratorINS9_10device_ptrIxEEEENS9_18transform_iteratorINS9_6negateIxEESE_NS9_11use_defaultESI_EESE_xNS9_4plusIvEENS9_8equal_toIvEExEE10hipError_tPvRmT2_T3_T4_T5_mT6_T7_P12ihipStream_tbENKUlT_T0_E_clISt17integral_constantIbLb1EES13_IbLb0EEEEDaSZ_S10_EUlSZ_E_NS1_11comp_targetILNS1_3genE3ELNS1_11target_archE908ELNS1_3gpuE7ELNS1_3repE0EEENS1_30default_config_static_selectorELNS0_4arch9wavefront6targetE1EEEvT1_,"axG",@progbits,_ZN7rocprim17ROCPRIM_400000_NS6detail17trampoline_kernelINS0_14default_configENS1_27scan_by_key_config_selectorIxxEEZZNS1_16scan_by_key_implILNS1_25lookback_scan_determinismE0ELb0ES3_N6thrust23THRUST_200600_302600_NS6detail15normal_iteratorINS9_10device_ptrIxEEEENS9_18transform_iteratorINS9_6negateIxEESE_NS9_11use_defaultESI_EESE_xNS9_4plusIvEENS9_8equal_toIvEExEE10hipError_tPvRmT2_T3_T4_T5_mT6_T7_P12ihipStream_tbENKUlT_T0_E_clISt17integral_constantIbLb1EES13_IbLb0EEEEDaSZ_S10_EUlSZ_E_NS1_11comp_targetILNS1_3genE3ELNS1_11target_archE908ELNS1_3gpuE7ELNS1_3repE0EEENS1_30default_config_static_selectorELNS0_4arch9wavefront6targetE1EEEvT1_,comdat
.Lfunc_end915:
	.size	_ZN7rocprim17ROCPRIM_400000_NS6detail17trampoline_kernelINS0_14default_configENS1_27scan_by_key_config_selectorIxxEEZZNS1_16scan_by_key_implILNS1_25lookback_scan_determinismE0ELb0ES3_N6thrust23THRUST_200600_302600_NS6detail15normal_iteratorINS9_10device_ptrIxEEEENS9_18transform_iteratorINS9_6negateIxEESE_NS9_11use_defaultESI_EESE_xNS9_4plusIvEENS9_8equal_toIvEExEE10hipError_tPvRmT2_T3_T4_T5_mT6_T7_P12ihipStream_tbENKUlT_T0_E_clISt17integral_constantIbLb1EES13_IbLb0EEEEDaSZ_S10_EUlSZ_E_NS1_11comp_targetILNS1_3genE3ELNS1_11target_archE908ELNS1_3gpuE7ELNS1_3repE0EEENS1_30default_config_static_selectorELNS0_4arch9wavefront6targetE1EEEvT1_, .Lfunc_end915-_ZN7rocprim17ROCPRIM_400000_NS6detail17trampoline_kernelINS0_14default_configENS1_27scan_by_key_config_selectorIxxEEZZNS1_16scan_by_key_implILNS1_25lookback_scan_determinismE0ELb0ES3_N6thrust23THRUST_200600_302600_NS6detail15normal_iteratorINS9_10device_ptrIxEEEENS9_18transform_iteratorINS9_6negateIxEESE_NS9_11use_defaultESI_EESE_xNS9_4plusIvEENS9_8equal_toIvEExEE10hipError_tPvRmT2_T3_T4_T5_mT6_T7_P12ihipStream_tbENKUlT_T0_E_clISt17integral_constantIbLb1EES13_IbLb0EEEEDaSZ_S10_EUlSZ_E_NS1_11comp_targetILNS1_3genE3ELNS1_11target_archE908ELNS1_3gpuE7ELNS1_3repE0EEENS1_30default_config_static_selectorELNS0_4arch9wavefront6targetE1EEEvT1_
                                        ; -- End function
	.section	.AMDGPU.csdata,"",@progbits
; Kernel info:
; codeLenInByte = 0
; NumSgprs: 4
; NumVgprs: 0
; NumAgprs: 0
; TotalNumVgprs: 0
; ScratchSize: 0
; MemoryBound: 0
; FloatMode: 240
; IeeeMode: 1
; LDSByteSize: 0 bytes/workgroup (compile time only)
; SGPRBlocks: 0
; VGPRBlocks: 0
; NumSGPRsForWavesPerEU: 4
; NumVGPRsForWavesPerEU: 1
; AccumOffset: 4
; Occupancy: 8
; WaveLimiterHint : 0
; COMPUTE_PGM_RSRC2:SCRATCH_EN: 0
; COMPUTE_PGM_RSRC2:USER_SGPR: 6
; COMPUTE_PGM_RSRC2:TRAP_HANDLER: 0
; COMPUTE_PGM_RSRC2:TGID_X_EN: 1
; COMPUTE_PGM_RSRC2:TGID_Y_EN: 0
; COMPUTE_PGM_RSRC2:TGID_Z_EN: 0
; COMPUTE_PGM_RSRC2:TIDIG_COMP_CNT: 0
; COMPUTE_PGM_RSRC3_GFX90A:ACCUM_OFFSET: 0
; COMPUTE_PGM_RSRC3_GFX90A:TG_SPLIT: 0
	.section	.text._ZN7rocprim17ROCPRIM_400000_NS6detail17trampoline_kernelINS0_14default_configENS1_27scan_by_key_config_selectorIxxEEZZNS1_16scan_by_key_implILNS1_25lookback_scan_determinismE0ELb0ES3_N6thrust23THRUST_200600_302600_NS6detail15normal_iteratorINS9_10device_ptrIxEEEENS9_18transform_iteratorINS9_6negateIxEESE_NS9_11use_defaultESI_EESE_xNS9_4plusIvEENS9_8equal_toIvEExEE10hipError_tPvRmT2_T3_T4_T5_mT6_T7_P12ihipStream_tbENKUlT_T0_E_clISt17integral_constantIbLb1EES13_IbLb0EEEEDaSZ_S10_EUlSZ_E_NS1_11comp_targetILNS1_3genE2ELNS1_11target_archE906ELNS1_3gpuE6ELNS1_3repE0EEENS1_30default_config_static_selectorELNS0_4arch9wavefront6targetE1EEEvT1_,"axG",@progbits,_ZN7rocprim17ROCPRIM_400000_NS6detail17trampoline_kernelINS0_14default_configENS1_27scan_by_key_config_selectorIxxEEZZNS1_16scan_by_key_implILNS1_25lookback_scan_determinismE0ELb0ES3_N6thrust23THRUST_200600_302600_NS6detail15normal_iteratorINS9_10device_ptrIxEEEENS9_18transform_iteratorINS9_6negateIxEESE_NS9_11use_defaultESI_EESE_xNS9_4plusIvEENS9_8equal_toIvEExEE10hipError_tPvRmT2_T3_T4_T5_mT6_T7_P12ihipStream_tbENKUlT_T0_E_clISt17integral_constantIbLb1EES13_IbLb0EEEEDaSZ_S10_EUlSZ_E_NS1_11comp_targetILNS1_3genE2ELNS1_11target_archE906ELNS1_3gpuE6ELNS1_3repE0EEENS1_30default_config_static_selectorELNS0_4arch9wavefront6targetE1EEEvT1_,comdat
	.protected	_ZN7rocprim17ROCPRIM_400000_NS6detail17trampoline_kernelINS0_14default_configENS1_27scan_by_key_config_selectorIxxEEZZNS1_16scan_by_key_implILNS1_25lookback_scan_determinismE0ELb0ES3_N6thrust23THRUST_200600_302600_NS6detail15normal_iteratorINS9_10device_ptrIxEEEENS9_18transform_iteratorINS9_6negateIxEESE_NS9_11use_defaultESI_EESE_xNS9_4plusIvEENS9_8equal_toIvEExEE10hipError_tPvRmT2_T3_T4_T5_mT6_T7_P12ihipStream_tbENKUlT_T0_E_clISt17integral_constantIbLb1EES13_IbLb0EEEEDaSZ_S10_EUlSZ_E_NS1_11comp_targetILNS1_3genE2ELNS1_11target_archE906ELNS1_3gpuE6ELNS1_3repE0EEENS1_30default_config_static_selectorELNS0_4arch9wavefront6targetE1EEEvT1_ ; -- Begin function _ZN7rocprim17ROCPRIM_400000_NS6detail17trampoline_kernelINS0_14default_configENS1_27scan_by_key_config_selectorIxxEEZZNS1_16scan_by_key_implILNS1_25lookback_scan_determinismE0ELb0ES3_N6thrust23THRUST_200600_302600_NS6detail15normal_iteratorINS9_10device_ptrIxEEEENS9_18transform_iteratorINS9_6negateIxEESE_NS9_11use_defaultESI_EESE_xNS9_4plusIvEENS9_8equal_toIvEExEE10hipError_tPvRmT2_T3_T4_T5_mT6_T7_P12ihipStream_tbENKUlT_T0_E_clISt17integral_constantIbLb1EES13_IbLb0EEEEDaSZ_S10_EUlSZ_E_NS1_11comp_targetILNS1_3genE2ELNS1_11target_archE906ELNS1_3gpuE6ELNS1_3repE0EEENS1_30default_config_static_selectorELNS0_4arch9wavefront6targetE1EEEvT1_
	.globl	_ZN7rocprim17ROCPRIM_400000_NS6detail17trampoline_kernelINS0_14default_configENS1_27scan_by_key_config_selectorIxxEEZZNS1_16scan_by_key_implILNS1_25lookback_scan_determinismE0ELb0ES3_N6thrust23THRUST_200600_302600_NS6detail15normal_iteratorINS9_10device_ptrIxEEEENS9_18transform_iteratorINS9_6negateIxEESE_NS9_11use_defaultESI_EESE_xNS9_4plusIvEENS9_8equal_toIvEExEE10hipError_tPvRmT2_T3_T4_T5_mT6_T7_P12ihipStream_tbENKUlT_T0_E_clISt17integral_constantIbLb1EES13_IbLb0EEEEDaSZ_S10_EUlSZ_E_NS1_11comp_targetILNS1_3genE2ELNS1_11target_archE906ELNS1_3gpuE6ELNS1_3repE0EEENS1_30default_config_static_selectorELNS0_4arch9wavefront6targetE1EEEvT1_
	.p2align	8
	.type	_ZN7rocprim17ROCPRIM_400000_NS6detail17trampoline_kernelINS0_14default_configENS1_27scan_by_key_config_selectorIxxEEZZNS1_16scan_by_key_implILNS1_25lookback_scan_determinismE0ELb0ES3_N6thrust23THRUST_200600_302600_NS6detail15normal_iteratorINS9_10device_ptrIxEEEENS9_18transform_iteratorINS9_6negateIxEESE_NS9_11use_defaultESI_EESE_xNS9_4plusIvEENS9_8equal_toIvEExEE10hipError_tPvRmT2_T3_T4_T5_mT6_T7_P12ihipStream_tbENKUlT_T0_E_clISt17integral_constantIbLb1EES13_IbLb0EEEEDaSZ_S10_EUlSZ_E_NS1_11comp_targetILNS1_3genE2ELNS1_11target_archE906ELNS1_3gpuE6ELNS1_3repE0EEENS1_30default_config_static_selectorELNS0_4arch9wavefront6targetE1EEEvT1_,@function
_ZN7rocprim17ROCPRIM_400000_NS6detail17trampoline_kernelINS0_14default_configENS1_27scan_by_key_config_selectorIxxEEZZNS1_16scan_by_key_implILNS1_25lookback_scan_determinismE0ELb0ES3_N6thrust23THRUST_200600_302600_NS6detail15normal_iteratorINS9_10device_ptrIxEEEENS9_18transform_iteratorINS9_6negateIxEESE_NS9_11use_defaultESI_EESE_xNS9_4plusIvEENS9_8equal_toIvEExEE10hipError_tPvRmT2_T3_T4_T5_mT6_T7_P12ihipStream_tbENKUlT_T0_E_clISt17integral_constantIbLb1EES13_IbLb0EEEEDaSZ_S10_EUlSZ_E_NS1_11comp_targetILNS1_3genE2ELNS1_11target_archE906ELNS1_3gpuE6ELNS1_3repE0EEENS1_30default_config_static_selectorELNS0_4arch9wavefront6targetE1EEEvT1_: ; @_ZN7rocprim17ROCPRIM_400000_NS6detail17trampoline_kernelINS0_14default_configENS1_27scan_by_key_config_selectorIxxEEZZNS1_16scan_by_key_implILNS1_25lookback_scan_determinismE0ELb0ES3_N6thrust23THRUST_200600_302600_NS6detail15normal_iteratorINS9_10device_ptrIxEEEENS9_18transform_iteratorINS9_6negateIxEESE_NS9_11use_defaultESI_EESE_xNS9_4plusIvEENS9_8equal_toIvEExEE10hipError_tPvRmT2_T3_T4_T5_mT6_T7_P12ihipStream_tbENKUlT_T0_E_clISt17integral_constantIbLb1EES13_IbLb0EEEEDaSZ_S10_EUlSZ_E_NS1_11comp_targetILNS1_3genE2ELNS1_11target_archE906ELNS1_3gpuE6ELNS1_3repE0EEENS1_30default_config_static_selectorELNS0_4arch9wavefront6targetE1EEEvT1_
; %bb.0:
	.section	.rodata,"a",@progbits
	.p2align	6, 0x0
	.amdhsa_kernel _ZN7rocprim17ROCPRIM_400000_NS6detail17trampoline_kernelINS0_14default_configENS1_27scan_by_key_config_selectorIxxEEZZNS1_16scan_by_key_implILNS1_25lookback_scan_determinismE0ELb0ES3_N6thrust23THRUST_200600_302600_NS6detail15normal_iteratorINS9_10device_ptrIxEEEENS9_18transform_iteratorINS9_6negateIxEESE_NS9_11use_defaultESI_EESE_xNS9_4plusIvEENS9_8equal_toIvEExEE10hipError_tPvRmT2_T3_T4_T5_mT6_T7_P12ihipStream_tbENKUlT_T0_E_clISt17integral_constantIbLb1EES13_IbLb0EEEEDaSZ_S10_EUlSZ_E_NS1_11comp_targetILNS1_3genE2ELNS1_11target_archE906ELNS1_3gpuE6ELNS1_3repE0EEENS1_30default_config_static_selectorELNS0_4arch9wavefront6targetE1EEEvT1_
		.amdhsa_group_segment_fixed_size 0
		.amdhsa_private_segment_fixed_size 0
		.amdhsa_kernarg_size 144
		.amdhsa_user_sgpr_count 6
		.amdhsa_user_sgpr_private_segment_buffer 1
		.amdhsa_user_sgpr_dispatch_ptr 0
		.amdhsa_user_sgpr_queue_ptr 0
		.amdhsa_user_sgpr_kernarg_segment_ptr 1
		.amdhsa_user_sgpr_dispatch_id 0
		.amdhsa_user_sgpr_flat_scratch_init 0
		.amdhsa_user_sgpr_kernarg_preload_length 0
		.amdhsa_user_sgpr_kernarg_preload_offset 0
		.amdhsa_user_sgpr_private_segment_size 0
		.amdhsa_uses_dynamic_stack 0
		.amdhsa_system_sgpr_private_segment_wavefront_offset 0
		.amdhsa_system_sgpr_workgroup_id_x 1
		.amdhsa_system_sgpr_workgroup_id_y 0
		.amdhsa_system_sgpr_workgroup_id_z 0
		.amdhsa_system_sgpr_workgroup_info 0
		.amdhsa_system_vgpr_workitem_id 0
		.amdhsa_next_free_vgpr 1
		.amdhsa_next_free_sgpr 0
		.amdhsa_accum_offset 4
		.amdhsa_reserve_vcc 0
		.amdhsa_reserve_flat_scratch 0
		.amdhsa_float_round_mode_32 0
		.amdhsa_float_round_mode_16_64 0
		.amdhsa_float_denorm_mode_32 3
		.amdhsa_float_denorm_mode_16_64 3
		.amdhsa_dx10_clamp 1
		.amdhsa_ieee_mode 1
		.amdhsa_fp16_overflow 0
		.amdhsa_tg_split 0
		.amdhsa_exception_fp_ieee_invalid_op 0
		.amdhsa_exception_fp_denorm_src 0
		.amdhsa_exception_fp_ieee_div_zero 0
		.amdhsa_exception_fp_ieee_overflow 0
		.amdhsa_exception_fp_ieee_underflow 0
		.amdhsa_exception_fp_ieee_inexact 0
		.amdhsa_exception_int_div_zero 0
	.end_amdhsa_kernel
	.section	.text._ZN7rocprim17ROCPRIM_400000_NS6detail17trampoline_kernelINS0_14default_configENS1_27scan_by_key_config_selectorIxxEEZZNS1_16scan_by_key_implILNS1_25lookback_scan_determinismE0ELb0ES3_N6thrust23THRUST_200600_302600_NS6detail15normal_iteratorINS9_10device_ptrIxEEEENS9_18transform_iteratorINS9_6negateIxEESE_NS9_11use_defaultESI_EESE_xNS9_4plusIvEENS9_8equal_toIvEExEE10hipError_tPvRmT2_T3_T4_T5_mT6_T7_P12ihipStream_tbENKUlT_T0_E_clISt17integral_constantIbLb1EES13_IbLb0EEEEDaSZ_S10_EUlSZ_E_NS1_11comp_targetILNS1_3genE2ELNS1_11target_archE906ELNS1_3gpuE6ELNS1_3repE0EEENS1_30default_config_static_selectorELNS0_4arch9wavefront6targetE1EEEvT1_,"axG",@progbits,_ZN7rocprim17ROCPRIM_400000_NS6detail17trampoline_kernelINS0_14default_configENS1_27scan_by_key_config_selectorIxxEEZZNS1_16scan_by_key_implILNS1_25lookback_scan_determinismE0ELb0ES3_N6thrust23THRUST_200600_302600_NS6detail15normal_iteratorINS9_10device_ptrIxEEEENS9_18transform_iteratorINS9_6negateIxEESE_NS9_11use_defaultESI_EESE_xNS9_4plusIvEENS9_8equal_toIvEExEE10hipError_tPvRmT2_T3_T4_T5_mT6_T7_P12ihipStream_tbENKUlT_T0_E_clISt17integral_constantIbLb1EES13_IbLb0EEEEDaSZ_S10_EUlSZ_E_NS1_11comp_targetILNS1_3genE2ELNS1_11target_archE906ELNS1_3gpuE6ELNS1_3repE0EEENS1_30default_config_static_selectorELNS0_4arch9wavefront6targetE1EEEvT1_,comdat
.Lfunc_end916:
	.size	_ZN7rocprim17ROCPRIM_400000_NS6detail17trampoline_kernelINS0_14default_configENS1_27scan_by_key_config_selectorIxxEEZZNS1_16scan_by_key_implILNS1_25lookback_scan_determinismE0ELb0ES3_N6thrust23THRUST_200600_302600_NS6detail15normal_iteratorINS9_10device_ptrIxEEEENS9_18transform_iteratorINS9_6negateIxEESE_NS9_11use_defaultESI_EESE_xNS9_4plusIvEENS9_8equal_toIvEExEE10hipError_tPvRmT2_T3_T4_T5_mT6_T7_P12ihipStream_tbENKUlT_T0_E_clISt17integral_constantIbLb1EES13_IbLb0EEEEDaSZ_S10_EUlSZ_E_NS1_11comp_targetILNS1_3genE2ELNS1_11target_archE906ELNS1_3gpuE6ELNS1_3repE0EEENS1_30default_config_static_selectorELNS0_4arch9wavefront6targetE1EEEvT1_, .Lfunc_end916-_ZN7rocprim17ROCPRIM_400000_NS6detail17trampoline_kernelINS0_14default_configENS1_27scan_by_key_config_selectorIxxEEZZNS1_16scan_by_key_implILNS1_25lookback_scan_determinismE0ELb0ES3_N6thrust23THRUST_200600_302600_NS6detail15normal_iteratorINS9_10device_ptrIxEEEENS9_18transform_iteratorINS9_6negateIxEESE_NS9_11use_defaultESI_EESE_xNS9_4plusIvEENS9_8equal_toIvEExEE10hipError_tPvRmT2_T3_T4_T5_mT6_T7_P12ihipStream_tbENKUlT_T0_E_clISt17integral_constantIbLb1EES13_IbLb0EEEEDaSZ_S10_EUlSZ_E_NS1_11comp_targetILNS1_3genE2ELNS1_11target_archE906ELNS1_3gpuE6ELNS1_3repE0EEENS1_30default_config_static_selectorELNS0_4arch9wavefront6targetE1EEEvT1_
                                        ; -- End function
	.section	.AMDGPU.csdata,"",@progbits
; Kernel info:
; codeLenInByte = 0
; NumSgprs: 4
; NumVgprs: 0
; NumAgprs: 0
; TotalNumVgprs: 0
; ScratchSize: 0
; MemoryBound: 0
; FloatMode: 240
; IeeeMode: 1
; LDSByteSize: 0 bytes/workgroup (compile time only)
; SGPRBlocks: 0
; VGPRBlocks: 0
; NumSGPRsForWavesPerEU: 4
; NumVGPRsForWavesPerEU: 1
; AccumOffset: 4
; Occupancy: 8
; WaveLimiterHint : 0
; COMPUTE_PGM_RSRC2:SCRATCH_EN: 0
; COMPUTE_PGM_RSRC2:USER_SGPR: 6
; COMPUTE_PGM_RSRC2:TRAP_HANDLER: 0
; COMPUTE_PGM_RSRC2:TGID_X_EN: 1
; COMPUTE_PGM_RSRC2:TGID_Y_EN: 0
; COMPUTE_PGM_RSRC2:TGID_Z_EN: 0
; COMPUTE_PGM_RSRC2:TIDIG_COMP_CNT: 0
; COMPUTE_PGM_RSRC3_GFX90A:ACCUM_OFFSET: 0
; COMPUTE_PGM_RSRC3_GFX90A:TG_SPLIT: 0
	.section	.text._ZN7rocprim17ROCPRIM_400000_NS6detail17trampoline_kernelINS0_14default_configENS1_27scan_by_key_config_selectorIxxEEZZNS1_16scan_by_key_implILNS1_25lookback_scan_determinismE0ELb0ES3_N6thrust23THRUST_200600_302600_NS6detail15normal_iteratorINS9_10device_ptrIxEEEENS9_18transform_iteratorINS9_6negateIxEESE_NS9_11use_defaultESI_EESE_xNS9_4plusIvEENS9_8equal_toIvEExEE10hipError_tPvRmT2_T3_T4_T5_mT6_T7_P12ihipStream_tbENKUlT_T0_E_clISt17integral_constantIbLb1EES13_IbLb0EEEEDaSZ_S10_EUlSZ_E_NS1_11comp_targetILNS1_3genE10ELNS1_11target_archE1200ELNS1_3gpuE4ELNS1_3repE0EEENS1_30default_config_static_selectorELNS0_4arch9wavefront6targetE1EEEvT1_,"axG",@progbits,_ZN7rocprim17ROCPRIM_400000_NS6detail17trampoline_kernelINS0_14default_configENS1_27scan_by_key_config_selectorIxxEEZZNS1_16scan_by_key_implILNS1_25lookback_scan_determinismE0ELb0ES3_N6thrust23THRUST_200600_302600_NS6detail15normal_iteratorINS9_10device_ptrIxEEEENS9_18transform_iteratorINS9_6negateIxEESE_NS9_11use_defaultESI_EESE_xNS9_4plusIvEENS9_8equal_toIvEExEE10hipError_tPvRmT2_T3_T4_T5_mT6_T7_P12ihipStream_tbENKUlT_T0_E_clISt17integral_constantIbLb1EES13_IbLb0EEEEDaSZ_S10_EUlSZ_E_NS1_11comp_targetILNS1_3genE10ELNS1_11target_archE1200ELNS1_3gpuE4ELNS1_3repE0EEENS1_30default_config_static_selectorELNS0_4arch9wavefront6targetE1EEEvT1_,comdat
	.protected	_ZN7rocprim17ROCPRIM_400000_NS6detail17trampoline_kernelINS0_14default_configENS1_27scan_by_key_config_selectorIxxEEZZNS1_16scan_by_key_implILNS1_25lookback_scan_determinismE0ELb0ES3_N6thrust23THRUST_200600_302600_NS6detail15normal_iteratorINS9_10device_ptrIxEEEENS9_18transform_iteratorINS9_6negateIxEESE_NS9_11use_defaultESI_EESE_xNS9_4plusIvEENS9_8equal_toIvEExEE10hipError_tPvRmT2_T3_T4_T5_mT6_T7_P12ihipStream_tbENKUlT_T0_E_clISt17integral_constantIbLb1EES13_IbLb0EEEEDaSZ_S10_EUlSZ_E_NS1_11comp_targetILNS1_3genE10ELNS1_11target_archE1200ELNS1_3gpuE4ELNS1_3repE0EEENS1_30default_config_static_selectorELNS0_4arch9wavefront6targetE1EEEvT1_ ; -- Begin function _ZN7rocprim17ROCPRIM_400000_NS6detail17trampoline_kernelINS0_14default_configENS1_27scan_by_key_config_selectorIxxEEZZNS1_16scan_by_key_implILNS1_25lookback_scan_determinismE0ELb0ES3_N6thrust23THRUST_200600_302600_NS6detail15normal_iteratorINS9_10device_ptrIxEEEENS9_18transform_iteratorINS9_6negateIxEESE_NS9_11use_defaultESI_EESE_xNS9_4plusIvEENS9_8equal_toIvEExEE10hipError_tPvRmT2_T3_T4_T5_mT6_T7_P12ihipStream_tbENKUlT_T0_E_clISt17integral_constantIbLb1EES13_IbLb0EEEEDaSZ_S10_EUlSZ_E_NS1_11comp_targetILNS1_3genE10ELNS1_11target_archE1200ELNS1_3gpuE4ELNS1_3repE0EEENS1_30default_config_static_selectorELNS0_4arch9wavefront6targetE1EEEvT1_
	.globl	_ZN7rocprim17ROCPRIM_400000_NS6detail17trampoline_kernelINS0_14default_configENS1_27scan_by_key_config_selectorIxxEEZZNS1_16scan_by_key_implILNS1_25lookback_scan_determinismE0ELb0ES3_N6thrust23THRUST_200600_302600_NS6detail15normal_iteratorINS9_10device_ptrIxEEEENS9_18transform_iteratorINS9_6negateIxEESE_NS9_11use_defaultESI_EESE_xNS9_4plusIvEENS9_8equal_toIvEExEE10hipError_tPvRmT2_T3_T4_T5_mT6_T7_P12ihipStream_tbENKUlT_T0_E_clISt17integral_constantIbLb1EES13_IbLb0EEEEDaSZ_S10_EUlSZ_E_NS1_11comp_targetILNS1_3genE10ELNS1_11target_archE1200ELNS1_3gpuE4ELNS1_3repE0EEENS1_30default_config_static_selectorELNS0_4arch9wavefront6targetE1EEEvT1_
	.p2align	8
	.type	_ZN7rocprim17ROCPRIM_400000_NS6detail17trampoline_kernelINS0_14default_configENS1_27scan_by_key_config_selectorIxxEEZZNS1_16scan_by_key_implILNS1_25lookback_scan_determinismE0ELb0ES3_N6thrust23THRUST_200600_302600_NS6detail15normal_iteratorINS9_10device_ptrIxEEEENS9_18transform_iteratorINS9_6negateIxEESE_NS9_11use_defaultESI_EESE_xNS9_4plusIvEENS9_8equal_toIvEExEE10hipError_tPvRmT2_T3_T4_T5_mT6_T7_P12ihipStream_tbENKUlT_T0_E_clISt17integral_constantIbLb1EES13_IbLb0EEEEDaSZ_S10_EUlSZ_E_NS1_11comp_targetILNS1_3genE10ELNS1_11target_archE1200ELNS1_3gpuE4ELNS1_3repE0EEENS1_30default_config_static_selectorELNS0_4arch9wavefront6targetE1EEEvT1_,@function
_ZN7rocprim17ROCPRIM_400000_NS6detail17trampoline_kernelINS0_14default_configENS1_27scan_by_key_config_selectorIxxEEZZNS1_16scan_by_key_implILNS1_25lookback_scan_determinismE0ELb0ES3_N6thrust23THRUST_200600_302600_NS6detail15normal_iteratorINS9_10device_ptrIxEEEENS9_18transform_iteratorINS9_6negateIxEESE_NS9_11use_defaultESI_EESE_xNS9_4plusIvEENS9_8equal_toIvEExEE10hipError_tPvRmT2_T3_T4_T5_mT6_T7_P12ihipStream_tbENKUlT_T0_E_clISt17integral_constantIbLb1EES13_IbLb0EEEEDaSZ_S10_EUlSZ_E_NS1_11comp_targetILNS1_3genE10ELNS1_11target_archE1200ELNS1_3gpuE4ELNS1_3repE0EEENS1_30default_config_static_selectorELNS0_4arch9wavefront6targetE1EEEvT1_: ; @_ZN7rocprim17ROCPRIM_400000_NS6detail17trampoline_kernelINS0_14default_configENS1_27scan_by_key_config_selectorIxxEEZZNS1_16scan_by_key_implILNS1_25lookback_scan_determinismE0ELb0ES3_N6thrust23THRUST_200600_302600_NS6detail15normal_iteratorINS9_10device_ptrIxEEEENS9_18transform_iteratorINS9_6negateIxEESE_NS9_11use_defaultESI_EESE_xNS9_4plusIvEENS9_8equal_toIvEExEE10hipError_tPvRmT2_T3_T4_T5_mT6_T7_P12ihipStream_tbENKUlT_T0_E_clISt17integral_constantIbLb1EES13_IbLb0EEEEDaSZ_S10_EUlSZ_E_NS1_11comp_targetILNS1_3genE10ELNS1_11target_archE1200ELNS1_3gpuE4ELNS1_3repE0EEENS1_30default_config_static_selectorELNS0_4arch9wavefront6targetE1EEEvT1_
; %bb.0:
	.section	.rodata,"a",@progbits
	.p2align	6, 0x0
	.amdhsa_kernel _ZN7rocprim17ROCPRIM_400000_NS6detail17trampoline_kernelINS0_14default_configENS1_27scan_by_key_config_selectorIxxEEZZNS1_16scan_by_key_implILNS1_25lookback_scan_determinismE0ELb0ES3_N6thrust23THRUST_200600_302600_NS6detail15normal_iteratorINS9_10device_ptrIxEEEENS9_18transform_iteratorINS9_6negateIxEESE_NS9_11use_defaultESI_EESE_xNS9_4plusIvEENS9_8equal_toIvEExEE10hipError_tPvRmT2_T3_T4_T5_mT6_T7_P12ihipStream_tbENKUlT_T0_E_clISt17integral_constantIbLb1EES13_IbLb0EEEEDaSZ_S10_EUlSZ_E_NS1_11comp_targetILNS1_3genE10ELNS1_11target_archE1200ELNS1_3gpuE4ELNS1_3repE0EEENS1_30default_config_static_selectorELNS0_4arch9wavefront6targetE1EEEvT1_
		.amdhsa_group_segment_fixed_size 0
		.amdhsa_private_segment_fixed_size 0
		.amdhsa_kernarg_size 144
		.amdhsa_user_sgpr_count 6
		.amdhsa_user_sgpr_private_segment_buffer 1
		.amdhsa_user_sgpr_dispatch_ptr 0
		.amdhsa_user_sgpr_queue_ptr 0
		.amdhsa_user_sgpr_kernarg_segment_ptr 1
		.amdhsa_user_sgpr_dispatch_id 0
		.amdhsa_user_sgpr_flat_scratch_init 0
		.amdhsa_user_sgpr_kernarg_preload_length 0
		.amdhsa_user_sgpr_kernarg_preload_offset 0
		.amdhsa_user_sgpr_private_segment_size 0
		.amdhsa_uses_dynamic_stack 0
		.amdhsa_system_sgpr_private_segment_wavefront_offset 0
		.amdhsa_system_sgpr_workgroup_id_x 1
		.amdhsa_system_sgpr_workgroup_id_y 0
		.amdhsa_system_sgpr_workgroup_id_z 0
		.amdhsa_system_sgpr_workgroup_info 0
		.amdhsa_system_vgpr_workitem_id 0
		.amdhsa_next_free_vgpr 1
		.amdhsa_next_free_sgpr 0
		.amdhsa_accum_offset 4
		.amdhsa_reserve_vcc 0
		.amdhsa_reserve_flat_scratch 0
		.amdhsa_float_round_mode_32 0
		.amdhsa_float_round_mode_16_64 0
		.amdhsa_float_denorm_mode_32 3
		.amdhsa_float_denorm_mode_16_64 3
		.amdhsa_dx10_clamp 1
		.amdhsa_ieee_mode 1
		.amdhsa_fp16_overflow 0
		.amdhsa_tg_split 0
		.amdhsa_exception_fp_ieee_invalid_op 0
		.amdhsa_exception_fp_denorm_src 0
		.amdhsa_exception_fp_ieee_div_zero 0
		.amdhsa_exception_fp_ieee_overflow 0
		.amdhsa_exception_fp_ieee_underflow 0
		.amdhsa_exception_fp_ieee_inexact 0
		.amdhsa_exception_int_div_zero 0
	.end_amdhsa_kernel
	.section	.text._ZN7rocprim17ROCPRIM_400000_NS6detail17trampoline_kernelINS0_14default_configENS1_27scan_by_key_config_selectorIxxEEZZNS1_16scan_by_key_implILNS1_25lookback_scan_determinismE0ELb0ES3_N6thrust23THRUST_200600_302600_NS6detail15normal_iteratorINS9_10device_ptrIxEEEENS9_18transform_iteratorINS9_6negateIxEESE_NS9_11use_defaultESI_EESE_xNS9_4plusIvEENS9_8equal_toIvEExEE10hipError_tPvRmT2_T3_T4_T5_mT6_T7_P12ihipStream_tbENKUlT_T0_E_clISt17integral_constantIbLb1EES13_IbLb0EEEEDaSZ_S10_EUlSZ_E_NS1_11comp_targetILNS1_3genE10ELNS1_11target_archE1200ELNS1_3gpuE4ELNS1_3repE0EEENS1_30default_config_static_selectorELNS0_4arch9wavefront6targetE1EEEvT1_,"axG",@progbits,_ZN7rocprim17ROCPRIM_400000_NS6detail17trampoline_kernelINS0_14default_configENS1_27scan_by_key_config_selectorIxxEEZZNS1_16scan_by_key_implILNS1_25lookback_scan_determinismE0ELb0ES3_N6thrust23THRUST_200600_302600_NS6detail15normal_iteratorINS9_10device_ptrIxEEEENS9_18transform_iteratorINS9_6negateIxEESE_NS9_11use_defaultESI_EESE_xNS9_4plusIvEENS9_8equal_toIvEExEE10hipError_tPvRmT2_T3_T4_T5_mT6_T7_P12ihipStream_tbENKUlT_T0_E_clISt17integral_constantIbLb1EES13_IbLb0EEEEDaSZ_S10_EUlSZ_E_NS1_11comp_targetILNS1_3genE10ELNS1_11target_archE1200ELNS1_3gpuE4ELNS1_3repE0EEENS1_30default_config_static_selectorELNS0_4arch9wavefront6targetE1EEEvT1_,comdat
.Lfunc_end917:
	.size	_ZN7rocprim17ROCPRIM_400000_NS6detail17trampoline_kernelINS0_14default_configENS1_27scan_by_key_config_selectorIxxEEZZNS1_16scan_by_key_implILNS1_25lookback_scan_determinismE0ELb0ES3_N6thrust23THRUST_200600_302600_NS6detail15normal_iteratorINS9_10device_ptrIxEEEENS9_18transform_iteratorINS9_6negateIxEESE_NS9_11use_defaultESI_EESE_xNS9_4plusIvEENS9_8equal_toIvEExEE10hipError_tPvRmT2_T3_T4_T5_mT6_T7_P12ihipStream_tbENKUlT_T0_E_clISt17integral_constantIbLb1EES13_IbLb0EEEEDaSZ_S10_EUlSZ_E_NS1_11comp_targetILNS1_3genE10ELNS1_11target_archE1200ELNS1_3gpuE4ELNS1_3repE0EEENS1_30default_config_static_selectorELNS0_4arch9wavefront6targetE1EEEvT1_, .Lfunc_end917-_ZN7rocprim17ROCPRIM_400000_NS6detail17trampoline_kernelINS0_14default_configENS1_27scan_by_key_config_selectorIxxEEZZNS1_16scan_by_key_implILNS1_25lookback_scan_determinismE0ELb0ES3_N6thrust23THRUST_200600_302600_NS6detail15normal_iteratorINS9_10device_ptrIxEEEENS9_18transform_iteratorINS9_6negateIxEESE_NS9_11use_defaultESI_EESE_xNS9_4plusIvEENS9_8equal_toIvEExEE10hipError_tPvRmT2_T3_T4_T5_mT6_T7_P12ihipStream_tbENKUlT_T0_E_clISt17integral_constantIbLb1EES13_IbLb0EEEEDaSZ_S10_EUlSZ_E_NS1_11comp_targetILNS1_3genE10ELNS1_11target_archE1200ELNS1_3gpuE4ELNS1_3repE0EEENS1_30default_config_static_selectorELNS0_4arch9wavefront6targetE1EEEvT1_
                                        ; -- End function
	.section	.AMDGPU.csdata,"",@progbits
; Kernel info:
; codeLenInByte = 0
; NumSgprs: 4
; NumVgprs: 0
; NumAgprs: 0
; TotalNumVgprs: 0
; ScratchSize: 0
; MemoryBound: 0
; FloatMode: 240
; IeeeMode: 1
; LDSByteSize: 0 bytes/workgroup (compile time only)
; SGPRBlocks: 0
; VGPRBlocks: 0
; NumSGPRsForWavesPerEU: 4
; NumVGPRsForWavesPerEU: 1
; AccumOffset: 4
; Occupancy: 8
; WaveLimiterHint : 0
; COMPUTE_PGM_RSRC2:SCRATCH_EN: 0
; COMPUTE_PGM_RSRC2:USER_SGPR: 6
; COMPUTE_PGM_RSRC2:TRAP_HANDLER: 0
; COMPUTE_PGM_RSRC2:TGID_X_EN: 1
; COMPUTE_PGM_RSRC2:TGID_Y_EN: 0
; COMPUTE_PGM_RSRC2:TGID_Z_EN: 0
; COMPUTE_PGM_RSRC2:TIDIG_COMP_CNT: 0
; COMPUTE_PGM_RSRC3_GFX90A:ACCUM_OFFSET: 0
; COMPUTE_PGM_RSRC3_GFX90A:TG_SPLIT: 0
	.section	.text._ZN7rocprim17ROCPRIM_400000_NS6detail17trampoline_kernelINS0_14default_configENS1_27scan_by_key_config_selectorIxxEEZZNS1_16scan_by_key_implILNS1_25lookback_scan_determinismE0ELb0ES3_N6thrust23THRUST_200600_302600_NS6detail15normal_iteratorINS9_10device_ptrIxEEEENS9_18transform_iteratorINS9_6negateIxEESE_NS9_11use_defaultESI_EESE_xNS9_4plusIvEENS9_8equal_toIvEExEE10hipError_tPvRmT2_T3_T4_T5_mT6_T7_P12ihipStream_tbENKUlT_T0_E_clISt17integral_constantIbLb1EES13_IbLb0EEEEDaSZ_S10_EUlSZ_E_NS1_11comp_targetILNS1_3genE9ELNS1_11target_archE1100ELNS1_3gpuE3ELNS1_3repE0EEENS1_30default_config_static_selectorELNS0_4arch9wavefront6targetE1EEEvT1_,"axG",@progbits,_ZN7rocprim17ROCPRIM_400000_NS6detail17trampoline_kernelINS0_14default_configENS1_27scan_by_key_config_selectorIxxEEZZNS1_16scan_by_key_implILNS1_25lookback_scan_determinismE0ELb0ES3_N6thrust23THRUST_200600_302600_NS6detail15normal_iteratorINS9_10device_ptrIxEEEENS9_18transform_iteratorINS9_6negateIxEESE_NS9_11use_defaultESI_EESE_xNS9_4plusIvEENS9_8equal_toIvEExEE10hipError_tPvRmT2_T3_T4_T5_mT6_T7_P12ihipStream_tbENKUlT_T0_E_clISt17integral_constantIbLb1EES13_IbLb0EEEEDaSZ_S10_EUlSZ_E_NS1_11comp_targetILNS1_3genE9ELNS1_11target_archE1100ELNS1_3gpuE3ELNS1_3repE0EEENS1_30default_config_static_selectorELNS0_4arch9wavefront6targetE1EEEvT1_,comdat
	.protected	_ZN7rocprim17ROCPRIM_400000_NS6detail17trampoline_kernelINS0_14default_configENS1_27scan_by_key_config_selectorIxxEEZZNS1_16scan_by_key_implILNS1_25lookback_scan_determinismE0ELb0ES3_N6thrust23THRUST_200600_302600_NS6detail15normal_iteratorINS9_10device_ptrIxEEEENS9_18transform_iteratorINS9_6negateIxEESE_NS9_11use_defaultESI_EESE_xNS9_4plusIvEENS9_8equal_toIvEExEE10hipError_tPvRmT2_T3_T4_T5_mT6_T7_P12ihipStream_tbENKUlT_T0_E_clISt17integral_constantIbLb1EES13_IbLb0EEEEDaSZ_S10_EUlSZ_E_NS1_11comp_targetILNS1_3genE9ELNS1_11target_archE1100ELNS1_3gpuE3ELNS1_3repE0EEENS1_30default_config_static_selectorELNS0_4arch9wavefront6targetE1EEEvT1_ ; -- Begin function _ZN7rocprim17ROCPRIM_400000_NS6detail17trampoline_kernelINS0_14default_configENS1_27scan_by_key_config_selectorIxxEEZZNS1_16scan_by_key_implILNS1_25lookback_scan_determinismE0ELb0ES3_N6thrust23THRUST_200600_302600_NS6detail15normal_iteratorINS9_10device_ptrIxEEEENS9_18transform_iteratorINS9_6negateIxEESE_NS9_11use_defaultESI_EESE_xNS9_4plusIvEENS9_8equal_toIvEExEE10hipError_tPvRmT2_T3_T4_T5_mT6_T7_P12ihipStream_tbENKUlT_T0_E_clISt17integral_constantIbLb1EES13_IbLb0EEEEDaSZ_S10_EUlSZ_E_NS1_11comp_targetILNS1_3genE9ELNS1_11target_archE1100ELNS1_3gpuE3ELNS1_3repE0EEENS1_30default_config_static_selectorELNS0_4arch9wavefront6targetE1EEEvT1_
	.globl	_ZN7rocprim17ROCPRIM_400000_NS6detail17trampoline_kernelINS0_14default_configENS1_27scan_by_key_config_selectorIxxEEZZNS1_16scan_by_key_implILNS1_25lookback_scan_determinismE0ELb0ES3_N6thrust23THRUST_200600_302600_NS6detail15normal_iteratorINS9_10device_ptrIxEEEENS9_18transform_iteratorINS9_6negateIxEESE_NS9_11use_defaultESI_EESE_xNS9_4plusIvEENS9_8equal_toIvEExEE10hipError_tPvRmT2_T3_T4_T5_mT6_T7_P12ihipStream_tbENKUlT_T0_E_clISt17integral_constantIbLb1EES13_IbLb0EEEEDaSZ_S10_EUlSZ_E_NS1_11comp_targetILNS1_3genE9ELNS1_11target_archE1100ELNS1_3gpuE3ELNS1_3repE0EEENS1_30default_config_static_selectorELNS0_4arch9wavefront6targetE1EEEvT1_
	.p2align	8
	.type	_ZN7rocprim17ROCPRIM_400000_NS6detail17trampoline_kernelINS0_14default_configENS1_27scan_by_key_config_selectorIxxEEZZNS1_16scan_by_key_implILNS1_25lookback_scan_determinismE0ELb0ES3_N6thrust23THRUST_200600_302600_NS6detail15normal_iteratorINS9_10device_ptrIxEEEENS9_18transform_iteratorINS9_6negateIxEESE_NS9_11use_defaultESI_EESE_xNS9_4plusIvEENS9_8equal_toIvEExEE10hipError_tPvRmT2_T3_T4_T5_mT6_T7_P12ihipStream_tbENKUlT_T0_E_clISt17integral_constantIbLb1EES13_IbLb0EEEEDaSZ_S10_EUlSZ_E_NS1_11comp_targetILNS1_3genE9ELNS1_11target_archE1100ELNS1_3gpuE3ELNS1_3repE0EEENS1_30default_config_static_selectorELNS0_4arch9wavefront6targetE1EEEvT1_,@function
_ZN7rocprim17ROCPRIM_400000_NS6detail17trampoline_kernelINS0_14default_configENS1_27scan_by_key_config_selectorIxxEEZZNS1_16scan_by_key_implILNS1_25lookback_scan_determinismE0ELb0ES3_N6thrust23THRUST_200600_302600_NS6detail15normal_iteratorINS9_10device_ptrIxEEEENS9_18transform_iteratorINS9_6negateIxEESE_NS9_11use_defaultESI_EESE_xNS9_4plusIvEENS9_8equal_toIvEExEE10hipError_tPvRmT2_T3_T4_T5_mT6_T7_P12ihipStream_tbENKUlT_T0_E_clISt17integral_constantIbLb1EES13_IbLb0EEEEDaSZ_S10_EUlSZ_E_NS1_11comp_targetILNS1_3genE9ELNS1_11target_archE1100ELNS1_3gpuE3ELNS1_3repE0EEENS1_30default_config_static_selectorELNS0_4arch9wavefront6targetE1EEEvT1_: ; @_ZN7rocprim17ROCPRIM_400000_NS6detail17trampoline_kernelINS0_14default_configENS1_27scan_by_key_config_selectorIxxEEZZNS1_16scan_by_key_implILNS1_25lookback_scan_determinismE0ELb0ES3_N6thrust23THRUST_200600_302600_NS6detail15normal_iteratorINS9_10device_ptrIxEEEENS9_18transform_iteratorINS9_6negateIxEESE_NS9_11use_defaultESI_EESE_xNS9_4plusIvEENS9_8equal_toIvEExEE10hipError_tPvRmT2_T3_T4_T5_mT6_T7_P12ihipStream_tbENKUlT_T0_E_clISt17integral_constantIbLb1EES13_IbLb0EEEEDaSZ_S10_EUlSZ_E_NS1_11comp_targetILNS1_3genE9ELNS1_11target_archE1100ELNS1_3gpuE3ELNS1_3repE0EEENS1_30default_config_static_selectorELNS0_4arch9wavefront6targetE1EEEvT1_
; %bb.0:
	.section	.rodata,"a",@progbits
	.p2align	6, 0x0
	.amdhsa_kernel _ZN7rocprim17ROCPRIM_400000_NS6detail17trampoline_kernelINS0_14default_configENS1_27scan_by_key_config_selectorIxxEEZZNS1_16scan_by_key_implILNS1_25lookback_scan_determinismE0ELb0ES3_N6thrust23THRUST_200600_302600_NS6detail15normal_iteratorINS9_10device_ptrIxEEEENS9_18transform_iteratorINS9_6negateIxEESE_NS9_11use_defaultESI_EESE_xNS9_4plusIvEENS9_8equal_toIvEExEE10hipError_tPvRmT2_T3_T4_T5_mT6_T7_P12ihipStream_tbENKUlT_T0_E_clISt17integral_constantIbLb1EES13_IbLb0EEEEDaSZ_S10_EUlSZ_E_NS1_11comp_targetILNS1_3genE9ELNS1_11target_archE1100ELNS1_3gpuE3ELNS1_3repE0EEENS1_30default_config_static_selectorELNS0_4arch9wavefront6targetE1EEEvT1_
		.amdhsa_group_segment_fixed_size 0
		.amdhsa_private_segment_fixed_size 0
		.amdhsa_kernarg_size 144
		.amdhsa_user_sgpr_count 6
		.amdhsa_user_sgpr_private_segment_buffer 1
		.amdhsa_user_sgpr_dispatch_ptr 0
		.amdhsa_user_sgpr_queue_ptr 0
		.amdhsa_user_sgpr_kernarg_segment_ptr 1
		.amdhsa_user_sgpr_dispatch_id 0
		.amdhsa_user_sgpr_flat_scratch_init 0
		.amdhsa_user_sgpr_kernarg_preload_length 0
		.amdhsa_user_sgpr_kernarg_preload_offset 0
		.amdhsa_user_sgpr_private_segment_size 0
		.amdhsa_uses_dynamic_stack 0
		.amdhsa_system_sgpr_private_segment_wavefront_offset 0
		.amdhsa_system_sgpr_workgroup_id_x 1
		.amdhsa_system_sgpr_workgroup_id_y 0
		.amdhsa_system_sgpr_workgroup_id_z 0
		.amdhsa_system_sgpr_workgroup_info 0
		.amdhsa_system_vgpr_workitem_id 0
		.amdhsa_next_free_vgpr 1
		.amdhsa_next_free_sgpr 0
		.amdhsa_accum_offset 4
		.amdhsa_reserve_vcc 0
		.amdhsa_reserve_flat_scratch 0
		.amdhsa_float_round_mode_32 0
		.amdhsa_float_round_mode_16_64 0
		.amdhsa_float_denorm_mode_32 3
		.amdhsa_float_denorm_mode_16_64 3
		.amdhsa_dx10_clamp 1
		.amdhsa_ieee_mode 1
		.amdhsa_fp16_overflow 0
		.amdhsa_tg_split 0
		.amdhsa_exception_fp_ieee_invalid_op 0
		.amdhsa_exception_fp_denorm_src 0
		.amdhsa_exception_fp_ieee_div_zero 0
		.amdhsa_exception_fp_ieee_overflow 0
		.amdhsa_exception_fp_ieee_underflow 0
		.amdhsa_exception_fp_ieee_inexact 0
		.amdhsa_exception_int_div_zero 0
	.end_amdhsa_kernel
	.section	.text._ZN7rocprim17ROCPRIM_400000_NS6detail17trampoline_kernelINS0_14default_configENS1_27scan_by_key_config_selectorIxxEEZZNS1_16scan_by_key_implILNS1_25lookback_scan_determinismE0ELb0ES3_N6thrust23THRUST_200600_302600_NS6detail15normal_iteratorINS9_10device_ptrIxEEEENS9_18transform_iteratorINS9_6negateIxEESE_NS9_11use_defaultESI_EESE_xNS9_4plusIvEENS9_8equal_toIvEExEE10hipError_tPvRmT2_T3_T4_T5_mT6_T7_P12ihipStream_tbENKUlT_T0_E_clISt17integral_constantIbLb1EES13_IbLb0EEEEDaSZ_S10_EUlSZ_E_NS1_11comp_targetILNS1_3genE9ELNS1_11target_archE1100ELNS1_3gpuE3ELNS1_3repE0EEENS1_30default_config_static_selectorELNS0_4arch9wavefront6targetE1EEEvT1_,"axG",@progbits,_ZN7rocprim17ROCPRIM_400000_NS6detail17trampoline_kernelINS0_14default_configENS1_27scan_by_key_config_selectorIxxEEZZNS1_16scan_by_key_implILNS1_25lookback_scan_determinismE0ELb0ES3_N6thrust23THRUST_200600_302600_NS6detail15normal_iteratorINS9_10device_ptrIxEEEENS9_18transform_iteratorINS9_6negateIxEESE_NS9_11use_defaultESI_EESE_xNS9_4plusIvEENS9_8equal_toIvEExEE10hipError_tPvRmT2_T3_T4_T5_mT6_T7_P12ihipStream_tbENKUlT_T0_E_clISt17integral_constantIbLb1EES13_IbLb0EEEEDaSZ_S10_EUlSZ_E_NS1_11comp_targetILNS1_3genE9ELNS1_11target_archE1100ELNS1_3gpuE3ELNS1_3repE0EEENS1_30default_config_static_selectorELNS0_4arch9wavefront6targetE1EEEvT1_,comdat
.Lfunc_end918:
	.size	_ZN7rocprim17ROCPRIM_400000_NS6detail17trampoline_kernelINS0_14default_configENS1_27scan_by_key_config_selectorIxxEEZZNS1_16scan_by_key_implILNS1_25lookback_scan_determinismE0ELb0ES3_N6thrust23THRUST_200600_302600_NS6detail15normal_iteratorINS9_10device_ptrIxEEEENS9_18transform_iteratorINS9_6negateIxEESE_NS9_11use_defaultESI_EESE_xNS9_4plusIvEENS9_8equal_toIvEExEE10hipError_tPvRmT2_T3_T4_T5_mT6_T7_P12ihipStream_tbENKUlT_T0_E_clISt17integral_constantIbLb1EES13_IbLb0EEEEDaSZ_S10_EUlSZ_E_NS1_11comp_targetILNS1_3genE9ELNS1_11target_archE1100ELNS1_3gpuE3ELNS1_3repE0EEENS1_30default_config_static_selectorELNS0_4arch9wavefront6targetE1EEEvT1_, .Lfunc_end918-_ZN7rocprim17ROCPRIM_400000_NS6detail17trampoline_kernelINS0_14default_configENS1_27scan_by_key_config_selectorIxxEEZZNS1_16scan_by_key_implILNS1_25lookback_scan_determinismE0ELb0ES3_N6thrust23THRUST_200600_302600_NS6detail15normal_iteratorINS9_10device_ptrIxEEEENS9_18transform_iteratorINS9_6negateIxEESE_NS9_11use_defaultESI_EESE_xNS9_4plusIvEENS9_8equal_toIvEExEE10hipError_tPvRmT2_T3_T4_T5_mT6_T7_P12ihipStream_tbENKUlT_T0_E_clISt17integral_constantIbLb1EES13_IbLb0EEEEDaSZ_S10_EUlSZ_E_NS1_11comp_targetILNS1_3genE9ELNS1_11target_archE1100ELNS1_3gpuE3ELNS1_3repE0EEENS1_30default_config_static_selectorELNS0_4arch9wavefront6targetE1EEEvT1_
                                        ; -- End function
	.section	.AMDGPU.csdata,"",@progbits
; Kernel info:
; codeLenInByte = 0
; NumSgprs: 4
; NumVgprs: 0
; NumAgprs: 0
; TotalNumVgprs: 0
; ScratchSize: 0
; MemoryBound: 0
; FloatMode: 240
; IeeeMode: 1
; LDSByteSize: 0 bytes/workgroup (compile time only)
; SGPRBlocks: 0
; VGPRBlocks: 0
; NumSGPRsForWavesPerEU: 4
; NumVGPRsForWavesPerEU: 1
; AccumOffset: 4
; Occupancy: 8
; WaveLimiterHint : 0
; COMPUTE_PGM_RSRC2:SCRATCH_EN: 0
; COMPUTE_PGM_RSRC2:USER_SGPR: 6
; COMPUTE_PGM_RSRC2:TRAP_HANDLER: 0
; COMPUTE_PGM_RSRC2:TGID_X_EN: 1
; COMPUTE_PGM_RSRC2:TGID_Y_EN: 0
; COMPUTE_PGM_RSRC2:TGID_Z_EN: 0
; COMPUTE_PGM_RSRC2:TIDIG_COMP_CNT: 0
; COMPUTE_PGM_RSRC3_GFX90A:ACCUM_OFFSET: 0
; COMPUTE_PGM_RSRC3_GFX90A:TG_SPLIT: 0
	.section	.text._ZN7rocprim17ROCPRIM_400000_NS6detail17trampoline_kernelINS0_14default_configENS1_27scan_by_key_config_selectorIxxEEZZNS1_16scan_by_key_implILNS1_25lookback_scan_determinismE0ELb0ES3_N6thrust23THRUST_200600_302600_NS6detail15normal_iteratorINS9_10device_ptrIxEEEENS9_18transform_iteratorINS9_6negateIxEESE_NS9_11use_defaultESI_EESE_xNS9_4plusIvEENS9_8equal_toIvEExEE10hipError_tPvRmT2_T3_T4_T5_mT6_T7_P12ihipStream_tbENKUlT_T0_E_clISt17integral_constantIbLb1EES13_IbLb0EEEEDaSZ_S10_EUlSZ_E_NS1_11comp_targetILNS1_3genE8ELNS1_11target_archE1030ELNS1_3gpuE2ELNS1_3repE0EEENS1_30default_config_static_selectorELNS0_4arch9wavefront6targetE1EEEvT1_,"axG",@progbits,_ZN7rocprim17ROCPRIM_400000_NS6detail17trampoline_kernelINS0_14default_configENS1_27scan_by_key_config_selectorIxxEEZZNS1_16scan_by_key_implILNS1_25lookback_scan_determinismE0ELb0ES3_N6thrust23THRUST_200600_302600_NS6detail15normal_iteratorINS9_10device_ptrIxEEEENS9_18transform_iteratorINS9_6negateIxEESE_NS9_11use_defaultESI_EESE_xNS9_4plusIvEENS9_8equal_toIvEExEE10hipError_tPvRmT2_T3_T4_T5_mT6_T7_P12ihipStream_tbENKUlT_T0_E_clISt17integral_constantIbLb1EES13_IbLb0EEEEDaSZ_S10_EUlSZ_E_NS1_11comp_targetILNS1_3genE8ELNS1_11target_archE1030ELNS1_3gpuE2ELNS1_3repE0EEENS1_30default_config_static_selectorELNS0_4arch9wavefront6targetE1EEEvT1_,comdat
	.protected	_ZN7rocprim17ROCPRIM_400000_NS6detail17trampoline_kernelINS0_14default_configENS1_27scan_by_key_config_selectorIxxEEZZNS1_16scan_by_key_implILNS1_25lookback_scan_determinismE0ELb0ES3_N6thrust23THRUST_200600_302600_NS6detail15normal_iteratorINS9_10device_ptrIxEEEENS9_18transform_iteratorINS9_6negateIxEESE_NS9_11use_defaultESI_EESE_xNS9_4plusIvEENS9_8equal_toIvEExEE10hipError_tPvRmT2_T3_T4_T5_mT6_T7_P12ihipStream_tbENKUlT_T0_E_clISt17integral_constantIbLb1EES13_IbLb0EEEEDaSZ_S10_EUlSZ_E_NS1_11comp_targetILNS1_3genE8ELNS1_11target_archE1030ELNS1_3gpuE2ELNS1_3repE0EEENS1_30default_config_static_selectorELNS0_4arch9wavefront6targetE1EEEvT1_ ; -- Begin function _ZN7rocprim17ROCPRIM_400000_NS6detail17trampoline_kernelINS0_14default_configENS1_27scan_by_key_config_selectorIxxEEZZNS1_16scan_by_key_implILNS1_25lookback_scan_determinismE0ELb0ES3_N6thrust23THRUST_200600_302600_NS6detail15normal_iteratorINS9_10device_ptrIxEEEENS9_18transform_iteratorINS9_6negateIxEESE_NS9_11use_defaultESI_EESE_xNS9_4plusIvEENS9_8equal_toIvEExEE10hipError_tPvRmT2_T3_T4_T5_mT6_T7_P12ihipStream_tbENKUlT_T0_E_clISt17integral_constantIbLb1EES13_IbLb0EEEEDaSZ_S10_EUlSZ_E_NS1_11comp_targetILNS1_3genE8ELNS1_11target_archE1030ELNS1_3gpuE2ELNS1_3repE0EEENS1_30default_config_static_selectorELNS0_4arch9wavefront6targetE1EEEvT1_
	.globl	_ZN7rocprim17ROCPRIM_400000_NS6detail17trampoline_kernelINS0_14default_configENS1_27scan_by_key_config_selectorIxxEEZZNS1_16scan_by_key_implILNS1_25lookback_scan_determinismE0ELb0ES3_N6thrust23THRUST_200600_302600_NS6detail15normal_iteratorINS9_10device_ptrIxEEEENS9_18transform_iteratorINS9_6negateIxEESE_NS9_11use_defaultESI_EESE_xNS9_4plusIvEENS9_8equal_toIvEExEE10hipError_tPvRmT2_T3_T4_T5_mT6_T7_P12ihipStream_tbENKUlT_T0_E_clISt17integral_constantIbLb1EES13_IbLb0EEEEDaSZ_S10_EUlSZ_E_NS1_11comp_targetILNS1_3genE8ELNS1_11target_archE1030ELNS1_3gpuE2ELNS1_3repE0EEENS1_30default_config_static_selectorELNS0_4arch9wavefront6targetE1EEEvT1_
	.p2align	8
	.type	_ZN7rocprim17ROCPRIM_400000_NS6detail17trampoline_kernelINS0_14default_configENS1_27scan_by_key_config_selectorIxxEEZZNS1_16scan_by_key_implILNS1_25lookback_scan_determinismE0ELb0ES3_N6thrust23THRUST_200600_302600_NS6detail15normal_iteratorINS9_10device_ptrIxEEEENS9_18transform_iteratorINS9_6negateIxEESE_NS9_11use_defaultESI_EESE_xNS9_4plusIvEENS9_8equal_toIvEExEE10hipError_tPvRmT2_T3_T4_T5_mT6_T7_P12ihipStream_tbENKUlT_T0_E_clISt17integral_constantIbLb1EES13_IbLb0EEEEDaSZ_S10_EUlSZ_E_NS1_11comp_targetILNS1_3genE8ELNS1_11target_archE1030ELNS1_3gpuE2ELNS1_3repE0EEENS1_30default_config_static_selectorELNS0_4arch9wavefront6targetE1EEEvT1_,@function
_ZN7rocprim17ROCPRIM_400000_NS6detail17trampoline_kernelINS0_14default_configENS1_27scan_by_key_config_selectorIxxEEZZNS1_16scan_by_key_implILNS1_25lookback_scan_determinismE0ELb0ES3_N6thrust23THRUST_200600_302600_NS6detail15normal_iteratorINS9_10device_ptrIxEEEENS9_18transform_iteratorINS9_6negateIxEESE_NS9_11use_defaultESI_EESE_xNS9_4plusIvEENS9_8equal_toIvEExEE10hipError_tPvRmT2_T3_T4_T5_mT6_T7_P12ihipStream_tbENKUlT_T0_E_clISt17integral_constantIbLb1EES13_IbLb0EEEEDaSZ_S10_EUlSZ_E_NS1_11comp_targetILNS1_3genE8ELNS1_11target_archE1030ELNS1_3gpuE2ELNS1_3repE0EEENS1_30default_config_static_selectorELNS0_4arch9wavefront6targetE1EEEvT1_: ; @_ZN7rocprim17ROCPRIM_400000_NS6detail17trampoline_kernelINS0_14default_configENS1_27scan_by_key_config_selectorIxxEEZZNS1_16scan_by_key_implILNS1_25lookback_scan_determinismE0ELb0ES3_N6thrust23THRUST_200600_302600_NS6detail15normal_iteratorINS9_10device_ptrIxEEEENS9_18transform_iteratorINS9_6negateIxEESE_NS9_11use_defaultESI_EESE_xNS9_4plusIvEENS9_8equal_toIvEExEE10hipError_tPvRmT2_T3_T4_T5_mT6_T7_P12ihipStream_tbENKUlT_T0_E_clISt17integral_constantIbLb1EES13_IbLb0EEEEDaSZ_S10_EUlSZ_E_NS1_11comp_targetILNS1_3genE8ELNS1_11target_archE1030ELNS1_3gpuE2ELNS1_3repE0EEENS1_30default_config_static_selectorELNS0_4arch9wavefront6targetE1EEEvT1_
; %bb.0:
	.section	.rodata,"a",@progbits
	.p2align	6, 0x0
	.amdhsa_kernel _ZN7rocprim17ROCPRIM_400000_NS6detail17trampoline_kernelINS0_14default_configENS1_27scan_by_key_config_selectorIxxEEZZNS1_16scan_by_key_implILNS1_25lookback_scan_determinismE0ELb0ES3_N6thrust23THRUST_200600_302600_NS6detail15normal_iteratorINS9_10device_ptrIxEEEENS9_18transform_iteratorINS9_6negateIxEESE_NS9_11use_defaultESI_EESE_xNS9_4plusIvEENS9_8equal_toIvEExEE10hipError_tPvRmT2_T3_T4_T5_mT6_T7_P12ihipStream_tbENKUlT_T0_E_clISt17integral_constantIbLb1EES13_IbLb0EEEEDaSZ_S10_EUlSZ_E_NS1_11comp_targetILNS1_3genE8ELNS1_11target_archE1030ELNS1_3gpuE2ELNS1_3repE0EEENS1_30default_config_static_selectorELNS0_4arch9wavefront6targetE1EEEvT1_
		.amdhsa_group_segment_fixed_size 0
		.amdhsa_private_segment_fixed_size 0
		.amdhsa_kernarg_size 144
		.amdhsa_user_sgpr_count 6
		.amdhsa_user_sgpr_private_segment_buffer 1
		.amdhsa_user_sgpr_dispatch_ptr 0
		.amdhsa_user_sgpr_queue_ptr 0
		.amdhsa_user_sgpr_kernarg_segment_ptr 1
		.amdhsa_user_sgpr_dispatch_id 0
		.amdhsa_user_sgpr_flat_scratch_init 0
		.amdhsa_user_sgpr_kernarg_preload_length 0
		.amdhsa_user_sgpr_kernarg_preload_offset 0
		.amdhsa_user_sgpr_private_segment_size 0
		.amdhsa_uses_dynamic_stack 0
		.amdhsa_system_sgpr_private_segment_wavefront_offset 0
		.amdhsa_system_sgpr_workgroup_id_x 1
		.amdhsa_system_sgpr_workgroup_id_y 0
		.amdhsa_system_sgpr_workgroup_id_z 0
		.amdhsa_system_sgpr_workgroup_info 0
		.amdhsa_system_vgpr_workitem_id 0
		.amdhsa_next_free_vgpr 1
		.amdhsa_next_free_sgpr 0
		.amdhsa_accum_offset 4
		.amdhsa_reserve_vcc 0
		.amdhsa_reserve_flat_scratch 0
		.amdhsa_float_round_mode_32 0
		.amdhsa_float_round_mode_16_64 0
		.amdhsa_float_denorm_mode_32 3
		.amdhsa_float_denorm_mode_16_64 3
		.amdhsa_dx10_clamp 1
		.amdhsa_ieee_mode 1
		.amdhsa_fp16_overflow 0
		.amdhsa_tg_split 0
		.amdhsa_exception_fp_ieee_invalid_op 0
		.amdhsa_exception_fp_denorm_src 0
		.amdhsa_exception_fp_ieee_div_zero 0
		.amdhsa_exception_fp_ieee_overflow 0
		.amdhsa_exception_fp_ieee_underflow 0
		.amdhsa_exception_fp_ieee_inexact 0
		.amdhsa_exception_int_div_zero 0
	.end_amdhsa_kernel
	.section	.text._ZN7rocprim17ROCPRIM_400000_NS6detail17trampoline_kernelINS0_14default_configENS1_27scan_by_key_config_selectorIxxEEZZNS1_16scan_by_key_implILNS1_25lookback_scan_determinismE0ELb0ES3_N6thrust23THRUST_200600_302600_NS6detail15normal_iteratorINS9_10device_ptrIxEEEENS9_18transform_iteratorINS9_6negateIxEESE_NS9_11use_defaultESI_EESE_xNS9_4plusIvEENS9_8equal_toIvEExEE10hipError_tPvRmT2_T3_T4_T5_mT6_T7_P12ihipStream_tbENKUlT_T0_E_clISt17integral_constantIbLb1EES13_IbLb0EEEEDaSZ_S10_EUlSZ_E_NS1_11comp_targetILNS1_3genE8ELNS1_11target_archE1030ELNS1_3gpuE2ELNS1_3repE0EEENS1_30default_config_static_selectorELNS0_4arch9wavefront6targetE1EEEvT1_,"axG",@progbits,_ZN7rocprim17ROCPRIM_400000_NS6detail17trampoline_kernelINS0_14default_configENS1_27scan_by_key_config_selectorIxxEEZZNS1_16scan_by_key_implILNS1_25lookback_scan_determinismE0ELb0ES3_N6thrust23THRUST_200600_302600_NS6detail15normal_iteratorINS9_10device_ptrIxEEEENS9_18transform_iteratorINS9_6negateIxEESE_NS9_11use_defaultESI_EESE_xNS9_4plusIvEENS9_8equal_toIvEExEE10hipError_tPvRmT2_T3_T4_T5_mT6_T7_P12ihipStream_tbENKUlT_T0_E_clISt17integral_constantIbLb1EES13_IbLb0EEEEDaSZ_S10_EUlSZ_E_NS1_11comp_targetILNS1_3genE8ELNS1_11target_archE1030ELNS1_3gpuE2ELNS1_3repE0EEENS1_30default_config_static_selectorELNS0_4arch9wavefront6targetE1EEEvT1_,comdat
.Lfunc_end919:
	.size	_ZN7rocprim17ROCPRIM_400000_NS6detail17trampoline_kernelINS0_14default_configENS1_27scan_by_key_config_selectorIxxEEZZNS1_16scan_by_key_implILNS1_25lookback_scan_determinismE0ELb0ES3_N6thrust23THRUST_200600_302600_NS6detail15normal_iteratorINS9_10device_ptrIxEEEENS9_18transform_iteratorINS9_6negateIxEESE_NS9_11use_defaultESI_EESE_xNS9_4plusIvEENS9_8equal_toIvEExEE10hipError_tPvRmT2_T3_T4_T5_mT6_T7_P12ihipStream_tbENKUlT_T0_E_clISt17integral_constantIbLb1EES13_IbLb0EEEEDaSZ_S10_EUlSZ_E_NS1_11comp_targetILNS1_3genE8ELNS1_11target_archE1030ELNS1_3gpuE2ELNS1_3repE0EEENS1_30default_config_static_selectorELNS0_4arch9wavefront6targetE1EEEvT1_, .Lfunc_end919-_ZN7rocprim17ROCPRIM_400000_NS6detail17trampoline_kernelINS0_14default_configENS1_27scan_by_key_config_selectorIxxEEZZNS1_16scan_by_key_implILNS1_25lookback_scan_determinismE0ELb0ES3_N6thrust23THRUST_200600_302600_NS6detail15normal_iteratorINS9_10device_ptrIxEEEENS9_18transform_iteratorINS9_6negateIxEESE_NS9_11use_defaultESI_EESE_xNS9_4plusIvEENS9_8equal_toIvEExEE10hipError_tPvRmT2_T3_T4_T5_mT6_T7_P12ihipStream_tbENKUlT_T0_E_clISt17integral_constantIbLb1EES13_IbLb0EEEEDaSZ_S10_EUlSZ_E_NS1_11comp_targetILNS1_3genE8ELNS1_11target_archE1030ELNS1_3gpuE2ELNS1_3repE0EEENS1_30default_config_static_selectorELNS0_4arch9wavefront6targetE1EEEvT1_
                                        ; -- End function
	.section	.AMDGPU.csdata,"",@progbits
; Kernel info:
; codeLenInByte = 0
; NumSgprs: 4
; NumVgprs: 0
; NumAgprs: 0
; TotalNumVgprs: 0
; ScratchSize: 0
; MemoryBound: 0
; FloatMode: 240
; IeeeMode: 1
; LDSByteSize: 0 bytes/workgroup (compile time only)
; SGPRBlocks: 0
; VGPRBlocks: 0
; NumSGPRsForWavesPerEU: 4
; NumVGPRsForWavesPerEU: 1
; AccumOffset: 4
; Occupancy: 8
; WaveLimiterHint : 0
; COMPUTE_PGM_RSRC2:SCRATCH_EN: 0
; COMPUTE_PGM_RSRC2:USER_SGPR: 6
; COMPUTE_PGM_RSRC2:TRAP_HANDLER: 0
; COMPUTE_PGM_RSRC2:TGID_X_EN: 1
; COMPUTE_PGM_RSRC2:TGID_Y_EN: 0
; COMPUTE_PGM_RSRC2:TGID_Z_EN: 0
; COMPUTE_PGM_RSRC2:TIDIG_COMP_CNT: 0
; COMPUTE_PGM_RSRC3_GFX90A:ACCUM_OFFSET: 0
; COMPUTE_PGM_RSRC3_GFX90A:TG_SPLIT: 0
	.section	.text._ZN7rocprim17ROCPRIM_400000_NS6detail17trampoline_kernelINS0_14default_configENS1_27scan_by_key_config_selectorIxxEEZZNS1_16scan_by_key_implILNS1_25lookback_scan_determinismE0ELb0ES3_N6thrust23THRUST_200600_302600_NS6detail15normal_iteratorINS9_10device_ptrIxEEEENS9_18transform_iteratorINS9_6negateIxEESE_NS9_11use_defaultESI_EESE_xNS9_4plusIvEENS9_8equal_toIvEExEE10hipError_tPvRmT2_T3_T4_T5_mT6_T7_P12ihipStream_tbENKUlT_T0_E_clISt17integral_constantIbLb0EES13_IbLb1EEEEDaSZ_S10_EUlSZ_E_NS1_11comp_targetILNS1_3genE0ELNS1_11target_archE4294967295ELNS1_3gpuE0ELNS1_3repE0EEENS1_30default_config_static_selectorELNS0_4arch9wavefront6targetE1EEEvT1_,"axG",@progbits,_ZN7rocprim17ROCPRIM_400000_NS6detail17trampoline_kernelINS0_14default_configENS1_27scan_by_key_config_selectorIxxEEZZNS1_16scan_by_key_implILNS1_25lookback_scan_determinismE0ELb0ES3_N6thrust23THRUST_200600_302600_NS6detail15normal_iteratorINS9_10device_ptrIxEEEENS9_18transform_iteratorINS9_6negateIxEESE_NS9_11use_defaultESI_EESE_xNS9_4plusIvEENS9_8equal_toIvEExEE10hipError_tPvRmT2_T3_T4_T5_mT6_T7_P12ihipStream_tbENKUlT_T0_E_clISt17integral_constantIbLb0EES13_IbLb1EEEEDaSZ_S10_EUlSZ_E_NS1_11comp_targetILNS1_3genE0ELNS1_11target_archE4294967295ELNS1_3gpuE0ELNS1_3repE0EEENS1_30default_config_static_selectorELNS0_4arch9wavefront6targetE1EEEvT1_,comdat
	.protected	_ZN7rocprim17ROCPRIM_400000_NS6detail17trampoline_kernelINS0_14default_configENS1_27scan_by_key_config_selectorIxxEEZZNS1_16scan_by_key_implILNS1_25lookback_scan_determinismE0ELb0ES3_N6thrust23THRUST_200600_302600_NS6detail15normal_iteratorINS9_10device_ptrIxEEEENS9_18transform_iteratorINS9_6negateIxEESE_NS9_11use_defaultESI_EESE_xNS9_4plusIvEENS9_8equal_toIvEExEE10hipError_tPvRmT2_T3_T4_T5_mT6_T7_P12ihipStream_tbENKUlT_T0_E_clISt17integral_constantIbLb0EES13_IbLb1EEEEDaSZ_S10_EUlSZ_E_NS1_11comp_targetILNS1_3genE0ELNS1_11target_archE4294967295ELNS1_3gpuE0ELNS1_3repE0EEENS1_30default_config_static_selectorELNS0_4arch9wavefront6targetE1EEEvT1_ ; -- Begin function _ZN7rocprim17ROCPRIM_400000_NS6detail17trampoline_kernelINS0_14default_configENS1_27scan_by_key_config_selectorIxxEEZZNS1_16scan_by_key_implILNS1_25lookback_scan_determinismE0ELb0ES3_N6thrust23THRUST_200600_302600_NS6detail15normal_iteratorINS9_10device_ptrIxEEEENS9_18transform_iteratorINS9_6negateIxEESE_NS9_11use_defaultESI_EESE_xNS9_4plusIvEENS9_8equal_toIvEExEE10hipError_tPvRmT2_T3_T4_T5_mT6_T7_P12ihipStream_tbENKUlT_T0_E_clISt17integral_constantIbLb0EES13_IbLb1EEEEDaSZ_S10_EUlSZ_E_NS1_11comp_targetILNS1_3genE0ELNS1_11target_archE4294967295ELNS1_3gpuE0ELNS1_3repE0EEENS1_30default_config_static_selectorELNS0_4arch9wavefront6targetE1EEEvT1_
	.globl	_ZN7rocprim17ROCPRIM_400000_NS6detail17trampoline_kernelINS0_14default_configENS1_27scan_by_key_config_selectorIxxEEZZNS1_16scan_by_key_implILNS1_25lookback_scan_determinismE0ELb0ES3_N6thrust23THRUST_200600_302600_NS6detail15normal_iteratorINS9_10device_ptrIxEEEENS9_18transform_iteratorINS9_6negateIxEESE_NS9_11use_defaultESI_EESE_xNS9_4plusIvEENS9_8equal_toIvEExEE10hipError_tPvRmT2_T3_T4_T5_mT6_T7_P12ihipStream_tbENKUlT_T0_E_clISt17integral_constantIbLb0EES13_IbLb1EEEEDaSZ_S10_EUlSZ_E_NS1_11comp_targetILNS1_3genE0ELNS1_11target_archE4294967295ELNS1_3gpuE0ELNS1_3repE0EEENS1_30default_config_static_selectorELNS0_4arch9wavefront6targetE1EEEvT1_
	.p2align	8
	.type	_ZN7rocprim17ROCPRIM_400000_NS6detail17trampoline_kernelINS0_14default_configENS1_27scan_by_key_config_selectorIxxEEZZNS1_16scan_by_key_implILNS1_25lookback_scan_determinismE0ELb0ES3_N6thrust23THRUST_200600_302600_NS6detail15normal_iteratorINS9_10device_ptrIxEEEENS9_18transform_iteratorINS9_6negateIxEESE_NS9_11use_defaultESI_EESE_xNS9_4plusIvEENS9_8equal_toIvEExEE10hipError_tPvRmT2_T3_T4_T5_mT6_T7_P12ihipStream_tbENKUlT_T0_E_clISt17integral_constantIbLb0EES13_IbLb1EEEEDaSZ_S10_EUlSZ_E_NS1_11comp_targetILNS1_3genE0ELNS1_11target_archE4294967295ELNS1_3gpuE0ELNS1_3repE0EEENS1_30default_config_static_selectorELNS0_4arch9wavefront6targetE1EEEvT1_,@function
_ZN7rocprim17ROCPRIM_400000_NS6detail17trampoline_kernelINS0_14default_configENS1_27scan_by_key_config_selectorIxxEEZZNS1_16scan_by_key_implILNS1_25lookback_scan_determinismE0ELb0ES3_N6thrust23THRUST_200600_302600_NS6detail15normal_iteratorINS9_10device_ptrIxEEEENS9_18transform_iteratorINS9_6negateIxEESE_NS9_11use_defaultESI_EESE_xNS9_4plusIvEENS9_8equal_toIvEExEE10hipError_tPvRmT2_T3_T4_T5_mT6_T7_P12ihipStream_tbENKUlT_T0_E_clISt17integral_constantIbLb0EES13_IbLb1EEEEDaSZ_S10_EUlSZ_E_NS1_11comp_targetILNS1_3genE0ELNS1_11target_archE4294967295ELNS1_3gpuE0ELNS1_3repE0EEENS1_30default_config_static_selectorELNS0_4arch9wavefront6targetE1EEEvT1_: ; @_ZN7rocprim17ROCPRIM_400000_NS6detail17trampoline_kernelINS0_14default_configENS1_27scan_by_key_config_selectorIxxEEZZNS1_16scan_by_key_implILNS1_25lookback_scan_determinismE0ELb0ES3_N6thrust23THRUST_200600_302600_NS6detail15normal_iteratorINS9_10device_ptrIxEEEENS9_18transform_iteratorINS9_6negateIxEESE_NS9_11use_defaultESI_EESE_xNS9_4plusIvEENS9_8equal_toIvEExEE10hipError_tPvRmT2_T3_T4_T5_mT6_T7_P12ihipStream_tbENKUlT_T0_E_clISt17integral_constantIbLb0EES13_IbLb1EEEEDaSZ_S10_EUlSZ_E_NS1_11comp_targetILNS1_3genE0ELNS1_11target_archE4294967295ELNS1_3gpuE0ELNS1_3repE0EEENS1_30default_config_static_selectorELNS0_4arch9wavefront6targetE1EEEvT1_
; %bb.0:
	.section	.rodata,"a",@progbits
	.p2align	6, 0x0
	.amdhsa_kernel _ZN7rocprim17ROCPRIM_400000_NS6detail17trampoline_kernelINS0_14default_configENS1_27scan_by_key_config_selectorIxxEEZZNS1_16scan_by_key_implILNS1_25lookback_scan_determinismE0ELb0ES3_N6thrust23THRUST_200600_302600_NS6detail15normal_iteratorINS9_10device_ptrIxEEEENS9_18transform_iteratorINS9_6negateIxEESE_NS9_11use_defaultESI_EESE_xNS9_4plusIvEENS9_8equal_toIvEExEE10hipError_tPvRmT2_T3_T4_T5_mT6_T7_P12ihipStream_tbENKUlT_T0_E_clISt17integral_constantIbLb0EES13_IbLb1EEEEDaSZ_S10_EUlSZ_E_NS1_11comp_targetILNS1_3genE0ELNS1_11target_archE4294967295ELNS1_3gpuE0ELNS1_3repE0EEENS1_30default_config_static_selectorELNS0_4arch9wavefront6targetE1EEEvT1_
		.amdhsa_group_segment_fixed_size 0
		.amdhsa_private_segment_fixed_size 0
		.amdhsa_kernarg_size 144
		.amdhsa_user_sgpr_count 6
		.amdhsa_user_sgpr_private_segment_buffer 1
		.amdhsa_user_sgpr_dispatch_ptr 0
		.amdhsa_user_sgpr_queue_ptr 0
		.amdhsa_user_sgpr_kernarg_segment_ptr 1
		.amdhsa_user_sgpr_dispatch_id 0
		.amdhsa_user_sgpr_flat_scratch_init 0
		.amdhsa_user_sgpr_kernarg_preload_length 0
		.amdhsa_user_sgpr_kernarg_preload_offset 0
		.amdhsa_user_sgpr_private_segment_size 0
		.amdhsa_uses_dynamic_stack 0
		.amdhsa_system_sgpr_private_segment_wavefront_offset 0
		.amdhsa_system_sgpr_workgroup_id_x 1
		.amdhsa_system_sgpr_workgroup_id_y 0
		.amdhsa_system_sgpr_workgroup_id_z 0
		.amdhsa_system_sgpr_workgroup_info 0
		.amdhsa_system_vgpr_workitem_id 0
		.amdhsa_next_free_vgpr 1
		.amdhsa_next_free_sgpr 0
		.amdhsa_accum_offset 4
		.amdhsa_reserve_vcc 0
		.amdhsa_reserve_flat_scratch 0
		.amdhsa_float_round_mode_32 0
		.amdhsa_float_round_mode_16_64 0
		.amdhsa_float_denorm_mode_32 3
		.amdhsa_float_denorm_mode_16_64 3
		.amdhsa_dx10_clamp 1
		.amdhsa_ieee_mode 1
		.amdhsa_fp16_overflow 0
		.amdhsa_tg_split 0
		.amdhsa_exception_fp_ieee_invalid_op 0
		.amdhsa_exception_fp_denorm_src 0
		.amdhsa_exception_fp_ieee_div_zero 0
		.amdhsa_exception_fp_ieee_overflow 0
		.amdhsa_exception_fp_ieee_underflow 0
		.amdhsa_exception_fp_ieee_inexact 0
		.amdhsa_exception_int_div_zero 0
	.end_amdhsa_kernel
	.section	.text._ZN7rocprim17ROCPRIM_400000_NS6detail17trampoline_kernelINS0_14default_configENS1_27scan_by_key_config_selectorIxxEEZZNS1_16scan_by_key_implILNS1_25lookback_scan_determinismE0ELb0ES3_N6thrust23THRUST_200600_302600_NS6detail15normal_iteratorINS9_10device_ptrIxEEEENS9_18transform_iteratorINS9_6negateIxEESE_NS9_11use_defaultESI_EESE_xNS9_4plusIvEENS9_8equal_toIvEExEE10hipError_tPvRmT2_T3_T4_T5_mT6_T7_P12ihipStream_tbENKUlT_T0_E_clISt17integral_constantIbLb0EES13_IbLb1EEEEDaSZ_S10_EUlSZ_E_NS1_11comp_targetILNS1_3genE0ELNS1_11target_archE4294967295ELNS1_3gpuE0ELNS1_3repE0EEENS1_30default_config_static_selectorELNS0_4arch9wavefront6targetE1EEEvT1_,"axG",@progbits,_ZN7rocprim17ROCPRIM_400000_NS6detail17trampoline_kernelINS0_14default_configENS1_27scan_by_key_config_selectorIxxEEZZNS1_16scan_by_key_implILNS1_25lookback_scan_determinismE0ELb0ES3_N6thrust23THRUST_200600_302600_NS6detail15normal_iteratorINS9_10device_ptrIxEEEENS9_18transform_iteratorINS9_6negateIxEESE_NS9_11use_defaultESI_EESE_xNS9_4plusIvEENS9_8equal_toIvEExEE10hipError_tPvRmT2_T3_T4_T5_mT6_T7_P12ihipStream_tbENKUlT_T0_E_clISt17integral_constantIbLb0EES13_IbLb1EEEEDaSZ_S10_EUlSZ_E_NS1_11comp_targetILNS1_3genE0ELNS1_11target_archE4294967295ELNS1_3gpuE0ELNS1_3repE0EEENS1_30default_config_static_selectorELNS0_4arch9wavefront6targetE1EEEvT1_,comdat
.Lfunc_end920:
	.size	_ZN7rocprim17ROCPRIM_400000_NS6detail17trampoline_kernelINS0_14default_configENS1_27scan_by_key_config_selectorIxxEEZZNS1_16scan_by_key_implILNS1_25lookback_scan_determinismE0ELb0ES3_N6thrust23THRUST_200600_302600_NS6detail15normal_iteratorINS9_10device_ptrIxEEEENS9_18transform_iteratorINS9_6negateIxEESE_NS9_11use_defaultESI_EESE_xNS9_4plusIvEENS9_8equal_toIvEExEE10hipError_tPvRmT2_T3_T4_T5_mT6_T7_P12ihipStream_tbENKUlT_T0_E_clISt17integral_constantIbLb0EES13_IbLb1EEEEDaSZ_S10_EUlSZ_E_NS1_11comp_targetILNS1_3genE0ELNS1_11target_archE4294967295ELNS1_3gpuE0ELNS1_3repE0EEENS1_30default_config_static_selectorELNS0_4arch9wavefront6targetE1EEEvT1_, .Lfunc_end920-_ZN7rocprim17ROCPRIM_400000_NS6detail17trampoline_kernelINS0_14default_configENS1_27scan_by_key_config_selectorIxxEEZZNS1_16scan_by_key_implILNS1_25lookback_scan_determinismE0ELb0ES3_N6thrust23THRUST_200600_302600_NS6detail15normal_iteratorINS9_10device_ptrIxEEEENS9_18transform_iteratorINS9_6negateIxEESE_NS9_11use_defaultESI_EESE_xNS9_4plusIvEENS9_8equal_toIvEExEE10hipError_tPvRmT2_T3_T4_T5_mT6_T7_P12ihipStream_tbENKUlT_T0_E_clISt17integral_constantIbLb0EES13_IbLb1EEEEDaSZ_S10_EUlSZ_E_NS1_11comp_targetILNS1_3genE0ELNS1_11target_archE4294967295ELNS1_3gpuE0ELNS1_3repE0EEENS1_30default_config_static_selectorELNS0_4arch9wavefront6targetE1EEEvT1_
                                        ; -- End function
	.section	.AMDGPU.csdata,"",@progbits
; Kernel info:
; codeLenInByte = 0
; NumSgprs: 4
; NumVgprs: 0
; NumAgprs: 0
; TotalNumVgprs: 0
; ScratchSize: 0
; MemoryBound: 0
; FloatMode: 240
; IeeeMode: 1
; LDSByteSize: 0 bytes/workgroup (compile time only)
; SGPRBlocks: 0
; VGPRBlocks: 0
; NumSGPRsForWavesPerEU: 4
; NumVGPRsForWavesPerEU: 1
; AccumOffset: 4
; Occupancy: 8
; WaveLimiterHint : 0
; COMPUTE_PGM_RSRC2:SCRATCH_EN: 0
; COMPUTE_PGM_RSRC2:USER_SGPR: 6
; COMPUTE_PGM_RSRC2:TRAP_HANDLER: 0
; COMPUTE_PGM_RSRC2:TGID_X_EN: 1
; COMPUTE_PGM_RSRC2:TGID_Y_EN: 0
; COMPUTE_PGM_RSRC2:TGID_Z_EN: 0
; COMPUTE_PGM_RSRC2:TIDIG_COMP_CNT: 0
; COMPUTE_PGM_RSRC3_GFX90A:ACCUM_OFFSET: 0
; COMPUTE_PGM_RSRC3_GFX90A:TG_SPLIT: 0
	.section	.text._ZN7rocprim17ROCPRIM_400000_NS6detail17trampoline_kernelINS0_14default_configENS1_27scan_by_key_config_selectorIxxEEZZNS1_16scan_by_key_implILNS1_25lookback_scan_determinismE0ELb0ES3_N6thrust23THRUST_200600_302600_NS6detail15normal_iteratorINS9_10device_ptrIxEEEENS9_18transform_iteratorINS9_6negateIxEESE_NS9_11use_defaultESI_EESE_xNS9_4plusIvEENS9_8equal_toIvEExEE10hipError_tPvRmT2_T3_T4_T5_mT6_T7_P12ihipStream_tbENKUlT_T0_E_clISt17integral_constantIbLb0EES13_IbLb1EEEEDaSZ_S10_EUlSZ_E_NS1_11comp_targetILNS1_3genE10ELNS1_11target_archE1201ELNS1_3gpuE5ELNS1_3repE0EEENS1_30default_config_static_selectorELNS0_4arch9wavefront6targetE1EEEvT1_,"axG",@progbits,_ZN7rocprim17ROCPRIM_400000_NS6detail17trampoline_kernelINS0_14default_configENS1_27scan_by_key_config_selectorIxxEEZZNS1_16scan_by_key_implILNS1_25lookback_scan_determinismE0ELb0ES3_N6thrust23THRUST_200600_302600_NS6detail15normal_iteratorINS9_10device_ptrIxEEEENS9_18transform_iteratorINS9_6negateIxEESE_NS9_11use_defaultESI_EESE_xNS9_4plusIvEENS9_8equal_toIvEExEE10hipError_tPvRmT2_T3_T4_T5_mT6_T7_P12ihipStream_tbENKUlT_T0_E_clISt17integral_constantIbLb0EES13_IbLb1EEEEDaSZ_S10_EUlSZ_E_NS1_11comp_targetILNS1_3genE10ELNS1_11target_archE1201ELNS1_3gpuE5ELNS1_3repE0EEENS1_30default_config_static_selectorELNS0_4arch9wavefront6targetE1EEEvT1_,comdat
	.protected	_ZN7rocprim17ROCPRIM_400000_NS6detail17trampoline_kernelINS0_14default_configENS1_27scan_by_key_config_selectorIxxEEZZNS1_16scan_by_key_implILNS1_25lookback_scan_determinismE0ELb0ES3_N6thrust23THRUST_200600_302600_NS6detail15normal_iteratorINS9_10device_ptrIxEEEENS9_18transform_iteratorINS9_6negateIxEESE_NS9_11use_defaultESI_EESE_xNS9_4plusIvEENS9_8equal_toIvEExEE10hipError_tPvRmT2_T3_T4_T5_mT6_T7_P12ihipStream_tbENKUlT_T0_E_clISt17integral_constantIbLb0EES13_IbLb1EEEEDaSZ_S10_EUlSZ_E_NS1_11comp_targetILNS1_3genE10ELNS1_11target_archE1201ELNS1_3gpuE5ELNS1_3repE0EEENS1_30default_config_static_selectorELNS0_4arch9wavefront6targetE1EEEvT1_ ; -- Begin function _ZN7rocprim17ROCPRIM_400000_NS6detail17trampoline_kernelINS0_14default_configENS1_27scan_by_key_config_selectorIxxEEZZNS1_16scan_by_key_implILNS1_25lookback_scan_determinismE0ELb0ES3_N6thrust23THRUST_200600_302600_NS6detail15normal_iteratorINS9_10device_ptrIxEEEENS9_18transform_iteratorINS9_6negateIxEESE_NS9_11use_defaultESI_EESE_xNS9_4plusIvEENS9_8equal_toIvEExEE10hipError_tPvRmT2_T3_T4_T5_mT6_T7_P12ihipStream_tbENKUlT_T0_E_clISt17integral_constantIbLb0EES13_IbLb1EEEEDaSZ_S10_EUlSZ_E_NS1_11comp_targetILNS1_3genE10ELNS1_11target_archE1201ELNS1_3gpuE5ELNS1_3repE0EEENS1_30default_config_static_selectorELNS0_4arch9wavefront6targetE1EEEvT1_
	.globl	_ZN7rocprim17ROCPRIM_400000_NS6detail17trampoline_kernelINS0_14default_configENS1_27scan_by_key_config_selectorIxxEEZZNS1_16scan_by_key_implILNS1_25lookback_scan_determinismE0ELb0ES3_N6thrust23THRUST_200600_302600_NS6detail15normal_iteratorINS9_10device_ptrIxEEEENS9_18transform_iteratorINS9_6negateIxEESE_NS9_11use_defaultESI_EESE_xNS9_4plusIvEENS9_8equal_toIvEExEE10hipError_tPvRmT2_T3_T4_T5_mT6_T7_P12ihipStream_tbENKUlT_T0_E_clISt17integral_constantIbLb0EES13_IbLb1EEEEDaSZ_S10_EUlSZ_E_NS1_11comp_targetILNS1_3genE10ELNS1_11target_archE1201ELNS1_3gpuE5ELNS1_3repE0EEENS1_30default_config_static_selectorELNS0_4arch9wavefront6targetE1EEEvT1_
	.p2align	8
	.type	_ZN7rocprim17ROCPRIM_400000_NS6detail17trampoline_kernelINS0_14default_configENS1_27scan_by_key_config_selectorIxxEEZZNS1_16scan_by_key_implILNS1_25lookback_scan_determinismE0ELb0ES3_N6thrust23THRUST_200600_302600_NS6detail15normal_iteratorINS9_10device_ptrIxEEEENS9_18transform_iteratorINS9_6negateIxEESE_NS9_11use_defaultESI_EESE_xNS9_4plusIvEENS9_8equal_toIvEExEE10hipError_tPvRmT2_T3_T4_T5_mT6_T7_P12ihipStream_tbENKUlT_T0_E_clISt17integral_constantIbLb0EES13_IbLb1EEEEDaSZ_S10_EUlSZ_E_NS1_11comp_targetILNS1_3genE10ELNS1_11target_archE1201ELNS1_3gpuE5ELNS1_3repE0EEENS1_30default_config_static_selectorELNS0_4arch9wavefront6targetE1EEEvT1_,@function
_ZN7rocprim17ROCPRIM_400000_NS6detail17trampoline_kernelINS0_14default_configENS1_27scan_by_key_config_selectorIxxEEZZNS1_16scan_by_key_implILNS1_25lookback_scan_determinismE0ELb0ES3_N6thrust23THRUST_200600_302600_NS6detail15normal_iteratorINS9_10device_ptrIxEEEENS9_18transform_iteratorINS9_6negateIxEESE_NS9_11use_defaultESI_EESE_xNS9_4plusIvEENS9_8equal_toIvEExEE10hipError_tPvRmT2_T3_T4_T5_mT6_T7_P12ihipStream_tbENKUlT_T0_E_clISt17integral_constantIbLb0EES13_IbLb1EEEEDaSZ_S10_EUlSZ_E_NS1_11comp_targetILNS1_3genE10ELNS1_11target_archE1201ELNS1_3gpuE5ELNS1_3repE0EEENS1_30default_config_static_selectorELNS0_4arch9wavefront6targetE1EEEvT1_: ; @_ZN7rocprim17ROCPRIM_400000_NS6detail17trampoline_kernelINS0_14default_configENS1_27scan_by_key_config_selectorIxxEEZZNS1_16scan_by_key_implILNS1_25lookback_scan_determinismE0ELb0ES3_N6thrust23THRUST_200600_302600_NS6detail15normal_iteratorINS9_10device_ptrIxEEEENS9_18transform_iteratorINS9_6negateIxEESE_NS9_11use_defaultESI_EESE_xNS9_4plusIvEENS9_8equal_toIvEExEE10hipError_tPvRmT2_T3_T4_T5_mT6_T7_P12ihipStream_tbENKUlT_T0_E_clISt17integral_constantIbLb0EES13_IbLb1EEEEDaSZ_S10_EUlSZ_E_NS1_11comp_targetILNS1_3genE10ELNS1_11target_archE1201ELNS1_3gpuE5ELNS1_3repE0EEENS1_30default_config_static_selectorELNS0_4arch9wavefront6targetE1EEEvT1_
; %bb.0:
	.section	.rodata,"a",@progbits
	.p2align	6, 0x0
	.amdhsa_kernel _ZN7rocprim17ROCPRIM_400000_NS6detail17trampoline_kernelINS0_14default_configENS1_27scan_by_key_config_selectorIxxEEZZNS1_16scan_by_key_implILNS1_25lookback_scan_determinismE0ELb0ES3_N6thrust23THRUST_200600_302600_NS6detail15normal_iteratorINS9_10device_ptrIxEEEENS9_18transform_iteratorINS9_6negateIxEESE_NS9_11use_defaultESI_EESE_xNS9_4plusIvEENS9_8equal_toIvEExEE10hipError_tPvRmT2_T3_T4_T5_mT6_T7_P12ihipStream_tbENKUlT_T0_E_clISt17integral_constantIbLb0EES13_IbLb1EEEEDaSZ_S10_EUlSZ_E_NS1_11comp_targetILNS1_3genE10ELNS1_11target_archE1201ELNS1_3gpuE5ELNS1_3repE0EEENS1_30default_config_static_selectorELNS0_4arch9wavefront6targetE1EEEvT1_
		.amdhsa_group_segment_fixed_size 0
		.amdhsa_private_segment_fixed_size 0
		.amdhsa_kernarg_size 144
		.amdhsa_user_sgpr_count 6
		.amdhsa_user_sgpr_private_segment_buffer 1
		.amdhsa_user_sgpr_dispatch_ptr 0
		.amdhsa_user_sgpr_queue_ptr 0
		.amdhsa_user_sgpr_kernarg_segment_ptr 1
		.amdhsa_user_sgpr_dispatch_id 0
		.amdhsa_user_sgpr_flat_scratch_init 0
		.amdhsa_user_sgpr_kernarg_preload_length 0
		.amdhsa_user_sgpr_kernarg_preload_offset 0
		.amdhsa_user_sgpr_private_segment_size 0
		.amdhsa_uses_dynamic_stack 0
		.amdhsa_system_sgpr_private_segment_wavefront_offset 0
		.amdhsa_system_sgpr_workgroup_id_x 1
		.amdhsa_system_sgpr_workgroup_id_y 0
		.amdhsa_system_sgpr_workgroup_id_z 0
		.amdhsa_system_sgpr_workgroup_info 0
		.amdhsa_system_vgpr_workitem_id 0
		.amdhsa_next_free_vgpr 1
		.amdhsa_next_free_sgpr 0
		.amdhsa_accum_offset 4
		.amdhsa_reserve_vcc 0
		.amdhsa_reserve_flat_scratch 0
		.amdhsa_float_round_mode_32 0
		.amdhsa_float_round_mode_16_64 0
		.amdhsa_float_denorm_mode_32 3
		.amdhsa_float_denorm_mode_16_64 3
		.amdhsa_dx10_clamp 1
		.amdhsa_ieee_mode 1
		.amdhsa_fp16_overflow 0
		.amdhsa_tg_split 0
		.amdhsa_exception_fp_ieee_invalid_op 0
		.amdhsa_exception_fp_denorm_src 0
		.amdhsa_exception_fp_ieee_div_zero 0
		.amdhsa_exception_fp_ieee_overflow 0
		.amdhsa_exception_fp_ieee_underflow 0
		.amdhsa_exception_fp_ieee_inexact 0
		.amdhsa_exception_int_div_zero 0
	.end_amdhsa_kernel
	.section	.text._ZN7rocprim17ROCPRIM_400000_NS6detail17trampoline_kernelINS0_14default_configENS1_27scan_by_key_config_selectorIxxEEZZNS1_16scan_by_key_implILNS1_25lookback_scan_determinismE0ELb0ES3_N6thrust23THRUST_200600_302600_NS6detail15normal_iteratorINS9_10device_ptrIxEEEENS9_18transform_iteratorINS9_6negateIxEESE_NS9_11use_defaultESI_EESE_xNS9_4plusIvEENS9_8equal_toIvEExEE10hipError_tPvRmT2_T3_T4_T5_mT6_T7_P12ihipStream_tbENKUlT_T0_E_clISt17integral_constantIbLb0EES13_IbLb1EEEEDaSZ_S10_EUlSZ_E_NS1_11comp_targetILNS1_3genE10ELNS1_11target_archE1201ELNS1_3gpuE5ELNS1_3repE0EEENS1_30default_config_static_selectorELNS0_4arch9wavefront6targetE1EEEvT1_,"axG",@progbits,_ZN7rocprim17ROCPRIM_400000_NS6detail17trampoline_kernelINS0_14default_configENS1_27scan_by_key_config_selectorIxxEEZZNS1_16scan_by_key_implILNS1_25lookback_scan_determinismE0ELb0ES3_N6thrust23THRUST_200600_302600_NS6detail15normal_iteratorINS9_10device_ptrIxEEEENS9_18transform_iteratorINS9_6negateIxEESE_NS9_11use_defaultESI_EESE_xNS9_4plusIvEENS9_8equal_toIvEExEE10hipError_tPvRmT2_T3_T4_T5_mT6_T7_P12ihipStream_tbENKUlT_T0_E_clISt17integral_constantIbLb0EES13_IbLb1EEEEDaSZ_S10_EUlSZ_E_NS1_11comp_targetILNS1_3genE10ELNS1_11target_archE1201ELNS1_3gpuE5ELNS1_3repE0EEENS1_30default_config_static_selectorELNS0_4arch9wavefront6targetE1EEEvT1_,comdat
.Lfunc_end921:
	.size	_ZN7rocprim17ROCPRIM_400000_NS6detail17trampoline_kernelINS0_14default_configENS1_27scan_by_key_config_selectorIxxEEZZNS1_16scan_by_key_implILNS1_25lookback_scan_determinismE0ELb0ES3_N6thrust23THRUST_200600_302600_NS6detail15normal_iteratorINS9_10device_ptrIxEEEENS9_18transform_iteratorINS9_6negateIxEESE_NS9_11use_defaultESI_EESE_xNS9_4plusIvEENS9_8equal_toIvEExEE10hipError_tPvRmT2_T3_T4_T5_mT6_T7_P12ihipStream_tbENKUlT_T0_E_clISt17integral_constantIbLb0EES13_IbLb1EEEEDaSZ_S10_EUlSZ_E_NS1_11comp_targetILNS1_3genE10ELNS1_11target_archE1201ELNS1_3gpuE5ELNS1_3repE0EEENS1_30default_config_static_selectorELNS0_4arch9wavefront6targetE1EEEvT1_, .Lfunc_end921-_ZN7rocprim17ROCPRIM_400000_NS6detail17trampoline_kernelINS0_14default_configENS1_27scan_by_key_config_selectorIxxEEZZNS1_16scan_by_key_implILNS1_25lookback_scan_determinismE0ELb0ES3_N6thrust23THRUST_200600_302600_NS6detail15normal_iteratorINS9_10device_ptrIxEEEENS9_18transform_iteratorINS9_6negateIxEESE_NS9_11use_defaultESI_EESE_xNS9_4plusIvEENS9_8equal_toIvEExEE10hipError_tPvRmT2_T3_T4_T5_mT6_T7_P12ihipStream_tbENKUlT_T0_E_clISt17integral_constantIbLb0EES13_IbLb1EEEEDaSZ_S10_EUlSZ_E_NS1_11comp_targetILNS1_3genE10ELNS1_11target_archE1201ELNS1_3gpuE5ELNS1_3repE0EEENS1_30default_config_static_selectorELNS0_4arch9wavefront6targetE1EEEvT1_
                                        ; -- End function
	.section	.AMDGPU.csdata,"",@progbits
; Kernel info:
; codeLenInByte = 0
; NumSgprs: 4
; NumVgprs: 0
; NumAgprs: 0
; TotalNumVgprs: 0
; ScratchSize: 0
; MemoryBound: 0
; FloatMode: 240
; IeeeMode: 1
; LDSByteSize: 0 bytes/workgroup (compile time only)
; SGPRBlocks: 0
; VGPRBlocks: 0
; NumSGPRsForWavesPerEU: 4
; NumVGPRsForWavesPerEU: 1
; AccumOffset: 4
; Occupancy: 8
; WaveLimiterHint : 0
; COMPUTE_PGM_RSRC2:SCRATCH_EN: 0
; COMPUTE_PGM_RSRC2:USER_SGPR: 6
; COMPUTE_PGM_RSRC2:TRAP_HANDLER: 0
; COMPUTE_PGM_RSRC2:TGID_X_EN: 1
; COMPUTE_PGM_RSRC2:TGID_Y_EN: 0
; COMPUTE_PGM_RSRC2:TGID_Z_EN: 0
; COMPUTE_PGM_RSRC2:TIDIG_COMP_CNT: 0
; COMPUTE_PGM_RSRC3_GFX90A:ACCUM_OFFSET: 0
; COMPUTE_PGM_RSRC3_GFX90A:TG_SPLIT: 0
	.section	.text._ZN7rocprim17ROCPRIM_400000_NS6detail17trampoline_kernelINS0_14default_configENS1_27scan_by_key_config_selectorIxxEEZZNS1_16scan_by_key_implILNS1_25lookback_scan_determinismE0ELb0ES3_N6thrust23THRUST_200600_302600_NS6detail15normal_iteratorINS9_10device_ptrIxEEEENS9_18transform_iteratorINS9_6negateIxEESE_NS9_11use_defaultESI_EESE_xNS9_4plusIvEENS9_8equal_toIvEExEE10hipError_tPvRmT2_T3_T4_T5_mT6_T7_P12ihipStream_tbENKUlT_T0_E_clISt17integral_constantIbLb0EES13_IbLb1EEEEDaSZ_S10_EUlSZ_E_NS1_11comp_targetILNS1_3genE5ELNS1_11target_archE942ELNS1_3gpuE9ELNS1_3repE0EEENS1_30default_config_static_selectorELNS0_4arch9wavefront6targetE1EEEvT1_,"axG",@progbits,_ZN7rocprim17ROCPRIM_400000_NS6detail17trampoline_kernelINS0_14default_configENS1_27scan_by_key_config_selectorIxxEEZZNS1_16scan_by_key_implILNS1_25lookback_scan_determinismE0ELb0ES3_N6thrust23THRUST_200600_302600_NS6detail15normal_iteratorINS9_10device_ptrIxEEEENS9_18transform_iteratorINS9_6negateIxEESE_NS9_11use_defaultESI_EESE_xNS9_4plusIvEENS9_8equal_toIvEExEE10hipError_tPvRmT2_T3_T4_T5_mT6_T7_P12ihipStream_tbENKUlT_T0_E_clISt17integral_constantIbLb0EES13_IbLb1EEEEDaSZ_S10_EUlSZ_E_NS1_11comp_targetILNS1_3genE5ELNS1_11target_archE942ELNS1_3gpuE9ELNS1_3repE0EEENS1_30default_config_static_selectorELNS0_4arch9wavefront6targetE1EEEvT1_,comdat
	.protected	_ZN7rocprim17ROCPRIM_400000_NS6detail17trampoline_kernelINS0_14default_configENS1_27scan_by_key_config_selectorIxxEEZZNS1_16scan_by_key_implILNS1_25lookback_scan_determinismE0ELb0ES3_N6thrust23THRUST_200600_302600_NS6detail15normal_iteratorINS9_10device_ptrIxEEEENS9_18transform_iteratorINS9_6negateIxEESE_NS9_11use_defaultESI_EESE_xNS9_4plusIvEENS9_8equal_toIvEExEE10hipError_tPvRmT2_T3_T4_T5_mT6_T7_P12ihipStream_tbENKUlT_T0_E_clISt17integral_constantIbLb0EES13_IbLb1EEEEDaSZ_S10_EUlSZ_E_NS1_11comp_targetILNS1_3genE5ELNS1_11target_archE942ELNS1_3gpuE9ELNS1_3repE0EEENS1_30default_config_static_selectorELNS0_4arch9wavefront6targetE1EEEvT1_ ; -- Begin function _ZN7rocprim17ROCPRIM_400000_NS6detail17trampoline_kernelINS0_14default_configENS1_27scan_by_key_config_selectorIxxEEZZNS1_16scan_by_key_implILNS1_25lookback_scan_determinismE0ELb0ES3_N6thrust23THRUST_200600_302600_NS6detail15normal_iteratorINS9_10device_ptrIxEEEENS9_18transform_iteratorINS9_6negateIxEESE_NS9_11use_defaultESI_EESE_xNS9_4plusIvEENS9_8equal_toIvEExEE10hipError_tPvRmT2_T3_T4_T5_mT6_T7_P12ihipStream_tbENKUlT_T0_E_clISt17integral_constantIbLb0EES13_IbLb1EEEEDaSZ_S10_EUlSZ_E_NS1_11comp_targetILNS1_3genE5ELNS1_11target_archE942ELNS1_3gpuE9ELNS1_3repE0EEENS1_30default_config_static_selectorELNS0_4arch9wavefront6targetE1EEEvT1_
	.globl	_ZN7rocprim17ROCPRIM_400000_NS6detail17trampoline_kernelINS0_14default_configENS1_27scan_by_key_config_selectorIxxEEZZNS1_16scan_by_key_implILNS1_25lookback_scan_determinismE0ELb0ES3_N6thrust23THRUST_200600_302600_NS6detail15normal_iteratorINS9_10device_ptrIxEEEENS9_18transform_iteratorINS9_6negateIxEESE_NS9_11use_defaultESI_EESE_xNS9_4plusIvEENS9_8equal_toIvEExEE10hipError_tPvRmT2_T3_T4_T5_mT6_T7_P12ihipStream_tbENKUlT_T0_E_clISt17integral_constantIbLb0EES13_IbLb1EEEEDaSZ_S10_EUlSZ_E_NS1_11comp_targetILNS1_3genE5ELNS1_11target_archE942ELNS1_3gpuE9ELNS1_3repE0EEENS1_30default_config_static_selectorELNS0_4arch9wavefront6targetE1EEEvT1_
	.p2align	8
	.type	_ZN7rocprim17ROCPRIM_400000_NS6detail17trampoline_kernelINS0_14default_configENS1_27scan_by_key_config_selectorIxxEEZZNS1_16scan_by_key_implILNS1_25lookback_scan_determinismE0ELb0ES3_N6thrust23THRUST_200600_302600_NS6detail15normal_iteratorINS9_10device_ptrIxEEEENS9_18transform_iteratorINS9_6negateIxEESE_NS9_11use_defaultESI_EESE_xNS9_4plusIvEENS9_8equal_toIvEExEE10hipError_tPvRmT2_T3_T4_T5_mT6_T7_P12ihipStream_tbENKUlT_T0_E_clISt17integral_constantIbLb0EES13_IbLb1EEEEDaSZ_S10_EUlSZ_E_NS1_11comp_targetILNS1_3genE5ELNS1_11target_archE942ELNS1_3gpuE9ELNS1_3repE0EEENS1_30default_config_static_selectorELNS0_4arch9wavefront6targetE1EEEvT1_,@function
_ZN7rocprim17ROCPRIM_400000_NS6detail17trampoline_kernelINS0_14default_configENS1_27scan_by_key_config_selectorIxxEEZZNS1_16scan_by_key_implILNS1_25lookback_scan_determinismE0ELb0ES3_N6thrust23THRUST_200600_302600_NS6detail15normal_iteratorINS9_10device_ptrIxEEEENS9_18transform_iteratorINS9_6negateIxEESE_NS9_11use_defaultESI_EESE_xNS9_4plusIvEENS9_8equal_toIvEExEE10hipError_tPvRmT2_T3_T4_T5_mT6_T7_P12ihipStream_tbENKUlT_T0_E_clISt17integral_constantIbLb0EES13_IbLb1EEEEDaSZ_S10_EUlSZ_E_NS1_11comp_targetILNS1_3genE5ELNS1_11target_archE942ELNS1_3gpuE9ELNS1_3repE0EEENS1_30default_config_static_selectorELNS0_4arch9wavefront6targetE1EEEvT1_: ; @_ZN7rocprim17ROCPRIM_400000_NS6detail17trampoline_kernelINS0_14default_configENS1_27scan_by_key_config_selectorIxxEEZZNS1_16scan_by_key_implILNS1_25lookback_scan_determinismE0ELb0ES3_N6thrust23THRUST_200600_302600_NS6detail15normal_iteratorINS9_10device_ptrIxEEEENS9_18transform_iteratorINS9_6negateIxEESE_NS9_11use_defaultESI_EESE_xNS9_4plusIvEENS9_8equal_toIvEExEE10hipError_tPvRmT2_T3_T4_T5_mT6_T7_P12ihipStream_tbENKUlT_T0_E_clISt17integral_constantIbLb0EES13_IbLb1EEEEDaSZ_S10_EUlSZ_E_NS1_11comp_targetILNS1_3genE5ELNS1_11target_archE942ELNS1_3gpuE9ELNS1_3repE0EEENS1_30default_config_static_selectorELNS0_4arch9wavefront6targetE1EEEvT1_
; %bb.0:
	.section	.rodata,"a",@progbits
	.p2align	6, 0x0
	.amdhsa_kernel _ZN7rocprim17ROCPRIM_400000_NS6detail17trampoline_kernelINS0_14default_configENS1_27scan_by_key_config_selectorIxxEEZZNS1_16scan_by_key_implILNS1_25lookback_scan_determinismE0ELb0ES3_N6thrust23THRUST_200600_302600_NS6detail15normal_iteratorINS9_10device_ptrIxEEEENS9_18transform_iteratorINS9_6negateIxEESE_NS9_11use_defaultESI_EESE_xNS9_4plusIvEENS9_8equal_toIvEExEE10hipError_tPvRmT2_T3_T4_T5_mT6_T7_P12ihipStream_tbENKUlT_T0_E_clISt17integral_constantIbLb0EES13_IbLb1EEEEDaSZ_S10_EUlSZ_E_NS1_11comp_targetILNS1_3genE5ELNS1_11target_archE942ELNS1_3gpuE9ELNS1_3repE0EEENS1_30default_config_static_selectorELNS0_4arch9wavefront6targetE1EEEvT1_
		.amdhsa_group_segment_fixed_size 0
		.amdhsa_private_segment_fixed_size 0
		.amdhsa_kernarg_size 144
		.amdhsa_user_sgpr_count 6
		.amdhsa_user_sgpr_private_segment_buffer 1
		.amdhsa_user_sgpr_dispatch_ptr 0
		.amdhsa_user_sgpr_queue_ptr 0
		.amdhsa_user_sgpr_kernarg_segment_ptr 1
		.amdhsa_user_sgpr_dispatch_id 0
		.amdhsa_user_sgpr_flat_scratch_init 0
		.amdhsa_user_sgpr_kernarg_preload_length 0
		.amdhsa_user_sgpr_kernarg_preload_offset 0
		.amdhsa_user_sgpr_private_segment_size 0
		.amdhsa_uses_dynamic_stack 0
		.amdhsa_system_sgpr_private_segment_wavefront_offset 0
		.amdhsa_system_sgpr_workgroup_id_x 1
		.amdhsa_system_sgpr_workgroup_id_y 0
		.amdhsa_system_sgpr_workgroup_id_z 0
		.amdhsa_system_sgpr_workgroup_info 0
		.amdhsa_system_vgpr_workitem_id 0
		.amdhsa_next_free_vgpr 1
		.amdhsa_next_free_sgpr 0
		.amdhsa_accum_offset 4
		.amdhsa_reserve_vcc 0
		.amdhsa_reserve_flat_scratch 0
		.amdhsa_float_round_mode_32 0
		.amdhsa_float_round_mode_16_64 0
		.amdhsa_float_denorm_mode_32 3
		.amdhsa_float_denorm_mode_16_64 3
		.amdhsa_dx10_clamp 1
		.amdhsa_ieee_mode 1
		.amdhsa_fp16_overflow 0
		.amdhsa_tg_split 0
		.amdhsa_exception_fp_ieee_invalid_op 0
		.amdhsa_exception_fp_denorm_src 0
		.amdhsa_exception_fp_ieee_div_zero 0
		.amdhsa_exception_fp_ieee_overflow 0
		.amdhsa_exception_fp_ieee_underflow 0
		.amdhsa_exception_fp_ieee_inexact 0
		.amdhsa_exception_int_div_zero 0
	.end_amdhsa_kernel
	.section	.text._ZN7rocprim17ROCPRIM_400000_NS6detail17trampoline_kernelINS0_14default_configENS1_27scan_by_key_config_selectorIxxEEZZNS1_16scan_by_key_implILNS1_25lookback_scan_determinismE0ELb0ES3_N6thrust23THRUST_200600_302600_NS6detail15normal_iteratorINS9_10device_ptrIxEEEENS9_18transform_iteratorINS9_6negateIxEESE_NS9_11use_defaultESI_EESE_xNS9_4plusIvEENS9_8equal_toIvEExEE10hipError_tPvRmT2_T3_T4_T5_mT6_T7_P12ihipStream_tbENKUlT_T0_E_clISt17integral_constantIbLb0EES13_IbLb1EEEEDaSZ_S10_EUlSZ_E_NS1_11comp_targetILNS1_3genE5ELNS1_11target_archE942ELNS1_3gpuE9ELNS1_3repE0EEENS1_30default_config_static_selectorELNS0_4arch9wavefront6targetE1EEEvT1_,"axG",@progbits,_ZN7rocprim17ROCPRIM_400000_NS6detail17trampoline_kernelINS0_14default_configENS1_27scan_by_key_config_selectorIxxEEZZNS1_16scan_by_key_implILNS1_25lookback_scan_determinismE0ELb0ES3_N6thrust23THRUST_200600_302600_NS6detail15normal_iteratorINS9_10device_ptrIxEEEENS9_18transform_iteratorINS9_6negateIxEESE_NS9_11use_defaultESI_EESE_xNS9_4plusIvEENS9_8equal_toIvEExEE10hipError_tPvRmT2_T3_T4_T5_mT6_T7_P12ihipStream_tbENKUlT_T0_E_clISt17integral_constantIbLb0EES13_IbLb1EEEEDaSZ_S10_EUlSZ_E_NS1_11comp_targetILNS1_3genE5ELNS1_11target_archE942ELNS1_3gpuE9ELNS1_3repE0EEENS1_30default_config_static_selectorELNS0_4arch9wavefront6targetE1EEEvT1_,comdat
.Lfunc_end922:
	.size	_ZN7rocprim17ROCPRIM_400000_NS6detail17trampoline_kernelINS0_14default_configENS1_27scan_by_key_config_selectorIxxEEZZNS1_16scan_by_key_implILNS1_25lookback_scan_determinismE0ELb0ES3_N6thrust23THRUST_200600_302600_NS6detail15normal_iteratorINS9_10device_ptrIxEEEENS9_18transform_iteratorINS9_6negateIxEESE_NS9_11use_defaultESI_EESE_xNS9_4plusIvEENS9_8equal_toIvEExEE10hipError_tPvRmT2_T3_T4_T5_mT6_T7_P12ihipStream_tbENKUlT_T0_E_clISt17integral_constantIbLb0EES13_IbLb1EEEEDaSZ_S10_EUlSZ_E_NS1_11comp_targetILNS1_3genE5ELNS1_11target_archE942ELNS1_3gpuE9ELNS1_3repE0EEENS1_30default_config_static_selectorELNS0_4arch9wavefront6targetE1EEEvT1_, .Lfunc_end922-_ZN7rocprim17ROCPRIM_400000_NS6detail17trampoline_kernelINS0_14default_configENS1_27scan_by_key_config_selectorIxxEEZZNS1_16scan_by_key_implILNS1_25lookback_scan_determinismE0ELb0ES3_N6thrust23THRUST_200600_302600_NS6detail15normal_iteratorINS9_10device_ptrIxEEEENS9_18transform_iteratorINS9_6negateIxEESE_NS9_11use_defaultESI_EESE_xNS9_4plusIvEENS9_8equal_toIvEExEE10hipError_tPvRmT2_T3_T4_T5_mT6_T7_P12ihipStream_tbENKUlT_T0_E_clISt17integral_constantIbLb0EES13_IbLb1EEEEDaSZ_S10_EUlSZ_E_NS1_11comp_targetILNS1_3genE5ELNS1_11target_archE942ELNS1_3gpuE9ELNS1_3repE0EEENS1_30default_config_static_selectorELNS0_4arch9wavefront6targetE1EEEvT1_
                                        ; -- End function
	.section	.AMDGPU.csdata,"",@progbits
; Kernel info:
; codeLenInByte = 0
; NumSgprs: 4
; NumVgprs: 0
; NumAgprs: 0
; TotalNumVgprs: 0
; ScratchSize: 0
; MemoryBound: 0
; FloatMode: 240
; IeeeMode: 1
; LDSByteSize: 0 bytes/workgroup (compile time only)
; SGPRBlocks: 0
; VGPRBlocks: 0
; NumSGPRsForWavesPerEU: 4
; NumVGPRsForWavesPerEU: 1
; AccumOffset: 4
; Occupancy: 8
; WaveLimiterHint : 0
; COMPUTE_PGM_RSRC2:SCRATCH_EN: 0
; COMPUTE_PGM_RSRC2:USER_SGPR: 6
; COMPUTE_PGM_RSRC2:TRAP_HANDLER: 0
; COMPUTE_PGM_RSRC2:TGID_X_EN: 1
; COMPUTE_PGM_RSRC2:TGID_Y_EN: 0
; COMPUTE_PGM_RSRC2:TGID_Z_EN: 0
; COMPUTE_PGM_RSRC2:TIDIG_COMP_CNT: 0
; COMPUTE_PGM_RSRC3_GFX90A:ACCUM_OFFSET: 0
; COMPUTE_PGM_RSRC3_GFX90A:TG_SPLIT: 0
	.section	.text._ZN7rocprim17ROCPRIM_400000_NS6detail17trampoline_kernelINS0_14default_configENS1_27scan_by_key_config_selectorIxxEEZZNS1_16scan_by_key_implILNS1_25lookback_scan_determinismE0ELb0ES3_N6thrust23THRUST_200600_302600_NS6detail15normal_iteratorINS9_10device_ptrIxEEEENS9_18transform_iteratorINS9_6negateIxEESE_NS9_11use_defaultESI_EESE_xNS9_4plusIvEENS9_8equal_toIvEExEE10hipError_tPvRmT2_T3_T4_T5_mT6_T7_P12ihipStream_tbENKUlT_T0_E_clISt17integral_constantIbLb0EES13_IbLb1EEEEDaSZ_S10_EUlSZ_E_NS1_11comp_targetILNS1_3genE4ELNS1_11target_archE910ELNS1_3gpuE8ELNS1_3repE0EEENS1_30default_config_static_selectorELNS0_4arch9wavefront6targetE1EEEvT1_,"axG",@progbits,_ZN7rocprim17ROCPRIM_400000_NS6detail17trampoline_kernelINS0_14default_configENS1_27scan_by_key_config_selectorIxxEEZZNS1_16scan_by_key_implILNS1_25lookback_scan_determinismE0ELb0ES3_N6thrust23THRUST_200600_302600_NS6detail15normal_iteratorINS9_10device_ptrIxEEEENS9_18transform_iteratorINS9_6negateIxEESE_NS9_11use_defaultESI_EESE_xNS9_4plusIvEENS9_8equal_toIvEExEE10hipError_tPvRmT2_T3_T4_T5_mT6_T7_P12ihipStream_tbENKUlT_T0_E_clISt17integral_constantIbLb0EES13_IbLb1EEEEDaSZ_S10_EUlSZ_E_NS1_11comp_targetILNS1_3genE4ELNS1_11target_archE910ELNS1_3gpuE8ELNS1_3repE0EEENS1_30default_config_static_selectorELNS0_4arch9wavefront6targetE1EEEvT1_,comdat
	.protected	_ZN7rocprim17ROCPRIM_400000_NS6detail17trampoline_kernelINS0_14default_configENS1_27scan_by_key_config_selectorIxxEEZZNS1_16scan_by_key_implILNS1_25lookback_scan_determinismE0ELb0ES3_N6thrust23THRUST_200600_302600_NS6detail15normal_iteratorINS9_10device_ptrIxEEEENS9_18transform_iteratorINS9_6negateIxEESE_NS9_11use_defaultESI_EESE_xNS9_4plusIvEENS9_8equal_toIvEExEE10hipError_tPvRmT2_T3_T4_T5_mT6_T7_P12ihipStream_tbENKUlT_T0_E_clISt17integral_constantIbLb0EES13_IbLb1EEEEDaSZ_S10_EUlSZ_E_NS1_11comp_targetILNS1_3genE4ELNS1_11target_archE910ELNS1_3gpuE8ELNS1_3repE0EEENS1_30default_config_static_selectorELNS0_4arch9wavefront6targetE1EEEvT1_ ; -- Begin function _ZN7rocprim17ROCPRIM_400000_NS6detail17trampoline_kernelINS0_14default_configENS1_27scan_by_key_config_selectorIxxEEZZNS1_16scan_by_key_implILNS1_25lookback_scan_determinismE0ELb0ES3_N6thrust23THRUST_200600_302600_NS6detail15normal_iteratorINS9_10device_ptrIxEEEENS9_18transform_iteratorINS9_6negateIxEESE_NS9_11use_defaultESI_EESE_xNS9_4plusIvEENS9_8equal_toIvEExEE10hipError_tPvRmT2_T3_T4_T5_mT6_T7_P12ihipStream_tbENKUlT_T0_E_clISt17integral_constantIbLb0EES13_IbLb1EEEEDaSZ_S10_EUlSZ_E_NS1_11comp_targetILNS1_3genE4ELNS1_11target_archE910ELNS1_3gpuE8ELNS1_3repE0EEENS1_30default_config_static_selectorELNS0_4arch9wavefront6targetE1EEEvT1_
	.globl	_ZN7rocprim17ROCPRIM_400000_NS6detail17trampoline_kernelINS0_14default_configENS1_27scan_by_key_config_selectorIxxEEZZNS1_16scan_by_key_implILNS1_25lookback_scan_determinismE0ELb0ES3_N6thrust23THRUST_200600_302600_NS6detail15normal_iteratorINS9_10device_ptrIxEEEENS9_18transform_iteratorINS9_6negateIxEESE_NS9_11use_defaultESI_EESE_xNS9_4plusIvEENS9_8equal_toIvEExEE10hipError_tPvRmT2_T3_T4_T5_mT6_T7_P12ihipStream_tbENKUlT_T0_E_clISt17integral_constantIbLb0EES13_IbLb1EEEEDaSZ_S10_EUlSZ_E_NS1_11comp_targetILNS1_3genE4ELNS1_11target_archE910ELNS1_3gpuE8ELNS1_3repE0EEENS1_30default_config_static_selectorELNS0_4arch9wavefront6targetE1EEEvT1_
	.p2align	8
	.type	_ZN7rocprim17ROCPRIM_400000_NS6detail17trampoline_kernelINS0_14default_configENS1_27scan_by_key_config_selectorIxxEEZZNS1_16scan_by_key_implILNS1_25lookback_scan_determinismE0ELb0ES3_N6thrust23THRUST_200600_302600_NS6detail15normal_iteratorINS9_10device_ptrIxEEEENS9_18transform_iteratorINS9_6negateIxEESE_NS9_11use_defaultESI_EESE_xNS9_4plusIvEENS9_8equal_toIvEExEE10hipError_tPvRmT2_T3_T4_T5_mT6_T7_P12ihipStream_tbENKUlT_T0_E_clISt17integral_constantIbLb0EES13_IbLb1EEEEDaSZ_S10_EUlSZ_E_NS1_11comp_targetILNS1_3genE4ELNS1_11target_archE910ELNS1_3gpuE8ELNS1_3repE0EEENS1_30default_config_static_selectorELNS0_4arch9wavefront6targetE1EEEvT1_,@function
_ZN7rocprim17ROCPRIM_400000_NS6detail17trampoline_kernelINS0_14default_configENS1_27scan_by_key_config_selectorIxxEEZZNS1_16scan_by_key_implILNS1_25lookback_scan_determinismE0ELb0ES3_N6thrust23THRUST_200600_302600_NS6detail15normal_iteratorINS9_10device_ptrIxEEEENS9_18transform_iteratorINS9_6negateIxEESE_NS9_11use_defaultESI_EESE_xNS9_4plusIvEENS9_8equal_toIvEExEE10hipError_tPvRmT2_T3_T4_T5_mT6_T7_P12ihipStream_tbENKUlT_T0_E_clISt17integral_constantIbLb0EES13_IbLb1EEEEDaSZ_S10_EUlSZ_E_NS1_11comp_targetILNS1_3genE4ELNS1_11target_archE910ELNS1_3gpuE8ELNS1_3repE0EEENS1_30default_config_static_selectorELNS0_4arch9wavefront6targetE1EEEvT1_: ; @_ZN7rocprim17ROCPRIM_400000_NS6detail17trampoline_kernelINS0_14default_configENS1_27scan_by_key_config_selectorIxxEEZZNS1_16scan_by_key_implILNS1_25lookback_scan_determinismE0ELb0ES3_N6thrust23THRUST_200600_302600_NS6detail15normal_iteratorINS9_10device_ptrIxEEEENS9_18transform_iteratorINS9_6negateIxEESE_NS9_11use_defaultESI_EESE_xNS9_4plusIvEENS9_8equal_toIvEExEE10hipError_tPvRmT2_T3_T4_T5_mT6_T7_P12ihipStream_tbENKUlT_T0_E_clISt17integral_constantIbLb0EES13_IbLb1EEEEDaSZ_S10_EUlSZ_E_NS1_11comp_targetILNS1_3genE4ELNS1_11target_archE910ELNS1_3gpuE8ELNS1_3repE0EEENS1_30default_config_static_selectorELNS0_4arch9wavefront6targetE1EEEvT1_
; %bb.0:
	s_load_dwordx4 s[8:11], s[4:5], 0x0
	s_load_dwordx2 s[2:3], s[4:5], 0x10
	s_load_dwordx2 s[64:65], s[4:5], 0x20
	s_load_dwordx8 s[48:55], s[4:5], 0x38
	s_load_dwordx2 s[68:69], s[4:5], 0x58
	v_cmp_ne_u32_e64 s[46:47], 0, v0
	v_cmp_eq_u32_e64 s[0:1], 0, v0
	s_and_saveexec_b64 s[6:7], s[0:1]
	s_cbranch_execz .LBB923_4
; %bb.1:
	s_mov_b64 s[14:15], exec
	v_mbcnt_lo_u32_b32 v1, s14, 0
	v_mbcnt_hi_u32_b32 v1, s15, v1
	v_cmp_eq_u32_e32 vcc, 0, v1
                                        ; implicit-def: $vgpr2
	s_and_saveexec_b64 s[12:13], vcc
	s_cbranch_execz .LBB923_3
; %bb.2:
	s_load_dwordx2 s[16:17], s[4:5], 0x88
	s_bcnt1_i32_b64 s14, s[14:15]
	v_mov_b32_e32 v2, 0
	v_mov_b32_e32 v3, s14
	s_waitcnt lgkmcnt(0)
	global_atomic_add v2, v2, v3, s[16:17] glc
.LBB923_3:
	s_or_b64 exec, exec, s[12:13]
	s_waitcnt vmcnt(0)
	v_readfirstlane_b32 s12, v2
	v_add_u32_e32 v1, s12, v1
	v_mov_b32_e32 v2, 0
	ds_write_b32 v2, v1
.LBB923_4:
	s_or_b64 exec, exec, s[6:7]
	v_mov_b32_e32 v1, 0
	s_load_dword s6, s[4:5], 0x60
	s_load_dwordx8 s[56:63], s[4:5], 0x68
	s_waitcnt lgkmcnt(0)
	s_lshl_b64 s[66:67], s[10:11], 3
	s_waitcnt lgkmcnt(0)
	; wave barrier
	ds_read_b32 v1, v1
	s_add_u32 s4, s8, s66
	s_addc_u32 s5, s9, s67
	s_add_u32 s7, s2, s66
	s_addc_u32 s8, s3, s67
	s_mul_i32 s2, s69, s6
	s_mul_hi_u32 s3, s68, s6
	s_add_i32 s9, s3, s2
	s_waitcnt lgkmcnt(0)
	v_readfirstlane_b32 s55, v1
	s_cmp_lg_u64 s[60:61], 0
	s_mov_b32 s3, 0
	s_mul_i32 s2, s55, 0x4c0
	s_cselect_b64 s[74:75], -1, 0
	s_lshl_b64 s[60:61], s[2:3], 3
	s_add_u32 s72, s4, s60
	s_addc_u32 s73, s5, s61
	s_add_u32 s70, s7, s60
	s_mul_i32 s6, s68, s6
	s_addc_u32 s71, s8, s61
	s_add_u32 s76, s6, s55
	s_addc_u32 s77, s9, 0
	s_add_u32 s4, s56, -1
	s_addc_u32 s5, s57, -1
	v_pk_mov_b32 v[2:3], s[4:5], s[4:5] op_sel:[0,1]
	v_cmp_ge_u64_e64 s[2:3], s[76:77], v[2:3]
	s_mov_b64 s[10:11], 0
	s_mov_b64 s[6:7], -1
	s_and_b64 vcc, exec, s[2:3]
	s_mul_i32 s33, s4, 0xfffffb40
	s_waitcnt lgkmcnt(0)
	; wave barrier
	s_waitcnt lgkmcnt(0)
	s_waitcnt lgkmcnt(0)
	; wave barrier
	s_cbranch_vccz .LBB923_106
; %bb.5:
	v_pk_mov_b32 v[2:3], s[72:73], s[72:73] op_sel:[0,1]
	flat_load_dwordx2 v[2:3], v[2:3]
	s_add_i32 s81, s33, s54
	v_cmp_gt_u32_e64 s[6:7], s81, v0
	s_waitcnt vmcnt(0) lgkmcnt(0)
	v_pk_mov_b32 v[4:5], v[2:3], v[2:3] op_sel:[0,1]
	s_and_saveexec_b64 s[4:5], s[6:7]
	s_cbranch_execz .LBB923_7
; %bb.6:
	v_lshlrev_b32_e32 v1, 3, v0
	v_mov_b32_e32 v5, s73
	v_add_co_u32_e32 v4, vcc, s72, v1
	v_addc_co_u32_e32 v5, vcc, 0, v5, vcc
	flat_load_dwordx2 v[4:5], v[4:5]
.LBB923_7:
	s_or_b64 exec, exec, s[4:5]
	v_or_b32_e32 v1, 64, v0
	v_cmp_gt_u32_e64 s[8:9], s81, v1
	v_pk_mov_b32 v[6:7], v[2:3], v[2:3] op_sel:[0,1]
	s_and_saveexec_b64 s[4:5], s[8:9]
	s_cbranch_execz .LBB923_9
; %bb.8:
	v_lshlrev_b32_e32 v1, 3, v0
	v_mov_b32_e32 v7, s73
	v_add_co_u32_e32 v6, vcc, s72, v1
	v_addc_co_u32_e32 v7, vcc, 0, v7, vcc
	flat_load_dwordx2 v[6:7], v[6:7] offset:512
.LBB923_9:
	s_or_b64 exec, exec, s[4:5]
	v_or_b32_e32 v1, 0x80, v0
	v_cmp_gt_u32_e64 s[10:11], s81, v1
	v_pk_mov_b32 v[8:9], v[2:3], v[2:3] op_sel:[0,1]
	s_and_saveexec_b64 s[4:5], s[10:11]
	s_cbranch_execz .LBB923_11
; %bb.10:
	v_lshlrev_b32_e32 v1, 3, v0
	v_mov_b32_e32 v9, s73
	v_add_co_u32_e32 v8, vcc, s72, v1
	v_addc_co_u32_e32 v9, vcc, 0, v9, vcc
	flat_load_dwordx2 v[8:9], v[8:9] offset:1024
.LBB923_11:
	;; [unrolled: 13-line block ×7, first 2 shown]
	s_or_b64 exec, exec, s[4:5]
	v_or_b32_e32 v1, 0x200, v0
	v_cmp_gt_u32_e64 s[22:23], s81, v1
	v_lshlrev_b32_e32 v1, 3, v1
	v_pk_mov_b32 v[20:21], v[2:3], v[2:3] op_sel:[0,1]
	s_and_saveexec_b64 s[4:5], s[22:23]
	s_cbranch_execz .LBB923_23
; %bb.22:
	v_mov_b32_e32 v21, s73
	v_add_co_u32_e32 v20, vcc, s72, v1
	v_addc_co_u32_e32 v21, vcc, 0, v21, vcc
	flat_load_dwordx2 v[20:21], v[20:21]
.LBB923_23:
	s_or_b64 exec, exec, s[4:5]
	v_or_b32_e32 v22, 0x240, v0
	v_cmp_gt_u32_e64 s[24:25], s81, v22
	v_lshlrev_b32_e32 v40, 3, v22
	v_pk_mov_b32 v[22:23], v[2:3], v[2:3] op_sel:[0,1]
	s_and_saveexec_b64 s[4:5], s[24:25]
	s_cbranch_execz .LBB923_25
; %bb.24:
	v_mov_b32_e32 v23, s73
	v_add_co_u32_e32 v22, vcc, s72, v40
	v_addc_co_u32_e32 v23, vcc, 0, v23, vcc
	flat_load_dwordx2 v[22:23], v[22:23]
.LBB923_25:
	;; [unrolled: 13-line block ×10, first 2 shown]
	s_or_b64 exec, exec, s[4:5]
	v_or_b32_e32 v48, 0x480, v0
	v_cmp_gt_u32_e64 s[44:45], s81, v48
	v_lshlrev_b32_e32 v51, 3, v48
	s_and_saveexec_b64 s[4:5], s[44:45]
	s_cbranch_execz .LBB923_43
; %bb.42:
	v_mov_b32_e32 v3, s73
	v_add_co_u32_e32 v2, vcc, s72, v51
	v_addc_co_u32_e32 v3, vcc, 0, v3, vcc
	flat_load_dwordx2 v[2:3], v[2:3]
.LBB923_43:
	s_or_b64 exec, exec, s[4:5]
	v_lshlrev_b32_e32 v50, 3, v0
	s_movk_i32 s4, 0x90
	v_mad_u32_u24 v48, v0, s4, v50
	s_waitcnt vmcnt(0) lgkmcnt(0)
	ds_write2st64_b64 v50, v[4:5], v[6:7] offset1:1
	ds_write2st64_b64 v50, v[8:9], v[10:11] offset0:2 offset1:3
	ds_write2st64_b64 v50, v[12:13], v[14:15] offset0:4 offset1:5
	;; [unrolled: 1-line block ×8, first 2 shown]
	ds_write_b64 v50, v[2:3] offset:9216
	s_waitcnt lgkmcnt(0)
	; wave barrier
	s_waitcnt lgkmcnt(0)
	ds_read2_b64 v[106:109], v48 offset1:1
	ds_read2_b64 v[102:105], v48 offset0:2 offset1:3
	ds_read2_b64 v[98:101], v48 offset0:4 offset1:5
	;; [unrolled: 1-line block ×8, first 2 shown]
	ds_read_b64 v[4:5], v48 offset:144
	s_cmp_eq_u64 s[76:77], 0
	s_mov_b64 s[4:5], s[72:73]
	s_cbranch_scc1 .LBB923_47
; %bb.44:
	s_andn2_b64 vcc, exec, s[74:75]
	s_cbranch_vccnz .LBB923_259
; %bb.45:
	s_lshl_b64 s[4:5], s[76:77], 3
	s_add_u32 s4, s62, s4
	s_addc_u32 s5, s63, s5
	s_add_u32 s4, s4, -8
	s_addc_u32 s5, s5, -1
	s_cbranch_execnz .LBB923_47
.LBB923_46:
	s_add_u32 s4, s72, -8
	s_addc_u32 s5, s73, -1
.LBB923_47:
	v_pk_mov_b32 v[2:3], s[4:5], s[4:5] op_sel:[0,1]
	flat_load_dwordx2 v[8:9], v[2:3]
	s_movk_i32 s4, 0xff70
	v_mad_i32_i24 v2, v0, s4, v48
	s_waitcnt lgkmcnt(0)
	ds_write_b64 v2, v[4:5] offset:9728
	s_waitcnt lgkmcnt(0)
	; wave barrier
	s_waitcnt lgkmcnt(0)
	s_and_saveexec_b64 s[4:5], s[46:47]
	s_cbranch_execz .LBB923_49
; %bb.48:
	v_mul_i32_i24_e32 v2, 0xffffff70, v0
	v_add_u32_e32 v2, v48, v2
	s_waitcnt vmcnt(0)
	ds_read_b64 v[8:9], v2 offset:9720
.LBB923_49:
	s_or_b64 exec, exec, s[4:5]
	s_waitcnt lgkmcnt(0)
	; wave barrier
	s_waitcnt lgkmcnt(0)
                                        ; implicit-def: $vgpr2_vgpr3
	s_and_saveexec_b64 s[4:5], s[6:7]
	s_cbranch_execnz .LBB923_241
; %bb.50:
	s_or_b64 exec, exec, s[4:5]
                                        ; implicit-def: $vgpr6_vgpr7
	s_and_saveexec_b64 s[4:5], s[8:9]
	s_cbranch_execnz .LBB923_242
.LBB923_51:
	s_or_b64 exec, exec, s[4:5]
                                        ; implicit-def: $vgpr10_vgpr11
	s_and_saveexec_b64 s[4:5], s[10:11]
	s_cbranch_execnz .LBB923_243
.LBB923_52:
	s_or_b64 exec, exec, s[4:5]
                                        ; implicit-def: $vgpr12_vgpr13
	s_and_saveexec_b64 s[4:5], s[12:13]
	s_cbranch_execnz .LBB923_244
.LBB923_53:
	s_or_b64 exec, exec, s[4:5]
                                        ; implicit-def: $vgpr14_vgpr15
	s_and_saveexec_b64 s[4:5], s[14:15]
	s_cbranch_execnz .LBB923_245
.LBB923_54:
	s_or_b64 exec, exec, s[4:5]
                                        ; implicit-def: $vgpr16_vgpr17
	s_and_saveexec_b64 s[4:5], s[16:17]
	s_cbranch_execnz .LBB923_246
.LBB923_55:
	s_or_b64 exec, exec, s[4:5]
                                        ; implicit-def: $vgpr18_vgpr19
	s_and_saveexec_b64 s[4:5], s[18:19]
	s_cbranch_execnz .LBB923_247
.LBB923_56:
	s_or_b64 exec, exec, s[4:5]
                                        ; implicit-def: $vgpr20_vgpr21
	s_and_saveexec_b64 s[4:5], s[20:21]
	s_cbranch_execnz .LBB923_248
.LBB923_57:
	s_or_b64 exec, exec, s[4:5]
                                        ; implicit-def: $vgpr22_vgpr23
	s_and_saveexec_b64 s[4:5], s[22:23]
	s_cbranch_execnz .LBB923_249
.LBB923_58:
	s_or_b64 exec, exec, s[4:5]
                                        ; implicit-def: $vgpr24_vgpr25
	s_and_saveexec_b64 s[4:5], s[24:25]
	s_cbranch_execnz .LBB923_250
.LBB923_59:
	s_or_b64 exec, exec, s[4:5]
                                        ; implicit-def: $vgpr26_vgpr27
	s_and_saveexec_b64 s[4:5], s[26:27]
	s_cbranch_execnz .LBB923_251
.LBB923_60:
	s_or_b64 exec, exec, s[4:5]
                                        ; implicit-def: $vgpr28_vgpr29
	s_and_saveexec_b64 s[4:5], s[28:29]
	s_cbranch_execnz .LBB923_252
.LBB923_61:
	s_or_b64 exec, exec, s[4:5]
                                        ; implicit-def: $vgpr30_vgpr31
	s_and_saveexec_b64 s[4:5], s[30:31]
	s_cbranch_execnz .LBB923_253
.LBB923_62:
	s_or_b64 exec, exec, s[4:5]
                                        ; implicit-def: $vgpr32_vgpr33
	s_and_saveexec_b64 s[4:5], s[34:35]
	s_cbranch_execnz .LBB923_254
.LBB923_63:
	s_or_b64 exec, exec, s[4:5]
                                        ; implicit-def: $vgpr34_vgpr35
	s_and_saveexec_b64 s[4:5], s[36:37]
	s_cbranch_execnz .LBB923_255
.LBB923_64:
	s_or_b64 exec, exec, s[4:5]
                                        ; implicit-def: $vgpr36_vgpr37
	s_and_saveexec_b64 s[4:5], s[38:39]
	s_cbranch_execnz .LBB923_256
.LBB923_65:
	s_or_b64 exec, exec, s[4:5]
                                        ; implicit-def: $vgpr38_vgpr39
	s_and_saveexec_b64 s[4:5], s[40:41]
	s_cbranch_execnz .LBB923_257
.LBB923_66:
	s_or_b64 exec, exec, s[4:5]
                                        ; implicit-def: $vgpr40_vgpr41
	s_and_saveexec_b64 s[4:5], s[42:43]
	s_cbranch_execnz .LBB923_258
.LBB923_67:
	s_or_b64 exec, exec, s[4:5]
                                        ; implicit-def: $vgpr42_vgpr43
	s_and_saveexec_b64 s[4:5], s[44:45]
	s_cbranch_execz .LBB923_69
.LBB923_68:
	global_load_dwordx2 v[42:43], v51, s[70:71]
	s_waitcnt vmcnt(0)
	v_sub_co_u32_e32 v42, vcc, 0, v42
	v_subb_co_u32_e32 v43, vcc, 0, v43, vcc
.LBB923_69:
	s_or_b64 exec, exec, s[4:5]
	v_mul_u32_u24_e32 v49, 19, v0
	ds_write2st64_b64 v50, v[2:3], v[6:7] offset1:1
	ds_write2st64_b64 v50, v[10:11], v[12:13] offset0:2 offset1:3
	ds_write2st64_b64 v50, v[14:15], v[16:17] offset0:4 offset1:5
	;; [unrolled: 1-line block ×8, first 2 shown]
	ds_write_b64 v50, v[42:43] offset:9216
	v_pk_mov_b32 v[6:7], 0, 0
	v_cmp_gt_u32_e32 vcc, s81, v49
	s_mov_b64 s[10:11], 0
	s_mov_b64 s[6:7], 0
	s_mov_b32 s80, 0
	v_mov_b32_e32 v110, 0
	v_mov_b32_e32 v126, 0
	v_pk_mov_b32 v[62:63], v[6:7], v[6:7] op_sel:[0,1]
	v_mov_b32_e32 v125, 0
	v_pk_mov_b32 v[70:71], v[6:7], v[6:7] op_sel:[0,1]
	;; [unrolled: 2-line block ×17, first 2 shown]
	s_waitcnt lgkmcnt(0)
	; wave barrier
	s_waitcnt lgkmcnt(0)
                                        ; implicit-def: $sgpr4_sgpr5
	s_and_saveexec_b64 s[8:9], vcc
	s_cbranch_execz .LBB923_105
; %bb.70:
	ds_read_b64 v[2:3], v48
	s_waitcnt vmcnt(0) lgkmcnt(0)
	v_cmp_ne_u64_e32 vcc, v[8:9], v[106:107]
	v_add_u32_e32 v6, 1, v49
	v_cndmask_b32_e64 v1, 0, 1, vcc
	v_cmp_gt_u32_e32 vcc, s81, v6
	v_pk_mov_b32 v[6:7], 0, 0
	s_mov_b64 s[12:13], 0
	s_mov_b64 s[4:5], 0
	v_mov_b32_e32 v110, 0
	v_mov_b32_e32 v126, 0
	v_pk_mov_b32 v[62:63], v[6:7], v[6:7] op_sel:[0,1]
	v_mov_b32_e32 v125, 0
	v_pk_mov_b32 v[70:71], v[6:7], v[6:7] op_sel:[0,1]
	;; [unrolled: 2-line block ×16, first 2 shown]
                                        ; implicit-def: $sgpr14_sgpr15
	s_and_saveexec_b64 s[10:11], vcc
	s_cbranch_execz .LBB923_104
; %bb.71:
	ds_read2_b64 v[14:17], v48 offset0:1 offset1:2
	v_cmp_ne_u64_e32 vcc, v[106:107], v[108:109]
	v_add_u32_e32 v6, 2, v49
	v_cndmask_b32_e64 v112, 0, 1, vcc
	v_cmp_gt_u32_e32 vcc, s81, v6
	v_pk_mov_b32 v[6:7], 0, 0
	s_mov_b64 s[16:17], 0
	v_mov_b32_e32 v110, 0
	v_mov_b32_e32 v126, 0
	v_pk_mov_b32 v[62:63], v[6:7], v[6:7] op_sel:[0,1]
	v_mov_b32_e32 v125, 0
	v_pk_mov_b32 v[70:71], v[6:7], v[6:7] op_sel:[0,1]
	;; [unrolled: 2-line block ×15, first 2 shown]
                                        ; implicit-def: $sgpr14_sgpr15
	s_and_saveexec_b64 s[12:13], vcc
	s_cbranch_execz .LBB923_103
; %bb.72:
	v_cmp_ne_u64_e32 vcc, v[108:109], v[102:103]
	v_add_u32_e32 v6, 3, v49
	v_cndmask_b32_e64 v111, 0, 1, vcc
	v_cmp_gt_u32_e32 vcc, s81, v6
	v_pk_mov_b32 v[6:7], 0, 0
	s_waitcnt lgkmcnt(0)
	v_mov_b32_e32 v10, v16
	v_mov_b32_e32 v11, v17
	;; [unrolled: 1-line block ×4, first 2 shown]
	v_pk_mov_b32 v[62:63], v[6:7], v[6:7] op_sel:[0,1]
	v_mov_b32_e32 v125, 0
	v_pk_mov_b32 v[70:71], v[6:7], v[6:7] op_sel:[0,1]
	v_mov_b32_e32 v124, 0
	;; [unrolled: 2-line block ×13, first 2 shown]
	v_pk_mov_b32 v[22:23], v[6:7], v[6:7] op_sel:[0,1]
                                        ; implicit-def: $sgpr18_sgpr19
	s_and_saveexec_b64 s[14:15], vcc
	s_cbranch_execz .LBB923_102
; %bb.73:
	ds_read2_b64 v[22:25], v48 offset0:3 offset1:4
	v_cmp_ne_u64_e32 vcc, v[102:103], v[104:105]
	v_add_u32_e32 v6, 4, v49
	v_cndmask_b32_e64 v113, 0, 1, vcc
	v_cmp_gt_u32_e32 vcc, s81, v6
	v_pk_mov_b32 v[6:7], 0, 0
	s_mov_b64 s[20:21], 0
	v_mov_b32_e32 v110, 0
	v_mov_b32_e32 v126, 0
	v_pk_mov_b32 v[62:63], v[6:7], v[6:7] op_sel:[0,1]
	v_mov_b32_e32 v125, 0
	v_pk_mov_b32 v[70:71], v[6:7], v[6:7] op_sel:[0,1]
	;; [unrolled: 2-line block ×13, first 2 shown]
                                        ; implicit-def: $sgpr18_sgpr19
	s_and_saveexec_b64 s[16:17], vcc
	s_cbranch_execz .LBB923_101
; %bb.74:
	v_cmp_ne_u64_e32 vcc, v[104:105], v[98:99]
	v_add_u32_e32 v6, 5, v49
	v_cndmask_b32_e64 v114, 0, 1, vcc
	v_cmp_gt_u32_e32 vcc, s81, v6
	v_pk_mov_b32 v[6:7], 0, 0
	s_waitcnt lgkmcnt(0)
	v_mov_b32_e32 v18, v24
	v_mov_b32_e32 v19, v25
	;; [unrolled: 1-line block ×4, first 2 shown]
	v_pk_mov_b32 v[62:63], v[6:7], v[6:7] op_sel:[0,1]
	v_mov_b32_e32 v125, 0
	v_pk_mov_b32 v[70:71], v[6:7], v[6:7] op_sel:[0,1]
	v_mov_b32_e32 v124, 0
	;; [unrolled: 2-line block ×11, first 2 shown]
	v_pk_mov_b32 v[34:35], v[6:7], v[6:7] op_sel:[0,1]
                                        ; implicit-def: $sgpr22_sgpr23
	s_and_saveexec_b64 s[18:19], vcc
	s_cbranch_execz .LBB923_100
; %bb.75:
	ds_read2_b64 v[34:37], v48 offset0:5 offset1:6
	v_cmp_ne_u64_e32 vcc, v[98:99], v[100:101]
	v_add_u32_e32 v6, 6, v49
	v_cndmask_b32_e64 v115, 0, 1, vcc
	v_cmp_gt_u32_e32 vcc, s81, v6
	v_pk_mov_b32 v[6:7], 0, 0
	s_mov_b64 s[24:25], 0
	v_mov_b32_e32 v110, 0
	v_mov_b32_e32 v126, 0
	v_pk_mov_b32 v[62:63], v[6:7], v[6:7] op_sel:[0,1]
	v_mov_b32_e32 v125, 0
	v_pk_mov_b32 v[70:71], v[6:7], v[6:7] op_sel:[0,1]
	;; [unrolled: 2-line block ×11, first 2 shown]
                                        ; implicit-def: $sgpr22_sgpr23
	s_and_saveexec_b64 s[20:21], vcc
	s_cbranch_execz .LBB923_99
; %bb.76:
	v_cmp_ne_u64_e32 vcc, v[100:101], v[94:95]
	v_add_u32_e32 v6, 7, v49
	v_cndmask_b32_e64 v116, 0, 1, vcc
	v_cmp_gt_u32_e32 vcc, s81, v6
	v_pk_mov_b32 v[6:7], 0, 0
	s_waitcnt lgkmcnt(0)
	v_mov_b32_e32 v26, v36
	v_mov_b32_e32 v27, v37
	;; [unrolled: 1-line block ×4, first 2 shown]
	v_pk_mov_b32 v[62:63], v[6:7], v[6:7] op_sel:[0,1]
	v_mov_b32_e32 v125, 0
	v_pk_mov_b32 v[70:71], v[6:7], v[6:7] op_sel:[0,1]
	v_mov_b32_e32 v124, 0
	;; [unrolled: 2-line block ×9, first 2 shown]
	v_pk_mov_b32 v[42:43], v[6:7], v[6:7] op_sel:[0,1]
                                        ; implicit-def: $sgpr26_sgpr27
	s_and_saveexec_b64 s[22:23], vcc
	s_cbranch_execz .LBB923_98
; %bb.77:
	ds_read2_b64 v[42:45], v48 offset0:7 offset1:8
	v_cmp_ne_u64_e32 vcc, v[94:95], v[96:97]
	v_add_u32_e32 v6, 8, v49
	v_cndmask_b32_e64 v117, 0, 1, vcc
	v_cmp_gt_u32_e32 vcc, s81, v6
	v_pk_mov_b32 v[6:7], 0, 0
	s_mov_b64 s[28:29], 0
	v_mov_b32_e32 v110, 0
	v_mov_b32_e32 v126, 0
	v_pk_mov_b32 v[62:63], v[6:7], v[6:7] op_sel:[0,1]
	v_mov_b32_e32 v125, 0
	v_pk_mov_b32 v[70:71], v[6:7], v[6:7] op_sel:[0,1]
	;; [unrolled: 2-line block ×9, first 2 shown]
                                        ; implicit-def: $sgpr26_sgpr27
	s_and_saveexec_b64 s[24:25], vcc
	s_cbranch_execz .LBB923_97
; %bb.78:
	v_cmp_ne_u64_e32 vcc, v[96:97], v[90:91]
	v_add_u32_e32 v6, 9, v49
	v_cndmask_b32_e64 v118, 0, 1, vcc
	v_cmp_gt_u32_e32 vcc, s81, v6
	v_pk_mov_b32 v[6:7], 0, 0
	s_waitcnt lgkmcnt(0)
	v_mov_b32_e32 v30, v44
	v_mov_b32_e32 v31, v45
	v_mov_b32_e32 v110, 0
	v_mov_b32_e32 v126, 0
	v_pk_mov_b32 v[62:63], v[6:7], v[6:7] op_sel:[0,1]
	v_mov_b32_e32 v125, 0
	v_pk_mov_b32 v[70:71], v[6:7], v[6:7] op_sel:[0,1]
	v_mov_b32_e32 v124, 0
	;; [unrolled: 2-line block ×7, first 2 shown]
	v_pk_mov_b32 v[50:51], v[6:7], v[6:7] op_sel:[0,1]
                                        ; implicit-def: $sgpr30_sgpr31
	s_and_saveexec_b64 s[26:27], vcc
	s_cbranch_execz .LBB923_96
; %bb.79:
	ds_read2_b64 v[50:53], v48 offset0:9 offset1:10
	v_cmp_ne_u64_e32 vcc, v[90:91], v[92:93]
	v_add_u32_e32 v6, 10, v49
	v_cndmask_b32_e64 v119, 0, 1, vcc
	v_cmp_gt_u32_e32 vcc, s81, v6
	v_pk_mov_b32 v[6:7], 0, 0
	s_mov_b64 s[34:35], 0
	v_mov_b32_e32 v110, 0
	v_mov_b32_e32 v126, 0
	v_pk_mov_b32 v[62:63], v[6:7], v[6:7] op_sel:[0,1]
	v_mov_b32_e32 v125, 0
	v_pk_mov_b32 v[70:71], v[6:7], v[6:7] op_sel:[0,1]
	;; [unrolled: 2-line block ×7, first 2 shown]
                                        ; implicit-def: $sgpr30_sgpr31
	s_and_saveexec_b64 s[28:29], vcc
	s_cbranch_execz .LBB923_95
; %bb.80:
	v_cmp_ne_u64_e32 vcc, v[92:93], v[86:87]
	v_add_u32_e32 v6, 11, v49
	v_cndmask_b32_e64 v120, 0, 1, vcc
	v_cmp_gt_u32_e32 vcc, s81, v6
	v_pk_mov_b32 v[6:7], 0, 0
	s_waitcnt lgkmcnt(0)
	v_mov_b32_e32 v38, v52
	v_mov_b32_e32 v39, v53
	;; [unrolled: 1-line block ×4, first 2 shown]
	v_pk_mov_b32 v[62:63], v[6:7], v[6:7] op_sel:[0,1]
	v_mov_b32_e32 v125, 0
	v_pk_mov_b32 v[70:71], v[6:7], v[6:7] op_sel:[0,1]
	v_mov_b32_e32 v124, 0
	;; [unrolled: 2-line block ×5, first 2 shown]
	v_pk_mov_b32 v[58:59], v[6:7], v[6:7] op_sel:[0,1]
                                        ; implicit-def: $sgpr36_sgpr37
	s_and_saveexec_b64 s[30:31], vcc
	s_cbranch_execz .LBB923_94
; %bb.81:
	ds_read2_b64 v[58:61], v48 offset0:11 offset1:12
	v_cmp_ne_u64_e32 vcc, v[86:87], v[88:89]
	v_add_u32_e32 v6, 12, v49
	v_cndmask_b32_e64 v121, 0, 1, vcc
	v_cmp_gt_u32_e32 vcc, s81, v6
	v_pk_mov_b32 v[6:7], 0, 0
	s_mov_b64 s[38:39], 0
	v_mov_b32_e32 v110, 0
	v_mov_b32_e32 v126, 0
	v_pk_mov_b32 v[62:63], v[6:7], v[6:7] op_sel:[0,1]
	v_mov_b32_e32 v125, 0
	v_pk_mov_b32 v[70:71], v[6:7], v[6:7] op_sel:[0,1]
	;; [unrolled: 2-line block ×5, first 2 shown]
                                        ; implicit-def: $sgpr36_sgpr37
	s_and_saveexec_b64 s[34:35], vcc
	s_cbranch_execz .LBB923_93
; %bb.82:
	v_cmp_ne_u64_e32 vcc, v[88:89], v[82:83]
	v_add_u32_e32 v6, 13, v49
	v_cndmask_b32_e64 v122, 0, 1, vcc
	v_cmp_gt_u32_e32 vcc, s81, v6
	v_pk_mov_b32 v[6:7], 0, 0
	s_waitcnt lgkmcnt(0)
	v_mov_b32_e32 v46, v60
	v_mov_b32_e32 v47, v61
	;; [unrolled: 1-line block ×4, first 2 shown]
	v_pk_mov_b32 v[62:63], v[6:7], v[6:7] op_sel:[0,1]
	v_mov_b32_e32 v125, 0
	v_pk_mov_b32 v[70:71], v[6:7], v[6:7] op_sel:[0,1]
	v_mov_b32_e32 v124, 0
	v_pk_mov_b32 v[54:55], v[6:7], v[6:7] op_sel:[0,1]
	v_mov_b32_e32 v123, 0
	v_pk_mov_b32 v[66:67], v[6:7], v[6:7] op_sel:[0,1]
                                        ; implicit-def: $sgpr40_sgpr41
	s_and_saveexec_b64 s[36:37], vcc
	s_cbranch_execz .LBB923_92
; %bb.83:
	ds_read2_b64 v[66:69], v48 offset0:13 offset1:14
	v_cmp_ne_u64_e32 vcc, v[82:83], v[84:85]
	v_add_u32_e32 v6, 14, v49
	v_cndmask_b32_e64 v123, 0, 1, vcc
	v_cmp_gt_u32_e32 vcc, s81, v6
	v_pk_mov_b32 v[6:7], 0, 0
	s_mov_b64 s[42:43], 0
	v_mov_b32_e32 v110, 0
	v_mov_b32_e32 v126, 0
	v_pk_mov_b32 v[62:63], v[6:7], v[6:7] op_sel:[0,1]
	v_mov_b32_e32 v125, 0
	v_pk_mov_b32 v[70:71], v[6:7], v[6:7] op_sel:[0,1]
	;; [unrolled: 2-line block ×3, first 2 shown]
                                        ; implicit-def: $sgpr40_sgpr41
	s_and_saveexec_b64 s[38:39], vcc
	s_cbranch_execz .LBB923_91
; %bb.84:
	v_cmp_ne_u64_e32 vcc, v[84:85], v[78:79]
	v_add_u32_e32 v6, 15, v49
	v_cndmask_b32_e64 v124, 0, 1, vcc
	v_cmp_gt_u32_e32 vcc, s81, v6
	v_pk_mov_b32 v[6:7], 0, 0
	s_waitcnt lgkmcnt(0)
	v_mov_b32_e32 v54, v68
	v_mov_b32_e32 v55, v69
	;; [unrolled: 1-line block ×4, first 2 shown]
	v_pk_mov_b32 v[62:63], v[6:7], v[6:7] op_sel:[0,1]
	v_mov_b32_e32 v125, 0
	v_pk_mov_b32 v[70:71], v[6:7], v[6:7] op_sel:[0,1]
                                        ; implicit-def: $sgpr44_sgpr45
	s_and_saveexec_b64 s[40:41], vcc
	s_cbranch_execz .LBB923_90
; %bb.85:
	ds_read2_b64 v[70:73], v48 offset0:15 offset1:16
	v_cmp_ne_u64_e32 vcc, v[78:79], v[80:81]
	v_add_u32_e32 v6, 16, v49
	v_cndmask_b32_e64 v125, 0, 1, vcc
	v_cmp_gt_u32_e32 vcc, s81, v6
	v_pk_mov_b32 v[6:7], 0, 0
	s_mov_b64 s[44:45], 0
	v_mov_b32_e32 v110, 0
	v_mov_b32_e32 v126, 0
	v_pk_mov_b32 v[62:63], v[6:7], v[6:7] op_sel:[0,1]
                                        ; implicit-def: $sgpr56_sgpr57
	s_and_saveexec_b64 s[42:43], vcc
	s_cbranch_execz .LBB923_89
; %bb.86:
	v_cmp_ne_u64_e32 vcc, v[80:81], v[74:75]
	v_add_u32_e32 v6, 17, v49
	s_waitcnt lgkmcnt(0)
	v_mov_b32_e32 v62, v72
	v_mov_b32_e32 v63, v73
	v_cndmask_b32_e64 v126, 0, 1, vcc
	v_cmp_gt_u32_e32 vcc, s81, v6
	v_mov_b32_e32 v110, 0
	v_pk_mov_b32 v[6:7], 0, 0
                                        ; implicit-def: $sgpr56_sgpr57
	s_and_saveexec_b64 s[4:5], vcc
	s_xor_b64 s[78:79], exec, s[4:5]
	s_cbranch_execz .LBB923_88
; %bb.87:
	ds_read2_b64 v[6:9], v48 offset0:17 offset1:18
	v_cmp_ne_u64_e32 vcc, v[76:77], v[4:5]
	v_cmp_ne_u64_e64 s[4:5], v[74:75], v[76:77]
	v_add_u32_e32 v4, 18, v49
	v_cndmask_b32_e64 v110, 0, 1, s[4:5]
	v_cmp_gt_u32_e64 s[4:5], s81, v4
	s_and_b64 s[56:57], vcc, exec
	s_and_b64 s[44:45], s[4:5], exec
	s_waitcnt lgkmcnt(0)
	v_pk_mov_b32 v[64:65], v[6:7], v[6:7] op_sel:[0,1]
.LBB923_88:
	s_or_b64 exec, exec, s[78:79]
	s_and_b64 s[56:57], s[56:57], exec
	s_and_b64 s[4:5], s[44:45], exec
.LBB923_89:
	s_or_b64 exec, exec, s[42:43]
	s_and_b64 s[44:45], s[56:57], exec
	s_and_b64 s[42:43], s[4:5], exec
	s_waitcnt lgkmcnt(0)
	v_pk_mov_b32 v[56:57], v[70:71], v[70:71] op_sel:[0,1]
	v_pk_mov_b32 v[48:49], v[66:67], v[66:67] op_sel:[0,1]
	;; [unrolled: 1-line block ×8, first 2 shown]
.LBB923_90:
	s_or_b64 exec, exec, s[40:41]
	s_and_b64 s[40:41], s[44:45], exec
	s_and_b64 s[4:5], s[42:43], exec
.LBB923_91:
	s_or_b64 exec, exec, s[38:39]
	s_and_b64 s[40:41], s[40:41], exec
	s_and_b64 s[38:39], s[4:5], exec
.LBB923_92:
	s_or_b64 exec, exec, s[36:37]
	s_and_b64 s[36:37], s[40:41], exec
	s_and_b64 s[4:5], s[38:39], exec
.LBB923_93:
	s_or_b64 exec, exec, s[34:35]
	s_and_b64 s[36:37], s[36:37], exec
	s_and_b64 s[34:35], s[4:5], exec
.LBB923_94:
	s_or_b64 exec, exec, s[30:31]
	s_and_b64 s[30:31], s[36:37], exec
	s_and_b64 s[4:5], s[34:35], exec
.LBB923_95:
	s_or_b64 exec, exec, s[28:29]
	s_and_b64 s[30:31], s[30:31], exec
	s_and_b64 s[28:29], s[4:5], exec
.LBB923_96:
	s_or_b64 exec, exec, s[26:27]
	s_and_b64 s[26:27], s[30:31], exec
	s_and_b64 s[4:5], s[28:29], exec
.LBB923_97:
	s_or_b64 exec, exec, s[24:25]
	s_and_b64 s[26:27], s[26:27], exec
	s_and_b64 s[24:25], s[4:5], exec
.LBB923_98:
	s_or_b64 exec, exec, s[22:23]
	s_and_b64 s[22:23], s[26:27], exec
	s_and_b64 s[4:5], s[24:25], exec
.LBB923_99:
	s_or_b64 exec, exec, s[20:21]
	s_and_b64 s[22:23], s[22:23], exec
	s_and_b64 s[20:21], s[4:5], exec
.LBB923_100:
	s_or_b64 exec, exec, s[18:19]
	s_and_b64 s[18:19], s[22:23], exec
	s_and_b64 s[4:5], s[20:21], exec
.LBB923_101:
	s_or_b64 exec, exec, s[16:17]
	s_and_b64 s[18:19], s[18:19], exec
	s_and_b64 s[16:17], s[4:5], exec
.LBB923_102:
	s_or_b64 exec, exec, s[14:15]
	s_and_b64 s[14:15], s[18:19], exec
	s_and_b64 s[4:5], s[16:17], exec
.LBB923_103:
	s_or_b64 exec, exec, s[12:13]
	s_and_b64 s[14:15], s[14:15], exec
	s_and_b64 s[12:13], s[4:5], exec
.LBB923_104:
	s_or_b64 exec, exec, s[10:11]
	s_and_b64 s[4:5], s[14:15], exec
	s_and_b64 s[10:11], s[12:13], exec
.LBB923_105:
	s_or_b64 exec, exec, s[8:9]
	s_mov_b64 s[8:9], 0
	s_and_b64 vcc, exec, s[6:7]
	v_lshlrev_b32_e32 v127, 3, v0
	s_cbranch_vccnz .LBB923_107
	s_branch .LBB923_115
.LBB923_106:
                                        ; implicit-def: $sgpr4_sgpr5
                                        ; implicit-def: $vgpr8_vgpr9
                                        ; implicit-def: $vgpr110
                                        ; implicit-def: $vgpr64_vgpr65
                                        ; implicit-def: $vgpr126
                                        ; implicit-def: $vgpr125
                                        ; implicit-def: $vgpr56_vgpr57
                                        ; implicit-def: $vgpr124
                                        ; implicit-def: $vgpr123
                                        ; implicit-def: $vgpr48_vgpr49
                                        ; implicit-def: $vgpr122
                                        ; implicit-def: $vgpr121
                                        ; implicit-def: $vgpr40_vgpr41
                                        ; implicit-def: $vgpr120
                                        ; implicit-def: $vgpr119
                                        ; implicit-def: $vgpr32_vgpr33
                                        ; implicit-def: $vgpr118
                                        ; implicit-def: $vgpr117
                                        ; implicit-def: $vgpr28_vgpr29
                                        ; implicit-def: $vgpr116
                                        ; implicit-def: $vgpr115
                                        ; implicit-def: $vgpr20_vgpr21
                                        ; implicit-def: $vgpr114
                                        ; implicit-def: $vgpr113
                                        ; implicit-def: $vgpr12_vgpr13
                                        ; implicit-def: $vgpr111
                                        ; implicit-def: $vgpr112
                                        ; implicit-def: $vgpr4_vgpr5
                                        ; implicit-def: $vgpr1
                                        ; implicit-def: $sgpr80
                                        ; implicit-def: $sgpr8_sgpr9
                                        ; implicit-def: $vgpr70_vgpr71
                                        ; implicit-def: $vgpr66_vgpr67
                                        ; implicit-def: $vgpr58_vgpr59
                                        ; implicit-def: $vgpr50_vgpr51
                                        ; implicit-def: $vgpr42_vgpr43
                                        ; implicit-def: $vgpr34_vgpr35
                                        ; implicit-def: $vgpr22_vgpr23
                                        ; implicit-def: $vgpr14_vgpr15
	s_and_b64 vcc, exec, s[6:7]
	v_lshlrev_b32_e32 v127, 3, v0
	s_cbranch_vccz .LBB923_115
.LBB923_107:
	v_mov_b32_e32 v1, s73
	v_add_co_u32_e32 v2, vcc, s72, v127
	v_addc_co_u32_e32 v3, vcc, 0, v1, vcc
	v_add_co_u32_e32 v20, vcc, 0x1000, v2
	v_addc_co_u32_e32 v21, vcc, 0, v3, vcc
	flat_load_dwordx2 v[4:5], v[2:3]
	flat_load_dwordx2 v[6:7], v[2:3] offset:512
	s_waitcnt vmcnt(0) lgkmcnt(0)
	flat_load_dwordx2 v[8:9], v[2:3] offset:1024
	flat_load_dwordx2 v[10:11], v[2:3] offset:1536
	;; [unrolled: 1-line block ×6, first 2 shown]
	v_add_co_u32_e32 v2, vcc, 0x2000, v2
	v_addc_co_u32_e32 v3, vcc, 0, v3, vcc
	flat_load_dwordx2 v[22:23], v[20:21]
	flat_load_dwordx2 v[24:25], v[20:21] offset:512
	flat_load_dwordx2 v[26:27], v[20:21] offset:1024
	;; [unrolled: 1-line block ×7, first 2 shown]
	s_nop 0
	flat_load_dwordx2 v[20:21], v[2:3]
	flat_load_dwordx2 v[38:39], v[2:3] offset:512
	flat_load_dwordx2 v[40:41], v[2:3] offset:1024
	s_movk_i32 s4, 0x90
	v_mad_u32_u24 v1, v0, s4, v127
	s_cmp_eq_u64 s[76:77], 0
	ds_write2st64_b64 v127, v[4:5], v[6:7] offset1:1
	s_waitcnt vmcnt(0) lgkmcnt(0)
	ds_write2st64_b64 v127, v[8:9], v[10:11] offset0:2 offset1:3
	ds_write2st64_b64 v127, v[12:13], v[14:15] offset0:4 offset1:5
	;; [unrolled: 1-line block ×8, first 2 shown]
	ds_write_b64 v127, v[40:41] offset:9216
	s_waitcnt lgkmcnt(0)
	; wave barrier
	s_waitcnt lgkmcnt(0)
	ds_read2_b64 v[14:17], v1 offset1:1
	ds_read2_b64 v[2:5], v1 offset0:2 offset1:3
	ds_read2_b64 v[6:9], v1 offset0:4 offset1:5
	;; [unrolled: 1-line block ×8, first 2 shown]
	ds_read_b64 v[38:39], v1 offset:144
	s_cbranch_scc1 .LBB923_112
; %bb.108:
	s_andn2_b64 vcc, exec, s[74:75]
	s_cbranch_vccnz .LBB923_260
; %bb.109:
	s_lshl_b64 s[4:5], s[76:77], 3
	s_add_u32 s4, s62, s4
	s_addc_u32 s5, s63, s5
	s_add_u32 s4, s4, -8
	s_addc_u32 s5, s5, -1
	s_cbranch_execnz .LBB923_111
.LBB923_110:
	s_add_u32 s4, s72, -8
	s_addc_u32 s5, s73, -1
.LBB923_111:
	s_mov_b64 s[72:73], s[4:5]
.LBB923_112:
	v_pk_mov_b32 v[40:41], s[72:73], s[72:73] op_sel:[0,1]
	flat_load_dwordx2 v[42:43], v[40:41]
	s_movk_i32 s4, 0xff70
	v_mad_i32_i24 v40, v0, s4, v1
	s_waitcnt lgkmcnt(0)
	ds_write_b64 v40, v[38:39] offset:9728
	s_waitcnt lgkmcnt(0)
	; wave barrier
	s_waitcnt lgkmcnt(0)
	s_and_saveexec_b64 s[4:5], s[46:47]
	s_cbranch_execz .LBB923_114
; %bb.113:
	v_mul_i32_i24_e32 v40, 0xffffff70, v0
	v_add_u32_e32 v40, v1, v40
	s_waitcnt vmcnt(0)
	ds_read_b64 v[42:43], v40 offset:9720
.LBB923_114:
	s_or_b64 exec, exec, s[4:5]
	s_waitcnt lgkmcnt(0)
	; wave barrier
	s_waitcnt lgkmcnt(0)
	global_load_dwordx2 v[40:41], v127, s[70:71]
	global_load_dwordx2 v[44:45], v127, s[70:71] offset:512
	global_load_dwordx2 v[46:47], v127, s[70:71] offset:1024
	;; [unrolled: 1-line block ×4, first 2 shown]
	v_mov_b32_e32 v58, s71
	global_load_dwordx2 v[52:53], v127, s[70:71] offset:2560
	global_load_dwordx2 v[54:55], v127, s[70:71] offset:3072
	;; [unrolled: 1-line block ×3, first 2 shown]
	v_add_co_u32_e32 v62, vcc, s70, v127
	s_movk_i32 s5, 0x2000
	v_addc_co_u32_e32 v63, vcc, 0, v58, vcc
	v_add_co_u32_e32 v58, vcc, s5, v62
	s_movk_i32 s4, 0x1000
	v_addc_co_u32_e32 v59, vcc, 0, v63, vcc
	global_load_dwordx2 v[60:61], v[58:59], off offset:-4096
	v_add_co_u32_e32 v62, vcc, s4, v62
	v_addc_co_u32_e32 v63, vcc, 0, v63, vcc
	global_load_dwordx2 v[64:65], v[62:63], off offset:512
	v_cmp_ne_u64_e64 s[4:5], v[36:37], v[38:39]
	v_cmp_ne_u64_e32 vcc, v[34:35], v[36:37]
	global_load_dwordx2 v[36:37], v[62:63], off offset:1024
	v_cndmask_b32_e64 v110, 0, 1, vcc
	v_cmp_ne_u64_e32 vcc, v[32:33], v[34:35]
	global_load_dwordx2 v[34:35], v[62:63], off offset:1536
	v_cndmask_b32_e64 v126, 0, 1, vcc
	v_cmp_ne_u64_e32 vcc, v[30:31], v[32:33]
	v_cndmask_b32_e64 v125, 0, 1, vcc
	v_cmp_ne_u64_e32 vcc, v[28:29], v[30:31]
	global_load_dwordx2 v[30:31], v[62:63], off offset:2048
	v_cndmask_b32_e64 v124, 0, 1, vcc
	v_cmp_ne_u64_e32 vcc, v[26:27], v[28:29]
	global_load_dwordx2 v[28:29], v[62:63], off offset:2560
	v_cndmask_b32_e64 v123, 0, 1, vcc
	v_cmp_ne_u64_e32 vcc, v[24:25], v[26:27]
	v_cndmask_b32_e64 v122, 0, 1, vcc
	;; [unrolled: 8-line block ×3, first 2 shown]
	v_cmp_ne_u64_e32 vcc, v[12:13], v[18:19]
	global_load_dwordx2 v[18:19], v[58:59], off
	v_cndmask_b32_e64 v118, 0, 1, vcc
	v_cmp_ne_u64_e32 vcc, v[10:11], v[12:13]
	global_load_dwordx2 v[12:13], v[58:59], off offset:512
	v_cndmask_b32_e64 v117, 0, 1, vcc
	v_cmp_ne_u64_e32 vcc, v[8:9], v[10:11]
	v_cndmask_b32_e64 v116, 0, 1, vcc
	v_cmp_ne_u64_e32 vcc, v[6:7], v[8:9]
	global_load_dwordx2 v[8:9], v[58:59], off offset:1024
	v_cndmask_b32_e64 v115, 0, 1, vcc
	v_cmp_ne_u64_e32 vcc, v[4:5], v[6:7]
	v_cndmask_b32_e64 v114, 0, 1, vcc
	v_cmp_ne_u64_e32 vcc, v[2:3], v[4:5]
	;; [unrolled: 2-line block ×3, first 2 shown]
	v_cndmask_b32_e64 v111, 0, 1, vcc
	s_mov_b64 s[10:11], -1
                                        ; implicit-def: $sgpr80
                                        ; implicit-def: $sgpr8_sgpr9
                                        ; implicit-def: $vgpr70_vgpr71
                                        ; implicit-def: $vgpr66_vgpr67
                                        ; implicit-def: $vgpr58_vgpr59
	s_waitcnt vmcnt(0)
	v_sub_co_u32_e32 v2, vcc, 0, v40
	v_subb_co_u32_e32 v3, vcc, 0, v41, vcc
	v_sub_co_u32_e32 v4, vcc, 0, v44
	v_subb_co_u32_e32 v5, vcc, 0, v45, vcc
	v_sub_co_u32_e32 v6, vcc, 0, v46
	v_subb_co_u32_e32 v7, vcc, 0, v47, vcc
	v_sub_co_u32_e32 v10, vcc, 0, v48
	v_subb_co_u32_e32 v11, vcc, 0, v49, vcc
	v_sub_co_u32_e32 v20, vcc, 0, v50
	v_subb_co_u32_e32 v21, vcc, 0, v51, vcc
	v_sub_co_u32_e32 v26, vcc, 0, v52
	v_subb_co_u32_e32 v27, vcc, 0, v53, vcc
	v_sub_co_u32_e32 v32, vcc, 0, v54
	v_subb_co_u32_e32 v33, vcc, 0, v55, vcc
	v_sub_co_u32_e32 v38, vcc, 0, v56
	v_subb_co_u32_e32 v39, vcc, 0, v57, vcc
	v_sub_co_u32_e32 v40, vcc, 0, v60
	v_subb_co_u32_e32 v41, vcc, 0, v61, vcc
	v_sub_co_u32_e32 v44, vcc, 0, v64
	v_subb_co_u32_e32 v45, vcc, 0, v65, vcc
	v_sub_co_u32_e32 v36, vcc, 0, v36
	v_subb_co_u32_e32 v37, vcc, 0, v37, vcc
	v_sub_co_u32_e32 v34, vcc, 0, v34
	v_subb_co_u32_e32 v35, vcc, 0, v35, vcc
	v_sub_co_u32_e32 v30, vcc, 0, v30
	v_subb_co_u32_e32 v31, vcc, 0, v31, vcc
	v_sub_co_u32_e32 v28, vcc, 0, v28
	v_subb_co_u32_e32 v29, vcc, 0, v29, vcc
	v_sub_co_u32_e32 v24, vcc, 0, v24
	v_subb_co_u32_e32 v25, vcc, 0, v25, vcc
	v_sub_co_u32_e32 v22, vcc, 0, v22
	v_subb_co_u32_e32 v23, vcc, 0, v23, vcc
	v_sub_co_u32_e32 v18, vcc, 0, v18
	v_subb_co_u32_e32 v19, vcc, 0, v19, vcc
	v_sub_co_u32_e32 v12, vcc, 0, v12
	v_subb_co_u32_e32 v13, vcc, 0, v13, vcc
	v_sub_co_u32_e32 v8, vcc, 0, v8
	v_subb_co_u32_e32 v9, vcc, 0, v9, vcc
	ds_write2st64_b64 v127, v[2:3], v[4:5] offset1:1
	ds_write2st64_b64 v127, v[6:7], v[10:11] offset0:2 offset1:3
	ds_write2st64_b64 v127, v[20:21], v[26:27] offset0:4 offset1:5
	;; [unrolled: 1-line block ×8, first 2 shown]
	ds_write_b64 v127, v[8:9] offset:9216
	s_waitcnt lgkmcnt(0)
	; wave barrier
	s_waitcnt lgkmcnt(0)
	ds_read2_b64 v[2:5], v1 offset1:1
	ds_read2_b64 v[10:13], v1 offset0:2 offset1:3
	ds_read2_b64 v[18:21], v1 offset0:4 offset1:5
	;; [unrolled: 1-line block ×8, first 2 shown]
	ds_read_b64 v[8:9], v1 offset:144
	v_cmp_ne_u64_e32 vcc, v[14:15], v[16:17]
	v_cndmask_b32_e64 v112, 0, 1, vcc
	v_cmp_ne_u64_e32 vcc, v[42:43], v[14:15]
	v_cndmask_b32_e64 v1, 0, 1, vcc
                                        ; implicit-def: $vgpr50_vgpr51
                                        ; implicit-def: $vgpr42_vgpr43
                                        ; implicit-def: $vgpr34_vgpr35
                                        ; implicit-def: $vgpr22_vgpr23
                                        ; implicit-def: $vgpr14_vgpr15
.LBB923_115:
	s_waitcnt lgkmcnt(0)
	v_pk_mov_b32 v[16:17], s[8:9], s[8:9] op_sel:[0,1]
	v_mov_b32_e32 v36, s80
	s_and_saveexec_b64 s[6:7], s[10:11]
	s_cbranch_execz .LBB923_117
; %bb.116:
	v_cndmask_b32_e64 v36, 0, 1, s[4:5]
	v_pk_mov_b32 v[14:15], v[4:5], v[4:5] op_sel:[0,1]
	v_pk_mov_b32 v[22:23], v[12:13], v[12:13] op_sel:[0,1]
	;; [unrolled: 1-line block ×9, first 2 shown]
	s_waitcnt vmcnt(0)
	v_pk_mov_b32 v[16:17], v[8:9], v[8:9] op_sel:[0,1]
.LBB923_117:
	s_or_b64 exec, exec, s[6:7]
	v_or_b32_e32 v4, v36, v110
	s_cmp_lg_u32 s55, 0
	v_or_b32_e32 v29, v4, v126
	v_mbcnt_lo_u32_b32 v28, -1, 0
	s_waitcnt lgkmcnt(0)
	; wave barrier
	s_cbranch_scc0 .LBB923_176
; %bb.118:
	v_mov_b32_e32 v4, 0
	v_cmp_eq_u16_sdwa s[42:43], v112, v4 src0_sel:BYTE_0 src1_sel:DWORD
	s_waitcnt vmcnt(0)
	v_cndmask_b32_e64 v9, 0, v2, s[42:43]
	v_cndmask_b32_e64 v5, 0, v3, s[42:43]
	v_add_co_u32_e32 v9, vcc, v9, v14
	v_cmp_eq_u16_sdwa s[40:41], v111, v4 src0_sel:BYTE_0 src1_sel:DWORD
	v_addc_co_u32_e32 v5, vcc, v5, v15, vcc
	v_cndmask_b32_e64 v9, 0, v9, s[40:41]
	v_cndmask_b32_e64 v5, 0, v5, s[40:41]
	v_add_co_u32_e32 v9, vcc, v9, v10
	v_cmp_eq_u16_sdwa s[38:39], v113, v4 src0_sel:BYTE_0 src1_sel:DWORD
	v_addc_co_u32_e32 v5, vcc, v5, v11, vcc
	;; [unrolled: 5-line block ×16, first 2 shown]
	v_cndmask_b32_e64 v9, 0, v9, s[8:9]
	v_add_co_u32_e32 v9, vcc, v9, v6
	v_cmp_eq_u16_sdwa s[6:7], v36, v4 src0_sel:BYTE_0 src1_sel:DWORD
	v_cndmask_b32_e64 v4, 0, v9, s[6:7]
	v_or_b32_e32 v9, v29, v125
	v_or_b32_e32 v9, v9, v124
	;; [unrolled: 1-line block ×12, first 2 shown]
	v_cndmask_b32_e64 v5, 0, v5, s[8:9]
	v_or_b32_e32 v9, v9, v113
	v_addc_co_u32_e32 v5, vcc, v5, v7, vcc
	v_or_b32_e32 v9, v9, v111
	v_cndmask_b32_e64 v5, 0, v5, s[6:7]
	v_add_co_u32_e32 v4, vcc, v4, v16
	v_or_b32_e32 v9, v9, v112
	v_addc_co_u32_e32 v5, vcc, v5, v17, vcc
	v_and_b32_e32 v9, 1, v9
	v_and_b32_e32 v8, 0xff, v1
	v_cmp_eq_u32_e32 vcc, 1, v9
	v_mbcnt_hi_u32_b32 v9, -1, v28
	v_cndmask_b32_e64 v8, v8, 1, vcc
	v_and_b32_e32 v12, 15, v9
	v_mov_b32_dpp v20, v4 row_shr:1 row_mask:0xf bank_mask:0xf
	v_mov_b32_dpp v21, v5 row_shr:1 row_mask:0xf bank_mask:0xf
	;; [unrolled: 1-line block ×3, first 2 shown]
	v_cmp_ne_u32_e32 vcc, 0, v12
	s_and_saveexec_b64 s[4:5], vcc
; %bb.119:
	v_cmp_eq_u32_e32 vcc, 0, v8
	v_cndmask_b32_e32 v20, 0, v20, vcc
	v_cndmask_b32_e32 v21, 0, v21, vcc
	v_add_co_u32_e32 v4, vcc, v20, v4
	v_addc_co_u32_e32 v5, vcc, v21, v5, vcc
	v_and_or_b32 v8, v13, 1, v8
; %bb.120:
	s_or_b64 exec, exec, s[4:5]
	v_mov_b32_dpp v20, v4 row_shr:2 row_mask:0xf bank_mask:0xf
	v_mov_b32_dpp v21, v5 row_shr:2 row_mask:0xf bank_mask:0xf
	v_mov_b32_dpp v13, v8 row_shr:2 row_mask:0xf bank_mask:0xf
	v_cmp_lt_u32_e32 vcc, 1, v12
	s_and_saveexec_b64 s[4:5], vcc
; %bb.121:
	v_cmp_eq_u32_e32 vcc, 0, v8
	v_cndmask_b32_e32 v20, 0, v20, vcc
	v_cndmask_b32_e32 v21, 0, v21, vcc
	v_add_co_u32_e32 v4, vcc, v20, v4
	v_or_b32_e32 v8, v13, v8
	v_addc_co_u32_e32 v5, vcc, v21, v5, vcc
	v_and_b32_e32 v8, 1, v8
; %bb.122:
	s_or_b64 exec, exec, s[4:5]
	v_mov_b32_dpp v20, v4 row_shr:4 row_mask:0xf bank_mask:0xf
	v_mov_b32_dpp v21, v5 row_shr:4 row_mask:0xf bank_mask:0xf
	v_mov_b32_dpp v13, v8 row_shr:4 row_mask:0xf bank_mask:0xf
	v_cmp_lt_u32_e32 vcc, 3, v12
	s_and_saveexec_b64 s[4:5], vcc
; %bb.123:
	v_cmp_eq_u32_e32 vcc, 0, v8
	v_cndmask_b32_e32 v20, 0, v20, vcc
	v_cndmask_b32_e32 v21, 0, v21, vcc
	v_add_co_u32_e32 v4, vcc, v20, v4
	v_or_b32_e32 v8, v13, v8
	v_addc_co_u32_e32 v5, vcc, v21, v5, vcc
	v_and_b32_e32 v8, 1, v8
	;; [unrolled: 15-line block ×3, first 2 shown]
; %bb.126:
	s_or_b64 exec, exec, s[4:5]
	v_and_b32_e32 v21, 16, v9
	v_mov_b32_dpp v13, v4 row_bcast:15 row_mask:0xf bank_mask:0xf
	v_mov_b32_dpp v20, v5 row_bcast:15 row_mask:0xf bank_mask:0xf
	;; [unrolled: 1-line block ×3, first 2 shown]
	v_cmp_ne_u32_e32 vcc, 0, v21
	s_and_saveexec_b64 s[4:5], vcc
; %bb.127:
	v_cmp_eq_u32_e32 vcc, 0, v8
	v_cndmask_b32_e32 v13, 0, v13, vcc
	v_cndmask_b32_e32 v20, 0, v20, vcc
	v_add_co_u32_e32 v4, vcc, v13, v4
	v_or_b32_e32 v8, v12, v8
	v_addc_co_u32_e32 v5, vcc, v20, v5, vcc
	v_and_b32_e32 v8, 1, v8
; %bb.128:
	s_or_b64 exec, exec, s[4:5]
	v_mov_b32_dpp v20, v4 row_bcast:31 row_mask:0xf bank_mask:0xf
	v_mov_b32_dpp v21, v5 row_bcast:31 row_mask:0xf bank_mask:0xf
	;; [unrolled: 1-line block ×3, first 2 shown]
	v_cmp_lt_u32_e32 vcc, 31, v9
	v_mov_b32_e32 v12, v8
	s_and_saveexec_b64 s[4:5], vcc
; %bb.129:
	v_cmp_eq_u32_e32 vcc, 0, v8
	v_cndmask_b32_e32 v20, 0, v20, vcc
	v_cndmask_b32_e32 v12, 0, v21, vcc
	v_add_co_u32_e32 v4, vcc, v20, v4
	v_or_b32_e32 v8, v13, v8
	v_addc_co_u32_e32 v5, vcc, v12, v5, vcc
	v_and_b32_e32 v12, 1, v8
	v_and_b32_e32 v8, 1, v8
; %bb.130:
	s_or_b64 exec, exec, s[4:5]
	v_cmp_eq_u32_e32 vcc, 63, v0
	s_and_saveexec_b64 s[4:5], vcc
	s_cbranch_execz .LBB923_132
; %bb.131:
	v_mov_b32_e32 v13, 0
	ds_write_b64 v13, v[4:5]
	ds_write_b8 v13, v12 offset:8
.LBB923_132:
	s_or_b64 exec, exec, s[4:5]
	v_add_u32_e32 v12, -1, v9
	v_and_b32_e32 v13, 64, v9
	v_cmp_lt_i32_e32 vcc, v12, v13
	v_cndmask_b32_e32 v12, v12, v9, vcc
	v_lshlrev_b32_e32 v12, 2, v12
	ds_bpermute_b32 v33, v12, v4
	ds_bpermute_b32 v37, v12, v5
	;; [unrolled: 1-line block ×3, first 2 shown]
	v_cmp_gt_u32_e32 vcc, 64, v0
	s_waitcnt lgkmcnt(0)
	; wave barrier
	s_waitcnt lgkmcnt(0)
	s_and_saveexec_b64 s[56:57], vcc
	s_cbranch_execz .LBB923_175
; %bb.133:
	v_mov_b32_e32 v13, 0
	ds_read_b64 v[4:5], v13
	ds_read_u8 v40, v13 offset:8
	s_mov_b32 s63, 0
	v_cmp_eq_u32_e64 s[44:45], 0, v9
	s_and_saveexec_b64 s[4:5], s[44:45]
	s_cbranch_execz .LBB923_135
; %bb.134:
	s_add_i32 s62, s55, 64
	s_lshl_b64 s[70:71], s[62:63], 4
	s_add_u32 s70, s48, s70
	s_addc_u32 s71, s49, s71
	v_mov_b32_e32 v8, s62
	v_mov_b32_e32 v12, 1
	s_waitcnt lgkmcnt(1)
	global_store_dwordx2 v13, v[4:5], s[70:71]
	s_waitcnt lgkmcnt(0)
	global_store_byte v13, v40, s[70:71] offset:8
	s_waitcnt vmcnt(0)
	buffer_wbinvl1_vol
	global_store_byte v8, v12, s[52:53]
.LBB923_135:
	s_or_b64 exec, exec, s[4:5]
	v_xad_u32 v8, v9, -1, s55
	v_add_u32_e32 v12, 64, v8
	global_load_ubyte v41, v12, s[52:53] glc
	s_waitcnt vmcnt(0)
	v_cmp_eq_u16_e32 vcc, 0, v41
	s_and_saveexec_b64 s[4:5], vcc
	s_cbranch_execz .LBB923_139
; %bb.136:
	v_mov_b32_e32 v21, s53
	v_add_co_u32_e32 v20, vcc, s52, v12
	v_addc_co_u32_e32 v21, vcc, 0, v21, vcc
	s_mov_b64 s[62:63], 0
.LBB923_137:                            ; =>This Inner Loop Header: Depth=1
	global_load_ubyte v41, v[20:21], off glc
	s_waitcnt vmcnt(0)
	v_cmp_ne_u16_e32 vcc, 0, v41
	s_or_b64 s[62:63], vcc, s[62:63]
	s_andn2_b64 exec, exec, s[62:63]
	s_cbranch_execnz .LBB923_137
; %bb.138:
	s_or_b64 exec, exec, s[62:63]
.LBB923_139:
	s_or_b64 exec, exec, s[4:5]
	v_mov_b32_e32 v20, s51
	v_mov_b32_e32 v21, s49
	v_cmp_eq_u16_e32 vcc, 1, v41
	v_cndmask_b32_e32 v20, v20, v21, vcc
	v_mov_b32_e32 v21, s50
	v_mov_b32_e32 v24, s48
	v_cndmask_b32_e32 v21, v21, v24, vcc
	v_lshlrev_b64 v[12:13], 4, v[12:13]
	v_add_co_u32_e32 v12, vcc, v21, v12
	v_addc_co_u32_e32 v13, vcc, v20, v13, vcc
	s_waitcnt lgkmcnt(0)
	buffer_wbinvl1_vol
	global_load_dwordx2 v[24:25], v[12:13], off
	global_load_ubyte v72, v[12:13], off offset:8
	v_cmp_eq_u16_e32 vcc, 2, v41
	v_lshlrev_b64 v[12:13], v9, -1
	v_and_b32_e32 v44, 63, v9
	v_and_b32_e32 v20, vcc_hi, v13
	v_and_b32_e32 v53, vcc_lo, v12
	v_cmp_ne_u32_e32 vcc, 63, v44
	v_addc_co_u32_e32 v21, vcc, 0, v9, vcc
	v_lshlrev_b32_e32 v45, 2, v21
	v_or_b32_e32 v20, 0x80000000, v20
	v_ffbl_b32_e32 v20, v20
	v_add_u32_e32 v20, 32, v20
	v_ffbl_b32_e32 v53, v53
	v_min_u32_e32 v20, v53, v20
	v_cmp_lt_u32_e32 vcc, v44, v20
	s_waitcnt vmcnt(1)
	ds_bpermute_b32 v49, v45, v24
	s_waitcnt vmcnt(0)
	v_and_b32_e32 v21, 1, v72
	ds_bpermute_b32 v52, v45, v25
	ds_bpermute_b32 v48, v45, v21
	s_and_saveexec_b64 s[4:5], vcc
	s_cbranch_execz .LBB923_141
; %bb.140:
	v_mov_b32_e32 v21, 0
	v_cmp_eq_u16_sdwa vcc, v72, v21 src0_sel:BYTE_0 src1_sel:DWORD
	s_waitcnt lgkmcnt(2)
	v_cndmask_b32_e32 v49, 0, v49, vcc
	s_waitcnt lgkmcnt(1)
	v_cndmask_b32_e32 v21, 0, v52, vcc
	v_add_co_u32_e32 v24, vcc, v49, v24
	v_addc_co_u32_e32 v25, vcc, v21, v25, vcc
	s_waitcnt lgkmcnt(0)
	v_and_b32_e32 v21, 1, v48
	v_or_b32_e32 v72, v21, v72
	v_and_b32_e32 v21, 0xff, v72
.LBB923_141:
	s_or_b64 exec, exec, s[4:5]
	v_cmp_gt_u32_e32 vcc, 62, v44
	s_waitcnt lgkmcnt(0)
	v_cndmask_b32_e64 v48, 0, 1, vcc
	v_lshlrev_b32_e32 v48, 1, v48
	v_add_lshl_u32 v48, v48, v9, 2
	ds_bpermute_b32 v53, v48, v24
	ds_bpermute_b32 v56, v48, v25
	ds_bpermute_b32 v52, v48, v21
	v_add_u32_e32 v49, 2, v44
	v_cmp_le_u32_e32 vcc, v49, v20
	s_and_saveexec_b64 s[62:63], vcc
	s_cbranch_execz .LBB923_143
; %bb.142:
	v_mov_b32_e32 v21, 0
	v_cmp_eq_u16_sdwa vcc, v72, v21 src0_sel:BYTE_0 src1_sel:DWORD
	s_waitcnt lgkmcnt(2)
	v_cndmask_b32_e32 v53, 0, v53, vcc
	s_waitcnt lgkmcnt(1)
	v_cndmask_b32_e32 v21, 0, v56, vcc
	v_add_co_u32_e32 v24, vcc, v53, v24
	v_addc_co_u32_e32 v25, vcc, v21, v25, vcc
	v_and_b32_e32 v21, 1, v72
	v_cmp_eq_u32_e32 vcc, 1, v21
	s_waitcnt lgkmcnt(0)
	v_and_b32_e32 v21, 1, v52
	v_cmp_eq_u32_e64 s[4:5], 1, v21
	s_or_b64 s[4:5], vcc, s[4:5]
	v_cndmask_b32_e64 v72, 0, 1, s[4:5]
	v_cndmask_b32_e64 v21, 0, 1, s[4:5]
.LBB923_143:
	s_or_b64 exec, exec, s[62:63]
	v_cmp_gt_u32_e32 vcc, 60, v44
	s_waitcnt lgkmcnt(0)
	v_cndmask_b32_e64 v52, 0, 1, vcc
	v_lshlrev_b32_e32 v52, 2, v52
	v_add_lshl_u32 v52, v52, v9, 2
	ds_bpermute_b32 v57, v52, v24
	ds_bpermute_b32 v60, v52, v25
	ds_bpermute_b32 v56, v52, v21
	v_add_u32_e32 v53, 4, v44
	v_cmp_le_u32_e32 vcc, v53, v20
	s_and_saveexec_b64 s[62:63], vcc
	s_cbranch_execz .LBB923_145
; %bb.144:
	v_mov_b32_e32 v21, 0
	v_cmp_eq_u16_sdwa vcc, v72, v21 src0_sel:BYTE_0 src1_sel:DWORD
	s_waitcnt lgkmcnt(2)
	v_cndmask_b32_e32 v57, 0, v57, vcc
	s_waitcnt lgkmcnt(1)
	v_cndmask_b32_e32 v21, 0, v60, vcc
	v_add_co_u32_e32 v24, vcc, v57, v24
	v_addc_co_u32_e32 v25, vcc, v21, v25, vcc
	v_and_b32_e32 v21, 1, v72
	v_cmp_eq_u32_e32 vcc, 1, v21
	s_waitcnt lgkmcnt(0)
	v_and_b32_e32 v21, 1, v56
	v_cmp_eq_u32_e64 s[4:5], 1, v21
	s_or_b64 s[4:5], vcc, s[4:5]
	v_cndmask_b32_e64 v72, 0, 1, s[4:5]
	v_cndmask_b32_e64 v21, 0, 1, s[4:5]
.LBB923_145:
	;; [unrolled: 31-line block ×4, first 2 shown]
	s_or_b64 exec, exec, s[62:63]
	v_cmp_gt_u32_e32 vcc, 32, v44
	s_waitcnt lgkmcnt(0)
	v_cndmask_b32_e64 v64, 0, 1, vcc
	v_lshlrev_b32_e32 v64, 5, v64
	v_add_lshl_u32 v65, v64, v9, 2
	ds_bpermute_b32 v64, v65, v24
	ds_bpermute_b32 v69, v65, v25
	;; [unrolled: 1-line block ×3, first 2 shown]
	v_add_u32_e32 v68, 32, v44
	v_cmp_le_u32_e32 vcc, v68, v20
	s_and_saveexec_b64 s[62:63], vcc
	s_cbranch_execz .LBB923_151
; %bb.150:
	v_mov_b32_e32 v20, 0
	v_cmp_eq_u16_sdwa vcc, v72, v20 src0_sel:BYTE_0 src1_sel:DWORD
	s_waitcnt lgkmcnt(2)
	v_cndmask_b32_e32 v21, 0, v64, vcc
	s_waitcnt lgkmcnt(1)
	v_cndmask_b32_e32 v20, 0, v69, vcc
	v_add_co_u32_e32 v24, vcc, v21, v24
	v_addc_co_u32_e32 v25, vcc, v20, v25, vcc
	v_and_b32_e32 v20, 1, v72
	s_waitcnt lgkmcnt(0)
	v_and_b32_e32 v9, 1, v9
	v_cmp_eq_u32_e32 vcc, 1, v20
	v_cmp_eq_u32_e64 s[4:5], 1, v9
	s_or_b64 s[4:5], vcc, s[4:5]
	v_cndmask_b32_e64 v72, 0, 1, s[4:5]
.LBB923_151:
	s_or_b64 exec, exec, s[62:63]
	s_waitcnt lgkmcnt(0)
	v_mov_b32_e32 v9, 0
	v_mov_b32_e32 v69, 2
	s_branch .LBB923_153
.LBB923_152:                            ;   in Loop: Header=BB923_153 Depth=1
	s_or_b64 exec, exec, s[70:71]
	v_cmp_eq_u16_sdwa vcc, v64, v9 src0_sel:BYTE_0 src1_sel:DWORD
	v_cndmask_b32_e32 v24, 0, v24, vcc
	v_cndmask_b32_e32 v25, 0, v25, vcc
	v_add_co_u32_e32 v24, vcc, v24, v20
	v_addc_co_u32_e32 v25, vcc, v25, v21, vcc
	v_and_b32_e32 v72, 1, v64
	v_cmp_eq_u32_e32 vcc, 1, v72
	s_or_b64 s[4:5], vcc, s[62:63]
	v_subrev_u32_e32 v8, 64, v8
	v_cndmask_b32_e64 v72, 0, 1, s[4:5]
.LBB923_153:                            ; =>This Loop Header: Depth=1
                                        ;     Child Loop BB923_156 Depth 2
	v_cmp_ne_u16_sdwa s[4:5], v41, v69 src0_sel:BYTE_0 src1_sel:DWORD
	v_cndmask_b32_e64 v20, 0, 1, s[4:5]
	;;#ASMSTART
	;;#ASMEND
	v_cmp_ne_u32_e32 vcc, 0, v20
	v_mov_b32_e32 v64, v72
	s_cmp_lg_u64 vcc, exec
	v_pk_mov_b32 v[20:21], v[24:25], v[24:25] op_sel:[0,1]
	s_cbranch_scc1 .LBB923_170
; %bb.154:                              ;   in Loop: Header=BB923_153 Depth=1
	global_load_ubyte v41, v8, s[52:53] glc
	s_waitcnt vmcnt(0)
	v_cmp_eq_u16_e32 vcc, 0, v41
	s_and_saveexec_b64 s[4:5], vcc
	s_cbranch_execz .LBB923_158
; %bb.155:                              ;   in Loop: Header=BB923_153 Depth=1
	v_mov_b32_e32 v25, s53
	v_add_co_u32_e32 v24, vcc, s52, v8
	v_addc_co_u32_e32 v25, vcc, 0, v25, vcc
	s_mov_b64 s[62:63], 0
.LBB923_156:                            ;   Parent Loop BB923_153 Depth=1
                                        ; =>  This Inner Loop Header: Depth=2
	global_load_ubyte v41, v[24:25], off glc
	s_waitcnt vmcnt(0)
	v_cmp_ne_u16_e32 vcc, 0, v41
	s_or_b64 s[62:63], vcc, s[62:63]
	s_andn2_b64 exec, exec, s[62:63]
	s_cbranch_execnz .LBB923_156
; %bb.157:                              ;   in Loop: Header=BB923_153 Depth=1
	s_or_b64 exec, exec, s[62:63]
.LBB923_158:                            ;   in Loop: Header=BB923_153 Depth=1
	s_or_b64 exec, exec, s[4:5]
	v_mov_b32_e32 v24, s51
	v_mov_b32_e32 v25, s49
	v_cmp_eq_u16_e32 vcc, 1, v41
	v_cndmask_b32_e32 v73, v24, v25, vcc
	v_mov_b32_e32 v24, s50
	v_mov_b32_e32 v25, s48
	v_cndmask_b32_e32 v72, v24, v25, vcc
	v_lshlrev_b64 v[24:25], 4, v[8:9]
	v_add_co_u32_e32 v72, vcc, v72, v24
	v_addc_co_u32_e32 v73, vcc, v73, v25, vcc
	buffer_wbinvl1_vol
	global_load_dwordx2 v[24:25], v[72:73], off
	s_nop 0
	global_load_ubyte v72, v[72:73], off offset:8
	v_cmp_eq_u16_e32 vcc, 2, v41
	v_and_b32_e32 v73, vcc_hi, v13
	v_or_b32_e32 v73, 0x80000000, v73
	v_and_b32_e32 v78, vcc_lo, v12
	v_ffbl_b32_e32 v73, v73
	v_add_u32_e32 v73, 32, v73
	v_ffbl_b32_e32 v78, v78
	v_min_u32_e32 v73, v78, v73
	v_cmp_lt_u32_e32 vcc, v44, v73
	s_waitcnt vmcnt(1) lgkmcnt(1)
	ds_bpermute_b32 v76, v45, v24
	s_waitcnt vmcnt(0) lgkmcnt(1)
	v_and_b32_e32 v74, 1, v72
	ds_bpermute_b32 v77, v45, v25
	ds_bpermute_b32 v75, v45, v74
	s_and_saveexec_b64 s[4:5], vcc
	s_cbranch_execz .LBB923_160
; %bb.159:                              ;   in Loop: Header=BB923_153 Depth=1
	v_cmp_eq_u16_sdwa vcc, v72, v9 src0_sel:BYTE_0 src1_sel:DWORD
	s_waitcnt lgkmcnt(2)
	v_cndmask_b32_e32 v76, 0, v76, vcc
	s_waitcnt lgkmcnt(1)
	v_cndmask_b32_e32 v74, 0, v77, vcc
	v_add_co_u32_e32 v24, vcc, v76, v24
	v_addc_co_u32_e32 v25, vcc, v74, v25, vcc
	s_waitcnt lgkmcnt(0)
	v_and_b32_e32 v74, 1, v75
	v_or_b32_e32 v72, v74, v72
	v_and_b32_e32 v74, 0xff, v72
.LBB923_160:                            ;   in Loop: Header=BB923_153 Depth=1
	s_or_b64 exec, exec, s[4:5]
	s_waitcnt lgkmcnt(2)
	ds_bpermute_b32 v76, v48, v24
	s_waitcnt lgkmcnt(2)
	ds_bpermute_b32 v77, v48, v25
	;; [unrolled: 2-line block ×3, first 2 shown]
	v_and_b32_e32 v78, 1, v72
	v_cmp_le_u32_e32 vcc, v49, v73
	v_cmp_eq_u32_e64 s[62:63], 1, v78
	s_and_saveexec_b64 s[4:5], vcc
	s_cbranch_execz .LBB923_162
; %bb.161:                              ;   in Loop: Header=BB923_153 Depth=1
	v_cmp_eq_u16_sdwa vcc, v72, v9 src0_sel:BYTE_0 src1_sel:DWORD
	s_waitcnt lgkmcnt(2)
	v_cndmask_b32_e32 v74, 0, v76, vcc
	s_waitcnt lgkmcnt(1)
	v_cndmask_b32_e32 v72, 0, v77, vcc
	v_add_co_u32_e32 v24, vcc, v74, v24
	v_addc_co_u32_e32 v25, vcc, v72, v25, vcc
	s_waitcnt lgkmcnt(0)
	v_and_b32_e32 v72, 1, v75
	v_cmp_eq_u32_e32 vcc, 1, v72
	s_or_b64 s[70:71], s[62:63], vcc
	v_cndmask_b32_e64 v72, 0, 1, s[70:71]
	v_cndmask_b32_e64 v74, 0, 1, s[70:71]
	s_andn2_b64 s[62:63], s[62:63], exec
	s_and_b64 s[70:71], s[70:71], exec
	s_or_b64 s[62:63], s[62:63], s[70:71]
.LBB923_162:                            ;   in Loop: Header=BB923_153 Depth=1
	s_or_b64 exec, exec, s[4:5]
	s_waitcnt lgkmcnt(2)
	ds_bpermute_b32 v76, v52, v24
	s_waitcnt lgkmcnt(2)
	ds_bpermute_b32 v77, v52, v25
	s_waitcnt lgkmcnt(2)
	ds_bpermute_b32 v75, v52, v74
	v_cmp_le_u32_e32 vcc, v53, v73
	s_and_saveexec_b64 s[70:71], vcc
	s_cbranch_execz .LBB923_164
; %bb.163:                              ;   in Loop: Header=BB923_153 Depth=1
	v_cmp_eq_u16_sdwa vcc, v72, v9 src0_sel:BYTE_0 src1_sel:DWORD
	s_waitcnt lgkmcnt(2)
	v_cndmask_b32_e32 v76, 0, v76, vcc
	s_waitcnt lgkmcnt(1)
	v_cndmask_b32_e32 v74, 0, v77, vcc
	v_add_co_u32_e32 v24, vcc, v76, v24
	v_addc_co_u32_e32 v25, vcc, v74, v25, vcc
	v_and_b32_e32 v72, 1, v72
	v_cmp_eq_u32_e32 vcc, 1, v72
	s_waitcnt lgkmcnt(0)
	v_and_b32_e32 v72, 1, v75
	v_cmp_eq_u32_e64 s[4:5], 1, v72
	s_or_b64 s[4:5], vcc, s[4:5]
	v_cndmask_b32_e64 v72, 0, 1, s[4:5]
	v_cndmask_b32_e64 v74, 0, 1, s[4:5]
	s_andn2_b64 s[62:63], s[62:63], exec
	s_and_b64 s[4:5], s[4:5], exec
	s_or_b64 s[62:63], s[62:63], s[4:5]
.LBB923_164:                            ;   in Loop: Header=BB923_153 Depth=1
	s_or_b64 exec, exec, s[70:71]
	s_waitcnt lgkmcnt(2)
	ds_bpermute_b32 v76, v56, v24
	s_waitcnt lgkmcnt(2)
	ds_bpermute_b32 v77, v56, v25
	s_waitcnt lgkmcnt(2)
	ds_bpermute_b32 v75, v56, v74
	v_cmp_le_u32_e32 vcc, v57, v73
	s_and_saveexec_b64 s[70:71], vcc
	s_cbranch_execz .LBB923_166
; %bb.165:                              ;   in Loop: Header=BB923_153 Depth=1
	v_cmp_eq_u16_sdwa vcc, v72, v9 src0_sel:BYTE_0 src1_sel:DWORD
	s_waitcnt lgkmcnt(2)
	v_cndmask_b32_e32 v76, 0, v76, vcc
	s_waitcnt lgkmcnt(1)
	v_cndmask_b32_e32 v74, 0, v77, vcc
	v_add_co_u32_e32 v24, vcc, v76, v24
	v_addc_co_u32_e32 v25, vcc, v74, v25, vcc
	v_and_b32_e32 v72, 1, v72
	v_cmp_eq_u32_e32 vcc, 1, v72
	s_waitcnt lgkmcnt(0)
	v_and_b32_e32 v72, 1, v75
	v_cmp_eq_u32_e64 s[4:5], 1, v72
	s_or_b64 s[4:5], vcc, s[4:5]
	v_cndmask_b32_e64 v72, 0, 1, s[4:5]
	v_cndmask_b32_e64 v74, 0, 1, s[4:5]
	s_andn2_b64 s[62:63], s[62:63], exec
	s_and_b64 s[4:5], s[4:5], exec
	s_or_b64 s[62:63], s[62:63], s[4:5]
.LBB923_166:                            ;   in Loop: Header=BB923_153 Depth=1
	;; [unrolled: 30-line block ×3, first 2 shown]
	s_or_b64 exec, exec, s[70:71]
	s_waitcnt lgkmcnt(0)
	ds_bpermute_b32 v75, v65, v24
	ds_bpermute_b32 v76, v65, v25
	;; [unrolled: 1-line block ×3, first 2 shown]
	v_cmp_le_u32_e32 vcc, v68, v73
	s_and_saveexec_b64 s[70:71], vcc
	s_cbranch_execz .LBB923_152
; %bb.169:                              ;   in Loop: Header=BB923_153 Depth=1
	v_cmp_eq_u16_sdwa vcc, v72, v9 src0_sel:BYTE_0 src1_sel:DWORD
	s_waitcnt lgkmcnt(2)
	v_cndmask_b32_e32 v75, 0, v75, vcc
	s_waitcnt lgkmcnt(1)
	v_cndmask_b32_e32 v73, 0, v76, vcc
	v_add_co_u32_e32 v24, vcc, v75, v24
	v_addc_co_u32_e32 v25, vcc, v73, v25, vcc
	v_and_b32_e32 v72, 1, v72
	v_cmp_eq_u32_e32 vcc, 1, v72
	s_waitcnt lgkmcnt(0)
	v_and_b32_e32 v72, 1, v74
	v_cmp_eq_u32_e64 s[4:5], 1, v72
	s_or_b64 s[4:5], vcc, s[4:5]
	s_andn2_b64 s[62:63], s[62:63], exec
	s_and_b64 s[4:5], s[4:5], exec
	s_or_b64 s[62:63], s[62:63], s[4:5]
	s_branch .LBB923_152
.LBB923_170:                            ;   in Loop: Header=BB923_153 Depth=1
                                        ; implicit-def: $vgpr72
                                        ; implicit-def: $vgpr24_vgpr25
                                        ; implicit-def: $vgpr41
	s_cbranch_execz .LBB923_153
; %bb.171:
	s_and_saveexec_b64 s[4:5], s[44:45]
	s_cbranch_execz .LBB923_173
; %bb.172:
	v_mov_b32_e32 v8, 0
	s_mov_b32 s45, 0
	v_cmp_eq_u16_sdwa vcc, v40, v8 src0_sel:BYTE_0 src1_sel:DWORD
	s_add_i32 s44, s55, 64
	v_cndmask_b32_e32 v12, 0, v20, vcc
	s_lshl_b64 s[48:49], s[44:45], 4
	v_cndmask_b32_e32 v9, 0, v21, vcc
	v_add_co_u32_e32 v4, vcc, v12, v4
	s_add_u32 s48, s50, s48
	v_addc_co_u32_e32 v5, vcc, v9, v5, vcc
	v_or_b32_e32 v9, v40, v64
	s_addc_u32 s49, s51, s49
	v_and_b32_e32 v9, 1, v9
	global_store_dwordx2 v8, v[4:5], s[48:49]
	global_store_byte v8, v9, s[48:49] offset:8
	v_mov_b32_e32 v4, s44
	v_mov_b32_e32 v5, 2
	s_waitcnt vmcnt(0) lgkmcnt(0)
	buffer_wbinvl1_vol
	global_store_byte v4, v5, s[52:53]
.LBB923_173:
	s_or_b64 exec, exec, s[4:5]
	s_and_b64 exec, exec, s[0:1]
	s_cbranch_execz .LBB923_175
; %bb.174:
	v_mov_b32_e32 v4, 0
	ds_write_b64 v4, v[20:21]
	ds_write_b8 v4, v64 offset:8
.LBB923_175:
	s_or_b64 exec, exec, s[56:57]
	v_mov_b32_e32 v8, 0
	v_cmp_eq_u16_sdwa vcc, v1, v8 src0_sel:BYTE_0 src1_sel:DWORD
	v_and_b32_e32 v13, 1, v1
	v_cndmask_b32_e32 v9, 0, v33, vcc
	v_cndmask_b32_e32 v12, 0, v37, vcc
	v_cmp_eq_u32_e32 vcc, 1, v13
	v_and_b32_e32 v13, 1, v32
	s_waitcnt lgkmcnt(0)
	; wave barrier
	s_waitcnt lgkmcnt(0)
	ds_read_b64 v[4:5], v8
	v_cmp_eq_u32_e64 s[4:5], 1, v13
	s_or_b64 s[4:5], vcc, s[4:5]
	v_cndmask_b32_e64 v9, v9, 0, s[0:1]
	v_cndmask_b32_e64 v13, 0, 1, s[4:5]
	v_cndmask_b32_e64 v12, v12, 0, s[0:1]
	v_add_co_u32_e32 v9, vcc, v9, v2
	v_cndmask_b32_e64 v13, v13, v1, s[0:1]
	v_addc_co_u32_e32 v12, vcc, v12, v3, vcc
	v_cmp_eq_u16_sdwa vcc, v13, v8 src0_sel:BYTE_0 src1_sel:DWORD
	s_waitcnt lgkmcnt(0)
	v_cndmask_b32_e32 v4, 0, v4, vcc
	v_cndmask_b32_e32 v5, 0, v5, vcc
	v_add_co_u32_e32 v102, vcc, v9, v4
	v_addc_co_u32_e32 v103, vcc, v12, v5, vcc
	v_cndmask_b32_e64 v5, 0, v102, s[42:43]
	v_cndmask_b32_e64 v4, 0, v103, s[42:43]
	v_add_co_u32_e32 v40, vcc, v5, v14
	v_addc_co_u32_e32 v41, vcc, v4, v15, vcc
	v_cndmask_b32_e64 v5, 0, v40, s[40:41]
	v_cndmask_b32_e64 v4, 0, v41, s[40:41]
	;; [unrolled: 4-line block ×18, first 2 shown]
	v_add_co_u32_e32 v108, vcc, v5, v16
	v_addc_co_u32_e32 v109, vcc, v4, v17, vcc
	s_branch .LBB923_198
.LBB923_176:
                                        ; implicit-def: $vgpr100_vgpr101_vgpr102_vgpr103
                                        ; implicit-def: $vgpr108_vgpr109
                                        ; implicit-def: $vgpr106_vgpr107
                                        ; implicit-def: $vgpr68_vgpr69
                                        ; implicit-def: $vgpr64_vgpr65
                                        ; implicit-def: $vgpr60_vgpr61
                                        ; implicit-def: $vgpr56_vgpr57
                                        ; implicit-def: $vgpr52_vgpr53
                                        ; implicit-def: $vgpr48_vgpr49
                                        ; implicit-def: $vgpr44_vgpr45
                                        ; implicit-def: $vgpr40_vgpr41
                                        ; implicit-def: $vgpr96_vgpr97_vgpr98_vgpr99
                                        ; implicit-def: $vgpr92_vgpr93_vgpr94_vgpr95
                                        ; implicit-def: $vgpr88_vgpr89_vgpr90_vgpr91
                                        ; implicit-def: $vgpr84_vgpr85_vgpr86_vgpr87
                                        ; implicit-def: $vgpr80_vgpr81_vgpr82_vgpr83
                                        ; implicit-def: $vgpr76_vgpr77_vgpr78_vgpr79
                                        ; implicit-def: $vgpr72_vgpr73_vgpr74_vgpr75
                                        ; implicit-def: $vgpr102_vgpr103_vgpr104_vgpr105
	s_cbranch_execz .LBB923_198
; %bb.177:
	s_cmp_lg_u64 s[68:69], 0
	s_cselect_b32 s7, s59, 0
	s_cselect_b32 s6, s58, 0
	s_cmp_lg_u64 s[6:7], 0
	s_cselect_b64 s[4:5], -1, 0
	s_and_b64 s[8:9], s[0:1], s[4:5]
	s_and_saveexec_b64 s[4:5], s[8:9]
	s_cbranch_execz .LBB923_179
; %bb.178:
	s_waitcnt vmcnt(0)
	v_mov_b32_e32 v8, 0
	global_load_dwordx2 v[4:5], v8, s[6:7]
	global_load_ubyte v9, v8, s[6:7] offset:8
	v_cmp_eq_u16_sdwa vcc, v1, v8 src0_sel:BYTE_0 src1_sel:DWORD
	s_waitcnt vmcnt(1)
	v_cndmask_b32_e32 v4, 0, v4, vcc
	v_cndmask_b32_e32 v5, 0, v5, vcc
	s_waitcnt vmcnt(0)
	v_or_b32_e32 v1, v1, v9
	v_add_co_u32_e32 v2, vcc, v4, v2
	v_addc_co_u32_e32 v3, vcc, v5, v3, vcc
	v_and_b32_e32 v1, 1, v1
.LBB923_179:
	s_or_b64 exec, exec, s[4:5]
	v_mov_b32_e32 v5, 0
	v_cmp_eq_u16_sdwa vcc, v112, v5 src0_sel:BYTE_0 src1_sel:DWORD
	s_waitcnt vmcnt(0)
	v_cndmask_b32_e32 v9, 0, v2, vcc
	v_cndmask_b32_e32 v8, 0, v3, vcc
	v_add_co_u32_e64 v40, s[4:5], v9, v14
	v_cmp_eq_u16_sdwa s[6:7], v111, v5 src0_sel:BYTE_0 src1_sel:DWORD
	v_addc_co_u32_e64 v41, s[4:5], v8, v15, s[4:5]
	v_cndmask_b32_e64 v9, 0, v40, s[6:7]
	v_cndmask_b32_e64 v8, 0, v41, s[6:7]
	v_add_co_u32_e64 v72, s[4:5], v9, v10
	v_cmp_eq_u16_sdwa s[8:9], v113, v5 src0_sel:BYTE_0 src1_sel:DWORD
	v_addc_co_u32_e64 v73, s[4:5], v8, v11, s[4:5]
	v_cndmask_b32_e64 v9, 0, v72, s[8:9]
	v_cndmask_b32_e64 v8, 0, v73, s[8:9]
	;; [unrolled: 5-line block ×17, first 2 shown]
	v_add_co_u32_e64 v108, s[4:5], v8, v16
	v_addc_co_u32_e64 v109, s[4:5], v5, v17, s[4:5]
	v_or_b32_e32 v5, v29, v125
	v_or_b32_e32 v5, v5, v124
	;; [unrolled: 1-line block ×15, first 2 shown]
	v_and_b32_e32 v5, 1, v5
	v_and_b32_e32 v4, 0xff, v1
	v_cmp_eq_u32_e64 s[4:5], 1, v5
	v_mbcnt_hi_u32_b32 v12, -1, v28
	v_cndmask_b32_e64 v13, v4, 1, s[4:5]
	v_and_b32_e32 v20, 15, v12
	v_mov_b32_dpp v24, v108 row_shr:1 row_mask:0xf bank_mask:0xf
	v_mov_b32_dpp v25, v109 row_shr:1 row_mask:0xf bank_mask:0xf
	;; [unrolled: 1-line block ×3, first 2 shown]
	v_cmp_ne_u32_e64 s[4:5], 0, v20
	v_pk_mov_b32 v[4:5], v[108:109], v[108:109] op_sel:[0,1]
	v_mov_b32_e32 v9, v109
	v_mov_b32_e32 v8, v108
	s_and_saveexec_b64 s[42:43], s[4:5]
; %bb.180:
	v_cmp_eq_u32_e64 s[4:5], 0, v13
	v_cndmask_b32_e64 v4, 0, v24, s[4:5]
	v_cndmask_b32_e64 v5, 0, v25, s[4:5]
	v_add_co_u32_e64 v4, s[4:5], v108, v4
	v_addc_co_u32_e64 v5, s[4:5], v109, v5, s[4:5]
	v_and_or_b32 v13, v21, 1, v13
	v_mov_b32_e32 v9, v5
	v_mov_b32_e32 v8, v4
; %bb.181:
	s_or_b64 exec, exec, s[42:43]
	s_nop 0
	v_mov_b32_dpp v24, v8 row_shr:2 row_mask:0xf bank_mask:0xf
	v_mov_b32_dpp v25, v9 row_shr:2 row_mask:0xf bank_mask:0xf
	v_mov_b32_dpp v21, v13 row_shr:2 row_mask:0xf bank_mask:0xf
	v_cmp_lt_u32_e64 s[4:5], 1, v20
	s_and_saveexec_b64 s[42:43], s[4:5]
; %bb.182:
	v_cmp_eq_u32_e64 s[4:5], 0, v13
	v_cndmask_b32_e64 v8, 0, v24, s[4:5]
	v_cndmask_b32_e64 v9, 0, v25, s[4:5]
	v_add_co_u32_e64 v8, s[4:5], v8, v4
	v_addc_co_u32_e64 v9, s[4:5], v9, v5, s[4:5]
	v_or_b32_e32 v4, v21, v13
	v_and_b32_e32 v13, 1, v4
	v_pk_mov_b32 v[4:5], v[8:9], v[8:9] op_sel:[0,1]
; %bb.183:
	s_or_b64 exec, exec, s[42:43]
	v_mov_b32_dpp v24, v8 row_shr:4 row_mask:0xf bank_mask:0xf
	v_mov_b32_dpp v25, v9 row_shr:4 row_mask:0xf bank_mask:0xf
	v_mov_b32_dpp v21, v13 row_shr:4 row_mask:0xf bank_mask:0xf
	v_cmp_lt_u32_e64 s[4:5], 3, v20
	s_and_saveexec_b64 s[42:43], s[4:5]
; %bb.184:
	v_cmp_eq_u32_e64 s[4:5], 0, v13
	v_cndmask_b32_e64 v8, 0, v24, s[4:5]
	v_cndmask_b32_e64 v9, 0, v25, s[4:5]
	v_add_co_u32_e64 v8, s[4:5], v8, v4
	v_addc_co_u32_e64 v9, s[4:5], v9, v5, s[4:5]
	v_or_b32_e32 v4, v21, v13
	v_and_b32_e32 v13, 1, v4
	v_pk_mov_b32 v[4:5], v[8:9], v[8:9] op_sel:[0,1]
; %bb.185:
	s_or_b64 exec, exec, s[42:43]
	;; [unrolled: 16-line block ×3, first 2 shown]
	v_and_b32_e32 v25, 16, v12
	v_mov_b32_dpp v21, v8 row_bcast:15 row_mask:0xf bank_mask:0xf
	v_mov_b32_dpp v24, v9 row_bcast:15 row_mask:0xf bank_mask:0xf
	;; [unrolled: 1-line block ×3, first 2 shown]
	v_cmp_ne_u32_e64 s[4:5], 0, v25
	s_and_saveexec_b64 s[42:43], s[4:5]
; %bb.188:
	v_cmp_eq_u32_e64 s[4:5], 0, v13
	v_cndmask_b32_e64 v9, 0, v21, s[4:5]
	v_cndmask_b32_e64 v8, 0, v24, s[4:5]
	v_add_co_u32_e64 v4, s[4:5], v9, v4
	v_addc_co_u32_e64 v5, s[4:5], v8, v5, s[4:5]
	v_or_b32_e32 v8, v20, v13
	v_and_b32_e32 v13, 1, v8
	v_mov_b32_e32 v9, v5
	v_mov_b32_e32 v8, v4
; %bb.189:
	s_or_b64 exec, exec, s[42:43]
	s_nop 0
	v_mov_b32_dpp v20, v8 row_bcast:31 row_mask:0xf bank_mask:0xf
	v_mov_b32_dpp v9, v9 row_bcast:31 row_mask:0xf bank_mask:0xf
	;; [unrolled: 1-line block ×3, first 2 shown]
	v_cmp_lt_u32_e64 s[4:5], 31, v12
	s_and_saveexec_b64 s[42:43], s[4:5]
; %bb.190:
	v_cmp_eq_u32_e64 s[4:5], 0, v13
	v_cndmask_b32_e64 v20, 0, v20, s[4:5]
	v_cndmask_b32_e64 v9, 0, v9, s[4:5]
	v_add_co_u32_e64 v4, s[4:5], v20, v4
	v_or_b32_e32 v8, v8, v13
	v_addc_co_u32_e64 v5, s[4:5], v9, v5, s[4:5]
	v_and_b32_e32 v13, 1, v8
; %bb.191:
	s_or_b64 exec, exec, s[42:43]
	v_cmp_eq_u32_e64 s[4:5], 63, v0
	s_and_saveexec_b64 s[42:43], s[4:5]
	s_cbranch_execz .LBB923_193
; %bb.192:
	v_mov_b32_e32 v8, 0
	ds_write_b64 v8, v[4:5]
	ds_write_b8 v8, v13 offset:8
.LBB923_193:
	s_or_b64 exec, exec, s[42:43]
	v_add_u32_e32 v8, -1, v12
	v_and_b32_e32 v9, 64, v12
	v_cmp_lt_i32_e64 s[4:5], v8, v9
	v_cndmask_b32_e64 v8, v8, v12, s[4:5]
	v_lshlrev_b32_e32 v8, 2, v8
	ds_bpermute_b32 v4, v8, v4
	ds_bpermute_b32 v5, v8, v5
	s_waitcnt lgkmcnt(0)
	; wave barrier
	s_waitcnt lgkmcnt(0)
	s_and_saveexec_b64 s[42:43], s[46:47]
	s_cbranch_execz .LBB923_195
; %bb.194:
	v_mov_b32_e32 v8, 0
	v_cmp_eq_u16_sdwa s[4:5], v1, v8 src0_sel:BYTE_0 src1_sel:DWORD
	v_cndmask_b32_e64 v4, 0, v4, s[4:5]
	v_cndmask_b32_e64 v1, 0, v5, s[4:5]
	v_add_co_u32_e64 v2, s[4:5], v4, v2
	v_addc_co_u32_e64 v3, s[4:5], v1, v3, s[4:5]
	v_cndmask_b32_e32 v4, 0, v2, vcc
	v_cndmask_b32_e32 v1, 0, v3, vcc
	v_add_co_u32_e32 v40, vcc, v4, v14
	v_addc_co_u32_e32 v41, vcc, v1, v15, vcc
	v_cndmask_b32_e64 v4, 0, v40, s[6:7]
	v_cndmask_b32_e64 v1, 0, v41, s[6:7]
	v_add_co_u32_e32 v72, vcc, v4, v10
	v_addc_co_u32_e32 v73, vcc, v1, v11, vcc
	v_cndmask_b32_e64 v4, 0, v72, s[8:9]
	v_cndmask_b32_e64 v1, 0, v73, s[8:9]
	v_add_co_u32_e32 v44, vcc, v4, v22
	v_addc_co_u32_e32 v45, vcc, v1, v23, vcc
	v_cndmask_b32_e64 v4, 0, v44, s[10:11]
	v_cndmask_b32_e64 v1, 0, v45, s[10:11]
	v_add_co_u32_e32 v76, vcc, v4, v18
	v_addc_co_u32_e32 v77, vcc, v1, v19, vcc
	v_cndmask_b32_e64 v4, 0, v76, s[12:13]
	v_cndmask_b32_e64 v1, 0, v77, s[12:13]
	v_add_co_u32_e32 v48, vcc, v4, v34
	v_addc_co_u32_e32 v49, vcc, v1, v35, vcc
	v_cndmask_b32_e64 v4, 0, v48, s[14:15]
	v_cndmask_b32_e64 v1, 0, v49, s[14:15]
	v_add_co_u32_e32 v80, vcc, v4, v26
	v_addc_co_u32_e32 v81, vcc, v1, v27, vcc
	v_cndmask_b32_e64 v4, 0, v80, s[16:17]
	v_cndmask_b32_e64 v1, 0, v81, s[16:17]
	v_add_co_u32_e32 v52, vcc, v4, v42
	v_addc_co_u32_e32 v53, vcc, v1, v43, vcc
	v_cndmask_b32_e64 v4, 0, v52, s[18:19]
	v_cndmask_b32_e64 v1, 0, v53, s[18:19]
	v_add_co_u32_e32 v84, vcc, v4, v30
	v_addc_co_u32_e32 v85, vcc, v1, v31, vcc
	v_cndmask_b32_e64 v4, 0, v84, s[20:21]
	v_cndmask_b32_e64 v1, 0, v85, s[20:21]
	v_add_co_u32_e32 v56, vcc, v4, v50
	v_addc_co_u32_e32 v57, vcc, v1, v51, vcc
	v_cndmask_b32_e64 v4, 0, v56, s[22:23]
	v_cndmask_b32_e64 v1, 0, v57, s[22:23]
	v_add_co_u32_e32 v88, vcc, v4, v38
	v_addc_co_u32_e32 v89, vcc, v1, v39, vcc
	v_cndmask_b32_e64 v4, 0, v88, s[24:25]
	v_cndmask_b32_e64 v1, 0, v89, s[24:25]
	v_add_co_u32_e32 v60, vcc, v4, v58
	v_addc_co_u32_e32 v61, vcc, v1, v59, vcc
	v_cndmask_b32_e64 v4, 0, v60, s[26:27]
	v_cndmask_b32_e64 v1, 0, v61, s[26:27]
	v_add_co_u32_e32 v92, vcc, v4, v46
	v_addc_co_u32_e32 v93, vcc, v1, v47, vcc
	v_cndmask_b32_e64 v4, 0, v92, s[28:29]
	v_cndmask_b32_e64 v1, 0, v93, s[28:29]
	v_add_co_u32_e32 v64, vcc, v4, v66
	v_addc_co_u32_e32 v65, vcc, v1, v67, vcc
	v_cndmask_b32_e64 v4, 0, v64, s[30:31]
	v_cndmask_b32_e64 v1, 0, v65, s[30:31]
	v_add_co_u32_e32 v96, vcc, v4, v54
	v_addc_co_u32_e32 v97, vcc, v1, v55, vcc
	v_cndmask_b32_e64 v4, 0, v96, s[34:35]
	v_cndmask_b32_e64 v1, 0, v97, s[34:35]
	v_add_co_u32_e32 v68, vcc, v4, v70
	v_addc_co_u32_e32 v69, vcc, v1, v71, vcc
	v_cndmask_b32_e64 v4, 0, v68, s[36:37]
	v_cndmask_b32_e64 v1, 0, v69, s[36:37]
	v_add_co_u32_e32 v100, vcc, v4, v62
	v_addc_co_u32_e32 v101, vcc, v1, v63, vcc
	v_cndmask_b32_e64 v4, 0, v100, s[38:39]
	v_cndmask_b32_e64 v1, 0, v101, s[38:39]
	v_add_co_u32_e32 v106, vcc, v4, v6
	v_addc_co_u32_e32 v107, vcc, v1, v7, vcc
	v_cndmask_b32_e64 v4, 0, v106, s[40:41]
	v_cndmask_b32_e64 v1, 0, v107, s[40:41]
	v_add_co_u32_e32 v108, vcc, v4, v16
	v_addc_co_u32_e32 v109, vcc, v1, v17, vcc
	;;#ASMSTART
	;;#ASMEND
.LBB923_195:
	s_or_b64 exec, exec, s[42:43]
	s_and_saveexec_b64 s[4:5], s[0:1]
	s_cbranch_execz .LBB923_197
; %bb.196:
	v_mov_b32_e32 v1, 0
	ds_read_b64 v[4:5], v1
	ds_read_u8 v6, v1 offset:8
	v_mov_b32_e32 v7, 2
	s_waitcnt lgkmcnt(1)
	global_store_dwordx2 v1, v[4:5], s[50:51] offset:1024
	s_waitcnt lgkmcnt(0)
	global_store_byte v1, v6, s[50:51] offset:1032
	s_waitcnt vmcnt(0)
	buffer_wbinvl1_vol
	global_store_byte v1, v7, s[52:53] offset:64
.LBB923_197:
	s_or_b64 exec, exec, s[4:5]
	v_pk_mov_b32 v[102:103], v[2:3], v[2:3] op_sel:[0,1]
.LBB923_198:
	s_add_u32 s0, s64, s66
	s_addc_u32 s1, s65, s67
	s_add_u32 s4, s0, s60
	s_addc_u32 s5, s1, s61
	s_and_b64 vcc, exec, s[2:3]
	s_cbranch_vccz .LBB923_236
; %bb.199:
	s_movk_i32 s0, 0x98
	v_mul_i32_i24_e32 v43, 0xffffff70, v0
	v_mul_u32_u24_e32 v42, 0x98, v0
	v_mad_u32_u24 v2, v0, s0, v43
	s_waitcnt lgkmcnt(0)
	; wave barrier
	ds_write2_b64 v42, v[102:103], v[40:41] offset1:1
	ds_write2_b64 v42, v[72:73], v[44:45] offset0:2 offset1:3
	ds_write2_b64 v42, v[76:77], v[48:49] offset0:4 offset1:5
	;; [unrolled: 1-line block ×8, first 2 shown]
	ds_write_b64 v42, v[108:109] offset:144
	s_waitcnt lgkmcnt(0)
	; wave barrier
	s_waitcnt lgkmcnt(0)
	ds_read2st64_b64 v[34:37], v2 offset0:1 offset1:2
	ds_read2st64_b64 v[30:33], v2 offset0:3 offset1:4
	ds_read2st64_b64 v[26:29], v2 offset0:5 offset1:6
	ds_read2st64_b64 v[22:25], v2 offset0:7 offset1:8
	ds_read2st64_b64 v[18:21], v2 offset0:9 offset1:10
	ds_read2st64_b64 v[14:17], v2 offset0:11 offset1:12
	ds_read2st64_b64 v[10:13], v2 offset0:13 offset1:14
	s_waitcnt vmcnt(0)
	ds_read2st64_b64 v[6:9], v2 offset0:15 offset1:16
	ds_read2st64_b64 v[2:5], v2 offset0:17 offset1:18
	v_mov_b32_e32 v39, s5
	v_add_co_u32_e32 v38, vcc, s4, v127
	s_add_i32 s33, s33, s54
	v_addc_co_u32_e32 v39, vcc, 0, v39, vcc
	v_mov_b32_e32 v1, 0
	v_cmp_gt_u32_e32 vcc, s33, v0
	s_and_saveexec_b64 s[0:1], vcc
	s_cbranch_execz .LBB923_201
; %bb.200:
	v_add_u32_e32 v42, v42, v43
	ds_read_b64 v[42:43], v42
	s_waitcnt lgkmcnt(0)
	flat_store_dwordx2 v[38:39], v[42:43]
.LBB923_201:
	s_or_b64 exec, exec, s[0:1]
	v_or_b32_e32 v42, 64, v0
	v_cmp_gt_u32_e32 vcc, s33, v42
	s_and_saveexec_b64 s[0:1], vcc
	s_cbranch_execz .LBB923_203
; %bb.202:
	s_waitcnt lgkmcnt(0)
	flat_store_dwordx2 v[38:39], v[34:35] offset:512
.LBB923_203:
	s_or_b64 exec, exec, s[0:1]
	s_waitcnt lgkmcnt(0)
	v_or_b32_e32 v34, 0x80, v0
	v_cmp_gt_u32_e32 vcc, s33, v34
	s_and_saveexec_b64 s[0:1], vcc
	s_cbranch_execz .LBB923_205
; %bb.204:
	flat_store_dwordx2 v[38:39], v[36:37] offset:1024
.LBB923_205:
	s_or_b64 exec, exec, s[0:1]
	v_or_b32_e32 v34, 0xc0, v0
	v_cmp_gt_u32_e32 vcc, s33, v34
	s_and_saveexec_b64 s[0:1], vcc
	s_cbranch_execz .LBB923_207
; %bb.206:
	flat_store_dwordx2 v[38:39], v[30:31] offset:1536
.LBB923_207:
	s_or_b64 exec, exec, s[0:1]
	;; [unrolled: 8-line block ×6, first 2 shown]
	v_or_b32_e32 v22, 0x200, v0
	v_cmp_gt_u32_e32 vcc, s33, v22
	s_and_saveexec_b64 s[0:1], vcc
	s_cbranch_execz .LBB923_217
; %bb.216:
	v_add_co_u32_e32 v22, vcc, 0x1000, v38
	v_addc_co_u32_e32 v23, vcc, 0, v39, vcc
	flat_store_dwordx2 v[22:23], v[24:25]
.LBB923_217:
	s_or_b64 exec, exec, s[0:1]
	v_or_b32_e32 v22, 0x240, v0
	v_cmp_gt_u32_e32 vcc, s33, v22
	s_and_saveexec_b64 s[0:1], vcc
	s_cbranch_execz .LBB923_219
; %bb.218:
	v_add_co_u32_e32 v22, vcc, 0x1000, v38
	v_addc_co_u32_e32 v23, vcc, 0, v39, vcc
	flat_store_dwordx2 v[22:23], v[18:19] offset:512
.LBB923_219:
	s_or_b64 exec, exec, s[0:1]
	v_or_b32_e32 v18, 0x280, v0
	v_cmp_gt_u32_e32 vcc, s33, v18
	s_and_saveexec_b64 s[0:1], vcc
	s_cbranch_execz .LBB923_221
; %bb.220:
	v_add_co_u32_e32 v18, vcc, 0x1000, v38
	v_addc_co_u32_e32 v19, vcc, 0, v39, vcc
	flat_store_dwordx2 v[18:19], v[20:21] offset:1024
.LBB923_221:
	;; [unrolled: 10-line block ×7, first 2 shown]
	s_or_b64 exec, exec, s[0:1]
	v_or_b32_e32 v6, 0x400, v0
	v_cmp_gt_u32_e32 vcc, s33, v6
	s_and_saveexec_b64 s[0:1], vcc
	s_cbranch_execz .LBB923_233
; %bb.232:
	v_add_co_u32_e32 v6, vcc, 0x2000, v38
	v_addc_co_u32_e32 v7, vcc, 0, v39, vcc
	flat_store_dwordx2 v[6:7], v[8:9]
.LBB923_233:
	s_or_b64 exec, exec, s[0:1]
	v_or_b32_e32 v6, 0x440, v0
	v_cmp_gt_u32_e32 vcc, s33, v6
	s_and_saveexec_b64 s[0:1], vcc
	s_cbranch_execz .LBB923_235
; %bb.234:
	v_add_co_u32_e32 v6, vcc, 0x2000, v38
	v_addc_co_u32_e32 v7, vcc, 0, v39, vcc
	flat_store_dwordx2 v[6:7], v[2:3] offset:512
.LBB923_235:
	s_or_b64 exec, exec, s[0:1]
	v_or_b32_e32 v2, 0x480, v0
	v_cmp_gt_u32_e64 s[0:1], s33, v2
	s_branch .LBB923_238
.LBB923_236:
	s_mov_b64 s[0:1], 0
                                        ; implicit-def: $vgpr4_vgpr5
	s_cbranch_execz .LBB923_238
; %bb.237:
	s_movk_i32 s2, 0x98
	v_mul_i32_i24_e32 v2, 0xffffff70, v0
	v_mul_u32_u24_e32 v1, 0x98, v0
	v_mad_u32_u24 v2, v0, s2, v2
	s_waitcnt lgkmcnt(0)
	; wave barrier
	s_waitcnt lgkmcnt(0)
	ds_write2_b64 v1, v[102:103], v[40:41] offset1:1
	ds_write2_b64 v1, v[72:73], v[44:45] offset0:2 offset1:3
	ds_write2_b64 v1, v[76:77], v[48:49] offset0:4 offset1:5
	;; [unrolled: 1-line block ×8, first 2 shown]
	ds_write_b64 v1, v[108:109] offset:144
	s_waitcnt lgkmcnt(0)
	; wave barrier
	s_waitcnt vmcnt(0) lgkmcnt(0)
	ds_read2st64_b64 v[6:9], v2 offset1:1
	ds_read2st64_b64 v[10:13], v2 offset0:2 offset1:3
	ds_read2st64_b64 v[14:17], v2 offset0:4 offset1:5
	;; [unrolled: 1-line block ×8, first 2 shown]
	ds_read_b64 v[4:5], v2 offset:9216
	v_mov_b32_e32 v3, s5
	v_add_co_u32_e32 v2, vcc, s4, v127
	v_addc_co_u32_e32 v3, vcc, 0, v3, vcc
	s_movk_i32 s2, 0x1000
	s_waitcnt lgkmcnt(9)
	flat_store_dwordx2 v[2:3], v[6:7]
	flat_store_dwordx2 v[2:3], v[8:9] offset:512
	s_waitcnt lgkmcnt(0)
	flat_store_dwordx2 v[2:3], v[10:11] offset:1024
	flat_store_dwordx2 v[2:3], v[12:13] offset:1536
	flat_store_dwordx2 v[2:3], v[14:15] offset:2048
	flat_store_dwordx2 v[2:3], v[16:17] offset:2560
	flat_store_dwordx2 v[2:3], v[18:19] offset:3072
	flat_store_dwordx2 v[2:3], v[20:21] offset:3584
	v_add_co_u32_e32 v6, vcc, s2, v2
	v_addc_co_u32_e32 v7, vcc, 0, v3, vcc
	v_add_co_u32_e32 v2, vcc, 0x2000, v2
	v_mov_b32_e32 v1, 0
	v_addc_co_u32_e32 v3, vcc, 0, v3, vcc
	s_or_b64 s[0:1], s[0:1], exec
	flat_store_dwordx2 v[6:7], v[22:23]
	flat_store_dwordx2 v[6:7], v[24:25] offset:512
	flat_store_dwordx2 v[6:7], v[26:27] offset:1024
	flat_store_dwordx2 v[6:7], v[28:29] offset:1536
	flat_store_dwordx2 v[6:7], v[30:31] offset:2048
	flat_store_dwordx2 v[6:7], v[32:33] offset:2560
	flat_store_dwordx2 v[6:7], v[34:35] offset:3072
	flat_store_dwordx2 v[6:7], v[36:37] offset:3584
	flat_store_dwordx2 v[2:3], v[38:39]
	flat_store_dwordx2 v[2:3], v[40:41] offset:512
.LBB923_238:
	s_and_saveexec_b64 s[2:3], s[0:1]
	s_cbranch_execnz .LBB923_240
; %bb.239:
	s_endpgm
.LBB923_240:
	v_lshlrev_b64 v[0:1], 3, v[0:1]
	v_mov_b32_e32 v2, s5
	v_add_co_u32_e32 v0, vcc, s4, v0
	v_addc_co_u32_e32 v1, vcc, v2, v1, vcc
	v_add_co_u32_e32 v0, vcc, 0x2000, v0
	v_addc_co_u32_e32 v1, vcc, 0, v1, vcc
	flat_store_dwordx2 v[0:1], v[4:5] offset:1024
	s_endpgm
.LBB923_241:
	global_load_dwordx2 v[2:3], v50, s[70:71]
	s_waitcnt vmcnt(0)
	v_sub_co_u32_e32 v2, vcc, 0, v2
	v_subb_co_u32_e32 v3, vcc, 0, v3, vcc
	s_or_b64 exec, exec, s[4:5]
                                        ; implicit-def: $vgpr6_vgpr7
	s_and_saveexec_b64 s[4:5], s[8:9]
	s_cbranch_execz .LBB923_51
.LBB923_242:
	global_load_dwordx2 v[6:7], v50, s[70:71] offset:512
	s_waitcnt vmcnt(0)
	v_sub_co_u32_e32 v6, vcc, 0, v6
	v_subb_co_u32_e32 v7, vcc, 0, v7, vcc
	s_or_b64 exec, exec, s[4:5]
                                        ; implicit-def: $vgpr10_vgpr11
	s_and_saveexec_b64 s[4:5], s[10:11]
	s_cbranch_execz .LBB923_52
.LBB923_243:
	global_load_dwordx2 v[10:11], v50, s[70:71] offset:1024
	s_waitcnt vmcnt(0)
	v_sub_co_u32_e32 v10, vcc, 0, v10
	v_subb_co_u32_e32 v11, vcc, 0, v11, vcc
	s_or_b64 exec, exec, s[4:5]
                                        ; implicit-def: $vgpr12_vgpr13
	s_and_saveexec_b64 s[4:5], s[12:13]
	s_cbranch_execz .LBB923_53
.LBB923_244:
	global_load_dwordx2 v[12:13], v50, s[70:71] offset:1536
	s_waitcnt vmcnt(0)
	v_sub_co_u32_e32 v12, vcc, 0, v12
	v_subb_co_u32_e32 v13, vcc, 0, v13, vcc
	s_or_b64 exec, exec, s[4:5]
                                        ; implicit-def: $vgpr14_vgpr15
	s_and_saveexec_b64 s[4:5], s[14:15]
	s_cbranch_execz .LBB923_54
.LBB923_245:
	global_load_dwordx2 v[14:15], v50, s[70:71] offset:2048
	s_waitcnt vmcnt(0)
	v_sub_co_u32_e32 v14, vcc, 0, v14
	v_subb_co_u32_e32 v15, vcc, 0, v15, vcc
	s_or_b64 exec, exec, s[4:5]
                                        ; implicit-def: $vgpr16_vgpr17
	s_and_saveexec_b64 s[4:5], s[16:17]
	s_cbranch_execz .LBB923_55
.LBB923_246:
	global_load_dwordx2 v[16:17], v50, s[70:71] offset:2560
	s_waitcnt vmcnt(0)
	v_sub_co_u32_e32 v16, vcc, 0, v16
	v_subb_co_u32_e32 v17, vcc, 0, v17, vcc
	s_or_b64 exec, exec, s[4:5]
                                        ; implicit-def: $vgpr18_vgpr19
	s_and_saveexec_b64 s[4:5], s[18:19]
	s_cbranch_execz .LBB923_56
.LBB923_247:
	global_load_dwordx2 v[18:19], v50, s[70:71] offset:3072
	s_waitcnt vmcnt(0)
	v_sub_co_u32_e32 v18, vcc, 0, v18
	v_subb_co_u32_e32 v19, vcc, 0, v19, vcc
	s_or_b64 exec, exec, s[4:5]
                                        ; implicit-def: $vgpr20_vgpr21
	s_and_saveexec_b64 s[4:5], s[20:21]
	s_cbranch_execz .LBB923_57
.LBB923_248:
	global_load_dwordx2 v[20:21], v50, s[70:71] offset:3584
	s_waitcnt vmcnt(0)
	v_sub_co_u32_e32 v20, vcc, 0, v20
	v_subb_co_u32_e32 v21, vcc, 0, v21, vcc
	s_or_b64 exec, exec, s[4:5]
                                        ; implicit-def: $vgpr22_vgpr23
	s_and_saveexec_b64 s[4:5], s[22:23]
	s_cbranch_execz .LBB923_58
.LBB923_249:
	global_load_dwordx2 v[22:23], v1, s[70:71]
	s_waitcnt vmcnt(0)
	v_sub_co_u32_e32 v22, vcc, 0, v22
	v_subb_co_u32_e32 v23, vcc, 0, v23, vcc
	s_or_b64 exec, exec, s[4:5]
                                        ; implicit-def: $vgpr24_vgpr25
	s_and_saveexec_b64 s[4:5], s[24:25]
	s_cbranch_execz .LBB923_59
.LBB923_250:
	global_load_dwordx2 v[24:25], v40, s[70:71]
	s_waitcnt vmcnt(0)
	v_sub_co_u32_e32 v24, vcc, 0, v24
	v_subb_co_u32_e32 v25, vcc, 0, v25, vcc
	s_or_b64 exec, exec, s[4:5]
                                        ; implicit-def: $vgpr26_vgpr27
	s_and_saveexec_b64 s[4:5], s[26:27]
	s_cbranch_execz .LBB923_60
.LBB923_251:
	global_load_dwordx2 v[26:27], v41, s[70:71]
	s_waitcnt vmcnt(0)
	v_sub_co_u32_e32 v26, vcc, 0, v26
	v_subb_co_u32_e32 v27, vcc, 0, v27, vcc
	s_or_b64 exec, exec, s[4:5]
                                        ; implicit-def: $vgpr28_vgpr29
	s_and_saveexec_b64 s[4:5], s[28:29]
	s_cbranch_execz .LBB923_61
.LBB923_252:
	global_load_dwordx2 v[28:29], v42, s[70:71]
	s_waitcnt vmcnt(0)
	v_sub_co_u32_e32 v28, vcc, 0, v28
	v_subb_co_u32_e32 v29, vcc, 0, v29, vcc
	s_or_b64 exec, exec, s[4:5]
                                        ; implicit-def: $vgpr30_vgpr31
	s_and_saveexec_b64 s[4:5], s[30:31]
	s_cbranch_execz .LBB923_62
.LBB923_253:
	global_load_dwordx2 v[30:31], v43, s[70:71]
	s_waitcnt vmcnt(0)
	v_sub_co_u32_e32 v30, vcc, 0, v30
	v_subb_co_u32_e32 v31, vcc, 0, v31, vcc
	s_or_b64 exec, exec, s[4:5]
                                        ; implicit-def: $vgpr32_vgpr33
	s_and_saveexec_b64 s[4:5], s[34:35]
	s_cbranch_execz .LBB923_63
.LBB923_254:
	global_load_dwordx2 v[32:33], v44, s[70:71]
	s_waitcnt vmcnt(0)
	v_sub_co_u32_e32 v32, vcc, 0, v32
	v_subb_co_u32_e32 v33, vcc, 0, v33, vcc
	s_or_b64 exec, exec, s[4:5]
                                        ; implicit-def: $vgpr34_vgpr35
	s_and_saveexec_b64 s[4:5], s[36:37]
	s_cbranch_execz .LBB923_64
.LBB923_255:
	global_load_dwordx2 v[34:35], v45, s[70:71]
	s_waitcnt vmcnt(0)
	v_sub_co_u32_e32 v34, vcc, 0, v34
	v_subb_co_u32_e32 v35, vcc, 0, v35, vcc
	s_or_b64 exec, exec, s[4:5]
                                        ; implicit-def: $vgpr36_vgpr37
	s_and_saveexec_b64 s[4:5], s[38:39]
	s_cbranch_execz .LBB923_65
.LBB923_256:
	global_load_dwordx2 v[36:37], v46, s[70:71]
	s_waitcnt vmcnt(0)
	v_sub_co_u32_e32 v36, vcc, 0, v36
	v_subb_co_u32_e32 v37, vcc, 0, v37, vcc
	s_or_b64 exec, exec, s[4:5]
                                        ; implicit-def: $vgpr38_vgpr39
	s_and_saveexec_b64 s[4:5], s[40:41]
	s_cbranch_execz .LBB923_66
.LBB923_257:
	global_load_dwordx2 v[38:39], v47, s[70:71]
	s_waitcnt vmcnt(0)
	v_sub_co_u32_e32 v38, vcc, 0, v38
	v_subb_co_u32_e32 v39, vcc, 0, v39, vcc
	s_or_b64 exec, exec, s[4:5]
                                        ; implicit-def: $vgpr40_vgpr41
	s_and_saveexec_b64 s[4:5], s[42:43]
	s_cbranch_execz .LBB923_67
.LBB923_258:
	global_load_dwordx2 v[40:41], v49, s[70:71]
	s_waitcnt vmcnt(0)
	v_sub_co_u32_e32 v40, vcc, 0, v40
	v_subb_co_u32_e32 v41, vcc, 0, v41, vcc
	s_or_b64 exec, exec, s[4:5]
                                        ; implicit-def: $vgpr42_vgpr43
	s_and_saveexec_b64 s[4:5], s[44:45]
	s_cbranch_execnz .LBB923_68
	s_branch .LBB923_69
.LBB923_259:
                                        ; implicit-def: $sgpr4_sgpr5
	s_branch .LBB923_46
.LBB923_260:
                                        ; implicit-def: $sgpr4_sgpr5
	s_branch .LBB923_110
	.section	.rodata,"a",@progbits
	.p2align	6, 0x0
	.amdhsa_kernel _ZN7rocprim17ROCPRIM_400000_NS6detail17trampoline_kernelINS0_14default_configENS1_27scan_by_key_config_selectorIxxEEZZNS1_16scan_by_key_implILNS1_25lookback_scan_determinismE0ELb0ES3_N6thrust23THRUST_200600_302600_NS6detail15normal_iteratorINS9_10device_ptrIxEEEENS9_18transform_iteratorINS9_6negateIxEESE_NS9_11use_defaultESI_EESE_xNS9_4plusIvEENS9_8equal_toIvEExEE10hipError_tPvRmT2_T3_T4_T5_mT6_T7_P12ihipStream_tbENKUlT_T0_E_clISt17integral_constantIbLb0EES13_IbLb1EEEEDaSZ_S10_EUlSZ_E_NS1_11comp_targetILNS1_3genE4ELNS1_11target_archE910ELNS1_3gpuE8ELNS1_3repE0EEENS1_30default_config_static_selectorELNS0_4arch9wavefront6targetE1EEEvT1_
		.amdhsa_group_segment_fixed_size 10752
		.amdhsa_private_segment_fixed_size 0
		.amdhsa_kernarg_size 144
		.amdhsa_user_sgpr_count 6
		.amdhsa_user_sgpr_private_segment_buffer 1
		.amdhsa_user_sgpr_dispatch_ptr 0
		.amdhsa_user_sgpr_queue_ptr 0
		.amdhsa_user_sgpr_kernarg_segment_ptr 1
		.amdhsa_user_sgpr_dispatch_id 0
		.amdhsa_user_sgpr_flat_scratch_init 0
		.amdhsa_user_sgpr_kernarg_preload_length 0
		.amdhsa_user_sgpr_kernarg_preload_offset 0
		.amdhsa_user_sgpr_private_segment_size 0
		.amdhsa_uses_dynamic_stack 0
		.amdhsa_system_sgpr_private_segment_wavefront_offset 0
		.amdhsa_system_sgpr_workgroup_id_x 1
		.amdhsa_system_sgpr_workgroup_id_y 0
		.amdhsa_system_sgpr_workgroup_id_z 0
		.amdhsa_system_sgpr_workgroup_info 0
		.amdhsa_system_vgpr_workitem_id 0
		.amdhsa_next_free_vgpr 128
		.amdhsa_next_free_sgpr 82
		.amdhsa_accum_offset 128
		.amdhsa_reserve_vcc 1
		.amdhsa_reserve_flat_scratch 0
		.amdhsa_float_round_mode_32 0
		.amdhsa_float_round_mode_16_64 0
		.amdhsa_float_denorm_mode_32 3
		.amdhsa_float_denorm_mode_16_64 3
		.amdhsa_dx10_clamp 1
		.amdhsa_ieee_mode 1
		.amdhsa_fp16_overflow 0
		.amdhsa_tg_split 0
		.amdhsa_exception_fp_ieee_invalid_op 0
		.amdhsa_exception_fp_denorm_src 0
		.amdhsa_exception_fp_ieee_div_zero 0
		.amdhsa_exception_fp_ieee_overflow 0
		.amdhsa_exception_fp_ieee_underflow 0
		.amdhsa_exception_fp_ieee_inexact 0
		.amdhsa_exception_int_div_zero 0
	.end_amdhsa_kernel
	.section	.text._ZN7rocprim17ROCPRIM_400000_NS6detail17trampoline_kernelINS0_14default_configENS1_27scan_by_key_config_selectorIxxEEZZNS1_16scan_by_key_implILNS1_25lookback_scan_determinismE0ELb0ES3_N6thrust23THRUST_200600_302600_NS6detail15normal_iteratorINS9_10device_ptrIxEEEENS9_18transform_iteratorINS9_6negateIxEESE_NS9_11use_defaultESI_EESE_xNS9_4plusIvEENS9_8equal_toIvEExEE10hipError_tPvRmT2_T3_T4_T5_mT6_T7_P12ihipStream_tbENKUlT_T0_E_clISt17integral_constantIbLb0EES13_IbLb1EEEEDaSZ_S10_EUlSZ_E_NS1_11comp_targetILNS1_3genE4ELNS1_11target_archE910ELNS1_3gpuE8ELNS1_3repE0EEENS1_30default_config_static_selectorELNS0_4arch9wavefront6targetE1EEEvT1_,"axG",@progbits,_ZN7rocprim17ROCPRIM_400000_NS6detail17trampoline_kernelINS0_14default_configENS1_27scan_by_key_config_selectorIxxEEZZNS1_16scan_by_key_implILNS1_25lookback_scan_determinismE0ELb0ES3_N6thrust23THRUST_200600_302600_NS6detail15normal_iteratorINS9_10device_ptrIxEEEENS9_18transform_iteratorINS9_6negateIxEESE_NS9_11use_defaultESI_EESE_xNS9_4plusIvEENS9_8equal_toIvEExEE10hipError_tPvRmT2_T3_T4_T5_mT6_T7_P12ihipStream_tbENKUlT_T0_E_clISt17integral_constantIbLb0EES13_IbLb1EEEEDaSZ_S10_EUlSZ_E_NS1_11comp_targetILNS1_3genE4ELNS1_11target_archE910ELNS1_3gpuE8ELNS1_3repE0EEENS1_30default_config_static_selectorELNS0_4arch9wavefront6targetE1EEEvT1_,comdat
.Lfunc_end923:
	.size	_ZN7rocprim17ROCPRIM_400000_NS6detail17trampoline_kernelINS0_14default_configENS1_27scan_by_key_config_selectorIxxEEZZNS1_16scan_by_key_implILNS1_25lookback_scan_determinismE0ELb0ES3_N6thrust23THRUST_200600_302600_NS6detail15normal_iteratorINS9_10device_ptrIxEEEENS9_18transform_iteratorINS9_6negateIxEESE_NS9_11use_defaultESI_EESE_xNS9_4plusIvEENS9_8equal_toIvEExEE10hipError_tPvRmT2_T3_T4_T5_mT6_T7_P12ihipStream_tbENKUlT_T0_E_clISt17integral_constantIbLb0EES13_IbLb1EEEEDaSZ_S10_EUlSZ_E_NS1_11comp_targetILNS1_3genE4ELNS1_11target_archE910ELNS1_3gpuE8ELNS1_3repE0EEENS1_30default_config_static_selectorELNS0_4arch9wavefront6targetE1EEEvT1_, .Lfunc_end923-_ZN7rocprim17ROCPRIM_400000_NS6detail17trampoline_kernelINS0_14default_configENS1_27scan_by_key_config_selectorIxxEEZZNS1_16scan_by_key_implILNS1_25lookback_scan_determinismE0ELb0ES3_N6thrust23THRUST_200600_302600_NS6detail15normal_iteratorINS9_10device_ptrIxEEEENS9_18transform_iteratorINS9_6negateIxEESE_NS9_11use_defaultESI_EESE_xNS9_4plusIvEENS9_8equal_toIvEExEE10hipError_tPvRmT2_T3_T4_T5_mT6_T7_P12ihipStream_tbENKUlT_T0_E_clISt17integral_constantIbLb0EES13_IbLb1EEEEDaSZ_S10_EUlSZ_E_NS1_11comp_targetILNS1_3genE4ELNS1_11target_archE910ELNS1_3gpuE8ELNS1_3repE0EEENS1_30default_config_static_selectorELNS0_4arch9wavefront6targetE1EEEvT1_
                                        ; -- End function
	.section	.AMDGPU.csdata,"",@progbits
; Kernel info:
; codeLenInByte = 15064
; NumSgprs: 86
; NumVgprs: 128
; NumAgprs: 0
; TotalNumVgprs: 128
; ScratchSize: 0
; MemoryBound: 0
; FloatMode: 240
; IeeeMode: 1
; LDSByteSize: 10752 bytes/workgroup (compile time only)
; SGPRBlocks: 10
; VGPRBlocks: 15
; NumSGPRsForWavesPerEU: 86
; NumVGPRsForWavesPerEU: 128
; AccumOffset: 128
; Occupancy: 2
; WaveLimiterHint : 1
; COMPUTE_PGM_RSRC2:SCRATCH_EN: 0
; COMPUTE_PGM_RSRC2:USER_SGPR: 6
; COMPUTE_PGM_RSRC2:TRAP_HANDLER: 0
; COMPUTE_PGM_RSRC2:TGID_X_EN: 1
; COMPUTE_PGM_RSRC2:TGID_Y_EN: 0
; COMPUTE_PGM_RSRC2:TGID_Z_EN: 0
; COMPUTE_PGM_RSRC2:TIDIG_COMP_CNT: 0
; COMPUTE_PGM_RSRC3_GFX90A:ACCUM_OFFSET: 31
; COMPUTE_PGM_RSRC3_GFX90A:TG_SPLIT: 0
	.section	.text._ZN7rocprim17ROCPRIM_400000_NS6detail17trampoline_kernelINS0_14default_configENS1_27scan_by_key_config_selectorIxxEEZZNS1_16scan_by_key_implILNS1_25lookback_scan_determinismE0ELb0ES3_N6thrust23THRUST_200600_302600_NS6detail15normal_iteratorINS9_10device_ptrIxEEEENS9_18transform_iteratorINS9_6negateIxEESE_NS9_11use_defaultESI_EESE_xNS9_4plusIvEENS9_8equal_toIvEExEE10hipError_tPvRmT2_T3_T4_T5_mT6_T7_P12ihipStream_tbENKUlT_T0_E_clISt17integral_constantIbLb0EES13_IbLb1EEEEDaSZ_S10_EUlSZ_E_NS1_11comp_targetILNS1_3genE3ELNS1_11target_archE908ELNS1_3gpuE7ELNS1_3repE0EEENS1_30default_config_static_selectorELNS0_4arch9wavefront6targetE1EEEvT1_,"axG",@progbits,_ZN7rocprim17ROCPRIM_400000_NS6detail17trampoline_kernelINS0_14default_configENS1_27scan_by_key_config_selectorIxxEEZZNS1_16scan_by_key_implILNS1_25lookback_scan_determinismE0ELb0ES3_N6thrust23THRUST_200600_302600_NS6detail15normal_iteratorINS9_10device_ptrIxEEEENS9_18transform_iteratorINS9_6negateIxEESE_NS9_11use_defaultESI_EESE_xNS9_4plusIvEENS9_8equal_toIvEExEE10hipError_tPvRmT2_T3_T4_T5_mT6_T7_P12ihipStream_tbENKUlT_T0_E_clISt17integral_constantIbLb0EES13_IbLb1EEEEDaSZ_S10_EUlSZ_E_NS1_11comp_targetILNS1_3genE3ELNS1_11target_archE908ELNS1_3gpuE7ELNS1_3repE0EEENS1_30default_config_static_selectorELNS0_4arch9wavefront6targetE1EEEvT1_,comdat
	.protected	_ZN7rocprim17ROCPRIM_400000_NS6detail17trampoline_kernelINS0_14default_configENS1_27scan_by_key_config_selectorIxxEEZZNS1_16scan_by_key_implILNS1_25lookback_scan_determinismE0ELb0ES3_N6thrust23THRUST_200600_302600_NS6detail15normal_iteratorINS9_10device_ptrIxEEEENS9_18transform_iteratorINS9_6negateIxEESE_NS9_11use_defaultESI_EESE_xNS9_4plusIvEENS9_8equal_toIvEExEE10hipError_tPvRmT2_T3_T4_T5_mT6_T7_P12ihipStream_tbENKUlT_T0_E_clISt17integral_constantIbLb0EES13_IbLb1EEEEDaSZ_S10_EUlSZ_E_NS1_11comp_targetILNS1_3genE3ELNS1_11target_archE908ELNS1_3gpuE7ELNS1_3repE0EEENS1_30default_config_static_selectorELNS0_4arch9wavefront6targetE1EEEvT1_ ; -- Begin function _ZN7rocprim17ROCPRIM_400000_NS6detail17trampoline_kernelINS0_14default_configENS1_27scan_by_key_config_selectorIxxEEZZNS1_16scan_by_key_implILNS1_25lookback_scan_determinismE0ELb0ES3_N6thrust23THRUST_200600_302600_NS6detail15normal_iteratorINS9_10device_ptrIxEEEENS9_18transform_iteratorINS9_6negateIxEESE_NS9_11use_defaultESI_EESE_xNS9_4plusIvEENS9_8equal_toIvEExEE10hipError_tPvRmT2_T3_T4_T5_mT6_T7_P12ihipStream_tbENKUlT_T0_E_clISt17integral_constantIbLb0EES13_IbLb1EEEEDaSZ_S10_EUlSZ_E_NS1_11comp_targetILNS1_3genE3ELNS1_11target_archE908ELNS1_3gpuE7ELNS1_3repE0EEENS1_30default_config_static_selectorELNS0_4arch9wavefront6targetE1EEEvT1_
	.globl	_ZN7rocprim17ROCPRIM_400000_NS6detail17trampoline_kernelINS0_14default_configENS1_27scan_by_key_config_selectorIxxEEZZNS1_16scan_by_key_implILNS1_25lookback_scan_determinismE0ELb0ES3_N6thrust23THRUST_200600_302600_NS6detail15normal_iteratorINS9_10device_ptrIxEEEENS9_18transform_iteratorINS9_6negateIxEESE_NS9_11use_defaultESI_EESE_xNS9_4plusIvEENS9_8equal_toIvEExEE10hipError_tPvRmT2_T3_T4_T5_mT6_T7_P12ihipStream_tbENKUlT_T0_E_clISt17integral_constantIbLb0EES13_IbLb1EEEEDaSZ_S10_EUlSZ_E_NS1_11comp_targetILNS1_3genE3ELNS1_11target_archE908ELNS1_3gpuE7ELNS1_3repE0EEENS1_30default_config_static_selectorELNS0_4arch9wavefront6targetE1EEEvT1_
	.p2align	8
	.type	_ZN7rocprim17ROCPRIM_400000_NS6detail17trampoline_kernelINS0_14default_configENS1_27scan_by_key_config_selectorIxxEEZZNS1_16scan_by_key_implILNS1_25lookback_scan_determinismE0ELb0ES3_N6thrust23THRUST_200600_302600_NS6detail15normal_iteratorINS9_10device_ptrIxEEEENS9_18transform_iteratorINS9_6negateIxEESE_NS9_11use_defaultESI_EESE_xNS9_4plusIvEENS9_8equal_toIvEExEE10hipError_tPvRmT2_T3_T4_T5_mT6_T7_P12ihipStream_tbENKUlT_T0_E_clISt17integral_constantIbLb0EES13_IbLb1EEEEDaSZ_S10_EUlSZ_E_NS1_11comp_targetILNS1_3genE3ELNS1_11target_archE908ELNS1_3gpuE7ELNS1_3repE0EEENS1_30default_config_static_selectorELNS0_4arch9wavefront6targetE1EEEvT1_,@function
_ZN7rocprim17ROCPRIM_400000_NS6detail17trampoline_kernelINS0_14default_configENS1_27scan_by_key_config_selectorIxxEEZZNS1_16scan_by_key_implILNS1_25lookback_scan_determinismE0ELb0ES3_N6thrust23THRUST_200600_302600_NS6detail15normal_iteratorINS9_10device_ptrIxEEEENS9_18transform_iteratorINS9_6negateIxEESE_NS9_11use_defaultESI_EESE_xNS9_4plusIvEENS9_8equal_toIvEExEE10hipError_tPvRmT2_T3_T4_T5_mT6_T7_P12ihipStream_tbENKUlT_T0_E_clISt17integral_constantIbLb0EES13_IbLb1EEEEDaSZ_S10_EUlSZ_E_NS1_11comp_targetILNS1_3genE3ELNS1_11target_archE908ELNS1_3gpuE7ELNS1_3repE0EEENS1_30default_config_static_selectorELNS0_4arch9wavefront6targetE1EEEvT1_: ; @_ZN7rocprim17ROCPRIM_400000_NS6detail17trampoline_kernelINS0_14default_configENS1_27scan_by_key_config_selectorIxxEEZZNS1_16scan_by_key_implILNS1_25lookback_scan_determinismE0ELb0ES3_N6thrust23THRUST_200600_302600_NS6detail15normal_iteratorINS9_10device_ptrIxEEEENS9_18transform_iteratorINS9_6negateIxEESE_NS9_11use_defaultESI_EESE_xNS9_4plusIvEENS9_8equal_toIvEExEE10hipError_tPvRmT2_T3_T4_T5_mT6_T7_P12ihipStream_tbENKUlT_T0_E_clISt17integral_constantIbLb0EES13_IbLb1EEEEDaSZ_S10_EUlSZ_E_NS1_11comp_targetILNS1_3genE3ELNS1_11target_archE908ELNS1_3gpuE7ELNS1_3repE0EEENS1_30default_config_static_selectorELNS0_4arch9wavefront6targetE1EEEvT1_
; %bb.0:
	.section	.rodata,"a",@progbits
	.p2align	6, 0x0
	.amdhsa_kernel _ZN7rocprim17ROCPRIM_400000_NS6detail17trampoline_kernelINS0_14default_configENS1_27scan_by_key_config_selectorIxxEEZZNS1_16scan_by_key_implILNS1_25lookback_scan_determinismE0ELb0ES3_N6thrust23THRUST_200600_302600_NS6detail15normal_iteratorINS9_10device_ptrIxEEEENS9_18transform_iteratorINS9_6negateIxEESE_NS9_11use_defaultESI_EESE_xNS9_4plusIvEENS9_8equal_toIvEExEE10hipError_tPvRmT2_T3_T4_T5_mT6_T7_P12ihipStream_tbENKUlT_T0_E_clISt17integral_constantIbLb0EES13_IbLb1EEEEDaSZ_S10_EUlSZ_E_NS1_11comp_targetILNS1_3genE3ELNS1_11target_archE908ELNS1_3gpuE7ELNS1_3repE0EEENS1_30default_config_static_selectorELNS0_4arch9wavefront6targetE1EEEvT1_
		.amdhsa_group_segment_fixed_size 0
		.amdhsa_private_segment_fixed_size 0
		.amdhsa_kernarg_size 144
		.amdhsa_user_sgpr_count 6
		.amdhsa_user_sgpr_private_segment_buffer 1
		.amdhsa_user_sgpr_dispatch_ptr 0
		.amdhsa_user_sgpr_queue_ptr 0
		.amdhsa_user_sgpr_kernarg_segment_ptr 1
		.amdhsa_user_sgpr_dispatch_id 0
		.amdhsa_user_sgpr_flat_scratch_init 0
		.amdhsa_user_sgpr_kernarg_preload_length 0
		.amdhsa_user_sgpr_kernarg_preload_offset 0
		.amdhsa_user_sgpr_private_segment_size 0
		.amdhsa_uses_dynamic_stack 0
		.amdhsa_system_sgpr_private_segment_wavefront_offset 0
		.amdhsa_system_sgpr_workgroup_id_x 1
		.amdhsa_system_sgpr_workgroup_id_y 0
		.amdhsa_system_sgpr_workgroup_id_z 0
		.amdhsa_system_sgpr_workgroup_info 0
		.amdhsa_system_vgpr_workitem_id 0
		.amdhsa_next_free_vgpr 1
		.amdhsa_next_free_sgpr 0
		.amdhsa_accum_offset 4
		.amdhsa_reserve_vcc 0
		.amdhsa_reserve_flat_scratch 0
		.amdhsa_float_round_mode_32 0
		.amdhsa_float_round_mode_16_64 0
		.amdhsa_float_denorm_mode_32 3
		.amdhsa_float_denorm_mode_16_64 3
		.amdhsa_dx10_clamp 1
		.amdhsa_ieee_mode 1
		.amdhsa_fp16_overflow 0
		.amdhsa_tg_split 0
		.amdhsa_exception_fp_ieee_invalid_op 0
		.amdhsa_exception_fp_denorm_src 0
		.amdhsa_exception_fp_ieee_div_zero 0
		.amdhsa_exception_fp_ieee_overflow 0
		.amdhsa_exception_fp_ieee_underflow 0
		.amdhsa_exception_fp_ieee_inexact 0
		.amdhsa_exception_int_div_zero 0
	.end_amdhsa_kernel
	.section	.text._ZN7rocprim17ROCPRIM_400000_NS6detail17trampoline_kernelINS0_14default_configENS1_27scan_by_key_config_selectorIxxEEZZNS1_16scan_by_key_implILNS1_25lookback_scan_determinismE0ELb0ES3_N6thrust23THRUST_200600_302600_NS6detail15normal_iteratorINS9_10device_ptrIxEEEENS9_18transform_iteratorINS9_6negateIxEESE_NS9_11use_defaultESI_EESE_xNS9_4plusIvEENS9_8equal_toIvEExEE10hipError_tPvRmT2_T3_T4_T5_mT6_T7_P12ihipStream_tbENKUlT_T0_E_clISt17integral_constantIbLb0EES13_IbLb1EEEEDaSZ_S10_EUlSZ_E_NS1_11comp_targetILNS1_3genE3ELNS1_11target_archE908ELNS1_3gpuE7ELNS1_3repE0EEENS1_30default_config_static_selectorELNS0_4arch9wavefront6targetE1EEEvT1_,"axG",@progbits,_ZN7rocprim17ROCPRIM_400000_NS6detail17trampoline_kernelINS0_14default_configENS1_27scan_by_key_config_selectorIxxEEZZNS1_16scan_by_key_implILNS1_25lookback_scan_determinismE0ELb0ES3_N6thrust23THRUST_200600_302600_NS6detail15normal_iteratorINS9_10device_ptrIxEEEENS9_18transform_iteratorINS9_6negateIxEESE_NS9_11use_defaultESI_EESE_xNS9_4plusIvEENS9_8equal_toIvEExEE10hipError_tPvRmT2_T3_T4_T5_mT6_T7_P12ihipStream_tbENKUlT_T0_E_clISt17integral_constantIbLb0EES13_IbLb1EEEEDaSZ_S10_EUlSZ_E_NS1_11comp_targetILNS1_3genE3ELNS1_11target_archE908ELNS1_3gpuE7ELNS1_3repE0EEENS1_30default_config_static_selectorELNS0_4arch9wavefront6targetE1EEEvT1_,comdat
.Lfunc_end924:
	.size	_ZN7rocprim17ROCPRIM_400000_NS6detail17trampoline_kernelINS0_14default_configENS1_27scan_by_key_config_selectorIxxEEZZNS1_16scan_by_key_implILNS1_25lookback_scan_determinismE0ELb0ES3_N6thrust23THRUST_200600_302600_NS6detail15normal_iteratorINS9_10device_ptrIxEEEENS9_18transform_iteratorINS9_6negateIxEESE_NS9_11use_defaultESI_EESE_xNS9_4plusIvEENS9_8equal_toIvEExEE10hipError_tPvRmT2_T3_T4_T5_mT6_T7_P12ihipStream_tbENKUlT_T0_E_clISt17integral_constantIbLb0EES13_IbLb1EEEEDaSZ_S10_EUlSZ_E_NS1_11comp_targetILNS1_3genE3ELNS1_11target_archE908ELNS1_3gpuE7ELNS1_3repE0EEENS1_30default_config_static_selectorELNS0_4arch9wavefront6targetE1EEEvT1_, .Lfunc_end924-_ZN7rocprim17ROCPRIM_400000_NS6detail17trampoline_kernelINS0_14default_configENS1_27scan_by_key_config_selectorIxxEEZZNS1_16scan_by_key_implILNS1_25lookback_scan_determinismE0ELb0ES3_N6thrust23THRUST_200600_302600_NS6detail15normal_iteratorINS9_10device_ptrIxEEEENS9_18transform_iteratorINS9_6negateIxEESE_NS9_11use_defaultESI_EESE_xNS9_4plusIvEENS9_8equal_toIvEExEE10hipError_tPvRmT2_T3_T4_T5_mT6_T7_P12ihipStream_tbENKUlT_T0_E_clISt17integral_constantIbLb0EES13_IbLb1EEEEDaSZ_S10_EUlSZ_E_NS1_11comp_targetILNS1_3genE3ELNS1_11target_archE908ELNS1_3gpuE7ELNS1_3repE0EEENS1_30default_config_static_selectorELNS0_4arch9wavefront6targetE1EEEvT1_
                                        ; -- End function
	.section	.AMDGPU.csdata,"",@progbits
; Kernel info:
; codeLenInByte = 0
; NumSgprs: 4
; NumVgprs: 0
; NumAgprs: 0
; TotalNumVgprs: 0
; ScratchSize: 0
; MemoryBound: 0
; FloatMode: 240
; IeeeMode: 1
; LDSByteSize: 0 bytes/workgroup (compile time only)
; SGPRBlocks: 0
; VGPRBlocks: 0
; NumSGPRsForWavesPerEU: 4
; NumVGPRsForWavesPerEU: 1
; AccumOffset: 4
; Occupancy: 8
; WaveLimiterHint : 0
; COMPUTE_PGM_RSRC2:SCRATCH_EN: 0
; COMPUTE_PGM_RSRC2:USER_SGPR: 6
; COMPUTE_PGM_RSRC2:TRAP_HANDLER: 0
; COMPUTE_PGM_RSRC2:TGID_X_EN: 1
; COMPUTE_PGM_RSRC2:TGID_Y_EN: 0
; COMPUTE_PGM_RSRC2:TGID_Z_EN: 0
; COMPUTE_PGM_RSRC2:TIDIG_COMP_CNT: 0
; COMPUTE_PGM_RSRC3_GFX90A:ACCUM_OFFSET: 0
; COMPUTE_PGM_RSRC3_GFX90A:TG_SPLIT: 0
	.section	.text._ZN7rocprim17ROCPRIM_400000_NS6detail17trampoline_kernelINS0_14default_configENS1_27scan_by_key_config_selectorIxxEEZZNS1_16scan_by_key_implILNS1_25lookback_scan_determinismE0ELb0ES3_N6thrust23THRUST_200600_302600_NS6detail15normal_iteratorINS9_10device_ptrIxEEEENS9_18transform_iteratorINS9_6negateIxEESE_NS9_11use_defaultESI_EESE_xNS9_4plusIvEENS9_8equal_toIvEExEE10hipError_tPvRmT2_T3_T4_T5_mT6_T7_P12ihipStream_tbENKUlT_T0_E_clISt17integral_constantIbLb0EES13_IbLb1EEEEDaSZ_S10_EUlSZ_E_NS1_11comp_targetILNS1_3genE2ELNS1_11target_archE906ELNS1_3gpuE6ELNS1_3repE0EEENS1_30default_config_static_selectorELNS0_4arch9wavefront6targetE1EEEvT1_,"axG",@progbits,_ZN7rocprim17ROCPRIM_400000_NS6detail17trampoline_kernelINS0_14default_configENS1_27scan_by_key_config_selectorIxxEEZZNS1_16scan_by_key_implILNS1_25lookback_scan_determinismE0ELb0ES3_N6thrust23THRUST_200600_302600_NS6detail15normal_iteratorINS9_10device_ptrIxEEEENS9_18transform_iteratorINS9_6negateIxEESE_NS9_11use_defaultESI_EESE_xNS9_4plusIvEENS9_8equal_toIvEExEE10hipError_tPvRmT2_T3_T4_T5_mT6_T7_P12ihipStream_tbENKUlT_T0_E_clISt17integral_constantIbLb0EES13_IbLb1EEEEDaSZ_S10_EUlSZ_E_NS1_11comp_targetILNS1_3genE2ELNS1_11target_archE906ELNS1_3gpuE6ELNS1_3repE0EEENS1_30default_config_static_selectorELNS0_4arch9wavefront6targetE1EEEvT1_,comdat
	.protected	_ZN7rocprim17ROCPRIM_400000_NS6detail17trampoline_kernelINS0_14default_configENS1_27scan_by_key_config_selectorIxxEEZZNS1_16scan_by_key_implILNS1_25lookback_scan_determinismE0ELb0ES3_N6thrust23THRUST_200600_302600_NS6detail15normal_iteratorINS9_10device_ptrIxEEEENS9_18transform_iteratorINS9_6negateIxEESE_NS9_11use_defaultESI_EESE_xNS9_4plusIvEENS9_8equal_toIvEExEE10hipError_tPvRmT2_T3_T4_T5_mT6_T7_P12ihipStream_tbENKUlT_T0_E_clISt17integral_constantIbLb0EES13_IbLb1EEEEDaSZ_S10_EUlSZ_E_NS1_11comp_targetILNS1_3genE2ELNS1_11target_archE906ELNS1_3gpuE6ELNS1_3repE0EEENS1_30default_config_static_selectorELNS0_4arch9wavefront6targetE1EEEvT1_ ; -- Begin function _ZN7rocprim17ROCPRIM_400000_NS6detail17trampoline_kernelINS0_14default_configENS1_27scan_by_key_config_selectorIxxEEZZNS1_16scan_by_key_implILNS1_25lookback_scan_determinismE0ELb0ES3_N6thrust23THRUST_200600_302600_NS6detail15normal_iteratorINS9_10device_ptrIxEEEENS9_18transform_iteratorINS9_6negateIxEESE_NS9_11use_defaultESI_EESE_xNS9_4plusIvEENS9_8equal_toIvEExEE10hipError_tPvRmT2_T3_T4_T5_mT6_T7_P12ihipStream_tbENKUlT_T0_E_clISt17integral_constantIbLb0EES13_IbLb1EEEEDaSZ_S10_EUlSZ_E_NS1_11comp_targetILNS1_3genE2ELNS1_11target_archE906ELNS1_3gpuE6ELNS1_3repE0EEENS1_30default_config_static_selectorELNS0_4arch9wavefront6targetE1EEEvT1_
	.globl	_ZN7rocprim17ROCPRIM_400000_NS6detail17trampoline_kernelINS0_14default_configENS1_27scan_by_key_config_selectorIxxEEZZNS1_16scan_by_key_implILNS1_25lookback_scan_determinismE0ELb0ES3_N6thrust23THRUST_200600_302600_NS6detail15normal_iteratorINS9_10device_ptrIxEEEENS9_18transform_iteratorINS9_6negateIxEESE_NS9_11use_defaultESI_EESE_xNS9_4plusIvEENS9_8equal_toIvEExEE10hipError_tPvRmT2_T3_T4_T5_mT6_T7_P12ihipStream_tbENKUlT_T0_E_clISt17integral_constantIbLb0EES13_IbLb1EEEEDaSZ_S10_EUlSZ_E_NS1_11comp_targetILNS1_3genE2ELNS1_11target_archE906ELNS1_3gpuE6ELNS1_3repE0EEENS1_30default_config_static_selectorELNS0_4arch9wavefront6targetE1EEEvT1_
	.p2align	8
	.type	_ZN7rocprim17ROCPRIM_400000_NS6detail17trampoline_kernelINS0_14default_configENS1_27scan_by_key_config_selectorIxxEEZZNS1_16scan_by_key_implILNS1_25lookback_scan_determinismE0ELb0ES3_N6thrust23THRUST_200600_302600_NS6detail15normal_iteratorINS9_10device_ptrIxEEEENS9_18transform_iteratorINS9_6negateIxEESE_NS9_11use_defaultESI_EESE_xNS9_4plusIvEENS9_8equal_toIvEExEE10hipError_tPvRmT2_T3_T4_T5_mT6_T7_P12ihipStream_tbENKUlT_T0_E_clISt17integral_constantIbLb0EES13_IbLb1EEEEDaSZ_S10_EUlSZ_E_NS1_11comp_targetILNS1_3genE2ELNS1_11target_archE906ELNS1_3gpuE6ELNS1_3repE0EEENS1_30default_config_static_selectorELNS0_4arch9wavefront6targetE1EEEvT1_,@function
_ZN7rocprim17ROCPRIM_400000_NS6detail17trampoline_kernelINS0_14default_configENS1_27scan_by_key_config_selectorIxxEEZZNS1_16scan_by_key_implILNS1_25lookback_scan_determinismE0ELb0ES3_N6thrust23THRUST_200600_302600_NS6detail15normal_iteratorINS9_10device_ptrIxEEEENS9_18transform_iteratorINS9_6negateIxEESE_NS9_11use_defaultESI_EESE_xNS9_4plusIvEENS9_8equal_toIvEExEE10hipError_tPvRmT2_T3_T4_T5_mT6_T7_P12ihipStream_tbENKUlT_T0_E_clISt17integral_constantIbLb0EES13_IbLb1EEEEDaSZ_S10_EUlSZ_E_NS1_11comp_targetILNS1_3genE2ELNS1_11target_archE906ELNS1_3gpuE6ELNS1_3repE0EEENS1_30default_config_static_selectorELNS0_4arch9wavefront6targetE1EEEvT1_: ; @_ZN7rocprim17ROCPRIM_400000_NS6detail17trampoline_kernelINS0_14default_configENS1_27scan_by_key_config_selectorIxxEEZZNS1_16scan_by_key_implILNS1_25lookback_scan_determinismE0ELb0ES3_N6thrust23THRUST_200600_302600_NS6detail15normal_iteratorINS9_10device_ptrIxEEEENS9_18transform_iteratorINS9_6negateIxEESE_NS9_11use_defaultESI_EESE_xNS9_4plusIvEENS9_8equal_toIvEExEE10hipError_tPvRmT2_T3_T4_T5_mT6_T7_P12ihipStream_tbENKUlT_T0_E_clISt17integral_constantIbLb0EES13_IbLb1EEEEDaSZ_S10_EUlSZ_E_NS1_11comp_targetILNS1_3genE2ELNS1_11target_archE906ELNS1_3gpuE6ELNS1_3repE0EEENS1_30default_config_static_selectorELNS0_4arch9wavefront6targetE1EEEvT1_
; %bb.0:
	.section	.rodata,"a",@progbits
	.p2align	6, 0x0
	.amdhsa_kernel _ZN7rocprim17ROCPRIM_400000_NS6detail17trampoline_kernelINS0_14default_configENS1_27scan_by_key_config_selectorIxxEEZZNS1_16scan_by_key_implILNS1_25lookback_scan_determinismE0ELb0ES3_N6thrust23THRUST_200600_302600_NS6detail15normal_iteratorINS9_10device_ptrIxEEEENS9_18transform_iteratorINS9_6negateIxEESE_NS9_11use_defaultESI_EESE_xNS9_4plusIvEENS9_8equal_toIvEExEE10hipError_tPvRmT2_T3_T4_T5_mT6_T7_P12ihipStream_tbENKUlT_T0_E_clISt17integral_constantIbLb0EES13_IbLb1EEEEDaSZ_S10_EUlSZ_E_NS1_11comp_targetILNS1_3genE2ELNS1_11target_archE906ELNS1_3gpuE6ELNS1_3repE0EEENS1_30default_config_static_selectorELNS0_4arch9wavefront6targetE1EEEvT1_
		.amdhsa_group_segment_fixed_size 0
		.amdhsa_private_segment_fixed_size 0
		.amdhsa_kernarg_size 144
		.amdhsa_user_sgpr_count 6
		.amdhsa_user_sgpr_private_segment_buffer 1
		.amdhsa_user_sgpr_dispatch_ptr 0
		.amdhsa_user_sgpr_queue_ptr 0
		.amdhsa_user_sgpr_kernarg_segment_ptr 1
		.amdhsa_user_sgpr_dispatch_id 0
		.amdhsa_user_sgpr_flat_scratch_init 0
		.amdhsa_user_sgpr_kernarg_preload_length 0
		.amdhsa_user_sgpr_kernarg_preload_offset 0
		.amdhsa_user_sgpr_private_segment_size 0
		.amdhsa_uses_dynamic_stack 0
		.amdhsa_system_sgpr_private_segment_wavefront_offset 0
		.amdhsa_system_sgpr_workgroup_id_x 1
		.amdhsa_system_sgpr_workgroup_id_y 0
		.amdhsa_system_sgpr_workgroup_id_z 0
		.amdhsa_system_sgpr_workgroup_info 0
		.amdhsa_system_vgpr_workitem_id 0
		.amdhsa_next_free_vgpr 1
		.amdhsa_next_free_sgpr 0
		.amdhsa_accum_offset 4
		.amdhsa_reserve_vcc 0
		.amdhsa_reserve_flat_scratch 0
		.amdhsa_float_round_mode_32 0
		.amdhsa_float_round_mode_16_64 0
		.amdhsa_float_denorm_mode_32 3
		.amdhsa_float_denorm_mode_16_64 3
		.amdhsa_dx10_clamp 1
		.amdhsa_ieee_mode 1
		.amdhsa_fp16_overflow 0
		.amdhsa_tg_split 0
		.amdhsa_exception_fp_ieee_invalid_op 0
		.amdhsa_exception_fp_denorm_src 0
		.amdhsa_exception_fp_ieee_div_zero 0
		.amdhsa_exception_fp_ieee_overflow 0
		.amdhsa_exception_fp_ieee_underflow 0
		.amdhsa_exception_fp_ieee_inexact 0
		.amdhsa_exception_int_div_zero 0
	.end_amdhsa_kernel
	.section	.text._ZN7rocprim17ROCPRIM_400000_NS6detail17trampoline_kernelINS0_14default_configENS1_27scan_by_key_config_selectorIxxEEZZNS1_16scan_by_key_implILNS1_25lookback_scan_determinismE0ELb0ES3_N6thrust23THRUST_200600_302600_NS6detail15normal_iteratorINS9_10device_ptrIxEEEENS9_18transform_iteratorINS9_6negateIxEESE_NS9_11use_defaultESI_EESE_xNS9_4plusIvEENS9_8equal_toIvEExEE10hipError_tPvRmT2_T3_T4_T5_mT6_T7_P12ihipStream_tbENKUlT_T0_E_clISt17integral_constantIbLb0EES13_IbLb1EEEEDaSZ_S10_EUlSZ_E_NS1_11comp_targetILNS1_3genE2ELNS1_11target_archE906ELNS1_3gpuE6ELNS1_3repE0EEENS1_30default_config_static_selectorELNS0_4arch9wavefront6targetE1EEEvT1_,"axG",@progbits,_ZN7rocprim17ROCPRIM_400000_NS6detail17trampoline_kernelINS0_14default_configENS1_27scan_by_key_config_selectorIxxEEZZNS1_16scan_by_key_implILNS1_25lookback_scan_determinismE0ELb0ES3_N6thrust23THRUST_200600_302600_NS6detail15normal_iteratorINS9_10device_ptrIxEEEENS9_18transform_iteratorINS9_6negateIxEESE_NS9_11use_defaultESI_EESE_xNS9_4plusIvEENS9_8equal_toIvEExEE10hipError_tPvRmT2_T3_T4_T5_mT6_T7_P12ihipStream_tbENKUlT_T0_E_clISt17integral_constantIbLb0EES13_IbLb1EEEEDaSZ_S10_EUlSZ_E_NS1_11comp_targetILNS1_3genE2ELNS1_11target_archE906ELNS1_3gpuE6ELNS1_3repE0EEENS1_30default_config_static_selectorELNS0_4arch9wavefront6targetE1EEEvT1_,comdat
.Lfunc_end925:
	.size	_ZN7rocprim17ROCPRIM_400000_NS6detail17trampoline_kernelINS0_14default_configENS1_27scan_by_key_config_selectorIxxEEZZNS1_16scan_by_key_implILNS1_25lookback_scan_determinismE0ELb0ES3_N6thrust23THRUST_200600_302600_NS6detail15normal_iteratorINS9_10device_ptrIxEEEENS9_18transform_iteratorINS9_6negateIxEESE_NS9_11use_defaultESI_EESE_xNS9_4plusIvEENS9_8equal_toIvEExEE10hipError_tPvRmT2_T3_T4_T5_mT6_T7_P12ihipStream_tbENKUlT_T0_E_clISt17integral_constantIbLb0EES13_IbLb1EEEEDaSZ_S10_EUlSZ_E_NS1_11comp_targetILNS1_3genE2ELNS1_11target_archE906ELNS1_3gpuE6ELNS1_3repE0EEENS1_30default_config_static_selectorELNS0_4arch9wavefront6targetE1EEEvT1_, .Lfunc_end925-_ZN7rocprim17ROCPRIM_400000_NS6detail17trampoline_kernelINS0_14default_configENS1_27scan_by_key_config_selectorIxxEEZZNS1_16scan_by_key_implILNS1_25lookback_scan_determinismE0ELb0ES3_N6thrust23THRUST_200600_302600_NS6detail15normal_iteratorINS9_10device_ptrIxEEEENS9_18transform_iteratorINS9_6negateIxEESE_NS9_11use_defaultESI_EESE_xNS9_4plusIvEENS9_8equal_toIvEExEE10hipError_tPvRmT2_T3_T4_T5_mT6_T7_P12ihipStream_tbENKUlT_T0_E_clISt17integral_constantIbLb0EES13_IbLb1EEEEDaSZ_S10_EUlSZ_E_NS1_11comp_targetILNS1_3genE2ELNS1_11target_archE906ELNS1_3gpuE6ELNS1_3repE0EEENS1_30default_config_static_selectorELNS0_4arch9wavefront6targetE1EEEvT1_
                                        ; -- End function
	.section	.AMDGPU.csdata,"",@progbits
; Kernel info:
; codeLenInByte = 0
; NumSgprs: 4
; NumVgprs: 0
; NumAgprs: 0
; TotalNumVgprs: 0
; ScratchSize: 0
; MemoryBound: 0
; FloatMode: 240
; IeeeMode: 1
; LDSByteSize: 0 bytes/workgroup (compile time only)
; SGPRBlocks: 0
; VGPRBlocks: 0
; NumSGPRsForWavesPerEU: 4
; NumVGPRsForWavesPerEU: 1
; AccumOffset: 4
; Occupancy: 8
; WaveLimiterHint : 0
; COMPUTE_PGM_RSRC2:SCRATCH_EN: 0
; COMPUTE_PGM_RSRC2:USER_SGPR: 6
; COMPUTE_PGM_RSRC2:TRAP_HANDLER: 0
; COMPUTE_PGM_RSRC2:TGID_X_EN: 1
; COMPUTE_PGM_RSRC2:TGID_Y_EN: 0
; COMPUTE_PGM_RSRC2:TGID_Z_EN: 0
; COMPUTE_PGM_RSRC2:TIDIG_COMP_CNT: 0
; COMPUTE_PGM_RSRC3_GFX90A:ACCUM_OFFSET: 0
; COMPUTE_PGM_RSRC3_GFX90A:TG_SPLIT: 0
	.section	.text._ZN7rocprim17ROCPRIM_400000_NS6detail17trampoline_kernelINS0_14default_configENS1_27scan_by_key_config_selectorIxxEEZZNS1_16scan_by_key_implILNS1_25lookback_scan_determinismE0ELb0ES3_N6thrust23THRUST_200600_302600_NS6detail15normal_iteratorINS9_10device_ptrIxEEEENS9_18transform_iteratorINS9_6negateIxEESE_NS9_11use_defaultESI_EESE_xNS9_4plusIvEENS9_8equal_toIvEExEE10hipError_tPvRmT2_T3_T4_T5_mT6_T7_P12ihipStream_tbENKUlT_T0_E_clISt17integral_constantIbLb0EES13_IbLb1EEEEDaSZ_S10_EUlSZ_E_NS1_11comp_targetILNS1_3genE10ELNS1_11target_archE1200ELNS1_3gpuE4ELNS1_3repE0EEENS1_30default_config_static_selectorELNS0_4arch9wavefront6targetE1EEEvT1_,"axG",@progbits,_ZN7rocprim17ROCPRIM_400000_NS6detail17trampoline_kernelINS0_14default_configENS1_27scan_by_key_config_selectorIxxEEZZNS1_16scan_by_key_implILNS1_25lookback_scan_determinismE0ELb0ES3_N6thrust23THRUST_200600_302600_NS6detail15normal_iteratorINS9_10device_ptrIxEEEENS9_18transform_iteratorINS9_6negateIxEESE_NS9_11use_defaultESI_EESE_xNS9_4plusIvEENS9_8equal_toIvEExEE10hipError_tPvRmT2_T3_T4_T5_mT6_T7_P12ihipStream_tbENKUlT_T0_E_clISt17integral_constantIbLb0EES13_IbLb1EEEEDaSZ_S10_EUlSZ_E_NS1_11comp_targetILNS1_3genE10ELNS1_11target_archE1200ELNS1_3gpuE4ELNS1_3repE0EEENS1_30default_config_static_selectorELNS0_4arch9wavefront6targetE1EEEvT1_,comdat
	.protected	_ZN7rocprim17ROCPRIM_400000_NS6detail17trampoline_kernelINS0_14default_configENS1_27scan_by_key_config_selectorIxxEEZZNS1_16scan_by_key_implILNS1_25lookback_scan_determinismE0ELb0ES3_N6thrust23THRUST_200600_302600_NS6detail15normal_iteratorINS9_10device_ptrIxEEEENS9_18transform_iteratorINS9_6negateIxEESE_NS9_11use_defaultESI_EESE_xNS9_4plusIvEENS9_8equal_toIvEExEE10hipError_tPvRmT2_T3_T4_T5_mT6_T7_P12ihipStream_tbENKUlT_T0_E_clISt17integral_constantIbLb0EES13_IbLb1EEEEDaSZ_S10_EUlSZ_E_NS1_11comp_targetILNS1_3genE10ELNS1_11target_archE1200ELNS1_3gpuE4ELNS1_3repE0EEENS1_30default_config_static_selectorELNS0_4arch9wavefront6targetE1EEEvT1_ ; -- Begin function _ZN7rocprim17ROCPRIM_400000_NS6detail17trampoline_kernelINS0_14default_configENS1_27scan_by_key_config_selectorIxxEEZZNS1_16scan_by_key_implILNS1_25lookback_scan_determinismE0ELb0ES3_N6thrust23THRUST_200600_302600_NS6detail15normal_iteratorINS9_10device_ptrIxEEEENS9_18transform_iteratorINS9_6negateIxEESE_NS9_11use_defaultESI_EESE_xNS9_4plusIvEENS9_8equal_toIvEExEE10hipError_tPvRmT2_T3_T4_T5_mT6_T7_P12ihipStream_tbENKUlT_T0_E_clISt17integral_constantIbLb0EES13_IbLb1EEEEDaSZ_S10_EUlSZ_E_NS1_11comp_targetILNS1_3genE10ELNS1_11target_archE1200ELNS1_3gpuE4ELNS1_3repE0EEENS1_30default_config_static_selectorELNS0_4arch9wavefront6targetE1EEEvT1_
	.globl	_ZN7rocprim17ROCPRIM_400000_NS6detail17trampoline_kernelINS0_14default_configENS1_27scan_by_key_config_selectorIxxEEZZNS1_16scan_by_key_implILNS1_25lookback_scan_determinismE0ELb0ES3_N6thrust23THRUST_200600_302600_NS6detail15normal_iteratorINS9_10device_ptrIxEEEENS9_18transform_iteratorINS9_6negateIxEESE_NS9_11use_defaultESI_EESE_xNS9_4plusIvEENS9_8equal_toIvEExEE10hipError_tPvRmT2_T3_T4_T5_mT6_T7_P12ihipStream_tbENKUlT_T0_E_clISt17integral_constantIbLb0EES13_IbLb1EEEEDaSZ_S10_EUlSZ_E_NS1_11comp_targetILNS1_3genE10ELNS1_11target_archE1200ELNS1_3gpuE4ELNS1_3repE0EEENS1_30default_config_static_selectorELNS0_4arch9wavefront6targetE1EEEvT1_
	.p2align	8
	.type	_ZN7rocprim17ROCPRIM_400000_NS6detail17trampoline_kernelINS0_14default_configENS1_27scan_by_key_config_selectorIxxEEZZNS1_16scan_by_key_implILNS1_25lookback_scan_determinismE0ELb0ES3_N6thrust23THRUST_200600_302600_NS6detail15normal_iteratorINS9_10device_ptrIxEEEENS9_18transform_iteratorINS9_6negateIxEESE_NS9_11use_defaultESI_EESE_xNS9_4plusIvEENS9_8equal_toIvEExEE10hipError_tPvRmT2_T3_T4_T5_mT6_T7_P12ihipStream_tbENKUlT_T0_E_clISt17integral_constantIbLb0EES13_IbLb1EEEEDaSZ_S10_EUlSZ_E_NS1_11comp_targetILNS1_3genE10ELNS1_11target_archE1200ELNS1_3gpuE4ELNS1_3repE0EEENS1_30default_config_static_selectorELNS0_4arch9wavefront6targetE1EEEvT1_,@function
_ZN7rocprim17ROCPRIM_400000_NS6detail17trampoline_kernelINS0_14default_configENS1_27scan_by_key_config_selectorIxxEEZZNS1_16scan_by_key_implILNS1_25lookback_scan_determinismE0ELb0ES3_N6thrust23THRUST_200600_302600_NS6detail15normal_iteratorINS9_10device_ptrIxEEEENS9_18transform_iteratorINS9_6negateIxEESE_NS9_11use_defaultESI_EESE_xNS9_4plusIvEENS9_8equal_toIvEExEE10hipError_tPvRmT2_T3_T4_T5_mT6_T7_P12ihipStream_tbENKUlT_T0_E_clISt17integral_constantIbLb0EES13_IbLb1EEEEDaSZ_S10_EUlSZ_E_NS1_11comp_targetILNS1_3genE10ELNS1_11target_archE1200ELNS1_3gpuE4ELNS1_3repE0EEENS1_30default_config_static_selectorELNS0_4arch9wavefront6targetE1EEEvT1_: ; @_ZN7rocprim17ROCPRIM_400000_NS6detail17trampoline_kernelINS0_14default_configENS1_27scan_by_key_config_selectorIxxEEZZNS1_16scan_by_key_implILNS1_25lookback_scan_determinismE0ELb0ES3_N6thrust23THRUST_200600_302600_NS6detail15normal_iteratorINS9_10device_ptrIxEEEENS9_18transform_iteratorINS9_6negateIxEESE_NS9_11use_defaultESI_EESE_xNS9_4plusIvEENS9_8equal_toIvEExEE10hipError_tPvRmT2_T3_T4_T5_mT6_T7_P12ihipStream_tbENKUlT_T0_E_clISt17integral_constantIbLb0EES13_IbLb1EEEEDaSZ_S10_EUlSZ_E_NS1_11comp_targetILNS1_3genE10ELNS1_11target_archE1200ELNS1_3gpuE4ELNS1_3repE0EEENS1_30default_config_static_selectorELNS0_4arch9wavefront6targetE1EEEvT1_
; %bb.0:
	.section	.rodata,"a",@progbits
	.p2align	6, 0x0
	.amdhsa_kernel _ZN7rocprim17ROCPRIM_400000_NS6detail17trampoline_kernelINS0_14default_configENS1_27scan_by_key_config_selectorIxxEEZZNS1_16scan_by_key_implILNS1_25lookback_scan_determinismE0ELb0ES3_N6thrust23THRUST_200600_302600_NS6detail15normal_iteratorINS9_10device_ptrIxEEEENS9_18transform_iteratorINS9_6negateIxEESE_NS9_11use_defaultESI_EESE_xNS9_4plusIvEENS9_8equal_toIvEExEE10hipError_tPvRmT2_T3_T4_T5_mT6_T7_P12ihipStream_tbENKUlT_T0_E_clISt17integral_constantIbLb0EES13_IbLb1EEEEDaSZ_S10_EUlSZ_E_NS1_11comp_targetILNS1_3genE10ELNS1_11target_archE1200ELNS1_3gpuE4ELNS1_3repE0EEENS1_30default_config_static_selectorELNS0_4arch9wavefront6targetE1EEEvT1_
		.amdhsa_group_segment_fixed_size 0
		.amdhsa_private_segment_fixed_size 0
		.amdhsa_kernarg_size 144
		.amdhsa_user_sgpr_count 6
		.amdhsa_user_sgpr_private_segment_buffer 1
		.amdhsa_user_sgpr_dispatch_ptr 0
		.amdhsa_user_sgpr_queue_ptr 0
		.amdhsa_user_sgpr_kernarg_segment_ptr 1
		.amdhsa_user_sgpr_dispatch_id 0
		.amdhsa_user_sgpr_flat_scratch_init 0
		.amdhsa_user_sgpr_kernarg_preload_length 0
		.amdhsa_user_sgpr_kernarg_preload_offset 0
		.amdhsa_user_sgpr_private_segment_size 0
		.amdhsa_uses_dynamic_stack 0
		.amdhsa_system_sgpr_private_segment_wavefront_offset 0
		.amdhsa_system_sgpr_workgroup_id_x 1
		.amdhsa_system_sgpr_workgroup_id_y 0
		.amdhsa_system_sgpr_workgroup_id_z 0
		.amdhsa_system_sgpr_workgroup_info 0
		.amdhsa_system_vgpr_workitem_id 0
		.amdhsa_next_free_vgpr 1
		.amdhsa_next_free_sgpr 0
		.amdhsa_accum_offset 4
		.amdhsa_reserve_vcc 0
		.amdhsa_reserve_flat_scratch 0
		.amdhsa_float_round_mode_32 0
		.amdhsa_float_round_mode_16_64 0
		.amdhsa_float_denorm_mode_32 3
		.amdhsa_float_denorm_mode_16_64 3
		.amdhsa_dx10_clamp 1
		.amdhsa_ieee_mode 1
		.amdhsa_fp16_overflow 0
		.amdhsa_tg_split 0
		.amdhsa_exception_fp_ieee_invalid_op 0
		.amdhsa_exception_fp_denorm_src 0
		.amdhsa_exception_fp_ieee_div_zero 0
		.amdhsa_exception_fp_ieee_overflow 0
		.amdhsa_exception_fp_ieee_underflow 0
		.amdhsa_exception_fp_ieee_inexact 0
		.amdhsa_exception_int_div_zero 0
	.end_amdhsa_kernel
	.section	.text._ZN7rocprim17ROCPRIM_400000_NS6detail17trampoline_kernelINS0_14default_configENS1_27scan_by_key_config_selectorIxxEEZZNS1_16scan_by_key_implILNS1_25lookback_scan_determinismE0ELb0ES3_N6thrust23THRUST_200600_302600_NS6detail15normal_iteratorINS9_10device_ptrIxEEEENS9_18transform_iteratorINS9_6negateIxEESE_NS9_11use_defaultESI_EESE_xNS9_4plusIvEENS9_8equal_toIvEExEE10hipError_tPvRmT2_T3_T4_T5_mT6_T7_P12ihipStream_tbENKUlT_T0_E_clISt17integral_constantIbLb0EES13_IbLb1EEEEDaSZ_S10_EUlSZ_E_NS1_11comp_targetILNS1_3genE10ELNS1_11target_archE1200ELNS1_3gpuE4ELNS1_3repE0EEENS1_30default_config_static_selectorELNS0_4arch9wavefront6targetE1EEEvT1_,"axG",@progbits,_ZN7rocprim17ROCPRIM_400000_NS6detail17trampoline_kernelINS0_14default_configENS1_27scan_by_key_config_selectorIxxEEZZNS1_16scan_by_key_implILNS1_25lookback_scan_determinismE0ELb0ES3_N6thrust23THRUST_200600_302600_NS6detail15normal_iteratorINS9_10device_ptrIxEEEENS9_18transform_iteratorINS9_6negateIxEESE_NS9_11use_defaultESI_EESE_xNS9_4plusIvEENS9_8equal_toIvEExEE10hipError_tPvRmT2_T3_T4_T5_mT6_T7_P12ihipStream_tbENKUlT_T0_E_clISt17integral_constantIbLb0EES13_IbLb1EEEEDaSZ_S10_EUlSZ_E_NS1_11comp_targetILNS1_3genE10ELNS1_11target_archE1200ELNS1_3gpuE4ELNS1_3repE0EEENS1_30default_config_static_selectorELNS0_4arch9wavefront6targetE1EEEvT1_,comdat
.Lfunc_end926:
	.size	_ZN7rocprim17ROCPRIM_400000_NS6detail17trampoline_kernelINS0_14default_configENS1_27scan_by_key_config_selectorIxxEEZZNS1_16scan_by_key_implILNS1_25lookback_scan_determinismE0ELb0ES3_N6thrust23THRUST_200600_302600_NS6detail15normal_iteratorINS9_10device_ptrIxEEEENS9_18transform_iteratorINS9_6negateIxEESE_NS9_11use_defaultESI_EESE_xNS9_4plusIvEENS9_8equal_toIvEExEE10hipError_tPvRmT2_T3_T4_T5_mT6_T7_P12ihipStream_tbENKUlT_T0_E_clISt17integral_constantIbLb0EES13_IbLb1EEEEDaSZ_S10_EUlSZ_E_NS1_11comp_targetILNS1_3genE10ELNS1_11target_archE1200ELNS1_3gpuE4ELNS1_3repE0EEENS1_30default_config_static_selectorELNS0_4arch9wavefront6targetE1EEEvT1_, .Lfunc_end926-_ZN7rocprim17ROCPRIM_400000_NS6detail17trampoline_kernelINS0_14default_configENS1_27scan_by_key_config_selectorIxxEEZZNS1_16scan_by_key_implILNS1_25lookback_scan_determinismE0ELb0ES3_N6thrust23THRUST_200600_302600_NS6detail15normal_iteratorINS9_10device_ptrIxEEEENS9_18transform_iteratorINS9_6negateIxEESE_NS9_11use_defaultESI_EESE_xNS9_4plusIvEENS9_8equal_toIvEExEE10hipError_tPvRmT2_T3_T4_T5_mT6_T7_P12ihipStream_tbENKUlT_T0_E_clISt17integral_constantIbLb0EES13_IbLb1EEEEDaSZ_S10_EUlSZ_E_NS1_11comp_targetILNS1_3genE10ELNS1_11target_archE1200ELNS1_3gpuE4ELNS1_3repE0EEENS1_30default_config_static_selectorELNS0_4arch9wavefront6targetE1EEEvT1_
                                        ; -- End function
	.section	.AMDGPU.csdata,"",@progbits
; Kernel info:
; codeLenInByte = 0
; NumSgprs: 4
; NumVgprs: 0
; NumAgprs: 0
; TotalNumVgprs: 0
; ScratchSize: 0
; MemoryBound: 0
; FloatMode: 240
; IeeeMode: 1
; LDSByteSize: 0 bytes/workgroup (compile time only)
; SGPRBlocks: 0
; VGPRBlocks: 0
; NumSGPRsForWavesPerEU: 4
; NumVGPRsForWavesPerEU: 1
; AccumOffset: 4
; Occupancy: 8
; WaveLimiterHint : 0
; COMPUTE_PGM_RSRC2:SCRATCH_EN: 0
; COMPUTE_PGM_RSRC2:USER_SGPR: 6
; COMPUTE_PGM_RSRC2:TRAP_HANDLER: 0
; COMPUTE_PGM_RSRC2:TGID_X_EN: 1
; COMPUTE_PGM_RSRC2:TGID_Y_EN: 0
; COMPUTE_PGM_RSRC2:TGID_Z_EN: 0
; COMPUTE_PGM_RSRC2:TIDIG_COMP_CNT: 0
; COMPUTE_PGM_RSRC3_GFX90A:ACCUM_OFFSET: 0
; COMPUTE_PGM_RSRC3_GFX90A:TG_SPLIT: 0
	.section	.text._ZN7rocprim17ROCPRIM_400000_NS6detail17trampoline_kernelINS0_14default_configENS1_27scan_by_key_config_selectorIxxEEZZNS1_16scan_by_key_implILNS1_25lookback_scan_determinismE0ELb0ES3_N6thrust23THRUST_200600_302600_NS6detail15normal_iteratorINS9_10device_ptrIxEEEENS9_18transform_iteratorINS9_6negateIxEESE_NS9_11use_defaultESI_EESE_xNS9_4plusIvEENS9_8equal_toIvEExEE10hipError_tPvRmT2_T3_T4_T5_mT6_T7_P12ihipStream_tbENKUlT_T0_E_clISt17integral_constantIbLb0EES13_IbLb1EEEEDaSZ_S10_EUlSZ_E_NS1_11comp_targetILNS1_3genE9ELNS1_11target_archE1100ELNS1_3gpuE3ELNS1_3repE0EEENS1_30default_config_static_selectorELNS0_4arch9wavefront6targetE1EEEvT1_,"axG",@progbits,_ZN7rocprim17ROCPRIM_400000_NS6detail17trampoline_kernelINS0_14default_configENS1_27scan_by_key_config_selectorIxxEEZZNS1_16scan_by_key_implILNS1_25lookback_scan_determinismE0ELb0ES3_N6thrust23THRUST_200600_302600_NS6detail15normal_iteratorINS9_10device_ptrIxEEEENS9_18transform_iteratorINS9_6negateIxEESE_NS9_11use_defaultESI_EESE_xNS9_4plusIvEENS9_8equal_toIvEExEE10hipError_tPvRmT2_T3_T4_T5_mT6_T7_P12ihipStream_tbENKUlT_T0_E_clISt17integral_constantIbLb0EES13_IbLb1EEEEDaSZ_S10_EUlSZ_E_NS1_11comp_targetILNS1_3genE9ELNS1_11target_archE1100ELNS1_3gpuE3ELNS1_3repE0EEENS1_30default_config_static_selectorELNS0_4arch9wavefront6targetE1EEEvT1_,comdat
	.protected	_ZN7rocprim17ROCPRIM_400000_NS6detail17trampoline_kernelINS0_14default_configENS1_27scan_by_key_config_selectorIxxEEZZNS1_16scan_by_key_implILNS1_25lookback_scan_determinismE0ELb0ES3_N6thrust23THRUST_200600_302600_NS6detail15normal_iteratorINS9_10device_ptrIxEEEENS9_18transform_iteratorINS9_6negateIxEESE_NS9_11use_defaultESI_EESE_xNS9_4plusIvEENS9_8equal_toIvEExEE10hipError_tPvRmT2_T3_T4_T5_mT6_T7_P12ihipStream_tbENKUlT_T0_E_clISt17integral_constantIbLb0EES13_IbLb1EEEEDaSZ_S10_EUlSZ_E_NS1_11comp_targetILNS1_3genE9ELNS1_11target_archE1100ELNS1_3gpuE3ELNS1_3repE0EEENS1_30default_config_static_selectorELNS0_4arch9wavefront6targetE1EEEvT1_ ; -- Begin function _ZN7rocprim17ROCPRIM_400000_NS6detail17trampoline_kernelINS0_14default_configENS1_27scan_by_key_config_selectorIxxEEZZNS1_16scan_by_key_implILNS1_25lookback_scan_determinismE0ELb0ES3_N6thrust23THRUST_200600_302600_NS6detail15normal_iteratorINS9_10device_ptrIxEEEENS9_18transform_iteratorINS9_6negateIxEESE_NS9_11use_defaultESI_EESE_xNS9_4plusIvEENS9_8equal_toIvEExEE10hipError_tPvRmT2_T3_T4_T5_mT6_T7_P12ihipStream_tbENKUlT_T0_E_clISt17integral_constantIbLb0EES13_IbLb1EEEEDaSZ_S10_EUlSZ_E_NS1_11comp_targetILNS1_3genE9ELNS1_11target_archE1100ELNS1_3gpuE3ELNS1_3repE0EEENS1_30default_config_static_selectorELNS0_4arch9wavefront6targetE1EEEvT1_
	.globl	_ZN7rocprim17ROCPRIM_400000_NS6detail17trampoline_kernelINS0_14default_configENS1_27scan_by_key_config_selectorIxxEEZZNS1_16scan_by_key_implILNS1_25lookback_scan_determinismE0ELb0ES3_N6thrust23THRUST_200600_302600_NS6detail15normal_iteratorINS9_10device_ptrIxEEEENS9_18transform_iteratorINS9_6negateIxEESE_NS9_11use_defaultESI_EESE_xNS9_4plusIvEENS9_8equal_toIvEExEE10hipError_tPvRmT2_T3_T4_T5_mT6_T7_P12ihipStream_tbENKUlT_T0_E_clISt17integral_constantIbLb0EES13_IbLb1EEEEDaSZ_S10_EUlSZ_E_NS1_11comp_targetILNS1_3genE9ELNS1_11target_archE1100ELNS1_3gpuE3ELNS1_3repE0EEENS1_30default_config_static_selectorELNS0_4arch9wavefront6targetE1EEEvT1_
	.p2align	8
	.type	_ZN7rocprim17ROCPRIM_400000_NS6detail17trampoline_kernelINS0_14default_configENS1_27scan_by_key_config_selectorIxxEEZZNS1_16scan_by_key_implILNS1_25lookback_scan_determinismE0ELb0ES3_N6thrust23THRUST_200600_302600_NS6detail15normal_iteratorINS9_10device_ptrIxEEEENS9_18transform_iteratorINS9_6negateIxEESE_NS9_11use_defaultESI_EESE_xNS9_4plusIvEENS9_8equal_toIvEExEE10hipError_tPvRmT2_T3_T4_T5_mT6_T7_P12ihipStream_tbENKUlT_T0_E_clISt17integral_constantIbLb0EES13_IbLb1EEEEDaSZ_S10_EUlSZ_E_NS1_11comp_targetILNS1_3genE9ELNS1_11target_archE1100ELNS1_3gpuE3ELNS1_3repE0EEENS1_30default_config_static_selectorELNS0_4arch9wavefront6targetE1EEEvT1_,@function
_ZN7rocprim17ROCPRIM_400000_NS6detail17trampoline_kernelINS0_14default_configENS1_27scan_by_key_config_selectorIxxEEZZNS1_16scan_by_key_implILNS1_25lookback_scan_determinismE0ELb0ES3_N6thrust23THRUST_200600_302600_NS6detail15normal_iteratorINS9_10device_ptrIxEEEENS9_18transform_iteratorINS9_6negateIxEESE_NS9_11use_defaultESI_EESE_xNS9_4plusIvEENS9_8equal_toIvEExEE10hipError_tPvRmT2_T3_T4_T5_mT6_T7_P12ihipStream_tbENKUlT_T0_E_clISt17integral_constantIbLb0EES13_IbLb1EEEEDaSZ_S10_EUlSZ_E_NS1_11comp_targetILNS1_3genE9ELNS1_11target_archE1100ELNS1_3gpuE3ELNS1_3repE0EEENS1_30default_config_static_selectorELNS0_4arch9wavefront6targetE1EEEvT1_: ; @_ZN7rocprim17ROCPRIM_400000_NS6detail17trampoline_kernelINS0_14default_configENS1_27scan_by_key_config_selectorIxxEEZZNS1_16scan_by_key_implILNS1_25lookback_scan_determinismE0ELb0ES3_N6thrust23THRUST_200600_302600_NS6detail15normal_iteratorINS9_10device_ptrIxEEEENS9_18transform_iteratorINS9_6negateIxEESE_NS9_11use_defaultESI_EESE_xNS9_4plusIvEENS9_8equal_toIvEExEE10hipError_tPvRmT2_T3_T4_T5_mT6_T7_P12ihipStream_tbENKUlT_T0_E_clISt17integral_constantIbLb0EES13_IbLb1EEEEDaSZ_S10_EUlSZ_E_NS1_11comp_targetILNS1_3genE9ELNS1_11target_archE1100ELNS1_3gpuE3ELNS1_3repE0EEENS1_30default_config_static_selectorELNS0_4arch9wavefront6targetE1EEEvT1_
; %bb.0:
	.section	.rodata,"a",@progbits
	.p2align	6, 0x0
	.amdhsa_kernel _ZN7rocprim17ROCPRIM_400000_NS6detail17trampoline_kernelINS0_14default_configENS1_27scan_by_key_config_selectorIxxEEZZNS1_16scan_by_key_implILNS1_25lookback_scan_determinismE0ELb0ES3_N6thrust23THRUST_200600_302600_NS6detail15normal_iteratorINS9_10device_ptrIxEEEENS9_18transform_iteratorINS9_6negateIxEESE_NS9_11use_defaultESI_EESE_xNS9_4plusIvEENS9_8equal_toIvEExEE10hipError_tPvRmT2_T3_T4_T5_mT6_T7_P12ihipStream_tbENKUlT_T0_E_clISt17integral_constantIbLb0EES13_IbLb1EEEEDaSZ_S10_EUlSZ_E_NS1_11comp_targetILNS1_3genE9ELNS1_11target_archE1100ELNS1_3gpuE3ELNS1_3repE0EEENS1_30default_config_static_selectorELNS0_4arch9wavefront6targetE1EEEvT1_
		.amdhsa_group_segment_fixed_size 0
		.amdhsa_private_segment_fixed_size 0
		.amdhsa_kernarg_size 144
		.amdhsa_user_sgpr_count 6
		.amdhsa_user_sgpr_private_segment_buffer 1
		.amdhsa_user_sgpr_dispatch_ptr 0
		.amdhsa_user_sgpr_queue_ptr 0
		.amdhsa_user_sgpr_kernarg_segment_ptr 1
		.amdhsa_user_sgpr_dispatch_id 0
		.amdhsa_user_sgpr_flat_scratch_init 0
		.amdhsa_user_sgpr_kernarg_preload_length 0
		.amdhsa_user_sgpr_kernarg_preload_offset 0
		.amdhsa_user_sgpr_private_segment_size 0
		.amdhsa_uses_dynamic_stack 0
		.amdhsa_system_sgpr_private_segment_wavefront_offset 0
		.amdhsa_system_sgpr_workgroup_id_x 1
		.amdhsa_system_sgpr_workgroup_id_y 0
		.amdhsa_system_sgpr_workgroup_id_z 0
		.amdhsa_system_sgpr_workgroup_info 0
		.amdhsa_system_vgpr_workitem_id 0
		.amdhsa_next_free_vgpr 1
		.amdhsa_next_free_sgpr 0
		.amdhsa_accum_offset 4
		.amdhsa_reserve_vcc 0
		.amdhsa_reserve_flat_scratch 0
		.amdhsa_float_round_mode_32 0
		.amdhsa_float_round_mode_16_64 0
		.amdhsa_float_denorm_mode_32 3
		.amdhsa_float_denorm_mode_16_64 3
		.amdhsa_dx10_clamp 1
		.amdhsa_ieee_mode 1
		.amdhsa_fp16_overflow 0
		.amdhsa_tg_split 0
		.amdhsa_exception_fp_ieee_invalid_op 0
		.amdhsa_exception_fp_denorm_src 0
		.amdhsa_exception_fp_ieee_div_zero 0
		.amdhsa_exception_fp_ieee_overflow 0
		.amdhsa_exception_fp_ieee_underflow 0
		.amdhsa_exception_fp_ieee_inexact 0
		.amdhsa_exception_int_div_zero 0
	.end_amdhsa_kernel
	.section	.text._ZN7rocprim17ROCPRIM_400000_NS6detail17trampoline_kernelINS0_14default_configENS1_27scan_by_key_config_selectorIxxEEZZNS1_16scan_by_key_implILNS1_25lookback_scan_determinismE0ELb0ES3_N6thrust23THRUST_200600_302600_NS6detail15normal_iteratorINS9_10device_ptrIxEEEENS9_18transform_iteratorINS9_6negateIxEESE_NS9_11use_defaultESI_EESE_xNS9_4plusIvEENS9_8equal_toIvEExEE10hipError_tPvRmT2_T3_T4_T5_mT6_T7_P12ihipStream_tbENKUlT_T0_E_clISt17integral_constantIbLb0EES13_IbLb1EEEEDaSZ_S10_EUlSZ_E_NS1_11comp_targetILNS1_3genE9ELNS1_11target_archE1100ELNS1_3gpuE3ELNS1_3repE0EEENS1_30default_config_static_selectorELNS0_4arch9wavefront6targetE1EEEvT1_,"axG",@progbits,_ZN7rocprim17ROCPRIM_400000_NS6detail17trampoline_kernelINS0_14default_configENS1_27scan_by_key_config_selectorIxxEEZZNS1_16scan_by_key_implILNS1_25lookback_scan_determinismE0ELb0ES3_N6thrust23THRUST_200600_302600_NS6detail15normal_iteratorINS9_10device_ptrIxEEEENS9_18transform_iteratorINS9_6negateIxEESE_NS9_11use_defaultESI_EESE_xNS9_4plusIvEENS9_8equal_toIvEExEE10hipError_tPvRmT2_T3_T4_T5_mT6_T7_P12ihipStream_tbENKUlT_T0_E_clISt17integral_constantIbLb0EES13_IbLb1EEEEDaSZ_S10_EUlSZ_E_NS1_11comp_targetILNS1_3genE9ELNS1_11target_archE1100ELNS1_3gpuE3ELNS1_3repE0EEENS1_30default_config_static_selectorELNS0_4arch9wavefront6targetE1EEEvT1_,comdat
.Lfunc_end927:
	.size	_ZN7rocprim17ROCPRIM_400000_NS6detail17trampoline_kernelINS0_14default_configENS1_27scan_by_key_config_selectorIxxEEZZNS1_16scan_by_key_implILNS1_25lookback_scan_determinismE0ELb0ES3_N6thrust23THRUST_200600_302600_NS6detail15normal_iteratorINS9_10device_ptrIxEEEENS9_18transform_iteratorINS9_6negateIxEESE_NS9_11use_defaultESI_EESE_xNS9_4plusIvEENS9_8equal_toIvEExEE10hipError_tPvRmT2_T3_T4_T5_mT6_T7_P12ihipStream_tbENKUlT_T0_E_clISt17integral_constantIbLb0EES13_IbLb1EEEEDaSZ_S10_EUlSZ_E_NS1_11comp_targetILNS1_3genE9ELNS1_11target_archE1100ELNS1_3gpuE3ELNS1_3repE0EEENS1_30default_config_static_selectorELNS0_4arch9wavefront6targetE1EEEvT1_, .Lfunc_end927-_ZN7rocprim17ROCPRIM_400000_NS6detail17trampoline_kernelINS0_14default_configENS1_27scan_by_key_config_selectorIxxEEZZNS1_16scan_by_key_implILNS1_25lookback_scan_determinismE0ELb0ES3_N6thrust23THRUST_200600_302600_NS6detail15normal_iteratorINS9_10device_ptrIxEEEENS9_18transform_iteratorINS9_6negateIxEESE_NS9_11use_defaultESI_EESE_xNS9_4plusIvEENS9_8equal_toIvEExEE10hipError_tPvRmT2_T3_T4_T5_mT6_T7_P12ihipStream_tbENKUlT_T0_E_clISt17integral_constantIbLb0EES13_IbLb1EEEEDaSZ_S10_EUlSZ_E_NS1_11comp_targetILNS1_3genE9ELNS1_11target_archE1100ELNS1_3gpuE3ELNS1_3repE0EEENS1_30default_config_static_selectorELNS0_4arch9wavefront6targetE1EEEvT1_
                                        ; -- End function
	.section	.AMDGPU.csdata,"",@progbits
; Kernel info:
; codeLenInByte = 0
; NumSgprs: 4
; NumVgprs: 0
; NumAgprs: 0
; TotalNumVgprs: 0
; ScratchSize: 0
; MemoryBound: 0
; FloatMode: 240
; IeeeMode: 1
; LDSByteSize: 0 bytes/workgroup (compile time only)
; SGPRBlocks: 0
; VGPRBlocks: 0
; NumSGPRsForWavesPerEU: 4
; NumVGPRsForWavesPerEU: 1
; AccumOffset: 4
; Occupancy: 8
; WaveLimiterHint : 0
; COMPUTE_PGM_RSRC2:SCRATCH_EN: 0
; COMPUTE_PGM_RSRC2:USER_SGPR: 6
; COMPUTE_PGM_RSRC2:TRAP_HANDLER: 0
; COMPUTE_PGM_RSRC2:TGID_X_EN: 1
; COMPUTE_PGM_RSRC2:TGID_Y_EN: 0
; COMPUTE_PGM_RSRC2:TGID_Z_EN: 0
; COMPUTE_PGM_RSRC2:TIDIG_COMP_CNT: 0
; COMPUTE_PGM_RSRC3_GFX90A:ACCUM_OFFSET: 0
; COMPUTE_PGM_RSRC3_GFX90A:TG_SPLIT: 0
	.section	.text._ZN7rocprim17ROCPRIM_400000_NS6detail17trampoline_kernelINS0_14default_configENS1_27scan_by_key_config_selectorIxxEEZZNS1_16scan_by_key_implILNS1_25lookback_scan_determinismE0ELb0ES3_N6thrust23THRUST_200600_302600_NS6detail15normal_iteratorINS9_10device_ptrIxEEEENS9_18transform_iteratorINS9_6negateIxEESE_NS9_11use_defaultESI_EESE_xNS9_4plusIvEENS9_8equal_toIvEExEE10hipError_tPvRmT2_T3_T4_T5_mT6_T7_P12ihipStream_tbENKUlT_T0_E_clISt17integral_constantIbLb0EES13_IbLb1EEEEDaSZ_S10_EUlSZ_E_NS1_11comp_targetILNS1_3genE8ELNS1_11target_archE1030ELNS1_3gpuE2ELNS1_3repE0EEENS1_30default_config_static_selectorELNS0_4arch9wavefront6targetE1EEEvT1_,"axG",@progbits,_ZN7rocprim17ROCPRIM_400000_NS6detail17trampoline_kernelINS0_14default_configENS1_27scan_by_key_config_selectorIxxEEZZNS1_16scan_by_key_implILNS1_25lookback_scan_determinismE0ELb0ES3_N6thrust23THRUST_200600_302600_NS6detail15normal_iteratorINS9_10device_ptrIxEEEENS9_18transform_iteratorINS9_6negateIxEESE_NS9_11use_defaultESI_EESE_xNS9_4plusIvEENS9_8equal_toIvEExEE10hipError_tPvRmT2_T3_T4_T5_mT6_T7_P12ihipStream_tbENKUlT_T0_E_clISt17integral_constantIbLb0EES13_IbLb1EEEEDaSZ_S10_EUlSZ_E_NS1_11comp_targetILNS1_3genE8ELNS1_11target_archE1030ELNS1_3gpuE2ELNS1_3repE0EEENS1_30default_config_static_selectorELNS0_4arch9wavefront6targetE1EEEvT1_,comdat
	.protected	_ZN7rocprim17ROCPRIM_400000_NS6detail17trampoline_kernelINS0_14default_configENS1_27scan_by_key_config_selectorIxxEEZZNS1_16scan_by_key_implILNS1_25lookback_scan_determinismE0ELb0ES3_N6thrust23THRUST_200600_302600_NS6detail15normal_iteratorINS9_10device_ptrIxEEEENS9_18transform_iteratorINS9_6negateIxEESE_NS9_11use_defaultESI_EESE_xNS9_4plusIvEENS9_8equal_toIvEExEE10hipError_tPvRmT2_T3_T4_T5_mT6_T7_P12ihipStream_tbENKUlT_T0_E_clISt17integral_constantIbLb0EES13_IbLb1EEEEDaSZ_S10_EUlSZ_E_NS1_11comp_targetILNS1_3genE8ELNS1_11target_archE1030ELNS1_3gpuE2ELNS1_3repE0EEENS1_30default_config_static_selectorELNS0_4arch9wavefront6targetE1EEEvT1_ ; -- Begin function _ZN7rocprim17ROCPRIM_400000_NS6detail17trampoline_kernelINS0_14default_configENS1_27scan_by_key_config_selectorIxxEEZZNS1_16scan_by_key_implILNS1_25lookback_scan_determinismE0ELb0ES3_N6thrust23THRUST_200600_302600_NS6detail15normal_iteratorINS9_10device_ptrIxEEEENS9_18transform_iteratorINS9_6negateIxEESE_NS9_11use_defaultESI_EESE_xNS9_4plusIvEENS9_8equal_toIvEExEE10hipError_tPvRmT2_T3_T4_T5_mT6_T7_P12ihipStream_tbENKUlT_T0_E_clISt17integral_constantIbLb0EES13_IbLb1EEEEDaSZ_S10_EUlSZ_E_NS1_11comp_targetILNS1_3genE8ELNS1_11target_archE1030ELNS1_3gpuE2ELNS1_3repE0EEENS1_30default_config_static_selectorELNS0_4arch9wavefront6targetE1EEEvT1_
	.globl	_ZN7rocprim17ROCPRIM_400000_NS6detail17trampoline_kernelINS0_14default_configENS1_27scan_by_key_config_selectorIxxEEZZNS1_16scan_by_key_implILNS1_25lookback_scan_determinismE0ELb0ES3_N6thrust23THRUST_200600_302600_NS6detail15normal_iteratorINS9_10device_ptrIxEEEENS9_18transform_iteratorINS9_6negateIxEESE_NS9_11use_defaultESI_EESE_xNS9_4plusIvEENS9_8equal_toIvEExEE10hipError_tPvRmT2_T3_T4_T5_mT6_T7_P12ihipStream_tbENKUlT_T0_E_clISt17integral_constantIbLb0EES13_IbLb1EEEEDaSZ_S10_EUlSZ_E_NS1_11comp_targetILNS1_3genE8ELNS1_11target_archE1030ELNS1_3gpuE2ELNS1_3repE0EEENS1_30default_config_static_selectorELNS0_4arch9wavefront6targetE1EEEvT1_
	.p2align	8
	.type	_ZN7rocprim17ROCPRIM_400000_NS6detail17trampoline_kernelINS0_14default_configENS1_27scan_by_key_config_selectorIxxEEZZNS1_16scan_by_key_implILNS1_25lookback_scan_determinismE0ELb0ES3_N6thrust23THRUST_200600_302600_NS6detail15normal_iteratorINS9_10device_ptrIxEEEENS9_18transform_iteratorINS9_6negateIxEESE_NS9_11use_defaultESI_EESE_xNS9_4plusIvEENS9_8equal_toIvEExEE10hipError_tPvRmT2_T3_T4_T5_mT6_T7_P12ihipStream_tbENKUlT_T0_E_clISt17integral_constantIbLb0EES13_IbLb1EEEEDaSZ_S10_EUlSZ_E_NS1_11comp_targetILNS1_3genE8ELNS1_11target_archE1030ELNS1_3gpuE2ELNS1_3repE0EEENS1_30default_config_static_selectorELNS0_4arch9wavefront6targetE1EEEvT1_,@function
_ZN7rocprim17ROCPRIM_400000_NS6detail17trampoline_kernelINS0_14default_configENS1_27scan_by_key_config_selectorIxxEEZZNS1_16scan_by_key_implILNS1_25lookback_scan_determinismE0ELb0ES3_N6thrust23THRUST_200600_302600_NS6detail15normal_iteratorINS9_10device_ptrIxEEEENS9_18transform_iteratorINS9_6negateIxEESE_NS9_11use_defaultESI_EESE_xNS9_4plusIvEENS9_8equal_toIvEExEE10hipError_tPvRmT2_T3_T4_T5_mT6_T7_P12ihipStream_tbENKUlT_T0_E_clISt17integral_constantIbLb0EES13_IbLb1EEEEDaSZ_S10_EUlSZ_E_NS1_11comp_targetILNS1_3genE8ELNS1_11target_archE1030ELNS1_3gpuE2ELNS1_3repE0EEENS1_30default_config_static_selectorELNS0_4arch9wavefront6targetE1EEEvT1_: ; @_ZN7rocprim17ROCPRIM_400000_NS6detail17trampoline_kernelINS0_14default_configENS1_27scan_by_key_config_selectorIxxEEZZNS1_16scan_by_key_implILNS1_25lookback_scan_determinismE0ELb0ES3_N6thrust23THRUST_200600_302600_NS6detail15normal_iteratorINS9_10device_ptrIxEEEENS9_18transform_iteratorINS9_6negateIxEESE_NS9_11use_defaultESI_EESE_xNS9_4plusIvEENS9_8equal_toIvEExEE10hipError_tPvRmT2_T3_T4_T5_mT6_T7_P12ihipStream_tbENKUlT_T0_E_clISt17integral_constantIbLb0EES13_IbLb1EEEEDaSZ_S10_EUlSZ_E_NS1_11comp_targetILNS1_3genE8ELNS1_11target_archE1030ELNS1_3gpuE2ELNS1_3repE0EEENS1_30default_config_static_selectorELNS0_4arch9wavefront6targetE1EEEvT1_
; %bb.0:
	.section	.rodata,"a",@progbits
	.p2align	6, 0x0
	.amdhsa_kernel _ZN7rocprim17ROCPRIM_400000_NS6detail17trampoline_kernelINS0_14default_configENS1_27scan_by_key_config_selectorIxxEEZZNS1_16scan_by_key_implILNS1_25lookback_scan_determinismE0ELb0ES3_N6thrust23THRUST_200600_302600_NS6detail15normal_iteratorINS9_10device_ptrIxEEEENS9_18transform_iteratorINS9_6negateIxEESE_NS9_11use_defaultESI_EESE_xNS9_4plusIvEENS9_8equal_toIvEExEE10hipError_tPvRmT2_T3_T4_T5_mT6_T7_P12ihipStream_tbENKUlT_T0_E_clISt17integral_constantIbLb0EES13_IbLb1EEEEDaSZ_S10_EUlSZ_E_NS1_11comp_targetILNS1_3genE8ELNS1_11target_archE1030ELNS1_3gpuE2ELNS1_3repE0EEENS1_30default_config_static_selectorELNS0_4arch9wavefront6targetE1EEEvT1_
		.amdhsa_group_segment_fixed_size 0
		.amdhsa_private_segment_fixed_size 0
		.amdhsa_kernarg_size 144
		.amdhsa_user_sgpr_count 6
		.amdhsa_user_sgpr_private_segment_buffer 1
		.amdhsa_user_sgpr_dispatch_ptr 0
		.amdhsa_user_sgpr_queue_ptr 0
		.amdhsa_user_sgpr_kernarg_segment_ptr 1
		.amdhsa_user_sgpr_dispatch_id 0
		.amdhsa_user_sgpr_flat_scratch_init 0
		.amdhsa_user_sgpr_kernarg_preload_length 0
		.amdhsa_user_sgpr_kernarg_preload_offset 0
		.amdhsa_user_sgpr_private_segment_size 0
		.amdhsa_uses_dynamic_stack 0
		.amdhsa_system_sgpr_private_segment_wavefront_offset 0
		.amdhsa_system_sgpr_workgroup_id_x 1
		.amdhsa_system_sgpr_workgroup_id_y 0
		.amdhsa_system_sgpr_workgroup_id_z 0
		.amdhsa_system_sgpr_workgroup_info 0
		.amdhsa_system_vgpr_workitem_id 0
		.amdhsa_next_free_vgpr 1
		.amdhsa_next_free_sgpr 0
		.amdhsa_accum_offset 4
		.amdhsa_reserve_vcc 0
		.amdhsa_reserve_flat_scratch 0
		.amdhsa_float_round_mode_32 0
		.amdhsa_float_round_mode_16_64 0
		.amdhsa_float_denorm_mode_32 3
		.amdhsa_float_denorm_mode_16_64 3
		.amdhsa_dx10_clamp 1
		.amdhsa_ieee_mode 1
		.amdhsa_fp16_overflow 0
		.amdhsa_tg_split 0
		.amdhsa_exception_fp_ieee_invalid_op 0
		.amdhsa_exception_fp_denorm_src 0
		.amdhsa_exception_fp_ieee_div_zero 0
		.amdhsa_exception_fp_ieee_overflow 0
		.amdhsa_exception_fp_ieee_underflow 0
		.amdhsa_exception_fp_ieee_inexact 0
		.amdhsa_exception_int_div_zero 0
	.end_amdhsa_kernel
	.section	.text._ZN7rocprim17ROCPRIM_400000_NS6detail17trampoline_kernelINS0_14default_configENS1_27scan_by_key_config_selectorIxxEEZZNS1_16scan_by_key_implILNS1_25lookback_scan_determinismE0ELb0ES3_N6thrust23THRUST_200600_302600_NS6detail15normal_iteratorINS9_10device_ptrIxEEEENS9_18transform_iteratorINS9_6negateIxEESE_NS9_11use_defaultESI_EESE_xNS9_4plusIvEENS9_8equal_toIvEExEE10hipError_tPvRmT2_T3_T4_T5_mT6_T7_P12ihipStream_tbENKUlT_T0_E_clISt17integral_constantIbLb0EES13_IbLb1EEEEDaSZ_S10_EUlSZ_E_NS1_11comp_targetILNS1_3genE8ELNS1_11target_archE1030ELNS1_3gpuE2ELNS1_3repE0EEENS1_30default_config_static_selectorELNS0_4arch9wavefront6targetE1EEEvT1_,"axG",@progbits,_ZN7rocprim17ROCPRIM_400000_NS6detail17trampoline_kernelINS0_14default_configENS1_27scan_by_key_config_selectorIxxEEZZNS1_16scan_by_key_implILNS1_25lookback_scan_determinismE0ELb0ES3_N6thrust23THRUST_200600_302600_NS6detail15normal_iteratorINS9_10device_ptrIxEEEENS9_18transform_iteratorINS9_6negateIxEESE_NS9_11use_defaultESI_EESE_xNS9_4plusIvEENS9_8equal_toIvEExEE10hipError_tPvRmT2_T3_T4_T5_mT6_T7_P12ihipStream_tbENKUlT_T0_E_clISt17integral_constantIbLb0EES13_IbLb1EEEEDaSZ_S10_EUlSZ_E_NS1_11comp_targetILNS1_3genE8ELNS1_11target_archE1030ELNS1_3gpuE2ELNS1_3repE0EEENS1_30default_config_static_selectorELNS0_4arch9wavefront6targetE1EEEvT1_,comdat
.Lfunc_end928:
	.size	_ZN7rocprim17ROCPRIM_400000_NS6detail17trampoline_kernelINS0_14default_configENS1_27scan_by_key_config_selectorIxxEEZZNS1_16scan_by_key_implILNS1_25lookback_scan_determinismE0ELb0ES3_N6thrust23THRUST_200600_302600_NS6detail15normal_iteratorINS9_10device_ptrIxEEEENS9_18transform_iteratorINS9_6negateIxEESE_NS9_11use_defaultESI_EESE_xNS9_4plusIvEENS9_8equal_toIvEExEE10hipError_tPvRmT2_T3_T4_T5_mT6_T7_P12ihipStream_tbENKUlT_T0_E_clISt17integral_constantIbLb0EES13_IbLb1EEEEDaSZ_S10_EUlSZ_E_NS1_11comp_targetILNS1_3genE8ELNS1_11target_archE1030ELNS1_3gpuE2ELNS1_3repE0EEENS1_30default_config_static_selectorELNS0_4arch9wavefront6targetE1EEEvT1_, .Lfunc_end928-_ZN7rocprim17ROCPRIM_400000_NS6detail17trampoline_kernelINS0_14default_configENS1_27scan_by_key_config_selectorIxxEEZZNS1_16scan_by_key_implILNS1_25lookback_scan_determinismE0ELb0ES3_N6thrust23THRUST_200600_302600_NS6detail15normal_iteratorINS9_10device_ptrIxEEEENS9_18transform_iteratorINS9_6negateIxEESE_NS9_11use_defaultESI_EESE_xNS9_4plusIvEENS9_8equal_toIvEExEE10hipError_tPvRmT2_T3_T4_T5_mT6_T7_P12ihipStream_tbENKUlT_T0_E_clISt17integral_constantIbLb0EES13_IbLb1EEEEDaSZ_S10_EUlSZ_E_NS1_11comp_targetILNS1_3genE8ELNS1_11target_archE1030ELNS1_3gpuE2ELNS1_3repE0EEENS1_30default_config_static_selectorELNS0_4arch9wavefront6targetE1EEEvT1_
                                        ; -- End function
	.section	.AMDGPU.csdata,"",@progbits
; Kernel info:
; codeLenInByte = 0
; NumSgprs: 4
; NumVgprs: 0
; NumAgprs: 0
; TotalNumVgprs: 0
; ScratchSize: 0
; MemoryBound: 0
; FloatMode: 240
; IeeeMode: 1
; LDSByteSize: 0 bytes/workgroup (compile time only)
; SGPRBlocks: 0
; VGPRBlocks: 0
; NumSGPRsForWavesPerEU: 4
; NumVGPRsForWavesPerEU: 1
; AccumOffset: 4
; Occupancy: 8
; WaveLimiterHint : 0
; COMPUTE_PGM_RSRC2:SCRATCH_EN: 0
; COMPUTE_PGM_RSRC2:USER_SGPR: 6
; COMPUTE_PGM_RSRC2:TRAP_HANDLER: 0
; COMPUTE_PGM_RSRC2:TGID_X_EN: 1
; COMPUTE_PGM_RSRC2:TGID_Y_EN: 0
; COMPUTE_PGM_RSRC2:TGID_Z_EN: 0
; COMPUTE_PGM_RSRC2:TIDIG_COMP_CNT: 0
; COMPUTE_PGM_RSRC3_GFX90A:ACCUM_OFFSET: 0
; COMPUTE_PGM_RSRC3_GFX90A:TG_SPLIT: 0
	.section	.text._ZN7rocprim17ROCPRIM_400000_NS6detail17trampoline_kernelINS0_14default_configENS1_27scan_by_key_config_selectorIiiEEZZNS1_16scan_by_key_implILNS1_25lookback_scan_determinismE0ELb0ES3_N6thrust23THRUST_200600_302600_NS6detail15normal_iteratorINS9_10device_ptrIiEEEENS9_18transform_iteratorINS9_6negateIiEESE_NS9_11use_defaultESI_EESE_iNS9_4plusIvEENS9_8equal_toIvEEiEE10hipError_tPvRmT2_T3_T4_T5_mT6_T7_P12ihipStream_tbENKUlT_T0_E_clISt17integral_constantIbLb0EES14_EEDaSZ_S10_EUlSZ_E_NS1_11comp_targetILNS1_3genE0ELNS1_11target_archE4294967295ELNS1_3gpuE0ELNS1_3repE0EEENS1_30default_config_static_selectorELNS0_4arch9wavefront6targetE1EEEvT1_,"axG",@progbits,_ZN7rocprim17ROCPRIM_400000_NS6detail17trampoline_kernelINS0_14default_configENS1_27scan_by_key_config_selectorIiiEEZZNS1_16scan_by_key_implILNS1_25lookback_scan_determinismE0ELb0ES3_N6thrust23THRUST_200600_302600_NS6detail15normal_iteratorINS9_10device_ptrIiEEEENS9_18transform_iteratorINS9_6negateIiEESE_NS9_11use_defaultESI_EESE_iNS9_4plusIvEENS9_8equal_toIvEEiEE10hipError_tPvRmT2_T3_T4_T5_mT6_T7_P12ihipStream_tbENKUlT_T0_E_clISt17integral_constantIbLb0EES14_EEDaSZ_S10_EUlSZ_E_NS1_11comp_targetILNS1_3genE0ELNS1_11target_archE4294967295ELNS1_3gpuE0ELNS1_3repE0EEENS1_30default_config_static_selectorELNS0_4arch9wavefront6targetE1EEEvT1_,comdat
	.protected	_ZN7rocprim17ROCPRIM_400000_NS6detail17trampoline_kernelINS0_14default_configENS1_27scan_by_key_config_selectorIiiEEZZNS1_16scan_by_key_implILNS1_25lookback_scan_determinismE0ELb0ES3_N6thrust23THRUST_200600_302600_NS6detail15normal_iteratorINS9_10device_ptrIiEEEENS9_18transform_iteratorINS9_6negateIiEESE_NS9_11use_defaultESI_EESE_iNS9_4plusIvEENS9_8equal_toIvEEiEE10hipError_tPvRmT2_T3_T4_T5_mT6_T7_P12ihipStream_tbENKUlT_T0_E_clISt17integral_constantIbLb0EES14_EEDaSZ_S10_EUlSZ_E_NS1_11comp_targetILNS1_3genE0ELNS1_11target_archE4294967295ELNS1_3gpuE0ELNS1_3repE0EEENS1_30default_config_static_selectorELNS0_4arch9wavefront6targetE1EEEvT1_ ; -- Begin function _ZN7rocprim17ROCPRIM_400000_NS6detail17trampoline_kernelINS0_14default_configENS1_27scan_by_key_config_selectorIiiEEZZNS1_16scan_by_key_implILNS1_25lookback_scan_determinismE0ELb0ES3_N6thrust23THRUST_200600_302600_NS6detail15normal_iteratorINS9_10device_ptrIiEEEENS9_18transform_iteratorINS9_6negateIiEESE_NS9_11use_defaultESI_EESE_iNS9_4plusIvEENS9_8equal_toIvEEiEE10hipError_tPvRmT2_T3_T4_T5_mT6_T7_P12ihipStream_tbENKUlT_T0_E_clISt17integral_constantIbLb0EES14_EEDaSZ_S10_EUlSZ_E_NS1_11comp_targetILNS1_3genE0ELNS1_11target_archE4294967295ELNS1_3gpuE0ELNS1_3repE0EEENS1_30default_config_static_selectorELNS0_4arch9wavefront6targetE1EEEvT1_
	.globl	_ZN7rocprim17ROCPRIM_400000_NS6detail17trampoline_kernelINS0_14default_configENS1_27scan_by_key_config_selectorIiiEEZZNS1_16scan_by_key_implILNS1_25lookback_scan_determinismE0ELb0ES3_N6thrust23THRUST_200600_302600_NS6detail15normal_iteratorINS9_10device_ptrIiEEEENS9_18transform_iteratorINS9_6negateIiEESE_NS9_11use_defaultESI_EESE_iNS9_4plusIvEENS9_8equal_toIvEEiEE10hipError_tPvRmT2_T3_T4_T5_mT6_T7_P12ihipStream_tbENKUlT_T0_E_clISt17integral_constantIbLb0EES14_EEDaSZ_S10_EUlSZ_E_NS1_11comp_targetILNS1_3genE0ELNS1_11target_archE4294967295ELNS1_3gpuE0ELNS1_3repE0EEENS1_30default_config_static_selectorELNS0_4arch9wavefront6targetE1EEEvT1_
	.p2align	8
	.type	_ZN7rocprim17ROCPRIM_400000_NS6detail17trampoline_kernelINS0_14default_configENS1_27scan_by_key_config_selectorIiiEEZZNS1_16scan_by_key_implILNS1_25lookback_scan_determinismE0ELb0ES3_N6thrust23THRUST_200600_302600_NS6detail15normal_iteratorINS9_10device_ptrIiEEEENS9_18transform_iteratorINS9_6negateIiEESE_NS9_11use_defaultESI_EESE_iNS9_4plusIvEENS9_8equal_toIvEEiEE10hipError_tPvRmT2_T3_T4_T5_mT6_T7_P12ihipStream_tbENKUlT_T0_E_clISt17integral_constantIbLb0EES14_EEDaSZ_S10_EUlSZ_E_NS1_11comp_targetILNS1_3genE0ELNS1_11target_archE4294967295ELNS1_3gpuE0ELNS1_3repE0EEENS1_30default_config_static_selectorELNS0_4arch9wavefront6targetE1EEEvT1_,@function
_ZN7rocprim17ROCPRIM_400000_NS6detail17trampoline_kernelINS0_14default_configENS1_27scan_by_key_config_selectorIiiEEZZNS1_16scan_by_key_implILNS1_25lookback_scan_determinismE0ELb0ES3_N6thrust23THRUST_200600_302600_NS6detail15normal_iteratorINS9_10device_ptrIiEEEENS9_18transform_iteratorINS9_6negateIiEESE_NS9_11use_defaultESI_EESE_iNS9_4plusIvEENS9_8equal_toIvEEiEE10hipError_tPvRmT2_T3_T4_T5_mT6_T7_P12ihipStream_tbENKUlT_T0_E_clISt17integral_constantIbLb0EES14_EEDaSZ_S10_EUlSZ_E_NS1_11comp_targetILNS1_3genE0ELNS1_11target_archE4294967295ELNS1_3gpuE0ELNS1_3repE0EEENS1_30default_config_static_selectorELNS0_4arch9wavefront6targetE1EEEvT1_: ; @_ZN7rocprim17ROCPRIM_400000_NS6detail17trampoline_kernelINS0_14default_configENS1_27scan_by_key_config_selectorIiiEEZZNS1_16scan_by_key_implILNS1_25lookback_scan_determinismE0ELb0ES3_N6thrust23THRUST_200600_302600_NS6detail15normal_iteratorINS9_10device_ptrIiEEEENS9_18transform_iteratorINS9_6negateIiEESE_NS9_11use_defaultESI_EESE_iNS9_4plusIvEENS9_8equal_toIvEEiEE10hipError_tPvRmT2_T3_T4_T5_mT6_T7_P12ihipStream_tbENKUlT_T0_E_clISt17integral_constantIbLb0EES14_EEDaSZ_S10_EUlSZ_E_NS1_11comp_targetILNS1_3genE0ELNS1_11target_archE4294967295ELNS1_3gpuE0ELNS1_3repE0EEENS1_30default_config_static_selectorELNS0_4arch9wavefront6targetE1EEEvT1_
; %bb.0:
	.section	.rodata,"a",@progbits
	.p2align	6, 0x0
	.amdhsa_kernel _ZN7rocprim17ROCPRIM_400000_NS6detail17trampoline_kernelINS0_14default_configENS1_27scan_by_key_config_selectorIiiEEZZNS1_16scan_by_key_implILNS1_25lookback_scan_determinismE0ELb0ES3_N6thrust23THRUST_200600_302600_NS6detail15normal_iteratorINS9_10device_ptrIiEEEENS9_18transform_iteratorINS9_6negateIiEESE_NS9_11use_defaultESI_EESE_iNS9_4plusIvEENS9_8equal_toIvEEiEE10hipError_tPvRmT2_T3_T4_T5_mT6_T7_P12ihipStream_tbENKUlT_T0_E_clISt17integral_constantIbLb0EES14_EEDaSZ_S10_EUlSZ_E_NS1_11comp_targetILNS1_3genE0ELNS1_11target_archE4294967295ELNS1_3gpuE0ELNS1_3repE0EEENS1_30default_config_static_selectorELNS0_4arch9wavefront6targetE1EEEvT1_
		.amdhsa_group_segment_fixed_size 0
		.amdhsa_private_segment_fixed_size 0
		.amdhsa_kernarg_size 120
		.amdhsa_user_sgpr_count 6
		.amdhsa_user_sgpr_private_segment_buffer 1
		.amdhsa_user_sgpr_dispatch_ptr 0
		.amdhsa_user_sgpr_queue_ptr 0
		.amdhsa_user_sgpr_kernarg_segment_ptr 1
		.amdhsa_user_sgpr_dispatch_id 0
		.amdhsa_user_sgpr_flat_scratch_init 0
		.amdhsa_user_sgpr_kernarg_preload_length 0
		.amdhsa_user_sgpr_kernarg_preload_offset 0
		.amdhsa_user_sgpr_private_segment_size 0
		.amdhsa_uses_dynamic_stack 0
		.amdhsa_system_sgpr_private_segment_wavefront_offset 0
		.amdhsa_system_sgpr_workgroup_id_x 1
		.amdhsa_system_sgpr_workgroup_id_y 0
		.amdhsa_system_sgpr_workgroup_id_z 0
		.amdhsa_system_sgpr_workgroup_info 0
		.amdhsa_system_vgpr_workitem_id 0
		.amdhsa_next_free_vgpr 1
		.amdhsa_next_free_sgpr 0
		.amdhsa_accum_offset 4
		.amdhsa_reserve_vcc 0
		.amdhsa_reserve_flat_scratch 0
		.amdhsa_float_round_mode_32 0
		.amdhsa_float_round_mode_16_64 0
		.amdhsa_float_denorm_mode_32 3
		.amdhsa_float_denorm_mode_16_64 3
		.amdhsa_dx10_clamp 1
		.amdhsa_ieee_mode 1
		.amdhsa_fp16_overflow 0
		.amdhsa_tg_split 0
		.amdhsa_exception_fp_ieee_invalid_op 0
		.amdhsa_exception_fp_denorm_src 0
		.amdhsa_exception_fp_ieee_div_zero 0
		.amdhsa_exception_fp_ieee_overflow 0
		.amdhsa_exception_fp_ieee_underflow 0
		.amdhsa_exception_fp_ieee_inexact 0
		.amdhsa_exception_int_div_zero 0
	.end_amdhsa_kernel
	.section	.text._ZN7rocprim17ROCPRIM_400000_NS6detail17trampoline_kernelINS0_14default_configENS1_27scan_by_key_config_selectorIiiEEZZNS1_16scan_by_key_implILNS1_25lookback_scan_determinismE0ELb0ES3_N6thrust23THRUST_200600_302600_NS6detail15normal_iteratorINS9_10device_ptrIiEEEENS9_18transform_iteratorINS9_6negateIiEESE_NS9_11use_defaultESI_EESE_iNS9_4plusIvEENS9_8equal_toIvEEiEE10hipError_tPvRmT2_T3_T4_T5_mT6_T7_P12ihipStream_tbENKUlT_T0_E_clISt17integral_constantIbLb0EES14_EEDaSZ_S10_EUlSZ_E_NS1_11comp_targetILNS1_3genE0ELNS1_11target_archE4294967295ELNS1_3gpuE0ELNS1_3repE0EEENS1_30default_config_static_selectorELNS0_4arch9wavefront6targetE1EEEvT1_,"axG",@progbits,_ZN7rocprim17ROCPRIM_400000_NS6detail17trampoline_kernelINS0_14default_configENS1_27scan_by_key_config_selectorIiiEEZZNS1_16scan_by_key_implILNS1_25lookback_scan_determinismE0ELb0ES3_N6thrust23THRUST_200600_302600_NS6detail15normal_iteratorINS9_10device_ptrIiEEEENS9_18transform_iteratorINS9_6negateIiEESE_NS9_11use_defaultESI_EESE_iNS9_4plusIvEENS9_8equal_toIvEEiEE10hipError_tPvRmT2_T3_T4_T5_mT6_T7_P12ihipStream_tbENKUlT_T0_E_clISt17integral_constantIbLb0EES14_EEDaSZ_S10_EUlSZ_E_NS1_11comp_targetILNS1_3genE0ELNS1_11target_archE4294967295ELNS1_3gpuE0ELNS1_3repE0EEENS1_30default_config_static_selectorELNS0_4arch9wavefront6targetE1EEEvT1_,comdat
.Lfunc_end929:
	.size	_ZN7rocprim17ROCPRIM_400000_NS6detail17trampoline_kernelINS0_14default_configENS1_27scan_by_key_config_selectorIiiEEZZNS1_16scan_by_key_implILNS1_25lookback_scan_determinismE0ELb0ES3_N6thrust23THRUST_200600_302600_NS6detail15normal_iteratorINS9_10device_ptrIiEEEENS9_18transform_iteratorINS9_6negateIiEESE_NS9_11use_defaultESI_EESE_iNS9_4plusIvEENS9_8equal_toIvEEiEE10hipError_tPvRmT2_T3_T4_T5_mT6_T7_P12ihipStream_tbENKUlT_T0_E_clISt17integral_constantIbLb0EES14_EEDaSZ_S10_EUlSZ_E_NS1_11comp_targetILNS1_3genE0ELNS1_11target_archE4294967295ELNS1_3gpuE0ELNS1_3repE0EEENS1_30default_config_static_selectorELNS0_4arch9wavefront6targetE1EEEvT1_, .Lfunc_end929-_ZN7rocprim17ROCPRIM_400000_NS6detail17trampoline_kernelINS0_14default_configENS1_27scan_by_key_config_selectorIiiEEZZNS1_16scan_by_key_implILNS1_25lookback_scan_determinismE0ELb0ES3_N6thrust23THRUST_200600_302600_NS6detail15normal_iteratorINS9_10device_ptrIiEEEENS9_18transform_iteratorINS9_6negateIiEESE_NS9_11use_defaultESI_EESE_iNS9_4plusIvEENS9_8equal_toIvEEiEE10hipError_tPvRmT2_T3_T4_T5_mT6_T7_P12ihipStream_tbENKUlT_T0_E_clISt17integral_constantIbLb0EES14_EEDaSZ_S10_EUlSZ_E_NS1_11comp_targetILNS1_3genE0ELNS1_11target_archE4294967295ELNS1_3gpuE0ELNS1_3repE0EEENS1_30default_config_static_selectorELNS0_4arch9wavefront6targetE1EEEvT1_
                                        ; -- End function
	.section	.AMDGPU.csdata,"",@progbits
; Kernel info:
; codeLenInByte = 0
; NumSgprs: 4
; NumVgprs: 0
; NumAgprs: 0
; TotalNumVgprs: 0
; ScratchSize: 0
; MemoryBound: 0
; FloatMode: 240
; IeeeMode: 1
; LDSByteSize: 0 bytes/workgroup (compile time only)
; SGPRBlocks: 0
; VGPRBlocks: 0
; NumSGPRsForWavesPerEU: 4
; NumVGPRsForWavesPerEU: 1
; AccumOffset: 4
; Occupancy: 8
; WaveLimiterHint : 0
; COMPUTE_PGM_RSRC2:SCRATCH_EN: 0
; COMPUTE_PGM_RSRC2:USER_SGPR: 6
; COMPUTE_PGM_RSRC2:TRAP_HANDLER: 0
; COMPUTE_PGM_RSRC2:TGID_X_EN: 1
; COMPUTE_PGM_RSRC2:TGID_Y_EN: 0
; COMPUTE_PGM_RSRC2:TGID_Z_EN: 0
; COMPUTE_PGM_RSRC2:TIDIG_COMP_CNT: 0
; COMPUTE_PGM_RSRC3_GFX90A:ACCUM_OFFSET: 0
; COMPUTE_PGM_RSRC3_GFX90A:TG_SPLIT: 0
	.section	.text._ZN7rocprim17ROCPRIM_400000_NS6detail17trampoline_kernelINS0_14default_configENS1_27scan_by_key_config_selectorIiiEEZZNS1_16scan_by_key_implILNS1_25lookback_scan_determinismE0ELb0ES3_N6thrust23THRUST_200600_302600_NS6detail15normal_iteratorINS9_10device_ptrIiEEEENS9_18transform_iteratorINS9_6negateIiEESE_NS9_11use_defaultESI_EESE_iNS9_4plusIvEENS9_8equal_toIvEEiEE10hipError_tPvRmT2_T3_T4_T5_mT6_T7_P12ihipStream_tbENKUlT_T0_E_clISt17integral_constantIbLb0EES14_EEDaSZ_S10_EUlSZ_E_NS1_11comp_targetILNS1_3genE10ELNS1_11target_archE1201ELNS1_3gpuE5ELNS1_3repE0EEENS1_30default_config_static_selectorELNS0_4arch9wavefront6targetE1EEEvT1_,"axG",@progbits,_ZN7rocprim17ROCPRIM_400000_NS6detail17trampoline_kernelINS0_14default_configENS1_27scan_by_key_config_selectorIiiEEZZNS1_16scan_by_key_implILNS1_25lookback_scan_determinismE0ELb0ES3_N6thrust23THRUST_200600_302600_NS6detail15normal_iteratorINS9_10device_ptrIiEEEENS9_18transform_iteratorINS9_6negateIiEESE_NS9_11use_defaultESI_EESE_iNS9_4plusIvEENS9_8equal_toIvEEiEE10hipError_tPvRmT2_T3_T4_T5_mT6_T7_P12ihipStream_tbENKUlT_T0_E_clISt17integral_constantIbLb0EES14_EEDaSZ_S10_EUlSZ_E_NS1_11comp_targetILNS1_3genE10ELNS1_11target_archE1201ELNS1_3gpuE5ELNS1_3repE0EEENS1_30default_config_static_selectorELNS0_4arch9wavefront6targetE1EEEvT1_,comdat
	.protected	_ZN7rocprim17ROCPRIM_400000_NS6detail17trampoline_kernelINS0_14default_configENS1_27scan_by_key_config_selectorIiiEEZZNS1_16scan_by_key_implILNS1_25lookback_scan_determinismE0ELb0ES3_N6thrust23THRUST_200600_302600_NS6detail15normal_iteratorINS9_10device_ptrIiEEEENS9_18transform_iteratorINS9_6negateIiEESE_NS9_11use_defaultESI_EESE_iNS9_4plusIvEENS9_8equal_toIvEEiEE10hipError_tPvRmT2_T3_T4_T5_mT6_T7_P12ihipStream_tbENKUlT_T0_E_clISt17integral_constantIbLb0EES14_EEDaSZ_S10_EUlSZ_E_NS1_11comp_targetILNS1_3genE10ELNS1_11target_archE1201ELNS1_3gpuE5ELNS1_3repE0EEENS1_30default_config_static_selectorELNS0_4arch9wavefront6targetE1EEEvT1_ ; -- Begin function _ZN7rocprim17ROCPRIM_400000_NS6detail17trampoline_kernelINS0_14default_configENS1_27scan_by_key_config_selectorIiiEEZZNS1_16scan_by_key_implILNS1_25lookback_scan_determinismE0ELb0ES3_N6thrust23THRUST_200600_302600_NS6detail15normal_iteratorINS9_10device_ptrIiEEEENS9_18transform_iteratorINS9_6negateIiEESE_NS9_11use_defaultESI_EESE_iNS9_4plusIvEENS9_8equal_toIvEEiEE10hipError_tPvRmT2_T3_T4_T5_mT6_T7_P12ihipStream_tbENKUlT_T0_E_clISt17integral_constantIbLb0EES14_EEDaSZ_S10_EUlSZ_E_NS1_11comp_targetILNS1_3genE10ELNS1_11target_archE1201ELNS1_3gpuE5ELNS1_3repE0EEENS1_30default_config_static_selectorELNS0_4arch9wavefront6targetE1EEEvT1_
	.globl	_ZN7rocprim17ROCPRIM_400000_NS6detail17trampoline_kernelINS0_14default_configENS1_27scan_by_key_config_selectorIiiEEZZNS1_16scan_by_key_implILNS1_25lookback_scan_determinismE0ELb0ES3_N6thrust23THRUST_200600_302600_NS6detail15normal_iteratorINS9_10device_ptrIiEEEENS9_18transform_iteratorINS9_6negateIiEESE_NS9_11use_defaultESI_EESE_iNS9_4plusIvEENS9_8equal_toIvEEiEE10hipError_tPvRmT2_T3_T4_T5_mT6_T7_P12ihipStream_tbENKUlT_T0_E_clISt17integral_constantIbLb0EES14_EEDaSZ_S10_EUlSZ_E_NS1_11comp_targetILNS1_3genE10ELNS1_11target_archE1201ELNS1_3gpuE5ELNS1_3repE0EEENS1_30default_config_static_selectorELNS0_4arch9wavefront6targetE1EEEvT1_
	.p2align	8
	.type	_ZN7rocprim17ROCPRIM_400000_NS6detail17trampoline_kernelINS0_14default_configENS1_27scan_by_key_config_selectorIiiEEZZNS1_16scan_by_key_implILNS1_25lookback_scan_determinismE0ELb0ES3_N6thrust23THRUST_200600_302600_NS6detail15normal_iteratorINS9_10device_ptrIiEEEENS9_18transform_iteratorINS9_6negateIiEESE_NS9_11use_defaultESI_EESE_iNS9_4plusIvEENS9_8equal_toIvEEiEE10hipError_tPvRmT2_T3_T4_T5_mT6_T7_P12ihipStream_tbENKUlT_T0_E_clISt17integral_constantIbLb0EES14_EEDaSZ_S10_EUlSZ_E_NS1_11comp_targetILNS1_3genE10ELNS1_11target_archE1201ELNS1_3gpuE5ELNS1_3repE0EEENS1_30default_config_static_selectorELNS0_4arch9wavefront6targetE1EEEvT1_,@function
_ZN7rocprim17ROCPRIM_400000_NS6detail17trampoline_kernelINS0_14default_configENS1_27scan_by_key_config_selectorIiiEEZZNS1_16scan_by_key_implILNS1_25lookback_scan_determinismE0ELb0ES3_N6thrust23THRUST_200600_302600_NS6detail15normal_iteratorINS9_10device_ptrIiEEEENS9_18transform_iteratorINS9_6negateIiEESE_NS9_11use_defaultESI_EESE_iNS9_4plusIvEENS9_8equal_toIvEEiEE10hipError_tPvRmT2_T3_T4_T5_mT6_T7_P12ihipStream_tbENKUlT_T0_E_clISt17integral_constantIbLb0EES14_EEDaSZ_S10_EUlSZ_E_NS1_11comp_targetILNS1_3genE10ELNS1_11target_archE1201ELNS1_3gpuE5ELNS1_3repE0EEENS1_30default_config_static_selectorELNS0_4arch9wavefront6targetE1EEEvT1_: ; @_ZN7rocprim17ROCPRIM_400000_NS6detail17trampoline_kernelINS0_14default_configENS1_27scan_by_key_config_selectorIiiEEZZNS1_16scan_by_key_implILNS1_25lookback_scan_determinismE0ELb0ES3_N6thrust23THRUST_200600_302600_NS6detail15normal_iteratorINS9_10device_ptrIiEEEENS9_18transform_iteratorINS9_6negateIiEESE_NS9_11use_defaultESI_EESE_iNS9_4plusIvEENS9_8equal_toIvEEiEE10hipError_tPvRmT2_T3_T4_T5_mT6_T7_P12ihipStream_tbENKUlT_T0_E_clISt17integral_constantIbLb0EES14_EEDaSZ_S10_EUlSZ_E_NS1_11comp_targetILNS1_3genE10ELNS1_11target_archE1201ELNS1_3gpuE5ELNS1_3repE0EEENS1_30default_config_static_selectorELNS0_4arch9wavefront6targetE1EEEvT1_
; %bb.0:
	.section	.rodata,"a",@progbits
	.p2align	6, 0x0
	.amdhsa_kernel _ZN7rocprim17ROCPRIM_400000_NS6detail17trampoline_kernelINS0_14default_configENS1_27scan_by_key_config_selectorIiiEEZZNS1_16scan_by_key_implILNS1_25lookback_scan_determinismE0ELb0ES3_N6thrust23THRUST_200600_302600_NS6detail15normal_iteratorINS9_10device_ptrIiEEEENS9_18transform_iteratorINS9_6negateIiEESE_NS9_11use_defaultESI_EESE_iNS9_4plusIvEENS9_8equal_toIvEEiEE10hipError_tPvRmT2_T3_T4_T5_mT6_T7_P12ihipStream_tbENKUlT_T0_E_clISt17integral_constantIbLb0EES14_EEDaSZ_S10_EUlSZ_E_NS1_11comp_targetILNS1_3genE10ELNS1_11target_archE1201ELNS1_3gpuE5ELNS1_3repE0EEENS1_30default_config_static_selectorELNS0_4arch9wavefront6targetE1EEEvT1_
		.amdhsa_group_segment_fixed_size 0
		.amdhsa_private_segment_fixed_size 0
		.amdhsa_kernarg_size 120
		.amdhsa_user_sgpr_count 6
		.amdhsa_user_sgpr_private_segment_buffer 1
		.amdhsa_user_sgpr_dispatch_ptr 0
		.amdhsa_user_sgpr_queue_ptr 0
		.amdhsa_user_sgpr_kernarg_segment_ptr 1
		.amdhsa_user_sgpr_dispatch_id 0
		.amdhsa_user_sgpr_flat_scratch_init 0
		.amdhsa_user_sgpr_kernarg_preload_length 0
		.amdhsa_user_sgpr_kernarg_preload_offset 0
		.amdhsa_user_sgpr_private_segment_size 0
		.amdhsa_uses_dynamic_stack 0
		.amdhsa_system_sgpr_private_segment_wavefront_offset 0
		.amdhsa_system_sgpr_workgroup_id_x 1
		.amdhsa_system_sgpr_workgroup_id_y 0
		.amdhsa_system_sgpr_workgroup_id_z 0
		.amdhsa_system_sgpr_workgroup_info 0
		.amdhsa_system_vgpr_workitem_id 0
		.amdhsa_next_free_vgpr 1
		.amdhsa_next_free_sgpr 0
		.amdhsa_accum_offset 4
		.amdhsa_reserve_vcc 0
		.amdhsa_reserve_flat_scratch 0
		.amdhsa_float_round_mode_32 0
		.amdhsa_float_round_mode_16_64 0
		.amdhsa_float_denorm_mode_32 3
		.amdhsa_float_denorm_mode_16_64 3
		.amdhsa_dx10_clamp 1
		.amdhsa_ieee_mode 1
		.amdhsa_fp16_overflow 0
		.amdhsa_tg_split 0
		.amdhsa_exception_fp_ieee_invalid_op 0
		.amdhsa_exception_fp_denorm_src 0
		.amdhsa_exception_fp_ieee_div_zero 0
		.amdhsa_exception_fp_ieee_overflow 0
		.amdhsa_exception_fp_ieee_underflow 0
		.amdhsa_exception_fp_ieee_inexact 0
		.amdhsa_exception_int_div_zero 0
	.end_amdhsa_kernel
	.section	.text._ZN7rocprim17ROCPRIM_400000_NS6detail17trampoline_kernelINS0_14default_configENS1_27scan_by_key_config_selectorIiiEEZZNS1_16scan_by_key_implILNS1_25lookback_scan_determinismE0ELb0ES3_N6thrust23THRUST_200600_302600_NS6detail15normal_iteratorINS9_10device_ptrIiEEEENS9_18transform_iteratorINS9_6negateIiEESE_NS9_11use_defaultESI_EESE_iNS9_4plusIvEENS9_8equal_toIvEEiEE10hipError_tPvRmT2_T3_T4_T5_mT6_T7_P12ihipStream_tbENKUlT_T0_E_clISt17integral_constantIbLb0EES14_EEDaSZ_S10_EUlSZ_E_NS1_11comp_targetILNS1_3genE10ELNS1_11target_archE1201ELNS1_3gpuE5ELNS1_3repE0EEENS1_30default_config_static_selectorELNS0_4arch9wavefront6targetE1EEEvT1_,"axG",@progbits,_ZN7rocprim17ROCPRIM_400000_NS6detail17trampoline_kernelINS0_14default_configENS1_27scan_by_key_config_selectorIiiEEZZNS1_16scan_by_key_implILNS1_25lookback_scan_determinismE0ELb0ES3_N6thrust23THRUST_200600_302600_NS6detail15normal_iteratorINS9_10device_ptrIiEEEENS9_18transform_iteratorINS9_6negateIiEESE_NS9_11use_defaultESI_EESE_iNS9_4plusIvEENS9_8equal_toIvEEiEE10hipError_tPvRmT2_T3_T4_T5_mT6_T7_P12ihipStream_tbENKUlT_T0_E_clISt17integral_constantIbLb0EES14_EEDaSZ_S10_EUlSZ_E_NS1_11comp_targetILNS1_3genE10ELNS1_11target_archE1201ELNS1_3gpuE5ELNS1_3repE0EEENS1_30default_config_static_selectorELNS0_4arch9wavefront6targetE1EEEvT1_,comdat
.Lfunc_end930:
	.size	_ZN7rocprim17ROCPRIM_400000_NS6detail17trampoline_kernelINS0_14default_configENS1_27scan_by_key_config_selectorIiiEEZZNS1_16scan_by_key_implILNS1_25lookback_scan_determinismE0ELb0ES3_N6thrust23THRUST_200600_302600_NS6detail15normal_iteratorINS9_10device_ptrIiEEEENS9_18transform_iteratorINS9_6negateIiEESE_NS9_11use_defaultESI_EESE_iNS9_4plusIvEENS9_8equal_toIvEEiEE10hipError_tPvRmT2_T3_T4_T5_mT6_T7_P12ihipStream_tbENKUlT_T0_E_clISt17integral_constantIbLb0EES14_EEDaSZ_S10_EUlSZ_E_NS1_11comp_targetILNS1_3genE10ELNS1_11target_archE1201ELNS1_3gpuE5ELNS1_3repE0EEENS1_30default_config_static_selectorELNS0_4arch9wavefront6targetE1EEEvT1_, .Lfunc_end930-_ZN7rocprim17ROCPRIM_400000_NS6detail17trampoline_kernelINS0_14default_configENS1_27scan_by_key_config_selectorIiiEEZZNS1_16scan_by_key_implILNS1_25lookback_scan_determinismE0ELb0ES3_N6thrust23THRUST_200600_302600_NS6detail15normal_iteratorINS9_10device_ptrIiEEEENS9_18transform_iteratorINS9_6negateIiEESE_NS9_11use_defaultESI_EESE_iNS9_4plusIvEENS9_8equal_toIvEEiEE10hipError_tPvRmT2_T3_T4_T5_mT6_T7_P12ihipStream_tbENKUlT_T0_E_clISt17integral_constantIbLb0EES14_EEDaSZ_S10_EUlSZ_E_NS1_11comp_targetILNS1_3genE10ELNS1_11target_archE1201ELNS1_3gpuE5ELNS1_3repE0EEENS1_30default_config_static_selectorELNS0_4arch9wavefront6targetE1EEEvT1_
                                        ; -- End function
	.section	.AMDGPU.csdata,"",@progbits
; Kernel info:
; codeLenInByte = 0
; NumSgprs: 4
; NumVgprs: 0
; NumAgprs: 0
; TotalNumVgprs: 0
; ScratchSize: 0
; MemoryBound: 0
; FloatMode: 240
; IeeeMode: 1
; LDSByteSize: 0 bytes/workgroup (compile time only)
; SGPRBlocks: 0
; VGPRBlocks: 0
; NumSGPRsForWavesPerEU: 4
; NumVGPRsForWavesPerEU: 1
; AccumOffset: 4
; Occupancy: 8
; WaveLimiterHint : 0
; COMPUTE_PGM_RSRC2:SCRATCH_EN: 0
; COMPUTE_PGM_RSRC2:USER_SGPR: 6
; COMPUTE_PGM_RSRC2:TRAP_HANDLER: 0
; COMPUTE_PGM_RSRC2:TGID_X_EN: 1
; COMPUTE_PGM_RSRC2:TGID_Y_EN: 0
; COMPUTE_PGM_RSRC2:TGID_Z_EN: 0
; COMPUTE_PGM_RSRC2:TIDIG_COMP_CNT: 0
; COMPUTE_PGM_RSRC3_GFX90A:ACCUM_OFFSET: 0
; COMPUTE_PGM_RSRC3_GFX90A:TG_SPLIT: 0
	.section	.text._ZN7rocprim17ROCPRIM_400000_NS6detail17trampoline_kernelINS0_14default_configENS1_27scan_by_key_config_selectorIiiEEZZNS1_16scan_by_key_implILNS1_25lookback_scan_determinismE0ELb0ES3_N6thrust23THRUST_200600_302600_NS6detail15normal_iteratorINS9_10device_ptrIiEEEENS9_18transform_iteratorINS9_6negateIiEESE_NS9_11use_defaultESI_EESE_iNS9_4plusIvEENS9_8equal_toIvEEiEE10hipError_tPvRmT2_T3_T4_T5_mT6_T7_P12ihipStream_tbENKUlT_T0_E_clISt17integral_constantIbLb0EES14_EEDaSZ_S10_EUlSZ_E_NS1_11comp_targetILNS1_3genE5ELNS1_11target_archE942ELNS1_3gpuE9ELNS1_3repE0EEENS1_30default_config_static_selectorELNS0_4arch9wavefront6targetE1EEEvT1_,"axG",@progbits,_ZN7rocprim17ROCPRIM_400000_NS6detail17trampoline_kernelINS0_14default_configENS1_27scan_by_key_config_selectorIiiEEZZNS1_16scan_by_key_implILNS1_25lookback_scan_determinismE0ELb0ES3_N6thrust23THRUST_200600_302600_NS6detail15normal_iteratorINS9_10device_ptrIiEEEENS9_18transform_iteratorINS9_6negateIiEESE_NS9_11use_defaultESI_EESE_iNS9_4plusIvEENS9_8equal_toIvEEiEE10hipError_tPvRmT2_T3_T4_T5_mT6_T7_P12ihipStream_tbENKUlT_T0_E_clISt17integral_constantIbLb0EES14_EEDaSZ_S10_EUlSZ_E_NS1_11comp_targetILNS1_3genE5ELNS1_11target_archE942ELNS1_3gpuE9ELNS1_3repE0EEENS1_30default_config_static_selectorELNS0_4arch9wavefront6targetE1EEEvT1_,comdat
	.protected	_ZN7rocprim17ROCPRIM_400000_NS6detail17trampoline_kernelINS0_14default_configENS1_27scan_by_key_config_selectorIiiEEZZNS1_16scan_by_key_implILNS1_25lookback_scan_determinismE0ELb0ES3_N6thrust23THRUST_200600_302600_NS6detail15normal_iteratorINS9_10device_ptrIiEEEENS9_18transform_iteratorINS9_6negateIiEESE_NS9_11use_defaultESI_EESE_iNS9_4plusIvEENS9_8equal_toIvEEiEE10hipError_tPvRmT2_T3_T4_T5_mT6_T7_P12ihipStream_tbENKUlT_T0_E_clISt17integral_constantIbLb0EES14_EEDaSZ_S10_EUlSZ_E_NS1_11comp_targetILNS1_3genE5ELNS1_11target_archE942ELNS1_3gpuE9ELNS1_3repE0EEENS1_30default_config_static_selectorELNS0_4arch9wavefront6targetE1EEEvT1_ ; -- Begin function _ZN7rocprim17ROCPRIM_400000_NS6detail17trampoline_kernelINS0_14default_configENS1_27scan_by_key_config_selectorIiiEEZZNS1_16scan_by_key_implILNS1_25lookback_scan_determinismE0ELb0ES3_N6thrust23THRUST_200600_302600_NS6detail15normal_iteratorINS9_10device_ptrIiEEEENS9_18transform_iteratorINS9_6negateIiEESE_NS9_11use_defaultESI_EESE_iNS9_4plusIvEENS9_8equal_toIvEEiEE10hipError_tPvRmT2_T3_T4_T5_mT6_T7_P12ihipStream_tbENKUlT_T0_E_clISt17integral_constantIbLb0EES14_EEDaSZ_S10_EUlSZ_E_NS1_11comp_targetILNS1_3genE5ELNS1_11target_archE942ELNS1_3gpuE9ELNS1_3repE0EEENS1_30default_config_static_selectorELNS0_4arch9wavefront6targetE1EEEvT1_
	.globl	_ZN7rocprim17ROCPRIM_400000_NS6detail17trampoline_kernelINS0_14default_configENS1_27scan_by_key_config_selectorIiiEEZZNS1_16scan_by_key_implILNS1_25lookback_scan_determinismE0ELb0ES3_N6thrust23THRUST_200600_302600_NS6detail15normal_iteratorINS9_10device_ptrIiEEEENS9_18transform_iteratorINS9_6negateIiEESE_NS9_11use_defaultESI_EESE_iNS9_4plusIvEENS9_8equal_toIvEEiEE10hipError_tPvRmT2_T3_T4_T5_mT6_T7_P12ihipStream_tbENKUlT_T0_E_clISt17integral_constantIbLb0EES14_EEDaSZ_S10_EUlSZ_E_NS1_11comp_targetILNS1_3genE5ELNS1_11target_archE942ELNS1_3gpuE9ELNS1_3repE0EEENS1_30default_config_static_selectorELNS0_4arch9wavefront6targetE1EEEvT1_
	.p2align	8
	.type	_ZN7rocprim17ROCPRIM_400000_NS6detail17trampoline_kernelINS0_14default_configENS1_27scan_by_key_config_selectorIiiEEZZNS1_16scan_by_key_implILNS1_25lookback_scan_determinismE0ELb0ES3_N6thrust23THRUST_200600_302600_NS6detail15normal_iteratorINS9_10device_ptrIiEEEENS9_18transform_iteratorINS9_6negateIiEESE_NS9_11use_defaultESI_EESE_iNS9_4plusIvEENS9_8equal_toIvEEiEE10hipError_tPvRmT2_T3_T4_T5_mT6_T7_P12ihipStream_tbENKUlT_T0_E_clISt17integral_constantIbLb0EES14_EEDaSZ_S10_EUlSZ_E_NS1_11comp_targetILNS1_3genE5ELNS1_11target_archE942ELNS1_3gpuE9ELNS1_3repE0EEENS1_30default_config_static_selectorELNS0_4arch9wavefront6targetE1EEEvT1_,@function
_ZN7rocprim17ROCPRIM_400000_NS6detail17trampoline_kernelINS0_14default_configENS1_27scan_by_key_config_selectorIiiEEZZNS1_16scan_by_key_implILNS1_25lookback_scan_determinismE0ELb0ES3_N6thrust23THRUST_200600_302600_NS6detail15normal_iteratorINS9_10device_ptrIiEEEENS9_18transform_iteratorINS9_6negateIiEESE_NS9_11use_defaultESI_EESE_iNS9_4plusIvEENS9_8equal_toIvEEiEE10hipError_tPvRmT2_T3_T4_T5_mT6_T7_P12ihipStream_tbENKUlT_T0_E_clISt17integral_constantIbLb0EES14_EEDaSZ_S10_EUlSZ_E_NS1_11comp_targetILNS1_3genE5ELNS1_11target_archE942ELNS1_3gpuE9ELNS1_3repE0EEENS1_30default_config_static_selectorELNS0_4arch9wavefront6targetE1EEEvT1_: ; @_ZN7rocprim17ROCPRIM_400000_NS6detail17trampoline_kernelINS0_14default_configENS1_27scan_by_key_config_selectorIiiEEZZNS1_16scan_by_key_implILNS1_25lookback_scan_determinismE0ELb0ES3_N6thrust23THRUST_200600_302600_NS6detail15normal_iteratorINS9_10device_ptrIiEEEENS9_18transform_iteratorINS9_6negateIiEESE_NS9_11use_defaultESI_EESE_iNS9_4plusIvEENS9_8equal_toIvEEiEE10hipError_tPvRmT2_T3_T4_T5_mT6_T7_P12ihipStream_tbENKUlT_T0_E_clISt17integral_constantIbLb0EES14_EEDaSZ_S10_EUlSZ_E_NS1_11comp_targetILNS1_3genE5ELNS1_11target_archE942ELNS1_3gpuE9ELNS1_3repE0EEENS1_30default_config_static_selectorELNS0_4arch9wavefront6targetE1EEEvT1_
; %bb.0:
	.section	.rodata,"a",@progbits
	.p2align	6, 0x0
	.amdhsa_kernel _ZN7rocprim17ROCPRIM_400000_NS6detail17trampoline_kernelINS0_14default_configENS1_27scan_by_key_config_selectorIiiEEZZNS1_16scan_by_key_implILNS1_25lookback_scan_determinismE0ELb0ES3_N6thrust23THRUST_200600_302600_NS6detail15normal_iteratorINS9_10device_ptrIiEEEENS9_18transform_iteratorINS9_6negateIiEESE_NS9_11use_defaultESI_EESE_iNS9_4plusIvEENS9_8equal_toIvEEiEE10hipError_tPvRmT2_T3_T4_T5_mT6_T7_P12ihipStream_tbENKUlT_T0_E_clISt17integral_constantIbLb0EES14_EEDaSZ_S10_EUlSZ_E_NS1_11comp_targetILNS1_3genE5ELNS1_11target_archE942ELNS1_3gpuE9ELNS1_3repE0EEENS1_30default_config_static_selectorELNS0_4arch9wavefront6targetE1EEEvT1_
		.amdhsa_group_segment_fixed_size 0
		.amdhsa_private_segment_fixed_size 0
		.amdhsa_kernarg_size 120
		.amdhsa_user_sgpr_count 6
		.amdhsa_user_sgpr_private_segment_buffer 1
		.amdhsa_user_sgpr_dispatch_ptr 0
		.amdhsa_user_sgpr_queue_ptr 0
		.amdhsa_user_sgpr_kernarg_segment_ptr 1
		.amdhsa_user_sgpr_dispatch_id 0
		.amdhsa_user_sgpr_flat_scratch_init 0
		.amdhsa_user_sgpr_kernarg_preload_length 0
		.amdhsa_user_sgpr_kernarg_preload_offset 0
		.amdhsa_user_sgpr_private_segment_size 0
		.amdhsa_uses_dynamic_stack 0
		.amdhsa_system_sgpr_private_segment_wavefront_offset 0
		.amdhsa_system_sgpr_workgroup_id_x 1
		.amdhsa_system_sgpr_workgroup_id_y 0
		.amdhsa_system_sgpr_workgroup_id_z 0
		.amdhsa_system_sgpr_workgroup_info 0
		.amdhsa_system_vgpr_workitem_id 0
		.amdhsa_next_free_vgpr 1
		.amdhsa_next_free_sgpr 0
		.amdhsa_accum_offset 4
		.amdhsa_reserve_vcc 0
		.amdhsa_reserve_flat_scratch 0
		.amdhsa_float_round_mode_32 0
		.amdhsa_float_round_mode_16_64 0
		.amdhsa_float_denorm_mode_32 3
		.amdhsa_float_denorm_mode_16_64 3
		.amdhsa_dx10_clamp 1
		.amdhsa_ieee_mode 1
		.amdhsa_fp16_overflow 0
		.amdhsa_tg_split 0
		.amdhsa_exception_fp_ieee_invalid_op 0
		.amdhsa_exception_fp_denorm_src 0
		.amdhsa_exception_fp_ieee_div_zero 0
		.amdhsa_exception_fp_ieee_overflow 0
		.amdhsa_exception_fp_ieee_underflow 0
		.amdhsa_exception_fp_ieee_inexact 0
		.amdhsa_exception_int_div_zero 0
	.end_amdhsa_kernel
	.section	.text._ZN7rocprim17ROCPRIM_400000_NS6detail17trampoline_kernelINS0_14default_configENS1_27scan_by_key_config_selectorIiiEEZZNS1_16scan_by_key_implILNS1_25lookback_scan_determinismE0ELb0ES3_N6thrust23THRUST_200600_302600_NS6detail15normal_iteratorINS9_10device_ptrIiEEEENS9_18transform_iteratorINS9_6negateIiEESE_NS9_11use_defaultESI_EESE_iNS9_4plusIvEENS9_8equal_toIvEEiEE10hipError_tPvRmT2_T3_T4_T5_mT6_T7_P12ihipStream_tbENKUlT_T0_E_clISt17integral_constantIbLb0EES14_EEDaSZ_S10_EUlSZ_E_NS1_11comp_targetILNS1_3genE5ELNS1_11target_archE942ELNS1_3gpuE9ELNS1_3repE0EEENS1_30default_config_static_selectorELNS0_4arch9wavefront6targetE1EEEvT1_,"axG",@progbits,_ZN7rocprim17ROCPRIM_400000_NS6detail17trampoline_kernelINS0_14default_configENS1_27scan_by_key_config_selectorIiiEEZZNS1_16scan_by_key_implILNS1_25lookback_scan_determinismE0ELb0ES3_N6thrust23THRUST_200600_302600_NS6detail15normal_iteratorINS9_10device_ptrIiEEEENS9_18transform_iteratorINS9_6negateIiEESE_NS9_11use_defaultESI_EESE_iNS9_4plusIvEENS9_8equal_toIvEEiEE10hipError_tPvRmT2_T3_T4_T5_mT6_T7_P12ihipStream_tbENKUlT_T0_E_clISt17integral_constantIbLb0EES14_EEDaSZ_S10_EUlSZ_E_NS1_11comp_targetILNS1_3genE5ELNS1_11target_archE942ELNS1_3gpuE9ELNS1_3repE0EEENS1_30default_config_static_selectorELNS0_4arch9wavefront6targetE1EEEvT1_,comdat
.Lfunc_end931:
	.size	_ZN7rocprim17ROCPRIM_400000_NS6detail17trampoline_kernelINS0_14default_configENS1_27scan_by_key_config_selectorIiiEEZZNS1_16scan_by_key_implILNS1_25lookback_scan_determinismE0ELb0ES3_N6thrust23THRUST_200600_302600_NS6detail15normal_iteratorINS9_10device_ptrIiEEEENS9_18transform_iteratorINS9_6negateIiEESE_NS9_11use_defaultESI_EESE_iNS9_4plusIvEENS9_8equal_toIvEEiEE10hipError_tPvRmT2_T3_T4_T5_mT6_T7_P12ihipStream_tbENKUlT_T0_E_clISt17integral_constantIbLb0EES14_EEDaSZ_S10_EUlSZ_E_NS1_11comp_targetILNS1_3genE5ELNS1_11target_archE942ELNS1_3gpuE9ELNS1_3repE0EEENS1_30default_config_static_selectorELNS0_4arch9wavefront6targetE1EEEvT1_, .Lfunc_end931-_ZN7rocprim17ROCPRIM_400000_NS6detail17trampoline_kernelINS0_14default_configENS1_27scan_by_key_config_selectorIiiEEZZNS1_16scan_by_key_implILNS1_25lookback_scan_determinismE0ELb0ES3_N6thrust23THRUST_200600_302600_NS6detail15normal_iteratorINS9_10device_ptrIiEEEENS9_18transform_iteratorINS9_6negateIiEESE_NS9_11use_defaultESI_EESE_iNS9_4plusIvEENS9_8equal_toIvEEiEE10hipError_tPvRmT2_T3_T4_T5_mT6_T7_P12ihipStream_tbENKUlT_T0_E_clISt17integral_constantIbLb0EES14_EEDaSZ_S10_EUlSZ_E_NS1_11comp_targetILNS1_3genE5ELNS1_11target_archE942ELNS1_3gpuE9ELNS1_3repE0EEENS1_30default_config_static_selectorELNS0_4arch9wavefront6targetE1EEEvT1_
                                        ; -- End function
	.section	.AMDGPU.csdata,"",@progbits
; Kernel info:
; codeLenInByte = 0
; NumSgprs: 4
; NumVgprs: 0
; NumAgprs: 0
; TotalNumVgprs: 0
; ScratchSize: 0
; MemoryBound: 0
; FloatMode: 240
; IeeeMode: 1
; LDSByteSize: 0 bytes/workgroup (compile time only)
; SGPRBlocks: 0
; VGPRBlocks: 0
; NumSGPRsForWavesPerEU: 4
; NumVGPRsForWavesPerEU: 1
; AccumOffset: 4
; Occupancy: 8
; WaveLimiterHint : 0
; COMPUTE_PGM_RSRC2:SCRATCH_EN: 0
; COMPUTE_PGM_RSRC2:USER_SGPR: 6
; COMPUTE_PGM_RSRC2:TRAP_HANDLER: 0
; COMPUTE_PGM_RSRC2:TGID_X_EN: 1
; COMPUTE_PGM_RSRC2:TGID_Y_EN: 0
; COMPUTE_PGM_RSRC2:TGID_Z_EN: 0
; COMPUTE_PGM_RSRC2:TIDIG_COMP_CNT: 0
; COMPUTE_PGM_RSRC3_GFX90A:ACCUM_OFFSET: 0
; COMPUTE_PGM_RSRC3_GFX90A:TG_SPLIT: 0
	.section	.text._ZN7rocprim17ROCPRIM_400000_NS6detail17trampoline_kernelINS0_14default_configENS1_27scan_by_key_config_selectorIiiEEZZNS1_16scan_by_key_implILNS1_25lookback_scan_determinismE0ELb0ES3_N6thrust23THRUST_200600_302600_NS6detail15normal_iteratorINS9_10device_ptrIiEEEENS9_18transform_iteratorINS9_6negateIiEESE_NS9_11use_defaultESI_EESE_iNS9_4plusIvEENS9_8equal_toIvEEiEE10hipError_tPvRmT2_T3_T4_T5_mT6_T7_P12ihipStream_tbENKUlT_T0_E_clISt17integral_constantIbLb0EES14_EEDaSZ_S10_EUlSZ_E_NS1_11comp_targetILNS1_3genE4ELNS1_11target_archE910ELNS1_3gpuE8ELNS1_3repE0EEENS1_30default_config_static_selectorELNS0_4arch9wavefront6targetE1EEEvT1_,"axG",@progbits,_ZN7rocprim17ROCPRIM_400000_NS6detail17trampoline_kernelINS0_14default_configENS1_27scan_by_key_config_selectorIiiEEZZNS1_16scan_by_key_implILNS1_25lookback_scan_determinismE0ELb0ES3_N6thrust23THRUST_200600_302600_NS6detail15normal_iteratorINS9_10device_ptrIiEEEENS9_18transform_iteratorINS9_6negateIiEESE_NS9_11use_defaultESI_EESE_iNS9_4plusIvEENS9_8equal_toIvEEiEE10hipError_tPvRmT2_T3_T4_T5_mT6_T7_P12ihipStream_tbENKUlT_T0_E_clISt17integral_constantIbLb0EES14_EEDaSZ_S10_EUlSZ_E_NS1_11comp_targetILNS1_3genE4ELNS1_11target_archE910ELNS1_3gpuE8ELNS1_3repE0EEENS1_30default_config_static_selectorELNS0_4arch9wavefront6targetE1EEEvT1_,comdat
	.protected	_ZN7rocprim17ROCPRIM_400000_NS6detail17trampoline_kernelINS0_14default_configENS1_27scan_by_key_config_selectorIiiEEZZNS1_16scan_by_key_implILNS1_25lookback_scan_determinismE0ELb0ES3_N6thrust23THRUST_200600_302600_NS6detail15normal_iteratorINS9_10device_ptrIiEEEENS9_18transform_iteratorINS9_6negateIiEESE_NS9_11use_defaultESI_EESE_iNS9_4plusIvEENS9_8equal_toIvEEiEE10hipError_tPvRmT2_T3_T4_T5_mT6_T7_P12ihipStream_tbENKUlT_T0_E_clISt17integral_constantIbLb0EES14_EEDaSZ_S10_EUlSZ_E_NS1_11comp_targetILNS1_3genE4ELNS1_11target_archE910ELNS1_3gpuE8ELNS1_3repE0EEENS1_30default_config_static_selectorELNS0_4arch9wavefront6targetE1EEEvT1_ ; -- Begin function _ZN7rocprim17ROCPRIM_400000_NS6detail17trampoline_kernelINS0_14default_configENS1_27scan_by_key_config_selectorIiiEEZZNS1_16scan_by_key_implILNS1_25lookback_scan_determinismE0ELb0ES3_N6thrust23THRUST_200600_302600_NS6detail15normal_iteratorINS9_10device_ptrIiEEEENS9_18transform_iteratorINS9_6negateIiEESE_NS9_11use_defaultESI_EESE_iNS9_4plusIvEENS9_8equal_toIvEEiEE10hipError_tPvRmT2_T3_T4_T5_mT6_T7_P12ihipStream_tbENKUlT_T0_E_clISt17integral_constantIbLb0EES14_EEDaSZ_S10_EUlSZ_E_NS1_11comp_targetILNS1_3genE4ELNS1_11target_archE910ELNS1_3gpuE8ELNS1_3repE0EEENS1_30default_config_static_selectorELNS0_4arch9wavefront6targetE1EEEvT1_
	.globl	_ZN7rocprim17ROCPRIM_400000_NS6detail17trampoline_kernelINS0_14default_configENS1_27scan_by_key_config_selectorIiiEEZZNS1_16scan_by_key_implILNS1_25lookback_scan_determinismE0ELb0ES3_N6thrust23THRUST_200600_302600_NS6detail15normal_iteratorINS9_10device_ptrIiEEEENS9_18transform_iteratorINS9_6negateIiEESE_NS9_11use_defaultESI_EESE_iNS9_4plusIvEENS9_8equal_toIvEEiEE10hipError_tPvRmT2_T3_T4_T5_mT6_T7_P12ihipStream_tbENKUlT_T0_E_clISt17integral_constantIbLb0EES14_EEDaSZ_S10_EUlSZ_E_NS1_11comp_targetILNS1_3genE4ELNS1_11target_archE910ELNS1_3gpuE8ELNS1_3repE0EEENS1_30default_config_static_selectorELNS0_4arch9wavefront6targetE1EEEvT1_
	.p2align	8
	.type	_ZN7rocprim17ROCPRIM_400000_NS6detail17trampoline_kernelINS0_14default_configENS1_27scan_by_key_config_selectorIiiEEZZNS1_16scan_by_key_implILNS1_25lookback_scan_determinismE0ELb0ES3_N6thrust23THRUST_200600_302600_NS6detail15normal_iteratorINS9_10device_ptrIiEEEENS9_18transform_iteratorINS9_6negateIiEESE_NS9_11use_defaultESI_EESE_iNS9_4plusIvEENS9_8equal_toIvEEiEE10hipError_tPvRmT2_T3_T4_T5_mT6_T7_P12ihipStream_tbENKUlT_T0_E_clISt17integral_constantIbLb0EES14_EEDaSZ_S10_EUlSZ_E_NS1_11comp_targetILNS1_3genE4ELNS1_11target_archE910ELNS1_3gpuE8ELNS1_3repE0EEENS1_30default_config_static_selectorELNS0_4arch9wavefront6targetE1EEEvT1_,@function
_ZN7rocprim17ROCPRIM_400000_NS6detail17trampoline_kernelINS0_14default_configENS1_27scan_by_key_config_selectorIiiEEZZNS1_16scan_by_key_implILNS1_25lookback_scan_determinismE0ELb0ES3_N6thrust23THRUST_200600_302600_NS6detail15normal_iteratorINS9_10device_ptrIiEEEENS9_18transform_iteratorINS9_6negateIiEESE_NS9_11use_defaultESI_EESE_iNS9_4plusIvEENS9_8equal_toIvEEiEE10hipError_tPvRmT2_T3_T4_T5_mT6_T7_P12ihipStream_tbENKUlT_T0_E_clISt17integral_constantIbLb0EES14_EEDaSZ_S10_EUlSZ_E_NS1_11comp_targetILNS1_3genE4ELNS1_11target_archE910ELNS1_3gpuE8ELNS1_3repE0EEENS1_30default_config_static_selectorELNS0_4arch9wavefront6targetE1EEEvT1_: ; @_ZN7rocprim17ROCPRIM_400000_NS6detail17trampoline_kernelINS0_14default_configENS1_27scan_by_key_config_selectorIiiEEZZNS1_16scan_by_key_implILNS1_25lookback_scan_determinismE0ELb0ES3_N6thrust23THRUST_200600_302600_NS6detail15normal_iteratorINS9_10device_ptrIiEEEENS9_18transform_iteratorINS9_6negateIiEESE_NS9_11use_defaultESI_EESE_iNS9_4plusIvEENS9_8equal_toIvEEiEE10hipError_tPvRmT2_T3_T4_T5_mT6_T7_P12ihipStream_tbENKUlT_T0_E_clISt17integral_constantIbLb0EES14_EEDaSZ_S10_EUlSZ_E_NS1_11comp_targetILNS1_3genE4ELNS1_11target_archE910ELNS1_3gpuE8ELNS1_3repE0EEENS1_30default_config_static_selectorELNS0_4arch9wavefront6targetE1EEEvT1_
; %bb.0:
	s_load_dwordx4 s[0:3], s[4:5], 0x0
	s_load_dwordx2 s[8:9], s[4:5], 0x10
	s_load_dwordx4 s[44:47], s[4:5], 0x30
	s_load_dwordx2 s[50:51], s[4:5], 0x40
	s_load_dword s7, s[4:5], 0x48
	s_load_dwordx8 s[36:43], s[4:5], 0x50
	s_waitcnt lgkmcnt(0)
	s_lshl_b64 s[48:49], s[2:3], 2
	s_add_u32 s2, s0, s48
	s_addc_u32 s3, s1, s49
	s_add_u32 s8, s8, s48
	s_mul_i32 s0, s51, s7
	s_mul_hi_u32 s1, s50, s7
	s_addc_u32 s9, s9, s49
	s_add_i32 s10, s1, s0
	s_cmp_lg_u64 s[40:41], 0
	s_mul_i32 s0, s6, 0xe00
	s_mov_b32 s1, 0
	s_cselect_b64 s[56:57], -1, 0
	s_lshl_b64 s[40:41], s[0:1], 2
	s_add_u32 s54, s2, s40
	s_addc_u32 s55, s3, s41
	s_add_u32 s52, s8, s40
	s_mul_i32 s7, s50, s7
	s_addc_u32 s53, s9, s41
	s_add_u32 s58, s7, s6
	s_addc_u32 s59, s10, 0
	s_add_u32 s2, s36, -1
	s_addc_u32 s3, s37, -1
	v_pk_mov_b32 v[2:3], s[2:3], s[2:3] op_sel:[0,1]
	v_cmp_ge_u64_e64 s[0:1], s[58:59], v[2:3]
	s_mov_b64 s[20:21], 0
	s_mov_b64 s[16:17], -1
	s_and_b64 vcc, exec, s[0:1]
	s_mul_i32 s33, s2, 0xfffff200
	s_barrier
	s_cbranch_vccz .LBB932_77
; %bb.1:
	v_pk_mov_b32 v[2:3], s[54:55], s[54:55] op_sel:[0,1]
	flat_load_dword v1, v[2:3]
	s_add_i32 s7, s33, s46
	v_cmp_gt_u32_e64 s[2:3], s7, v0
	s_waitcnt vmcnt(0) lgkmcnt(0)
	v_mov_b32_e32 v11, v1
	s_and_saveexec_b64 s[8:9], s[2:3]
	s_cbranch_execz .LBB932_3
; %bb.2:
	v_lshlrev_b32_e32 v2, 2, v0
	v_mov_b32_e32 v3, s55
	v_add_co_u32_e32 v2, vcc, s54, v2
	v_addc_co_u32_e32 v3, vcc, 0, v3, vcc
	flat_load_dword v11, v[2:3]
.LBB932_3:
	s_or_b64 exec, exec, s[8:9]
	v_or_b32_e32 v2, 0x100, v0
	v_cmp_gt_u32_e64 s[34:35], s7, v2
	v_mov_b32_e32 v14, v1
	s_and_saveexec_b64 s[8:9], s[34:35]
	s_cbranch_execz .LBB932_5
; %bb.4:
	v_lshlrev_b32_e32 v2, 2, v0
	v_mov_b32_e32 v3, s55
	v_add_co_u32_e32 v2, vcc, s54, v2
	v_addc_co_u32_e32 v3, vcc, 0, v3, vcc
	flat_load_dword v14, v[2:3] offset:1024
.LBB932_5:
	s_or_b64 exec, exec, s[8:9]
	v_or_b32_e32 v2, 0x200, v0
	v_cmp_gt_u32_e64 s[8:9], s7, v2
	v_mov_b32_e32 v15, v1
	s_and_saveexec_b64 s[10:11], s[8:9]
	s_cbranch_execz .LBB932_7
; %bb.6:
	v_lshlrev_b32_e32 v2, 2, v0
	v_mov_b32_e32 v3, s55
	v_add_co_u32_e32 v2, vcc, s54, v2
	v_addc_co_u32_e32 v3, vcc, 0, v3, vcc
	flat_load_dword v15, v[2:3] offset:2048
.LBB932_7:
	;; [unrolled: 13-line block ×3, first 2 shown]
	s_or_b64 exec, exec, s[12:13]
	v_or_b32_e32 v2, 0x400, v0
	v_cmp_gt_u32_e64 s[12:13], s7, v2
	v_lshlrev_b32_e32 v2, 2, v2
	v_mov_b32_e32 v17, v1
	s_and_saveexec_b64 s[14:15], s[12:13]
	s_cbranch_execz .LBB932_11
; %bb.10:
	v_mov_b32_e32 v3, s55
	v_add_co_u32_e32 v4, vcc, s54, v2
	v_addc_co_u32_e32 v5, vcc, 0, v3, vcc
	flat_load_dword v17, v[4:5]
.LBB932_11:
	s_or_b64 exec, exec, s[14:15]
	v_or_b32_e32 v3, 0x500, v0
	v_cmp_gt_u32_e64 s[14:15], s7, v3
	v_lshlrev_b32_e32 v3, 2, v3
	v_mov_b32_e32 v18, v1
	s_and_saveexec_b64 s[16:17], s[14:15]
	s_cbranch_execz .LBB932_13
; %bb.12:
	v_mov_b32_e32 v5, s55
	v_add_co_u32_e32 v4, vcc, s54, v3
	v_addc_co_u32_e32 v5, vcc, 0, v5, vcc
	flat_load_dword v18, v[4:5]
.LBB932_13:
	;; [unrolled: 13-line block ×9, first 2 shown]
	s_or_b64 exec, exec, s[30:31]
	v_or_b32_e32 v12, 0xd00, v0
	v_cmp_gt_u32_e64 s[30:31], s7, v12
	v_lshlrev_b32_e32 v12, 2, v12
	s_and_saveexec_b64 s[36:37], s[30:31]
	s_cbranch_execz .LBB932_29
; %bb.28:
	v_mov_b32_e32 v1, s55
	v_add_co_u32_e32 v26, vcc, s54, v12
	v_addc_co_u32_e32 v27, vcc, 0, v1, vcc
	flat_load_dword v1, v[26:27]
.LBB932_29:
	s_or_b64 exec, exec, s[36:37]
	v_lshlrev_b32_e32 v13, 2, v0
	s_waitcnt vmcnt(0) lgkmcnt(0)
	ds_write2st64_b32 v13, v11, v14 offset1:4
	ds_write2st64_b32 v13, v15, v16 offset0:8 offset1:12
	ds_write2st64_b32 v13, v17, v18 offset0:16 offset1:20
	;; [unrolled: 1-line block ×6, first 2 shown]
	v_mad_u32_u24 v1, v0, 52, v13
	s_waitcnt lgkmcnt(0)
	s_barrier
	ds_read2_b64 v[34:37], v1 offset1:1
	ds_read2_b64 v[30:33], v1 offset0:2 offset1:3
	ds_read2_b64 v[26:29], v1 offset0:4 offset1:5
	ds_read_b64 v[40:41], v1 offset:48
	s_cmp_eq_u64 s[58:59], 0
	s_mov_b64 s[36:37], s[54:55]
	s_cbranch_scc1 .LBB932_33
; %bb.30:
	s_andn2_b64 vcc, exec, s[56:57]
	s_cbranch_vccnz .LBB932_179
; %bb.31:
	s_lshl_b64 s[36:37], s[58:59], 2
	s_add_u32 s36, s42, s36
	s_addc_u32 s37, s43, s37
	s_add_u32 s36, s36, -4
	s_addc_u32 s37, s37, -1
	s_cbranch_execnz .LBB932_33
.LBB932_32:
	s_add_u32 s36, s54, -4
	s_addc_u32 s37, s55, -1
.LBB932_33:
	v_pk_mov_b32 v[14:15], s[36:37], s[36:37] op_sel:[0,1]
	flat_load_dword v44, v[14:15]
	s_movk_i32 s36, 0xffcc
	v_mad_i32_i24 v11, v0, s36, v1
	v_cmp_ne_u32_e32 vcc, 0, v0
	s_waitcnt lgkmcnt(0)
	ds_write_b32 v11, v41 offset:14336
	s_waitcnt lgkmcnt(0)
	s_barrier
	s_and_saveexec_b64 s[36:37], vcc
	s_cbranch_execz .LBB932_35
; %bb.34:
	v_mul_i32_i24_e32 v11, 0xffffffcc, v0
	v_add_u32_e32 v11, v1, v11
	s_waitcnt vmcnt(0)
	ds_read_b32 v44, v11 offset:14332
.LBB932_35:
	s_or_b64 exec, exec, s[36:37]
	s_waitcnt lgkmcnt(0)
	s_barrier
	s_waitcnt lgkmcnt(0)
                                        ; implicit-def: $vgpr11
	s_and_saveexec_b64 s[36:37], s[2:3]
	s_cbranch_execnz .LBB932_166
; %bb.36:
	s_or_b64 exec, exec, s[36:37]
                                        ; implicit-def: $vgpr14
	s_and_saveexec_b64 s[2:3], s[34:35]
	s_cbranch_execnz .LBB932_167
.LBB932_37:
	s_or_b64 exec, exec, s[2:3]
                                        ; implicit-def: $vgpr15
	s_and_saveexec_b64 s[2:3], s[8:9]
	s_cbranch_execnz .LBB932_168
.LBB932_38:
	s_or_b64 exec, exec, s[2:3]
                                        ; implicit-def: $vgpr16
	s_and_saveexec_b64 s[2:3], s[10:11]
	s_cbranch_execnz .LBB932_169
.LBB932_39:
	s_or_b64 exec, exec, s[2:3]
                                        ; implicit-def: $vgpr17
	s_and_saveexec_b64 s[2:3], s[12:13]
	s_cbranch_execnz .LBB932_170
.LBB932_40:
	s_or_b64 exec, exec, s[2:3]
                                        ; implicit-def: $vgpr2
	s_and_saveexec_b64 s[2:3], s[14:15]
	s_cbranch_execnz .LBB932_171
.LBB932_41:
	s_or_b64 exec, exec, s[2:3]
                                        ; implicit-def: $vgpr3
	s_and_saveexec_b64 s[2:3], s[16:17]
	s_cbranch_execnz .LBB932_172
.LBB932_42:
	s_or_b64 exec, exec, s[2:3]
                                        ; implicit-def: $vgpr4
	s_and_saveexec_b64 s[2:3], s[18:19]
	s_cbranch_execnz .LBB932_173
.LBB932_43:
	s_or_b64 exec, exec, s[2:3]
                                        ; implicit-def: $vgpr5
	s_and_saveexec_b64 s[2:3], s[20:21]
	s_cbranch_execnz .LBB932_174
.LBB932_44:
	s_or_b64 exec, exec, s[2:3]
                                        ; implicit-def: $vgpr6
	s_and_saveexec_b64 s[2:3], s[22:23]
	s_cbranch_execnz .LBB932_175
.LBB932_45:
	s_or_b64 exec, exec, s[2:3]
                                        ; implicit-def: $vgpr7
	s_and_saveexec_b64 s[2:3], s[24:25]
	s_cbranch_execnz .LBB932_176
.LBB932_46:
	s_or_b64 exec, exec, s[2:3]
                                        ; implicit-def: $vgpr8
	s_and_saveexec_b64 s[2:3], s[26:27]
	s_cbranch_execnz .LBB932_177
.LBB932_47:
	s_or_b64 exec, exec, s[2:3]
                                        ; implicit-def: $vgpr9
	s_and_saveexec_b64 s[2:3], s[28:29]
	s_cbranch_execnz .LBB932_178
.LBB932_48:
	s_or_b64 exec, exec, s[2:3]
                                        ; implicit-def: $vgpr10
	s_and_saveexec_b64 s[2:3], s[30:31]
	s_cbranch_execz .LBB932_50
.LBB932_49:
	global_load_dword v10, v12, s[52:53]
	s_waitcnt vmcnt(0)
	v_sub_u32_e32 v10, 0, v10
.LBB932_50:
	s_or_b64 exec, exec, s[2:3]
	s_mov_b32 s8, 0
	s_mov_b32 s9, s8
	ds_write2st64_b32 v13, v11, v14 offset1:4
	ds_write2st64_b32 v13, v15, v16 offset0:8 offset1:12
	ds_write2st64_b32 v13, v17, v2 offset0:16 offset1:20
	;; [unrolled: 1-line block ×6, first 2 shown]
	s_mov_b32 s10, s8
	s_mov_b32 s11, s8
	;; [unrolled: 1-line block ×6, first 2 shown]
	v_pk_mov_b32 v[2:3], s[8:9], s[8:9] op_sel:[0,1]
	v_pk_mov_b32 v[8:9], s[14:15], s[14:15] op_sel:[0,1]
	v_mul_u32_u24_e32 v42, 14, v0
	v_pk_mov_b32 v[4:5], s[10:11], s[10:11] op_sel:[0,1]
	v_pk_mov_b32 v[6:7], s[12:13], s[12:13] op_sel:[0,1]
	;; [unrolled: 1-line block ×4, first 2 shown]
	v_cmp_gt_u32_e32 vcc, s7, v42
	s_mov_b64 s[16:17], 0
	v_pk_mov_b32 v[38:39], 0, 0
	s_mov_b64 s[20:21], 0
	v_pk_mov_b32 v[14:15], v[6:7], v[6:7] op_sel:[0,1]
	v_pk_mov_b32 v[12:13], v[4:5], v[4:5] op_sel:[0,1]
	;; [unrolled: 1-line block ×6, first 2 shown]
	s_waitcnt lgkmcnt(0)
	s_barrier
	s_waitcnt lgkmcnt(0)
                                        ; implicit-def: $sgpr2_sgpr3
                                        ; implicit-def: $vgpr43
	s_and_saveexec_b64 s[18:19], vcc
	s_cbranch_execz .LBB932_76
; %bb.51:
	v_or_b32_e32 v2, 1, v42
	ds_read_b32 v38, v1
	s_waitcnt vmcnt(0)
	v_cmp_ne_u32_e32 vcc, v44, v34
	v_cndmask_b32_e64 v39, 0, 1, vcc
	v_cmp_gt_u32_e32 vcc, s7, v2
	v_pk_mov_b32 v[2:3], s[8:9], s[8:9] op_sel:[0,1]
	v_pk_mov_b32 v[8:9], s[14:15], s[14:15] op_sel:[0,1]
	;; [unrolled: 1-line block ×6, first 2 shown]
	s_mov_b64 s[22:23], 0
	v_pk_mov_b32 v[14:15], v[6:7], v[6:7] op_sel:[0,1]
	v_pk_mov_b32 v[12:13], v[4:5], v[4:5] op_sel:[0,1]
	;; [unrolled: 1-line block ×6, first 2 shown]
                                        ; implicit-def: $sgpr8_sgpr9
                                        ; implicit-def: $vgpr43
	s_and_saveexec_b64 s[20:21], vcc
	s_cbranch_execz .LBB932_75
; %bb.52:
	ds_read2_b32 v[44:45], v1 offset0:1 offset1:2
	s_mov_b32 s8, 0
	s_mov_b32 s14, s8
	;; [unrolled: 1-line block ×8, first 2 shown]
	v_pk_mov_b32 v[16:17], s[14:15], s[14:15] op_sel:[0,1]
	v_add_u32_e32 v2, 2, v42
	v_cmp_ne_u32_e32 vcc, v34, v35
	v_mov_b32_e32 v6, 0
	v_pk_mov_b32 v[14:15], s[12:13], s[12:13] op_sel:[0,1]
	v_pk_mov_b32 v[12:13], s[10:11], s[10:11] op_sel:[0,1]
	;; [unrolled: 1-line block ×4, first 2 shown]
	v_cndmask_b32_e64 v3, 0, 1, vcc
	v_cmp_gt_u32_e32 vcc, s7, v2
	s_waitcnt lgkmcnt(0)
	v_mov_b32_e32 v2, v44
	v_mov_b32_e32 v4, v6
	;; [unrolled: 1-line block ×6, first 2 shown]
	s_mov_b64 s[2:3], 0
	v_pk_mov_b32 v[22:23], v[14:15], v[14:15] op_sel:[0,1]
	v_pk_mov_b32 v[20:21], v[12:13], v[12:13] op_sel:[0,1]
	;; [unrolled: 1-line block ×3, first 2 shown]
                                        ; implicit-def: $sgpr24_sgpr25
                                        ; implicit-def: $vgpr43
	s_and_saveexec_b64 s[22:23], vcc
	s_cbranch_execz .LBB932_74
; %bb.53:
	v_pk_mov_b32 v[16:17], s[14:15], s[14:15] op_sel:[0,1]
	v_add_u32_e32 v2, 3, v42
	v_cmp_ne_u32_e32 vcc, v35, v36
	v_pk_mov_b32 v[14:15], s[12:13], s[12:13] op_sel:[0,1]
	v_pk_mov_b32 v[12:13], s[10:11], s[10:11] op_sel:[0,1]
	;; [unrolled: 1-line block ×4, first 2 shown]
	v_cndmask_b32_e64 v5, 0, 1, vcc
	v_cmp_gt_u32_e32 vcc, s7, v2
	v_mov_b32_e32 v2, v44
	v_mov_b32_e32 v4, v45
	;; [unrolled: 1-line block ×5, first 2 shown]
	v_pk_mov_b32 v[22:23], v[14:15], v[14:15] op_sel:[0,1]
	v_pk_mov_b32 v[20:21], v[12:13], v[12:13] op_sel:[0,1]
	;; [unrolled: 1-line block ×3, first 2 shown]
                                        ; implicit-def: $sgpr8_sgpr9
                                        ; implicit-def: $vgpr43
	s_and_saveexec_b64 s[24:25], vcc
	s_cbranch_execz .LBB932_73
; %bb.54:
	ds_read2_b32 v[34:35], v1 offset0:3 offset1:4
	s_mov_b32 s8, 0
	s_mov_b32 s14, s8
	;; [unrolled: 1-line block ×8, first 2 shown]
	v_pk_mov_b32 v[16:17], s[14:15], s[14:15] op_sel:[0,1]
	v_add_u32_e32 v6, 4, v42
	v_cmp_ne_u32_e32 vcc, v36, v37
	v_pk_mov_b32 v[14:15], s[12:13], s[12:13] op_sel:[0,1]
	v_pk_mov_b32 v[12:13], s[10:11], s[10:11] op_sel:[0,1]
	v_pk_mov_b32 v[10:11], s[8:9], s[8:9] op_sel:[0,1]
	v_pk_mov_b32 v[24:25], v[16:17], v[16:17] op_sel:[0,1]
	v_cndmask_b32_e64 v7, 0, 1, vcc
	v_cmp_gt_u32_e32 vcc, s7, v6
	s_waitcnt lgkmcnt(0)
	v_mov_b32_e32 v6, v34
	v_mov_b32_e32 v8, s8
	;; [unrolled: 1-line block ×3, first 2 shown]
	v_pk_mov_b32 v[22:23], v[14:15], v[14:15] op_sel:[0,1]
	v_pk_mov_b32 v[20:21], v[12:13], v[12:13] op_sel:[0,1]
	;; [unrolled: 1-line block ×3, first 2 shown]
                                        ; implicit-def: $sgpr28_sgpr29
                                        ; implicit-def: $vgpr43
	s_and_saveexec_b64 s[26:27], vcc
	s_cbranch_execz .LBB932_72
; %bb.55:
	v_pk_mov_b32 v[16:17], s[14:15], s[14:15] op_sel:[0,1]
	v_add_u32_e32 v8, 5, v42
	v_cmp_ne_u32_e32 vcc, v37, v30
	v_pk_mov_b32 v[14:15], s[12:13], s[12:13] op_sel:[0,1]
	v_pk_mov_b32 v[12:13], s[10:11], s[10:11] op_sel:[0,1]
	v_pk_mov_b32 v[10:11], s[8:9], s[8:9] op_sel:[0,1]
	v_pk_mov_b32 v[24:25], v[16:17], v[16:17] op_sel:[0,1]
	v_cndmask_b32_e64 v9, 0, 1, vcc
	v_cmp_gt_u32_e32 vcc, s7, v8
	v_mov_b32_e32 v8, v35
	v_pk_mov_b32 v[22:23], v[14:15], v[14:15] op_sel:[0,1]
	v_pk_mov_b32 v[20:21], v[12:13], v[12:13] op_sel:[0,1]
	;; [unrolled: 1-line block ×3, first 2 shown]
                                        ; implicit-def: $sgpr8_sgpr9
                                        ; implicit-def: $vgpr43
	s_and_saveexec_b64 s[28:29], vcc
	s_cbranch_execz .LBB932_71
; %bb.56:
	ds_read2_b32 v[34:35], v1 offset0:5 offset1:6
	s_mov_b32 s8, 0
	s_mov_b32 s14, s8
	s_mov_b32 s15, s8
	v_add_u32_e32 v10, 6, v42
	v_cmp_ne_u32_e32 vcc, v30, v31
	v_mov_b32_e32 v14, 0
	s_mov_b32 s9, s8
	s_mov_b32 s10, s8
	s_mov_b32 s11, s8
	s_mov_b32 s12, s8
	s_mov_b32 s13, s8
	v_pk_mov_b32 v[24:25], s[14:15], s[14:15] op_sel:[0,1]
	v_cndmask_b32_e64 v11, 0, 1, vcc
	v_cmp_gt_u32_e32 vcc, s7, v10
	s_waitcnt lgkmcnt(0)
	v_mov_b32_e32 v10, v34
	v_mov_b32_e32 v12, v14
	;; [unrolled: 1-line block ×6, first 2 shown]
	v_pk_mov_b32 v[22:23], s[12:13], s[12:13] op_sel:[0,1]
	v_pk_mov_b32 v[20:21], s[10:11], s[10:11] op_sel:[0,1]
	;; [unrolled: 1-line block ×3, first 2 shown]
                                        ; implicit-def: $sgpr34_sgpr35
                                        ; implicit-def: $vgpr43
	s_and_saveexec_b64 s[30:31], vcc
	s_cbranch_execz .LBB932_70
; %bb.57:
	v_add_u32_e32 v10, 7, v42
	v_cmp_ne_u32_e32 vcc, v31, v32
	v_pk_mov_b32 v[24:25], s[14:15], s[14:15] op_sel:[0,1]
	v_cndmask_b32_e64 v13, 0, 1, vcc
	v_cmp_gt_u32_e32 vcc, s7, v10
	v_mov_b32_e32 v10, v34
	v_mov_b32_e32 v12, v35
	;; [unrolled: 1-line block ×5, first 2 shown]
	v_pk_mov_b32 v[22:23], s[12:13], s[12:13] op_sel:[0,1]
	v_pk_mov_b32 v[20:21], s[10:11], s[10:11] op_sel:[0,1]
	;; [unrolled: 1-line block ×3, first 2 shown]
                                        ; implicit-def: $sgpr8_sgpr9
                                        ; implicit-def: $vgpr43
	s_and_saveexec_b64 s[34:35], vcc
	s_cbranch_execz .LBB932_69
; %bb.58:
	ds_read2_b32 v[30:31], v1 offset0:7 offset1:8
	s_mov_b32 s8, 0
	s_mov_b32 s14, s8
	;; [unrolled: 1-line block ×3, first 2 shown]
	v_add_u32_e32 v14, 8, v42
	v_cmp_ne_u32_e32 vcc, v32, v33
	s_mov_b32 s9, s8
	s_mov_b32 s10, s8
	;; [unrolled: 1-line block ×5, first 2 shown]
	v_pk_mov_b32 v[24:25], s[14:15], s[14:15] op_sel:[0,1]
	v_cndmask_b32_e64 v15, 0, 1, vcc
	v_cmp_gt_u32_e32 vcc, s7, v14
	s_waitcnt lgkmcnt(0)
	v_mov_b32_e32 v14, v30
	v_mov_b32_e32 v16, s8
	;; [unrolled: 1-line block ×3, first 2 shown]
	v_pk_mov_b32 v[22:23], s[12:13], s[12:13] op_sel:[0,1]
	v_pk_mov_b32 v[20:21], s[10:11], s[10:11] op_sel:[0,1]
	;; [unrolled: 1-line block ×3, first 2 shown]
                                        ; implicit-def: $sgpr60_sgpr61
                                        ; implicit-def: $vgpr43
	s_and_saveexec_b64 s[36:37], vcc
	s_cbranch_execz .LBB932_68
; %bb.59:
	v_add_u32_e32 v16, 9, v42
	v_cmp_ne_u32_e32 vcc, v33, v26
	v_pk_mov_b32 v[24:25], s[14:15], s[14:15] op_sel:[0,1]
	v_cndmask_b32_e64 v17, 0, 1, vcc
	v_cmp_gt_u32_e32 vcc, s7, v16
	v_mov_b32_e32 v16, v31
	v_pk_mov_b32 v[22:23], s[12:13], s[12:13] op_sel:[0,1]
	v_pk_mov_b32 v[20:21], s[10:11], s[10:11] op_sel:[0,1]
	;; [unrolled: 1-line block ×3, first 2 shown]
                                        ; implicit-def: $sgpr10_sgpr11
                                        ; implicit-def: $vgpr43
	s_and_saveexec_b64 s[8:9], vcc
	s_cbranch_execz .LBB932_67
; %bb.60:
	ds_read2_b32 v[30:31], v1 offset0:9 offset1:10
	v_add_u32_e32 v18, 10, v42
	v_cmp_ne_u32_e32 vcc, v26, v27
	v_mov_b32_e32 v22, 0
	v_cndmask_b32_e64 v19, 0, 1, vcc
	v_cmp_gt_u32_e32 vcc, s7, v18
	s_waitcnt lgkmcnt(0)
	v_mov_b32_e32 v18, v30
	v_mov_b32_e32 v20, v22
	;; [unrolled: 1-line block ×6, first 2 shown]
                                        ; implicit-def: $sgpr12_sgpr13
                                        ; implicit-def: $vgpr43
	s_and_saveexec_b64 s[10:11], vcc
	s_cbranch_execz .LBB932_66
; %bb.61:
	v_add_u32_e32 v18, 11, v42
	v_cmp_ne_u32_e32 vcc, v27, v28
	v_cndmask_b32_e64 v21, 0, 1, vcc
	v_cmp_gt_u32_e32 vcc, s7, v18
	s_mov_b32 s47, 0
	v_mov_b32_e32 v18, v30
	v_mov_b32_e32 v20, v31
	;; [unrolled: 1-line block ×5, first 2 shown]
                                        ; implicit-def: $sgpr14_sgpr15
                                        ; implicit-def: $vgpr43
	s_and_saveexec_b64 s[12:13], vcc
	s_cbranch_execz .LBB932_65
; %bb.62:
	ds_read2_b32 v[26:27], v1 offset0:11 offset1:12
	v_add_u32_e32 v22, 12, v42
	v_cmp_ne_u32_e32 vcc, v28, v29
	v_cndmask_b32_e64 v23, 0, 1, vcc
	v_cmp_gt_u32_e32 vcc, s7, v22
	s_waitcnt lgkmcnt(0)
	v_mov_b32_e32 v22, v26
	v_mov_b32_e32 v24, s47
	;; [unrolled: 1-line block ×3, first 2 shown]
                                        ; implicit-def: $sgpr14_sgpr15
                                        ; implicit-def: $vgpr43
	s_and_saveexec_b64 s[60:61], vcc
	s_xor_b64 s[60:61], exec, s[60:61]
	s_cbranch_execz .LBB932_64
; %bb.63:
	ds_read_b32 v43, v1 offset:52
	v_add_u32_e32 v1, 13, v42
	v_cmp_ne_u32_e64 s[2:3], v29, v40
	v_cmp_ne_u32_e32 vcc, v40, v41
	v_cndmask_b32_e64 v25, 0, 1, s[2:3]
	v_cmp_gt_u32_e64 s[2:3], s7, v1
	v_mov_b32_e32 v24, v27
	s_and_b64 s[14:15], vcc, exec
	s_and_b64 s[2:3], s[2:3], exec
.LBB932_64:
	s_or_b64 exec, exec, s[60:61]
	s_and_b64 s[14:15], s[14:15], exec
	s_and_b64 s[2:3], s[2:3], exec
.LBB932_65:
	s_or_b64 exec, exec, s[12:13]
	s_and_b64 s[12:13], s[14:15], exec
	s_and_b64 s[2:3], s[2:3], exec
.LBB932_66:
	s_or_b64 exec, exec, s[10:11]
	s_and_b64 s[10:11], s[12:13], exec
	s_and_b64 s[2:3], s[2:3], exec
.LBB932_67:
	s_or_b64 exec, exec, s[8:9]
	s_and_b64 s[60:61], s[10:11], exec
	s_and_b64 s[2:3], s[2:3], exec
.LBB932_68:
	s_or_b64 exec, exec, s[36:37]
	s_and_b64 s[8:9], s[60:61], exec
	s_and_b64 s[2:3], s[2:3], exec
.LBB932_69:
	s_or_b64 exec, exec, s[34:35]
	s_and_b64 s[34:35], s[8:9], exec
	s_and_b64 s[2:3], s[2:3], exec
.LBB932_70:
	s_or_b64 exec, exec, s[30:31]
	s_and_b64 s[8:9], s[34:35], exec
	s_and_b64 s[2:3], s[2:3], exec
.LBB932_71:
	s_or_b64 exec, exec, s[28:29]
	s_and_b64 s[28:29], s[8:9], exec
	s_and_b64 s[2:3], s[2:3], exec
.LBB932_72:
	s_or_b64 exec, exec, s[26:27]
	s_and_b64 s[8:9], s[28:29], exec
	s_and_b64 s[2:3], s[2:3], exec
.LBB932_73:
	s_or_b64 exec, exec, s[24:25]
	s_and_b64 s[24:25], s[8:9], exec
	s_and_b64 s[2:3], s[2:3], exec
.LBB932_74:
	s_or_b64 exec, exec, s[22:23]
	s_and_b64 s[8:9], s[24:25], exec
	s_and_b64 s[22:23], s[2:3], exec
.LBB932_75:
	s_or_b64 exec, exec, s[20:21]
	s_and_b64 s[2:3], s[8:9], exec
	s_and_b64 s[20:21], s[22:23], exec
.LBB932_76:
	s_or_b64 exec, exec, s[18:19]
	s_and_b64 vcc, exec, s[16:17]
	v_lshlrev_b32_e32 v50, 2, v0
	s_cbranch_vccnz .LBB932_78
	s_branch .LBB932_86
.LBB932_77:
                                        ; implicit-def: $sgpr2_sgpr3
                                        ; implicit-def: $vgpr2_vgpr3_vgpr4_vgpr5_vgpr6_vgpr7_vgpr8_vgpr9
                                        ; implicit-def: $vgpr10_vgpr11_vgpr12_vgpr13_vgpr14_vgpr15_vgpr16_vgpr17
                                        ; implicit-def: $vgpr18_vgpr19_vgpr20_vgpr21_vgpr22_vgpr23_vgpr24_vgpr25
                                        ; implicit-def: $vgpr43
                                        ; implicit-def: $vgpr38_vgpr39
	s_and_b64 vcc, exec, s[16:17]
	v_lshlrev_b32_e32 v50, 2, v0
	s_cbranch_vccz .LBB932_86
.LBB932_78:
	v_mov_b32_e32 v1, s55
	v_add_co_u32_e32 v2, vcc, s54, v50
	v_addc_co_u32_e32 v3, vcc, 0, v1, vcc
	v_add_co_u32_e32 v4, vcc, 0x1000, v2
	v_addc_co_u32_e32 v5, vcc, 0, v3, vcc
	flat_load_dword v6, v[2:3]
	flat_load_dword v7, v[2:3] offset:1024
	flat_load_dword v8, v[2:3] offset:2048
	;; [unrolled: 1-line block ×3, first 2 shown]
	flat_load_dword v10, v[4:5]
	flat_load_dword v11, v[4:5] offset:1024
	flat_load_dword v12, v[4:5] offset:2048
	;; [unrolled: 1-line block ×3, first 2 shown]
	v_add_co_u32_e32 v4, vcc, 0x2000, v2
	v_addc_co_u32_e32 v5, vcc, 0, v3, vcc
	v_add_co_u32_e32 v2, vcc, 0x3000, v2
	v_addc_co_u32_e32 v3, vcc, 0, v3, vcc
	flat_load_dword v14, v[4:5]
	flat_load_dword v15, v[4:5] offset:1024
	flat_load_dword v16, v[4:5] offset:2048
	flat_load_dword v17, v[4:5] offset:3072
	flat_load_dword v18, v[2:3]
	flat_load_dword v19, v[2:3] offset:1024
	v_mad_u32_u24 v1, v0, 52, v50
	s_cmp_eq_u64 s[58:59], 0
	s_waitcnt vmcnt(0) lgkmcnt(0)
	ds_write2st64_b32 v50, v6, v7 offset1:4
	ds_write2st64_b32 v50, v8, v9 offset0:8 offset1:12
	ds_write2st64_b32 v50, v10, v11 offset0:16 offset1:20
	;; [unrolled: 1-line block ×6, first 2 shown]
	s_waitcnt lgkmcnt(0)
	s_barrier
	ds_read2_b64 v[2:5], v1 offset1:1
	ds_read2_b64 v[10:13], v1 offset0:2 offset1:3
	ds_read2_b64 v[18:21], v1 offset0:4 offset1:5
	ds_read_b64 v[22:23], v1 offset:48
	s_cbranch_scc1 .LBB932_83
; %bb.79:
	s_andn2_b64 vcc, exec, s[56:57]
	s_cbranch_vccnz .LBB932_180
; %bb.80:
	s_lshl_b64 s[2:3], s[58:59], 2
	s_add_u32 s2, s42, s2
	s_addc_u32 s3, s43, s3
	s_add_u32 s2, s2, -4
	s_addc_u32 s3, s3, -1
	s_cbranch_execnz .LBB932_82
.LBB932_81:
	s_add_u32 s2, s54, -4
	s_addc_u32 s3, s55, -1
.LBB932_82:
	s_mov_b64 s[54:55], s[2:3]
.LBB932_83:
	v_pk_mov_b32 v[6:7], s[54:55], s[54:55] op_sel:[0,1]
	flat_load_dword v6, v[6:7]
	s_movk_i32 s2, 0xffcc
	v_mad_i32_i24 v7, v0, s2, v1
	v_cmp_ne_u32_e32 vcc, 0, v0
	s_waitcnt lgkmcnt(0)
	ds_write_b32 v7, v23 offset:14336
	s_waitcnt lgkmcnt(0)
	s_barrier
	s_and_saveexec_b64 s[2:3], vcc
	s_cbranch_execz .LBB932_85
; %bb.84:
	s_waitcnt vmcnt(0)
	v_mul_i32_i24_e32 v6, 0xffffffcc, v0
	v_add_u32_e32 v6, v1, v6
	ds_read_b32 v6, v6 offset:14332
.LBB932_85:
	s_or_b64 exec, exec, s[2:3]
	v_mov_b32_e32 v7, s53
	v_add_co_u32_e32 v16, vcc, s52, v50
	v_addc_co_u32_e32 v7, vcc, 0, v7, vcc
	s_movk_i32 s2, 0x1000
	v_add_co_u32_e32 v8, vcc, s2, v16
	v_addc_co_u32_e32 v9, vcc, 0, v7, vcc
	s_movk_i32 s2, 0x2000
	;; [unrolled: 3-line block ×3, first 2 shown]
	s_waitcnt lgkmcnt(0)
	s_barrier
	global_load_dword v24, v50, s[52:53]
	global_load_dword v25, v50, s[52:53] offset:1024
	global_load_dword v26, v50, s[52:53] offset:2048
	;; [unrolled: 1-line block ×3, first 2 shown]
	global_load_dword v28, v[8:9], off offset:1024
	global_load_dword v29, v[8:9], off offset:2048
	;; [unrolled: 1-line block ×3, first 2 shown]
	global_load_dword v31, v[14:15], off offset:-4096
	global_load_dword v32, v[14:15], off
	global_load_dword v33, v[14:15], off offset:1024
	global_load_dword v34, v[14:15], off offset:2048
	;; [unrolled: 1-line block ×3, first 2 shown]
	v_add_co_u32_e32 v8, vcc, s2, v16
	v_addc_co_u32_e32 v9, vcc, 0, v7, vcc
	global_load_dword v14, v[8:9], off
	global_load_dword v16, v[8:9], off offset:1024
	s_waitcnt vmcnt(0)
	v_cmp_ne_u32_e32 vcc, v6, v2
	v_cndmask_b32_e64 v39, 0, 1, vcc
	v_cmp_ne_u32_e32 vcc, v5, v10
	v_cndmask_b32_e64 v9, 0, 1, vcc
	;; [unrolled: 2-line block ×5, first 2 shown]
	v_cmp_ne_u32_e32 vcc, v13, v18
	v_cmp_ne_u32_e64 s[2:3], v22, v23
	v_cndmask_b32_e64 v17, 0, 1, vcc
	v_cmp_ne_u32_e32 vcc, v12, v13
	v_cndmask_b32_e64 v15, 0, 1, vcc
	v_cmp_ne_u32_e32 vcc, v11, v12
	s_mov_b64 s[20:21], -1
                                        ; implicit-def: $sgpr16_sgpr17
	v_sub_u32_e32 v2, 0, v24
	v_sub_u32_e32 v4, 0, v25
	;; [unrolled: 1-line block ×4, first 2 shown]
	ds_write2st64_b32 v50, v2, v4 offset1:4
	ds_write2st64_b32 v50, v6, v8 offset0:8 offset1:12
	v_sub_u32_e32 v2, 0, v31
	v_sub_u32_e32 v4, 0, v28
	;; [unrolled: 1-line block ×10, first 2 shown]
	ds_write2st64_b32 v50, v2, v4 offset0:16 offset1:20
	ds_write2st64_b32 v50, v6, v8 offset0:24 offset1:28
	;; [unrolled: 1-line block ×5, first 2 shown]
	s_waitcnt lgkmcnt(0)
	s_barrier
	ds_read2_b32 v[42:43], v1 offset1:13
	ds_read2_b32 v[24:25], v1 offset0:7 offset1:8
	ds_read2_b32 v[26:27], v1 offset0:5 offset1:6
	;; [unrolled: 1-line block ×4, first 2 shown]
	v_cndmask_b32_e64 v13, 0, 1, vcc
	v_cmp_ne_u32_e32 vcc, v10, v11
	s_waitcnt lgkmcnt(2)
	v_mov_b32_e32 v10, v26
	s_waitcnt lgkmcnt(1)
	v_mov_b32_e32 v6, v28
	v_mov_b32_e32 v8, v29
	;; [unrolled: 1-line block ×3, first 2 shown]
	ds_read2_b32 v[26:27], v1 offset0:11 offset1:12
	ds_read2_b32 v[28:29], v1 offset0:9 offset1:10
	v_cndmask_b32_e64 v11, 0, 1, vcc
	v_cmp_ne_u32_e32 vcc, v21, v22
	v_mov_b32_e32 v16, v25
	v_cndmask_b32_e64 v25, 0, 1, vcc
	v_cmp_ne_u32_e32 vcc, v20, v21
	v_cndmask_b32_e64 v23, 0, 1, vcc
	v_cmp_ne_u32_e32 vcc, v19, v20
	;; [unrolled: 2-line block ×3, first 2 shown]
	v_mov_b32_e32 v38, v42
	s_waitcnt lgkmcnt(2)
	v_mov_b32_e32 v2, v30
	v_mov_b32_e32 v4, v31
	;; [unrolled: 1-line block ×3, first 2 shown]
	v_cndmask_b32_e64 v19, 0, 1, vcc
	s_waitcnt lgkmcnt(0)
	v_mov_b32_e32 v18, v28
	v_mov_b32_e32 v20, v29
	;; [unrolled: 1-line block ×4, first 2 shown]
.LBB932_86:
	v_pk_mov_b32 v[40:41], s[16:17], s[16:17] op_sel:[0,1]
	s_and_saveexec_b64 s[8:9], s[20:21]
	s_cbranch_execz .LBB932_88
; %bb.87:
	v_cndmask_b32_e64 v41, 0, 1, s[2:3]
	s_waitcnt lgkmcnt(0)
	v_mov_b32_e32 v40, v43
.LBB932_88:
	s_or_b64 exec, exec, s[8:9]
	s_mov_b32 s28, 0
	s_cmp_lg_u32 s6, 0
	v_mbcnt_lo_u32_b32 v52, -1, 0
	v_lshrrev_b32_e32 v1, 6, v0
	v_or_b32_e32 v51, 63, v0
	s_waitcnt lgkmcnt(0)
	s_barrier
	s_cbranch_scc0 .LBB932_117
; %bb.89:
	s_mov_b32 s29, 1
	v_cmp_gt_u64_e64 s[2:3], s[28:29], v[2:3]
	v_cndmask_b32_e64 v27, 0, v38, s[2:3]
	v_add_u32_e32 v27, v27, v2
	v_cmp_gt_u64_e64 s[34:35], s[28:29], v[4:5]
	v_cndmask_b32_e64 v27, 0, v27, s[34:35]
	v_add_u32_e32 v27, v27, v4
	;; [unrolled: 3-line block ×13, first 2 shown]
	v_or3_b32 v27, v41, v25, v23
	v_or3_b32 v27, v27, v21, v19
	;; [unrolled: 1-line block ×6, first 2 shown]
	v_mov_b32_e32 v26, 0
	v_and_b32_e32 v27, 1, v27
	v_cmp_eq_u64_e32 vcc, 0, v[26:27]
	v_cndmask_b32_e32 v26, 1, v39, vcc
	v_mbcnt_hi_u32_b32 v46, -1, v52
	v_mov_b32_dpp v29, v28 row_shr:1 row_mask:0xf bank_mask:0xf
	v_mov_b32_dpp v30, v26 row_shr:1 row_mask:0xf bank_mask:0xf
	v_cmp_eq_u32_e32 vcc, 0, v26
	v_and_b32_e32 v31, 1, v26
	v_and_b32_e32 v27, 15, v46
	v_cndmask_b32_e32 v29, 0, v29, vcc
	v_and_b32_e32 v30, 1, v30
	v_cmp_eq_u32_e32 vcc, 1, v31
	v_cndmask_b32_e64 v30, v30, 1, vcc
	v_cmp_eq_u32_e32 vcc, 0, v27
	v_cndmask_b32_e32 v26, v30, v26, vcc
	v_and_b32_e32 v31, 1, v26
	v_cmp_eq_u32_e64 s[30:31], 1, v31
	v_mov_b32_dpp v30, v26 row_shr:2 row_mask:0xf bank_mask:0xf
	v_and_b32_e32 v30, 1, v30
	v_cndmask_b32_e64 v30, v30, 1, s[30:31]
	v_cmp_lt_u32_e64 s[30:31], 1, v27
	v_cndmask_b32_e64 v29, v29, 0, vcc
	v_cmp_eq_u32_e32 vcc, 0, v26
	v_cndmask_b32_e64 v26, v26, v30, s[30:31]
	v_add_u32_e32 v28, v29, v28
	v_and_b32_e32 v31, 1, v26
	v_mov_b32_dpp v30, v26 row_shr:4 row_mask:0xf bank_mask:0xf
	v_mov_b32_dpp v29, v28 row_shr:2 row_mask:0xf bank_mask:0xf
	s_and_b64 vcc, s[30:31], vcc
	v_and_b32_e32 v30, 1, v30
	v_cmp_eq_u32_e64 s[30:31], 1, v31
	v_cndmask_b32_e32 v29, 0, v29, vcc
	v_cndmask_b32_e64 v30, v30, 1, s[30:31]
	v_cmp_lt_u32_e64 s[30:31], 3, v27
	v_add_u32_e32 v28, v29, v28
	v_cmp_eq_u32_e32 vcc, 0, v26
	v_cndmask_b32_e64 v26, v26, v30, s[30:31]
	v_mov_b32_dpp v29, v28 row_shr:4 row_mask:0xf bank_mask:0xf
	s_and_b64 vcc, s[30:31], vcc
	v_mov_b32_dpp v30, v26 row_shr:8 row_mask:0xf bank_mask:0xf
	v_and_b32_e32 v31, 1, v26
	v_cndmask_b32_e32 v29, 0, v29, vcc
	v_and_b32_e32 v30, 1, v30
	v_cmp_eq_u32_e64 s[30:31], 1, v31
	v_add_u32_e32 v28, v29, v28
	v_cmp_eq_u32_e32 vcc, 0, v26
	v_cndmask_b32_e64 v30, v30, 1, s[30:31]
	v_cmp_lt_u32_e64 s[30:31], 7, v27
	v_mov_b32_dpp v29, v28 row_shr:8 row_mask:0xf bank_mask:0xf
	s_and_b64 vcc, s[30:31], vcc
	v_cndmask_b32_e32 v27, 0, v29, vcc
	v_cndmask_b32_e64 v26, v26, v30, s[30:31]
	v_add_u32_e32 v27, v27, v28
	v_cmp_eq_u32_e32 vcc, 0, v26
	v_mov_b32_dpp v29, v26 row_bcast:15 row_mask:0xf bank_mask:0xf
	v_mov_b32_dpp v28, v27 row_bcast:15 row_mask:0xf bank_mask:0xf
	v_and_b32_e32 v32, 1, v26
	v_and_b32_e32 v31, 16, v46
	v_cndmask_b32_e32 v28, 0, v28, vcc
	v_and_b32_e32 v29, 1, v29
	v_cmp_eq_u32_e32 vcc, 1, v32
	v_bfe_i32 v30, v46, 4, 1
	v_cndmask_b32_e64 v29, v29, 1, vcc
	v_cmp_eq_u32_e32 vcc, 0, v31
	v_and_b32_e32 v28, v30, v28
	v_cndmask_b32_e32 v26, v29, v26, vcc
	v_add_u32_e32 v27, v28, v27
	v_and_b32_e32 v30, 1, v26
	v_mov_b32_dpp v28, v26 row_bcast:31 row_mask:0xf bank_mask:0xf
	v_and_b32_e32 v28, 1, v28
	v_cmp_eq_u32_e64 s[30:31], 1, v30
	v_cmp_eq_u32_e32 vcc, 0, v26
	v_cndmask_b32_e64 v28, v28, 1, s[30:31]
	v_cmp_lt_u32_e64 s[30:31], 31, v46
	v_mov_b32_dpp v29, v27 row_bcast:31 row_mask:0xf bank_mask:0xf
	s_and_b64 vcc, s[30:31], vcc
	v_cndmask_b32_e64 v28, v26, v28, s[30:31]
	v_cndmask_b32_e32 v26, 0, v29, vcc
	v_add_u32_e32 v29, v26, v27
	v_cmp_eq_u32_e32 vcc, v51, v0
	s_and_saveexec_b64 s[30:31], vcc
	s_cbranch_execz .LBB932_91
; %bb.90:
	v_lshlrev_b32_e32 v26, 3, v1
	ds_write_b32 v26, v29
	ds_write_b8 v26, v28 offset:4
.LBB932_91:
	s_or_b64 exec, exec, s[30:31]
	v_cmp_gt_u32_e32 vcc, 4, v0
	s_waitcnt lgkmcnt(0)
	s_barrier
	s_and_saveexec_b64 s[30:31], vcc
	s_cbranch_execz .LBB932_95
; %bb.92:
	v_lshlrev_b32_e32 v30, 3, v0
	ds_read_b64 v[26:27], v30
	v_and_b32_e32 v31, 3, v46
	v_cmp_ne_u32_e32 vcc, 0, v31
	s_waitcnt lgkmcnt(0)
	v_mov_b32_dpp v32, v26 row_shr:1 row_mask:0xf bank_mask:0xf
	v_mov_b32_dpp v34, v27 row_shr:1 row_mask:0xf bank_mask:0xf
	v_mov_b32_e32 v33, v27
	s_and_saveexec_b64 s[36:37], vcc
	s_cbranch_execz .LBB932_94
; %bb.93:
	v_and_b32_e32 v33, 1, v27
	v_and_b32_e32 v34, 1, v34
	v_cmp_eq_u32_e32 vcc, 1, v33
	v_mov_b32_e32 v33, 0
	v_cndmask_b32_e64 v34, v34, 1, vcc
	v_cmp_eq_u16_sdwa vcc, v27, v33 src0_sel:BYTE_0 src1_sel:DWORD
	v_cndmask_b32_e32 v32, 0, v32, vcc
	v_add_u32_e32 v26, v32, v26
	v_and_b32_e32 v32, 0xffff, v34
	s_movk_i32 s7, 0xff00
	v_and_or_b32 v33, v27, s7, v32
	v_mov_b32_e32 v27, v34
.LBB932_94:
	s_or_b64 exec, exec, s[36:37]
	v_mov_b32_dpp v33, v33 row_shr:2 row_mask:0xf bank_mask:0xf
	v_and_b32_e32 v34, 1, v27
	v_and_b32_e32 v33, 1, v33
	v_cmp_eq_u32_e32 vcc, 1, v34
	v_mov_b32_e32 v34, 0
	v_cndmask_b32_e64 v33, v33, 1, vcc
	v_cmp_eq_u16_sdwa s[36:37], v27, v34 src0_sel:BYTE_0 src1_sel:DWORD
	v_cmp_lt_u32_e32 vcc, 1, v31
	v_mov_b32_dpp v32, v26 row_shr:2 row_mask:0xf bank_mask:0xf
	v_cndmask_b32_e32 v27, v27, v33, vcc
	s_and_b64 vcc, vcc, s[36:37]
	v_cndmask_b32_e32 v31, 0, v32, vcc
	v_add_u32_e32 v26, v31, v26
	ds_write_b32 v30, v26
	ds_write_b8 v30, v27 offset:4
.LBB932_95:
	s_or_b64 exec, exec, s[30:31]
	v_cmp_gt_u32_e32 vcc, 64, v0
	v_cmp_lt_u32_e64 s[30:31], 63, v0
	v_mov_b32_e32 v42, 0
	v_mov_b32_e32 v43, 0
	s_waitcnt lgkmcnt(0)
	s_barrier
	s_and_saveexec_b64 s[36:37], s[30:31]
	s_cbranch_execz .LBB932_97
; %bb.96:
	v_lshl_add_u32 v26, v1, 3, -8
	ds_read_b32 v42, v26
	ds_read_u8 v43, v26 offset:4
	v_and_b32_e32 v27, 1, v28
	v_cmp_eq_u32_e64 s[30:31], 0, v28
	s_waitcnt lgkmcnt(0)
	v_cndmask_b32_e64 v26, 0, v42, s[30:31]
	v_cmp_eq_u32_e64 s[30:31], 1, v27
	v_add_u32_e32 v29, v26, v29
	v_cndmask_b32_e64 v28, v43, 1, s[30:31]
.LBB932_97:
	s_or_b64 exec, exec, s[36:37]
	v_add_u32_e32 v26, -1, v46
	v_and_b32_e32 v27, 64, v46
	v_cmp_lt_i32_e64 s[30:31], v26, v27
	v_cndmask_b32_e64 v26, v26, v46, s[30:31]
	v_lshlrev_b32_e32 v26, 2, v26
	s_waitcnt vmcnt(0)
	ds_bpermute_b32 v44, v26, v29
	ds_bpermute_b32 v45, v26, v28
	v_cmp_eq_u32_e64 s[30:31], 0, v46
	s_and_saveexec_b64 s[42:43], vcc
	s_cbranch_execz .LBB932_116
; %bb.98:
	v_mov_b32_e32 v29, 0
	ds_read_b64 v[26:27], v29 offset:24
	s_waitcnt lgkmcnt(0)
	v_readfirstlane_b32 s7, v27
	s_and_saveexec_b64 s[36:37], s[30:31]
	s_cbranch_execz .LBB932_100
; %bb.99:
	s_add_i32 s52, s6, 64
	s_mov_b32 s53, 0
	s_lshl_b64 s[54:55], s[52:53], 4
	s_add_u32 s54, s44, s54
	s_addc_u32 s55, s45, s55
	s_and_b32 s57, s7, 0xff000000
	s_mov_b32 s56, s53
	s_and_b32 s59, s7, 0xff0000
	s_mov_b32 s58, s53
	s_or_b64 s[56:57], s[58:59], s[56:57]
	s_and_b32 s59, s7, 0xff00
	s_or_b64 s[56:57], s[56:57], s[58:59]
	s_and_b32 s59, s7, 0xff
	s_or_b64 s[52:53], s[56:57], s[58:59]
	v_mov_b32_e32 v27, s53
	v_mov_b32_e32 v28, 1
	v_pk_mov_b32 v[30:31], s[54:55], s[54:55] op_sel:[0,1]
	;;#ASMSTART
	global_store_dwordx4 v[30:31], v[26:29] off	
s_waitcnt vmcnt(0)
	;;#ASMEND
.LBB932_100:
	s_or_b64 exec, exec, s[36:37]
	v_xad_u32 v34, v46, -1, s6
	v_add_u32_e32 v28, 64, v34
	v_lshlrev_b64 v[30:31], 4, v[28:29]
	v_mov_b32_e32 v27, s45
	v_add_co_u32_e32 v36, vcc, s44, v30
	v_addc_co_u32_e32 v37, vcc, v27, v31, vcc
	;;#ASMSTART
	global_load_dwordx4 v[30:33], v[36:37] off glc	
s_waitcnt vmcnt(0)
	;;#ASMEND
	v_and_b32_e32 v27, 0xff0000, v30
	v_or_b32_sdwa v27, v30, v27 dst_sel:DWORD dst_unused:UNUSED_PAD src0_sel:WORD_0 src1_sel:DWORD
	v_and_b32_e32 v28, 0xff000000, v30
	v_and_b32_e32 v30, 0xff, v31
	v_or3_b32 v31, 0, 0, v30
	v_or3_b32 v30, v27, v28, 0
	v_cmp_eq_u16_sdwa s[52:53], v32, v29 src0_sel:BYTE_0 src1_sel:DWORD
	s_and_saveexec_b64 s[36:37], s[52:53]
	s_cbranch_execz .LBB932_104
; %bb.101:
	s_mov_b64 s[52:53], 0
	v_mov_b32_e32 v27, 0
.LBB932_102:                            ; =>This Inner Loop Header: Depth=1
	;;#ASMSTART
	global_load_dwordx4 v[30:33], v[36:37] off glc	
s_waitcnt vmcnt(0)
	;;#ASMEND
	v_cmp_ne_u16_sdwa s[54:55], v32, v27 src0_sel:BYTE_0 src1_sel:DWORD
	s_or_b64 s[52:53], s[54:55], s[52:53]
	s_andn2_b64 exec, exec, s[52:53]
	s_cbranch_execnz .LBB932_102
; %bb.103:
	s_or_b64 exec, exec, s[52:53]
	v_and_b32_e32 v31, 0xff, v31
.LBB932_104:
	s_or_b64 exec, exec, s[36:37]
	v_mov_b32_e32 v27, 2
	v_cmp_eq_u16_sdwa s[36:37], v32, v27 src0_sel:BYTE_0 src1_sel:DWORD
	v_lshlrev_b64 v[28:29], v46, -1
	v_and_b32_e32 v33, s37, v29
	v_or_b32_e32 v33, 0x80000000, v33
	v_and_b32_e32 v35, s36, v28
	v_ffbl_b32_e32 v33, v33
	v_and_b32_e32 v47, 63, v46
	v_add_u32_e32 v33, 32, v33
	v_ffbl_b32_e32 v35, v35
	v_cmp_ne_u32_e32 vcc, 63, v47
	v_min_u32_e32 v33, v35, v33
	v_addc_co_u32_e32 v35, vcc, 0, v46, vcc
	v_lshlrev_b32_e32 v48, 2, v35
	ds_bpermute_b32 v35, v48, v31
	ds_bpermute_b32 v36, v48, v30
	s_mov_b32 s52, 0
	v_and_b32_e32 v37, 1, v31
	s_mov_b32 s53, 1
	s_waitcnt lgkmcnt(1)
	v_and_b32_e32 v35, 1, v35
	v_cmp_eq_u32_e32 vcc, 1, v37
	v_cndmask_b32_e64 v35, v35, 1, vcc
	v_cmp_gt_u64_e32 vcc, s[52:53], v[30:31]
	v_cmp_lt_u32_e64 s[36:37], v47, v33
	s_and_b64 vcc, s[36:37], vcc
	v_and_b32_e32 v37, 0xffff, v35
	v_cndmask_b32_e64 v54, v31, v35, s[36:37]
	s_waitcnt lgkmcnt(0)
	v_cndmask_b32_e32 v35, 0, v36, vcc
	v_cmp_gt_u32_e32 vcc, 62, v47
	v_cndmask_b32_e64 v36, 0, 1, vcc
	v_lshlrev_b32_e32 v36, 1, v36
	v_cndmask_b32_e64 v31, v31, v37, s[36:37]
	v_add_lshl_u32 v49, v36, v46, 2
	ds_bpermute_b32 v36, v49, v31
	v_add_u32_e32 v30, v35, v30
	ds_bpermute_b32 v37, v49, v30
	v_and_b32_e32 v35, 1, v54
	v_cmp_eq_u32_e32 vcc, 1, v35
	s_waitcnt lgkmcnt(1)
	v_and_b32_e32 v36, 1, v36
	v_mov_b32_e32 v35, 0
	v_add_u32_e32 v53, 2, v47
	v_cndmask_b32_e64 v36, v36, 1, vcc
	v_cmp_eq_u16_sdwa vcc, v54, v35 src0_sel:BYTE_0 src1_sel:DWORD
	v_and_b32_e32 v55, 0xffff, v36
	s_waitcnt lgkmcnt(0)
	v_cndmask_b32_e32 v37, 0, v37, vcc
	v_cmp_gt_u32_e32 vcc, v53, v33
	v_cndmask_b32_e32 v36, v36, v54, vcc
	v_cndmask_b32_e64 v37, v37, 0, vcc
	v_cndmask_b32_e32 v31, v55, v31, vcc
	v_cmp_gt_u32_e32 vcc, 60, v47
	v_cndmask_b32_e64 v54, 0, 1, vcc
	v_lshlrev_b32_e32 v54, 2, v54
	v_add_lshl_u32 v54, v54, v46, 2
	ds_bpermute_b32 v56, v54, v31
	v_add_u32_e32 v30, v37, v30
	ds_bpermute_b32 v37, v54, v30
	v_and_b32_e32 v57, 1, v36
	v_cmp_eq_u32_e32 vcc, 1, v57
	s_waitcnt lgkmcnt(1)
	v_and_b32_e32 v56, 1, v56
	v_add_u32_e32 v55, 4, v47
	v_cndmask_b32_e64 v56, v56, 1, vcc
	v_cmp_eq_u16_sdwa vcc, v36, v35 src0_sel:BYTE_0 src1_sel:DWORD
	v_and_b32_e32 v57, 0xffff, v56
	s_waitcnt lgkmcnt(0)
	v_cndmask_b32_e32 v37, 0, v37, vcc
	v_cmp_gt_u32_e32 vcc, v55, v33
	v_cndmask_b32_e32 v36, v56, v36, vcc
	v_cndmask_b32_e64 v37, v37, 0, vcc
	v_cndmask_b32_e32 v31, v57, v31, vcc
	v_cmp_gt_u32_e32 vcc, 56, v47
	v_cndmask_b32_e64 v56, 0, 1, vcc
	v_lshlrev_b32_e32 v56, 3, v56
	v_add_lshl_u32 v56, v56, v46, 2
	ds_bpermute_b32 v58, v56, v31
	v_add_u32_e32 v30, v37, v30
	ds_bpermute_b32 v37, v56, v30
	v_and_b32_e32 v59, 1, v36
	v_cmp_eq_u32_e32 vcc, 1, v59
	s_waitcnt lgkmcnt(1)
	v_and_b32_e32 v58, 1, v58
	;; [unrolled: 21-line block ×4, first 2 shown]
	v_add_u32_e32 v62, 32, v47
	v_cndmask_b32_e64 v31, v31, 1, vcc
	v_cmp_eq_u16_sdwa vcc, v36, v35 src0_sel:BYTE_0 src1_sel:DWORD
	s_waitcnt lgkmcnt(0)
	v_cndmask_b32_e32 v37, 0, v37, vcc
	v_cmp_gt_u32_e32 vcc, v62, v33
	v_cndmask_b32_e64 v33, v37, 0, vcc
	v_cndmask_b32_e32 v31, v31, v36, vcc
	v_add_u32_e32 v30, v33, v30
	s_branch .LBB932_106
.LBB932_105:                            ;   in Loop: Header=BB932_106 Depth=1
	s_or_b64 exec, exec, s[36:37]
	v_cmp_eq_u16_sdwa s[36:37], v32, v27 src0_sel:BYTE_0 src1_sel:DWORD
	v_and_b32_e32 v33, s37, v29
	ds_bpermute_b32 v37, v48, v31
	v_or_b32_e32 v33, 0x80000000, v33
	v_and_b32_e32 v36, s36, v28
	v_ffbl_b32_e32 v33, v33
	v_add_u32_e32 v33, 32, v33
	v_ffbl_b32_e32 v36, v36
	v_min_u32_e32 v33, v36, v33
	ds_bpermute_b32 v36, v48, v30
	v_and_b32_e32 v63, 1, v31
	s_waitcnt lgkmcnt(1)
	v_and_b32_e32 v37, 1, v37
	v_cmp_eq_u32_e32 vcc, 1, v63
	v_cndmask_b32_e64 v37, v37, 1, vcc
	v_cmp_gt_u64_e32 vcc, s[52:53], v[30:31]
	v_and_b32_e32 v63, 0xffff, v37
	v_cmp_lt_u32_e64 s[36:37], v47, v33
	v_cndmask_b32_e64 v37, v31, v37, s[36:37]
	v_cndmask_b32_e64 v31, v31, v63, s[36:37]
	s_and_b64 vcc, s[36:37], vcc
	ds_bpermute_b32 v63, v49, v31
	s_waitcnt lgkmcnt(1)
	v_cndmask_b32_e32 v36, 0, v36, vcc
	v_add_u32_e32 v30, v36, v30
	ds_bpermute_b32 v36, v49, v30
	v_and_b32_e32 v64, 1, v37
	s_waitcnt lgkmcnt(1)
	v_and_b32_e32 v63, 1, v63
	v_cmp_eq_u32_e32 vcc, 1, v64
	v_cndmask_b32_e64 v63, v63, 1, vcc
	v_cmp_eq_u16_sdwa vcc, v37, v35 src0_sel:BYTE_0 src1_sel:DWORD
	v_and_b32_e32 v64, 0xffff, v63
	s_waitcnt lgkmcnt(0)
	v_cndmask_b32_e32 v36, 0, v36, vcc
	v_cmp_gt_u32_e32 vcc, v53, v33
	v_cndmask_b32_e32 v31, v64, v31, vcc
	v_cndmask_b32_e32 v37, v63, v37, vcc
	ds_bpermute_b32 v63, v54, v31
	v_cndmask_b32_e64 v36, v36, 0, vcc
	v_add_u32_e32 v30, v36, v30
	ds_bpermute_b32 v36, v54, v30
	v_and_b32_e32 v64, 1, v37
	s_waitcnt lgkmcnt(1)
	v_and_b32_e32 v63, 1, v63
	v_cmp_eq_u32_e32 vcc, 1, v64
	v_cndmask_b32_e64 v63, v63, 1, vcc
	v_cmp_eq_u16_sdwa vcc, v37, v35 src0_sel:BYTE_0 src1_sel:DWORD
	v_and_b32_e32 v64, 0xffff, v63
	s_waitcnt lgkmcnt(0)
	v_cndmask_b32_e32 v36, 0, v36, vcc
	v_cmp_gt_u32_e32 vcc, v55, v33
	v_cndmask_b32_e32 v31, v64, v31, vcc
	v_cndmask_b32_e32 v37, v63, v37, vcc
	ds_bpermute_b32 v63, v56, v31
	v_cndmask_b32_e64 v36, v36, 0, vcc
	;; [unrolled: 16-line block ×3, first 2 shown]
	v_add_u32_e32 v30, v36, v30
	ds_bpermute_b32 v36, v58, v30
	v_and_b32_e32 v64, 1, v37
	s_waitcnt lgkmcnt(1)
	v_and_b32_e32 v63, 1, v63
	v_cmp_eq_u32_e32 vcc, 1, v64
	v_cndmask_b32_e64 v63, v63, 1, vcc
	v_cmp_eq_u16_sdwa vcc, v37, v35 src0_sel:BYTE_0 src1_sel:DWORD
	v_and_b32_e32 v64, 0xffff, v63
	s_waitcnt lgkmcnt(0)
	v_cndmask_b32_e32 v36, 0, v36, vcc
	v_cmp_gt_u32_e32 vcc, v59, v33
	v_cndmask_b32_e64 v36, v36, 0, vcc
	v_cndmask_b32_e32 v31, v64, v31, vcc
	ds_bpermute_b32 v31, v61, v31
	v_add_u32_e32 v30, v36, v30
	ds_bpermute_b32 v36, v61, v30
	v_cndmask_b32_e32 v37, v63, v37, vcc
	v_and_b32_e32 v63, 1, v37
	v_cmp_eq_u32_e32 vcc, 1, v63
	s_waitcnt lgkmcnt(1)
	v_cndmask_b32_e64 v31, v31, 1, vcc
	v_cmp_eq_u16_sdwa vcc, v37, v35 src0_sel:BYTE_0 src1_sel:DWORD
	s_waitcnt lgkmcnt(0)
	v_cndmask_b32_e32 v36, 0, v36, vcc
	v_cmp_gt_u32_e32 vcc, v62, v33
	v_cndmask_b32_e64 v33, v36, 0, vcc
	v_cndmask_b32_e32 v31, v31, v37, vcc
	v_add_u32_e32 v30, v33, v30
	v_cmp_eq_u16_sdwa vcc, v46, v35 src0_sel:BYTE_0 src1_sel:DWORD
	v_and_b32_e32 v33, 1, v46
	v_cndmask_b32_e32 v30, 0, v30, vcc
	v_and_b32_e32 v31, 1, v31
	v_cmp_eq_u32_e32 vcc, 1, v33
	v_subrev_u32_e32 v34, 64, v34
	v_add_u32_e32 v30, v30, v60
	v_cndmask_b32_e64 v31, v31, 1, vcc
.LBB932_106:                            ; =>This Loop Header: Depth=1
                                        ;     Child Loop BB932_109 Depth 2
	v_cmp_ne_u16_sdwa s[36:37], v32, v27 src0_sel:BYTE_0 src1_sel:DWORD
	v_mov_b32_e32 v46, v31
	v_cndmask_b32_e64 v31, 0, 1, s[36:37]
	;;#ASMSTART
	;;#ASMEND
	v_cmp_ne_u32_e32 vcc, 0, v31
	s_cmp_lg_u64 vcc, exec
	v_mov_b32_e32 v60, v30
	s_cbranch_scc1 .LBB932_111
; %bb.107:                              ;   in Loop: Header=BB932_106 Depth=1
	v_lshlrev_b64 v[30:31], 4, v[34:35]
	v_mov_b32_e32 v32, s45
	v_add_co_u32_e32 v36, vcc, s44, v30
	v_addc_co_u32_e32 v37, vcc, v32, v31, vcc
	;;#ASMSTART
	global_load_dwordx4 v[30:33], v[36:37] off glc	
s_waitcnt vmcnt(0)
	;;#ASMEND
	v_and_b32_e32 v33, 0xff0000, v30
	v_or_b32_sdwa v33, v30, v33 dst_sel:DWORD dst_unused:UNUSED_PAD src0_sel:WORD_0 src1_sel:DWORD
	v_and_b32_e32 v30, 0xff000000, v30
	v_and_b32_e32 v31, 0xff, v31
	v_or3_b32 v31, 0, 0, v31
	v_or3_b32 v30, v33, v30, 0
	v_cmp_eq_u16_sdwa s[54:55], v32, v35 src0_sel:BYTE_0 src1_sel:DWORD
	s_and_saveexec_b64 s[36:37], s[54:55]
	s_cbranch_execz .LBB932_105
; %bb.108:                              ;   in Loop: Header=BB932_106 Depth=1
	s_mov_b64 s[54:55], 0
.LBB932_109:                            ;   Parent Loop BB932_106 Depth=1
                                        ; =>  This Inner Loop Header: Depth=2
	;;#ASMSTART
	global_load_dwordx4 v[30:33], v[36:37] off glc	
s_waitcnt vmcnt(0)
	;;#ASMEND
	v_cmp_ne_u16_sdwa s[56:57], v32, v35 src0_sel:BYTE_0 src1_sel:DWORD
	s_or_b64 s[54:55], s[56:57], s[54:55]
	s_andn2_b64 exec, exec, s[54:55]
	s_cbranch_execnz .LBB932_109
; %bb.110:                              ;   in Loop: Header=BB932_106 Depth=1
	s_or_b64 exec, exec, s[54:55]
	v_and_b32_e32 v31, 0xff, v31
	s_branch .LBB932_105
.LBB932_111:                            ;   in Loop: Header=BB932_106 Depth=1
                                        ; implicit-def: $vgpr31
                                        ; implicit-def: $vgpr30
                                        ; implicit-def: $vgpr32
	s_cbranch_execz .LBB932_106
; %bb.112:
	s_and_saveexec_b64 s[36:37], s[30:31]
	s_cbranch_execz .LBB932_114
; %bb.113:
	s_and_b32 s47, s7, 0xff
	s_cmp_eq_u32 s47, 0
	s_cselect_b64 vcc, -1, 0
	s_bitcmp1_b32 s7, 0
	s_mov_b32 s53, 0
	s_cselect_b64 s[54:55], -1, 0
	s_add_i32 s52, s6, 64
	s_lshl_b64 s[6:7], s[52:53], 4
	v_cndmask_b32_e32 v27, 0, v60, vcc
	s_add_u32 s6, s44, s6
	v_add_u32_e32 v26, v27, v26
	v_and_b32_e32 v27, 1, v46
	s_addc_u32 s7, s45, s7
	v_mov_b32_e32 v29, 0
	v_cndmask_b32_e64 v27, v27, 1, s[54:55]
	v_mov_b32_e32 v28, 2
	v_pk_mov_b32 v[30:31], s[6:7], s[6:7] op_sel:[0,1]
	;;#ASMSTART
	global_store_dwordx4 v[30:31], v[26:29] off	
s_waitcnt vmcnt(0)
	;;#ASMEND
.LBB932_114:
	s_or_b64 exec, exec, s[36:37]
	v_cmp_eq_u32_e32 vcc, 0, v0
	s_and_b64 exec, exec, vcc
	s_cbranch_execz .LBB932_116
; %bb.115:
	v_mov_b32_e32 v26, 0
	ds_write_b32 v26, v60 offset:24
	ds_write_b8 v26, v46 offset:28
.LBB932_116:
	s_or_b64 exec, exec, s[42:43]
	s_mov_b32 s6, 0
	v_mov_b32_e32 v28, 0
	s_mov_b32 s7, 1
	s_waitcnt lgkmcnt(0)
	v_cndmask_b32_e64 v26, v45, v43, s[30:31]
	v_cndmask_b32_e64 v27, v44, v42, s[30:31]
	s_barrier
	ds_read_b32 v29, v28 offset:24
	v_cmp_gt_u64_e32 vcc, s[6:7], v[38:39]
	v_and_b32_e32 v30, 1, v39
	v_cndmask_b32_e32 v27, 0, v27, vcc
	v_and_b32_e32 v26, 1, v26
	v_cmp_eq_u32_e32 vcc, 1, v30
	v_cndmask_b32_e64 v26, v26, 1, vcc
	v_cmp_eq_u32_e32 vcc, 0, v0
	v_cndmask_b32_e32 v26, v26, v39, vcc
	v_cndmask_b32_e64 v27, v27, 0, vcc
	v_cmp_eq_u16_sdwa vcc, v26, v28 src0_sel:BYTE_0 src1_sel:DWORD
	s_waitcnt lgkmcnt(0)
	v_cndmask_b32_e32 v26, 0, v29, vcc
	v_add3_u32 v26, v27, v38, v26
	v_cndmask_b32_e64 v27, 0, v26, s[2:3]
	v_add_u32_e32 v27, v27, v2
	v_cndmask_b32_e64 v28, 0, v27, s[34:35]
	v_add_u32_e32 v42, v28, v4
	;; [unrolled: 2-line block ×13, first 2 shown]
	s_load_dwordx2 s[36:37], s[4:5], 0x20
	s_branch .LBB932_133
.LBB932_117:
                                        ; implicit-def: $vgpr49
                                        ; implicit-def: $vgpr47
                                        ; implicit-def: $vgpr45
                                        ; implicit-def: $vgpr43
                                        ; implicit-def: $vgpr34_vgpr35_vgpr36_vgpr37
                                        ; implicit-def: $vgpr30_vgpr31_vgpr32_vgpr33
                                        ; implicit-def: $vgpr26_vgpr27_vgpr28_vgpr29
	s_load_dwordx2 s[36:37], s[4:5], 0x20
	s_cbranch_execz .LBB932_133
; %bb.118:
	s_cmp_lg_u64 s[50:51], 0
	s_cselect_b32 s5, s39, 0
	s_cselect_b32 s4, s38, 0
	s_cmp_lg_u64 s[4:5], 0
	s_cselect_b64 s[6:7], -1, 0
	v_cmp_eq_u32_e32 vcc, 0, v0
	s_mov_b32 s28, 0
	v_cmp_ne_u32_e64 s[2:3], 0, v0
	s_and_b64 s[8:9], vcc, s[6:7]
	s_and_saveexec_b64 s[6:7], s[8:9]
	s_cbranch_execz .LBB932_120
; %bb.119:
	v_mov_b32_e32 v26, 0
	global_load_dword v28, v26, s[4:5]
	global_load_ubyte v29, v26, s[4:5] offset:4
	s_mov_b32 s29, 1
	v_and_b32_e32 v27, 1, v39
	v_cmp_gt_u64_e64 s[4:5], s[28:29], v[38:39]
	s_waitcnt vmcnt(0)
	v_cndmask_b32_e64 v28, 0, v28, s[4:5]
	v_and_b32_e32 v29, 1, v29
	v_cmp_eq_u64_e64 s[4:5], 0, v[26:27]
	v_add_u32_e32 v38, v28, v38
	v_cndmask_b32_e64 v39, 1, v29, s[4:5]
.LBB932_120:
	s_or_b64 exec, exec, s[6:7]
	s_mov_b32 s29, 1
	v_cmp_gt_u64_e64 s[4:5], s[28:29], v[2:3]
	v_cndmask_b32_e64 v26, 0, v38, s[4:5]
	v_add_u32_e32 v27, v26, v2
	v_cmp_gt_u64_e64 s[6:7], s[28:29], v[4:5]
	v_cndmask_b32_e64 v26, 0, v27, s[6:7]
	v_add_u32_e32 v42, v26, v4
	;; [unrolled: 3-line block ×5, first 2 shown]
	v_cmp_gt_u64_e64 s[14:15], s[28:29], v[12:13]
	v_cndmask_b32_e64 v26, 0, v31, s[14:15]
	s_waitcnt vmcnt(0)
	v_add_u32_e32 v44, v26, v12
	v_cmp_gt_u64_e64 s[16:17], s[28:29], v[14:15]
	v_cndmask_b32_e64 v26, 0, v44, s[16:17]
	v_add_u32_e32 v45, v26, v14
	v_cmp_gt_u64_e64 s[18:19], s[28:29], v[16:17]
	v_mov_b32_e32 v28, 0
	v_cndmask_b32_e64 v26, 0, v45, s[18:19]
	v_or3_b32 v7, v23, v15, v7
	v_add_u32_e32 v34, v26, v16
	v_cmp_gt_u64_e64 s[20:21], s[28:29], v[18:19]
	v_or3_b32 v9, v25, v17, v9
	v_and_b32_e32 v55, 1, v7
	v_mov_b32_e32 v54, v28
	v_cndmask_b32_e64 v26, 0, v34, s[20:21]
	v_or3_b32 v3, v19, v11, v3
	v_and_b32_e32 v37, 1, v9
	v_mov_b32_e32 v36, v28
	v_cmp_ne_u64_e64 s[34:35], 0, v[54:55]
	v_add_u32_e32 v35, v26, v18
	v_cmp_gt_u64_e64 s[22:23], s[28:29], v[20:21]
	v_or3_b32 v5, v21, v13, v5
	v_and_b32_e32 v29, 1, v3
	v_cndmask_b32_e64 v3, 0, 1, s[34:35]
	v_cmp_ne_u64_e64 s[34:35], 0, v[36:37]
	v_cndmask_b32_e64 v26, 0, v35, s[22:23]
	v_and_b32_e32 v33, 1, v5
	v_mov_b32_e32 v32, v28
	v_cndmask_b32_e64 v5, 0, 1, s[34:35]
	v_add_u32_e32 v46, v26, v20
	v_cmp_gt_u64_e64 s[24:25], s[28:29], v[22:23]
	v_lshlrev_b16_e32 v3, 2, v3
	v_lshlrev_b16_e32 v5, 3, v5
	v_cmp_ne_u64_e64 s[34:35], 0, v[32:33]
	v_cndmask_b32_e64 v26, 0, v46, s[24:25]
	v_or_b32_e32 v3, v5, v3
	v_cndmask_b32_e64 v5, 0, 1, s[34:35]
	v_cmp_ne_u64_e64 s[34:35], 0, v[28:29]
	v_add_u32_e32 v47, v26, v22
	v_cmp_gt_u64_e64 s[26:27], s[28:29], v[24:25]
	v_lshlrev_b16_e32 v5, 1, v5
	v_cndmask_b32_e64 v7, 0, 1, s[34:35]
	v_cndmask_b32_e64 v26, 0, v47, s[26:27]
	v_or_b32_e32 v5, v7, v5
	v_add_u32_e32 v48, v26, v24
	v_cmp_gt_u64_e64 s[28:29], s[28:29], v[40:41]
	v_and_b32_e32 v5, 3, v5
	v_cndmask_b32_e64 v26, 0, v48, s[28:29]
	v_or_b32_e32 v3, v5, v3
	v_add_u32_e32 v49, v26, v40
	v_and_b32_e32 v26, 1, v41
	v_and_b32_e32 v3, 15, v3
	v_cmp_eq_u32_e64 s[30:31], 1, v26
	v_cmp_ne_u16_e64 s[34:35], 0, v3
	s_or_b64 s[30:31], s[30:31], s[34:35]
	v_cndmask_b32_e64 v5, v39, 1, s[30:31]
	v_mbcnt_hi_u32_b32 v3, -1, v52
	v_mov_b32_dpp v9, v49 row_shr:1 row_mask:0xf bank_mask:0xf
	v_mov_b32_dpp v11, v5 row_shr:1 row_mask:0xf bank_mask:0xf
	v_cmp_eq_u32_e64 s[30:31], 0, v5
	v_and_b32_e32 v13, 1, v5
	v_and_b32_e32 v7, 15, v3
	v_cndmask_b32_e64 v9, 0, v9, s[30:31]
	v_and_b32_e32 v11, 1, v11
	v_cmp_eq_u32_e64 s[30:31], 1, v13
	v_cndmask_b32_e64 v11, v11, 1, s[30:31]
	v_cmp_eq_u32_e64 s[30:31], 0, v7
	v_cndmask_b32_e64 v5, v11, v5, s[30:31]
	v_and_b32_e32 v15, 1, v5
	v_cmp_eq_u32_e64 s[34:35], 1, v15
	v_mov_b32_dpp v13, v5 row_shr:2 row_mask:0xf bank_mask:0xf
	v_and_b32_e32 v13, 1, v13
	v_cndmask_b32_e64 v13, v13, 1, s[34:35]
	v_cmp_lt_u32_e64 s[34:35], 1, v7
	v_cndmask_b32_e64 v9, v9, 0, s[30:31]
	v_cmp_eq_u32_e64 s[30:31], 0, v5
	v_cndmask_b32_e64 v5, v5, v13, s[34:35]
	v_add_u32_e32 v9, v49, v9
	v_and_b32_e32 v15, 1, v5
	v_mov_b32_dpp v13, v5 row_shr:4 row_mask:0xf bank_mask:0xf
	v_mov_b32_dpp v11, v9 row_shr:2 row_mask:0xf bank_mask:0xf
	s_and_b64 s[30:31], s[34:35], s[30:31]
	v_and_b32_e32 v13, 1, v13
	v_cmp_eq_u32_e64 s[34:35], 1, v15
	v_cndmask_b32_e64 v11, 0, v11, s[30:31]
	v_cndmask_b32_e64 v13, v13, 1, s[34:35]
	v_cmp_lt_u32_e64 s[34:35], 3, v7
	v_add_u32_e32 v9, v9, v11
	v_cmp_eq_u32_e64 s[30:31], 0, v5
	v_cndmask_b32_e64 v5, v5, v13, s[34:35]
	v_mov_b32_dpp v11, v9 row_shr:4 row_mask:0xf bank_mask:0xf
	s_and_b64 s[30:31], s[34:35], s[30:31]
	v_mov_b32_dpp v13, v5 row_shr:8 row_mask:0xf bank_mask:0xf
	v_and_b32_e32 v15, 1, v5
	v_cndmask_b32_e64 v11, 0, v11, s[30:31]
	v_and_b32_e32 v13, 1, v13
	v_cmp_eq_u32_e64 s[34:35], 1, v15
	v_add_u32_e32 v9, v9, v11
	v_cmp_eq_u32_e64 s[30:31], 0, v5
	v_cndmask_b32_e64 v13, v13, 1, s[34:35]
	v_cmp_lt_u32_e64 s[34:35], 7, v7
	v_mov_b32_dpp v11, v9 row_shr:8 row_mask:0xf bank_mask:0xf
	s_and_b64 s[30:31], s[34:35], s[30:31]
	v_cndmask_b32_e64 v7, 0, v11, s[30:31]
	v_cndmask_b32_e64 v5, v5, v13, s[34:35]
	v_add_u32_e32 v7, v9, v7
	v_cmp_eq_u32_e64 s[30:31], 0, v5
	v_mov_b32_dpp v11, v5 row_bcast:15 row_mask:0xf bank_mask:0xf
	v_mov_b32_dpp v9, v7 row_bcast:15 row_mask:0xf bank_mask:0xf
	v_and_b32_e32 v17, 1, v5
	v_and_b32_e32 v15, 16, v3
	v_cndmask_b32_e64 v9, 0, v9, s[30:31]
	v_and_b32_e32 v11, 1, v11
	v_cmp_eq_u32_e64 s[30:31], 1, v17
	v_bfe_i32 v13, v3, 4, 1
	v_cndmask_b32_e64 v11, v11, 1, s[30:31]
	v_cmp_eq_u32_e64 s[30:31], 0, v15
	v_and_b32_e32 v9, v13, v9
	v_cndmask_b32_e64 v5, v11, v5, s[30:31]
	v_add_u32_e32 v9, v7, v9
	v_and_b32_e32 v13, 1, v5
	v_mov_b32_dpp v7, v5 row_bcast:31 row_mask:0xf bank_mask:0xf
	v_and_b32_e32 v7, 1, v7
	v_cmp_eq_u32_e64 s[34:35], 1, v13
	v_cmp_eq_u32_e64 s[30:31], 0, v5
	v_cndmask_b32_e64 v7, v7, 1, s[34:35]
	v_cmp_lt_u32_e64 s[34:35], 31, v3
	v_mov_b32_dpp v11, v9 row_bcast:31 row_mask:0xf bank_mask:0xf
	s_and_b64 s[30:31], s[34:35], s[30:31]
	v_cndmask_b32_e64 v7, v5, v7, s[34:35]
	v_cndmask_b32_e64 v5, 0, v11, s[30:31]
	v_add_u32_e32 v5, v9, v5
	v_cmp_eq_u32_e64 s[30:31], v51, v0
	s_and_saveexec_b64 s[34:35], s[30:31]
	s_cbranch_execz .LBB932_122
; %bb.121:
	v_lshlrev_b32_e32 v9, 3, v1
	ds_write_b32 v9, v5
	ds_write_b8 v9, v7 offset:4
.LBB932_122:
	s_or_b64 exec, exec, s[34:35]
	v_cmp_gt_u32_e64 s[30:31], 4, v0
	s_waitcnt lgkmcnt(0)
	s_barrier
	s_and_saveexec_b64 s[34:35], s[30:31]
	s_cbranch_execz .LBB932_126
; %bb.123:
	v_lshlrev_b32_e32 v9, 3, v0
	ds_read_b64 v[28:29], v9
	v_and_b32_e32 v11, 3, v3
	v_cmp_ne_u32_e64 s[30:31], 0, v11
	s_waitcnt lgkmcnt(0)
	v_mov_b32_dpp v13, v28 row_shr:1 row_mask:0xf bank_mask:0xf
	v_mov_b32_dpp v17, v29 row_shr:1 row_mask:0xf bank_mask:0xf
	v_mov_b32_e32 v15, v29
	s_and_saveexec_b64 s[38:39], s[30:31]
	s_cbranch_execz .LBB932_125
; %bb.124:
	v_and_b32_e32 v15, 1, v29
	v_and_b32_e32 v17, 1, v17
	v_cmp_eq_u32_e64 s[30:31], 1, v15
	v_mov_b32_e32 v15, 0
	v_cndmask_b32_e64 v17, v17, 1, s[30:31]
	v_cmp_eq_u16_sdwa s[30:31], v29, v15 src0_sel:BYTE_0 src1_sel:DWORD
	v_cndmask_b32_e64 v13, 0, v13, s[30:31]
	v_add_u32_e32 v28, v13, v28
	v_and_b32_e32 v13, 0xffff, v17
	s_movk_i32 s30, 0xff00
	v_and_or_b32 v15, v29, s30, v13
	v_mov_b32_e32 v29, v17
.LBB932_125:
	s_or_b64 exec, exec, s[38:39]
	v_mov_b32_dpp v15, v15 row_shr:2 row_mask:0xf bank_mask:0xf
	v_and_b32_e32 v17, 1, v29
	v_and_b32_e32 v15, 1, v15
	v_cmp_eq_u32_e64 s[30:31], 1, v17
	v_mov_b32_e32 v17, 0
	v_cndmask_b32_e64 v15, v15, 1, s[30:31]
	v_cmp_eq_u16_sdwa s[38:39], v29, v17 src0_sel:BYTE_0 src1_sel:DWORD
	v_cmp_lt_u32_e64 s[30:31], 1, v11
	v_mov_b32_dpp v13, v28 row_shr:2 row_mask:0xf bank_mask:0xf
	v_cndmask_b32_e64 v11, v29, v15, s[30:31]
	s_and_b64 s[30:31], s[30:31], s[38:39]
	v_cndmask_b32_e64 v13, 0, v13, s[30:31]
	v_add_u32_e32 v13, v13, v28
	ds_write_b32 v9, v13
	ds_write_b8 v9, v11 offset:4
.LBB932_126:
	s_or_b64 exec, exec, s[34:35]
	v_cmp_lt_u32_e64 s[30:31], 63, v0
	v_mov_b32_e32 v9, 0
	s_waitcnt lgkmcnt(0)
	s_barrier
	s_and_saveexec_b64 s[34:35], s[30:31]
	s_cbranch_execz .LBB932_128
; %bb.127:
	v_lshl_add_u32 v1, v1, 3, -8
	ds_read_b32 v9, v1
	v_cmp_eq_u32_e64 s[30:31], 0, v7
	s_waitcnt lgkmcnt(0)
	v_cndmask_b32_e64 v1, 0, v9, s[30:31]
	v_add_u32_e32 v5, v1, v5
.LBB932_128:
	s_or_b64 exec, exec, s[34:35]
	v_add_u32_e32 v1, -1, v3
	v_and_b32_e32 v7, 64, v3
	v_cmp_lt_i32_e64 s[30:31], v1, v7
	v_cndmask_b32_e64 v1, v1, v3, s[30:31]
	v_lshlrev_b32_e32 v1, 2, v1
	ds_bpermute_b32 v1, v1, v5
	s_and_saveexec_b64 s[30:31], s[2:3]
	s_cbranch_execz .LBB932_130
; %bb.129:
	v_and_b32_e32 v27, 0xff, v39
	v_mov_b32_e32 v26, 0
	v_cmp_eq_u32_e64 s[2:3], 0, v3
	s_waitcnt lgkmcnt(0)
	v_cndmask_b32_e64 v1, v1, v9, s[2:3]
	v_cmp_eq_u64_e64 s[2:3], 0, v[26:27]
	v_cndmask_b32_e64 v1, 0, v1, s[2:3]
	v_add_u32_e32 v38, v1, v38
	v_cndmask_b32_e64 v1, 0, v38, s[4:5]
	v_add_u32_e32 v27, v1, v2
	;; [unrolled: 2-line block ×14, first 2 shown]
	;;#ASMSTART
	;;#ASMEND
.LBB932_130:
	s_or_b64 exec, exec, s[30:31]
	s_and_saveexec_b64 s[2:3], vcc
	s_cbranch_execz .LBB932_132
; %bb.131:
	v_mov_b32_e32 v5, 0
	ds_read_b32 v2, v5 offset:24
	ds_read_u8 v3, v5 offset:28
	s_add_u32 s4, s44, 0x400
	s_addc_u32 s5, s45, 0
	v_mov_b32_e32 v4, 2
	v_pk_mov_b32 v[6:7], s[4:5], s[4:5] op_sel:[0,1]
	s_waitcnt lgkmcnt(0)
	;;#ASMSTART
	global_store_dwordx4 v[6:7], v[2:5] off	
s_waitcnt vmcnt(0)
	;;#ASMEND
.LBB932_132:
	s_or_b64 exec, exec, s[2:3]
	v_mov_b32_e32 v26, v38
.LBB932_133:
	s_waitcnt lgkmcnt(0)
	s_add_u32 s2, s36, s48
	s_addc_u32 s3, s37, s49
	s_add_u32 s4, s2, s40
	v_mul_u32_u24_e32 v1, 14, v0
	s_addc_u32 s5, s3, s41
	s_and_b64 vcc, exec, s[0:1]
	v_lshlrev_b32_e32 v2, 2, v1
	s_cbranch_vccz .LBB932_161
; %bb.134:
	s_movk_i32 s0, 0xffcc
	v_mad_i32_i24 v3, v0, s0, v2
	s_barrier
	ds_write2_b64 v2, v[26:27], v[42:43] offset1:1
	s_waitcnt vmcnt(0)
	ds_write2_b64 v2, v[30:31], v[44:45] offset0:2 offset1:3
	ds_write2_b64 v2, v[34:35], v[46:47] offset0:4 offset1:5
	ds_write_b64 v2, v[48:49] offset:48
	s_waitcnt lgkmcnt(0)
	s_barrier
	ds_read2st64_b32 v[16:17], v3 offset0:4 offset1:8
	ds_read2st64_b32 v[14:15], v3 offset0:12 offset1:16
	;; [unrolled: 1-line block ×6, first 2 shown]
	ds_read_b32 v3, v3 offset:13312
	v_mov_b32_e32 v7, s5
	v_add_co_u32_e32 v6, vcc, s4, v50
	s_add_i32 s33, s33, s46
	v_addc_co_u32_e32 v7, vcc, 0, v7, vcc
	v_mov_b32_e32 v1, 0
	v_cmp_gt_u32_e32 vcc, s33, v0
	s_and_saveexec_b64 s[0:1], vcc
	s_cbranch_execz .LBB932_136
; %bb.135:
	v_mul_i32_i24_e32 v18, 0xffffffcc, v0
	v_add_u32_e32 v18, v2, v18
	ds_read_b32 v18, v18
	s_waitcnt lgkmcnt(0)
	flat_store_dword v[6:7], v18
.LBB932_136:
	s_or_b64 exec, exec, s[0:1]
	v_or_b32_e32 v18, 0x100, v0
	v_cmp_gt_u32_e32 vcc, s33, v18
	s_and_saveexec_b64 s[0:1], vcc
	s_cbranch_execz .LBB932_138
; %bb.137:
	s_waitcnt lgkmcnt(0)
	flat_store_dword v[6:7], v16 offset:1024
.LBB932_138:
	s_or_b64 exec, exec, s[0:1]
	s_waitcnt lgkmcnt(0)
	v_or_b32_e32 v16, 0x200, v0
	v_cmp_gt_u32_e32 vcc, s33, v16
	s_and_saveexec_b64 s[0:1], vcc
	s_cbranch_execz .LBB932_140
; %bb.139:
	flat_store_dword v[6:7], v17 offset:2048
.LBB932_140:
	s_or_b64 exec, exec, s[0:1]
	v_or_b32_e32 v16, 0x300, v0
	v_cmp_gt_u32_e32 vcc, s33, v16
	s_and_saveexec_b64 s[0:1], vcc
	s_cbranch_execz .LBB932_142
; %bb.141:
	flat_store_dword v[6:7], v14 offset:3072
.LBB932_142:
	s_or_b64 exec, exec, s[0:1]
	v_or_b32_e32 v14, 0x400, v0
	v_cmp_gt_u32_e32 vcc, s33, v14
	s_and_saveexec_b64 s[0:1], vcc
	s_cbranch_execz .LBB932_144
; %bb.143:
	v_add_co_u32_e32 v16, vcc, 0x1000, v6
	v_addc_co_u32_e32 v17, vcc, 0, v7, vcc
	flat_store_dword v[16:17], v15
.LBB932_144:
	s_or_b64 exec, exec, s[0:1]
	v_or_b32_e32 v14, 0x500, v0
	v_cmp_gt_u32_e32 vcc, s33, v14
	s_and_saveexec_b64 s[0:1], vcc
	s_cbranch_execz .LBB932_146
; %bb.145:
	v_add_co_u32_e32 v14, vcc, 0x1000, v6
	v_addc_co_u32_e32 v15, vcc, 0, v7, vcc
	flat_store_dword v[14:15], v12 offset:1024
.LBB932_146:
	s_or_b64 exec, exec, s[0:1]
	v_or_b32_e32 v12, 0x600, v0
	v_cmp_gt_u32_e32 vcc, s33, v12
	s_and_saveexec_b64 s[0:1], vcc
	s_cbranch_execz .LBB932_148
; %bb.147:
	v_add_co_u32_e32 v14, vcc, 0x1000, v6
	v_addc_co_u32_e32 v15, vcc, 0, v7, vcc
	flat_store_dword v[14:15], v13 offset:2048
.LBB932_148:
	;; [unrolled: 10-line block ×3, first 2 shown]
	s_or_b64 exec, exec, s[0:1]
	v_or_b32_e32 v10, 0x800, v0
	v_cmp_gt_u32_e32 vcc, s33, v10
	s_and_saveexec_b64 s[0:1], vcc
	s_cbranch_execz .LBB932_152
; %bb.151:
	v_add_co_u32_e32 v12, vcc, 0x2000, v6
	v_addc_co_u32_e32 v13, vcc, 0, v7, vcc
	flat_store_dword v[12:13], v11
.LBB932_152:
	s_or_b64 exec, exec, s[0:1]
	v_or_b32_e32 v10, 0x900, v0
	v_cmp_gt_u32_e32 vcc, s33, v10
	s_and_saveexec_b64 s[0:1], vcc
	s_cbranch_execz .LBB932_154
; %bb.153:
	v_add_co_u32_e32 v10, vcc, 0x2000, v6
	v_addc_co_u32_e32 v11, vcc, 0, v7, vcc
	flat_store_dword v[10:11], v8 offset:1024
.LBB932_154:
	s_or_b64 exec, exec, s[0:1]
	v_or_b32_e32 v8, 0xa00, v0
	v_cmp_gt_u32_e32 vcc, s33, v8
	s_and_saveexec_b64 s[0:1], vcc
	s_cbranch_execz .LBB932_156
; %bb.155:
	v_add_co_u32_e32 v10, vcc, 0x2000, v6
	v_addc_co_u32_e32 v11, vcc, 0, v7, vcc
	flat_store_dword v[10:11], v9 offset:2048
.LBB932_156:
	;; [unrolled: 10-line block ×3, first 2 shown]
	s_or_b64 exec, exec, s[0:1]
	v_or_b32_e32 v4, 0xc00, v0
	v_cmp_gt_u32_e32 vcc, s33, v4
	s_and_saveexec_b64 s[0:1], vcc
	s_cbranch_execz .LBB932_160
; %bb.159:
	v_add_co_u32_e32 v6, vcc, 0x3000, v6
	v_addc_co_u32_e32 v7, vcc, 0, v7, vcc
	flat_store_dword v[6:7], v5
.LBB932_160:
	s_or_b64 exec, exec, s[0:1]
	v_or_b32_e32 v4, 0xd00, v0
	v_cmp_gt_u32_e64 s[0:1], s33, v4
	s_branch .LBB932_163
.LBB932_161:
	s_mov_b64 s[0:1], 0
                                        ; implicit-def: $vgpr3
	s_cbranch_execz .LBB932_163
; %bb.162:
	s_movk_i32 s2, 0xffcc
	s_waitcnt lgkmcnt(0)
	s_barrier
	ds_write2_b64 v2, v[26:27], v[42:43] offset1:1
	s_waitcnt vmcnt(0)
	ds_write2_b64 v2, v[30:31], v[44:45] offset0:2 offset1:3
	ds_write2_b64 v2, v[34:35], v[46:47] offset0:4 offset1:5
	ds_write_b64 v2, v[48:49] offset:48
	v_mad_i32_i24 v2, v0, s2, v2
	v_mov_b32_e32 v17, s5
	v_add_co_u32_e32 v16, vcc, s4, v50
	s_waitcnt lgkmcnt(0)
	s_barrier
	ds_read2st64_b32 v[4:5], v2 offset1:4
	ds_read2st64_b32 v[6:7], v2 offset0:8 offset1:12
	ds_read2st64_b32 v[8:9], v2 offset0:16 offset1:20
	;; [unrolled: 1-line block ×6, first 2 shown]
	v_addc_co_u32_e32 v17, vcc, 0, v17, vcc
	s_movk_i32 s2, 0x1000
	s_waitcnt lgkmcnt(6)
	flat_store_dword v[16:17], v4
	flat_store_dword v[16:17], v5 offset:1024
	s_waitcnt lgkmcnt(0)
	flat_store_dword v[16:17], v6 offset:2048
	flat_store_dword v[16:17], v7 offset:3072
	v_add_co_u32_e32 v4, vcc, s2, v16
	v_addc_co_u32_e32 v5, vcc, 0, v17, vcc
	flat_store_dword v[4:5], v8
	flat_store_dword v[4:5], v9 offset:1024
	flat_store_dword v[4:5], v10 offset:2048
	;; [unrolled: 1-line block ×3, first 2 shown]
	v_add_co_u32_e32 v4, vcc, 0x2000, v16
	v_addc_co_u32_e32 v5, vcc, 0, v17, vcc
	flat_store_dword v[4:5], v12
	flat_store_dword v[4:5], v13 offset:1024
	flat_store_dword v[4:5], v14 offset:2048
	;; [unrolled: 1-line block ×3, first 2 shown]
	v_add_co_u32_e32 v4, vcc, 0x3000, v16
	v_mov_b32_e32 v1, 0
	v_addc_co_u32_e32 v5, vcc, 0, v17, vcc
	s_or_b64 s[0:1], s[0:1], exec
	flat_store_dword v[4:5], v2
.LBB932_163:
	s_and_saveexec_b64 s[2:3], s[0:1]
	s_cbranch_execnz .LBB932_165
; %bb.164:
	s_endpgm
.LBB932_165:
	v_lshlrev_b64 v[0:1], 2, v[0:1]
	v_mov_b32_e32 v2, s5
	v_add_co_u32_e32 v0, vcc, s4, v0
	v_addc_co_u32_e32 v1, vcc, v2, v1, vcc
	v_add_co_u32_e32 v0, vcc, 0x3000, v0
	v_addc_co_u32_e32 v1, vcc, 0, v1, vcc
	flat_store_dword v[0:1], v3 offset:1024
	s_endpgm
.LBB932_166:
	global_load_dword v11, v13, s[52:53]
	s_waitcnt vmcnt(0)
	v_sub_u32_e32 v11, 0, v11
	s_or_b64 exec, exec, s[36:37]
                                        ; implicit-def: $vgpr14
	s_and_saveexec_b64 s[2:3], s[34:35]
	s_cbranch_execz .LBB932_37
.LBB932_167:
	global_load_dword v14, v13, s[52:53] offset:1024
	s_waitcnt vmcnt(0)
	v_sub_u32_e32 v14, 0, v14
	s_or_b64 exec, exec, s[2:3]
                                        ; implicit-def: $vgpr15
	s_and_saveexec_b64 s[2:3], s[8:9]
	s_cbranch_execz .LBB932_38
.LBB932_168:
	global_load_dword v15, v13, s[52:53] offset:2048
	s_waitcnt vmcnt(0)
	v_sub_u32_e32 v15, 0, v15
	s_or_b64 exec, exec, s[2:3]
                                        ; implicit-def: $vgpr16
	s_and_saveexec_b64 s[2:3], s[10:11]
	s_cbranch_execz .LBB932_39
.LBB932_169:
	global_load_dword v16, v13, s[52:53] offset:3072
	s_waitcnt vmcnt(0)
	v_sub_u32_e32 v16, 0, v16
	s_or_b64 exec, exec, s[2:3]
                                        ; implicit-def: $vgpr17
	s_and_saveexec_b64 s[2:3], s[12:13]
	s_cbranch_execz .LBB932_40
.LBB932_170:
	global_load_dword v2, v2, s[52:53]
	s_waitcnt vmcnt(0)
	v_sub_u32_e32 v17, 0, v2
	s_or_b64 exec, exec, s[2:3]
                                        ; implicit-def: $vgpr2
	s_and_saveexec_b64 s[2:3], s[14:15]
	s_cbranch_execz .LBB932_41
.LBB932_171:
	global_load_dword v2, v3, s[52:53]
	s_waitcnt vmcnt(0)
	v_sub_u32_e32 v2, 0, v2
	s_or_b64 exec, exec, s[2:3]
                                        ; implicit-def: $vgpr3
	s_and_saveexec_b64 s[2:3], s[16:17]
	s_cbranch_execz .LBB932_42
.LBB932_172:
	global_load_dword v3, v4, s[52:53]
	s_waitcnt vmcnt(0)
	v_sub_u32_e32 v3, 0, v3
	s_or_b64 exec, exec, s[2:3]
                                        ; implicit-def: $vgpr4
	s_and_saveexec_b64 s[2:3], s[18:19]
	s_cbranch_execz .LBB932_43
.LBB932_173:
	global_load_dword v4, v5, s[52:53]
	s_waitcnt vmcnt(0)
	v_sub_u32_e32 v4, 0, v4
	s_or_b64 exec, exec, s[2:3]
                                        ; implicit-def: $vgpr5
	s_and_saveexec_b64 s[2:3], s[20:21]
	s_cbranch_execz .LBB932_44
.LBB932_174:
	global_load_dword v5, v6, s[52:53]
	s_waitcnt vmcnt(0)
	v_sub_u32_e32 v5, 0, v5
	s_or_b64 exec, exec, s[2:3]
                                        ; implicit-def: $vgpr6
	s_and_saveexec_b64 s[2:3], s[22:23]
	s_cbranch_execz .LBB932_45
.LBB932_175:
	global_load_dword v6, v7, s[52:53]
	s_waitcnt vmcnt(0)
	v_sub_u32_e32 v6, 0, v6
	s_or_b64 exec, exec, s[2:3]
                                        ; implicit-def: $vgpr7
	s_and_saveexec_b64 s[2:3], s[24:25]
	s_cbranch_execz .LBB932_46
.LBB932_176:
	global_load_dword v7, v8, s[52:53]
	s_waitcnt vmcnt(0)
	v_sub_u32_e32 v7, 0, v7
	s_or_b64 exec, exec, s[2:3]
                                        ; implicit-def: $vgpr8
	s_and_saveexec_b64 s[2:3], s[26:27]
	s_cbranch_execz .LBB932_47
.LBB932_177:
	global_load_dword v8, v9, s[52:53]
	s_waitcnt vmcnt(0)
	v_sub_u32_e32 v8, 0, v8
	s_or_b64 exec, exec, s[2:3]
                                        ; implicit-def: $vgpr9
	s_and_saveexec_b64 s[2:3], s[28:29]
	s_cbranch_execz .LBB932_48
.LBB932_178:
	global_load_dword v9, v10, s[52:53]
	s_waitcnt vmcnt(0)
	v_sub_u32_e32 v9, 0, v9
	s_or_b64 exec, exec, s[2:3]
                                        ; implicit-def: $vgpr10
	s_and_saveexec_b64 s[2:3], s[30:31]
	s_cbranch_execnz .LBB932_49
	s_branch .LBB932_50
.LBB932_179:
                                        ; implicit-def: $sgpr36_sgpr37
	s_branch .LBB932_32
.LBB932_180:
                                        ; implicit-def: $sgpr2_sgpr3
	s_branch .LBB932_81
	.section	.rodata,"a",@progbits
	.p2align	6, 0x0
	.amdhsa_kernel _ZN7rocprim17ROCPRIM_400000_NS6detail17trampoline_kernelINS0_14default_configENS1_27scan_by_key_config_selectorIiiEEZZNS1_16scan_by_key_implILNS1_25lookback_scan_determinismE0ELb0ES3_N6thrust23THRUST_200600_302600_NS6detail15normal_iteratorINS9_10device_ptrIiEEEENS9_18transform_iteratorINS9_6negateIiEESE_NS9_11use_defaultESI_EESE_iNS9_4plusIvEENS9_8equal_toIvEEiEE10hipError_tPvRmT2_T3_T4_T5_mT6_T7_P12ihipStream_tbENKUlT_T0_E_clISt17integral_constantIbLb0EES14_EEDaSZ_S10_EUlSZ_E_NS1_11comp_targetILNS1_3genE4ELNS1_11target_archE910ELNS1_3gpuE8ELNS1_3repE0EEENS1_30default_config_static_selectorELNS0_4arch9wavefront6targetE1EEEvT1_
		.amdhsa_group_segment_fixed_size 16384
		.amdhsa_private_segment_fixed_size 0
		.amdhsa_kernarg_size 120
		.amdhsa_user_sgpr_count 6
		.amdhsa_user_sgpr_private_segment_buffer 1
		.amdhsa_user_sgpr_dispatch_ptr 0
		.amdhsa_user_sgpr_queue_ptr 0
		.amdhsa_user_sgpr_kernarg_segment_ptr 1
		.amdhsa_user_sgpr_dispatch_id 0
		.amdhsa_user_sgpr_flat_scratch_init 0
		.amdhsa_user_sgpr_kernarg_preload_length 0
		.amdhsa_user_sgpr_kernarg_preload_offset 0
		.amdhsa_user_sgpr_private_segment_size 0
		.amdhsa_uses_dynamic_stack 0
		.amdhsa_system_sgpr_private_segment_wavefront_offset 0
		.amdhsa_system_sgpr_workgroup_id_x 1
		.amdhsa_system_sgpr_workgroup_id_y 0
		.amdhsa_system_sgpr_workgroup_id_z 0
		.amdhsa_system_sgpr_workgroup_info 0
		.amdhsa_system_vgpr_workitem_id 0
		.amdhsa_next_free_vgpr 65
		.amdhsa_next_free_sgpr 62
		.amdhsa_accum_offset 68
		.amdhsa_reserve_vcc 1
		.amdhsa_reserve_flat_scratch 0
		.amdhsa_float_round_mode_32 0
		.amdhsa_float_round_mode_16_64 0
		.amdhsa_float_denorm_mode_32 3
		.amdhsa_float_denorm_mode_16_64 3
		.amdhsa_dx10_clamp 1
		.amdhsa_ieee_mode 1
		.amdhsa_fp16_overflow 0
		.amdhsa_tg_split 0
		.amdhsa_exception_fp_ieee_invalid_op 0
		.amdhsa_exception_fp_denorm_src 0
		.amdhsa_exception_fp_ieee_div_zero 0
		.amdhsa_exception_fp_ieee_overflow 0
		.amdhsa_exception_fp_ieee_underflow 0
		.amdhsa_exception_fp_ieee_inexact 0
		.amdhsa_exception_int_div_zero 0
	.end_amdhsa_kernel
	.section	.text._ZN7rocprim17ROCPRIM_400000_NS6detail17trampoline_kernelINS0_14default_configENS1_27scan_by_key_config_selectorIiiEEZZNS1_16scan_by_key_implILNS1_25lookback_scan_determinismE0ELb0ES3_N6thrust23THRUST_200600_302600_NS6detail15normal_iteratorINS9_10device_ptrIiEEEENS9_18transform_iteratorINS9_6negateIiEESE_NS9_11use_defaultESI_EESE_iNS9_4plusIvEENS9_8equal_toIvEEiEE10hipError_tPvRmT2_T3_T4_T5_mT6_T7_P12ihipStream_tbENKUlT_T0_E_clISt17integral_constantIbLb0EES14_EEDaSZ_S10_EUlSZ_E_NS1_11comp_targetILNS1_3genE4ELNS1_11target_archE910ELNS1_3gpuE8ELNS1_3repE0EEENS1_30default_config_static_selectorELNS0_4arch9wavefront6targetE1EEEvT1_,"axG",@progbits,_ZN7rocprim17ROCPRIM_400000_NS6detail17trampoline_kernelINS0_14default_configENS1_27scan_by_key_config_selectorIiiEEZZNS1_16scan_by_key_implILNS1_25lookback_scan_determinismE0ELb0ES3_N6thrust23THRUST_200600_302600_NS6detail15normal_iteratorINS9_10device_ptrIiEEEENS9_18transform_iteratorINS9_6negateIiEESE_NS9_11use_defaultESI_EESE_iNS9_4plusIvEENS9_8equal_toIvEEiEE10hipError_tPvRmT2_T3_T4_T5_mT6_T7_P12ihipStream_tbENKUlT_T0_E_clISt17integral_constantIbLb0EES14_EEDaSZ_S10_EUlSZ_E_NS1_11comp_targetILNS1_3genE4ELNS1_11target_archE910ELNS1_3gpuE8ELNS1_3repE0EEENS1_30default_config_static_selectorELNS0_4arch9wavefront6targetE1EEEvT1_,comdat
.Lfunc_end932:
	.size	_ZN7rocprim17ROCPRIM_400000_NS6detail17trampoline_kernelINS0_14default_configENS1_27scan_by_key_config_selectorIiiEEZZNS1_16scan_by_key_implILNS1_25lookback_scan_determinismE0ELb0ES3_N6thrust23THRUST_200600_302600_NS6detail15normal_iteratorINS9_10device_ptrIiEEEENS9_18transform_iteratorINS9_6negateIiEESE_NS9_11use_defaultESI_EESE_iNS9_4plusIvEENS9_8equal_toIvEEiEE10hipError_tPvRmT2_T3_T4_T5_mT6_T7_P12ihipStream_tbENKUlT_T0_E_clISt17integral_constantIbLb0EES14_EEDaSZ_S10_EUlSZ_E_NS1_11comp_targetILNS1_3genE4ELNS1_11target_archE910ELNS1_3gpuE8ELNS1_3repE0EEENS1_30default_config_static_selectorELNS0_4arch9wavefront6targetE1EEEvT1_, .Lfunc_end932-_ZN7rocprim17ROCPRIM_400000_NS6detail17trampoline_kernelINS0_14default_configENS1_27scan_by_key_config_selectorIiiEEZZNS1_16scan_by_key_implILNS1_25lookback_scan_determinismE0ELb0ES3_N6thrust23THRUST_200600_302600_NS6detail15normal_iteratorINS9_10device_ptrIiEEEENS9_18transform_iteratorINS9_6negateIiEESE_NS9_11use_defaultESI_EESE_iNS9_4plusIvEENS9_8equal_toIvEEiEE10hipError_tPvRmT2_T3_T4_T5_mT6_T7_P12ihipStream_tbENKUlT_T0_E_clISt17integral_constantIbLb0EES14_EEDaSZ_S10_EUlSZ_E_NS1_11comp_targetILNS1_3genE4ELNS1_11target_archE910ELNS1_3gpuE8ELNS1_3repE0EEENS1_30default_config_static_selectorELNS0_4arch9wavefront6targetE1EEEvT1_
                                        ; -- End function
	.section	.AMDGPU.csdata,"",@progbits
; Kernel info:
; codeLenInByte = 10936
; NumSgprs: 66
; NumVgprs: 65
; NumAgprs: 0
; TotalNumVgprs: 65
; ScratchSize: 0
; MemoryBound: 0
; FloatMode: 240
; IeeeMode: 1
; LDSByteSize: 16384 bytes/workgroup (compile time only)
; SGPRBlocks: 8
; VGPRBlocks: 8
; NumSGPRsForWavesPerEU: 66
; NumVGPRsForWavesPerEU: 65
; AccumOffset: 68
; Occupancy: 4
; WaveLimiterHint : 1
; COMPUTE_PGM_RSRC2:SCRATCH_EN: 0
; COMPUTE_PGM_RSRC2:USER_SGPR: 6
; COMPUTE_PGM_RSRC2:TRAP_HANDLER: 0
; COMPUTE_PGM_RSRC2:TGID_X_EN: 1
; COMPUTE_PGM_RSRC2:TGID_Y_EN: 0
; COMPUTE_PGM_RSRC2:TGID_Z_EN: 0
; COMPUTE_PGM_RSRC2:TIDIG_COMP_CNT: 0
; COMPUTE_PGM_RSRC3_GFX90A:ACCUM_OFFSET: 16
; COMPUTE_PGM_RSRC3_GFX90A:TG_SPLIT: 0
	.section	.text._ZN7rocprim17ROCPRIM_400000_NS6detail17trampoline_kernelINS0_14default_configENS1_27scan_by_key_config_selectorIiiEEZZNS1_16scan_by_key_implILNS1_25lookback_scan_determinismE0ELb0ES3_N6thrust23THRUST_200600_302600_NS6detail15normal_iteratorINS9_10device_ptrIiEEEENS9_18transform_iteratorINS9_6negateIiEESE_NS9_11use_defaultESI_EESE_iNS9_4plusIvEENS9_8equal_toIvEEiEE10hipError_tPvRmT2_T3_T4_T5_mT6_T7_P12ihipStream_tbENKUlT_T0_E_clISt17integral_constantIbLb0EES14_EEDaSZ_S10_EUlSZ_E_NS1_11comp_targetILNS1_3genE3ELNS1_11target_archE908ELNS1_3gpuE7ELNS1_3repE0EEENS1_30default_config_static_selectorELNS0_4arch9wavefront6targetE1EEEvT1_,"axG",@progbits,_ZN7rocprim17ROCPRIM_400000_NS6detail17trampoline_kernelINS0_14default_configENS1_27scan_by_key_config_selectorIiiEEZZNS1_16scan_by_key_implILNS1_25lookback_scan_determinismE0ELb0ES3_N6thrust23THRUST_200600_302600_NS6detail15normal_iteratorINS9_10device_ptrIiEEEENS9_18transform_iteratorINS9_6negateIiEESE_NS9_11use_defaultESI_EESE_iNS9_4plusIvEENS9_8equal_toIvEEiEE10hipError_tPvRmT2_T3_T4_T5_mT6_T7_P12ihipStream_tbENKUlT_T0_E_clISt17integral_constantIbLb0EES14_EEDaSZ_S10_EUlSZ_E_NS1_11comp_targetILNS1_3genE3ELNS1_11target_archE908ELNS1_3gpuE7ELNS1_3repE0EEENS1_30default_config_static_selectorELNS0_4arch9wavefront6targetE1EEEvT1_,comdat
	.protected	_ZN7rocprim17ROCPRIM_400000_NS6detail17trampoline_kernelINS0_14default_configENS1_27scan_by_key_config_selectorIiiEEZZNS1_16scan_by_key_implILNS1_25lookback_scan_determinismE0ELb0ES3_N6thrust23THRUST_200600_302600_NS6detail15normal_iteratorINS9_10device_ptrIiEEEENS9_18transform_iteratorINS9_6negateIiEESE_NS9_11use_defaultESI_EESE_iNS9_4plusIvEENS9_8equal_toIvEEiEE10hipError_tPvRmT2_T3_T4_T5_mT6_T7_P12ihipStream_tbENKUlT_T0_E_clISt17integral_constantIbLb0EES14_EEDaSZ_S10_EUlSZ_E_NS1_11comp_targetILNS1_3genE3ELNS1_11target_archE908ELNS1_3gpuE7ELNS1_3repE0EEENS1_30default_config_static_selectorELNS0_4arch9wavefront6targetE1EEEvT1_ ; -- Begin function _ZN7rocprim17ROCPRIM_400000_NS6detail17trampoline_kernelINS0_14default_configENS1_27scan_by_key_config_selectorIiiEEZZNS1_16scan_by_key_implILNS1_25lookback_scan_determinismE0ELb0ES3_N6thrust23THRUST_200600_302600_NS6detail15normal_iteratorINS9_10device_ptrIiEEEENS9_18transform_iteratorINS9_6negateIiEESE_NS9_11use_defaultESI_EESE_iNS9_4plusIvEENS9_8equal_toIvEEiEE10hipError_tPvRmT2_T3_T4_T5_mT6_T7_P12ihipStream_tbENKUlT_T0_E_clISt17integral_constantIbLb0EES14_EEDaSZ_S10_EUlSZ_E_NS1_11comp_targetILNS1_3genE3ELNS1_11target_archE908ELNS1_3gpuE7ELNS1_3repE0EEENS1_30default_config_static_selectorELNS0_4arch9wavefront6targetE1EEEvT1_
	.globl	_ZN7rocprim17ROCPRIM_400000_NS6detail17trampoline_kernelINS0_14default_configENS1_27scan_by_key_config_selectorIiiEEZZNS1_16scan_by_key_implILNS1_25lookback_scan_determinismE0ELb0ES3_N6thrust23THRUST_200600_302600_NS6detail15normal_iteratorINS9_10device_ptrIiEEEENS9_18transform_iteratorINS9_6negateIiEESE_NS9_11use_defaultESI_EESE_iNS9_4plusIvEENS9_8equal_toIvEEiEE10hipError_tPvRmT2_T3_T4_T5_mT6_T7_P12ihipStream_tbENKUlT_T0_E_clISt17integral_constantIbLb0EES14_EEDaSZ_S10_EUlSZ_E_NS1_11comp_targetILNS1_3genE3ELNS1_11target_archE908ELNS1_3gpuE7ELNS1_3repE0EEENS1_30default_config_static_selectorELNS0_4arch9wavefront6targetE1EEEvT1_
	.p2align	8
	.type	_ZN7rocprim17ROCPRIM_400000_NS6detail17trampoline_kernelINS0_14default_configENS1_27scan_by_key_config_selectorIiiEEZZNS1_16scan_by_key_implILNS1_25lookback_scan_determinismE0ELb0ES3_N6thrust23THRUST_200600_302600_NS6detail15normal_iteratorINS9_10device_ptrIiEEEENS9_18transform_iteratorINS9_6negateIiEESE_NS9_11use_defaultESI_EESE_iNS9_4plusIvEENS9_8equal_toIvEEiEE10hipError_tPvRmT2_T3_T4_T5_mT6_T7_P12ihipStream_tbENKUlT_T0_E_clISt17integral_constantIbLb0EES14_EEDaSZ_S10_EUlSZ_E_NS1_11comp_targetILNS1_3genE3ELNS1_11target_archE908ELNS1_3gpuE7ELNS1_3repE0EEENS1_30default_config_static_selectorELNS0_4arch9wavefront6targetE1EEEvT1_,@function
_ZN7rocprim17ROCPRIM_400000_NS6detail17trampoline_kernelINS0_14default_configENS1_27scan_by_key_config_selectorIiiEEZZNS1_16scan_by_key_implILNS1_25lookback_scan_determinismE0ELb0ES3_N6thrust23THRUST_200600_302600_NS6detail15normal_iteratorINS9_10device_ptrIiEEEENS9_18transform_iteratorINS9_6negateIiEESE_NS9_11use_defaultESI_EESE_iNS9_4plusIvEENS9_8equal_toIvEEiEE10hipError_tPvRmT2_T3_T4_T5_mT6_T7_P12ihipStream_tbENKUlT_T0_E_clISt17integral_constantIbLb0EES14_EEDaSZ_S10_EUlSZ_E_NS1_11comp_targetILNS1_3genE3ELNS1_11target_archE908ELNS1_3gpuE7ELNS1_3repE0EEENS1_30default_config_static_selectorELNS0_4arch9wavefront6targetE1EEEvT1_: ; @_ZN7rocprim17ROCPRIM_400000_NS6detail17trampoline_kernelINS0_14default_configENS1_27scan_by_key_config_selectorIiiEEZZNS1_16scan_by_key_implILNS1_25lookback_scan_determinismE0ELb0ES3_N6thrust23THRUST_200600_302600_NS6detail15normal_iteratorINS9_10device_ptrIiEEEENS9_18transform_iteratorINS9_6negateIiEESE_NS9_11use_defaultESI_EESE_iNS9_4plusIvEENS9_8equal_toIvEEiEE10hipError_tPvRmT2_T3_T4_T5_mT6_T7_P12ihipStream_tbENKUlT_T0_E_clISt17integral_constantIbLb0EES14_EEDaSZ_S10_EUlSZ_E_NS1_11comp_targetILNS1_3genE3ELNS1_11target_archE908ELNS1_3gpuE7ELNS1_3repE0EEENS1_30default_config_static_selectorELNS0_4arch9wavefront6targetE1EEEvT1_
; %bb.0:
	.section	.rodata,"a",@progbits
	.p2align	6, 0x0
	.amdhsa_kernel _ZN7rocprim17ROCPRIM_400000_NS6detail17trampoline_kernelINS0_14default_configENS1_27scan_by_key_config_selectorIiiEEZZNS1_16scan_by_key_implILNS1_25lookback_scan_determinismE0ELb0ES3_N6thrust23THRUST_200600_302600_NS6detail15normal_iteratorINS9_10device_ptrIiEEEENS9_18transform_iteratorINS9_6negateIiEESE_NS9_11use_defaultESI_EESE_iNS9_4plusIvEENS9_8equal_toIvEEiEE10hipError_tPvRmT2_T3_T4_T5_mT6_T7_P12ihipStream_tbENKUlT_T0_E_clISt17integral_constantIbLb0EES14_EEDaSZ_S10_EUlSZ_E_NS1_11comp_targetILNS1_3genE3ELNS1_11target_archE908ELNS1_3gpuE7ELNS1_3repE0EEENS1_30default_config_static_selectorELNS0_4arch9wavefront6targetE1EEEvT1_
		.amdhsa_group_segment_fixed_size 0
		.amdhsa_private_segment_fixed_size 0
		.amdhsa_kernarg_size 120
		.amdhsa_user_sgpr_count 6
		.amdhsa_user_sgpr_private_segment_buffer 1
		.amdhsa_user_sgpr_dispatch_ptr 0
		.amdhsa_user_sgpr_queue_ptr 0
		.amdhsa_user_sgpr_kernarg_segment_ptr 1
		.amdhsa_user_sgpr_dispatch_id 0
		.amdhsa_user_sgpr_flat_scratch_init 0
		.amdhsa_user_sgpr_kernarg_preload_length 0
		.amdhsa_user_sgpr_kernarg_preload_offset 0
		.amdhsa_user_sgpr_private_segment_size 0
		.amdhsa_uses_dynamic_stack 0
		.amdhsa_system_sgpr_private_segment_wavefront_offset 0
		.amdhsa_system_sgpr_workgroup_id_x 1
		.amdhsa_system_sgpr_workgroup_id_y 0
		.amdhsa_system_sgpr_workgroup_id_z 0
		.amdhsa_system_sgpr_workgroup_info 0
		.amdhsa_system_vgpr_workitem_id 0
		.amdhsa_next_free_vgpr 1
		.amdhsa_next_free_sgpr 0
		.amdhsa_accum_offset 4
		.amdhsa_reserve_vcc 0
		.amdhsa_reserve_flat_scratch 0
		.amdhsa_float_round_mode_32 0
		.amdhsa_float_round_mode_16_64 0
		.amdhsa_float_denorm_mode_32 3
		.amdhsa_float_denorm_mode_16_64 3
		.amdhsa_dx10_clamp 1
		.amdhsa_ieee_mode 1
		.amdhsa_fp16_overflow 0
		.amdhsa_tg_split 0
		.amdhsa_exception_fp_ieee_invalid_op 0
		.amdhsa_exception_fp_denorm_src 0
		.amdhsa_exception_fp_ieee_div_zero 0
		.amdhsa_exception_fp_ieee_overflow 0
		.amdhsa_exception_fp_ieee_underflow 0
		.amdhsa_exception_fp_ieee_inexact 0
		.amdhsa_exception_int_div_zero 0
	.end_amdhsa_kernel
	.section	.text._ZN7rocprim17ROCPRIM_400000_NS6detail17trampoline_kernelINS0_14default_configENS1_27scan_by_key_config_selectorIiiEEZZNS1_16scan_by_key_implILNS1_25lookback_scan_determinismE0ELb0ES3_N6thrust23THRUST_200600_302600_NS6detail15normal_iteratorINS9_10device_ptrIiEEEENS9_18transform_iteratorINS9_6negateIiEESE_NS9_11use_defaultESI_EESE_iNS9_4plusIvEENS9_8equal_toIvEEiEE10hipError_tPvRmT2_T3_T4_T5_mT6_T7_P12ihipStream_tbENKUlT_T0_E_clISt17integral_constantIbLb0EES14_EEDaSZ_S10_EUlSZ_E_NS1_11comp_targetILNS1_3genE3ELNS1_11target_archE908ELNS1_3gpuE7ELNS1_3repE0EEENS1_30default_config_static_selectorELNS0_4arch9wavefront6targetE1EEEvT1_,"axG",@progbits,_ZN7rocprim17ROCPRIM_400000_NS6detail17trampoline_kernelINS0_14default_configENS1_27scan_by_key_config_selectorIiiEEZZNS1_16scan_by_key_implILNS1_25lookback_scan_determinismE0ELb0ES3_N6thrust23THRUST_200600_302600_NS6detail15normal_iteratorINS9_10device_ptrIiEEEENS9_18transform_iteratorINS9_6negateIiEESE_NS9_11use_defaultESI_EESE_iNS9_4plusIvEENS9_8equal_toIvEEiEE10hipError_tPvRmT2_T3_T4_T5_mT6_T7_P12ihipStream_tbENKUlT_T0_E_clISt17integral_constantIbLb0EES14_EEDaSZ_S10_EUlSZ_E_NS1_11comp_targetILNS1_3genE3ELNS1_11target_archE908ELNS1_3gpuE7ELNS1_3repE0EEENS1_30default_config_static_selectorELNS0_4arch9wavefront6targetE1EEEvT1_,comdat
.Lfunc_end933:
	.size	_ZN7rocprim17ROCPRIM_400000_NS6detail17trampoline_kernelINS0_14default_configENS1_27scan_by_key_config_selectorIiiEEZZNS1_16scan_by_key_implILNS1_25lookback_scan_determinismE0ELb0ES3_N6thrust23THRUST_200600_302600_NS6detail15normal_iteratorINS9_10device_ptrIiEEEENS9_18transform_iteratorINS9_6negateIiEESE_NS9_11use_defaultESI_EESE_iNS9_4plusIvEENS9_8equal_toIvEEiEE10hipError_tPvRmT2_T3_T4_T5_mT6_T7_P12ihipStream_tbENKUlT_T0_E_clISt17integral_constantIbLb0EES14_EEDaSZ_S10_EUlSZ_E_NS1_11comp_targetILNS1_3genE3ELNS1_11target_archE908ELNS1_3gpuE7ELNS1_3repE0EEENS1_30default_config_static_selectorELNS0_4arch9wavefront6targetE1EEEvT1_, .Lfunc_end933-_ZN7rocprim17ROCPRIM_400000_NS6detail17trampoline_kernelINS0_14default_configENS1_27scan_by_key_config_selectorIiiEEZZNS1_16scan_by_key_implILNS1_25lookback_scan_determinismE0ELb0ES3_N6thrust23THRUST_200600_302600_NS6detail15normal_iteratorINS9_10device_ptrIiEEEENS9_18transform_iteratorINS9_6negateIiEESE_NS9_11use_defaultESI_EESE_iNS9_4plusIvEENS9_8equal_toIvEEiEE10hipError_tPvRmT2_T3_T4_T5_mT6_T7_P12ihipStream_tbENKUlT_T0_E_clISt17integral_constantIbLb0EES14_EEDaSZ_S10_EUlSZ_E_NS1_11comp_targetILNS1_3genE3ELNS1_11target_archE908ELNS1_3gpuE7ELNS1_3repE0EEENS1_30default_config_static_selectorELNS0_4arch9wavefront6targetE1EEEvT1_
                                        ; -- End function
	.section	.AMDGPU.csdata,"",@progbits
; Kernel info:
; codeLenInByte = 0
; NumSgprs: 4
; NumVgprs: 0
; NumAgprs: 0
; TotalNumVgprs: 0
; ScratchSize: 0
; MemoryBound: 0
; FloatMode: 240
; IeeeMode: 1
; LDSByteSize: 0 bytes/workgroup (compile time only)
; SGPRBlocks: 0
; VGPRBlocks: 0
; NumSGPRsForWavesPerEU: 4
; NumVGPRsForWavesPerEU: 1
; AccumOffset: 4
; Occupancy: 8
; WaveLimiterHint : 0
; COMPUTE_PGM_RSRC2:SCRATCH_EN: 0
; COMPUTE_PGM_RSRC2:USER_SGPR: 6
; COMPUTE_PGM_RSRC2:TRAP_HANDLER: 0
; COMPUTE_PGM_RSRC2:TGID_X_EN: 1
; COMPUTE_PGM_RSRC2:TGID_Y_EN: 0
; COMPUTE_PGM_RSRC2:TGID_Z_EN: 0
; COMPUTE_PGM_RSRC2:TIDIG_COMP_CNT: 0
; COMPUTE_PGM_RSRC3_GFX90A:ACCUM_OFFSET: 0
; COMPUTE_PGM_RSRC3_GFX90A:TG_SPLIT: 0
	.section	.text._ZN7rocprim17ROCPRIM_400000_NS6detail17trampoline_kernelINS0_14default_configENS1_27scan_by_key_config_selectorIiiEEZZNS1_16scan_by_key_implILNS1_25lookback_scan_determinismE0ELb0ES3_N6thrust23THRUST_200600_302600_NS6detail15normal_iteratorINS9_10device_ptrIiEEEENS9_18transform_iteratorINS9_6negateIiEESE_NS9_11use_defaultESI_EESE_iNS9_4plusIvEENS9_8equal_toIvEEiEE10hipError_tPvRmT2_T3_T4_T5_mT6_T7_P12ihipStream_tbENKUlT_T0_E_clISt17integral_constantIbLb0EES14_EEDaSZ_S10_EUlSZ_E_NS1_11comp_targetILNS1_3genE2ELNS1_11target_archE906ELNS1_3gpuE6ELNS1_3repE0EEENS1_30default_config_static_selectorELNS0_4arch9wavefront6targetE1EEEvT1_,"axG",@progbits,_ZN7rocprim17ROCPRIM_400000_NS6detail17trampoline_kernelINS0_14default_configENS1_27scan_by_key_config_selectorIiiEEZZNS1_16scan_by_key_implILNS1_25lookback_scan_determinismE0ELb0ES3_N6thrust23THRUST_200600_302600_NS6detail15normal_iteratorINS9_10device_ptrIiEEEENS9_18transform_iteratorINS9_6negateIiEESE_NS9_11use_defaultESI_EESE_iNS9_4plusIvEENS9_8equal_toIvEEiEE10hipError_tPvRmT2_T3_T4_T5_mT6_T7_P12ihipStream_tbENKUlT_T0_E_clISt17integral_constantIbLb0EES14_EEDaSZ_S10_EUlSZ_E_NS1_11comp_targetILNS1_3genE2ELNS1_11target_archE906ELNS1_3gpuE6ELNS1_3repE0EEENS1_30default_config_static_selectorELNS0_4arch9wavefront6targetE1EEEvT1_,comdat
	.protected	_ZN7rocprim17ROCPRIM_400000_NS6detail17trampoline_kernelINS0_14default_configENS1_27scan_by_key_config_selectorIiiEEZZNS1_16scan_by_key_implILNS1_25lookback_scan_determinismE0ELb0ES3_N6thrust23THRUST_200600_302600_NS6detail15normal_iteratorINS9_10device_ptrIiEEEENS9_18transform_iteratorINS9_6negateIiEESE_NS9_11use_defaultESI_EESE_iNS9_4plusIvEENS9_8equal_toIvEEiEE10hipError_tPvRmT2_T3_T4_T5_mT6_T7_P12ihipStream_tbENKUlT_T0_E_clISt17integral_constantIbLb0EES14_EEDaSZ_S10_EUlSZ_E_NS1_11comp_targetILNS1_3genE2ELNS1_11target_archE906ELNS1_3gpuE6ELNS1_3repE0EEENS1_30default_config_static_selectorELNS0_4arch9wavefront6targetE1EEEvT1_ ; -- Begin function _ZN7rocprim17ROCPRIM_400000_NS6detail17trampoline_kernelINS0_14default_configENS1_27scan_by_key_config_selectorIiiEEZZNS1_16scan_by_key_implILNS1_25lookback_scan_determinismE0ELb0ES3_N6thrust23THRUST_200600_302600_NS6detail15normal_iteratorINS9_10device_ptrIiEEEENS9_18transform_iteratorINS9_6negateIiEESE_NS9_11use_defaultESI_EESE_iNS9_4plusIvEENS9_8equal_toIvEEiEE10hipError_tPvRmT2_T3_T4_T5_mT6_T7_P12ihipStream_tbENKUlT_T0_E_clISt17integral_constantIbLb0EES14_EEDaSZ_S10_EUlSZ_E_NS1_11comp_targetILNS1_3genE2ELNS1_11target_archE906ELNS1_3gpuE6ELNS1_3repE0EEENS1_30default_config_static_selectorELNS0_4arch9wavefront6targetE1EEEvT1_
	.globl	_ZN7rocprim17ROCPRIM_400000_NS6detail17trampoline_kernelINS0_14default_configENS1_27scan_by_key_config_selectorIiiEEZZNS1_16scan_by_key_implILNS1_25lookback_scan_determinismE0ELb0ES3_N6thrust23THRUST_200600_302600_NS6detail15normal_iteratorINS9_10device_ptrIiEEEENS9_18transform_iteratorINS9_6negateIiEESE_NS9_11use_defaultESI_EESE_iNS9_4plusIvEENS9_8equal_toIvEEiEE10hipError_tPvRmT2_T3_T4_T5_mT6_T7_P12ihipStream_tbENKUlT_T0_E_clISt17integral_constantIbLb0EES14_EEDaSZ_S10_EUlSZ_E_NS1_11comp_targetILNS1_3genE2ELNS1_11target_archE906ELNS1_3gpuE6ELNS1_3repE0EEENS1_30default_config_static_selectorELNS0_4arch9wavefront6targetE1EEEvT1_
	.p2align	8
	.type	_ZN7rocprim17ROCPRIM_400000_NS6detail17trampoline_kernelINS0_14default_configENS1_27scan_by_key_config_selectorIiiEEZZNS1_16scan_by_key_implILNS1_25lookback_scan_determinismE0ELb0ES3_N6thrust23THRUST_200600_302600_NS6detail15normal_iteratorINS9_10device_ptrIiEEEENS9_18transform_iteratorINS9_6negateIiEESE_NS9_11use_defaultESI_EESE_iNS9_4plusIvEENS9_8equal_toIvEEiEE10hipError_tPvRmT2_T3_T4_T5_mT6_T7_P12ihipStream_tbENKUlT_T0_E_clISt17integral_constantIbLb0EES14_EEDaSZ_S10_EUlSZ_E_NS1_11comp_targetILNS1_3genE2ELNS1_11target_archE906ELNS1_3gpuE6ELNS1_3repE0EEENS1_30default_config_static_selectorELNS0_4arch9wavefront6targetE1EEEvT1_,@function
_ZN7rocprim17ROCPRIM_400000_NS6detail17trampoline_kernelINS0_14default_configENS1_27scan_by_key_config_selectorIiiEEZZNS1_16scan_by_key_implILNS1_25lookback_scan_determinismE0ELb0ES3_N6thrust23THRUST_200600_302600_NS6detail15normal_iteratorINS9_10device_ptrIiEEEENS9_18transform_iteratorINS9_6negateIiEESE_NS9_11use_defaultESI_EESE_iNS9_4plusIvEENS9_8equal_toIvEEiEE10hipError_tPvRmT2_T3_T4_T5_mT6_T7_P12ihipStream_tbENKUlT_T0_E_clISt17integral_constantIbLb0EES14_EEDaSZ_S10_EUlSZ_E_NS1_11comp_targetILNS1_3genE2ELNS1_11target_archE906ELNS1_3gpuE6ELNS1_3repE0EEENS1_30default_config_static_selectorELNS0_4arch9wavefront6targetE1EEEvT1_: ; @_ZN7rocprim17ROCPRIM_400000_NS6detail17trampoline_kernelINS0_14default_configENS1_27scan_by_key_config_selectorIiiEEZZNS1_16scan_by_key_implILNS1_25lookback_scan_determinismE0ELb0ES3_N6thrust23THRUST_200600_302600_NS6detail15normal_iteratorINS9_10device_ptrIiEEEENS9_18transform_iteratorINS9_6negateIiEESE_NS9_11use_defaultESI_EESE_iNS9_4plusIvEENS9_8equal_toIvEEiEE10hipError_tPvRmT2_T3_T4_T5_mT6_T7_P12ihipStream_tbENKUlT_T0_E_clISt17integral_constantIbLb0EES14_EEDaSZ_S10_EUlSZ_E_NS1_11comp_targetILNS1_3genE2ELNS1_11target_archE906ELNS1_3gpuE6ELNS1_3repE0EEENS1_30default_config_static_selectorELNS0_4arch9wavefront6targetE1EEEvT1_
; %bb.0:
	.section	.rodata,"a",@progbits
	.p2align	6, 0x0
	.amdhsa_kernel _ZN7rocprim17ROCPRIM_400000_NS6detail17trampoline_kernelINS0_14default_configENS1_27scan_by_key_config_selectorIiiEEZZNS1_16scan_by_key_implILNS1_25lookback_scan_determinismE0ELb0ES3_N6thrust23THRUST_200600_302600_NS6detail15normal_iteratorINS9_10device_ptrIiEEEENS9_18transform_iteratorINS9_6negateIiEESE_NS9_11use_defaultESI_EESE_iNS9_4plusIvEENS9_8equal_toIvEEiEE10hipError_tPvRmT2_T3_T4_T5_mT6_T7_P12ihipStream_tbENKUlT_T0_E_clISt17integral_constantIbLb0EES14_EEDaSZ_S10_EUlSZ_E_NS1_11comp_targetILNS1_3genE2ELNS1_11target_archE906ELNS1_3gpuE6ELNS1_3repE0EEENS1_30default_config_static_selectorELNS0_4arch9wavefront6targetE1EEEvT1_
		.amdhsa_group_segment_fixed_size 0
		.amdhsa_private_segment_fixed_size 0
		.amdhsa_kernarg_size 120
		.amdhsa_user_sgpr_count 6
		.amdhsa_user_sgpr_private_segment_buffer 1
		.amdhsa_user_sgpr_dispatch_ptr 0
		.amdhsa_user_sgpr_queue_ptr 0
		.amdhsa_user_sgpr_kernarg_segment_ptr 1
		.amdhsa_user_sgpr_dispatch_id 0
		.amdhsa_user_sgpr_flat_scratch_init 0
		.amdhsa_user_sgpr_kernarg_preload_length 0
		.amdhsa_user_sgpr_kernarg_preload_offset 0
		.amdhsa_user_sgpr_private_segment_size 0
		.amdhsa_uses_dynamic_stack 0
		.amdhsa_system_sgpr_private_segment_wavefront_offset 0
		.amdhsa_system_sgpr_workgroup_id_x 1
		.amdhsa_system_sgpr_workgroup_id_y 0
		.amdhsa_system_sgpr_workgroup_id_z 0
		.amdhsa_system_sgpr_workgroup_info 0
		.amdhsa_system_vgpr_workitem_id 0
		.amdhsa_next_free_vgpr 1
		.amdhsa_next_free_sgpr 0
		.amdhsa_accum_offset 4
		.amdhsa_reserve_vcc 0
		.amdhsa_reserve_flat_scratch 0
		.amdhsa_float_round_mode_32 0
		.amdhsa_float_round_mode_16_64 0
		.amdhsa_float_denorm_mode_32 3
		.amdhsa_float_denorm_mode_16_64 3
		.amdhsa_dx10_clamp 1
		.amdhsa_ieee_mode 1
		.amdhsa_fp16_overflow 0
		.amdhsa_tg_split 0
		.amdhsa_exception_fp_ieee_invalid_op 0
		.amdhsa_exception_fp_denorm_src 0
		.amdhsa_exception_fp_ieee_div_zero 0
		.amdhsa_exception_fp_ieee_overflow 0
		.amdhsa_exception_fp_ieee_underflow 0
		.amdhsa_exception_fp_ieee_inexact 0
		.amdhsa_exception_int_div_zero 0
	.end_amdhsa_kernel
	.section	.text._ZN7rocprim17ROCPRIM_400000_NS6detail17trampoline_kernelINS0_14default_configENS1_27scan_by_key_config_selectorIiiEEZZNS1_16scan_by_key_implILNS1_25lookback_scan_determinismE0ELb0ES3_N6thrust23THRUST_200600_302600_NS6detail15normal_iteratorINS9_10device_ptrIiEEEENS9_18transform_iteratorINS9_6negateIiEESE_NS9_11use_defaultESI_EESE_iNS9_4plusIvEENS9_8equal_toIvEEiEE10hipError_tPvRmT2_T3_T4_T5_mT6_T7_P12ihipStream_tbENKUlT_T0_E_clISt17integral_constantIbLb0EES14_EEDaSZ_S10_EUlSZ_E_NS1_11comp_targetILNS1_3genE2ELNS1_11target_archE906ELNS1_3gpuE6ELNS1_3repE0EEENS1_30default_config_static_selectorELNS0_4arch9wavefront6targetE1EEEvT1_,"axG",@progbits,_ZN7rocprim17ROCPRIM_400000_NS6detail17trampoline_kernelINS0_14default_configENS1_27scan_by_key_config_selectorIiiEEZZNS1_16scan_by_key_implILNS1_25lookback_scan_determinismE0ELb0ES3_N6thrust23THRUST_200600_302600_NS6detail15normal_iteratorINS9_10device_ptrIiEEEENS9_18transform_iteratorINS9_6negateIiEESE_NS9_11use_defaultESI_EESE_iNS9_4plusIvEENS9_8equal_toIvEEiEE10hipError_tPvRmT2_T3_T4_T5_mT6_T7_P12ihipStream_tbENKUlT_T0_E_clISt17integral_constantIbLb0EES14_EEDaSZ_S10_EUlSZ_E_NS1_11comp_targetILNS1_3genE2ELNS1_11target_archE906ELNS1_3gpuE6ELNS1_3repE0EEENS1_30default_config_static_selectorELNS0_4arch9wavefront6targetE1EEEvT1_,comdat
.Lfunc_end934:
	.size	_ZN7rocprim17ROCPRIM_400000_NS6detail17trampoline_kernelINS0_14default_configENS1_27scan_by_key_config_selectorIiiEEZZNS1_16scan_by_key_implILNS1_25lookback_scan_determinismE0ELb0ES3_N6thrust23THRUST_200600_302600_NS6detail15normal_iteratorINS9_10device_ptrIiEEEENS9_18transform_iteratorINS9_6negateIiEESE_NS9_11use_defaultESI_EESE_iNS9_4plusIvEENS9_8equal_toIvEEiEE10hipError_tPvRmT2_T3_T4_T5_mT6_T7_P12ihipStream_tbENKUlT_T0_E_clISt17integral_constantIbLb0EES14_EEDaSZ_S10_EUlSZ_E_NS1_11comp_targetILNS1_3genE2ELNS1_11target_archE906ELNS1_3gpuE6ELNS1_3repE0EEENS1_30default_config_static_selectorELNS0_4arch9wavefront6targetE1EEEvT1_, .Lfunc_end934-_ZN7rocprim17ROCPRIM_400000_NS6detail17trampoline_kernelINS0_14default_configENS1_27scan_by_key_config_selectorIiiEEZZNS1_16scan_by_key_implILNS1_25lookback_scan_determinismE0ELb0ES3_N6thrust23THRUST_200600_302600_NS6detail15normal_iteratorINS9_10device_ptrIiEEEENS9_18transform_iteratorINS9_6negateIiEESE_NS9_11use_defaultESI_EESE_iNS9_4plusIvEENS9_8equal_toIvEEiEE10hipError_tPvRmT2_T3_T4_T5_mT6_T7_P12ihipStream_tbENKUlT_T0_E_clISt17integral_constantIbLb0EES14_EEDaSZ_S10_EUlSZ_E_NS1_11comp_targetILNS1_3genE2ELNS1_11target_archE906ELNS1_3gpuE6ELNS1_3repE0EEENS1_30default_config_static_selectorELNS0_4arch9wavefront6targetE1EEEvT1_
                                        ; -- End function
	.section	.AMDGPU.csdata,"",@progbits
; Kernel info:
; codeLenInByte = 0
; NumSgprs: 4
; NumVgprs: 0
; NumAgprs: 0
; TotalNumVgprs: 0
; ScratchSize: 0
; MemoryBound: 0
; FloatMode: 240
; IeeeMode: 1
; LDSByteSize: 0 bytes/workgroup (compile time only)
; SGPRBlocks: 0
; VGPRBlocks: 0
; NumSGPRsForWavesPerEU: 4
; NumVGPRsForWavesPerEU: 1
; AccumOffset: 4
; Occupancy: 8
; WaveLimiterHint : 0
; COMPUTE_PGM_RSRC2:SCRATCH_EN: 0
; COMPUTE_PGM_RSRC2:USER_SGPR: 6
; COMPUTE_PGM_RSRC2:TRAP_HANDLER: 0
; COMPUTE_PGM_RSRC2:TGID_X_EN: 1
; COMPUTE_PGM_RSRC2:TGID_Y_EN: 0
; COMPUTE_PGM_RSRC2:TGID_Z_EN: 0
; COMPUTE_PGM_RSRC2:TIDIG_COMP_CNT: 0
; COMPUTE_PGM_RSRC3_GFX90A:ACCUM_OFFSET: 0
; COMPUTE_PGM_RSRC3_GFX90A:TG_SPLIT: 0
	.section	.text._ZN7rocprim17ROCPRIM_400000_NS6detail17trampoline_kernelINS0_14default_configENS1_27scan_by_key_config_selectorIiiEEZZNS1_16scan_by_key_implILNS1_25lookback_scan_determinismE0ELb0ES3_N6thrust23THRUST_200600_302600_NS6detail15normal_iteratorINS9_10device_ptrIiEEEENS9_18transform_iteratorINS9_6negateIiEESE_NS9_11use_defaultESI_EESE_iNS9_4plusIvEENS9_8equal_toIvEEiEE10hipError_tPvRmT2_T3_T4_T5_mT6_T7_P12ihipStream_tbENKUlT_T0_E_clISt17integral_constantIbLb0EES14_EEDaSZ_S10_EUlSZ_E_NS1_11comp_targetILNS1_3genE10ELNS1_11target_archE1200ELNS1_3gpuE4ELNS1_3repE0EEENS1_30default_config_static_selectorELNS0_4arch9wavefront6targetE1EEEvT1_,"axG",@progbits,_ZN7rocprim17ROCPRIM_400000_NS6detail17trampoline_kernelINS0_14default_configENS1_27scan_by_key_config_selectorIiiEEZZNS1_16scan_by_key_implILNS1_25lookback_scan_determinismE0ELb0ES3_N6thrust23THRUST_200600_302600_NS6detail15normal_iteratorINS9_10device_ptrIiEEEENS9_18transform_iteratorINS9_6negateIiEESE_NS9_11use_defaultESI_EESE_iNS9_4plusIvEENS9_8equal_toIvEEiEE10hipError_tPvRmT2_T3_T4_T5_mT6_T7_P12ihipStream_tbENKUlT_T0_E_clISt17integral_constantIbLb0EES14_EEDaSZ_S10_EUlSZ_E_NS1_11comp_targetILNS1_3genE10ELNS1_11target_archE1200ELNS1_3gpuE4ELNS1_3repE0EEENS1_30default_config_static_selectorELNS0_4arch9wavefront6targetE1EEEvT1_,comdat
	.protected	_ZN7rocprim17ROCPRIM_400000_NS6detail17trampoline_kernelINS0_14default_configENS1_27scan_by_key_config_selectorIiiEEZZNS1_16scan_by_key_implILNS1_25lookback_scan_determinismE0ELb0ES3_N6thrust23THRUST_200600_302600_NS6detail15normal_iteratorINS9_10device_ptrIiEEEENS9_18transform_iteratorINS9_6negateIiEESE_NS9_11use_defaultESI_EESE_iNS9_4plusIvEENS9_8equal_toIvEEiEE10hipError_tPvRmT2_T3_T4_T5_mT6_T7_P12ihipStream_tbENKUlT_T0_E_clISt17integral_constantIbLb0EES14_EEDaSZ_S10_EUlSZ_E_NS1_11comp_targetILNS1_3genE10ELNS1_11target_archE1200ELNS1_3gpuE4ELNS1_3repE0EEENS1_30default_config_static_selectorELNS0_4arch9wavefront6targetE1EEEvT1_ ; -- Begin function _ZN7rocprim17ROCPRIM_400000_NS6detail17trampoline_kernelINS0_14default_configENS1_27scan_by_key_config_selectorIiiEEZZNS1_16scan_by_key_implILNS1_25lookback_scan_determinismE0ELb0ES3_N6thrust23THRUST_200600_302600_NS6detail15normal_iteratorINS9_10device_ptrIiEEEENS9_18transform_iteratorINS9_6negateIiEESE_NS9_11use_defaultESI_EESE_iNS9_4plusIvEENS9_8equal_toIvEEiEE10hipError_tPvRmT2_T3_T4_T5_mT6_T7_P12ihipStream_tbENKUlT_T0_E_clISt17integral_constantIbLb0EES14_EEDaSZ_S10_EUlSZ_E_NS1_11comp_targetILNS1_3genE10ELNS1_11target_archE1200ELNS1_3gpuE4ELNS1_3repE0EEENS1_30default_config_static_selectorELNS0_4arch9wavefront6targetE1EEEvT1_
	.globl	_ZN7rocprim17ROCPRIM_400000_NS6detail17trampoline_kernelINS0_14default_configENS1_27scan_by_key_config_selectorIiiEEZZNS1_16scan_by_key_implILNS1_25lookback_scan_determinismE0ELb0ES3_N6thrust23THRUST_200600_302600_NS6detail15normal_iteratorINS9_10device_ptrIiEEEENS9_18transform_iteratorINS9_6negateIiEESE_NS9_11use_defaultESI_EESE_iNS9_4plusIvEENS9_8equal_toIvEEiEE10hipError_tPvRmT2_T3_T4_T5_mT6_T7_P12ihipStream_tbENKUlT_T0_E_clISt17integral_constantIbLb0EES14_EEDaSZ_S10_EUlSZ_E_NS1_11comp_targetILNS1_3genE10ELNS1_11target_archE1200ELNS1_3gpuE4ELNS1_3repE0EEENS1_30default_config_static_selectorELNS0_4arch9wavefront6targetE1EEEvT1_
	.p2align	8
	.type	_ZN7rocprim17ROCPRIM_400000_NS6detail17trampoline_kernelINS0_14default_configENS1_27scan_by_key_config_selectorIiiEEZZNS1_16scan_by_key_implILNS1_25lookback_scan_determinismE0ELb0ES3_N6thrust23THRUST_200600_302600_NS6detail15normal_iteratorINS9_10device_ptrIiEEEENS9_18transform_iteratorINS9_6negateIiEESE_NS9_11use_defaultESI_EESE_iNS9_4plusIvEENS9_8equal_toIvEEiEE10hipError_tPvRmT2_T3_T4_T5_mT6_T7_P12ihipStream_tbENKUlT_T0_E_clISt17integral_constantIbLb0EES14_EEDaSZ_S10_EUlSZ_E_NS1_11comp_targetILNS1_3genE10ELNS1_11target_archE1200ELNS1_3gpuE4ELNS1_3repE0EEENS1_30default_config_static_selectorELNS0_4arch9wavefront6targetE1EEEvT1_,@function
_ZN7rocprim17ROCPRIM_400000_NS6detail17trampoline_kernelINS0_14default_configENS1_27scan_by_key_config_selectorIiiEEZZNS1_16scan_by_key_implILNS1_25lookback_scan_determinismE0ELb0ES3_N6thrust23THRUST_200600_302600_NS6detail15normal_iteratorINS9_10device_ptrIiEEEENS9_18transform_iteratorINS9_6negateIiEESE_NS9_11use_defaultESI_EESE_iNS9_4plusIvEENS9_8equal_toIvEEiEE10hipError_tPvRmT2_T3_T4_T5_mT6_T7_P12ihipStream_tbENKUlT_T0_E_clISt17integral_constantIbLb0EES14_EEDaSZ_S10_EUlSZ_E_NS1_11comp_targetILNS1_3genE10ELNS1_11target_archE1200ELNS1_3gpuE4ELNS1_3repE0EEENS1_30default_config_static_selectorELNS0_4arch9wavefront6targetE1EEEvT1_: ; @_ZN7rocprim17ROCPRIM_400000_NS6detail17trampoline_kernelINS0_14default_configENS1_27scan_by_key_config_selectorIiiEEZZNS1_16scan_by_key_implILNS1_25lookback_scan_determinismE0ELb0ES3_N6thrust23THRUST_200600_302600_NS6detail15normal_iteratorINS9_10device_ptrIiEEEENS9_18transform_iteratorINS9_6negateIiEESE_NS9_11use_defaultESI_EESE_iNS9_4plusIvEENS9_8equal_toIvEEiEE10hipError_tPvRmT2_T3_T4_T5_mT6_T7_P12ihipStream_tbENKUlT_T0_E_clISt17integral_constantIbLb0EES14_EEDaSZ_S10_EUlSZ_E_NS1_11comp_targetILNS1_3genE10ELNS1_11target_archE1200ELNS1_3gpuE4ELNS1_3repE0EEENS1_30default_config_static_selectorELNS0_4arch9wavefront6targetE1EEEvT1_
; %bb.0:
	.section	.rodata,"a",@progbits
	.p2align	6, 0x0
	.amdhsa_kernel _ZN7rocprim17ROCPRIM_400000_NS6detail17trampoline_kernelINS0_14default_configENS1_27scan_by_key_config_selectorIiiEEZZNS1_16scan_by_key_implILNS1_25lookback_scan_determinismE0ELb0ES3_N6thrust23THRUST_200600_302600_NS6detail15normal_iteratorINS9_10device_ptrIiEEEENS9_18transform_iteratorINS9_6negateIiEESE_NS9_11use_defaultESI_EESE_iNS9_4plusIvEENS9_8equal_toIvEEiEE10hipError_tPvRmT2_T3_T4_T5_mT6_T7_P12ihipStream_tbENKUlT_T0_E_clISt17integral_constantIbLb0EES14_EEDaSZ_S10_EUlSZ_E_NS1_11comp_targetILNS1_3genE10ELNS1_11target_archE1200ELNS1_3gpuE4ELNS1_3repE0EEENS1_30default_config_static_selectorELNS0_4arch9wavefront6targetE1EEEvT1_
		.amdhsa_group_segment_fixed_size 0
		.amdhsa_private_segment_fixed_size 0
		.amdhsa_kernarg_size 120
		.amdhsa_user_sgpr_count 6
		.amdhsa_user_sgpr_private_segment_buffer 1
		.amdhsa_user_sgpr_dispatch_ptr 0
		.amdhsa_user_sgpr_queue_ptr 0
		.amdhsa_user_sgpr_kernarg_segment_ptr 1
		.amdhsa_user_sgpr_dispatch_id 0
		.amdhsa_user_sgpr_flat_scratch_init 0
		.amdhsa_user_sgpr_kernarg_preload_length 0
		.amdhsa_user_sgpr_kernarg_preload_offset 0
		.amdhsa_user_sgpr_private_segment_size 0
		.amdhsa_uses_dynamic_stack 0
		.amdhsa_system_sgpr_private_segment_wavefront_offset 0
		.amdhsa_system_sgpr_workgroup_id_x 1
		.amdhsa_system_sgpr_workgroup_id_y 0
		.amdhsa_system_sgpr_workgroup_id_z 0
		.amdhsa_system_sgpr_workgroup_info 0
		.amdhsa_system_vgpr_workitem_id 0
		.amdhsa_next_free_vgpr 1
		.amdhsa_next_free_sgpr 0
		.amdhsa_accum_offset 4
		.amdhsa_reserve_vcc 0
		.amdhsa_reserve_flat_scratch 0
		.amdhsa_float_round_mode_32 0
		.amdhsa_float_round_mode_16_64 0
		.amdhsa_float_denorm_mode_32 3
		.amdhsa_float_denorm_mode_16_64 3
		.amdhsa_dx10_clamp 1
		.amdhsa_ieee_mode 1
		.amdhsa_fp16_overflow 0
		.amdhsa_tg_split 0
		.amdhsa_exception_fp_ieee_invalid_op 0
		.amdhsa_exception_fp_denorm_src 0
		.amdhsa_exception_fp_ieee_div_zero 0
		.amdhsa_exception_fp_ieee_overflow 0
		.amdhsa_exception_fp_ieee_underflow 0
		.amdhsa_exception_fp_ieee_inexact 0
		.amdhsa_exception_int_div_zero 0
	.end_amdhsa_kernel
	.section	.text._ZN7rocprim17ROCPRIM_400000_NS6detail17trampoline_kernelINS0_14default_configENS1_27scan_by_key_config_selectorIiiEEZZNS1_16scan_by_key_implILNS1_25lookback_scan_determinismE0ELb0ES3_N6thrust23THRUST_200600_302600_NS6detail15normal_iteratorINS9_10device_ptrIiEEEENS9_18transform_iteratorINS9_6negateIiEESE_NS9_11use_defaultESI_EESE_iNS9_4plusIvEENS9_8equal_toIvEEiEE10hipError_tPvRmT2_T3_T4_T5_mT6_T7_P12ihipStream_tbENKUlT_T0_E_clISt17integral_constantIbLb0EES14_EEDaSZ_S10_EUlSZ_E_NS1_11comp_targetILNS1_3genE10ELNS1_11target_archE1200ELNS1_3gpuE4ELNS1_3repE0EEENS1_30default_config_static_selectorELNS0_4arch9wavefront6targetE1EEEvT1_,"axG",@progbits,_ZN7rocprim17ROCPRIM_400000_NS6detail17trampoline_kernelINS0_14default_configENS1_27scan_by_key_config_selectorIiiEEZZNS1_16scan_by_key_implILNS1_25lookback_scan_determinismE0ELb0ES3_N6thrust23THRUST_200600_302600_NS6detail15normal_iteratorINS9_10device_ptrIiEEEENS9_18transform_iteratorINS9_6negateIiEESE_NS9_11use_defaultESI_EESE_iNS9_4plusIvEENS9_8equal_toIvEEiEE10hipError_tPvRmT2_T3_T4_T5_mT6_T7_P12ihipStream_tbENKUlT_T0_E_clISt17integral_constantIbLb0EES14_EEDaSZ_S10_EUlSZ_E_NS1_11comp_targetILNS1_3genE10ELNS1_11target_archE1200ELNS1_3gpuE4ELNS1_3repE0EEENS1_30default_config_static_selectorELNS0_4arch9wavefront6targetE1EEEvT1_,comdat
.Lfunc_end935:
	.size	_ZN7rocprim17ROCPRIM_400000_NS6detail17trampoline_kernelINS0_14default_configENS1_27scan_by_key_config_selectorIiiEEZZNS1_16scan_by_key_implILNS1_25lookback_scan_determinismE0ELb0ES3_N6thrust23THRUST_200600_302600_NS6detail15normal_iteratorINS9_10device_ptrIiEEEENS9_18transform_iteratorINS9_6negateIiEESE_NS9_11use_defaultESI_EESE_iNS9_4plusIvEENS9_8equal_toIvEEiEE10hipError_tPvRmT2_T3_T4_T5_mT6_T7_P12ihipStream_tbENKUlT_T0_E_clISt17integral_constantIbLb0EES14_EEDaSZ_S10_EUlSZ_E_NS1_11comp_targetILNS1_3genE10ELNS1_11target_archE1200ELNS1_3gpuE4ELNS1_3repE0EEENS1_30default_config_static_selectorELNS0_4arch9wavefront6targetE1EEEvT1_, .Lfunc_end935-_ZN7rocprim17ROCPRIM_400000_NS6detail17trampoline_kernelINS0_14default_configENS1_27scan_by_key_config_selectorIiiEEZZNS1_16scan_by_key_implILNS1_25lookback_scan_determinismE0ELb0ES3_N6thrust23THRUST_200600_302600_NS6detail15normal_iteratorINS9_10device_ptrIiEEEENS9_18transform_iteratorINS9_6negateIiEESE_NS9_11use_defaultESI_EESE_iNS9_4plusIvEENS9_8equal_toIvEEiEE10hipError_tPvRmT2_T3_T4_T5_mT6_T7_P12ihipStream_tbENKUlT_T0_E_clISt17integral_constantIbLb0EES14_EEDaSZ_S10_EUlSZ_E_NS1_11comp_targetILNS1_3genE10ELNS1_11target_archE1200ELNS1_3gpuE4ELNS1_3repE0EEENS1_30default_config_static_selectorELNS0_4arch9wavefront6targetE1EEEvT1_
                                        ; -- End function
	.section	.AMDGPU.csdata,"",@progbits
; Kernel info:
; codeLenInByte = 0
; NumSgprs: 4
; NumVgprs: 0
; NumAgprs: 0
; TotalNumVgprs: 0
; ScratchSize: 0
; MemoryBound: 0
; FloatMode: 240
; IeeeMode: 1
; LDSByteSize: 0 bytes/workgroup (compile time only)
; SGPRBlocks: 0
; VGPRBlocks: 0
; NumSGPRsForWavesPerEU: 4
; NumVGPRsForWavesPerEU: 1
; AccumOffset: 4
; Occupancy: 8
; WaveLimiterHint : 0
; COMPUTE_PGM_RSRC2:SCRATCH_EN: 0
; COMPUTE_PGM_RSRC2:USER_SGPR: 6
; COMPUTE_PGM_RSRC2:TRAP_HANDLER: 0
; COMPUTE_PGM_RSRC2:TGID_X_EN: 1
; COMPUTE_PGM_RSRC2:TGID_Y_EN: 0
; COMPUTE_PGM_RSRC2:TGID_Z_EN: 0
; COMPUTE_PGM_RSRC2:TIDIG_COMP_CNT: 0
; COMPUTE_PGM_RSRC3_GFX90A:ACCUM_OFFSET: 0
; COMPUTE_PGM_RSRC3_GFX90A:TG_SPLIT: 0
	.section	.text._ZN7rocprim17ROCPRIM_400000_NS6detail17trampoline_kernelINS0_14default_configENS1_27scan_by_key_config_selectorIiiEEZZNS1_16scan_by_key_implILNS1_25lookback_scan_determinismE0ELb0ES3_N6thrust23THRUST_200600_302600_NS6detail15normal_iteratorINS9_10device_ptrIiEEEENS9_18transform_iteratorINS9_6negateIiEESE_NS9_11use_defaultESI_EESE_iNS9_4plusIvEENS9_8equal_toIvEEiEE10hipError_tPvRmT2_T3_T4_T5_mT6_T7_P12ihipStream_tbENKUlT_T0_E_clISt17integral_constantIbLb0EES14_EEDaSZ_S10_EUlSZ_E_NS1_11comp_targetILNS1_3genE9ELNS1_11target_archE1100ELNS1_3gpuE3ELNS1_3repE0EEENS1_30default_config_static_selectorELNS0_4arch9wavefront6targetE1EEEvT1_,"axG",@progbits,_ZN7rocprim17ROCPRIM_400000_NS6detail17trampoline_kernelINS0_14default_configENS1_27scan_by_key_config_selectorIiiEEZZNS1_16scan_by_key_implILNS1_25lookback_scan_determinismE0ELb0ES3_N6thrust23THRUST_200600_302600_NS6detail15normal_iteratorINS9_10device_ptrIiEEEENS9_18transform_iteratorINS9_6negateIiEESE_NS9_11use_defaultESI_EESE_iNS9_4plusIvEENS9_8equal_toIvEEiEE10hipError_tPvRmT2_T3_T4_T5_mT6_T7_P12ihipStream_tbENKUlT_T0_E_clISt17integral_constantIbLb0EES14_EEDaSZ_S10_EUlSZ_E_NS1_11comp_targetILNS1_3genE9ELNS1_11target_archE1100ELNS1_3gpuE3ELNS1_3repE0EEENS1_30default_config_static_selectorELNS0_4arch9wavefront6targetE1EEEvT1_,comdat
	.protected	_ZN7rocprim17ROCPRIM_400000_NS6detail17trampoline_kernelINS0_14default_configENS1_27scan_by_key_config_selectorIiiEEZZNS1_16scan_by_key_implILNS1_25lookback_scan_determinismE0ELb0ES3_N6thrust23THRUST_200600_302600_NS6detail15normal_iteratorINS9_10device_ptrIiEEEENS9_18transform_iteratorINS9_6negateIiEESE_NS9_11use_defaultESI_EESE_iNS9_4plusIvEENS9_8equal_toIvEEiEE10hipError_tPvRmT2_T3_T4_T5_mT6_T7_P12ihipStream_tbENKUlT_T0_E_clISt17integral_constantIbLb0EES14_EEDaSZ_S10_EUlSZ_E_NS1_11comp_targetILNS1_3genE9ELNS1_11target_archE1100ELNS1_3gpuE3ELNS1_3repE0EEENS1_30default_config_static_selectorELNS0_4arch9wavefront6targetE1EEEvT1_ ; -- Begin function _ZN7rocprim17ROCPRIM_400000_NS6detail17trampoline_kernelINS0_14default_configENS1_27scan_by_key_config_selectorIiiEEZZNS1_16scan_by_key_implILNS1_25lookback_scan_determinismE0ELb0ES3_N6thrust23THRUST_200600_302600_NS6detail15normal_iteratorINS9_10device_ptrIiEEEENS9_18transform_iteratorINS9_6negateIiEESE_NS9_11use_defaultESI_EESE_iNS9_4plusIvEENS9_8equal_toIvEEiEE10hipError_tPvRmT2_T3_T4_T5_mT6_T7_P12ihipStream_tbENKUlT_T0_E_clISt17integral_constantIbLb0EES14_EEDaSZ_S10_EUlSZ_E_NS1_11comp_targetILNS1_3genE9ELNS1_11target_archE1100ELNS1_3gpuE3ELNS1_3repE0EEENS1_30default_config_static_selectorELNS0_4arch9wavefront6targetE1EEEvT1_
	.globl	_ZN7rocprim17ROCPRIM_400000_NS6detail17trampoline_kernelINS0_14default_configENS1_27scan_by_key_config_selectorIiiEEZZNS1_16scan_by_key_implILNS1_25lookback_scan_determinismE0ELb0ES3_N6thrust23THRUST_200600_302600_NS6detail15normal_iteratorINS9_10device_ptrIiEEEENS9_18transform_iteratorINS9_6negateIiEESE_NS9_11use_defaultESI_EESE_iNS9_4plusIvEENS9_8equal_toIvEEiEE10hipError_tPvRmT2_T3_T4_T5_mT6_T7_P12ihipStream_tbENKUlT_T0_E_clISt17integral_constantIbLb0EES14_EEDaSZ_S10_EUlSZ_E_NS1_11comp_targetILNS1_3genE9ELNS1_11target_archE1100ELNS1_3gpuE3ELNS1_3repE0EEENS1_30default_config_static_selectorELNS0_4arch9wavefront6targetE1EEEvT1_
	.p2align	8
	.type	_ZN7rocprim17ROCPRIM_400000_NS6detail17trampoline_kernelINS0_14default_configENS1_27scan_by_key_config_selectorIiiEEZZNS1_16scan_by_key_implILNS1_25lookback_scan_determinismE0ELb0ES3_N6thrust23THRUST_200600_302600_NS6detail15normal_iteratorINS9_10device_ptrIiEEEENS9_18transform_iteratorINS9_6negateIiEESE_NS9_11use_defaultESI_EESE_iNS9_4plusIvEENS9_8equal_toIvEEiEE10hipError_tPvRmT2_T3_T4_T5_mT6_T7_P12ihipStream_tbENKUlT_T0_E_clISt17integral_constantIbLb0EES14_EEDaSZ_S10_EUlSZ_E_NS1_11comp_targetILNS1_3genE9ELNS1_11target_archE1100ELNS1_3gpuE3ELNS1_3repE0EEENS1_30default_config_static_selectorELNS0_4arch9wavefront6targetE1EEEvT1_,@function
_ZN7rocprim17ROCPRIM_400000_NS6detail17trampoline_kernelINS0_14default_configENS1_27scan_by_key_config_selectorIiiEEZZNS1_16scan_by_key_implILNS1_25lookback_scan_determinismE0ELb0ES3_N6thrust23THRUST_200600_302600_NS6detail15normal_iteratorINS9_10device_ptrIiEEEENS9_18transform_iteratorINS9_6negateIiEESE_NS9_11use_defaultESI_EESE_iNS9_4plusIvEENS9_8equal_toIvEEiEE10hipError_tPvRmT2_T3_T4_T5_mT6_T7_P12ihipStream_tbENKUlT_T0_E_clISt17integral_constantIbLb0EES14_EEDaSZ_S10_EUlSZ_E_NS1_11comp_targetILNS1_3genE9ELNS1_11target_archE1100ELNS1_3gpuE3ELNS1_3repE0EEENS1_30default_config_static_selectorELNS0_4arch9wavefront6targetE1EEEvT1_: ; @_ZN7rocprim17ROCPRIM_400000_NS6detail17trampoline_kernelINS0_14default_configENS1_27scan_by_key_config_selectorIiiEEZZNS1_16scan_by_key_implILNS1_25lookback_scan_determinismE0ELb0ES3_N6thrust23THRUST_200600_302600_NS6detail15normal_iteratorINS9_10device_ptrIiEEEENS9_18transform_iteratorINS9_6negateIiEESE_NS9_11use_defaultESI_EESE_iNS9_4plusIvEENS9_8equal_toIvEEiEE10hipError_tPvRmT2_T3_T4_T5_mT6_T7_P12ihipStream_tbENKUlT_T0_E_clISt17integral_constantIbLb0EES14_EEDaSZ_S10_EUlSZ_E_NS1_11comp_targetILNS1_3genE9ELNS1_11target_archE1100ELNS1_3gpuE3ELNS1_3repE0EEENS1_30default_config_static_selectorELNS0_4arch9wavefront6targetE1EEEvT1_
; %bb.0:
	.section	.rodata,"a",@progbits
	.p2align	6, 0x0
	.amdhsa_kernel _ZN7rocprim17ROCPRIM_400000_NS6detail17trampoline_kernelINS0_14default_configENS1_27scan_by_key_config_selectorIiiEEZZNS1_16scan_by_key_implILNS1_25lookback_scan_determinismE0ELb0ES3_N6thrust23THRUST_200600_302600_NS6detail15normal_iteratorINS9_10device_ptrIiEEEENS9_18transform_iteratorINS9_6negateIiEESE_NS9_11use_defaultESI_EESE_iNS9_4plusIvEENS9_8equal_toIvEEiEE10hipError_tPvRmT2_T3_T4_T5_mT6_T7_P12ihipStream_tbENKUlT_T0_E_clISt17integral_constantIbLb0EES14_EEDaSZ_S10_EUlSZ_E_NS1_11comp_targetILNS1_3genE9ELNS1_11target_archE1100ELNS1_3gpuE3ELNS1_3repE0EEENS1_30default_config_static_selectorELNS0_4arch9wavefront6targetE1EEEvT1_
		.amdhsa_group_segment_fixed_size 0
		.amdhsa_private_segment_fixed_size 0
		.amdhsa_kernarg_size 120
		.amdhsa_user_sgpr_count 6
		.amdhsa_user_sgpr_private_segment_buffer 1
		.amdhsa_user_sgpr_dispatch_ptr 0
		.amdhsa_user_sgpr_queue_ptr 0
		.amdhsa_user_sgpr_kernarg_segment_ptr 1
		.amdhsa_user_sgpr_dispatch_id 0
		.amdhsa_user_sgpr_flat_scratch_init 0
		.amdhsa_user_sgpr_kernarg_preload_length 0
		.amdhsa_user_sgpr_kernarg_preload_offset 0
		.amdhsa_user_sgpr_private_segment_size 0
		.amdhsa_uses_dynamic_stack 0
		.amdhsa_system_sgpr_private_segment_wavefront_offset 0
		.amdhsa_system_sgpr_workgroup_id_x 1
		.amdhsa_system_sgpr_workgroup_id_y 0
		.amdhsa_system_sgpr_workgroup_id_z 0
		.amdhsa_system_sgpr_workgroup_info 0
		.amdhsa_system_vgpr_workitem_id 0
		.amdhsa_next_free_vgpr 1
		.amdhsa_next_free_sgpr 0
		.amdhsa_accum_offset 4
		.amdhsa_reserve_vcc 0
		.amdhsa_reserve_flat_scratch 0
		.amdhsa_float_round_mode_32 0
		.amdhsa_float_round_mode_16_64 0
		.amdhsa_float_denorm_mode_32 3
		.amdhsa_float_denorm_mode_16_64 3
		.amdhsa_dx10_clamp 1
		.amdhsa_ieee_mode 1
		.amdhsa_fp16_overflow 0
		.amdhsa_tg_split 0
		.amdhsa_exception_fp_ieee_invalid_op 0
		.amdhsa_exception_fp_denorm_src 0
		.amdhsa_exception_fp_ieee_div_zero 0
		.amdhsa_exception_fp_ieee_overflow 0
		.amdhsa_exception_fp_ieee_underflow 0
		.amdhsa_exception_fp_ieee_inexact 0
		.amdhsa_exception_int_div_zero 0
	.end_amdhsa_kernel
	.section	.text._ZN7rocprim17ROCPRIM_400000_NS6detail17trampoline_kernelINS0_14default_configENS1_27scan_by_key_config_selectorIiiEEZZNS1_16scan_by_key_implILNS1_25lookback_scan_determinismE0ELb0ES3_N6thrust23THRUST_200600_302600_NS6detail15normal_iteratorINS9_10device_ptrIiEEEENS9_18transform_iteratorINS9_6negateIiEESE_NS9_11use_defaultESI_EESE_iNS9_4plusIvEENS9_8equal_toIvEEiEE10hipError_tPvRmT2_T3_T4_T5_mT6_T7_P12ihipStream_tbENKUlT_T0_E_clISt17integral_constantIbLb0EES14_EEDaSZ_S10_EUlSZ_E_NS1_11comp_targetILNS1_3genE9ELNS1_11target_archE1100ELNS1_3gpuE3ELNS1_3repE0EEENS1_30default_config_static_selectorELNS0_4arch9wavefront6targetE1EEEvT1_,"axG",@progbits,_ZN7rocprim17ROCPRIM_400000_NS6detail17trampoline_kernelINS0_14default_configENS1_27scan_by_key_config_selectorIiiEEZZNS1_16scan_by_key_implILNS1_25lookback_scan_determinismE0ELb0ES3_N6thrust23THRUST_200600_302600_NS6detail15normal_iteratorINS9_10device_ptrIiEEEENS9_18transform_iteratorINS9_6negateIiEESE_NS9_11use_defaultESI_EESE_iNS9_4plusIvEENS9_8equal_toIvEEiEE10hipError_tPvRmT2_T3_T4_T5_mT6_T7_P12ihipStream_tbENKUlT_T0_E_clISt17integral_constantIbLb0EES14_EEDaSZ_S10_EUlSZ_E_NS1_11comp_targetILNS1_3genE9ELNS1_11target_archE1100ELNS1_3gpuE3ELNS1_3repE0EEENS1_30default_config_static_selectorELNS0_4arch9wavefront6targetE1EEEvT1_,comdat
.Lfunc_end936:
	.size	_ZN7rocprim17ROCPRIM_400000_NS6detail17trampoline_kernelINS0_14default_configENS1_27scan_by_key_config_selectorIiiEEZZNS1_16scan_by_key_implILNS1_25lookback_scan_determinismE0ELb0ES3_N6thrust23THRUST_200600_302600_NS6detail15normal_iteratorINS9_10device_ptrIiEEEENS9_18transform_iteratorINS9_6negateIiEESE_NS9_11use_defaultESI_EESE_iNS9_4plusIvEENS9_8equal_toIvEEiEE10hipError_tPvRmT2_T3_T4_T5_mT6_T7_P12ihipStream_tbENKUlT_T0_E_clISt17integral_constantIbLb0EES14_EEDaSZ_S10_EUlSZ_E_NS1_11comp_targetILNS1_3genE9ELNS1_11target_archE1100ELNS1_3gpuE3ELNS1_3repE0EEENS1_30default_config_static_selectorELNS0_4arch9wavefront6targetE1EEEvT1_, .Lfunc_end936-_ZN7rocprim17ROCPRIM_400000_NS6detail17trampoline_kernelINS0_14default_configENS1_27scan_by_key_config_selectorIiiEEZZNS1_16scan_by_key_implILNS1_25lookback_scan_determinismE0ELb0ES3_N6thrust23THRUST_200600_302600_NS6detail15normal_iteratorINS9_10device_ptrIiEEEENS9_18transform_iteratorINS9_6negateIiEESE_NS9_11use_defaultESI_EESE_iNS9_4plusIvEENS9_8equal_toIvEEiEE10hipError_tPvRmT2_T3_T4_T5_mT6_T7_P12ihipStream_tbENKUlT_T0_E_clISt17integral_constantIbLb0EES14_EEDaSZ_S10_EUlSZ_E_NS1_11comp_targetILNS1_3genE9ELNS1_11target_archE1100ELNS1_3gpuE3ELNS1_3repE0EEENS1_30default_config_static_selectorELNS0_4arch9wavefront6targetE1EEEvT1_
                                        ; -- End function
	.section	.AMDGPU.csdata,"",@progbits
; Kernel info:
; codeLenInByte = 0
; NumSgprs: 4
; NumVgprs: 0
; NumAgprs: 0
; TotalNumVgprs: 0
; ScratchSize: 0
; MemoryBound: 0
; FloatMode: 240
; IeeeMode: 1
; LDSByteSize: 0 bytes/workgroup (compile time only)
; SGPRBlocks: 0
; VGPRBlocks: 0
; NumSGPRsForWavesPerEU: 4
; NumVGPRsForWavesPerEU: 1
; AccumOffset: 4
; Occupancy: 8
; WaveLimiterHint : 0
; COMPUTE_PGM_RSRC2:SCRATCH_EN: 0
; COMPUTE_PGM_RSRC2:USER_SGPR: 6
; COMPUTE_PGM_RSRC2:TRAP_HANDLER: 0
; COMPUTE_PGM_RSRC2:TGID_X_EN: 1
; COMPUTE_PGM_RSRC2:TGID_Y_EN: 0
; COMPUTE_PGM_RSRC2:TGID_Z_EN: 0
; COMPUTE_PGM_RSRC2:TIDIG_COMP_CNT: 0
; COMPUTE_PGM_RSRC3_GFX90A:ACCUM_OFFSET: 0
; COMPUTE_PGM_RSRC3_GFX90A:TG_SPLIT: 0
	.section	.text._ZN7rocprim17ROCPRIM_400000_NS6detail17trampoline_kernelINS0_14default_configENS1_27scan_by_key_config_selectorIiiEEZZNS1_16scan_by_key_implILNS1_25lookback_scan_determinismE0ELb0ES3_N6thrust23THRUST_200600_302600_NS6detail15normal_iteratorINS9_10device_ptrIiEEEENS9_18transform_iteratorINS9_6negateIiEESE_NS9_11use_defaultESI_EESE_iNS9_4plusIvEENS9_8equal_toIvEEiEE10hipError_tPvRmT2_T3_T4_T5_mT6_T7_P12ihipStream_tbENKUlT_T0_E_clISt17integral_constantIbLb0EES14_EEDaSZ_S10_EUlSZ_E_NS1_11comp_targetILNS1_3genE8ELNS1_11target_archE1030ELNS1_3gpuE2ELNS1_3repE0EEENS1_30default_config_static_selectorELNS0_4arch9wavefront6targetE1EEEvT1_,"axG",@progbits,_ZN7rocprim17ROCPRIM_400000_NS6detail17trampoline_kernelINS0_14default_configENS1_27scan_by_key_config_selectorIiiEEZZNS1_16scan_by_key_implILNS1_25lookback_scan_determinismE0ELb0ES3_N6thrust23THRUST_200600_302600_NS6detail15normal_iteratorINS9_10device_ptrIiEEEENS9_18transform_iteratorINS9_6negateIiEESE_NS9_11use_defaultESI_EESE_iNS9_4plusIvEENS9_8equal_toIvEEiEE10hipError_tPvRmT2_T3_T4_T5_mT6_T7_P12ihipStream_tbENKUlT_T0_E_clISt17integral_constantIbLb0EES14_EEDaSZ_S10_EUlSZ_E_NS1_11comp_targetILNS1_3genE8ELNS1_11target_archE1030ELNS1_3gpuE2ELNS1_3repE0EEENS1_30default_config_static_selectorELNS0_4arch9wavefront6targetE1EEEvT1_,comdat
	.protected	_ZN7rocprim17ROCPRIM_400000_NS6detail17trampoline_kernelINS0_14default_configENS1_27scan_by_key_config_selectorIiiEEZZNS1_16scan_by_key_implILNS1_25lookback_scan_determinismE0ELb0ES3_N6thrust23THRUST_200600_302600_NS6detail15normal_iteratorINS9_10device_ptrIiEEEENS9_18transform_iteratorINS9_6negateIiEESE_NS9_11use_defaultESI_EESE_iNS9_4plusIvEENS9_8equal_toIvEEiEE10hipError_tPvRmT2_T3_T4_T5_mT6_T7_P12ihipStream_tbENKUlT_T0_E_clISt17integral_constantIbLb0EES14_EEDaSZ_S10_EUlSZ_E_NS1_11comp_targetILNS1_3genE8ELNS1_11target_archE1030ELNS1_3gpuE2ELNS1_3repE0EEENS1_30default_config_static_selectorELNS0_4arch9wavefront6targetE1EEEvT1_ ; -- Begin function _ZN7rocprim17ROCPRIM_400000_NS6detail17trampoline_kernelINS0_14default_configENS1_27scan_by_key_config_selectorIiiEEZZNS1_16scan_by_key_implILNS1_25lookback_scan_determinismE0ELb0ES3_N6thrust23THRUST_200600_302600_NS6detail15normal_iteratorINS9_10device_ptrIiEEEENS9_18transform_iteratorINS9_6negateIiEESE_NS9_11use_defaultESI_EESE_iNS9_4plusIvEENS9_8equal_toIvEEiEE10hipError_tPvRmT2_T3_T4_T5_mT6_T7_P12ihipStream_tbENKUlT_T0_E_clISt17integral_constantIbLb0EES14_EEDaSZ_S10_EUlSZ_E_NS1_11comp_targetILNS1_3genE8ELNS1_11target_archE1030ELNS1_3gpuE2ELNS1_3repE0EEENS1_30default_config_static_selectorELNS0_4arch9wavefront6targetE1EEEvT1_
	.globl	_ZN7rocprim17ROCPRIM_400000_NS6detail17trampoline_kernelINS0_14default_configENS1_27scan_by_key_config_selectorIiiEEZZNS1_16scan_by_key_implILNS1_25lookback_scan_determinismE0ELb0ES3_N6thrust23THRUST_200600_302600_NS6detail15normal_iteratorINS9_10device_ptrIiEEEENS9_18transform_iteratorINS9_6negateIiEESE_NS9_11use_defaultESI_EESE_iNS9_4plusIvEENS9_8equal_toIvEEiEE10hipError_tPvRmT2_T3_T4_T5_mT6_T7_P12ihipStream_tbENKUlT_T0_E_clISt17integral_constantIbLb0EES14_EEDaSZ_S10_EUlSZ_E_NS1_11comp_targetILNS1_3genE8ELNS1_11target_archE1030ELNS1_3gpuE2ELNS1_3repE0EEENS1_30default_config_static_selectorELNS0_4arch9wavefront6targetE1EEEvT1_
	.p2align	8
	.type	_ZN7rocprim17ROCPRIM_400000_NS6detail17trampoline_kernelINS0_14default_configENS1_27scan_by_key_config_selectorIiiEEZZNS1_16scan_by_key_implILNS1_25lookback_scan_determinismE0ELb0ES3_N6thrust23THRUST_200600_302600_NS6detail15normal_iteratorINS9_10device_ptrIiEEEENS9_18transform_iteratorINS9_6negateIiEESE_NS9_11use_defaultESI_EESE_iNS9_4plusIvEENS9_8equal_toIvEEiEE10hipError_tPvRmT2_T3_T4_T5_mT6_T7_P12ihipStream_tbENKUlT_T0_E_clISt17integral_constantIbLb0EES14_EEDaSZ_S10_EUlSZ_E_NS1_11comp_targetILNS1_3genE8ELNS1_11target_archE1030ELNS1_3gpuE2ELNS1_3repE0EEENS1_30default_config_static_selectorELNS0_4arch9wavefront6targetE1EEEvT1_,@function
_ZN7rocprim17ROCPRIM_400000_NS6detail17trampoline_kernelINS0_14default_configENS1_27scan_by_key_config_selectorIiiEEZZNS1_16scan_by_key_implILNS1_25lookback_scan_determinismE0ELb0ES3_N6thrust23THRUST_200600_302600_NS6detail15normal_iteratorINS9_10device_ptrIiEEEENS9_18transform_iteratorINS9_6negateIiEESE_NS9_11use_defaultESI_EESE_iNS9_4plusIvEENS9_8equal_toIvEEiEE10hipError_tPvRmT2_T3_T4_T5_mT6_T7_P12ihipStream_tbENKUlT_T0_E_clISt17integral_constantIbLb0EES14_EEDaSZ_S10_EUlSZ_E_NS1_11comp_targetILNS1_3genE8ELNS1_11target_archE1030ELNS1_3gpuE2ELNS1_3repE0EEENS1_30default_config_static_selectorELNS0_4arch9wavefront6targetE1EEEvT1_: ; @_ZN7rocprim17ROCPRIM_400000_NS6detail17trampoline_kernelINS0_14default_configENS1_27scan_by_key_config_selectorIiiEEZZNS1_16scan_by_key_implILNS1_25lookback_scan_determinismE0ELb0ES3_N6thrust23THRUST_200600_302600_NS6detail15normal_iteratorINS9_10device_ptrIiEEEENS9_18transform_iteratorINS9_6negateIiEESE_NS9_11use_defaultESI_EESE_iNS9_4plusIvEENS9_8equal_toIvEEiEE10hipError_tPvRmT2_T3_T4_T5_mT6_T7_P12ihipStream_tbENKUlT_T0_E_clISt17integral_constantIbLb0EES14_EEDaSZ_S10_EUlSZ_E_NS1_11comp_targetILNS1_3genE8ELNS1_11target_archE1030ELNS1_3gpuE2ELNS1_3repE0EEENS1_30default_config_static_selectorELNS0_4arch9wavefront6targetE1EEEvT1_
; %bb.0:
	.section	.rodata,"a",@progbits
	.p2align	6, 0x0
	.amdhsa_kernel _ZN7rocprim17ROCPRIM_400000_NS6detail17trampoline_kernelINS0_14default_configENS1_27scan_by_key_config_selectorIiiEEZZNS1_16scan_by_key_implILNS1_25lookback_scan_determinismE0ELb0ES3_N6thrust23THRUST_200600_302600_NS6detail15normal_iteratorINS9_10device_ptrIiEEEENS9_18transform_iteratorINS9_6negateIiEESE_NS9_11use_defaultESI_EESE_iNS9_4plusIvEENS9_8equal_toIvEEiEE10hipError_tPvRmT2_T3_T4_T5_mT6_T7_P12ihipStream_tbENKUlT_T0_E_clISt17integral_constantIbLb0EES14_EEDaSZ_S10_EUlSZ_E_NS1_11comp_targetILNS1_3genE8ELNS1_11target_archE1030ELNS1_3gpuE2ELNS1_3repE0EEENS1_30default_config_static_selectorELNS0_4arch9wavefront6targetE1EEEvT1_
		.amdhsa_group_segment_fixed_size 0
		.amdhsa_private_segment_fixed_size 0
		.amdhsa_kernarg_size 120
		.amdhsa_user_sgpr_count 6
		.amdhsa_user_sgpr_private_segment_buffer 1
		.amdhsa_user_sgpr_dispatch_ptr 0
		.amdhsa_user_sgpr_queue_ptr 0
		.amdhsa_user_sgpr_kernarg_segment_ptr 1
		.amdhsa_user_sgpr_dispatch_id 0
		.amdhsa_user_sgpr_flat_scratch_init 0
		.amdhsa_user_sgpr_kernarg_preload_length 0
		.amdhsa_user_sgpr_kernarg_preload_offset 0
		.amdhsa_user_sgpr_private_segment_size 0
		.amdhsa_uses_dynamic_stack 0
		.amdhsa_system_sgpr_private_segment_wavefront_offset 0
		.amdhsa_system_sgpr_workgroup_id_x 1
		.amdhsa_system_sgpr_workgroup_id_y 0
		.amdhsa_system_sgpr_workgroup_id_z 0
		.amdhsa_system_sgpr_workgroup_info 0
		.amdhsa_system_vgpr_workitem_id 0
		.amdhsa_next_free_vgpr 1
		.amdhsa_next_free_sgpr 0
		.amdhsa_accum_offset 4
		.amdhsa_reserve_vcc 0
		.amdhsa_reserve_flat_scratch 0
		.amdhsa_float_round_mode_32 0
		.amdhsa_float_round_mode_16_64 0
		.amdhsa_float_denorm_mode_32 3
		.amdhsa_float_denorm_mode_16_64 3
		.amdhsa_dx10_clamp 1
		.amdhsa_ieee_mode 1
		.amdhsa_fp16_overflow 0
		.amdhsa_tg_split 0
		.amdhsa_exception_fp_ieee_invalid_op 0
		.amdhsa_exception_fp_denorm_src 0
		.amdhsa_exception_fp_ieee_div_zero 0
		.amdhsa_exception_fp_ieee_overflow 0
		.amdhsa_exception_fp_ieee_underflow 0
		.amdhsa_exception_fp_ieee_inexact 0
		.amdhsa_exception_int_div_zero 0
	.end_amdhsa_kernel
	.section	.text._ZN7rocprim17ROCPRIM_400000_NS6detail17trampoline_kernelINS0_14default_configENS1_27scan_by_key_config_selectorIiiEEZZNS1_16scan_by_key_implILNS1_25lookback_scan_determinismE0ELb0ES3_N6thrust23THRUST_200600_302600_NS6detail15normal_iteratorINS9_10device_ptrIiEEEENS9_18transform_iteratorINS9_6negateIiEESE_NS9_11use_defaultESI_EESE_iNS9_4plusIvEENS9_8equal_toIvEEiEE10hipError_tPvRmT2_T3_T4_T5_mT6_T7_P12ihipStream_tbENKUlT_T0_E_clISt17integral_constantIbLb0EES14_EEDaSZ_S10_EUlSZ_E_NS1_11comp_targetILNS1_3genE8ELNS1_11target_archE1030ELNS1_3gpuE2ELNS1_3repE0EEENS1_30default_config_static_selectorELNS0_4arch9wavefront6targetE1EEEvT1_,"axG",@progbits,_ZN7rocprim17ROCPRIM_400000_NS6detail17trampoline_kernelINS0_14default_configENS1_27scan_by_key_config_selectorIiiEEZZNS1_16scan_by_key_implILNS1_25lookback_scan_determinismE0ELb0ES3_N6thrust23THRUST_200600_302600_NS6detail15normal_iteratorINS9_10device_ptrIiEEEENS9_18transform_iteratorINS9_6negateIiEESE_NS9_11use_defaultESI_EESE_iNS9_4plusIvEENS9_8equal_toIvEEiEE10hipError_tPvRmT2_T3_T4_T5_mT6_T7_P12ihipStream_tbENKUlT_T0_E_clISt17integral_constantIbLb0EES14_EEDaSZ_S10_EUlSZ_E_NS1_11comp_targetILNS1_3genE8ELNS1_11target_archE1030ELNS1_3gpuE2ELNS1_3repE0EEENS1_30default_config_static_selectorELNS0_4arch9wavefront6targetE1EEEvT1_,comdat
.Lfunc_end937:
	.size	_ZN7rocprim17ROCPRIM_400000_NS6detail17trampoline_kernelINS0_14default_configENS1_27scan_by_key_config_selectorIiiEEZZNS1_16scan_by_key_implILNS1_25lookback_scan_determinismE0ELb0ES3_N6thrust23THRUST_200600_302600_NS6detail15normal_iteratorINS9_10device_ptrIiEEEENS9_18transform_iteratorINS9_6negateIiEESE_NS9_11use_defaultESI_EESE_iNS9_4plusIvEENS9_8equal_toIvEEiEE10hipError_tPvRmT2_T3_T4_T5_mT6_T7_P12ihipStream_tbENKUlT_T0_E_clISt17integral_constantIbLb0EES14_EEDaSZ_S10_EUlSZ_E_NS1_11comp_targetILNS1_3genE8ELNS1_11target_archE1030ELNS1_3gpuE2ELNS1_3repE0EEENS1_30default_config_static_selectorELNS0_4arch9wavefront6targetE1EEEvT1_, .Lfunc_end937-_ZN7rocprim17ROCPRIM_400000_NS6detail17trampoline_kernelINS0_14default_configENS1_27scan_by_key_config_selectorIiiEEZZNS1_16scan_by_key_implILNS1_25lookback_scan_determinismE0ELb0ES3_N6thrust23THRUST_200600_302600_NS6detail15normal_iteratorINS9_10device_ptrIiEEEENS9_18transform_iteratorINS9_6negateIiEESE_NS9_11use_defaultESI_EESE_iNS9_4plusIvEENS9_8equal_toIvEEiEE10hipError_tPvRmT2_T3_T4_T5_mT6_T7_P12ihipStream_tbENKUlT_T0_E_clISt17integral_constantIbLb0EES14_EEDaSZ_S10_EUlSZ_E_NS1_11comp_targetILNS1_3genE8ELNS1_11target_archE1030ELNS1_3gpuE2ELNS1_3repE0EEENS1_30default_config_static_selectorELNS0_4arch9wavefront6targetE1EEEvT1_
                                        ; -- End function
	.section	.AMDGPU.csdata,"",@progbits
; Kernel info:
; codeLenInByte = 0
; NumSgprs: 4
; NumVgprs: 0
; NumAgprs: 0
; TotalNumVgprs: 0
; ScratchSize: 0
; MemoryBound: 0
; FloatMode: 240
; IeeeMode: 1
; LDSByteSize: 0 bytes/workgroup (compile time only)
; SGPRBlocks: 0
; VGPRBlocks: 0
; NumSGPRsForWavesPerEU: 4
; NumVGPRsForWavesPerEU: 1
; AccumOffset: 4
; Occupancy: 8
; WaveLimiterHint : 0
; COMPUTE_PGM_RSRC2:SCRATCH_EN: 0
; COMPUTE_PGM_RSRC2:USER_SGPR: 6
; COMPUTE_PGM_RSRC2:TRAP_HANDLER: 0
; COMPUTE_PGM_RSRC2:TGID_X_EN: 1
; COMPUTE_PGM_RSRC2:TGID_Y_EN: 0
; COMPUTE_PGM_RSRC2:TGID_Z_EN: 0
; COMPUTE_PGM_RSRC2:TIDIG_COMP_CNT: 0
; COMPUTE_PGM_RSRC3_GFX90A:ACCUM_OFFSET: 0
; COMPUTE_PGM_RSRC3_GFX90A:TG_SPLIT: 0
	.section	.text._ZN7rocprim17ROCPRIM_400000_NS6detail17trampoline_kernelINS0_14default_configENS1_27scan_by_key_config_selectorIiiEEZZNS1_16scan_by_key_implILNS1_25lookback_scan_determinismE0ELb0ES3_N6thrust23THRUST_200600_302600_NS6detail15normal_iteratorINS9_10device_ptrIiEEEENS9_18transform_iteratorINS9_6negateIiEESE_NS9_11use_defaultESI_EESE_iNS9_4plusIvEENS9_8equal_toIvEEiEE10hipError_tPvRmT2_T3_T4_T5_mT6_T7_P12ihipStream_tbENKUlT_T0_E_clISt17integral_constantIbLb1EES14_EEDaSZ_S10_EUlSZ_E_NS1_11comp_targetILNS1_3genE0ELNS1_11target_archE4294967295ELNS1_3gpuE0ELNS1_3repE0EEENS1_30default_config_static_selectorELNS0_4arch9wavefront6targetE1EEEvT1_,"axG",@progbits,_ZN7rocprim17ROCPRIM_400000_NS6detail17trampoline_kernelINS0_14default_configENS1_27scan_by_key_config_selectorIiiEEZZNS1_16scan_by_key_implILNS1_25lookback_scan_determinismE0ELb0ES3_N6thrust23THRUST_200600_302600_NS6detail15normal_iteratorINS9_10device_ptrIiEEEENS9_18transform_iteratorINS9_6negateIiEESE_NS9_11use_defaultESI_EESE_iNS9_4plusIvEENS9_8equal_toIvEEiEE10hipError_tPvRmT2_T3_T4_T5_mT6_T7_P12ihipStream_tbENKUlT_T0_E_clISt17integral_constantIbLb1EES14_EEDaSZ_S10_EUlSZ_E_NS1_11comp_targetILNS1_3genE0ELNS1_11target_archE4294967295ELNS1_3gpuE0ELNS1_3repE0EEENS1_30default_config_static_selectorELNS0_4arch9wavefront6targetE1EEEvT1_,comdat
	.protected	_ZN7rocprim17ROCPRIM_400000_NS6detail17trampoline_kernelINS0_14default_configENS1_27scan_by_key_config_selectorIiiEEZZNS1_16scan_by_key_implILNS1_25lookback_scan_determinismE0ELb0ES3_N6thrust23THRUST_200600_302600_NS6detail15normal_iteratorINS9_10device_ptrIiEEEENS9_18transform_iteratorINS9_6negateIiEESE_NS9_11use_defaultESI_EESE_iNS9_4plusIvEENS9_8equal_toIvEEiEE10hipError_tPvRmT2_T3_T4_T5_mT6_T7_P12ihipStream_tbENKUlT_T0_E_clISt17integral_constantIbLb1EES14_EEDaSZ_S10_EUlSZ_E_NS1_11comp_targetILNS1_3genE0ELNS1_11target_archE4294967295ELNS1_3gpuE0ELNS1_3repE0EEENS1_30default_config_static_selectorELNS0_4arch9wavefront6targetE1EEEvT1_ ; -- Begin function _ZN7rocprim17ROCPRIM_400000_NS6detail17trampoline_kernelINS0_14default_configENS1_27scan_by_key_config_selectorIiiEEZZNS1_16scan_by_key_implILNS1_25lookback_scan_determinismE0ELb0ES3_N6thrust23THRUST_200600_302600_NS6detail15normal_iteratorINS9_10device_ptrIiEEEENS9_18transform_iteratorINS9_6negateIiEESE_NS9_11use_defaultESI_EESE_iNS9_4plusIvEENS9_8equal_toIvEEiEE10hipError_tPvRmT2_T3_T4_T5_mT6_T7_P12ihipStream_tbENKUlT_T0_E_clISt17integral_constantIbLb1EES14_EEDaSZ_S10_EUlSZ_E_NS1_11comp_targetILNS1_3genE0ELNS1_11target_archE4294967295ELNS1_3gpuE0ELNS1_3repE0EEENS1_30default_config_static_selectorELNS0_4arch9wavefront6targetE1EEEvT1_
	.globl	_ZN7rocprim17ROCPRIM_400000_NS6detail17trampoline_kernelINS0_14default_configENS1_27scan_by_key_config_selectorIiiEEZZNS1_16scan_by_key_implILNS1_25lookback_scan_determinismE0ELb0ES3_N6thrust23THRUST_200600_302600_NS6detail15normal_iteratorINS9_10device_ptrIiEEEENS9_18transform_iteratorINS9_6negateIiEESE_NS9_11use_defaultESI_EESE_iNS9_4plusIvEENS9_8equal_toIvEEiEE10hipError_tPvRmT2_T3_T4_T5_mT6_T7_P12ihipStream_tbENKUlT_T0_E_clISt17integral_constantIbLb1EES14_EEDaSZ_S10_EUlSZ_E_NS1_11comp_targetILNS1_3genE0ELNS1_11target_archE4294967295ELNS1_3gpuE0ELNS1_3repE0EEENS1_30default_config_static_selectorELNS0_4arch9wavefront6targetE1EEEvT1_
	.p2align	8
	.type	_ZN7rocprim17ROCPRIM_400000_NS6detail17trampoline_kernelINS0_14default_configENS1_27scan_by_key_config_selectorIiiEEZZNS1_16scan_by_key_implILNS1_25lookback_scan_determinismE0ELb0ES3_N6thrust23THRUST_200600_302600_NS6detail15normal_iteratorINS9_10device_ptrIiEEEENS9_18transform_iteratorINS9_6negateIiEESE_NS9_11use_defaultESI_EESE_iNS9_4plusIvEENS9_8equal_toIvEEiEE10hipError_tPvRmT2_T3_T4_T5_mT6_T7_P12ihipStream_tbENKUlT_T0_E_clISt17integral_constantIbLb1EES14_EEDaSZ_S10_EUlSZ_E_NS1_11comp_targetILNS1_3genE0ELNS1_11target_archE4294967295ELNS1_3gpuE0ELNS1_3repE0EEENS1_30default_config_static_selectorELNS0_4arch9wavefront6targetE1EEEvT1_,@function
_ZN7rocprim17ROCPRIM_400000_NS6detail17trampoline_kernelINS0_14default_configENS1_27scan_by_key_config_selectorIiiEEZZNS1_16scan_by_key_implILNS1_25lookback_scan_determinismE0ELb0ES3_N6thrust23THRUST_200600_302600_NS6detail15normal_iteratorINS9_10device_ptrIiEEEENS9_18transform_iteratorINS9_6negateIiEESE_NS9_11use_defaultESI_EESE_iNS9_4plusIvEENS9_8equal_toIvEEiEE10hipError_tPvRmT2_T3_T4_T5_mT6_T7_P12ihipStream_tbENKUlT_T0_E_clISt17integral_constantIbLb1EES14_EEDaSZ_S10_EUlSZ_E_NS1_11comp_targetILNS1_3genE0ELNS1_11target_archE4294967295ELNS1_3gpuE0ELNS1_3repE0EEENS1_30default_config_static_selectorELNS0_4arch9wavefront6targetE1EEEvT1_: ; @_ZN7rocprim17ROCPRIM_400000_NS6detail17trampoline_kernelINS0_14default_configENS1_27scan_by_key_config_selectorIiiEEZZNS1_16scan_by_key_implILNS1_25lookback_scan_determinismE0ELb0ES3_N6thrust23THRUST_200600_302600_NS6detail15normal_iteratorINS9_10device_ptrIiEEEENS9_18transform_iteratorINS9_6negateIiEESE_NS9_11use_defaultESI_EESE_iNS9_4plusIvEENS9_8equal_toIvEEiEE10hipError_tPvRmT2_T3_T4_T5_mT6_T7_P12ihipStream_tbENKUlT_T0_E_clISt17integral_constantIbLb1EES14_EEDaSZ_S10_EUlSZ_E_NS1_11comp_targetILNS1_3genE0ELNS1_11target_archE4294967295ELNS1_3gpuE0ELNS1_3repE0EEENS1_30default_config_static_selectorELNS0_4arch9wavefront6targetE1EEEvT1_
; %bb.0:
	.section	.rodata,"a",@progbits
	.p2align	6, 0x0
	.amdhsa_kernel _ZN7rocprim17ROCPRIM_400000_NS6detail17trampoline_kernelINS0_14default_configENS1_27scan_by_key_config_selectorIiiEEZZNS1_16scan_by_key_implILNS1_25lookback_scan_determinismE0ELb0ES3_N6thrust23THRUST_200600_302600_NS6detail15normal_iteratorINS9_10device_ptrIiEEEENS9_18transform_iteratorINS9_6negateIiEESE_NS9_11use_defaultESI_EESE_iNS9_4plusIvEENS9_8equal_toIvEEiEE10hipError_tPvRmT2_T3_T4_T5_mT6_T7_P12ihipStream_tbENKUlT_T0_E_clISt17integral_constantIbLb1EES14_EEDaSZ_S10_EUlSZ_E_NS1_11comp_targetILNS1_3genE0ELNS1_11target_archE4294967295ELNS1_3gpuE0ELNS1_3repE0EEENS1_30default_config_static_selectorELNS0_4arch9wavefront6targetE1EEEvT1_
		.amdhsa_group_segment_fixed_size 0
		.amdhsa_private_segment_fixed_size 0
		.amdhsa_kernarg_size 120
		.amdhsa_user_sgpr_count 6
		.amdhsa_user_sgpr_private_segment_buffer 1
		.amdhsa_user_sgpr_dispatch_ptr 0
		.amdhsa_user_sgpr_queue_ptr 0
		.amdhsa_user_sgpr_kernarg_segment_ptr 1
		.amdhsa_user_sgpr_dispatch_id 0
		.amdhsa_user_sgpr_flat_scratch_init 0
		.amdhsa_user_sgpr_kernarg_preload_length 0
		.amdhsa_user_sgpr_kernarg_preload_offset 0
		.amdhsa_user_sgpr_private_segment_size 0
		.amdhsa_uses_dynamic_stack 0
		.amdhsa_system_sgpr_private_segment_wavefront_offset 0
		.amdhsa_system_sgpr_workgroup_id_x 1
		.amdhsa_system_sgpr_workgroup_id_y 0
		.amdhsa_system_sgpr_workgroup_id_z 0
		.amdhsa_system_sgpr_workgroup_info 0
		.amdhsa_system_vgpr_workitem_id 0
		.amdhsa_next_free_vgpr 1
		.amdhsa_next_free_sgpr 0
		.amdhsa_accum_offset 4
		.amdhsa_reserve_vcc 0
		.amdhsa_reserve_flat_scratch 0
		.amdhsa_float_round_mode_32 0
		.amdhsa_float_round_mode_16_64 0
		.amdhsa_float_denorm_mode_32 3
		.amdhsa_float_denorm_mode_16_64 3
		.amdhsa_dx10_clamp 1
		.amdhsa_ieee_mode 1
		.amdhsa_fp16_overflow 0
		.amdhsa_tg_split 0
		.amdhsa_exception_fp_ieee_invalid_op 0
		.amdhsa_exception_fp_denorm_src 0
		.amdhsa_exception_fp_ieee_div_zero 0
		.amdhsa_exception_fp_ieee_overflow 0
		.amdhsa_exception_fp_ieee_underflow 0
		.amdhsa_exception_fp_ieee_inexact 0
		.amdhsa_exception_int_div_zero 0
	.end_amdhsa_kernel
	.section	.text._ZN7rocprim17ROCPRIM_400000_NS6detail17trampoline_kernelINS0_14default_configENS1_27scan_by_key_config_selectorIiiEEZZNS1_16scan_by_key_implILNS1_25lookback_scan_determinismE0ELb0ES3_N6thrust23THRUST_200600_302600_NS6detail15normal_iteratorINS9_10device_ptrIiEEEENS9_18transform_iteratorINS9_6negateIiEESE_NS9_11use_defaultESI_EESE_iNS9_4plusIvEENS9_8equal_toIvEEiEE10hipError_tPvRmT2_T3_T4_T5_mT6_T7_P12ihipStream_tbENKUlT_T0_E_clISt17integral_constantIbLb1EES14_EEDaSZ_S10_EUlSZ_E_NS1_11comp_targetILNS1_3genE0ELNS1_11target_archE4294967295ELNS1_3gpuE0ELNS1_3repE0EEENS1_30default_config_static_selectorELNS0_4arch9wavefront6targetE1EEEvT1_,"axG",@progbits,_ZN7rocprim17ROCPRIM_400000_NS6detail17trampoline_kernelINS0_14default_configENS1_27scan_by_key_config_selectorIiiEEZZNS1_16scan_by_key_implILNS1_25lookback_scan_determinismE0ELb0ES3_N6thrust23THRUST_200600_302600_NS6detail15normal_iteratorINS9_10device_ptrIiEEEENS9_18transform_iteratorINS9_6negateIiEESE_NS9_11use_defaultESI_EESE_iNS9_4plusIvEENS9_8equal_toIvEEiEE10hipError_tPvRmT2_T3_T4_T5_mT6_T7_P12ihipStream_tbENKUlT_T0_E_clISt17integral_constantIbLb1EES14_EEDaSZ_S10_EUlSZ_E_NS1_11comp_targetILNS1_3genE0ELNS1_11target_archE4294967295ELNS1_3gpuE0ELNS1_3repE0EEENS1_30default_config_static_selectorELNS0_4arch9wavefront6targetE1EEEvT1_,comdat
.Lfunc_end938:
	.size	_ZN7rocprim17ROCPRIM_400000_NS6detail17trampoline_kernelINS0_14default_configENS1_27scan_by_key_config_selectorIiiEEZZNS1_16scan_by_key_implILNS1_25lookback_scan_determinismE0ELb0ES3_N6thrust23THRUST_200600_302600_NS6detail15normal_iteratorINS9_10device_ptrIiEEEENS9_18transform_iteratorINS9_6negateIiEESE_NS9_11use_defaultESI_EESE_iNS9_4plusIvEENS9_8equal_toIvEEiEE10hipError_tPvRmT2_T3_T4_T5_mT6_T7_P12ihipStream_tbENKUlT_T0_E_clISt17integral_constantIbLb1EES14_EEDaSZ_S10_EUlSZ_E_NS1_11comp_targetILNS1_3genE0ELNS1_11target_archE4294967295ELNS1_3gpuE0ELNS1_3repE0EEENS1_30default_config_static_selectorELNS0_4arch9wavefront6targetE1EEEvT1_, .Lfunc_end938-_ZN7rocprim17ROCPRIM_400000_NS6detail17trampoline_kernelINS0_14default_configENS1_27scan_by_key_config_selectorIiiEEZZNS1_16scan_by_key_implILNS1_25lookback_scan_determinismE0ELb0ES3_N6thrust23THRUST_200600_302600_NS6detail15normal_iteratorINS9_10device_ptrIiEEEENS9_18transform_iteratorINS9_6negateIiEESE_NS9_11use_defaultESI_EESE_iNS9_4plusIvEENS9_8equal_toIvEEiEE10hipError_tPvRmT2_T3_T4_T5_mT6_T7_P12ihipStream_tbENKUlT_T0_E_clISt17integral_constantIbLb1EES14_EEDaSZ_S10_EUlSZ_E_NS1_11comp_targetILNS1_3genE0ELNS1_11target_archE4294967295ELNS1_3gpuE0ELNS1_3repE0EEENS1_30default_config_static_selectorELNS0_4arch9wavefront6targetE1EEEvT1_
                                        ; -- End function
	.section	.AMDGPU.csdata,"",@progbits
; Kernel info:
; codeLenInByte = 0
; NumSgprs: 4
; NumVgprs: 0
; NumAgprs: 0
; TotalNumVgprs: 0
; ScratchSize: 0
; MemoryBound: 0
; FloatMode: 240
; IeeeMode: 1
; LDSByteSize: 0 bytes/workgroup (compile time only)
; SGPRBlocks: 0
; VGPRBlocks: 0
; NumSGPRsForWavesPerEU: 4
; NumVGPRsForWavesPerEU: 1
; AccumOffset: 4
; Occupancy: 8
; WaveLimiterHint : 0
; COMPUTE_PGM_RSRC2:SCRATCH_EN: 0
; COMPUTE_PGM_RSRC2:USER_SGPR: 6
; COMPUTE_PGM_RSRC2:TRAP_HANDLER: 0
; COMPUTE_PGM_RSRC2:TGID_X_EN: 1
; COMPUTE_PGM_RSRC2:TGID_Y_EN: 0
; COMPUTE_PGM_RSRC2:TGID_Z_EN: 0
; COMPUTE_PGM_RSRC2:TIDIG_COMP_CNT: 0
; COMPUTE_PGM_RSRC3_GFX90A:ACCUM_OFFSET: 0
; COMPUTE_PGM_RSRC3_GFX90A:TG_SPLIT: 0
	.section	.text._ZN7rocprim17ROCPRIM_400000_NS6detail17trampoline_kernelINS0_14default_configENS1_27scan_by_key_config_selectorIiiEEZZNS1_16scan_by_key_implILNS1_25lookback_scan_determinismE0ELb0ES3_N6thrust23THRUST_200600_302600_NS6detail15normal_iteratorINS9_10device_ptrIiEEEENS9_18transform_iteratorINS9_6negateIiEESE_NS9_11use_defaultESI_EESE_iNS9_4plusIvEENS9_8equal_toIvEEiEE10hipError_tPvRmT2_T3_T4_T5_mT6_T7_P12ihipStream_tbENKUlT_T0_E_clISt17integral_constantIbLb1EES14_EEDaSZ_S10_EUlSZ_E_NS1_11comp_targetILNS1_3genE10ELNS1_11target_archE1201ELNS1_3gpuE5ELNS1_3repE0EEENS1_30default_config_static_selectorELNS0_4arch9wavefront6targetE1EEEvT1_,"axG",@progbits,_ZN7rocprim17ROCPRIM_400000_NS6detail17trampoline_kernelINS0_14default_configENS1_27scan_by_key_config_selectorIiiEEZZNS1_16scan_by_key_implILNS1_25lookback_scan_determinismE0ELb0ES3_N6thrust23THRUST_200600_302600_NS6detail15normal_iteratorINS9_10device_ptrIiEEEENS9_18transform_iteratorINS9_6negateIiEESE_NS9_11use_defaultESI_EESE_iNS9_4plusIvEENS9_8equal_toIvEEiEE10hipError_tPvRmT2_T3_T4_T5_mT6_T7_P12ihipStream_tbENKUlT_T0_E_clISt17integral_constantIbLb1EES14_EEDaSZ_S10_EUlSZ_E_NS1_11comp_targetILNS1_3genE10ELNS1_11target_archE1201ELNS1_3gpuE5ELNS1_3repE0EEENS1_30default_config_static_selectorELNS0_4arch9wavefront6targetE1EEEvT1_,comdat
	.protected	_ZN7rocprim17ROCPRIM_400000_NS6detail17trampoline_kernelINS0_14default_configENS1_27scan_by_key_config_selectorIiiEEZZNS1_16scan_by_key_implILNS1_25lookback_scan_determinismE0ELb0ES3_N6thrust23THRUST_200600_302600_NS6detail15normal_iteratorINS9_10device_ptrIiEEEENS9_18transform_iteratorINS9_6negateIiEESE_NS9_11use_defaultESI_EESE_iNS9_4plusIvEENS9_8equal_toIvEEiEE10hipError_tPvRmT2_T3_T4_T5_mT6_T7_P12ihipStream_tbENKUlT_T0_E_clISt17integral_constantIbLb1EES14_EEDaSZ_S10_EUlSZ_E_NS1_11comp_targetILNS1_3genE10ELNS1_11target_archE1201ELNS1_3gpuE5ELNS1_3repE0EEENS1_30default_config_static_selectorELNS0_4arch9wavefront6targetE1EEEvT1_ ; -- Begin function _ZN7rocprim17ROCPRIM_400000_NS6detail17trampoline_kernelINS0_14default_configENS1_27scan_by_key_config_selectorIiiEEZZNS1_16scan_by_key_implILNS1_25lookback_scan_determinismE0ELb0ES3_N6thrust23THRUST_200600_302600_NS6detail15normal_iteratorINS9_10device_ptrIiEEEENS9_18transform_iteratorINS9_6negateIiEESE_NS9_11use_defaultESI_EESE_iNS9_4plusIvEENS9_8equal_toIvEEiEE10hipError_tPvRmT2_T3_T4_T5_mT6_T7_P12ihipStream_tbENKUlT_T0_E_clISt17integral_constantIbLb1EES14_EEDaSZ_S10_EUlSZ_E_NS1_11comp_targetILNS1_3genE10ELNS1_11target_archE1201ELNS1_3gpuE5ELNS1_3repE0EEENS1_30default_config_static_selectorELNS0_4arch9wavefront6targetE1EEEvT1_
	.globl	_ZN7rocprim17ROCPRIM_400000_NS6detail17trampoline_kernelINS0_14default_configENS1_27scan_by_key_config_selectorIiiEEZZNS1_16scan_by_key_implILNS1_25lookback_scan_determinismE0ELb0ES3_N6thrust23THRUST_200600_302600_NS6detail15normal_iteratorINS9_10device_ptrIiEEEENS9_18transform_iteratorINS9_6negateIiEESE_NS9_11use_defaultESI_EESE_iNS9_4plusIvEENS9_8equal_toIvEEiEE10hipError_tPvRmT2_T3_T4_T5_mT6_T7_P12ihipStream_tbENKUlT_T0_E_clISt17integral_constantIbLb1EES14_EEDaSZ_S10_EUlSZ_E_NS1_11comp_targetILNS1_3genE10ELNS1_11target_archE1201ELNS1_3gpuE5ELNS1_3repE0EEENS1_30default_config_static_selectorELNS0_4arch9wavefront6targetE1EEEvT1_
	.p2align	8
	.type	_ZN7rocprim17ROCPRIM_400000_NS6detail17trampoline_kernelINS0_14default_configENS1_27scan_by_key_config_selectorIiiEEZZNS1_16scan_by_key_implILNS1_25lookback_scan_determinismE0ELb0ES3_N6thrust23THRUST_200600_302600_NS6detail15normal_iteratorINS9_10device_ptrIiEEEENS9_18transform_iteratorINS9_6negateIiEESE_NS9_11use_defaultESI_EESE_iNS9_4plusIvEENS9_8equal_toIvEEiEE10hipError_tPvRmT2_T3_T4_T5_mT6_T7_P12ihipStream_tbENKUlT_T0_E_clISt17integral_constantIbLb1EES14_EEDaSZ_S10_EUlSZ_E_NS1_11comp_targetILNS1_3genE10ELNS1_11target_archE1201ELNS1_3gpuE5ELNS1_3repE0EEENS1_30default_config_static_selectorELNS0_4arch9wavefront6targetE1EEEvT1_,@function
_ZN7rocprim17ROCPRIM_400000_NS6detail17trampoline_kernelINS0_14default_configENS1_27scan_by_key_config_selectorIiiEEZZNS1_16scan_by_key_implILNS1_25lookback_scan_determinismE0ELb0ES3_N6thrust23THRUST_200600_302600_NS6detail15normal_iteratorINS9_10device_ptrIiEEEENS9_18transform_iteratorINS9_6negateIiEESE_NS9_11use_defaultESI_EESE_iNS9_4plusIvEENS9_8equal_toIvEEiEE10hipError_tPvRmT2_T3_T4_T5_mT6_T7_P12ihipStream_tbENKUlT_T0_E_clISt17integral_constantIbLb1EES14_EEDaSZ_S10_EUlSZ_E_NS1_11comp_targetILNS1_3genE10ELNS1_11target_archE1201ELNS1_3gpuE5ELNS1_3repE0EEENS1_30default_config_static_selectorELNS0_4arch9wavefront6targetE1EEEvT1_: ; @_ZN7rocprim17ROCPRIM_400000_NS6detail17trampoline_kernelINS0_14default_configENS1_27scan_by_key_config_selectorIiiEEZZNS1_16scan_by_key_implILNS1_25lookback_scan_determinismE0ELb0ES3_N6thrust23THRUST_200600_302600_NS6detail15normal_iteratorINS9_10device_ptrIiEEEENS9_18transform_iteratorINS9_6negateIiEESE_NS9_11use_defaultESI_EESE_iNS9_4plusIvEENS9_8equal_toIvEEiEE10hipError_tPvRmT2_T3_T4_T5_mT6_T7_P12ihipStream_tbENKUlT_T0_E_clISt17integral_constantIbLb1EES14_EEDaSZ_S10_EUlSZ_E_NS1_11comp_targetILNS1_3genE10ELNS1_11target_archE1201ELNS1_3gpuE5ELNS1_3repE0EEENS1_30default_config_static_selectorELNS0_4arch9wavefront6targetE1EEEvT1_
; %bb.0:
	.section	.rodata,"a",@progbits
	.p2align	6, 0x0
	.amdhsa_kernel _ZN7rocprim17ROCPRIM_400000_NS6detail17trampoline_kernelINS0_14default_configENS1_27scan_by_key_config_selectorIiiEEZZNS1_16scan_by_key_implILNS1_25lookback_scan_determinismE0ELb0ES3_N6thrust23THRUST_200600_302600_NS6detail15normal_iteratorINS9_10device_ptrIiEEEENS9_18transform_iteratorINS9_6negateIiEESE_NS9_11use_defaultESI_EESE_iNS9_4plusIvEENS9_8equal_toIvEEiEE10hipError_tPvRmT2_T3_T4_T5_mT6_T7_P12ihipStream_tbENKUlT_T0_E_clISt17integral_constantIbLb1EES14_EEDaSZ_S10_EUlSZ_E_NS1_11comp_targetILNS1_3genE10ELNS1_11target_archE1201ELNS1_3gpuE5ELNS1_3repE0EEENS1_30default_config_static_selectorELNS0_4arch9wavefront6targetE1EEEvT1_
		.amdhsa_group_segment_fixed_size 0
		.amdhsa_private_segment_fixed_size 0
		.amdhsa_kernarg_size 120
		.amdhsa_user_sgpr_count 6
		.amdhsa_user_sgpr_private_segment_buffer 1
		.amdhsa_user_sgpr_dispatch_ptr 0
		.amdhsa_user_sgpr_queue_ptr 0
		.amdhsa_user_sgpr_kernarg_segment_ptr 1
		.amdhsa_user_sgpr_dispatch_id 0
		.amdhsa_user_sgpr_flat_scratch_init 0
		.amdhsa_user_sgpr_kernarg_preload_length 0
		.amdhsa_user_sgpr_kernarg_preload_offset 0
		.amdhsa_user_sgpr_private_segment_size 0
		.amdhsa_uses_dynamic_stack 0
		.amdhsa_system_sgpr_private_segment_wavefront_offset 0
		.amdhsa_system_sgpr_workgroup_id_x 1
		.amdhsa_system_sgpr_workgroup_id_y 0
		.amdhsa_system_sgpr_workgroup_id_z 0
		.amdhsa_system_sgpr_workgroup_info 0
		.amdhsa_system_vgpr_workitem_id 0
		.amdhsa_next_free_vgpr 1
		.amdhsa_next_free_sgpr 0
		.amdhsa_accum_offset 4
		.amdhsa_reserve_vcc 0
		.amdhsa_reserve_flat_scratch 0
		.amdhsa_float_round_mode_32 0
		.amdhsa_float_round_mode_16_64 0
		.amdhsa_float_denorm_mode_32 3
		.amdhsa_float_denorm_mode_16_64 3
		.amdhsa_dx10_clamp 1
		.amdhsa_ieee_mode 1
		.amdhsa_fp16_overflow 0
		.amdhsa_tg_split 0
		.amdhsa_exception_fp_ieee_invalid_op 0
		.amdhsa_exception_fp_denorm_src 0
		.amdhsa_exception_fp_ieee_div_zero 0
		.amdhsa_exception_fp_ieee_overflow 0
		.amdhsa_exception_fp_ieee_underflow 0
		.amdhsa_exception_fp_ieee_inexact 0
		.amdhsa_exception_int_div_zero 0
	.end_amdhsa_kernel
	.section	.text._ZN7rocprim17ROCPRIM_400000_NS6detail17trampoline_kernelINS0_14default_configENS1_27scan_by_key_config_selectorIiiEEZZNS1_16scan_by_key_implILNS1_25lookback_scan_determinismE0ELb0ES3_N6thrust23THRUST_200600_302600_NS6detail15normal_iteratorINS9_10device_ptrIiEEEENS9_18transform_iteratorINS9_6negateIiEESE_NS9_11use_defaultESI_EESE_iNS9_4plusIvEENS9_8equal_toIvEEiEE10hipError_tPvRmT2_T3_T4_T5_mT6_T7_P12ihipStream_tbENKUlT_T0_E_clISt17integral_constantIbLb1EES14_EEDaSZ_S10_EUlSZ_E_NS1_11comp_targetILNS1_3genE10ELNS1_11target_archE1201ELNS1_3gpuE5ELNS1_3repE0EEENS1_30default_config_static_selectorELNS0_4arch9wavefront6targetE1EEEvT1_,"axG",@progbits,_ZN7rocprim17ROCPRIM_400000_NS6detail17trampoline_kernelINS0_14default_configENS1_27scan_by_key_config_selectorIiiEEZZNS1_16scan_by_key_implILNS1_25lookback_scan_determinismE0ELb0ES3_N6thrust23THRUST_200600_302600_NS6detail15normal_iteratorINS9_10device_ptrIiEEEENS9_18transform_iteratorINS9_6negateIiEESE_NS9_11use_defaultESI_EESE_iNS9_4plusIvEENS9_8equal_toIvEEiEE10hipError_tPvRmT2_T3_T4_T5_mT6_T7_P12ihipStream_tbENKUlT_T0_E_clISt17integral_constantIbLb1EES14_EEDaSZ_S10_EUlSZ_E_NS1_11comp_targetILNS1_3genE10ELNS1_11target_archE1201ELNS1_3gpuE5ELNS1_3repE0EEENS1_30default_config_static_selectorELNS0_4arch9wavefront6targetE1EEEvT1_,comdat
.Lfunc_end939:
	.size	_ZN7rocprim17ROCPRIM_400000_NS6detail17trampoline_kernelINS0_14default_configENS1_27scan_by_key_config_selectorIiiEEZZNS1_16scan_by_key_implILNS1_25lookback_scan_determinismE0ELb0ES3_N6thrust23THRUST_200600_302600_NS6detail15normal_iteratorINS9_10device_ptrIiEEEENS9_18transform_iteratorINS9_6negateIiEESE_NS9_11use_defaultESI_EESE_iNS9_4plusIvEENS9_8equal_toIvEEiEE10hipError_tPvRmT2_T3_T4_T5_mT6_T7_P12ihipStream_tbENKUlT_T0_E_clISt17integral_constantIbLb1EES14_EEDaSZ_S10_EUlSZ_E_NS1_11comp_targetILNS1_3genE10ELNS1_11target_archE1201ELNS1_3gpuE5ELNS1_3repE0EEENS1_30default_config_static_selectorELNS0_4arch9wavefront6targetE1EEEvT1_, .Lfunc_end939-_ZN7rocprim17ROCPRIM_400000_NS6detail17trampoline_kernelINS0_14default_configENS1_27scan_by_key_config_selectorIiiEEZZNS1_16scan_by_key_implILNS1_25lookback_scan_determinismE0ELb0ES3_N6thrust23THRUST_200600_302600_NS6detail15normal_iteratorINS9_10device_ptrIiEEEENS9_18transform_iteratorINS9_6negateIiEESE_NS9_11use_defaultESI_EESE_iNS9_4plusIvEENS9_8equal_toIvEEiEE10hipError_tPvRmT2_T3_T4_T5_mT6_T7_P12ihipStream_tbENKUlT_T0_E_clISt17integral_constantIbLb1EES14_EEDaSZ_S10_EUlSZ_E_NS1_11comp_targetILNS1_3genE10ELNS1_11target_archE1201ELNS1_3gpuE5ELNS1_3repE0EEENS1_30default_config_static_selectorELNS0_4arch9wavefront6targetE1EEEvT1_
                                        ; -- End function
	.section	.AMDGPU.csdata,"",@progbits
; Kernel info:
; codeLenInByte = 0
; NumSgprs: 4
; NumVgprs: 0
; NumAgprs: 0
; TotalNumVgprs: 0
; ScratchSize: 0
; MemoryBound: 0
; FloatMode: 240
; IeeeMode: 1
; LDSByteSize: 0 bytes/workgroup (compile time only)
; SGPRBlocks: 0
; VGPRBlocks: 0
; NumSGPRsForWavesPerEU: 4
; NumVGPRsForWavesPerEU: 1
; AccumOffset: 4
; Occupancy: 8
; WaveLimiterHint : 0
; COMPUTE_PGM_RSRC2:SCRATCH_EN: 0
; COMPUTE_PGM_RSRC2:USER_SGPR: 6
; COMPUTE_PGM_RSRC2:TRAP_HANDLER: 0
; COMPUTE_PGM_RSRC2:TGID_X_EN: 1
; COMPUTE_PGM_RSRC2:TGID_Y_EN: 0
; COMPUTE_PGM_RSRC2:TGID_Z_EN: 0
; COMPUTE_PGM_RSRC2:TIDIG_COMP_CNT: 0
; COMPUTE_PGM_RSRC3_GFX90A:ACCUM_OFFSET: 0
; COMPUTE_PGM_RSRC3_GFX90A:TG_SPLIT: 0
	.section	.text._ZN7rocprim17ROCPRIM_400000_NS6detail17trampoline_kernelINS0_14default_configENS1_27scan_by_key_config_selectorIiiEEZZNS1_16scan_by_key_implILNS1_25lookback_scan_determinismE0ELb0ES3_N6thrust23THRUST_200600_302600_NS6detail15normal_iteratorINS9_10device_ptrIiEEEENS9_18transform_iteratorINS9_6negateIiEESE_NS9_11use_defaultESI_EESE_iNS9_4plusIvEENS9_8equal_toIvEEiEE10hipError_tPvRmT2_T3_T4_T5_mT6_T7_P12ihipStream_tbENKUlT_T0_E_clISt17integral_constantIbLb1EES14_EEDaSZ_S10_EUlSZ_E_NS1_11comp_targetILNS1_3genE5ELNS1_11target_archE942ELNS1_3gpuE9ELNS1_3repE0EEENS1_30default_config_static_selectorELNS0_4arch9wavefront6targetE1EEEvT1_,"axG",@progbits,_ZN7rocprim17ROCPRIM_400000_NS6detail17trampoline_kernelINS0_14default_configENS1_27scan_by_key_config_selectorIiiEEZZNS1_16scan_by_key_implILNS1_25lookback_scan_determinismE0ELb0ES3_N6thrust23THRUST_200600_302600_NS6detail15normal_iteratorINS9_10device_ptrIiEEEENS9_18transform_iteratorINS9_6negateIiEESE_NS9_11use_defaultESI_EESE_iNS9_4plusIvEENS9_8equal_toIvEEiEE10hipError_tPvRmT2_T3_T4_T5_mT6_T7_P12ihipStream_tbENKUlT_T0_E_clISt17integral_constantIbLb1EES14_EEDaSZ_S10_EUlSZ_E_NS1_11comp_targetILNS1_3genE5ELNS1_11target_archE942ELNS1_3gpuE9ELNS1_3repE0EEENS1_30default_config_static_selectorELNS0_4arch9wavefront6targetE1EEEvT1_,comdat
	.protected	_ZN7rocprim17ROCPRIM_400000_NS6detail17trampoline_kernelINS0_14default_configENS1_27scan_by_key_config_selectorIiiEEZZNS1_16scan_by_key_implILNS1_25lookback_scan_determinismE0ELb0ES3_N6thrust23THRUST_200600_302600_NS6detail15normal_iteratorINS9_10device_ptrIiEEEENS9_18transform_iteratorINS9_6negateIiEESE_NS9_11use_defaultESI_EESE_iNS9_4plusIvEENS9_8equal_toIvEEiEE10hipError_tPvRmT2_T3_T4_T5_mT6_T7_P12ihipStream_tbENKUlT_T0_E_clISt17integral_constantIbLb1EES14_EEDaSZ_S10_EUlSZ_E_NS1_11comp_targetILNS1_3genE5ELNS1_11target_archE942ELNS1_3gpuE9ELNS1_3repE0EEENS1_30default_config_static_selectorELNS0_4arch9wavefront6targetE1EEEvT1_ ; -- Begin function _ZN7rocprim17ROCPRIM_400000_NS6detail17trampoline_kernelINS0_14default_configENS1_27scan_by_key_config_selectorIiiEEZZNS1_16scan_by_key_implILNS1_25lookback_scan_determinismE0ELb0ES3_N6thrust23THRUST_200600_302600_NS6detail15normal_iteratorINS9_10device_ptrIiEEEENS9_18transform_iteratorINS9_6negateIiEESE_NS9_11use_defaultESI_EESE_iNS9_4plusIvEENS9_8equal_toIvEEiEE10hipError_tPvRmT2_T3_T4_T5_mT6_T7_P12ihipStream_tbENKUlT_T0_E_clISt17integral_constantIbLb1EES14_EEDaSZ_S10_EUlSZ_E_NS1_11comp_targetILNS1_3genE5ELNS1_11target_archE942ELNS1_3gpuE9ELNS1_3repE0EEENS1_30default_config_static_selectorELNS0_4arch9wavefront6targetE1EEEvT1_
	.globl	_ZN7rocprim17ROCPRIM_400000_NS6detail17trampoline_kernelINS0_14default_configENS1_27scan_by_key_config_selectorIiiEEZZNS1_16scan_by_key_implILNS1_25lookback_scan_determinismE0ELb0ES3_N6thrust23THRUST_200600_302600_NS6detail15normal_iteratorINS9_10device_ptrIiEEEENS9_18transform_iteratorINS9_6negateIiEESE_NS9_11use_defaultESI_EESE_iNS9_4plusIvEENS9_8equal_toIvEEiEE10hipError_tPvRmT2_T3_T4_T5_mT6_T7_P12ihipStream_tbENKUlT_T0_E_clISt17integral_constantIbLb1EES14_EEDaSZ_S10_EUlSZ_E_NS1_11comp_targetILNS1_3genE5ELNS1_11target_archE942ELNS1_3gpuE9ELNS1_3repE0EEENS1_30default_config_static_selectorELNS0_4arch9wavefront6targetE1EEEvT1_
	.p2align	8
	.type	_ZN7rocprim17ROCPRIM_400000_NS6detail17trampoline_kernelINS0_14default_configENS1_27scan_by_key_config_selectorIiiEEZZNS1_16scan_by_key_implILNS1_25lookback_scan_determinismE0ELb0ES3_N6thrust23THRUST_200600_302600_NS6detail15normal_iteratorINS9_10device_ptrIiEEEENS9_18transform_iteratorINS9_6negateIiEESE_NS9_11use_defaultESI_EESE_iNS9_4plusIvEENS9_8equal_toIvEEiEE10hipError_tPvRmT2_T3_T4_T5_mT6_T7_P12ihipStream_tbENKUlT_T0_E_clISt17integral_constantIbLb1EES14_EEDaSZ_S10_EUlSZ_E_NS1_11comp_targetILNS1_3genE5ELNS1_11target_archE942ELNS1_3gpuE9ELNS1_3repE0EEENS1_30default_config_static_selectorELNS0_4arch9wavefront6targetE1EEEvT1_,@function
_ZN7rocprim17ROCPRIM_400000_NS6detail17trampoline_kernelINS0_14default_configENS1_27scan_by_key_config_selectorIiiEEZZNS1_16scan_by_key_implILNS1_25lookback_scan_determinismE0ELb0ES3_N6thrust23THRUST_200600_302600_NS6detail15normal_iteratorINS9_10device_ptrIiEEEENS9_18transform_iteratorINS9_6negateIiEESE_NS9_11use_defaultESI_EESE_iNS9_4plusIvEENS9_8equal_toIvEEiEE10hipError_tPvRmT2_T3_T4_T5_mT6_T7_P12ihipStream_tbENKUlT_T0_E_clISt17integral_constantIbLb1EES14_EEDaSZ_S10_EUlSZ_E_NS1_11comp_targetILNS1_3genE5ELNS1_11target_archE942ELNS1_3gpuE9ELNS1_3repE0EEENS1_30default_config_static_selectorELNS0_4arch9wavefront6targetE1EEEvT1_: ; @_ZN7rocprim17ROCPRIM_400000_NS6detail17trampoline_kernelINS0_14default_configENS1_27scan_by_key_config_selectorIiiEEZZNS1_16scan_by_key_implILNS1_25lookback_scan_determinismE0ELb0ES3_N6thrust23THRUST_200600_302600_NS6detail15normal_iteratorINS9_10device_ptrIiEEEENS9_18transform_iteratorINS9_6negateIiEESE_NS9_11use_defaultESI_EESE_iNS9_4plusIvEENS9_8equal_toIvEEiEE10hipError_tPvRmT2_T3_T4_T5_mT6_T7_P12ihipStream_tbENKUlT_T0_E_clISt17integral_constantIbLb1EES14_EEDaSZ_S10_EUlSZ_E_NS1_11comp_targetILNS1_3genE5ELNS1_11target_archE942ELNS1_3gpuE9ELNS1_3repE0EEENS1_30default_config_static_selectorELNS0_4arch9wavefront6targetE1EEEvT1_
; %bb.0:
	.section	.rodata,"a",@progbits
	.p2align	6, 0x0
	.amdhsa_kernel _ZN7rocprim17ROCPRIM_400000_NS6detail17trampoline_kernelINS0_14default_configENS1_27scan_by_key_config_selectorIiiEEZZNS1_16scan_by_key_implILNS1_25lookback_scan_determinismE0ELb0ES3_N6thrust23THRUST_200600_302600_NS6detail15normal_iteratorINS9_10device_ptrIiEEEENS9_18transform_iteratorINS9_6negateIiEESE_NS9_11use_defaultESI_EESE_iNS9_4plusIvEENS9_8equal_toIvEEiEE10hipError_tPvRmT2_T3_T4_T5_mT6_T7_P12ihipStream_tbENKUlT_T0_E_clISt17integral_constantIbLb1EES14_EEDaSZ_S10_EUlSZ_E_NS1_11comp_targetILNS1_3genE5ELNS1_11target_archE942ELNS1_3gpuE9ELNS1_3repE0EEENS1_30default_config_static_selectorELNS0_4arch9wavefront6targetE1EEEvT1_
		.amdhsa_group_segment_fixed_size 0
		.amdhsa_private_segment_fixed_size 0
		.amdhsa_kernarg_size 120
		.amdhsa_user_sgpr_count 6
		.amdhsa_user_sgpr_private_segment_buffer 1
		.amdhsa_user_sgpr_dispatch_ptr 0
		.amdhsa_user_sgpr_queue_ptr 0
		.amdhsa_user_sgpr_kernarg_segment_ptr 1
		.amdhsa_user_sgpr_dispatch_id 0
		.amdhsa_user_sgpr_flat_scratch_init 0
		.amdhsa_user_sgpr_kernarg_preload_length 0
		.amdhsa_user_sgpr_kernarg_preload_offset 0
		.amdhsa_user_sgpr_private_segment_size 0
		.amdhsa_uses_dynamic_stack 0
		.amdhsa_system_sgpr_private_segment_wavefront_offset 0
		.amdhsa_system_sgpr_workgroup_id_x 1
		.amdhsa_system_sgpr_workgroup_id_y 0
		.amdhsa_system_sgpr_workgroup_id_z 0
		.amdhsa_system_sgpr_workgroup_info 0
		.amdhsa_system_vgpr_workitem_id 0
		.amdhsa_next_free_vgpr 1
		.amdhsa_next_free_sgpr 0
		.amdhsa_accum_offset 4
		.amdhsa_reserve_vcc 0
		.amdhsa_reserve_flat_scratch 0
		.amdhsa_float_round_mode_32 0
		.amdhsa_float_round_mode_16_64 0
		.amdhsa_float_denorm_mode_32 3
		.amdhsa_float_denorm_mode_16_64 3
		.amdhsa_dx10_clamp 1
		.amdhsa_ieee_mode 1
		.amdhsa_fp16_overflow 0
		.amdhsa_tg_split 0
		.amdhsa_exception_fp_ieee_invalid_op 0
		.amdhsa_exception_fp_denorm_src 0
		.amdhsa_exception_fp_ieee_div_zero 0
		.amdhsa_exception_fp_ieee_overflow 0
		.amdhsa_exception_fp_ieee_underflow 0
		.amdhsa_exception_fp_ieee_inexact 0
		.amdhsa_exception_int_div_zero 0
	.end_amdhsa_kernel
	.section	.text._ZN7rocprim17ROCPRIM_400000_NS6detail17trampoline_kernelINS0_14default_configENS1_27scan_by_key_config_selectorIiiEEZZNS1_16scan_by_key_implILNS1_25lookback_scan_determinismE0ELb0ES3_N6thrust23THRUST_200600_302600_NS6detail15normal_iteratorINS9_10device_ptrIiEEEENS9_18transform_iteratorINS9_6negateIiEESE_NS9_11use_defaultESI_EESE_iNS9_4plusIvEENS9_8equal_toIvEEiEE10hipError_tPvRmT2_T3_T4_T5_mT6_T7_P12ihipStream_tbENKUlT_T0_E_clISt17integral_constantIbLb1EES14_EEDaSZ_S10_EUlSZ_E_NS1_11comp_targetILNS1_3genE5ELNS1_11target_archE942ELNS1_3gpuE9ELNS1_3repE0EEENS1_30default_config_static_selectorELNS0_4arch9wavefront6targetE1EEEvT1_,"axG",@progbits,_ZN7rocprim17ROCPRIM_400000_NS6detail17trampoline_kernelINS0_14default_configENS1_27scan_by_key_config_selectorIiiEEZZNS1_16scan_by_key_implILNS1_25lookback_scan_determinismE0ELb0ES3_N6thrust23THRUST_200600_302600_NS6detail15normal_iteratorINS9_10device_ptrIiEEEENS9_18transform_iteratorINS9_6negateIiEESE_NS9_11use_defaultESI_EESE_iNS9_4plusIvEENS9_8equal_toIvEEiEE10hipError_tPvRmT2_T3_T4_T5_mT6_T7_P12ihipStream_tbENKUlT_T0_E_clISt17integral_constantIbLb1EES14_EEDaSZ_S10_EUlSZ_E_NS1_11comp_targetILNS1_3genE5ELNS1_11target_archE942ELNS1_3gpuE9ELNS1_3repE0EEENS1_30default_config_static_selectorELNS0_4arch9wavefront6targetE1EEEvT1_,comdat
.Lfunc_end940:
	.size	_ZN7rocprim17ROCPRIM_400000_NS6detail17trampoline_kernelINS0_14default_configENS1_27scan_by_key_config_selectorIiiEEZZNS1_16scan_by_key_implILNS1_25lookback_scan_determinismE0ELb0ES3_N6thrust23THRUST_200600_302600_NS6detail15normal_iteratorINS9_10device_ptrIiEEEENS9_18transform_iteratorINS9_6negateIiEESE_NS9_11use_defaultESI_EESE_iNS9_4plusIvEENS9_8equal_toIvEEiEE10hipError_tPvRmT2_T3_T4_T5_mT6_T7_P12ihipStream_tbENKUlT_T0_E_clISt17integral_constantIbLb1EES14_EEDaSZ_S10_EUlSZ_E_NS1_11comp_targetILNS1_3genE5ELNS1_11target_archE942ELNS1_3gpuE9ELNS1_3repE0EEENS1_30default_config_static_selectorELNS0_4arch9wavefront6targetE1EEEvT1_, .Lfunc_end940-_ZN7rocprim17ROCPRIM_400000_NS6detail17trampoline_kernelINS0_14default_configENS1_27scan_by_key_config_selectorIiiEEZZNS1_16scan_by_key_implILNS1_25lookback_scan_determinismE0ELb0ES3_N6thrust23THRUST_200600_302600_NS6detail15normal_iteratorINS9_10device_ptrIiEEEENS9_18transform_iteratorINS9_6negateIiEESE_NS9_11use_defaultESI_EESE_iNS9_4plusIvEENS9_8equal_toIvEEiEE10hipError_tPvRmT2_T3_T4_T5_mT6_T7_P12ihipStream_tbENKUlT_T0_E_clISt17integral_constantIbLb1EES14_EEDaSZ_S10_EUlSZ_E_NS1_11comp_targetILNS1_3genE5ELNS1_11target_archE942ELNS1_3gpuE9ELNS1_3repE0EEENS1_30default_config_static_selectorELNS0_4arch9wavefront6targetE1EEEvT1_
                                        ; -- End function
	.section	.AMDGPU.csdata,"",@progbits
; Kernel info:
; codeLenInByte = 0
; NumSgprs: 4
; NumVgprs: 0
; NumAgprs: 0
; TotalNumVgprs: 0
; ScratchSize: 0
; MemoryBound: 0
; FloatMode: 240
; IeeeMode: 1
; LDSByteSize: 0 bytes/workgroup (compile time only)
; SGPRBlocks: 0
; VGPRBlocks: 0
; NumSGPRsForWavesPerEU: 4
; NumVGPRsForWavesPerEU: 1
; AccumOffset: 4
; Occupancy: 8
; WaveLimiterHint : 0
; COMPUTE_PGM_RSRC2:SCRATCH_EN: 0
; COMPUTE_PGM_RSRC2:USER_SGPR: 6
; COMPUTE_PGM_RSRC2:TRAP_HANDLER: 0
; COMPUTE_PGM_RSRC2:TGID_X_EN: 1
; COMPUTE_PGM_RSRC2:TGID_Y_EN: 0
; COMPUTE_PGM_RSRC2:TGID_Z_EN: 0
; COMPUTE_PGM_RSRC2:TIDIG_COMP_CNT: 0
; COMPUTE_PGM_RSRC3_GFX90A:ACCUM_OFFSET: 0
; COMPUTE_PGM_RSRC3_GFX90A:TG_SPLIT: 0
	.section	.text._ZN7rocprim17ROCPRIM_400000_NS6detail17trampoline_kernelINS0_14default_configENS1_27scan_by_key_config_selectorIiiEEZZNS1_16scan_by_key_implILNS1_25lookback_scan_determinismE0ELb0ES3_N6thrust23THRUST_200600_302600_NS6detail15normal_iteratorINS9_10device_ptrIiEEEENS9_18transform_iteratorINS9_6negateIiEESE_NS9_11use_defaultESI_EESE_iNS9_4plusIvEENS9_8equal_toIvEEiEE10hipError_tPvRmT2_T3_T4_T5_mT6_T7_P12ihipStream_tbENKUlT_T0_E_clISt17integral_constantIbLb1EES14_EEDaSZ_S10_EUlSZ_E_NS1_11comp_targetILNS1_3genE4ELNS1_11target_archE910ELNS1_3gpuE8ELNS1_3repE0EEENS1_30default_config_static_selectorELNS0_4arch9wavefront6targetE1EEEvT1_,"axG",@progbits,_ZN7rocprim17ROCPRIM_400000_NS6detail17trampoline_kernelINS0_14default_configENS1_27scan_by_key_config_selectorIiiEEZZNS1_16scan_by_key_implILNS1_25lookback_scan_determinismE0ELb0ES3_N6thrust23THRUST_200600_302600_NS6detail15normal_iteratorINS9_10device_ptrIiEEEENS9_18transform_iteratorINS9_6negateIiEESE_NS9_11use_defaultESI_EESE_iNS9_4plusIvEENS9_8equal_toIvEEiEE10hipError_tPvRmT2_T3_T4_T5_mT6_T7_P12ihipStream_tbENKUlT_T0_E_clISt17integral_constantIbLb1EES14_EEDaSZ_S10_EUlSZ_E_NS1_11comp_targetILNS1_3genE4ELNS1_11target_archE910ELNS1_3gpuE8ELNS1_3repE0EEENS1_30default_config_static_selectorELNS0_4arch9wavefront6targetE1EEEvT1_,comdat
	.protected	_ZN7rocprim17ROCPRIM_400000_NS6detail17trampoline_kernelINS0_14default_configENS1_27scan_by_key_config_selectorIiiEEZZNS1_16scan_by_key_implILNS1_25lookback_scan_determinismE0ELb0ES3_N6thrust23THRUST_200600_302600_NS6detail15normal_iteratorINS9_10device_ptrIiEEEENS9_18transform_iteratorINS9_6negateIiEESE_NS9_11use_defaultESI_EESE_iNS9_4plusIvEENS9_8equal_toIvEEiEE10hipError_tPvRmT2_T3_T4_T5_mT6_T7_P12ihipStream_tbENKUlT_T0_E_clISt17integral_constantIbLb1EES14_EEDaSZ_S10_EUlSZ_E_NS1_11comp_targetILNS1_3genE4ELNS1_11target_archE910ELNS1_3gpuE8ELNS1_3repE0EEENS1_30default_config_static_selectorELNS0_4arch9wavefront6targetE1EEEvT1_ ; -- Begin function _ZN7rocprim17ROCPRIM_400000_NS6detail17trampoline_kernelINS0_14default_configENS1_27scan_by_key_config_selectorIiiEEZZNS1_16scan_by_key_implILNS1_25lookback_scan_determinismE0ELb0ES3_N6thrust23THRUST_200600_302600_NS6detail15normal_iteratorINS9_10device_ptrIiEEEENS9_18transform_iteratorINS9_6negateIiEESE_NS9_11use_defaultESI_EESE_iNS9_4plusIvEENS9_8equal_toIvEEiEE10hipError_tPvRmT2_T3_T4_T5_mT6_T7_P12ihipStream_tbENKUlT_T0_E_clISt17integral_constantIbLb1EES14_EEDaSZ_S10_EUlSZ_E_NS1_11comp_targetILNS1_3genE4ELNS1_11target_archE910ELNS1_3gpuE8ELNS1_3repE0EEENS1_30default_config_static_selectorELNS0_4arch9wavefront6targetE1EEEvT1_
	.globl	_ZN7rocprim17ROCPRIM_400000_NS6detail17trampoline_kernelINS0_14default_configENS1_27scan_by_key_config_selectorIiiEEZZNS1_16scan_by_key_implILNS1_25lookback_scan_determinismE0ELb0ES3_N6thrust23THRUST_200600_302600_NS6detail15normal_iteratorINS9_10device_ptrIiEEEENS9_18transform_iteratorINS9_6negateIiEESE_NS9_11use_defaultESI_EESE_iNS9_4plusIvEENS9_8equal_toIvEEiEE10hipError_tPvRmT2_T3_T4_T5_mT6_T7_P12ihipStream_tbENKUlT_T0_E_clISt17integral_constantIbLb1EES14_EEDaSZ_S10_EUlSZ_E_NS1_11comp_targetILNS1_3genE4ELNS1_11target_archE910ELNS1_3gpuE8ELNS1_3repE0EEENS1_30default_config_static_selectorELNS0_4arch9wavefront6targetE1EEEvT1_
	.p2align	8
	.type	_ZN7rocprim17ROCPRIM_400000_NS6detail17trampoline_kernelINS0_14default_configENS1_27scan_by_key_config_selectorIiiEEZZNS1_16scan_by_key_implILNS1_25lookback_scan_determinismE0ELb0ES3_N6thrust23THRUST_200600_302600_NS6detail15normal_iteratorINS9_10device_ptrIiEEEENS9_18transform_iteratorINS9_6negateIiEESE_NS9_11use_defaultESI_EESE_iNS9_4plusIvEENS9_8equal_toIvEEiEE10hipError_tPvRmT2_T3_T4_T5_mT6_T7_P12ihipStream_tbENKUlT_T0_E_clISt17integral_constantIbLb1EES14_EEDaSZ_S10_EUlSZ_E_NS1_11comp_targetILNS1_3genE4ELNS1_11target_archE910ELNS1_3gpuE8ELNS1_3repE0EEENS1_30default_config_static_selectorELNS0_4arch9wavefront6targetE1EEEvT1_,@function
_ZN7rocprim17ROCPRIM_400000_NS6detail17trampoline_kernelINS0_14default_configENS1_27scan_by_key_config_selectorIiiEEZZNS1_16scan_by_key_implILNS1_25lookback_scan_determinismE0ELb0ES3_N6thrust23THRUST_200600_302600_NS6detail15normal_iteratorINS9_10device_ptrIiEEEENS9_18transform_iteratorINS9_6negateIiEESE_NS9_11use_defaultESI_EESE_iNS9_4plusIvEENS9_8equal_toIvEEiEE10hipError_tPvRmT2_T3_T4_T5_mT6_T7_P12ihipStream_tbENKUlT_T0_E_clISt17integral_constantIbLb1EES14_EEDaSZ_S10_EUlSZ_E_NS1_11comp_targetILNS1_3genE4ELNS1_11target_archE910ELNS1_3gpuE8ELNS1_3repE0EEENS1_30default_config_static_selectorELNS0_4arch9wavefront6targetE1EEEvT1_: ; @_ZN7rocprim17ROCPRIM_400000_NS6detail17trampoline_kernelINS0_14default_configENS1_27scan_by_key_config_selectorIiiEEZZNS1_16scan_by_key_implILNS1_25lookback_scan_determinismE0ELb0ES3_N6thrust23THRUST_200600_302600_NS6detail15normal_iteratorINS9_10device_ptrIiEEEENS9_18transform_iteratorINS9_6negateIiEESE_NS9_11use_defaultESI_EESE_iNS9_4plusIvEENS9_8equal_toIvEEiEE10hipError_tPvRmT2_T3_T4_T5_mT6_T7_P12ihipStream_tbENKUlT_T0_E_clISt17integral_constantIbLb1EES14_EEDaSZ_S10_EUlSZ_E_NS1_11comp_targetILNS1_3genE4ELNS1_11target_archE910ELNS1_3gpuE8ELNS1_3repE0EEENS1_30default_config_static_selectorELNS0_4arch9wavefront6targetE1EEEvT1_
; %bb.0:
	s_load_dwordx4 s[8:11], s[4:5], 0x0
	s_load_dwordx2 s[2:3], s[4:5], 0x10
	s_load_dwordx2 s[38:39], s[4:5], 0x20
	s_load_dwordx4 s[48:51], s[4:5], 0x30
	s_load_dwordx2 s[54:55], s[4:5], 0x40
	v_cmp_ne_u32_e64 s[36:37], 0, v0
	v_cmp_eq_u32_e64 s[0:1], 0, v0
	s_and_saveexec_b64 s[6:7], s[0:1]
	s_cbranch_execz .LBB941_4
; %bb.1:
	s_mov_b64 s[14:15], exec
	v_mbcnt_lo_u32_b32 v1, s14, 0
	v_mbcnt_hi_u32_b32 v1, s15, v1
	v_cmp_eq_u32_e32 vcc, 0, v1
                                        ; implicit-def: $vgpr2
	s_and_saveexec_b64 s[12:13], vcc
	s_cbranch_execz .LBB941_3
; %bb.2:
	s_load_dwordx2 s[16:17], s[4:5], 0x70
	s_bcnt1_i32_b64 s14, s[14:15]
	v_mov_b32_e32 v2, 0
	v_mov_b32_e32 v3, s14
	s_waitcnt lgkmcnt(0)
	global_atomic_add v2, v2, v3, s[16:17] glc
.LBB941_3:
	s_or_b64 exec, exec, s[12:13]
	s_waitcnt vmcnt(0)
	v_readfirstlane_b32 s12, v2
	v_add_u32_e32 v1, s12, v1
	v_mov_b32_e32 v2, 0
	ds_write_b32 v2, v1
.LBB941_4:
	s_or_b64 exec, exec, s[6:7]
	v_mov_b32_e32 v1, 0
	s_load_dword s6, s[4:5], 0x48
	s_load_dwordx8 s[40:47], s[4:5], 0x50
	s_waitcnt lgkmcnt(0)
	s_lshl_b64 s[52:53], s[10:11], 2
	s_barrier
	ds_read_b32 v1, v1
	s_add_u32 s4, s8, s52
	s_addc_u32 s5, s9, s53
	s_add_u32 s7, s2, s52
	s_addc_u32 s8, s3, s53
	s_mul_i32 s2, s55, s6
	s_mul_hi_u32 s3, s54, s6
	s_add_i32 s9, s3, s2
	s_waitcnt lgkmcnt(0)
	v_readfirstlane_b32 s51, v1
	s_cmp_lg_u64 s[44:45], 0
	s_mov_b32 s3, 0
	s_mul_i32 s2, s51, 0xe00
	s_cselect_b64 s[60:61], -1, 0
	s_lshl_b64 s[44:45], s[2:3], 2
	s_add_u32 s58, s4, s44
	s_addc_u32 s59, s5, s45
	s_add_u32 s56, s7, s44
	s_mul_i32 s6, s54, s6
	s_addc_u32 s57, s8, s45
	s_add_u32 s62, s6, s51
	s_addc_u32 s63, s9, 0
	s_add_u32 s4, s40, -1
	s_addc_u32 s5, s41, -1
	v_pk_mov_b32 v[2:3], s[4:5], s[4:5] op_sel:[0,1]
	v_cmp_ge_u64_e64 s[2:3], s[62:63], v[2:3]
	s_mov_b64 s[18:19], 0
	s_mov_b64 s[12:13], -1
	s_and_b64 vcc, exec, s[2:3]
	s_mul_i32 s33, s4, 0xfffff200
	s_barrier
	s_barrier
	s_cbranch_vccz .LBB941_81
; %bb.5:
	v_pk_mov_b32 v[2:3], s[58:59], s[58:59] op_sel:[0,1]
	flat_load_dword v1, v[2:3]
	s_add_i32 s64, s33, s50
	v_cmp_gt_u32_e64 s[6:7], s64, v0
	s_waitcnt vmcnt(0) lgkmcnt(0)
	v_mov_b32_e32 v12, v1
	s_and_saveexec_b64 s[4:5], s[6:7]
	s_cbranch_execz .LBB941_7
; %bb.6:
	v_lshlrev_b32_e32 v2, 2, v0
	v_mov_b32_e32 v3, s59
	v_add_co_u32_e32 v2, vcc, s58, v2
	v_addc_co_u32_e32 v3, vcc, 0, v3, vcc
	flat_load_dword v12, v[2:3]
.LBB941_7:
	s_or_b64 exec, exec, s[4:5]
	v_or_b32_e32 v2, 0x100, v0
	v_cmp_gt_u32_e64 s[8:9], s64, v2
	v_mov_b32_e32 v14, v1
	s_and_saveexec_b64 s[4:5], s[8:9]
	s_cbranch_execz .LBB941_9
; %bb.8:
	v_lshlrev_b32_e32 v2, 2, v0
	v_mov_b32_e32 v3, s59
	v_add_co_u32_e32 v2, vcc, s58, v2
	v_addc_co_u32_e32 v3, vcc, 0, v3, vcc
	flat_load_dword v14, v[2:3] offset:1024
.LBB941_9:
	s_or_b64 exec, exec, s[4:5]
	v_or_b32_e32 v2, 0x200, v0
	v_cmp_gt_u32_e64 s[10:11], s64, v2
	v_mov_b32_e32 v15, v1
	s_and_saveexec_b64 s[4:5], s[10:11]
	s_cbranch_execz .LBB941_11
; %bb.10:
	v_lshlrev_b32_e32 v2, 2, v0
	v_mov_b32_e32 v3, s59
	v_add_co_u32_e32 v2, vcc, s58, v2
	v_addc_co_u32_e32 v3, vcc, 0, v3, vcc
	flat_load_dword v15, v[2:3] offset:2048
.LBB941_11:
	s_or_b64 exec, exec, s[4:5]
	v_or_b32_e32 v2, 0x300, v0
	v_cmp_gt_u32_e64 s[12:13], s64, v2
	v_mov_b32_e32 v16, v1
	s_and_saveexec_b64 s[4:5], s[12:13]
	s_cbranch_execz .LBB941_13
; %bb.12:
	v_lshlrev_b32_e32 v2, 2, v0
	v_mov_b32_e32 v3, s59
	v_add_co_u32_e32 v2, vcc, s58, v2
	v_addc_co_u32_e32 v3, vcc, 0, v3, vcc
	flat_load_dword v16, v[2:3] offset:3072
.LBB941_13:
	s_or_b64 exec, exec, s[4:5]
	v_or_b32_e32 v2, 0x400, v0
	v_cmp_gt_u32_e64 s[14:15], s64, v2
	v_mov_b32_e32 v17, v1
	s_and_saveexec_b64 s[4:5], s[14:15]
	s_cbranch_execz .LBB941_15
; %bb.14:
	v_lshlrev_b32_e32 v3, 2, v2
	v_mov_b32_e32 v5, s59
	v_add_co_u32_e32 v4, vcc, s58, v3
	v_addc_co_u32_e32 v5, vcc, 0, v5, vcc
	flat_load_dword v17, v[4:5]
.LBB941_15:
	s_or_b64 exec, exec, s[4:5]
	v_or_b32_e32 v3, 0x500, v0
	v_cmp_gt_u32_e64 s[16:17], s64, v3
	v_mov_b32_e32 v18, v1
	s_and_saveexec_b64 s[4:5], s[16:17]
	s_cbranch_execz .LBB941_17
; %bb.16:
	v_lshlrev_b32_e32 v4, 2, v3
	v_mov_b32_e32 v5, s59
	v_add_co_u32_e32 v4, vcc, s58, v4
	v_addc_co_u32_e32 v5, vcc, 0, v5, vcc
	flat_load_dword v18, v[4:5]
.LBB941_17:
	;; [unrolled: 13-line block ×9, first 2 shown]
	s_or_b64 exec, exec, s[4:5]
	v_or_b32_e32 v11, 0xd00, v0
	v_cmp_gt_u32_e64 s[34:35], s64, v11
	s_and_saveexec_b64 s[4:5], s[34:35]
	s_cbranch_execz .LBB941_33
; %bb.32:
	v_lshlrev_b32_e32 v1, 2, v11
	v_mov_b32_e32 v13, s59
	v_add_co_u32_e32 v26, vcc, s58, v1
	v_addc_co_u32_e32 v27, vcc, 0, v13, vcc
	flat_load_dword v1, v[26:27]
.LBB941_33:
	s_or_b64 exec, exec, s[4:5]
	v_lshlrev_b32_e32 v13, 2, v0
	s_waitcnt vmcnt(0) lgkmcnt(0)
	ds_write2st64_b32 v13, v12, v14 offset1:4
	ds_write2st64_b32 v13, v15, v16 offset0:8 offset1:12
	ds_write2st64_b32 v13, v17, v18 offset0:16 offset1:20
	;; [unrolled: 1-line block ×6, first 2 shown]
	v_mad_u32_u24 v1, v0, 52, v13
	s_waitcnt lgkmcnt(0)
	s_barrier
	ds_read2_b64 v[34:37], v1 offset1:1
	ds_read2_b64 v[30:33], v1 offset0:2 offset1:3
	ds_read2_b64 v[26:29], v1 offset0:4 offset1:5
	ds_read_b64 v[40:41], v1 offset:48
	s_cmp_eq_u64 s[62:63], 0
	s_mov_b64 s[4:5], s[58:59]
	s_cbranch_scc1 .LBB941_37
; %bb.34:
	s_andn2_b64 vcc, exec, s[60:61]
	s_cbranch_vccnz .LBB941_187
; %bb.35:
	s_lshl_b64 s[4:5], s[62:63], 2
	s_add_u32 s4, s46, s4
	s_addc_u32 s5, s47, s5
	s_add_u32 s4, s4, -4
	s_addc_u32 s5, s5, -1
	s_cbranch_execnz .LBB941_37
.LBB941_36:
	s_add_u32 s4, s58, -4
	s_addc_u32 s5, s59, -1
.LBB941_37:
	v_pk_mov_b32 v[14:15], s[4:5], s[4:5] op_sel:[0,1]
	flat_load_dword v44, v[14:15]
	s_movk_i32 s4, 0xffcc
	v_mad_i32_i24 v12, v0, s4, v1
	s_waitcnt lgkmcnt(0)
	ds_write_b32 v12, v41 offset:14336
	s_waitcnt lgkmcnt(0)
	s_barrier
	s_and_saveexec_b64 s[4:5], s[36:37]
	s_cbranch_execz .LBB941_39
; %bb.38:
	v_mul_i32_i24_e32 v12, 0xffffffcc, v0
	v_add_u32_e32 v12, v1, v12
	s_waitcnt vmcnt(0)
	ds_read_b32 v44, v12 offset:14332
.LBB941_39:
	s_or_b64 exec, exec, s[4:5]
	s_waitcnt lgkmcnt(0)
	s_barrier
	s_waitcnt lgkmcnt(0)
                                        ; implicit-def: $vgpr12
	s_and_saveexec_b64 s[4:5], s[6:7]
	s_cbranch_execnz .LBB941_174
; %bb.40:
	s_or_b64 exec, exec, s[4:5]
                                        ; implicit-def: $vgpr14
	s_and_saveexec_b64 s[4:5], s[8:9]
	s_cbranch_execnz .LBB941_175
.LBB941_41:
	s_or_b64 exec, exec, s[4:5]
                                        ; implicit-def: $vgpr15
	s_and_saveexec_b64 s[4:5], s[10:11]
	s_cbranch_execnz .LBB941_176
.LBB941_42:
	s_or_b64 exec, exec, s[4:5]
                                        ; implicit-def: $vgpr16
	s_and_saveexec_b64 s[4:5], s[12:13]
	s_cbranch_execnz .LBB941_177
.LBB941_43:
	s_or_b64 exec, exec, s[4:5]
                                        ; implicit-def: $vgpr17
	s_and_saveexec_b64 s[4:5], s[14:15]
	s_cbranch_execnz .LBB941_178
.LBB941_44:
	s_or_b64 exec, exec, s[4:5]
                                        ; implicit-def: $vgpr2
	s_and_saveexec_b64 s[4:5], s[16:17]
	s_cbranch_execnz .LBB941_179
.LBB941_45:
	s_or_b64 exec, exec, s[4:5]
                                        ; implicit-def: $vgpr3
	s_and_saveexec_b64 s[4:5], s[18:19]
	s_cbranch_execnz .LBB941_180
.LBB941_46:
	s_or_b64 exec, exec, s[4:5]
                                        ; implicit-def: $vgpr4
	s_and_saveexec_b64 s[4:5], s[20:21]
	s_cbranch_execnz .LBB941_181
.LBB941_47:
	s_or_b64 exec, exec, s[4:5]
                                        ; implicit-def: $vgpr5
	s_and_saveexec_b64 s[4:5], s[22:23]
	s_cbranch_execnz .LBB941_182
.LBB941_48:
	s_or_b64 exec, exec, s[4:5]
                                        ; implicit-def: $vgpr6
	s_and_saveexec_b64 s[4:5], s[24:25]
	s_cbranch_execnz .LBB941_183
.LBB941_49:
	s_or_b64 exec, exec, s[4:5]
                                        ; implicit-def: $vgpr7
	s_and_saveexec_b64 s[4:5], s[26:27]
	s_cbranch_execnz .LBB941_184
.LBB941_50:
	s_or_b64 exec, exec, s[4:5]
                                        ; implicit-def: $vgpr8
	s_and_saveexec_b64 s[4:5], s[28:29]
	s_cbranch_execnz .LBB941_185
.LBB941_51:
	s_or_b64 exec, exec, s[4:5]
                                        ; implicit-def: $vgpr9
	s_and_saveexec_b64 s[4:5], s[30:31]
	s_cbranch_execnz .LBB941_186
.LBB941_52:
	s_or_b64 exec, exec, s[4:5]
                                        ; implicit-def: $vgpr10
	s_and_saveexec_b64 s[4:5], s[34:35]
	s_cbranch_execz .LBB941_54
.LBB941_53:
	v_lshlrev_b32_e32 v10, 2, v11
	global_load_dword v10, v10, s[56:57]
	s_waitcnt vmcnt(0)
	v_sub_u32_e32 v10, 0, v10
.LBB941_54:
	s_or_b64 exec, exec, s[4:5]
	s_mov_b32 s4, 0
	s_mov_b32 s5, s4
	ds_write2st64_b32 v13, v12, v14 offset1:4
	ds_write2st64_b32 v13, v15, v16 offset0:8 offset1:12
	ds_write2st64_b32 v13, v17, v2 offset0:16 offset1:20
	;; [unrolled: 1-line block ×6, first 2 shown]
	s_mov_b32 s6, s4
	s_mov_b32 s7, s4
	;; [unrolled: 1-line block ×6, first 2 shown]
	v_pk_mov_b32 v[2:3], s[4:5], s[4:5] op_sel:[0,1]
	v_pk_mov_b32 v[8:9], s[10:11], s[10:11] op_sel:[0,1]
	v_mul_u32_u24_e32 v42, 14, v0
	v_pk_mov_b32 v[4:5], s[6:7], s[6:7] op_sel:[0,1]
	v_pk_mov_b32 v[6:7], s[8:9], s[8:9] op_sel:[0,1]
	v_pk_mov_b32 v[16:17], v[8:9], v[8:9] op_sel:[0,1]
	v_pk_mov_b32 v[24:25], v[8:9], v[8:9] op_sel:[0,1]
	v_cmp_gt_u32_e32 vcc, s64, v42
	s_mov_b64 s[12:13], 0
	v_pk_mov_b32 v[38:39], 0, 0
	s_mov_b64 s[18:19], 0
	v_pk_mov_b32 v[14:15], v[6:7], v[6:7] op_sel:[0,1]
	v_pk_mov_b32 v[12:13], v[4:5], v[4:5] op_sel:[0,1]
	;; [unrolled: 1-line block ×6, first 2 shown]
	s_waitcnt lgkmcnt(0)
	s_barrier
	s_waitcnt lgkmcnt(0)
                                        ; implicit-def: $sgpr16_sgpr17
                                        ; implicit-def: $vgpr43
	s_and_saveexec_b64 s[14:15], vcc
	s_cbranch_execz .LBB941_80
; %bb.55:
	v_or_b32_e32 v2, 1, v42
	ds_read_b32 v38, v1
	s_waitcnt vmcnt(0)
	v_cmp_ne_u32_e32 vcc, v44, v34
	v_cndmask_b32_e64 v39, 0, 1, vcc
	v_cmp_gt_u32_e32 vcc, s64, v2
	v_pk_mov_b32 v[2:3], s[4:5], s[4:5] op_sel:[0,1]
	v_pk_mov_b32 v[8:9], s[10:11], s[10:11] op_sel:[0,1]
	;; [unrolled: 1-line block ×12, first 2 shown]
                                        ; implicit-def: $sgpr4_sgpr5
                                        ; implicit-def: $vgpr43
	s_and_saveexec_b64 s[16:17], vcc
	s_cbranch_execz .LBB941_79
; %bb.56:
	ds_read2_b32 v[44:45], v1 offset0:1 offset1:2
	s_mov_b32 s4, 0
	s_mov_b32 s10, s4
	;; [unrolled: 1-line block ×8, first 2 shown]
	v_pk_mov_b32 v[16:17], s[10:11], s[10:11] op_sel:[0,1]
	v_add_u32_e32 v2, 2, v42
	v_cmp_ne_u32_e32 vcc, v34, v35
	v_mov_b32_e32 v6, 0
	v_pk_mov_b32 v[14:15], s[8:9], s[8:9] op_sel:[0,1]
	v_pk_mov_b32 v[12:13], s[6:7], s[6:7] op_sel:[0,1]
	;; [unrolled: 1-line block ×4, first 2 shown]
	v_cndmask_b32_e64 v3, 0, 1, vcc
	v_cmp_gt_u32_e32 vcc, s64, v2
	s_waitcnt lgkmcnt(0)
	v_mov_b32_e32 v2, v44
	v_mov_b32_e32 v4, v6
	;; [unrolled: 1-line block ×6, first 2 shown]
	s_mov_b64 s[20:21], 0
	v_pk_mov_b32 v[22:23], v[14:15], v[14:15] op_sel:[0,1]
	v_pk_mov_b32 v[20:21], v[12:13], v[12:13] op_sel:[0,1]
	;; [unrolled: 1-line block ×3, first 2 shown]
                                        ; implicit-def: $sgpr24_sgpr25
                                        ; implicit-def: $vgpr43
	s_and_saveexec_b64 s[18:19], vcc
	s_cbranch_execz .LBB941_78
; %bb.57:
	v_pk_mov_b32 v[16:17], s[10:11], s[10:11] op_sel:[0,1]
	v_add_u32_e32 v2, 3, v42
	v_cmp_ne_u32_e32 vcc, v35, v36
	v_pk_mov_b32 v[14:15], s[8:9], s[8:9] op_sel:[0,1]
	v_pk_mov_b32 v[12:13], s[6:7], s[6:7] op_sel:[0,1]
	;; [unrolled: 1-line block ×4, first 2 shown]
	v_cndmask_b32_e64 v5, 0, 1, vcc
	v_cmp_gt_u32_e32 vcc, s64, v2
	v_mov_b32_e32 v2, v44
	v_mov_b32_e32 v4, v45
	;; [unrolled: 1-line block ×5, first 2 shown]
	s_mov_b64 s[22:23], 0
	v_pk_mov_b32 v[22:23], v[14:15], v[14:15] op_sel:[0,1]
	v_pk_mov_b32 v[20:21], v[12:13], v[12:13] op_sel:[0,1]
	;; [unrolled: 1-line block ×3, first 2 shown]
                                        ; implicit-def: $sgpr4_sgpr5
                                        ; implicit-def: $vgpr43
	s_and_saveexec_b64 s[20:21], vcc
	s_cbranch_execz .LBB941_77
; %bb.58:
	ds_read2_b32 v[34:35], v1 offset0:3 offset1:4
	s_mov_b32 s4, 0
	s_mov_b32 s10, s4
	;; [unrolled: 1-line block ×8, first 2 shown]
	v_pk_mov_b32 v[16:17], s[10:11], s[10:11] op_sel:[0,1]
	v_add_u32_e32 v6, 4, v42
	v_cmp_ne_u32_e32 vcc, v36, v37
	v_pk_mov_b32 v[14:15], s[8:9], s[8:9] op_sel:[0,1]
	v_pk_mov_b32 v[12:13], s[6:7], s[6:7] op_sel:[0,1]
	;; [unrolled: 1-line block ×4, first 2 shown]
	v_cndmask_b32_e64 v7, 0, 1, vcc
	v_cmp_gt_u32_e32 vcc, s64, v6
	s_waitcnt lgkmcnt(0)
	v_mov_b32_e32 v6, v34
	v_mov_b32_e32 v8, s4
	;; [unrolled: 1-line block ×3, first 2 shown]
	s_mov_b64 s[24:25], 0
	v_pk_mov_b32 v[22:23], v[14:15], v[14:15] op_sel:[0,1]
	v_pk_mov_b32 v[20:21], v[12:13], v[12:13] op_sel:[0,1]
	;; [unrolled: 1-line block ×3, first 2 shown]
                                        ; implicit-def: $sgpr26_sgpr27
                                        ; implicit-def: $vgpr43
	s_and_saveexec_b64 s[22:23], vcc
	s_cbranch_execz .LBB941_76
; %bb.59:
	v_pk_mov_b32 v[16:17], s[10:11], s[10:11] op_sel:[0,1]
	v_add_u32_e32 v8, 5, v42
	v_cmp_ne_u32_e32 vcc, v37, v30
	v_pk_mov_b32 v[14:15], s[8:9], s[8:9] op_sel:[0,1]
	v_pk_mov_b32 v[12:13], s[6:7], s[6:7] op_sel:[0,1]
	;; [unrolled: 1-line block ×4, first 2 shown]
	v_cndmask_b32_e64 v9, 0, 1, vcc
	v_cmp_gt_u32_e32 vcc, s64, v8
	v_mov_b32_e32 v8, v35
	s_mov_b64 s[28:29], 0
	v_pk_mov_b32 v[22:23], v[14:15], v[14:15] op_sel:[0,1]
	v_pk_mov_b32 v[20:21], v[12:13], v[12:13] op_sel:[0,1]
	;; [unrolled: 1-line block ×3, first 2 shown]
                                        ; implicit-def: $sgpr4_sgpr5
                                        ; implicit-def: $vgpr43
	s_and_saveexec_b64 s[24:25], vcc
	s_cbranch_execz .LBB941_75
; %bb.60:
	ds_read2_b32 v[34:35], v1 offset0:5 offset1:6
	s_mov_b32 s4, 0
	s_mov_b32 s10, s4
	;; [unrolled: 1-line block ×3, first 2 shown]
	v_add_u32_e32 v10, 6, v42
	v_cmp_ne_u32_e32 vcc, v30, v31
	v_mov_b32_e32 v14, 0
	s_mov_b32 s5, s4
	s_mov_b32 s6, s4
	;; [unrolled: 1-line block ×5, first 2 shown]
	v_pk_mov_b32 v[24:25], s[10:11], s[10:11] op_sel:[0,1]
	v_cndmask_b32_e64 v11, 0, 1, vcc
	v_cmp_gt_u32_e32 vcc, s64, v10
	s_waitcnt lgkmcnt(0)
	v_mov_b32_e32 v10, v34
	v_mov_b32_e32 v12, v14
	;; [unrolled: 1-line block ×6, first 2 shown]
	v_pk_mov_b32 v[22:23], s[8:9], s[8:9] op_sel:[0,1]
	v_pk_mov_b32 v[20:21], s[6:7], s[6:7] op_sel:[0,1]
	;; [unrolled: 1-line block ×3, first 2 shown]
                                        ; implicit-def: $sgpr34_sgpr35
                                        ; implicit-def: $vgpr43
	s_and_saveexec_b64 s[26:27], vcc
	s_cbranch_execz .LBB941_74
; %bb.61:
	v_add_u32_e32 v10, 7, v42
	v_cmp_ne_u32_e32 vcc, v31, v32
	v_pk_mov_b32 v[24:25], s[10:11], s[10:11] op_sel:[0,1]
	v_cndmask_b32_e64 v13, 0, 1, vcc
	v_cmp_gt_u32_e32 vcc, s64, v10
	v_mov_b32_e32 v10, v34
	v_mov_b32_e32 v12, v35
	v_mov_b32_e32 v15, v14
	v_mov_b32_e32 v16, v14
	v_mov_b32_e32 v17, v14
	s_mov_b64 s[30:31], 0
	v_pk_mov_b32 v[22:23], s[8:9], s[8:9] op_sel:[0,1]
	v_pk_mov_b32 v[20:21], s[6:7], s[6:7] op_sel:[0,1]
	;; [unrolled: 1-line block ×3, first 2 shown]
                                        ; implicit-def: $sgpr4_sgpr5
                                        ; implicit-def: $vgpr43
	s_and_saveexec_b64 s[28:29], vcc
	s_cbranch_execz .LBB941_73
; %bb.62:
	ds_read2_b32 v[30:31], v1 offset0:7 offset1:8
	s_mov_b32 s4, 0
	s_mov_b32 s10, s4
	;; [unrolled: 1-line block ×3, first 2 shown]
	v_add_u32_e32 v14, 8, v42
	v_cmp_ne_u32_e32 vcc, v32, v33
	s_mov_b32 s5, s4
	s_mov_b32 s6, s4
	;; [unrolled: 1-line block ×5, first 2 shown]
	v_pk_mov_b32 v[24:25], s[10:11], s[10:11] op_sel:[0,1]
	v_cndmask_b32_e64 v15, 0, 1, vcc
	v_cmp_gt_u32_e32 vcc, s64, v14
	s_waitcnt lgkmcnt(0)
	v_mov_b32_e32 v14, v30
	v_mov_b32_e32 v16, s4
	;; [unrolled: 1-line block ×3, first 2 shown]
	s_mov_b64 s[34:35], 0
	v_pk_mov_b32 v[22:23], s[8:9], s[8:9] op_sel:[0,1]
	v_pk_mov_b32 v[20:21], s[6:7], s[6:7] op_sel:[0,1]
	;; [unrolled: 1-line block ×3, first 2 shown]
                                        ; implicit-def: $sgpr40_sgpr41
                                        ; implicit-def: $vgpr43
	s_and_saveexec_b64 s[30:31], vcc
	s_cbranch_execz .LBB941_72
; %bb.63:
	v_add_u32_e32 v16, 9, v42
	v_cmp_ne_u32_e32 vcc, v33, v26
	v_pk_mov_b32 v[24:25], s[10:11], s[10:11] op_sel:[0,1]
	v_cndmask_b32_e64 v17, 0, 1, vcc
	v_cmp_gt_u32_e32 vcc, s64, v16
	v_mov_b32_e32 v16, v31
	v_pk_mov_b32 v[22:23], s[8:9], s[8:9] op_sel:[0,1]
	v_pk_mov_b32 v[20:21], s[6:7], s[6:7] op_sel:[0,1]
	;; [unrolled: 1-line block ×3, first 2 shown]
                                        ; implicit-def: $sgpr8_sgpr9
                                        ; implicit-def: $vgpr43
	s_and_saveexec_b64 s[6:7], vcc
	s_cbranch_execz .LBB941_71
; %bb.64:
	ds_read2_b32 v[30:31], v1 offset0:9 offset1:10
	v_add_u32_e32 v18, 10, v42
	v_cmp_ne_u32_e32 vcc, v26, v27
	v_mov_b32_e32 v22, 0
	v_cndmask_b32_e64 v19, 0, 1, vcc
	v_cmp_gt_u32_e32 vcc, s64, v18
	s_waitcnt lgkmcnt(0)
	v_mov_b32_e32 v18, v30
	v_mov_b32_e32 v20, v22
	v_mov_b32_e32 v21, v22
	v_mov_b32_e32 v23, v22
	v_mov_b32_e32 v24, v22
	v_mov_b32_e32 v25, v22
	s_mov_b64 s[4:5], 0
                                        ; implicit-def: $sgpr10_sgpr11
                                        ; implicit-def: $vgpr43
	s_and_saveexec_b64 s[8:9], vcc
	s_cbranch_execz .LBB941_70
; %bb.65:
	v_add_u32_e32 v18, 11, v42
	v_cmp_ne_u32_e32 vcc, v27, v28
	v_cndmask_b32_e64 v21, 0, 1, vcc
	v_cmp_gt_u32_e32 vcc, s64, v18
	s_mov_b32 s40, 0
	v_mov_b32_e32 v18, v30
	v_mov_b32_e32 v20, v31
	v_mov_b32_e32 v23, v22
	v_mov_b32_e32 v24, v22
	v_mov_b32_e32 v25, v22
                                        ; implicit-def: $sgpr34_sgpr35
                                        ; implicit-def: $vgpr43
	s_and_saveexec_b64 s[10:11], vcc
	s_cbranch_execz .LBB941_69
; %bb.66:
	ds_read2_b32 v[26:27], v1 offset0:11 offset1:12
	v_add_u32_e32 v22, 12, v42
	v_cmp_ne_u32_e32 vcc, v28, v29
	v_cndmask_b32_e64 v23, 0, 1, vcc
	v_cmp_gt_u32_e32 vcc, s64, v22
	s_waitcnt lgkmcnt(0)
	v_mov_b32_e32 v22, v26
	v_mov_b32_e32 v24, s40
	;; [unrolled: 1-line block ×3, first 2 shown]
                                        ; implicit-def: $sgpr34_sgpr35
                                        ; implicit-def: $vgpr43
	s_and_saveexec_b64 s[40:41], vcc
	s_xor_b64 s[40:41], exec, s[40:41]
	s_cbranch_execz .LBB941_68
; %bb.67:
	ds_read_b32 v43, v1 offset:52
	v_add_u32_e32 v1, 13, v42
	v_cmp_ne_u32_e64 s[4:5], v29, v40
	v_cmp_ne_u32_e32 vcc, v40, v41
	v_cndmask_b32_e64 v25, 0, 1, s[4:5]
	v_cmp_gt_u32_e64 s[4:5], s64, v1
	v_mov_b32_e32 v24, v27
	s_and_b64 s[34:35], vcc, exec
	s_and_b64 s[4:5], s[4:5], exec
.LBB941_68:
	s_or_b64 exec, exec, s[40:41]
	s_and_b64 s[34:35], s[34:35], exec
	s_and_b64 s[4:5], s[4:5], exec
.LBB941_69:
	s_or_b64 exec, exec, s[10:11]
	s_and_b64 s[10:11], s[34:35], exec
	s_and_b64 s[4:5], s[4:5], exec
.LBB941_70:
	s_or_b64 exec, exec, s[8:9]
	s_and_b64 s[8:9], s[10:11], exec
	s_and_b64 s[34:35], s[4:5], exec
.LBB941_71:
	s_or_b64 exec, exec, s[6:7]
	s_and_b64 s[40:41], s[8:9], exec
	s_and_b64 s[34:35], s[34:35], exec
.LBB941_72:
	s_or_b64 exec, exec, s[30:31]
	s_and_b64 s[4:5], s[40:41], exec
	s_and_b64 s[30:31], s[34:35], exec
.LBB941_73:
	s_or_b64 exec, exec, s[28:29]
	s_and_b64 s[34:35], s[4:5], exec
	s_and_b64 s[28:29], s[30:31], exec
.LBB941_74:
	s_or_b64 exec, exec, s[26:27]
	s_and_b64 s[4:5], s[34:35], exec
	s_and_b64 s[28:29], s[28:29], exec
.LBB941_75:
	s_or_b64 exec, exec, s[24:25]
	s_and_b64 s[26:27], s[4:5], exec
	s_and_b64 s[24:25], s[28:29], exec
.LBB941_76:
	s_or_b64 exec, exec, s[22:23]
	s_and_b64 s[4:5], s[26:27], exec
	s_and_b64 s[22:23], s[24:25], exec
.LBB941_77:
	s_or_b64 exec, exec, s[20:21]
	s_and_b64 s[24:25], s[4:5], exec
	s_and_b64 s[20:21], s[22:23], exec
.LBB941_78:
	s_or_b64 exec, exec, s[18:19]
	s_and_b64 s[4:5], s[24:25], exec
	s_and_b64 s[18:19], s[20:21], exec
.LBB941_79:
	s_or_b64 exec, exec, s[16:17]
	s_and_b64 s[16:17], s[4:5], exec
	s_and_b64 s[18:19], s[18:19], exec
.LBB941_80:
	s_or_b64 exec, exec, s[14:15]
	s_and_b64 vcc, exec, s[12:13]
	v_lshlrev_b32_e32 v50, 2, v0
	s_cbranch_vccnz .LBB941_82
	s_branch .LBB941_90
.LBB941_81:
                                        ; implicit-def: $sgpr16_sgpr17
                                        ; implicit-def: $vgpr2_vgpr3_vgpr4_vgpr5_vgpr6_vgpr7_vgpr8_vgpr9
                                        ; implicit-def: $vgpr10_vgpr11_vgpr12_vgpr13_vgpr14_vgpr15_vgpr16_vgpr17
                                        ; implicit-def: $vgpr18_vgpr19_vgpr20_vgpr21_vgpr22_vgpr23_vgpr24_vgpr25
                                        ; implicit-def: $vgpr43
                                        ; implicit-def: $vgpr38_vgpr39
	s_and_b64 vcc, exec, s[12:13]
	v_lshlrev_b32_e32 v50, 2, v0
	s_cbranch_vccz .LBB941_90
.LBB941_82:
	v_mov_b32_e32 v1, s59
	v_add_co_u32_e32 v2, vcc, s58, v50
	v_addc_co_u32_e32 v3, vcc, 0, v1, vcc
	v_add_co_u32_e32 v4, vcc, 0x1000, v2
	v_addc_co_u32_e32 v5, vcc, 0, v3, vcc
	flat_load_dword v6, v[2:3]
	flat_load_dword v7, v[2:3] offset:1024
	flat_load_dword v8, v[2:3] offset:2048
	;; [unrolled: 1-line block ×3, first 2 shown]
	flat_load_dword v10, v[4:5]
	flat_load_dword v11, v[4:5] offset:1024
	flat_load_dword v12, v[4:5] offset:2048
	;; [unrolled: 1-line block ×3, first 2 shown]
	v_add_co_u32_e32 v4, vcc, 0x2000, v2
	v_addc_co_u32_e32 v5, vcc, 0, v3, vcc
	v_add_co_u32_e32 v2, vcc, 0x3000, v2
	v_addc_co_u32_e32 v3, vcc, 0, v3, vcc
	flat_load_dword v14, v[4:5]
	flat_load_dword v15, v[4:5] offset:1024
	flat_load_dword v16, v[4:5] offset:2048
	;; [unrolled: 1-line block ×3, first 2 shown]
	flat_load_dword v18, v[2:3]
	flat_load_dword v19, v[2:3] offset:1024
	v_mad_u32_u24 v1, v0, 52, v50
	s_cmp_eq_u64 s[62:63], 0
	s_waitcnt vmcnt(0) lgkmcnt(0)
	ds_write2st64_b32 v50, v6, v7 offset1:4
	ds_write2st64_b32 v50, v8, v9 offset0:8 offset1:12
	ds_write2st64_b32 v50, v10, v11 offset0:16 offset1:20
	;; [unrolled: 1-line block ×6, first 2 shown]
	s_waitcnt lgkmcnt(0)
	s_barrier
	ds_read2_b64 v[2:5], v1 offset1:1
	ds_read2_b64 v[10:13], v1 offset0:2 offset1:3
	ds_read2_b64 v[18:21], v1 offset0:4 offset1:5
	ds_read_b64 v[22:23], v1 offset:48
	s_cbranch_scc1 .LBB941_87
; %bb.83:
	s_andn2_b64 vcc, exec, s[60:61]
	s_cbranch_vccnz .LBB941_188
; %bb.84:
	s_lshl_b64 s[4:5], s[62:63], 2
	s_add_u32 s4, s46, s4
	s_addc_u32 s5, s47, s5
	s_add_u32 s4, s4, -4
	s_addc_u32 s5, s5, -1
	s_cbranch_execnz .LBB941_86
.LBB941_85:
	s_add_u32 s4, s58, -4
	s_addc_u32 s5, s59, -1
.LBB941_86:
	s_mov_b64 s[58:59], s[4:5]
.LBB941_87:
	v_pk_mov_b32 v[6:7], s[58:59], s[58:59] op_sel:[0,1]
	flat_load_dword v6, v[6:7]
	s_movk_i32 s4, 0xffcc
	v_mad_i32_i24 v7, v0, s4, v1
	s_waitcnt lgkmcnt(0)
	ds_write_b32 v7, v23 offset:14336
	s_waitcnt lgkmcnt(0)
	s_barrier
	s_and_saveexec_b64 s[4:5], s[36:37]
	s_cbranch_execz .LBB941_89
; %bb.88:
	s_waitcnt vmcnt(0)
	v_mul_i32_i24_e32 v6, 0xffffffcc, v0
	v_add_u32_e32 v6, v1, v6
	ds_read_b32 v6, v6 offset:14332
.LBB941_89:
	s_or_b64 exec, exec, s[4:5]
	v_mov_b32_e32 v7, s57
	v_add_co_u32_e32 v16, vcc, s56, v50
	v_addc_co_u32_e32 v7, vcc, 0, v7, vcc
	s_movk_i32 s4, 0x1000
	v_add_co_u32_e32 v8, vcc, s4, v16
	v_addc_co_u32_e32 v9, vcc, 0, v7, vcc
	s_movk_i32 s4, 0x2000
	;; [unrolled: 3-line block ×3, first 2 shown]
	s_waitcnt lgkmcnt(0)
	s_barrier
	global_load_dword v24, v50, s[56:57]
	global_load_dword v25, v50, s[56:57] offset:1024
	global_load_dword v26, v50, s[56:57] offset:2048
	;; [unrolled: 1-line block ×3, first 2 shown]
	global_load_dword v28, v[8:9], off offset:1024
	global_load_dword v29, v[8:9], off offset:2048
	;; [unrolled: 1-line block ×3, first 2 shown]
	global_load_dword v31, v[14:15], off offset:-4096
	global_load_dword v32, v[14:15], off
	global_load_dword v33, v[14:15], off offset:1024
	global_load_dword v34, v[14:15], off offset:2048
	;; [unrolled: 1-line block ×3, first 2 shown]
	v_add_co_u32_e32 v8, vcc, s4, v16
	v_addc_co_u32_e32 v9, vcc, 0, v7, vcc
	global_load_dword v14, v[8:9], off
	global_load_dword v16, v[8:9], off offset:1024
	s_waitcnt vmcnt(0)
	v_cmp_ne_u32_e32 vcc, v6, v2
	v_cndmask_b32_e64 v39, 0, 1, vcc
	v_cmp_ne_u32_e32 vcc, v5, v10
	v_cndmask_b32_e64 v9, 0, 1, vcc
	;; [unrolled: 2-line block ×5, first 2 shown]
	v_cmp_ne_u32_e32 vcc, v13, v18
	v_cmp_ne_u32_e64 s[16:17], v22, v23
	v_cndmask_b32_e64 v17, 0, 1, vcc
	v_cmp_ne_u32_e32 vcc, v12, v13
	v_cndmask_b32_e64 v15, 0, 1, vcc
	v_cmp_ne_u32_e32 vcc, v11, v12
	s_mov_b64 s[18:19], -1
                                        ; implicit-def: $sgpr12_sgpr13
	v_sub_u32_e32 v2, 0, v24
	v_sub_u32_e32 v4, 0, v25
	;; [unrolled: 1-line block ×4, first 2 shown]
	ds_write2st64_b32 v50, v2, v4 offset1:4
	ds_write2st64_b32 v50, v6, v8 offset0:8 offset1:12
	v_sub_u32_e32 v2, 0, v31
	v_sub_u32_e32 v4, 0, v28
	v_sub_u32_e32 v24, 0, v34
	v_sub_u32_e32 v25, 0, v35
	v_sub_u32_e32 v6, 0, v29
	v_sub_u32_e32 v8, 0, v30
	v_sub_u32_e32 v13, 0, v32
	v_sub_u32_e32 v23, 0, v33
	v_sub_u32_e32 v14, 0, v14
	v_sub_u32_e32 v16, 0, v16
	ds_write2st64_b32 v50, v2, v4 offset0:16 offset1:20
	ds_write2st64_b32 v50, v6, v8 offset0:24 offset1:28
	;; [unrolled: 1-line block ×5, first 2 shown]
	s_waitcnt lgkmcnt(0)
	s_barrier
	ds_read2_b32 v[42:43], v1 offset1:13
	ds_read2_b32 v[24:25], v1 offset0:7 offset1:8
	ds_read2_b32 v[26:27], v1 offset0:5 offset1:6
	;; [unrolled: 1-line block ×4, first 2 shown]
	v_cndmask_b32_e64 v13, 0, 1, vcc
	v_cmp_ne_u32_e32 vcc, v10, v11
	s_waitcnt lgkmcnt(2)
	v_mov_b32_e32 v10, v26
	s_waitcnt lgkmcnt(1)
	v_mov_b32_e32 v6, v28
	v_mov_b32_e32 v8, v29
	;; [unrolled: 1-line block ×3, first 2 shown]
	ds_read2_b32 v[26:27], v1 offset0:11 offset1:12
	ds_read2_b32 v[28:29], v1 offset0:9 offset1:10
	v_cndmask_b32_e64 v11, 0, 1, vcc
	v_cmp_ne_u32_e32 vcc, v21, v22
	v_mov_b32_e32 v16, v25
	v_cndmask_b32_e64 v25, 0, 1, vcc
	v_cmp_ne_u32_e32 vcc, v20, v21
	v_cndmask_b32_e64 v23, 0, 1, vcc
	v_cmp_ne_u32_e32 vcc, v19, v20
	;; [unrolled: 2-line block ×3, first 2 shown]
	v_mov_b32_e32 v38, v42
	s_waitcnt lgkmcnt(2)
	v_mov_b32_e32 v2, v30
	v_mov_b32_e32 v4, v31
	;; [unrolled: 1-line block ×3, first 2 shown]
	v_cndmask_b32_e64 v19, 0, 1, vcc
	s_waitcnt lgkmcnt(0)
	v_mov_b32_e32 v18, v28
	v_mov_b32_e32 v20, v29
	;; [unrolled: 1-line block ×4, first 2 shown]
.LBB941_90:
	v_pk_mov_b32 v[40:41], s[12:13], s[12:13] op_sel:[0,1]
	s_and_saveexec_b64 s[4:5], s[18:19]
	s_cbranch_execz .LBB941_92
; %bb.91:
	v_cndmask_b32_e64 v41, 0, 1, s[16:17]
	s_waitcnt lgkmcnt(0)
	v_mov_b32_e32 v40, v43
.LBB941_92:
	s_or_b64 exec, exec, s[4:5]
	s_mov_b32 s4, 0
	s_cmp_lg_u32 s51, 0
	v_mbcnt_lo_u32_b32 v52, -1, 0
	v_lshrrev_b32_e32 v1, 6, v0
	v_or_b32_e32 v51, 63, v0
	s_waitcnt lgkmcnt(0)
	s_barrier
	s_cbranch_scc0 .LBB941_125
; %bb.93:
	s_mov_b32 s5, 1
	v_cmp_gt_u64_e64 s[6:7], s[4:5], v[2:3]
	v_cndmask_b32_e64 v27, 0, v38, s[6:7]
	v_add_u32_e32 v27, v27, v2
	v_cmp_gt_u64_e64 s[8:9], s[4:5], v[4:5]
	v_cndmask_b32_e64 v27, 0, v27, s[8:9]
	v_add_u32_e32 v27, v27, v4
	v_cmp_gt_u64_e64 s[10:11], s[4:5], v[6:7]
	v_cndmask_b32_e64 v27, 0, v27, s[10:11]
	v_add_u32_e32 v27, v27, v6
	v_cmp_gt_u64_e64 s[12:13], s[4:5], v[8:9]
	v_cndmask_b32_e64 v27, 0, v27, s[12:13]
	v_add_u32_e32 v27, v27, v8
	v_cmp_gt_u64_e64 s[14:15], s[4:5], v[10:11]
	v_cndmask_b32_e64 v27, 0, v27, s[14:15]
	v_add_u32_e32 v27, v27, v10
	v_cmp_gt_u64_e64 s[16:17], s[4:5], v[12:13]
	v_cndmask_b32_e64 v27, 0, v27, s[16:17]
	v_add_u32_e32 v27, v27, v12
	v_cmp_gt_u64_e64 s[18:19], s[4:5], v[14:15]
	v_cndmask_b32_e64 v27, 0, v27, s[18:19]
	v_add_u32_e32 v27, v27, v14
	v_cmp_gt_u64_e64 s[20:21], s[4:5], v[16:17]
	v_cndmask_b32_e64 v27, 0, v27, s[20:21]
	v_add_u32_e32 v27, v27, v16
	v_cmp_gt_u64_e64 s[22:23], s[4:5], v[18:19]
	v_cndmask_b32_e64 v27, 0, v27, s[22:23]
	v_add_u32_e32 v27, v27, v18
	v_cmp_gt_u64_e64 s[24:25], s[4:5], v[20:21]
	v_cndmask_b32_e64 v27, 0, v27, s[24:25]
	v_add_u32_e32 v27, v27, v20
	v_cmp_gt_u64_e64 s[26:27], s[4:5], v[22:23]
	v_cndmask_b32_e64 v27, 0, v27, s[26:27]
	v_add_u32_e32 v27, v27, v22
	v_cmp_gt_u64_e64 s[28:29], s[4:5], v[24:25]
	v_cndmask_b32_e64 v27, 0, v27, s[28:29]
	v_add_u32_e32 v27, v27, v24
	v_cmp_gt_u64_e64 s[30:31], s[4:5], v[40:41]
	v_cndmask_b32_e64 v27, 0, v27, s[30:31]
	v_add_u32_e32 v28, v27, v40
	v_or3_b32 v27, v41, v25, v23
	v_or3_b32 v27, v27, v21, v19
	v_or3_b32 v27, v27, v17, v15
	v_or3_b32 v27, v27, v13, v11
	v_or3_b32 v27, v27, v9, v7
	v_or3_b32 v27, v27, v5, v3
	v_mov_b32_e32 v26, 0
	v_and_b32_e32 v27, 1, v27
	v_cmp_eq_u64_e32 vcc, 0, v[26:27]
	v_cndmask_b32_e32 v26, 1, v39, vcc
	v_mbcnt_hi_u32_b32 v46, -1, v52
	v_mov_b32_dpp v29, v28 row_shr:1 row_mask:0xf bank_mask:0xf
	v_mov_b32_dpp v30, v26 row_shr:1 row_mask:0xf bank_mask:0xf
	v_cmp_eq_u32_e32 vcc, 0, v26
	v_and_b32_e32 v31, 1, v26
	v_and_b32_e32 v27, 15, v46
	v_cndmask_b32_e32 v29, 0, v29, vcc
	v_and_b32_e32 v30, 1, v30
	v_cmp_eq_u32_e32 vcc, 1, v31
	v_cndmask_b32_e64 v30, v30, 1, vcc
	v_cmp_eq_u32_e32 vcc, 0, v27
	v_cndmask_b32_e32 v26, v30, v26, vcc
	v_and_b32_e32 v31, 1, v26
	v_cmp_eq_u32_e64 s[4:5], 1, v31
	v_mov_b32_dpp v30, v26 row_shr:2 row_mask:0xf bank_mask:0xf
	v_and_b32_e32 v30, 1, v30
	v_cndmask_b32_e64 v30, v30, 1, s[4:5]
	v_cmp_lt_u32_e64 s[4:5], 1, v27
	v_cndmask_b32_e64 v29, v29, 0, vcc
	v_cmp_eq_u32_e32 vcc, 0, v26
	v_cndmask_b32_e64 v26, v26, v30, s[4:5]
	v_add_u32_e32 v28, v29, v28
	v_and_b32_e32 v31, 1, v26
	v_mov_b32_dpp v30, v26 row_shr:4 row_mask:0xf bank_mask:0xf
	v_mov_b32_dpp v29, v28 row_shr:2 row_mask:0xf bank_mask:0xf
	s_and_b64 vcc, s[4:5], vcc
	v_and_b32_e32 v30, 1, v30
	v_cmp_eq_u32_e64 s[4:5], 1, v31
	v_cndmask_b32_e32 v29, 0, v29, vcc
	v_cndmask_b32_e64 v30, v30, 1, s[4:5]
	v_cmp_lt_u32_e64 s[4:5], 3, v27
	v_add_u32_e32 v28, v29, v28
	v_cmp_eq_u32_e32 vcc, 0, v26
	v_cndmask_b32_e64 v26, v26, v30, s[4:5]
	v_mov_b32_dpp v29, v28 row_shr:4 row_mask:0xf bank_mask:0xf
	s_and_b64 vcc, s[4:5], vcc
	v_mov_b32_dpp v30, v26 row_shr:8 row_mask:0xf bank_mask:0xf
	v_and_b32_e32 v31, 1, v26
	v_cndmask_b32_e32 v29, 0, v29, vcc
	v_and_b32_e32 v30, 1, v30
	v_cmp_eq_u32_e64 s[4:5], 1, v31
	v_add_u32_e32 v28, v29, v28
	v_cmp_eq_u32_e32 vcc, 0, v26
	v_cndmask_b32_e64 v30, v30, 1, s[4:5]
	v_cmp_lt_u32_e64 s[4:5], 7, v27
	v_mov_b32_dpp v29, v28 row_shr:8 row_mask:0xf bank_mask:0xf
	s_and_b64 vcc, s[4:5], vcc
	v_cndmask_b32_e32 v27, 0, v29, vcc
	v_cndmask_b32_e64 v26, v26, v30, s[4:5]
	v_add_u32_e32 v27, v27, v28
	v_cmp_eq_u32_e32 vcc, 0, v26
	v_mov_b32_dpp v29, v26 row_bcast:15 row_mask:0xf bank_mask:0xf
	v_mov_b32_dpp v28, v27 row_bcast:15 row_mask:0xf bank_mask:0xf
	v_and_b32_e32 v32, 1, v26
	v_and_b32_e32 v31, 16, v46
	v_cndmask_b32_e32 v28, 0, v28, vcc
	v_and_b32_e32 v29, 1, v29
	v_cmp_eq_u32_e32 vcc, 1, v32
	v_bfe_i32 v30, v46, 4, 1
	v_cndmask_b32_e64 v29, v29, 1, vcc
	v_cmp_eq_u32_e32 vcc, 0, v31
	v_and_b32_e32 v28, v30, v28
	v_cndmask_b32_e32 v26, v29, v26, vcc
	v_add_u32_e32 v27, v28, v27
	v_and_b32_e32 v30, 1, v26
	v_mov_b32_dpp v28, v26 row_bcast:31 row_mask:0xf bank_mask:0xf
	v_and_b32_e32 v28, 1, v28
	v_cmp_eq_u32_e64 s[4:5], 1, v30
	v_cmp_eq_u32_e32 vcc, 0, v26
	v_cndmask_b32_e64 v28, v28, 1, s[4:5]
	v_cmp_lt_u32_e64 s[4:5], 31, v46
	v_mov_b32_dpp v29, v27 row_bcast:31 row_mask:0xf bank_mask:0xf
	s_and_b64 vcc, s[4:5], vcc
	v_cndmask_b32_e64 v28, v26, v28, s[4:5]
	v_cndmask_b32_e32 v26, 0, v29, vcc
	v_add_u32_e32 v29, v26, v27
	v_cmp_eq_u32_e32 vcc, v51, v0
	s_and_saveexec_b64 s[4:5], vcc
	s_cbranch_execz .LBB941_95
; %bb.94:
	v_lshlrev_b32_e32 v26, 3, v1
	ds_write_b32 v26, v29
	ds_write_b8 v26, v28 offset:4
.LBB941_95:
	s_or_b64 exec, exec, s[4:5]
	v_cmp_gt_u32_e32 vcc, 4, v0
	s_waitcnt lgkmcnt(0)
	s_barrier
	s_and_saveexec_b64 s[4:5], vcc
	s_cbranch_execz .LBB941_99
; %bb.96:
	v_lshlrev_b32_e32 v30, 3, v0
	ds_read_b64 v[26:27], v30
	v_and_b32_e32 v31, 3, v46
	v_cmp_ne_u32_e32 vcc, 0, v31
	s_waitcnt lgkmcnt(0)
	v_mov_b32_dpp v32, v26 row_shr:1 row_mask:0xf bank_mask:0xf
	v_mov_b32_dpp v34, v27 row_shr:1 row_mask:0xf bank_mask:0xf
	v_mov_b32_e32 v33, v27
	s_and_saveexec_b64 s[34:35], vcc
	s_cbranch_execz .LBB941_98
; %bb.97:
	v_and_b32_e32 v33, 1, v27
	v_and_b32_e32 v34, 1, v34
	v_cmp_eq_u32_e32 vcc, 1, v33
	v_mov_b32_e32 v33, 0
	v_cndmask_b32_e64 v34, v34, 1, vcc
	v_cmp_eq_u16_sdwa vcc, v27, v33 src0_sel:BYTE_0 src1_sel:DWORD
	v_cndmask_b32_e32 v32, 0, v32, vcc
	v_add_u32_e32 v26, v32, v26
	v_and_b32_e32 v32, 0xffff, v34
	s_movk_i32 s40, 0xff00
	v_and_or_b32 v33, v27, s40, v32
	v_mov_b32_e32 v27, v34
.LBB941_98:
	s_or_b64 exec, exec, s[34:35]
	v_mov_b32_dpp v33, v33 row_shr:2 row_mask:0xf bank_mask:0xf
	v_and_b32_e32 v34, 1, v27
	v_and_b32_e32 v33, 1, v33
	v_cmp_eq_u32_e32 vcc, 1, v34
	v_mov_b32_e32 v34, 0
	v_cndmask_b32_e64 v33, v33, 1, vcc
	v_cmp_eq_u16_sdwa s[34:35], v27, v34 src0_sel:BYTE_0 src1_sel:DWORD
	v_cmp_lt_u32_e32 vcc, 1, v31
	v_mov_b32_dpp v32, v26 row_shr:2 row_mask:0xf bank_mask:0xf
	v_cndmask_b32_e32 v27, v27, v33, vcc
	s_and_b64 vcc, vcc, s[34:35]
	v_cndmask_b32_e32 v31, 0, v32, vcc
	v_add_u32_e32 v26, v31, v26
	ds_write_b32 v30, v26
	ds_write_b8 v30, v27 offset:4
.LBB941_99:
	s_or_b64 exec, exec, s[4:5]
	v_cmp_gt_u32_e32 vcc, 64, v0
	v_cmp_lt_u32_e64 s[4:5], 63, v0
	v_mov_b32_e32 v42, 0
	v_mov_b32_e32 v43, 0
	s_waitcnt lgkmcnt(0)
	s_barrier
	s_and_saveexec_b64 s[34:35], s[4:5]
	s_cbranch_execz .LBB941_101
; %bb.100:
	v_lshl_add_u32 v26, v1, 3, -8
	ds_read_b32 v42, v26
	ds_read_u8 v43, v26 offset:4
	v_and_b32_e32 v27, 1, v28
	v_cmp_eq_u32_e64 s[4:5], 0, v28
	s_waitcnt lgkmcnt(0)
	v_cndmask_b32_e64 v26, 0, v42, s[4:5]
	v_cmp_eq_u32_e64 s[4:5], 1, v27
	v_add_u32_e32 v29, v26, v29
	v_cndmask_b32_e64 v28, v43, 1, s[4:5]
.LBB941_101:
	s_or_b64 exec, exec, s[34:35]
	v_add_u32_e32 v26, -1, v46
	v_and_b32_e32 v27, 64, v46
	v_cmp_lt_i32_e64 s[4:5], v26, v27
	v_cndmask_b32_e64 v26, v26, v46, s[4:5]
	v_lshlrev_b32_e32 v26, 2, v26
	s_waitcnt vmcnt(0)
	ds_bpermute_b32 v44, v26, v29
	ds_bpermute_b32 v45, v26, v28
	v_cmp_eq_u32_e64 s[34:35], 0, v46
	s_and_saveexec_b64 s[40:41], vcc
	s_cbranch_execz .LBB941_124
; %bb.102:
	v_mov_b32_e32 v29, 0
	ds_read_b64 v[26:27], v29 offset:24
	s_waitcnt lgkmcnt(0)
	v_readfirstlane_b32 s58, v27
	s_and_saveexec_b64 s[4:5], s[34:35]
	s_cbranch_execz .LBB941_104
; %bb.103:
	s_add_i32 s46, s51, 64
	s_mov_b32 s47, 0
	s_lshl_b64 s[56:57], s[46:47], 4
	s_add_u32 s56, s48, s56
	s_addc_u32 s57, s49, s57
	s_and_b32 s61, s58, 0xff000000
	s_mov_b32 s60, s47
	s_and_b32 s63, s58, 0xff0000
	s_mov_b32 s62, s47
	s_or_b64 s[60:61], s[62:63], s[60:61]
	s_and_b32 s63, s58, 0xff00
	s_or_b64 s[60:61], s[60:61], s[62:63]
	s_and_b32 s63, s58, 0xff
	s_or_b64 s[46:47], s[60:61], s[62:63]
	v_mov_b32_e32 v27, s47
	v_mov_b32_e32 v28, 1
	v_pk_mov_b32 v[30:31], s[56:57], s[56:57] op_sel:[0,1]
	;;#ASMSTART
	global_store_dwordx4 v[30:31], v[26:29] off	
s_waitcnt vmcnt(0)
	;;#ASMEND
.LBB941_104:
	s_or_b64 exec, exec, s[4:5]
	v_xad_u32 v34, v46, -1, s51
	v_add_u32_e32 v28, 64, v34
	v_lshlrev_b64 v[30:31], 4, v[28:29]
	v_mov_b32_e32 v27, s49
	v_add_co_u32_e32 v36, vcc, s48, v30
	v_addc_co_u32_e32 v37, vcc, v27, v31, vcc
	;;#ASMSTART
	global_load_dwordx4 v[30:33], v[36:37] off glc	
s_waitcnt vmcnt(0)
	;;#ASMEND
	v_and_b32_e32 v27, 0xff0000, v30
	v_or_b32_sdwa v27, v30, v27 dst_sel:DWORD dst_unused:UNUSED_PAD src0_sel:WORD_0 src1_sel:DWORD
	v_and_b32_e32 v28, 0xff000000, v30
	v_and_b32_e32 v30, 0xff, v31
	v_or3_b32 v31, 0, 0, v30
	v_or3_b32 v30, v27, v28, 0
	v_cmp_eq_u16_sdwa s[46:47], v32, v29 src0_sel:BYTE_0 src1_sel:DWORD
	s_and_saveexec_b64 s[4:5], s[46:47]
	s_cbranch_execz .LBB941_110
; %bb.105:
	s_mov_b32 s56, 1
	s_mov_b64 s[46:47], 0
	v_mov_b32_e32 v27, 0
.LBB941_106:                            ; =>This Loop Header: Depth=1
                                        ;     Child Loop BB941_107 Depth 2
	s_max_u32 s57, s56, 1
.LBB941_107:                            ;   Parent Loop BB941_106 Depth=1
                                        ; =>  This Inner Loop Header: Depth=2
	s_add_i32 s57, s57, -1
	s_cmp_eq_u32 s57, 0
	s_sleep 1
	s_cbranch_scc0 .LBB941_107
; %bb.108:                              ;   in Loop: Header=BB941_106 Depth=1
	s_cmp_lt_u32 s56, 32
	s_cselect_b64 s[60:61], -1, 0
	s_cmp_lg_u64 s[60:61], 0
	s_addc_u32 s56, s56, 0
	;;#ASMSTART
	global_load_dwordx4 v[30:33], v[36:37] off glc	
s_waitcnt vmcnt(0)
	;;#ASMEND
	v_cmp_ne_u16_sdwa s[60:61], v32, v27 src0_sel:BYTE_0 src1_sel:DWORD
	s_or_b64 s[46:47], s[60:61], s[46:47]
	s_andn2_b64 exec, exec, s[46:47]
	s_cbranch_execnz .LBB941_106
; %bb.109:
	s_or_b64 exec, exec, s[46:47]
	v_and_b32_e32 v31, 0xff, v31
.LBB941_110:
	s_or_b64 exec, exec, s[4:5]
	v_mov_b32_e32 v27, 2
	v_cmp_eq_u16_sdwa s[4:5], v32, v27 src0_sel:BYTE_0 src1_sel:DWORD
	v_lshlrev_b64 v[28:29], v46, -1
	v_and_b32_e32 v33, s5, v29
	v_or_b32_e32 v33, 0x80000000, v33
	v_and_b32_e32 v35, s4, v28
	v_ffbl_b32_e32 v33, v33
	v_and_b32_e32 v47, 63, v46
	v_add_u32_e32 v33, 32, v33
	v_ffbl_b32_e32 v35, v35
	v_cmp_ne_u32_e32 vcc, 63, v47
	v_min_u32_e32 v33, v35, v33
	v_addc_co_u32_e32 v35, vcc, 0, v46, vcc
	v_lshlrev_b32_e32 v48, 2, v35
	ds_bpermute_b32 v35, v48, v31
	ds_bpermute_b32 v36, v48, v30
	s_mov_b32 s46, 0
	v_and_b32_e32 v37, 1, v31
	s_mov_b32 s47, 1
	s_waitcnt lgkmcnt(1)
	v_and_b32_e32 v35, 1, v35
	v_cmp_eq_u32_e32 vcc, 1, v37
	v_cndmask_b32_e64 v35, v35, 1, vcc
	v_cmp_gt_u64_e32 vcc, s[46:47], v[30:31]
	v_cmp_lt_u32_e64 s[4:5], v47, v33
	s_and_b64 vcc, s[4:5], vcc
	v_and_b32_e32 v37, 0xffff, v35
	v_cndmask_b32_e64 v54, v31, v35, s[4:5]
	s_waitcnt lgkmcnt(0)
	v_cndmask_b32_e32 v35, 0, v36, vcc
	v_cmp_gt_u32_e32 vcc, 62, v47
	v_cndmask_b32_e64 v36, 0, 1, vcc
	v_lshlrev_b32_e32 v36, 1, v36
	v_cndmask_b32_e64 v31, v31, v37, s[4:5]
	v_add_lshl_u32 v49, v36, v46, 2
	ds_bpermute_b32 v36, v49, v31
	v_add_u32_e32 v30, v35, v30
	ds_bpermute_b32 v37, v49, v30
	v_and_b32_e32 v35, 1, v54
	v_cmp_eq_u32_e32 vcc, 1, v35
	s_waitcnt lgkmcnt(1)
	v_and_b32_e32 v36, 1, v36
	v_mov_b32_e32 v35, 0
	v_add_u32_e32 v53, 2, v47
	v_cndmask_b32_e64 v36, v36, 1, vcc
	v_cmp_eq_u16_sdwa vcc, v54, v35 src0_sel:BYTE_0 src1_sel:DWORD
	v_and_b32_e32 v55, 0xffff, v36
	s_waitcnt lgkmcnt(0)
	v_cndmask_b32_e32 v37, 0, v37, vcc
	v_cmp_gt_u32_e32 vcc, v53, v33
	v_cndmask_b32_e32 v36, v36, v54, vcc
	v_cndmask_b32_e64 v37, v37, 0, vcc
	v_cndmask_b32_e32 v31, v55, v31, vcc
	v_cmp_gt_u32_e32 vcc, 60, v47
	v_cndmask_b32_e64 v54, 0, 1, vcc
	v_lshlrev_b32_e32 v54, 2, v54
	v_add_lshl_u32 v54, v54, v46, 2
	ds_bpermute_b32 v56, v54, v31
	v_add_u32_e32 v30, v37, v30
	ds_bpermute_b32 v37, v54, v30
	v_and_b32_e32 v57, 1, v36
	v_cmp_eq_u32_e32 vcc, 1, v57
	s_waitcnt lgkmcnt(1)
	v_and_b32_e32 v56, 1, v56
	v_add_u32_e32 v55, 4, v47
	v_cndmask_b32_e64 v56, v56, 1, vcc
	v_cmp_eq_u16_sdwa vcc, v36, v35 src0_sel:BYTE_0 src1_sel:DWORD
	v_and_b32_e32 v57, 0xffff, v56
	s_waitcnt lgkmcnt(0)
	v_cndmask_b32_e32 v37, 0, v37, vcc
	v_cmp_gt_u32_e32 vcc, v55, v33
	v_cndmask_b32_e32 v36, v56, v36, vcc
	v_cndmask_b32_e64 v37, v37, 0, vcc
	v_cndmask_b32_e32 v31, v57, v31, vcc
	v_cmp_gt_u32_e32 vcc, 56, v47
	v_cndmask_b32_e64 v56, 0, 1, vcc
	v_lshlrev_b32_e32 v56, 3, v56
	v_add_lshl_u32 v56, v56, v46, 2
	ds_bpermute_b32 v58, v56, v31
	v_add_u32_e32 v30, v37, v30
	ds_bpermute_b32 v37, v56, v30
	v_and_b32_e32 v59, 1, v36
	v_cmp_eq_u32_e32 vcc, 1, v59
	s_waitcnt lgkmcnt(1)
	v_and_b32_e32 v58, 1, v58
	;; [unrolled: 21-line block ×4, first 2 shown]
	v_add_u32_e32 v62, 32, v47
	v_cndmask_b32_e64 v31, v31, 1, vcc
	v_cmp_eq_u16_sdwa vcc, v36, v35 src0_sel:BYTE_0 src1_sel:DWORD
	s_waitcnt lgkmcnt(0)
	v_cndmask_b32_e32 v37, 0, v37, vcc
	v_cmp_gt_u32_e32 vcc, v62, v33
	v_cndmask_b32_e64 v33, v37, 0, vcc
	v_cndmask_b32_e32 v31, v31, v36, vcc
	v_add_u32_e32 v30, v33, v30
	s_branch .LBB941_112
.LBB941_111:                            ;   in Loop: Header=BB941_112 Depth=1
	s_or_b64 exec, exec, s[4:5]
	v_cmp_eq_u16_sdwa s[4:5], v32, v27 src0_sel:BYTE_0 src1_sel:DWORD
	v_and_b32_e32 v33, s5, v29
	ds_bpermute_b32 v37, v48, v31
	v_or_b32_e32 v33, 0x80000000, v33
	v_and_b32_e32 v36, s4, v28
	v_ffbl_b32_e32 v33, v33
	v_add_u32_e32 v33, 32, v33
	v_ffbl_b32_e32 v36, v36
	v_min_u32_e32 v33, v36, v33
	ds_bpermute_b32 v36, v48, v30
	v_and_b32_e32 v63, 1, v31
	s_waitcnt lgkmcnt(1)
	v_and_b32_e32 v37, 1, v37
	v_cmp_eq_u32_e32 vcc, 1, v63
	v_cndmask_b32_e64 v37, v37, 1, vcc
	v_cmp_gt_u64_e32 vcc, s[46:47], v[30:31]
	v_and_b32_e32 v63, 0xffff, v37
	v_cmp_lt_u32_e64 s[4:5], v47, v33
	v_cndmask_b32_e64 v37, v31, v37, s[4:5]
	v_cndmask_b32_e64 v31, v31, v63, s[4:5]
	s_and_b64 vcc, s[4:5], vcc
	ds_bpermute_b32 v63, v49, v31
	s_waitcnt lgkmcnt(1)
	v_cndmask_b32_e32 v36, 0, v36, vcc
	v_add_u32_e32 v30, v36, v30
	ds_bpermute_b32 v36, v49, v30
	v_and_b32_e32 v64, 1, v37
	s_waitcnt lgkmcnt(1)
	v_and_b32_e32 v63, 1, v63
	v_cmp_eq_u32_e32 vcc, 1, v64
	v_cndmask_b32_e64 v63, v63, 1, vcc
	v_cmp_eq_u16_sdwa vcc, v37, v35 src0_sel:BYTE_0 src1_sel:DWORD
	v_and_b32_e32 v64, 0xffff, v63
	s_waitcnt lgkmcnt(0)
	v_cndmask_b32_e32 v36, 0, v36, vcc
	v_cmp_gt_u32_e32 vcc, v53, v33
	v_cndmask_b32_e32 v31, v64, v31, vcc
	v_cndmask_b32_e32 v37, v63, v37, vcc
	ds_bpermute_b32 v63, v54, v31
	v_cndmask_b32_e64 v36, v36, 0, vcc
	v_add_u32_e32 v30, v36, v30
	ds_bpermute_b32 v36, v54, v30
	v_and_b32_e32 v64, 1, v37
	s_waitcnt lgkmcnt(1)
	v_and_b32_e32 v63, 1, v63
	v_cmp_eq_u32_e32 vcc, 1, v64
	v_cndmask_b32_e64 v63, v63, 1, vcc
	v_cmp_eq_u16_sdwa vcc, v37, v35 src0_sel:BYTE_0 src1_sel:DWORD
	v_and_b32_e32 v64, 0xffff, v63
	s_waitcnt lgkmcnt(0)
	v_cndmask_b32_e32 v36, 0, v36, vcc
	v_cmp_gt_u32_e32 vcc, v55, v33
	v_cndmask_b32_e32 v31, v64, v31, vcc
	v_cndmask_b32_e32 v37, v63, v37, vcc
	ds_bpermute_b32 v63, v56, v31
	v_cndmask_b32_e64 v36, v36, 0, vcc
	v_add_u32_e32 v30, v36, v30
	ds_bpermute_b32 v36, v56, v30
	v_and_b32_e32 v64, 1, v37
	s_waitcnt lgkmcnt(1)
	v_and_b32_e32 v63, 1, v63
	v_cmp_eq_u32_e32 vcc, 1, v64
	v_cndmask_b32_e64 v63, v63, 1, vcc
	v_cmp_eq_u16_sdwa vcc, v37, v35 src0_sel:BYTE_0 src1_sel:DWORD
	v_and_b32_e32 v64, 0xffff, v63
	s_waitcnt lgkmcnt(0)
	v_cndmask_b32_e32 v36, 0, v36, vcc
	v_cmp_gt_u32_e32 vcc, v57, v33
	v_cndmask_b32_e32 v31, v64, v31, vcc
	v_cndmask_b32_e32 v37, v63, v37, vcc
	ds_bpermute_b32 v63, v58, v31
	v_cndmask_b32_e64 v36, v36, 0, vcc
	v_add_u32_e32 v30, v36, v30
	ds_bpermute_b32 v36, v58, v30
	v_and_b32_e32 v64, 1, v37
	s_waitcnt lgkmcnt(1)
	v_and_b32_e32 v63, 1, v63
	v_cmp_eq_u32_e32 vcc, 1, v64
	v_cndmask_b32_e64 v63, v63, 1, vcc
	v_cmp_eq_u16_sdwa vcc, v37, v35 src0_sel:BYTE_0 src1_sel:DWORD
	v_and_b32_e32 v64, 0xffff, v63
	s_waitcnt lgkmcnt(0)
	v_cndmask_b32_e32 v36, 0, v36, vcc
	v_cmp_gt_u32_e32 vcc, v59, v33
	v_cndmask_b32_e64 v36, v36, 0, vcc
	v_cndmask_b32_e32 v31, v64, v31, vcc
	ds_bpermute_b32 v31, v61, v31
	v_add_u32_e32 v30, v36, v30
	ds_bpermute_b32 v36, v61, v30
	v_cndmask_b32_e32 v37, v63, v37, vcc
	v_and_b32_e32 v63, 1, v37
	v_cmp_eq_u32_e32 vcc, 1, v63
	s_waitcnt lgkmcnt(1)
	v_cndmask_b32_e64 v31, v31, 1, vcc
	v_cmp_eq_u16_sdwa vcc, v37, v35 src0_sel:BYTE_0 src1_sel:DWORD
	s_waitcnt lgkmcnt(0)
	v_cndmask_b32_e32 v36, 0, v36, vcc
	v_cmp_gt_u32_e32 vcc, v62, v33
	v_cndmask_b32_e64 v33, v36, 0, vcc
	v_cndmask_b32_e32 v31, v31, v37, vcc
	v_add_u32_e32 v30, v33, v30
	v_cmp_eq_u16_sdwa vcc, v46, v35 src0_sel:BYTE_0 src1_sel:DWORD
	v_and_b32_e32 v33, 1, v46
	v_cndmask_b32_e32 v30, 0, v30, vcc
	v_and_b32_e32 v31, 1, v31
	v_cmp_eq_u32_e32 vcc, 1, v33
	v_subrev_u32_e32 v34, 64, v34
	v_add_u32_e32 v30, v30, v60
	v_cndmask_b32_e64 v31, v31, 1, vcc
.LBB941_112:                            ; =>This Loop Header: Depth=1
                                        ;     Child Loop BB941_115 Depth 2
                                        ;       Child Loop BB941_116 Depth 3
	v_cmp_ne_u16_sdwa s[4:5], v32, v27 src0_sel:BYTE_0 src1_sel:DWORD
	v_mov_b32_e32 v46, v31
	v_cndmask_b32_e64 v31, 0, 1, s[4:5]
	;;#ASMSTART
	;;#ASMEND
	v_cmp_ne_u32_e32 vcc, 0, v31
	s_cmp_lg_u64 vcc, exec
	v_mov_b32_e32 v60, v30
	s_cbranch_scc1 .LBB941_119
; %bb.113:                              ;   in Loop: Header=BB941_112 Depth=1
	v_lshlrev_b64 v[30:31], 4, v[34:35]
	v_mov_b32_e32 v32, s49
	v_add_co_u32_e32 v36, vcc, s48, v30
	v_addc_co_u32_e32 v37, vcc, v32, v31, vcc
	;;#ASMSTART
	global_load_dwordx4 v[30:33], v[36:37] off glc	
s_waitcnt vmcnt(0)
	;;#ASMEND
	v_and_b32_e32 v33, 0xff0000, v30
	v_or_b32_sdwa v33, v30, v33 dst_sel:DWORD dst_unused:UNUSED_PAD src0_sel:WORD_0 src1_sel:DWORD
	v_and_b32_e32 v30, 0xff000000, v30
	v_and_b32_e32 v31, 0xff, v31
	v_or3_b32 v31, 0, 0, v31
	v_or3_b32 v30, v33, v30, 0
	v_cmp_eq_u16_sdwa s[56:57], v32, v35 src0_sel:BYTE_0 src1_sel:DWORD
	s_and_saveexec_b64 s[4:5], s[56:57]
	s_cbranch_execz .LBB941_111
; %bb.114:                              ;   in Loop: Header=BB941_112 Depth=1
	s_mov_b32 s59, 1
	s_mov_b64 s[56:57], 0
.LBB941_115:                            ;   Parent Loop BB941_112 Depth=1
                                        ; =>  This Loop Header: Depth=2
                                        ;       Child Loop BB941_116 Depth 3
	s_max_u32 s60, s59, 1
.LBB941_116:                            ;   Parent Loop BB941_112 Depth=1
                                        ;     Parent Loop BB941_115 Depth=2
                                        ; =>    This Inner Loop Header: Depth=3
	s_add_i32 s60, s60, -1
	s_cmp_eq_u32 s60, 0
	s_sleep 1
	s_cbranch_scc0 .LBB941_116
; %bb.117:                              ;   in Loop: Header=BB941_115 Depth=2
	s_cmp_lt_u32 s59, 32
	s_cselect_b64 s[60:61], -1, 0
	s_cmp_lg_u64 s[60:61], 0
	s_addc_u32 s59, s59, 0
	;;#ASMSTART
	global_load_dwordx4 v[30:33], v[36:37] off glc	
s_waitcnt vmcnt(0)
	;;#ASMEND
	v_cmp_ne_u16_sdwa s[60:61], v32, v35 src0_sel:BYTE_0 src1_sel:DWORD
	s_or_b64 s[56:57], s[60:61], s[56:57]
	s_andn2_b64 exec, exec, s[56:57]
	s_cbranch_execnz .LBB941_115
; %bb.118:                              ;   in Loop: Header=BB941_112 Depth=1
	s_or_b64 exec, exec, s[56:57]
	v_and_b32_e32 v31, 0xff, v31
	s_branch .LBB941_111
.LBB941_119:                            ;   in Loop: Header=BB941_112 Depth=1
                                        ; implicit-def: $vgpr31
                                        ; implicit-def: $vgpr30
                                        ; implicit-def: $vgpr32
	s_cbranch_execz .LBB941_112
; %bb.120:
	s_and_saveexec_b64 s[4:5], s[34:35]
	s_cbranch_execz .LBB941_122
; %bb.121:
	s_and_b32 s46, s58, 0xff
	s_cmp_eq_u32 s46, 0
	s_cselect_b64 vcc, -1, 0
	s_bitcmp1_b32 s58, 0
	s_mov_b32 s47, 0
	s_cselect_b64 s[56:57], -1, 0
	s_add_i32 s46, s51, 64
	s_lshl_b64 s[46:47], s[46:47], 4
	v_cndmask_b32_e32 v27, 0, v60, vcc
	s_add_u32 s46, s48, s46
	v_add_u32_e32 v26, v27, v26
	v_and_b32_e32 v27, 1, v46
	s_addc_u32 s47, s49, s47
	v_mov_b32_e32 v29, 0
	v_cndmask_b32_e64 v27, v27, 1, s[56:57]
	v_mov_b32_e32 v28, 2
	v_pk_mov_b32 v[30:31], s[46:47], s[46:47] op_sel:[0,1]
	;;#ASMSTART
	global_store_dwordx4 v[30:31], v[26:29] off	
s_waitcnt vmcnt(0)
	;;#ASMEND
.LBB941_122:
	s_or_b64 exec, exec, s[4:5]
	s_and_b64 exec, exec, s[0:1]
	s_cbranch_execz .LBB941_124
; %bb.123:
	v_mov_b32_e32 v26, 0
	ds_write_b32 v26, v60 offset:24
	ds_write_b8 v26, v46 offset:28
.LBB941_124:
	s_or_b64 exec, exec, s[40:41]
	s_mov_b32 s4, 0
	v_mov_b32_e32 v28, 0
	s_mov_b32 s5, 1
	s_waitcnt lgkmcnt(0)
	v_cndmask_b32_e64 v26, v45, v43, s[34:35]
	v_cndmask_b32_e64 v27, v44, v42, s[34:35]
	s_barrier
	ds_read_b32 v29, v28 offset:24
	v_cmp_gt_u64_e32 vcc, s[4:5], v[38:39]
	v_and_b32_e32 v30, 1, v39
	v_cndmask_b32_e32 v27, 0, v27, vcc
	v_and_b32_e32 v26, 1, v26
	v_cmp_eq_u32_e32 vcc, 1, v30
	v_cndmask_b32_e64 v26, v26, 1, vcc
	v_cndmask_b32_e64 v26, v26, v39, s[0:1]
	v_cmp_eq_u16_sdwa vcc, v26, v28 src0_sel:BYTE_0 src1_sel:DWORD
	v_cndmask_b32_e64 v27, v27, 0, s[0:1]
	s_waitcnt lgkmcnt(0)
	v_cndmask_b32_e32 v26, 0, v29, vcc
	v_add3_u32 v26, v27, v38, v26
	v_cndmask_b32_e64 v27, 0, v26, s[6:7]
	v_add_u32_e32 v27, v27, v2
	v_cndmask_b32_e64 v28, 0, v27, s[8:9]
	v_add_u32_e32 v42, v28, v4
	;; [unrolled: 2-line block ×13, first 2 shown]
	s_branch .LBB941_141
.LBB941_125:
                                        ; implicit-def: $vgpr49
                                        ; implicit-def: $vgpr47
                                        ; implicit-def: $vgpr45
                                        ; implicit-def: $vgpr43
                                        ; implicit-def: $vgpr34_vgpr35_vgpr36_vgpr37
                                        ; implicit-def: $vgpr30_vgpr31_vgpr32_vgpr33
                                        ; implicit-def: $vgpr26_vgpr27_vgpr28_vgpr29
	s_cbranch_execz .LBB941_141
; %bb.126:
	s_cmp_lg_u64 s[54:55], 0
	s_cselect_b32 s9, s43, 0
	s_cselect_b32 s8, s42, 0
	s_cmp_lg_u64 s[8:9], 0
	s_cselect_b64 s[6:7], -1, 0
	s_mov_b32 s4, 0
	s_and_b64 s[10:11], s[0:1], s[6:7]
	s_and_saveexec_b64 s[6:7], s[10:11]
	s_cbranch_execz .LBB941_128
; %bb.127:
	v_mov_b32_e32 v26, 0
	global_load_dword v28, v26, s[8:9]
	global_load_ubyte v29, v26, s[8:9] offset:4
	s_mov_b32 s5, 1
	v_and_b32_e32 v27, 1, v39
	v_cmp_gt_u64_e32 vcc, s[4:5], v[38:39]
	s_waitcnt vmcnt(0)
	v_cndmask_b32_e32 v28, 0, v28, vcc
	v_and_b32_e32 v29, 1, v29
	v_cmp_eq_u64_e32 vcc, 0, v[26:27]
	v_add_u32_e32 v38, v28, v38
	v_cndmask_b32_e32 v39, 1, v29, vcc
.LBB941_128:
	s_or_b64 exec, exec, s[6:7]
	s_mov_b32 s5, 1
	v_cmp_gt_u64_e32 vcc, s[4:5], v[2:3]
	v_cndmask_b32_e32 v26, 0, v38, vcc
	v_add_u32_e32 v27, v26, v2
	v_cmp_gt_u64_e64 s[6:7], s[4:5], v[4:5]
	v_cndmask_b32_e64 v26, 0, v27, s[6:7]
	v_add_u32_e32 v42, v26, v4
	v_cmp_gt_u64_e64 s[8:9], s[4:5], v[6:7]
	v_cndmask_b32_e64 v26, 0, v42, s[8:9]
	;; [unrolled: 3-line block ×5, first 2 shown]
	s_waitcnt vmcnt(0)
	v_add_u32_e32 v44, v26, v12
	v_cmp_gt_u64_e64 s[16:17], s[4:5], v[14:15]
	v_cndmask_b32_e64 v26, 0, v44, s[16:17]
	v_add_u32_e32 v45, v26, v14
	v_cmp_gt_u64_e64 s[18:19], s[4:5], v[16:17]
	v_mov_b32_e32 v28, 0
	v_cndmask_b32_e64 v26, 0, v45, s[18:19]
	v_or3_b32 v7, v23, v15, v7
	v_add_u32_e32 v34, v26, v16
	v_cmp_gt_u64_e64 s[20:21], s[4:5], v[18:19]
	v_or3_b32 v9, v25, v17, v9
	v_and_b32_e32 v55, 1, v7
	v_mov_b32_e32 v54, v28
	v_cndmask_b32_e64 v26, 0, v34, s[20:21]
	v_or3_b32 v3, v19, v11, v3
	v_and_b32_e32 v37, 1, v9
	v_mov_b32_e32 v36, v28
	v_cmp_ne_u64_e64 s[30:31], 0, v[54:55]
	v_add_u32_e32 v35, v26, v18
	v_cmp_gt_u64_e64 s[22:23], s[4:5], v[20:21]
	v_or3_b32 v5, v21, v13, v5
	v_and_b32_e32 v29, 1, v3
	v_cndmask_b32_e64 v3, 0, 1, s[30:31]
	v_cmp_ne_u64_e64 s[30:31], 0, v[36:37]
	v_cndmask_b32_e64 v26, 0, v35, s[22:23]
	v_and_b32_e32 v33, 1, v5
	v_mov_b32_e32 v32, v28
	v_cndmask_b32_e64 v5, 0, 1, s[30:31]
	v_add_u32_e32 v46, v26, v20
	v_cmp_gt_u64_e64 s[24:25], s[4:5], v[22:23]
	v_lshlrev_b16_e32 v3, 2, v3
	v_lshlrev_b16_e32 v5, 3, v5
	v_cmp_ne_u64_e64 s[30:31], 0, v[32:33]
	v_cndmask_b32_e64 v26, 0, v46, s[24:25]
	v_or_b32_e32 v3, v5, v3
	v_cndmask_b32_e64 v5, 0, 1, s[30:31]
	v_cmp_ne_u64_e64 s[30:31], 0, v[28:29]
	v_add_u32_e32 v47, v26, v22
	v_cmp_gt_u64_e64 s[26:27], s[4:5], v[24:25]
	v_lshlrev_b16_e32 v5, 1, v5
	v_cndmask_b32_e64 v7, 0, 1, s[30:31]
	v_cndmask_b32_e64 v26, 0, v47, s[26:27]
	v_or_b32_e32 v5, v7, v5
	v_add_u32_e32 v48, v26, v24
	v_cmp_gt_u64_e64 s[28:29], s[4:5], v[40:41]
	v_and_b32_e32 v5, 3, v5
	v_cndmask_b32_e64 v26, 0, v48, s[28:29]
	v_or_b32_e32 v3, v5, v3
	v_add_u32_e32 v49, v26, v40
	v_and_b32_e32 v26, 1, v41
	v_and_b32_e32 v3, 15, v3
	v_cmp_eq_u32_e64 s[4:5], 1, v26
	v_cmp_ne_u16_e64 s[30:31], 0, v3
	s_or_b64 s[4:5], s[4:5], s[30:31]
	v_cndmask_b32_e64 v5, v39, 1, s[4:5]
	v_mbcnt_hi_u32_b32 v3, -1, v52
	v_mov_b32_dpp v9, v49 row_shr:1 row_mask:0xf bank_mask:0xf
	v_mov_b32_dpp v11, v5 row_shr:1 row_mask:0xf bank_mask:0xf
	v_cmp_eq_u32_e64 s[4:5], 0, v5
	v_and_b32_e32 v13, 1, v5
	v_and_b32_e32 v7, 15, v3
	v_cndmask_b32_e64 v9, 0, v9, s[4:5]
	v_and_b32_e32 v11, 1, v11
	v_cmp_eq_u32_e64 s[4:5], 1, v13
	v_cndmask_b32_e64 v11, v11, 1, s[4:5]
	v_cmp_eq_u32_e64 s[4:5], 0, v7
	v_cndmask_b32_e64 v5, v11, v5, s[4:5]
	v_and_b32_e32 v15, 1, v5
	v_cmp_eq_u32_e64 s[30:31], 1, v15
	v_mov_b32_dpp v13, v5 row_shr:2 row_mask:0xf bank_mask:0xf
	v_and_b32_e32 v13, 1, v13
	v_cndmask_b32_e64 v13, v13, 1, s[30:31]
	v_cmp_lt_u32_e64 s[30:31], 1, v7
	v_cndmask_b32_e64 v9, v9, 0, s[4:5]
	v_cmp_eq_u32_e64 s[4:5], 0, v5
	v_cndmask_b32_e64 v5, v5, v13, s[30:31]
	v_add_u32_e32 v9, v49, v9
	v_and_b32_e32 v15, 1, v5
	v_mov_b32_dpp v13, v5 row_shr:4 row_mask:0xf bank_mask:0xf
	v_mov_b32_dpp v11, v9 row_shr:2 row_mask:0xf bank_mask:0xf
	s_and_b64 s[4:5], s[30:31], s[4:5]
	v_and_b32_e32 v13, 1, v13
	v_cmp_eq_u32_e64 s[30:31], 1, v15
	v_cndmask_b32_e64 v11, 0, v11, s[4:5]
	v_cndmask_b32_e64 v13, v13, 1, s[30:31]
	v_cmp_lt_u32_e64 s[30:31], 3, v7
	v_add_u32_e32 v9, v9, v11
	v_cmp_eq_u32_e64 s[4:5], 0, v5
	v_cndmask_b32_e64 v5, v5, v13, s[30:31]
	v_mov_b32_dpp v11, v9 row_shr:4 row_mask:0xf bank_mask:0xf
	s_and_b64 s[4:5], s[30:31], s[4:5]
	v_mov_b32_dpp v13, v5 row_shr:8 row_mask:0xf bank_mask:0xf
	v_and_b32_e32 v15, 1, v5
	v_cndmask_b32_e64 v11, 0, v11, s[4:5]
	v_and_b32_e32 v13, 1, v13
	v_cmp_eq_u32_e64 s[30:31], 1, v15
	v_add_u32_e32 v9, v9, v11
	v_cmp_eq_u32_e64 s[4:5], 0, v5
	v_cndmask_b32_e64 v13, v13, 1, s[30:31]
	v_cmp_lt_u32_e64 s[30:31], 7, v7
	v_mov_b32_dpp v11, v9 row_shr:8 row_mask:0xf bank_mask:0xf
	s_and_b64 s[4:5], s[30:31], s[4:5]
	v_cndmask_b32_e64 v7, 0, v11, s[4:5]
	v_cndmask_b32_e64 v5, v5, v13, s[30:31]
	v_add_u32_e32 v7, v9, v7
	v_cmp_eq_u32_e64 s[4:5], 0, v5
	v_mov_b32_dpp v11, v5 row_bcast:15 row_mask:0xf bank_mask:0xf
	v_mov_b32_dpp v9, v7 row_bcast:15 row_mask:0xf bank_mask:0xf
	v_and_b32_e32 v17, 1, v5
	v_and_b32_e32 v15, 16, v3
	v_cndmask_b32_e64 v9, 0, v9, s[4:5]
	v_and_b32_e32 v11, 1, v11
	v_cmp_eq_u32_e64 s[4:5], 1, v17
	v_bfe_i32 v13, v3, 4, 1
	v_cndmask_b32_e64 v11, v11, 1, s[4:5]
	v_cmp_eq_u32_e64 s[4:5], 0, v15
	v_and_b32_e32 v9, v13, v9
	v_cndmask_b32_e64 v5, v11, v5, s[4:5]
	v_add_u32_e32 v9, v7, v9
	v_and_b32_e32 v13, 1, v5
	v_mov_b32_dpp v7, v5 row_bcast:31 row_mask:0xf bank_mask:0xf
	v_and_b32_e32 v7, 1, v7
	v_cmp_eq_u32_e64 s[30:31], 1, v13
	v_cmp_eq_u32_e64 s[4:5], 0, v5
	v_cndmask_b32_e64 v7, v7, 1, s[30:31]
	v_cmp_lt_u32_e64 s[30:31], 31, v3
	v_mov_b32_dpp v11, v9 row_bcast:31 row_mask:0xf bank_mask:0xf
	s_and_b64 s[4:5], s[30:31], s[4:5]
	v_cndmask_b32_e64 v7, v5, v7, s[30:31]
	v_cndmask_b32_e64 v5, 0, v11, s[4:5]
	v_add_u32_e32 v5, v9, v5
	v_cmp_eq_u32_e64 s[4:5], v51, v0
	s_and_saveexec_b64 s[30:31], s[4:5]
	s_cbranch_execz .LBB941_130
; %bb.129:
	v_lshlrev_b32_e32 v9, 3, v1
	ds_write_b32 v9, v5
	ds_write_b8 v9, v7 offset:4
.LBB941_130:
	s_or_b64 exec, exec, s[30:31]
	v_cmp_gt_u32_e64 s[4:5], 4, v0
	s_waitcnt lgkmcnt(0)
	s_barrier
	s_and_saveexec_b64 s[30:31], s[4:5]
	s_cbranch_execz .LBB941_134
; %bb.131:
	v_lshlrev_b32_e32 v9, 3, v0
	ds_read_b64 v[28:29], v9
	v_and_b32_e32 v11, 3, v3
	v_cmp_ne_u32_e64 s[4:5], 0, v11
	s_waitcnt lgkmcnt(0)
	v_mov_b32_dpp v13, v28 row_shr:1 row_mask:0xf bank_mask:0xf
	v_mov_b32_dpp v17, v29 row_shr:1 row_mask:0xf bank_mask:0xf
	v_mov_b32_e32 v15, v29
	s_and_saveexec_b64 s[34:35], s[4:5]
	s_cbranch_execz .LBB941_133
; %bb.132:
	v_and_b32_e32 v15, 1, v29
	v_and_b32_e32 v17, 1, v17
	v_cmp_eq_u32_e64 s[4:5], 1, v15
	v_mov_b32_e32 v15, 0
	v_cndmask_b32_e64 v17, v17, 1, s[4:5]
	v_cmp_eq_u16_sdwa s[4:5], v29, v15 src0_sel:BYTE_0 src1_sel:DWORD
	v_cndmask_b32_e64 v13, 0, v13, s[4:5]
	v_add_u32_e32 v28, v13, v28
	v_and_b32_e32 v13, 0xffff, v17
	s_movk_i32 s4, 0xff00
	v_and_or_b32 v15, v29, s4, v13
	v_mov_b32_e32 v29, v17
.LBB941_133:
	s_or_b64 exec, exec, s[34:35]
	v_mov_b32_dpp v15, v15 row_shr:2 row_mask:0xf bank_mask:0xf
	v_and_b32_e32 v17, 1, v29
	v_and_b32_e32 v15, 1, v15
	v_cmp_eq_u32_e64 s[4:5], 1, v17
	v_mov_b32_e32 v17, 0
	v_cndmask_b32_e64 v15, v15, 1, s[4:5]
	v_cmp_eq_u16_sdwa s[34:35], v29, v17 src0_sel:BYTE_0 src1_sel:DWORD
	v_cmp_lt_u32_e64 s[4:5], 1, v11
	v_mov_b32_dpp v13, v28 row_shr:2 row_mask:0xf bank_mask:0xf
	v_cndmask_b32_e64 v11, v29, v15, s[4:5]
	s_and_b64 s[4:5], s[4:5], s[34:35]
	v_cndmask_b32_e64 v13, 0, v13, s[4:5]
	v_add_u32_e32 v13, v13, v28
	ds_write_b32 v9, v13
	ds_write_b8 v9, v11 offset:4
.LBB941_134:
	s_or_b64 exec, exec, s[30:31]
	v_cmp_lt_u32_e64 s[4:5], 63, v0
	v_mov_b32_e32 v9, 0
	s_waitcnt lgkmcnt(0)
	s_barrier
	s_and_saveexec_b64 s[30:31], s[4:5]
	s_cbranch_execz .LBB941_136
; %bb.135:
	v_lshl_add_u32 v1, v1, 3, -8
	ds_read_b32 v9, v1
	v_cmp_eq_u32_e64 s[4:5], 0, v7
	s_waitcnt lgkmcnt(0)
	v_cndmask_b32_e64 v1, 0, v9, s[4:5]
	v_add_u32_e32 v5, v1, v5
.LBB941_136:
	s_or_b64 exec, exec, s[30:31]
	v_add_u32_e32 v1, -1, v3
	v_and_b32_e32 v7, 64, v3
	v_cmp_lt_i32_e64 s[4:5], v1, v7
	v_cndmask_b32_e64 v1, v1, v3, s[4:5]
	v_lshlrev_b32_e32 v1, 2, v1
	ds_bpermute_b32 v1, v1, v5
	s_and_saveexec_b64 s[30:31], s[36:37]
	s_cbranch_execz .LBB941_138
; %bb.137:
	v_and_b32_e32 v27, 0xff, v39
	v_mov_b32_e32 v26, 0
	v_cmp_eq_u32_e64 s[4:5], 0, v3
	s_waitcnt lgkmcnt(0)
	v_cndmask_b32_e64 v1, v1, v9, s[4:5]
	v_cmp_eq_u64_e64 s[4:5], 0, v[26:27]
	v_cndmask_b32_e64 v1, 0, v1, s[4:5]
	v_add_u32_e32 v38, v1, v38
	v_cndmask_b32_e32 v1, 0, v38, vcc
	v_add_u32_e32 v27, v1, v2
	v_cndmask_b32_e64 v1, 0, v27, s[6:7]
	v_add_u32_e32 v42, v1, v4
	v_cndmask_b32_e64 v1, 0, v42, s[8:9]
	;; [unrolled: 2-line block ×12, first 2 shown]
	v_add_u32_e32 v49, v1, v40
	;;#ASMSTART
	;;#ASMEND
.LBB941_138:
	s_or_b64 exec, exec, s[30:31]
	s_and_saveexec_b64 s[4:5], s[0:1]
	s_cbranch_execz .LBB941_140
; %bb.139:
	v_mov_b32_e32 v5, 0
	ds_read_b32 v2, v5 offset:24
	ds_read_u8 v3, v5 offset:28
	s_add_u32 s0, s48, 0x400
	s_addc_u32 s1, s49, 0
	v_mov_b32_e32 v4, 2
	v_pk_mov_b32 v[6:7], s[0:1], s[0:1] op_sel:[0,1]
	s_waitcnt lgkmcnt(0)
	;;#ASMSTART
	global_store_dwordx4 v[6:7], v[2:5] off	
s_waitcnt vmcnt(0)
	;;#ASMEND
.LBB941_140:
	s_or_b64 exec, exec, s[4:5]
	v_mov_b32_e32 v26, v38
.LBB941_141:
	s_add_u32 s0, s38, s52
	s_addc_u32 s1, s39, s53
	s_add_u32 s4, s0, s44
	s_waitcnt lgkmcnt(0)
	v_mul_u32_u24_e32 v1, 14, v0
	s_addc_u32 s5, s1, s45
	s_and_b64 vcc, exec, s[2:3]
	v_lshlrev_b32_e32 v2, 2, v1
	s_cbranch_vccz .LBB941_169
; %bb.142:
	s_movk_i32 s0, 0xffcc
	v_mad_i32_i24 v3, v0, s0, v2
	s_barrier
	ds_write2_b64 v2, v[26:27], v[42:43] offset1:1
	s_waitcnt vmcnt(0)
	ds_write2_b64 v2, v[30:31], v[44:45] offset0:2 offset1:3
	ds_write2_b64 v2, v[34:35], v[46:47] offset0:4 offset1:5
	ds_write_b64 v2, v[48:49] offset:48
	s_waitcnt lgkmcnt(0)
	s_barrier
	ds_read2st64_b32 v[16:17], v3 offset0:4 offset1:8
	ds_read2st64_b32 v[14:15], v3 offset0:12 offset1:16
	;; [unrolled: 1-line block ×6, first 2 shown]
	ds_read_b32 v3, v3 offset:13312
	v_mov_b32_e32 v7, s5
	v_add_co_u32_e32 v6, vcc, s4, v50
	s_add_i32 s33, s33, s50
	v_addc_co_u32_e32 v7, vcc, 0, v7, vcc
	v_mov_b32_e32 v1, 0
	v_cmp_gt_u32_e32 vcc, s33, v0
	s_and_saveexec_b64 s[0:1], vcc
	s_cbranch_execz .LBB941_144
; %bb.143:
	v_mul_i32_i24_e32 v18, 0xffffffcc, v0
	v_add_u32_e32 v18, v2, v18
	ds_read_b32 v18, v18
	s_waitcnt lgkmcnt(0)
	flat_store_dword v[6:7], v18
.LBB941_144:
	s_or_b64 exec, exec, s[0:1]
	v_or_b32_e32 v18, 0x100, v0
	v_cmp_gt_u32_e32 vcc, s33, v18
	s_and_saveexec_b64 s[0:1], vcc
	s_cbranch_execz .LBB941_146
; %bb.145:
	s_waitcnt lgkmcnt(0)
	flat_store_dword v[6:7], v16 offset:1024
.LBB941_146:
	s_or_b64 exec, exec, s[0:1]
	s_waitcnt lgkmcnt(0)
	v_or_b32_e32 v16, 0x200, v0
	v_cmp_gt_u32_e32 vcc, s33, v16
	s_and_saveexec_b64 s[0:1], vcc
	s_cbranch_execz .LBB941_148
; %bb.147:
	flat_store_dword v[6:7], v17 offset:2048
.LBB941_148:
	s_or_b64 exec, exec, s[0:1]
	v_or_b32_e32 v16, 0x300, v0
	v_cmp_gt_u32_e32 vcc, s33, v16
	s_and_saveexec_b64 s[0:1], vcc
	s_cbranch_execz .LBB941_150
; %bb.149:
	flat_store_dword v[6:7], v14 offset:3072
.LBB941_150:
	s_or_b64 exec, exec, s[0:1]
	v_or_b32_e32 v14, 0x400, v0
	v_cmp_gt_u32_e32 vcc, s33, v14
	s_and_saveexec_b64 s[0:1], vcc
	s_cbranch_execz .LBB941_152
; %bb.151:
	v_add_co_u32_e32 v16, vcc, 0x1000, v6
	v_addc_co_u32_e32 v17, vcc, 0, v7, vcc
	flat_store_dword v[16:17], v15
.LBB941_152:
	s_or_b64 exec, exec, s[0:1]
	v_or_b32_e32 v14, 0x500, v0
	v_cmp_gt_u32_e32 vcc, s33, v14
	s_and_saveexec_b64 s[0:1], vcc
	s_cbranch_execz .LBB941_154
; %bb.153:
	v_add_co_u32_e32 v14, vcc, 0x1000, v6
	v_addc_co_u32_e32 v15, vcc, 0, v7, vcc
	flat_store_dword v[14:15], v12 offset:1024
.LBB941_154:
	s_or_b64 exec, exec, s[0:1]
	v_or_b32_e32 v12, 0x600, v0
	v_cmp_gt_u32_e32 vcc, s33, v12
	s_and_saveexec_b64 s[0:1], vcc
	s_cbranch_execz .LBB941_156
; %bb.155:
	v_add_co_u32_e32 v14, vcc, 0x1000, v6
	v_addc_co_u32_e32 v15, vcc, 0, v7, vcc
	flat_store_dword v[14:15], v13 offset:2048
.LBB941_156:
	s_or_b64 exec, exec, s[0:1]
	v_or_b32_e32 v12, 0x700, v0
	v_cmp_gt_u32_e32 vcc, s33, v12
	s_and_saveexec_b64 s[0:1], vcc
	s_cbranch_execz .LBB941_158
; %bb.157:
	v_add_co_u32_e32 v12, vcc, 0x1000, v6
	v_addc_co_u32_e32 v13, vcc, 0, v7, vcc
	flat_store_dword v[12:13], v10 offset:3072
.LBB941_158:
	s_or_b64 exec, exec, s[0:1]
	v_or_b32_e32 v10, 0x800, v0
	v_cmp_gt_u32_e32 vcc, s33, v10
	s_and_saveexec_b64 s[0:1], vcc
	s_cbranch_execz .LBB941_160
; %bb.159:
	v_add_co_u32_e32 v12, vcc, 0x2000, v6
	v_addc_co_u32_e32 v13, vcc, 0, v7, vcc
	flat_store_dword v[12:13], v11
.LBB941_160:
	s_or_b64 exec, exec, s[0:1]
	v_or_b32_e32 v10, 0x900, v0
	v_cmp_gt_u32_e32 vcc, s33, v10
	s_and_saveexec_b64 s[0:1], vcc
	s_cbranch_execz .LBB941_162
; %bb.161:
	v_add_co_u32_e32 v10, vcc, 0x2000, v6
	v_addc_co_u32_e32 v11, vcc, 0, v7, vcc
	flat_store_dword v[10:11], v8 offset:1024
.LBB941_162:
	s_or_b64 exec, exec, s[0:1]
	v_or_b32_e32 v8, 0xa00, v0
	v_cmp_gt_u32_e32 vcc, s33, v8
	s_and_saveexec_b64 s[0:1], vcc
	s_cbranch_execz .LBB941_164
; %bb.163:
	v_add_co_u32_e32 v10, vcc, 0x2000, v6
	v_addc_co_u32_e32 v11, vcc, 0, v7, vcc
	flat_store_dword v[10:11], v9 offset:2048
.LBB941_164:
	;; [unrolled: 10-line block ×3, first 2 shown]
	s_or_b64 exec, exec, s[0:1]
	v_or_b32_e32 v4, 0xc00, v0
	v_cmp_gt_u32_e32 vcc, s33, v4
	s_and_saveexec_b64 s[0:1], vcc
	s_cbranch_execz .LBB941_168
; %bb.167:
	v_add_co_u32_e32 v6, vcc, 0x3000, v6
	v_addc_co_u32_e32 v7, vcc, 0, v7, vcc
	flat_store_dword v[6:7], v5
.LBB941_168:
	s_or_b64 exec, exec, s[0:1]
	v_or_b32_e32 v4, 0xd00, v0
	v_cmp_gt_u32_e64 s[0:1], s33, v4
	s_branch .LBB941_171
.LBB941_169:
	s_mov_b64 s[0:1], 0
                                        ; implicit-def: $vgpr3
	s_cbranch_execz .LBB941_171
; %bb.170:
	s_movk_i32 s2, 0xffcc
	s_waitcnt lgkmcnt(0)
	s_barrier
	ds_write2_b64 v2, v[26:27], v[42:43] offset1:1
	s_waitcnt vmcnt(0)
	ds_write2_b64 v2, v[30:31], v[44:45] offset0:2 offset1:3
	ds_write2_b64 v2, v[34:35], v[46:47] offset0:4 offset1:5
	ds_write_b64 v2, v[48:49] offset:48
	v_mad_i32_i24 v2, v0, s2, v2
	v_mov_b32_e32 v17, s5
	v_add_co_u32_e32 v16, vcc, s4, v50
	s_waitcnt lgkmcnt(0)
	s_barrier
	ds_read2st64_b32 v[4:5], v2 offset1:4
	ds_read2st64_b32 v[6:7], v2 offset0:8 offset1:12
	ds_read2st64_b32 v[8:9], v2 offset0:16 offset1:20
	;; [unrolled: 1-line block ×6, first 2 shown]
	v_addc_co_u32_e32 v17, vcc, 0, v17, vcc
	s_movk_i32 s2, 0x1000
	s_waitcnt lgkmcnt(6)
	flat_store_dword v[16:17], v4
	flat_store_dword v[16:17], v5 offset:1024
	s_waitcnt lgkmcnt(0)
	flat_store_dword v[16:17], v6 offset:2048
	flat_store_dword v[16:17], v7 offset:3072
	v_add_co_u32_e32 v4, vcc, s2, v16
	v_addc_co_u32_e32 v5, vcc, 0, v17, vcc
	flat_store_dword v[4:5], v8
	flat_store_dword v[4:5], v9 offset:1024
	flat_store_dword v[4:5], v10 offset:2048
	;; [unrolled: 1-line block ×3, first 2 shown]
	v_add_co_u32_e32 v4, vcc, 0x2000, v16
	v_addc_co_u32_e32 v5, vcc, 0, v17, vcc
	flat_store_dword v[4:5], v12
	flat_store_dword v[4:5], v13 offset:1024
	flat_store_dword v[4:5], v14 offset:2048
	;; [unrolled: 1-line block ×3, first 2 shown]
	v_add_co_u32_e32 v4, vcc, 0x3000, v16
	v_mov_b32_e32 v1, 0
	v_addc_co_u32_e32 v5, vcc, 0, v17, vcc
	s_or_b64 s[0:1], s[0:1], exec
	flat_store_dword v[4:5], v2
.LBB941_171:
	s_and_saveexec_b64 s[2:3], s[0:1]
	s_cbranch_execnz .LBB941_173
; %bb.172:
	s_endpgm
.LBB941_173:
	v_lshlrev_b64 v[0:1], 2, v[0:1]
	v_mov_b32_e32 v2, s5
	v_add_co_u32_e32 v0, vcc, s4, v0
	v_addc_co_u32_e32 v1, vcc, v2, v1, vcc
	v_add_co_u32_e32 v0, vcc, 0x3000, v0
	v_addc_co_u32_e32 v1, vcc, 0, v1, vcc
	flat_store_dword v[0:1], v3 offset:1024
	s_endpgm
.LBB941_174:
	global_load_dword v12, v13, s[56:57]
	s_waitcnt vmcnt(0)
	v_sub_u32_e32 v12, 0, v12
	s_or_b64 exec, exec, s[4:5]
                                        ; implicit-def: $vgpr14
	s_and_saveexec_b64 s[4:5], s[8:9]
	s_cbranch_execz .LBB941_41
.LBB941_175:
	global_load_dword v14, v13, s[56:57] offset:1024
	s_waitcnt vmcnt(0)
	v_sub_u32_e32 v14, 0, v14
	s_or_b64 exec, exec, s[4:5]
                                        ; implicit-def: $vgpr15
	s_and_saveexec_b64 s[4:5], s[10:11]
	s_cbranch_execz .LBB941_42
.LBB941_176:
	global_load_dword v15, v13, s[56:57] offset:2048
	s_waitcnt vmcnt(0)
	v_sub_u32_e32 v15, 0, v15
	s_or_b64 exec, exec, s[4:5]
                                        ; implicit-def: $vgpr16
	s_and_saveexec_b64 s[4:5], s[12:13]
	s_cbranch_execz .LBB941_43
.LBB941_177:
	global_load_dword v16, v13, s[56:57] offset:3072
	s_waitcnt vmcnt(0)
	v_sub_u32_e32 v16, 0, v16
	s_or_b64 exec, exec, s[4:5]
                                        ; implicit-def: $vgpr17
	s_and_saveexec_b64 s[4:5], s[14:15]
	s_cbranch_execz .LBB941_44
.LBB941_178:
	v_lshlrev_b32_e32 v2, 2, v2
	global_load_dword v2, v2, s[56:57]
	s_waitcnt vmcnt(0)
	v_sub_u32_e32 v17, 0, v2
	s_or_b64 exec, exec, s[4:5]
                                        ; implicit-def: $vgpr2
	s_and_saveexec_b64 s[4:5], s[16:17]
	s_cbranch_execz .LBB941_45
.LBB941_179:
	v_lshlrev_b32_e32 v2, 2, v3
	global_load_dword v2, v2, s[56:57]
	s_waitcnt vmcnt(0)
	v_sub_u32_e32 v2, 0, v2
	s_or_b64 exec, exec, s[4:5]
                                        ; implicit-def: $vgpr3
	s_and_saveexec_b64 s[4:5], s[18:19]
	s_cbranch_execz .LBB941_46
.LBB941_180:
	v_lshlrev_b32_e32 v3, 2, v4
	global_load_dword v3, v3, s[56:57]
	s_waitcnt vmcnt(0)
	v_sub_u32_e32 v3, 0, v3
	s_or_b64 exec, exec, s[4:5]
                                        ; implicit-def: $vgpr4
	s_and_saveexec_b64 s[4:5], s[20:21]
	s_cbranch_execz .LBB941_47
.LBB941_181:
	v_lshlrev_b32_e32 v4, 2, v5
	global_load_dword v4, v4, s[56:57]
	s_waitcnt vmcnt(0)
	v_sub_u32_e32 v4, 0, v4
	s_or_b64 exec, exec, s[4:5]
                                        ; implicit-def: $vgpr5
	s_and_saveexec_b64 s[4:5], s[22:23]
	s_cbranch_execz .LBB941_48
.LBB941_182:
	v_lshlrev_b32_e32 v5, 2, v6
	global_load_dword v5, v5, s[56:57]
	s_waitcnt vmcnt(0)
	v_sub_u32_e32 v5, 0, v5
	s_or_b64 exec, exec, s[4:5]
                                        ; implicit-def: $vgpr6
	s_and_saveexec_b64 s[4:5], s[24:25]
	s_cbranch_execz .LBB941_49
.LBB941_183:
	v_lshlrev_b32_e32 v6, 2, v7
	global_load_dword v6, v6, s[56:57]
	s_waitcnt vmcnt(0)
	v_sub_u32_e32 v6, 0, v6
	s_or_b64 exec, exec, s[4:5]
                                        ; implicit-def: $vgpr7
	s_and_saveexec_b64 s[4:5], s[26:27]
	s_cbranch_execz .LBB941_50
.LBB941_184:
	v_lshlrev_b32_e32 v7, 2, v8
	global_load_dword v7, v7, s[56:57]
	s_waitcnt vmcnt(0)
	v_sub_u32_e32 v7, 0, v7
	s_or_b64 exec, exec, s[4:5]
                                        ; implicit-def: $vgpr8
	s_and_saveexec_b64 s[4:5], s[28:29]
	s_cbranch_execz .LBB941_51
.LBB941_185:
	v_lshlrev_b32_e32 v8, 2, v9
	global_load_dword v8, v8, s[56:57]
	s_waitcnt vmcnt(0)
	v_sub_u32_e32 v8, 0, v8
	s_or_b64 exec, exec, s[4:5]
                                        ; implicit-def: $vgpr9
	s_and_saveexec_b64 s[4:5], s[30:31]
	s_cbranch_execz .LBB941_52
.LBB941_186:
	v_lshlrev_b32_e32 v9, 2, v10
	global_load_dword v9, v9, s[56:57]
	s_waitcnt vmcnt(0)
	v_sub_u32_e32 v9, 0, v9
	s_or_b64 exec, exec, s[4:5]
                                        ; implicit-def: $vgpr10
	s_and_saveexec_b64 s[4:5], s[34:35]
	s_cbranch_execnz .LBB941_53
	s_branch .LBB941_54
.LBB941_187:
                                        ; implicit-def: $sgpr4_sgpr5
	s_branch .LBB941_36
.LBB941_188:
                                        ; implicit-def: $sgpr4_sgpr5
	s_branch .LBB941_85
	.section	.rodata,"a",@progbits
	.p2align	6, 0x0
	.amdhsa_kernel _ZN7rocprim17ROCPRIM_400000_NS6detail17trampoline_kernelINS0_14default_configENS1_27scan_by_key_config_selectorIiiEEZZNS1_16scan_by_key_implILNS1_25lookback_scan_determinismE0ELb0ES3_N6thrust23THRUST_200600_302600_NS6detail15normal_iteratorINS9_10device_ptrIiEEEENS9_18transform_iteratorINS9_6negateIiEESE_NS9_11use_defaultESI_EESE_iNS9_4plusIvEENS9_8equal_toIvEEiEE10hipError_tPvRmT2_T3_T4_T5_mT6_T7_P12ihipStream_tbENKUlT_T0_E_clISt17integral_constantIbLb1EES14_EEDaSZ_S10_EUlSZ_E_NS1_11comp_targetILNS1_3genE4ELNS1_11target_archE910ELNS1_3gpuE8ELNS1_3repE0EEENS1_30default_config_static_selectorELNS0_4arch9wavefront6targetE1EEEvT1_
		.amdhsa_group_segment_fixed_size 16384
		.amdhsa_private_segment_fixed_size 0
		.amdhsa_kernarg_size 120
		.amdhsa_user_sgpr_count 6
		.amdhsa_user_sgpr_private_segment_buffer 1
		.amdhsa_user_sgpr_dispatch_ptr 0
		.amdhsa_user_sgpr_queue_ptr 0
		.amdhsa_user_sgpr_kernarg_segment_ptr 1
		.amdhsa_user_sgpr_dispatch_id 0
		.amdhsa_user_sgpr_flat_scratch_init 0
		.amdhsa_user_sgpr_kernarg_preload_length 0
		.amdhsa_user_sgpr_kernarg_preload_offset 0
		.amdhsa_user_sgpr_private_segment_size 0
		.amdhsa_uses_dynamic_stack 0
		.amdhsa_system_sgpr_private_segment_wavefront_offset 0
		.amdhsa_system_sgpr_workgroup_id_x 1
		.amdhsa_system_sgpr_workgroup_id_y 0
		.amdhsa_system_sgpr_workgroup_id_z 0
		.amdhsa_system_sgpr_workgroup_info 0
		.amdhsa_system_vgpr_workitem_id 0
		.amdhsa_next_free_vgpr 65
		.amdhsa_next_free_sgpr 65
		.amdhsa_accum_offset 68
		.amdhsa_reserve_vcc 1
		.amdhsa_reserve_flat_scratch 0
		.amdhsa_float_round_mode_32 0
		.amdhsa_float_round_mode_16_64 0
		.amdhsa_float_denorm_mode_32 3
		.amdhsa_float_denorm_mode_16_64 3
		.amdhsa_dx10_clamp 1
		.amdhsa_ieee_mode 1
		.amdhsa_fp16_overflow 0
		.amdhsa_tg_split 0
		.amdhsa_exception_fp_ieee_invalid_op 0
		.amdhsa_exception_fp_denorm_src 0
		.amdhsa_exception_fp_ieee_div_zero 0
		.amdhsa_exception_fp_ieee_overflow 0
		.amdhsa_exception_fp_ieee_underflow 0
		.amdhsa_exception_fp_ieee_inexact 0
		.amdhsa_exception_int_div_zero 0
	.end_amdhsa_kernel
	.section	.text._ZN7rocprim17ROCPRIM_400000_NS6detail17trampoline_kernelINS0_14default_configENS1_27scan_by_key_config_selectorIiiEEZZNS1_16scan_by_key_implILNS1_25lookback_scan_determinismE0ELb0ES3_N6thrust23THRUST_200600_302600_NS6detail15normal_iteratorINS9_10device_ptrIiEEEENS9_18transform_iteratorINS9_6negateIiEESE_NS9_11use_defaultESI_EESE_iNS9_4plusIvEENS9_8equal_toIvEEiEE10hipError_tPvRmT2_T3_T4_T5_mT6_T7_P12ihipStream_tbENKUlT_T0_E_clISt17integral_constantIbLb1EES14_EEDaSZ_S10_EUlSZ_E_NS1_11comp_targetILNS1_3genE4ELNS1_11target_archE910ELNS1_3gpuE8ELNS1_3repE0EEENS1_30default_config_static_selectorELNS0_4arch9wavefront6targetE1EEEvT1_,"axG",@progbits,_ZN7rocprim17ROCPRIM_400000_NS6detail17trampoline_kernelINS0_14default_configENS1_27scan_by_key_config_selectorIiiEEZZNS1_16scan_by_key_implILNS1_25lookback_scan_determinismE0ELb0ES3_N6thrust23THRUST_200600_302600_NS6detail15normal_iteratorINS9_10device_ptrIiEEEENS9_18transform_iteratorINS9_6negateIiEESE_NS9_11use_defaultESI_EESE_iNS9_4plusIvEENS9_8equal_toIvEEiEE10hipError_tPvRmT2_T3_T4_T5_mT6_T7_P12ihipStream_tbENKUlT_T0_E_clISt17integral_constantIbLb1EES14_EEDaSZ_S10_EUlSZ_E_NS1_11comp_targetILNS1_3genE4ELNS1_11target_archE910ELNS1_3gpuE8ELNS1_3repE0EEENS1_30default_config_static_selectorELNS0_4arch9wavefront6targetE1EEEvT1_,comdat
.Lfunc_end941:
	.size	_ZN7rocprim17ROCPRIM_400000_NS6detail17trampoline_kernelINS0_14default_configENS1_27scan_by_key_config_selectorIiiEEZZNS1_16scan_by_key_implILNS1_25lookback_scan_determinismE0ELb0ES3_N6thrust23THRUST_200600_302600_NS6detail15normal_iteratorINS9_10device_ptrIiEEEENS9_18transform_iteratorINS9_6negateIiEESE_NS9_11use_defaultESI_EESE_iNS9_4plusIvEENS9_8equal_toIvEEiEE10hipError_tPvRmT2_T3_T4_T5_mT6_T7_P12ihipStream_tbENKUlT_T0_E_clISt17integral_constantIbLb1EES14_EEDaSZ_S10_EUlSZ_E_NS1_11comp_targetILNS1_3genE4ELNS1_11target_archE910ELNS1_3gpuE8ELNS1_3repE0EEENS1_30default_config_static_selectorELNS0_4arch9wavefront6targetE1EEEvT1_, .Lfunc_end941-_ZN7rocprim17ROCPRIM_400000_NS6detail17trampoline_kernelINS0_14default_configENS1_27scan_by_key_config_selectorIiiEEZZNS1_16scan_by_key_implILNS1_25lookback_scan_determinismE0ELb0ES3_N6thrust23THRUST_200600_302600_NS6detail15normal_iteratorINS9_10device_ptrIiEEEENS9_18transform_iteratorINS9_6negateIiEESE_NS9_11use_defaultESI_EESE_iNS9_4plusIvEENS9_8equal_toIvEEiEE10hipError_tPvRmT2_T3_T4_T5_mT6_T7_P12ihipStream_tbENKUlT_T0_E_clISt17integral_constantIbLb1EES14_EEDaSZ_S10_EUlSZ_E_NS1_11comp_targetILNS1_3genE4ELNS1_11target_archE910ELNS1_3gpuE8ELNS1_3repE0EEENS1_30default_config_static_selectorELNS0_4arch9wavefront6targetE1EEEvT1_
                                        ; -- End function
	.section	.AMDGPU.csdata,"",@progbits
; Kernel info:
; codeLenInByte = 11164
; NumSgprs: 69
; NumVgprs: 65
; NumAgprs: 0
; TotalNumVgprs: 65
; ScratchSize: 0
; MemoryBound: 0
; FloatMode: 240
; IeeeMode: 1
; LDSByteSize: 16384 bytes/workgroup (compile time only)
; SGPRBlocks: 8
; VGPRBlocks: 8
; NumSGPRsForWavesPerEU: 69
; NumVGPRsForWavesPerEU: 65
; AccumOffset: 68
; Occupancy: 4
; WaveLimiterHint : 1
; COMPUTE_PGM_RSRC2:SCRATCH_EN: 0
; COMPUTE_PGM_RSRC2:USER_SGPR: 6
; COMPUTE_PGM_RSRC2:TRAP_HANDLER: 0
; COMPUTE_PGM_RSRC2:TGID_X_EN: 1
; COMPUTE_PGM_RSRC2:TGID_Y_EN: 0
; COMPUTE_PGM_RSRC2:TGID_Z_EN: 0
; COMPUTE_PGM_RSRC2:TIDIG_COMP_CNT: 0
; COMPUTE_PGM_RSRC3_GFX90A:ACCUM_OFFSET: 16
; COMPUTE_PGM_RSRC3_GFX90A:TG_SPLIT: 0
	.section	.text._ZN7rocprim17ROCPRIM_400000_NS6detail17trampoline_kernelINS0_14default_configENS1_27scan_by_key_config_selectorIiiEEZZNS1_16scan_by_key_implILNS1_25lookback_scan_determinismE0ELb0ES3_N6thrust23THRUST_200600_302600_NS6detail15normal_iteratorINS9_10device_ptrIiEEEENS9_18transform_iteratorINS9_6negateIiEESE_NS9_11use_defaultESI_EESE_iNS9_4plusIvEENS9_8equal_toIvEEiEE10hipError_tPvRmT2_T3_T4_T5_mT6_T7_P12ihipStream_tbENKUlT_T0_E_clISt17integral_constantIbLb1EES14_EEDaSZ_S10_EUlSZ_E_NS1_11comp_targetILNS1_3genE3ELNS1_11target_archE908ELNS1_3gpuE7ELNS1_3repE0EEENS1_30default_config_static_selectorELNS0_4arch9wavefront6targetE1EEEvT1_,"axG",@progbits,_ZN7rocprim17ROCPRIM_400000_NS6detail17trampoline_kernelINS0_14default_configENS1_27scan_by_key_config_selectorIiiEEZZNS1_16scan_by_key_implILNS1_25lookback_scan_determinismE0ELb0ES3_N6thrust23THRUST_200600_302600_NS6detail15normal_iteratorINS9_10device_ptrIiEEEENS9_18transform_iteratorINS9_6negateIiEESE_NS9_11use_defaultESI_EESE_iNS9_4plusIvEENS9_8equal_toIvEEiEE10hipError_tPvRmT2_T3_T4_T5_mT6_T7_P12ihipStream_tbENKUlT_T0_E_clISt17integral_constantIbLb1EES14_EEDaSZ_S10_EUlSZ_E_NS1_11comp_targetILNS1_3genE3ELNS1_11target_archE908ELNS1_3gpuE7ELNS1_3repE0EEENS1_30default_config_static_selectorELNS0_4arch9wavefront6targetE1EEEvT1_,comdat
	.protected	_ZN7rocprim17ROCPRIM_400000_NS6detail17trampoline_kernelINS0_14default_configENS1_27scan_by_key_config_selectorIiiEEZZNS1_16scan_by_key_implILNS1_25lookback_scan_determinismE0ELb0ES3_N6thrust23THRUST_200600_302600_NS6detail15normal_iteratorINS9_10device_ptrIiEEEENS9_18transform_iteratorINS9_6negateIiEESE_NS9_11use_defaultESI_EESE_iNS9_4plusIvEENS9_8equal_toIvEEiEE10hipError_tPvRmT2_T3_T4_T5_mT6_T7_P12ihipStream_tbENKUlT_T0_E_clISt17integral_constantIbLb1EES14_EEDaSZ_S10_EUlSZ_E_NS1_11comp_targetILNS1_3genE3ELNS1_11target_archE908ELNS1_3gpuE7ELNS1_3repE0EEENS1_30default_config_static_selectorELNS0_4arch9wavefront6targetE1EEEvT1_ ; -- Begin function _ZN7rocprim17ROCPRIM_400000_NS6detail17trampoline_kernelINS0_14default_configENS1_27scan_by_key_config_selectorIiiEEZZNS1_16scan_by_key_implILNS1_25lookback_scan_determinismE0ELb0ES3_N6thrust23THRUST_200600_302600_NS6detail15normal_iteratorINS9_10device_ptrIiEEEENS9_18transform_iteratorINS9_6negateIiEESE_NS9_11use_defaultESI_EESE_iNS9_4plusIvEENS9_8equal_toIvEEiEE10hipError_tPvRmT2_T3_T4_T5_mT6_T7_P12ihipStream_tbENKUlT_T0_E_clISt17integral_constantIbLb1EES14_EEDaSZ_S10_EUlSZ_E_NS1_11comp_targetILNS1_3genE3ELNS1_11target_archE908ELNS1_3gpuE7ELNS1_3repE0EEENS1_30default_config_static_selectorELNS0_4arch9wavefront6targetE1EEEvT1_
	.globl	_ZN7rocprim17ROCPRIM_400000_NS6detail17trampoline_kernelINS0_14default_configENS1_27scan_by_key_config_selectorIiiEEZZNS1_16scan_by_key_implILNS1_25lookback_scan_determinismE0ELb0ES3_N6thrust23THRUST_200600_302600_NS6detail15normal_iteratorINS9_10device_ptrIiEEEENS9_18transform_iteratorINS9_6negateIiEESE_NS9_11use_defaultESI_EESE_iNS9_4plusIvEENS9_8equal_toIvEEiEE10hipError_tPvRmT2_T3_T4_T5_mT6_T7_P12ihipStream_tbENKUlT_T0_E_clISt17integral_constantIbLb1EES14_EEDaSZ_S10_EUlSZ_E_NS1_11comp_targetILNS1_3genE3ELNS1_11target_archE908ELNS1_3gpuE7ELNS1_3repE0EEENS1_30default_config_static_selectorELNS0_4arch9wavefront6targetE1EEEvT1_
	.p2align	8
	.type	_ZN7rocprim17ROCPRIM_400000_NS6detail17trampoline_kernelINS0_14default_configENS1_27scan_by_key_config_selectorIiiEEZZNS1_16scan_by_key_implILNS1_25lookback_scan_determinismE0ELb0ES3_N6thrust23THRUST_200600_302600_NS6detail15normal_iteratorINS9_10device_ptrIiEEEENS9_18transform_iteratorINS9_6negateIiEESE_NS9_11use_defaultESI_EESE_iNS9_4plusIvEENS9_8equal_toIvEEiEE10hipError_tPvRmT2_T3_T4_T5_mT6_T7_P12ihipStream_tbENKUlT_T0_E_clISt17integral_constantIbLb1EES14_EEDaSZ_S10_EUlSZ_E_NS1_11comp_targetILNS1_3genE3ELNS1_11target_archE908ELNS1_3gpuE7ELNS1_3repE0EEENS1_30default_config_static_selectorELNS0_4arch9wavefront6targetE1EEEvT1_,@function
_ZN7rocprim17ROCPRIM_400000_NS6detail17trampoline_kernelINS0_14default_configENS1_27scan_by_key_config_selectorIiiEEZZNS1_16scan_by_key_implILNS1_25lookback_scan_determinismE0ELb0ES3_N6thrust23THRUST_200600_302600_NS6detail15normal_iteratorINS9_10device_ptrIiEEEENS9_18transform_iteratorINS9_6negateIiEESE_NS9_11use_defaultESI_EESE_iNS9_4plusIvEENS9_8equal_toIvEEiEE10hipError_tPvRmT2_T3_T4_T5_mT6_T7_P12ihipStream_tbENKUlT_T0_E_clISt17integral_constantIbLb1EES14_EEDaSZ_S10_EUlSZ_E_NS1_11comp_targetILNS1_3genE3ELNS1_11target_archE908ELNS1_3gpuE7ELNS1_3repE0EEENS1_30default_config_static_selectorELNS0_4arch9wavefront6targetE1EEEvT1_: ; @_ZN7rocprim17ROCPRIM_400000_NS6detail17trampoline_kernelINS0_14default_configENS1_27scan_by_key_config_selectorIiiEEZZNS1_16scan_by_key_implILNS1_25lookback_scan_determinismE0ELb0ES3_N6thrust23THRUST_200600_302600_NS6detail15normal_iteratorINS9_10device_ptrIiEEEENS9_18transform_iteratorINS9_6negateIiEESE_NS9_11use_defaultESI_EESE_iNS9_4plusIvEENS9_8equal_toIvEEiEE10hipError_tPvRmT2_T3_T4_T5_mT6_T7_P12ihipStream_tbENKUlT_T0_E_clISt17integral_constantIbLb1EES14_EEDaSZ_S10_EUlSZ_E_NS1_11comp_targetILNS1_3genE3ELNS1_11target_archE908ELNS1_3gpuE7ELNS1_3repE0EEENS1_30default_config_static_selectorELNS0_4arch9wavefront6targetE1EEEvT1_
; %bb.0:
	.section	.rodata,"a",@progbits
	.p2align	6, 0x0
	.amdhsa_kernel _ZN7rocprim17ROCPRIM_400000_NS6detail17trampoline_kernelINS0_14default_configENS1_27scan_by_key_config_selectorIiiEEZZNS1_16scan_by_key_implILNS1_25lookback_scan_determinismE0ELb0ES3_N6thrust23THRUST_200600_302600_NS6detail15normal_iteratorINS9_10device_ptrIiEEEENS9_18transform_iteratorINS9_6negateIiEESE_NS9_11use_defaultESI_EESE_iNS9_4plusIvEENS9_8equal_toIvEEiEE10hipError_tPvRmT2_T3_T4_T5_mT6_T7_P12ihipStream_tbENKUlT_T0_E_clISt17integral_constantIbLb1EES14_EEDaSZ_S10_EUlSZ_E_NS1_11comp_targetILNS1_3genE3ELNS1_11target_archE908ELNS1_3gpuE7ELNS1_3repE0EEENS1_30default_config_static_selectorELNS0_4arch9wavefront6targetE1EEEvT1_
		.amdhsa_group_segment_fixed_size 0
		.amdhsa_private_segment_fixed_size 0
		.amdhsa_kernarg_size 120
		.amdhsa_user_sgpr_count 6
		.amdhsa_user_sgpr_private_segment_buffer 1
		.amdhsa_user_sgpr_dispatch_ptr 0
		.amdhsa_user_sgpr_queue_ptr 0
		.amdhsa_user_sgpr_kernarg_segment_ptr 1
		.amdhsa_user_sgpr_dispatch_id 0
		.amdhsa_user_sgpr_flat_scratch_init 0
		.amdhsa_user_sgpr_kernarg_preload_length 0
		.amdhsa_user_sgpr_kernarg_preload_offset 0
		.amdhsa_user_sgpr_private_segment_size 0
		.amdhsa_uses_dynamic_stack 0
		.amdhsa_system_sgpr_private_segment_wavefront_offset 0
		.amdhsa_system_sgpr_workgroup_id_x 1
		.amdhsa_system_sgpr_workgroup_id_y 0
		.amdhsa_system_sgpr_workgroup_id_z 0
		.amdhsa_system_sgpr_workgroup_info 0
		.amdhsa_system_vgpr_workitem_id 0
		.amdhsa_next_free_vgpr 1
		.amdhsa_next_free_sgpr 0
		.amdhsa_accum_offset 4
		.amdhsa_reserve_vcc 0
		.amdhsa_reserve_flat_scratch 0
		.amdhsa_float_round_mode_32 0
		.amdhsa_float_round_mode_16_64 0
		.amdhsa_float_denorm_mode_32 3
		.amdhsa_float_denorm_mode_16_64 3
		.amdhsa_dx10_clamp 1
		.amdhsa_ieee_mode 1
		.amdhsa_fp16_overflow 0
		.amdhsa_tg_split 0
		.amdhsa_exception_fp_ieee_invalid_op 0
		.amdhsa_exception_fp_denorm_src 0
		.amdhsa_exception_fp_ieee_div_zero 0
		.amdhsa_exception_fp_ieee_overflow 0
		.amdhsa_exception_fp_ieee_underflow 0
		.amdhsa_exception_fp_ieee_inexact 0
		.amdhsa_exception_int_div_zero 0
	.end_amdhsa_kernel
	.section	.text._ZN7rocprim17ROCPRIM_400000_NS6detail17trampoline_kernelINS0_14default_configENS1_27scan_by_key_config_selectorIiiEEZZNS1_16scan_by_key_implILNS1_25lookback_scan_determinismE0ELb0ES3_N6thrust23THRUST_200600_302600_NS6detail15normal_iteratorINS9_10device_ptrIiEEEENS9_18transform_iteratorINS9_6negateIiEESE_NS9_11use_defaultESI_EESE_iNS9_4plusIvEENS9_8equal_toIvEEiEE10hipError_tPvRmT2_T3_T4_T5_mT6_T7_P12ihipStream_tbENKUlT_T0_E_clISt17integral_constantIbLb1EES14_EEDaSZ_S10_EUlSZ_E_NS1_11comp_targetILNS1_3genE3ELNS1_11target_archE908ELNS1_3gpuE7ELNS1_3repE0EEENS1_30default_config_static_selectorELNS0_4arch9wavefront6targetE1EEEvT1_,"axG",@progbits,_ZN7rocprim17ROCPRIM_400000_NS6detail17trampoline_kernelINS0_14default_configENS1_27scan_by_key_config_selectorIiiEEZZNS1_16scan_by_key_implILNS1_25lookback_scan_determinismE0ELb0ES3_N6thrust23THRUST_200600_302600_NS6detail15normal_iteratorINS9_10device_ptrIiEEEENS9_18transform_iteratorINS9_6negateIiEESE_NS9_11use_defaultESI_EESE_iNS9_4plusIvEENS9_8equal_toIvEEiEE10hipError_tPvRmT2_T3_T4_T5_mT6_T7_P12ihipStream_tbENKUlT_T0_E_clISt17integral_constantIbLb1EES14_EEDaSZ_S10_EUlSZ_E_NS1_11comp_targetILNS1_3genE3ELNS1_11target_archE908ELNS1_3gpuE7ELNS1_3repE0EEENS1_30default_config_static_selectorELNS0_4arch9wavefront6targetE1EEEvT1_,comdat
.Lfunc_end942:
	.size	_ZN7rocprim17ROCPRIM_400000_NS6detail17trampoline_kernelINS0_14default_configENS1_27scan_by_key_config_selectorIiiEEZZNS1_16scan_by_key_implILNS1_25lookback_scan_determinismE0ELb0ES3_N6thrust23THRUST_200600_302600_NS6detail15normal_iteratorINS9_10device_ptrIiEEEENS9_18transform_iteratorINS9_6negateIiEESE_NS9_11use_defaultESI_EESE_iNS9_4plusIvEENS9_8equal_toIvEEiEE10hipError_tPvRmT2_T3_T4_T5_mT6_T7_P12ihipStream_tbENKUlT_T0_E_clISt17integral_constantIbLb1EES14_EEDaSZ_S10_EUlSZ_E_NS1_11comp_targetILNS1_3genE3ELNS1_11target_archE908ELNS1_3gpuE7ELNS1_3repE0EEENS1_30default_config_static_selectorELNS0_4arch9wavefront6targetE1EEEvT1_, .Lfunc_end942-_ZN7rocprim17ROCPRIM_400000_NS6detail17trampoline_kernelINS0_14default_configENS1_27scan_by_key_config_selectorIiiEEZZNS1_16scan_by_key_implILNS1_25lookback_scan_determinismE0ELb0ES3_N6thrust23THRUST_200600_302600_NS6detail15normal_iteratorINS9_10device_ptrIiEEEENS9_18transform_iteratorINS9_6negateIiEESE_NS9_11use_defaultESI_EESE_iNS9_4plusIvEENS9_8equal_toIvEEiEE10hipError_tPvRmT2_T3_T4_T5_mT6_T7_P12ihipStream_tbENKUlT_T0_E_clISt17integral_constantIbLb1EES14_EEDaSZ_S10_EUlSZ_E_NS1_11comp_targetILNS1_3genE3ELNS1_11target_archE908ELNS1_3gpuE7ELNS1_3repE0EEENS1_30default_config_static_selectorELNS0_4arch9wavefront6targetE1EEEvT1_
                                        ; -- End function
	.section	.AMDGPU.csdata,"",@progbits
; Kernel info:
; codeLenInByte = 0
; NumSgprs: 4
; NumVgprs: 0
; NumAgprs: 0
; TotalNumVgprs: 0
; ScratchSize: 0
; MemoryBound: 0
; FloatMode: 240
; IeeeMode: 1
; LDSByteSize: 0 bytes/workgroup (compile time only)
; SGPRBlocks: 0
; VGPRBlocks: 0
; NumSGPRsForWavesPerEU: 4
; NumVGPRsForWavesPerEU: 1
; AccumOffset: 4
; Occupancy: 8
; WaveLimiterHint : 0
; COMPUTE_PGM_RSRC2:SCRATCH_EN: 0
; COMPUTE_PGM_RSRC2:USER_SGPR: 6
; COMPUTE_PGM_RSRC2:TRAP_HANDLER: 0
; COMPUTE_PGM_RSRC2:TGID_X_EN: 1
; COMPUTE_PGM_RSRC2:TGID_Y_EN: 0
; COMPUTE_PGM_RSRC2:TGID_Z_EN: 0
; COMPUTE_PGM_RSRC2:TIDIG_COMP_CNT: 0
; COMPUTE_PGM_RSRC3_GFX90A:ACCUM_OFFSET: 0
; COMPUTE_PGM_RSRC3_GFX90A:TG_SPLIT: 0
	.section	.text._ZN7rocprim17ROCPRIM_400000_NS6detail17trampoline_kernelINS0_14default_configENS1_27scan_by_key_config_selectorIiiEEZZNS1_16scan_by_key_implILNS1_25lookback_scan_determinismE0ELb0ES3_N6thrust23THRUST_200600_302600_NS6detail15normal_iteratorINS9_10device_ptrIiEEEENS9_18transform_iteratorINS9_6negateIiEESE_NS9_11use_defaultESI_EESE_iNS9_4plusIvEENS9_8equal_toIvEEiEE10hipError_tPvRmT2_T3_T4_T5_mT6_T7_P12ihipStream_tbENKUlT_T0_E_clISt17integral_constantIbLb1EES14_EEDaSZ_S10_EUlSZ_E_NS1_11comp_targetILNS1_3genE2ELNS1_11target_archE906ELNS1_3gpuE6ELNS1_3repE0EEENS1_30default_config_static_selectorELNS0_4arch9wavefront6targetE1EEEvT1_,"axG",@progbits,_ZN7rocprim17ROCPRIM_400000_NS6detail17trampoline_kernelINS0_14default_configENS1_27scan_by_key_config_selectorIiiEEZZNS1_16scan_by_key_implILNS1_25lookback_scan_determinismE0ELb0ES3_N6thrust23THRUST_200600_302600_NS6detail15normal_iteratorINS9_10device_ptrIiEEEENS9_18transform_iteratorINS9_6negateIiEESE_NS9_11use_defaultESI_EESE_iNS9_4plusIvEENS9_8equal_toIvEEiEE10hipError_tPvRmT2_T3_T4_T5_mT6_T7_P12ihipStream_tbENKUlT_T0_E_clISt17integral_constantIbLb1EES14_EEDaSZ_S10_EUlSZ_E_NS1_11comp_targetILNS1_3genE2ELNS1_11target_archE906ELNS1_3gpuE6ELNS1_3repE0EEENS1_30default_config_static_selectorELNS0_4arch9wavefront6targetE1EEEvT1_,comdat
	.protected	_ZN7rocprim17ROCPRIM_400000_NS6detail17trampoline_kernelINS0_14default_configENS1_27scan_by_key_config_selectorIiiEEZZNS1_16scan_by_key_implILNS1_25lookback_scan_determinismE0ELb0ES3_N6thrust23THRUST_200600_302600_NS6detail15normal_iteratorINS9_10device_ptrIiEEEENS9_18transform_iteratorINS9_6negateIiEESE_NS9_11use_defaultESI_EESE_iNS9_4plusIvEENS9_8equal_toIvEEiEE10hipError_tPvRmT2_T3_T4_T5_mT6_T7_P12ihipStream_tbENKUlT_T0_E_clISt17integral_constantIbLb1EES14_EEDaSZ_S10_EUlSZ_E_NS1_11comp_targetILNS1_3genE2ELNS1_11target_archE906ELNS1_3gpuE6ELNS1_3repE0EEENS1_30default_config_static_selectorELNS0_4arch9wavefront6targetE1EEEvT1_ ; -- Begin function _ZN7rocprim17ROCPRIM_400000_NS6detail17trampoline_kernelINS0_14default_configENS1_27scan_by_key_config_selectorIiiEEZZNS1_16scan_by_key_implILNS1_25lookback_scan_determinismE0ELb0ES3_N6thrust23THRUST_200600_302600_NS6detail15normal_iteratorINS9_10device_ptrIiEEEENS9_18transform_iteratorINS9_6negateIiEESE_NS9_11use_defaultESI_EESE_iNS9_4plusIvEENS9_8equal_toIvEEiEE10hipError_tPvRmT2_T3_T4_T5_mT6_T7_P12ihipStream_tbENKUlT_T0_E_clISt17integral_constantIbLb1EES14_EEDaSZ_S10_EUlSZ_E_NS1_11comp_targetILNS1_3genE2ELNS1_11target_archE906ELNS1_3gpuE6ELNS1_3repE0EEENS1_30default_config_static_selectorELNS0_4arch9wavefront6targetE1EEEvT1_
	.globl	_ZN7rocprim17ROCPRIM_400000_NS6detail17trampoline_kernelINS0_14default_configENS1_27scan_by_key_config_selectorIiiEEZZNS1_16scan_by_key_implILNS1_25lookback_scan_determinismE0ELb0ES3_N6thrust23THRUST_200600_302600_NS6detail15normal_iteratorINS9_10device_ptrIiEEEENS9_18transform_iteratorINS9_6negateIiEESE_NS9_11use_defaultESI_EESE_iNS9_4plusIvEENS9_8equal_toIvEEiEE10hipError_tPvRmT2_T3_T4_T5_mT6_T7_P12ihipStream_tbENKUlT_T0_E_clISt17integral_constantIbLb1EES14_EEDaSZ_S10_EUlSZ_E_NS1_11comp_targetILNS1_3genE2ELNS1_11target_archE906ELNS1_3gpuE6ELNS1_3repE0EEENS1_30default_config_static_selectorELNS0_4arch9wavefront6targetE1EEEvT1_
	.p2align	8
	.type	_ZN7rocprim17ROCPRIM_400000_NS6detail17trampoline_kernelINS0_14default_configENS1_27scan_by_key_config_selectorIiiEEZZNS1_16scan_by_key_implILNS1_25lookback_scan_determinismE0ELb0ES3_N6thrust23THRUST_200600_302600_NS6detail15normal_iteratorINS9_10device_ptrIiEEEENS9_18transform_iteratorINS9_6negateIiEESE_NS9_11use_defaultESI_EESE_iNS9_4plusIvEENS9_8equal_toIvEEiEE10hipError_tPvRmT2_T3_T4_T5_mT6_T7_P12ihipStream_tbENKUlT_T0_E_clISt17integral_constantIbLb1EES14_EEDaSZ_S10_EUlSZ_E_NS1_11comp_targetILNS1_3genE2ELNS1_11target_archE906ELNS1_3gpuE6ELNS1_3repE0EEENS1_30default_config_static_selectorELNS0_4arch9wavefront6targetE1EEEvT1_,@function
_ZN7rocprim17ROCPRIM_400000_NS6detail17trampoline_kernelINS0_14default_configENS1_27scan_by_key_config_selectorIiiEEZZNS1_16scan_by_key_implILNS1_25lookback_scan_determinismE0ELb0ES3_N6thrust23THRUST_200600_302600_NS6detail15normal_iteratorINS9_10device_ptrIiEEEENS9_18transform_iteratorINS9_6negateIiEESE_NS9_11use_defaultESI_EESE_iNS9_4plusIvEENS9_8equal_toIvEEiEE10hipError_tPvRmT2_T3_T4_T5_mT6_T7_P12ihipStream_tbENKUlT_T0_E_clISt17integral_constantIbLb1EES14_EEDaSZ_S10_EUlSZ_E_NS1_11comp_targetILNS1_3genE2ELNS1_11target_archE906ELNS1_3gpuE6ELNS1_3repE0EEENS1_30default_config_static_selectorELNS0_4arch9wavefront6targetE1EEEvT1_: ; @_ZN7rocprim17ROCPRIM_400000_NS6detail17trampoline_kernelINS0_14default_configENS1_27scan_by_key_config_selectorIiiEEZZNS1_16scan_by_key_implILNS1_25lookback_scan_determinismE0ELb0ES3_N6thrust23THRUST_200600_302600_NS6detail15normal_iteratorINS9_10device_ptrIiEEEENS9_18transform_iteratorINS9_6negateIiEESE_NS9_11use_defaultESI_EESE_iNS9_4plusIvEENS9_8equal_toIvEEiEE10hipError_tPvRmT2_T3_T4_T5_mT6_T7_P12ihipStream_tbENKUlT_T0_E_clISt17integral_constantIbLb1EES14_EEDaSZ_S10_EUlSZ_E_NS1_11comp_targetILNS1_3genE2ELNS1_11target_archE906ELNS1_3gpuE6ELNS1_3repE0EEENS1_30default_config_static_selectorELNS0_4arch9wavefront6targetE1EEEvT1_
; %bb.0:
	.section	.rodata,"a",@progbits
	.p2align	6, 0x0
	.amdhsa_kernel _ZN7rocprim17ROCPRIM_400000_NS6detail17trampoline_kernelINS0_14default_configENS1_27scan_by_key_config_selectorIiiEEZZNS1_16scan_by_key_implILNS1_25lookback_scan_determinismE0ELb0ES3_N6thrust23THRUST_200600_302600_NS6detail15normal_iteratorINS9_10device_ptrIiEEEENS9_18transform_iteratorINS9_6negateIiEESE_NS9_11use_defaultESI_EESE_iNS9_4plusIvEENS9_8equal_toIvEEiEE10hipError_tPvRmT2_T3_T4_T5_mT6_T7_P12ihipStream_tbENKUlT_T0_E_clISt17integral_constantIbLb1EES14_EEDaSZ_S10_EUlSZ_E_NS1_11comp_targetILNS1_3genE2ELNS1_11target_archE906ELNS1_3gpuE6ELNS1_3repE0EEENS1_30default_config_static_selectorELNS0_4arch9wavefront6targetE1EEEvT1_
		.amdhsa_group_segment_fixed_size 0
		.amdhsa_private_segment_fixed_size 0
		.amdhsa_kernarg_size 120
		.amdhsa_user_sgpr_count 6
		.amdhsa_user_sgpr_private_segment_buffer 1
		.amdhsa_user_sgpr_dispatch_ptr 0
		.amdhsa_user_sgpr_queue_ptr 0
		.amdhsa_user_sgpr_kernarg_segment_ptr 1
		.amdhsa_user_sgpr_dispatch_id 0
		.amdhsa_user_sgpr_flat_scratch_init 0
		.amdhsa_user_sgpr_kernarg_preload_length 0
		.amdhsa_user_sgpr_kernarg_preload_offset 0
		.amdhsa_user_sgpr_private_segment_size 0
		.amdhsa_uses_dynamic_stack 0
		.amdhsa_system_sgpr_private_segment_wavefront_offset 0
		.amdhsa_system_sgpr_workgroup_id_x 1
		.amdhsa_system_sgpr_workgroup_id_y 0
		.amdhsa_system_sgpr_workgroup_id_z 0
		.amdhsa_system_sgpr_workgroup_info 0
		.amdhsa_system_vgpr_workitem_id 0
		.amdhsa_next_free_vgpr 1
		.amdhsa_next_free_sgpr 0
		.amdhsa_accum_offset 4
		.amdhsa_reserve_vcc 0
		.amdhsa_reserve_flat_scratch 0
		.amdhsa_float_round_mode_32 0
		.amdhsa_float_round_mode_16_64 0
		.amdhsa_float_denorm_mode_32 3
		.amdhsa_float_denorm_mode_16_64 3
		.amdhsa_dx10_clamp 1
		.amdhsa_ieee_mode 1
		.amdhsa_fp16_overflow 0
		.amdhsa_tg_split 0
		.amdhsa_exception_fp_ieee_invalid_op 0
		.amdhsa_exception_fp_denorm_src 0
		.amdhsa_exception_fp_ieee_div_zero 0
		.amdhsa_exception_fp_ieee_overflow 0
		.amdhsa_exception_fp_ieee_underflow 0
		.amdhsa_exception_fp_ieee_inexact 0
		.amdhsa_exception_int_div_zero 0
	.end_amdhsa_kernel
	.section	.text._ZN7rocprim17ROCPRIM_400000_NS6detail17trampoline_kernelINS0_14default_configENS1_27scan_by_key_config_selectorIiiEEZZNS1_16scan_by_key_implILNS1_25lookback_scan_determinismE0ELb0ES3_N6thrust23THRUST_200600_302600_NS6detail15normal_iteratorINS9_10device_ptrIiEEEENS9_18transform_iteratorINS9_6negateIiEESE_NS9_11use_defaultESI_EESE_iNS9_4plusIvEENS9_8equal_toIvEEiEE10hipError_tPvRmT2_T3_T4_T5_mT6_T7_P12ihipStream_tbENKUlT_T0_E_clISt17integral_constantIbLb1EES14_EEDaSZ_S10_EUlSZ_E_NS1_11comp_targetILNS1_3genE2ELNS1_11target_archE906ELNS1_3gpuE6ELNS1_3repE0EEENS1_30default_config_static_selectorELNS0_4arch9wavefront6targetE1EEEvT1_,"axG",@progbits,_ZN7rocprim17ROCPRIM_400000_NS6detail17trampoline_kernelINS0_14default_configENS1_27scan_by_key_config_selectorIiiEEZZNS1_16scan_by_key_implILNS1_25lookback_scan_determinismE0ELb0ES3_N6thrust23THRUST_200600_302600_NS6detail15normal_iteratorINS9_10device_ptrIiEEEENS9_18transform_iteratorINS9_6negateIiEESE_NS9_11use_defaultESI_EESE_iNS9_4plusIvEENS9_8equal_toIvEEiEE10hipError_tPvRmT2_T3_T4_T5_mT6_T7_P12ihipStream_tbENKUlT_T0_E_clISt17integral_constantIbLb1EES14_EEDaSZ_S10_EUlSZ_E_NS1_11comp_targetILNS1_3genE2ELNS1_11target_archE906ELNS1_3gpuE6ELNS1_3repE0EEENS1_30default_config_static_selectorELNS0_4arch9wavefront6targetE1EEEvT1_,comdat
.Lfunc_end943:
	.size	_ZN7rocprim17ROCPRIM_400000_NS6detail17trampoline_kernelINS0_14default_configENS1_27scan_by_key_config_selectorIiiEEZZNS1_16scan_by_key_implILNS1_25lookback_scan_determinismE0ELb0ES3_N6thrust23THRUST_200600_302600_NS6detail15normal_iteratorINS9_10device_ptrIiEEEENS9_18transform_iteratorINS9_6negateIiEESE_NS9_11use_defaultESI_EESE_iNS9_4plusIvEENS9_8equal_toIvEEiEE10hipError_tPvRmT2_T3_T4_T5_mT6_T7_P12ihipStream_tbENKUlT_T0_E_clISt17integral_constantIbLb1EES14_EEDaSZ_S10_EUlSZ_E_NS1_11comp_targetILNS1_3genE2ELNS1_11target_archE906ELNS1_3gpuE6ELNS1_3repE0EEENS1_30default_config_static_selectorELNS0_4arch9wavefront6targetE1EEEvT1_, .Lfunc_end943-_ZN7rocprim17ROCPRIM_400000_NS6detail17trampoline_kernelINS0_14default_configENS1_27scan_by_key_config_selectorIiiEEZZNS1_16scan_by_key_implILNS1_25lookback_scan_determinismE0ELb0ES3_N6thrust23THRUST_200600_302600_NS6detail15normal_iteratorINS9_10device_ptrIiEEEENS9_18transform_iteratorINS9_6negateIiEESE_NS9_11use_defaultESI_EESE_iNS9_4plusIvEENS9_8equal_toIvEEiEE10hipError_tPvRmT2_T3_T4_T5_mT6_T7_P12ihipStream_tbENKUlT_T0_E_clISt17integral_constantIbLb1EES14_EEDaSZ_S10_EUlSZ_E_NS1_11comp_targetILNS1_3genE2ELNS1_11target_archE906ELNS1_3gpuE6ELNS1_3repE0EEENS1_30default_config_static_selectorELNS0_4arch9wavefront6targetE1EEEvT1_
                                        ; -- End function
	.section	.AMDGPU.csdata,"",@progbits
; Kernel info:
; codeLenInByte = 0
; NumSgprs: 4
; NumVgprs: 0
; NumAgprs: 0
; TotalNumVgprs: 0
; ScratchSize: 0
; MemoryBound: 0
; FloatMode: 240
; IeeeMode: 1
; LDSByteSize: 0 bytes/workgroup (compile time only)
; SGPRBlocks: 0
; VGPRBlocks: 0
; NumSGPRsForWavesPerEU: 4
; NumVGPRsForWavesPerEU: 1
; AccumOffset: 4
; Occupancy: 8
; WaveLimiterHint : 0
; COMPUTE_PGM_RSRC2:SCRATCH_EN: 0
; COMPUTE_PGM_RSRC2:USER_SGPR: 6
; COMPUTE_PGM_RSRC2:TRAP_HANDLER: 0
; COMPUTE_PGM_RSRC2:TGID_X_EN: 1
; COMPUTE_PGM_RSRC2:TGID_Y_EN: 0
; COMPUTE_PGM_RSRC2:TGID_Z_EN: 0
; COMPUTE_PGM_RSRC2:TIDIG_COMP_CNT: 0
; COMPUTE_PGM_RSRC3_GFX90A:ACCUM_OFFSET: 0
; COMPUTE_PGM_RSRC3_GFX90A:TG_SPLIT: 0
	.section	.text._ZN7rocprim17ROCPRIM_400000_NS6detail17trampoline_kernelINS0_14default_configENS1_27scan_by_key_config_selectorIiiEEZZNS1_16scan_by_key_implILNS1_25lookback_scan_determinismE0ELb0ES3_N6thrust23THRUST_200600_302600_NS6detail15normal_iteratorINS9_10device_ptrIiEEEENS9_18transform_iteratorINS9_6negateIiEESE_NS9_11use_defaultESI_EESE_iNS9_4plusIvEENS9_8equal_toIvEEiEE10hipError_tPvRmT2_T3_T4_T5_mT6_T7_P12ihipStream_tbENKUlT_T0_E_clISt17integral_constantIbLb1EES14_EEDaSZ_S10_EUlSZ_E_NS1_11comp_targetILNS1_3genE10ELNS1_11target_archE1200ELNS1_3gpuE4ELNS1_3repE0EEENS1_30default_config_static_selectorELNS0_4arch9wavefront6targetE1EEEvT1_,"axG",@progbits,_ZN7rocprim17ROCPRIM_400000_NS6detail17trampoline_kernelINS0_14default_configENS1_27scan_by_key_config_selectorIiiEEZZNS1_16scan_by_key_implILNS1_25lookback_scan_determinismE0ELb0ES3_N6thrust23THRUST_200600_302600_NS6detail15normal_iteratorINS9_10device_ptrIiEEEENS9_18transform_iteratorINS9_6negateIiEESE_NS9_11use_defaultESI_EESE_iNS9_4plusIvEENS9_8equal_toIvEEiEE10hipError_tPvRmT2_T3_T4_T5_mT6_T7_P12ihipStream_tbENKUlT_T0_E_clISt17integral_constantIbLb1EES14_EEDaSZ_S10_EUlSZ_E_NS1_11comp_targetILNS1_3genE10ELNS1_11target_archE1200ELNS1_3gpuE4ELNS1_3repE0EEENS1_30default_config_static_selectorELNS0_4arch9wavefront6targetE1EEEvT1_,comdat
	.protected	_ZN7rocprim17ROCPRIM_400000_NS6detail17trampoline_kernelINS0_14default_configENS1_27scan_by_key_config_selectorIiiEEZZNS1_16scan_by_key_implILNS1_25lookback_scan_determinismE0ELb0ES3_N6thrust23THRUST_200600_302600_NS6detail15normal_iteratorINS9_10device_ptrIiEEEENS9_18transform_iteratorINS9_6negateIiEESE_NS9_11use_defaultESI_EESE_iNS9_4plusIvEENS9_8equal_toIvEEiEE10hipError_tPvRmT2_T3_T4_T5_mT6_T7_P12ihipStream_tbENKUlT_T0_E_clISt17integral_constantIbLb1EES14_EEDaSZ_S10_EUlSZ_E_NS1_11comp_targetILNS1_3genE10ELNS1_11target_archE1200ELNS1_3gpuE4ELNS1_3repE0EEENS1_30default_config_static_selectorELNS0_4arch9wavefront6targetE1EEEvT1_ ; -- Begin function _ZN7rocprim17ROCPRIM_400000_NS6detail17trampoline_kernelINS0_14default_configENS1_27scan_by_key_config_selectorIiiEEZZNS1_16scan_by_key_implILNS1_25lookback_scan_determinismE0ELb0ES3_N6thrust23THRUST_200600_302600_NS6detail15normal_iteratorINS9_10device_ptrIiEEEENS9_18transform_iteratorINS9_6negateIiEESE_NS9_11use_defaultESI_EESE_iNS9_4plusIvEENS9_8equal_toIvEEiEE10hipError_tPvRmT2_T3_T4_T5_mT6_T7_P12ihipStream_tbENKUlT_T0_E_clISt17integral_constantIbLb1EES14_EEDaSZ_S10_EUlSZ_E_NS1_11comp_targetILNS1_3genE10ELNS1_11target_archE1200ELNS1_3gpuE4ELNS1_3repE0EEENS1_30default_config_static_selectorELNS0_4arch9wavefront6targetE1EEEvT1_
	.globl	_ZN7rocprim17ROCPRIM_400000_NS6detail17trampoline_kernelINS0_14default_configENS1_27scan_by_key_config_selectorIiiEEZZNS1_16scan_by_key_implILNS1_25lookback_scan_determinismE0ELb0ES3_N6thrust23THRUST_200600_302600_NS6detail15normal_iteratorINS9_10device_ptrIiEEEENS9_18transform_iteratorINS9_6negateIiEESE_NS9_11use_defaultESI_EESE_iNS9_4plusIvEENS9_8equal_toIvEEiEE10hipError_tPvRmT2_T3_T4_T5_mT6_T7_P12ihipStream_tbENKUlT_T0_E_clISt17integral_constantIbLb1EES14_EEDaSZ_S10_EUlSZ_E_NS1_11comp_targetILNS1_3genE10ELNS1_11target_archE1200ELNS1_3gpuE4ELNS1_3repE0EEENS1_30default_config_static_selectorELNS0_4arch9wavefront6targetE1EEEvT1_
	.p2align	8
	.type	_ZN7rocprim17ROCPRIM_400000_NS6detail17trampoline_kernelINS0_14default_configENS1_27scan_by_key_config_selectorIiiEEZZNS1_16scan_by_key_implILNS1_25lookback_scan_determinismE0ELb0ES3_N6thrust23THRUST_200600_302600_NS6detail15normal_iteratorINS9_10device_ptrIiEEEENS9_18transform_iteratorINS9_6negateIiEESE_NS9_11use_defaultESI_EESE_iNS9_4plusIvEENS9_8equal_toIvEEiEE10hipError_tPvRmT2_T3_T4_T5_mT6_T7_P12ihipStream_tbENKUlT_T0_E_clISt17integral_constantIbLb1EES14_EEDaSZ_S10_EUlSZ_E_NS1_11comp_targetILNS1_3genE10ELNS1_11target_archE1200ELNS1_3gpuE4ELNS1_3repE0EEENS1_30default_config_static_selectorELNS0_4arch9wavefront6targetE1EEEvT1_,@function
_ZN7rocprim17ROCPRIM_400000_NS6detail17trampoline_kernelINS0_14default_configENS1_27scan_by_key_config_selectorIiiEEZZNS1_16scan_by_key_implILNS1_25lookback_scan_determinismE0ELb0ES3_N6thrust23THRUST_200600_302600_NS6detail15normal_iteratorINS9_10device_ptrIiEEEENS9_18transform_iteratorINS9_6negateIiEESE_NS9_11use_defaultESI_EESE_iNS9_4plusIvEENS9_8equal_toIvEEiEE10hipError_tPvRmT2_T3_T4_T5_mT6_T7_P12ihipStream_tbENKUlT_T0_E_clISt17integral_constantIbLb1EES14_EEDaSZ_S10_EUlSZ_E_NS1_11comp_targetILNS1_3genE10ELNS1_11target_archE1200ELNS1_3gpuE4ELNS1_3repE0EEENS1_30default_config_static_selectorELNS0_4arch9wavefront6targetE1EEEvT1_: ; @_ZN7rocprim17ROCPRIM_400000_NS6detail17trampoline_kernelINS0_14default_configENS1_27scan_by_key_config_selectorIiiEEZZNS1_16scan_by_key_implILNS1_25lookback_scan_determinismE0ELb0ES3_N6thrust23THRUST_200600_302600_NS6detail15normal_iteratorINS9_10device_ptrIiEEEENS9_18transform_iteratorINS9_6negateIiEESE_NS9_11use_defaultESI_EESE_iNS9_4plusIvEENS9_8equal_toIvEEiEE10hipError_tPvRmT2_T3_T4_T5_mT6_T7_P12ihipStream_tbENKUlT_T0_E_clISt17integral_constantIbLb1EES14_EEDaSZ_S10_EUlSZ_E_NS1_11comp_targetILNS1_3genE10ELNS1_11target_archE1200ELNS1_3gpuE4ELNS1_3repE0EEENS1_30default_config_static_selectorELNS0_4arch9wavefront6targetE1EEEvT1_
; %bb.0:
	.section	.rodata,"a",@progbits
	.p2align	6, 0x0
	.amdhsa_kernel _ZN7rocprim17ROCPRIM_400000_NS6detail17trampoline_kernelINS0_14default_configENS1_27scan_by_key_config_selectorIiiEEZZNS1_16scan_by_key_implILNS1_25lookback_scan_determinismE0ELb0ES3_N6thrust23THRUST_200600_302600_NS6detail15normal_iteratorINS9_10device_ptrIiEEEENS9_18transform_iteratorINS9_6negateIiEESE_NS9_11use_defaultESI_EESE_iNS9_4plusIvEENS9_8equal_toIvEEiEE10hipError_tPvRmT2_T3_T4_T5_mT6_T7_P12ihipStream_tbENKUlT_T0_E_clISt17integral_constantIbLb1EES14_EEDaSZ_S10_EUlSZ_E_NS1_11comp_targetILNS1_3genE10ELNS1_11target_archE1200ELNS1_3gpuE4ELNS1_3repE0EEENS1_30default_config_static_selectorELNS0_4arch9wavefront6targetE1EEEvT1_
		.amdhsa_group_segment_fixed_size 0
		.amdhsa_private_segment_fixed_size 0
		.amdhsa_kernarg_size 120
		.amdhsa_user_sgpr_count 6
		.amdhsa_user_sgpr_private_segment_buffer 1
		.amdhsa_user_sgpr_dispatch_ptr 0
		.amdhsa_user_sgpr_queue_ptr 0
		.amdhsa_user_sgpr_kernarg_segment_ptr 1
		.amdhsa_user_sgpr_dispatch_id 0
		.amdhsa_user_sgpr_flat_scratch_init 0
		.amdhsa_user_sgpr_kernarg_preload_length 0
		.amdhsa_user_sgpr_kernarg_preload_offset 0
		.amdhsa_user_sgpr_private_segment_size 0
		.amdhsa_uses_dynamic_stack 0
		.amdhsa_system_sgpr_private_segment_wavefront_offset 0
		.amdhsa_system_sgpr_workgroup_id_x 1
		.amdhsa_system_sgpr_workgroup_id_y 0
		.amdhsa_system_sgpr_workgroup_id_z 0
		.amdhsa_system_sgpr_workgroup_info 0
		.amdhsa_system_vgpr_workitem_id 0
		.amdhsa_next_free_vgpr 1
		.amdhsa_next_free_sgpr 0
		.amdhsa_accum_offset 4
		.amdhsa_reserve_vcc 0
		.amdhsa_reserve_flat_scratch 0
		.amdhsa_float_round_mode_32 0
		.amdhsa_float_round_mode_16_64 0
		.amdhsa_float_denorm_mode_32 3
		.amdhsa_float_denorm_mode_16_64 3
		.amdhsa_dx10_clamp 1
		.amdhsa_ieee_mode 1
		.amdhsa_fp16_overflow 0
		.amdhsa_tg_split 0
		.amdhsa_exception_fp_ieee_invalid_op 0
		.amdhsa_exception_fp_denorm_src 0
		.amdhsa_exception_fp_ieee_div_zero 0
		.amdhsa_exception_fp_ieee_overflow 0
		.amdhsa_exception_fp_ieee_underflow 0
		.amdhsa_exception_fp_ieee_inexact 0
		.amdhsa_exception_int_div_zero 0
	.end_amdhsa_kernel
	.section	.text._ZN7rocprim17ROCPRIM_400000_NS6detail17trampoline_kernelINS0_14default_configENS1_27scan_by_key_config_selectorIiiEEZZNS1_16scan_by_key_implILNS1_25lookback_scan_determinismE0ELb0ES3_N6thrust23THRUST_200600_302600_NS6detail15normal_iteratorINS9_10device_ptrIiEEEENS9_18transform_iteratorINS9_6negateIiEESE_NS9_11use_defaultESI_EESE_iNS9_4plusIvEENS9_8equal_toIvEEiEE10hipError_tPvRmT2_T3_T4_T5_mT6_T7_P12ihipStream_tbENKUlT_T0_E_clISt17integral_constantIbLb1EES14_EEDaSZ_S10_EUlSZ_E_NS1_11comp_targetILNS1_3genE10ELNS1_11target_archE1200ELNS1_3gpuE4ELNS1_3repE0EEENS1_30default_config_static_selectorELNS0_4arch9wavefront6targetE1EEEvT1_,"axG",@progbits,_ZN7rocprim17ROCPRIM_400000_NS6detail17trampoline_kernelINS0_14default_configENS1_27scan_by_key_config_selectorIiiEEZZNS1_16scan_by_key_implILNS1_25lookback_scan_determinismE0ELb0ES3_N6thrust23THRUST_200600_302600_NS6detail15normal_iteratorINS9_10device_ptrIiEEEENS9_18transform_iteratorINS9_6negateIiEESE_NS9_11use_defaultESI_EESE_iNS9_4plusIvEENS9_8equal_toIvEEiEE10hipError_tPvRmT2_T3_T4_T5_mT6_T7_P12ihipStream_tbENKUlT_T0_E_clISt17integral_constantIbLb1EES14_EEDaSZ_S10_EUlSZ_E_NS1_11comp_targetILNS1_3genE10ELNS1_11target_archE1200ELNS1_3gpuE4ELNS1_3repE0EEENS1_30default_config_static_selectorELNS0_4arch9wavefront6targetE1EEEvT1_,comdat
.Lfunc_end944:
	.size	_ZN7rocprim17ROCPRIM_400000_NS6detail17trampoline_kernelINS0_14default_configENS1_27scan_by_key_config_selectorIiiEEZZNS1_16scan_by_key_implILNS1_25lookback_scan_determinismE0ELb0ES3_N6thrust23THRUST_200600_302600_NS6detail15normal_iteratorINS9_10device_ptrIiEEEENS9_18transform_iteratorINS9_6negateIiEESE_NS9_11use_defaultESI_EESE_iNS9_4plusIvEENS9_8equal_toIvEEiEE10hipError_tPvRmT2_T3_T4_T5_mT6_T7_P12ihipStream_tbENKUlT_T0_E_clISt17integral_constantIbLb1EES14_EEDaSZ_S10_EUlSZ_E_NS1_11comp_targetILNS1_3genE10ELNS1_11target_archE1200ELNS1_3gpuE4ELNS1_3repE0EEENS1_30default_config_static_selectorELNS0_4arch9wavefront6targetE1EEEvT1_, .Lfunc_end944-_ZN7rocprim17ROCPRIM_400000_NS6detail17trampoline_kernelINS0_14default_configENS1_27scan_by_key_config_selectorIiiEEZZNS1_16scan_by_key_implILNS1_25lookback_scan_determinismE0ELb0ES3_N6thrust23THRUST_200600_302600_NS6detail15normal_iteratorINS9_10device_ptrIiEEEENS9_18transform_iteratorINS9_6negateIiEESE_NS9_11use_defaultESI_EESE_iNS9_4plusIvEENS9_8equal_toIvEEiEE10hipError_tPvRmT2_T3_T4_T5_mT6_T7_P12ihipStream_tbENKUlT_T0_E_clISt17integral_constantIbLb1EES14_EEDaSZ_S10_EUlSZ_E_NS1_11comp_targetILNS1_3genE10ELNS1_11target_archE1200ELNS1_3gpuE4ELNS1_3repE0EEENS1_30default_config_static_selectorELNS0_4arch9wavefront6targetE1EEEvT1_
                                        ; -- End function
	.section	.AMDGPU.csdata,"",@progbits
; Kernel info:
; codeLenInByte = 0
; NumSgprs: 4
; NumVgprs: 0
; NumAgprs: 0
; TotalNumVgprs: 0
; ScratchSize: 0
; MemoryBound: 0
; FloatMode: 240
; IeeeMode: 1
; LDSByteSize: 0 bytes/workgroup (compile time only)
; SGPRBlocks: 0
; VGPRBlocks: 0
; NumSGPRsForWavesPerEU: 4
; NumVGPRsForWavesPerEU: 1
; AccumOffset: 4
; Occupancy: 8
; WaveLimiterHint : 0
; COMPUTE_PGM_RSRC2:SCRATCH_EN: 0
; COMPUTE_PGM_RSRC2:USER_SGPR: 6
; COMPUTE_PGM_RSRC2:TRAP_HANDLER: 0
; COMPUTE_PGM_RSRC2:TGID_X_EN: 1
; COMPUTE_PGM_RSRC2:TGID_Y_EN: 0
; COMPUTE_PGM_RSRC2:TGID_Z_EN: 0
; COMPUTE_PGM_RSRC2:TIDIG_COMP_CNT: 0
; COMPUTE_PGM_RSRC3_GFX90A:ACCUM_OFFSET: 0
; COMPUTE_PGM_RSRC3_GFX90A:TG_SPLIT: 0
	.section	.text._ZN7rocprim17ROCPRIM_400000_NS6detail17trampoline_kernelINS0_14default_configENS1_27scan_by_key_config_selectorIiiEEZZNS1_16scan_by_key_implILNS1_25lookback_scan_determinismE0ELb0ES3_N6thrust23THRUST_200600_302600_NS6detail15normal_iteratorINS9_10device_ptrIiEEEENS9_18transform_iteratorINS9_6negateIiEESE_NS9_11use_defaultESI_EESE_iNS9_4plusIvEENS9_8equal_toIvEEiEE10hipError_tPvRmT2_T3_T4_T5_mT6_T7_P12ihipStream_tbENKUlT_T0_E_clISt17integral_constantIbLb1EES14_EEDaSZ_S10_EUlSZ_E_NS1_11comp_targetILNS1_3genE9ELNS1_11target_archE1100ELNS1_3gpuE3ELNS1_3repE0EEENS1_30default_config_static_selectorELNS0_4arch9wavefront6targetE1EEEvT1_,"axG",@progbits,_ZN7rocprim17ROCPRIM_400000_NS6detail17trampoline_kernelINS0_14default_configENS1_27scan_by_key_config_selectorIiiEEZZNS1_16scan_by_key_implILNS1_25lookback_scan_determinismE0ELb0ES3_N6thrust23THRUST_200600_302600_NS6detail15normal_iteratorINS9_10device_ptrIiEEEENS9_18transform_iteratorINS9_6negateIiEESE_NS9_11use_defaultESI_EESE_iNS9_4plusIvEENS9_8equal_toIvEEiEE10hipError_tPvRmT2_T3_T4_T5_mT6_T7_P12ihipStream_tbENKUlT_T0_E_clISt17integral_constantIbLb1EES14_EEDaSZ_S10_EUlSZ_E_NS1_11comp_targetILNS1_3genE9ELNS1_11target_archE1100ELNS1_3gpuE3ELNS1_3repE0EEENS1_30default_config_static_selectorELNS0_4arch9wavefront6targetE1EEEvT1_,comdat
	.protected	_ZN7rocprim17ROCPRIM_400000_NS6detail17trampoline_kernelINS0_14default_configENS1_27scan_by_key_config_selectorIiiEEZZNS1_16scan_by_key_implILNS1_25lookback_scan_determinismE0ELb0ES3_N6thrust23THRUST_200600_302600_NS6detail15normal_iteratorINS9_10device_ptrIiEEEENS9_18transform_iteratorINS9_6negateIiEESE_NS9_11use_defaultESI_EESE_iNS9_4plusIvEENS9_8equal_toIvEEiEE10hipError_tPvRmT2_T3_T4_T5_mT6_T7_P12ihipStream_tbENKUlT_T0_E_clISt17integral_constantIbLb1EES14_EEDaSZ_S10_EUlSZ_E_NS1_11comp_targetILNS1_3genE9ELNS1_11target_archE1100ELNS1_3gpuE3ELNS1_3repE0EEENS1_30default_config_static_selectorELNS0_4arch9wavefront6targetE1EEEvT1_ ; -- Begin function _ZN7rocprim17ROCPRIM_400000_NS6detail17trampoline_kernelINS0_14default_configENS1_27scan_by_key_config_selectorIiiEEZZNS1_16scan_by_key_implILNS1_25lookback_scan_determinismE0ELb0ES3_N6thrust23THRUST_200600_302600_NS6detail15normal_iteratorINS9_10device_ptrIiEEEENS9_18transform_iteratorINS9_6negateIiEESE_NS9_11use_defaultESI_EESE_iNS9_4plusIvEENS9_8equal_toIvEEiEE10hipError_tPvRmT2_T3_T4_T5_mT6_T7_P12ihipStream_tbENKUlT_T0_E_clISt17integral_constantIbLb1EES14_EEDaSZ_S10_EUlSZ_E_NS1_11comp_targetILNS1_3genE9ELNS1_11target_archE1100ELNS1_3gpuE3ELNS1_3repE0EEENS1_30default_config_static_selectorELNS0_4arch9wavefront6targetE1EEEvT1_
	.globl	_ZN7rocprim17ROCPRIM_400000_NS6detail17trampoline_kernelINS0_14default_configENS1_27scan_by_key_config_selectorIiiEEZZNS1_16scan_by_key_implILNS1_25lookback_scan_determinismE0ELb0ES3_N6thrust23THRUST_200600_302600_NS6detail15normal_iteratorINS9_10device_ptrIiEEEENS9_18transform_iteratorINS9_6negateIiEESE_NS9_11use_defaultESI_EESE_iNS9_4plusIvEENS9_8equal_toIvEEiEE10hipError_tPvRmT2_T3_T4_T5_mT6_T7_P12ihipStream_tbENKUlT_T0_E_clISt17integral_constantIbLb1EES14_EEDaSZ_S10_EUlSZ_E_NS1_11comp_targetILNS1_3genE9ELNS1_11target_archE1100ELNS1_3gpuE3ELNS1_3repE0EEENS1_30default_config_static_selectorELNS0_4arch9wavefront6targetE1EEEvT1_
	.p2align	8
	.type	_ZN7rocprim17ROCPRIM_400000_NS6detail17trampoline_kernelINS0_14default_configENS1_27scan_by_key_config_selectorIiiEEZZNS1_16scan_by_key_implILNS1_25lookback_scan_determinismE0ELb0ES3_N6thrust23THRUST_200600_302600_NS6detail15normal_iteratorINS9_10device_ptrIiEEEENS9_18transform_iteratorINS9_6negateIiEESE_NS9_11use_defaultESI_EESE_iNS9_4plusIvEENS9_8equal_toIvEEiEE10hipError_tPvRmT2_T3_T4_T5_mT6_T7_P12ihipStream_tbENKUlT_T0_E_clISt17integral_constantIbLb1EES14_EEDaSZ_S10_EUlSZ_E_NS1_11comp_targetILNS1_3genE9ELNS1_11target_archE1100ELNS1_3gpuE3ELNS1_3repE0EEENS1_30default_config_static_selectorELNS0_4arch9wavefront6targetE1EEEvT1_,@function
_ZN7rocprim17ROCPRIM_400000_NS6detail17trampoline_kernelINS0_14default_configENS1_27scan_by_key_config_selectorIiiEEZZNS1_16scan_by_key_implILNS1_25lookback_scan_determinismE0ELb0ES3_N6thrust23THRUST_200600_302600_NS6detail15normal_iteratorINS9_10device_ptrIiEEEENS9_18transform_iteratorINS9_6negateIiEESE_NS9_11use_defaultESI_EESE_iNS9_4plusIvEENS9_8equal_toIvEEiEE10hipError_tPvRmT2_T3_T4_T5_mT6_T7_P12ihipStream_tbENKUlT_T0_E_clISt17integral_constantIbLb1EES14_EEDaSZ_S10_EUlSZ_E_NS1_11comp_targetILNS1_3genE9ELNS1_11target_archE1100ELNS1_3gpuE3ELNS1_3repE0EEENS1_30default_config_static_selectorELNS0_4arch9wavefront6targetE1EEEvT1_: ; @_ZN7rocprim17ROCPRIM_400000_NS6detail17trampoline_kernelINS0_14default_configENS1_27scan_by_key_config_selectorIiiEEZZNS1_16scan_by_key_implILNS1_25lookback_scan_determinismE0ELb0ES3_N6thrust23THRUST_200600_302600_NS6detail15normal_iteratorINS9_10device_ptrIiEEEENS9_18transform_iteratorINS9_6negateIiEESE_NS9_11use_defaultESI_EESE_iNS9_4plusIvEENS9_8equal_toIvEEiEE10hipError_tPvRmT2_T3_T4_T5_mT6_T7_P12ihipStream_tbENKUlT_T0_E_clISt17integral_constantIbLb1EES14_EEDaSZ_S10_EUlSZ_E_NS1_11comp_targetILNS1_3genE9ELNS1_11target_archE1100ELNS1_3gpuE3ELNS1_3repE0EEENS1_30default_config_static_selectorELNS0_4arch9wavefront6targetE1EEEvT1_
; %bb.0:
	.section	.rodata,"a",@progbits
	.p2align	6, 0x0
	.amdhsa_kernel _ZN7rocprim17ROCPRIM_400000_NS6detail17trampoline_kernelINS0_14default_configENS1_27scan_by_key_config_selectorIiiEEZZNS1_16scan_by_key_implILNS1_25lookback_scan_determinismE0ELb0ES3_N6thrust23THRUST_200600_302600_NS6detail15normal_iteratorINS9_10device_ptrIiEEEENS9_18transform_iteratorINS9_6negateIiEESE_NS9_11use_defaultESI_EESE_iNS9_4plusIvEENS9_8equal_toIvEEiEE10hipError_tPvRmT2_T3_T4_T5_mT6_T7_P12ihipStream_tbENKUlT_T0_E_clISt17integral_constantIbLb1EES14_EEDaSZ_S10_EUlSZ_E_NS1_11comp_targetILNS1_3genE9ELNS1_11target_archE1100ELNS1_3gpuE3ELNS1_3repE0EEENS1_30default_config_static_selectorELNS0_4arch9wavefront6targetE1EEEvT1_
		.amdhsa_group_segment_fixed_size 0
		.amdhsa_private_segment_fixed_size 0
		.amdhsa_kernarg_size 120
		.amdhsa_user_sgpr_count 6
		.amdhsa_user_sgpr_private_segment_buffer 1
		.amdhsa_user_sgpr_dispatch_ptr 0
		.amdhsa_user_sgpr_queue_ptr 0
		.amdhsa_user_sgpr_kernarg_segment_ptr 1
		.amdhsa_user_sgpr_dispatch_id 0
		.amdhsa_user_sgpr_flat_scratch_init 0
		.amdhsa_user_sgpr_kernarg_preload_length 0
		.amdhsa_user_sgpr_kernarg_preload_offset 0
		.amdhsa_user_sgpr_private_segment_size 0
		.amdhsa_uses_dynamic_stack 0
		.amdhsa_system_sgpr_private_segment_wavefront_offset 0
		.amdhsa_system_sgpr_workgroup_id_x 1
		.amdhsa_system_sgpr_workgroup_id_y 0
		.amdhsa_system_sgpr_workgroup_id_z 0
		.amdhsa_system_sgpr_workgroup_info 0
		.amdhsa_system_vgpr_workitem_id 0
		.amdhsa_next_free_vgpr 1
		.amdhsa_next_free_sgpr 0
		.amdhsa_accum_offset 4
		.amdhsa_reserve_vcc 0
		.amdhsa_reserve_flat_scratch 0
		.amdhsa_float_round_mode_32 0
		.amdhsa_float_round_mode_16_64 0
		.amdhsa_float_denorm_mode_32 3
		.amdhsa_float_denorm_mode_16_64 3
		.amdhsa_dx10_clamp 1
		.amdhsa_ieee_mode 1
		.amdhsa_fp16_overflow 0
		.amdhsa_tg_split 0
		.amdhsa_exception_fp_ieee_invalid_op 0
		.amdhsa_exception_fp_denorm_src 0
		.amdhsa_exception_fp_ieee_div_zero 0
		.amdhsa_exception_fp_ieee_overflow 0
		.amdhsa_exception_fp_ieee_underflow 0
		.amdhsa_exception_fp_ieee_inexact 0
		.amdhsa_exception_int_div_zero 0
	.end_amdhsa_kernel
	.section	.text._ZN7rocprim17ROCPRIM_400000_NS6detail17trampoline_kernelINS0_14default_configENS1_27scan_by_key_config_selectorIiiEEZZNS1_16scan_by_key_implILNS1_25lookback_scan_determinismE0ELb0ES3_N6thrust23THRUST_200600_302600_NS6detail15normal_iteratorINS9_10device_ptrIiEEEENS9_18transform_iteratorINS9_6negateIiEESE_NS9_11use_defaultESI_EESE_iNS9_4plusIvEENS9_8equal_toIvEEiEE10hipError_tPvRmT2_T3_T4_T5_mT6_T7_P12ihipStream_tbENKUlT_T0_E_clISt17integral_constantIbLb1EES14_EEDaSZ_S10_EUlSZ_E_NS1_11comp_targetILNS1_3genE9ELNS1_11target_archE1100ELNS1_3gpuE3ELNS1_3repE0EEENS1_30default_config_static_selectorELNS0_4arch9wavefront6targetE1EEEvT1_,"axG",@progbits,_ZN7rocprim17ROCPRIM_400000_NS6detail17trampoline_kernelINS0_14default_configENS1_27scan_by_key_config_selectorIiiEEZZNS1_16scan_by_key_implILNS1_25lookback_scan_determinismE0ELb0ES3_N6thrust23THRUST_200600_302600_NS6detail15normal_iteratorINS9_10device_ptrIiEEEENS9_18transform_iteratorINS9_6negateIiEESE_NS9_11use_defaultESI_EESE_iNS9_4plusIvEENS9_8equal_toIvEEiEE10hipError_tPvRmT2_T3_T4_T5_mT6_T7_P12ihipStream_tbENKUlT_T0_E_clISt17integral_constantIbLb1EES14_EEDaSZ_S10_EUlSZ_E_NS1_11comp_targetILNS1_3genE9ELNS1_11target_archE1100ELNS1_3gpuE3ELNS1_3repE0EEENS1_30default_config_static_selectorELNS0_4arch9wavefront6targetE1EEEvT1_,comdat
.Lfunc_end945:
	.size	_ZN7rocprim17ROCPRIM_400000_NS6detail17trampoline_kernelINS0_14default_configENS1_27scan_by_key_config_selectorIiiEEZZNS1_16scan_by_key_implILNS1_25lookback_scan_determinismE0ELb0ES3_N6thrust23THRUST_200600_302600_NS6detail15normal_iteratorINS9_10device_ptrIiEEEENS9_18transform_iteratorINS9_6negateIiEESE_NS9_11use_defaultESI_EESE_iNS9_4plusIvEENS9_8equal_toIvEEiEE10hipError_tPvRmT2_T3_T4_T5_mT6_T7_P12ihipStream_tbENKUlT_T0_E_clISt17integral_constantIbLb1EES14_EEDaSZ_S10_EUlSZ_E_NS1_11comp_targetILNS1_3genE9ELNS1_11target_archE1100ELNS1_3gpuE3ELNS1_3repE0EEENS1_30default_config_static_selectorELNS0_4arch9wavefront6targetE1EEEvT1_, .Lfunc_end945-_ZN7rocprim17ROCPRIM_400000_NS6detail17trampoline_kernelINS0_14default_configENS1_27scan_by_key_config_selectorIiiEEZZNS1_16scan_by_key_implILNS1_25lookback_scan_determinismE0ELb0ES3_N6thrust23THRUST_200600_302600_NS6detail15normal_iteratorINS9_10device_ptrIiEEEENS9_18transform_iteratorINS9_6negateIiEESE_NS9_11use_defaultESI_EESE_iNS9_4plusIvEENS9_8equal_toIvEEiEE10hipError_tPvRmT2_T3_T4_T5_mT6_T7_P12ihipStream_tbENKUlT_T0_E_clISt17integral_constantIbLb1EES14_EEDaSZ_S10_EUlSZ_E_NS1_11comp_targetILNS1_3genE9ELNS1_11target_archE1100ELNS1_3gpuE3ELNS1_3repE0EEENS1_30default_config_static_selectorELNS0_4arch9wavefront6targetE1EEEvT1_
                                        ; -- End function
	.section	.AMDGPU.csdata,"",@progbits
; Kernel info:
; codeLenInByte = 0
; NumSgprs: 4
; NumVgprs: 0
; NumAgprs: 0
; TotalNumVgprs: 0
; ScratchSize: 0
; MemoryBound: 0
; FloatMode: 240
; IeeeMode: 1
; LDSByteSize: 0 bytes/workgroup (compile time only)
; SGPRBlocks: 0
; VGPRBlocks: 0
; NumSGPRsForWavesPerEU: 4
; NumVGPRsForWavesPerEU: 1
; AccumOffset: 4
; Occupancy: 8
; WaveLimiterHint : 0
; COMPUTE_PGM_RSRC2:SCRATCH_EN: 0
; COMPUTE_PGM_RSRC2:USER_SGPR: 6
; COMPUTE_PGM_RSRC2:TRAP_HANDLER: 0
; COMPUTE_PGM_RSRC2:TGID_X_EN: 1
; COMPUTE_PGM_RSRC2:TGID_Y_EN: 0
; COMPUTE_PGM_RSRC2:TGID_Z_EN: 0
; COMPUTE_PGM_RSRC2:TIDIG_COMP_CNT: 0
; COMPUTE_PGM_RSRC3_GFX90A:ACCUM_OFFSET: 0
; COMPUTE_PGM_RSRC3_GFX90A:TG_SPLIT: 0
	.section	.text._ZN7rocprim17ROCPRIM_400000_NS6detail17trampoline_kernelINS0_14default_configENS1_27scan_by_key_config_selectorIiiEEZZNS1_16scan_by_key_implILNS1_25lookback_scan_determinismE0ELb0ES3_N6thrust23THRUST_200600_302600_NS6detail15normal_iteratorINS9_10device_ptrIiEEEENS9_18transform_iteratorINS9_6negateIiEESE_NS9_11use_defaultESI_EESE_iNS9_4plusIvEENS9_8equal_toIvEEiEE10hipError_tPvRmT2_T3_T4_T5_mT6_T7_P12ihipStream_tbENKUlT_T0_E_clISt17integral_constantIbLb1EES14_EEDaSZ_S10_EUlSZ_E_NS1_11comp_targetILNS1_3genE8ELNS1_11target_archE1030ELNS1_3gpuE2ELNS1_3repE0EEENS1_30default_config_static_selectorELNS0_4arch9wavefront6targetE1EEEvT1_,"axG",@progbits,_ZN7rocprim17ROCPRIM_400000_NS6detail17trampoline_kernelINS0_14default_configENS1_27scan_by_key_config_selectorIiiEEZZNS1_16scan_by_key_implILNS1_25lookback_scan_determinismE0ELb0ES3_N6thrust23THRUST_200600_302600_NS6detail15normal_iteratorINS9_10device_ptrIiEEEENS9_18transform_iteratorINS9_6negateIiEESE_NS9_11use_defaultESI_EESE_iNS9_4plusIvEENS9_8equal_toIvEEiEE10hipError_tPvRmT2_T3_T4_T5_mT6_T7_P12ihipStream_tbENKUlT_T0_E_clISt17integral_constantIbLb1EES14_EEDaSZ_S10_EUlSZ_E_NS1_11comp_targetILNS1_3genE8ELNS1_11target_archE1030ELNS1_3gpuE2ELNS1_3repE0EEENS1_30default_config_static_selectorELNS0_4arch9wavefront6targetE1EEEvT1_,comdat
	.protected	_ZN7rocprim17ROCPRIM_400000_NS6detail17trampoline_kernelINS0_14default_configENS1_27scan_by_key_config_selectorIiiEEZZNS1_16scan_by_key_implILNS1_25lookback_scan_determinismE0ELb0ES3_N6thrust23THRUST_200600_302600_NS6detail15normal_iteratorINS9_10device_ptrIiEEEENS9_18transform_iteratorINS9_6negateIiEESE_NS9_11use_defaultESI_EESE_iNS9_4plusIvEENS9_8equal_toIvEEiEE10hipError_tPvRmT2_T3_T4_T5_mT6_T7_P12ihipStream_tbENKUlT_T0_E_clISt17integral_constantIbLb1EES14_EEDaSZ_S10_EUlSZ_E_NS1_11comp_targetILNS1_3genE8ELNS1_11target_archE1030ELNS1_3gpuE2ELNS1_3repE0EEENS1_30default_config_static_selectorELNS0_4arch9wavefront6targetE1EEEvT1_ ; -- Begin function _ZN7rocprim17ROCPRIM_400000_NS6detail17trampoline_kernelINS0_14default_configENS1_27scan_by_key_config_selectorIiiEEZZNS1_16scan_by_key_implILNS1_25lookback_scan_determinismE0ELb0ES3_N6thrust23THRUST_200600_302600_NS6detail15normal_iteratorINS9_10device_ptrIiEEEENS9_18transform_iteratorINS9_6negateIiEESE_NS9_11use_defaultESI_EESE_iNS9_4plusIvEENS9_8equal_toIvEEiEE10hipError_tPvRmT2_T3_T4_T5_mT6_T7_P12ihipStream_tbENKUlT_T0_E_clISt17integral_constantIbLb1EES14_EEDaSZ_S10_EUlSZ_E_NS1_11comp_targetILNS1_3genE8ELNS1_11target_archE1030ELNS1_3gpuE2ELNS1_3repE0EEENS1_30default_config_static_selectorELNS0_4arch9wavefront6targetE1EEEvT1_
	.globl	_ZN7rocprim17ROCPRIM_400000_NS6detail17trampoline_kernelINS0_14default_configENS1_27scan_by_key_config_selectorIiiEEZZNS1_16scan_by_key_implILNS1_25lookback_scan_determinismE0ELb0ES3_N6thrust23THRUST_200600_302600_NS6detail15normal_iteratorINS9_10device_ptrIiEEEENS9_18transform_iteratorINS9_6negateIiEESE_NS9_11use_defaultESI_EESE_iNS9_4plusIvEENS9_8equal_toIvEEiEE10hipError_tPvRmT2_T3_T4_T5_mT6_T7_P12ihipStream_tbENKUlT_T0_E_clISt17integral_constantIbLb1EES14_EEDaSZ_S10_EUlSZ_E_NS1_11comp_targetILNS1_3genE8ELNS1_11target_archE1030ELNS1_3gpuE2ELNS1_3repE0EEENS1_30default_config_static_selectorELNS0_4arch9wavefront6targetE1EEEvT1_
	.p2align	8
	.type	_ZN7rocprim17ROCPRIM_400000_NS6detail17trampoline_kernelINS0_14default_configENS1_27scan_by_key_config_selectorIiiEEZZNS1_16scan_by_key_implILNS1_25lookback_scan_determinismE0ELb0ES3_N6thrust23THRUST_200600_302600_NS6detail15normal_iteratorINS9_10device_ptrIiEEEENS9_18transform_iteratorINS9_6negateIiEESE_NS9_11use_defaultESI_EESE_iNS9_4plusIvEENS9_8equal_toIvEEiEE10hipError_tPvRmT2_T3_T4_T5_mT6_T7_P12ihipStream_tbENKUlT_T0_E_clISt17integral_constantIbLb1EES14_EEDaSZ_S10_EUlSZ_E_NS1_11comp_targetILNS1_3genE8ELNS1_11target_archE1030ELNS1_3gpuE2ELNS1_3repE0EEENS1_30default_config_static_selectorELNS0_4arch9wavefront6targetE1EEEvT1_,@function
_ZN7rocprim17ROCPRIM_400000_NS6detail17trampoline_kernelINS0_14default_configENS1_27scan_by_key_config_selectorIiiEEZZNS1_16scan_by_key_implILNS1_25lookback_scan_determinismE0ELb0ES3_N6thrust23THRUST_200600_302600_NS6detail15normal_iteratorINS9_10device_ptrIiEEEENS9_18transform_iteratorINS9_6negateIiEESE_NS9_11use_defaultESI_EESE_iNS9_4plusIvEENS9_8equal_toIvEEiEE10hipError_tPvRmT2_T3_T4_T5_mT6_T7_P12ihipStream_tbENKUlT_T0_E_clISt17integral_constantIbLb1EES14_EEDaSZ_S10_EUlSZ_E_NS1_11comp_targetILNS1_3genE8ELNS1_11target_archE1030ELNS1_3gpuE2ELNS1_3repE0EEENS1_30default_config_static_selectorELNS0_4arch9wavefront6targetE1EEEvT1_: ; @_ZN7rocprim17ROCPRIM_400000_NS6detail17trampoline_kernelINS0_14default_configENS1_27scan_by_key_config_selectorIiiEEZZNS1_16scan_by_key_implILNS1_25lookback_scan_determinismE0ELb0ES3_N6thrust23THRUST_200600_302600_NS6detail15normal_iteratorINS9_10device_ptrIiEEEENS9_18transform_iteratorINS9_6negateIiEESE_NS9_11use_defaultESI_EESE_iNS9_4plusIvEENS9_8equal_toIvEEiEE10hipError_tPvRmT2_T3_T4_T5_mT6_T7_P12ihipStream_tbENKUlT_T0_E_clISt17integral_constantIbLb1EES14_EEDaSZ_S10_EUlSZ_E_NS1_11comp_targetILNS1_3genE8ELNS1_11target_archE1030ELNS1_3gpuE2ELNS1_3repE0EEENS1_30default_config_static_selectorELNS0_4arch9wavefront6targetE1EEEvT1_
; %bb.0:
	.section	.rodata,"a",@progbits
	.p2align	6, 0x0
	.amdhsa_kernel _ZN7rocprim17ROCPRIM_400000_NS6detail17trampoline_kernelINS0_14default_configENS1_27scan_by_key_config_selectorIiiEEZZNS1_16scan_by_key_implILNS1_25lookback_scan_determinismE0ELb0ES3_N6thrust23THRUST_200600_302600_NS6detail15normal_iteratorINS9_10device_ptrIiEEEENS9_18transform_iteratorINS9_6negateIiEESE_NS9_11use_defaultESI_EESE_iNS9_4plusIvEENS9_8equal_toIvEEiEE10hipError_tPvRmT2_T3_T4_T5_mT6_T7_P12ihipStream_tbENKUlT_T0_E_clISt17integral_constantIbLb1EES14_EEDaSZ_S10_EUlSZ_E_NS1_11comp_targetILNS1_3genE8ELNS1_11target_archE1030ELNS1_3gpuE2ELNS1_3repE0EEENS1_30default_config_static_selectorELNS0_4arch9wavefront6targetE1EEEvT1_
		.amdhsa_group_segment_fixed_size 0
		.amdhsa_private_segment_fixed_size 0
		.amdhsa_kernarg_size 120
		.amdhsa_user_sgpr_count 6
		.amdhsa_user_sgpr_private_segment_buffer 1
		.amdhsa_user_sgpr_dispatch_ptr 0
		.amdhsa_user_sgpr_queue_ptr 0
		.amdhsa_user_sgpr_kernarg_segment_ptr 1
		.amdhsa_user_sgpr_dispatch_id 0
		.amdhsa_user_sgpr_flat_scratch_init 0
		.amdhsa_user_sgpr_kernarg_preload_length 0
		.amdhsa_user_sgpr_kernarg_preload_offset 0
		.amdhsa_user_sgpr_private_segment_size 0
		.amdhsa_uses_dynamic_stack 0
		.amdhsa_system_sgpr_private_segment_wavefront_offset 0
		.amdhsa_system_sgpr_workgroup_id_x 1
		.amdhsa_system_sgpr_workgroup_id_y 0
		.amdhsa_system_sgpr_workgroup_id_z 0
		.amdhsa_system_sgpr_workgroup_info 0
		.amdhsa_system_vgpr_workitem_id 0
		.amdhsa_next_free_vgpr 1
		.amdhsa_next_free_sgpr 0
		.amdhsa_accum_offset 4
		.amdhsa_reserve_vcc 0
		.amdhsa_reserve_flat_scratch 0
		.amdhsa_float_round_mode_32 0
		.amdhsa_float_round_mode_16_64 0
		.amdhsa_float_denorm_mode_32 3
		.amdhsa_float_denorm_mode_16_64 3
		.amdhsa_dx10_clamp 1
		.amdhsa_ieee_mode 1
		.amdhsa_fp16_overflow 0
		.amdhsa_tg_split 0
		.amdhsa_exception_fp_ieee_invalid_op 0
		.amdhsa_exception_fp_denorm_src 0
		.amdhsa_exception_fp_ieee_div_zero 0
		.amdhsa_exception_fp_ieee_overflow 0
		.amdhsa_exception_fp_ieee_underflow 0
		.amdhsa_exception_fp_ieee_inexact 0
		.amdhsa_exception_int_div_zero 0
	.end_amdhsa_kernel
	.section	.text._ZN7rocprim17ROCPRIM_400000_NS6detail17trampoline_kernelINS0_14default_configENS1_27scan_by_key_config_selectorIiiEEZZNS1_16scan_by_key_implILNS1_25lookback_scan_determinismE0ELb0ES3_N6thrust23THRUST_200600_302600_NS6detail15normal_iteratorINS9_10device_ptrIiEEEENS9_18transform_iteratorINS9_6negateIiEESE_NS9_11use_defaultESI_EESE_iNS9_4plusIvEENS9_8equal_toIvEEiEE10hipError_tPvRmT2_T3_T4_T5_mT6_T7_P12ihipStream_tbENKUlT_T0_E_clISt17integral_constantIbLb1EES14_EEDaSZ_S10_EUlSZ_E_NS1_11comp_targetILNS1_3genE8ELNS1_11target_archE1030ELNS1_3gpuE2ELNS1_3repE0EEENS1_30default_config_static_selectorELNS0_4arch9wavefront6targetE1EEEvT1_,"axG",@progbits,_ZN7rocprim17ROCPRIM_400000_NS6detail17trampoline_kernelINS0_14default_configENS1_27scan_by_key_config_selectorIiiEEZZNS1_16scan_by_key_implILNS1_25lookback_scan_determinismE0ELb0ES3_N6thrust23THRUST_200600_302600_NS6detail15normal_iteratorINS9_10device_ptrIiEEEENS9_18transform_iteratorINS9_6negateIiEESE_NS9_11use_defaultESI_EESE_iNS9_4plusIvEENS9_8equal_toIvEEiEE10hipError_tPvRmT2_T3_T4_T5_mT6_T7_P12ihipStream_tbENKUlT_T0_E_clISt17integral_constantIbLb1EES14_EEDaSZ_S10_EUlSZ_E_NS1_11comp_targetILNS1_3genE8ELNS1_11target_archE1030ELNS1_3gpuE2ELNS1_3repE0EEENS1_30default_config_static_selectorELNS0_4arch9wavefront6targetE1EEEvT1_,comdat
.Lfunc_end946:
	.size	_ZN7rocprim17ROCPRIM_400000_NS6detail17trampoline_kernelINS0_14default_configENS1_27scan_by_key_config_selectorIiiEEZZNS1_16scan_by_key_implILNS1_25lookback_scan_determinismE0ELb0ES3_N6thrust23THRUST_200600_302600_NS6detail15normal_iteratorINS9_10device_ptrIiEEEENS9_18transform_iteratorINS9_6negateIiEESE_NS9_11use_defaultESI_EESE_iNS9_4plusIvEENS9_8equal_toIvEEiEE10hipError_tPvRmT2_T3_T4_T5_mT6_T7_P12ihipStream_tbENKUlT_T0_E_clISt17integral_constantIbLb1EES14_EEDaSZ_S10_EUlSZ_E_NS1_11comp_targetILNS1_3genE8ELNS1_11target_archE1030ELNS1_3gpuE2ELNS1_3repE0EEENS1_30default_config_static_selectorELNS0_4arch9wavefront6targetE1EEEvT1_, .Lfunc_end946-_ZN7rocprim17ROCPRIM_400000_NS6detail17trampoline_kernelINS0_14default_configENS1_27scan_by_key_config_selectorIiiEEZZNS1_16scan_by_key_implILNS1_25lookback_scan_determinismE0ELb0ES3_N6thrust23THRUST_200600_302600_NS6detail15normal_iteratorINS9_10device_ptrIiEEEENS9_18transform_iteratorINS9_6negateIiEESE_NS9_11use_defaultESI_EESE_iNS9_4plusIvEENS9_8equal_toIvEEiEE10hipError_tPvRmT2_T3_T4_T5_mT6_T7_P12ihipStream_tbENKUlT_T0_E_clISt17integral_constantIbLb1EES14_EEDaSZ_S10_EUlSZ_E_NS1_11comp_targetILNS1_3genE8ELNS1_11target_archE1030ELNS1_3gpuE2ELNS1_3repE0EEENS1_30default_config_static_selectorELNS0_4arch9wavefront6targetE1EEEvT1_
                                        ; -- End function
	.section	.AMDGPU.csdata,"",@progbits
; Kernel info:
; codeLenInByte = 0
; NumSgprs: 4
; NumVgprs: 0
; NumAgprs: 0
; TotalNumVgprs: 0
; ScratchSize: 0
; MemoryBound: 0
; FloatMode: 240
; IeeeMode: 1
; LDSByteSize: 0 bytes/workgroup (compile time only)
; SGPRBlocks: 0
; VGPRBlocks: 0
; NumSGPRsForWavesPerEU: 4
; NumVGPRsForWavesPerEU: 1
; AccumOffset: 4
; Occupancy: 8
; WaveLimiterHint : 0
; COMPUTE_PGM_RSRC2:SCRATCH_EN: 0
; COMPUTE_PGM_RSRC2:USER_SGPR: 6
; COMPUTE_PGM_RSRC2:TRAP_HANDLER: 0
; COMPUTE_PGM_RSRC2:TGID_X_EN: 1
; COMPUTE_PGM_RSRC2:TGID_Y_EN: 0
; COMPUTE_PGM_RSRC2:TGID_Z_EN: 0
; COMPUTE_PGM_RSRC2:TIDIG_COMP_CNT: 0
; COMPUTE_PGM_RSRC3_GFX90A:ACCUM_OFFSET: 0
; COMPUTE_PGM_RSRC3_GFX90A:TG_SPLIT: 0
	.section	.text._ZN7rocprim17ROCPRIM_400000_NS6detail17trampoline_kernelINS0_14default_configENS1_27scan_by_key_config_selectorIiiEEZZNS1_16scan_by_key_implILNS1_25lookback_scan_determinismE0ELb0ES3_N6thrust23THRUST_200600_302600_NS6detail15normal_iteratorINS9_10device_ptrIiEEEENS9_18transform_iteratorINS9_6negateIiEESE_NS9_11use_defaultESI_EESE_iNS9_4plusIvEENS9_8equal_toIvEEiEE10hipError_tPvRmT2_T3_T4_T5_mT6_T7_P12ihipStream_tbENKUlT_T0_E_clISt17integral_constantIbLb1EES13_IbLb0EEEEDaSZ_S10_EUlSZ_E_NS1_11comp_targetILNS1_3genE0ELNS1_11target_archE4294967295ELNS1_3gpuE0ELNS1_3repE0EEENS1_30default_config_static_selectorELNS0_4arch9wavefront6targetE1EEEvT1_,"axG",@progbits,_ZN7rocprim17ROCPRIM_400000_NS6detail17trampoline_kernelINS0_14default_configENS1_27scan_by_key_config_selectorIiiEEZZNS1_16scan_by_key_implILNS1_25lookback_scan_determinismE0ELb0ES3_N6thrust23THRUST_200600_302600_NS6detail15normal_iteratorINS9_10device_ptrIiEEEENS9_18transform_iteratorINS9_6negateIiEESE_NS9_11use_defaultESI_EESE_iNS9_4plusIvEENS9_8equal_toIvEEiEE10hipError_tPvRmT2_T3_T4_T5_mT6_T7_P12ihipStream_tbENKUlT_T0_E_clISt17integral_constantIbLb1EES13_IbLb0EEEEDaSZ_S10_EUlSZ_E_NS1_11comp_targetILNS1_3genE0ELNS1_11target_archE4294967295ELNS1_3gpuE0ELNS1_3repE0EEENS1_30default_config_static_selectorELNS0_4arch9wavefront6targetE1EEEvT1_,comdat
	.protected	_ZN7rocprim17ROCPRIM_400000_NS6detail17trampoline_kernelINS0_14default_configENS1_27scan_by_key_config_selectorIiiEEZZNS1_16scan_by_key_implILNS1_25lookback_scan_determinismE0ELb0ES3_N6thrust23THRUST_200600_302600_NS6detail15normal_iteratorINS9_10device_ptrIiEEEENS9_18transform_iteratorINS9_6negateIiEESE_NS9_11use_defaultESI_EESE_iNS9_4plusIvEENS9_8equal_toIvEEiEE10hipError_tPvRmT2_T3_T4_T5_mT6_T7_P12ihipStream_tbENKUlT_T0_E_clISt17integral_constantIbLb1EES13_IbLb0EEEEDaSZ_S10_EUlSZ_E_NS1_11comp_targetILNS1_3genE0ELNS1_11target_archE4294967295ELNS1_3gpuE0ELNS1_3repE0EEENS1_30default_config_static_selectorELNS0_4arch9wavefront6targetE1EEEvT1_ ; -- Begin function _ZN7rocprim17ROCPRIM_400000_NS6detail17trampoline_kernelINS0_14default_configENS1_27scan_by_key_config_selectorIiiEEZZNS1_16scan_by_key_implILNS1_25lookback_scan_determinismE0ELb0ES3_N6thrust23THRUST_200600_302600_NS6detail15normal_iteratorINS9_10device_ptrIiEEEENS9_18transform_iteratorINS9_6negateIiEESE_NS9_11use_defaultESI_EESE_iNS9_4plusIvEENS9_8equal_toIvEEiEE10hipError_tPvRmT2_T3_T4_T5_mT6_T7_P12ihipStream_tbENKUlT_T0_E_clISt17integral_constantIbLb1EES13_IbLb0EEEEDaSZ_S10_EUlSZ_E_NS1_11comp_targetILNS1_3genE0ELNS1_11target_archE4294967295ELNS1_3gpuE0ELNS1_3repE0EEENS1_30default_config_static_selectorELNS0_4arch9wavefront6targetE1EEEvT1_
	.globl	_ZN7rocprim17ROCPRIM_400000_NS6detail17trampoline_kernelINS0_14default_configENS1_27scan_by_key_config_selectorIiiEEZZNS1_16scan_by_key_implILNS1_25lookback_scan_determinismE0ELb0ES3_N6thrust23THRUST_200600_302600_NS6detail15normal_iteratorINS9_10device_ptrIiEEEENS9_18transform_iteratorINS9_6negateIiEESE_NS9_11use_defaultESI_EESE_iNS9_4plusIvEENS9_8equal_toIvEEiEE10hipError_tPvRmT2_T3_T4_T5_mT6_T7_P12ihipStream_tbENKUlT_T0_E_clISt17integral_constantIbLb1EES13_IbLb0EEEEDaSZ_S10_EUlSZ_E_NS1_11comp_targetILNS1_3genE0ELNS1_11target_archE4294967295ELNS1_3gpuE0ELNS1_3repE0EEENS1_30default_config_static_selectorELNS0_4arch9wavefront6targetE1EEEvT1_
	.p2align	8
	.type	_ZN7rocprim17ROCPRIM_400000_NS6detail17trampoline_kernelINS0_14default_configENS1_27scan_by_key_config_selectorIiiEEZZNS1_16scan_by_key_implILNS1_25lookback_scan_determinismE0ELb0ES3_N6thrust23THRUST_200600_302600_NS6detail15normal_iteratorINS9_10device_ptrIiEEEENS9_18transform_iteratorINS9_6negateIiEESE_NS9_11use_defaultESI_EESE_iNS9_4plusIvEENS9_8equal_toIvEEiEE10hipError_tPvRmT2_T3_T4_T5_mT6_T7_P12ihipStream_tbENKUlT_T0_E_clISt17integral_constantIbLb1EES13_IbLb0EEEEDaSZ_S10_EUlSZ_E_NS1_11comp_targetILNS1_3genE0ELNS1_11target_archE4294967295ELNS1_3gpuE0ELNS1_3repE0EEENS1_30default_config_static_selectorELNS0_4arch9wavefront6targetE1EEEvT1_,@function
_ZN7rocprim17ROCPRIM_400000_NS6detail17trampoline_kernelINS0_14default_configENS1_27scan_by_key_config_selectorIiiEEZZNS1_16scan_by_key_implILNS1_25lookback_scan_determinismE0ELb0ES3_N6thrust23THRUST_200600_302600_NS6detail15normal_iteratorINS9_10device_ptrIiEEEENS9_18transform_iteratorINS9_6negateIiEESE_NS9_11use_defaultESI_EESE_iNS9_4plusIvEENS9_8equal_toIvEEiEE10hipError_tPvRmT2_T3_T4_T5_mT6_T7_P12ihipStream_tbENKUlT_T0_E_clISt17integral_constantIbLb1EES13_IbLb0EEEEDaSZ_S10_EUlSZ_E_NS1_11comp_targetILNS1_3genE0ELNS1_11target_archE4294967295ELNS1_3gpuE0ELNS1_3repE0EEENS1_30default_config_static_selectorELNS0_4arch9wavefront6targetE1EEEvT1_: ; @_ZN7rocprim17ROCPRIM_400000_NS6detail17trampoline_kernelINS0_14default_configENS1_27scan_by_key_config_selectorIiiEEZZNS1_16scan_by_key_implILNS1_25lookback_scan_determinismE0ELb0ES3_N6thrust23THRUST_200600_302600_NS6detail15normal_iteratorINS9_10device_ptrIiEEEENS9_18transform_iteratorINS9_6negateIiEESE_NS9_11use_defaultESI_EESE_iNS9_4plusIvEENS9_8equal_toIvEEiEE10hipError_tPvRmT2_T3_T4_T5_mT6_T7_P12ihipStream_tbENKUlT_T0_E_clISt17integral_constantIbLb1EES13_IbLb0EEEEDaSZ_S10_EUlSZ_E_NS1_11comp_targetILNS1_3genE0ELNS1_11target_archE4294967295ELNS1_3gpuE0ELNS1_3repE0EEENS1_30default_config_static_selectorELNS0_4arch9wavefront6targetE1EEEvT1_
; %bb.0:
	.section	.rodata,"a",@progbits
	.p2align	6, 0x0
	.amdhsa_kernel _ZN7rocprim17ROCPRIM_400000_NS6detail17trampoline_kernelINS0_14default_configENS1_27scan_by_key_config_selectorIiiEEZZNS1_16scan_by_key_implILNS1_25lookback_scan_determinismE0ELb0ES3_N6thrust23THRUST_200600_302600_NS6detail15normal_iteratorINS9_10device_ptrIiEEEENS9_18transform_iteratorINS9_6negateIiEESE_NS9_11use_defaultESI_EESE_iNS9_4plusIvEENS9_8equal_toIvEEiEE10hipError_tPvRmT2_T3_T4_T5_mT6_T7_P12ihipStream_tbENKUlT_T0_E_clISt17integral_constantIbLb1EES13_IbLb0EEEEDaSZ_S10_EUlSZ_E_NS1_11comp_targetILNS1_3genE0ELNS1_11target_archE4294967295ELNS1_3gpuE0ELNS1_3repE0EEENS1_30default_config_static_selectorELNS0_4arch9wavefront6targetE1EEEvT1_
		.amdhsa_group_segment_fixed_size 0
		.amdhsa_private_segment_fixed_size 0
		.amdhsa_kernarg_size 120
		.amdhsa_user_sgpr_count 6
		.amdhsa_user_sgpr_private_segment_buffer 1
		.amdhsa_user_sgpr_dispatch_ptr 0
		.amdhsa_user_sgpr_queue_ptr 0
		.amdhsa_user_sgpr_kernarg_segment_ptr 1
		.amdhsa_user_sgpr_dispatch_id 0
		.amdhsa_user_sgpr_flat_scratch_init 0
		.amdhsa_user_sgpr_kernarg_preload_length 0
		.amdhsa_user_sgpr_kernarg_preload_offset 0
		.amdhsa_user_sgpr_private_segment_size 0
		.amdhsa_uses_dynamic_stack 0
		.amdhsa_system_sgpr_private_segment_wavefront_offset 0
		.amdhsa_system_sgpr_workgroup_id_x 1
		.amdhsa_system_sgpr_workgroup_id_y 0
		.amdhsa_system_sgpr_workgroup_id_z 0
		.amdhsa_system_sgpr_workgroup_info 0
		.amdhsa_system_vgpr_workitem_id 0
		.amdhsa_next_free_vgpr 1
		.amdhsa_next_free_sgpr 0
		.amdhsa_accum_offset 4
		.amdhsa_reserve_vcc 0
		.amdhsa_reserve_flat_scratch 0
		.amdhsa_float_round_mode_32 0
		.amdhsa_float_round_mode_16_64 0
		.amdhsa_float_denorm_mode_32 3
		.amdhsa_float_denorm_mode_16_64 3
		.amdhsa_dx10_clamp 1
		.amdhsa_ieee_mode 1
		.amdhsa_fp16_overflow 0
		.amdhsa_tg_split 0
		.amdhsa_exception_fp_ieee_invalid_op 0
		.amdhsa_exception_fp_denorm_src 0
		.amdhsa_exception_fp_ieee_div_zero 0
		.amdhsa_exception_fp_ieee_overflow 0
		.amdhsa_exception_fp_ieee_underflow 0
		.amdhsa_exception_fp_ieee_inexact 0
		.amdhsa_exception_int_div_zero 0
	.end_amdhsa_kernel
	.section	.text._ZN7rocprim17ROCPRIM_400000_NS6detail17trampoline_kernelINS0_14default_configENS1_27scan_by_key_config_selectorIiiEEZZNS1_16scan_by_key_implILNS1_25lookback_scan_determinismE0ELb0ES3_N6thrust23THRUST_200600_302600_NS6detail15normal_iteratorINS9_10device_ptrIiEEEENS9_18transform_iteratorINS9_6negateIiEESE_NS9_11use_defaultESI_EESE_iNS9_4plusIvEENS9_8equal_toIvEEiEE10hipError_tPvRmT2_T3_T4_T5_mT6_T7_P12ihipStream_tbENKUlT_T0_E_clISt17integral_constantIbLb1EES13_IbLb0EEEEDaSZ_S10_EUlSZ_E_NS1_11comp_targetILNS1_3genE0ELNS1_11target_archE4294967295ELNS1_3gpuE0ELNS1_3repE0EEENS1_30default_config_static_selectorELNS0_4arch9wavefront6targetE1EEEvT1_,"axG",@progbits,_ZN7rocprim17ROCPRIM_400000_NS6detail17trampoline_kernelINS0_14default_configENS1_27scan_by_key_config_selectorIiiEEZZNS1_16scan_by_key_implILNS1_25lookback_scan_determinismE0ELb0ES3_N6thrust23THRUST_200600_302600_NS6detail15normal_iteratorINS9_10device_ptrIiEEEENS9_18transform_iteratorINS9_6negateIiEESE_NS9_11use_defaultESI_EESE_iNS9_4plusIvEENS9_8equal_toIvEEiEE10hipError_tPvRmT2_T3_T4_T5_mT6_T7_P12ihipStream_tbENKUlT_T0_E_clISt17integral_constantIbLb1EES13_IbLb0EEEEDaSZ_S10_EUlSZ_E_NS1_11comp_targetILNS1_3genE0ELNS1_11target_archE4294967295ELNS1_3gpuE0ELNS1_3repE0EEENS1_30default_config_static_selectorELNS0_4arch9wavefront6targetE1EEEvT1_,comdat
.Lfunc_end947:
	.size	_ZN7rocprim17ROCPRIM_400000_NS6detail17trampoline_kernelINS0_14default_configENS1_27scan_by_key_config_selectorIiiEEZZNS1_16scan_by_key_implILNS1_25lookback_scan_determinismE0ELb0ES3_N6thrust23THRUST_200600_302600_NS6detail15normal_iteratorINS9_10device_ptrIiEEEENS9_18transform_iteratorINS9_6negateIiEESE_NS9_11use_defaultESI_EESE_iNS9_4plusIvEENS9_8equal_toIvEEiEE10hipError_tPvRmT2_T3_T4_T5_mT6_T7_P12ihipStream_tbENKUlT_T0_E_clISt17integral_constantIbLb1EES13_IbLb0EEEEDaSZ_S10_EUlSZ_E_NS1_11comp_targetILNS1_3genE0ELNS1_11target_archE4294967295ELNS1_3gpuE0ELNS1_3repE0EEENS1_30default_config_static_selectorELNS0_4arch9wavefront6targetE1EEEvT1_, .Lfunc_end947-_ZN7rocprim17ROCPRIM_400000_NS6detail17trampoline_kernelINS0_14default_configENS1_27scan_by_key_config_selectorIiiEEZZNS1_16scan_by_key_implILNS1_25lookback_scan_determinismE0ELb0ES3_N6thrust23THRUST_200600_302600_NS6detail15normal_iteratorINS9_10device_ptrIiEEEENS9_18transform_iteratorINS9_6negateIiEESE_NS9_11use_defaultESI_EESE_iNS9_4plusIvEENS9_8equal_toIvEEiEE10hipError_tPvRmT2_T3_T4_T5_mT6_T7_P12ihipStream_tbENKUlT_T0_E_clISt17integral_constantIbLb1EES13_IbLb0EEEEDaSZ_S10_EUlSZ_E_NS1_11comp_targetILNS1_3genE0ELNS1_11target_archE4294967295ELNS1_3gpuE0ELNS1_3repE0EEENS1_30default_config_static_selectorELNS0_4arch9wavefront6targetE1EEEvT1_
                                        ; -- End function
	.section	.AMDGPU.csdata,"",@progbits
; Kernel info:
; codeLenInByte = 0
; NumSgprs: 4
; NumVgprs: 0
; NumAgprs: 0
; TotalNumVgprs: 0
; ScratchSize: 0
; MemoryBound: 0
; FloatMode: 240
; IeeeMode: 1
; LDSByteSize: 0 bytes/workgroup (compile time only)
; SGPRBlocks: 0
; VGPRBlocks: 0
; NumSGPRsForWavesPerEU: 4
; NumVGPRsForWavesPerEU: 1
; AccumOffset: 4
; Occupancy: 8
; WaveLimiterHint : 0
; COMPUTE_PGM_RSRC2:SCRATCH_EN: 0
; COMPUTE_PGM_RSRC2:USER_SGPR: 6
; COMPUTE_PGM_RSRC2:TRAP_HANDLER: 0
; COMPUTE_PGM_RSRC2:TGID_X_EN: 1
; COMPUTE_PGM_RSRC2:TGID_Y_EN: 0
; COMPUTE_PGM_RSRC2:TGID_Z_EN: 0
; COMPUTE_PGM_RSRC2:TIDIG_COMP_CNT: 0
; COMPUTE_PGM_RSRC3_GFX90A:ACCUM_OFFSET: 0
; COMPUTE_PGM_RSRC3_GFX90A:TG_SPLIT: 0
	.section	.text._ZN7rocprim17ROCPRIM_400000_NS6detail17trampoline_kernelINS0_14default_configENS1_27scan_by_key_config_selectorIiiEEZZNS1_16scan_by_key_implILNS1_25lookback_scan_determinismE0ELb0ES3_N6thrust23THRUST_200600_302600_NS6detail15normal_iteratorINS9_10device_ptrIiEEEENS9_18transform_iteratorINS9_6negateIiEESE_NS9_11use_defaultESI_EESE_iNS9_4plusIvEENS9_8equal_toIvEEiEE10hipError_tPvRmT2_T3_T4_T5_mT6_T7_P12ihipStream_tbENKUlT_T0_E_clISt17integral_constantIbLb1EES13_IbLb0EEEEDaSZ_S10_EUlSZ_E_NS1_11comp_targetILNS1_3genE10ELNS1_11target_archE1201ELNS1_3gpuE5ELNS1_3repE0EEENS1_30default_config_static_selectorELNS0_4arch9wavefront6targetE1EEEvT1_,"axG",@progbits,_ZN7rocprim17ROCPRIM_400000_NS6detail17trampoline_kernelINS0_14default_configENS1_27scan_by_key_config_selectorIiiEEZZNS1_16scan_by_key_implILNS1_25lookback_scan_determinismE0ELb0ES3_N6thrust23THRUST_200600_302600_NS6detail15normal_iteratorINS9_10device_ptrIiEEEENS9_18transform_iteratorINS9_6negateIiEESE_NS9_11use_defaultESI_EESE_iNS9_4plusIvEENS9_8equal_toIvEEiEE10hipError_tPvRmT2_T3_T4_T5_mT6_T7_P12ihipStream_tbENKUlT_T0_E_clISt17integral_constantIbLb1EES13_IbLb0EEEEDaSZ_S10_EUlSZ_E_NS1_11comp_targetILNS1_3genE10ELNS1_11target_archE1201ELNS1_3gpuE5ELNS1_3repE0EEENS1_30default_config_static_selectorELNS0_4arch9wavefront6targetE1EEEvT1_,comdat
	.protected	_ZN7rocprim17ROCPRIM_400000_NS6detail17trampoline_kernelINS0_14default_configENS1_27scan_by_key_config_selectorIiiEEZZNS1_16scan_by_key_implILNS1_25lookback_scan_determinismE0ELb0ES3_N6thrust23THRUST_200600_302600_NS6detail15normal_iteratorINS9_10device_ptrIiEEEENS9_18transform_iteratorINS9_6negateIiEESE_NS9_11use_defaultESI_EESE_iNS9_4plusIvEENS9_8equal_toIvEEiEE10hipError_tPvRmT2_T3_T4_T5_mT6_T7_P12ihipStream_tbENKUlT_T0_E_clISt17integral_constantIbLb1EES13_IbLb0EEEEDaSZ_S10_EUlSZ_E_NS1_11comp_targetILNS1_3genE10ELNS1_11target_archE1201ELNS1_3gpuE5ELNS1_3repE0EEENS1_30default_config_static_selectorELNS0_4arch9wavefront6targetE1EEEvT1_ ; -- Begin function _ZN7rocprim17ROCPRIM_400000_NS6detail17trampoline_kernelINS0_14default_configENS1_27scan_by_key_config_selectorIiiEEZZNS1_16scan_by_key_implILNS1_25lookback_scan_determinismE0ELb0ES3_N6thrust23THRUST_200600_302600_NS6detail15normal_iteratorINS9_10device_ptrIiEEEENS9_18transform_iteratorINS9_6negateIiEESE_NS9_11use_defaultESI_EESE_iNS9_4plusIvEENS9_8equal_toIvEEiEE10hipError_tPvRmT2_T3_T4_T5_mT6_T7_P12ihipStream_tbENKUlT_T0_E_clISt17integral_constantIbLb1EES13_IbLb0EEEEDaSZ_S10_EUlSZ_E_NS1_11comp_targetILNS1_3genE10ELNS1_11target_archE1201ELNS1_3gpuE5ELNS1_3repE0EEENS1_30default_config_static_selectorELNS0_4arch9wavefront6targetE1EEEvT1_
	.globl	_ZN7rocprim17ROCPRIM_400000_NS6detail17trampoline_kernelINS0_14default_configENS1_27scan_by_key_config_selectorIiiEEZZNS1_16scan_by_key_implILNS1_25lookback_scan_determinismE0ELb0ES3_N6thrust23THRUST_200600_302600_NS6detail15normal_iteratorINS9_10device_ptrIiEEEENS9_18transform_iteratorINS9_6negateIiEESE_NS9_11use_defaultESI_EESE_iNS9_4plusIvEENS9_8equal_toIvEEiEE10hipError_tPvRmT2_T3_T4_T5_mT6_T7_P12ihipStream_tbENKUlT_T0_E_clISt17integral_constantIbLb1EES13_IbLb0EEEEDaSZ_S10_EUlSZ_E_NS1_11comp_targetILNS1_3genE10ELNS1_11target_archE1201ELNS1_3gpuE5ELNS1_3repE0EEENS1_30default_config_static_selectorELNS0_4arch9wavefront6targetE1EEEvT1_
	.p2align	8
	.type	_ZN7rocprim17ROCPRIM_400000_NS6detail17trampoline_kernelINS0_14default_configENS1_27scan_by_key_config_selectorIiiEEZZNS1_16scan_by_key_implILNS1_25lookback_scan_determinismE0ELb0ES3_N6thrust23THRUST_200600_302600_NS6detail15normal_iteratorINS9_10device_ptrIiEEEENS9_18transform_iteratorINS9_6negateIiEESE_NS9_11use_defaultESI_EESE_iNS9_4plusIvEENS9_8equal_toIvEEiEE10hipError_tPvRmT2_T3_T4_T5_mT6_T7_P12ihipStream_tbENKUlT_T0_E_clISt17integral_constantIbLb1EES13_IbLb0EEEEDaSZ_S10_EUlSZ_E_NS1_11comp_targetILNS1_3genE10ELNS1_11target_archE1201ELNS1_3gpuE5ELNS1_3repE0EEENS1_30default_config_static_selectorELNS0_4arch9wavefront6targetE1EEEvT1_,@function
_ZN7rocprim17ROCPRIM_400000_NS6detail17trampoline_kernelINS0_14default_configENS1_27scan_by_key_config_selectorIiiEEZZNS1_16scan_by_key_implILNS1_25lookback_scan_determinismE0ELb0ES3_N6thrust23THRUST_200600_302600_NS6detail15normal_iteratorINS9_10device_ptrIiEEEENS9_18transform_iteratorINS9_6negateIiEESE_NS9_11use_defaultESI_EESE_iNS9_4plusIvEENS9_8equal_toIvEEiEE10hipError_tPvRmT2_T3_T4_T5_mT6_T7_P12ihipStream_tbENKUlT_T0_E_clISt17integral_constantIbLb1EES13_IbLb0EEEEDaSZ_S10_EUlSZ_E_NS1_11comp_targetILNS1_3genE10ELNS1_11target_archE1201ELNS1_3gpuE5ELNS1_3repE0EEENS1_30default_config_static_selectorELNS0_4arch9wavefront6targetE1EEEvT1_: ; @_ZN7rocprim17ROCPRIM_400000_NS6detail17trampoline_kernelINS0_14default_configENS1_27scan_by_key_config_selectorIiiEEZZNS1_16scan_by_key_implILNS1_25lookback_scan_determinismE0ELb0ES3_N6thrust23THRUST_200600_302600_NS6detail15normal_iteratorINS9_10device_ptrIiEEEENS9_18transform_iteratorINS9_6negateIiEESE_NS9_11use_defaultESI_EESE_iNS9_4plusIvEENS9_8equal_toIvEEiEE10hipError_tPvRmT2_T3_T4_T5_mT6_T7_P12ihipStream_tbENKUlT_T0_E_clISt17integral_constantIbLb1EES13_IbLb0EEEEDaSZ_S10_EUlSZ_E_NS1_11comp_targetILNS1_3genE10ELNS1_11target_archE1201ELNS1_3gpuE5ELNS1_3repE0EEENS1_30default_config_static_selectorELNS0_4arch9wavefront6targetE1EEEvT1_
; %bb.0:
	.section	.rodata,"a",@progbits
	.p2align	6, 0x0
	.amdhsa_kernel _ZN7rocprim17ROCPRIM_400000_NS6detail17trampoline_kernelINS0_14default_configENS1_27scan_by_key_config_selectorIiiEEZZNS1_16scan_by_key_implILNS1_25lookback_scan_determinismE0ELb0ES3_N6thrust23THRUST_200600_302600_NS6detail15normal_iteratorINS9_10device_ptrIiEEEENS9_18transform_iteratorINS9_6negateIiEESE_NS9_11use_defaultESI_EESE_iNS9_4plusIvEENS9_8equal_toIvEEiEE10hipError_tPvRmT2_T3_T4_T5_mT6_T7_P12ihipStream_tbENKUlT_T0_E_clISt17integral_constantIbLb1EES13_IbLb0EEEEDaSZ_S10_EUlSZ_E_NS1_11comp_targetILNS1_3genE10ELNS1_11target_archE1201ELNS1_3gpuE5ELNS1_3repE0EEENS1_30default_config_static_selectorELNS0_4arch9wavefront6targetE1EEEvT1_
		.amdhsa_group_segment_fixed_size 0
		.amdhsa_private_segment_fixed_size 0
		.amdhsa_kernarg_size 120
		.amdhsa_user_sgpr_count 6
		.amdhsa_user_sgpr_private_segment_buffer 1
		.amdhsa_user_sgpr_dispatch_ptr 0
		.amdhsa_user_sgpr_queue_ptr 0
		.amdhsa_user_sgpr_kernarg_segment_ptr 1
		.amdhsa_user_sgpr_dispatch_id 0
		.amdhsa_user_sgpr_flat_scratch_init 0
		.amdhsa_user_sgpr_kernarg_preload_length 0
		.amdhsa_user_sgpr_kernarg_preload_offset 0
		.amdhsa_user_sgpr_private_segment_size 0
		.amdhsa_uses_dynamic_stack 0
		.amdhsa_system_sgpr_private_segment_wavefront_offset 0
		.amdhsa_system_sgpr_workgroup_id_x 1
		.amdhsa_system_sgpr_workgroup_id_y 0
		.amdhsa_system_sgpr_workgroup_id_z 0
		.amdhsa_system_sgpr_workgroup_info 0
		.amdhsa_system_vgpr_workitem_id 0
		.amdhsa_next_free_vgpr 1
		.amdhsa_next_free_sgpr 0
		.amdhsa_accum_offset 4
		.amdhsa_reserve_vcc 0
		.amdhsa_reserve_flat_scratch 0
		.amdhsa_float_round_mode_32 0
		.amdhsa_float_round_mode_16_64 0
		.amdhsa_float_denorm_mode_32 3
		.amdhsa_float_denorm_mode_16_64 3
		.amdhsa_dx10_clamp 1
		.amdhsa_ieee_mode 1
		.amdhsa_fp16_overflow 0
		.amdhsa_tg_split 0
		.amdhsa_exception_fp_ieee_invalid_op 0
		.amdhsa_exception_fp_denorm_src 0
		.amdhsa_exception_fp_ieee_div_zero 0
		.amdhsa_exception_fp_ieee_overflow 0
		.amdhsa_exception_fp_ieee_underflow 0
		.amdhsa_exception_fp_ieee_inexact 0
		.amdhsa_exception_int_div_zero 0
	.end_amdhsa_kernel
	.section	.text._ZN7rocprim17ROCPRIM_400000_NS6detail17trampoline_kernelINS0_14default_configENS1_27scan_by_key_config_selectorIiiEEZZNS1_16scan_by_key_implILNS1_25lookback_scan_determinismE0ELb0ES3_N6thrust23THRUST_200600_302600_NS6detail15normal_iteratorINS9_10device_ptrIiEEEENS9_18transform_iteratorINS9_6negateIiEESE_NS9_11use_defaultESI_EESE_iNS9_4plusIvEENS9_8equal_toIvEEiEE10hipError_tPvRmT2_T3_T4_T5_mT6_T7_P12ihipStream_tbENKUlT_T0_E_clISt17integral_constantIbLb1EES13_IbLb0EEEEDaSZ_S10_EUlSZ_E_NS1_11comp_targetILNS1_3genE10ELNS1_11target_archE1201ELNS1_3gpuE5ELNS1_3repE0EEENS1_30default_config_static_selectorELNS0_4arch9wavefront6targetE1EEEvT1_,"axG",@progbits,_ZN7rocprim17ROCPRIM_400000_NS6detail17trampoline_kernelINS0_14default_configENS1_27scan_by_key_config_selectorIiiEEZZNS1_16scan_by_key_implILNS1_25lookback_scan_determinismE0ELb0ES3_N6thrust23THRUST_200600_302600_NS6detail15normal_iteratorINS9_10device_ptrIiEEEENS9_18transform_iteratorINS9_6negateIiEESE_NS9_11use_defaultESI_EESE_iNS9_4plusIvEENS9_8equal_toIvEEiEE10hipError_tPvRmT2_T3_T4_T5_mT6_T7_P12ihipStream_tbENKUlT_T0_E_clISt17integral_constantIbLb1EES13_IbLb0EEEEDaSZ_S10_EUlSZ_E_NS1_11comp_targetILNS1_3genE10ELNS1_11target_archE1201ELNS1_3gpuE5ELNS1_3repE0EEENS1_30default_config_static_selectorELNS0_4arch9wavefront6targetE1EEEvT1_,comdat
.Lfunc_end948:
	.size	_ZN7rocprim17ROCPRIM_400000_NS6detail17trampoline_kernelINS0_14default_configENS1_27scan_by_key_config_selectorIiiEEZZNS1_16scan_by_key_implILNS1_25lookback_scan_determinismE0ELb0ES3_N6thrust23THRUST_200600_302600_NS6detail15normal_iteratorINS9_10device_ptrIiEEEENS9_18transform_iteratorINS9_6negateIiEESE_NS9_11use_defaultESI_EESE_iNS9_4plusIvEENS9_8equal_toIvEEiEE10hipError_tPvRmT2_T3_T4_T5_mT6_T7_P12ihipStream_tbENKUlT_T0_E_clISt17integral_constantIbLb1EES13_IbLb0EEEEDaSZ_S10_EUlSZ_E_NS1_11comp_targetILNS1_3genE10ELNS1_11target_archE1201ELNS1_3gpuE5ELNS1_3repE0EEENS1_30default_config_static_selectorELNS0_4arch9wavefront6targetE1EEEvT1_, .Lfunc_end948-_ZN7rocprim17ROCPRIM_400000_NS6detail17trampoline_kernelINS0_14default_configENS1_27scan_by_key_config_selectorIiiEEZZNS1_16scan_by_key_implILNS1_25lookback_scan_determinismE0ELb0ES3_N6thrust23THRUST_200600_302600_NS6detail15normal_iteratorINS9_10device_ptrIiEEEENS9_18transform_iteratorINS9_6negateIiEESE_NS9_11use_defaultESI_EESE_iNS9_4plusIvEENS9_8equal_toIvEEiEE10hipError_tPvRmT2_T3_T4_T5_mT6_T7_P12ihipStream_tbENKUlT_T0_E_clISt17integral_constantIbLb1EES13_IbLb0EEEEDaSZ_S10_EUlSZ_E_NS1_11comp_targetILNS1_3genE10ELNS1_11target_archE1201ELNS1_3gpuE5ELNS1_3repE0EEENS1_30default_config_static_selectorELNS0_4arch9wavefront6targetE1EEEvT1_
                                        ; -- End function
	.section	.AMDGPU.csdata,"",@progbits
; Kernel info:
; codeLenInByte = 0
; NumSgprs: 4
; NumVgprs: 0
; NumAgprs: 0
; TotalNumVgprs: 0
; ScratchSize: 0
; MemoryBound: 0
; FloatMode: 240
; IeeeMode: 1
; LDSByteSize: 0 bytes/workgroup (compile time only)
; SGPRBlocks: 0
; VGPRBlocks: 0
; NumSGPRsForWavesPerEU: 4
; NumVGPRsForWavesPerEU: 1
; AccumOffset: 4
; Occupancy: 8
; WaveLimiterHint : 0
; COMPUTE_PGM_RSRC2:SCRATCH_EN: 0
; COMPUTE_PGM_RSRC2:USER_SGPR: 6
; COMPUTE_PGM_RSRC2:TRAP_HANDLER: 0
; COMPUTE_PGM_RSRC2:TGID_X_EN: 1
; COMPUTE_PGM_RSRC2:TGID_Y_EN: 0
; COMPUTE_PGM_RSRC2:TGID_Z_EN: 0
; COMPUTE_PGM_RSRC2:TIDIG_COMP_CNT: 0
; COMPUTE_PGM_RSRC3_GFX90A:ACCUM_OFFSET: 0
; COMPUTE_PGM_RSRC3_GFX90A:TG_SPLIT: 0
	.section	.text._ZN7rocprim17ROCPRIM_400000_NS6detail17trampoline_kernelINS0_14default_configENS1_27scan_by_key_config_selectorIiiEEZZNS1_16scan_by_key_implILNS1_25lookback_scan_determinismE0ELb0ES3_N6thrust23THRUST_200600_302600_NS6detail15normal_iteratorINS9_10device_ptrIiEEEENS9_18transform_iteratorINS9_6negateIiEESE_NS9_11use_defaultESI_EESE_iNS9_4plusIvEENS9_8equal_toIvEEiEE10hipError_tPvRmT2_T3_T4_T5_mT6_T7_P12ihipStream_tbENKUlT_T0_E_clISt17integral_constantIbLb1EES13_IbLb0EEEEDaSZ_S10_EUlSZ_E_NS1_11comp_targetILNS1_3genE5ELNS1_11target_archE942ELNS1_3gpuE9ELNS1_3repE0EEENS1_30default_config_static_selectorELNS0_4arch9wavefront6targetE1EEEvT1_,"axG",@progbits,_ZN7rocprim17ROCPRIM_400000_NS6detail17trampoline_kernelINS0_14default_configENS1_27scan_by_key_config_selectorIiiEEZZNS1_16scan_by_key_implILNS1_25lookback_scan_determinismE0ELb0ES3_N6thrust23THRUST_200600_302600_NS6detail15normal_iteratorINS9_10device_ptrIiEEEENS9_18transform_iteratorINS9_6negateIiEESE_NS9_11use_defaultESI_EESE_iNS9_4plusIvEENS9_8equal_toIvEEiEE10hipError_tPvRmT2_T3_T4_T5_mT6_T7_P12ihipStream_tbENKUlT_T0_E_clISt17integral_constantIbLb1EES13_IbLb0EEEEDaSZ_S10_EUlSZ_E_NS1_11comp_targetILNS1_3genE5ELNS1_11target_archE942ELNS1_3gpuE9ELNS1_3repE0EEENS1_30default_config_static_selectorELNS0_4arch9wavefront6targetE1EEEvT1_,comdat
	.protected	_ZN7rocprim17ROCPRIM_400000_NS6detail17trampoline_kernelINS0_14default_configENS1_27scan_by_key_config_selectorIiiEEZZNS1_16scan_by_key_implILNS1_25lookback_scan_determinismE0ELb0ES3_N6thrust23THRUST_200600_302600_NS6detail15normal_iteratorINS9_10device_ptrIiEEEENS9_18transform_iteratorINS9_6negateIiEESE_NS9_11use_defaultESI_EESE_iNS9_4plusIvEENS9_8equal_toIvEEiEE10hipError_tPvRmT2_T3_T4_T5_mT6_T7_P12ihipStream_tbENKUlT_T0_E_clISt17integral_constantIbLb1EES13_IbLb0EEEEDaSZ_S10_EUlSZ_E_NS1_11comp_targetILNS1_3genE5ELNS1_11target_archE942ELNS1_3gpuE9ELNS1_3repE0EEENS1_30default_config_static_selectorELNS0_4arch9wavefront6targetE1EEEvT1_ ; -- Begin function _ZN7rocprim17ROCPRIM_400000_NS6detail17trampoline_kernelINS0_14default_configENS1_27scan_by_key_config_selectorIiiEEZZNS1_16scan_by_key_implILNS1_25lookback_scan_determinismE0ELb0ES3_N6thrust23THRUST_200600_302600_NS6detail15normal_iteratorINS9_10device_ptrIiEEEENS9_18transform_iteratorINS9_6negateIiEESE_NS9_11use_defaultESI_EESE_iNS9_4plusIvEENS9_8equal_toIvEEiEE10hipError_tPvRmT2_T3_T4_T5_mT6_T7_P12ihipStream_tbENKUlT_T0_E_clISt17integral_constantIbLb1EES13_IbLb0EEEEDaSZ_S10_EUlSZ_E_NS1_11comp_targetILNS1_3genE5ELNS1_11target_archE942ELNS1_3gpuE9ELNS1_3repE0EEENS1_30default_config_static_selectorELNS0_4arch9wavefront6targetE1EEEvT1_
	.globl	_ZN7rocprim17ROCPRIM_400000_NS6detail17trampoline_kernelINS0_14default_configENS1_27scan_by_key_config_selectorIiiEEZZNS1_16scan_by_key_implILNS1_25lookback_scan_determinismE0ELb0ES3_N6thrust23THRUST_200600_302600_NS6detail15normal_iteratorINS9_10device_ptrIiEEEENS9_18transform_iteratorINS9_6negateIiEESE_NS9_11use_defaultESI_EESE_iNS9_4plusIvEENS9_8equal_toIvEEiEE10hipError_tPvRmT2_T3_T4_T5_mT6_T7_P12ihipStream_tbENKUlT_T0_E_clISt17integral_constantIbLb1EES13_IbLb0EEEEDaSZ_S10_EUlSZ_E_NS1_11comp_targetILNS1_3genE5ELNS1_11target_archE942ELNS1_3gpuE9ELNS1_3repE0EEENS1_30default_config_static_selectorELNS0_4arch9wavefront6targetE1EEEvT1_
	.p2align	8
	.type	_ZN7rocprim17ROCPRIM_400000_NS6detail17trampoline_kernelINS0_14default_configENS1_27scan_by_key_config_selectorIiiEEZZNS1_16scan_by_key_implILNS1_25lookback_scan_determinismE0ELb0ES3_N6thrust23THRUST_200600_302600_NS6detail15normal_iteratorINS9_10device_ptrIiEEEENS9_18transform_iteratorINS9_6negateIiEESE_NS9_11use_defaultESI_EESE_iNS9_4plusIvEENS9_8equal_toIvEEiEE10hipError_tPvRmT2_T3_T4_T5_mT6_T7_P12ihipStream_tbENKUlT_T0_E_clISt17integral_constantIbLb1EES13_IbLb0EEEEDaSZ_S10_EUlSZ_E_NS1_11comp_targetILNS1_3genE5ELNS1_11target_archE942ELNS1_3gpuE9ELNS1_3repE0EEENS1_30default_config_static_selectorELNS0_4arch9wavefront6targetE1EEEvT1_,@function
_ZN7rocprim17ROCPRIM_400000_NS6detail17trampoline_kernelINS0_14default_configENS1_27scan_by_key_config_selectorIiiEEZZNS1_16scan_by_key_implILNS1_25lookback_scan_determinismE0ELb0ES3_N6thrust23THRUST_200600_302600_NS6detail15normal_iteratorINS9_10device_ptrIiEEEENS9_18transform_iteratorINS9_6negateIiEESE_NS9_11use_defaultESI_EESE_iNS9_4plusIvEENS9_8equal_toIvEEiEE10hipError_tPvRmT2_T3_T4_T5_mT6_T7_P12ihipStream_tbENKUlT_T0_E_clISt17integral_constantIbLb1EES13_IbLb0EEEEDaSZ_S10_EUlSZ_E_NS1_11comp_targetILNS1_3genE5ELNS1_11target_archE942ELNS1_3gpuE9ELNS1_3repE0EEENS1_30default_config_static_selectorELNS0_4arch9wavefront6targetE1EEEvT1_: ; @_ZN7rocprim17ROCPRIM_400000_NS6detail17trampoline_kernelINS0_14default_configENS1_27scan_by_key_config_selectorIiiEEZZNS1_16scan_by_key_implILNS1_25lookback_scan_determinismE0ELb0ES3_N6thrust23THRUST_200600_302600_NS6detail15normal_iteratorINS9_10device_ptrIiEEEENS9_18transform_iteratorINS9_6negateIiEESE_NS9_11use_defaultESI_EESE_iNS9_4plusIvEENS9_8equal_toIvEEiEE10hipError_tPvRmT2_T3_T4_T5_mT6_T7_P12ihipStream_tbENKUlT_T0_E_clISt17integral_constantIbLb1EES13_IbLb0EEEEDaSZ_S10_EUlSZ_E_NS1_11comp_targetILNS1_3genE5ELNS1_11target_archE942ELNS1_3gpuE9ELNS1_3repE0EEENS1_30default_config_static_selectorELNS0_4arch9wavefront6targetE1EEEvT1_
; %bb.0:
	.section	.rodata,"a",@progbits
	.p2align	6, 0x0
	.amdhsa_kernel _ZN7rocprim17ROCPRIM_400000_NS6detail17trampoline_kernelINS0_14default_configENS1_27scan_by_key_config_selectorIiiEEZZNS1_16scan_by_key_implILNS1_25lookback_scan_determinismE0ELb0ES3_N6thrust23THRUST_200600_302600_NS6detail15normal_iteratorINS9_10device_ptrIiEEEENS9_18transform_iteratorINS9_6negateIiEESE_NS9_11use_defaultESI_EESE_iNS9_4plusIvEENS9_8equal_toIvEEiEE10hipError_tPvRmT2_T3_T4_T5_mT6_T7_P12ihipStream_tbENKUlT_T0_E_clISt17integral_constantIbLb1EES13_IbLb0EEEEDaSZ_S10_EUlSZ_E_NS1_11comp_targetILNS1_3genE5ELNS1_11target_archE942ELNS1_3gpuE9ELNS1_3repE0EEENS1_30default_config_static_selectorELNS0_4arch9wavefront6targetE1EEEvT1_
		.amdhsa_group_segment_fixed_size 0
		.amdhsa_private_segment_fixed_size 0
		.amdhsa_kernarg_size 120
		.amdhsa_user_sgpr_count 6
		.amdhsa_user_sgpr_private_segment_buffer 1
		.amdhsa_user_sgpr_dispatch_ptr 0
		.amdhsa_user_sgpr_queue_ptr 0
		.amdhsa_user_sgpr_kernarg_segment_ptr 1
		.amdhsa_user_sgpr_dispatch_id 0
		.amdhsa_user_sgpr_flat_scratch_init 0
		.amdhsa_user_sgpr_kernarg_preload_length 0
		.amdhsa_user_sgpr_kernarg_preload_offset 0
		.amdhsa_user_sgpr_private_segment_size 0
		.amdhsa_uses_dynamic_stack 0
		.amdhsa_system_sgpr_private_segment_wavefront_offset 0
		.amdhsa_system_sgpr_workgroup_id_x 1
		.amdhsa_system_sgpr_workgroup_id_y 0
		.amdhsa_system_sgpr_workgroup_id_z 0
		.amdhsa_system_sgpr_workgroup_info 0
		.amdhsa_system_vgpr_workitem_id 0
		.amdhsa_next_free_vgpr 1
		.amdhsa_next_free_sgpr 0
		.amdhsa_accum_offset 4
		.amdhsa_reserve_vcc 0
		.amdhsa_reserve_flat_scratch 0
		.amdhsa_float_round_mode_32 0
		.amdhsa_float_round_mode_16_64 0
		.amdhsa_float_denorm_mode_32 3
		.amdhsa_float_denorm_mode_16_64 3
		.amdhsa_dx10_clamp 1
		.amdhsa_ieee_mode 1
		.amdhsa_fp16_overflow 0
		.amdhsa_tg_split 0
		.amdhsa_exception_fp_ieee_invalid_op 0
		.amdhsa_exception_fp_denorm_src 0
		.amdhsa_exception_fp_ieee_div_zero 0
		.amdhsa_exception_fp_ieee_overflow 0
		.amdhsa_exception_fp_ieee_underflow 0
		.amdhsa_exception_fp_ieee_inexact 0
		.amdhsa_exception_int_div_zero 0
	.end_amdhsa_kernel
	.section	.text._ZN7rocprim17ROCPRIM_400000_NS6detail17trampoline_kernelINS0_14default_configENS1_27scan_by_key_config_selectorIiiEEZZNS1_16scan_by_key_implILNS1_25lookback_scan_determinismE0ELb0ES3_N6thrust23THRUST_200600_302600_NS6detail15normal_iteratorINS9_10device_ptrIiEEEENS9_18transform_iteratorINS9_6negateIiEESE_NS9_11use_defaultESI_EESE_iNS9_4plusIvEENS9_8equal_toIvEEiEE10hipError_tPvRmT2_T3_T4_T5_mT6_T7_P12ihipStream_tbENKUlT_T0_E_clISt17integral_constantIbLb1EES13_IbLb0EEEEDaSZ_S10_EUlSZ_E_NS1_11comp_targetILNS1_3genE5ELNS1_11target_archE942ELNS1_3gpuE9ELNS1_3repE0EEENS1_30default_config_static_selectorELNS0_4arch9wavefront6targetE1EEEvT1_,"axG",@progbits,_ZN7rocprim17ROCPRIM_400000_NS6detail17trampoline_kernelINS0_14default_configENS1_27scan_by_key_config_selectorIiiEEZZNS1_16scan_by_key_implILNS1_25lookback_scan_determinismE0ELb0ES3_N6thrust23THRUST_200600_302600_NS6detail15normal_iteratorINS9_10device_ptrIiEEEENS9_18transform_iteratorINS9_6negateIiEESE_NS9_11use_defaultESI_EESE_iNS9_4plusIvEENS9_8equal_toIvEEiEE10hipError_tPvRmT2_T3_T4_T5_mT6_T7_P12ihipStream_tbENKUlT_T0_E_clISt17integral_constantIbLb1EES13_IbLb0EEEEDaSZ_S10_EUlSZ_E_NS1_11comp_targetILNS1_3genE5ELNS1_11target_archE942ELNS1_3gpuE9ELNS1_3repE0EEENS1_30default_config_static_selectorELNS0_4arch9wavefront6targetE1EEEvT1_,comdat
.Lfunc_end949:
	.size	_ZN7rocprim17ROCPRIM_400000_NS6detail17trampoline_kernelINS0_14default_configENS1_27scan_by_key_config_selectorIiiEEZZNS1_16scan_by_key_implILNS1_25lookback_scan_determinismE0ELb0ES3_N6thrust23THRUST_200600_302600_NS6detail15normal_iteratorINS9_10device_ptrIiEEEENS9_18transform_iteratorINS9_6negateIiEESE_NS9_11use_defaultESI_EESE_iNS9_4plusIvEENS9_8equal_toIvEEiEE10hipError_tPvRmT2_T3_T4_T5_mT6_T7_P12ihipStream_tbENKUlT_T0_E_clISt17integral_constantIbLb1EES13_IbLb0EEEEDaSZ_S10_EUlSZ_E_NS1_11comp_targetILNS1_3genE5ELNS1_11target_archE942ELNS1_3gpuE9ELNS1_3repE0EEENS1_30default_config_static_selectorELNS0_4arch9wavefront6targetE1EEEvT1_, .Lfunc_end949-_ZN7rocprim17ROCPRIM_400000_NS6detail17trampoline_kernelINS0_14default_configENS1_27scan_by_key_config_selectorIiiEEZZNS1_16scan_by_key_implILNS1_25lookback_scan_determinismE0ELb0ES3_N6thrust23THRUST_200600_302600_NS6detail15normal_iteratorINS9_10device_ptrIiEEEENS9_18transform_iteratorINS9_6negateIiEESE_NS9_11use_defaultESI_EESE_iNS9_4plusIvEENS9_8equal_toIvEEiEE10hipError_tPvRmT2_T3_T4_T5_mT6_T7_P12ihipStream_tbENKUlT_T0_E_clISt17integral_constantIbLb1EES13_IbLb0EEEEDaSZ_S10_EUlSZ_E_NS1_11comp_targetILNS1_3genE5ELNS1_11target_archE942ELNS1_3gpuE9ELNS1_3repE0EEENS1_30default_config_static_selectorELNS0_4arch9wavefront6targetE1EEEvT1_
                                        ; -- End function
	.section	.AMDGPU.csdata,"",@progbits
; Kernel info:
; codeLenInByte = 0
; NumSgprs: 4
; NumVgprs: 0
; NumAgprs: 0
; TotalNumVgprs: 0
; ScratchSize: 0
; MemoryBound: 0
; FloatMode: 240
; IeeeMode: 1
; LDSByteSize: 0 bytes/workgroup (compile time only)
; SGPRBlocks: 0
; VGPRBlocks: 0
; NumSGPRsForWavesPerEU: 4
; NumVGPRsForWavesPerEU: 1
; AccumOffset: 4
; Occupancy: 8
; WaveLimiterHint : 0
; COMPUTE_PGM_RSRC2:SCRATCH_EN: 0
; COMPUTE_PGM_RSRC2:USER_SGPR: 6
; COMPUTE_PGM_RSRC2:TRAP_HANDLER: 0
; COMPUTE_PGM_RSRC2:TGID_X_EN: 1
; COMPUTE_PGM_RSRC2:TGID_Y_EN: 0
; COMPUTE_PGM_RSRC2:TGID_Z_EN: 0
; COMPUTE_PGM_RSRC2:TIDIG_COMP_CNT: 0
; COMPUTE_PGM_RSRC3_GFX90A:ACCUM_OFFSET: 0
; COMPUTE_PGM_RSRC3_GFX90A:TG_SPLIT: 0
	.section	.text._ZN7rocprim17ROCPRIM_400000_NS6detail17trampoline_kernelINS0_14default_configENS1_27scan_by_key_config_selectorIiiEEZZNS1_16scan_by_key_implILNS1_25lookback_scan_determinismE0ELb0ES3_N6thrust23THRUST_200600_302600_NS6detail15normal_iteratorINS9_10device_ptrIiEEEENS9_18transform_iteratorINS9_6negateIiEESE_NS9_11use_defaultESI_EESE_iNS9_4plusIvEENS9_8equal_toIvEEiEE10hipError_tPvRmT2_T3_T4_T5_mT6_T7_P12ihipStream_tbENKUlT_T0_E_clISt17integral_constantIbLb1EES13_IbLb0EEEEDaSZ_S10_EUlSZ_E_NS1_11comp_targetILNS1_3genE4ELNS1_11target_archE910ELNS1_3gpuE8ELNS1_3repE0EEENS1_30default_config_static_selectorELNS0_4arch9wavefront6targetE1EEEvT1_,"axG",@progbits,_ZN7rocprim17ROCPRIM_400000_NS6detail17trampoline_kernelINS0_14default_configENS1_27scan_by_key_config_selectorIiiEEZZNS1_16scan_by_key_implILNS1_25lookback_scan_determinismE0ELb0ES3_N6thrust23THRUST_200600_302600_NS6detail15normal_iteratorINS9_10device_ptrIiEEEENS9_18transform_iteratorINS9_6negateIiEESE_NS9_11use_defaultESI_EESE_iNS9_4plusIvEENS9_8equal_toIvEEiEE10hipError_tPvRmT2_T3_T4_T5_mT6_T7_P12ihipStream_tbENKUlT_T0_E_clISt17integral_constantIbLb1EES13_IbLb0EEEEDaSZ_S10_EUlSZ_E_NS1_11comp_targetILNS1_3genE4ELNS1_11target_archE910ELNS1_3gpuE8ELNS1_3repE0EEENS1_30default_config_static_selectorELNS0_4arch9wavefront6targetE1EEEvT1_,comdat
	.protected	_ZN7rocprim17ROCPRIM_400000_NS6detail17trampoline_kernelINS0_14default_configENS1_27scan_by_key_config_selectorIiiEEZZNS1_16scan_by_key_implILNS1_25lookback_scan_determinismE0ELb0ES3_N6thrust23THRUST_200600_302600_NS6detail15normal_iteratorINS9_10device_ptrIiEEEENS9_18transform_iteratorINS9_6negateIiEESE_NS9_11use_defaultESI_EESE_iNS9_4plusIvEENS9_8equal_toIvEEiEE10hipError_tPvRmT2_T3_T4_T5_mT6_T7_P12ihipStream_tbENKUlT_T0_E_clISt17integral_constantIbLb1EES13_IbLb0EEEEDaSZ_S10_EUlSZ_E_NS1_11comp_targetILNS1_3genE4ELNS1_11target_archE910ELNS1_3gpuE8ELNS1_3repE0EEENS1_30default_config_static_selectorELNS0_4arch9wavefront6targetE1EEEvT1_ ; -- Begin function _ZN7rocprim17ROCPRIM_400000_NS6detail17trampoline_kernelINS0_14default_configENS1_27scan_by_key_config_selectorIiiEEZZNS1_16scan_by_key_implILNS1_25lookback_scan_determinismE0ELb0ES3_N6thrust23THRUST_200600_302600_NS6detail15normal_iteratorINS9_10device_ptrIiEEEENS9_18transform_iteratorINS9_6negateIiEESE_NS9_11use_defaultESI_EESE_iNS9_4plusIvEENS9_8equal_toIvEEiEE10hipError_tPvRmT2_T3_T4_T5_mT6_T7_P12ihipStream_tbENKUlT_T0_E_clISt17integral_constantIbLb1EES13_IbLb0EEEEDaSZ_S10_EUlSZ_E_NS1_11comp_targetILNS1_3genE4ELNS1_11target_archE910ELNS1_3gpuE8ELNS1_3repE0EEENS1_30default_config_static_selectorELNS0_4arch9wavefront6targetE1EEEvT1_
	.globl	_ZN7rocprim17ROCPRIM_400000_NS6detail17trampoline_kernelINS0_14default_configENS1_27scan_by_key_config_selectorIiiEEZZNS1_16scan_by_key_implILNS1_25lookback_scan_determinismE0ELb0ES3_N6thrust23THRUST_200600_302600_NS6detail15normal_iteratorINS9_10device_ptrIiEEEENS9_18transform_iteratorINS9_6negateIiEESE_NS9_11use_defaultESI_EESE_iNS9_4plusIvEENS9_8equal_toIvEEiEE10hipError_tPvRmT2_T3_T4_T5_mT6_T7_P12ihipStream_tbENKUlT_T0_E_clISt17integral_constantIbLb1EES13_IbLb0EEEEDaSZ_S10_EUlSZ_E_NS1_11comp_targetILNS1_3genE4ELNS1_11target_archE910ELNS1_3gpuE8ELNS1_3repE0EEENS1_30default_config_static_selectorELNS0_4arch9wavefront6targetE1EEEvT1_
	.p2align	8
	.type	_ZN7rocprim17ROCPRIM_400000_NS6detail17trampoline_kernelINS0_14default_configENS1_27scan_by_key_config_selectorIiiEEZZNS1_16scan_by_key_implILNS1_25lookback_scan_determinismE0ELb0ES3_N6thrust23THRUST_200600_302600_NS6detail15normal_iteratorINS9_10device_ptrIiEEEENS9_18transform_iteratorINS9_6negateIiEESE_NS9_11use_defaultESI_EESE_iNS9_4plusIvEENS9_8equal_toIvEEiEE10hipError_tPvRmT2_T3_T4_T5_mT6_T7_P12ihipStream_tbENKUlT_T0_E_clISt17integral_constantIbLb1EES13_IbLb0EEEEDaSZ_S10_EUlSZ_E_NS1_11comp_targetILNS1_3genE4ELNS1_11target_archE910ELNS1_3gpuE8ELNS1_3repE0EEENS1_30default_config_static_selectorELNS0_4arch9wavefront6targetE1EEEvT1_,@function
_ZN7rocprim17ROCPRIM_400000_NS6detail17trampoline_kernelINS0_14default_configENS1_27scan_by_key_config_selectorIiiEEZZNS1_16scan_by_key_implILNS1_25lookback_scan_determinismE0ELb0ES3_N6thrust23THRUST_200600_302600_NS6detail15normal_iteratorINS9_10device_ptrIiEEEENS9_18transform_iteratorINS9_6negateIiEESE_NS9_11use_defaultESI_EESE_iNS9_4plusIvEENS9_8equal_toIvEEiEE10hipError_tPvRmT2_T3_T4_T5_mT6_T7_P12ihipStream_tbENKUlT_T0_E_clISt17integral_constantIbLb1EES13_IbLb0EEEEDaSZ_S10_EUlSZ_E_NS1_11comp_targetILNS1_3genE4ELNS1_11target_archE910ELNS1_3gpuE8ELNS1_3repE0EEENS1_30default_config_static_selectorELNS0_4arch9wavefront6targetE1EEEvT1_: ; @_ZN7rocprim17ROCPRIM_400000_NS6detail17trampoline_kernelINS0_14default_configENS1_27scan_by_key_config_selectorIiiEEZZNS1_16scan_by_key_implILNS1_25lookback_scan_determinismE0ELb0ES3_N6thrust23THRUST_200600_302600_NS6detail15normal_iteratorINS9_10device_ptrIiEEEENS9_18transform_iteratorINS9_6negateIiEESE_NS9_11use_defaultESI_EESE_iNS9_4plusIvEENS9_8equal_toIvEEiEE10hipError_tPvRmT2_T3_T4_T5_mT6_T7_P12ihipStream_tbENKUlT_T0_E_clISt17integral_constantIbLb1EES13_IbLb0EEEEDaSZ_S10_EUlSZ_E_NS1_11comp_targetILNS1_3genE4ELNS1_11target_archE910ELNS1_3gpuE8ELNS1_3repE0EEENS1_30default_config_static_selectorELNS0_4arch9wavefront6targetE1EEEvT1_
; %bb.0:
	s_load_dwordx4 s[0:3], s[4:5], 0x0
	s_load_dwordx2 s[8:9], s[4:5], 0x10
	s_load_dwordx4 s[44:47], s[4:5], 0x30
	s_load_dwordx2 s[50:51], s[4:5], 0x40
	s_load_dword s7, s[4:5], 0x48
	s_load_dwordx8 s[36:43], s[4:5], 0x50
	s_waitcnt lgkmcnt(0)
	s_lshl_b64 s[48:49], s[2:3], 2
	s_add_u32 s2, s0, s48
	s_addc_u32 s3, s1, s49
	s_add_u32 s8, s8, s48
	s_mul_i32 s0, s51, s7
	s_mul_hi_u32 s1, s50, s7
	s_addc_u32 s9, s9, s49
	s_add_i32 s10, s1, s0
	s_cmp_lg_u64 s[40:41], 0
	s_mul_i32 s0, s6, 0xe00
	s_mov_b32 s1, 0
	s_cselect_b64 s[56:57], -1, 0
	s_lshl_b64 s[40:41], s[0:1], 2
	s_add_u32 s54, s2, s40
	s_addc_u32 s55, s3, s41
	s_add_u32 s52, s8, s40
	s_mul_i32 s7, s50, s7
	s_addc_u32 s53, s9, s41
	s_add_u32 s58, s7, s6
	s_addc_u32 s59, s10, 0
	s_add_u32 s2, s36, -1
	s_addc_u32 s3, s37, -1
	v_pk_mov_b32 v[2:3], s[2:3], s[2:3] op_sel:[0,1]
	v_cmp_ge_u64_e64 s[0:1], s[58:59], v[2:3]
	s_mov_b64 s[20:21], 0
	s_mov_b64 s[16:17], -1
	s_and_b64 vcc, exec, s[0:1]
	s_mul_i32 s33, s2, 0xfffff200
	s_barrier
	s_cbranch_vccz .LBB950_77
; %bb.1:
	v_pk_mov_b32 v[2:3], s[54:55], s[54:55] op_sel:[0,1]
	flat_load_dword v1, v[2:3]
	s_add_i32 s7, s33, s46
	v_cmp_gt_u32_e64 s[2:3], s7, v0
	s_waitcnt vmcnt(0) lgkmcnt(0)
	v_mov_b32_e32 v13, v1
	s_and_saveexec_b64 s[8:9], s[2:3]
	s_cbranch_execz .LBB950_3
; %bb.2:
	v_lshlrev_b32_e32 v2, 2, v0
	v_mov_b32_e32 v3, s55
	v_add_co_u32_e32 v2, vcc, s54, v2
	v_addc_co_u32_e32 v3, vcc, 0, v3, vcc
	flat_load_dword v13, v[2:3]
.LBB950_3:
	s_or_b64 exec, exec, s[8:9]
	v_or_b32_e32 v2, 0x100, v0
	v_cmp_gt_u32_e64 s[34:35], s7, v2
	v_mov_b32_e32 v14, v1
	s_and_saveexec_b64 s[8:9], s[34:35]
	s_cbranch_execz .LBB950_5
; %bb.4:
	v_lshlrev_b32_e32 v2, 2, v0
	v_mov_b32_e32 v3, s55
	v_add_co_u32_e32 v2, vcc, s54, v2
	v_addc_co_u32_e32 v3, vcc, 0, v3, vcc
	flat_load_dword v14, v[2:3] offset:1024
.LBB950_5:
	s_or_b64 exec, exec, s[8:9]
	v_or_b32_e32 v2, 0x200, v0
	v_cmp_gt_u32_e64 s[8:9], s7, v2
	v_mov_b32_e32 v15, v1
	s_and_saveexec_b64 s[10:11], s[8:9]
	s_cbranch_execz .LBB950_7
; %bb.6:
	v_lshlrev_b32_e32 v2, 2, v0
	v_mov_b32_e32 v3, s55
	v_add_co_u32_e32 v2, vcc, s54, v2
	v_addc_co_u32_e32 v3, vcc, 0, v3, vcc
	flat_load_dword v15, v[2:3] offset:2048
.LBB950_7:
	;; [unrolled: 13-line block ×3, first 2 shown]
	s_or_b64 exec, exec, s[12:13]
	v_or_b32_e32 v2, 0x400, v0
	v_cmp_gt_u32_e64 s[12:13], s7, v2
	v_mov_b32_e32 v17, v1
	s_and_saveexec_b64 s[14:15], s[12:13]
	s_cbranch_execz .LBB950_11
; %bb.10:
	v_lshlrev_b32_e32 v3, 2, v2
	v_mov_b32_e32 v5, s55
	v_add_co_u32_e32 v4, vcc, s54, v3
	v_addc_co_u32_e32 v5, vcc, 0, v5, vcc
	flat_load_dword v17, v[4:5]
.LBB950_11:
	s_or_b64 exec, exec, s[14:15]
	v_or_b32_e32 v3, 0x500, v0
	v_cmp_gt_u32_e64 s[14:15], s7, v3
	v_mov_b32_e32 v18, v1
	s_and_saveexec_b64 s[16:17], s[14:15]
	s_cbranch_execz .LBB950_13
; %bb.12:
	v_lshlrev_b32_e32 v4, 2, v3
	v_mov_b32_e32 v5, s55
	v_add_co_u32_e32 v4, vcc, s54, v4
	v_addc_co_u32_e32 v5, vcc, 0, v5, vcc
	flat_load_dword v18, v[4:5]
.LBB950_13:
	;; [unrolled: 13-line block ×9, first 2 shown]
	s_or_b64 exec, exec, s[30:31]
	v_or_b32_e32 v11, 0xd00, v0
	v_cmp_gt_u32_e64 s[30:31], s7, v11
	s_and_saveexec_b64 s[36:37], s[30:31]
	s_cbranch_execz .LBB950_29
; %bb.28:
	v_lshlrev_b32_e32 v1, 2, v11
	v_mov_b32_e32 v12, s55
	v_add_co_u32_e32 v26, vcc, s54, v1
	v_addc_co_u32_e32 v27, vcc, 0, v12, vcc
	flat_load_dword v1, v[26:27]
.LBB950_29:
	s_or_b64 exec, exec, s[36:37]
	v_lshlrev_b32_e32 v12, 2, v0
	s_waitcnt vmcnt(0) lgkmcnt(0)
	ds_write2st64_b32 v12, v13, v14 offset1:4
	ds_write2st64_b32 v12, v15, v16 offset0:8 offset1:12
	ds_write2st64_b32 v12, v17, v18 offset0:16 offset1:20
	;; [unrolled: 1-line block ×6, first 2 shown]
	v_mad_u32_u24 v1, v0, 52, v12
	s_waitcnt lgkmcnt(0)
	s_barrier
	ds_read2_b64 v[34:37], v1 offset1:1
	ds_read2_b64 v[30:33], v1 offset0:2 offset1:3
	ds_read2_b64 v[26:29], v1 offset0:4 offset1:5
	ds_read_b64 v[40:41], v1 offset:48
	s_cmp_eq_u64 s[58:59], 0
	s_mov_b64 s[36:37], s[54:55]
	s_cbranch_scc1 .LBB950_33
; %bb.30:
	s_andn2_b64 vcc, exec, s[56:57]
	s_cbranch_vccnz .LBB950_183
; %bb.31:
	s_lshl_b64 s[36:37], s[58:59], 2
	s_add_u32 s36, s42, s36
	s_addc_u32 s37, s43, s37
	s_add_u32 s36, s36, -4
	s_addc_u32 s37, s37, -1
	s_cbranch_execnz .LBB950_33
.LBB950_32:
	s_add_u32 s36, s54, -4
	s_addc_u32 s37, s55, -1
.LBB950_33:
	v_pk_mov_b32 v[14:15], s[36:37], s[36:37] op_sel:[0,1]
	flat_load_dword v44, v[14:15]
	s_movk_i32 s36, 0xffcc
	v_mad_i32_i24 v13, v0, s36, v1
	v_cmp_ne_u32_e32 vcc, 0, v0
	s_waitcnt lgkmcnt(0)
	ds_write_b32 v13, v41 offset:14336
	s_waitcnt lgkmcnt(0)
	s_barrier
	s_and_saveexec_b64 s[36:37], vcc
	s_cbranch_execz .LBB950_35
; %bb.34:
	v_mul_i32_i24_e32 v13, 0xffffffcc, v0
	v_add_u32_e32 v13, v1, v13
	s_waitcnt vmcnt(0)
	ds_read_b32 v44, v13 offset:14332
.LBB950_35:
	s_or_b64 exec, exec, s[36:37]
	s_waitcnt lgkmcnt(0)
	s_barrier
	s_waitcnt lgkmcnt(0)
                                        ; implicit-def: $vgpr13
	s_and_saveexec_b64 s[36:37], s[2:3]
	s_cbranch_execnz .LBB950_170
; %bb.36:
	s_or_b64 exec, exec, s[36:37]
                                        ; implicit-def: $vgpr14
	s_and_saveexec_b64 s[2:3], s[34:35]
	s_cbranch_execnz .LBB950_171
.LBB950_37:
	s_or_b64 exec, exec, s[2:3]
                                        ; implicit-def: $vgpr15
	s_and_saveexec_b64 s[2:3], s[8:9]
	s_cbranch_execnz .LBB950_172
.LBB950_38:
	s_or_b64 exec, exec, s[2:3]
                                        ; implicit-def: $vgpr16
	s_and_saveexec_b64 s[2:3], s[10:11]
	s_cbranch_execnz .LBB950_173
.LBB950_39:
	s_or_b64 exec, exec, s[2:3]
                                        ; implicit-def: $vgpr17
	s_and_saveexec_b64 s[2:3], s[12:13]
	s_cbranch_execnz .LBB950_174
.LBB950_40:
	s_or_b64 exec, exec, s[2:3]
                                        ; implicit-def: $vgpr2
	s_and_saveexec_b64 s[2:3], s[14:15]
	s_cbranch_execnz .LBB950_175
.LBB950_41:
	s_or_b64 exec, exec, s[2:3]
                                        ; implicit-def: $vgpr3
	s_and_saveexec_b64 s[2:3], s[16:17]
	s_cbranch_execnz .LBB950_176
.LBB950_42:
	s_or_b64 exec, exec, s[2:3]
                                        ; implicit-def: $vgpr4
	s_and_saveexec_b64 s[2:3], s[18:19]
	s_cbranch_execnz .LBB950_177
.LBB950_43:
	s_or_b64 exec, exec, s[2:3]
                                        ; implicit-def: $vgpr5
	s_and_saveexec_b64 s[2:3], s[20:21]
	s_cbranch_execnz .LBB950_178
.LBB950_44:
	s_or_b64 exec, exec, s[2:3]
                                        ; implicit-def: $vgpr6
	s_and_saveexec_b64 s[2:3], s[22:23]
	s_cbranch_execnz .LBB950_179
.LBB950_45:
	s_or_b64 exec, exec, s[2:3]
                                        ; implicit-def: $vgpr7
	s_and_saveexec_b64 s[2:3], s[24:25]
	s_cbranch_execnz .LBB950_180
.LBB950_46:
	s_or_b64 exec, exec, s[2:3]
                                        ; implicit-def: $vgpr8
	s_and_saveexec_b64 s[2:3], s[26:27]
	s_cbranch_execnz .LBB950_181
.LBB950_47:
	s_or_b64 exec, exec, s[2:3]
                                        ; implicit-def: $vgpr9
	s_and_saveexec_b64 s[2:3], s[28:29]
	s_cbranch_execnz .LBB950_182
.LBB950_48:
	s_or_b64 exec, exec, s[2:3]
                                        ; implicit-def: $vgpr10
	s_and_saveexec_b64 s[2:3], s[30:31]
	s_cbranch_execz .LBB950_50
.LBB950_49:
	v_lshlrev_b32_e32 v10, 2, v11
	global_load_dword v10, v10, s[52:53]
	s_waitcnt vmcnt(0)
	v_sub_u32_e32 v10, 0, v10
.LBB950_50:
	s_or_b64 exec, exec, s[2:3]
	s_mov_b32 s8, 0
	s_mov_b32 s9, s8
	ds_write2st64_b32 v12, v13, v14 offset1:4
	ds_write2st64_b32 v12, v15, v16 offset0:8 offset1:12
	ds_write2st64_b32 v12, v17, v2 offset0:16 offset1:20
	;; [unrolled: 1-line block ×6, first 2 shown]
	s_mov_b32 s10, s8
	s_mov_b32 s11, s8
	;; [unrolled: 1-line block ×6, first 2 shown]
	v_pk_mov_b32 v[2:3], s[8:9], s[8:9] op_sel:[0,1]
	v_pk_mov_b32 v[8:9], s[14:15], s[14:15] op_sel:[0,1]
	v_mul_u32_u24_e32 v42, 14, v0
	v_pk_mov_b32 v[4:5], s[10:11], s[10:11] op_sel:[0,1]
	v_pk_mov_b32 v[6:7], s[12:13], s[12:13] op_sel:[0,1]
	;; [unrolled: 1-line block ×4, first 2 shown]
	v_cmp_gt_u32_e32 vcc, s7, v42
	s_mov_b64 s[16:17], 0
	v_pk_mov_b32 v[38:39], 0, 0
	s_mov_b64 s[20:21], 0
	v_pk_mov_b32 v[14:15], v[6:7], v[6:7] op_sel:[0,1]
	v_pk_mov_b32 v[12:13], v[4:5], v[4:5] op_sel:[0,1]
	;; [unrolled: 1-line block ×6, first 2 shown]
	s_waitcnt lgkmcnt(0)
	s_barrier
	s_waitcnt lgkmcnt(0)
                                        ; implicit-def: $sgpr2_sgpr3
                                        ; implicit-def: $vgpr43
	s_and_saveexec_b64 s[18:19], vcc
	s_cbranch_execz .LBB950_76
; %bb.51:
	v_or_b32_e32 v2, 1, v42
	ds_read_b32 v38, v1
	s_waitcnt vmcnt(0)
	v_cmp_ne_u32_e32 vcc, v44, v34
	v_cndmask_b32_e64 v39, 0, 1, vcc
	v_cmp_gt_u32_e32 vcc, s7, v2
	v_pk_mov_b32 v[2:3], s[8:9], s[8:9] op_sel:[0,1]
	v_pk_mov_b32 v[8:9], s[14:15], s[14:15] op_sel:[0,1]
	;; [unrolled: 1-line block ×6, first 2 shown]
	s_mov_b64 s[22:23], 0
	v_pk_mov_b32 v[14:15], v[6:7], v[6:7] op_sel:[0,1]
	v_pk_mov_b32 v[12:13], v[4:5], v[4:5] op_sel:[0,1]
	;; [unrolled: 1-line block ×6, first 2 shown]
                                        ; implicit-def: $sgpr8_sgpr9
                                        ; implicit-def: $vgpr43
	s_and_saveexec_b64 s[20:21], vcc
	s_cbranch_execz .LBB950_75
; %bb.52:
	ds_read2_b32 v[44:45], v1 offset0:1 offset1:2
	s_mov_b32 s8, 0
	s_mov_b32 s14, s8
	;; [unrolled: 1-line block ×8, first 2 shown]
	v_pk_mov_b32 v[16:17], s[14:15], s[14:15] op_sel:[0,1]
	v_add_u32_e32 v2, 2, v42
	v_cmp_ne_u32_e32 vcc, v34, v35
	v_mov_b32_e32 v6, 0
	v_pk_mov_b32 v[14:15], s[12:13], s[12:13] op_sel:[0,1]
	v_pk_mov_b32 v[12:13], s[10:11], s[10:11] op_sel:[0,1]
	;; [unrolled: 1-line block ×4, first 2 shown]
	v_cndmask_b32_e64 v3, 0, 1, vcc
	v_cmp_gt_u32_e32 vcc, s7, v2
	s_waitcnt lgkmcnt(0)
	v_mov_b32_e32 v2, v44
	v_mov_b32_e32 v4, v6
	v_mov_b32_e32 v5, v6
	v_mov_b32_e32 v7, v6
	v_mov_b32_e32 v8, v6
	v_mov_b32_e32 v9, v6
	s_mov_b64 s[2:3], 0
	v_pk_mov_b32 v[22:23], v[14:15], v[14:15] op_sel:[0,1]
	v_pk_mov_b32 v[20:21], v[12:13], v[12:13] op_sel:[0,1]
	;; [unrolled: 1-line block ×3, first 2 shown]
                                        ; implicit-def: $sgpr24_sgpr25
                                        ; implicit-def: $vgpr43
	s_and_saveexec_b64 s[22:23], vcc
	s_cbranch_execz .LBB950_74
; %bb.53:
	v_pk_mov_b32 v[16:17], s[14:15], s[14:15] op_sel:[0,1]
	v_add_u32_e32 v2, 3, v42
	v_cmp_ne_u32_e32 vcc, v35, v36
	v_pk_mov_b32 v[14:15], s[12:13], s[12:13] op_sel:[0,1]
	v_pk_mov_b32 v[12:13], s[10:11], s[10:11] op_sel:[0,1]
	;; [unrolled: 1-line block ×4, first 2 shown]
	v_cndmask_b32_e64 v5, 0, 1, vcc
	v_cmp_gt_u32_e32 vcc, s7, v2
	v_mov_b32_e32 v2, v44
	v_mov_b32_e32 v4, v45
	;; [unrolled: 1-line block ×5, first 2 shown]
	v_pk_mov_b32 v[22:23], v[14:15], v[14:15] op_sel:[0,1]
	v_pk_mov_b32 v[20:21], v[12:13], v[12:13] op_sel:[0,1]
	;; [unrolled: 1-line block ×3, first 2 shown]
                                        ; implicit-def: $sgpr8_sgpr9
                                        ; implicit-def: $vgpr43
	s_and_saveexec_b64 s[24:25], vcc
	s_cbranch_execz .LBB950_73
; %bb.54:
	ds_read2_b32 v[34:35], v1 offset0:3 offset1:4
	s_mov_b32 s8, 0
	s_mov_b32 s14, s8
	;; [unrolled: 1-line block ×8, first 2 shown]
	v_pk_mov_b32 v[16:17], s[14:15], s[14:15] op_sel:[0,1]
	v_add_u32_e32 v6, 4, v42
	v_cmp_ne_u32_e32 vcc, v36, v37
	v_pk_mov_b32 v[14:15], s[12:13], s[12:13] op_sel:[0,1]
	v_pk_mov_b32 v[12:13], s[10:11], s[10:11] op_sel:[0,1]
	;; [unrolled: 1-line block ×4, first 2 shown]
	v_cndmask_b32_e64 v7, 0, 1, vcc
	v_cmp_gt_u32_e32 vcc, s7, v6
	s_waitcnt lgkmcnt(0)
	v_mov_b32_e32 v6, v34
	v_mov_b32_e32 v8, s8
	;; [unrolled: 1-line block ×3, first 2 shown]
	v_pk_mov_b32 v[22:23], v[14:15], v[14:15] op_sel:[0,1]
	v_pk_mov_b32 v[20:21], v[12:13], v[12:13] op_sel:[0,1]
	;; [unrolled: 1-line block ×3, first 2 shown]
                                        ; implicit-def: $sgpr28_sgpr29
                                        ; implicit-def: $vgpr43
	s_and_saveexec_b64 s[26:27], vcc
	s_cbranch_execz .LBB950_72
; %bb.55:
	v_pk_mov_b32 v[16:17], s[14:15], s[14:15] op_sel:[0,1]
	v_add_u32_e32 v8, 5, v42
	v_cmp_ne_u32_e32 vcc, v37, v30
	v_pk_mov_b32 v[14:15], s[12:13], s[12:13] op_sel:[0,1]
	v_pk_mov_b32 v[12:13], s[10:11], s[10:11] op_sel:[0,1]
	;; [unrolled: 1-line block ×4, first 2 shown]
	v_cndmask_b32_e64 v9, 0, 1, vcc
	v_cmp_gt_u32_e32 vcc, s7, v8
	v_mov_b32_e32 v8, v35
	v_pk_mov_b32 v[22:23], v[14:15], v[14:15] op_sel:[0,1]
	v_pk_mov_b32 v[20:21], v[12:13], v[12:13] op_sel:[0,1]
	;; [unrolled: 1-line block ×3, first 2 shown]
                                        ; implicit-def: $sgpr8_sgpr9
                                        ; implicit-def: $vgpr43
	s_and_saveexec_b64 s[28:29], vcc
	s_cbranch_execz .LBB950_71
; %bb.56:
	ds_read2_b32 v[34:35], v1 offset0:5 offset1:6
	s_mov_b32 s8, 0
	s_mov_b32 s14, s8
	;; [unrolled: 1-line block ×3, first 2 shown]
	v_add_u32_e32 v10, 6, v42
	v_cmp_ne_u32_e32 vcc, v30, v31
	v_mov_b32_e32 v14, 0
	s_mov_b32 s9, s8
	s_mov_b32 s10, s8
	;; [unrolled: 1-line block ×5, first 2 shown]
	v_pk_mov_b32 v[24:25], s[14:15], s[14:15] op_sel:[0,1]
	v_cndmask_b32_e64 v11, 0, 1, vcc
	v_cmp_gt_u32_e32 vcc, s7, v10
	s_waitcnt lgkmcnt(0)
	v_mov_b32_e32 v10, v34
	v_mov_b32_e32 v12, v14
	;; [unrolled: 1-line block ×6, first 2 shown]
	v_pk_mov_b32 v[22:23], s[12:13], s[12:13] op_sel:[0,1]
	v_pk_mov_b32 v[20:21], s[10:11], s[10:11] op_sel:[0,1]
	;; [unrolled: 1-line block ×3, first 2 shown]
                                        ; implicit-def: $sgpr34_sgpr35
                                        ; implicit-def: $vgpr43
	s_and_saveexec_b64 s[30:31], vcc
	s_cbranch_execz .LBB950_70
; %bb.57:
	v_add_u32_e32 v10, 7, v42
	v_cmp_ne_u32_e32 vcc, v31, v32
	v_pk_mov_b32 v[24:25], s[14:15], s[14:15] op_sel:[0,1]
	v_cndmask_b32_e64 v13, 0, 1, vcc
	v_cmp_gt_u32_e32 vcc, s7, v10
	v_mov_b32_e32 v10, v34
	v_mov_b32_e32 v12, v35
	;; [unrolled: 1-line block ×5, first 2 shown]
	v_pk_mov_b32 v[22:23], s[12:13], s[12:13] op_sel:[0,1]
	v_pk_mov_b32 v[20:21], s[10:11], s[10:11] op_sel:[0,1]
	v_pk_mov_b32 v[18:19], s[8:9], s[8:9] op_sel:[0,1]
                                        ; implicit-def: $sgpr8_sgpr9
                                        ; implicit-def: $vgpr43
	s_and_saveexec_b64 s[34:35], vcc
	s_cbranch_execz .LBB950_69
; %bb.58:
	ds_read2_b32 v[30:31], v1 offset0:7 offset1:8
	s_mov_b32 s8, 0
	s_mov_b32 s14, s8
	;; [unrolled: 1-line block ×3, first 2 shown]
	v_add_u32_e32 v14, 8, v42
	v_cmp_ne_u32_e32 vcc, v32, v33
	s_mov_b32 s9, s8
	s_mov_b32 s10, s8
	;; [unrolled: 1-line block ×5, first 2 shown]
	v_pk_mov_b32 v[24:25], s[14:15], s[14:15] op_sel:[0,1]
	v_cndmask_b32_e64 v15, 0, 1, vcc
	v_cmp_gt_u32_e32 vcc, s7, v14
	s_waitcnt lgkmcnt(0)
	v_mov_b32_e32 v14, v30
	v_mov_b32_e32 v16, s8
	;; [unrolled: 1-line block ×3, first 2 shown]
	v_pk_mov_b32 v[22:23], s[12:13], s[12:13] op_sel:[0,1]
	v_pk_mov_b32 v[20:21], s[10:11], s[10:11] op_sel:[0,1]
	;; [unrolled: 1-line block ×3, first 2 shown]
                                        ; implicit-def: $sgpr60_sgpr61
                                        ; implicit-def: $vgpr43
	s_and_saveexec_b64 s[36:37], vcc
	s_cbranch_execz .LBB950_68
; %bb.59:
	v_add_u32_e32 v16, 9, v42
	v_cmp_ne_u32_e32 vcc, v33, v26
	v_pk_mov_b32 v[24:25], s[14:15], s[14:15] op_sel:[0,1]
	v_cndmask_b32_e64 v17, 0, 1, vcc
	v_cmp_gt_u32_e32 vcc, s7, v16
	v_mov_b32_e32 v16, v31
	v_pk_mov_b32 v[22:23], s[12:13], s[12:13] op_sel:[0,1]
	v_pk_mov_b32 v[20:21], s[10:11], s[10:11] op_sel:[0,1]
	v_pk_mov_b32 v[18:19], s[8:9], s[8:9] op_sel:[0,1]
                                        ; implicit-def: $sgpr10_sgpr11
                                        ; implicit-def: $vgpr43
	s_and_saveexec_b64 s[8:9], vcc
	s_cbranch_execz .LBB950_67
; %bb.60:
	ds_read2_b32 v[30:31], v1 offset0:9 offset1:10
	v_add_u32_e32 v18, 10, v42
	v_cmp_ne_u32_e32 vcc, v26, v27
	v_mov_b32_e32 v22, 0
	v_cndmask_b32_e64 v19, 0, 1, vcc
	v_cmp_gt_u32_e32 vcc, s7, v18
	s_waitcnt lgkmcnt(0)
	v_mov_b32_e32 v18, v30
	v_mov_b32_e32 v20, v22
	;; [unrolled: 1-line block ×6, first 2 shown]
                                        ; implicit-def: $sgpr12_sgpr13
                                        ; implicit-def: $vgpr43
	s_and_saveexec_b64 s[10:11], vcc
	s_cbranch_execz .LBB950_66
; %bb.61:
	v_add_u32_e32 v18, 11, v42
	v_cmp_ne_u32_e32 vcc, v27, v28
	v_cndmask_b32_e64 v21, 0, 1, vcc
	v_cmp_gt_u32_e32 vcc, s7, v18
	s_mov_b32 s47, 0
	v_mov_b32_e32 v18, v30
	v_mov_b32_e32 v20, v31
	;; [unrolled: 1-line block ×5, first 2 shown]
                                        ; implicit-def: $sgpr14_sgpr15
                                        ; implicit-def: $vgpr43
	s_and_saveexec_b64 s[12:13], vcc
	s_cbranch_execz .LBB950_65
; %bb.62:
	ds_read2_b32 v[26:27], v1 offset0:11 offset1:12
	v_add_u32_e32 v22, 12, v42
	v_cmp_ne_u32_e32 vcc, v28, v29
	v_cndmask_b32_e64 v23, 0, 1, vcc
	v_cmp_gt_u32_e32 vcc, s7, v22
	s_waitcnt lgkmcnt(0)
	v_mov_b32_e32 v22, v26
	v_mov_b32_e32 v24, s47
	;; [unrolled: 1-line block ×3, first 2 shown]
                                        ; implicit-def: $sgpr14_sgpr15
                                        ; implicit-def: $vgpr43
	s_and_saveexec_b64 s[60:61], vcc
	s_xor_b64 s[60:61], exec, s[60:61]
	s_cbranch_execz .LBB950_64
; %bb.63:
	ds_read_b32 v43, v1 offset:52
	v_add_u32_e32 v1, 13, v42
	v_cmp_ne_u32_e64 s[2:3], v29, v40
	v_cmp_ne_u32_e32 vcc, v40, v41
	v_cndmask_b32_e64 v25, 0, 1, s[2:3]
	v_cmp_gt_u32_e64 s[2:3], s7, v1
	v_mov_b32_e32 v24, v27
	s_and_b64 s[14:15], vcc, exec
	s_and_b64 s[2:3], s[2:3], exec
.LBB950_64:
	s_or_b64 exec, exec, s[60:61]
	s_and_b64 s[14:15], s[14:15], exec
	s_and_b64 s[2:3], s[2:3], exec
.LBB950_65:
	s_or_b64 exec, exec, s[12:13]
	s_and_b64 s[12:13], s[14:15], exec
	s_and_b64 s[2:3], s[2:3], exec
.LBB950_66:
	s_or_b64 exec, exec, s[10:11]
	s_and_b64 s[10:11], s[12:13], exec
	s_and_b64 s[2:3], s[2:3], exec
.LBB950_67:
	s_or_b64 exec, exec, s[8:9]
	s_and_b64 s[60:61], s[10:11], exec
	s_and_b64 s[2:3], s[2:3], exec
.LBB950_68:
	s_or_b64 exec, exec, s[36:37]
	s_and_b64 s[8:9], s[60:61], exec
	s_and_b64 s[2:3], s[2:3], exec
.LBB950_69:
	s_or_b64 exec, exec, s[34:35]
	s_and_b64 s[34:35], s[8:9], exec
	s_and_b64 s[2:3], s[2:3], exec
.LBB950_70:
	s_or_b64 exec, exec, s[30:31]
	s_and_b64 s[8:9], s[34:35], exec
	s_and_b64 s[2:3], s[2:3], exec
.LBB950_71:
	s_or_b64 exec, exec, s[28:29]
	s_and_b64 s[28:29], s[8:9], exec
	s_and_b64 s[2:3], s[2:3], exec
.LBB950_72:
	s_or_b64 exec, exec, s[26:27]
	s_and_b64 s[8:9], s[28:29], exec
	s_and_b64 s[2:3], s[2:3], exec
.LBB950_73:
	s_or_b64 exec, exec, s[24:25]
	s_and_b64 s[24:25], s[8:9], exec
	s_and_b64 s[2:3], s[2:3], exec
.LBB950_74:
	s_or_b64 exec, exec, s[22:23]
	s_and_b64 s[8:9], s[24:25], exec
	s_and_b64 s[22:23], s[2:3], exec
.LBB950_75:
	s_or_b64 exec, exec, s[20:21]
	s_and_b64 s[2:3], s[8:9], exec
	s_and_b64 s[20:21], s[22:23], exec
.LBB950_76:
	s_or_b64 exec, exec, s[18:19]
	s_and_b64 vcc, exec, s[16:17]
	v_lshlrev_b32_e32 v50, 2, v0
	s_cbranch_vccnz .LBB950_78
	s_branch .LBB950_86
.LBB950_77:
                                        ; implicit-def: $sgpr2_sgpr3
                                        ; implicit-def: $vgpr2_vgpr3_vgpr4_vgpr5_vgpr6_vgpr7_vgpr8_vgpr9
                                        ; implicit-def: $vgpr10_vgpr11_vgpr12_vgpr13_vgpr14_vgpr15_vgpr16_vgpr17
                                        ; implicit-def: $vgpr18_vgpr19_vgpr20_vgpr21_vgpr22_vgpr23_vgpr24_vgpr25
                                        ; implicit-def: $vgpr43
                                        ; implicit-def: $vgpr38_vgpr39
	s_and_b64 vcc, exec, s[16:17]
	v_lshlrev_b32_e32 v50, 2, v0
	s_cbranch_vccz .LBB950_86
.LBB950_78:
	v_mov_b32_e32 v1, s55
	v_add_co_u32_e32 v2, vcc, s54, v50
	v_addc_co_u32_e32 v3, vcc, 0, v1, vcc
	v_add_co_u32_e32 v4, vcc, 0x1000, v2
	v_addc_co_u32_e32 v5, vcc, 0, v3, vcc
	flat_load_dword v6, v[2:3]
	flat_load_dword v7, v[2:3] offset:1024
	flat_load_dword v8, v[2:3] offset:2048
	flat_load_dword v9, v[2:3] offset:3072
	flat_load_dword v10, v[4:5]
	flat_load_dword v11, v[4:5] offset:1024
	flat_load_dword v12, v[4:5] offset:2048
	;; [unrolled: 1-line block ×3, first 2 shown]
	v_add_co_u32_e32 v4, vcc, 0x2000, v2
	v_addc_co_u32_e32 v5, vcc, 0, v3, vcc
	v_add_co_u32_e32 v2, vcc, 0x3000, v2
	v_addc_co_u32_e32 v3, vcc, 0, v3, vcc
	flat_load_dword v14, v[4:5]
	flat_load_dword v15, v[4:5] offset:1024
	flat_load_dword v16, v[4:5] offset:2048
	;; [unrolled: 1-line block ×3, first 2 shown]
	flat_load_dword v18, v[2:3]
	flat_load_dword v19, v[2:3] offset:1024
	v_mad_u32_u24 v1, v0, 52, v50
	s_cmp_eq_u64 s[58:59], 0
	s_waitcnt vmcnt(0) lgkmcnt(0)
	ds_write2st64_b32 v50, v6, v7 offset1:4
	ds_write2st64_b32 v50, v8, v9 offset0:8 offset1:12
	ds_write2st64_b32 v50, v10, v11 offset0:16 offset1:20
	;; [unrolled: 1-line block ×6, first 2 shown]
	s_waitcnt lgkmcnt(0)
	s_barrier
	ds_read2_b64 v[2:5], v1 offset1:1
	ds_read2_b64 v[10:13], v1 offset0:2 offset1:3
	ds_read2_b64 v[18:21], v1 offset0:4 offset1:5
	ds_read_b64 v[22:23], v1 offset:48
	s_cbranch_scc1 .LBB950_83
; %bb.79:
	s_andn2_b64 vcc, exec, s[56:57]
	s_cbranch_vccnz .LBB950_184
; %bb.80:
	s_lshl_b64 s[2:3], s[58:59], 2
	s_add_u32 s2, s42, s2
	s_addc_u32 s3, s43, s3
	s_add_u32 s2, s2, -4
	s_addc_u32 s3, s3, -1
	s_cbranch_execnz .LBB950_82
.LBB950_81:
	s_add_u32 s2, s54, -4
	s_addc_u32 s3, s55, -1
.LBB950_82:
	s_mov_b64 s[54:55], s[2:3]
.LBB950_83:
	v_pk_mov_b32 v[6:7], s[54:55], s[54:55] op_sel:[0,1]
	flat_load_dword v6, v[6:7]
	s_movk_i32 s2, 0xffcc
	v_mad_i32_i24 v7, v0, s2, v1
	v_cmp_ne_u32_e32 vcc, 0, v0
	s_waitcnt lgkmcnt(0)
	ds_write_b32 v7, v23 offset:14336
	s_waitcnt lgkmcnt(0)
	s_barrier
	s_and_saveexec_b64 s[2:3], vcc
	s_cbranch_execz .LBB950_85
; %bb.84:
	s_waitcnt vmcnt(0)
	v_mul_i32_i24_e32 v6, 0xffffffcc, v0
	v_add_u32_e32 v6, v1, v6
	ds_read_b32 v6, v6 offset:14332
.LBB950_85:
	s_or_b64 exec, exec, s[2:3]
	v_mov_b32_e32 v7, s53
	v_add_co_u32_e32 v16, vcc, s52, v50
	v_addc_co_u32_e32 v7, vcc, 0, v7, vcc
	s_movk_i32 s2, 0x1000
	v_add_co_u32_e32 v8, vcc, s2, v16
	v_addc_co_u32_e32 v9, vcc, 0, v7, vcc
	s_movk_i32 s2, 0x2000
	;; [unrolled: 3-line block ×3, first 2 shown]
	s_waitcnt lgkmcnt(0)
	s_barrier
	global_load_dword v24, v50, s[52:53]
	global_load_dword v25, v50, s[52:53] offset:1024
	global_load_dword v26, v50, s[52:53] offset:2048
	;; [unrolled: 1-line block ×3, first 2 shown]
	global_load_dword v28, v[8:9], off offset:1024
	global_load_dword v29, v[8:9], off offset:2048
	;; [unrolled: 1-line block ×3, first 2 shown]
	global_load_dword v31, v[14:15], off offset:-4096
	global_load_dword v32, v[14:15], off
	global_load_dword v33, v[14:15], off offset:1024
	global_load_dword v34, v[14:15], off offset:2048
	;; [unrolled: 1-line block ×3, first 2 shown]
	v_add_co_u32_e32 v8, vcc, s2, v16
	v_addc_co_u32_e32 v9, vcc, 0, v7, vcc
	global_load_dword v14, v[8:9], off
	global_load_dword v16, v[8:9], off offset:1024
	s_waitcnt vmcnt(0)
	v_cmp_ne_u32_e32 vcc, v6, v2
	v_cndmask_b32_e64 v39, 0, 1, vcc
	v_cmp_ne_u32_e32 vcc, v5, v10
	v_cndmask_b32_e64 v9, 0, 1, vcc
	;; [unrolled: 2-line block ×5, first 2 shown]
	v_cmp_ne_u32_e32 vcc, v13, v18
	v_cmp_ne_u32_e64 s[2:3], v22, v23
	v_cndmask_b32_e64 v17, 0, 1, vcc
	v_cmp_ne_u32_e32 vcc, v12, v13
	v_cndmask_b32_e64 v15, 0, 1, vcc
	v_cmp_ne_u32_e32 vcc, v11, v12
	s_mov_b64 s[20:21], -1
                                        ; implicit-def: $sgpr16_sgpr17
	v_sub_u32_e32 v2, 0, v24
	v_sub_u32_e32 v4, 0, v25
	;; [unrolled: 1-line block ×4, first 2 shown]
	ds_write2st64_b32 v50, v2, v4 offset1:4
	ds_write2st64_b32 v50, v6, v8 offset0:8 offset1:12
	v_sub_u32_e32 v2, 0, v31
	v_sub_u32_e32 v4, 0, v28
	;; [unrolled: 1-line block ×10, first 2 shown]
	ds_write2st64_b32 v50, v2, v4 offset0:16 offset1:20
	ds_write2st64_b32 v50, v6, v8 offset0:24 offset1:28
	;; [unrolled: 1-line block ×5, first 2 shown]
	s_waitcnt lgkmcnt(0)
	s_barrier
	ds_read2_b32 v[42:43], v1 offset1:13
	ds_read2_b32 v[24:25], v1 offset0:7 offset1:8
	ds_read2_b32 v[26:27], v1 offset0:5 offset1:6
	;; [unrolled: 1-line block ×4, first 2 shown]
	v_cndmask_b32_e64 v13, 0, 1, vcc
	v_cmp_ne_u32_e32 vcc, v10, v11
	s_waitcnt lgkmcnt(2)
	v_mov_b32_e32 v10, v26
	s_waitcnt lgkmcnt(1)
	v_mov_b32_e32 v6, v28
	v_mov_b32_e32 v8, v29
	;; [unrolled: 1-line block ×3, first 2 shown]
	ds_read2_b32 v[26:27], v1 offset0:11 offset1:12
	ds_read2_b32 v[28:29], v1 offset0:9 offset1:10
	v_cndmask_b32_e64 v11, 0, 1, vcc
	v_cmp_ne_u32_e32 vcc, v21, v22
	v_mov_b32_e32 v16, v25
	v_cndmask_b32_e64 v25, 0, 1, vcc
	v_cmp_ne_u32_e32 vcc, v20, v21
	v_cndmask_b32_e64 v23, 0, 1, vcc
	v_cmp_ne_u32_e32 vcc, v19, v20
	;; [unrolled: 2-line block ×3, first 2 shown]
	v_mov_b32_e32 v38, v42
	s_waitcnt lgkmcnt(2)
	v_mov_b32_e32 v2, v30
	v_mov_b32_e32 v4, v31
	;; [unrolled: 1-line block ×3, first 2 shown]
	v_cndmask_b32_e64 v19, 0, 1, vcc
	s_waitcnt lgkmcnt(0)
	v_mov_b32_e32 v18, v28
	v_mov_b32_e32 v20, v29
	;; [unrolled: 1-line block ×4, first 2 shown]
.LBB950_86:
	v_pk_mov_b32 v[40:41], s[16:17], s[16:17] op_sel:[0,1]
	s_and_saveexec_b64 s[8:9], s[20:21]
	s_cbranch_execz .LBB950_88
; %bb.87:
	v_cndmask_b32_e64 v41, 0, 1, s[2:3]
	s_waitcnt lgkmcnt(0)
	v_mov_b32_e32 v40, v43
.LBB950_88:
	s_or_b64 exec, exec, s[8:9]
	s_mov_b32 s28, 0
	s_cmp_lg_u32 s6, 0
	v_mbcnt_lo_u32_b32 v52, -1, 0
	v_lshrrev_b32_e32 v1, 6, v0
	v_or_b32_e32 v51, 63, v0
	s_waitcnt lgkmcnt(0)
	s_barrier
	s_cbranch_scc0 .LBB950_121
; %bb.89:
	s_mov_b32 s29, 1
	v_cmp_gt_u64_e64 s[2:3], s[28:29], v[2:3]
	v_cndmask_b32_e64 v27, 0, v38, s[2:3]
	v_add_u32_e32 v27, v27, v2
	v_cmp_gt_u64_e64 s[34:35], s[28:29], v[4:5]
	v_cndmask_b32_e64 v27, 0, v27, s[34:35]
	v_add_u32_e32 v27, v27, v4
	;; [unrolled: 3-line block ×13, first 2 shown]
	v_or3_b32 v27, v41, v25, v23
	v_or3_b32 v27, v27, v21, v19
	;; [unrolled: 1-line block ×6, first 2 shown]
	v_mov_b32_e32 v26, 0
	v_and_b32_e32 v27, 1, v27
	v_cmp_eq_u64_e32 vcc, 0, v[26:27]
	v_cndmask_b32_e32 v26, 1, v39, vcc
	v_mbcnt_hi_u32_b32 v46, -1, v52
	v_mov_b32_dpp v29, v28 row_shr:1 row_mask:0xf bank_mask:0xf
	v_mov_b32_dpp v30, v26 row_shr:1 row_mask:0xf bank_mask:0xf
	v_cmp_eq_u32_e32 vcc, 0, v26
	v_and_b32_e32 v31, 1, v26
	v_and_b32_e32 v27, 15, v46
	v_cndmask_b32_e32 v29, 0, v29, vcc
	v_and_b32_e32 v30, 1, v30
	v_cmp_eq_u32_e32 vcc, 1, v31
	v_cndmask_b32_e64 v30, v30, 1, vcc
	v_cmp_eq_u32_e32 vcc, 0, v27
	v_cndmask_b32_e32 v26, v30, v26, vcc
	v_and_b32_e32 v31, 1, v26
	v_cmp_eq_u32_e64 s[30:31], 1, v31
	v_mov_b32_dpp v30, v26 row_shr:2 row_mask:0xf bank_mask:0xf
	v_and_b32_e32 v30, 1, v30
	v_cndmask_b32_e64 v30, v30, 1, s[30:31]
	v_cmp_lt_u32_e64 s[30:31], 1, v27
	v_cndmask_b32_e64 v29, v29, 0, vcc
	v_cmp_eq_u32_e32 vcc, 0, v26
	v_cndmask_b32_e64 v26, v26, v30, s[30:31]
	v_add_u32_e32 v28, v29, v28
	v_and_b32_e32 v31, 1, v26
	v_mov_b32_dpp v30, v26 row_shr:4 row_mask:0xf bank_mask:0xf
	v_mov_b32_dpp v29, v28 row_shr:2 row_mask:0xf bank_mask:0xf
	s_and_b64 vcc, s[30:31], vcc
	v_and_b32_e32 v30, 1, v30
	v_cmp_eq_u32_e64 s[30:31], 1, v31
	v_cndmask_b32_e32 v29, 0, v29, vcc
	v_cndmask_b32_e64 v30, v30, 1, s[30:31]
	v_cmp_lt_u32_e64 s[30:31], 3, v27
	v_add_u32_e32 v28, v29, v28
	v_cmp_eq_u32_e32 vcc, 0, v26
	v_cndmask_b32_e64 v26, v26, v30, s[30:31]
	v_mov_b32_dpp v29, v28 row_shr:4 row_mask:0xf bank_mask:0xf
	s_and_b64 vcc, s[30:31], vcc
	v_mov_b32_dpp v30, v26 row_shr:8 row_mask:0xf bank_mask:0xf
	v_and_b32_e32 v31, 1, v26
	v_cndmask_b32_e32 v29, 0, v29, vcc
	v_and_b32_e32 v30, 1, v30
	v_cmp_eq_u32_e64 s[30:31], 1, v31
	v_add_u32_e32 v28, v29, v28
	v_cmp_eq_u32_e32 vcc, 0, v26
	v_cndmask_b32_e64 v30, v30, 1, s[30:31]
	v_cmp_lt_u32_e64 s[30:31], 7, v27
	v_mov_b32_dpp v29, v28 row_shr:8 row_mask:0xf bank_mask:0xf
	s_and_b64 vcc, s[30:31], vcc
	v_cndmask_b32_e32 v27, 0, v29, vcc
	v_cndmask_b32_e64 v26, v26, v30, s[30:31]
	v_add_u32_e32 v27, v27, v28
	v_cmp_eq_u32_e32 vcc, 0, v26
	v_mov_b32_dpp v29, v26 row_bcast:15 row_mask:0xf bank_mask:0xf
	v_mov_b32_dpp v28, v27 row_bcast:15 row_mask:0xf bank_mask:0xf
	v_and_b32_e32 v32, 1, v26
	v_and_b32_e32 v31, 16, v46
	v_cndmask_b32_e32 v28, 0, v28, vcc
	v_and_b32_e32 v29, 1, v29
	v_cmp_eq_u32_e32 vcc, 1, v32
	v_bfe_i32 v30, v46, 4, 1
	v_cndmask_b32_e64 v29, v29, 1, vcc
	v_cmp_eq_u32_e32 vcc, 0, v31
	v_and_b32_e32 v28, v30, v28
	v_cndmask_b32_e32 v26, v29, v26, vcc
	v_add_u32_e32 v27, v28, v27
	v_and_b32_e32 v30, 1, v26
	v_mov_b32_dpp v28, v26 row_bcast:31 row_mask:0xf bank_mask:0xf
	v_and_b32_e32 v28, 1, v28
	v_cmp_eq_u32_e64 s[30:31], 1, v30
	v_cmp_eq_u32_e32 vcc, 0, v26
	v_cndmask_b32_e64 v28, v28, 1, s[30:31]
	v_cmp_lt_u32_e64 s[30:31], 31, v46
	v_mov_b32_dpp v29, v27 row_bcast:31 row_mask:0xf bank_mask:0xf
	s_and_b64 vcc, s[30:31], vcc
	v_cndmask_b32_e64 v28, v26, v28, s[30:31]
	v_cndmask_b32_e32 v26, 0, v29, vcc
	v_add_u32_e32 v29, v26, v27
	v_cmp_eq_u32_e32 vcc, v51, v0
	s_and_saveexec_b64 s[30:31], vcc
	s_cbranch_execz .LBB950_91
; %bb.90:
	v_lshlrev_b32_e32 v26, 3, v1
	ds_write_b32 v26, v29
	ds_write_b8 v26, v28 offset:4
.LBB950_91:
	s_or_b64 exec, exec, s[30:31]
	v_cmp_gt_u32_e32 vcc, 4, v0
	s_waitcnt lgkmcnt(0)
	s_barrier
	s_and_saveexec_b64 s[30:31], vcc
	s_cbranch_execz .LBB950_95
; %bb.92:
	v_lshlrev_b32_e32 v30, 3, v0
	ds_read_b64 v[26:27], v30
	v_and_b32_e32 v31, 3, v46
	v_cmp_ne_u32_e32 vcc, 0, v31
	s_waitcnt lgkmcnt(0)
	v_mov_b32_dpp v32, v26 row_shr:1 row_mask:0xf bank_mask:0xf
	v_mov_b32_dpp v34, v27 row_shr:1 row_mask:0xf bank_mask:0xf
	v_mov_b32_e32 v33, v27
	s_and_saveexec_b64 s[36:37], vcc
	s_cbranch_execz .LBB950_94
; %bb.93:
	v_and_b32_e32 v33, 1, v27
	v_and_b32_e32 v34, 1, v34
	v_cmp_eq_u32_e32 vcc, 1, v33
	v_mov_b32_e32 v33, 0
	v_cndmask_b32_e64 v34, v34, 1, vcc
	v_cmp_eq_u16_sdwa vcc, v27, v33 src0_sel:BYTE_0 src1_sel:DWORD
	v_cndmask_b32_e32 v32, 0, v32, vcc
	v_add_u32_e32 v26, v32, v26
	v_and_b32_e32 v32, 0xffff, v34
	s_movk_i32 s7, 0xff00
	v_and_or_b32 v33, v27, s7, v32
	v_mov_b32_e32 v27, v34
.LBB950_94:
	s_or_b64 exec, exec, s[36:37]
	v_mov_b32_dpp v33, v33 row_shr:2 row_mask:0xf bank_mask:0xf
	v_and_b32_e32 v34, 1, v27
	v_and_b32_e32 v33, 1, v33
	v_cmp_eq_u32_e32 vcc, 1, v34
	v_mov_b32_e32 v34, 0
	v_cndmask_b32_e64 v33, v33, 1, vcc
	v_cmp_eq_u16_sdwa s[36:37], v27, v34 src0_sel:BYTE_0 src1_sel:DWORD
	v_cmp_lt_u32_e32 vcc, 1, v31
	v_mov_b32_dpp v32, v26 row_shr:2 row_mask:0xf bank_mask:0xf
	v_cndmask_b32_e32 v27, v27, v33, vcc
	s_and_b64 vcc, vcc, s[36:37]
	v_cndmask_b32_e32 v31, 0, v32, vcc
	v_add_u32_e32 v26, v31, v26
	ds_write_b32 v30, v26
	ds_write_b8 v30, v27 offset:4
.LBB950_95:
	s_or_b64 exec, exec, s[30:31]
	v_cmp_gt_u32_e32 vcc, 64, v0
	v_cmp_lt_u32_e64 s[30:31], 63, v0
	v_mov_b32_e32 v42, 0
	v_mov_b32_e32 v43, 0
	s_waitcnt lgkmcnt(0)
	s_barrier
	s_and_saveexec_b64 s[36:37], s[30:31]
	s_cbranch_execz .LBB950_97
; %bb.96:
	v_lshl_add_u32 v26, v1, 3, -8
	ds_read_b32 v42, v26
	ds_read_u8 v43, v26 offset:4
	v_and_b32_e32 v27, 1, v28
	v_cmp_eq_u32_e64 s[30:31], 0, v28
	s_waitcnt lgkmcnt(0)
	v_cndmask_b32_e64 v26, 0, v42, s[30:31]
	v_cmp_eq_u32_e64 s[30:31], 1, v27
	v_add_u32_e32 v29, v26, v29
	v_cndmask_b32_e64 v28, v43, 1, s[30:31]
.LBB950_97:
	s_or_b64 exec, exec, s[36:37]
	v_add_u32_e32 v26, -1, v46
	v_and_b32_e32 v27, 64, v46
	v_cmp_lt_i32_e64 s[30:31], v26, v27
	v_cndmask_b32_e64 v26, v26, v46, s[30:31]
	v_lshlrev_b32_e32 v26, 2, v26
	s_waitcnt vmcnt(0)
	ds_bpermute_b32 v44, v26, v29
	ds_bpermute_b32 v45, v26, v28
	v_cmp_eq_u32_e64 s[30:31], 0, v46
	s_and_saveexec_b64 s[42:43], vcc
	s_cbranch_execz .LBB950_120
; %bb.98:
	v_mov_b32_e32 v29, 0
	ds_read_b64 v[26:27], v29 offset:24
	s_waitcnt lgkmcnt(0)
	v_readfirstlane_b32 s7, v27
	s_and_saveexec_b64 s[36:37], s[30:31]
	s_cbranch_execz .LBB950_100
; %bb.99:
	s_add_i32 s52, s6, 64
	s_mov_b32 s53, 0
	s_lshl_b64 s[54:55], s[52:53], 4
	s_add_u32 s54, s44, s54
	s_addc_u32 s55, s45, s55
	s_and_b32 s57, s7, 0xff000000
	s_mov_b32 s56, s53
	s_and_b32 s59, s7, 0xff0000
	s_mov_b32 s58, s53
	s_or_b64 s[56:57], s[58:59], s[56:57]
	s_and_b32 s59, s7, 0xff00
	s_or_b64 s[56:57], s[56:57], s[58:59]
	s_and_b32 s59, s7, 0xff
	s_or_b64 s[52:53], s[56:57], s[58:59]
	v_mov_b32_e32 v27, s53
	v_mov_b32_e32 v28, 1
	v_pk_mov_b32 v[30:31], s[54:55], s[54:55] op_sel:[0,1]
	;;#ASMSTART
	global_store_dwordx4 v[30:31], v[26:29] off	
s_waitcnt vmcnt(0)
	;;#ASMEND
.LBB950_100:
	s_or_b64 exec, exec, s[36:37]
	v_xad_u32 v34, v46, -1, s6
	v_add_u32_e32 v28, 64, v34
	v_lshlrev_b64 v[30:31], 4, v[28:29]
	v_mov_b32_e32 v27, s45
	v_add_co_u32_e32 v36, vcc, s44, v30
	v_addc_co_u32_e32 v37, vcc, v27, v31, vcc
	;;#ASMSTART
	global_load_dwordx4 v[30:33], v[36:37] off glc	
s_waitcnt vmcnt(0)
	;;#ASMEND
	v_and_b32_e32 v27, 0xff0000, v30
	v_or_b32_sdwa v27, v30, v27 dst_sel:DWORD dst_unused:UNUSED_PAD src0_sel:WORD_0 src1_sel:DWORD
	v_and_b32_e32 v28, 0xff000000, v30
	v_and_b32_e32 v30, 0xff, v31
	v_or3_b32 v31, 0, 0, v30
	v_or3_b32 v30, v27, v28, 0
	v_cmp_eq_u16_sdwa s[52:53], v32, v29 src0_sel:BYTE_0 src1_sel:DWORD
	s_and_saveexec_b64 s[36:37], s[52:53]
	s_cbranch_execz .LBB950_106
; %bb.101:
	s_mov_b32 s47, 1
	s_mov_b64 s[52:53], 0
	v_mov_b32_e32 v27, 0
.LBB950_102:                            ; =>This Loop Header: Depth=1
                                        ;     Child Loop BB950_103 Depth 2
	s_max_u32 s54, s47, 1
.LBB950_103:                            ;   Parent Loop BB950_102 Depth=1
                                        ; =>  This Inner Loop Header: Depth=2
	s_add_i32 s54, s54, -1
	s_cmp_eq_u32 s54, 0
	s_sleep 1
	s_cbranch_scc0 .LBB950_103
; %bb.104:                              ;   in Loop: Header=BB950_102 Depth=1
	s_cmp_lt_u32 s47, 32
	s_cselect_b64 s[54:55], -1, 0
	s_cmp_lg_u64 s[54:55], 0
	s_addc_u32 s47, s47, 0
	;;#ASMSTART
	global_load_dwordx4 v[30:33], v[36:37] off glc	
s_waitcnt vmcnt(0)
	;;#ASMEND
	v_cmp_ne_u16_sdwa s[54:55], v32, v27 src0_sel:BYTE_0 src1_sel:DWORD
	s_or_b64 s[52:53], s[54:55], s[52:53]
	s_andn2_b64 exec, exec, s[52:53]
	s_cbranch_execnz .LBB950_102
; %bb.105:
	s_or_b64 exec, exec, s[52:53]
	v_and_b32_e32 v31, 0xff, v31
.LBB950_106:
	s_or_b64 exec, exec, s[36:37]
	v_mov_b32_e32 v27, 2
	v_cmp_eq_u16_sdwa s[36:37], v32, v27 src0_sel:BYTE_0 src1_sel:DWORD
	v_lshlrev_b64 v[28:29], v46, -1
	v_and_b32_e32 v33, s37, v29
	v_or_b32_e32 v33, 0x80000000, v33
	v_and_b32_e32 v35, s36, v28
	v_ffbl_b32_e32 v33, v33
	v_and_b32_e32 v47, 63, v46
	v_add_u32_e32 v33, 32, v33
	v_ffbl_b32_e32 v35, v35
	v_cmp_ne_u32_e32 vcc, 63, v47
	v_min_u32_e32 v33, v35, v33
	v_addc_co_u32_e32 v35, vcc, 0, v46, vcc
	v_lshlrev_b32_e32 v48, 2, v35
	ds_bpermute_b32 v35, v48, v31
	ds_bpermute_b32 v36, v48, v30
	s_mov_b32 s52, 0
	v_and_b32_e32 v37, 1, v31
	s_mov_b32 s53, 1
	s_waitcnt lgkmcnt(1)
	v_and_b32_e32 v35, 1, v35
	v_cmp_eq_u32_e32 vcc, 1, v37
	v_cndmask_b32_e64 v35, v35, 1, vcc
	v_cmp_gt_u64_e32 vcc, s[52:53], v[30:31]
	v_cmp_lt_u32_e64 s[36:37], v47, v33
	s_and_b64 vcc, s[36:37], vcc
	v_and_b32_e32 v37, 0xffff, v35
	v_cndmask_b32_e64 v54, v31, v35, s[36:37]
	s_waitcnt lgkmcnt(0)
	v_cndmask_b32_e32 v35, 0, v36, vcc
	v_cmp_gt_u32_e32 vcc, 62, v47
	v_cndmask_b32_e64 v36, 0, 1, vcc
	v_lshlrev_b32_e32 v36, 1, v36
	v_cndmask_b32_e64 v31, v31, v37, s[36:37]
	v_add_lshl_u32 v49, v36, v46, 2
	ds_bpermute_b32 v36, v49, v31
	v_add_u32_e32 v30, v35, v30
	ds_bpermute_b32 v37, v49, v30
	v_and_b32_e32 v35, 1, v54
	v_cmp_eq_u32_e32 vcc, 1, v35
	s_waitcnt lgkmcnt(1)
	v_and_b32_e32 v36, 1, v36
	v_mov_b32_e32 v35, 0
	v_add_u32_e32 v53, 2, v47
	v_cndmask_b32_e64 v36, v36, 1, vcc
	v_cmp_eq_u16_sdwa vcc, v54, v35 src0_sel:BYTE_0 src1_sel:DWORD
	v_and_b32_e32 v55, 0xffff, v36
	s_waitcnt lgkmcnt(0)
	v_cndmask_b32_e32 v37, 0, v37, vcc
	v_cmp_gt_u32_e32 vcc, v53, v33
	v_cndmask_b32_e32 v36, v36, v54, vcc
	v_cndmask_b32_e64 v37, v37, 0, vcc
	v_cndmask_b32_e32 v31, v55, v31, vcc
	v_cmp_gt_u32_e32 vcc, 60, v47
	v_cndmask_b32_e64 v54, 0, 1, vcc
	v_lshlrev_b32_e32 v54, 2, v54
	v_add_lshl_u32 v54, v54, v46, 2
	ds_bpermute_b32 v56, v54, v31
	v_add_u32_e32 v30, v37, v30
	ds_bpermute_b32 v37, v54, v30
	v_and_b32_e32 v57, 1, v36
	v_cmp_eq_u32_e32 vcc, 1, v57
	s_waitcnt lgkmcnt(1)
	v_and_b32_e32 v56, 1, v56
	v_add_u32_e32 v55, 4, v47
	v_cndmask_b32_e64 v56, v56, 1, vcc
	v_cmp_eq_u16_sdwa vcc, v36, v35 src0_sel:BYTE_0 src1_sel:DWORD
	v_and_b32_e32 v57, 0xffff, v56
	s_waitcnt lgkmcnt(0)
	v_cndmask_b32_e32 v37, 0, v37, vcc
	v_cmp_gt_u32_e32 vcc, v55, v33
	v_cndmask_b32_e32 v36, v56, v36, vcc
	v_cndmask_b32_e64 v37, v37, 0, vcc
	v_cndmask_b32_e32 v31, v57, v31, vcc
	v_cmp_gt_u32_e32 vcc, 56, v47
	v_cndmask_b32_e64 v56, 0, 1, vcc
	v_lshlrev_b32_e32 v56, 3, v56
	v_add_lshl_u32 v56, v56, v46, 2
	ds_bpermute_b32 v58, v56, v31
	v_add_u32_e32 v30, v37, v30
	ds_bpermute_b32 v37, v56, v30
	v_and_b32_e32 v59, 1, v36
	v_cmp_eq_u32_e32 vcc, 1, v59
	s_waitcnt lgkmcnt(1)
	v_and_b32_e32 v58, 1, v58
	;; [unrolled: 21-line block ×4, first 2 shown]
	v_add_u32_e32 v62, 32, v47
	v_cndmask_b32_e64 v31, v31, 1, vcc
	v_cmp_eq_u16_sdwa vcc, v36, v35 src0_sel:BYTE_0 src1_sel:DWORD
	s_waitcnt lgkmcnt(0)
	v_cndmask_b32_e32 v37, 0, v37, vcc
	v_cmp_gt_u32_e32 vcc, v62, v33
	v_cndmask_b32_e64 v33, v37, 0, vcc
	v_cndmask_b32_e32 v31, v31, v36, vcc
	v_add_u32_e32 v30, v33, v30
	s_branch .LBB950_108
.LBB950_107:                            ;   in Loop: Header=BB950_108 Depth=1
	s_or_b64 exec, exec, s[36:37]
	v_cmp_eq_u16_sdwa s[36:37], v32, v27 src0_sel:BYTE_0 src1_sel:DWORD
	v_and_b32_e32 v33, s37, v29
	ds_bpermute_b32 v37, v48, v31
	v_or_b32_e32 v33, 0x80000000, v33
	v_and_b32_e32 v36, s36, v28
	v_ffbl_b32_e32 v33, v33
	v_add_u32_e32 v33, 32, v33
	v_ffbl_b32_e32 v36, v36
	v_min_u32_e32 v33, v36, v33
	ds_bpermute_b32 v36, v48, v30
	v_and_b32_e32 v63, 1, v31
	s_waitcnt lgkmcnt(1)
	v_and_b32_e32 v37, 1, v37
	v_cmp_eq_u32_e32 vcc, 1, v63
	v_cndmask_b32_e64 v37, v37, 1, vcc
	v_cmp_gt_u64_e32 vcc, s[52:53], v[30:31]
	v_and_b32_e32 v63, 0xffff, v37
	v_cmp_lt_u32_e64 s[36:37], v47, v33
	v_cndmask_b32_e64 v37, v31, v37, s[36:37]
	v_cndmask_b32_e64 v31, v31, v63, s[36:37]
	s_and_b64 vcc, s[36:37], vcc
	ds_bpermute_b32 v63, v49, v31
	s_waitcnt lgkmcnt(1)
	v_cndmask_b32_e32 v36, 0, v36, vcc
	v_add_u32_e32 v30, v36, v30
	ds_bpermute_b32 v36, v49, v30
	v_and_b32_e32 v64, 1, v37
	s_waitcnt lgkmcnt(1)
	v_and_b32_e32 v63, 1, v63
	v_cmp_eq_u32_e32 vcc, 1, v64
	v_cndmask_b32_e64 v63, v63, 1, vcc
	v_cmp_eq_u16_sdwa vcc, v37, v35 src0_sel:BYTE_0 src1_sel:DWORD
	v_and_b32_e32 v64, 0xffff, v63
	s_waitcnt lgkmcnt(0)
	v_cndmask_b32_e32 v36, 0, v36, vcc
	v_cmp_gt_u32_e32 vcc, v53, v33
	v_cndmask_b32_e32 v31, v64, v31, vcc
	v_cndmask_b32_e32 v37, v63, v37, vcc
	ds_bpermute_b32 v63, v54, v31
	v_cndmask_b32_e64 v36, v36, 0, vcc
	v_add_u32_e32 v30, v36, v30
	ds_bpermute_b32 v36, v54, v30
	v_and_b32_e32 v64, 1, v37
	s_waitcnt lgkmcnt(1)
	v_and_b32_e32 v63, 1, v63
	v_cmp_eq_u32_e32 vcc, 1, v64
	v_cndmask_b32_e64 v63, v63, 1, vcc
	v_cmp_eq_u16_sdwa vcc, v37, v35 src0_sel:BYTE_0 src1_sel:DWORD
	v_and_b32_e32 v64, 0xffff, v63
	s_waitcnt lgkmcnt(0)
	v_cndmask_b32_e32 v36, 0, v36, vcc
	v_cmp_gt_u32_e32 vcc, v55, v33
	v_cndmask_b32_e32 v31, v64, v31, vcc
	v_cndmask_b32_e32 v37, v63, v37, vcc
	ds_bpermute_b32 v63, v56, v31
	v_cndmask_b32_e64 v36, v36, 0, vcc
	;; [unrolled: 16-line block ×3, first 2 shown]
	v_add_u32_e32 v30, v36, v30
	ds_bpermute_b32 v36, v58, v30
	v_and_b32_e32 v64, 1, v37
	s_waitcnt lgkmcnt(1)
	v_and_b32_e32 v63, 1, v63
	v_cmp_eq_u32_e32 vcc, 1, v64
	v_cndmask_b32_e64 v63, v63, 1, vcc
	v_cmp_eq_u16_sdwa vcc, v37, v35 src0_sel:BYTE_0 src1_sel:DWORD
	v_and_b32_e32 v64, 0xffff, v63
	s_waitcnt lgkmcnt(0)
	v_cndmask_b32_e32 v36, 0, v36, vcc
	v_cmp_gt_u32_e32 vcc, v59, v33
	v_cndmask_b32_e64 v36, v36, 0, vcc
	v_cndmask_b32_e32 v31, v64, v31, vcc
	ds_bpermute_b32 v31, v61, v31
	v_add_u32_e32 v30, v36, v30
	ds_bpermute_b32 v36, v61, v30
	v_cndmask_b32_e32 v37, v63, v37, vcc
	v_and_b32_e32 v63, 1, v37
	v_cmp_eq_u32_e32 vcc, 1, v63
	s_waitcnt lgkmcnt(1)
	v_cndmask_b32_e64 v31, v31, 1, vcc
	v_cmp_eq_u16_sdwa vcc, v37, v35 src0_sel:BYTE_0 src1_sel:DWORD
	s_waitcnt lgkmcnt(0)
	v_cndmask_b32_e32 v36, 0, v36, vcc
	v_cmp_gt_u32_e32 vcc, v62, v33
	v_cndmask_b32_e64 v33, v36, 0, vcc
	v_cndmask_b32_e32 v31, v31, v37, vcc
	v_add_u32_e32 v30, v33, v30
	v_cmp_eq_u16_sdwa vcc, v46, v35 src0_sel:BYTE_0 src1_sel:DWORD
	v_and_b32_e32 v33, 1, v46
	v_cndmask_b32_e32 v30, 0, v30, vcc
	v_and_b32_e32 v31, 1, v31
	v_cmp_eq_u32_e32 vcc, 1, v33
	v_subrev_u32_e32 v34, 64, v34
	v_add_u32_e32 v30, v30, v60
	v_cndmask_b32_e64 v31, v31, 1, vcc
.LBB950_108:                            ; =>This Loop Header: Depth=1
                                        ;     Child Loop BB950_111 Depth 2
                                        ;       Child Loop BB950_112 Depth 3
	v_cmp_ne_u16_sdwa s[36:37], v32, v27 src0_sel:BYTE_0 src1_sel:DWORD
	v_mov_b32_e32 v46, v31
	v_cndmask_b32_e64 v31, 0, 1, s[36:37]
	;;#ASMSTART
	;;#ASMEND
	v_cmp_ne_u32_e32 vcc, 0, v31
	s_cmp_lg_u64 vcc, exec
	v_mov_b32_e32 v60, v30
	s_cbranch_scc1 .LBB950_115
; %bb.109:                              ;   in Loop: Header=BB950_108 Depth=1
	v_lshlrev_b64 v[30:31], 4, v[34:35]
	v_mov_b32_e32 v32, s45
	v_add_co_u32_e32 v36, vcc, s44, v30
	v_addc_co_u32_e32 v37, vcc, v32, v31, vcc
	;;#ASMSTART
	global_load_dwordx4 v[30:33], v[36:37] off glc	
s_waitcnt vmcnt(0)
	;;#ASMEND
	v_and_b32_e32 v33, 0xff0000, v30
	v_or_b32_sdwa v33, v30, v33 dst_sel:DWORD dst_unused:UNUSED_PAD src0_sel:WORD_0 src1_sel:DWORD
	v_and_b32_e32 v30, 0xff000000, v30
	v_and_b32_e32 v31, 0xff, v31
	v_or3_b32 v31, 0, 0, v31
	v_or3_b32 v30, v33, v30, 0
	v_cmp_eq_u16_sdwa s[54:55], v32, v35 src0_sel:BYTE_0 src1_sel:DWORD
	s_and_saveexec_b64 s[36:37], s[54:55]
	s_cbranch_execz .LBB950_107
; %bb.110:                              ;   in Loop: Header=BB950_108 Depth=1
	s_mov_b32 s47, 1
	s_mov_b64 s[54:55], 0
.LBB950_111:                            ;   Parent Loop BB950_108 Depth=1
                                        ; =>  This Loop Header: Depth=2
                                        ;       Child Loop BB950_112 Depth 3
	s_max_u32 s56, s47, 1
.LBB950_112:                            ;   Parent Loop BB950_108 Depth=1
                                        ;     Parent Loop BB950_111 Depth=2
                                        ; =>    This Inner Loop Header: Depth=3
	s_add_i32 s56, s56, -1
	s_cmp_eq_u32 s56, 0
	s_sleep 1
	s_cbranch_scc0 .LBB950_112
; %bb.113:                              ;   in Loop: Header=BB950_111 Depth=2
	s_cmp_lt_u32 s47, 32
	s_cselect_b64 s[56:57], -1, 0
	s_cmp_lg_u64 s[56:57], 0
	s_addc_u32 s47, s47, 0
	;;#ASMSTART
	global_load_dwordx4 v[30:33], v[36:37] off glc	
s_waitcnt vmcnt(0)
	;;#ASMEND
	v_cmp_ne_u16_sdwa s[56:57], v32, v35 src0_sel:BYTE_0 src1_sel:DWORD
	s_or_b64 s[54:55], s[56:57], s[54:55]
	s_andn2_b64 exec, exec, s[54:55]
	s_cbranch_execnz .LBB950_111
; %bb.114:                              ;   in Loop: Header=BB950_108 Depth=1
	s_or_b64 exec, exec, s[54:55]
	v_and_b32_e32 v31, 0xff, v31
	s_branch .LBB950_107
.LBB950_115:                            ;   in Loop: Header=BB950_108 Depth=1
                                        ; implicit-def: $vgpr31
                                        ; implicit-def: $vgpr30
                                        ; implicit-def: $vgpr32
	s_cbranch_execz .LBB950_108
; %bb.116:
	s_and_saveexec_b64 s[36:37], s[30:31]
	s_cbranch_execz .LBB950_118
; %bb.117:
	s_and_b32 s47, s7, 0xff
	s_cmp_eq_u32 s47, 0
	s_cselect_b64 vcc, -1, 0
	s_bitcmp1_b32 s7, 0
	s_mov_b32 s53, 0
	s_cselect_b64 s[54:55], -1, 0
	s_add_i32 s52, s6, 64
	s_lshl_b64 s[6:7], s[52:53], 4
	v_cndmask_b32_e32 v27, 0, v60, vcc
	s_add_u32 s6, s44, s6
	v_add_u32_e32 v26, v27, v26
	v_and_b32_e32 v27, 1, v46
	s_addc_u32 s7, s45, s7
	v_mov_b32_e32 v29, 0
	v_cndmask_b32_e64 v27, v27, 1, s[54:55]
	v_mov_b32_e32 v28, 2
	v_pk_mov_b32 v[30:31], s[6:7], s[6:7] op_sel:[0,1]
	;;#ASMSTART
	global_store_dwordx4 v[30:31], v[26:29] off	
s_waitcnt vmcnt(0)
	;;#ASMEND
.LBB950_118:
	s_or_b64 exec, exec, s[36:37]
	v_cmp_eq_u32_e32 vcc, 0, v0
	s_and_b64 exec, exec, vcc
	s_cbranch_execz .LBB950_120
; %bb.119:
	v_mov_b32_e32 v26, 0
	ds_write_b32 v26, v60 offset:24
	ds_write_b8 v26, v46 offset:28
.LBB950_120:
	s_or_b64 exec, exec, s[42:43]
	s_mov_b32 s6, 0
	v_mov_b32_e32 v28, 0
	s_mov_b32 s7, 1
	s_waitcnt lgkmcnt(0)
	v_cndmask_b32_e64 v26, v45, v43, s[30:31]
	v_cndmask_b32_e64 v27, v44, v42, s[30:31]
	s_barrier
	ds_read_b32 v29, v28 offset:24
	v_cmp_gt_u64_e32 vcc, s[6:7], v[38:39]
	v_and_b32_e32 v30, 1, v39
	v_cndmask_b32_e32 v27, 0, v27, vcc
	v_and_b32_e32 v26, 1, v26
	v_cmp_eq_u32_e32 vcc, 1, v30
	v_cndmask_b32_e64 v26, v26, 1, vcc
	v_cmp_eq_u32_e32 vcc, 0, v0
	v_cndmask_b32_e32 v26, v26, v39, vcc
	v_cndmask_b32_e64 v27, v27, 0, vcc
	v_cmp_eq_u16_sdwa vcc, v26, v28 src0_sel:BYTE_0 src1_sel:DWORD
	s_waitcnt lgkmcnt(0)
	v_cndmask_b32_e32 v26, 0, v29, vcc
	v_add3_u32 v26, v27, v38, v26
	v_cndmask_b32_e64 v27, 0, v26, s[2:3]
	v_add_u32_e32 v27, v27, v2
	v_cndmask_b32_e64 v28, 0, v27, s[34:35]
	v_add_u32_e32 v42, v28, v4
	;; [unrolled: 2-line block ×13, first 2 shown]
	s_load_dwordx2 s[36:37], s[4:5], 0x20
	s_branch .LBB950_137
.LBB950_121:
                                        ; implicit-def: $vgpr49
                                        ; implicit-def: $vgpr47
                                        ; implicit-def: $vgpr45
                                        ; implicit-def: $vgpr43
                                        ; implicit-def: $vgpr34_vgpr35_vgpr36_vgpr37
                                        ; implicit-def: $vgpr30_vgpr31_vgpr32_vgpr33
                                        ; implicit-def: $vgpr26_vgpr27_vgpr28_vgpr29
	s_load_dwordx2 s[36:37], s[4:5], 0x20
	s_cbranch_execz .LBB950_137
; %bb.122:
	s_cmp_lg_u64 s[50:51], 0
	s_cselect_b32 s5, s39, 0
	s_cselect_b32 s4, s38, 0
	s_cmp_lg_u64 s[4:5], 0
	s_cselect_b64 s[6:7], -1, 0
	v_cmp_eq_u32_e32 vcc, 0, v0
	s_mov_b32 s28, 0
	v_cmp_ne_u32_e64 s[2:3], 0, v0
	s_and_b64 s[8:9], vcc, s[6:7]
	s_and_saveexec_b64 s[6:7], s[8:9]
	s_cbranch_execz .LBB950_124
; %bb.123:
	v_mov_b32_e32 v26, 0
	global_load_dword v28, v26, s[4:5]
	global_load_ubyte v29, v26, s[4:5] offset:4
	s_mov_b32 s29, 1
	v_and_b32_e32 v27, 1, v39
	v_cmp_gt_u64_e64 s[4:5], s[28:29], v[38:39]
	s_waitcnt vmcnt(0)
	v_cndmask_b32_e64 v28, 0, v28, s[4:5]
	v_and_b32_e32 v29, 1, v29
	v_cmp_eq_u64_e64 s[4:5], 0, v[26:27]
	v_add_u32_e32 v38, v28, v38
	v_cndmask_b32_e64 v39, 1, v29, s[4:5]
.LBB950_124:
	s_or_b64 exec, exec, s[6:7]
	s_mov_b32 s29, 1
	v_cmp_gt_u64_e64 s[4:5], s[28:29], v[2:3]
	v_cndmask_b32_e64 v26, 0, v38, s[4:5]
	v_add_u32_e32 v27, v26, v2
	v_cmp_gt_u64_e64 s[6:7], s[28:29], v[4:5]
	v_cndmask_b32_e64 v26, 0, v27, s[6:7]
	v_add_u32_e32 v42, v26, v4
	;; [unrolled: 3-line block ×5, first 2 shown]
	v_cmp_gt_u64_e64 s[14:15], s[28:29], v[12:13]
	v_cndmask_b32_e64 v26, 0, v31, s[14:15]
	s_waitcnt vmcnt(0)
	v_add_u32_e32 v44, v26, v12
	v_cmp_gt_u64_e64 s[16:17], s[28:29], v[14:15]
	v_cndmask_b32_e64 v26, 0, v44, s[16:17]
	v_add_u32_e32 v45, v26, v14
	v_cmp_gt_u64_e64 s[18:19], s[28:29], v[16:17]
	v_mov_b32_e32 v28, 0
	v_cndmask_b32_e64 v26, 0, v45, s[18:19]
	v_or3_b32 v7, v23, v15, v7
	v_add_u32_e32 v34, v26, v16
	v_cmp_gt_u64_e64 s[20:21], s[28:29], v[18:19]
	v_or3_b32 v9, v25, v17, v9
	v_and_b32_e32 v55, 1, v7
	v_mov_b32_e32 v54, v28
	v_cndmask_b32_e64 v26, 0, v34, s[20:21]
	v_or3_b32 v3, v19, v11, v3
	v_and_b32_e32 v37, 1, v9
	v_mov_b32_e32 v36, v28
	v_cmp_ne_u64_e64 s[34:35], 0, v[54:55]
	v_add_u32_e32 v35, v26, v18
	v_cmp_gt_u64_e64 s[22:23], s[28:29], v[20:21]
	v_or3_b32 v5, v21, v13, v5
	v_and_b32_e32 v29, 1, v3
	v_cndmask_b32_e64 v3, 0, 1, s[34:35]
	v_cmp_ne_u64_e64 s[34:35], 0, v[36:37]
	v_cndmask_b32_e64 v26, 0, v35, s[22:23]
	v_and_b32_e32 v33, 1, v5
	v_mov_b32_e32 v32, v28
	v_cndmask_b32_e64 v5, 0, 1, s[34:35]
	v_add_u32_e32 v46, v26, v20
	v_cmp_gt_u64_e64 s[24:25], s[28:29], v[22:23]
	v_lshlrev_b16_e32 v3, 2, v3
	v_lshlrev_b16_e32 v5, 3, v5
	v_cmp_ne_u64_e64 s[34:35], 0, v[32:33]
	v_cndmask_b32_e64 v26, 0, v46, s[24:25]
	v_or_b32_e32 v3, v5, v3
	v_cndmask_b32_e64 v5, 0, 1, s[34:35]
	v_cmp_ne_u64_e64 s[34:35], 0, v[28:29]
	v_add_u32_e32 v47, v26, v22
	v_cmp_gt_u64_e64 s[26:27], s[28:29], v[24:25]
	v_lshlrev_b16_e32 v5, 1, v5
	v_cndmask_b32_e64 v7, 0, 1, s[34:35]
	v_cndmask_b32_e64 v26, 0, v47, s[26:27]
	v_or_b32_e32 v5, v7, v5
	v_add_u32_e32 v48, v26, v24
	v_cmp_gt_u64_e64 s[28:29], s[28:29], v[40:41]
	v_and_b32_e32 v5, 3, v5
	v_cndmask_b32_e64 v26, 0, v48, s[28:29]
	v_or_b32_e32 v3, v5, v3
	v_add_u32_e32 v49, v26, v40
	v_and_b32_e32 v26, 1, v41
	v_and_b32_e32 v3, 15, v3
	v_cmp_eq_u32_e64 s[30:31], 1, v26
	v_cmp_ne_u16_e64 s[34:35], 0, v3
	s_or_b64 s[30:31], s[30:31], s[34:35]
	v_cndmask_b32_e64 v5, v39, 1, s[30:31]
	v_mbcnt_hi_u32_b32 v3, -1, v52
	v_mov_b32_dpp v9, v49 row_shr:1 row_mask:0xf bank_mask:0xf
	v_mov_b32_dpp v11, v5 row_shr:1 row_mask:0xf bank_mask:0xf
	v_cmp_eq_u32_e64 s[30:31], 0, v5
	v_and_b32_e32 v13, 1, v5
	v_and_b32_e32 v7, 15, v3
	v_cndmask_b32_e64 v9, 0, v9, s[30:31]
	v_and_b32_e32 v11, 1, v11
	v_cmp_eq_u32_e64 s[30:31], 1, v13
	v_cndmask_b32_e64 v11, v11, 1, s[30:31]
	v_cmp_eq_u32_e64 s[30:31], 0, v7
	v_cndmask_b32_e64 v5, v11, v5, s[30:31]
	v_and_b32_e32 v15, 1, v5
	v_cmp_eq_u32_e64 s[34:35], 1, v15
	v_mov_b32_dpp v13, v5 row_shr:2 row_mask:0xf bank_mask:0xf
	v_and_b32_e32 v13, 1, v13
	v_cndmask_b32_e64 v13, v13, 1, s[34:35]
	v_cmp_lt_u32_e64 s[34:35], 1, v7
	v_cndmask_b32_e64 v9, v9, 0, s[30:31]
	v_cmp_eq_u32_e64 s[30:31], 0, v5
	v_cndmask_b32_e64 v5, v5, v13, s[34:35]
	v_add_u32_e32 v9, v49, v9
	v_and_b32_e32 v15, 1, v5
	v_mov_b32_dpp v13, v5 row_shr:4 row_mask:0xf bank_mask:0xf
	v_mov_b32_dpp v11, v9 row_shr:2 row_mask:0xf bank_mask:0xf
	s_and_b64 s[30:31], s[34:35], s[30:31]
	v_and_b32_e32 v13, 1, v13
	v_cmp_eq_u32_e64 s[34:35], 1, v15
	v_cndmask_b32_e64 v11, 0, v11, s[30:31]
	v_cndmask_b32_e64 v13, v13, 1, s[34:35]
	v_cmp_lt_u32_e64 s[34:35], 3, v7
	v_add_u32_e32 v9, v9, v11
	v_cmp_eq_u32_e64 s[30:31], 0, v5
	v_cndmask_b32_e64 v5, v5, v13, s[34:35]
	v_mov_b32_dpp v11, v9 row_shr:4 row_mask:0xf bank_mask:0xf
	s_and_b64 s[30:31], s[34:35], s[30:31]
	v_mov_b32_dpp v13, v5 row_shr:8 row_mask:0xf bank_mask:0xf
	v_and_b32_e32 v15, 1, v5
	v_cndmask_b32_e64 v11, 0, v11, s[30:31]
	v_and_b32_e32 v13, 1, v13
	v_cmp_eq_u32_e64 s[34:35], 1, v15
	v_add_u32_e32 v9, v9, v11
	v_cmp_eq_u32_e64 s[30:31], 0, v5
	v_cndmask_b32_e64 v13, v13, 1, s[34:35]
	v_cmp_lt_u32_e64 s[34:35], 7, v7
	v_mov_b32_dpp v11, v9 row_shr:8 row_mask:0xf bank_mask:0xf
	s_and_b64 s[30:31], s[34:35], s[30:31]
	v_cndmask_b32_e64 v7, 0, v11, s[30:31]
	v_cndmask_b32_e64 v5, v5, v13, s[34:35]
	v_add_u32_e32 v7, v9, v7
	v_cmp_eq_u32_e64 s[30:31], 0, v5
	v_mov_b32_dpp v11, v5 row_bcast:15 row_mask:0xf bank_mask:0xf
	v_mov_b32_dpp v9, v7 row_bcast:15 row_mask:0xf bank_mask:0xf
	v_and_b32_e32 v17, 1, v5
	v_and_b32_e32 v15, 16, v3
	v_cndmask_b32_e64 v9, 0, v9, s[30:31]
	v_and_b32_e32 v11, 1, v11
	v_cmp_eq_u32_e64 s[30:31], 1, v17
	v_bfe_i32 v13, v3, 4, 1
	v_cndmask_b32_e64 v11, v11, 1, s[30:31]
	v_cmp_eq_u32_e64 s[30:31], 0, v15
	v_and_b32_e32 v9, v13, v9
	v_cndmask_b32_e64 v5, v11, v5, s[30:31]
	v_add_u32_e32 v9, v7, v9
	v_and_b32_e32 v13, 1, v5
	v_mov_b32_dpp v7, v5 row_bcast:31 row_mask:0xf bank_mask:0xf
	v_and_b32_e32 v7, 1, v7
	v_cmp_eq_u32_e64 s[34:35], 1, v13
	v_cmp_eq_u32_e64 s[30:31], 0, v5
	v_cndmask_b32_e64 v7, v7, 1, s[34:35]
	v_cmp_lt_u32_e64 s[34:35], 31, v3
	v_mov_b32_dpp v11, v9 row_bcast:31 row_mask:0xf bank_mask:0xf
	s_and_b64 s[30:31], s[34:35], s[30:31]
	v_cndmask_b32_e64 v7, v5, v7, s[34:35]
	v_cndmask_b32_e64 v5, 0, v11, s[30:31]
	v_add_u32_e32 v5, v9, v5
	v_cmp_eq_u32_e64 s[30:31], v51, v0
	s_and_saveexec_b64 s[34:35], s[30:31]
	s_cbranch_execz .LBB950_126
; %bb.125:
	v_lshlrev_b32_e32 v9, 3, v1
	ds_write_b32 v9, v5
	ds_write_b8 v9, v7 offset:4
.LBB950_126:
	s_or_b64 exec, exec, s[34:35]
	v_cmp_gt_u32_e64 s[30:31], 4, v0
	s_waitcnt lgkmcnt(0)
	s_barrier
	s_and_saveexec_b64 s[34:35], s[30:31]
	s_cbranch_execz .LBB950_130
; %bb.127:
	v_lshlrev_b32_e32 v9, 3, v0
	ds_read_b64 v[28:29], v9
	v_and_b32_e32 v11, 3, v3
	v_cmp_ne_u32_e64 s[30:31], 0, v11
	s_waitcnt lgkmcnt(0)
	v_mov_b32_dpp v13, v28 row_shr:1 row_mask:0xf bank_mask:0xf
	v_mov_b32_dpp v17, v29 row_shr:1 row_mask:0xf bank_mask:0xf
	v_mov_b32_e32 v15, v29
	s_and_saveexec_b64 s[38:39], s[30:31]
	s_cbranch_execz .LBB950_129
; %bb.128:
	v_and_b32_e32 v15, 1, v29
	v_and_b32_e32 v17, 1, v17
	v_cmp_eq_u32_e64 s[30:31], 1, v15
	v_mov_b32_e32 v15, 0
	v_cndmask_b32_e64 v17, v17, 1, s[30:31]
	v_cmp_eq_u16_sdwa s[30:31], v29, v15 src0_sel:BYTE_0 src1_sel:DWORD
	v_cndmask_b32_e64 v13, 0, v13, s[30:31]
	v_add_u32_e32 v28, v13, v28
	v_and_b32_e32 v13, 0xffff, v17
	s_movk_i32 s30, 0xff00
	v_and_or_b32 v15, v29, s30, v13
	v_mov_b32_e32 v29, v17
.LBB950_129:
	s_or_b64 exec, exec, s[38:39]
	v_mov_b32_dpp v15, v15 row_shr:2 row_mask:0xf bank_mask:0xf
	v_and_b32_e32 v17, 1, v29
	v_and_b32_e32 v15, 1, v15
	v_cmp_eq_u32_e64 s[30:31], 1, v17
	v_mov_b32_e32 v17, 0
	v_cndmask_b32_e64 v15, v15, 1, s[30:31]
	v_cmp_eq_u16_sdwa s[38:39], v29, v17 src0_sel:BYTE_0 src1_sel:DWORD
	v_cmp_lt_u32_e64 s[30:31], 1, v11
	v_mov_b32_dpp v13, v28 row_shr:2 row_mask:0xf bank_mask:0xf
	v_cndmask_b32_e64 v11, v29, v15, s[30:31]
	s_and_b64 s[30:31], s[30:31], s[38:39]
	v_cndmask_b32_e64 v13, 0, v13, s[30:31]
	v_add_u32_e32 v13, v13, v28
	ds_write_b32 v9, v13
	ds_write_b8 v9, v11 offset:4
.LBB950_130:
	s_or_b64 exec, exec, s[34:35]
	v_cmp_lt_u32_e64 s[30:31], 63, v0
	v_mov_b32_e32 v9, 0
	s_waitcnt lgkmcnt(0)
	s_barrier
	s_and_saveexec_b64 s[34:35], s[30:31]
	s_cbranch_execz .LBB950_132
; %bb.131:
	v_lshl_add_u32 v1, v1, 3, -8
	ds_read_b32 v9, v1
	v_cmp_eq_u32_e64 s[30:31], 0, v7
	s_waitcnt lgkmcnt(0)
	v_cndmask_b32_e64 v1, 0, v9, s[30:31]
	v_add_u32_e32 v5, v1, v5
.LBB950_132:
	s_or_b64 exec, exec, s[34:35]
	v_add_u32_e32 v1, -1, v3
	v_and_b32_e32 v7, 64, v3
	v_cmp_lt_i32_e64 s[30:31], v1, v7
	v_cndmask_b32_e64 v1, v1, v3, s[30:31]
	v_lshlrev_b32_e32 v1, 2, v1
	ds_bpermute_b32 v1, v1, v5
	s_and_saveexec_b64 s[30:31], s[2:3]
	s_cbranch_execz .LBB950_134
; %bb.133:
	v_and_b32_e32 v27, 0xff, v39
	v_mov_b32_e32 v26, 0
	v_cmp_eq_u32_e64 s[2:3], 0, v3
	s_waitcnt lgkmcnt(0)
	v_cndmask_b32_e64 v1, v1, v9, s[2:3]
	v_cmp_eq_u64_e64 s[2:3], 0, v[26:27]
	v_cndmask_b32_e64 v1, 0, v1, s[2:3]
	v_add_u32_e32 v38, v1, v38
	v_cndmask_b32_e64 v1, 0, v38, s[4:5]
	v_add_u32_e32 v27, v1, v2
	;; [unrolled: 2-line block ×14, first 2 shown]
	;;#ASMSTART
	;;#ASMEND
.LBB950_134:
	s_or_b64 exec, exec, s[30:31]
	s_and_saveexec_b64 s[2:3], vcc
	s_cbranch_execz .LBB950_136
; %bb.135:
	v_mov_b32_e32 v5, 0
	ds_read_b32 v2, v5 offset:24
	ds_read_u8 v3, v5 offset:28
	s_add_u32 s4, s44, 0x400
	s_addc_u32 s5, s45, 0
	v_mov_b32_e32 v4, 2
	v_pk_mov_b32 v[6:7], s[4:5], s[4:5] op_sel:[0,1]
	s_waitcnt lgkmcnt(0)
	;;#ASMSTART
	global_store_dwordx4 v[6:7], v[2:5] off	
s_waitcnt vmcnt(0)
	;;#ASMEND
.LBB950_136:
	s_or_b64 exec, exec, s[2:3]
	v_mov_b32_e32 v26, v38
.LBB950_137:
	s_waitcnt lgkmcnt(0)
	s_add_u32 s2, s36, s48
	s_addc_u32 s3, s37, s49
	s_add_u32 s4, s2, s40
	v_mul_u32_u24_e32 v1, 14, v0
	s_addc_u32 s5, s3, s41
	s_and_b64 vcc, exec, s[0:1]
	v_lshlrev_b32_e32 v2, 2, v1
	s_cbranch_vccz .LBB950_165
; %bb.138:
	s_movk_i32 s0, 0xffcc
	v_mad_i32_i24 v3, v0, s0, v2
	s_barrier
	ds_write2_b64 v2, v[26:27], v[42:43] offset1:1
	s_waitcnt vmcnt(0)
	ds_write2_b64 v2, v[30:31], v[44:45] offset0:2 offset1:3
	ds_write2_b64 v2, v[34:35], v[46:47] offset0:4 offset1:5
	ds_write_b64 v2, v[48:49] offset:48
	s_waitcnt lgkmcnt(0)
	s_barrier
	ds_read2st64_b32 v[16:17], v3 offset0:4 offset1:8
	ds_read2st64_b32 v[14:15], v3 offset0:12 offset1:16
	;; [unrolled: 1-line block ×6, first 2 shown]
	ds_read_b32 v3, v3 offset:13312
	v_mov_b32_e32 v7, s5
	v_add_co_u32_e32 v6, vcc, s4, v50
	s_add_i32 s33, s33, s46
	v_addc_co_u32_e32 v7, vcc, 0, v7, vcc
	v_mov_b32_e32 v1, 0
	v_cmp_gt_u32_e32 vcc, s33, v0
	s_and_saveexec_b64 s[0:1], vcc
	s_cbranch_execz .LBB950_140
; %bb.139:
	v_mul_i32_i24_e32 v18, 0xffffffcc, v0
	v_add_u32_e32 v18, v2, v18
	ds_read_b32 v18, v18
	s_waitcnt lgkmcnt(0)
	flat_store_dword v[6:7], v18
.LBB950_140:
	s_or_b64 exec, exec, s[0:1]
	v_or_b32_e32 v18, 0x100, v0
	v_cmp_gt_u32_e32 vcc, s33, v18
	s_and_saveexec_b64 s[0:1], vcc
	s_cbranch_execz .LBB950_142
; %bb.141:
	s_waitcnt lgkmcnt(0)
	flat_store_dword v[6:7], v16 offset:1024
.LBB950_142:
	s_or_b64 exec, exec, s[0:1]
	s_waitcnt lgkmcnt(0)
	v_or_b32_e32 v16, 0x200, v0
	v_cmp_gt_u32_e32 vcc, s33, v16
	s_and_saveexec_b64 s[0:1], vcc
	s_cbranch_execz .LBB950_144
; %bb.143:
	flat_store_dword v[6:7], v17 offset:2048
.LBB950_144:
	s_or_b64 exec, exec, s[0:1]
	v_or_b32_e32 v16, 0x300, v0
	v_cmp_gt_u32_e32 vcc, s33, v16
	s_and_saveexec_b64 s[0:1], vcc
	s_cbranch_execz .LBB950_146
; %bb.145:
	flat_store_dword v[6:7], v14 offset:3072
.LBB950_146:
	s_or_b64 exec, exec, s[0:1]
	v_or_b32_e32 v14, 0x400, v0
	v_cmp_gt_u32_e32 vcc, s33, v14
	s_and_saveexec_b64 s[0:1], vcc
	s_cbranch_execz .LBB950_148
; %bb.147:
	v_add_co_u32_e32 v16, vcc, 0x1000, v6
	v_addc_co_u32_e32 v17, vcc, 0, v7, vcc
	flat_store_dword v[16:17], v15
.LBB950_148:
	s_or_b64 exec, exec, s[0:1]
	v_or_b32_e32 v14, 0x500, v0
	v_cmp_gt_u32_e32 vcc, s33, v14
	s_and_saveexec_b64 s[0:1], vcc
	s_cbranch_execz .LBB950_150
; %bb.149:
	v_add_co_u32_e32 v14, vcc, 0x1000, v6
	v_addc_co_u32_e32 v15, vcc, 0, v7, vcc
	flat_store_dword v[14:15], v12 offset:1024
.LBB950_150:
	s_or_b64 exec, exec, s[0:1]
	v_or_b32_e32 v12, 0x600, v0
	v_cmp_gt_u32_e32 vcc, s33, v12
	s_and_saveexec_b64 s[0:1], vcc
	s_cbranch_execz .LBB950_152
; %bb.151:
	v_add_co_u32_e32 v14, vcc, 0x1000, v6
	v_addc_co_u32_e32 v15, vcc, 0, v7, vcc
	flat_store_dword v[14:15], v13 offset:2048
.LBB950_152:
	;; [unrolled: 10-line block ×3, first 2 shown]
	s_or_b64 exec, exec, s[0:1]
	v_or_b32_e32 v10, 0x800, v0
	v_cmp_gt_u32_e32 vcc, s33, v10
	s_and_saveexec_b64 s[0:1], vcc
	s_cbranch_execz .LBB950_156
; %bb.155:
	v_add_co_u32_e32 v12, vcc, 0x2000, v6
	v_addc_co_u32_e32 v13, vcc, 0, v7, vcc
	flat_store_dword v[12:13], v11
.LBB950_156:
	s_or_b64 exec, exec, s[0:1]
	v_or_b32_e32 v10, 0x900, v0
	v_cmp_gt_u32_e32 vcc, s33, v10
	s_and_saveexec_b64 s[0:1], vcc
	s_cbranch_execz .LBB950_158
; %bb.157:
	v_add_co_u32_e32 v10, vcc, 0x2000, v6
	v_addc_co_u32_e32 v11, vcc, 0, v7, vcc
	flat_store_dword v[10:11], v8 offset:1024
.LBB950_158:
	s_or_b64 exec, exec, s[0:1]
	v_or_b32_e32 v8, 0xa00, v0
	v_cmp_gt_u32_e32 vcc, s33, v8
	s_and_saveexec_b64 s[0:1], vcc
	s_cbranch_execz .LBB950_160
; %bb.159:
	v_add_co_u32_e32 v10, vcc, 0x2000, v6
	v_addc_co_u32_e32 v11, vcc, 0, v7, vcc
	flat_store_dword v[10:11], v9 offset:2048
.LBB950_160:
	;; [unrolled: 10-line block ×3, first 2 shown]
	s_or_b64 exec, exec, s[0:1]
	v_or_b32_e32 v4, 0xc00, v0
	v_cmp_gt_u32_e32 vcc, s33, v4
	s_and_saveexec_b64 s[0:1], vcc
	s_cbranch_execz .LBB950_164
; %bb.163:
	v_add_co_u32_e32 v6, vcc, 0x3000, v6
	v_addc_co_u32_e32 v7, vcc, 0, v7, vcc
	flat_store_dword v[6:7], v5
.LBB950_164:
	s_or_b64 exec, exec, s[0:1]
	v_or_b32_e32 v4, 0xd00, v0
	v_cmp_gt_u32_e64 s[0:1], s33, v4
	s_branch .LBB950_167
.LBB950_165:
	s_mov_b64 s[0:1], 0
                                        ; implicit-def: $vgpr3
	s_cbranch_execz .LBB950_167
; %bb.166:
	s_movk_i32 s2, 0xffcc
	s_waitcnt lgkmcnt(0)
	s_barrier
	ds_write2_b64 v2, v[26:27], v[42:43] offset1:1
	s_waitcnt vmcnt(0)
	ds_write2_b64 v2, v[30:31], v[44:45] offset0:2 offset1:3
	ds_write2_b64 v2, v[34:35], v[46:47] offset0:4 offset1:5
	ds_write_b64 v2, v[48:49] offset:48
	v_mad_i32_i24 v2, v0, s2, v2
	v_mov_b32_e32 v17, s5
	v_add_co_u32_e32 v16, vcc, s4, v50
	s_waitcnt lgkmcnt(0)
	s_barrier
	ds_read2st64_b32 v[4:5], v2 offset1:4
	ds_read2st64_b32 v[6:7], v2 offset0:8 offset1:12
	ds_read2st64_b32 v[8:9], v2 offset0:16 offset1:20
	;; [unrolled: 1-line block ×6, first 2 shown]
	v_addc_co_u32_e32 v17, vcc, 0, v17, vcc
	s_movk_i32 s2, 0x1000
	s_waitcnt lgkmcnt(6)
	flat_store_dword v[16:17], v4
	flat_store_dword v[16:17], v5 offset:1024
	s_waitcnt lgkmcnt(0)
	flat_store_dword v[16:17], v6 offset:2048
	flat_store_dword v[16:17], v7 offset:3072
	v_add_co_u32_e32 v4, vcc, s2, v16
	v_addc_co_u32_e32 v5, vcc, 0, v17, vcc
	flat_store_dword v[4:5], v8
	flat_store_dword v[4:5], v9 offset:1024
	flat_store_dword v[4:5], v10 offset:2048
	;; [unrolled: 1-line block ×3, first 2 shown]
	v_add_co_u32_e32 v4, vcc, 0x2000, v16
	v_addc_co_u32_e32 v5, vcc, 0, v17, vcc
	flat_store_dword v[4:5], v12
	flat_store_dword v[4:5], v13 offset:1024
	flat_store_dword v[4:5], v14 offset:2048
	;; [unrolled: 1-line block ×3, first 2 shown]
	v_add_co_u32_e32 v4, vcc, 0x3000, v16
	v_mov_b32_e32 v1, 0
	v_addc_co_u32_e32 v5, vcc, 0, v17, vcc
	s_or_b64 s[0:1], s[0:1], exec
	flat_store_dword v[4:5], v2
.LBB950_167:
	s_and_saveexec_b64 s[2:3], s[0:1]
	s_cbranch_execnz .LBB950_169
; %bb.168:
	s_endpgm
.LBB950_169:
	v_lshlrev_b64 v[0:1], 2, v[0:1]
	v_mov_b32_e32 v2, s5
	v_add_co_u32_e32 v0, vcc, s4, v0
	v_addc_co_u32_e32 v1, vcc, v2, v1, vcc
	v_add_co_u32_e32 v0, vcc, 0x3000, v0
	v_addc_co_u32_e32 v1, vcc, 0, v1, vcc
	flat_store_dword v[0:1], v3 offset:1024
	s_endpgm
.LBB950_170:
	global_load_dword v13, v12, s[52:53]
	s_waitcnt vmcnt(0)
	v_sub_u32_e32 v13, 0, v13
	s_or_b64 exec, exec, s[36:37]
                                        ; implicit-def: $vgpr14
	s_and_saveexec_b64 s[2:3], s[34:35]
	s_cbranch_execz .LBB950_37
.LBB950_171:
	global_load_dword v14, v12, s[52:53] offset:1024
	s_waitcnt vmcnt(0)
	v_sub_u32_e32 v14, 0, v14
	s_or_b64 exec, exec, s[2:3]
                                        ; implicit-def: $vgpr15
	s_and_saveexec_b64 s[2:3], s[8:9]
	s_cbranch_execz .LBB950_38
.LBB950_172:
	global_load_dword v15, v12, s[52:53] offset:2048
	s_waitcnt vmcnt(0)
	v_sub_u32_e32 v15, 0, v15
	s_or_b64 exec, exec, s[2:3]
                                        ; implicit-def: $vgpr16
	s_and_saveexec_b64 s[2:3], s[10:11]
	s_cbranch_execz .LBB950_39
.LBB950_173:
	global_load_dword v16, v12, s[52:53] offset:3072
	s_waitcnt vmcnt(0)
	v_sub_u32_e32 v16, 0, v16
	s_or_b64 exec, exec, s[2:3]
                                        ; implicit-def: $vgpr17
	s_and_saveexec_b64 s[2:3], s[12:13]
	s_cbranch_execz .LBB950_40
.LBB950_174:
	v_lshlrev_b32_e32 v2, 2, v2
	global_load_dword v2, v2, s[52:53]
	s_waitcnt vmcnt(0)
	v_sub_u32_e32 v17, 0, v2
	s_or_b64 exec, exec, s[2:3]
                                        ; implicit-def: $vgpr2
	s_and_saveexec_b64 s[2:3], s[14:15]
	s_cbranch_execz .LBB950_41
.LBB950_175:
	v_lshlrev_b32_e32 v2, 2, v3
	global_load_dword v2, v2, s[52:53]
	s_waitcnt vmcnt(0)
	v_sub_u32_e32 v2, 0, v2
	s_or_b64 exec, exec, s[2:3]
                                        ; implicit-def: $vgpr3
	s_and_saveexec_b64 s[2:3], s[16:17]
	s_cbranch_execz .LBB950_42
.LBB950_176:
	v_lshlrev_b32_e32 v3, 2, v4
	global_load_dword v3, v3, s[52:53]
	s_waitcnt vmcnt(0)
	v_sub_u32_e32 v3, 0, v3
	s_or_b64 exec, exec, s[2:3]
                                        ; implicit-def: $vgpr4
	s_and_saveexec_b64 s[2:3], s[18:19]
	s_cbranch_execz .LBB950_43
.LBB950_177:
	v_lshlrev_b32_e32 v4, 2, v5
	global_load_dword v4, v4, s[52:53]
	s_waitcnt vmcnt(0)
	v_sub_u32_e32 v4, 0, v4
	s_or_b64 exec, exec, s[2:3]
                                        ; implicit-def: $vgpr5
	s_and_saveexec_b64 s[2:3], s[20:21]
	s_cbranch_execz .LBB950_44
.LBB950_178:
	v_lshlrev_b32_e32 v5, 2, v6
	global_load_dword v5, v5, s[52:53]
	s_waitcnt vmcnt(0)
	v_sub_u32_e32 v5, 0, v5
	s_or_b64 exec, exec, s[2:3]
                                        ; implicit-def: $vgpr6
	s_and_saveexec_b64 s[2:3], s[22:23]
	s_cbranch_execz .LBB950_45
.LBB950_179:
	v_lshlrev_b32_e32 v6, 2, v7
	global_load_dword v6, v6, s[52:53]
	s_waitcnt vmcnt(0)
	v_sub_u32_e32 v6, 0, v6
	s_or_b64 exec, exec, s[2:3]
                                        ; implicit-def: $vgpr7
	s_and_saveexec_b64 s[2:3], s[24:25]
	s_cbranch_execz .LBB950_46
.LBB950_180:
	v_lshlrev_b32_e32 v7, 2, v8
	global_load_dword v7, v7, s[52:53]
	s_waitcnt vmcnt(0)
	v_sub_u32_e32 v7, 0, v7
	s_or_b64 exec, exec, s[2:3]
                                        ; implicit-def: $vgpr8
	s_and_saveexec_b64 s[2:3], s[26:27]
	s_cbranch_execz .LBB950_47
.LBB950_181:
	v_lshlrev_b32_e32 v8, 2, v9
	global_load_dword v8, v8, s[52:53]
	s_waitcnt vmcnt(0)
	v_sub_u32_e32 v8, 0, v8
	s_or_b64 exec, exec, s[2:3]
                                        ; implicit-def: $vgpr9
	s_and_saveexec_b64 s[2:3], s[28:29]
	s_cbranch_execz .LBB950_48
.LBB950_182:
	v_lshlrev_b32_e32 v9, 2, v10
	global_load_dword v9, v9, s[52:53]
	s_waitcnt vmcnt(0)
	v_sub_u32_e32 v9, 0, v9
	s_or_b64 exec, exec, s[2:3]
                                        ; implicit-def: $vgpr10
	s_and_saveexec_b64 s[2:3], s[30:31]
	s_cbranch_execnz .LBB950_49
	s_branch .LBB950_50
.LBB950_183:
                                        ; implicit-def: $sgpr36_sgpr37
	s_branch .LBB950_32
.LBB950_184:
                                        ; implicit-def: $sgpr2_sgpr3
	s_branch .LBB950_81
	.section	.rodata,"a",@progbits
	.p2align	6, 0x0
	.amdhsa_kernel _ZN7rocprim17ROCPRIM_400000_NS6detail17trampoline_kernelINS0_14default_configENS1_27scan_by_key_config_selectorIiiEEZZNS1_16scan_by_key_implILNS1_25lookback_scan_determinismE0ELb0ES3_N6thrust23THRUST_200600_302600_NS6detail15normal_iteratorINS9_10device_ptrIiEEEENS9_18transform_iteratorINS9_6negateIiEESE_NS9_11use_defaultESI_EESE_iNS9_4plusIvEENS9_8equal_toIvEEiEE10hipError_tPvRmT2_T3_T4_T5_mT6_T7_P12ihipStream_tbENKUlT_T0_E_clISt17integral_constantIbLb1EES13_IbLb0EEEEDaSZ_S10_EUlSZ_E_NS1_11comp_targetILNS1_3genE4ELNS1_11target_archE910ELNS1_3gpuE8ELNS1_3repE0EEENS1_30default_config_static_selectorELNS0_4arch9wavefront6targetE1EEEvT1_
		.amdhsa_group_segment_fixed_size 16384
		.amdhsa_private_segment_fixed_size 0
		.amdhsa_kernarg_size 120
		.amdhsa_user_sgpr_count 6
		.amdhsa_user_sgpr_private_segment_buffer 1
		.amdhsa_user_sgpr_dispatch_ptr 0
		.amdhsa_user_sgpr_queue_ptr 0
		.amdhsa_user_sgpr_kernarg_segment_ptr 1
		.amdhsa_user_sgpr_dispatch_id 0
		.amdhsa_user_sgpr_flat_scratch_init 0
		.amdhsa_user_sgpr_kernarg_preload_length 0
		.amdhsa_user_sgpr_kernarg_preload_offset 0
		.amdhsa_user_sgpr_private_segment_size 0
		.amdhsa_uses_dynamic_stack 0
		.amdhsa_system_sgpr_private_segment_wavefront_offset 0
		.amdhsa_system_sgpr_workgroup_id_x 1
		.amdhsa_system_sgpr_workgroup_id_y 0
		.amdhsa_system_sgpr_workgroup_id_z 0
		.amdhsa_system_sgpr_workgroup_info 0
		.amdhsa_system_vgpr_workitem_id 0
		.amdhsa_next_free_vgpr 65
		.amdhsa_next_free_sgpr 62
		.amdhsa_accum_offset 68
		.amdhsa_reserve_vcc 1
		.amdhsa_reserve_flat_scratch 0
		.amdhsa_float_round_mode_32 0
		.amdhsa_float_round_mode_16_64 0
		.amdhsa_float_denorm_mode_32 3
		.amdhsa_float_denorm_mode_16_64 3
		.amdhsa_dx10_clamp 1
		.amdhsa_ieee_mode 1
		.amdhsa_fp16_overflow 0
		.amdhsa_tg_split 0
		.amdhsa_exception_fp_ieee_invalid_op 0
		.amdhsa_exception_fp_denorm_src 0
		.amdhsa_exception_fp_ieee_div_zero 0
		.amdhsa_exception_fp_ieee_overflow 0
		.amdhsa_exception_fp_ieee_underflow 0
		.amdhsa_exception_fp_ieee_inexact 0
		.amdhsa_exception_int_div_zero 0
	.end_amdhsa_kernel
	.section	.text._ZN7rocprim17ROCPRIM_400000_NS6detail17trampoline_kernelINS0_14default_configENS1_27scan_by_key_config_selectorIiiEEZZNS1_16scan_by_key_implILNS1_25lookback_scan_determinismE0ELb0ES3_N6thrust23THRUST_200600_302600_NS6detail15normal_iteratorINS9_10device_ptrIiEEEENS9_18transform_iteratorINS9_6negateIiEESE_NS9_11use_defaultESI_EESE_iNS9_4plusIvEENS9_8equal_toIvEEiEE10hipError_tPvRmT2_T3_T4_T5_mT6_T7_P12ihipStream_tbENKUlT_T0_E_clISt17integral_constantIbLb1EES13_IbLb0EEEEDaSZ_S10_EUlSZ_E_NS1_11comp_targetILNS1_3genE4ELNS1_11target_archE910ELNS1_3gpuE8ELNS1_3repE0EEENS1_30default_config_static_selectorELNS0_4arch9wavefront6targetE1EEEvT1_,"axG",@progbits,_ZN7rocprim17ROCPRIM_400000_NS6detail17trampoline_kernelINS0_14default_configENS1_27scan_by_key_config_selectorIiiEEZZNS1_16scan_by_key_implILNS1_25lookback_scan_determinismE0ELb0ES3_N6thrust23THRUST_200600_302600_NS6detail15normal_iteratorINS9_10device_ptrIiEEEENS9_18transform_iteratorINS9_6negateIiEESE_NS9_11use_defaultESI_EESE_iNS9_4plusIvEENS9_8equal_toIvEEiEE10hipError_tPvRmT2_T3_T4_T5_mT6_T7_P12ihipStream_tbENKUlT_T0_E_clISt17integral_constantIbLb1EES13_IbLb0EEEEDaSZ_S10_EUlSZ_E_NS1_11comp_targetILNS1_3genE4ELNS1_11target_archE910ELNS1_3gpuE8ELNS1_3repE0EEENS1_30default_config_static_selectorELNS0_4arch9wavefront6targetE1EEEvT1_,comdat
.Lfunc_end950:
	.size	_ZN7rocprim17ROCPRIM_400000_NS6detail17trampoline_kernelINS0_14default_configENS1_27scan_by_key_config_selectorIiiEEZZNS1_16scan_by_key_implILNS1_25lookback_scan_determinismE0ELb0ES3_N6thrust23THRUST_200600_302600_NS6detail15normal_iteratorINS9_10device_ptrIiEEEENS9_18transform_iteratorINS9_6negateIiEESE_NS9_11use_defaultESI_EESE_iNS9_4plusIvEENS9_8equal_toIvEEiEE10hipError_tPvRmT2_T3_T4_T5_mT6_T7_P12ihipStream_tbENKUlT_T0_E_clISt17integral_constantIbLb1EES13_IbLb0EEEEDaSZ_S10_EUlSZ_E_NS1_11comp_targetILNS1_3genE4ELNS1_11target_archE910ELNS1_3gpuE8ELNS1_3repE0EEENS1_30default_config_static_selectorELNS0_4arch9wavefront6targetE1EEEvT1_, .Lfunc_end950-_ZN7rocprim17ROCPRIM_400000_NS6detail17trampoline_kernelINS0_14default_configENS1_27scan_by_key_config_selectorIiiEEZZNS1_16scan_by_key_implILNS1_25lookback_scan_determinismE0ELb0ES3_N6thrust23THRUST_200600_302600_NS6detail15normal_iteratorINS9_10device_ptrIiEEEENS9_18transform_iteratorINS9_6negateIiEESE_NS9_11use_defaultESI_EESE_iNS9_4plusIvEENS9_8equal_toIvEEiEE10hipError_tPvRmT2_T3_T4_T5_mT6_T7_P12ihipStream_tbENKUlT_T0_E_clISt17integral_constantIbLb1EES13_IbLb0EEEEDaSZ_S10_EUlSZ_E_NS1_11comp_targetILNS1_3genE4ELNS1_11target_archE910ELNS1_3gpuE8ELNS1_3repE0EEENS1_30default_config_static_selectorELNS0_4arch9wavefront6targetE1EEEvT1_
                                        ; -- End function
	.section	.AMDGPU.csdata,"",@progbits
; Kernel info:
; codeLenInByte = 11056
; NumSgprs: 66
; NumVgprs: 65
; NumAgprs: 0
; TotalNumVgprs: 65
; ScratchSize: 0
; MemoryBound: 0
; FloatMode: 240
; IeeeMode: 1
; LDSByteSize: 16384 bytes/workgroup (compile time only)
; SGPRBlocks: 8
; VGPRBlocks: 8
; NumSGPRsForWavesPerEU: 66
; NumVGPRsForWavesPerEU: 65
; AccumOffset: 68
; Occupancy: 4
; WaveLimiterHint : 1
; COMPUTE_PGM_RSRC2:SCRATCH_EN: 0
; COMPUTE_PGM_RSRC2:USER_SGPR: 6
; COMPUTE_PGM_RSRC2:TRAP_HANDLER: 0
; COMPUTE_PGM_RSRC2:TGID_X_EN: 1
; COMPUTE_PGM_RSRC2:TGID_Y_EN: 0
; COMPUTE_PGM_RSRC2:TGID_Z_EN: 0
; COMPUTE_PGM_RSRC2:TIDIG_COMP_CNT: 0
; COMPUTE_PGM_RSRC3_GFX90A:ACCUM_OFFSET: 16
; COMPUTE_PGM_RSRC3_GFX90A:TG_SPLIT: 0
	.section	.text._ZN7rocprim17ROCPRIM_400000_NS6detail17trampoline_kernelINS0_14default_configENS1_27scan_by_key_config_selectorIiiEEZZNS1_16scan_by_key_implILNS1_25lookback_scan_determinismE0ELb0ES3_N6thrust23THRUST_200600_302600_NS6detail15normal_iteratorINS9_10device_ptrIiEEEENS9_18transform_iteratorINS9_6negateIiEESE_NS9_11use_defaultESI_EESE_iNS9_4plusIvEENS9_8equal_toIvEEiEE10hipError_tPvRmT2_T3_T4_T5_mT6_T7_P12ihipStream_tbENKUlT_T0_E_clISt17integral_constantIbLb1EES13_IbLb0EEEEDaSZ_S10_EUlSZ_E_NS1_11comp_targetILNS1_3genE3ELNS1_11target_archE908ELNS1_3gpuE7ELNS1_3repE0EEENS1_30default_config_static_selectorELNS0_4arch9wavefront6targetE1EEEvT1_,"axG",@progbits,_ZN7rocprim17ROCPRIM_400000_NS6detail17trampoline_kernelINS0_14default_configENS1_27scan_by_key_config_selectorIiiEEZZNS1_16scan_by_key_implILNS1_25lookback_scan_determinismE0ELb0ES3_N6thrust23THRUST_200600_302600_NS6detail15normal_iteratorINS9_10device_ptrIiEEEENS9_18transform_iteratorINS9_6negateIiEESE_NS9_11use_defaultESI_EESE_iNS9_4plusIvEENS9_8equal_toIvEEiEE10hipError_tPvRmT2_T3_T4_T5_mT6_T7_P12ihipStream_tbENKUlT_T0_E_clISt17integral_constantIbLb1EES13_IbLb0EEEEDaSZ_S10_EUlSZ_E_NS1_11comp_targetILNS1_3genE3ELNS1_11target_archE908ELNS1_3gpuE7ELNS1_3repE0EEENS1_30default_config_static_selectorELNS0_4arch9wavefront6targetE1EEEvT1_,comdat
	.protected	_ZN7rocprim17ROCPRIM_400000_NS6detail17trampoline_kernelINS0_14default_configENS1_27scan_by_key_config_selectorIiiEEZZNS1_16scan_by_key_implILNS1_25lookback_scan_determinismE0ELb0ES3_N6thrust23THRUST_200600_302600_NS6detail15normal_iteratorINS9_10device_ptrIiEEEENS9_18transform_iteratorINS9_6negateIiEESE_NS9_11use_defaultESI_EESE_iNS9_4plusIvEENS9_8equal_toIvEEiEE10hipError_tPvRmT2_T3_T4_T5_mT6_T7_P12ihipStream_tbENKUlT_T0_E_clISt17integral_constantIbLb1EES13_IbLb0EEEEDaSZ_S10_EUlSZ_E_NS1_11comp_targetILNS1_3genE3ELNS1_11target_archE908ELNS1_3gpuE7ELNS1_3repE0EEENS1_30default_config_static_selectorELNS0_4arch9wavefront6targetE1EEEvT1_ ; -- Begin function _ZN7rocprim17ROCPRIM_400000_NS6detail17trampoline_kernelINS0_14default_configENS1_27scan_by_key_config_selectorIiiEEZZNS1_16scan_by_key_implILNS1_25lookback_scan_determinismE0ELb0ES3_N6thrust23THRUST_200600_302600_NS6detail15normal_iteratorINS9_10device_ptrIiEEEENS9_18transform_iteratorINS9_6negateIiEESE_NS9_11use_defaultESI_EESE_iNS9_4plusIvEENS9_8equal_toIvEEiEE10hipError_tPvRmT2_T3_T4_T5_mT6_T7_P12ihipStream_tbENKUlT_T0_E_clISt17integral_constantIbLb1EES13_IbLb0EEEEDaSZ_S10_EUlSZ_E_NS1_11comp_targetILNS1_3genE3ELNS1_11target_archE908ELNS1_3gpuE7ELNS1_3repE0EEENS1_30default_config_static_selectorELNS0_4arch9wavefront6targetE1EEEvT1_
	.globl	_ZN7rocprim17ROCPRIM_400000_NS6detail17trampoline_kernelINS0_14default_configENS1_27scan_by_key_config_selectorIiiEEZZNS1_16scan_by_key_implILNS1_25lookback_scan_determinismE0ELb0ES3_N6thrust23THRUST_200600_302600_NS6detail15normal_iteratorINS9_10device_ptrIiEEEENS9_18transform_iteratorINS9_6negateIiEESE_NS9_11use_defaultESI_EESE_iNS9_4plusIvEENS9_8equal_toIvEEiEE10hipError_tPvRmT2_T3_T4_T5_mT6_T7_P12ihipStream_tbENKUlT_T0_E_clISt17integral_constantIbLb1EES13_IbLb0EEEEDaSZ_S10_EUlSZ_E_NS1_11comp_targetILNS1_3genE3ELNS1_11target_archE908ELNS1_3gpuE7ELNS1_3repE0EEENS1_30default_config_static_selectorELNS0_4arch9wavefront6targetE1EEEvT1_
	.p2align	8
	.type	_ZN7rocprim17ROCPRIM_400000_NS6detail17trampoline_kernelINS0_14default_configENS1_27scan_by_key_config_selectorIiiEEZZNS1_16scan_by_key_implILNS1_25lookback_scan_determinismE0ELb0ES3_N6thrust23THRUST_200600_302600_NS6detail15normal_iteratorINS9_10device_ptrIiEEEENS9_18transform_iteratorINS9_6negateIiEESE_NS9_11use_defaultESI_EESE_iNS9_4plusIvEENS9_8equal_toIvEEiEE10hipError_tPvRmT2_T3_T4_T5_mT6_T7_P12ihipStream_tbENKUlT_T0_E_clISt17integral_constantIbLb1EES13_IbLb0EEEEDaSZ_S10_EUlSZ_E_NS1_11comp_targetILNS1_3genE3ELNS1_11target_archE908ELNS1_3gpuE7ELNS1_3repE0EEENS1_30default_config_static_selectorELNS0_4arch9wavefront6targetE1EEEvT1_,@function
_ZN7rocprim17ROCPRIM_400000_NS6detail17trampoline_kernelINS0_14default_configENS1_27scan_by_key_config_selectorIiiEEZZNS1_16scan_by_key_implILNS1_25lookback_scan_determinismE0ELb0ES3_N6thrust23THRUST_200600_302600_NS6detail15normal_iteratorINS9_10device_ptrIiEEEENS9_18transform_iteratorINS9_6negateIiEESE_NS9_11use_defaultESI_EESE_iNS9_4plusIvEENS9_8equal_toIvEEiEE10hipError_tPvRmT2_T3_T4_T5_mT6_T7_P12ihipStream_tbENKUlT_T0_E_clISt17integral_constantIbLb1EES13_IbLb0EEEEDaSZ_S10_EUlSZ_E_NS1_11comp_targetILNS1_3genE3ELNS1_11target_archE908ELNS1_3gpuE7ELNS1_3repE0EEENS1_30default_config_static_selectorELNS0_4arch9wavefront6targetE1EEEvT1_: ; @_ZN7rocprim17ROCPRIM_400000_NS6detail17trampoline_kernelINS0_14default_configENS1_27scan_by_key_config_selectorIiiEEZZNS1_16scan_by_key_implILNS1_25lookback_scan_determinismE0ELb0ES3_N6thrust23THRUST_200600_302600_NS6detail15normal_iteratorINS9_10device_ptrIiEEEENS9_18transform_iteratorINS9_6negateIiEESE_NS9_11use_defaultESI_EESE_iNS9_4plusIvEENS9_8equal_toIvEEiEE10hipError_tPvRmT2_T3_T4_T5_mT6_T7_P12ihipStream_tbENKUlT_T0_E_clISt17integral_constantIbLb1EES13_IbLb0EEEEDaSZ_S10_EUlSZ_E_NS1_11comp_targetILNS1_3genE3ELNS1_11target_archE908ELNS1_3gpuE7ELNS1_3repE0EEENS1_30default_config_static_selectorELNS0_4arch9wavefront6targetE1EEEvT1_
; %bb.0:
	.section	.rodata,"a",@progbits
	.p2align	6, 0x0
	.amdhsa_kernel _ZN7rocprim17ROCPRIM_400000_NS6detail17trampoline_kernelINS0_14default_configENS1_27scan_by_key_config_selectorIiiEEZZNS1_16scan_by_key_implILNS1_25lookback_scan_determinismE0ELb0ES3_N6thrust23THRUST_200600_302600_NS6detail15normal_iteratorINS9_10device_ptrIiEEEENS9_18transform_iteratorINS9_6negateIiEESE_NS9_11use_defaultESI_EESE_iNS9_4plusIvEENS9_8equal_toIvEEiEE10hipError_tPvRmT2_T3_T4_T5_mT6_T7_P12ihipStream_tbENKUlT_T0_E_clISt17integral_constantIbLb1EES13_IbLb0EEEEDaSZ_S10_EUlSZ_E_NS1_11comp_targetILNS1_3genE3ELNS1_11target_archE908ELNS1_3gpuE7ELNS1_3repE0EEENS1_30default_config_static_selectorELNS0_4arch9wavefront6targetE1EEEvT1_
		.amdhsa_group_segment_fixed_size 0
		.amdhsa_private_segment_fixed_size 0
		.amdhsa_kernarg_size 120
		.amdhsa_user_sgpr_count 6
		.amdhsa_user_sgpr_private_segment_buffer 1
		.amdhsa_user_sgpr_dispatch_ptr 0
		.amdhsa_user_sgpr_queue_ptr 0
		.amdhsa_user_sgpr_kernarg_segment_ptr 1
		.amdhsa_user_sgpr_dispatch_id 0
		.amdhsa_user_sgpr_flat_scratch_init 0
		.amdhsa_user_sgpr_kernarg_preload_length 0
		.amdhsa_user_sgpr_kernarg_preload_offset 0
		.amdhsa_user_sgpr_private_segment_size 0
		.amdhsa_uses_dynamic_stack 0
		.amdhsa_system_sgpr_private_segment_wavefront_offset 0
		.amdhsa_system_sgpr_workgroup_id_x 1
		.amdhsa_system_sgpr_workgroup_id_y 0
		.amdhsa_system_sgpr_workgroup_id_z 0
		.amdhsa_system_sgpr_workgroup_info 0
		.amdhsa_system_vgpr_workitem_id 0
		.amdhsa_next_free_vgpr 1
		.amdhsa_next_free_sgpr 0
		.amdhsa_accum_offset 4
		.amdhsa_reserve_vcc 0
		.amdhsa_reserve_flat_scratch 0
		.amdhsa_float_round_mode_32 0
		.amdhsa_float_round_mode_16_64 0
		.amdhsa_float_denorm_mode_32 3
		.amdhsa_float_denorm_mode_16_64 3
		.amdhsa_dx10_clamp 1
		.amdhsa_ieee_mode 1
		.amdhsa_fp16_overflow 0
		.amdhsa_tg_split 0
		.amdhsa_exception_fp_ieee_invalid_op 0
		.amdhsa_exception_fp_denorm_src 0
		.amdhsa_exception_fp_ieee_div_zero 0
		.amdhsa_exception_fp_ieee_overflow 0
		.amdhsa_exception_fp_ieee_underflow 0
		.amdhsa_exception_fp_ieee_inexact 0
		.amdhsa_exception_int_div_zero 0
	.end_amdhsa_kernel
	.section	.text._ZN7rocprim17ROCPRIM_400000_NS6detail17trampoline_kernelINS0_14default_configENS1_27scan_by_key_config_selectorIiiEEZZNS1_16scan_by_key_implILNS1_25lookback_scan_determinismE0ELb0ES3_N6thrust23THRUST_200600_302600_NS6detail15normal_iteratorINS9_10device_ptrIiEEEENS9_18transform_iteratorINS9_6negateIiEESE_NS9_11use_defaultESI_EESE_iNS9_4plusIvEENS9_8equal_toIvEEiEE10hipError_tPvRmT2_T3_T4_T5_mT6_T7_P12ihipStream_tbENKUlT_T0_E_clISt17integral_constantIbLb1EES13_IbLb0EEEEDaSZ_S10_EUlSZ_E_NS1_11comp_targetILNS1_3genE3ELNS1_11target_archE908ELNS1_3gpuE7ELNS1_3repE0EEENS1_30default_config_static_selectorELNS0_4arch9wavefront6targetE1EEEvT1_,"axG",@progbits,_ZN7rocprim17ROCPRIM_400000_NS6detail17trampoline_kernelINS0_14default_configENS1_27scan_by_key_config_selectorIiiEEZZNS1_16scan_by_key_implILNS1_25lookback_scan_determinismE0ELb0ES3_N6thrust23THRUST_200600_302600_NS6detail15normal_iteratorINS9_10device_ptrIiEEEENS9_18transform_iteratorINS9_6negateIiEESE_NS9_11use_defaultESI_EESE_iNS9_4plusIvEENS9_8equal_toIvEEiEE10hipError_tPvRmT2_T3_T4_T5_mT6_T7_P12ihipStream_tbENKUlT_T0_E_clISt17integral_constantIbLb1EES13_IbLb0EEEEDaSZ_S10_EUlSZ_E_NS1_11comp_targetILNS1_3genE3ELNS1_11target_archE908ELNS1_3gpuE7ELNS1_3repE0EEENS1_30default_config_static_selectorELNS0_4arch9wavefront6targetE1EEEvT1_,comdat
.Lfunc_end951:
	.size	_ZN7rocprim17ROCPRIM_400000_NS6detail17trampoline_kernelINS0_14default_configENS1_27scan_by_key_config_selectorIiiEEZZNS1_16scan_by_key_implILNS1_25lookback_scan_determinismE0ELb0ES3_N6thrust23THRUST_200600_302600_NS6detail15normal_iteratorINS9_10device_ptrIiEEEENS9_18transform_iteratorINS9_6negateIiEESE_NS9_11use_defaultESI_EESE_iNS9_4plusIvEENS9_8equal_toIvEEiEE10hipError_tPvRmT2_T3_T4_T5_mT6_T7_P12ihipStream_tbENKUlT_T0_E_clISt17integral_constantIbLb1EES13_IbLb0EEEEDaSZ_S10_EUlSZ_E_NS1_11comp_targetILNS1_3genE3ELNS1_11target_archE908ELNS1_3gpuE7ELNS1_3repE0EEENS1_30default_config_static_selectorELNS0_4arch9wavefront6targetE1EEEvT1_, .Lfunc_end951-_ZN7rocprim17ROCPRIM_400000_NS6detail17trampoline_kernelINS0_14default_configENS1_27scan_by_key_config_selectorIiiEEZZNS1_16scan_by_key_implILNS1_25lookback_scan_determinismE0ELb0ES3_N6thrust23THRUST_200600_302600_NS6detail15normal_iteratorINS9_10device_ptrIiEEEENS9_18transform_iteratorINS9_6negateIiEESE_NS9_11use_defaultESI_EESE_iNS9_4plusIvEENS9_8equal_toIvEEiEE10hipError_tPvRmT2_T3_T4_T5_mT6_T7_P12ihipStream_tbENKUlT_T0_E_clISt17integral_constantIbLb1EES13_IbLb0EEEEDaSZ_S10_EUlSZ_E_NS1_11comp_targetILNS1_3genE3ELNS1_11target_archE908ELNS1_3gpuE7ELNS1_3repE0EEENS1_30default_config_static_selectorELNS0_4arch9wavefront6targetE1EEEvT1_
                                        ; -- End function
	.section	.AMDGPU.csdata,"",@progbits
; Kernel info:
; codeLenInByte = 0
; NumSgprs: 4
; NumVgprs: 0
; NumAgprs: 0
; TotalNumVgprs: 0
; ScratchSize: 0
; MemoryBound: 0
; FloatMode: 240
; IeeeMode: 1
; LDSByteSize: 0 bytes/workgroup (compile time only)
; SGPRBlocks: 0
; VGPRBlocks: 0
; NumSGPRsForWavesPerEU: 4
; NumVGPRsForWavesPerEU: 1
; AccumOffset: 4
; Occupancy: 8
; WaveLimiterHint : 0
; COMPUTE_PGM_RSRC2:SCRATCH_EN: 0
; COMPUTE_PGM_RSRC2:USER_SGPR: 6
; COMPUTE_PGM_RSRC2:TRAP_HANDLER: 0
; COMPUTE_PGM_RSRC2:TGID_X_EN: 1
; COMPUTE_PGM_RSRC2:TGID_Y_EN: 0
; COMPUTE_PGM_RSRC2:TGID_Z_EN: 0
; COMPUTE_PGM_RSRC2:TIDIG_COMP_CNT: 0
; COMPUTE_PGM_RSRC3_GFX90A:ACCUM_OFFSET: 0
; COMPUTE_PGM_RSRC3_GFX90A:TG_SPLIT: 0
	.section	.text._ZN7rocprim17ROCPRIM_400000_NS6detail17trampoline_kernelINS0_14default_configENS1_27scan_by_key_config_selectorIiiEEZZNS1_16scan_by_key_implILNS1_25lookback_scan_determinismE0ELb0ES3_N6thrust23THRUST_200600_302600_NS6detail15normal_iteratorINS9_10device_ptrIiEEEENS9_18transform_iteratorINS9_6negateIiEESE_NS9_11use_defaultESI_EESE_iNS9_4plusIvEENS9_8equal_toIvEEiEE10hipError_tPvRmT2_T3_T4_T5_mT6_T7_P12ihipStream_tbENKUlT_T0_E_clISt17integral_constantIbLb1EES13_IbLb0EEEEDaSZ_S10_EUlSZ_E_NS1_11comp_targetILNS1_3genE2ELNS1_11target_archE906ELNS1_3gpuE6ELNS1_3repE0EEENS1_30default_config_static_selectorELNS0_4arch9wavefront6targetE1EEEvT1_,"axG",@progbits,_ZN7rocprim17ROCPRIM_400000_NS6detail17trampoline_kernelINS0_14default_configENS1_27scan_by_key_config_selectorIiiEEZZNS1_16scan_by_key_implILNS1_25lookback_scan_determinismE0ELb0ES3_N6thrust23THRUST_200600_302600_NS6detail15normal_iteratorINS9_10device_ptrIiEEEENS9_18transform_iteratorINS9_6negateIiEESE_NS9_11use_defaultESI_EESE_iNS9_4plusIvEENS9_8equal_toIvEEiEE10hipError_tPvRmT2_T3_T4_T5_mT6_T7_P12ihipStream_tbENKUlT_T0_E_clISt17integral_constantIbLb1EES13_IbLb0EEEEDaSZ_S10_EUlSZ_E_NS1_11comp_targetILNS1_3genE2ELNS1_11target_archE906ELNS1_3gpuE6ELNS1_3repE0EEENS1_30default_config_static_selectorELNS0_4arch9wavefront6targetE1EEEvT1_,comdat
	.protected	_ZN7rocprim17ROCPRIM_400000_NS6detail17trampoline_kernelINS0_14default_configENS1_27scan_by_key_config_selectorIiiEEZZNS1_16scan_by_key_implILNS1_25lookback_scan_determinismE0ELb0ES3_N6thrust23THRUST_200600_302600_NS6detail15normal_iteratorINS9_10device_ptrIiEEEENS9_18transform_iteratorINS9_6negateIiEESE_NS9_11use_defaultESI_EESE_iNS9_4plusIvEENS9_8equal_toIvEEiEE10hipError_tPvRmT2_T3_T4_T5_mT6_T7_P12ihipStream_tbENKUlT_T0_E_clISt17integral_constantIbLb1EES13_IbLb0EEEEDaSZ_S10_EUlSZ_E_NS1_11comp_targetILNS1_3genE2ELNS1_11target_archE906ELNS1_3gpuE6ELNS1_3repE0EEENS1_30default_config_static_selectorELNS0_4arch9wavefront6targetE1EEEvT1_ ; -- Begin function _ZN7rocprim17ROCPRIM_400000_NS6detail17trampoline_kernelINS0_14default_configENS1_27scan_by_key_config_selectorIiiEEZZNS1_16scan_by_key_implILNS1_25lookback_scan_determinismE0ELb0ES3_N6thrust23THRUST_200600_302600_NS6detail15normal_iteratorINS9_10device_ptrIiEEEENS9_18transform_iteratorINS9_6negateIiEESE_NS9_11use_defaultESI_EESE_iNS9_4plusIvEENS9_8equal_toIvEEiEE10hipError_tPvRmT2_T3_T4_T5_mT6_T7_P12ihipStream_tbENKUlT_T0_E_clISt17integral_constantIbLb1EES13_IbLb0EEEEDaSZ_S10_EUlSZ_E_NS1_11comp_targetILNS1_3genE2ELNS1_11target_archE906ELNS1_3gpuE6ELNS1_3repE0EEENS1_30default_config_static_selectorELNS0_4arch9wavefront6targetE1EEEvT1_
	.globl	_ZN7rocprim17ROCPRIM_400000_NS6detail17trampoline_kernelINS0_14default_configENS1_27scan_by_key_config_selectorIiiEEZZNS1_16scan_by_key_implILNS1_25lookback_scan_determinismE0ELb0ES3_N6thrust23THRUST_200600_302600_NS6detail15normal_iteratorINS9_10device_ptrIiEEEENS9_18transform_iteratorINS9_6negateIiEESE_NS9_11use_defaultESI_EESE_iNS9_4plusIvEENS9_8equal_toIvEEiEE10hipError_tPvRmT2_T3_T4_T5_mT6_T7_P12ihipStream_tbENKUlT_T0_E_clISt17integral_constantIbLb1EES13_IbLb0EEEEDaSZ_S10_EUlSZ_E_NS1_11comp_targetILNS1_3genE2ELNS1_11target_archE906ELNS1_3gpuE6ELNS1_3repE0EEENS1_30default_config_static_selectorELNS0_4arch9wavefront6targetE1EEEvT1_
	.p2align	8
	.type	_ZN7rocprim17ROCPRIM_400000_NS6detail17trampoline_kernelINS0_14default_configENS1_27scan_by_key_config_selectorIiiEEZZNS1_16scan_by_key_implILNS1_25lookback_scan_determinismE0ELb0ES3_N6thrust23THRUST_200600_302600_NS6detail15normal_iteratorINS9_10device_ptrIiEEEENS9_18transform_iteratorINS9_6negateIiEESE_NS9_11use_defaultESI_EESE_iNS9_4plusIvEENS9_8equal_toIvEEiEE10hipError_tPvRmT2_T3_T4_T5_mT6_T7_P12ihipStream_tbENKUlT_T0_E_clISt17integral_constantIbLb1EES13_IbLb0EEEEDaSZ_S10_EUlSZ_E_NS1_11comp_targetILNS1_3genE2ELNS1_11target_archE906ELNS1_3gpuE6ELNS1_3repE0EEENS1_30default_config_static_selectorELNS0_4arch9wavefront6targetE1EEEvT1_,@function
_ZN7rocprim17ROCPRIM_400000_NS6detail17trampoline_kernelINS0_14default_configENS1_27scan_by_key_config_selectorIiiEEZZNS1_16scan_by_key_implILNS1_25lookback_scan_determinismE0ELb0ES3_N6thrust23THRUST_200600_302600_NS6detail15normal_iteratorINS9_10device_ptrIiEEEENS9_18transform_iteratorINS9_6negateIiEESE_NS9_11use_defaultESI_EESE_iNS9_4plusIvEENS9_8equal_toIvEEiEE10hipError_tPvRmT2_T3_T4_T5_mT6_T7_P12ihipStream_tbENKUlT_T0_E_clISt17integral_constantIbLb1EES13_IbLb0EEEEDaSZ_S10_EUlSZ_E_NS1_11comp_targetILNS1_3genE2ELNS1_11target_archE906ELNS1_3gpuE6ELNS1_3repE0EEENS1_30default_config_static_selectorELNS0_4arch9wavefront6targetE1EEEvT1_: ; @_ZN7rocprim17ROCPRIM_400000_NS6detail17trampoline_kernelINS0_14default_configENS1_27scan_by_key_config_selectorIiiEEZZNS1_16scan_by_key_implILNS1_25lookback_scan_determinismE0ELb0ES3_N6thrust23THRUST_200600_302600_NS6detail15normal_iteratorINS9_10device_ptrIiEEEENS9_18transform_iteratorINS9_6negateIiEESE_NS9_11use_defaultESI_EESE_iNS9_4plusIvEENS9_8equal_toIvEEiEE10hipError_tPvRmT2_T3_T4_T5_mT6_T7_P12ihipStream_tbENKUlT_T0_E_clISt17integral_constantIbLb1EES13_IbLb0EEEEDaSZ_S10_EUlSZ_E_NS1_11comp_targetILNS1_3genE2ELNS1_11target_archE906ELNS1_3gpuE6ELNS1_3repE0EEENS1_30default_config_static_selectorELNS0_4arch9wavefront6targetE1EEEvT1_
; %bb.0:
	.section	.rodata,"a",@progbits
	.p2align	6, 0x0
	.amdhsa_kernel _ZN7rocprim17ROCPRIM_400000_NS6detail17trampoline_kernelINS0_14default_configENS1_27scan_by_key_config_selectorIiiEEZZNS1_16scan_by_key_implILNS1_25lookback_scan_determinismE0ELb0ES3_N6thrust23THRUST_200600_302600_NS6detail15normal_iteratorINS9_10device_ptrIiEEEENS9_18transform_iteratorINS9_6negateIiEESE_NS9_11use_defaultESI_EESE_iNS9_4plusIvEENS9_8equal_toIvEEiEE10hipError_tPvRmT2_T3_T4_T5_mT6_T7_P12ihipStream_tbENKUlT_T0_E_clISt17integral_constantIbLb1EES13_IbLb0EEEEDaSZ_S10_EUlSZ_E_NS1_11comp_targetILNS1_3genE2ELNS1_11target_archE906ELNS1_3gpuE6ELNS1_3repE0EEENS1_30default_config_static_selectorELNS0_4arch9wavefront6targetE1EEEvT1_
		.amdhsa_group_segment_fixed_size 0
		.amdhsa_private_segment_fixed_size 0
		.amdhsa_kernarg_size 120
		.amdhsa_user_sgpr_count 6
		.amdhsa_user_sgpr_private_segment_buffer 1
		.amdhsa_user_sgpr_dispatch_ptr 0
		.amdhsa_user_sgpr_queue_ptr 0
		.amdhsa_user_sgpr_kernarg_segment_ptr 1
		.amdhsa_user_sgpr_dispatch_id 0
		.amdhsa_user_sgpr_flat_scratch_init 0
		.amdhsa_user_sgpr_kernarg_preload_length 0
		.amdhsa_user_sgpr_kernarg_preload_offset 0
		.amdhsa_user_sgpr_private_segment_size 0
		.amdhsa_uses_dynamic_stack 0
		.amdhsa_system_sgpr_private_segment_wavefront_offset 0
		.amdhsa_system_sgpr_workgroup_id_x 1
		.amdhsa_system_sgpr_workgroup_id_y 0
		.amdhsa_system_sgpr_workgroup_id_z 0
		.amdhsa_system_sgpr_workgroup_info 0
		.amdhsa_system_vgpr_workitem_id 0
		.amdhsa_next_free_vgpr 1
		.amdhsa_next_free_sgpr 0
		.amdhsa_accum_offset 4
		.amdhsa_reserve_vcc 0
		.amdhsa_reserve_flat_scratch 0
		.amdhsa_float_round_mode_32 0
		.amdhsa_float_round_mode_16_64 0
		.amdhsa_float_denorm_mode_32 3
		.amdhsa_float_denorm_mode_16_64 3
		.amdhsa_dx10_clamp 1
		.amdhsa_ieee_mode 1
		.amdhsa_fp16_overflow 0
		.amdhsa_tg_split 0
		.amdhsa_exception_fp_ieee_invalid_op 0
		.amdhsa_exception_fp_denorm_src 0
		.amdhsa_exception_fp_ieee_div_zero 0
		.amdhsa_exception_fp_ieee_overflow 0
		.amdhsa_exception_fp_ieee_underflow 0
		.amdhsa_exception_fp_ieee_inexact 0
		.amdhsa_exception_int_div_zero 0
	.end_amdhsa_kernel
	.section	.text._ZN7rocprim17ROCPRIM_400000_NS6detail17trampoline_kernelINS0_14default_configENS1_27scan_by_key_config_selectorIiiEEZZNS1_16scan_by_key_implILNS1_25lookback_scan_determinismE0ELb0ES3_N6thrust23THRUST_200600_302600_NS6detail15normal_iteratorINS9_10device_ptrIiEEEENS9_18transform_iteratorINS9_6negateIiEESE_NS9_11use_defaultESI_EESE_iNS9_4plusIvEENS9_8equal_toIvEEiEE10hipError_tPvRmT2_T3_T4_T5_mT6_T7_P12ihipStream_tbENKUlT_T0_E_clISt17integral_constantIbLb1EES13_IbLb0EEEEDaSZ_S10_EUlSZ_E_NS1_11comp_targetILNS1_3genE2ELNS1_11target_archE906ELNS1_3gpuE6ELNS1_3repE0EEENS1_30default_config_static_selectorELNS0_4arch9wavefront6targetE1EEEvT1_,"axG",@progbits,_ZN7rocprim17ROCPRIM_400000_NS6detail17trampoline_kernelINS0_14default_configENS1_27scan_by_key_config_selectorIiiEEZZNS1_16scan_by_key_implILNS1_25lookback_scan_determinismE0ELb0ES3_N6thrust23THRUST_200600_302600_NS6detail15normal_iteratorINS9_10device_ptrIiEEEENS9_18transform_iteratorINS9_6negateIiEESE_NS9_11use_defaultESI_EESE_iNS9_4plusIvEENS9_8equal_toIvEEiEE10hipError_tPvRmT2_T3_T4_T5_mT6_T7_P12ihipStream_tbENKUlT_T0_E_clISt17integral_constantIbLb1EES13_IbLb0EEEEDaSZ_S10_EUlSZ_E_NS1_11comp_targetILNS1_3genE2ELNS1_11target_archE906ELNS1_3gpuE6ELNS1_3repE0EEENS1_30default_config_static_selectorELNS0_4arch9wavefront6targetE1EEEvT1_,comdat
.Lfunc_end952:
	.size	_ZN7rocprim17ROCPRIM_400000_NS6detail17trampoline_kernelINS0_14default_configENS1_27scan_by_key_config_selectorIiiEEZZNS1_16scan_by_key_implILNS1_25lookback_scan_determinismE0ELb0ES3_N6thrust23THRUST_200600_302600_NS6detail15normal_iteratorINS9_10device_ptrIiEEEENS9_18transform_iteratorINS9_6negateIiEESE_NS9_11use_defaultESI_EESE_iNS9_4plusIvEENS9_8equal_toIvEEiEE10hipError_tPvRmT2_T3_T4_T5_mT6_T7_P12ihipStream_tbENKUlT_T0_E_clISt17integral_constantIbLb1EES13_IbLb0EEEEDaSZ_S10_EUlSZ_E_NS1_11comp_targetILNS1_3genE2ELNS1_11target_archE906ELNS1_3gpuE6ELNS1_3repE0EEENS1_30default_config_static_selectorELNS0_4arch9wavefront6targetE1EEEvT1_, .Lfunc_end952-_ZN7rocprim17ROCPRIM_400000_NS6detail17trampoline_kernelINS0_14default_configENS1_27scan_by_key_config_selectorIiiEEZZNS1_16scan_by_key_implILNS1_25lookback_scan_determinismE0ELb0ES3_N6thrust23THRUST_200600_302600_NS6detail15normal_iteratorINS9_10device_ptrIiEEEENS9_18transform_iteratorINS9_6negateIiEESE_NS9_11use_defaultESI_EESE_iNS9_4plusIvEENS9_8equal_toIvEEiEE10hipError_tPvRmT2_T3_T4_T5_mT6_T7_P12ihipStream_tbENKUlT_T0_E_clISt17integral_constantIbLb1EES13_IbLb0EEEEDaSZ_S10_EUlSZ_E_NS1_11comp_targetILNS1_3genE2ELNS1_11target_archE906ELNS1_3gpuE6ELNS1_3repE0EEENS1_30default_config_static_selectorELNS0_4arch9wavefront6targetE1EEEvT1_
                                        ; -- End function
	.section	.AMDGPU.csdata,"",@progbits
; Kernel info:
; codeLenInByte = 0
; NumSgprs: 4
; NumVgprs: 0
; NumAgprs: 0
; TotalNumVgprs: 0
; ScratchSize: 0
; MemoryBound: 0
; FloatMode: 240
; IeeeMode: 1
; LDSByteSize: 0 bytes/workgroup (compile time only)
; SGPRBlocks: 0
; VGPRBlocks: 0
; NumSGPRsForWavesPerEU: 4
; NumVGPRsForWavesPerEU: 1
; AccumOffset: 4
; Occupancy: 8
; WaveLimiterHint : 0
; COMPUTE_PGM_RSRC2:SCRATCH_EN: 0
; COMPUTE_PGM_RSRC2:USER_SGPR: 6
; COMPUTE_PGM_RSRC2:TRAP_HANDLER: 0
; COMPUTE_PGM_RSRC2:TGID_X_EN: 1
; COMPUTE_PGM_RSRC2:TGID_Y_EN: 0
; COMPUTE_PGM_RSRC2:TGID_Z_EN: 0
; COMPUTE_PGM_RSRC2:TIDIG_COMP_CNT: 0
; COMPUTE_PGM_RSRC3_GFX90A:ACCUM_OFFSET: 0
; COMPUTE_PGM_RSRC3_GFX90A:TG_SPLIT: 0
	.section	.text._ZN7rocprim17ROCPRIM_400000_NS6detail17trampoline_kernelINS0_14default_configENS1_27scan_by_key_config_selectorIiiEEZZNS1_16scan_by_key_implILNS1_25lookback_scan_determinismE0ELb0ES3_N6thrust23THRUST_200600_302600_NS6detail15normal_iteratorINS9_10device_ptrIiEEEENS9_18transform_iteratorINS9_6negateIiEESE_NS9_11use_defaultESI_EESE_iNS9_4plusIvEENS9_8equal_toIvEEiEE10hipError_tPvRmT2_T3_T4_T5_mT6_T7_P12ihipStream_tbENKUlT_T0_E_clISt17integral_constantIbLb1EES13_IbLb0EEEEDaSZ_S10_EUlSZ_E_NS1_11comp_targetILNS1_3genE10ELNS1_11target_archE1200ELNS1_3gpuE4ELNS1_3repE0EEENS1_30default_config_static_selectorELNS0_4arch9wavefront6targetE1EEEvT1_,"axG",@progbits,_ZN7rocprim17ROCPRIM_400000_NS6detail17trampoline_kernelINS0_14default_configENS1_27scan_by_key_config_selectorIiiEEZZNS1_16scan_by_key_implILNS1_25lookback_scan_determinismE0ELb0ES3_N6thrust23THRUST_200600_302600_NS6detail15normal_iteratorINS9_10device_ptrIiEEEENS9_18transform_iteratorINS9_6negateIiEESE_NS9_11use_defaultESI_EESE_iNS9_4plusIvEENS9_8equal_toIvEEiEE10hipError_tPvRmT2_T3_T4_T5_mT6_T7_P12ihipStream_tbENKUlT_T0_E_clISt17integral_constantIbLb1EES13_IbLb0EEEEDaSZ_S10_EUlSZ_E_NS1_11comp_targetILNS1_3genE10ELNS1_11target_archE1200ELNS1_3gpuE4ELNS1_3repE0EEENS1_30default_config_static_selectorELNS0_4arch9wavefront6targetE1EEEvT1_,comdat
	.protected	_ZN7rocprim17ROCPRIM_400000_NS6detail17trampoline_kernelINS0_14default_configENS1_27scan_by_key_config_selectorIiiEEZZNS1_16scan_by_key_implILNS1_25lookback_scan_determinismE0ELb0ES3_N6thrust23THRUST_200600_302600_NS6detail15normal_iteratorINS9_10device_ptrIiEEEENS9_18transform_iteratorINS9_6negateIiEESE_NS9_11use_defaultESI_EESE_iNS9_4plusIvEENS9_8equal_toIvEEiEE10hipError_tPvRmT2_T3_T4_T5_mT6_T7_P12ihipStream_tbENKUlT_T0_E_clISt17integral_constantIbLb1EES13_IbLb0EEEEDaSZ_S10_EUlSZ_E_NS1_11comp_targetILNS1_3genE10ELNS1_11target_archE1200ELNS1_3gpuE4ELNS1_3repE0EEENS1_30default_config_static_selectorELNS0_4arch9wavefront6targetE1EEEvT1_ ; -- Begin function _ZN7rocprim17ROCPRIM_400000_NS6detail17trampoline_kernelINS0_14default_configENS1_27scan_by_key_config_selectorIiiEEZZNS1_16scan_by_key_implILNS1_25lookback_scan_determinismE0ELb0ES3_N6thrust23THRUST_200600_302600_NS6detail15normal_iteratorINS9_10device_ptrIiEEEENS9_18transform_iteratorINS9_6negateIiEESE_NS9_11use_defaultESI_EESE_iNS9_4plusIvEENS9_8equal_toIvEEiEE10hipError_tPvRmT2_T3_T4_T5_mT6_T7_P12ihipStream_tbENKUlT_T0_E_clISt17integral_constantIbLb1EES13_IbLb0EEEEDaSZ_S10_EUlSZ_E_NS1_11comp_targetILNS1_3genE10ELNS1_11target_archE1200ELNS1_3gpuE4ELNS1_3repE0EEENS1_30default_config_static_selectorELNS0_4arch9wavefront6targetE1EEEvT1_
	.globl	_ZN7rocprim17ROCPRIM_400000_NS6detail17trampoline_kernelINS0_14default_configENS1_27scan_by_key_config_selectorIiiEEZZNS1_16scan_by_key_implILNS1_25lookback_scan_determinismE0ELb0ES3_N6thrust23THRUST_200600_302600_NS6detail15normal_iteratorINS9_10device_ptrIiEEEENS9_18transform_iteratorINS9_6negateIiEESE_NS9_11use_defaultESI_EESE_iNS9_4plusIvEENS9_8equal_toIvEEiEE10hipError_tPvRmT2_T3_T4_T5_mT6_T7_P12ihipStream_tbENKUlT_T0_E_clISt17integral_constantIbLb1EES13_IbLb0EEEEDaSZ_S10_EUlSZ_E_NS1_11comp_targetILNS1_3genE10ELNS1_11target_archE1200ELNS1_3gpuE4ELNS1_3repE0EEENS1_30default_config_static_selectorELNS0_4arch9wavefront6targetE1EEEvT1_
	.p2align	8
	.type	_ZN7rocprim17ROCPRIM_400000_NS6detail17trampoline_kernelINS0_14default_configENS1_27scan_by_key_config_selectorIiiEEZZNS1_16scan_by_key_implILNS1_25lookback_scan_determinismE0ELb0ES3_N6thrust23THRUST_200600_302600_NS6detail15normal_iteratorINS9_10device_ptrIiEEEENS9_18transform_iteratorINS9_6negateIiEESE_NS9_11use_defaultESI_EESE_iNS9_4plusIvEENS9_8equal_toIvEEiEE10hipError_tPvRmT2_T3_T4_T5_mT6_T7_P12ihipStream_tbENKUlT_T0_E_clISt17integral_constantIbLb1EES13_IbLb0EEEEDaSZ_S10_EUlSZ_E_NS1_11comp_targetILNS1_3genE10ELNS1_11target_archE1200ELNS1_3gpuE4ELNS1_3repE0EEENS1_30default_config_static_selectorELNS0_4arch9wavefront6targetE1EEEvT1_,@function
_ZN7rocprim17ROCPRIM_400000_NS6detail17trampoline_kernelINS0_14default_configENS1_27scan_by_key_config_selectorIiiEEZZNS1_16scan_by_key_implILNS1_25lookback_scan_determinismE0ELb0ES3_N6thrust23THRUST_200600_302600_NS6detail15normal_iteratorINS9_10device_ptrIiEEEENS9_18transform_iteratorINS9_6negateIiEESE_NS9_11use_defaultESI_EESE_iNS9_4plusIvEENS9_8equal_toIvEEiEE10hipError_tPvRmT2_T3_T4_T5_mT6_T7_P12ihipStream_tbENKUlT_T0_E_clISt17integral_constantIbLb1EES13_IbLb0EEEEDaSZ_S10_EUlSZ_E_NS1_11comp_targetILNS1_3genE10ELNS1_11target_archE1200ELNS1_3gpuE4ELNS1_3repE0EEENS1_30default_config_static_selectorELNS0_4arch9wavefront6targetE1EEEvT1_: ; @_ZN7rocprim17ROCPRIM_400000_NS6detail17trampoline_kernelINS0_14default_configENS1_27scan_by_key_config_selectorIiiEEZZNS1_16scan_by_key_implILNS1_25lookback_scan_determinismE0ELb0ES3_N6thrust23THRUST_200600_302600_NS6detail15normal_iteratorINS9_10device_ptrIiEEEENS9_18transform_iteratorINS9_6negateIiEESE_NS9_11use_defaultESI_EESE_iNS9_4plusIvEENS9_8equal_toIvEEiEE10hipError_tPvRmT2_T3_T4_T5_mT6_T7_P12ihipStream_tbENKUlT_T0_E_clISt17integral_constantIbLb1EES13_IbLb0EEEEDaSZ_S10_EUlSZ_E_NS1_11comp_targetILNS1_3genE10ELNS1_11target_archE1200ELNS1_3gpuE4ELNS1_3repE0EEENS1_30default_config_static_selectorELNS0_4arch9wavefront6targetE1EEEvT1_
; %bb.0:
	.section	.rodata,"a",@progbits
	.p2align	6, 0x0
	.amdhsa_kernel _ZN7rocprim17ROCPRIM_400000_NS6detail17trampoline_kernelINS0_14default_configENS1_27scan_by_key_config_selectorIiiEEZZNS1_16scan_by_key_implILNS1_25lookback_scan_determinismE0ELb0ES3_N6thrust23THRUST_200600_302600_NS6detail15normal_iteratorINS9_10device_ptrIiEEEENS9_18transform_iteratorINS9_6negateIiEESE_NS9_11use_defaultESI_EESE_iNS9_4plusIvEENS9_8equal_toIvEEiEE10hipError_tPvRmT2_T3_T4_T5_mT6_T7_P12ihipStream_tbENKUlT_T0_E_clISt17integral_constantIbLb1EES13_IbLb0EEEEDaSZ_S10_EUlSZ_E_NS1_11comp_targetILNS1_3genE10ELNS1_11target_archE1200ELNS1_3gpuE4ELNS1_3repE0EEENS1_30default_config_static_selectorELNS0_4arch9wavefront6targetE1EEEvT1_
		.amdhsa_group_segment_fixed_size 0
		.amdhsa_private_segment_fixed_size 0
		.amdhsa_kernarg_size 120
		.amdhsa_user_sgpr_count 6
		.amdhsa_user_sgpr_private_segment_buffer 1
		.amdhsa_user_sgpr_dispatch_ptr 0
		.amdhsa_user_sgpr_queue_ptr 0
		.amdhsa_user_sgpr_kernarg_segment_ptr 1
		.amdhsa_user_sgpr_dispatch_id 0
		.amdhsa_user_sgpr_flat_scratch_init 0
		.amdhsa_user_sgpr_kernarg_preload_length 0
		.amdhsa_user_sgpr_kernarg_preload_offset 0
		.amdhsa_user_sgpr_private_segment_size 0
		.amdhsa_uses_dynamic_stack 0
		.amdhsa_system_sgpr_private_segment_wavefront_offset 0
		.amdhsa_system_sgpr_workgroup_id_x 1
		.amdhsa_system_sgpr_workgroup_id_y 0
		.amdhsa_system_sgpr_workgroup_id_z 0
		.amdhsa_system_sgpr_workgroup_info 0
		.amdhsa_system_vgpr_workitem_id 0
		.amdhsa_next_free_vgpr 1
		.amdhsa_next_free_sgpr 0
		.amdhsa_accum_offset 4
		.amdhsa_reserve_vcc 0
		.amdhsa_reserve_flat_scratch 0
		.amdhsa_float_round_mode_32 0
		.amdhsa_float_round_mode_16_64 0
		.amdhsa_float_denorm_mode_32 3
		.amdhsa_float_denorm_mode_16_64 3
		.amdhsa_dx10_clamp 1
		.amdhsa_ieee_mode 1
		.amdhsa_fp16_overflow 0
		.amdhsa_tg_split 0
		.amdhsa_exception_fp_ieee_invalid_op 0
		.amdhsa_exception_fp_denorm_src 0
		.amdhsa_exception_fp_ieee_div_zero 0
		.amdhsa_exception_fp_ieee_overflow 0
		.amdhsa_exception_fp_ieee_underflow 0
		.amdhsa_exception_fp_ieee_inexact 0
		.amdhsa_exception_int_div_zero 0
	.end_amdhsa_kernel
	.section	.text._ZN7rocprim17ROCPRIM_400000_NS6detail17trampoline_kernelINS0_14default_configENS1_27scan_by_key_config_selectorIiiEEZZNS1_16scan_by_key_implILNS1_25lookback_scan_determinismE0ELb0ES3_N6thrust23THRUST_200600_302600_NS6detail15normal_iteratorINS9_10device_ptrIiEEEENS9_18transform_iteratorINS9_6negateIiEESE_NS9_11use_defaultESI_EESE_iNS9_4plusIvEENS9_8equal_toIvEEiEE10hipError_tPvRmT2_T3_T4_T5_mT6_T7_P12ihipStream_tbENKUlT_T0_E_clISt17integral_constantIbLb1EES13_IbLb0EEEEDaSZ_S10_EUlSZ_E_NS1_11comp_targetILNS1_3genE10ELNS1_11target_archE1200ELNS1_3gpuE4ELNS1_3repE0EEENS1_30default_config_static_selectorELNS0_4arch9wavefront6targetE1EEEvT1_,"axG",@progbits,_ZN7rocprim17ROCPRIM_400000_NS6detail17trampoline_kernelINS0_14default_configENS1_27scan_by_key_config_selectorIiiEEZZNS1_16scan_by_key_implILNS1_25lookback_scan_determinismE0ELb0ES3_N6thrust23THRUST_200600_302600_NS6detail15normal_iteratorINS9_10device_ptrIiEEEENS9_18transform_iteratorINS9_6negateIiEESE_NS9_11use_defaultESI_EESE_iNS9_4plusIvEENS9_8equal_toIvEEiEE10hipError_tPvRmT2_T3_T4_T5_mT6_T7_P12ihipStream_tbENKUlT_T0_E_clISt17integral_constantIbLb1EES13_IbLb0EEEEDaSZ_S10_EUlSZ_E_NS1_11comp_targetILNS1_3genE10ELNS1_11target_archE1200ELNS1_3gpuE4ELNS1_3repE0EEENS1_30default_config_static_selectorELNS0_4arch9wavefront6targetE1EEEvT1_,comdat
.Lfunc_end953:
	.size	_ZN7rocprim17ROCPRIM_400000_NS6detail17trampoline_kernelINS0_14default_configENS1_27scan_by_key_config_selectorIiiEEZZNS1_16scan_by_key_implILNS1_25lookback_scan_determinismE0ELb0ES3_N6thrust23THRUST_200600_302600_NS6detail15normal_iteratorINS9_10device_ptrIiEEEENS9_18transform_iteratorINS9_6negateIiEESE_NS9_11use_defaultESI_EESE_iNS9_4plusIvEENS9_8equal_toIvEEiEE10hipError_tPvRmT2_T3_T4_T5_mT6_T7_P12ihipStream_tbENKUlT_T0_E_clISt17integral_constantIbLb1EES13_IbLb0EEEEDaSZ_S10_EUlSZ_E_NS1_11comp_targetILNS1_3genE10ELNS1_11target_archE1200ELNS1_3gpuE4ELNS1_3repE0EEENS1_30default_config_static_selectorELNS0_4arch9wavefront6targetE1EEEvT1_, .Lfunc_end953-_ZN7rocprim17ROCPRIM_400000_NS6detail17trampoline_kernelINS0_14default_configENS1_27scan_by_key_config_selectorIiiEEZZNS1_16scan_by_key_implILNS1_25lookback_scan_determinismE0ELb0ES3_N6thrust23THRUST_200600_302600_NS6detail15normal_iteratorINS9_10device_ptrIiEEEENS9_18transform_iteratorINS9_6negateIiEESE_NS9_11use_defaultESI_EESE_iNS9_4plusIvEENS9_8equal_toIvEEiEE10hipError_tPvRmT2_T3_T4_T5_mT6_T7_P12ihipStream_tbENKUlT_T0_E_clISt17integral_constantIbLb1EES13_IbLb0EEEEDaSZ_S10_EUlSZ_E_NS1_11comp_targetILNS1_3genE10ELNS1_11target_archE1200ELNS1_3gpuE4ELNS1_3repE0EEENS1_30default_config_static_selectorELNS0_4arch9wavefront6targetE1EEEvT1_
                                        ; -- End function
	.section	.AMDGPU.csdata,"",@progbits
; Kernel info:
; codeLenInByte = 0
; NumSgprs: 4
; NumVgprs: 0
; NumAgprs: 0
; TotalNumVgprs: 0
; ScratchSize: 0
; MemoryBound: 0
; FloatMode: 240
; IeeeMode: 1
; LDSByteSize: 0 bytes/workgroup (compile time only)
; SGPRBlocks: 0
; VGPRBlocks: 0
; NumSGPRsForWavesPerEU: 4
; NumVGPRsForWavesPerEU: 1
; AccumOffset: 4
; Occupancy: 8
; WaveLimiterHint : 0
; COMPUTE_PGM_RSRC2:SCRATCH_EN: 0
; COMPUTE_PGM_RSRC2:USER_SGPR: 6
; COMPUTE_PGM_RSRC2:TRAP_HANDLER: 0
; COMPUTE_PGM_RSRC2:TGID_X_EN: 1
; COMPUTE_PGM_RSRC2:TGID_Y_EN: 0
; COMPUTE_PGM_RSRC2:TGID_Z_EN: 0
; COMPUTE_PGM_RSRC2:TIDIG_COMP_CNT: 0
; COMPUTE_PGM_RSRC3_GFX90A:ACCUM_OFFSET: 0
; COMPUTE_PGM_RSRC3_GFX90A:TG_SPLIT: 0
	.section	.text._ZN7rocprim17ROCPRIM_400000_NS6detail17trampoline_kernelINS0_14default_configENS1_27scan_by_key_config_selectorIiiEEZZNS1_16scan_by_key_implILNS1_25lookback_scan_determinismE0ELb0ES3_N6thrust23THRUST_200600_302600_NS6detail15normal_iteratorINS9_10device_ptrIiEEEENS9_18transform_iteratorINS9_6negateIiEESE_NS9_11use_defaultESI_EESE_iNS9_4plusIvEENS9_8equal_toIvEEiEE10hipError_tPvRmT2_T3_T4_T5_mT6_T7_P12ihipStream_tbENKUlT_T0_E_clISt17integral_constantIbLb1EES13_IbLb0EEEEDaSZ_S10_EUlSZ_E_NS1_11comp_targetILNS1_3genE9ELNS1_11target_archE1100ELNS1_3gpuE3ELNS1_3repE0EEENS1_30default_config_static_selectorELNS0_4arch9wavefront6targetE1EEEvT1_,"axG",@progbits,_ZN7rocprim17ROCPRIM_400000_NS6detail17trampoline_kernelINS0_14default_configENS1_27scan_by_key_config_selectorIiiEEZZNS1_16scan_by_key_implILNS1_25lookback_scan_determinismE0ELb0ES3_N6thrust23THRUST_200600_302600_NS6detail15normal_iteratorINS9_10device_ptrIiEEEENS9_18transform_iteratorINS9_6negateIiEESE_NS9_11use_defaultESI_EESE_iNS9_4plusIvEENS9_8equal_toIvEEiEE10hipError_tPvRmT2_T3_T4_T5_mT6_T7_P12ihipStream_tbENKUlT_T0_E_clISt17integral_constantIbLb1EES13_IbLb0EEEEDaSZ_S10_EUlSZ_E_NS1_11comp_targetILNS1_3genE9ELNS1_11target_archE1100ELNS1_3gpuE3ELNS1_3repE0EEENS1_30default_config_static_selectorELNS0_4arch9wavefront6targetE1EEEvT1_,comdat
	.protected	_ZN7rocprim17ROCPRIM_400000_NS6detail17trampoline_kernelINS0_14default_configENS1_27scan_by_key_config_selectorIiiEEZZNS1_16scan_by_key_implILNS1_25lookback_scan_determinismE0ELb0ES3_N6thrust23THRUST_200600_302600_NS6detail15normal_iteratorINS9_10device_ptrIiEEEENS9_18transform_iteratorINS9_6negateIiEESE_NS9_11use_defaultESI_EESE_iNS9_4plusIvEENS9_8equal_toIvEEiEE10hipError_tPvRmT2_T3_T4_T5_mT6_T7_P12ihipStream_tbENKUlT_T0_E_clISt17integral_constantIbLb1EES13_IbLb0EEEEDaSZ_S10_EUlSZ_E_NS1_11comp_targetILNS1_3genE9ELNS1_11target_archE1100ELNS1_3gpuE3ELNS1_3repE0EEENS1_30default_config_static_selectorELNS0_4arch9wavefront6targetE1EEEvT1_ ; -- Begin function _ZN7rocprim17ROCPRIM_400000_NS6detail17trampoline_kernelINS0_14default_configENS1_27scan_by_key_config_selectorIiiEEZZNS1_16scan_by_key_implILNS1_25lookback_scan_determinismE0ELb0ES3_N6thrust23THRUST_200600_302600_NS6detail15normal_iteratorINS9_10device_ptrIiEEEENS9_18transform_iteratorINS9_6negateIiEESE_NS9_11use_defaultESI_EESE_iNS9_4plusIvEENS9_8equal_toIvEEiEE10hipError_tPvRmT2_T3_T4_T5_mT6_T7_P12ihipStream_tbENKUlT_T0_E_clISt17integral_constantIbLb1EES13_IbLb0EEEEDaSZ_S10_EUlSZ_E_NS1_11comp_targetILNS1_3genE9ELNS1_11target_archE1100ELNS1_3gpuE3ELNS1_3repE0EEENS1_30default_config_static_selectorELNS0_4arch9wavefront6targetE1EEEvT1_
	.globl	_ZN7rocprim17ROCPRIM_400000_NS6detail17trampoline_kernelINS0_14default_configENS1_27scan_by_key_config_selectorIiiEEZZNS1_16scan_by_key_implILNS1_25lookback_scan_determinismE0ELb0ES3_N6thrust23THRUST_200600_302600_NS6detail15normal_iteratorINS9_10device_ptrIiEEEENS9_18transform_iteratorINS9_6negateIiEESE_NS9_11use_defaultESI_EESE_iNS9_4plusIvEENS9_8equal_toIvEEiEE10hipError_tPvRmT2_T3_T4_T5_mT6_T7_P12ihipStream_tbENKUlT_T0_E_clISt17integral_constantIbLb1EES13_IbLb0EEEEDaSZ_S10_EUlSZ_E_NS1_11comp_targetILNS1_3genE9ELNS1_11target_archE1100ELNS1_3gpuE3ELNS1_3repE0EEENS1_30default_config_static_selectorELNS0_4arch9wavefront6targetE1EEEvT1_
	.p2align	8
	.type	_ZN7rocprim17ROCPRIM_400000_NS6detail17trampoline_kernelINS0_14default_configENS1_27scan_by_key_config_selectorIiiEEZZNS1_16scan_by_key_implILNS1_25lookback_scan_determinismE0ELb0ES3_N6thrust23THRUST_200600_302600_NS6detail15normal_iteratorINS9_10device_ptrIiEEEENS9_18transform_iteratorINS9_6negateIiEESE_NS9_11use_defaultESI_EESE_iNS9_4plusIvEENS9_8equal_toIvEEiEE10hipError_tPvRmT2_T3_T4_T5_mT6_T7_P12ihipStream_tbENKUlT_T0_E_clISt17integral_constantIbLb1EES13_IbLb0EEEEDaSZ_S10_EUlSZ_E_NS1_11comp_targetILNS1_3genE9ELNS1_11target_archE1100ELNS1_3gpuE3ELNS1_3repE0EEENS1_30default_config_static_selectorELNS0_4arch9wavefront6targetE1EEEvT1_,@function
_ZN7rocprim17ROCPRIM_400000_NS6detail17trampoline_kernelINS0_14default_configENS1_27scan_by_key_config_selectorIiiEEZZNS1_16scan_by_key_implILNS1_25lookback_scan_determinismE0ELb0ES3_N6thrust23THRUST_200600_302600_NS6detail15normal_iteratorINS9_10device_ptrIiEEEENS9_18transform_iteratorINS9_6negateIiEESE_NS9_11use_defaultESI_EESE_iNS9_4plusIvEENS9_8equal_toIvEEiEE10hipError_tPvRmT2_T3_T4_T5_mT6_T7_P12ihipStream_tbENKUlT_T0_E_clISt17integral_constantIbLb1EES13_IbLb0EEEEDaSZ_S10_EUlSZ_E_NS1_11comp_targetILNS1_3genE9ELNS1_11target_archE1100ELNS1_3gpuE3ELNS1_3repE0EEENS1_30default_config_static_selectorELNS0_4arch9wavefront6targetE1EEEvT1_: ; @_ZN7rocprim17ROCPRIM_400000_NS6detail17trampoline_kernelINS0_14default_configENS1_27scan_by_key_config_selectorIiiEEZZNS1_16scan_by_key_implILNS1_25lookback_scan_determinismE0ELb0ES3_N6thrust23THRUST_200600_302600_NS6detail15normal_iteratorINS9_10device_ptrIiEEEENS9_18transform_iteratorINS9_6negateIiEESE_NS9_11use_defaultESI_EESE_iNS9_4plusIvEENS9_8equal_toIvEEiEE10hipError_tPvRmT2_T3_T4_T5_mT6_T7_P12ihipStream_tbENKUlT_T0_E_clISt17integral_constantIbLb1EES13_IbLb0EEEEDaSZ_S10_EUlSZ_E_NS1_11comp_targetILNS1_3genE9ELNS1_11target_archE1100ELNS1_3gpuE3ELNS1_3repE0EEENS1_30default_config_static_selectorELNS0_4arch9wavefront6targetE1EEEvT1_
; %bb.0:
	.section	.rodata,"a",@progbits
	.p2align	6, 0x0
	.amdhsa_kernel _ZN7rocprim17ROCPRIM_400000_NS6detail17trampoline_kernelINS0_14default_configENS1_27scan_by_key_config_selectorIiiEEZZNS1_16scan_by_key_implILNS1_25lookback_scan_determinismE0ELb0ES3_N6thrust23THRUST_200600_302600_NS6detail15normal_iteratorINS9_10device_ptrIiEEEENS9_18transform_iteratorINS9_6negateIiEESE_NS9_11use_defaultESI_EESE_iNS9_4plusIvEENS9_8equal_toIvEEiEE10hipError_tPvRmT2_T3_T4_T5_mT6_T7_P12ihipStream_tbENKUlT_T0_E_clISt17integral_constantIbLb1EES13_IbLb0EEEEDaSZ_S10_EUlSZ_E_NS1_11comp_targetILNS1_3genE9ELNS1_11target_archE1100ELNS1_3gpuE3ELNS1_3repE0EEENS1_30default_config_static_selectorELNS0_4arch9wavefront6targetE1EEEvT1_
		.amdhsa_group_segment_fixed_size 0
		.amdhsa_private_segment_fixed_size 0
		.amdhsa_kernarg_size 120
		.amdhsa_user_sgpr_count 6
		.amdhsa_user_sgpr_private_segment_buffer 1
		.amdhsa_user_sgpr_dispatch_ptr 0
		.amdhsa_user_sgpr_queue_ptr 0
		.amdhsa_user_sgpr_kernarg_segment_ptr 1
		.amdhsa_user_sgpr_dispatch_id 0
		.amdhsa_user_sgpr_flat_scratch_init 0
		.amdhsa_user_sgpr_kernarg_preload_length 0
		.amdhsa_user_sgpr_kernarg_preload_offset 0
		.amdhsa_user_sgpr_private_segment_size 0
		.amdhsa_uses_dynamic_stack 0
		.amdhsa_system_sgpr_private_segment_wavefront_offset 0
		.amdhsa_system_sgpr_workgroup_id_x 1
		.amdhsa_system_sgpr_workgroup_id_y 0
		.amdhsa_system_sgpr_workgroup_id_z 0
		.amdhsa_system_sgpr_workgroup_info 0
		.amdhsa_system_vgpr_workitem_id 0
		.amdhsa_next_free_vgpr 1
		.amdhsa_next_free_sgpr 0
		.amdhsa_accum_offset 4
		.amdhsa_reserve_vcc 0
		.amdhsa_reserve_flat_scratch 0
		.amdhsa_float_round_mode_32 0
		.amdhsa_float_round_mode_16_64 0
		.amdhsa_float_denorm_mode_32 3
		.amdhsa_float_denorm_mode_16_64 3
		.amdhsa_dx10_clamp 1
		.amdhsa_ieee_mode 1
		.amdhsa_fp16_overflow 0
		.amdhsa_tg_split 0
		.amdhsa_exception_fp_ieee_invalid_op 0
		.amdhsa_exception_fp_denorm_src 0
		.amdhsa_exception_fp_ieee_div_zero 0
		.amdhsa_exception_fp_ieee_overflow 0
		.amdhsa_exception_fp_ieee_underflow 0
		.amdhsa_exception_fp_ieee_inexact 0
		.amdhsa_exception_int_div_zero 0
	.end_amdhsa_kernel
	.section	.text._ZN7rocprim17ROCPRIM_400000_NS6detail17trampoline_kernelINS0_14default_configENS1_27scan_by_key_config_selectorIiiEEZZNS1_16scan_by_key_implILNS1_25lookback_scan_determinismE0ELb0ES3_N6thrust23THRUST_200600_302600_NS6detail15normal_iteratorINS9_10device_ptrIiEEEENS9_18transform_iteratorINS9_6negateIiEESE_NS9_11use_defaultESI_EESE_iNS9_4plusIvEENS9_8equal_toIvEEiEE10hipError_tPvRmT2_T3_T4_T5_mT6_T7_P12ihipStream_tbENKUlT_T0_E_clISt17integral_constantIbLb1EES13_IbLb0EEEEDaSZ_S10_EUlSZ_E_NS1_11comp_targetILNS1_3genE9ELNS1_11target_archE1100ELNS1_3gpuE3ELNS1_3repE0EEENS1_30default_config_static_selectorELNS0_4arch9wavefront6targetE1EEEvT1_,"axG",@progbits,_ZN7rocprim17ROCPRIM_400000_NS6detail17trampoline_kernelINS0_14default_configENS1_27scan_by_key_config_selectorIiiEEZZNS1_16scan_by_key_implILNS1_25lookback_scan_determinismE0ELb0ES3_N6thrust23THRUST_200600_302600_NS6detail15normal_iteratorINS9_10device_ptrIiEEEENS9_18transform_iteratorINS9_6negateIiEESE_NS9_11use_defaultESI_EESE_iNS9_4plusIvEENS9_8equal_toIvEEiEE10hipError_tPvRmT2_T3_T4_T5_mT6_T7_P12ihipStream_tbENKUlT_T0_E_clISt17integral_constantIbLb1EES13_IbLb0EEEEDaSZ_S10_EUlSZ_E_NS1_11comp_targetILNS1_3genE9ELNS1_11target_archE1100ELNS1_3gpuE3ELNS1_3repE0EEENS1_30default_config_static_selectorELNS0_4arch9wavefront6targetE1EEEvT1_,comdat
.Lfunc_end954:
	.size	_ZN7rocprim17ROCPRIM_400000_NS6detail17trampoline_kernelINS0_14default_configENS1_27scan_by_key_config_selectorIiiEEZZNS1_16scan_by_key_implILNS1_25lookback_scan_determinismE0ELb0ES3_N6thrust23THRUST_200600_302600_NS6detail15normal_iteratorINS9_10device_ptrIiEEEENS9_18transform_iteratorINS9_6negateIiEESE_NS9_11use_defaultESI_EESE_iNS9_4plusIvEENS9_8equal_toIvEEiEE10hipError_tPvRmT2_T3_T4_T5_mT6_T7_P12ihipStream_tbENKUlT_T0_E_clISt17integral_constantIbLb1EES13_IbLb0EEEEDaSZ_S10_EUlSZ_E_NS1_11comp_targetILNS1_3genE9ELNS1_11target_archE1100ELNS1_3gpuE3ELNS1_3repE0EEENS1_30default_config_static_selectorELNS0_4arch9wavefront6targetE1EEEvT1_, .Lfunc_end954-_ZN7rocprim17ROCPRIM_400000_NS6detail17trampoline_kernelINS0_14default_configENS1_27scan_by_key_config_selectorIiiEEZZNS1_16scan_by_key_implILNS1_25lookback_scan_determinismE0ELb0ES3_N6thrust23THRUST_200600_302600_NS6detail15normal_iteratorINS9_10device_ptrIiEEEENS9_18transform_iteratorINS9_6negateIiEESE_NS9_11use_defaultESI_EESE_iNS9_4plusIvEENS9_8equal_toIvEEiEE10hipError_tPvRmT2_T3_T4_T5_mT6_T7_P12ihipStream_tbENKUlT_T0_E_clISt17integral_constantIbLb1EES13_IbLb0EEEEDaSZ_S10_EUlSZ_E_NS1_11comp_targetILNS1_3genE9ELNS1_11target_archE1100ELNS1_3gpuE3ELNS1_3repE0EEENS1_30default_config_static_selectorELNS0_4arch9wavefront6targetE1EEEvT1_
                                        ; -- End function
	.section	.AMDGPU.csdata,"",@progbits
; Kernel info:
; codeLenInByte = 0
; NumSgprs: 4
; NumVgprs: 0
; NumAgprs: 0
; TotalNumVgprs: 0
; ScratchSize: 0
; MemoryBound: 0
; FloatMode: 240
; IeeeMode: 1
; LDSByteSize: 0 bytes/workgroup (compile time only)
; SGPRBlocks: 0
; VGPRBlocks: 0
; NumSGPRsForWavesPerEU: 4
; NumVGPRsForWavesPerEU: 1
; AccumOffset: 4
; Occupancy: 8
; WaveLimiterHint : 0
; COMPUTE_PGM_RSRC2:SCRATCH_EN: 0
; COMPUTE_PGM_RSRC2:USER_SGPR: 6
; COMPUTE_PGM_RSRC2:TRAP_HANDLER: 0
; COMPUTE_PGM_RSRC2:TGID_X_EN: 1
; COMPUTE_PGM_RSRC2:TGID_Y_EN: 0
; COMPUTE_PGM_RSRC2:TGID_Z_EN: 0
; COMPUTE_PGM_RSRC2:TIDIG_COMP_CNT: 0
; COMPUTE_PGM_RSRC3_GFX90A:ACCUM_OFFSET: 0
; COMPUTE_PGM_RSRC3_GFX90A:TG_SPLIT: 0
	.section	.text._ZN7rocprim17ROCPRIM_400000_NS6detail17trampoline_kernelINS0_14default_configENS1_27scan_by_key_config_selectorIiiEEZZNS1_16scan_by_key_implILNS1_25lookback_scan_determinismE0ELb0ES3_N6thrust23THRUST_200600_302600_NS6detail15normal_iteratorINS9_10device_ptrIiEEEENS9_18transform_iteratorINS9_6negateIiEESE_NS9_11use_defaultESI_EESE_iNS9_4plusIvEENS9_8equal_toIvEEiEE10hipError_tPvRmT2_T3_T4_T5_mT6_T7_P12ihipStream_tbENKUlT_T0_E_clISt17integral_constantIbLb1EES13_IbLb0EEEEDaSZ_S10_EUlSZ_E_NS1_11comp_targetILNS1_3genE8ELNS1_11target_archE1030ELNS1_3gpuE2ELNS1_3repE0EEENS1_30default_config_static_selectorELNS0_4arch9wavefront6targetE1EEEvT1_,"axG",@progbits,_ZN7rocprim17ROCPRIM_400000_NS6detail17trampoline_kernelINS0_14default_configENS1_27scan_by_key_config_selectorIiiEEZZNS1_16scan_by_key_implILNS1_25lookback_scan_determinismE0ELb0ES3_N6thrust23THRUST_200600_302600_NS6detail15normal_iteratorINS9_10device_ptrIiEEEENS9_18transform_iteratorINS9_6negateIiEESE_NS9_11use_defaultESI_EESE_iNS9_4plusIvEENS9_8equal_toIvEEiEE10hipError_tPvRmT2_T3_T4_T5_mT6_T7_P12ihipStream_tbENKUlT_T0_E_clISt17integral_constantIbLb1EES13_IbLb0EEEEDaSZ_S10_EUlSZ_E_NS1_11comp_targetILNS1_3genE8ELNS1_11target_archE1030ELNS1_3gpuE2ELNS1_3repE0EEENS1_30default_config_static_selectorELNS0_4arch9wavefront6targetE1EEEvT1_,comdat
	.protected	_ZN7rocprim17ROCPRIM_400000_NS6detail17trampoline_kernelINS0_14default_configENS1_27scan_by_key_config_selectorIiiEEZZNS1_16scan_by_key_implILNS1_25lookback_scan_determinismE0ELb0ES3_N6thrust23THRUST_200600_302600_NS6detail15normal_iteratorINS9_10device_ptrIiEEEENS9_18transform_iteratorINS9_6negateIiEESE_NS9_11use_defaultESI_EESE_iNS9_4plusIvEENS9_8equal_toIvEEiEE10hipError_tPvRmT2_T3_T4_T5_mT6_T7_P12ihipStream_tbENKUlT_T0_E_clISt17integral_constantIbLb1EES13_IbLb0EEEEDaSZ_S10_EUlSZ_E_NS1_11comp_targetILNS1_3genE8ELNS1_11target_archE1030ELNS1_3gpuE2ELNS1_3repE0EEENS1_30default_config_static_selectorELNS0_4arch9wavefront6targetE1EEEvT1_ ; -- Begin function _ZN7rocprim17ROCPRIM_400000_NS6detail17trampoline_kernelINS0_14default_configENS1_27scan_by_key_config_selectorIiiEEZZNS1_16scan_by_key_implILNS1_25lookback_scan_determinismE0ELb0ES3_N6thrust23THRUST_200600_302600_NS6detail15normal_iteratorINS9_10device_ptrIiEEEENS9_18transform_iteratorINS9_6negateIiEESE_NS9_11use_defaultESI_EESE_iNS9_4plusIvEENS9_8equal_toIvEEiEE10hipError_tPvRmT2_T3_T4_T5_mT6_T7_P12ihipStream_tbENKUlT_T0_E_clISt17integral_constantIbLb1EES13_IbLb0EEEEDaSZ_S10_EUlSZ_E_NS1_11comp_targetILNS1_3genE8ELNS1_11target_archE1030ELNS1_3gpuE2ELNS1_3repE0EEENS1_30default_config_static_selectorELNS0_4arch9wavefront6targetE1EEEvT1_
	.globl	_ZN7rocprim17ROCPRIM_400000_NS6detail17trampoline_kernelINS0_14default_configENS1_27scan_by_key_config_selectorIiiEEZZNS1_16scan_by_key_implILNS1_25lookback_scan_determinismE0ELb0ES3_N6thrust23THRUST_200600_302600_NS6detail15normal_iteratorINS9_10device_ptrIiEEEENS9_18transform_iteratorINS9_6negateIiEESE_NS9_11use_defaultESI_EESE_iNS9_4plusIvEENS9_8equal_toIvEEiEE10hipError_tPvRmT2_T3_T4_T5_mT6_T7_P12ihipStream_tbENKUlT_T0_E_clISt17integral_constantIbLb1EES13_IbLb0EEEEDaSZ_S10_EUlSZ_E_NS1_11comp_targetILNS1_3genE8ELNS1_11target_archE1030ELNS1_3gpuE2ELNS1_3repE0EEENS1_30default_config_static_selectorELNS0_4arch9wavefront6targetE1EEEvT1_
	.p2align	8
	.type	_ZN7rocprim17ROCPRIM_400000_NS6detail17trampoline_kernelINS0_14default_configENS1_27scan_by_key_config_selectorIiiEEZZNS1_16scan_by_key_implILNS1_25lookback_scan_determinismE0ELb0ES3_N6thrust23THRUST_200600_302600_NS6detail15normal_iteratorINS9_10device_ptrIiEEEENS9_18transform_iteratorINS9_6negateIiEESE_NS9_11use_defaultESI_EESE_iNS9_4plusIvEENS9_8equal_toIvEEiEE10hipError_tPvRmT2_T3_T4_T5_mT6_T7_P12ihipStream_tbENKUlT_T0_E_clISt17integral_constantIbLb1EES13_IbLb0EEEEDaSZ_S10_EUlSZ_E_NS1_11comp_targetILNS1_3genE8ELNS1_11target_archE1030ELNS1_3gpuE2ELNS1_3repE0EEENS1_30default_config_static_selectorELNS0_4arch9wavefront6targetE1EEEvT1_,@function
_ZN7rocprim17ROCPRIM_400000_NS6detail17trampoline_kernelINS0_14default_configENS1_27scan_by_key_config_selectorIiiEEZZNS1_16scan_by_key_implILNS1_25lookback_scan_determinismE0ELb0ES3_N6thrust23THRUST_200600_302600_NS6detail15normal_iteratorINS9_10device_ptrIiEEEENS9_18transform_iteratorINS9_6negateIiEESE_NS9_11use_defaultESI_EESE_iNS9_4plusIvEENS9_8equal_toIvEEiEE10hipError_tPvRmT2_T3_T4_T5_mT6_T7_P12ihipStream_tbENKUlT_T0_E_clISt17integral_constantIbLb1EES13_IbLb0EEEEDaSZ_S10_EUlSZ_E_NS1_11comp_targetILNS1_3genE8ELNS1_11target_archE1030ELNS1_3gpuE2ELNS1_3repE0EEENS1_30default_config_static_selectorELNS0_4arch9wavefront6targetE1EEEvT1_: ; @_ZN7rocprim17ROCPRIM_400000_NS6detail17trampoline_kernelINS0_14default_configENS1_27scan_by_key_config_selectorIiiEEZZNS1_16scan_by_key_implILNS1_25lookback_scan_determinismE0ELb0ES3_N6thrust23THRUST_200600_302600_NS6detail15normal_iteratorINS9_10device_ptrIiEEEENS9_18transform_iteratorINS9_6negateIiEESE_NS9_11use_defaultESI_EESE_iNS9_4plusIvEENS9_8equal_toIvEEiEE10hipError_tPvRmT2_T3_T4_T5_mT6_T7_P12ihipStream_tbENKUlT_T0_E_clISt17integral_constantIbLb1EES13_IbLb0EEEEDaSZ_S10_EUlSZ_E_NS1_11comp_targetILNS1_3genE8ELNS1_11target_archE1030ELNS1_3gpuE2ELNS1_3repE0EEENS1_30default_config_static_selectorELNS0_4arch9wavefront6targetE1EEEvT1_
; %bb.0:
	.section	.rodata,"a",@progbits
	.p2align	6, 0x0
	.amdhsa_kernel _ZN7rocprim17ROCPRIM_400000_NS6detail17trampoline_kernelINS0_14default_configENS1_27scan_by_key_config_selectorIiiEEZZNS1_16scan_by_key_implILNS1_25lookback_scan_determinismE0ELb0ES3_N6thrust23THRUST_200600_302600_NS6detail15normal_iteratorINS9_10device_ptrIiEEEENS9_18transform_iteratorINS9_6negateIiEESE_NS9_11use_defaultESI_EESE_iNS9_4plusIvEENS9_8equal_toIvEEiEE10hipError_tPvRmT2_T3_T4_T5_mT6_T7_P12ihipStream_tbENKUlT_T0_E_clISt17integral_constantIbLb1EES13_IbLb0EEEEDaSZ_S10_EUlSZ_E_NS1_11comp_targetILNS1_3genE8ELNS1_11target_archE1030ELNS1_3gpuE2ELNS1_3repE0EEENS1_30default_config_static_selectorELNS0_4arch9wavefront6targetE1EEEvT1_
		.amdhsa_group_segment_fixed_size 0
		.amdhsa_private_segment_fixed_size 0
		.amdhsa_kernarg_size 120
		.amdhsa_user_sgpr_count 6
		.amdhsa_user_sgpr_private_segment_buffer 1
		.amdhsa_user_sgpr_dispatch_ptr 0
		.amdhsa_user_sgpr_queue_ptr 0
		.amdhsa_user_sgpr_kernarg_segment_ptr 1
		.amdhsa_user_sgpr_dispatch_id 0
		.amdhsa_user_sgpr_flat_scratch_init 0
		.amdhsa_user_sgpr_kernarg_preload_length 0
		.amdhsa_user_sgpr_kernarg_preload_offset 0
		.amdhsa_user_sgpr_private_segment_size 0
		.amdhsa_uses_dynamic_stack 0
		.amdhsa_system_sgpr_private_segment_wavefront_offset 0
		.amdhsa_system_sgpr_workgroup_id_x 1
		.amdhsa_system_sgpr_workgroup_id_y 0
		.amdhsa_system_sgpr_workgroup_id_z 0
		.amdhsa_system_sgpr_workgroup_info 0
		.amdhsa_system_vgpr_workitem_id 0
		.amdhsa_next_free_vgpr 1
		.amdhsa_next_free_sgpr 0
		.amdhsa_accum_offset 4
		.amdhsa_reserve_vcc 0
		.amdhsa_reserve_flat_scratch 0
		.amdhsa_float_round_mode_32 0
		.amdhsa_float_round_mode_16_64 0
		.amdhsa_float_denorm_mode_32 3
		.amdhsa_float_denorm_mode_16_64 3
		.amdhsa_dx10_clamp 1
		.amdhsa_ieee_mode 1
		.amdhsa_fp16_overflow 0
		.amdhsa_tg_split 0
		.amdhsa_exception_fp_ieee_invalid_op 0
		.amdhsa_exception_fp_denorm_src 0
		.amdhsa_exception_fp_ieee_div_zero 0
		.amdhsa_exception_fp_ieee_overflow 0
		.amdhsa_exception_fp_ieee_underflow 0
		.amdhsa_exception_fp_ieee_inexact 0
		.amdhsa_exception_int_div_zero 0
	.end_amdhsa_kernel
	.section	.text._ZN7rocprim17ROCPRIM_400000_NS6detail17trampoline_kernelINS0_14default_configENS1_27scan_by_key_config_selectorIiiEEZZNS1_16scan_by_key_implILNS1_25lookback_scan_determinismE0ELb0ES3_N6thrust23THRUST_200600_302600_NS6detail15normal_iteratorINS9_10device_ptrIiEEEENS9_18transform_iteratorINS9_6negateIiEESE_NS9_11use_defaultESI_EESE_iNS9_4plusIvEENS9_8equal_toIvEEiEE10hipError_tPvRmT2_T3_T4_T5_mT6_T7_P12ihipStream_tbENKUlT_T0_E_clISt17integral_constantIbLb1EES13_IbLb0EEEEDaSZ_S10_EUlSZ_E_NS1_11comp_targetILNS1_3genE8ELNS1_11target_archE1030ELNS1_3gpuE2ELNS1_3repE0EEENS1_30default_config_static_selectorELNS0_4arch9wavefront6targetE1EEEvT1_,"axG",@progbits,_ZN7rocprim17ROCPRIM_400000_NS6detail17trampoline_kernelINS0_14default_configENS1_27scan_by_key_config_selectorIiiEEZZNS1_16scan_by_key_implILNS1_25lookback_scan_determinismE0ELb0ES3_N6thrust23THRUST_200600_302600_NS6detail15normal_iteratorINS9_10device_ptrIiEEEENS9_18transform_iteratorINS9_6negateIiEESE_NS9_11use_defaultESI_EESE_iNS9_4plusIvEENS9_8equal_toIvEEiEE10hipError_tPvRmT2_T3_T4_T5_mT6_T7_P12ihipStream_tbENKUlT_T0_E_clISt17integral_constantIbLb1EES13_IbLb0EEEEDaSZ_S10_EUlSZ_E_NS1_11comp_targetILNS1_3genE8ELNS1_11target_archE1030ELNS1_3gpuE2ELNS1_3repE0EEENS1_30default_config_static_selectorELNS0_4arch9wavefront6targetE1EEEvT1_,comdat
.Lfunc_end955:
	.size	_ZN7rocprim17ROCPRIM_400000_NS6detail17trampoline_kernelINS0_14default_configENS1_27scan_by_key_config_selectorIiiEEZZNS1_16scan_by_key_implILNS1_25lookback_scan_determinismE0ELb0ES3_N6thrust23THRUST_200600_302600_NS6detail15normal_iteratorINS9_10device_ptrIiEEEENS9_18transform_iteratorINS9_6negateIiEESE_NS9_11use_defaultESI_EESE_iNS9_4plusIvEENS9_8equal_toIvEEiEE10hipError_tPvRmT2_T3_T4_T5_mT6_T7_P12ihipStream_tbENKUlT_T0_E_clISt17integral_constantIbLb1EES13_IbLb0EEEEDaSZ_S10_EUlSZ_E_NS1_11comp_targetILNS1_3genE8ELNS1_11target_archE1030ELNS1_3gpuE2ELNS1_3repE0EEENS1_30default_config_static_selectorELNS0_4arch9wavefront6targetE1EEEvT1_, .Lfunc_end955-_ZN7rocprim17ROCPRIM_400000_NS6detail17trampoline_kernelINS0_14default_configENS1_27scan_by_key_config_selectorIiiEEZZNS1_16scan_by_key_implILNS1_25lookback_scan_determinismE0ELb0ES3_N6thrust23THRUST_200600_302600_NS6detail15normal_iteratorINS9_10device_ptrIiEEEENS9_18transform_iteratorINS9_6negateIiEESE_NS9_11use_defaultESI_EESE_iNS9_4plusIvEENS9_8equal_toIvEEiEE10hipError_tPvRmT2_T3_T4_T5_mT6_T7_P12ihipStream_tbENKUlT_T0_E_clISt17integral_constantIbLb1EES13_IbLb0EEEEDaSZ_S10_EUlSZ_E_NS1_11comp_targetILNS1_3genE8ELNS1_11target_archE1030ELNS1_3gpuE2ELNS1_3repE0EEENS1_30default_config_static_selectorELNS0_4arch9wavefront6targetE1EEEvT1_
                                        ; -- End function
	.section	.AMDGPU.csdata,"",@progbits
; Kernel info:
; codeLenInByte = 0
; NumSgprs: 4
; NumVgprs: 0
; NumAgprs: 0
; TotalNumVgprs: 0
; ScratchSize: 0
; MemoryBound: 0
; FloatMode: 240
; IeeeMode: 1
; LDSByteSize: 0 bytes/workgroup (compile time only)
; SGPRBlocks: 0
; VGPRBlocks: 0
; NumSGPRsForWavesPerEU: 4
; NumVGPRsForWavesPerEU: 1
; AccumOffset: 4
; Occupancy: 8
; WaveLimiterHint : 0
; COMPUTE_PGM_RSRC2:SCRATCH_EN: 0
; COMPUTE_PGM_RSRC2:USER_SGPR: 6
; COMPUTE_PGM_RSRC2:TRAP_HANDLER: 0
; COMPUTE_PGM_RSRC2:TGID_X_EN: 1
; COMPUTE_PGM_RSRC2:TGID_Y_EN: 0
; COMPUTE_PGM_RSRC2:TGID_Z_EN: 0
; COMPUTE_PGM_RSRC2:TIDIG_COMP_CNT: 0
; COMPUTE_PGM_RSRC3_GFX90A:ACCUM_OFFSET: 0
; COMPUTE_PGM_RSRC3_GFX90A:TG_SPLIT: 0
	.section	.text._ZN7rocprim17ROCPRIM_400000_NS6detail17trampoline_kernelINS0_14default_configENS1_27scan_by_key_config_selectorIiiEEZZNS1_16scan_by_key_implILNS1_25lookback_scan_determinismE0ELb0ES3_N6thrust23THRUST_200600_302600_NS6detail15normal_iteratorINS9_10device_ptrIiEEEENS9_18transform_iteratorINS9_6negateIiEESE_NS9_11use_defaultESI_EESE_iNS9_4plusIvEENS9_8equal_toIvEEiEE10hipError_tPvRmT2_T3_T4_T5_mT6_T7_P12ihipStream_tbENKUlT_T0_E_clISt17integral_constantIbLb0EES13_IbLb1EEEEDaSZ_S10_EUlSZ_E_NS1_11comp_targetILNS1_3genE0ELNS1_11target_archE4294967295ELNS1_3gpuE0ELNS1_3repE0EEENS1_30default_config_static_selectorELNS0_4arch9wavefront6targetE1EEEvT1_,"axG",@progbits,_ZN7rocprim17ROCPRIM_400000_NS6detail17trampoline_kernelINS0_14default_configENS1_27scan_by_key_config_selectorIiiEEZZNS1_16scan_by_key_implILNS1_25lookback_scan_determinismE0ELb0ES3_N6thrust23THRUST_200600_302600_NS6detail15normal_iteratorINS9_10device_ptrIiEEEENS9_18transform_iteratorINS9_6negateIiEESE_NS9_11use_defaultESI_EESE_iNS9_4plusIvEENS9_8equal_toIvEEiEE10hipError_tPvRmT2_T3_T4_T5_mT6_T7_P12ihipStream_tbENKUlT_T0_E_clISt17integral_constantIbLb0EES13_IbLb1EEEEDaSZ_S10_EUlSZ_E_NS1_11comp_targetILNS1_3genE0ELNS1_11target_archE4294967295ELNS1_3gpuE0ELNS1_3repE0EEENS1_30default_config_static_selectorELNS0_4arch9wavefront6targetE1EEEvT1_,comdat
	.protected	_ZN7rocprim17ROCPRIM_400000_NS6detail17trampoline_kernelINS0_14default_configENS1_27scan_by_key_config_selectorIiiEEZZNS1_16scan_by_key_implILNS1_25lookback_scan_determinismE0ELb0ES3_N6thrust23THRUST_200600_302600_NS6detail15normal_iteratorINS9_10device_ptrIiEEEENS9_18transform_iteratorINS9_6negateIiEESE_NS9_11use_defaultESI_EESE_iNS9_4plusIvEENS9_8equal_toIvEEiEE10hipError_tPvRmT2_T3_T4_T5_mT6_T7_P12ihipStream_tbENKUlT_T0_E_clISt17integral_constantIbLb0EES13_IbLb1EEEEDaSZ_S10_EUlSZ_E_NS1_11comp_targetILNS1_3genE0ELNS1_11target_archE4294967295ELNS1_3gpuE0ELNS1_3repE0EEENS1_30default_config_static_selectorELNS0_4arch9wavefront6targetE1EEEvT1_ ; -- Begin function _ZN7rocprim17ROCPRIM_400000_NS6detail17trampoline_kernelINS0_14default_configENS1_27scan_by_key_config_selectorIiiEEZZNS1_16scan_by_key_implILNS1_25lookback_scan_determinismE0ELb0ES3_N6thrust23THRUST_200600_302600_NS6detail15normal_iteratorINS9_10device_ptrIiEEEENS9_18transform_iteratorINS9_6negateIiEESE_NS9_11use_defaultESI_EESE_iNS9_4plusIvEENS9_8equal_toIvEEiEE10hipError_tPvRmT2_T3_T4_T5_mT6_T7_P12ihipStream_tbENKUlT_T0_E_clISt17integral_constantIbLb0EES13_IbLb1EEEEDaSZ_S10_EUlSZ_E_NS1_11comp_targetILNS1_3genE0ELNS1_11target_archE4294967295ELNS1_3gpuE0ELNS1_3repE0EEENS1_30default_config_static_selectorELNS0_4arch9wavefront6targetE1EEEvT1_
	.globl	_ZN7rocprim17ROCPRIM_400000_NS6detail17trampoline_kernelINS0_14default_configENS1_27scan_by_key_config_selectorIiiEEZZNS1_16scan_by_key_implILNS1_25lookback_scan_determinismE0ELb0ES3_N6thrust23THRUST_200600_302600_NS6detail15normal_iteratorINS9_10device_ptrIiEEEENS9_18transform_iteratorINS9_6negateIiEESE_NS9_11use_defaultESI_EESE_iNS9_4plusIvEENS9_8equal_toIvEEiEE10hipError_tPvRmT2_T3_T4_T5_mT6_T7_P12ihipStream_tbENKUlT_T0_E_clISt17integral_constantIbLb0EES13_IbLb1EEEEDaSZ_S10_EUlSZ_E_NS1_11comp_targetILNS1_3genE0ELNS1_11target_archE4294967295ELNS1_3gpuE0ELNS1_3repE0EEENS1_30default_config_static_selectorELNS0_4arch9wavefront6targetE1EEEvT1_
	.p2align	8
	.type	_ZN7rocprim17ROCPRIM_400000_NS6detail17trampoline_kernelINS0_14default_configENS1_27scan_by_key_config_selectorIiiEEZZNS1_16scan_by_key_implILNS1_25lookback_scan_determinismE0ELb0ES3_N6thrust23THRUST_200600_302600_NS6detail15normal_iteratorINS9_10device_ptrIiEEEENS9_18transform_iteratorINS9_6negateIiEESE_NS9_11use_defaultESI_EESE_iNS9_4plusIvEENS9_8equal_toIvEEiEE10hipError_tPvRmT2_T3_T4_T5_mT6_T7_P12ihipStream_tbENKUlT_T0_E_clISt17integral_constantIbLb0EES13_IbLb1EEEEDaSZ_S10_EUlSZ_E_NS1_11comp_targetILNS1_3genE0ELNS1_11target_archE4294967295ELNS1_3gpuE0ELNS1_3repE0EEENS1_30default_config_static_selectorELNS0_4arch9wavefront6targetE1EEEvT1_,@function
_ZN7rocprim17ROCPRIM_400000_NS6detail17trampoline_kernelINS0_14default_configENS1_27scan_by_key_config_selectorIiiEEZZNS1_16scan_by_key_implILNS1_25lookback_scan_determinismE0ELb0ES3_N6thrust23THRUST_200600_302600_NS6detail15normal_iteratorINS9_10device_ptrIiEEEENS9_18transform_iteratorINS9_6negateIiEESE_NS9_11use_defaultESI_EESE_iNS9_4plusIvEENS9_8equal_toIvEEiEE10hipError_tPvRmT2_T3_T4_T5_mT6_T7_P12ihipStream_tbENKUlT_T0_E_clISt17integral_constantIbLb0EES13_IbLb1EEEEDaSZ_S10_EUlSZ_E_NS1_11comp_targetILNS1_3genE0ELNS1_11target_archE4294967295ELNS1_3gpuE0ELNS1_3repE0EEENS1_30default_config_static_selectorELNS0_4arch9wavefront6targetE1EEEvT1_: ; @_ZN7rocprim17ROCPRIM_400000_NS6detail17trampoline_kernelINS0_14default_configENS1_27scan_by_key_config_selectorIiiEEZZNS1_16scan_by_key_implILNS1_25lookback_scan_determinismE0ELb0ES3_N6thrust23THRUST_200600_302600_NS6detail15normal_iteratorINS9_10device_ptrIiEEEENS9_18transform_iteratorINS9_6negateIiEESE_NS9_11use_defaultESI_EESE_iNS9_4plusIvEENS9_8equal_toIvEEiEE10hipError_tPvRmT2_T3_T4_T5_mT6_T7_P12ihipStream_tbENKUlT_T0_E_clISt17integral_constantIbLb0EES13_IbLb1EEEEDaSZ_S10_EUlSZ_E_NS1_11comp_targetILNS1_3genE0ELNS1_11target_archE4294967295ELNS1_3gpuE0ELNS1_3repE0EEENS1_30default_config_static_selectorELNS0_4arch9wavefront6targetE1EEEvT1_
; %bb.0:
	.section	.rodata,"a",@progbits
	.p2align	6, 0x0
	.amdhsa_kernel _ZN7rocprim17ROCPRIM_400000_NS6detail17trampoline_kernelINS0_14default_configENS1_27scan_by_key_config_selectorIiiEEZZNS1_16scan_by_key_implILNS1_25lookback_scan_determinismE0ELb0ES3_N6thrust23THRUST_200600_302600_NS6detail15normal_iteratorINS9_10device_ptrIiEEEENS9_18transform_iteratorINS9_6negateIiEESE_NS9_11use_defaultESI_EESE_iNS9_4plusIvEENS9_8equal_toIvEEiEE10hipError_tPvRmT2_T3_T4_T5_mT6_T7_P12ihipStream_tbENKUlT_T0_E_clISt17integral_constantIbLb0EES13_IbLb1EEEEDaSZ_S10_EUlSZ_E_NS1_11comp_targetILNS1_3genE0ELNS1_11target_archE4294967295ELNS1_3gpuE0ELNS1_3repE0EEENS1_30default_config_static_selectorELNS0_4arch9wavefront6targetE1EEEvT1_
		.amdhsa_group_segment_fixed_size 0
		.amdhsa_private_segment_fixed_size 0
		.amdhsa_kernarg_size 120
		.amdhsa_user_sgpr_count 6
		.amdhsa_user_sgpr_private_segment_buffer 1
		.amdhsa_user_sgpr_dispatch_ptr 0
		.amdhsa_user_sgpr_queue_ptr 0
		.amdhsa_user_sgpr_kernarg_segment_ptr 1
		.amdhsa_user_sgpr_dispatch_id 0
		.amdhsa_user_sgpr_flat_scratch_init 0
		.amdhsa_user_sgpr_kernarg_preload_length 0
		.amdhsa_user_sgpr_kernarg_preload_offset 0
		.amdhsa_user_sgpr_private_segment_size 0
		.amdhsa_uses_dynamic_stack 0
		.amdhsa_system_sgpr_private_segment_wavefront_offset 0
		.amdhsa_system_sgpr_workgroup_id_x 1
		.amdhsa_system_sgpr_workgroup_id_y 0
		.amdhsa_system_sgpr_workgroup_id_z 0
		.amdhsa_system_sgpr_workgroup_info 0
		.amdhsa_system_vgpr_workitem_id 0
		.amdhsa_next_free_vgpr 1
		.amdhsa_next_free_sgpr 0
		.amdhsa_accum_offset 4
		.amdhsa_reserve_vcc 0
		.amdhsa_reserve_flat_scratch 0
		.amdhsa_float_round_mode_32 0
		.amdhsa_float_round_mode_16_64 0
		.amdhsa_float_denorm_mode_32 3
		.amdhsa_float_denorm_mode_16_64 3
		.amdhsa_dx10_clamp 1
		.amdhsa_ieee_mode 1
		.amdhsa_fp16_overflow 0
		.amdhsa_tg_split 0
		.amdhsa_exception_fp_ieee_invalid_op 0
		.amdhsa_exception_fp_denorm_src 0
		.amdhsa_exception_fp_ieee_div_zero 0
		.amdhsa_exception_fp_ieee_overflow 0
		.amdhsa_exception_fp_ieee_underflow 0
		.amdhsa_exception_fp_ieee_inexact 0
		.amdhsa_exception_int_div_zero 0
	.end_amdhsa_kernel
	.section	.text._ZN7rocprim17ROCPRIM_400000_NS6detail17trampoline_kernelINS0_14default_configENS1_27scan_by_key_config_selectorIiiEEZZNS1_16scan_by_key_implILNS1_25lookback_scan_determinismE0ELb0ES3_N6thrust23THRUST_200600_302600_NS6detail15normal_iteratorINS9_10device_ptrIiEEEENS9_18transform_iteratorINS9_6negateIiEESE_NS9_11use_defaultESI_EESE_iNS9_4plusIvEENS9_8equal_toIvEEiEE10hipError_tPvRmT2_T3_T4_T5_mT6_T7_P12ihipStream_tbENKUlT_T0_E_clISt17integral_constantIbLb0EES13_IbLb1EEEEDaSZ_S10_EUlSZ_E_NS1_11comp_targetILNS1_3genE0ELNS1_11target_archE4294967295ELNS1_3gpuE0ELNS1_3repE0EEENS1_30default_config_static_selectorELNS0_4arch9wavefront6targetE1EEEvT1_,"axG",@progbits,_ZN7rocprim17ROCPRIM_400000_NS6detail17trampoline_kernelINS0_14default_configENS1_27scan_by_key_config_selectorIiiEEZZNS1_16scan_by_key_implILNS1_25lookback_scan_determinismE0ELb0ES3_N6thrust23THRUST_200600_302600_NS6detail15normal_iteratorINS9_10device_ptrIiEEEENS9_18transform_iteratorINS9_6negateIiEESE_NS9_11use_defaultESI_EESE_iNS9_4plusIvEENS9_8equal_toIvEEiEE10hipError_tPvRmT2_T3_T4_T5_mT6_T7_P12ihipStream_tbENKUlT_T0_E_clISt17integral_constantIbLb0EES13_IbLb1EEEEDaSZ_S10_EUlSZ_E_NS1_11comp_targetILNS1_3genE0ELNS1_11target_archE4294967295ELNS1_3gpuE0ELNS1_3repE0EEENS1_30default_config_static_selectorELNS0_4arch9wavefront6targetE1EEEvT1_,comdat
.Lfunc_end956:
	.size	_ZN7rocprim17ROCPRIM_400000_NS6detail17trampoline_kernelINS0_14default_configENS1_27scan_by_key_config_selectorIiiEEZZNS1_16scan_by_key_implILNS1_25lookback_scan_determinismE0ELb0ES3_N6thrust23THRUST_200600_302600_NS6detail15normal_iteratorINS9_10device_ptrIiEEEENS9_18transform_iteratorINS9_6negateIiEESE_NS9_11use_defaultESI_EESE_iNS9_4plusIvEENS9_8equal_toIvEEiEE10hipError_tPvRmT2_T3_T4_T5_mT6_T7_P12ihipStream_tbENKUlT_T0_E_clISt17integral_constantIbLb0EES13_IbLb1EEEEDaSZ_S10_EUlSZ_E_NS1_11comp_targetILNS1_3genE0ELNS1_11target_archE4294967295ELNS1_3gpuE0ELNS1_3repE0EEENS1_30default_config_static_selectorELNS0_4arch9wavefront6targetE1EEEvT1_, .Lfunc_end956-_ZN7rocprim17ROCPRIM_400000_NS6detail17trampoline_kernelINS0_14default_configENS1_27scan_by_key_config_selectorIiiEEZZNS1_16scan_by_key_implILNS1_25lookback_scan_determinismE0ELb0ES3_N6thrust23THRUST_200600_302600_NS6detail15normal_iteratorINS9_10device_ptrIiEEEENS9_18transform_iteratorINS9_6negateIiEESE_NS9_11use_defaultESI_EESE_iNS9_4plusIvEENS9_8equal_toIvEEiEE10hipError_tPvRmT2_T3_T4_T5_mT6_T7_P12ihipStream_tbENKUlT_T0_E_clISt17integral_constantIbLb0EES13_IbLb1EEEEDaSZ_S10_EUlSZ_E_NS1_11comp_targetILNS1_3genE0ELNS1_11target_archE4294967295ELNS1_3gpuE0ELNS1_3repE0EEENS1_30default_config_static_selectorELNS0_4arch9wavefront6targetE1EEEvT1_
                                        ; -- End function
	.section	.AMDGPU.csdata,"",@progbits
; Kernel info:
; codeLenInByte = 0
; NumSgprs: 4
; NumVgprs: 0
; NumAgprs: 0
; TotalNumVgprs: 0
; ScratchSize: 0
; MemoryBound: 0
; FloatMode: 240
; IeeeMode: 1
; LDSByteSize: 0 bytes/workgroup (compile time only)
; SGPRBlocks: 0
; VGPRBlocks: 0
; NumSGPRsForWavesPerEU: 4
; NumVGPRsForWavesPerEU: 1
; AccumOffset: 4
; Occupancy: 8
; WaveLimiterHint : 0
; COMPUTE_PGM_RSRC2:SCRATCH_EN: 0
; COMPUTE_PGM_RSRC2:USER_SGPR: 6
; COMPUTE_PGM_RSRC2:TRAP_HANDLER: 0
; COMPUTE_PGM_RSRC2:TGID_X_EN: 1
; COMPUTE_PGM_RSRC2:TGID_Y_EN: 0
; COMPUTE_PGM_RSRC2:TGID_Z_EN: 0
; COMPUTE_PGM_RSRC2:TIDIG_COMP_CNT: 0
; COMPUTE_PGM_RSRC3_GFX90A:ACCUM_OFFSET: 0
; COMPUTE_PGM_RSRC3_GFX90A:TG_SPLIT: 0
	.section	.text._ZN7rocprim17ROCPRIM_400000_NS6detail17trampoline_kernelINS0_14default_configENS1_27scan_by_key_config_selectorIiiEEZZNS1_16scan_by_key_implILNS1_25lookback_scan_determinismE0ELb0ES3_N6thrust23THRUST_200600_302600_NS6detail15normal_iteratorINS9_10device_ptrIiEEEENS9_18transform_iteratorINS9_6negateIiEESE_NS9_11use_defaultESI_EESE_iNS9_4plusIvEENS9_8equal_toIvEEiEE10hipError_tPvRmT2_T3_T4_T5_mT6_T7_P12ihipStream_tbENKUlT_T0_E_clISt17integral_constantIbLb0EES13_IbLb1EEEEDaSZ_S10_EUlSZ_E_NS1_11comp_targetILNS1_3genE10ELNS1_11target_archE1201ELNS1_3gpuE5ELNS1_3repE0EEENS1_30default_config_static_selectorELNS0_4arch9wavefront6targetE1EEEvT1_,"axG",@progbits,_ZN7rocprim17ROCPRIM_400000_NS6detail17trampoline_kernelINS0_14default_configENS1_27scan_by_key_config_selectorIiiEEZZNS1_16scan_by_key_implILNS1_25lookback_scan_determinismE0ELb0ES3_N6thrust23THRUST_200600_302600_NS6detail15normal_iteratorINS9_10device_ptrIiEEEENS9_18transform_iteratorINS9_6negateIiEESE_NS9_11use_defaultESI_EESE_iNS9_4plusIvEENS9_8equal_toIvEEiEE10hipError_tPvRmT2_T3_T4_T5_mT6_T7_P12ihipStream_tbENKUlT_T0_E_clISt17integral_constantIbLb0EES13_IbLb1EEEEDaSZ_S10_EUlSZ_E_NS1_11comp_targetILNS1_3genE10ELNS1_11target_archE1201ELNS1_3gpuE5ELNS1_3repE0EEENS1_30default_config_static_selectorELNS0_4arch9wavefront6targetE1EEEvT1_,comdat
	.protected	_ZN7rocprim17ROCPRIM_400000_NS6detail17trampoline_kernelINS0_14default_configENS1_27scan_by_key_config_selectorIiiEEZZNS1_16scan_by_key_implILNS1_25lookback_scan_determinismE0ELb0ES3_N6thrust23THRUST_200600_302600_NS6detail15normal_iteratorINS9_10device_ptrIiEEEENS9_18transform_iteratorINS9_6negateIiEESE_NS9_11use_defaultESI_EESE_iNS9_4plusIvEENS9_8equal_toIvEEiEE10hipError_tPvRmT2_T3_T4_T5_mT6_T7_P12ihipStream_tbENKUlT_T0_E_clISt17integral_constantIbLb0EES13_IbLb1EEEEDaSZ_S10_EUlSZ_E_NS1_11comp_targetILNS1_3genE10ELNS1_11target_archE1201ELNS1_3gpuE5ELNS1_3repE0EEENS1_30default_config_static_selectorELNS0_4arch9wavefront6targetE1EEEvT1_ ; -- Begin function _ZN7rocprim17ROCPRIM_400000_NS6detail17trampoline_kernelINS0_14default_configENS1_27scan_by_key_config_selectorIiiEEZZNS1_16scan_by_key_implILNS1_25lookback_scan_determinismE0ELb0ES3_N6thrust23THRUST_200600_302600_NS6detail15normal_iteratorINS9_10device_ptrIiEEEENS9_18transform_iteratorINS9_6negateIiEESE_NS9_11use_defaultESI_EESE_iNS9_4plusIvEENS9_8equal_toIvEEiEE10hipError_tPvRmT2_T3_T4_T5_mT6_T7_P12ihipStream_tbENKUlT_T0_E_clISt17integral_constantIbLb0EES13_IbLb1EEEEDaSZ_S10_EUlSZ_E_NS1_11comp_targetILNS1_3genE10ELNS1_11target_archE1201ELNS1_3gpuE5ELNS1_3repE0EEENS1_30default_config_static_selectorELNS0_4arch9wavefront6targetE1EEEvT1_
	.globl	_ZN7rocprim17ROCPRIM_400000_NS6detail17trampoline_kernelINS0_14default_configENS1_27scan_by_key_config_selectorIiiEEZZNS1_16scan_by_key_implILNS1_25lookback_scan_determinismE0ELb0ES3_N6thrust23THRUST_200600_302600_NS6detail15normal_iteratorINS9_10device_ptrIiEEEENS9_18transform_iteratorINS9_6negateIiEESE_NS9_11use_defaultESI_EESE_iNS9_4plusIvEENS9_8equal_toIvEEiEE10hipError_tPvRmT2_T3_T4_T5_mT6_T7_P12ihipStream_tbENKUlT_T0_E_clISt17integral_constantIbLb0EES13_IbLb1EEEEDaSZ_S10_EUlSZ_E_NS1_11comp_targetILNS1_3genE10ELNS1_11target_archE1201ELNS1_3gpuE5ELNS1_3repE0EEENS1_30default_config_static_selectorELNS0_4arch9wavefront6targetE1EEEvT1_
	.p2align	8
	.type	_ZN7rocprim17ROCPRIM_400000_NS6detail17trampoline_kernelINS0_14default_configENS1_27scan_by_key_config_selectorIiiEEZZNS1_16scan_by_key_implILNS1_25lookback_scan_determinismE0ELb0ES3_N6thrust23THRUST_200600_302600_NS6detail15normal_iteratorINS9_10device_ptrIiEEEENS9_18transform_iteratorINS9_6negateIiEESE_NS9_11use_defaultESI_EESE_iNS9_4plusIvEENS9_8equal_toIvEEiEE10hipError_tPvRmT2_T3_T4_T5_mT6_T7_P12ihipStream_tbENKUlT_T0_E_clISt17integral_constantIbLb0EES13_IbLb1EEEEDaSZ_S10_EUlSZ_E_NS1_11comp_targetILNS1_3genE10ELNS1_11target_archE1201ELNS1_3gpuE5ELNS1_3repE0EEENS1_30default_config_static_selectorELNS0_4arch9wavefront6targetE1EEEvT1_,@function
_ZN7rocprim17ROCPRIM_400000_NS6detail17trampoline_kernelINS0_14default_configENS1_27scan_by_key_config_selectorIiiEEZZNS1_16scan_by_key_implILNS1_25lookback_scan_determinismE0ELb0ES3_N6thrust23THRUST_200600_302600_NS6detail15normal_iteratorINS9_10device_ptrIiEEEENS9_18transform_iteratorINS9_6negateIiEESE_NS9_11use_defaultESI_EESE_iNS9_4plusIvEENS9_8equal_toIvEEiEE10hipError_tPvRmT2_T3_T4_T5_mT6_T7_P12ihipStream_tbENKUlT_T0_E_clISt17integral_constantIbLb0EES13_IbLb1EEEEDaSZ_S10_EUlSZ_E_NS1_11comp_targetILNS1_3genE10ELNS1_11target_archE1201ELNS1_3gpuE5ELNS1_3repE0EEENS1_30default_config_static_selectorELNS0_4arch9wavefront6targetE1EEEvT1_: ; @_ZN7rocprim17ROCPRIM_400000_NS6detail17trampoline_kernelINS0_14default_configENS1_27scan_by_key_config_selectorIiiEEZZNS1_16scan_by_key_implILNS1_25lookback_scan_determinismE0ELb0ES3_N6thrust23THRUST_200600_302600_NS6detail15normal_iteratorINS9_10device_ptrIiEEEENS9_18transform_iteratorINS9_6negateIiEESE_NS9_11use_defaultESI_EESE_iNS9_4plusIvEENS9_8equal_toIvEEiEE10hipError_tPvRmT2_T3_T4_T5_mT6_T7_P12ihipStream_tbENKUlT_T0_E_clISt17integral_constantIbLb0EES13_IbLb1EEEEDaSZ_S10_EUlSZ_E_NS1_11comp_targetILNS1_3genE10ELNS1_11target_archE1201ELNS1_3gpuE5ELNS1_3repE0EEENS1_30default_config_static_selectorELNS0_4arch9wavefront6targetE1EEEvT1_
; %bb.0:
	.section	.rodata,"a",@progbits
	.p2align	6, 0x0
	.amdhsa_kernel _ZN7rocprim17ROCPRIM_400000_NS6detail17trampoline_kernelINS0_14default_configENS1_27scan_by_key_config_selectorIiiEEZZNS1_16scan_by_key_implILNS1_25lookback_scan_determinismE0ELb0ES3_N6thrust23THRUST_200600_302600_NS6detail15normal_iteratorINS9_10device_ptrIiEEEENS9_18transform_iteratorINS9_6negateIiEESE_NS9_11use_defaultESI_EESE_iNS9_4plusIvEENS9_8equal_toIvEEiEE10hipError_tPvRmT2_T3_T4_T5_mT6_T7_P12ihipStream_tbENKUlT_T0_E_clISt17integral_constantIbLb0EES13_IbLb1EEEEDaSZ_S10_EUlSZ_E_NS1_11comp_targetILNS1_3genE10ELNS1_11target_archE1201ELNS1_3gpuE5ELNS1_3repE0EEENS1_30default_config_static_selectorELNS0_4arch9wavefront6targetE1EEEvT1_
		.amdhsa_group_segment_fixed_size 0
		.amdhsa_private_segment_fixed_size 0
		.amdhsa_kernarg_size 120
		.amdhsa_user_sgpr_count 6
		.amdhsa_user_sgpr_private_segment_buffer 1
		.amdhsa_user_sgpr_dispatch_ptr 0
		.amdhsa_user_sgpr_queue_ptr 0
		.amdhsa_user_sgpr_kernarg_segment_ptr 1
		.amdhsa_user_sgpr_dispatch_id 0
		.amdhsa_user_sgpr_flat_scratch_init 0
		.amdhsa_user_sgpr_kernarg_preload_length 0
		.amdhsa_user_sgpr_kernarg_preload_offset 0
		.amdhsa_user_sgpr_private_segment_size 0
		.amdhsa_uses_dynamic_stack 0
		.amdhsa_system_sgpr_private_segment_wavefront_offset 0
		.amdhsa_system_sgpr_workgroup_id_x 1
		.amdhsa_system_sgpr_workgroup_id_y 0
		.amdhsa_system_sgpr_workgroup_id_z 0
		.amdhsa_system_sgpr_workgroup_info 0
		.amdhsa_system_vgpr_workitem_id 0
		.amdhsa_next_free_vgpr 1
		.amdhsa_next_free_sgpr 0
		.amdhsa_accum_offset 4
		.amdhsa_reserve_vcc 0
		.amdhsa_reserve_flat_scratch 0
		.amdhsa_float_round_mode_32 0
		.amdhsa_float_round_mode_16_64 0
		.amdhsa_float_denorm_mode_32 3
		.amdhsa_float_denorm_mode_16_64 3
		.amdhsa_dx10_clamp 1
		.amdhsa_ieee_mode 1
		.amdhsa_fp16_overflow 0
		.amdhsa_tg_split 0
		.amdhsa_exception_fp_ieee_invalid_op 0
		.amdhsa_exception_fp_denorm_src 0
		.amdhsa_exception_fp_ieee_div_zero 0
		.amdhsa_exception_fp_ieee_overflow 0
		.amdhsa_exception_fp_ieee_underflow 0
		.amdhsa_exception_fp_ieee_inexact 0
		.amdhsa_exception_int_div_zero 0
	.end_amdhsa_kernel
	.section	.text._ZN7rocprim17ROCPRIM_400000_NS6detail17trampoline_kernelINS0_14default_configENS1_27scan_by_key_config_selectorIiiEEZZNS1_16scan_by_key_implILNS1_25lookback_scan_determinismE0ELb0ES3_N6thrust23THRUST_200600_302600_NS6detail15normal_iteratorINS9_10device_ptrIiEEEENS9_18transform_iteratorINS9_6negateIiEESE_NS9_11use_defaultESI_EESE_iNS9_4plusIvEENS9_8equal_toIvEEiEE10hipError_tPvRmT2_T3_T4_T5_mT6_T7_P12ihipStream_tbENKUlT_T0_E_clISt17integral_constantIbLb0EES13_IbLb1EEEEDaSZ_S10_EUlSZ_E_NS1_11comp_targetILNS1_3genE10ELNS1_11target_archE1201ELNS1_3gpuE5ELNS1_3repE0EEENS1_30default_config_static_selectorELNS0_4arch9wavefront6targetE1EEEvT1_,"axG",@progbits,_ZN7rocprim17ROCPRIM_400000_NS6detail17trampoline_kernelINS0_14default_configENS1_27scan_by_key_config_selectorIiiEEZZNS1_16scan_by_key_implILNS1_25lookback_scan_determinismE0ELb0ES3_N6thrust23THRUST_200600_302600_NS6detail15normal_iteratorINS9_10device_ptrIiEEEENS9_18transform_iteratorINS9_6negateIiEESE_NS9_11use_defaultESI_EESE_iNS9_4plusIvEENS9_8equal_toIvEEiEE10hipError_tPvRmT2_T3_T4_T5_mT6_T7_P12ihipStream_tbENKUlT_T0_E_clISt17integral_constantIbLb0EES13_IbLb1EEEEDaSZ_S10_EUlSZ_E_NS1_11comp_targetILNS1_3genE10ELNS1_11target_archE1201ELNS1_3gpuE5ELNS1_3repE0EEENS1_30default_config_static_selectorELNS0_4arch9wavefront6targetE1EEEvT1_,comdat
.Lfunc_end957:
	.size	_ZN7rocprim17ROCPRIM_400000_NS6detail17trampoline_kernelINS0_14default_configENS1_27scan_by_key_config_selectorIiiEEZZNS1_16scan_by_key_implILNS1_25lookback_scan_determinismE0ELb0ES3_N6thrust23THRUST_200600_302600_NS6detail15normal_iteratorINS9_10device_ptrIiEEEENS9_18transform_iteratorINS9_6negateIiEESE_NS9_11use_defaultESI_EESE_iNS9_4plusIvEENS9_8equal_toIvEEiEE10hipError_tPvRmT2_T3_T4_T5_mT6_T7_P12ihipStream_tbENKUlT_T0_E_clISt17integral_constantIbLb0EES13_IbLb1EEEEDaSZ_S10_EUlSZ_E_NS1_11comp_targetILNS1_3genE10ELNS1_11target_archE1201ELNS1_3gpuE5ELNS1_3repE0EEENS1_30default_config_static_selectorELNS0_4arch9wavefront6targetE1EEEvT1_, .Lfunc_end957-_ZN7rocprim17ROCPRIM_400000_NS6detail17trampoline_kernelINS0_14default_configENS1_27scan_by_key_config_selectorIiiEEZZNS1_16scan_by_key_implILNS1_25lookback_scan_determinismE0ELb0ES3_N6thrust23THRUST_200600_302600_NS6detail15normal_iteratorINS9_10device_ptrIiEEEENS9_18transform_iteratorINS9_6negateIiEESE_NS9_11use_defaultESI_EESE_iNS9_4plusIvEENS9_8equal_toIvEEiEE10hipError_tPvRmT2_T3_T4_T5_mT6_T7_P12ihipStream_tbENKUlT_T0_E_clISt17integral_constantIbLb0EES13_IbLb1EEEEDaSZ_S10_EUlSZ_E_NS1_11comp_targetILNS1_3genE10ELNS1_11target_archE1201ELNS1_3gpuE5ELNS1_3repE0EEENS1_30default_config_static_selectorELNS0_4arch9wavefront6targetE1EEEvT1_
                                        ; -- End function
	.section	.AMDGPU.csdata,"",@progbits
; Kernel info:
; codeLenInByte = 0
; NumSgprs: 4
; NumVgprs: 0
; NumAgprs: 0
; TotalNumVgprs: 0
; ScratchSize: 0
; MemoryBound: 0
; FloatMode: 240
; IeeeMode: 1
; LDSByteSize: 0 bytes/workgroup (compile time only)
; SGPRBlocks: 0
; VGPRBlocks: 0
; NumSGPRsForWavesPerEU: 4
; NumVGPRsForWavesPerEU: 1
; AccumOffset: 4
; Occupancy: 8
; WaveLimiterHint : 0
; COMPUTE_PGM_RSRC2:SCRATCH_EN: 0
; COMPUTE_PGM_RSRC2:USER_SGPR: 6
; COMPUTE_PGM_RSRC2:TRAP_HANDLER: 0
; COMPUTE_PGM_RSRC2:TGID_X_EN: 1
; COMPUTE_PGM_RSRC2:TGID_Y_EN: 0
; COMPUTE_PGM_RSRC2:TGID_Z_EN: 0
; COMPUTE_PGM_RSRC2:TIDIG_COMP_CNT: 0
; COMPUTE_PGM_RSRC3_GFX90A:ACCUM_OFFSET: 0
; COMPUTE_PGM_RSRC3_GFX90A:TG_SPLIT: 0
	.section	.text._ZN7rocprim17ROCPRIM_400000_NS6detail17trampoline_kernelINS0_14default_configENS1_27scan_by_key_config_selectorIiiEEZZNS1_16scan_by_key_implILNS1_25lookback_scan_determinismE0ELb0ES3_N6thrust23THRUST_200600_302600_NS6detail15normal_iteratorINS9_10device_ptrIiEEEENS9_18transform_iteratorINS9_6negateIiEESE_NS9_11use_defaultESI_EESE_iNS9_4plusIvEENS9_8equal_toIvEEiEE10hipError_tPvRmT2_T3_T4_T5_mT6_T7_P12ihipStream_tbENKUlT_T0_E_clISt17integral_constantIbLb0EES13_IbLb1EEEEDaSZ_S10_EUlSZ_E_NS1_11comp_targetILNS1_3genE5ELNS1_11target_archE942ELNS1_3gpuE9ELNS1_3repE0EEENS1_30default_config_static_selectorELNS0_4arch9wavefront6targetE1EEEvT1_,"axG",@progbits,_ZN7rocprim17ROCPRIM_400000_NS6detail17trampoline_kernelINS0_14default_configENS1_27scan_by_key_config_selectorIiiEEZZNS1_16scan_by_key_implILNS1_25lookback_scan_determinismE0ELb0ES3_N6thrust23THRUST_200600_302600_NS6detail15normal_iteratorINS9_10device_ptrIiEEEENS9_18transform_iteratorINS9_6negateIiEESE_NS9_11use_defaultESI_EESE_iNS9_4plusIvEENS9_8equal_toIvEEiEE10hipError_tPvRmT2_T3_T4_T5_mT6_T7_P12ihipStream_tbENKUlT_T0_E_clISt17integral_constantIbLb0EES13_IbLb1EEEEDaSZ_S10_EUlSZ_E_NS1_11comp_targetILNS1_3genE5ELNS1_11target_archE942ELNS1_3gpuE9ELNS1_3repE0EEENS1_30default_config_static_selectorELNS0_4arch9wavefront6targetE1EEEvT1_,comdat
	.protected	_ZN7rocprim17ROCPRIM_400000_NS6detail17trampoline_kernelINS0_14default_configENS1_27scan_by_key_config_selectorIiiEEZZNS1_16scan_by_key_implILNS1_25lookback_scan_determinismE0ELb0ES3_N6thrust23THRUST_200600_302600_NS6detail15normal_iteratorINS9_10device_ptrIiEEEENS9_18transform_iteratorINS9_6negateIiEESE_NS9_11use_defaultESI_EESE_iNS9_4plusIvEENS9_8equal_toIvEEiEE10hipError_tPvRmT2_T3_T4_T5_mT6_T7_P12ihipStream_tbENKUlT_T0_E_clISt17integral_constantIbLb0EES13_IbLb1EEEEDaSZ_S10_EUlSZ_E_NS1_11comp_targetILNS1_3genE5ELNS1_11target_archE942ELNS1_3gpuE9ELNS1_3repE0EEENS1_30default_config_static_selectorELNS0_4arch9wavefront6targetE1EEEvT1_ ; -- Begin function _ZN7rocprim17ROCPRIM_400000_NS6detail17trampoline_kernelINS0_14default_configENS1_27scan_by_key_config_selectorIiiEEZZNS1_16scan_by_key_implILNS1_25lookback_scan_determinismE0ELb0ES3_N6thrust23THRUST_200600_302600_NS6detail15normal_iteratorINS9_10device_ptrIiEEEENS9_18transform_iteratorINS9_6negateIiEESE_NS9_11use_defaultESI_EESE_iNS9_4plusIvEENS9_8equal_toIvEEiEE10hipError_tPvRmT2_T3_T4_T5_mT6_T7_P12ihipStream_tbENKUlT_T0_E_clISt17integral_constantIbLb0EES13_IbLb1EEEEDaSZ_S10_EUlSZ_E_NS1_11comp_targetILNS1_3genE5ELNS1_11target_archE942ELNS1_3gpuE9ELNS1_3repE0EEENS1_30default_config_static_selectorELNS0_4arch9wavefront6targetE1EEEvT1_
	.globl	_ZN7rocprim17ROCPRIM_400000_NS6detail17trampoline_kernelINS0_14default_configENS1_27scan_by_key_config_selectorIiiEEZZNS1_16scan_by_key_implILNS1_25lookback_scan_determinismE0ELb0ES3_N6thrust23THRUST_200600_302600_NS6detail15normal_iteratorINS9_10device_ptrIiEEEENS9_18transform_iteratorINS9_6negateIiEESE_NS9_11use_defaultESI_EESE_iNS9_4plusIvEENS9_8equal_toIvEEiEE10hipError_tPvRmT2_T3_T4_T5_mT6_T7_P12ihipStream_tbENKUlT_T0_E_clISt17integral_constantIbLb0EES13_IbLb1EEEEDaSZ_S10_EUlSZ_E_NS1_11comp_targetILNS1_3genE5ELNS1_11target_archE942ELNS1_3gpuE9ELNS1_3repE0EEENS1_30default_config_static_selectorELNS0_4arch9wavefront6targetE1EEEvT1_
	.p2align	8
	.type	_ZN7rocprim17ROCPRIM_400000_NS6detail17trampoline_kernelINS0_14default_configENS1_27scan_by_key_config_selectorIiiEEZZNS1_16scan_by_key_implILNS1_25lookback_scan_determinismE0ELb0ES3_N6thrust23THRUST_200600_302600_NS6detail15normal_iteratorINS9_10device_ptrIiEEEENS9_18transform_iteratorINS9_6negateIiEESE_NS9_11use_defaultESI_EESE_iNS9_4plusIvEENS9_8equal_toIvEEiEE10hipError_tPvRmT2_T3_T4_T5_mT6_T7_P12ihipStream_tbENKUlT_T0_E_clISt17integral_constantIbLb0EES13_IbLb1EEEEDaSZ_S10_EUlSZ_E_NS1_11comp_targetILNS1_3genE5ELNS1_11target_archE942ELNS1_3gpuE9ELNS1_3repE0EEENS1_30default_config_static_selectorELNS0_4arch9wavefront6targetE1EEEvT1_,@function
_ZN7rocprim17ROCPRIM_400000_NS6detail17trampoline_kernelINS0_14default_configENS1_27scan_by_key_config_selectorIiiEEZZNS1_16scan_by_key_implILNS1_25lookback_scan_determinismE0ELb0ES3_N6thrust23THRUST_200600_302600_NS6detail15normal_iteratorINS9_10device_ptrIiEEEENS9_18transform_iteratorINS9_6negateIiEESE_NS9_11use_defaultESI_EESE_iNS9_4plusIvEENS9_8equal_toIvEEiEE10hipError_tPvRmT2_T3_T4_T5_mT6_T7_P12ihipStream_tbENKUlT_T0_E_clISt17integral_constantIbLb0EES13_IbLb1EEEEDaSZ_S10_EUlSZ_E_NS1_11comp_targetILNS1_3genE5ELNS1_11target_archE942ELNS1_3gpuE9ELNS1_3repE0EEENS1_30default_config_static_selectorELNS0_4arch9wavefront6targetE1EEEvT1_: ; @_ZN7rocprim17ROCPRIM_400000_NS6detail17trampoline_kernelINS0_14default_configENS1_27scan_by_key_config_selectorIiiEEZZNS1_16scan_by_key_implILNS1_25lookback_scan_determinismE0ELb0ES3_N6thrust23THRUST_200600_302600_NS6detail15normal_iteratorINS9_10device_ptrIiEEEENS9_18transform_iteratorINS9_6negateIiEESE_NS9_11use_defaultESI_EESE_iNS9_4plusIvEENS9_8equal_toIvEEiEE10hipError_tPvRmT2_T3_T4_T5_mT6_T7_P12ihipStream_tbENKUlT_T0_E_clISt17integral_constantIbLb0EES13_IbLb1EEEEDaSZ_S10_EUlSZ_E_NS1_11comp_targetILNS1_3genE5ELNS1_11target_archE942ELNS1_3gpuE9ELNS1_3repE0EEENS1_30default_config_static_selectorELNS0_4arch9wavefront6targetE1EEEvT1_
; %bb.0:
	.section	.rodata,"a",@progbits
	.p2align	6, 0x0
	.amdhsa_kernel _ZN7rocprim17ROCPRIM_400000_NS6detail17trampoline_kernelINS0_14default_configENS1_27scan_by_key_config_selectorIiiEEZZNS1_16scan_by_key_implILNS1_25lookback_scan_determinismE0ELb0ES3_N6thrust23THRUST_200600_302600_NS6detail15normal_iteratorINS9_10device_ptrIiEEEENS9_18transform_iteratorINS9_6negateIiEESE_NS9_11use_defaultESI_EESE_iNS9_4plusIvEENS9_8equal_toIvEEiEE10hipError_tPvRmT2_T3_T4_T5_mT6_T7_P12ihipStream_tbENKUlT_T0_E_clISt17integral_constantIbLb0EES13_IbLb1EEEEDaSZ_S10_EUlSZ_E_NS1_11comp_targetILNS1_3genE5ELNS1_11target_archE942ELNS1_3gpuE9ELNS1_3repE0EEENS1_30default_config_static_selectorELNS0_4arch9wavefront6targetE1EEEvT1_
		.amdhsa_group_segment_fixed_size 0
		.amdhsa_private_segment_fixed_size 0
		.amdhsa_kernarg_size 120
		.amdhsa_user_sgpr_count 6
		.amdhsa_user_sgpr_private_segment_buffer 1
		.amdhsa_user_sgpr_dispatch_ptr 0
		.amdhsa_user_sgpr_queue_ptr 0
		.amdhsa_user_sgpr_kernarg_segment_ptr 1
		.amdhsa_user_sgpr_dispatch_id 0
		.amdhsa_user_sgpr_flat_scratch_init 0
		.amdhsa_user_sgpr_kernarg_preload_length 0
		.amdhsa_user_sgpr_kernarg_preload_offset 0
		.amdhsa_user_sgpr_private_segment_size 0
		.amdhsa_uses_dynamic_stack 0
		.amdhsa_system_sgpr_private_segment_wavefront_offset 0
		.amdhsa_system_sgpr_workgroup_id_x 1
		.amdhsa_system_sgpr_workgroup_id_y 0
		.amdhsa_system_sgpr_workgroup_id_z 0
		.amdhsa_system_sgpr_workgroup_info 0
		.amdhsa_system_vgpr_workitem_id 0
		.amdhsa_next_free_vgpr 1
		.amdhsa_next_free_sgpr 0
		.amdhsa_accum_offset 4
		.amdhsa_reserve_vcc 0
		.amdhsa_reserve_flat_scratch 0
		.amdhsa_float_round_mode_32 0
		.amdhsa_float_round_mode_16_64 0
		.amdhsa_float_denorm_mode_32 3
		.amdhsa_float_denorm_mode_16_64 3
		.amdhsa_dx10_clamp 1
		.amdhsa_ieee_mode 1
		.amdhsa_fp16_overflow 0
		.amdhsa_tg_split 0
		.amdhsa_exception_fp_ieee_invalid_op 0
		.amdhsa_exception_fp_denorm_src 0
		.amdhsa_exception_fp_ieee_div_zero 0
		.amdhsa_exception_fp_ieee_overflow 0
		.amdhsa_exception_fp_ieee_underflow 0
		.amdhsa_exception_fp_ieee_inexact 0
		.amdhsa_exception_int_div_zero 0
	.end_amdhsa_kernel
	.section	.text._ZN7rocprim17ROCPRIM_400000_NS6detail17trampoline_kernelINS0_14default_configENS1_27scan_by_key_config_selectorIiiEEZZNS1_16scan_by_key_implILNS1_25lookback_scan_determinismE0ELb0ES3_N6thrust23THRUST_200600_302600_NS6detail15normal_iteratorINS9_10device_ptrIiEEEENS9_18transform_iteratorINS9_6negateIiEESE_NS9_11use_defaultESI_EESE_iNS9_4plusIvEENS9_8equal_toIvEEiEE10hipError_tPvRmT2_T3_T4_T5_mT6_T7_P12ihipStream_tbENKUlT_T0_E_clISt17integral_constantIbLb0EES13_IbLb1EEEEDaSZ_S10_EUlSZ_E_NS1_11comp_targetILNS1_3genE5ELNS1_11target_archE942ELNS1_3gpuE9ELNS1_3repE0EEENS1_30default_config_static_selectorELNS0_4arch9wavefront6targetE1EEEvT1_,"axG",@progbits,_ZN7rocprim17ROCPRIM_400000_NS6detail17trampoline_kernelINS0_14default_configENS1_27scan_by_key_config_selectorIiiEEZZNS1_16scan_by_key_implILNS1_25lookback_scan_determinismE0ELb0ES3_N6thrust23THRUST_200600_302600_NS6detail15normal_iteratorINS9_10device_ptrIiEEEENS9_18transform_iteratorINS9_6negateIiEESE_NS9_11use_defaultESI_EESE_iNS9_4plusIvEENS9_8equal_toIvEEiEE10hipError_tPvRmT2_T3_T4_T5_mT6_T7_P12ihipStream_tbENKUlT_T0_E_clISt17integral_constantIbLb0EES13_IbLb1EEEEDaSZ_S10_EUlSZ_E_NS1_11comp_targetILNS1_3genE5ELNS1_11target_archE942ELNS1_3gpuE9ELNS1_3repE0EEENS1_30default_config_static_selectorELNS0_4arch9wavefront6targetE1EEEvT1_,comdat
.Lfunc_end958:
	.size	_ZN7rocprim17ROCPRIM_400000_NS6detail17trampoline_kernelINS0_14default_configENS1_27scan_by_key_config_selectorIiiEEZZNS1_16scan_by_key_implILNS1_25lookback_scan_determinismE0ELb0ES3_N6thrust23THRUST_200600_302600_NS6detail15normal_iteratorINS9_10device_ptrIiEEEENS9_18transform_iteratorINS9_6negateIiEESE_NS9_11use_defaultESI_EESE_iNS9_4plusIvEENS9_8equal_toIvEEiEE10hipError_tPvRmT2_T3_T4_T5_mT6_T7_P12ihipStream_tbENKUlT_T0_E_clISt17integral_constantIbLb0EES13_IbLb1EEEEDaSZ_S10_EUlSZ_E_NS1_11comp_targetILNS1_3genE5ELNS1_11target_archE942ELNS1_3gpuE9ELNS1_3repE0EEENS1_30default_config_static_selectorELNS0_4arch9wavefront6targetE1EEEvT1_, .Lfunc_end958-_ZN7rocprim17ROCPRIM_400000_NS6detail17trampoline_kernelINS0_14default_configENS1_27scan_by_key_config_selectorIiiEEZZNS1_16scan_by_key_implILNS1_25lookback_scan_determinismE0ELb0ES3_N6thrust23THRUST_200600_302600_NS6detail15normal_iteratorINS9_10device_ptrIiEEEENS9_18transform_iteratorINS9_6negateIiEESE_NS9_11use_defaultESI_EESE_iNS9_4plusIvEENS9_8equal_toIvEEiEE10hipError_tPvRmT2_T3_T4_T5_mT6_T7_P12ihipStream_tbENKUlT_T0_E_clISt17integral_constantIbLb0EES13_IbLb1EEEEDaSZ_S10_EUlSZ_E_NS1_11comp_targetILNS1_3genE5ELNS1_11target_archE942ELNS1_3gpuE9ELNS1_3repE0EEENS1_30default_config_static_selectorELNS0_4arch9wavefront6targetE1EEEvT1_
                                        ; -- End function
	.section	.AMDGPU.csdata,"",@progbits
; Kernel info:
; codeLenInByte = 0
; NumSgprs: 4
; NumVgprs: 0
; NumAgprs: 0
; TotalNumVgprs: 0
; ScratchSize: 0
; MemoryBound: 0
; FloatMode: 240
; IeeeMode: 1
; LDSByteSize: 0 bytes/workgroup (compile time only)
; SGPRBlocks: 0
; VGPRBlocks: 0
; NumSGPRsForWavesPerEU: 4
; NumVGPRsForWavesPerEU: 1
; AccumOffset: 4
; Occupancy: 8
; WaveLimiterHint : 0
; COMPUTE_PGM_RSRC2:SCRATCH_EN: 0
; COMPUTE_PGM_RSRC2:USER_SGPR: 6
; COMPUTE_PGM_RSRC2:TRAP_HANDLER: 0
; COMPUTE_PGM_RSRC2:TGID_X_EN: 1
; COMPUTE_PGM_RSRC2:TGID_Y_EN: 0
; COMPUTE_PGM_RSRC2:TGID_Z_EN: 0
; COMPUTE_PGM_RSRC2:TIDIG_COMP_CNT: 0
; COMPUTE_PGM_RSRC3_GFX90A:ACCUM_OFFSET: 0
; COMPUTE_PGM_RSRC3_GFX90A:TG_SPLIT: 0
	.section	.text._ZN7rocprim17ROCPRIM_400000_NS6detail17trampoline_kernelINS0_14default_configENS1_27scan_by_key_config_selectorIiiEEZZNS1_16scan_by_key_implILNS1_25lookback_scan_determinismE0ELb0ES3_N6thrust23THRUST_200600_302600_NS6detail15normal_iteratorINS9_10device_ptrIiEEEENS9_18transform_iteratorINS9_6negateIiEESE_NS9_11use_defaultESI_EESE_iNS9_4plusIvEENS9_8equal_toIvEEiEE10hipError_tPvRmT2_T3_T4_T5_mT6_T7_P12ihipStream_tbENKUlT_T0_E_clISt17integral_constantIbLb0EES13_IbLb1EEEEDaSZ_S10_EUlSZ_E_NS1_11comp_targetILNS1_3genE4ELNS1_11target_archE910ELNS1_3gpuE8ELNS1_3repE0EEENS1_30default_config_static_selectorELNS0_4arch9wavefront6targetE1EEEvT1_,"axG",@progbits,_ZN7rocprim17ROCPRIM_400000_NS6detail17trampoline_kernelINS0_14default_configENS1_27scan_by_key_config_selectorIiiEEZZNS1_16scan_by_key_implILNS1_25lookback_scan_determinismE0ELb0ES3_N6thrust23THRUST_200600_302600_NS6detail15normal_iteratorINS9_10device_ptrIiEEEENS9_18transform_iteratorINS9_6negateIiEESE_NS9_11use_defaultESI_EESE_iNS9_4plusIvEENS9_8equal_toIvEEiEE10hipError_tPvRmT2_T3_T4_T5_mT6_T7_P12ihipStream_tbENKUlT_T0_E_clISt17integral_constantIbLb0EES13_IbLb1EEEEDaSZ_S10_EUlSZ_E_NS1_11comp_targetILNS1_3genE4ELNS1_11target_archE910ELNS1_3gpuE8ELNS1_3repE0EEENS1_30default_config_static_selectorELNS0_4arch9wavefront6targetE1EEEvT1_,comdat
	.protected	_ZN7rocprim17ROCPRIM_400000_NS6detail17trampoline_kernelINS0_14default_configENS1_27scan_by_key_config_selectorIiiEEZZNS1_16scan_by_key_implILNS1_25lookback_scan_determinismE0ELb0ES3_N6thrust23THRUST_200600_302600_NS6detail15normal_iteratorINS9_10device_ptrIiEEEENS9_18transform_iteratorINS9_6negateIiEESE_NS9_11use_defaultESI_EESE_iNS9_4plusIvEENS9_8equal_toIvEEiEE10hipError_tPvRmT2_T3_T4_T5_mT6_T7_P12ihipStream_tbENKUlT_T0_E_clISt17integral_constantIbLb0EES13_IbLb1EEEEDaSZ_S10_EUlSZ_E_NS1_11comp_targetILNS1_3genE4ELNS1_11target_archE910ELNS1_3gpuE8ELNS1_3repE0EEENS1_30default_config_static_selectorELNS0_4arch9wavefront6targetE1EEEvT1_ ; -- Begin function _ZN7rocprim17ROCPRIM_400000_NS6detail17trampoline_kernelINS0_14default_configENS1_27scan_by_key_config_selectorIiiEEZZNS1_16scan_by_key_implILNS1_25lookback_scan_determinismE0ELb0ES3_N6thrust23THRUST_200600_302600_NS6detail15normal_iteratorINS9_10device_ptrIiEEEENS9_18transform_iteratorINS9_6negateIiEESE_NS9_11use_defaultESI_EESE_iNS9_4plusIvEENS9_8equal_toIvEEiEE10hipError_tPvRmT2_T3_T4_T5_mT6_T7_P12ihipStream_tbENKUlT_T0_E_clISt17integral_constantIbLb0EES13_IbLb1EEEEDaSZ_S10_EUlSZ_E_NS1_11comp_targetILNS1_3genE4ELNS1_11target_archE910ELNS1_3gpuE8ELNS1_3repE0EEENS1_30default_config_static_selectorELNS0_4arch9wavefront6targetE1EEEvT1_
	.globl	_ZN7rocprim17ROCPRIM_400000_NS6detail17trampoline_kernelINS0_14default_configENS1_27scan_by_key_config_selectorIiiEEZZNS1_16scan_by_key_implILNS1_25lookback_scan_determinismE0ELb0ES3_N6thrust23THRUST_200600_302600_NS6detail15normal_iteratorINS9_10device_ptrIiEEEENS9_18transform_iteratorINS9_6negateIiEESE_NS9_11use_defaultESI_EESE_iNS9_4plusIvEENS9_8equal_toIvEEiEE10hipError_tPvRmT2_T3_T4_T5_mT6_T7_P12ihipStream_tbENKUlT_T0_E_clISt17integral_constantIbLb0EES13_IbLb1EEEEDaSZ_S10_EUlSZ_E_NS1_11comp_targetILNS1_3genE4ELNS1_11target_archE910ELNS1_3gpuE8ELNS1_3repE0EEENS1_30default_config_static_selectorELNS0_4arch9wavefront6targetE1EEEvT1_
	.p2align	8
	.type	_ZN7rocprim17ROCPRIM_400000_NS6detail17trampoline_kernelINS0_14default_configENS1_27scan_by_key_config_selectorIiiEEZZNS1_16scan_by_key_implILNS1_25lookback_scan_determinismE0ELb0ES3_N6thrust23THRUST_200600_302600_NS6detail15normal_iteratorINS9_10device_ptrIiEEEENS9_18transform_iteratorINS9_6negateIiEESE_NS9_11use_defaultESI_EESE_iNS9_4plusIvEENS9_8equal_toIvEEiEE10hipError_tPvRmT2_T3_T4_T5_mT6_T7_P12ihipStream_tbENKUlT_T0_E_clISt17integral_constantIbLb0EES13_IbLb1EEEEDaSZ_S10_EUlSZ_E_NS1_11comp_targetILNS1_3genE4ELNS1_11target_archE910ELNS1_3gpuE8ELNS1_3repE0EEENS1_30default_config_static_selectorELNS0_4arch9wavefront6targetE1EEEvT1_,@function
_ZN7rocprim17ROCPRIM_400000_NS6detail17trampoline_kernelINS0_14default_configENS1_27scan_by_key_config_selectorIiiEEZZNS1_16scan_by_key_implILNS1_25lookback_scan_determinismE0ELb0ES3_N6thrust23THRUST_200600_302600_NS6detail15normal_iteratorINS9_10device_ptrIiEEEENS9_18transform_iteratorINS9_6negateIiEESE_NS9_11use_defaultESI_EESE_iNS9_4plusIvEENS9_8equal_toIvEEiEE10hipError_tPvRmT2_T3_T4_T5_mT6_T7_P12ihipStream_tbENKUlT_T0_E_clISt17integral_constantIbLb0EES13_IbLb1EEEEDaSZ_S10_EUlSZ_E_NS1_11comp_targetILNS1_3genE4ELNS1_11target_archE910ELNS1_3gpuE8ELNS1_3repE0EEENS1_30default_config_static_selectorELNS0_4arch9wavefront6targetE1EEEvT1_: ; @_ZN7rocprim17ROCPRIM_400000_NS6detail17trampoline_kernelINS0_14default_configENS1_27scan_by_key_config_selectorIiiEEZZNS1_16scan_by_key_implILNS1_25lookback_scan_determinismE0ELb0ES3_N6thrust23THRUST_200600_302600_NS6detail15normal_iteratorINS9_10device_ptrIiEEEENS9_18transform_iteratorINS9_6negateIiEESE_NS9_11use_defaultESI_EESE_iNS9_4plusIvEENS9_8equal_toIvEEiEE10hipError_tPvRmT2_T3_T4_T5_mT6_T7_P12ihipStream_tbENKUlT_T0_E_clISt17integral_constantIbLb0EES13_IbLb1EEEEDaSZ_S10_EUlSZ_E_NS1_11comp_targetILNS1_3genE4ELNS1_11target_archE910ELNS1_3gpuE8ELNS1_3repE0EEENS1_30default_config_static_selectorELNS0_4arch9wavefront6targetE1EEEvT1_
; %bb.0:
	s_load_dwordx4 s[8:11], s[4:5], 0x0
	s_load_dwordx2 s[2:3], s[4:5], 0x10
	s_load_dwordx2 s[38:39], s[4:5], 0x20
	s_load_dwordx4 s[48:51], s[4:5], 0x30
	s_load_dwordx2 s[54:55], s[4:5], 0x40
	v_cmp_ne_u32_e64 s[36:37], 0, v0
	v_cmp_eq_u32_e64 s[0:1], 0, v0
	s_and_saveexec_b64 s[6:7], s[0:1]
	s_cbranch_execz .LBB959_4
; %bb.1:
	s_mov_b64 s[14:15], exec
	v_mbcnt_lo_u32_b32 v1, s14, 0
	v_mbcnt_hi_u32_b32 v1, s15, v1
	v_cmp_eq_u32_e32 vcc, 0, v1
                                        ; implicit-def: $vgpr2
	s_and_saveexec_b64 s[12:13], vcc
	s_cbranch_execz .LBB959_3
; %bb.2:
	s_load_dwordx2 s[16:17], s[4:5], 0x70
	s_bcnt1_i32_b64 s14, s[14:15]
	v_mov_b32_e32 v2, 0
	v_mov_b32_e32 v3, s14
	s_waitcnt lgkmcnt(0)
	global_atomic_add v2, v2, v3, s[16:17] glc
.LBB959_3:
	s_or_b64 exec, exec, s[12:13]
	s_waitcnt vmcnt(0)
	v_readfirstlane_b32 s12, v2
	v_add_u32_e32 v1, s12, v1
	v_mov_b32_e32 v2, 0
	ds_write_b32 v2, v1
.LBB959_4:
	s_or_b64 exec, exec, s[6:7]
	v_mov_b32_e32 v1, 0
	s_load_dword s6, s[4:5], 0x48
	s_load_dwordx8 s[40:47], s[4:5], 0x50
	s_waitcnt lgkmcnt(0)
	s_lshl_b64 s[52:53], s[10:11], 2
	s_barrier
	ds_read_b32 v1, v1
	s_add_u32 s4, s8, s52
	s_addc_u32 s5, s9, s53
	s_add_u32 s7, s2, s52
	s_addc_u32 s8, s3, s53
	s_mul_i32 s2, s55, s6
	s_mul_hi_u32 s3, s54, s6
	s_add_i32 s9, s3, s2
	s_waitcnt lgkmcnt(0)
	v_readfirstlane_b32 s51, v1
	s_cmp_lg_u64 s[44:45], 0
	s_mov_b32 s3, 0
	s_mul_i32 s2, s51, 0xe00
	s_cselect_b64 s[60:61], -1, 0
	s_lshl_b64 s[44:45], s[2:3], 2
	s_add_u32 s58, s4, s44
	s_addc_u32 s59, s5, s45
	s_add_u32 s56, s7, s44
	s_mul_i32 s6, s54, s6
	s_addc_u32 s57, s8, s45
	s_add_u32 s62, s6, s51
	s_addc_u32 s63, s9, 0
	s_add_u32 s4, s40, -1
	s_addc_u32 s5, s41, -1
	v_pk_mov_b32 v[2:3], s[4:5], s[4:5] op_sel:[0,1]
	v_cmp_ge_u64_e64 s[2:3], s[62:63], v[2:3]
	s_mov_b64 s[18:19], 0
	s_mov_b64 s[12:13], -1
	s_and_b64 vcc, exec, s[2:3]
	s_mul_i32 s33, s4, 0xfffff200
	s_barrier
	s_barrier
	s_cbranch_vccz .LBB959_81
; %bb.5:
	v_pk_mov_b32 v[2:3], s[58:59], s[58:59] op_sel:[0,1]
	flat_load_dword v1, v[2:3]
	s_add_i32 s64, s33, s50
	v_cmp_gt_u32_e64 s[6:7], s64, v0
	s_waitcnt vmcnt(0) lgkmcnt(0)
	v_mov_b32_e32 v11, v1
	s_and_saveexec_b64 s[4:5], s[6:7]
	s_cbranch_execz .LBB959_7
; %bb.6:
	v_lshlrev_b32_e32 v2, 2, v0
	v_mov_b32_e32 v3, s59
	v_add_co_u32_e32 v2, vcc, s58, v2
	v_addc_co_u32_e32 v3, vcc, 0, v3, vcc
	flat_load_dword v11, v[2:3]
.LBB959_7:
	s_or_b64 exec, exec, s[4:5]
	v_or_b32_e32 v2, 0x100, v0
	v_cmp_gt_u32_e64 s[8:9], s64, v2
	v_mov_b32_e32 v14, v1
	s_and_saveexec_b64 s[4:5], s[8:9]
	s_cbranch_execz .LBB959_9
; %bb.8:
	v_lshlrev_b32_e32 v2, 2, v0
	v_mov_b32_e32 v3, s59
	v_add_co_u32_e32 v2, vcc, s58, v2
	v_addc_co_u32_e32 v3, vcc, 0, v3, vcc
	flat_load_dword v14, v[2:3] offset:1024
.LBB959_9:
	s_or_b64 exec, exec, s[4:5]
	v_or_b32_e32 v2, 0x200, v0
	v_cmp_gt_u32_e64 s[10:11], s64, v2
	v_mov_b32_e32 v15, v1
	s_and_saveexec_b64 s[4:5], s[10:11]
	s_cbranch_execz .LBB959_11
; %bb.10:
	v_lshlrev_b32_e32 v2, 2, v0
	v_mov_b32_e32 v3, s59
	v_add_co_u32_e32 v2, vcc, s58, v2
	v_addc_co_u32_e32 v3, vcc, 0, v3, vcc
	flat_load_dword v15, v[2:3] offset:2048
.LBB959_11:
	s_or_b64 exec, exec, s[4:5]
	v_or_b32_e32 v2, 0x300, v0
	v_cmp_gt_u32_e64 s[12:13], s64, v2
	v_mov_b32_e32 v16, v1
	s_and_saveexec_b64 s[4:5], s[12:13]
	s_cbranch_execz .LBB959_13
; %bb.12:
	v_lshlrev_b32_e32 v2, 2, v0
	v_mov_b32_e32 v3, s59
	v_add_co_u32_e32 v2, vcc, s58, v2
	v_addc_co_u32_e32 v3, vcc, 0, v3, vcc
	flat_load_dword v16, v[2:3] offset:3072
.LBB959_13:
	s_or_b64 exec, exec, s[4:5]
	v_or_b32_e32 v2, 0x400, v0
	v_cmp_gt_u32_e64 s[14:15], s64, v2
	v_lshlrev_b32_e32 v2, 2, v2
	v_mov_b32_e32 v17, v1
	s_and_saveexec_b64 s[4:5], s[14:15]
	s_cbranch_execz .LBB959_15
; %bb.14:
	v_mov_b32_e32 v3, s59
	v_add_co_u32_e32 v4, vcc, s58, v2
	v_addc_co_u32_e32 v5, vcc, 0, v3, vcc
	flat_load_dword v17, v[4:5]
.LBB959_15:
	s_or_b64 exec, exec, s[4:5]
	v_or_b32_e32 v3, 0x500, v0
	v_cmp_gt_u32_e64 s[16:17], s64, v3
	v_lshlrev_b32_e32 v3, 2, v3
	v_mov_b32_e32 v18, v1
	s_and_saveexec_b64 s[4:5], s[16:17]
	s_cbranch_execz .LBB959_17
; %bb.16:
	v_mov_b32_e32 v5, s59
	v_add_co_u32_e32 v4, vcc, s58, v3
	v_addc_co_u32_e32 v5, vcc, 0, v5, vcc
	flat_load_dword v18, v[4:5]
.LBB959_17:
	;; [unrolled: 13-line block ×9, first 2 shown]
	s_or_b64 exec, exec, s[4:5]
	v_or_b32_e32 v12, 0xd00, v0
	v_cmp_gt_u32_e64 s[34:35], s64, v12
	v_lshlrev_b32_e32 v12, 2, v12
	s_and_saveexec_b64 s[4:5], s[34:35]
	s_cbranch_execz .LBB959_33
; %bb.32:
	v_mov_b32_e32 v1, s59
	v_add_co_u32_e32 v26, vcc, s58, v12
	v_addc_co_u32_e32 v27, vcc, 0, v1, vcc
	flat_load_dword v1, v[26:27]
.LBB959_33:
	s_or_b64 exec, exec, s[4:5]
	v_lshlrev_b32_e32 v13, 2, v0
	s_waitcnt vmcnt(0) lgkmcnt(0)
	ds_write2st64_b32 v13, v11, v14 offset1:4
	ds_write2st64_b32 v13, v15, v16 offset0:8 offset1:12
	ds_write2st64_b32 v13, v17, v18 offset0:16 offset1:20
	;; [unrolled: 1-line block ×6, first 2 shown]
	v_mad_u32_u24 v1, v0, 52, v13
	s_waitcnt lgkmcnt(0)
	s_barrier
	ds_read2_b64 v[34:37], v1 offset1:1
	ds_read2_b64 v[30:33], v1 offset0:2 offset1:3
	ds_read2_b64 v[26:29], v1 offset0:4 offset1:5
	ds_read_b64 v[40:41], v1 offset:48
	s_cmp_eq_u64 s[62:63], 0
	s_mov_b64 s[4:5], s[58:59]
	s_cbranch_scc1 .LBB959_37
; %bb.34:
	s_andn2_b64 vcc, exec, s[60:61]
	s_cbranch_vccnz .LBB959_183
; %bb.35:
	s_lshl_b64 s[4:5], s[62:63], 2
	s_add_u32 s4, s46, s4
	s_addc_u32 s5, s47, s5
	s_add_u32 s4, s4, -4
	s_addc_u32 s5, s5, -1
	s_cbranch_execnz .LBB959_37
.LBB959_36:
	s_add_u32 s4, s58, -4
	s_addc_u32 s5, s59, -1
.LBB959_37:
	v_pk_mov_b32 v[14:15], s[4:5], s[4:5] op_sel:[0,1]
	flat_load_dword v44, v[14:15]
	s_movk_i32 s4, 0xffcc
	v_mad_i32_i24 v11, v0, s4, v1
	s_waitcnt lgkmcnt(0)
	ds_write_b32 v11, v41 offset:14336
	s_waitcnt lgkmcnt(0)
	s_barrier
	s_and_saveexec_b64 s[4:5], s[36:37]
	s_cbranch_execz .LBB959_39
; %bb.38:
	v_mul_i32_i24_e32 v11, 0xffffffcc, v0
	v_add_u32_e32 v11, v1, v11
	s_waitcnt vmcnt(0)
	ds_read_b32 v44, v11 offset:14332
.LBB959_39:
	s_or_b64 exec, exec, s[4:5]
	s_waitcnt lgkmcnt(0)
	s_barrier
	s_waitcnt lgkmcnt(0)
                                        ; implicit-def: $vgpr11
	s_and_saveexec_b64 s[4:5], s[6:7]
	s_cbranch_execnz .LBB959_170
; %bb.40:
	s_or_b64 exec, exec, s[4:5]
                                        ; implicit-def: $vgpr14
	s_and_saveexec_b64 s[4:5], s[8:9]
	s_cbranch_execnz .LBB959_171
.LBB959_41:
	s_or_b64 exec, exec, s[4:5]
                                        ; implicit-def: $vgpr15
	s_and_saveexec_b64 s[4:5], s[10:11]
	s_cbranch_execnz .LBB959_172
.LBB959_42:
	s_or_b64 exec, exec, s[4:5]
                                        ; implicit-def: $vgpr16
	s_and_saveexec_b64 s[4:5], s[12:13]
	s_cbranch_execnz .LBB959_173
.LBB959_43:
	s_or_b64 exec, exec, s[4:5]
                                        ; implicit-def: $vgpr17
	s_and_saveexec_b64 s[4:5], s[14:15]
	s_cbranch_execnz .LBB959_174
.LBB959_44:
	s_or_b64 exec, exec, s[4:5]
                                        ; implicit-def: $vgpr2
	s_and_saveexec_b64 s[4:5], s[16:17]
	s_cbranch_execnz .LBB959_175
.LBB959_45:
	s_or_b64 exec, exec, s[4:5]
                                        ; implicit-def: $vgpr3
	s_and_saveexec_b64 s[4:5], s[18:19]
	s_cbranch_execnz .LBB959_176
.LBB959_46:
	s_or_b64 exec, exec, s[4:5]
                                        ; implicit-def: $vgpr4
	s_and_saveexec_b64 s[4:5], s[20:21]
	s_cbranch_execnz .LBB959_177
.LBB959_47:
	s_or_b64 exec, exec, s[4:5]
                                        ; implicit-def: $vgpr5
	s_and_saveexec_b64 s[4:5], s[22:23]
	s_cbranch_execnz .LBB959_178
.LBB959_48:
	s_or_b64 exec, exec, s[4:5]
                                        ; implicit-def: $vgpr6
	s_and_saveexec_b64 s[4:5], s[24:25]
	s_cbranch_execnz .LBB959_179
.LBB959_49:
	s_or_b64 exec, exec, s[4:5]
                                        ; implicit-def: $vgpr7
	s_and_saveexec_b64 s[4:5], s[26:27]
	s_cbranch_execnz .LBB959_180
.LBB959_50:
	s_or_b64 exec, exec, s[4:5]
                                        ; implicit-def: $vgpr8
	s_and_saveexec_b64 s[4:5], s[28:29]
	s_cbranch_execnz .LBB959_181
.LBB959_51:
	s_or_b64 exec, exec, s[4:5]
                                        ; implicit-def: $vgpr9
	s_and_saveexec_b64 s[4:5], s[30:31]
	s_cbranch_execnz .LBB959_182
.LBB959_52:
	s_or_b64 exec, exec, s[4:5]
                                        ; implicit-def: $vgpr10
	s_and_saveexec_b64 s[4:5], s[34:35]
	s_cbranch_execz .LBB959_54
.LBB959_53:
	global_load_dword v10, v12, s[56:57]
	s_waitcnt vmcnt(0)
	v_sub_u32_e32 v10, 0, v10
.LBB959_54:
	s_or_b64 exec, exec, s[4:5]
	s_mov_b32 s4, 0
	s_mov_b32 s5, s4
	ds_write2st64_b32 v13, v11, v14 offset1:4
	ds_write2st64_b32 v13, v15, v16 offset0:8 offset1:12
	ds_write2st64_b32 v13, v17, v2 offset0:16 offset1:20
	;; [unrolled: 1-line block ×6, first 2 shown]
	s_mov_b32 s6, s4
	s_mov_b32 s7, s4
	;; [unrolled: 1-line block ×6, first 2 shown]
	v_pk_mov_b32 v[2:3], s[4:5], s[4:5] op_sel:[0,1]
	v_pk_mov_b32 v[8:9], s[10:11], s[10:11] op_sel:[0,1]
	v_mul_u32_u24_e32 v42, 14, v0
	v_pk_mov_b32 v[4:5], s[6:7], s[6:7] op_sel:[0,1]
	v_pk_mov_b32 v[6:7], s[8:9], s[8:9] op_sel:[0,1]
	;; [unrolled: 1-line block ×4, first 2 shown]
	v_cmp_gt_u32_e32 vcc, s64, v42
	s_mov_b64 s[12:13], 0
	v_pk_mov_b32 v[38:39], 0, 0
	s_mov_b64 s[18:19], 0
	v_pk_mov_b32 v[14:15], v[6:7], v[6:7] op_sel:[0,1]
	v_pk_mov_b32 v[12:13], v[4:5], v[4:5] op_sel:[0,1]
	;; [unrolled: 1-line block ×6, first 2 shown]
	s_waitcnt lgkmcnt(0)
	s_barrier
	s_waitcnt lgkmcnt(0)
                                        ; implicit-def: $sgpr16_sgpr17
                                        ; implicit-def: $vgpr43
	s_and_saveexec_b64 s[14:15], vcc
	s_cbranch_execz .LBB959_80
; %bb.55:
	v_or_b32_e32 v2, 1, v42
	ds_read_b32 v38, v1
	s_waitcnt vmcnt(0)
	v_cmp_ne_u32_e32 vcc, v44, v34
	v_cndmask_b32_e64 v39, 0, 1, vcc
	v_cmp_gt_u32_e32 vcc, s64, v2
	v_pk_mov_b32 v[2:3], s[4:5], s[4:5] op_sel:[0,1]
	v_pk_mov_b32 v[8:9], s[10:11], s[10:11] op_sel:[0,1]
	v_pk_mov_b32 v[4:5], s[6:7], s[6:7] op_sel:[0,1]
	v_pk_mov_b32 v[6:7], s[8:9], s[8:9] op_sel:[0,1]
	v_pk_mov_b32 v[16:17], v[8:9], v[8:9] op_sel:[0,1]
	v_pk_mov_b32 v[24:25], v[8:9], v[8:9] op_sel:[0,1]
	v_pk_mov_b32 v[14:15], v[6:7], v[6:7] op_sel:[0,1]
	v_pk_mov_b32 v[12:13], v[4:5], v[4:5] op_sel:[0,1]
	v_pk_mov_b32 v[10:11], v[2:3], v[2:3] op_sel:[0,1]
	v_pk_mov_b32 v[22:23], v[6:7], v[6:7] op_sel:[0,1]
	v_pk_mov_b32 v[20:21], v[4:5], v[4:5] op_sel:[0,1]
	v_pk_mov_b32 v[18:19], v[2:3], v[2:3] op_sel:[0,1]
                                        ; implicit-def: $sgpr4_sgpr5
                                        ; implicit-def: $vgpr43
	s_and_saveexec_b64 s[16:17], vcc
	s_cbranch_execz .LBB959_79
; %bb.56:
	ds_read2_b32 v[44:45], v1 offset0:1 offset1:2
	s_mov_b32 s4, 0
	s_mov_b32 s10, s4
	;; [unrolled: 1-line block ×8, first 2 shown]
	v_pk_mov_b32 v[16:17], s[10:11], s[10:11] op_sel:[0,1]
	v_add_u32_e32 v2, 2, v42
	v_cmp_ne_u32_e32 vcc, v34, v35
	v_mov_b32_e32 v6, 0
	v_pk_mov_b32 v[14:15], s[8:9], s[8:9] op_sel:[0,1]
	v_pk_mov_b32 v[12:13], s[6:7], s[6:7] op_sel:[0,1]
	;; [unrolled: 1-line block ×4, first 2 shown]
	v_cndmask_b32_e64 v3, 0, 1, vcc
	v_cmp_gt_u32_e32 vcc, s64, v2
	s_waitcnt lgkmcnt(0)
	v_mov_b32_e32 v2, v44
	v_mov_b32_e32 v4, v6
	;; [unrolled: 1-line block ×6, first 2 shown]
	s_mov_b64 s[20:21], 0
	v_pk_mov_b32 v[22:23], v[14:15], v[14:15] op_sel:[0,1]
	v_pk_mov_b32 v[20:21], v[12:13], v[12:13] op_sel:[0,1]
	;; [unrolled: 1-line block ×3, first 2 shown]
                                        ; implicit-def: $sgpr24_sgpr25
                                        ; implicit-def: $vgpr43
	s_and_saveexec_b64 s[18:19], vcc
	s_cbranch_execz .LBB959_78
; %bb.57:
	v_pk_mov_b32 v[16:17], s[10:11], s[10:11] op_sel:[0,1]
	v_add_u32_e32 v2, 3, v42
	v_cmp_ne_u32_e32 vcc, v35, v36
	v_pk_mov_b32 v[14:15], s[8:9], s[8:9] op_sel:[0,1]
	v_pk_mov_b32 v[12:13], s[6:7], s[6:7] op_sel:[0,1]
	;; [unrolled: 1-line block ×4, first 2 shown]
	v_cndmask_b32_e64 v5, 0, 1, vcc
	v_cmp_gt_u32_e32 vcc, s64, v2
	v_mov_b32_e32 v2, v44
	v_mov_b32_e32 v4, v45
	;; [unrolled: 1-line block ×5, first 2 shown]
	s_mov_b64 s[22:23], 0
	v_pk_mov_b32 v[22:23], v[14:15], v[14:15] op_sel:[0,1]
	v_pk_mov_b32 v[20:21], v[12:13], v[12:13] op_sel:[0,1]
	;; [unrolled: 1-line block ×3, first 2 shown]
                                        ; implicit-def: $sgpr4_sgpr5
                                        ; implicit-def: $vgpr43
	s_and_saveexec_b64 s[20:21], vcc
	s_cbranch_execz .LBB959_77
; %bb.58:
	ds_read2_b32 v[34:35], v1 offset0:3 offset1:4
	s_mov_b32 s4, 0
	s_mov_b32 s10, s4
	;; [unrolled: 1-line block ×8, first 2 shown]
	v_pk_mov_b32 v[16:17], s[10:11], s[10:11] op_sel:[0,1]
	v_add_u32_e32 v6, 4, v42
	v_cmp_ne_u32_e32 vcc, v36, v37
	v_pk_mov_b32 v[14:15], s[8:9], s[8:9] op_sel:[0,1]
	v_pk_mov_b32 v[12:13], s[6:7], s[6:7] op_sel:[0,1]
	;; [unrolled: 1-line block ×4, first 2 shown]
	v_cndmask_b32_e64 v7, 0, 1, vcc
	v_cmp_gt_u32_e32 vcc, s64, v6
	s_waitcnt lgkmcnt(0)
	v_mov_b32_e32 v6, v34
	v_mov_b32_e32 v8, s4
	;; [unrolled: 1-line block ×3, first 2 shown]
	s_mov_b64 s[24:25], 0
	v_pk_mov_b32 v[22:23], v[14:15], v[14:15] op_sel:[0,1]
	v_pk_mov_b32 v[20:21], v[12:13], v[12:13] op_sel:[0,1]
	;; [unrolled: 1-line block ×3, first 2 shown]
                                        ; implicit-def: $sgpr26_sgpr27
                                        ; implicit-def: $vgpr43
	s_and_saveexec_b64 s[22:23], vcc
	s_cbranch_execz .LBB959_76
; %bb.59:
	v_pk_mov_b32 v[16:17], s[10:11], s[10:11] op_sel:[0,1]
	v_add_u32_e32 v8, 5, v42
	v_cmp_ne_u32_e32 vcc, v37, v30
	v_pk_mov_b32 v[14:15], s[8:9], s[8:9] op_sel:[0,1]
	v_pk_mov_b32 v[12:13], s[6:7], s[6:7] op_sel:[0,1]
	;; [unrolled: 1-line block ×4, first 2 shown]
	v_cndmask_b32_e64 v9, 0, 1, vcc
	v_cmp_gt_u32_e32 vcc, s64, v8
	v_mov_b32_e32 v8, v35
	s_mov_b64 s[28:29], 0
	v_pk_mov_b32 v[22:23], v[14:15], v[14:15] op_sel:[0,1]
	v_pk_mov_b32 v[20:21], v[12:13], v[12:13] op_sel:[0,1]
	;; [unrolled: 1-line block ×3, first 2 shown]
                                        ; implicit-def: $sgpr4_sgpr5
                                        ; implicit-def: $vgpr43
	s_and_saveexec_b64 s[24:25], vcc
	s_cbranch_execz .LBB959_75
; %bb.60:
	ds_read2_b32 v[34:35], v1 offset0:5 offset1:6
	s_mov_b32 s4, 0
	s_mov_b32 s10, s4
	;; [unrolled: 1-line block ×3, first 2 shown]
	v_add_u32_e32 v10, 6, v42
	v_cmp_ne_u32_e32 vcc, v30, v31
	v_mov_b32_e32 v14, 0
	s_mov_b32 s5, s4
	s_mov_b32 s6, s4
	;; [unrolled: 1-line block ×5, first 2 shown]
	v_pk_mov_b32 v[24:25], s[10:11], s[10:11] op_sel:[0,1]
	v_cndmask_b32_e64 v11, 0, 1, vcc
	v_cmp_gt_u32_e32 vcc, s64, v10
	s_waitcnt lgkmcnt(0)
	v_mov_b32_e32 v10, v34
	v_mov_b32_e32 v12, v14
	;; [unrolled: 1-line block ×6, first 2 shown]
	v_pk_mov_b32 v[22:23], s[8:9], s[8:9] op_sel:[0,1]
	v_pk_mov_b32 v[20:21], s[6:7], s[6:7] op_sel:[0,1]
	;; [unrolled: 1-line block ×3, first 2 shown]
                                        ; implicit-def: $sgpr34_sgpr35
                                        ; implicit-def: $vgpr43
	s_and_saveexec_b64 s[26:27], vcc
	s_cbranch_execz .LBB959_74
; %bb.61:
	v_add_u32_e32 v10, 7, v42
	v_cmp_ne_u32_e32 vcc, v31, v32
	v_pk_mov_b32 v[24:25], s[10:11], s[10:11] op_sel:[0,1]
	v_cndmask_b32_e64 v13, 0, 1, vcc
	v_cmp_gt_u32_e32 vcc, s64, v10
	v_mov_b32_e32 v10, v34
	v_mov_b32_e32 v12, v35
	;; [unrolled: 1-line block ×5, first 2 shown]
	s_mov_b64 s[30:31], 0
	v_pk_mov_b32 v[22:23], s[8:9], s[8:9] op_sel:[0,1]
	v_pk_mov_b32 v[20:21], s[6:7], s[6:7] op_sel:[0,1]
	;; [unrolled: 1-line block ×3, first 2 shown]
                                        ; implicit-def: $sgpr4_sgpr5
                                        ; implicit-def: $vgpr43
	s_and_saveexec_b64 s[28:29], vcc
	s_cbranch_execz .LBB959_73
; %bb.62:
	ds_read2_b32 v[30:31], v1 offset0:7 offset1:8
	s_mov_b32 s4, 0
	s_mov_b32 s10, s4
	;; [unrolled: 1-line block ×3, first 2 shown]
	v_add_u32_e32 v14, 8, v42
	v_cmp_ne_u32_e32 vcc, v32, v33
	s_mov_b32 s5, s4
	s_mov_b32 s6, s4
	;; [unrolled: 1-line block ×5, first 2 shown]
	v_pk_mov_b32 v[24:25], s[10:11], s[10:11] op_sel:[0,1]
	v_cndmask_b32_e64 v15, 0, 1, vcc
	v_cmp_gt_u32_e32 vcc, s64, v14
	s_waitcnt lgkmcnt(0)
	v_mov_b32_e32 v14, v30
	v_mov_b32_e32 v16, s4
	;; [unrolled: 1-line block ×3, first 2 shown]
	s_mov_b64 s[34:35], 0
	v_pk_mov_b32 v[22:23], s[8:9], s[8:9] op_sel:[0,1]
	v_pk_mov_b32 v[20:21], s[6:7], s[6:7] op_sel:[0,1]
	;; [unrolled: 1-line block ×3, first 2 shown]
                                        ; implicit-def: $sgpr40_sgpr41
                                        ; implicit-def: $vgpr43
	s_and_saveexec_b64 s[30:31], vcc
	s_cbranch_execz .LBB959_72
; %bb.63:
	v_add_u32_e32 v16, 9, v42
	v_cmp_ne_u32_e32 vcc, v33, v26
	v_pk_mov_b32 v[24:25], s[10:11], s[10:11] op_sel:[0,1]
	v_cndmask_b32_e64 v17, 0, 1, vcc
	v_cmp_gt_u32_e32 vcc, s64, v16
	v_mov_b32_e32 v16, v31
	v_pk_mov_b32 v[22:23], s[8:9], s[8:9] op_sel:[0,1]
	v_pk_mov_b32 v[20:21], s[6:7], s[6:7] op_sel:[0,1]
	;; [unrolled: 1-line block ×3, first 2 shown]
                                        ; implicit-def: $sgpr8_sgpr9
                                        ; implicit-def: $vgpr43
	s_and_saveexec_b64 s[6:7], vcc
	s_cbranch_execz .LBB959_71
; %bb.64:
	ds_read2_b32 v[30:31], v1 offset0:9 offset1:10
	v_add_u32_e32 v18, 10, v42
	v_cmp_ne_u32_e32 vcc, v26, v27
	v_mov_b32_e32 v22, 0
	v_cndmask_b32_e64 v19, 0, 1, vcc
	v_cmp_gt_u32_e32 vcc, s64, v18
	s_waitcnt lgkmcnt(0)
	v_mov_b32_e32 v18, v30
	v_mov_b32_e32 v20, v22
	;; [unrolled: 1-line block ×6, first 2 shown]
	s_mov_b64 s[4:5], 0
                                        ; implicit-def: $sgpr10_sgpr11
                                        ; implicit-def: $vgpr43
	s_and_saveexec_b64 s[8:9], vcc
	s_cbranch_execz .LBB959_70
; %bb.65:
	v_add_u32_e32 v18, 11, v42
	v_cmp_ne_u32_e32 vcc, v27, v28
	v_cndmask_b32_e64 v21, 0, 1, vcc
	v_cmp_gt_u32_e32 vcc, s64, v18
	s_mov_b32 s40, 0
	v_mov_b32_e32 v18, v30
	v_mov_b32_e32 v20, v31
	;; [unrolled: 1-line block ×5, first 2 shown]
                                        ; implicit-def: $sgpr34_sgpr35
                                        ; implicit-def: $vgpr43
	s_and_saveexec_b64 s[10:11], vcc
	s_cbranch_execz .LBB959_69
; %bb.66:
	ds_read2_b32 v[26:27], v1 offset0:11 offset1:12
	v_add_u32_e32 v22, 12, v42
	v_cmp_ne_u32_e32 vcc, v28, v29
	v_cndmask_b32_e64 v23, 0, 1, vcc
	v_cmp_gt_u32_e32 vcc, s64, v22
	s_waitcnt lgkmcnt(0)
	v_mov_b32_e32 v22, v26
	v_mov_b32_e32 v24, s40
	;; [unrolled: 1-line block ×3, first 2 shown]
                                        ; implicit-def: $sgpr34_sgpr35
                                        ; implicit-def: $vgpr43
	s_and_saveexec_b64 s[40:41], vcc
	s_xor_b64 s[40:41], exec, s[40:41]
	s_cbranch_execz .LBB959_68
; %bb.67:
	ds_read_b32 v43, v1 offset:52
	v_add_u32_e32 v1, 13, v42
	v_cmp_ne_u32_e64 s[4:5], v29, v40
	v_cmp_ne_u32_e32 vcc, v40, v41
	v_cndmask_b32_e64 v25, 0, 1, s[4:5]
	v_cmp_gt_u32_e64 s[4:5], s64, v1
	v_mov_b32_e32 v24, v27
	s_and_b64 s[34:35], vcc, exec
	s_and_b64 s[4:5], s[4:5], exec
.LBB959_68:
	s_or_b64 exec, exec, s[40:41]
	s_and_b64 s[34:35], s[34:35], exec
	s_and_b64 s[4:5], s[4:5], exec
.LBB959_69:
	s_or_b64 exec, exec, s[10:11]
	s_and_b64 s[10:11], s[34:35], exec
	s_and_b64 s[4:5], s[4:5], exec
.LBB959_70:
	s_or_b64 exec, exec, s[8:9]
	s_and_b64 s[8:9], s[10:11], exec
	s_and_b64 s[34:35], s[4:5], exec
.LBB959_71:
	s_or_b64 exec, exec, s[6:7]
	s_and_b64 s[40:41], s[8:9], exec
	s_and_b64 s[34:35], s[34:35], exec
.LBB959_72:
	s_or_b64 exec, exec, s[30:31]
	s_and_b64 s[4:5], s[40:41], exec
	s_and_b64 s[30:31], s[34:35], exec
.LBB959_73:
	s_or_b64 exec, exec, s[28:29]
	s_and_b64 s[34:35], s[4:5], exec
	s_and_b64 s[28:29], s[30:31], exec
.LBB959_74:
	s_or_b64 exec, exec, s[26:27]
	s_and_b64 s[4:5], s[34:35], exec
	s_and_b64 s[28:29], s[28:29], exec
.LBB959_75:
	s_or_b64 exec, exec, s[24:25]
	s_and_b64 s[26:27], s[4:5], exec
	s_and_b64 s[24:25], s[28:29], exec
.LBB959_76:
	s_or_b64 exec, exec, s[22:23]
	s_and_b64 s[4:5], s[26:27], exec
	s_and_b64 s[22:23], s[24:25], exec
.LBB959_77:
	s_or_b64 exec, exec, s[20:21]
	s_and_b64 s[24:25], s[4:5], exec
	s_and_b64 s[20:21], s[22:23], exec
.LBB959_78:
	s_or_b64 exec, exec, s[18:19]
	s_and_b64 s[4:5], s[24:25], exec
	s_and_b64 s[18:19], s[20:21], exec
.LBB959_79:
	s_or_b64 exec, exec, s[16:17]
	s_and_b64 s[16:17], s[4:5], exec
	s_and_b64 s[18:19], s[18:19], exec
.LBB959_80:
	s_or_b64 exec, exec, s[14:15]
	s_and_b64 vcc, exec, s[12:13]
	v_lshlrev_b32_e32 v50, 2, v0
	s_cbranch_vccnz .LBB959_82
	s_branch .LBB959_90
.LBB959_81:
                                        ; implicit-def: $sgpr16_sgpr17
                                        ; implicit-def: $vgpr2_vgpr3_vgpr4_vgpr5_vgpr6_vgpr7_vgpr8_vgpr9
                                        ; implicit-def: $vgpr10_vgpr11_vgpr12_vgpr13_vgpr14_vgpr15_vgpr16_vgpr17
                                        ; implicit-def: $vgpr18_vgpr19_vgpr20_vgpr21_vgpr22_vgpr23_vgpr24_vgpr25
                                        ; implicit-def: $vgpr43
                                        ; implicit-def: $vgpr38_vgpr39
	s_and_b64 vcc, exec, s[12:13]
	v_lshlrev_b32_e32 v50, 2, v0
	s_cbranch_vccz .LBB959_90
.LBB959_82:
	v_mov_b32_e32 v1, s59
	v_add_co_u32_e32 v2, vcc, s58, v50
	v_addc_co_u32_e32 v3, vcc, 0, v1, vcc
	v_add_co_u32_e32 v4, vcc, 0x1000, v2
	v_addc_co_u32_e32 v5, vcc, 0, v3, vcc
	flat_load_dword v6, v[2:3]
	flat_load_dword v7, v[2:3] offset:1024
	flat_load_dword v8, v[2:3] offset:2048
	;; [unrolled: 1-line block ×3, first 2 shown]
	flat_load_dword v10, v[4:5]
	flat_load_dword v11, v[4:5] offset:1024
	flat_load_dword v12, v[4:5] offset:2048
	;; [unrolled: 1-line block ×3, first 2 shown]
	v_add_co_u32_e32 v4, vcc, 0x2000, v2
	v_addc_co_u32_e32 v5, vcc, 0, v3, vcc
	v_add_co_u32_e32 v2, vcc, 0x3000, v2
	v_addc_co_u32_e32 v3, vcc, 0, v3, vcc
	flat_load_dword v14, v[4:5]
	flat_load_dword v15, v[4:5] offset:1024
	flat_load_dword v16, v[4:5] offset:2048
	flat_load_dword v17, v[4:5] offset:3072
	flat_load_dword v18, v[2:3]
	flat_load_dword v19, v[2:3] offset:1024
	v_mad_u32_u24 v1, v0, 52, v50
	s_cmp_eq_u64 s[62:63], 0
	s_waitcnt vmcnt(0) lgkmcnt(0)
	ds_write2st64_b32 v50, v6, v7 offset1:4
	ds_write2st64_b32 v50, v8, v9 offset0:8 offset1:12
	ds_write2st64_b32 v50, v10, v11 offset0:16 offset1:20
	;; [unrolled: 1-line block ×6, first 2 shown]
	s_waitcnt lgkmcnt(0)
	s_barrier
	ds_read2_b64 v[2:5], v1 offset1:1
	ds_read2_b64 v[10:13], v1 offset0:2 offset1:3
	ds_read2_b64 v[18:21], v1 offset0:4 offset1:5
	ds_read_b64 v[22:23], v1 offset:48
	s_cbranch_scc1 .LBB959_87
; %bb.83:
	s_andn2_b64 vcc, exec, s[60:61]
	s_cbranch_vccnz .LBB959_184
; %bb.84:
	s_lshl_b64 s[4:5], s[62:63], 2
	s_add_u32 s4, s46, s4
	s_addc_u32 s5, s47, s5
	s_add_u32 s4, s4, -4
	s_addc_u32 s5, s5, -1
	s_cbranch_execnz .LBB959_86
.LBB959_85:
	s_add_u32 s4, s58, -4
	s_addc_u32 s5, s59, -1
.LBB959_86:
	s_mov_b64 s[58:59], s[4:5]
.LBB959_87:
	v_pk_mov_b32 v[6:7], s[58:59], s[58:59] op_sel:[0,1]
	flat_load_dword v6, v[6:7]
	s_movk_i32 s4, 0xffcc
	v_mad_i32_i24 v7, v0, s4, v1
	s_waitcnt lgkmcnt(0)
	ds_write_b32 v7, v23 offset:14336
	s_waitcnt lgkmcnt(0)
	s_barrier
	s_and_saveexec_b64 s[4:5], s[36:37]
	s_cbranch_execz .LBB959_89
; %bb.88:
	s_waitcnt vmcnt(0)
	v_mul_i32_i24_e32 v6, 0xffffffcc, v0
	v_add_u32_e32 v6, v1, v6
	ds_read_b32 v6, v6 offset:14332
.LBB959_89:
	s_or_b64 exec, exec, s[4:5]
	v_mov_b32_e32 v7, s57
	v_add_co_u32_e32 v16, vcc, s56, v50
	v_addc_co_u32_e32 v7, vcc, 0, v7, vcc
	s_movk_i32 s4, 0x1000
	v_add_co_u32_e32 v8, vcc, s4, v16
	v_addc_co_u32_e32 v9, vcc, 0, v7, vcc
	s_movk_i32 s4, 0x2000
	;; [unrolled: 3-line block ×3, first 2 shown]
	s_waitcnt lgkmcnt(0)
	s_barrier
	global_load_dword v24, v50, s[56:57]
	global_load_dword v25, v50, s[56:57] offset:1024
	global_load_dword v26, v50, s[56:57] offset:2048
	;; [unrolled: 1-line block ×3, first 2 shown]
	global_load_dword v28, v[8:9], off offset:1024
	global_load_dword v29, v[8:9], off offset:2048
	;; [unrolled: 1-line block ×3, first 2 shown]
	global_load_dword v31, v[14:15], off offset:-4096
	global_load_dword v32, v[14:15], off
	global_load_dword v33, v[14:15], off offset:1024
	global_load_dword v34, v[14:15], off offset:2048
	;; [unrolled: 1-line block ×3, first 2 shown]
	v_add_co_u32_e32 v8, vcc, s4, v16
	v_addc_co_u32_e32 v9, vcc, 0, v7, vcc
	global_load_dword v14, v[8:9], off
	global_load_dword v16, v[8:9], off offset:1024
	s_waitcnt vmcnt(0)
	v_cmp_ne_u32_e32 vcc, v6, v2
	v_cndmask_b32_e64 v39, 0, 1, vcc
	v_cmp_ne_u32_e32 vcc, v5, v10
	v_cndmask_b32_e64 v9, 0, 1, vcc
	;; [unrolled: 2-line block ×5, first 2 shown]
	v_cmp_ne_u32_e32 vcc, v13, v18
	v_cmp_ne_u32_e64 s[16:17], v22, v23
	v_cndmask_b32_e64 v17, 0, 1, vcc
	v_cmp_ne_u32_e32 vcc, v12, v13
	v_cndmask_b32_e64 v15, 0, 1, vcc
	v_cmp_ne_u32_e32 vcc, v11, v12
	s_mov_b64 s[18:19], -1
                                        ; implicit-def: $sgpr12_sgpr13
	v_sub_u32_e32 v2, 0, v24
	v_sub_u32_e32 v4, 0, v25
	;; [unrolled: 1-line block ×4, first 2 shown]
	ds_write2st64_b32 v50, v2, v4 offset1:4
	ds_write2st64_b32 v50, v6, v8 offset0:8 offset1:12
	v_sub_u32_e32 v2, 0, v31
	v_sub_u32_e32 v4, 0, v28
	;; [unrolled: 1-line block ×10, first 2 shown]
	ds_write2st64_b32 v50, v2, v4 offset0:16 offset1:20
	ds_write2st64_b32 v50, v6, v8 offset0:24 offset1:28
	;; [unrolled: 1-line block ×5, first 2 shown]
	s_waitcnt lgkmcnt(0)
	s_barrier
	ds_read2_b32 v[42:43], v1 offset1:13
	ds_read2_b32 v[24:25], v1 offset0:7 offset1:8
	ds_read2_b32 v[26:27], v1 offset0:5 offset1:6
	;; [unrolled: 1-line block ×4, first 2 shown]
	v_cndmask_b32_e64 v13, 0, 1, vcc
	v_cmp_ne_u32_e32 vcc, v10, v11
	s_waitcnt lgkmcnt(2)
	v_mov_b32_e32 v10, v26
	s_waitcnt lgkmcnt(1)
	v_mov_b32_e32 v6, v28
	v_mov_b32_e32 v8, v29
	;; [unrolled: 1-line block ×3, first 2 shown]
	ds_read2_b32 v[26:27], v1 offset0:11 offset1:12
	ds_read2_b32 v[28:29], v1 offset0:9 offset1:10
	v_cndmask_b32_e64 v11, 0, 1, vcc
	v_cmp_ne_u32_e32 vcc, v21, v22
	v_mov_b32_e32 v16, v25
	v_cndmask_b32_e64 v25, 0, 1, vcc
	v_cmp_ne_u32_e32 vcc, v20, v21
	v_cndmask_b32_e64 v23, 0, 1, vcc
	v_cmp_ne_u32_e32 vcc, v19, v20
	;; [unrolled: 2-line block ×3, first 2 shown]
	v_mov_b32_e32 v38, v42
	s_waitcnt lgkmcnt(2)
	v_mov_b32_e32 v2, v30
	v_mov_b32_e32 v4, v31
	;; [unrolled: 1-line block ×3, first 2 shown]
	v_cndmask_b32_e64 v19, 0, 1, vcc
	s_waitcnt lgkmcnt(0)
	v_mov_b32_e32 v18, v28
	v_mov_b32_e32 v20, v29
	;; [unrolled: 1-line block ×4, first 2 shown]
.LBB959_90:
	v_pk_mov_b32 v[40:41], s[12:13], s[12:13] op_sel:[0,1]
	s_and_saveexec_b64 s[4:5], s[18:19]
	s_cbranch_execz .LBB959_92
; %bb.91:
	v_cndmask_b32_e64 v41, 0, 1, s[16:17]
	s_waitcnt lgkmcnt(0)
	v_mov_b32_e32 v40, v43
.LBB959_92:
	s_or_b64 exec, exec, s[4:5]
	s_mov_b32 s4, 0
	s_cmp_lg_u32 s51, 0
	v_mbcnt_lo_u32_b32 v52, -1, 0
	v_lshrrev_b32_e32 v1, 6, v0
	v_or_b32_e32 v51, 63, v0
	s_waitcnt lgkmcnt(0)
	s_barrier
	s_cbranch_scc0 .LBB959_121
; %bb.93:
	s_mov_b32 s5, 1
	v_cmp_gt_u64_e64 s[6:7], s[4:5], v[2:3]
	v_cndmask_b32_e64 v27, 0, v38, s[6:7]
	v_add_u32_e32 v27, v27, v2
	v_cmp_gt_u64_e64 s[8:9], s[4:5], v[4:5]
	v_cndmask_b32_e64 v27, 0, v27, s[8:9]
	v_add_u32_e32 v27, v27, v4
	;; [unrolled: 3-line block ×13, first 2 shown]
	v_or3_b32 v27, v41, v25, v23
	v_or3_b32 v27, v27, v21, v19
	;; [unrolled: 1-line block ×6, first 2 shown]
	v_mov_b32_e32 v26, 0
	v_and_b32_e32 v27, 1, v27
	v_cmp_eq_u64_e32 vcc, 0, v[26:27]
	v_cndmask_b32_e32 v26, 1, v39, vcc
	v_mbcnt_hi_u32_b32 v46, -1, v52
	v_mov_b32_dpp v29, v28 row_shr:1 row_mask:0xf bank_mask:0xf
	v_mov_b32_dpp v30, v26 row_shr:1 row_mask:0xf bank_mask:0xf
	v_cmp_eq_u32_e32 vcc, 0, v26
	v_and_b32_e32 v31, 1, v26
	v_and_b32_e32 v27, 15, v46
	v_cndmask_b32_e32 v29, 0, v29, vcc
	v_and_b32_e32 v30, 1, v30
	v_cmp_eq_u32_e32 vcc, 1, v31
	v_cndmask_b32_e64 v30, v30, 1, vcc
	v_cmp_eq_u32_e32 vcc, 0, v27
	v_cndmask_b32_e32 v26, v30, v26, vcc
	v_and_b32_e32 v31, 1, v26
	v_cmp_eq_u32_e64 s[4:5], 1, v31
	v_mov_b32_dpp v30, v26 row_shr:2 row_mask:0xf bank_mask:0xf
	v_and_b32_e32 v30, 1, v30
	v_cndmask_b32_e64 v30, v30, 1, s[4:5]
	v_cmp_lt_u32_e64 s[4:5], 1, v27
	v_cndmask_b32_e64 v29, v29, 0, vcc
	v_cmp_eq_u32_e32 vcc, 0, v26
	v_cndmask_b32_e64 v26, v26, v30, s[4:5]
	v_add_u32_e32 v28, v29, v28
	v_and_b32_e32 v31, 1, v26
	v_mov_b32_dpp v30, v26 row_shr:4 row_mask:0xf bank_mask:0xf
	v_mov_b32_dpp v29, v28 row_shr:2 row_mask:0xf bank_mask:0xf
	s_and_b64 vcc, s[4:5], vcc
	v_and_b32_e32 v30, 1, v30
	v_cmp_eq_u32_e64 s[4:5], 1, v31
	v_cndmask_b32_e32 v29, 0, v29, vcc
	v_cndmask_b32_e64 v30, v30, 1, s[4:5]
	v_cmp_lt_u32_e64 s[4:5], 3, v27
	v_add_u32_e32 v28, v29, v28
	v_cmp_eq_u32_e32 vcc, 0, v26
	v_cndmask_b32_e64 v26, v26, v30, s[4:5]
	v_mov_b32_dpp v29, v28 row_shr:4 row_mask:0xf bank_mask:0xf
	s_and_b64 vcc, s[4:5], vcc
	v_mov_b32_dpp v30, v26 row_shr:8 row_mask:0xf bank_mask:0xf
	v_and_b32_e32 v31, 1, v26
	v_cndmask_b32_e32 v29, 0, v29, vcc
	v_and_b32_e32 v30, 1, v30
	v_cmp_eq_u32_e64 s[4:5], 1, v31
	v_add_u32_e32 v28, v29, v28
	v_cmp_eq_u32_e32 vcc, 0, v26
	v_cndmask_b32_e64 v30, v30, 1, s[4:5]
	v_cmp_lt_u32_e64 s[4:5], 7, v27
	v_mov_b32_dpp v29, v28 row_shr:8 row_mask:0xf bank_mask:0xf
	s_and_b64 vcc, s[4:5], vcc
	v_cndmask_b32_e32 v27, 0, v29, vcc
	v_cndmask_b32_e64 v26, v26, v30, s[4:5]
	v_add_u32_e32 v27, v27, v28
	v_cmp_eq_u32_e32 vcc, 0, v26
	v_mov_b32_dpp v29, v26 row_bcast:15 row_mask:0xf bank_mask:0xf
	v_mov_b32_dpp v28, v27 row_bcast:15 row_mask:0xf bank_mask:0xf
	v_and_b32_e32 v32, 1, v26
	v_and_b32_e32 v31, 16, v46
	v_cndmask_b32_e32 v28, 0, v28, vcc
	v_and_b32_e32 v29, 1, v29
	v_cmp_eq_u32_e32 vcc, 1, v32
	v_bfe_i32 v30, v46, 4, 1
	v_cndmask_b32_e64 v29, v29, 1, vcc
	v_cmp_eq_u32_e32 vcc, 0, v31
	v_and_b32_e32 v28, v30, v28
	v_cndmask_b32_e32 v26, v29, v26, vcc
	v_add_u32_e32 v27, v28, v27
	v_and_b32_e32 v30, 1, v26
	v_mov_b32_dpp v28, v26 row_bcast:31 row_mask:0xf bank_mask:0xf
	v_and_b32_e32 v28, 1, v28
	v_cmp_eq_u32_e64 s[4:5], 1, v30
	v_cmp_eq_u32_e32 vcc, 0, v26
	v_cndmask_b32_e64 v28, v28, 1, s[4:5]
	v_cmp_lt_u32_e64 s[4:5], 31, v46
	v_mov_b32_dpp v29, v27 row_bcast:31 row_mask:0xf bank_mask:0xf
	s_and_b64 vcc, s[4:5], vcc
	v_cndmask_b32_e64 v28, v26, v28, s[4:5]
	v_cndmask_b32_e32 v26, 0, v29, vcc
	v_add_u32_e32 v29, v26, v27
	v_cmp_eq_u32_e32 vcc, v51, v0
	s_and_saveexec_b64 s[4:5], vcc
	s_cbranch_execz .LBB959_95
; %bb.94:
	v_lshlrev_b32_e32 v26, 3, v1
	ds_write_b32 v26, v29
	ds_write_b8 v26, v28 offset:4
.LBB959_95:
	s_or_b64 exec, exec, s[4:5]
	v_cmp_gt_u32_e32 vcc, 4, v0
	s_waitcnt lgkmcnt(0)
	s_barrier
	s_and_saveexec_b64 s[4:5], vcc
	s_cbranch_execz .LBB959_99
; %bb.96:
	v_lshlrev_b32_e32 v30, 3, v0
	ds_read_b64 v[26:27], v30
	v_and_b32_e32 v31, 3, v46
	v_cmp_ne_u32_e32 vcc, 0, v31
	s_waitcnt lgkmcnt(0)
	v_mov_b32_dpp v32, v26 row_shr:1 row_mask:0xf bank_mask:0xf
	v_mov_b32_dpp v34, v27 row_shr:1 row_mask:0xf bank_mask:0xf
	v_mov_b32_e32 v33, v27
	s_and_saveexec_b64 s[34:35], vcc
	s_cbranch_execz .LBB959_98
; %bb.97:
	v_and_b32_e32 v33, 1, v27
	v_and_b32_e32 v34, 1, v34
	v_cmp_eq_u32_e32 vcc, 1, v33
	v_mov_b32_e32 v33, 0
	v_cndmask_b32_e64 v34, v34, 1, vcc
	v_cmp_eq_u16_sdwa vcc, v27, v33 src0_sel:BYTE_0 src1_sel:DWORD
	v_cndmask_b32_e32 v32, 0, v32, vcc
	v_add_u32_e32 v26, v32, v26
	v_and_b32_e32 v32, 0xffff, v34
	s_movk_i32 s40, 0xff00
	v_and_or_b32 v33, v27, s40, v32
	v_mov_b32_e32 v27, v34
.LBB959_98:
	s_or_b64 exec, exec, s[34:35]
	v_mov_b32_dpp v33, v33 row_shr:2 row_mask:0xf bank_mask:0xf
	v_and_b32_e32 v34, 1, v27
	v_and_b32_e32 v33, 1, v33
	v_cmp_eq_u32_e32 vcc, 1, v34
	v_mov_b32_e32 v34, 0
	v_cndmask_b32_e64 v33, v33, 1, vcc
	v_cmp_eq_u16_sdwa s[34:35], v27, v34 src0_sel:BYTE_0 src1_sel:DWORD
	v_cmp_lt_u32_e32 vcc, 1, v31
	v_mov_b32_dpp v32, v26 row_shr:2 row_mask:0xf bank_mask:0xf
	v_cndmask_b32_e32 v27, v27, v33, vcc
	s_and_b64 vcc, vcc, s[34:35]
	v_cndmask_b32_e32 v31, 0, v32, vcc
	v_add_u32_e32 v26, v31, v26
	ds_write_b32 v30, v26
	ds_write_b8 v30, v27 offset:4
.LBB959_99:
	s_or_b64 exec, exec, s[4:5]
	v_cmp_gt_u32_e32 vcc, 64, v0
	v_cmp_lt_u32_e64 s[4:5], 63, v0
	v_mov_b32_e32 v42, 0
	v_mov_b32_e32 v43, 0
	s_waitcnt lgkmcnt(0)
	s_barrier
	s_and_saveexec_b64 s[34:35], s[4:5]
	s_cbranch_execz .LBB959_101
; %bb.100:
	v_lshl_add_u32 v26, v1, 3, -8
	ds_read_b32 v42, v26
	ds_read_u8 v43, v26 offset:4
	v_and_b32_e32 v27, 1, v28
	v_cmp_eq_u32_e64 s[4:5], 0, v28
	s_waitcnt lgkmcnt(0)
	v_cndmask_b32_e64 v26, 0, v42, s[4:5]
	v_cmp_eq_u32_e64 s[4:5], 1, v27
	v_add_u32_e32 v29, v26, v29
	v_cndmask_b32_e64 v28, v43, 1, s[4:5]
.LBB959_101:
	s_or_b64 exec, exec, s[34:35]
	v_add_u32_e32 v26, -1, v46
	v_and_b32_e32 v27, 64, v46
	v_cmp_lt_i32_e64 s[4:5], v26, v27
	v_cndmask_b32_e64 v26, v26, v46, s[4:5]
	v_lshlrev_b32_e32 v26, 2, v26
	s_waitcnt vmcnt(0)
	ds_bpermute_b32 v44, v26, v29
	ds_bpermute_b32 v45, v26, v28
	v_cmp_eq_u32_e64 s[34:35], 0, v46
	s_and_saveexec_b64 s[40:41], vcc
	s_cbranch_execz .LBB959_120
; %bb.102:
	v_mov_b32_e32 v29, 0
	ds_read_b64 v[26:27], v29 offset:24
	s_waitcnt lgkmcnt(0)
	v_readfirstlane_b32 s58, v27
	s_and_saveexec_b64 s[4:5], s[34:35]
	s_cbranch_execz .LBB959_104
; %bb.103:
	s_add_i32 s46, s51, 64
	s_mov_b32 s47, 0
	s_lshl_b64 s[56:57], s[46:47], 4
	s_add_u32 s56, s48, s56
	s_addc_u32 s57, s49, s57
	s_and_b32 s61, s58, 0xff000000
	s_mov_b32 s60, s47
	s_and_b32 s63, s58, 0xff0000
	s_mov_b32 s62, s47
	s_or_b64 s[60:61], s[62:63], s[60:61]
	s_and_b32 s63, s58, 0xff00
	s_or_b64 s[60:61], s[60:61], s[62:63]
	s_and_b32 s63, s58, 0xff
	s_or_b64 s[46:47], s[60:61], s[62:63]
	v_mov_b32_e32 v27, s47
	v_mov_b32_e32 v28, 1
	v_pk_mov_b32 v[30:31], s[56:57], s[56:57] op_sel:[0,1]
	;;#ASMSTART
	global_store_dwordx4 v[30:31], v[26:29] off	
s_waitcnt vmcnt(0)
	;;#ASMEND
.LBB959_104:
	s_or_b64 exec, exec, s[4:5]
	v_xad_u32 v34, v46, -1, s51
	v_add_u32_e32 v28, 64, v34
	v_lshlrev_b64 v[30:31], 4, v[28:29]
	v_mov_b32_e32 v27, s49
	v_add_co_u32_e32 v36, vcc, s48, v30
	v_addc_co_u32_e32 v37, vcc, v27, v31, vcc
	;;#ASMSTART
	global_load_dwordx4 v[30:33], v[36:37] off glc	
s_waitcnt vmcnt(0)
	;;#ASMEND
	v_and_b32_e32 v27, 0xff0000, v30
	v_or_b32_sdwa v27, v30, v27 dst_sel:DWORD dst_unused:UNUSED_PAD src0_sel:WORD_0 src1_sel:DWORD
	v_and_b32_e32 v28, 0xff000000, v30
	v_and_b32_e32 v30, 0xff, v31
	v_or3_b32 v31, 0, 0, v30
	v_or3_b32 v30, v27, v28, 0
	v_cmp_eq_u16_sdwa s[46:47], v32, v29 src0_sel:BYTE_0 src1_sel:DWORD
	s_and_saveexec_b64 s[4:5], s[46:47]
	s_cbranch_execz .LBB959_108
; %bb.105:
	s_mov_b64 s[46:47], 0
	v_mov_b32_e32 v27, 0
.LBB959_106:                            ; =>This Inner Loop Header: Depth=1
	;;#ASMSTART
	global_load_dwordx4 v[30:33], v[36:37] off glc	
s_waitcnt vmcnt(0)
	;;#ASMEND
	v_cmp_ne_u16_sdwa s[56:57], v32, v27 src0_sel:BYTE_0 src1_sel:DWORD
	s_or_b64 s[46:47], s[56:57], s[46:47]
	s_andn2_b64 exec, exec, s[46:47]
	s_cbranch_execnz .LBB959_106
; %bb.107:
	s_or_b64 exec, exec, s[46:47]
	v_and_b32_e32 v31, 0xff, v31
.LBB959_108:
	s_or_b64 exec, exec, s[4:5]
	v_mov_b32_e32 v27, 2
	v_cmp_eq_u16_sdwa s[4:5], v32, v27 src0_sel:BYTE_0 src1_sel:DWORD
	v_lshlrev_b64 v[28:29], v46, -1
	v_and_b32_e32 v33, s5, v29
	v_or_b32_e32 v33, 0x80000000, v33
	v_and_b32_e32 v35, s4, v28
	v_ffbl_b32_e32 v33, v33
	v_and_b32_e32 v47, 63, v46
	v_add_u32_e32 v33, 32, v33
	v_ffbl_b32_e32 v35, v35
	v_cmp_ne_u32_e32 vcc, 63, v47
	v_min_u32_e32 v33, v35, v33
	v_addc_co_u32_e32 v35, vcc, 0, v46, vcc
	v_lshlrev_b32_e32 v48, 2, v35
	ds_bpermute_b32 v35, v48, v31
	ds_bpermute_b32 v36, v48, v30
	s_mov_b32 s46, 0
	v_and_b32_e32 v37, 1, v31
	s_mov_b32 s47, 1
	s_waitcnt lgkmcnt(1)
	v_and_b32_e32 v35, 1, v35
	v_cmp_eq_u32_e32 vcc, 1, v37
	v_cndmask_b32_e64 v35, v35, 1, vcc
	v_cmp_gt_u64_e32 vcc, s[46:47], v[30:31]
	v_cmp_lt_u32_e64 s[4:5], v47, v33
	s_and_b64 vcc, s[4:5], vcc
	v_and_b32_e32 v37, 0xffff, v35
	v_cndmask_b32_e64 v54, v31, v35, s[4:5]
	s_waitcnt lgkmcnt(0)
	v_cndmask_b32_e32 v35, 0, v36, vcc
	v_cmp_gt_u32_e32 vcc, 62, v47
	v_cndmask_b32_e64 v36, 0, 1, vcc
	v_lshlrev_b32_e32 v36, 1, v36
	v_cndmask_b32_e64 v31, v31, v37, s[4:5]
	v_add_lshl_u32 v49, v36, v46, 2
	ds_bpermute_b32 v36, v49, v31
	v_add_u32_e32 v30, v35, v30
	ds_bpermute_b32 v37, v49, v30
	v_and_b32_e32 v35, 1, v54
	v_cmp_eq_u32_e32 vcc, 1, v35
	s_waitcnt lgkmcnt(1)
	v_and_b32_e32 v36, 1, v36
	v_mov_b32_e32 v35, 0
	v_add_u32_e32 v53, 2, v47
	v_cndmask_b32_e64 v36, v36, 1, vcc
	v_cmp_eq_u16_sdwa vcc, v54, v35 src0_sel:BYTE_0 src1_sel:DWORD
	v_and_b32_e32 v55, 0xffff, v36
	s_waitcnt lgkmcnt(0)
	v_cndmask_b32_e32 v37, 0, v37, vcc
	v_cmp_gt_u32_e32 vcc, v53, v33
	v_cndmask_b32_e32 v36, v36, v54, vcc
	v_cndmask_b32_e64 v37, v37, 0, vcc
	v_cndmask_b32_e32 v31, v55, v31, vcc
	v_cmp_gt_u32_e32 vcc, 60, v47
	v_cndmask_b32_e64 v54, 0, 1, vcc
	v_lshlrev_b32_e32 v54, 2, v54
	v_add_lshl_u32 v54, v54, v46, 2
	ds_bpermute_b32 v56, v54, v31
	v_add_u32_e32 v30, v37, v30
	ds_bpermute_b32 v37, v54, v30
	v_and_b32_e32 v57, 1, v36
	v_cmp_eq_u32_e32 vcc, 1, v57
	s_waitcnt lgkmcnt(1)
	v_and_b32_e32 v56, 1, v56
	v_add_u32_e32 v55, 4, v47
	v_cndmask_b32_e64 v56, v56, 1, vcc
	v_cmp_eq_u16_sdwa vcc, v36, v35 src0_sel:BYTE_0 src1_sel:DWORD
	v_and_b32_e32 v57, 0xffff, v56
	s_waitcnt lgkmcnt(0)
	v_cndmask_b32_e32 v37, 0, v37, vcc
	v_cmp_gt_u32_e32 vcc, v55, v33
	v_cndmask_b32_e32 v36, v56, v36, vcc
	v_cndmask_b32_e64 v37, v37, 0, vcc
	v_cndmask_b32_e32 v31, v57, v31, vcc
	v_cmp_gt_u32_e32 vcc, 56, v47
	v_cndmask_b32_e64 v56, 0, 1, vcc
	v_lshlrev_b32_e32 v56, 3, v56
	v_add_lshl_u32 v56, v56, v46, 2
	ds_bpermute_b32 v58, v56, v31
	v_add_u32_e32 v30, v37, v30
	ds_bpermute_b32 v37, v56, v30
	v_and_b32_e32 v59, 1, v36
	v_cmp_eq_u32_e32 vcc, 1, v59
	s_waitcnt lgkmcnt(1)
	v_and_b32_e32 v58, 1, v58
	;; [unrolled: 21-line block ×4, first 2 shown]
	v_add_u32_e32 v62, 32, v47
	v_cndmask_b32_e64 v31, v31, 1, vcc
	v_cmp_eq_u16_sdwa vcc, v36, v35 src0_sel:BYTE_0 src1_sel:DWORD
	s_waitcnt lgkmcnt(0)
	v_cndmask_b32_e32 v37, 0, v37, vcc
	v_cmp_gt_u32_e32 vcc, v62, v33
	v_cndmask_b32_e64 v33, v37, 0, vcc
	v_cndmask_b32_e32 v31, v31, v36, vcc
	v_add_u32_e32 v30, v33, v30
	s_branch .LBB959_110
.LBB959_109:                            ;   in Loop: Header=BB959_110 Depth=1
	s_or_b64 exec, exec, s[4:5]
	v_cmp_eq_u16_sdwa s[4:5], v32, v27 src0_sel:BYTE_0 src1_sel:DWORD
	v_and_b32_e32 v33, s5, v29
	ds_bpermute_b32 v37, v48, v31
	v_or_b32_e32 v33, 0x80000000, v33
	v_and_b32_e32 v36, s4, v28
	v_ffbl_b32_e32 v33, v33
	v_add_u32_e32 v33, 32, v33
	v_ffbl_b32_e32 v36, v36
	v_min_u32_e32 v33, v36, v33
	ds_bpermute_b32 v36, v48, v30
	v_and_b32_e32 v63, 1, v31
	s_waitcnt lgkmcnt(1)
	v_and_b32_e32 v37, 1, v37
	v_cmp_eq_u32_e32 vcc, 1, v63
	v_cndmask_b32_e64 v37, v37, 1, vcc
	v_cmp_gt_u64_e32 vcc, s[46:47], v[30:31]
	v_and_b32_e32 v63, 0xffff, v37
	v_cmp_lt_u32_e64 s[4:5], v47, v33
	v_cndmask_b32_e64 v37, v31, v37, s[4:5]
	v_cndmask_b32_e64 v31, v31, v63, s[4:5]
	s_and_b64 vcc, s[4:5], vcc
	ds_bpermute_b32 v63, v49, v31
	s_waitcnt lgkmcnt(1)
	v_cndmask_b32_e32 v36, 0, v36, vcc
	v_add_u32_e32 v30, v36, v30
	ds_bpermute_b32 v36, v49, v30
	v_and_b32_e32 v64, 1, v37
	s_waitcnt lgkmcnt(1)
	v_and_b32_e32 v63, 1, v63
	v_cmp_eq_u32_e32 vcc, 1, v64
	v_cndmask_b32_e64 v63, v63, 1, vcc
	v_cmp_eq_u16_sdwa vcc, v37, v35 src0_sel:BYTE_0 src1_sel:DWORD
	v_and_b32_e32 v64, 0xffff, v63
	s_waitcnt lgkmcnt(0)
	v_cndmask_b32_e32 v36, 0, v36, vcc
	v_cmp_gt_u32_e32 vcc, v53, v33
	v_cndmask_b32_e32 v31, v64, v31, vcc
	v_cndmask_b32_e32 v37, v63, v37, vcc
	ds_bpermute_b32 v63, v54, v31
	v_cndmask_b32_e64 v36, v36, 0, vcc
	v_add_u32_e32 v30, v36, v30
	ds_bpermute_b32 v36, v54, v30
	v_and_b32_e32 v64, 1, v37
	s_waitcnt lgkmcnt(1)
	v_and_b32_e32 v63, 1, v63
	v_cmp_eq_u32_e32 vcc, 1, v64
	v_cndmask_b32_e64 v63, v63, 1, vcc
	v_cmp_eq_u16_sdwa vcc, v37, v35 src0_sel:BYTE_0 src1_sel:DWORD
	v_and_b32_e32 v64, 0xffff, v63
	s_waitcnt lgkmcnt(0)
	v_cndmask_b32_e32 v36, 0, v36, vcc
	v_cmp_gt_u32_e32 vcc, v55, v33
	v_cndmask_b32_e32 v31, v64, v31, vcc
	v_cndmask_b32_e32 v37, v63, v37, vcc
	ds_bpermute_b32 v63, v56, v31
	v_cndmask_b32_e64 v36, v36, 0, vcc
	;; [unrolled: 16-line block ×3, first 2 shown]
	v_add_u32_e32 v30, v36, v30
	ds_bpermute_b32 v36, v58, v30
	v_and_b32_e32 v64, 1, v37
	s_waitcnt lgkmcnt(1)
	v_and_b32_e32 v63, 1, v63
	v_cmp_eq_u32_e32 vcc, 1, v64
	v_cndmask_b32_e64 v63, v63, 1, vcc
	v_cmp_eq_u16_sdwa vcc, v37, v35 src0_sel:BYTE_0 src1_sel:DWORD
	v_and_b32_e32 v64, 0xffff, v63
	s_waitcnt lgkmcnt(0)
	v_cndmask_b32_e32 v36, 0, v36, vcc
	v_cmp_gt_u32_e32 vcc, v59, v33
	v_cndmask_b32_e64 v36, v36, 0, vcc
	v_cndmask_b32_e32 v31, v64, v31, vcc
	ds_bpermute_b32 v31, v61, v31
	v_add_u32_e32 v30, v36, v30
	ds_bpermute_b32 v36, v61, v30
	v_cndmask_b32_e32 v37, v63, v37, vcc
	v_and_b32_e32 v63, 1, v37
	v_cmp_eq_u32_e32 vcc, 1, v63
	s_waitcnt lgkmcnt(1)
	v_cndmask_b32_e64 v31, v31, 1, vcc
	v_cmp_eq_u16_sdwa vcc, v37, v35 src0_sel:BYTE_0 src1_sel:DWORD
	s_waitcnt lgkmcnt(0)
	v_cndmask_b32_e32 v36, 0, v36, vcc
	v_cmp_gt_u32_e32 vcc, v62, v33
	v_cndmask_b32_e64 v33, v36, 0, vcc
	v_cndmask_b32_e32 v31, v31, v37, vcc
	v_add_u32_e32 v30, v33, v30
	v_cmp_eq_u16_sdwa vcc, v46, v35 src0_sel:BYTE_0 src1_sel:DWORD
	v_and_b32_e32 v33, 1, v46
	v_cndmask_b32_e32 v30, 0, v30, vcc
	v_and_b32_e32 v31, 1, v31
	v_cmp_eq_u32_e32 vcc, 1, v33
	v_subrev_u32_e32 v34, 64, v34
	v_add_u32_e32 v30, v30, v60
	v_cndmask_b32_e64 v31, v31, 1, vcc
.LBB959_110:                            ; =>This Loop Header: Depth=1
                                        ;     Child Loop BB959_113 Depth 2
	v_cmp_ne_u16_sdwa s[4:5], v32, v27 src0_sel:BYTE_0 src1_sel:DWORD
	v_mov_b32_e32 v46, v31
	v_cndmask_b32_e64 v31, 0, 1, s[4:5]
	;;#ASMSTART
	;;#ASMEND
	v_cmp_ne_u32_e32 vcc, 0, v31
	s_cmp_lg_u64 vcc, exec
	v_mov_b32_e32 v60, v30
	s_cbranch_scc1 .LBB959_115
; %bb.111:                              ;   in Loop: Header=BB959_110 Depth=1
	v_lshlrev_b64 v[30:31], 4, v[34:35]
	v_mov_b32_e32 v32, s49
	v_add_co_u32_e32 v36, vcc, s48, v30
	v_addc_co_u32_e32 v37, vcc, v32, v31, vcc
	;;#ASMSTART
	global_load_dwordx4 v[30:33], v[36:37] off glc	
s_waitcnt vmcnt(0)
	;;#ASMEND
	v_and_b32_e32 v33, 0xff0000, v30
	v_or_b32_sdwa v33, v30, v33 dst_sel:DWORD dst_unused:UNUSED_PAD src0_sel:WORD_0 src1_sel:DWORD
	v_and_b32_e32 v30, 0xff000000, v30
	v_and_b32_e32 v31, 0xff, v31
	v_or3_b32 v31, 0, 0, v31
	v_or3_b32 v30, v33, v30, 0
	v_cmp_eq_u16_sdwa s[56:57], v32, v35 src0_sel:BYTE_0 src1_sel:DWORD
	s_and_saveexec_b64 s[4:5], s[56:57]
	s_cbranch_execz .LBB959_109
; %bb.112:                              ;   in Loop: Header=BB959_110 Depth=1
	s_mov_b64 s[56:57], 0
.LBB959_113:                            ;   Parent Loop BB959_110 Depth=1
                                        ; =>  This Inner Loop Header: Depth=2
	;;#ASMSTART
	global_load_dwordx4 v[30:33], v[36:37] off glc	
s_waitcnt vmcnt(0)
	;;#ASMEND
	v_cmp_ne_u16_sdwa s[60:61], v32, v35 src0_sel:BYTE_0 src1_sel:DWORD
	s_or_b64 s[56:57], s[60:61], s[56:57]
	s_andn2_b64 exec, exec, s[56:57]
	s_cbranch_execnz .LBB959_113
; %bb.114:                              ;   in Loop: Header=BB959_110 Depth=1
	s_or_b64 exec, exec, s[56:57]
	v_and_b32_e32 v31, 0xff, v31
	s_branch .LBB959_109
.LBB959_115:                            ;   in Loop: Header=BB959_110 Depth=1
                                        ; implicit-def: $vgpr31
                                        ; implicit-def: $vgpr30
                                        ; implicit-def: $vgpr32
	s_cbranch_execz .LBB959_110
; %bb.116:
	s_and_saveexec_b64 s[4:5], s[34:35]
	s_cbranch_execz .LBB959_118
; %bb.117:
	s_and_b32 s46, s58, 0xff
	s_cmp_eq_u32 s46, 0
	s_cselect_b64 vcc, -1, 0
	s_bitcmp1_b32 s58, 0
	s_mov_b32 s47, 0
	s_cselect_b64 s[56:57], -1, 0
	s_add_i32 s46, s51, 64
	s_lshl_b64 s[46:47], s[46:47], 4
	v_cndmask_b32_e32 v27, 0, v60, vcc
	s_add_u32 s46, s48, s46
	v_add_u32_e32 v26, v27, v26
	v_and_b32_e32 v27, 1, v46
	s_addc_u32 s47, s49, s47
	v_mov_b32_e32 v29, 0
	v_cndmask_b32_e64 v27, v27, 1, s[56:57]
	v_mov_b32_e32 v28, 2
	v_pk_mov_b32 v[30:31], s[46:47], s[46:47] op_sel:[0,1]
	;;#ASMSTART
	global_store_dwordx4 v[30:31], v[26:29] off	
s_waitcnt vmcnt(0)
	;;#ASMEND
.LBB959_118:
	s_or_b64 exec, exec, s[4:5]
	s_and_b64 exec, exec, s[0:1]
	s_cbranch_execz .LBB959_120
; %bb.119:
	v_mov_b32_e32 v26, 0
	ds_write_b32 v26, v60 offset:24
	ds_write_b8 v26, v46 offset:28
.LBB959_120:
	s_or_b64 exec, exec, s[40:41]
	s_mov_b32 s4, 0
	v_mov_b32_e32 v28, 0
	s_mov_b32 s5, 1
	s_waitcnt lgkmcnt(0)
	v_cndmask_b32_e64 v26, v45, v43, s[34:35]
	v_cndmask_b32_e64 v27, v44, v42, s[34:35]
	s_barrier
	ds_read_b32 v29, v28 offset:24
	v_cmp_gt_u64_e32 vcc, s[4:5], v[38:39]
	v_and_b32_e32 v30, 1, v39
	v_cndmask_b32_e32 v27, 0, v27, vcc
	v_and_b32_e32 v26, 1, v26
	v_cmp_eq_u32_e32 vcc, 1, v30
	v_cndmask_b32_e64 v26, v26, 1, vcc
	v_cndmask_b32_e64 v26, v26, v39, s[0:1]
	v_cmp_eq_u16_sdwa vcc, v26, v28 src0_sel:BYTE_0 src1_sel:DWORD
	v_cndmask_b32_e64 v27, v27, 0, s[0:1]
	s_waitcnt lgkmcnt(0)
	v_cndmask_b32_e32 v26, 0, v29, vcc
	v_add3_u32 v26, v27, v38, v26
	v_cndmask_b32_e64 v27, 0, v26, s[6:7]
	v_add_u32_e32 v27, v27, v2
	v_cndmask_b32_e64 v28, 0, v27, s[8:9]
	v_add_u32_e32 v42, v28, v4
	;; [unrolled: 2-line block ×13, first 2 shown]
	s_branch .LBB959_137
.LBB959_121:
                                        ; implicit-def: $vgpr49
                                        ; implicit-def: $vgpr47
                                        ; implicit-def: $vgpr45
                                        ; implicit-def: $vgpr43
                                        ; implicit-def: $vgpr34_vgpr35_vgpr36_vgpr37
                                        ; implicit-def: $vgpr30_vgpr31_vgpr32_vgpr33
                                        ; implicit-def: $vgpr26_vgpr27_vgpr28_vgpr29
	s_cbranch_execz .LBB959_137
; %bb.122:
	s_cmp_lg_u64 s[54:55], 0
	s_cselect_b32 s9, s43, 0
	s_cselect_b32 s8, s42, 0
	s_cmp_lg_u64 s[8:9], 0
	s_cselect_b64 s[6:7], -1, 0
	s_mov_b32 s4, 0
	s_and_b64 s[10:11], s[0:1], s[6:7]
	s_and_saveexec_b64 s[6:7], s[10:11]
	s_cbranch_execz .LBB959_124
; %bb.123:
	v_mov_b32_e32 v26, 0
	global_load_dword v28, v26, s[8:9]
	global_load_ubyte v29, v26, s[8:9] offset:4
	s_mov_b32 s5, 1
	v_and_b32_e32 v27, 1, v39
	v_cmp_gt_u64_e32 vcc, s[4:5], v[38:39]
	s_waitcnt vmcnt(0)
	v_cndmask_b32_e32 v28, 0, v28, vcc
	v_and_b32_e32 v29, 1, v29
	v_cmp_eq_u64_e32 vcc, 0, v[26:27]
	v_add_u32_e32 v38, v28, v38
	v_cndmask_b32_e32 v39, 1, v29, vcc
.LBB959_124:
	s_or_b64 exec, exec, s[6:7]
	s_mov_b32 s5, 1
	v_cmp_gt_u64_e32 vcc, s[4:5], v[2:3]
	v_cndmask_b32_e32 v26, 0, v38, vcc
	v_add_u32_e32 v27, v26, v2
	v_cmp_gt_u64_e64 s[6:7], s[4:5], v[4:5]
	v_cndmask_b32_e64 v26, 0, v27, s[6:7]
	v_add_u32_e32 v42, v26, v4
	v_cmp_gt_u64_e64 s[8:9], s[4:5], v[6:7]
	v_cndmask_b32_e64 v26, 0, v42, s[8:9]
	;; [unrolled: 3-line block ×5, first 2 shown]
	s_waitcnt vmcnt(0)
	v_add_u32_e32 v44, v26, v12
	v_cmp_gt_u64_e64 s[16:17], s[4:5], v[14:15]
	v_cndmask_b32_e64 v26, 0, v44, s[16:17]
	v_add_u32_e32 v45, v26, v14
	v_cmp_gt_u64_e64 s[18:19], s[4:5], v[16:17]
	v_mov_b32_e32 v28, 0
	v_cndmask_b32_e64 v26, 0, v45, s[18:19]
	v_or3_b32 v7, v23, v15, v7
	v_add_u32_e32 v34, v26, v16
	v_cmp_gt_u64_e64 s[20:21], s[4:5], v[18:19]
	v_or3_b32 v9, v25, v17, v9
	v_and_b32_e32 v55, 1, v7
	v_mov_b32_e32 v54, v28
	v_cndmask_b32_e64 v26, 0, v34, s[20:21]
	v_or3_b32 v3, v19, v11, v3
	v_and_b32_e32 v37, 1, v9
	v_mov_b32_e32 v36, v28
	v_cmp_ne_u64_e64 s[30:31], 0, v[54:55]
	v_add_u32_e32 v35, v26, v18
	v_cmp_gt_u64_e64 s[22:23], s[4:5], v[20:21]
	v_or3_b32 v5, v21, v13, v5
	v_and_b32_e32 v29, 1, v3
	v_cndmask_b32_e64 v3, 0, 1, s[30:31]
	v_cmp_ne_u64_e64 s[30:31], 0, v[36:37]
	v_cndmask_b32_e64 v26, 0, v35, s[22:23]
	v_and_b32_e32 v33, 1, v5
	v_mov_b32_e32 v32, v28
	v_cndmask_b32_e64 v5, 0, 1, s[30:31]
	v_add_u32_e32 v46, v26, v20
	v_cmp_gt_u64_e64 s[24:25], s[4:5], v[22:23]
	v_lshlrev_b16_e32 v3, 2, v3
	v_lshlrev_b16_e32 v5, 3, v5
	v_cmp_ne_u64_e64 s[30:31], 0, v[32:33]
	v_cndmask_b32_e64 v26, 0, v46, s[24:25]
	v_or_b32_e32 v3, v5, v3
	v_cndmask_b32_e64 v5, 0, 1, s[30:31]
	v_cmp_ne_u64_e64 s[30:31], 0, v[28:29]
	v_add_u32_e32 v47, v26, v22
	v_cmp_gt_u64_e64 s[26:27], s[4:5], v[24:25]
	v_lshlrev_b16_e32 v5, 1, v5
	v_cndmask_b32_e64 v7, 0, 1, s[30:31]
	v_cndmask_b32_e64 v26, 0, v47, s[26:27]
	v_or_b32_e32 v5, v7, v5
	v_add_u32_e32 v48, v26, v24
	v_cmp_gt_u64_e64 s[28:29], s[4:5], v[40:41]
	v_and_b32_e32 v5, 3, v5
	v_cndmask_b32_e64 v26, 0, v48, s[28:29]
	v_or_b32_e32 v3, v5, v3
	v_add_u32_e32 v49, v26, v40
	v_and_b32_e32 v26, 1, v41
	v_and_b32_e32 v3, 15, v3
	v_cmp_eq_u32_e64 s[4:5], 1, v26
	v_cmp_ne_u16_e64 s[30:31], 0, v3
	s_or_b64 s[4:5], s[4:5], s[30:31]
	v_cndmask_b32_e64 v5, v39, 1, s[4:5]
	v_mbcnt_hi_u32_b32 v3, -1, v52
	v_mov_b32_dpp v9, v49 row_shr:1 row_mask:0xf bank_mask:0xf
	v_mov_b32_dpp v11, v5 row_shr:1 row_mask:0xf bank_mask:0xf
	v_cmp_eq_u32_e64 s[4:5], 0, v5
	v_and_b32_e32 v13, 1, v5
	v_and_b32_e32 v7, 15, v3
	v_cndmask_b32_e64 v9, 0, v9, s[4:5]
	v_and_b32_e32 v11, 1, v11
	v_cmp_eq_u32_e64 s[4:5], 1, v13
	v_cndmask_b32_e64 v11, v11, 1, s[4:5]
	v_cmp_eq_u32_e64 s[4:5], 0, v7
	v_cndmask_b32_e64 v5, v11, v5, s[4:5]
	v_and_b32_e32 v15, 1, v5
	v_cmp_eq_u32_e64 s[30:31], 1, v15
	v_mov_b32_dpp v13, v5 row_shr:2 row_mask:0xf bank_mask:0xf
	v_and_b32_e32 v13, 1, v13
	v_cndmask_b32_e64 v13, v13, 1, s[30:31]
	v_cmp_lt_u32_e64 s[30:31], 1, v7
	v_cndmask_b32_e64 v9, v9, 0, s[4:5]
	v_cmp_eq_u32_e64 s[4:5], 0, v5
	v_cndmask_b32_e64 v5, v5, v13, s[30:31]
	v_add_u32_e32 v9, v49, v9
	v_and_b32_e32 v15, 1, v5
	v_mov_b32_dpp v13, v5 row_shr:4 row_mask:0xf bank_mask:0xf
	v_mov_b32_dpp v11, v9 row_shr:2 row_mask:0xf bank_mask:0xf
	s_and_b64 s[4:5], s[30:31], s[4:5]
	v_and_b32_e32 v13, 1, v13
	v_cmp_eq_u32_e64 s[30:31], 1, v15
	v_cndmask_b32_e64 v11, 0, v11, s[4:5]
	v_cndmask_b32_e64 v13, v13, 1, s[30:31]
	v_cmp_lt_u32_e64 s[30:31], 3, v7
	v_add_u32_e32 v9, v9, v11
	v_cmp_eq_u32_e64 s[4:5], 0, v5
	v_cndmask_b32_e64 v5, v5, v13, s[30:31]
	v_mov_b32_dpp v11, v9 row_shr:4 row_mask:0xf bank_mask:0xf
	s_and_b64 s[4:5], s[30:31], s[4:5]
	v_mov_b32_dpp v13, v5 row_shr:8 row_mask:0xf bank_mask:0xf
	v_and_b32_e32 v15, 1, v5
	v_cndmask_b32_e64 v11, 0, v11, s[4:5]
	v_and_b32_e32 v13, 1, v13
	v_cmp_eq_u32_e64 s[30:31], 1, v15
	v_add_u32_e32 v9, v9, v11
	v_cmp_eq_u32_e64 s[4:5], 0, v5
	v_cndmask_b32_e64 v13, v13, 1, s[30:31]
	v_cmp_lt_u32_e64 s[30:31], 7, v7
	v_mov_b32_dpp v11, v9 row_shr:8 row_mask:0xf bank_mask:0xf
	s_and_b64 s[4:5], s[30:31], s[4:5]
	v_cndmask_b32_e64 v7, 0, v11, s[4:5]
	v_cndmask_b32_e64 v5, v5, v13, s[30:31]
	v_add_u32_e32 v7, v9, v7
	v_cmp_eq_u32_e64 s[4:5], 0, v5
	v_mov_b32_dpp v11, v5 row_bcast:15 row_mask:0xf bank_mask:0xf
	v_mov_b32_dpp v9, v7 row_bcast:15 row_mask:0xf bank_mask:0xf
	v_and_b32_e32 v17, 1, v5
	v_and_b32_e32 v15, 16, v3
	v_cndmask_b32_e64 v9, 0, v9, s[4:5]
	v_and_b32_e32 v11, 1, v11
	v_cmp_eq_u32_e64 s[4:5], 1, v17
	v_bfe_i32 v13, v3, 4, 1
	v_cndmask_b32_e64 v11, v11, 1, s[4:5]
	v_cmp_eq_u32_e64 s[4:5], 0, v15
	v_and_b32_e32 v9, v13, v9
	v_cndmask_b32_e64 v5, v11, v5, s[4:5]
	v_add_u32_e32 v9, v7, v9
	v_and_b32_e32 v13, 1, v5
	v_mov_b32_dpp v7, v5 row_bcast:31 row_mask:0xf bank_mask:0xf
	v_and_b32_e32 v7, 1, v7
	v_cmp_eq_u32_e64 s[30:31], 1, v13
	v_cmp_eq_u32_e64 s[4:5], 0, v5
	v_cndmask_b32_e64 v7, v7, 1, s[30:31]
	v_cmp_lt_u32_e64 s[30:31], 31, v3
	v_mov_b32_dpp v11, v9 row_bcast:31 row_mask:0xf bank_mask:0xf
	s_and_b64 s[4:5], s[30:31], s[4:5]
	v_cndmask_b32_e64 v7, v5, v7, s[30:31]
	v_cndmask_b32_e64 v5, 0, v11, s[4:5]
	v_add_u32_e32 v5, v9, v5
	v_cmp_eq_u32_e64 s[4:5], v51, v0
	s_and_saveexec_b64 s[30:31], s[4:5]
	s_cbranch_execz .LBB959_126
; %bb.125:
	v_lshlrev_b32_e32 v9, 3, v1
	ds_write_b32 v9, v5
	ds_write_b8 v9, v7 offset:4
.LBB959_126:
	s_or_b64 exec, exec, s[30:31]
	v_cmp_gt_u32_e64 s[4:5], 4, v0
	s_waitcnt lgkmcnt(0)
	s_barrier
	s_and_saveexec_b64 s[30:31], s[4:5]
	s_cbranch_execz .LBB959_130
; %bb.127:
	v_lshlrev_b32_e32 v9, 3, v0
	ds_read_b64 v[28:29], v9
	v_and_b32_e32 v11, 3, v3
	v_cmp_ne_u32_e64 s[4:5], 0, v11
	s_waitcnt lgkmcnt(0)
	v_mov_b32_dpp v13, v28 row_shr:1 row_mask:0xf bank_mask:0xf
	v_mov_b32_dpp v17, v29 row_shr:1 row_mask:0xf bank_mask:0xf
	v_mov_b32_e32 v15, v29
	s_and_saveexec_b64 s[34:35], s[4:5]
	s_cbranch_execz .LBB959_129
; %bb.128:
	v_and_b32_e32 v15, 1, v29
	v_and_b32_e32 v17, 1, v17
	v_cmp_eq_u32_e64 s[4:5], 1, v15
	v_mov_b32_e32 v15, 0
	v_cndmask_b32_e64 v17, v17, 1, s[4:5]
	v_cmp_eq_u16_sdwa s[4:5], v29, v15 src0_sel:BYTE_0 src1_sel:DWORD
	v_cndmask_b32_e64 v13, 0, v13, s[4:5]
	v_add_u32_e32 v28, v13, v28
	v_and_b32_e32 v13, 0xffff, v17
	s_movk_i32 s4, 0xff00
	v_and_or_b32 v15, v29, s4, v13
	v_mov_b32_e32 v29, v17
.LBB959_129:
	s_or_b64 exec, exec, s[34:35]
	v_mov_b32_dpp v15, v15 row_shr:2 row_mask:0xf bank_mask:0xf
	v_and_b32_e32 v17, 1, v29
	v_and_b32_e32 v15, 1, v15
	v_cmp_eq_u32_e64 s[4:5], 1, v17
	v_mov_b32_e32 v17, 0
	v_cndmask_b32_e64 v15, v15, 1, s[4:5]
	v_cmp_eq_u16_sdwa s[34:35], v29, v17 src0_sel:BYTE_0 src1_sel:DWORD
	v_cmp_lt_u32_e64 s[4:5], 1, v11
	v_mov_b32_dpp v13, v28 row_shr:2 row_mask:0xf bank_mask:0xf
	v_cndmask_b32_e64 v11, v29, v15, s[4:5]
	s_and_b64 s[4:5], s[4:5], s[34:35]
	v_cndmask_b32_e64 v13, 0, v13, s[4:5]
	v_add_u32_e32 v13, v13, v28
	ds_write_b32 v9, v13
	ds_write_b8 v9, v11 offset:4
.LBB959_130:
	s_or_b64 exec, exec, s[30:31]
	v_cmp_lt_u32_e64 s[4:5], 63, v0
	v_mov_b32_e32 v9, 0
	s_waitcnt lgkmcnt(0)
	s_barrier
	s_and_saveexec_b64 s[30:31], s[4:5]
	s_cbranch_execz .LBB959_132
; %bb.131:
	v_lshl_add_u32 v1, v1, 3, -8
	ds_read_b32 v9, v1
	v_cmp_eq_u32_e64 s[4:5], 0, v7
	s_waitcnt lgkmcnt(0)
	v_cndmask_b32_e64 v1, 0, v9, s[4:5]
	v_add_u32_e32 v5, v1, v5
.LBB959_132:
	s_or_b64 exec, exec, s[30:31]
	v_add_u32_e32 v1, -1, v3
	v_and_b32_e32 v7, 64, v3
	v_cmp_lt_i32_e64 s[4:5], v1, v7
	v_cndmask_b32_e64 v1, v1, v3, s[4:5]
	v_lshlrev_b32_e32 v1, 2, v1
	ds_bpermute_b32 v1, v1, v5
	s_and_saveexec_b64 s[30:31], s[36:37]
	s_cbranch_execz .LBB959_134
; %bb.133:
	v_and_b32_e32 v27, 0xff, v39
	v_mov_b32_e32 v26, 0
	v_cmp_eq_u32_e64 s[4:5], 0, v3
	s_waitcnt lgkmcnt(0)
	v_cndmask_b32_e64 v1, v1, v9, s[4:5]
	v_cmp_eq_u64_e64 s[4:5], 0, v[26:27]
	v_cndmask_b32_e64 v1, 0, v1, s[4:5]
	v_add_u32_e32 v38, v1, v38
	v_cndmask_b32_e32 v1, 0, v38, vcc
	v_add_u32_e32 v27, v1, v2
	v_cndmask_b32_e64 v1, 0, v27, s[6:7]
	v_add_u32_e32 v42, v1, v4
	v_cndmask_b32_e64 v1, 0, v42, s[8:9]
	;; [unrolled: 2-line block ×12, first 2 shown]
	v_add_u32_e32 v49, v1, v40
	;;#ASMSTART
	;;#ASMEND
.LBB959_134:
	s_or_b64 exec, exec, s[30:31]
	s_and_saveexec_b64 s[4:5], s[0:1]
	s_cbranch_execz .LBB959_136
; %bb.135:
	v_mov_b32_e32 v5, 0
	ds_read_b32 v2, v5 offset:24
	ds_read_u8 v3, v5 offset:28
	s_add_u32 s0, s48, 0x400
	s_addc_u32 s1, s49, 0
	v_mov_b32_e32 v4, 2
	v_pk_mov_b32 v[6:7], s[0:1], s[0:1] op_sel:[0,1]
	s_waitcnt lgkmcnt(0)
	;;#ASMSTART
	global_store_dwordx4 v[6:7], v[2:5] off	
s_waitcnt vmcnt(0)
	;;#ASMEND
.LBB959_136:
	s_or_b64 exec, exec, s[4:5]
	v_mov_b32_e32 v26, v38
.LBB959_137:
	s_add_u32 s0, s38, s52
	s_addc_u32 s1, s39, s53
	s_add_u32 s4, s0, s44
	s_waitcnt lgkmcnt(0)
	v_mul_u32_u24_e32 v1, 14, v0
	s_addc_u32 s5, s1, s45
	s_and_b64 vcc, exec, s[2:3]
	v_lshlrev_b32_e32 v2, 2, v1
	s_cbranch_vccz .LBB959_165
; %bb.138:
	s_movk_i32 s0, 0xffcc
	v_mad_i32_i24 v3, v0, s0, v2
	s_barrier
	ds_write2_b64 v2, v[26:27], v[42:43] offset1:1
	s_waitcnt vmcnt(0)
	ds_write2_b64 v2, v[30:31], v[44:45] offset0:2 offset1:3
	ds_write2_b64 v2, v[34:35], v[46:47] offset0:4 offset1:5
	ds_write_b64 v2, v[48:49] offset:48
	s_waitcnt lgkmcnt(0)
	s_barrier
	ds_read2st64_b32 v[16:17], v3 offset0:4 offset1:8
	ds_read2st64_b32 v[14:15], v3 offset0:12 offset1:16
	;; [unrolled: 1-line block ×6, first 2 shown]
	ds_read_b32 v3, v3 offset:13312
	v_mov_b32_e32 v7, s5
	v_add_co_u32_e32 v6, vcc, s4, v50
	s_add_i32 s33, s33, s50
	v_addc_co_u32_e32 v7, vcc, 0, v7, vcc
	v_mov_b32_e32 v1, 0
	v_cmp_gt_u32_e32 vcc, s33, v0
	s_and_saveexec_b64 s[0:1], vcc
	s_cbranch_execz .LBB959_140
; %bb.139:
	v_mul_i32_i24_e32 v18, 0xffffffcc, v0
	v_add_u32_e32 v18, v2, v18
	ds_read_b32 v18, v18
	s_waitcnt lgkmcnt(0)
	flat_store_dword v[6:7], v18
.LBB959_140:
	s_or_b64 exec, exec, s[0:1]
	v_or_b32_e32 v18, 0x100, v0
	v_cmp_gt_u32_e32 vcc, s33, v18
	s_and_saveexec_b64 s[0:1], vcc
	s_cbranch_execz .LBB959_142
; %bb.141:
	s_waitcnt lgkmcnt(0)
	flat_store_dword v[6:7], v16 offset:1024
.LBB959_142:
	s_or_b64 exec, exec, s[0:1]
	s_waitcnt lgkmcnt(0)
	v_or_b32_e32 v16, 0x200, v0
	v_cmp_gt_u32_e32 vcc, s33, v16
	s_and_saveexec_b64 s[0:1], vcc
	s_cbranch_execz .LBB959_144
; %bb.143:
	flat_store_dword v[6:7], v17 offset:2048
.LBB959_144:
	s_or_b64 exec, exec, s[0:1]
	v_or_b32_e32 v16, 0x300, v0
	v_cmp_gt_u32_e32 vcc, s33, v16
	s_and_saveexec_b64 s[0:1], vcc
	s_cbranch_execz .LBB959_146
; %bb.145:
	flat_store_dword v[6:7], v14 offset:3072
.LBB959_146:
	s_or_b64 exec, exec, s[0:1]
	v_or_b32_e32 v14, 0x400, v0
	v_cmp_gt_u32_e32 vcc, s33, v14
	s_and_saveexec_b64 s[0:1], vcc
	s_cbranch_execz .LBB959_148
; %bb.147:
	v_add_co_u32_e32 v16, vcc, 0x1000, v6
	v_addc_co_u32_e32 v17, vcc, 0, v7, vcc
	flat_store_dword v[16:17], v15
.LBB959_148:
	s_or_b64 exec, exec, s[0:1]
	v_or_b32_e32 v14, 0x500, v0
	v_cmp_gt_u32_e32 vcc, s33, v14
	s_and_saveexec_b64 s[0:1], vcc
	s_cbranch_execz .LBB959_150
; %bb.149:
	v_add_co_u32_e32 v14, vcc, 0x1000, v6
	v_addc_co_u32_e32 v15, vcc, 0, v7, vcc
	flat_store_dword v[14:15], v12 offset:1024
.LBB959_150:
	s_or_b64 exec, exec, s[0:1]
	v_or_b32_e32 v12, 0x600, v0
	v_cmp_gt_u32_e32 vcc, s33, v12
	s_and_saveexec_b64 s[0:1], vcc
	s_cbranch_execz .LBB959_152
; %bb.151:
	v_add_co_u32_e32 v14, vcc, 0x1000, v6
	v_addc_co_u32_e32 v15, vcc, 0, v7, vcc
	flat_store_dword v[14:15], v13 offset:2048
.LBB959_152:
	;; [unrolled: 10-line block ×3, first 2 shown]
	s_or_b64 exec, exec, s[0:1]
	v_or_b32_e32 v10, 0x800, v0
	v_cmp_gt_u32_e32 vcc, s33, v10
	s_and_saveexec_b64 s[0:1], vcc
	s_cbranch_execz .LBB959_156
; %bb.155:
	v_add_co_u32_e32 v12, vcc, 0x2000, v6
	v_addc_co_u32_e32 v13, vcc, 0, v7, vcc
	flat_store_dword v[12:13], v11
.LBB959_156:
	s_or_b64 exec, exec, s[0:1]
	v_or_b32_e32 v10, 0x900, v0
	v_cmp_gt_u32_e32 vcc, s33, v10
	s_and_saveexec_b64 s[0:1], vcc
	s_cbranch_execz .LBB959_158
; %bb.157:
	v_add_co_u32_e32 v10, vcc, 0x2000, v6
	v_addc_co_u32_e32 v11, vcc, 0, v7, vcc
	flat_store_dword v[10:11], v8 offset:1024
.LBB959_158:
	s_or_b64 exec, exec, s[0:1]
	v_or_b32_e32 v8, 0xa00, v0
	v_cmp_gt_u32_e32 vcc, s33, v8
	s_and_saveexec_b64 s[0:1], vcc
	s_cbranch_execz .LBB959_160
; %bb.159:
	v_add_co_u32_e32 v10, vcc, 0x2000, v6
	v_addc_co_u32_e32 v11, vcc, 0, v7, vcc
	flat_store_dword v[10:11], v9 offset:2048
.LBB959_160:
	;; [unrolled: 10-line block ×3, first 2 shown]
	s_or_b64 exec, exec, s[0:1]
	v_or_b32_e32 v4, 0xc00, v0
	v_cmp_gt_u32_e32 vcc, s33, v4
	s_and_saveexec_b64 s[0:1], vcc
	s_cbranch_execz .LBB959_164
; %bb.163:
	v_add_co_u32_e32 v6, vcc, 0x3000, v6
	v_addc_co_u32_e32 v7, vcc, 0, v7, vcc
	flat_store_dword v[6:7], v5
.LBB959_164:
	s_or_b64 exec, exec, s[0:1]
	v_or_b32_e32 v4, 0xd00, v0
	v_cmp_gt_u32_e64 s[0:1], s33, v4
	s_branch .LBB959_167
.LBB959_165:
	s_mov_b64 s[0:1], 0
                                        ; implicit-def: $vgpr3
	s_cbranch_execz .LBB959_167
; %bb.166:
	s_movk_i32 s2, 0xffcc
	s_waitcnt lgkmcnt(0)
	s_barrier
	ds_write2_b64 v2, v[26:27], v[42:43] offset1:1
	s_waitcnt vmcnt(0)
	ds_write2_b64 v2, v[30:31], v[44:45] offset0:2 offset1:3
	ds_write2_b64 v2, v[34:35], v[46:47] offset0:4 offset1:5
	ds_write_b64 v2, v[48:49] offset:48
	v_mad_i32_i24 v2, v0, s2, v2
	v_mov_b32_e32 v17, s5
	v_add_co_u32_e32 v16, vcc, s4, v50
	s_waitcnt lgkmcnt(0)
	s_barrier
	ds_read2st64_b32 v[4:5], v2 offset1:4
	ds_read2st64_b32 v[6:7], v2 offset0:8 offset1:12
	ds_read2st64_b32 v[8:9], v2 offset0:16 offset1:20
	;; [unrolled: 1-line block ×6, first 2 shown]
	v_addc_co_u32_e32 v17, vcc, 0, v17, vcc
	s_movk_i32 s2, 0x1000
	s_waitcnt lgkmcnt(6)
	flat_store_dword v[16:17], v4
	flat_store_dword v[16:17], v5 offset:1024
	s_waitcnt lgkmcnt(0)
	flat_store_dword v[16:17], v6 offset:2048
	flat_store_dword v[16:17], v7 offset:3072
	v_add_co_u32_e32 v4, vcc, s2, v16
	v_addc_co_u32_e32 v5, vcc, 0, v17, vcc
	flat_store_dword v[4:5], v8
	flat_store_dword v[4:5], v9 offset:1024
	flat_store_dword v[4:5], v10 offset:2048
	;; [unrolled: 1-line block ×3, first 2 shown]
	v_add_co_u32_e32 v4, vcc, 0x2000, v16
	v_addc_co_u32_e32 v5, vcc, 0, v17, vcc
	flat_store_dword v[4:5], v12
	flat_store_dword v[4:5], v13 offset:1024
	flat_store_dword v[4:5], v14 offset:2048
	;; [unrolled: 1-line block ×3, first 2 shown]
	v_add_co_u32_e32 v4, vcc, 0x3000, v16
	v_mov_b32_e32 v1, 0
	v_addc_co_u32_e32 v5, vcc, 0, v17, vcc
	s_or_b64 s[0:1], s[0:1], exec
	flat_store_dword v[4:5], v2
.LBB959_167:
	s_and_saveexec_b64 s[2:3], s[0:1]
	s_cbranch_execnz .LBB959_169
; %bb.168:
	s_endpgm
.LBB959_169:
	v_lshlrev_b64 v[0:1], 2, v[0:1]
	v_mov_b32_e32 v2, s5
	v_add_co_u32_e32 v0, vcc, s4, v0
	v_addc_co_u32_e32 v1, vcc, v2, v1, vcc
	v_add_co_u32_e32 v0, vcc, 0x3000, v0
	v_addc_co_u32_e32 v1, vcc, 0, v1, vcc
	flat_store_dword v[0:1], v3 offset:1024
	s_endpgm
.LBB959_170:
	global_load_dword v11, v13, s[56:57]
	s_waitcnt vmcnt(0)
	v_sub_u32_e32 v11, 0, v11
	s_or_b64 exec, exec, s[4:5]
                                        ; implicit-def: $vgpr14
	s_and_saveexec_b64 s[4:5], s[8:9]
	s_cbranch_execz .LBB959_41
.LBB959_171:
	global_load_dword v14, v13, s[56:57] offset:1024
	s_waitcnt vmcnt(0)
	v_sub_u32_e32 v14, 0, v14
	s_or_b64 exec, exec, s[4:5]
                                        ; implicit-def: $vgpr15
	s_and_saveexec_b64 s[4:5], s[10:11]
	s_cbranch_execz .LBB959_42
.LBB959_172:
	global_load_dword v15, v13, s[56:57] offset:2048
	s_waitcnt vmcnt(0)
	v_sub_u32_e32 v15, 0, v15
	s_or_b64 exec, exec, s[4:5]
                                        ; implicit-def: $vgpr16
	s_and_saveexec_b64 s[4:5], s[12:13]
	s_cbranch_execz .LBB959_43
.LBB959_173:
	global_load_dword v16, v13, s[56:57] offset:3072
	s_waitcnt vmcnt(0)
	v_sub_u32_e32 v16, 0, v16
	s_or_b64 exec, exec, s[4:5]
                                        ; implicit-def: $vgpr17
	s_and_saveexec_b64 s[4:5], s[14:15]
	s_cbranch_execz .LBB959_44
.LBB959_174:
	global_load_dword v2, v2, s[56:57]
	s_waitcnt vmcnt(0)
	v_sub_u32_e32 v17, 0, v2
	s_or_b64 exec, exec, s[4:5]
                                        ; implicit-def: $vgpr2
	s_and_saveexec_b64 s[4:5], s[16:17]
	s_cbranch_execz .LBB959_45
.LBB959_175:
	global_load_dword v2, v3, s[56:57]
	s_waitcnt vmcnt(0)
	v_sub_u32_e32 v2, 0, v2
	s_or_b64 exec, exec, s[4:5]
                                        ; implicit-def: $vgpr3
	s_and_saveexec_b64 s[4:5], s[18:19]
	s_cbranch_execz .LBB959_46
.LBB959_176:
	global_load_dword v3, v4, s[56:57]
	s_waitcnt vmcnt(0)
	v_sub_u32_e32 v3, 0, v3
	s_or_b64 exec, exec, s[4:5]
                                        ; implicit-def: $vgpr4
	s_and_saveexec_b64 s[4:5], s[20:21]
	s_cbranch_execz .LBB959_47
.LBB959_177:
	global_load_dword v4, v5, s[56:57]
	s_waitcnt vmcnt(0)
	v_sub_u32_e32 v4, 0, v4
	s_or_b64 exec, exec, s[4:5]
                                        ; implicit-def: $vgpr5
	s_and_saveexec_b64 s[4:5], s[22:23]
	s_cbranch_execz .LBB959_48
.LBB959_178:
	global_load_dword v5, v6, s[56:57]
	s_waitcnt vmcnt(0)
	v_sub_u32_e32 v5, 0, v5
	s_or_b64 exec, exec, s[4:5]
                                        ; implicit-def: $vgpr6
	s_and_saveexec_b64 s[4:5], s[24:25]
	s_cbranch_execz .LBB959_49
.LBB959_179:
	global_load_dword v6, v7, s[56:57]
	s_waitcnt vmcnt(0)
	v_sub_u32_e32 v6, 0, v6
	s_or_b64 exec, exec, s[4:5]
                                        ; implicit-def: $vgpr7
	s_and_saveexec_b64 s[4:5], s[26:27]
	s_cbranch_execz .LBB959_50
.LBB959_180:
	global_load_dword v7, v8, s[56:57]
	s_waitcnt vmcnt(0)
	v_sub_u32_e32 v7, 0, v7
	s_or_b64 exec, exec, s[4:5]
                                        ; implicit-def: $vgpr8
	s_and_saveexec_b64 s[4:5], s[28:29]
	s_cbranch_execz .LBB959_51
.LBB959_181:
	global_load_dword v8, v9, s[56:57]
	s_waitcnt vmcnt(0)
	v_sub_u32_e32 v8, 0, v8
	s_or_b64 exec, exec, s[4:5]
                                        ; implicit-def: $vgpr9
	s_and_saveexec_b64 s[4:5], s[30:31]
	s_cbranch_execz .LBB959_52
.LBB959_182:
	global_load_dword v9, v10, s[56:57]
	s_waitcnt vmcnt(0)
	v_sub_u32_e32 v9, 0, v9
	s_or_b64 exec, exec, s[4:5]
                                        ; implicit-def: $vgpr10
	s_and_saveexec_b64 s[4:5], s[34:35]
	s_cbranch_execnz .LBB959_53
	s_branch .LBB959_54
.LBB959_183:
                                        ; implicit-def: $sgpr4_sgpr5
	s_branch .LBB959_36
.LBB959_184:
                                        ; implicit-def: $sgpr4_sgpr5
	s_branch .LBB959_85
	.section	.rodata,"a",@progbits
	.p2align	6, 0x0
	.amdhsa_kernel _ZN7rocprim17ROCPRIM_400000_NS6detail17trampoline_kernelINS0_14default_configENS1_27scan_by_key_config_selectorIiiEEZZNS1_16scan_by_key_implILNS1_25lookback_scan_determinismE0ELb0ES3_N6thrust23THRUST_200600_302600_NS6detail15normal_iteratorINS9_10device_ptrIiEEEENS9_18transform_iteratorINS9_6negateIiEESE_NS9_11use_defaultESI_EESE_iNS9_4plusIvEENS9_8equal_toIvEEiEE10hipError_tPvRmT2_T3_T4_T5_mT6_T7_P12ihipStream_tbENKUlT_T0_E_clISt17integral_constantIbLb0EES13_IbLb1EEEEDaSZ_S10_EUlSZ_E_NS1_11comp_targetILNS1_3genE4ELNS1_11target_archE910ELNS1_3gpuE8ELNS1_3repE0EEENS1_30default_config_static_selectorELNS0_4arch9wavefront6targetE1EEEvT1_
		.amdhsa_group_segment_fixed_size 16384
		.amdhsa_private_segment_fixed_size 0
		.amdhsa_kernarg_size 120
		.amdhsa_user_sgpr_count 6
		.amdhsa_user_sgpr_private_segment_buffer 1
		.amdhsa_user_sgpr_dispatch_ptr 0
		.amdhsa_user_sgpr_queue_ptr 0
		.amdhsa_user_sgpr_kernarg_segment_ptr 1
		.amdhsa_user_sgpr_dispatch_id 0
		.amdhsa_user_sgpr_flat_scratch_init 0
		.amdhsa_user_sgpr_kernarg_preload_length 0
		.amdhsa_user_sgpr_kernarg_preload_offset 0
		.amdhsa_user_sgpr_private_segment_size 0
		.amdhsa_uses_dynamic_stack 0
		.amdhsa_system_sgpr_private_segment_wavefront_offset 0
		.amdhsa_system_sgpr_workgroup_id_x 1
		.amdhsa_system_sgpr_workgroup_id_y 0
		.amdhsa_system_sgpr_workgroup_id_z 0
		.amdhsa_system_sgpr_workgroup_info 0
		.amdhsa_system_vgpr_workitem_id 0
		.amdhsa_next_free_vgpr 65
		.amdhsa_next_free_sgpr 65
		.amdhsa_accum_offset 68
		.amdhsa_reserve_vcc 1
		.amdhsa_reserve_flat_scratch 0
		.amdhsa_float_round_mode_32 0
		.amdhsa_float_round_mode_16_64 0
		.amdhsa_float_denorm_mode_32 3
		.amdhsa_float_denorm_mode_16_64 3
		.amdhsa_dx10_clamp 1
		.amdhsa_ieee_mode 1
		.amdhsa_fp16_overflow 0
		.amdhsa_tg_split 0
		.amdhsa_exception_fp_ieee_invalid_op 0
		.amdhsa_exception_fp_denorm_src 0
		.amdhsa_exception_fp_ieee_div_zero 0
		.amdhsa_exception_fp_ieee_overflow 0
		.amdhsa_exception_fp_ieee_underflow 0
		.amdhsa_exception_fp_ieee_inexact 0
		.amdhsa_exception_int_div_zero 0
	.end_amdhsa_kernel
	.section	.text._ZN7rocprim17ROCPRIM_400000_NS6detail17trampoline_kernelINS0_14default_configENS1_27scan_by_key_config_selectorIiiEEZZNS1_16scan_by_key_implILNS1_25lookback_scan_determinismE0ELb0ES3_N6thrust23THRUST_200600_302600_NS6detail15normal_iteratorINS9_10device_ptrIiEEEENS9_18transform_iteratorINS9_6negateIiEESE_NS9_11use_defaultESI_EESE_iNS9_4plusIvEENS9_8equal_toIvEEiEE10hipError_tPvRmT2_T3_T4_T5_mT6_T7_P12ihipStream_tbENKUlT_T0_E_clISt17integral_constantIbLb0EES13_IbLb1EEEEDaSZ_S10_EUlSZ_E_NS1_11comp_targetILNS1_3genE4ELNS1_11target_archE910ELNS1_3gpuE8ELNS1_3repE0EEENS1_30default_config_static_selectorELNS0_4arch9wavefront6targetE1EEEvT1_,"axG",@progbits,_ZN7rocprim17ROCPRIM_400000_NS6detail17trampoline_kernelINS0_14default_configENS1_27scan_by_key_config_selectorIiiEEZZNS1_16scan_by_key_implILNS1_25lookback_scan_determinismE0ELb0ES3_N6thrust23THRUST_200600_302600_NS6detail15normal_iteratorINS9_10device_ptrIiEEEENS9_18transform_iteratorINS9_6negateIiEESE_NS9_11use_defaultESI_EESE_iNS9_4plusIvEENS9_8equal_toIvEEiEE10hipError_tPvRmT2_T3_T4_T5_mT6_T7_P12ihipStream_tbENKUlT_T0_E_clISt17integral_constantIbLb0EES13_IbLb1EEEEDaSZ_S10_EUlSZ_E_NS1_11comp_targetILNS1_3genE4ELNS1_11target_archE910ELNS1_3gpuE8ELNS1_3repE0EEENS1_30default_config_static_selectorELNS0_4arch9wavefront6targetE1EEEvT1_,comdat
.Lfunc_end959:
	.size	_ZN7rocprim17ROCPRIM_400000_NS6detail17trampoline_kernelINS0_14default_configENS1_27scan_by_key_config_selectorIiiEEZZNS1_16scan_by_key_implILNS1_25lookback_scan_determinismE0ELb0ES3_N6thrust23THRUST_200600_302600_NS6detail15normal_iteratorINS9_10device_ptrIiEEEENS9_18transform_iteratorINS9_6negateIiEESE_NS9_11use_defaultESI_EESE_iNS9_4plusIvEENS9_8equal_toIvEEiEE10hipError_tPvRmT2_T3_T4_T5_mT6_T7_P12ihipStream_tbENKUlT_T0_E_clISt17integral_constantIbLb0EES13_IbLb1EEEEDaSZ_S10_EUlSZ_E_NS1_11comp_targetILNS1_3genE4ELNS1_11target_archE910ELNS1_3gpuE8ELNS1_3repE0EEENS1_30default_config_static_selectorELNS0_4arch9wavefront6targetE1EEEvT1_, .Lfunc_end959-_ZN7rocprim17ROCPRIM_400000_NS6detail17trampoline_kernelINS0_14default_configENS1_27scan_by_key_config_selectorIiiEEZZNS1_16scan_by_key_implILNS1_25lookback_scan_determinismE0ELb0ES3_N6thrust23THRUST_200600_302600_NS6detail15normal_iteratorINS9_10device_ptrIiEEEENS9_18transform_iteratorINS9_6negateIiEESE_NS9_11use_defaultESI_EESE_iNS9_4plusIvEENS9_8equal_toIvEEiEE10hipError_tPvRmT2_T3_T4_T5_mT6_T7_P12ihipStream_tbENKUlT_T0_E_clISt17integral_constantIbLb0EES13_IbLb1EEEEDaSZ_S10_EUlSZ_E_NS1_11comp_targetILNS1_3genE4ELNS1_11target_archE910ELNS1_3gpuE8ELNS1_3repE0EEENS1_30default_config_static_selectorELNS0_4arch9wavefront6targetE1EEEvT1_
                                        ; -- End function
	.section	.AMDGPU.csdata,"",@progbits
; Kernel info:
; codeLenInByte = 11044
; NumSgprs: 69
; NumVgprs: 65
; NumAgprs: 0
; TotalNumVgprs: 65
; ScratchSize: 0
; MemoryBound: 0
; FloatMode: 240
; IeeeMode: 1
; LDSByteSize: 16384 bytes/workgroup (compile time only)
; SGPRBlocks: 8
; VGPRBlocks: 8
; NumSGPRsForWavesPerEU: 69
; NumVGPRsForWavesPerEU: 65
; AccumOffset: 68
; Occupancy: 4
; WaveLimiterHint : 1
; COMPUTE_PGM_RSRC2:SCRATCH_EN: 0
; COMPUTE_PGM_RSRC2:USER_SGPR: 6
; COMPUTE_PGM_RSRC2:TRAP_HANDLER: 0
; COMPUTE_PGM_RSRC2:TGID_X_EN: 1
; COMPUTE_PGM_RSRC2:TGID_Y_EN: 0
; COMPUTE_PGM_RSRC2:TGID_Z_EN: 0
; COMPUTE_PGM_RSRC2:TIDIG_COMP_CNT: 0
; COMPUTE_PGM_RSRC3_GFX90A:ACCUM_OFFSET: 16
; COMPUTE_PGM_RSRC3_GFX90A:TG_SPLIT: 0
	.section	.text._ZN7rocprim17ROCPRIM_400000_NS6detail17trampoline_kernelINS0_14default_configENS1_27scan_by_key_config_selectorIiiEEZZNS1_16scan_by_key_implILNS1_25lookback_scan_determinismE0ELb0ES3_N6thrust23THRUST_200600_302600_NS6detail15normal_iteratorINS9_10device_ptrIiEEEENS9_18transform_iteratorINS9_6negateIiEESE_NS9_11use_defaultESI_EESE_iNS9_4plusIvEENS9_8equal_toIvEEiEE10hipError_tPvRmT2_T3_T4_T5_mT6_T7_P12ihipStream_tbENKUlT_T0_E_clISt17integral_constantIbLb0EES13_IbLb1EEEEDaSZ_S10_EUlSZ_E_NS1_11comp_targetILNS1_3genE3ELNS1_11target_archE908ELNS1_3gpuE7ELNS1_3repE0EEENS1_30default_config_static_selectorELNS0_4arch9wavefront6targetE1EEEvT1_,"axG",@progbits,_ZN7rocprim17ROCPRIM_400000_NS6detail17trampoline_kernelINS0_14default_configENS1_27scan_by_key_config_selectorIiiEEZZNS1_16scan_by_key_implILNS1_25lookback_scan_determinismE0ELb0ES3_N6thrust23THRUST_200600_302600_NS6detail15normal_iteratorINS9_10device_ptrIiEEEENS9_18transform_iteratorINS9_6negateIiEESE_NS9_11use_defaultESI_EESE_iNS9_4plusIvEENS9_8equal_toIvEEiEE10hipError_tPvRmT2_T3_T4_T5_mT6_T7_P12ihipStream_tbENKUlT_T0_E_clISt17integral_constantIbLb0EES13_IbLb1EEEEDaSZ_S10_EUlSZ_E_NS1_11comp_targetILNS1_3genE3ELNS1_11target_archE908ELNS1_3gpuE7ELNS1_3repE0EEENS1_30default_config_static_selectorELNS0_4arch9wavefront6targetE1EEEvT1_,comdat
	.protected	_ZN7rocprim17ROCPRIM_400000_NS6detail17trampoline_kernelINS0_14default_configENS1_27scan_by_key_config_selectorIiiEEZZNS1_16scan_by_key_implILNS1_25lookback_scan_determinismE0ELb0ES3_N6thrust23THRUST_200600_302600_NS6detail15normal_iteratorINS9_10device_ptrIiEEEENS9_18transform_iteratorINS9_6negateIiEESE_NS9_11use_defaultESI_EESE_iNS9_4plusIvEENS9_8equal_toIvEEiEE10hipError_tPvRmT2_T3_T4_T5_mT6_T7_P12ihipStream_tbENKUlT_T0_E_clISt17integral_constantIbLb0EES13_IbLb1EEEEDaSZ_S10_EUlSZ_E_NS1_11comp_targetILNS1_3genE3ELNS1_11target_archE908ELNS1_3gpuE7ELNS1_3repE0EEENS1_30default_config_static_selectorELNS0_4arch9wavefront6targetE1EEEvT1_ ; -- Begin function _ZN7rocprim17ROCPRIM_400000_NS6detail17trampoline_kernelINS0_14default_configENS1_27scan_by_key_config_selectorIiiEEZZNS1_16scan_by_key_implILNS1_25lookback_scan_determinismE0ELb0ES3_N6thrust23THRUST_200600_302600_NS6detail15normal_iteratorINS9_10device_ptrIiEEEENS9_18transform_iteratorINS9_6negateIiEESE_NS9_11use_defaultESI_EESE_iNS9_4plusIvEENS9_8equal_toIvEEiEE10hipError_tPvRmT2_T3_T4_T5_mT6_T7_P12ihipStream_tbENKUlT_T0_E_clISt17integral_constantIbLb0EES13_IbLb1EEEEDaSZ_S10_EUlSZ_E_NS1_11comp_targetILNS1_3genE3ELNS1_11target_archE908ELNS1_3gpuE7ELNS1_3repE0EEENS1_30default_config_static_selectorELNS0_4arch9wavefront6targetE1EEEvT1_
	.globl	_ZN7rocprim17ROCPRIM_400000_NS6detail17trampoline_kernelINS0_14default_configENS1_27scan_by_key_config_selectorIiiEEZZNS1_16scan_by_key_implILNS1_25lookback_scan_determinismE0ELb0ES3_N6thrust23THRUST_200600_302600_NS6detail15normal_iteratorINS9_10device_ptrIiEEEENS9_18transform_iteratorINS9_6negateIiEESE_NS9_11use_defaultESI_EESE_iNS9_4plusIvEENS9_8equal_toIvEEiEE10hipError_tPvRmT2_T3_T4_T5_mT6_T7_P12ihipStream_tbENKUlT_T0_E_clISt17integral_constantIbLb0EES13_IbLb1EEEEDaSZ_S10_EUlSZ_E_NS1_11comp_targetILNS1_3genE3ELNS1_11target_archE908ELNS1_3gpuE7ELNS1_3repE0EEENS1_30default_config_static_selectorELNS0_4arch9wavefront6targetE1EEEvT1_
	.p2align	8
	.type	_ZN7rocprim17ROCPRIM_400000_NS6detail17trampoline_kernelINS0_14default_configENS1_27scan_by_key_config_selectorIiiEEZZNS1_16scan_by_key_implILNS1_25lookback_scan_determinismE0ELb0ES3_N6thrust23THRUST_200600_302600_NS6detail15normal_iteratorINS9_10device_ptrIiEEEENS9_18transform_iteratorINS9_6negateIiEESE_NS9_11use_defaultESI_EESE_iNS9_4plusIvEENS9_8equal_toIvEEiEE10hipError_tPvRmT2_T3_T4_T5_mT6_T7_P12ihipStream_tbENKUlT_T0_E_clISt17integral_constantIbLb0EES13_IbLb1EEEEDaSZ_S10_EUlSZ_E_NS1_11comp_targetILNS1_3genE3ELNS1_11target_archE908ELNS1_3gpuE7ELNS1_3repE0EEENS1_30default_config_static_selectorELNS0_4arch9wavefront6targetE1EEEvT1_,@function
_ZN7rocprim17ROCPRIM_400000_NS6detail17trampoline_kernelINS0_14default_configENS1_27scan_by_key_config_selectorIiiEEZZNS1_16scan_by_key_implILNS1_25lookback_scan_determinismE0ELb0ES3_N6thrust23THRUST_200600_302600_NS6detail15normal_iteratorINS9_10device_ptrIiEEEENS9_18transform_iteratorINS9_6negateIiEESE_NS9_11use_defaultESI_EESE_iNS9_4plusIvEENS9_8equal_toIvEEiEE10hipError_tPvRmT2_T3_T4_T5_mT6_T7_P12ihipStream_tbENKUlT_T0_E_clISt17integral_constantIbLb0EES13_IbLb1EEEEDaSZ_S10_EUlSZ_E_NS1_11comp_targetILNS1_3genE3ELNS1_11target_archE908ELNS1_3gpuE7ELNS1_3repE0EEENS1_30default_config_static_selectorELNS0_4arch9wavefront6targetE1EEEvT1_: ; @_ZN7rocprim17ROCPRIM_400000_NS6detail17trampoline_kernelINS0_14default_configENS1_27scan_by_key_config_selectorIiiEEZZNS1_16scan_by_key_implILNS1_25lookback_scan_determinismE0ELb0ES3_N6thrust23THRUST_200600_302600_NS6detail15normal_iteratorINS9_10device_ptrIiEEEENS9_18transform_iteratorINS9_6negateIiEESE_NS9_11use_defaultESI_EESE_iNS9_4plusIvEENS9_8equal_toIvEEiEE10hipError_tPvRmT2_T3_T4_T5_mT6_T7_P12ihipStream_tbENKUlT_T0_E_clISt17integral_constantIbLb0EES13_IbLb1EEEEDaSZ_S10_EUlSZ_E_NS1_11comp_targetILNS1_3genE3ELNS1_11target_archE908ELNS1_3gpuE7ELNS1_3repE0EEENS1_30default_config_static_selectorELNS0_4arch9wavefront6targetE1EEEvT1_
; %bb.0:
	.section	.rodata,"a",@progbits
	.p2align	6, 0x0
	.amdhsa_kernel _ZN7rocprim17ROCPRIM_400000_NS6detail17trampoline_kernelINS0_14default_configENS1_27scan_by_key_config_selectorIiiEEZZNS1_16scan_by_key_implILNS1_25lookback_scan_determinismE0ELb0ES3_N6thrust23THRUST_200600_302600_NS6detail15normal_iteratorINS9_10device_ptrIiEEEENS9_18transform_iteratorINS9_6negateIiEESE_NS9_11use_defaultESI_EESE_iNS9_4plusIvEENS9_8equal_toIvEEiEE10hipError_tPvRmT2_T3_T4_T5_mT6_T7_P12ihipStream_tbENKUlT_T0_E_clISt17integral_constantIbLb0EES13_IbLb1EEEEDaSZ_S10_EUlSZ_E_NS1_11comp_targetILNS1_3genE3ELNS1_11target_archE908ELNS1_3gpuE7ELNS1_3repE0EEENS1_30default_config_static_selectorELNS0_4arch9wavefront6targetE1EEEvT1_
		.amdhsa_group_segment_fixed_size 0
		.amdhsa_private_segment_fixed_size 0
		.amdhsa_kernarg_size 120
		.amdhsa_user_sgpr_count 6
		.amdhsa_user_sgpr_private_segment_buffer 1
		.amdhsa_user_sgpr_dispatch_ptr 0
		.amdhsa_user_sgpr_queue_ptr 0
		.amdhsa_user_sgpr_kernarg_segment_ptr 1
		.amdhsa_user_sgpr_dispatch_id 0
		.amdhsa_user_sgpr_flat_scratch_init 0
		.amdhsa_user_sgpr_kernarg_preload_length 0
		.amdhsa_user_sgpr_kernarg_preload_offset 0
		.amdhsa_user_sgpr_private_segment_size 0
		.amdhsa_uses_dynamic_stack 0
		.amdhsa_system_sgpr_private_segment_wavefront_offset 0
		.amdhsa_system_sgpr_workgroup_id_x 1
		.amdhsa_system_sgpr_workgroup_id_y 0
		.amdhsa_system_sgpr_workgroup_id_z 0
		.amdhsa_system_sgpr_workgroup_info 0
		.amdhsa_system_vgpr_workitem_id 0
		.amdhsa_next_free_vgpr 1
		.amdhsa_next_free_sgpr 0
		.amdhsa_accum_offset 4
		.amdhsa_reserve_vcc 0
		.amdhsa_reserve_flat_scratch 0
		.amdhsa_float_round_mode_32 0
		.amdhsa_float_round_mode_16_64 0
		.amdhsa_float_denorm_mode_32 3
		.amdhsa_float_denorm_mode_16_64 3
		.amdhsa_dx10_clamp 1
		.amdhsa_ieee_mode 1
		.amdhsa_fp16_overflow 0
		.amdhsa_tg_split 0
		.amdhsa_exception_fp_ieee_invalid_op 0
		.amdhsa_exception_fp_denorm_src 0
		.amdhsa_exception_fp_ieee_div_zero 0
		.amdhsa_exception_fp_ieee_overflow 0
		.amdhsa_exception_fp_ieee_underflow 0
		.amdhsa_exception_fp_ieee_inexact 0
		.amdhsa_exception_int_div_zero 0
	.end_amdhsa_kernel
	.section	.text._ZN7rocprim17ROCPRIM_400000_NS6detail17trampoline_kernelINS0_14default_configENS1_27scan_by_key_config_selectorIiiEEZZNS1_16scan_by_key_implILNS1_25lookback_scan_determinismE0ELb0ES3_N6thrust23THRUST_200600_302600_NS6detail15normal_iteratorINS9_10device_ptrIiEEEENS9_18transform_iteratorINS9_6negateIiEESE_NS9_11use_defaultESI_EESE_iNS9_4plusIvEENS9_8equal_toIvEEiEE10hipError_tPvRmT2_T3_T4_T5_mT6_T7_P12ihipStream_tbENKUlT_T0_E_clISt17integral_constantIbLb0EES13_IbLb1EEEEDaSZ_S10_EUlSZ_E_NS1_11comp_targetILNS1_3genE3ELNS1_11target_archE908ELNS1_3gpuE7ELNS1_3repE0EEENS1_30default_config_static_selectorELNS0_4arch9wavefront6targetE1EEEvT1_,"axG",@progbits,_ZN7rocprim17ROCPRIM_400000_NS6detail17trampoline_kernelINS0_14default_configENS1_27scan_by_key_config_selectorIiiEEZZNS1_16scan_by_key_implILNS1_25lookback_scan_determinismE0ELb0ES3_N6thrust23THRUST_200600_302600_NS6detail15normal_iteratorINS9_10device_ptrIiEEEENS9_18transform_iteratorINS9_6negateIiEESE_NS9_11use_defaultESI_EESE_iNS9_4plusIvEENS9_8equal_toIvEEiEE10hipError_tPvRmT2_T3_T4_T5_mT6_T7_P12ihipStream_tbENKUlT_T0_E_clISt17integral_constantIbLb0EES13_IbLb1EEEEDaSZ_S10_EUlSZ_E_NS1_11comp_targetILNS1_3genE3ELNS1_11target_archE908ELNS1_3gpuE7ELNS1_3repE0EEENS1_30default_config_static_selectorELNS0_4arch9wavefront6targetE1EEEvT1_,comdat
.Lfunc_end960:
	.size	_ZN7rocprim17ROCPRIM_400000_NS6detail17trampoline_kernelINS0_14default_configENS1_27scan_by_key_config_selectorIiiEEZZNS1_16scan_by_key_implILNS1_25lookback_scan_determinismE0ELb0ES3_N6thrust23THRUST_200600_302600_NS6detail15normal_iteratorINS9_10device_ptrIiEEEENS9_18transform_iteratorINS9_6negateIiEESE_NS9_11use_defaultESI_EESE_iNS9_4plusIvEENS9_8equal_toIvEEiEE10hipError_tPvRmT2_T3_T4_T5_mT6_T7_P12ihipStream_tbENKUlT_T0_E_clISt17integral_constantIbLb0EES13_IbLb1EEEEDaSZ_S10_EUlSZ_E_NS1_11comp_targetILNS1_3genE3ELNS1_11target_archE908ELNS1_3gpuE7ELNS1_3repE0EEENS1_30default_config_static_selectorELNS0_4arch9wavefront6targetE1EEEvT1_, .Lfunc_end960-_ZN7rocprim17ROCPRIM_400000_NS6detail17trampoline_kernelINS0_14default_configENS1_27scan_by_key_config_selectorIiiEEZZNS1_16scan_by_key_implILNS1_25lookback_scan_determinismE0ELb0ES3_N6thrust23THRUST_200600_302600_NS6detail15normal_iteratorINS9_10device_ptrIiEEEENS9_18transform_iteratorINS9_6negateIiEESE_NS9_11use_defaultESI_EESE_iNS9_4plusIvEENS9_8equal_toIvEEiEE10hipError_tPvRmT2_T3_T4_T5_mT6_T7_P12ihipStream_tbENKUlT_T0_E_clISt17integral_constantIbLb0EES13_IbLb1EEEEDaSZ_S10_EUlSZ_E_NS1_11comp_targetILNS1_3genE3ELNS1_11target_archE908ELNS1_3gpuE7ELNS1_3repE0EEENS1_30default_config_static_selectorELNS0_4arch9wavefront6targetE1EEEvT1_
                                        ; -- End function
	.section	.AMDGPU.csdata,"",@progbits
; Kernel info:
; codeLenInByte = 0
; NumSgprs: 4
; NumVgprs: 0
; NumAgprs: 0
; TotalNumVgprs: 0
; ScratchSize: 0
; MemoryBound: 0
; FloatMode: 240
; IeeeMode: 1
; LDSByteSize: 0 bytes/workgroup (compile time only)
; SGPRBlocks: 0
; VGPRBlocks: 0
; NumSGPRsForWavesPerEU: 4
; NumVGPRsForWavesPerEU: 1
; AccumOffset: 4
; Occupancy: 8
; WaveLimiterHint : 0
; COMPUTE_PGM_RSRC2:SCRATCH_EN: 0
; COMPUTE_PGM_RSRC2:USER_SGPR: 6
; COMPUTE_PGM_RSRC2:TRAP_HANDLER: 0
; COMPUTE_PGM_RSRC2:TGID_X_EN: 1
; COMPUTE_PGM_RSRC2:TGID_Y_EN: 0
; COMPUTE_PGM_RSRC2:TGID_Z_EN: 0
; COMPUTE_PGM_RSRC2:TIDIG_COMP_CNT: 0
; COMPUTE_PGM_RSRC3_GFX90A:ACCUM_OFFSET: 0
; COMPUTE_PGM_RSRC3_GFX90A:TG_SPLIT: 0
	.section	.text._ZN7rocprim17ROCPRIM_400000_NS6detail17trampoline_kernelINS0_14default_configENS1_27scan_by_key_config_selectorIiiEEZZNS1_16scan_by_key_implILNS1_25lookback_scan_determinismE0ELb0ES3_N6thrust23THRUST_200600_302600_NS6detail15normal_iteratorINS9_10device_ptrIiEEEENS9_18transform_iteratorINS9_6negateIiEESE_NS9_11use_defaultESI_EESE_iNS9_4plusIvEENS9_8equal_toIvEEiEE10hipError_tPvRmT2_T3_T4_T5_mT6_T7_P12ihipStream_tbENKUlT_T0_E_clISt17integral_constantIbLb0EES13_IbLb1EEEEDaSZ_S10_EUlSZ_E_NS1_11comp_targetILNS1_3genE2ELNS1_11target_archE906ELNS1_3gpuE6ELNS1_3repE0EEENS1_30default_config_static_selectorELNS0_4arch9wavefront6targetE1EEEvT1_,"axG",@progbits,_ZN7rocprim17ROCPRIM_400000_NS6detail17trampoline_kernelINS0_14default_configENS1_27scan_by_key_config_selectorIiiEEZZNS1_16scan_by_key_implILNS1_25lookback_scan_determinismE0ELb0ES3_N6thrust23THRUST_200600_302600_NS6detail15normal_iteratorINS9_10device_ptrIiEEEENS9_18transform_iteratorINS9_6negateIiEESE_NS9_11use_defaultESI_EESE_iNS9_4plusIvEENS9_8equal_toIvEEiEE10hipError_tPvRmT2_T3_T4_T5_mT6_T7_P12ihipStream_tbENKUlT_T0_E_clISt17integral_constantIbLb0EES13_IbLb1EEEEDaSZ_S10_EUlSZ_E_NS1_11comp_targetILNS1_3genE2ELNS1_11target_archE906ELNS1_3gpuE6ELNS1_3repE0EEENS1_30default_config_static_selectorELNS0_4arch9wavefront6targetE1EEEvT1_,comdat
	.protected	_ZN7rocprim17ROCPRIM_400000_NS6detail17trampoline_kernelINS0_14default_configENS1_27scan_by_key_config_selectorIiiEEZZNS1_16scan_by_key_implILNS1_25lookback_scan_determinismE0ELb0ES3_N6thrust23THRUST_200600_302600_NS6detail15normal_iteratorINS9_10device_ptrIiEEEENS9_18transform_iteratorINS9_6negateIiEESE_NS9_11use_defaultESI_EESE_iNS9_4plusIvEENS9_8equal_toIvEEiEE10hipError_tPvRmT2_T3_T4_T5_mT6_T7_P12ihipStream_tbENKUlT_T0_E_clISt17integral_constantIbLb0EES13_IbLb1EEEEDaSZ_S10_EUlSZ_E_NS1_11comp_targetILNS1_3genE2ELNS1_11target_archE906ELNS1_3gpuE6ELNS1_3repE0EEENS1_30default_config_static_selectorELNS0_4arch9wavefront6targetE1EEEvT1_ ; -- Begin function _ZN7rocprim17ROCPRIM_400000_NS6detail17trampoline_kernelINS0_14default_configENS1_27scan_by_key_config_selectorIiiEEZZNS1_16scan_by_key_implILNS1_25lookback_scan_determinismE0ELb0ES3_N6thrust23THRUST_200600_302600_NS6detail15normal_iteratorINS9_10device_ptrIiEEEENS9_18transform_iteratorINS9_6negateIiEESE_NS9_11use_defaultESI_EESE_iNS9_4plusIvEENS9_8equal_toIvEEiEE10hipError_tPvRmT2_T3_T4_T5_mT6_T7_P12ihipStream_tbENKUlT_T0_E_clISt17integral_constantIbLb0EES13_IbLb1EEEEDaSZ_S10_EUlSZ_E_NS1_11comp_targetILNS1_3genE2ELNS1_11target_archE906ELNS1_3gpuE6ELNS1_3repE0EEENS1_30default_config_static_selectorELNS0_4arch9wavefront6targetE1EEEvT1_
	.globl	_ZN7rocprim17ROCPRIM_400000_NS6detail17trampoline_kernelINS0_14default_configENS1_27scan_by_key_config_selectorIiiEEZZNS1_16scan_by_key_implILNS1_25lookback_scan_determinismE0ELb0ES3_N6thrust23THRUST_200600_302600_NS6detail15normal_iteratorINS9_10device_ptrIiEEEENS9_18transform_iteratorINS9_6negateIiEESE_NS9_11use_defaultESI_EESE_iNS9_4plusIvEENS9_8equal_toIvEEiEE10hipError_tPvRmT2_T3_T4_T5_mT6_T7_P12ihipStream_tbENKUlT_T0_E_clISt17integral_constantIbLb0EES13_IbLb1EEEEDaSZ_S10_EUlSZ_E_NS1_11comp_targetILNS1_3genE2ELNS1_11target_archE906ELNS1_3gpuE6ELNS1_3repE0EEENS1_30default_config_static_selectorELNS0_4arch9wavefront6targetE1EEEvT1_
	.p2align	8
	.type	_ZN7rocprim17ROCPRIM_400000_NS6detail17trampoline_kernelINS0_14default_configENS1_27scan_by_key_config_selectorIiiEEZZNS1_16scan_by_key_implILNS1_25lookback_scan_determinismE0ELb0ES3_N6thrust23THRUST_200600_302600_NS6detail15normal_iteratorINS9_10device_ptrIiEEEENS9_18transform_iteratorINS9_6negateIiEESE_NS9_11use_defaultESI_EESE_iNS9_4plusIvEENS9_8equal_toIvEEiEE10hipError_tPvRmT2_T3_T4_T5_mT6_T7_P12ihipStream_tbENKUlT_T0_E_clISt17integral_constantIbLb0EES13_IbLb1EEEEDaSZ_S10_EUlSZ_E_NS1_11comp_targetILNS1_3genE2ELNS1_11target_archE906ELNS1_3gpuE6ELNS1_3repE0EEENS1_30default_config_static_selectorELNS0_4arch9wavefront6targetE1EEEvT1_,@function
_ZN7rocprim17ROCPRIM_400000_NS6detail17trampoline_kernelINS0_14default_configENS1_27scan_by_key_config_selectorIiiEEZZNS1_16scan_by_key_implILNS1_25lookback_scan_determinismE0ELb0ES3_N6thrust23THRUST_200600_302600_NS6detail15normal_iteratorINS9_10device_ptrIiEEEENS9_18transform_iteratorINS9_6negateIiEESE_NS9_11use_defaultESI_EESE_iNS9_4plusIvEENS9_8equal_toIvEEiEE10hipError_tPvRmT2_T3_T4_T5_mT6_T7_P12ihipStream_tbENKUlT_T0_E_clISt17integral_constantIbLb0EES13_IbLb1EEEEDaSZ_S10_EUlSZ_E_NS1_11comp_targetILNS1_3genE2ELNS1_11target_archE906ELNS1_3gpuE6ELNS1_3repE0EEENS1_30default_config_static_selectorELNS0_4arch9wavefront6targetE1EEEvT1_: ; @_ZN7rocprim17ROCPRIM_400000_NS6detail17trampoline_kernelINS0_14default_configENS1_27scan_by_key_config_selectorIiiEEZZNS1_16scan_by_key_implILNS1_25lookback_scan_determinismE0ELb0ES3_N6thrust23THRUST_200600_302600_NS6detail15normal_iteratorINS9_10device_ptrIiEEEENS9_18transform_iteratorINS9_6negateIiEESE_NS9_11use_defaultESI_EESE_iNS9_4plusIvEENS9_8equal_toIvEEiEE10hipError_tPvRmT2_T3_T4_T5_mT6_T7_P12ihipStream_tbENKUlT_T0_E_clISt17integral_constantIbLb0EES13_IbLb1EEEEDaSZ_S10_EUlSZ_E_NS1_11comp_targetILNS1_3genE2ELNS1_11target_archE906ELNS1_3gpuE6ELNS1_3repE0EEENS1_30default_config_static_selectorELNS0_4arch9wavefront6targetE1EEEvT1_
; %bb.0:
	.section	.rodata,"a",@progbits
	.p2align	6, 0x0
	.amdhsa_kernel _ZN7rocprim17ROCPRIM_400000_NS6detail17trampoline_kernelINS0_14default_configENS1_27scan_by_key_config_selectorIiiEEZZNS1_16scan_by_key_implILNS1_25lookback_scan_determinismE0ELb0ES3_N6thrust23THRUST_200600_302600_NS6detail15normal_iteratorINS9_10device_ptrIiEEEENS9_18transform_iteratorINS9_6negateIiEESE_NS9_11use_defaultESI_EESE_iNS9_4plusIvEENS9_8equal_toIvEEiEE10hipError_tPvRmT2_T3_T4_T5_mT6_T7_P12ihipStream_tbENKUlT_T0_E_clISt17integral_constantIbLb0EES13_IbLb1EEEEDaSZ_S10_EUlSZ_E_NS1_11comp_targetILNS1_3genE2ELNS1_11target_archE906ELNS1_3gpuE6ELNS1_3repE0EEENS1_30default_config_static_selectorELNS0_4arch9wavefront6targetE1EEEvT1_
		.amdhsa_group_segment_fixed_size 0
		.amdhsa_private_segment_fixed_size 0
		.amdhsa_kernarg_size 120
		.amdhsa_user_sgpr_count 6
		.amdhsa_user_sgpr_private_segment_buffer 1
		.amdhsa_user_sgpr_dispatch_ptr 0
		.amdhsa_user_sgpr_queue_ptr 0
		.amdhsa_user_sgpr_kernarg_segment_ptr 1
		.amdhsa_user_sgpr_dispatch_id 0
		.amdhsa_user_sgpr_flat_scratch_init 0
		.amdhsa_user_sgpr_kernarg_preload_length 0
		.amdhsa_user_sgpr_kernarg_preload_offset 0
		.amdhsa_user_sgpr_private_segment_size 0
		.amdhsa_uses_dynamic_stack 0
		.amdhsa_system_sgpr_private_segment_wavefront_offset 0
		.amdhsa_system_sgpr_workgroup_id_x 1
		.amdhsa_system_sgpr_workgroup_id_y 0
		.amdhsa_system_sgpr_workgroup_id_z 0
		.amdhsa_system_sgpr_workgroup_info 0
		.amdhsa_system_vgpr_workitem_id 0
		.amdhsa_next_free_vgpr 1
		.amdhsa_next_free_sgpr 0
		.amdhsa_accum_offset 4
		.amdhsa_reserve_vcc 0
		.amdhsa_reserve_flat_scratch 0
		.amdhsa_float_round_mode_32 0
		.amdhsa_float_round_mode_16_64 0
		.amdhsa_float_denorm_mode_32 3
		.amdhsa_float_denorm_mode_16_64 3
		.amdhsa_dx10_clamp 1
		.amdhsa_ieee_mode 1
		.amdhsa_fp16_overflow 0
		.amdhsa_tg_split 0
		.amdhsa_exception_fp_ieee_invalid_op 0
		.amdhsa_exception_fp_denorm_src 0
		.amdhsa_exception_fp_ieee_div_zero 0
		.amdhsa_exception_fp_ieee_overflow 0
		.amdhsa_exception_fp_ieee_underflow 0
		.amdhsa_exception_fp_ieee_inexact 0
		.amdhsa_exception_int_div_zero 0
	.end_amdhsa_kernel
	.section	.text._ZN7rocprim17ROCPRIM_400000_NS6detail17trampoline_kernelINS0_14default_configENS1_27scan_by_key_config_selectorIiiEEZZNS1_16scan_by_key_implILNS1_25lookback_scan_determinismE0ELb0ES3_N6thrust23THRUST_200600_302600_NS6detail15normal_iteratorINS9_10device_ptrIiEEEENS9_18transform_iteratorINS9_6negateIiEESE_NS9_11use_defaultESI_EESE_iNS9_4plusIvEENS9_8equal_toIvEEiEE10hipError_tPvRmT2_T3_T4_T5_mT6_T7_P12ihipStream_tbENKUlT_T0_E_clISt17integral_constantIbLb0EES13_IbLb1EEEEDaSZ_S10_EUlSZ_E_NS1_11comp_targetILNS1_3genE2ELNS1_11target_archE906ELNS1_3gpuE6ELNS1_3repE0EEENS1_30default_config_static_selectorELNS0_4arch9wavefront6targetE1EEEvT1_,"axG",@progbits,_ZN7rocprim17ROCPRIM_400000_NS6detail17trampoline_kernelINS0_14default_configENS1_27scan_by_key_config_selectorIiiEEZZNS1_16scan_by_key_implILNS1_25lookback_scan_determinismE0ELb0ES3_N6thrust23THRUST_200600_302600_NS6detail15normal_iteratorINS9_10device_ptrIiEEEENS9_18transform_iteratorINS9_6negateIiEESE_NS9_11use_defaultESI_EESE_iNS9_4plusIvEENS9_8equal_toIvEEiEE10hipError_tPvRmT2_T3_T4_T5_mT6_T7_P12ihipStream_tbENKUlT_T0_E_clISt17integral_constantIbLb0EES13_IbLb1EEEEDaSZ_S10_EUlSZ_E_NS1_11comp_targetILNS1_3genE2ELNS1_11target_archE906ELNS1_3gpuE6ELNS1_3repE0EEENS1_30default_config_static_selectorELNS0_4arch9wavefront6targetE1EEEvT1_,comdat
.Lfunc_end961:
	.size	_ZN7rocprim17ROCPRIM_400000_NS6detail17trampoline_kernelINS0_14default_configENS1_27scan_by_key_config_selectorIiiEEZZNS1_16scan_by_key_implILNS1_25lookback_scan_determinismE0ELb0ES3_N6thrust23THRUST_200600_302600_NS6detail15normal_iteratorINS9_10device_ptrIiEEEENS9_18transform_iteratorINS9_6negateIiEESE_NS9_11use_defaultESI_EESE_iNS9_4plusIvEENS9_8equal_toIvEEiEE10hipError_tPvRmT2_T3_T4_T5_mT6_T7_P12ihipStream_tbENKUlT_T0_E_clISt17integral_constantIbLb0EES13_IbLb1EEEEDaSZ_S10_EUlSZ_E_NS1_11comp_targetILNS1_3genE2ELNS1_11target_archE906ELNS1_3gpuE6ELNS1_3repE0EEENS1_30default_config_static_selectorELNS0_4arch9wavefront6targetE1EEEvT1_, .Lfunc_end961-_ZN7rocprim17ROCPRIM_400000_NS6detail17trampoline_kernelINS0_14default_configENS1_27scan_by_key_config_selectorIiiEEZZNS1_16scan_by_key_implILNS1_25lookback_scan_determinismE0ELb0ES3_N6thrust23THRUST_200600_302600_NS6detail15normal_iteratorINS9_10device_ptrIiEEEENS9_18transform_iteratorINS9_6negateIiEESE_NS9_11use_defaultESI_EESE_iNS9_4plusIvEENS9_8equal_toIvEEiEE10hipError_tPvRmT2_T3_T4_T5_mT6_T7_P12ihipStream_tbENKUlT_T0_E_clISt17integral_constantIbLb0EES13_IbLb1EEEEDaSZ_S10_EUlSZ_E_NS1_11comp_targetILNS1_3genE2ELNS1_11target_archE906ELNS1_3gpuE6ELNS1_3repE0EEENS1_30default_config_static_selectorELNS0_4arch9wavefront6targetE1EEEvT1_
                                        ; -- End function
	.section	.AMDGPU.csdata,"",@progbits
; Kernel info:
; codeLenInByte = 0
; NumSgprs: 4
; NumVgprs: 0
; NumAgprs: 0
; TotalNumVgprs: 0
; ScratchSize: 0
; MemoryBound: 0
; FloatMode: 240
; IeeeMode: 1
; LDSByteSize: 0 bytes/workgroup (compile time only)
; SGPRBlocks: 0
; VGPRBlocks: 0
; NumSGPRsForWavesPerEU: 4
; NumVGPRsForWavesPerEU: 1
; AccumOffset: 4
; Occupancy: 8
; WaveLimiterHint : 0
; COMPUTE_PGM_RSRC2:SCRATCH_EN: 0
; COMPUTE_PGM_RSRC2:USER_SGPR: 6
; COMPUTE_PGM_RSRC2:TRAP_HANDLER: 0
; COMPUTE_PGM_RSRC2:TGID_X_EN: 1
; COMPUTE_PGM_RSRC2:TGID_Y_EN: 0
; COMPUTE_PGM_RSRC2:TGID_Z_EN: 0
; COMPUTE_PGM_RSRC2:TIDIG_COMP_CNT: 0
; COMPUTE_PGM_RSRC3_GFX90A:ACCUM_OFFSET: 0
; COMPUTE_PGM_RSRC3_GFX90A:TG_SPLIT: 0
	.section	.text._ZN7rocprim17ROCPRIM_400000_NS6detail17trampoline_kernelINS0_14default_configENS1_27scan_by_key_config_selectorIiiEEZZNS1_16scan_by_key_implILNS1_25lookback_scan_determinismE0ELb0ES3_N6thrust23THRUST_200600_302600_NS6detail15normal_iteratorINS9_10device_ptrIiEEEENS9_18transform_iteratorINS9_6negateIiEESE_NS9_11use_defaultESI_EESE_iNS9_4plusIvEENS9_8equal_toIvEEiEE10hipError_tPvRmT2_T3_T4_T5_mT6_T7_P12ihipStream_tbENKUlT_T0_E_clISt17integral_constantIbLb0EES13_IbLb1EEEEDaSZ_S10_EUlSZ_E_NS1_11comp_targetILNS1_3genE10ELNS1_11target_archE1200ELNS1_3gpuE4ELNS1_3repE0EEENS1_30default_config_static_selectorELNS0_4arch9wavefront6targetE1EEEvT1_,"axG",@progbits,_ZN7rocprim17ROCPRIM_400000_NS6detail17trampoline_kernelINS0_14default_configENS1_27scan_by_key_config_selectorIiiEEZZNS1_16scan_by_key_implILNS1_25lookback_scan_determinismE0ELb0ES3_N6thrust23THRUST_200600_302600_NS6detail15normal_iteratorINS9_10device_ptrIiEEEENS9_18transform_iteratorINS9_6negateIiEESE_NS9_11use_defaultESI_EESE_iNS9_4plusIvEENS9_8equal_toIvEEiEE10hipError_tPvRmT2_T3_T4_T5_mT6_T7_P12ihipStream_tbENKUlT_T0_E_clISt17integral_constantIbLb0EES13_IbLb1EEEEDaSZ_S10_EUlSZ_E_NS1_11comp_targetILNS1_3genE10ELNS1_11target_archE1200ELNS1_3gpuE4ELNS1_3repE0EEENS1_30default_config_static_selectorELNS0_4arch9wavefront6targetE1EEEvT1_,comdat
	.protected	_ZN7rocprim17ROCPRIM_400000_NS6detail17trampoline_kernelINS0_14default_configENS1_27scan_by_key_config_selectorIiiEEZZNS1_16scan_by_key_implILNS1_25lookback_scan_determinismE0ELb0ES3_N6thrust23THRUST_200600_302600_NS6detail15normal_iteratorINS9_10device_ptrIiEEEENS9_18transform_iteratorINS9_6negateIiEESE_NS9_11use_defaultESI_EESE_iNS9_4plusIvEENS9_8equal_toIvEEiEE10hipError_tPvRmT2_T3_T4_T5_mT6_T7_P12ihipStream_tbENKUlT_T0_E_clISt17integral_constantIbLb0EES13_IbLb1EEEEDaSZ_S10_EUlSZ_E_NS1_11comp_targetILNS1_3genE10ELNS1_11target_archE1200ELNS1_3gpuE4ELNS1_3repE0EEENS1_30default_config_static_selectorELNS0_4arch9wavefront6targetE1EEEvT1_ ; -- Begin function _ZN7rocprim17ROCPRIM_400000_NS6detail17trampoline_kernelINS0_14default_configENS1_27scan_by_key_config_selectorIiiEEZZNS1_16scan_by_key_implILNS1_25lookback_scan_determinismE0ELb0ES3_N6thrust23THRUST_200600_302600_NS6detail15normal_iteratorINS9_10device_ptrIiEEEENS9_18transform_iteratorINS9_6negateIiEESE_NS9_11use_defaultESI_EESE_iNS9_4plusIvEENS9_8equal_toIvEEiEE10hipError_tPvRmT2_T3_T4_T5_mT6_T7_P12ihipStream_tbENKUlT_T0_E_clISt17integral_constantIbLb0EES13_IbLb1EEEEDaSZ_S10_EUlSZ_E_NS1_11comp_targetILNS1_3genE10ELNS1_11target_archE1200ELNS1_3gpuE4ELNS1_3repE0EEENS1_30default_config_static_selectorELNS0_4arch9wavefront6targetE1EEEvT1_
	.globl	_ZN7rocprim17ROCPRIM_400000_NS6detail17trampoline_kernelINS0_14default_configENS1_27scan_by_key_config_selectorIiiEEZZNS1_16scan_by_key_implILNS1_25lookback_scan_determinismE0ELb0ES3_N6thrust23THRUST_200600_302600_NS6detail15normal_iteratorINS9_10device_ptrIiEEEENS9_18transform_iteratorINS9_6negateIiEESE_NS9_11use_defaultESI_EESE_iNS9_4plusIvEENS9_8equal_toIvEEiEE10hipError_tPvRmT2_T3_T4_T5_mT6_T7_P12ihipStream_tbENKUlT_T0_E_clISt17integral_constantIbLb0EES13_IbLb1EEEEDaSZ_S10_EUlSZ_E_NS1_11comp_targetILNS1_3genE10ELNS1_11target_archE1200ELNS1_3gpuE4ELNS1_3repE0EEENS1_30default_config_static_selectorELNS0_4arch9wavefront6targetE1EEEvT1_
	.p2align	8
	.type	_ZN7rocprim17ROCPRIM_400000_NS6detail17trampoline_kernelINS0_14default_configENS1_27scan_by_key_config_selectorIiiEEZZNS1_16scan_by_key_implILNS1_25lookback_scan_determinismE0ELb0ES3_N6thrust23THRUST_200600_302600_NS6detail15normal_iteratorINS9_10device_ptrIiEEEENS9_18transform_iteratorINS9_6negateIiEESE_NS9_11use_defaultESI_EESE_iNS9_4plusIvEENS9_8equal_toIvEEiEE10hipError_tPvRmT2_T3_T4_T5_mT6_T7_P12ihipStream_tbENKUlT_T0_E_clISt17integral_constantIbLb0EES13_IbLb1EEEEDaSZ_S10_EUlSZ_E_NS1_11comp_targetILNS1_3genE10ELNS1_11target_archE1200ELNS1_3gpuE4ELNS1_3repE0EEENS1_30default_config_static_selectorELNS0_4arch9wavefront6targetE1EEEvT1_,@function
_ZN7rocprim17ROCPRIM_400000_NS6detail17trampoline_kernelINS0_14default_configENS1_27scan_by_key_config_selectorIiiEEZZNS1_16scan_by_key_implILNS1_25lookback_scan_determinismE0ELb0ES3_N6thrust23THRUST_200600_302600_NS6detail15normal_iteratorINS9_10device_ptrIiEEEENS9_18transform_iteratorINS9_6negateIiEESE_NS9_11use_defaultESI_EESE_iNS9_4plusIvEENS9_8equal_toIvEEiEE10hipError_tPvRmT2_T3_T4_T5_mT6_T7_P12ihipStream_tbENKUlT_T0_E_clISt17integral_constantIbLb0EES13_IbLb1EEEEDaSZ_S10_EUlSZ_E_NS1_11comp_targetILNS1_3genE10ELNS1_11target_archE1200ELNS1_3gpuE4ELNS1_3repE0EEENS1_30default_config_static_selectorELNS0_4arch9wavefront6targetE1EEEvT1_: ; @_ZN7rocprim17ROCPRIM_400000_NS6detail17trampoline_kernelINS0_14default_configENS1_27scan_by_key_config_selectorIiiEEZZNS1_16scan_by_key_implILNS1_25lookback_scan_determinismE0ELb0ES3_N6thrust23THRUST_200600_302600_NS6detail15normal_iteratorINS9_10device_ptrIiEEEENS9_18transform_iteratorINS9_6negateIiEESE_NS9_11use_defaultESI_EESE_iNS9_4plusIvEENS9_8equal_toIvEEiEE10hipError_tPvRmT2_T3_T4_T5_mT6_T7_P12ihipStream_tbENKUlT_T0_E_clISt17integral_constantIbLb0EES13_IbLb1EEEEDaSZ_S10_EUlSZ_E_NS1_11comp_targetILNS1_3genE10ELNS1_11target_archE1200ELNS1_3gpuE4ELNS1_3repE0EEENS1_30default_config_static_selectorELNS0_4arch9wavefront6targetE1EEEvT1_
; %bb.0:
	.section	.rodata,"a",@progbits
	.p2align	6, 0x0
	.amdhsa_kernel _ZN7rocprim17ROCPRIM_400000_NS6detail17trampoline_kernelINS0_14default_configENS1_27scan_by_key_config_selectorIiiEEZZNS1_16scan_by_key_implILNS1_25lookback_scan_determinismE0ELb0ES3_N6thrust23THRUST_200600_302600_NS6detail15normal_iteratorINS9_10device_ptrIiEEEENS9_18transform_iteratorINS9_6negateIiEESE_NS9_11use_defaultESI_EESE_iNS9_4plusIvEENS9_8equal_toIvEEiEE10hipError_tPvRmT2_T3_T4_T5_mT6_T7_P12ihipStream_tbENKUlT_T0_E_clISt17integral_constantIbLb0EES13_IbLb1EEEEDaSZ_S10_EUlSZ_E_NS1_11comp_targetILNS1_3genE10ELNS1_11target_archE1200ELNS1_3gpuE4ELNS1_3repE0EEENS1_30default_config_static_selectorELNS0_4arch9wavefront6targetE1EEEvT1_
		.amdhsa_group_segment_fixed_size 0
		.amdhsa_private_segment_fixed_size 0
		.amdhsa_kernarg_size 120
		.amdhsa_user_sgpr_count 6
		.amdhsa_user_sgpr_private_segment_buffer 1
		.amdhsa_user_sgpr_dispatch_ptr 0
		.amdhsa_user_sgpr_queue_ptr 0
		.amdhsa_user_sgpr_kernarg_segment_ptr 1
		.amdhsa_user_sgpr_dispatch_id 0
		.amdhsa_user_sgpr_flat_scratch_init 0
		.amdhsa_user_sgpr_kernarg_preload_length 0
		.amdhsa_user_sgpr_kernarg_preload_offset 0
		.amdhsa_user_sgpr_private_segment_size 0
		.amdhsa_uses_dynamic_stack 0
		.amdhsa_system_sgpr_private_segment_wavefront_offset 0
		.amdhsa_system_sgpr_workgroup_id_x 1
		.amdhsa_system_sgpr_workgroup_id_y 0
		.amdhsa_system_sgpr_workgroup_id_z 0
		.amdhsa_system_sgpr_workgroup_info 0
		.amdhsa_system_vgpr_workitem_id 0
		.amdhsa_next_free_vgpr 1
		.amdhsa_next_free_sgpr 0
		.amdhsa_accum_offset 4
		.amdhsa_reserve_vcc 0
		.amdhsa_reserve_flat_scratch 0
		.amdhsa_float_round_mode_32 0
		.amdhsa_float_round_mode_16_64 0
		.amdhsa_float_denorm_mode_32 3
		.amdhsa_float_denorm_mode_16_64 3
		.amdhsa_dx10_clamp 1
		.amdhsa_ieee_mode 1
		.amdhsa_fp16_overflow 0
		.amdhsa_tg_split 0
		.amdhsa_exception_fp_ieee_invalid_op 0
		.amdhsa_exception_fp_denorm_src 0
		.amdhsa_exception_fp_ieee_div_zero 0
		.amdhsa_exception_fp_ieee_overflow 0
		.amdhsa_exception_fp_ieee_underflow 0
		.amdhsa_exception_fp_ieee_inexact 0
		.amdhsa_exception_int_div_zero 0
	.end_amdhsa_kernel
	.section	.text._ZN7rocprim17ROCPRIM_400000_NS6detail17trampoline_kernelINS0_14default_configENS1_27scan_by_key_config_selectorIiiEEZZNS1_16scan_by_key_implILNS1_25lookback_scan_determinismE0ELb0ES3_N6thrust23THRUST_200600_302600_NS6detail15normal_iteratorINS9_10device_ptrIiEEEENS9_18transform_iteratorINS9_6negateIiEESE_NS9_11use_defaultESI_EESE_iNS9_4plusIvEENS9_8equal_toIvEEiEE10hipError_tPvRmT2_T3_T4_T5_mT6_T7_P12ihipStream_tbENKUlT_T0_E_clISt17integral_constantIbLb0EES13_IbLb1EEEEDaSZ_S10_EUlSZ_E_NS1_11comp_targetILNS1_3genE10ELNS1_11target_archE1200ELNS1_3gpuE4ELNS1_3repE0EEENS1_30default_config_static_selectorELNS0_4arch9wavefront6targetE1EEEvT1_,"axG",@progbits,_ZN7rocprim17ROCPRIM_400000_NS6detail17trampoline_kernelINS0_14default_configENS1_27scan_by_key_config_selectorIiiEEZZNS1_16scan_by_key_implILNS1_25lookback_scan_determinismE0ELb0ES3_N6thrust23THRUST_200600_302600_NS6detail15normal_iteratorINS9_10device_ptrIiEEEENS9_18transform_iteratorINS9_6negateIiEESE_NS9_11use_defaultESI_EESE_iNS9_4plusIvEENS9_8equal_toIvEEiEE10hipError_tPvRmT2_T3_T4_T5_mT6_T7_P12ihipStream_tbENKUlT_T0_E_clISt17integral_constantIbLb0EES13_IbLb1EEEEDaSZ_S10_EUlSZ_E_NS1_11comp_targetILNS1_3genE10ELNS1_11target_archE1200ELNS1_3gpuE4ELNS1_3repE0EEENS1_30default_config_static_selectorELNS0_4arch9wavefront6targetE1EEEvT1_,comdat
.Lfunc_end962:
	.size	_ZN7rocprim17ROCPRIM_400000_NS6detail17trampoline_kernelINS0_14default_configENS1_27scan_by_key_config_selectorIiiEEZZNS1_16scan_by_key_implILNS1_25lookback_scan_determinismE0ELb0ES3_N6thrust23THRUST_200600_302600_NS6detail15normal_iteratorINS9_10device_ptrIiEEEENS9_18transform_iteratorINS9_6negateIiEESE_NS9_11use_defaultESI_EESE_iNS9_4plusIvEENS9_8equal_toIvEEiEE10hipError_tPvRmT2_T3_T4_T5_mT6_T7_P12ihipStream_tbENKUlT_T0_E_clISt17integral_constantIbLb0EES13_IbLb1EEEEDaSZ_S10_EUlSZ_E_NS1_11comp_targetILNS1_3genE10ELNS1_11target_archE1200ELNS1_3gpuE4ELNS1_3repE0EEENS1_30default_config_static_selectorELNS0_4arch9wavefront6targetE1EEEvT1_, .Lfunc_end962-_ZN7rocprim17ROCPRIM_400000_NS6detail17trampoline_kernelINS0_14default_configENS1_27scan_by_key_config_selectorIiiEEZZNS1_16scan_by_key_implILNS1_25lookback_scan_determinismE0ELb0ES3_N6thrust23THRUST_200600_302600_NS6detail15normal_iteratorINS9_10device_ptrIiEEEENS9_18transform_iteratorINS9_6negateIiEESE_NS9_11use_defaultESI_EESE_iNS9_4plusIvEENS9_8equal_toIvEEiEE10hipError_tPvRmT2_T3_T4_T5_mT6_T7_P12ihipStream_tbENKUlT_T0_E_clISt17integral_constantIbLb0EES13_IbLb1EEEEDaSZ_S10_EUlSZ_E_NS1_11comp_targetILNS1_3genE10ELNS1_11target_archE1200ELNS1_3gpuE4ELNS1_3repE0EEENS1_30default_config_static_selectorELNS0_4arch9wavefront6targetE1EEEvT1_
                                        ; -- End function
	.section	.AMDGPU.csdata,"",@progbits
; Kernel info:
; codeLenInByte = 0
; NumSgprs: 4
; NumVgprs: 0
; NumAgprs: 0
; TotalNumVgprs: 0
; ScratchSize: 0
; MemoryBound: 0
; FloatMode: 240
; IeeeMode: 1
; LDSByteSize: 0 bytes/workgroup (compile time only)
; SGPRBlocks: 0
; VGPRBlocks: 0
; NumSGPRsForWavesPerEU: 4
; NumVGPRsForWavesPerEU: 1
; AccumOffset: 4
; Occupancy: 8
; WaveLimiterHint : 0
; COMPUTE_PGM_RSRC2:SCRATCH_EN: 0
; COMPUTE_PGM_RSRC2:USER_SGPR: 6
; COMPUTE_PGM_RSRC2:TRAP_HANDLER: 0
; COMPUTE_PGM_RSRC2:TGID_X_EN: 1
; COMPUTE_PGM_RSRC2:TGID_Y_EN: 0
; COMPUTE_PGM_RSRC2:TGID_Z_EN: 0
; COMPUTE_PGM_RSRC2:TIDIG_COMP_CNT: 0
; COMPUTE_PGM_RSRC3_GFX90A:ACCUM_OFFSET: 0
; COMPUTE_PGM_RSRC3_GFX90A:TG_SPLIT: 0
	.section	.text._ZN7rocprim17ROCPRIM_400000_NS6detail17trampoline_kernelINS0_14default_configENS1_27scan_by_key_config_selectorIiiEEZZNS1_16scan_by_key_implILNS1_25lookback_scan_determinismE0ELb0ES3_N6thrust23THRUST_200600_302600_NS6detail15normal_iteratorINS9_10device_ptrIiEEEENS9_18transform_iteratorINS9_6negateIiEESE_NS9_11use_defaultESI_EESE_iNS9_4plusIvEENS9_8equal_toIvEEiEE10hipError_tPvRmT2_T3_T4_T5_mT6_T7_P12ihipStream_tbENKUlT_T0_E_clISt17integral_constantIbLb0EES13_IbLb1EEEEDaSZ_S10_EUlSZ_E_NS1_11comp_targetILNS1_3genE9ELNS1_11target_archE1100ELNS1_3gpuE3ELNS1_3repE0EEENS1_30default_config_static_selectorELNS0_4arch9wavefront6targetE1EEEvT1_,"axG",@progbits,_ZN7rocprim17ROCPRIM_400000_NS6detail17trampoline_kernelINS0_14default_configENS1_27scan_by_key_config_selectorIiiEEZZNS1_16scan_by_key_implILNS1_25lookback_scan_determinismE0ELb0ES3_N6thrust23THRUST_200600_302600_NS6detail15normal_iteratorINS9_10device_ptrIiEEEENS9_18transform_iteratorINS9_6negateIiEESE_NS9_11use_defaultESI_EESE_iNS9_4plusIvEENS9_8equal_toIvEEiEE10hipError_tPvRmT2_T3_T4_T5_mT6_T7_P12ihipStream_tbENKUlT_T0_E_clISt17integral_constantIbLb0EES13_IbLb1EEEEDaSZ_S10_EUlSZ_E_NS1_11comp_targetILNS1_3genE9ELNS1_11target_archE1100ELNS1_3gpuE3ELNS1_3repE0EEENS1_30default_config_static_selectorELNS0_4arch9wavefront6targetE1EEEvT1_,comdat
	.protected	_ZN7rocprim17ROCPRIM_400000_NS6detail17trampoline_kernelINS0_14default_configENS1_27scan_by_key_config_selectorIiiEEZZNS1_16scan_by_key_implILNS1_25lookback_scan_determinismE0ELb0ES3_N6thrust23THRUST_200600_302600_NS6detail15normal_iteratorINS9_10device_ptrIiEEEENS9_18transform_iteratorINS9_6negateIiEESE_NS9_11use_defaultESI_EESE_iNS9_4plusIvEENS9_8equal_toIvEEiEE10hipError_tPvRmT2_T3_T4_T5_mT6_T7_P12ihipStream_tbENKUlT_T0_E_clISt17integral_constantIbLb0EES13_IbLb1EEEEDaSZ_S10_EUlSZ_E_NS1_11comp_targetILNS1_3genE9ELNS1_11target_archE1100ELNS1_3gpuE3ELNS1_3repE0EEENS1_30default_config_static_selectorELNS0_4arch9wavefront6targetE1EEEvT1_ ; -- Begin function _ZN7rocprim17ROCPRIM_400000_NS6detail17trampoline_kernelINS0_14default_configENS1_27scan_by_key_config_selectorIiiEEZZNS1_16scan_by_key_implILNS1_25lookback_scan_determinismE0ELb0ES3_N6thrust23THRUST_200600_302600_NS6detail15normal_iteratorINS9_10device_ptrIiEEEENS9_18transform_iteratorINS9_6negateIiEESE_NS9_11use_defaultESI_EESE_iNS9_4plusIvEENS9_8equal_toIvEEiEE10hipError_tPvRmT2_T3_T4_T5_mT6_T7_P12ihipStream_tbENKUlT_T0_E_clISt17integral_constantIbLb0EES13_IbLb1EEEEDaSZ_S10_EUlSZ_E_NS1_11comp_targetILNS1_3genE9ELNS1_11target_archE1100ELNS1_3gpuE3ELNS1_3repE0EEENS1_30default_config_static_selectorELNS0_4arch9wavefront6targetE1EEEvT1_
	.globl	_ZN7rocprim17ROCPRIM_400000_NS6detail17trampoline_kernelINS0_14default_configENS1_27scan_by_key_config_selectorIiiEEZZNS1_16scan_by_key_implILNS1_25lookback_scan_determinismE0ELb0ES3_N6thrust23THRUST_200600_302600_NS6detail15normal_iteratorINS9_10device_ptrIiEEEENS9_18transform_iteratorINS9_6negateIiEESE_NS9_11use_defaultESI_EESE_iNS9_4plusIvEENS9_8equal_toIvEEiEE10hipError_tPvRmT2_T3_T4_T5_mT6_T7_P12ihipStream_tbENKUlT_T0_E_clISt17integral_constantIbLb0EES13_IbLb1EEEEDaSZ_S10_EUlSZ_E_NS1_11comp_targetILNS1_3genE9ELNS1_11target_archE1100ELNS1_3gpuE3ELNS1_3repE0EEENS1_30default_config_static_selectorELNS0_4arch9wavefront6targetE1EEEvT1_
	.p2align	8
	.type	_ZN7rocprim17ROCPRIM_400000_NS6detail17trampoline_kernelINS0_14default_configENS1_27scan_by_key_config_selectorIiiEEZZNS1_16scan_by_key_implILNS1_25lookback_scan_determinismE0ELb0ES3_N6thrust23THRUST_200600_302600_NS6detail15normal_iteratorINS9_10device_ptrIiEEEENS9_18transform_iteratorINS9_6negateIiEESE_NS9_11use_defaultESI_EESE_iNS9_4plusIvEENS9_8equal_toIvEEiEE10hipError_tPvRmT2_T3_T4_T5_mT6_T7_P12ihipStream_tbENKUlT_T0_E_clISt17integral_constantIbLb0EES13_IbLb1EEEEDaSZ_S10_EUlSZ_E_NS1_11comp_targetILNS1_3genE9ELNS1_11target_archE1100ELNS1_3gpuE3ELNS1_3repE0EEENS1_30default_config_static_selectorELNS0_4arch9wavefront6targetE1EEEvT1_,@function
_ZN7rocprim17ROCPRIM_400000_NS6detail17trampoline_kernelINS0_14default_configENS1_27scan_by_key_config_selectorIiiEEZZNS1_16scan_by_key_implILNS1_25lookback_scan_determinismE0ELb0ES3_N6thrust23THRUST_200600_302600_NS6detail15normal_iteratorINS9_10device_ptrIiEEEENS9_18transform_iteratorINS9_6negateIiEESE_NS9_11use_defaultESI_EESE_iNS9_4plusIvEENS9_8equal_toIvEEiEE10hipError_tPvRmT2_T3_T4_T5_mT6_T7_P12ihipStream_tbENKUlT_T0_E_clISt17integral_constantIbLb0EES13_IbLb1EEEEDaSZ_S10_EUlSZ_E_NS1_11comp_targetILNS1_3genE9ELNS1_11target_archE1100ELNS1_3gpuE3ELNS1_3repE0EEENS1_30default_config_static_selectorELNS0_4arch9wavefront6targetE1EEEvT1_: ; @_ZN7rocprim17ROCPRIM_400000_NS6detail17trampoline_kernelINS0_14default_configENS1_27scan_by_key_config_selectorIiiEEZZNS1_16scan_by_key_implILNS1_25lookback_scan_determinismE0ELb0ES3_N6thrust23THRUST_200600_302600_NS6detail15normal_iteratorINS9_10device_ptrIiEEEENS9_18transform_iteratorINS9_6negateIiEESE_NS9_11use_defaultESI_EESE_iNS9_4plusIvEENS9_8equal_toIvEEiEE10hipError_tPvRmT2_T3_T4_T5_mT6_T7_P12ihipStream_tbENKUlT_T0_E_clISt17integral_constantIbLb0EES13_IbLb1EEEEDaSZ_S10_EUlSZ_E_NS1_11comp_targetILNS1_3genE9ELNS1_11target_archE1100ELNS1_3gpuE3ELNS1_3repE0EEENS1_30default_config_static_selectorELNS0_4arch9wavefront6targetE1EEEvT1_
; %bb.0:
	.section	.rodata,"a",@progbits
	.p2align	6, 0x0
	.amdhsa_kernel _ZN7rocprim17ROCPRIM_400000_NS6detail17trampoline_kernelINS0_14default_configENS1_27scan_by_key_config_selectorIiiEEZZNS1_16scan_by_key_implILNS1_25lookback_scan_determinismE0ELb0ES3_N6thrust23THRUST_200600_302600_NS6detail15normal_iteratorINS9_10device_ptrIiEEEENS9_18transform_iteratorINS9_6negateIiEESE_NS9_11use_defaultESI_EESE_iNS9_4plusIvEENS9_8equal_toIvEEiEE10hipError_tPvRmT2_T3_T4_T5_mT6_T7_P12ihipStream_tbENKUlT_T0_E_clISt17integral_constantIbLb0EES13_IbLb1EEEEDaSZ_S10_EUlSZ_E_NS1_11comp_targetILNS1_3genE9ELNS1_11target_archE1100ELNS1_3gpuE3ELNS1_3repE0EEENS1_30default_config_static_selectorELNS0_4arch9wavefront6targetE1EEEvT1_
		.amdhsa_group_segment_fixed_size 0
		.amdhsa_private_segment_fixed_size 0
		.amdhsa_kernarg_size 120
		.amdhsa_user_sgpr_count 6
		.amdhsa_user_sgpr_private_segment_buffer 1
		.amdhsa_user_sgpr_dispatch_ptr 0
		.amdhsa_user_sgpr_queue_ptr 0
		.amdhsa_user_sgpr_kernarg_segment_ptr 1
		.amdhsa_user_sgpr_dispatch_id 0
		.amdhsa_user_sgpr_flat_scratch_init 0
		.amdhsa_user_sgpr_kernarg_preload_length 0
		.amdhsa_user_sgpr_kernarg_preload_offset 0
		.amdhsa_user_sgpr_private_segment_size 0
		.amdhsa_uses_dynamic_stack 0
		.amdhsa_system_sgpr_private_segment_wavefront_offset 0
		.amdhsa_system_sgpr_workgroup_id_x 1
		.amdhsa_system_sgpr_workgroup_id_y 0
		.amdhsa_system_sgpr_workgroup_id_z 0
		.amdhsa_system_sgpr_workgroup_info 0
		.amdhsa_system_vgpr_workitem_id 0
		.amdhsa_next_free_vgpr 1
		.amdhsa_next_free_sgpr 0
		.amdhsa_accum_offset 4
		.amdhsa_reserve_vcc 0
		.amdhsa_reserve_flat_scratch 0
		.amdhsa_float_round_mode_32 0
		.amdhsa_float_round_mode_16_64 0
		.amdhsa_float_denorm_mode_32 3
		.amdhsa_float_denorm_mode_16_64 3
		.amdhsa_dx10_clamp 1
		.amdhsa_ieee_mode 1
		.amdhsa_fp16_overflow 0
		.amdhsa_tg_split 0
		.amdhsa_exception_fp_ieee_invalid_op 0
		.amdhsa_exception_fp_denorm_src 0
		.amdhsa_exception_fp_ieee_div_zero 0
		.amdhsa_exception_fp_ieee_overflow 0
		.amdhsa_exception_fp_ieee_underflow 0
		.amdhsa_exception_fp_ieee_inexact 0
		.amdhsa_exception_int_div_zero 0
	.end_amdhsa_kernel
	.section	.text._ZN7rocprim17ROCPRIM_400000_NS6detail17trampoline_kernelINS0_14default_configENS1_27scan_by_key_config_selectorIiiEEZZNS1_16scan_by_key_implILNS1_25lookback_scan_determinismE0ELb0ES3_N6thrust23THRUST_200600_302600_NS6detail15normal_iteratorINS9_10device_ptrIiEEEENS9_18transform_iteratorINS9_6negateIiEESE_NS9_11use_defaultESI_EESE_iNS9_4plusIvEENS9_8equal_toIvEEiEE10hipError_tPvRmT2_T3_T4_T5_mT6_T7_P12ihipStream_tbENKUlT_T0_E_clISt17integral_constantIbLb0EES13_IbLb1EEEEDaSZ_S10_EUlSZ_E_NS1_11comp_targetILNS1_3genE9ELNS1_11target_archE1100ELNS1_3gpuE3ELNS1_3repE0EEENS1_30default_config_static_selectorELNS0_4arch9wavefront6targetE1EEEvT1_,"axG",@progbits,_ZN7rocprim17ROCPRIM_400000_NS6detail17trampoline_kernelINS0_14default_configENS1_27scan_by_key_config_selectorIiiEEZZNS1_16scan_by_key_implILNS1_25lookback_scan_determinismE0ELb0ES3_N6thrust23THRUST_200600_302600_NS6detail15normal_iteratorINS9_10device_ptrIiEEEENS9_18transform_iteratorINS9_6negateIiEESE_NS9_11use_defaultESI_EESE_iNS9_4plusIvEENS9_8equal_toIvEEiEE10hipError_tPvRmT2_T3_T4_T5_mT6_T7_P12ihipStream_tbENKUlT_T0_E_clISt17integral_constantIbLb0EES13_IbLb1EEEEDaSZ_S10_EUlSZ_E_NS1_11comp_targetILNS1_3genE9ELNS1_11target_archE1100ELNS1_3gpuE3ELNS1_3repE0EEENS1_30default_config_static_selectorELNS0_4arch9wavefront6targetE1EEEvT1_,comdat
.Lfunc_end963:
	.size	_ZN7rocprim17ROCPRIM_400000_NS6detail17trampoline_kernelINS0_14default_configENS1_27scan_by_key_config_selectorIiiEEZZNS1_16scan_by_key_implILNS1_25lookback_scan_determinismE0ELb0ES3_N6thrust23THRUST_200600_302600_NS6detail15normal_iteratorINS9_10device_ptrIiEEEENS9_18transform_iteratorINS9_6negateIiEESE_NS9_11use_defaultESI_EESE_iNS9_4plusIvEENS9_8equal_toIvEEiEE10hipError_tPvRmT2_T3_T4_T5_mT6_T7_P12ihipStream_tbENKUlT_T0_E_clISt17integral_constantIbLb0EES13_IbLb1EEEEDaSZ_S10_EUlSZ_E_NS1_11comp_targetILNS1_3genE9ELNS1_11target_archE1100ELNS1_3gpuE3ELNS1_3repE0EEENS1_30default_config_static_selectorELNS0_4arch9wavefront6targetE1EEEvT1_, .Lfunc_end963-_ZN7rocprim17ROCPRIM_400000_NS6detail17trampoline_kernelINS0_14default_configENS1_27scan_by_key_config_selectorIiiEEZZNS1_16scan_by_key_implILNS1_25lookback_scan_determinismE0ELb0ES3_N6thrust23THRUST_200600_302600_NS6detail15normal_iteratorINS9_10device_ptrIiEEEENS9_18transform_iteratorINS9_6negateIiEESE_NS9_11use_defaultESI_EESE_iNS9_4plusIvEENS9_8equal_toIvEEiEE10hipError_tPvRmT2_T3_T4_T5_mT6_T7_P12ihipStream_tbENKUlT_T0_E_clISt17integral_constantIbLb0EES13_IbLb1EEEEDaSZ_S10_EUlSZ_E_NS1_11comp_targetILNS1_3genE9ELNS1_11target_archE1100ELNS1_3gpuE3ELNS1_3repE0EEENS1_30default_config_static_selectorELNS0_4arch9wavefront6targetE1EEEvT1_
                                        ; -- End function
	.section	.AMDGPU.csdata,"",@progbits
; Kernel info:
; codeLenInByte = 0
; NumSgprs: 4
; NumVgprs: 0
; NumAgprs: 0
; TotalNumVgprs: 0
; ScratchSize: 0
; MemoryBound: 0
; FloatMode: 240
; IeeeMode: 1
; LDSByteSize: 0 bytes/workgroup (compile time only)
; SGPRBlocks: 0
; VGPRBlocks: 0
; NumSGPRsForWavesPerEU: 4
; NumVGPRsForWavesPerEU: 1
; AccumOffset: 4
; Occupancy: 8
; WaveLimiterHint : 0
; COMPUTE_PGM_RSRC2:SCRATCH_EN: 0
; COMPUTE_PGM_RSRC2:USER_SGPR: 6
; COMPUTE_PGM_RSRC2:TRAP_HANDLER: 0
; COMPUTE_PGM_RSRC2:TGID_X_EN: 1
; COMPUTE_PGM_RSRC2:TGID_Y_EN: 0
; COMPUTE_PGM_RSRC2:TGID_Z_EN: 0
; COMPUTE_PGM_RSRC2:TIDIG_COMP_CNT: 0
; COMPUTE_PGM_RSRC3_GFX90A:ACCUM_OFFSET: 0
; COMPUTE_PGM_RSRC3_GFX90A:TG_SPLIT: 0
	.section	.text._ZN7rocprim17ROCPRIM_400000_NS6detail17trampoline_kernelINS0_14default_configENS1_27scan_by_key_config_selectorIiiEEZZNS1_16scan_by_key_implILNS1_25lookback_scan_determinismE0ELb0ES3_N6thrust23THRUST_200600_302600_NS6detail15normal_iteratorINS9_10device_ptrIiEEEENS9_18transform_iteratorINS9_6negateIiEESE_NS9_11use_defaultESI_EESE_iNS9_4plusIvEENS9_8equal_toIvEEiEE10hipError_tPvRmT2_T3_T4_T5_mT6_T7_P12ihipStream_tbENKUlT_T0_E_clISt17integral_constantIbLb0EES13_IbLb1EEEEDaSZ_S10_EUlSZ_E_NS1_11comp_targetILNS1_3genE8ELNS1_11target_archE1030ELNS1_3gpuE2ELNS1_3repE0EEENS1_30default_config_static_selectorELNS0_4arch9wavefront6targetE1EEEvT1_,"axG",@progbits,_ZN7rocprim17ROCPRIM_400000_NS6detail17trampoline_kernelINS0_14default_configENS1_27scan_by_key_config_selectorIiiEEZZNS1_16scan_by_key_implILNS1_25lookback_scan_determinismE0ELb0ES3_N6thrust23THRUST_200600_302600_NS6detail15normal_iteratorINS9_10device_ptrIiEEEENS9_18transform_iteratorINS9_6negateIiEESE_NS9_11use_defaultESI_EESE_iNS9_4plusIvEENS9_8equal_toIvEEiEE10hipError_tPvRmT2_T3_T4_T5_mT6_T7_P12ihipStream_tbENKUlT_T0_E_clISt17integral_constantIbLb0EES13_IbLb1EEEEDaSZ_S10_EUlSZ_E_NS1_11comp_targetILNS1_3genE8ELNS1_11target_archE1030ELNS1_3gpuE2ELNS1_3repE0EEENS1_30default_config_static_selectorELNS0_4arch9wavefront6targetE1EEEvT1_,comdat
	.protected	_ZN7rocprim17ROCPRIM_400000_NS6detail17trampoline_kernelINS0_14default_configENS1_27scan_by_key_config_selectorIiiEEZZNS1_16scan_by_key_implILNS1_25lookback_scan_determinismE0ELb0ES3_N6thrust23THRUST_200600_302600_NS6detail15normal_iteratorINS9_10device_ptrIiEEEENS9_18transform_iteratorINS9_6negateIiEESE_NS9_11use_defaultESI_EESE_iNS9_4plusIvEENS9_8equal_toIvEEiEE10hipError_tPvRmT2_T3_T4_T5_mT6_T7_P12ihipStream_tbENKUlT_T0_E_clISt17integral_constantIbLb0EES13_IbLb1EEEEDaSZ_S10_EUlSZ_E_NS1_11comp_targetILNS1_3genE8ELNS1_11target_archE1030ELNS1_3gpuE2ELNS1_3repE0EEENS1_30default_config_static_selectorELNS0_4arch9wavefront6targetE1EEEvT1_ ; -- Begin function _ZN7rocprim17ROCPRIM_400000_NS6detail17trampoline_kernelINS0_14default_configENS1_27scan_by_key_config_selectorIiiEEZZNS1_16scan_by_key_implILNS1_25lookback_scan_determinismE0ELb0ES3_N6thrust23THRUST_200600_302600_NS6detail15normal_iteratorINS9_10device_ptrIiEEEENS9_18transform_iteratorINS9_6negateIiEESE_NS9_11use_defaultESI_EESE_iNS9_4plusIvEENS9_8equal_toIvEEiEE10hipError_tPvRmT2_T3_T4_T5_mT6_T7_P12ihipStream_tbENKUlT_T0_E_clISt17integral_constantIbLb0EES13_IbLb1EEEEDaSZ_S10_EUlSZ_E_NS1_11comp_targetILNS1_3genE8ELNS1_11target_archE1030ELNS1_3gpuE2ELNS1_3repE0EEENS1_30default_config_static_selectorELNS0_4arch9wavefront6targetE1EEEvT1_
	.globl	_ZN7rocprim17ROCPRIM_400000_NS6detail17trampoline_kernelINS0_14default_configENS1_27scan_by_key_config_selectorIiiEEZZNS1_16scan_by_key_implILNS1_25lookback_scan_determinismE0ELb0ES3_N6thrust23THRUST_200600_302600_NS6detail15normal_iteratorINS9_10device_ptrIiEEEENS9_18transform_iteratorINS9_6negateIiEESE_NS9_11use_defaultESI_EESE_iNS9_4plusIvEENS9_8equal_toIvEEiEE10hipError_tPvRmT2_T3_T4_T5_mT6_T7_P12ihipStream_tbENKUlT_T0_E_clISt17integral_constantIbLb0EES13_IbLb1EEEEDaSZ_S10_EUlSZ_E_NS1_11comp_targetILNS1_3genE8ELNS1_11target_archE1030ELNS1_3gpuE2ELNS1_3repE0EEENS1_30default_config_static_selectorELNS0_4arch9wavefront6targetE1EEEvT1_
	.p2align	8
	.type	_ZN7rocprim17ROCPRIM_400000_NS6detail17trampoline_kernelINS0_14default_configENS1_27scan_by_key_config_selectorIiiEEZZNS1_16scan_by_key_implILNS1_25lookback_scan_determinismE0ELb0ES3_N6thrust23THRUST_200600_302600_NS6detail15normal_iteratorINS9_10device_ptrIiEEEENS9_18transform_iteratorINS9_6negateIiEESE_NS9_11use_defaultESI_EESE_iNS9_4plusIvEENS9_8equal_toIvEEiEE10hipError_tPvRmT2_T3_T4_T5_mT6_T7_P12ihipStream_tbENKUlT_T0_E_clISt17integral_constantIbLb0EES13_IbLb1EEEEDaSZ_S10_EUlSZ_E_NS1_11comp_targetILNS1_3genE8ELNS1_11target_archE1030ELNS1_3gpuE2ELNS1_3repE0EEENS1_30default_config_static_selectorELNS0_4arch9wavefront6targetE1EEEvT1_,@function
_ZN7rocprim17ROCPRIM_400000_NS6detail17trampoline_kernelINS0_14default_configENS1_27scan_by_key_config_selectorIiiEEZZNS1_16scan_by_key_implILNS1_25lookback_scan_determinismE0ELb0ES3_N6thrust23THRUST_200600_302600_NS6detail15normal_iteratorINS9_10device_ptrIiEEEENS9_18transform_iteratorINS9_6negateIiEESE_NS9_11use_defaultESI_EESE_iNS9_4plusIvEENS9_8equal_toIvEEiEE10hipError_tPvRmT2_T3_T4_T5_mT6_T7_P12ihipStream_tbENKUlT_T0_E_clISt17integral_constantIbLb0EES13_IbLb1EEEEDaSZ_S10_EUlSZ_E_NS1_11comp_targetILNS1_3genE8ELNS1_11target_archE1030ELNS1_3gpuE2ELNS1_3repE0EEENS1_30default_config_static_selectorELNS0_4arch9wavefront6targetE1EEEvT1_: ; @_ZN7rocprim17ROCPRIM_400000_NS6detail17trampoline_kernelINS0_14default_configENS1_27scan_by_key_config_selectorIiiEEZZNS1_16scan_by_key_implILNS1_25lookback_scan_determinismE0ELb0ES3_N6thrust23THRUST_200600_302600_NS6detail15normal_iteratorINS9_10device_ptrIiEEEENS9_18transform_iteratorINS9_6negateIiEESE_NS9_11use_defaultESI_EESE_iNS9_4plusIvEENS9_8equal_toIvEEiEE10hipError_tPvRmT2_T3_T4_T5_mT6_T7_P12ihipStream_tbENKUlT_T0_E_clISt17integral_constantIbLb0EES13_IbLb1EEEEDaSZ_S10_EUlSZ_E_NS1_11comp_targetILNS1_3genE8ELNS1_11target_archE1030ELNS1_3gpuE2ELNS1_3repE0EEENS1_30default_config_static_selectorELNS0_4arch9wavefront6targetE1EEEvT1_
; %bb.0:
	.section	.rodata,"a",@progbits
	.p2align	6, 0x0
	.amdhsa_kernel _ZN7rocprim17ROCPRIM_400000_NS6detail17trampoline_kernelINS0_14default_configENS1_27scan_by_key_config_selectorIiiEEZZNS1_16scan_by_key_implILNS1_25lookback_scan_determinismE0ELb0ES3_N6thrust23THRUST_200600_302600_NS6detail15normal_iteratorINS9_10device_ptrIiEEEENS9_18transform_iteratorINS9_6negateIiEESE_NS9_11use_defaultESI_EESE_iNS9_4plusIvEENS9_8equal_toIvEEiEE10hipError_tPvRmT2_T3_T4_T5_mT6_T7_P12ihipStream_tbENKUlT_T0_E_clISt17integral_constantIbLb0EES13_IbLb1EEEEDaSZ_S10_EUlSZ_E_NS1_11comp_targetILNS1_3genE8ELNS1_11target_archE1030ELNS1_3gpuE2ELNS1_3repE0EEENS1_30default_config_static_selectorELNS0_4arch9wavefront6targetE1EEEvT1_
		.amdhsa_group_segment_fixed_size 0
		.amdhsa_private_segment_fixed_size 0
		.amdhsa_kernarg_size 120
		.amdhsa_user_sgpr_count 6
		.amdhsa_user_sgpr_private_segment_buffer 1
		.amdhsa_user_sgpr_dispatch_ptr 0
		.amdhsa_user_sgpr_queue_ptr 0
		.amdhsa_user_sgpr_kernarg_segment_ptr 1
		.amdhsa_user_sgpr_dispatch_id 0
		.amdhsa_user_sgpr_flat_scratch_init 0
		.amdhsa_user_sgpr_kernarg_preload_length 0
		.amdhsa_user_sgpr_kernarg_preload_offset 0
		.amdhsa_user_sgpr_private_segment_size 0
		.amdhsa_uses_dynamic_stack 0
		.amdhsa_system_sgpr_private_segment_wavefront_offset 0
		.amdhsa_system_sgpr_workgroup_id_x 1
		.amdhsa_system_sgpr_workgroup_id_y 0
		.amdhsa_system_sgpr_workgroup_id_z 0
		.amdhsa_system_sgpr_workgroup_info 0
		.amdhsa_system_vgpr_workitem_id 0
		.amdhsa_next_free_vgpr 1
		.amdhsa_next_free_sgpr 0
		.amdhsa_accum_offset 4
		.amdhsa_reserve_vcc 0
		.amdhsa_reserve_flat_scratch 0
		.amdhsa_float_round_mode_32 0
		.amdhsa_float_round_mode_16_64 0
		.amdhsa_float_denorm_mode_32 3
		.amdhsa_float_denorm_mode_16_64 3
		.amdhsa_dx10_clamp 1
		.amdhsa_ieee_mode 1
		.amdhsa_fp16_overflow 0
		.amdhsa_tg_split 0
		.amdhsa_exception_fp_ieee_invalid_op 0
		.amdhsa_exception_fp_denorm_src 0
		.amdhsa_exception_fp_ieee_div_zero 0
		.amdhsa_exception_fp_ieee_overflow 0
		.amdhsa_exception_fp_ieee_underflow 0
		.amdhsa_exception_fp_ieee_inexact 0
		.amdhsa_exception_int_div_zero 0
	.end_amdhsa_kernel
	.section	.text._ZN7rocprim17ROCPRIM_400000_NS6detail17trampoline_kernelINS0_14default_configENS1_27scan_by_key_config_selectorIiiEEZZNS1_16scan_by_key_implILNS1_25lookback_scan_determinismE0ELb0ES3_N6thrust23THRUST_200600_302600_NS6detail15normal_iteratorINS9_10device_ptrIiEEEENS9_18transform_iteratorINS9_6negateIiEESE_NS9_11use_defaultESI_EESE_iNS9_4plusIvEENS9_8equal_toIvEEiEE10hipError_tPvRmT2_T3_T4_T5_mT6_T7_P12ihipStream_tbENKUlT_T0_E_clISt17integral_constantIbLb0EES13_IbLb1EEEEDaSZ_S10_EUlSZ_E_NS1_11comp_targetILNS1_3genE8ELNS1_11target_archE1030ELNS1_3gpuE2ELNS1_3repE0EEENS1_30default_config_static_selectorELNS0_4arch9wavefront6targetE1EEEvT1_,"axG",@progbits,_ZN7rocprim17ROCPRIM_400000_NS6detail17trampoline_kernelINS0_14default_configENS1_27scan_by_key_config_selectorIiiEEZZNS1_16scan_by_key_implILNS1_25lookback_scan_determinismE0ELb0ES3_N6thrust23THRUST_200600_302600_NS6detail15normal_iteratorINS9_10device_ptrIiEEEENS9_18transform_iteratorINS9_6negateIiEESE_NS9_11use_defaultESI_EESE_iNS9_4plusIvEENS9_8equal_toIvEEiEE10hipError_tPvRmT2_T3_T4_T5_mT6_T7_P12ihipStream_tbENKUlT_T0_E_clISt17integral_constantIbLb0EES13_IbLb1EEEEDaSZ_S10_EUlSZ_E_NS1_11comp_targetILNS1_3genE8ELNS1_11target_archE1030ELNS1_3gpuE2ELNS1_3repE0EEENS1_30default_config_static_selectorELNS0_4arch9wavefront6targetE1EEEvT1_,comdat
.Lfunc_end964:
	.size	_ZN7rocprim17ROCPRIM_400000_NS6detail17trampoline_kernelINS0_14default_configENS1_27scan_by_key_config_selectorIiiEEZZNS1_16scan_by_key_implILNS1_25lookback_scan_determinismE0ELb0ES3_N6thrust23THRUST_200600_302600_NS6detail15normal_iteratorINS9_10device_ptrIiEEEENS9_18transform_iteratorINS9_6negateIiEESE_NS9_11use_defaultESI_EESE_iNS9_4plusIvEENS9_8equal_toIvEEiEE10hipError_tPvRmT2_T3_T4_T5_mT6_T7_P12ihipStream_tbENKUlT_T0_E_clISt17integral_constantIbLb0EES13_IbLb1EEEEDaSZ_S10_EUlSZ_E_NS1_11comp_targetILNS1_3genE8ELNS1_11target_archE1030ELNS1_3gpuE2ELNS1_3repE0EEENS1_30default_config_static_selectorELNS0_4arch9wavefront6targetE1EEEvT1_, .Lfunc_end964-_ZN7rocprim17ROCPRIM_400000_NS6detail17trampoline_kernelINS0_14default_configENS1_27scan_by_key_config_selectorIiiEEZZNS1_16scan_by_key_implILNS1_25lookback_scan_determinismE0ELb0ES3_N6thrust23THRUST_200600_302600_NS6detail15normal_iteratorINS9_10device_ptrIiEEEENS9_18transform_iteratorINS9_6negateIiEESE_NS9_11use_defaultESI_EESE_iNS9_4plusIvEENS9_8equal_toIvEEiEE10hipError_tPvRmT2_T3_T4_T5_mT6_T7_P12ihipStream_tbENKUlT_T0_E_clISt17integral_constantIbLb0EES13_IbLb1EEEEDaSZ_S10_EUlSZ_E_NS1_11comp_targetILNS1_3genE8ELNS1_11target_archE1030ELNS1_3gpuE2ELNS1_3repE0EEENS1_30default_config_static_selectorELNS0_4arch9wavefront6targetE1EEEvT1_
                                        ; -- End function
	.section	.AMDGPU.csdata,"",@progbits
; Kernel info:
; codeLenInByte = 0
; NumSgprs: 4
; NumVgprs: 0
; NumAgprs: 0
; TotalNumVgprs: 0
; ScratchSize: 0
; MemoryBound: 0
; FloatMode: 240
; IeeeMode: 1
; LDSByteSize: 0 bytes/workgroup (compile time only)
; SGPRBlocks: 0
; VGPRBlocks: 0
; NumSGPRsForWavesPerEU: 4
; NumVGPRsForWavesPerEU: 1
; AccumOffset: 4
; Occupancy: 8
; WaveLimiterHint : 0
; COMPUTE_PGM_RSRC2:SCRATCH_EN: 0
; COMPUTE_PGM_RSRC2:USER_SGPR: 6
; COMPUTE_PGM_RSRC2:TRAP_HANDLER: 0
; COMPUTE_PGM_RSRC2:TGID_X_EN: 1
; COMPUTE_PGM_RSRC2:TGID_Y_EN: 0
; COMPUTE_PGM_RSRC2:TGID_Z_EN: 0
; COMPUTE_PGM_RSRC2:TIDIG_COMP_CNT: 0
; COMPUTE_PGM_RSRC3_GFX90A:ACCUM_OFFSET: 0
; COMPUTE_PGM_RSRC3_GFX90A:TG_SPLIT: 0
	.section	.text._ZN7rocprim17ROCPRIM_400000_NS6detail17trampoline_kernelINS0_14default_configENS1_27scan_by_key_config_selectorIssEEZZNS1_16scan_by_key_implILNS1_25lookback_scan_determinismE0ELb0ES3_N6thrust23THRUST_200600_302600_NS6detail15normal_iteratorINS9_10device_ptrIsEEEENS9_18transform_iteratorINS9_6negateIsEESE_NS9_11use_defaultESI_EESE_sNS9_4plusIvEENS9_8equal_toIvEEsEE10hipError_tPvRmT2_T3_T4_T5_mT6_T7_P12ihipStream_tbENKUlT_T0_E_clISt17integral_constantIbLb0EES14_EEDaSZ_S10_EUlSZ_E_NS1_11comp_targetILNS1_3genE0ELNS1_11target_archE4294967295ELNS1_3gpuE0ELNS1_3repE0EEENS1_30default_config_static_selectorELNS0_4arch9wavefront6targetE1EEEvT1_,"axG",@progbits,_ZN7rocprim17ROCPRIM_400000_NS6detail17trampoline_kernelINS0_14default_configENS1_27scan_by_key_config_selectorIssEEZZNS1_16scan_by_key_implILNS1_25lookback_scan_determinismE0ELb0ES3_N6thrust23THRUST_200600_302600_NS6detail15normal_iteratorINS9_10device_ptrIsEEEENS9_18transform_iteratorINS9_6negateIsEESE_NS9_11use_defaultESI_EESE_sNS9_4plusIvEENS9_8equal_toIvEEsEE10hipError_tPvRmT2_T3_T4_T5_mT6_T7_P12ihipStream_tbENKUlT_T0_E_clISt17integral_constantIbLb0EES14_EEDaSZ_S10_EUlSZ_E_NS1_11comp_targetILNS1_3genE0ELNS1_11target_archE4294967295ELNS1_3gpuE0ELNS1_3repE0EEENS1_30default_config_static_selectorELNS0_4arch9wavefront6targetE1EEEvT1_,comdat
	.protected	_ZN7rocprim17ROCPRIM_400000_NS6detail17trampoline_kernelINS0_14default_configENS1_27scan_by_key_config_selectorIssEEZZNS1_16scan_by_key_implILNS1_25lookback_scan_determinismE0ELb0ES3_N6thrust23THRUST_200600_302600_NS6detail15normal_iteratorINS9_10device_ptrIsEEEENS9_18transform_iteratorINS9_6negateIsEESE_NS9_11use_defaultESI_EESE_sNS9_4plusIvEENS9_8equal_toIvEEsEE10hipError_tPvRmT2_T3_T4_T5_mT6_T7_P12ihipStream_tbENKUlT_T0_E_clISt17integral_constantIbLb0EES14_EEDaSZ_S10_EUlSZ_E_NS1_11comp_targetILNS1_3genE0ELNS1_11target_archE4294967295ELNS1_3gpuE0ELNS1_3repE0EEENS1_30default_config_static_selectorELNS0_4arch9wavefront6targetE1EEEvT1_ ; -- Begin function _ZN7rocprim17ROCPRIM_400000_NS6detail17trampoline_kernelINS0_14default_configENS1_27scan_by_key_config_selectorIssEEZZNS1_16scan_by_key_implILNS1_25lookback_scan_determinismE0ELb0ES3_N6thrust23THRUST_200600_302600_NS6detail15normal_iteratorINS9_10device_ptrIsEEEENS9_18transform_iteratorINS9_6negateIsEESE_NS9_11use_defaultESI_EESE_sNS9_4plusIvEENS9_8equal_toIvEEsEE10hipError_tPvRmT2_T3_T4_T5_mT6_T7_P12ihipStream_tbENKUlT_T0_E_clISt17integral_constantIbLb0EES14_EEDaSZ_S10_EUlSZ_E_NS1_11comp_targetILNS1_3genE0ELNS1_11target_archE4294967295ELNS1_3gpuE0ELNS1_3repE0EEENS1_30default_config_static_selectorELNS0_4arch9wavefront6targetE1EEEvT1_
	.globl	_ZN7rocprim17ROCPRIM_400000_NS6detail17trampoline_kernelINS0_14default_configENS1_27scan_by_key_config_selectorIssEEZZNS1_16scan_by_key_implILNS1_25lookback_scan_determinismE0ELb0ES3_N6thrust23THRUST_200600_302600_NS6detail15normal_iteratorINS9_10device_ptrIsEEEENS9_18transform_iteratorINS9_6negateIsEESE_NS9_11use_defaultESI_EESE_sNS9_4plusIvEENS9_8equal_toIvEEsEE10hipError_tPvRmT2_T3_T4_T5_mT6_T7_P12ihipStream_tbENKUlT_T0_E_clISt17integral_constantIbLb0EES14_EEDaSZ_S10_EUlSZ_E_NS1_11comp_targetILNS1_3genE0ELNS1_11target_archE4294967295ELNS1_3gpuE0ELNS1_3repE0EEENS1_30default_config_static_selectorELNS0_4arch9wavefront6targetE1EEEvT1_
	.p2align	8
	.type	_ZN7rocprim17ROCPRIM_400000_NS6detail17trampoline_kernelINS0_14default_configENS1_27scan_by_key_config_selectorIssEEZZNS1_16scan_by_key_implILNS1_25lookback_scan_determinismE0ELb0ES3_N6thrust23THRUST_200600_302600_NS6detail15normal_iteratorINS9_10device_ptrIsEEEENS9_18transform_iteratorINS9_6negateIsEESE_NS9_11use_defaultESI_EESE_sNS9_4plusIvEENS9_8equal_toIvEEsEE10hipError_tPvRmT2_T3_T4_T5_mT6_T7_P12ihipStream_tbENKUlT_T0_E_clISt17integral_constantIbLb0EES14_EEDaSZ_S10_EUlSZ_E_NS1_11comp_targetILNS1_3genE0ELNS1_11target_archE4294967295ELNS1_3gpuE0ELNS1_3repE0EEENS1_30default_config_static_selectorELNS0_4arch9wavefront6targetE1EEEvT1_,@function
_ZN7rocprim17ROCPRIM_400000_NS6detail17trampoline_kernelINS0_14default_configENS1_27scan_by_key_config_selectorIssEEZZNS1_16scan_by_key_implILNS1_25lookback_scan_determinismE0ELb0ES3_N6thrust23THRUST_200600_302600_NS6detail15normal_iteratorINS9_10device_ptrIsEEEENS9_18transform_iteratorINS9_6negateIsEESE_NS9_11use_defaultESI_EESE_sNS9_4plusIvEENS9_8equal_toIvEEsEE10hipError_tPvRmT2_T3_T4_T5_mT6_T7_P12ihipStream_tbENKUlT_T0_E_clISt17integral_constantIbLb0EES14_EEDaSZ_S10_EUlSZ_E_NS1_11comp_targetILNS1_3genE0ELNS1_11target_archE4294967295ELNS1_3gpuE0ELNS1_3repE0EEENS1_30default_config_static_selectorELNS0_4arch9wavefront6targetE1EEEvT1_: ; @_ZN7rocprim17ROCPRIM_400000_NS6detail17trampoline_kernelINS0_14default_configENS1_27scan_by_key_config_selectorIssEEZZNS1_16scan_by_key_implILNS1_25lookback_scan_determinismE0ELb0ES3_N6thrust23THRUST_200600_302600_NS6detail15normal_iteratorINS9_10device_ptrIsEEEENS9_18transform_iteratorINS9_6negateIsEESE_NS9_11use_defaultESI_EESE_sNS9_4plusIvEENS9_8equal_toIvEEsEE10hipError_tPvRmT2_T3_T4_T5_mT6_T7_P12ihipStream_tbENKUlT_T0_E_clISt17integral_constantIbLb0EES14_EEDaSZ_S10_EUlSZ_E_NS1_11comp_targetILNS1_3genE0ELNS1_11target_archE4294967295ELNS1_3gpuE0ELNS1_3repE0EEENS1_30default_config_static_selectorELNS0_4arch9wavefront6targetE1EEEvT1_
; %bb.0:
	.section	.rodata,"a",@progbits
	.p2align	6, 0x0
	.amdhsa_kernel _ZN7rocprim17ROCPRIM_400000_NS6detail17trampoline_kernelINS0_14default_configENS1_27scan_by_key_config_selectorIssEEZZNS1_16scan_by_key_implILNS1_25lookback_scan_determinismE0ELb0ES3_N6thrust23THRUST_200600_302600_NS6detail15normal_iteratorINS9_10device_ptrIsEEEENS9_18transform_iteratorINS9_6negateIsEESE_NS9_11use_defaultESI_EESE_sNS9_4plusIvEENS9_8equal_toIvEEsEE10hipError_tPvRmT2_T3_T4_T5_mT6_T7_P12ihipStream_tbENKUlT_T0_E_clISt17integral_constantIbLb0EES14_EEDaSZ_S10_EUlSZ_E_NS1_11comp_targetILNS1_3genE0ELNS1_11target_archE4294967295ELNS1_3gpuE0ELNS1_3repE0EEENS1_30default_config_static_selectorELNS0_4arch9wavefront6targetE1EEEvT1_
		.amdhsa_group_segment_fixed_size 0
		.amdhsa_private_segment_fixed_size 0
		.amdhsa_kernarg_size 120
		.amdhsa_user_sgpr_count 6
		.amdhsa_user_sgpr_private_segment_buffer 1
		.amdhsa_user_sgpr_dispatch_ptr 0
		.amdhsa_user_sgpr_queue_ptr 0
		.amdhsa_user_sgpr_kernarg_segment_ptr 1
		.amdhsa_user_sgpr_dispatch_id 0
		.amdhsa_user_sgpr_flat_scratch_init 0
		.amdhsa_user_sgpr_kernarg_preload_length 0
		.amdhsa_user_sgpr_kernarg_preload_offset 0
		.amdhsa_user_sgpr_private_segment_size 0
		.amdhsa_uses_dynamic_stack 0
		.amdhsa_system_sgpr_private_segment_wavefront_offset 0
		.amdhsa_system_sgpr_workgroup_id_x 1
		.amdhsa_system_sgpr_workgroup_id_y 0
		.amdhsa_system_sgpr_workgroup_id_z 0
		.amdhsa_system_sgpr_workgroup_info 0
		.amdhsa_system_vgpr_workitem_id 0
		.amdhsa_next_free_vgpr 1
		.amdhsa_next_free_sgpr 0
		.amdhsa_accum_offset 4
		.amdhsa_reserve_vcc 0
		.amdhsa_reserve_flat_scratch 0
		.amdhsa_float_round_mode_32 0
		.amdhsa_float_round_mode_16_64 0
		.amdhsa_float_denorm_mode_32 3
		.amdhsa_float_denorm_mode_16_64 3
		.amdhsa_dx10_clamp 1
		.amdhsa_ieee_mode 1
		.amdhsa_fp16_overflow 0
		.amdhsa_tg_split 0
		.amdhsa_exception_fp_ieee_invalid_op 0
		.amdhsa_exception_fp_denorm_src 0
		.amdhsa_exception_fp_ieee_div_zero 0
		.amdhsa_exception_fp_ieee_overflow 0
		.amdhsa_exception_fp_ieee_underflow 0
		.amdhsa_exception_fp_ieee_inexact 0
		.amdhsa_exception_int_div_zero 0
	.end_amdhsa_kernel
	.section	.text._ZN7rocprim17ROCPRIM_400000_NS6detail17trampoline_kernelINS0_14default_configENS1_27scan_by_key_config_selectorIssEEZZNS1_16scan_by_key_implILNS1_25lookback_scan_determinismE0ELb0ES3_N6thrust23THRUST_200600_302600_NS6detail15normal_iteratorINS9_10device_ptrIsEEEENS9_18transform_iteratorINS9_6negateIsEESE_NS9_11use_defaultESI_EESE_sNS9_4plusIvEENS9_8equal_toIvEEsEE10hipError_tPvRmT2_T3_T4_T5_mT6_T7_P12ihipStream_tbENKUlT_T0_E_clISt17integral_constantIbLb0EES14_EEDaSZ_S10_EUlSZ_E_NS1_11comp_targetILNS1_3genE0ELNS1_11target_archE4294967295ELNS1_3gpuE0ELNS1_3repE0EEENS1_30default_config_static_selectorELNS0_4arch9wavefront6targetE1EEEvT1_,"axG",@progbits,_ZN7rocprim17ROCPRIM_400000_NS6detail17trampoline_kernelINS0_14default_configENS1_27scan_by_key_config_selectorIssEEZZNS1_16scan_by_key_implILNS1_25lookback_scan_determinismE0ELb0ES3_N6thrust23THRUST_200600_302600_NS6detail15normal_iteratorINS9_10device_ptrIsEEEENS9_18transform_iteratorINS9_6negateIsEESE_NS9_11use_defaultESI_EESE_sNS9_4plusIvEENS9_8equal_toIvEEsEE10hipError_tPvRmT2_T3_T4_T5_mT6_T7_P12ihipStream_tbENKUlT_T0_E_clISt17integral_constantIbLb0EES14_EEDaSZ_S10_EUlSZ_E_NS1_11comp_targetILNS1_3genE0ELNS1_11target_archE4294967295ELNS1_3gpuE0ELNS1_3repE0EEENS1_30default_config_static_selectorELNS0_4arch9wavefront6targetE1EEEvT1_,comdat
.Lfunc_end965:
	.size	_ZN7rocprim17ROCPRIM_400000_NS6detail17trampoline_kernelINS0_14default_configENS1_27scan_by_key_config_selectorIssEEZZNS1_16scan_by_key_implILNS1_25lookback_scan_determinismE0ELb0ES3_N6thrust23THRUST_200600_302600_NS6detail15normal_iteratorINS9_10device_ptrIsEEEENS9_18transform_iteratorINS9_6negateIsEESE_NS9_11use_defaultESI_EESE_sNS9_4plusIvEENS9_8equal_toIvEEsEE10hipError_tPvRmT2_T3_T4_T5_mT6_T7_P12ihipStream_tbENKUlT_T0_E_clISt17integral_constantIbLb0EES14_EEDaSZ_S10_EUlSZ_E_NS1_11comp_targetILNS1_3genE0ELNS1_11target_archE4294967295ELNS1_3gpuE0ELNS1_3repE0EEENS1_30default_config_static_selectorELNS0_4arch9wavefront6targetE1EEEvT1_, .Lfunc_end965-_ZN7rocprim17ROCPRIM_400000_NS6detail17trampoline_kernelINS0_14default_configENS1_27scan_by_key_config_selectorIssEEZZNS1_16scan_by_key_implILNS1_25lookback_scan_determinismE0ELb0ES3_N6thrust23THRUST_200600_302600_NS6detail15normal_iteratorINS9_10device_ptrIsEEEENS9_18transform_iteratorINS9_6negateIsEESE_NS9_11use_defaultESI_EESE_sNS9_4plusIvEENS9_8equal_toIvEEsEE10hipError_tPvRmT2_T3_T4_T5_mT6_T7_P12ihipStream_tbENKUlT_T0_E_clISt17integral_constantIbLb0EES14_EEDaSZ_S10_EUlSZ_E_NS1_11comp_targetILNS1_3genE0ELNS1_11target_archE4294967295ELNS1_3gpuE0ELNS1_3repE0EEENS1_30default_config_static_selectorELNS0_4arch9wavefront6targetE1EEEvT1_
                                        ; -- End function
	.section	.AMDGPU.csdata,"",@progbits
; Kernel info:
; codeLenInByte = 0
; NumSgprs: 4
; NumVgprs: 0
; NumAgprs: 0
; TotalNumVgprs: 0
; ScratchSize: 0
; MemoryBound: 0
; FloatMode: 240
; IeeeMode: 1
; LDSByteSize: 0 bytes/workgroup (compile time only)
; SGPRBlocks: 0
; VGPRBlocks: 0
; NumSGPRsForWavesPerEU: 4
; NumVGPRsForWavesPerEU: 1
; AccumOffset: 4
; Occupancy: 8
; WaveLimiterHint : 0
; COMPUTE_PGM_RSRC2:SCRATCH_EN: 0
; COMPUTE_PGM_RSRC2:USER_SGPR: 6
; COMPUTE_PGM_RSRC2:TRAP_HANDLER: 0
; COMPUTE_PGM_RSRC2:TGID_X_EN: 1
; COMPUTE_PGM_RSRC2:TGID_Y_EN: 0
; COMPUTE_PGM_RSRC2:TGID_Z_EN: 0
; COMPUTE_PGM_RSRC2:TIDIG_COMP_CNT: 0
; COMPUTE_PGM_RSRC3_GFX90A:ACCUM_OFFSET: 0
; COMPUTE_PGM_RSRC3_GFX90A:TG_SPLIT: 0
	.section	.text._ZN7rocprim17ROCPRIM_400000_NS6detail17trampoline_kernelINS0_14default_configENS1_27scan_by_key_config_selectorIssEEZZNS1_16scan_by_key_implILNS1_25lookback_scan_determinismE0ELb0ES3_N6thrust23THRUST_200600_302600_NS6detail15normal_iteratorINS9_10device_ptrIsEEEENS9_18transform_iteratorINS9_6negateIsEESE_NS9_11use_defaultESI_EESE_sNS9_4plusIvEENS9_8equal_toIvEEsEE10hipError_tPvRmT2_T3_T4_T5_mT6_T7_P12ihipStream_tbENKUlT_T0_E_clISt17integral_constantIbLb0EES14_EEDaSZ_S10_EUlSZ_E_NS1_11comp_targetILNS1_3genE10ELNS1_11target_archE1201ELNS1_3gpuE5ELNS1_3repE0EEENS1_30default_config_static_selectorELNS0_4arch9wavefront6targetE1EEEvT1_,"axG",@progbits,_ZN7rocprim17ROCPRIM_400000_NS6detail17trampoline_kernelINS0_14default_configENS1_27scan_by_key_config_selectorIssEEZZNS1_16scan_by_key_implILNS1_25lookback_scan_determinismE0ELb0ES3_N6thrust23THRUST_200600_302600_NS6detail15normal_iteratorINS9_10device_ptrIsEEEENS9_18transform_iteratorINS9_6negateIsEESE_NS9_11use_defaultESI_EESE_sNS9_4plusIvEENS9_8equal_toIvEEsEE10hipError_tPvRmT2_T3_T4_T5_mT6_T7_P12ihipStream_tbENKUlT_T0_E_clISt17integral_constantIbLb0EES14_EEDaSZ_S10_EUlSZ_E_NS1_11comp_targetILNS1_3genE10ELNS1_11target_archE1201ELNS1_3gpuE5ELNS1_3repE0EEENS1_30default_config_static_selectorELNS0_4arch9wavefront6targetE1EEEvT1_,comdat
	.protected	_ZN7rocprim17ROCPRIM_400000_NS6detail17trampoline_kernelINS0_14default_configENS1_27scan_by_key_config_selectorIssEEZZNS1_16scan_by_key_implILNS1_25lookback_scan_determinismE0ELb0ES3_N6thrust23THRUST_200600_302600_NS6detail15normal_iteratorINS9_10device_ptrIsEEEENS9_18transform_iteratorINS9_6negateIsEESE_NS9_11use_defaultESI_EESE_sNS9_4plusIvEENS9_8equal_toIvEEsEE10hipError_tPvRmT2_T3_T4_T5_mT6_T7_P12ihipStream_tbENKUlT_T0_E_clISt17integral_constantIbLb0EES14_EEDaSZ_S10_EUlSZ_E_NS1_11comp_targetILNS1_3genE10ELNS1_11target_archE1201ELNS1_3gpuE5ELNS1_3repE0EEENS1_30default_config_static_selectorELNS0_4arch9wavefront6targetE1EEEvT1_ ; -- Begin function _ZN7rocprim17ROCPRIM_400000_NS6detail17trampoline_kernelINS0_14default_configENS1_27scan_by_key_config_selectorIssEEZZNS1_16scan_by_key_implILNS1_25lookback_scan_determinismE0ELb0ES3_N6thrust23THRUST_200600_302600_NS6detail15normal_iteratorINS9_10device_ptrIsEEEENS9_18transform_iteratorINS9_6negateIsEESE_NS9_11use_defaultESI_EESE_sNS9_4plusIvEENS9_8equal_toIvEEsEE10hipError_tPvRmT2_T3_T4_T5_mT6_T7_P12ihipStream_tbENKUlT_T0_E_clISt17integral_constantIbLb0EES14_EEDaSZ_S10_EUlSZ_E_NS1_11comp_targetILNS1_3genE10ELNS1_11target_archE1201ELNS1_3gpuE5ELNS1_3repE0EEENS1_30default_config_static_selectorELNS0_4arch9wavefront6targetE1EEEvT1_
	.globl	_ZN7rocprim17ROCPRIM_400000_NS6detail17trampoline_kernelINS0_14default_configENS1_27scan_by_key_config_selectorIssEEZZNS1_16scan_by_key_implILNS1_25lookback_scan_determinismE0ELb0ES3_N6thrust23THRUST_200600_302600_NS6detail15normal_iteratorINS9_10device_ptrIsEEEENS9_18transform_iteratorINS9_6negateIsEESE_NS9_11use_defaultESI_EESE_sNS9_4plusIvEENS9_8equal_toIvEEsEE10hipError_tPvRmT2_T3_T4_T5_mT6_T7_P12ihipStream_tbENKUlT_T0_E_clISt17integral_constantIbLb0EES14_EEDaSZ_S10_EUlSZ_E_NS1_11comp_targetILNS1_3genE10ELNS1_11target_archE1201ELNS1_3gpuE5ELNS1_3repE0EEENS1_30default_config_static_selectorELNS0_4arch9wavefront6targetE1EEEvT1_
	.p2align	8
	.type	_ZN7rocprim17ROCPRIM_400000_NS6detail17trampoline_kernelINS0_14default_configENS1_27scan_by_key_config_selectorIssEEZZNS1_16scan_by_key_implILNS1_25lookback_scan_determinismE0ELb0ES3_N6thrust23THRUST_200600_302600_NS6detail15normal_iteratorINS9_10device_ptrIsEEEENS9_18transform_iteratorINS9_6negateIsEESE_NS9_11use_defaultESI_EESE_sNS9_4plusIvEENS9_8equal_toIvEEsEE10hipError_tPvRmT2_T3_T4_T5_mT6_T7_P12ihipStream_tbENKUlT_T0_E_clISt17integral_constantIbLb0EES14_EEDaSZ_S10_EUlSZ_E_NS1_11comp_targetILNS1_3genE10ELNS1_11target_archE1201ELNS1_3gpuE5ELNS1_3repE0EEENS1_30default_config_static_selectorELNS0_4arch9wavefront6targetE1EEEvT1_,@function
_ZN7rocprim17ROCPRIM_400000_NS6detail17trampoline_kernelINS0_14default_configENS1_27scan_by_key_config_selectorIssEEZZNS1_16scan_by_key_implILNS1_25lookback_scan_determinismE0ELb0ES3_N6thrust23THRUST_200600_302600_NS6detail15normal_iteratorINS9_10device_ptrIsEEEENS9_18transform_iteratorINS9_6negateIsEESE_NS9_11use_defaultESI_EESE_sNS9_4plusIvEENS9_8equal_toIvEEsEE10hipError_tPvRmT2_T3_T4_T5_mT6_T7_P12ihipStream_tbENKUlT_T0_E_clISt17integral_constantIbLb0EES14_EEDaSZ_S10_EUlSZ_E_NS1_11comp_targetILNS1_3genE10ELNS1_11target_archE1201ELNS1_3gpuE5ELNS1_3repE0EEENS1_30default_config_static_selectorELNS0_4arch9wavefront6targetE1EEEvT1_: ; @_ZN7rocprim17ROCPRIM_400000_NS6detail17trampoline_kernelINS0_14default_configENS1_27scan_by_key_config_selectorIssEEZZNS1_16scan_by_key_implILNS1_25lookback_scan_determinismE0ELb0ES3_N6thrust23THRUST_200600_302600_NS6detail15normal_iteratorINS9_10device_ptrIsEEEENS9_18transform_iteratorINS9_6negateIsEESE_NS9_11use_defaultESI_EESE_sNS9_4plusIvEENS9_8equal_toIvEEsEE10hipError_tPvRmT2_T3_T4_T5_mT6_T7_P12ihipStream_tbENKUlT_T0_E_clISt17integral_constantIbLb0EES14_EEDaSZ_S10_EUlSZ_E_NS1_11comp_targetILNS1_3genE10ELNS1_11target_archE1201ELNS1_3gpuE5ELNS1_3repE0EEENS1_30default_config_static_selectorELNS0_4arch9wavefront6targetE1EEEvT1_
; %bb.0:
	.section	.rodata,"a",@progbits
	.p2align	6, 0x0
	.amdhsa_kernel _ZN7rocprim17ROCPRIM_400000_NS6detail17trampoline_kernelINS0_14default_configENS1_27scan_by_key_config_selectorIssEEZZNS1_16scan_by_key_implILNS1_25lookback_scan_determinismE0ELb0ES3_N6thrust23THRUST_200600_302600_NS6detail15normal_iteratorINS9_10device_ptrIsEEEENS9_18transform_iteratorINS9_6negateIsEESE_NS9_11use_defaultESI_EESE_sNS9_4plusIvEENS9_8equal_toIvEEsEE10hipError_tPvRmT2_T3_T4_T5_mT6_T7_P12ihipStream_tbENKUlT_T0_E_clISt17integral_constantIbLb0EES14_EEDaSZ_S10_EUlSZ_E_NS1_11comp_targetILNS1_3genE10ELNS1_11target_archE1201ELNS1_3gpuE5ELNS1_3repE0EEENS1_30default_config_static_selectorELNS0_4arch9wavefront6targetE1EEEvT1_
		.amdhsa_group_segment_fixed_size 0
		.amdhsa_private_segment_fixed_size 0
		.amdhsa_kernarg_size 120
		.amdhsa_user_sgpr_count 6
		.amdhsa_user_sgpr_private_segment_buffer 1
		.amdhsa_user_sgpr_dispatch_ptr 0
		.amdhsa_user_sgpr_queue_ptr 0
		.amdhsa_user_sgpr_kernarg_segment_ptr 1
		.amdhsa_user_sgpr_dispatch_id 0
		.amdhsa_user_sgpr_flat_scratch_init 0
		.amdhsa_user_sgpr_kernarg_preload_length 0
		.amdhsa_user_sgpr_kernarg_preload_offset 0
		.amdhsa_user_sgpr_private_segment_size 0
		.amdhsa_uses_dynamic_stack 0
		.amdhsa_system_sgpr_private_segment_wavefront_offset 0
		.amdhsa_system_sgpr_workgroup_id_x 1
		.amdhsa_system_sgpr_workgroup_id_y 0
		.amdhsa_system_sgpr_workgroup_id_z 0
		.amdhsa_system_sgpr_workgroup_info 0
		.amdhsa_system_vgpr_workitem_id 0
		.amdhsa_next_free_vgpr 1
		.amdhsa_next_free_sgpr 0
		.amdhsa_accum_offset 4
		.amdhsa_reserve_vcc 0
		.amdhsa_reserve_flat_scratch 0
		.amdhsa_float_round_mode_32 0
		.amdhsa_float_round_mode_16_64 0
		.amdhsa_float_denorm_mode_32 3
		.amdhsa_float_denorm_mode_16_64 3
		.amdhsa_dx10_clamp 1
		.amdhsa_ieee_mode 1
		.amdhsa_fp16_overflow 0
		.amdhsa_tg_split 0
		.amdhsa_exception_fp_ieee_invalid_op 0
		.amdhsa_exception_fp_denorm_src 0
		.amdhsa_exception_fp_ieee_div_zero 0
		.amdhsa_exception_fp_ieee_overflow 0
		.amdhsa_exception_fp_ieee_underflow 0
		.amdhsa_exception_fp_ieee_inexact 0
		.amdhsa_exception_int_div_zero 0
	.end_amdhsa_kernel
	.section	.text._ZN7rocprim17ROCPRIM_400000_NS6detail17trampoline_kernelINS0_14default_configENS1_27scan_by_key_config_selectorIssEEZZNS1_16scan_by_key_implILNS1_25lookback_scan_determinismE0ELb0ES3_N6thrust23THRUST_200600_302600_NS6detail15normal_iteratorINS9_10device_ptrIsEEEENS9_18transform_iteratorINS9_6negateIsEESE_NS9_11use_defaultESI_EESE_sNS9_4plusIvEENS9_8equal_toIvEEsEE10hipError_tPvRmT2_T3_T4_T5_mT6_T7_P12ihipStream_tbENKUlT_T0_E_clISt17integral_constantIbLb0EES14_EEDaSZ_S10_EUlSZ_E_NS1_11comp_targetILNS1_3genE10ELNS1_11target_archE1201ELNS1_3gpuE5ELNS1_3repE0EEENS1_30default_config_static_selectorELNS0_4arch9wavefront6targetE1EEEvT1_,"axG",@progbits,_ZN7rocprim17ROCPRIM_400000_NS6detail17trampoline_kernelINS0_14default_configENS1_27scan_by_key_config_selectorIssEEZZNS1_16scan_by_key_implILNS1_25lookback_scan_determinismE0ELb0ES3_N6thrust23THRUST_200600_302600_NS6detail15normal_iteratorINS9_10device_ptrIsEEEENS9_18transform_iteratorINS9_6negateIsEESE_NS9_11use_defaultESI_EESE_sNS9_4plusIvEENS9_8equal_toIvEEsEE10hipError_tPvRmT2_T3_T4_T5_mT6_T7_P12ihipStream_tbENKUlT_T0_E_clISt17integral_constantIbLb0EES14_EEDaSZ_S10_EUlSZ_E_NS1_11comp_targetILNS1_3genE10ELNS1_11target_archE1201ELNS1_3gpuE5ELNS1_3repE0EEENS1_30default_config_static_selectorELNS0_4arch9wavefront6targetE1EEEvT1_,comdat
.Lfunc_end966:
	.size	_ZN7rocprim17ROCPRIM_400000_NS6detail17trampoline_kernelINS0_14default_configENS1_27scan_by_key_config_selectorIssEEZZNS1_16scan_by_key_implILNS1_25lookback_scan_determinismE0ELb0ES3_N6thrust23THRUST_200600_302600_NS6detail15normal_iteratorINS9_10device_ptrIsEEEENS9_18transform_iteratorINS9_6negateIsEESE_NS9_11use_defaultESI_EESE_sNS9_4plusIvEENS9_8equal_toIvEEsEE10hipError_tPvRmT2_T3_T4_T5_mT6_T7_P12ihipStream_tbENKUlT_T0_E_clISt17integral_constantIbLb0EES14_EEDaSZ_S10_EUlSZ_E_NS1_11comp_targetILNS1_3genE10ELNS1_11target_archE1201ELNS1_3gpuE5ELNS1_3repE0EEENS1_30default_config_static_selectorELNS0_4arch9wavefront6targetE1EEEvT1_, .Lfunc_end966-_ZN7rocprim17ROCPRIM_400000_NS6detail17trampoline_kernelINS0_14default_configENS1_27scan_by_key_config_selectorIssEEZZNS1_16scan_by_key_implILNS1_25lookback_scan_determinismE0ELb0ES3_N6thrust23THRUST_200600_302600_NS6detail15normal_iteratorINS9_10device_ptrIsEEEENS9_18transform_iteratorINS9_6negateIsEESE_NS9_11use_defaultESI_EESE_sNS9_4plusIvEENS9_8equal_toIvEEsEE10hipError_tPvRmT2_T3_T4_T5_mT6_T7_P12ihipStream_tbENKUlT_T0_E_clISt17integral_constantIbLb0EES14_EEDaSZ_S10_EUlSZ_E_NS1_11comp_targetILNS1_3genE10ELNS1_11target_archE1201ELNS1_3gpuE5ELNS1_3repE0EEENS1_30default_config_static_selectorELNS0_4arch9wavefront6targetE1EEEvT1_
                                        ; -- End function
	.section	.AMDGPU.csdata,"",@progbits
; Kernel info:
; codeLenInByte = 0
; NumSgprs: 4
; NumVgprs: 0
; NumAgprs: 0
; TotalNumVgprs: 0
; ScratchSize: 0
; MemoryBound: 0
; FloatMode: 240
; IeeeMode: 1
; LDSByteSize: 0 bytes/workgroup (compile time only)
; SGPRBlocks: 0
; VGPRBlocks: 0
; NumSGPRsForWavesPerEU: 4
; NumVGPRsForWavesPerEU: 1
; AccumOffset: 4
; Occupancy: 8
; WaveLimiterHint : 0
; COMPUTE_PGM_RSRC2:SCRATCH_EN: 0
; COMPUTE_PGM_RSRC2:USER_SGPR: 6
; COMPUTE_PGM_RSRC2:TRAP_HANDLER: 0
; COMPUTE_PGM_RSRC2:TGID_X_EN: 1
; COMPUTE_PGM_RSRC2:TGID_Y_EN: 0
; COMPUTE_PGM_RSRC2:TGID_Z_EN: 0
; COMPUTE_PGM_RSRC2:TIDIG_COMP_CNT: 0
; COMPUTE_PGM_RSRC3_GFX90A:ACCUM_OFFSET: 0
; COMPUTE_PGM_RSRC3_GFX90A:TG_SPLIT: 0
	.section	.text._ZN7rocprim17ROCPRIM_400000_NS6detail17trampoline_kernelINS0_14default_configENS1_27scan_by_key_config_selectorIssEEZZNS1_16scan_by_key_implILNS1_25lookback_scan_determinismE0ELb0ES3_N6thrust23THRUST_200600_302600_NS6detail15normal_iteratorINS9_10device_ptrIsEEEENS9_18transform_iteratorINS9_6negateIsEESE_NS9_11use_defaultESI_EESE_sNS9_4plusIvEENS9_8equal_toIvEEsEE10hipError_tPvRmT2_T3_T4_T5_mT6_T7_P12ihipStream_tbENKUlT_T0_E_clISt17integral_constantIbLb0EES14_EEDaSZ_S10_EUlSZ_E_NS1_11comp_targetILNS1_3genE5ELNS1_11target_archE942ELNS1_3gpuE9ELNS1_3repE0EEENS1_30default_config_static_selectorELNS0_4arch9wavefront6targetE1EEEvT1_,"axG",@progbits,_ZN7rocprim17ROCPRIM_400000_NS6detail17trampoline_kernelINS0_14default_configENS1_27scan_by_key_config_selectorIssEEZZNS1_16scan_by_key_implILNS1_25lookback_scan_determinismE0ELb0ES3_N6thrust23THRUST_200600_302600_NS6detail15normal_iteratorINS9_10device_ptrIsEEEENS9_18transform_iteratorINS9_6negateIsEESE_NS9_11use_defaultESI_EESE_sNS9_4plusIvEENS9_8equal_toIvEEsEE10hipError_tPvRmT2_T3_T4_T5_mT6_T7_P12ihipStream_tbENKUlT_T0_E_clISt17integral_constantIbLb0EES14_EEDaSZ_S10_EUlSZ_E_NS1_11comp_targetILNS1_3genE5ELNS1_11target_archE942ELNS1_3gpuE9ELNS1_3repE0EEENS1_30default_config_static_selectorELNS0_4arch9wavefront6targetE1EEEvT1_,comdat
	.protected	_ZN7rocprim17ROCPRIM_400000_NS6detail17trampoline_kernelINS0_14default_configENS1_27scan_by_key_config_selectorIssEEZZNS1_16scan_by_key_implILNS1_25lookback_scan_determinismE0ELb0ES3_N6thrust23THRUST_200600_302600_NS6detail15normal_iteratorINS9_10device_ptrIsEEEENS9_18transform_iteratorINS9_6negateIsEESE_NS9_11use_defaultESI_EESE_sNS9_4plusIvEENS9_8equal_toIvEEsEE10hipError_tPvRmT2_T3_T4_T5_mT6_T7_P12ihipStream_tbENKUlT_T0_E_clISt17integral_constantIbLb0EES14_EEDaSZ_S10_EUlSZ_E_NS1_11comp_targetILNS1_3genE5ELNS1_11target_archE942ELNS1_3gpuE9ELNS1_3repE0EEENS1_30default_config_static_selectorELNS0_4arch9wavefront6targetE1EEEvT1_ ; -- Begin function _ZN7rocprim17ROCPRIM_400000_NS6detail17trampoline_kernelINS0_14default_configENS1_27scan_by_key_config_selectorIssEEZZNS1_16scan_by_key_implILNS1_25lookback_scan_determinismE0ELb0ES3_N6thrust23THRUST_200600_302600_NS6detail15normal_iteratorINS9_10device_ptrIsEEEENS9_18transform_iteratorINS9_6negateIsEESE_NS9_11use_defaultESI_EESE_sNS9_4plusIvEENS9_8equal_toIvEEsEE10hipError_tPvRmT2_T3_T4_T5_mT6_T7_P12ihipStream_tbENKUlT_T0_E_clISt17integral_constantIbLb0EES14_EEDaSZ_S10_EUlSZ_E_NS1_11comp_targetILNS1_3genE5ELNS1_11target_archE942ELNS1_3gpuE9ELNS1_3repE0EEENS1_30default_config_static_selectorELNS0_4arch9wavefront6targetE1EEEvT1_
	.globl	_ZN7rocprim17ROCPRIM_400000_NS6detail17trampoline_kernelINS0_14default_configENS1_27scan_by_key_config_selectorIssEEZZNS1_16scan_by_key_implILNS1_25lookback_scan_determinismE0ELb0ES3_N6thrust23THRUST_200600_302600_NS6detail15normal_iteratorINS9_10device_ptrIsEEEENS9_18transform_iteratorINS9_6negateIsEESE_NS9_11use_defaultESI_EESE_sNS9_4plusIvEENS9_8equal_toIvEEsEE10hipError_tPvRmT2_T3_T4_T5_mT6_T7_P12ihipStream_tbENKUlT_T0_E_clISt17integral_constantIbLb0EES14_EEDaSZ_S10_EUlSZ_E_NS1_11comp_targetILNS1_3genE5ELNS1_11target_archE942ELNS1_3gpuE9ELNS1_3repE0EEENS1_30default_config_static_selectorELNS0_4arch9wavefront6targetE1EEEvT1_
	.p2align	8
	.type	_ZN7rocprim17ROCPRIM_400000_NS6detail17trampoline_kernelINS0_14default_configENS1_27scan_by_key_config_selectorIssEEZZNS1_16scan_by_key_implILNS1_25lookback_scan_determinismE0ELb0ES3_N6thrust23THRUST_200600_302600_NS6detail15normal_iteratorINS9_10device_ptrIsEEEENS9_18transform_iteratorINS9_6negateIsEESE_NS9_11use_defaultESI_EESE_sNS9_4plusIvEENS9_8equal_toIvEEsEE10hipError_tPvRmT2_T3_T4_T5_mT6_T7_P12ihipStream_tbENKUlT_T0_E_clISt17integral_constantIbLb0EES14_EEDaSZ_S10_EUlSZ_E_NS1_11comp_targetILNS1_3genE5ELNS1_11target_archE942ELNS1_3gpuE9ELNS1_3repE0EEENS1_30default_config_static_selectorELNS0_4arch9wavefront6targetE1EEEvT1_,@function
_ZN7rocprim17ROCPRIM_400000_NS6detail17trampoline_kernelINS0_14default_configENS1_27scan_by_key_config_selectorIssEEZZNS1_16scan_by_key_implILNS1_25lookback_scan_determinismE0ELb0ES3_N6thrust23THRUST_200600_302600_NS6detail15normal_iteratorINS9_10device_ptrIsEEEENS9_18transform_iteratorINS9_6negateIsEESE_NS9_11use_defaultESI_EESE_sNS9_4plusIvEENS9_8equal_toIvEEsEE10hipError_tPvRmT2_T3_T4_T5_mT6_T7_P12ihipStream_tbENKUlT_T0_E_clISt17integral_constantIbLb0EES14_EEDaSZ_S10_EUlSZ_E_NS1_11comp_targetILNS1_3genE5ELNS1_11target_archE942ELNS1_3gpuE9ELNS1_3repE0EEENS1_30default_config_static_selectorELNS0_4arch9wavefront6targetE1EEEvT1_: ; @_ZN7rocprim17ROCPRIM_400000_NS6detail17trampoline_kernelINS0_14default_configENS1_27scan_by_key_config_selectorIssEEZZNS1_16scan_by_key_implILNS1_25lookback_scan_determinismE0ELb0ES3_N6thrust23THRUST_200600_302600_NS6detail15normal_iteratorINS9_10device_ptrIsEEEENS9_18transform_iteratorINS9_6negateIsEESE_NS9_11use_defaultESI_EESE_sNS9_4plusIvEENS9_8equal_toIvEEsEE10hipError_tPvRmT2_T3_T4_T5_mT6_T7_P12ihipStream_tbENKUlT_T0_E_clISt17integral_constantIbLb0EES14_EEDaSZ_S10_EUlSZ_E_NS1_11comp_targetILNS1_3genE5ELNS1_11target_archE942ELNS1_3gpuE9ELNS1_3repE0EEENS1_30default_config_static_selectorELNS0_4arch9wavefront6targetE1EEEvT1_
; %bb.0:
	.section	.rodata,"a",@progbits
	.p2align	6, 0x0
	.amdhsa_kernel _ZN7rocprim17ROCPRIM_400000_NS6detail17trampoline_kernelINS0_14default_configENS1_27scan_by_key_config_selectorIssEEZZNS1_16scan_by_key_implILNS1_25lookback_scan_determinismE0ELb0ES3_N6thrust23THRUST_200600_302600_NS6detail15normal_iteratorINS9_10device_ptrIsEEEENS9_18transform_iteratorINS9_6negateIsEESE_NS9_11use_defaultESI_EESE_sNS9_4plusIvEENS9_8equal_toIvEEsEE10hipError_tPvRmT2_T3_T4_T5_mT6_T7_P12ihipStream_tbENKUlT_T0_E_clISt17integral_constantIbLb0EES14_EEDaSZ_S10_EUlSZ_E_NS1_11comp_targetILNS1_3genE5ELNS1_11target_archE942ELNS1_3gpuE9ELNS1_3repE0EEENS1_30default_config_static_selectorELNS0_4arch9wavefront6targetE1EEEvT1_
		.amdhsa_group_segment_fixed_size 0
		.amdhsa_private_segment_fixed_size 0
		.amdhsa_kernarg_size 120
		.amdhsa_user_sgpr_count 6
		.amdhsa_user_sgpr_private_segment_buffer 1
		.amdhsa_user_sgpr_dispatch_ptr 0
		.amdhsa_user_sgpr_queue_ptr 0
		.amdhsa_user_sgpr_kernarg_segment_ptr 1
		.amdhsa_user_sgpr_dispatch_id 0
		.amdhsa_user_sgpr_flat_scratch_init 0
		.amdhsa_user_sgpr_kernarg_preload_length 0
		.amdhsa_user_sgpr_kernarg_preload_offset 0
		.amdhsa_user_sgpr_private_segment_size 0
		.amdhsa_uses_dynamic_stack 0
		.amdhsa_system_sgpr_private_segment_wavefront_offset 0
		.amdhsa_system_sgpr_workgroup_id_x 1
		.amdhsa_system_sgpr_workgroup_id_y 0
		.amdhsa_system_sgpr_workgroup_id_z 0
		.amdhsa_system_sgpr_workgroup_info 0
		.amdhsa_system_vgpr_workitem_id 0
		.amdhsa_next_free_vgpr 1
		.amdhsa_next_free_sgpr 0
		.amdhsa_accum_offset 4
		.amdhsa_reserve_vcc 0
		.amdhsa_reserve_flat_scratch 0
		.amdhsa_float_round_mode_32 0
		.amdhsa_float_round_mode_16_64 0
		.amdhsa_float_denorm_mode_32 3
		.amdhsa_float_denorm_mode_16_64 3
		.amdhsa_dx10_clamp 1
		.amdhsa_ieee_mode 1
		.amdhsa_fp16_overflow 0
		.amdhsa_tg_split 0
		.amdhsa_exception_fp_ieee_invalid_op 0
		.amdhsa_exception_fp_denorm_src 0
		.amdhsa_exception_fp_ieee_div_zero 0
		.amdhsa_exception_fp_ieee_overflow 0
		.amdhsa_exception_fp_ieee_underflow 0
		.amdhsa_exception_fp_ieee_inexact 0
		.amdhsa_exception_int_div_zero 0
	.end_amdhsa_kernel
	.section	.text._ZN7rocprim17ROCPRIM_400000_NS6detail17trampoline_kernelINS0_14default_configENS1_27scan_by_key_config_selectorIssEEZZNS1_16scan_by_key_implILNS1_25lookback_scan_determinismE0ELb0ES3_N6thrust23THRUST_200600_302600_NS6detail15normal_iteratorINS9_10device_ptrIsEEEENS9_18transform_iteratorINS9_6negateIsEESE_NS9_11use_defaultESI_EESE_sNS9_4plusIvEENS9_8equal_toIvEEsEE10hipError_tPvRmT2_T3_T4_T5_mT6_T7_P12ihipStream_tbENKUlT_T0_E_clISt17integral_constantIbLb0EES14_EEDaSZ_S10_EUlSZ_E_NS1_11comp_targetILNS1_3genE5ELNS1_11target_archE942ELNS1_3gpuE9ELNS1_3repE0EEENS1_30default_config_static_selectorELNS0_4arch9wavefront6targetE1EEEvT1_,"axG",@progbits,_ZN7rocprim17ROCPRIM_400000_NS6detail17trampoline_kernelINS0_14default_configENS1_27scan_by_key_config_selectorIssEEZZNS1_16scan_by_key_implILNS1_25lookback_scan_determinismE0ELb0ES3_N6thrust23THRUST_200600_302600_NS6detail15normal_iteratorINS9_10device_ptrIsEEEENS9_18transform_iteratorINS9_6negateIsEESE_NS9_11use_defaultESI_EESE_sNS9_4plusIvEENS9_8equal_toIvEEsEE10hipError_tPvRmT2_T3_T4_T5_mT6_T7_P12ihipStream_tbENKUlT_T0_E_clISt17integral_constantIbLb0EES14_EEDaSZ_S10_EUlSZ_E_NS1_11comp_targetILNS1_3genE5ELNS1_11target_archE942ELNS1_3gpuE9ELNS1_3repE0EEENS1_30default_config_static_selectorELNS0_4arch9wavefront6targetE1EEEvT1_,comdat
.Lfunc_end967:
	.size	_ZN7rocprim17ROCPRIM_400000_NS6detail17trampoline_kernelINS0_14default_configENS1_27scan_by_key_config_selectorIssEEZZNS1_16scan_by_key_implILNS1_25lookback_scan_determinismE0ELb0ES3_N6thrust23THRUST_200600_302600_NS6detail15normal_iteratorINS9_10device_ptrIsEEEENS9_18transform_iteratorINS9_6negateIsEESE_NS9_11use_defaultESI_EESE_sNS9_4plusIvEENS9_8equal_toIvEEsEE10hipError_tPvRmT2_T3_T4_T5_mT6_T7_P12ihipStream_tbENKUlT_T0_E_clISt17integral_constantIbLb0EES14_EEDaSZ_S10_EUlSZ_E_NS1_11comp_targetILNS1_3genE5ELNS1_11target_archE942ELNS1_3gpuE9ELNS1_3repE0EEENS1_30default_config_static_selectorELNS0_4arch9wavefront6targetE1EEEvT1_, .Lfunc_end967-_ZN7rocprim17ROCPRIM_400000_NS6detail17trampoline_kernelINS0_14default_configENS1_27scan_by_key_config_selectorIssEEZZNS1_16scan_by_key_implILNS1_25lookback_scan_determinismE0ELb0ES3_N6thrust23THRUST_200600_302600_NS6detail15normal_iteratorINS9_10device_ptrIsEEEENS9_18transform_iteratorINS9_6negateIsEESE_NS9_11use_defaultESI_EESE_sNS9_4plusIvEENS9_8equal_toIvEEsEE10hipError_tPvRmT2_T3_T4_T5_mT6_T7_P12ihipStream_tbENKUlT_T0_E_clISt17integral_constantIbLb0EES14_EEDaSZ_S10_EUlSZ_E_NS1_11comp_targetILNS1_3genE5ELNS1_11target_archE942ELNS1_3gpuE9ELNS1_3repE0EEENS1_30default_config_static_selectorELNS0_4arch9wavefront6targetE1EEEvT1_
                                        ; -- End function
	.section	.AMDGPU.csdata,"",@progbits
; Kernel info:
; codeLenInByte = 0
; NumSgprs: 4
; NumVgprs: 0
; NumAgprs: 0
; TotalNumVgprs: 0
; ScratchSize: 0
; MemoryBound: 0
; FloatMode: 240
; IeeeMode: 1
; LDSByteSize: 0 bytes/workgroup (compile time only)
; SGPRBlocks: 0
; VGPRBlocks: 0
; NumSGPRsForWavesPerEU: 4
; NumVGPRsForWavesPerEU: 1
; AccumOffset: 4
; Occupancy: 8
; WaveLimiterHint : 0
; COMPUTE_PGM_RSRC2:SCRATCH_EN: 0
; COMPUTE_PGM_RSRC2:USER_SGPR: 6
; COMPUTE_PGM_RSRC2:TRAP_HANDLER: 0
; COMPUTE_PGM_RSRC2:TGID_X_EN: 1
; COMPUTE_PGM_RSRC2:TGID_Y_EN: 0
; COMPUTE_PGM_RSRC2:TGID_Z_EN: 0
; COMPUTE_PGM_RSRC2:TIDIG_COMP_CNT: 0
; COMPUTE_PGM_RSRC3_GFX90A:ACCUM_OFFSET: 0
; COMPUTE_PGM_RSRC3_GFX90A:TG_SPLIT: 0
	.section	.text._ZN7rocprim17ROCPRIM_400000_NS6detail17trampoline_kernelINS0_14default_configENS1_27scan_by_key_config_selectorIssEEZZNS1_16scan_by_key_implILNS1_25lookback_scan_determinismE0ELb0ES3_N6thrust23THRUST_200600_302600_NS6detail15normal_iteratorINS9_10device_ptrIsEEEENS9_18transform_iteratorINS9_6negateIsEESE_NS9_11use_defaultESI_EESE_sNS9_4plusIvEENS9_8equal_toIvEEsEE10hipError_tPvRmT2_T3_T4_T5_mT6_T7_P12ihipStream_tbENKUlT_T0_E_clISt17integral_constantIbLb0EES14_EEDaSZ_S10_EUlSZ_E_NS1_11comp_targetILNS1_3genE4ELNS1_11target_archE910ELNS1_3gpuE8ELNS1_3repE0EEENS1_30default_config_static_selectorELNS0_4arch9wavefront6targetE1EEEvT1_,"axG",@progbits,_ZN7rocprim17ROCPRIM_400000_NS6detail17trampoline_kernelINS0_14default_configENS1_27scan_by_key_config_selectorIssEEZZNS1_16scan_by_key_implILNS1_25lookback_scan_determinismE0ELb0ES3_N6thrust23THRUST_200600_302600_NS6detail15normal_iteratorINS9_10device_ptrIsEEEENS9_18transform_iteratorINS9_6negateIsEESE_NS9_11use_defaultESI_EESE_sNS9_4plusIvEENS9_8equal_toIvEEsEE10hipError_tPvRmT2_T3_T4_T5_mT6_T7_P12ihipStream_tbENKUlT_T0_E_clISt17integral_constantIbLb0EES14_EEDaSZ_S10_EUlSZ_E_NS1_11comp_targetILNS1_3genE4ELNS1_11target_archE910ELNS1_3gpuE8ELNS1_3repE0EEENS1_30default_config_static_selectorELNS0_4arch9wavefront6targetE1EEEvT1_,comdat
	.protected	_ZN7rocprim17ROCPRIM_400000_NS6detail17trampoline_kernelINS0_14default_configENS1_27scan_by_key_config_selectorIssEEZZNS1_16scan_by_key_implILNS1_25lookback_scan_determinismE0ELb0ES3_N6thrust23THRUST_200600_302600_NS6detail15normal_iteratorINS9_10device_ptrIsEEEENS9_18transform_iteratorINS9_6negateIsEESE_NS9_11use_defaultESI_EESE_sNS9_4plusIvEENS9_8equal_toIvEEsEE10hipError_tPvRmT2_T3_T4_T5_mT6_T7_P12ihipStream_tbENKUlT_T0_E_clISt17integral_constantIbLb0EES14_EEDaSZ_S10_EUlSZ_E_NS1_11comp_targetILNS1_3genE4ELNS1_11target_archE910ELNS1_3gpuE8ELNS1_3repE0EEENS1_30default_config_static_selectorELNS0_4arch9wavefront6targetE1EEEvT1_ ; -- Begin function _ZN7rocprim17ROCPRIM_400000_NS6detail17trampoline_kernelINS0_14default_configENS1_27scan_by_key_config_selectorIssEEZZNS1_16scan_by_key_implILNS1_25lookback_scan_determinismE0ELb0ES3_N6thrust23THRUST_200600_302600_NS6detail15normal_iteratorINS9_10device_ptrIsEEEENS9_18transform_iteratorINS9_6negateIsEESE_NS9_11use_defaultESI_EESE_sNS9_4plusIvEENS9_8equal_toIvEEsEE10hipError_tPvRmT2_T3_T4_T5_mT6_T7_P12ihipStream_tbENKUlT_T0_E_clISt17integral_constantIbLb0EES14_EEDaSZ_S10_EUlSZ_E_NS1_11comp_targetILNS1_3genE4ELNS1_11target_archE910ELNS1_3gpuE8ELNS1_3repE0EEENS1_30default_config_static_selectorELNS0_4arch9wavefront6targetE1EEEvT1_
	.globl	_ZN7rocprim17ROCPRIM_400000_NS6detail17trampoline_kernelINS0_14default_configENS1_27scan_by_key_config_selectorIssEEZZNS1_16scan_by_key_implILNS1_25lookback_scan_determinismE0ELb0ES3_N6thrust23THRUST_200600_302600_NS6detail15normal_iteratorINS9_10device_ptrIsEEEENS9_18transform_iteratorINS9_6negateIsEESE_NS9_11use_defaultESI_EESE_sNS9_4plusIvEENS9_8equal_toIvEEsEE10hipError_tPvRmT2_T3_T4_T5_mT6_T7_P12ihipStream_tbENKUlT_T0_E_clISt17integral_constantIbLb0EES14_EEDaSZ_S10_EUlSZ_E_NS1_11comp_targetILNS1_3genE4ELNS1_11target_archE910ELNS1_3gpuE8ELNS1_3repE0EEENS1_30default_config_static_selectorELNS0_4arch9wavefront6targetE1EEEvT1_
	.p2align	8
	.type	_ZN7rocprim17ROCPRIM_400000_NS6detail17trampoline_kernelINS0_14default_configENS1_27scan_by_key_config_selectorIssEEZZNS1_16scan_by_key_implILNS1_25lookback_scan_determinismE0ELb0ES3_N6thrust23THRUST_200600_302600_NS6detail15normal_iteratorINS9_10device_ptrIsEEEENS9_18transform_iteratorINS9_6negateIsEESE_NS9_11use_defaultESI_EESE_sNS9_4plusIvEENS9_8equal_toIvEEsEE10hipError_tPvRmT2_T3_T4_T5_mT6_T7_P12ihipStream_tbENKUlT_T0_E_clISt17integral_constantIbLb0EES14_EEDaSZ_S10_EUlSZ_E_NS1_11comp_targetILNS1_3genE4ELNS1_11target_archE910ELNS1_3gpuE8ELNS1_3repE0EEENS1_30default_config_static_selectorELNS0_4arch9wavefront6targetE1EEEvT1_,@function
_ZN7rocprim17ROCPRIM_400000_NS6detail17trampoline_kernelINS0_14default_configENS1_27scan_by_key_config_selectorIssEEZZNS1_16scan_by_key_implILNS1_25lookback_scan_determinismE0ELb0ES3_N6thrust23THRUST_200600_302600_NS6detail15normal_iteratorINS9_10device_ptrIsEEEENS9_18transform_iteratorINS9_6negateIsEESE_NS9_11use_defaultESI_EESE_sNS9_4plusIvEENS9_8equal_toIvEEsEE10hipError_tPvRmT2_T3_T4_T5_mT6_T7_P12ihipStream_tbENKUlT_T0_E_clISt17integral_constantIbLb0EES14_EEDaSZ_S10_EUlSZ_E_NS1_11comp_targetILNS1_3genE4ELNS1_11target_archE910ELNS1_3gpuE8ELNS1_3repE0EEENS1_30default_config_static_selectorELNS0_4arch9wavefront6targetE1EEEvT1_: ; @_ZN7rocprim17ROCPRIM_400000_NS6detail17trampoline_kernelINS0_14default_configENS1_27scan_by_key_config_selectorIssEEZZNS1_16scan_by_key_implILNS1_25lookback_scan_determinismE0ELb0ES3_N6thrust23THRUST_200600_302600_NS6detail15normal_iteratorINS9_10device_ptrIsEEEENS9_18transform_iteratorINS9_6negateIsEESE_NS9_11use_defaultESI_EESE_sNS9_4plusIvEENS9_8equal_toIvEEsEE10hipError_tPvRmT2_T3_T4_T5_mT6_T7_P12ihipStream_tbENKUlT_T0_E_clISt17integral_constantIbLb0EES14_EEDaSZ_S10_EUlSZ_E_NS1_11comp_targetILNS1_3genE4ELNS1_11target_archE910ELNS1_3gpuE8ELNS1_3repE0EEENS1_30default_config_static_selectorELNS0_4arch9wavefront6targetE1EEEvT1_
; %bb.0:
	s_load_dwordx4 s[0:3], s[4:5], 0x0
	s_load_dwordx2 s[8:9], s[4:5], 0x10
	s_load_dwordx4 s[60:63], s[4:5], 0x30
	s_load_dwordx2 s[66:67], s[4:5], 0x40
	s_load_dword s7, s[4:5], 0x48
	s_load_dwordx8 s[52:59], s[4:5], 0x50
	s_waitcnt lgkmcnt(0)
	s_lshl_b64 s[64:65], s[2:3], 1
	s_add_u32 s2, s0, s64
	s_addc_u32 s3, s1, s65
	s_add_u32 s8, s8, s64
	s_mul_i32 s0, s67, s7
	s_mul_hi_u32 s1, s66, s7
	s_addc_u32 s9, s9, s65
	s_add_i32 s10, s1, s0
	s_cmp_lg_u64 s[56:57], 0
	s_mul_i32 s0, s6, 0x1600
	s_mov_b32 s1, 0
	s_cselect_b64 s[72:73], -1, 0
	s_lshl_b64 s[56:57], s[0:1], 1
	s_add_u32 s70, s2, s56
	s_addc_u32 s71, s3, s57
	s_add_u32 s68, s8, s56
	s_mul_i32 s7, s66, s7
	s_addc_u32 s69, s9, s57
	s_add_u32 s74, s7, s6
	s_addc_u32 s75, s10, 0
	s_add_u32 s2, s52, -1
	s_addc_u32 s3, s53, -1
	v_pk_mov_b32 v[2:3], s[2:3], s[2:3] op_sel:[0,1]
	v_cmp_ge_u64_e64 s[0:1], s[74:75], v[2:3]
	s_mov_b64 s[12:13], 0
	s_mov_b64 s[8:9], -1
	s_and_b64 vcc, exec, s[0:1]
	s_mul_i32 s33, s2, 0xffffea00
	s_barrier
	s_cbranch_vccz .LBB968_117
; %bb.1:
	v_pk_mov_b32 v[2:3], s[70:71], s[70:71] op_sel:[0,1]
	flat_load_ushort v5, v[2:3]
	s_add_i32 s63, s33, s62
	v_cmp_gt_u32_e64 s[2:3], s63, v0
	s_waitcnt vmcnt(0) lgkmcnt(0)
	v_mov_b32_e32 v6, v5
	s_and_saveexec_b64 s[8:9], s[2:3]
	s_cbranch_execz .LBB968_3
; %bb.2:
	v_lshlrev_b32_e32 v1, 1, v0
	v_mov_b32_e32 v3, s71
	v_add_co_u32_e32 v2, vcc, s70, v1
	v_addc_co_u32_e32 v3, vcc, 0, v3, vcc
	flat_load_ushort v6, v[2:3]
.LBB968_3:
	s_or_b64 exec, exec, s[8:9]
	v_or_b32_e32 v1, 0x100, v0
	v_cmp_gt_u32_e64 s[50:51], s63, v1
	v_mov_b32_e32 v7, v5
	s_and_saveexec_b64 s[8:9], s[50:51]
	s_cbranch_execz .LBB968_5
; %bb.4:
	v_lshlrev_b32_e32 v1, 1, v0
	v_mov_b32_e32 v3, s71
	v_add_co_u32_e32 v2, vcc, s70, v1
	v_addc_co_u32_e32 v3, vcc, 0, v3, vcc
	flat_load_ushort v7, v[2:3] offset:512
.LBB968_5:
	s_or_b64 exec, exec, s[8:9]
	v_or_b32_e32 v1, 0x200, v0
	v_cmp_gt_u32_e64 s[8:9], s63, v1
	v_mov_b32_e32 v8, v5
	s_and_saveexec_b64 s[10:11], s[8:9]
	s_cbranch_execz .LBB968_7
; %bb.6:
	v_lshlrev_b32_e32 v1, 1, v0
	v_mov_b32_e32 v3, s71
	v_add_co_u32_e32 v2, vcc, s70, v1
	v_addc_co_u32_e32 v3, vcc, 0, v3, vcc
	flat_load_ushort v8, v[2:3] offset:1024
.LBB968_7:
	;; [unrolled: 13-line block ×7, first 2 shown]
	s_or_b64 exec, exec, s[20:21]
	v_or_b32_e32 v1, 0x800, v0
	v_cmp_gt_u32_e64 s[20:21], s63, v1
	v_lshlrev_b32_e32 v1, 1, v1
	v_mov_b32_e32 v14, v5
	s_and_saveexec_b64 s[22:23], s[20:21]
	s_cbranch_execz .LBB968_19
; %bb.18:
	v_mov_b32_e32 v3, s71
	v_add_co_u32_e32 v2, vcc, s70, v1
	v_addc_co_u32_e32 v3, vcc, 0, v3, vcc
	flat_load_ushort v14, v[2:3]
.LBB968_19:
	s_or_b64 exec, exec, s[22:23]
	v_or_b32_e32 v2, 0x900, v0
	v_cmp_gt_u32_e64 s[22:23], s63, v2
	v_lshlrev_b32_e32 v2, 1, v2
	v_mov_b32_e32 v15, v5
	s_and_saveexec_b64 s[24:25], s[22:23]
	s_cbranch_execz .LBB968_21
; %bb.20:
	v_mov_b32_e32 v3, s71
	v_add_co_u32_e32 v16, vcc, s70, v2
	v_addc_co_u32_e32 v17, vcc, 0, v3, vcc
	flat_load_ushort v15, v[16:17]
.LBB968_21:
	;; [unrolled: 13-line block ×13, first 2 shown]
	s_or_b64 exec, exec, s[48:49]
	v_or_b32_e32 v24, 0x1500, v0
	v_cmp_gt_u32_e64 s[48:49], s63, v24
	v_lshlrev_b32_e32 v26, 1, v24
	s_and_saveexec_b64 s[52:53], s[48:49]
	s_cbranch_execz .LBB968_45
; %bb.44:
	v_mov_b32_e32 v5, s71
	v_add_co_u32_e32 v38, vcc, s70, v26
	v_addc_co_u32_e32 v39, vcc, 0, v5, vcc
	flat_load_ushort v5, v[38:39]
.LBB968_45:
	s_or_b64 exec, exec, s[52:53]
	v_lshlrev_b32_e32 v24, 1, v0
	s_waitcnt vmcnt(0) lgkmcnt(0)
	ds_write_b16 v24, v6
	ds_write_b16 v24, v7 offset:512
	ds_write_b16 v24, v8 offset:1024
	;; [unrolled: 1-line block ×21, first 2 shown]
	v_mad_u32_u24 v37, v0, 42, v24
	s_waitcnt lgkmcnt(0)
	s_barrier
	ds_read2_b32 v[14:15], v37 offset1:1
	ds_read2_b32 v[12:13], v37 offset0:2 offset1:3
	ds_read2_b32 v[10:11], v37 offset0:4 offset1:5
	;; [unrolled: 1-line block ×4, first 2 shown]
	ds_read_b32 v38, v37 offset:40
	s_cmp_eq_u64 s[74:75], 0
	s_mov_b64 s[52:53], s[70:71]
	s_cbranch_scc1 .LBB968_49
; %bb.46:
	s_andn2_b64 vcc, exec, s[72:73]
	s_cbranch_vccnz .LBB968_283
; %bb.47:
	s_lshl_b64 s[52:53], s[74:75], 1
	s_add_u32 s7, s58, s52
	s_addc_u32 s53, s59, s53
	s_add_u32 s52, s7, -2
	s_addc_u32 s53, s53, -1
	s_cbranch_execnz .LBB968_49
.LBB968_48:
	s_add_u32 s52, s70, -2
	s_addc_u32 s53, s71, -1
.LBB968_49:
	v_pk_mov_b32 v[28:29], s[52:53], s[52:53] op_sel:[0,1]
	flat_load_ushort v5, v[28:29]
	s_movk_i32 s7, 0xffd6
	s_waitcnt lgkmcnt(0)
	v_lshrrev_b32_e32 v39, 16, v38
	v_mad_i32_i24 v27, v0, s7, v37
	v_cmp_ne_u32_e32 vcc, 0, v0
	ds_write_b16 v27, v39 offset:11264
	s_waitcnt lgkmcnt(0)
	s_barrier
	s_and_saveexec_b64 s[52:53], vcc
	s_cbranch_execz .LBB968_51
; %bb.50:
	s_waitcnt vmcnt(0)
	v_mul_i32_i24_e32 v5, 0xffffffd6, v0
	v_add_u32_e32 v5, v37, v5
	ds_read_u16 v5, v5 offset:11262
.LBB968_51:
	s_or_b64 exec, exec, s[52:53]
	s_waitcnt lgkmcnt(0)
	s_barrier
	s_waitcnt lgkmcnt(0)
                                        ; implicit-def: $vgpr27
	s_and_saveexec_b64 s[52:53], s[2:3]
	s_cbranch_execnz .LBB968_260
; %bb.52:
	s_or_b64 exec, exec, s[52:53]
                                        ; implicit-def: $vgpr28
	s_and_saveexec_b64 s[2:3], s[50:51]
	s_cbranch_execnz .LBB968_261
.LBB968_53:
	s_or_b64 exec, exec, s[2:3]
                                        ; implicit-def: $vgpr29
	s_and_saveexec_b64 s[2:3], s[8:9]
	s_cbranch_execnz .LBB968_262
.LBB968_54:
	s_or_b64 exec, exec, s[2:3]
                                        ; implicit-def: $vgpr30
	s_and_saveexec_b64 s[2:3], s[10:11]
	s_cbranch_execnz .LBB968_263
.LBB968_55:
	s_or_b64 exec, exec, s[2:3]
                                        ; implicit-def: $vgpr31
	s_and_saveexec_b64 s[2:3], s[12:13]
	s_cbranch_execnz .LBB968_264
.LBB968_56:
	s_or_b64 exec, exec, s[2:3]
                                        ; implicit-def: $vgpr32
	s_and_saveexec_b64 s[2:3], s[14:15]
	s_cbranch_execnz .LBB968_265
.LBB968_57:
	s_or_b64 exec, exec, s[2:3]
                                        ; implicit-def: $vgpr33
	s_and_saveexec_b64 s[2:3], s[16:17]
	s_cbranch_execnz .LBB968_266
.LBB968_58:
	s_or_b64 exec, exec, s[2:3]
                                        ; implicit-def: $vgpr34
	s_and_saveexec_b64 s[2:3], s[18:19]
	s_cbranch_execnz .LBB968_267
.LBB968_59:
	s_or_b64 exec, exec, s[2:3]
                                        ; implicit-def: $vgpr35
	s_and_saveexec_b64 s[2:3], s[20:21]
	s_cbranch_execnz .LBB968_268
.LBB968_60:
	s_or_b64 exec, exec, s[2:3]
                                        ; implicit-def: $vgpr1
	s_and_saveexec_b64 s[2:3], s[22:23]
	s_cbranch_execnz .LBB968_269
.LBB968_61:
	s_or_b64 exec, exec, s[2:3]
                                        ; implicit-def: $vgpr2
	s_and_saveexec_b64 s[2:3], s[24:25]
	s_cbranch_execnz .LBB968_270
.LBB968_62:
	s_or_b64 exec, exec, s[2:3]
                                        ; implicit-def: $vgpr3
	s_and_saveexec_b64 s[2:3], s[26:27]
	s_cbranch_execnz .LBB968_271
.LBB968_63:
	s_or_b64 exec, exec, s[2:3]
                                        ; implicit-def: $vgpr4
	s_and_saveexec_b64 s[2:3], s[28:29]
	s_cbranch_execnz .LBB968_272
.LBB968_64:
	s_or_b64 exec, exec, s[2:3]
                                        ; implicit-def: $vgpr16
	s_and_saveexec_b64 s[2:3], s[30:31]
	s_cbranch_execnz .LBB968_273
.LBB968_65:
	s_or_b64 exec, exec, s[2:3]
                                        ; implicit-def: $vgpr17
	s_and_saveexec_b64 s[2:3], s[34:35]
	s_cbranch_execnz .LBB968_274
.LBB968_66:
	s_or_b64 exec, exec, s[2:3]
                                        ; implicit-def: $vgpr18
	s_and_saveexec_b64 s[2:3], s[36:37]
	s_cbranch_execnz .LBB968_275
.LBB968_67:
	s_or_b64 exec, exec, s[2:3]
                                        ; implicit-def: $vgpr19
	s_and_saveexec_b64 s[2:3], s[38:39]
	s_cbranch_execnz .LBB968_276
.LBB968_68:
	s_or_b64 exec, exec, s[2:3]
                                        ; implicit-def: $vgpr20
	s_and_saveexec_b64 s[2:3], s[40:41]
	s_cbranch_execnz .LBB968_277
.LBB968_69:
	s_or_b64 exec, exec, s[2:3]
                                        ; implicit-def: $vgpr21
	s_and_saveexec_b64 s[2:3], s[42:43]
	s_cbranch_execnz .LBB968_278
.LBB968_70:
	s_or_b64 exec, exec, s[2:3]
                                        ; implicit-def: $vgpr22
	s_and_saveexec_b64 s[2:3], s[44:45]
	s_cbranch_execnz .LBB968_279
.LBB968_71:
	s_or_b64 exec, exec, s[2:3]
                                        ; implicit-def: $vgpr23
	s_and_saveexec_b64 s[2:3], s[46:47]
	s_cbranch_execnz .LBB968_280
.LBB968_72:
	s_or_b64 exec, exec, s[2:3]
                                        ; implicit-def: $vgpr25
	s_and_saveexec_b64 s[2:3], s[48:49]
	s_cbranch_execz .LBB968_74
.LBB968_73:
	global_load_ushort v25, v26, s[68:69]
	s_waitcnt vmcnt(0)
	v_sub_u16_e32 v25, 0, v25
.LBB968_74:
	s_or_b64 exec, exec, s[2:3]
	v_mul_u32_u24_e32 v40, 22, v0
	ds_write_b16 v24, v27
	ds_write_b16 v24, v28 offset:512
	ds_write_b16 v24, v29 offset:1024
	;; [unrolled: 1-line block ×21, first 2 shown]
	v_cmp_gt_u32_e32 vcc, s63, v40
	s_mov_b64 s[8:9], 0
	s_mov_b32 s7, 0
	v_mov_b32_e32 v1, 0
	s_mov_b64 s[12:13], 0
	v_mov_b32_e32 v16, 0
	v_mov_b32_e32 v17, 0
	;; [unrolled: 1-line block ×20, first 2 shown]
	s_waitcnt lgkmcnt(0)
	s_barrier
	s_waitcnt lgkmcnt(0)
                                        ; implicit-def: $sgpr2_sgpr3
                                        ; implicit-def: $vgpr36
	s_and_saveexec_b64 s[10:11], vcc
	s_cbranch_execz .LBB968_116
; %bb.75:
	ds_read_u16 v1, v37
	s_waitcnt vmcnt(0)
	v_cmp_ne_u16_e32 vcc, v5, v14
	v_or_b32_e32 v2, 1, v40
	v_cndmask_b32_e64 v3, 0, 1, vcc
	v_cmp_gt_u32_e32 vcc, s63, v2
	s_waitcnt lgkmcnt(0)
	v_lshl_or_b32 v1, v3, 16, v1
	s_mov_b64 s[14:15], 0
	v_mov_b32_e32 v16, 0
	v_mov_b32_e32 v17, 0
	;; [unrolled: 1-line block ×20, first 2 shown]
                                        ; implicit-def: $sgpr2_sgpr3
                                        ; implicit-def: $vgpr36
	s_and_saveexec_b64 s[12:13], vcc
	s_cbranch_execz .LBB968_115
; %bb.76:
	ds_read_b128 v[2:5], v37 offset:2
	v_add_u32_e32 v16, 2, v40
	v_cmp_ne_u16_sdwa s[2:3], v14, v14 src0_sel:DWORD src1_sel:WORD_1
	v_cndmask_b32_e64 v17, 0, 1, s[2:3]
	v_cmp_gt_u32_e32 vcc, s63, v16
	s_waitcnt lgkmcnt(0)
	v_and_b32_e32 v16, 0xffff, v2
	v_lshl_or_b32 v16, v17, 16, v16
	s_mov_b64 s[16:17], 0
	v_mov_b32_e32 v17, 0
	v_mov_b32_e32 v18, 0
	;; [unrolled: 1-line block ×19, first 2 shown]
                                        ; implicit-def: $sgpr2_sgpr3
                                        ; implicit-def: $vgpr36
	s_and_saveexec_b64 s[14:15], vcc
	s_cbranch_execz .LBB968_114
; %bb.77:
	v_cmp_ne_u16_sdwa s[2:3], v14, v15 src0_sel:WORD_1 src1_sel:DWORD
	v_add_u32_e32 v18, 3, v40
	v_cndmask_b32_e64 v14, 0, 1, s[2:3]
	v_alignbit_b32 v17, v14, v2, 16
	v_cmp_gt_u32_e32 vcc, s63, v18
	s_mov_b64 s[18:19], 0
	v_mov_b32_e32 v18, 0
	v_mov_b32_e32 v19, 0
	;; [unrolled: 1-line block ×18, first 2 shown]
                                        ; implicit-def: $sgpr2_sgpr3
                                        ; implicit-def: $vgpr36
	s_and_saveexec_b64 s[16:17], vcc
	s_cbranch_execz .LBB968_113
; %bb.78:
	v_cmp_ne_u16_sdwa s[2:3], v15, v15 src0_sel:DWORD src1_sel:WORD_1
	v_and_b32_e32 v2, 0xffff, v3
	v_add_u32_e32 v14, 4, v40
	v_cndmask_b32_e64 v18, 0, 1, s[2:3]
	v_lshl_or_b32 v18, v18, 16, v2
	v_cmp_gt_u32_e32 vcc, s63, v14
	s_mov_b64 s[20:21], 0
	v_mov_b32_e32 v19, 0
	v_mov_b32_e32 v20, 0
	;; [unrolled: 1-line block ×17, first 2 shown]
                                        ; implicit-def: $sgpr2_sgpr3
                                        ; implicit-def: $vgpr36
	s_and_saveexec_b64 s[18:19], vcc
	s_cbranch_execz .LBB968_112
; %bb.79:
	v_cmp_ne_u16_sdwa s[2:3], v15, v12 src0_sel:WORD_1 src1_sel:DWORD
	v_add_u32_e32 v2, 5, v40
	v_cndmask_b32_e64 v14, 0, 1, s[2:3]
	v_alignbit_b32 v19, v14, v3, 16
	v_cmp_gt_u32_e32 vcc, s63, v2
	s_mov_b64 s[22:23], 0
	v_mov_b32_e32 v20, 0
	v_mov_b32_e32 v21, 0
	;; [unrolled: 1-line block ×16, first 2 shown]
                                        ; implicit-def: $sgpr2_sgpr3
                                        ; implicit-def: $vgpr36
	s_and_saveexec_b64 s[20:21], vcc
	s_cbranch_execz .LBB968_111
; %bb.80:
	v_cmp_ne_u16_sdwa s[2:3], v12, v12 src0_sel:DWORD src1_sel:WORD_1
	v_and_b32_e32 v2, 0xffff, v4
	v_add_u32_e32 v3, 6, v40
	v_cndmask_b32_e64 v14, 0, 1, s[2:3]
	v_lshl_or_b32 v20, v14, 16, v2
	v_cmp_gt_u32_e32 vcc, s63, v3
	s_mov_b64 s[24:25], 0
	v_mov_b32_e32 v21, 0
	v_mov_b32_e32 v22, 0
	;; [unrolled: 1-line block ×15, first 2 shown]
                                        ; implicit-def: $sgpr2_sgpr3
                                        ; implicit-def: $vgpr36
	s_and_saveexec_b64 s[22:23], vcc
	s_cbranch_execz .LBB968_110
; %bb.81:
	v_cmp_ne_u16_sdwa s[2:3], v12, v13 src0_sel:WORD_1 src1_sel:DWORD
	v_add_u32_e32 v2, 7, v40
	v_cndmask_b32_e64 v3, 0, 1, s[2:3]
	v_alignbit_b32 v21, v3, v4, 16
	v_cmp_gt_u32_e32 vcc, s63, v2
	s_mov_b64 s[26:27], 0
	v_mov_b32_e32 v22, 0
	v_mov_b32_e32 v23, 0
	;; [unrolled: 1-line block ×14, first 2 shown]
                                        ; implicit-def: $sgpr2_sgpr3
                                        ; implicit-def: $vgpr36
	s_and_saveexec_b64 s[24:25], vcc
	s_cbranch_execz .LBB968_109
; %bb.82:
	v_cmp_ne_u16_sdwa s[2:3], v13, v13 src0_sel:DWORD src1_sel:WORD_1
	v_and_b32_e32 v2, 0xffff, v5
	v_add_u32_e32 v3, 8, v40
	v_cndmask_b32_e64 v4, 0, 1, s[2:3]
	v_lshl_or_b32 v22, v4, 16, v2
	v_cmp_gt_u32_e32 vcc, s63, v3
	s_mov_b64 s[28:29], 0
	v_mov_b32_e32 v23, 0
	v_mov_b32_e32 v24, 0
	;; [unrolled: 1-line block ×13, first 2 shown]
                                        ; implicit-def: $sgpr2_sgpr3
                                        ; implicit-def: $vgpr36
	s_and_saveexec_b64 s[26:27], vcc
	s_cbranch_execz .LBB968_108
; %bb.83:
	v_cmp_ne_u16_sdwa s[2:3], v13, v10 src0_sel:WORD_1 src1_sel:DWORD
	v_add_u32_e32 v2, 9, v40
	v_cndmask_b32_e64 v3, 0, 1, s[2:3]
	v_alignbit_b32 v23, v3, v5, 16
	v_cmp_gt_u32_e32 vcc, s63, v2
	s_mov_b64 s[30:31], 0
	v_mov_b32_e32 v24, 0
	v_mov_b32_e32 v25, 0
	v_mov_b32_e32 v26, 0
	v_mov_b32_e32 v27, 0
	v_mov_b32_e32 v28, 0
	v_mov_b32_e32 v29, 0
	v_mov_b32_e32 v30, 0
	v_mov_b32_e32 v31, 0
	v_mov_b32_e32 v32, 0
	v_mov_b32_e32 v33, 0
	v_mov_b32_e32 v34, 0
	v_mov_b32_e32 v35, 0
                                        ; implicit-def: $sgpr2_sgpr3
                                        ; implicit-def: $vgpr36
	s_and_saveexec_b64 s[28:29], vcc
	s_cbranch_execz .LBB968_107
; %bb.84:
	ds_read_b128 v[2:5], v37 offset:18
	v_add_u32_e32 v12, 10, v40
	v_cmp_ne_u16_sdwa s[2:3], v10, v10 src0_sel:DWORD src1_sel:WORD_1
	v_cndmask_b32_e64 v13, 0, 1, s[2:3]
	v_cmp_gt_u32_e32 vcc, s63, v12
	s_waitcnt lgkmcnt(0)
	v_and_b32_e32 v12, 0xffff, v2
	v_lshl_or_b32 v24, v13, 16, v12
	s_mov_b64 s[34:35], 0
	v_mov_b32_e32 v25, 0
	v_mov_b32_e32 v26, 0
	;; [unrolled: 1-line block ×11, first 2 shown]
                                        ; implicit-def: $sgpr2_sgpr3
                                        ; implicit-def: $vgpr36
	s_and_saveexec_b64 s[30:31], vcc
	s_cbranch_execz .LBB968_106
; %bb.85:
	v_cmp_ne_u16_sdwa s[2:3], v10, v11 src0_sel:WORD_1 src1_sel:DWORD
	v_add_u32_e32 v12, 11, v40
	v_cndmask_b32_e64 v10, 0, 1, s[2:3]
	v_alignbit_b32 v25, v10, v2, 16
	v_cmp_gt_u32_e32 vcc, s63, v12
	s_mov_b64 s[36:37], 0
	v_mov_b32_e32 v26, 0
	v_mov_b32_e32 v27, 0
	;; [unrolled: 1-line block ×10, first 2 shown]
                                        ; implicit-def: $sgpr2_sgpr3
                                        ; implicit-def: $vgpr36
	s_and_saveexec_b64 s[34:35], vcc
	s_cbranch_execz .LBB968_105
; %bb.86:
	v_cmp_ne_u16_sdwa s[2:3], v11, v11 src0_sel:DWORD src1_sel:WORD_1
	v_and_b32_e32 v2, 0xffff, v3
	v_add_u32_e32 v10, 12, v40
	v_cndmask_b32_e64 v12, 0, 1, s[2:3]
	v_lshl_or_b32 v26, v12, 16, v2
	v_cmp_gt_u32_e32 vcc, s63, v10
	s_mov_b64 s[38:39], 0
	v_mov_b32_e32 v27, 0
	v_mov_b32_e32 v28, 0
	;; [unrolled: 1-line block ×9, first 2 shown]
                                        ; implicit-def: $sgpr2_sgpr3
                                        ; implicit-def: $vgpr36
	s_and_saveexec_b64 s[36:37], vcc
	s_cbranch_execz .LBB968_104
; %bb.87:
	v_cmp_ne_u16_sdwa s[2:3], v11, v8 src0_sel:WORD_1 src1_sel:DWORD
	v_add_u32_e32 v2, 13, v40
	v_cndmask_b32_e64 v10, 0, 1, s[2:3]
	v_alignbit_b32 v27, v10, v3, 16
	v_cmp_gt_u32_e32 vcc, s63, v2
	s_mov_b64 s[40:41], 0
	v_mov_b32_e32 v28, 0
	v_mov_b32_e32 v29, 0
	;; [unrolled: 1-line block ×8, first 2 shown]
                                        ; implicit-def: $sgpr2_sgpr3
                                        ; implicit-def: $vgpr36
	s_and_saveexec_b64 s[38:39], vcc
	s_cbranch_execz .LBB968_103
; %bb.88:
	v_cmp_ne_u16_sdwa s[2:3], v8, v8 src0_sel:DWORD src1_sel:WORD_1
	v_and_b32_e32 v2, 0xffff, v4
	v_add_u32_e32 v3, 14, v40
	v_cndmask_b32_e64 v10, 0, 1, s[2:3]
	v_lshl_or_b32 v28, v10, 16, v2
	v_cmp_gt_u32_e32 vcc, s63, v3
	s_mov_b64 s[42:43], 0
	v_mov_b32_e32 v29, 0
	v_mov_b32_e32 v30, 0
	;; [unrolled: 1-line block ×7, first 2 shown]
                                        ; implicit-def: $sgpr2_sgpr3
                                        ; implicit-def: $vgpr36
	s_and_saveexec_b64 s[40:41], vcc
	s_cbranch_execz .LBB968_102
; %bb.89:
	v_cmp_ne_u16_sdwa s[2:3], v8, v9 src0_sel:WORD_1 src1_sel:DWORD
	v_add_u32_e32 v2, 15, v40
	v_cndmask_b32_e64 v3, 0, 1, s[2:3]
	v_alignbit_b32 v29, v3, v4, 16
	v_cmp_gt_u32_e32 vcc, s63, v2
	s_mov_b64 s[44:45], 0
	v_mov_b32_e32 v30, 0
	v_mov_b32_e32 v31, 0
	v_mov_b32_e32 v32, 0
	v_mov_b32_e32 v33, 0
	v_mov_b32_e32 v34, 0
	v_mov_b32_e32 v35, 0
                                        ; implicit-def: $sgpr2_sgpr3
                                        ; implicit-def: $vgpr36
	s_and_saveexec_b64 s[42:43], vcc
	s_cbranch_execz .LBB968_101
; %bb.90:
	v_cmp_ne_u16_sdwa s[2:3], v9, v9 src0_sel:DWORD src1_sel:WORD_1
	v_and_b32_e32 v2, 0xffff, v5
	v_add_u32_e32 v3, 16, v40
	v_cndmask_b32_e64 v4, 0, 1, s[2:3]
	v_lshl_or_b32 v30, v4, 16, v2
	v_cmp_gt_u32_e32 vcc, s63, v3
	s_mov_b64 s[46:47], 0
	v_mov_b32_e32 v31, 0
	v_mov_b32_e32 v32, 0
	;; [unrolled: 1-line block ×5, first 2 shown]
                                        ; implicit-def: $sgpr2_sgpr3
                                        ; implicit-def: $vgpr36
	s_and_saveexec_b64 s[44:45], vcc
	s_cbranch_execz .LBB968_100
; %bb.91:
	v_cmp_ne_u16_sdwa s[2:3], v9, v6 src0_sel:WORD_1 src1_sel:DWORD
	v_add_u32_e32 v2, 17, v40
	v_cndmask_b32_e64 v3, 0, 1, s[2:3]
	v_alignbit_b32 v31, v3, v5, 16
	v_cmp_gt_u32_e32 vcc, s63, v2
	s_mov_b64 s[48:49], 0
	v_mov_b32_e32 v32, 0
	v_mov_b32_e32 v33, 0
	;; [unrolled: 1-line block ×4, first 2 shown]
                                        ; implicit-def: $sgpr2_sgpr3
                                        ; implicit-def: $vgpr36
	s_and_saveexec_b64 s[46:47], vcc
	s_cbranch_execz .LBB968_99
; %bb.92:
	ds_read_b64 v[2:3], v37 offset:34
	v_add_u32_e32 v4, 18, v40
	v_cmp_ne_u16_sdwa s[2:3], v6, v6 src0_sel:DWORD src1_sel:WORD_1
	v_cndmask_b32_e64 v5, 0, 1, s[2:3]
	v_cmp_gt_u32_e32 vcc, s63, v4
	s_waitcnt lgkmcnt(0)
	v_and_b32_e32 v4, 0xffff, v2
	v_lshl_or_b32 v32, v5, 16, v4
	s_mov_b64 s[50:51], 0
	v_mov_b32_e32 v33, 0
	v_mov_b32_e32 v34, 0
	v_mov_b32_e32 v35, 0
                                        ; implicit-def: $sgpr2_sgpr3
                                        ; implicit-def: $vgpr36
	s_and_saveexec_b64 s[48:49], vcc
	s_cbranch_execz .LBB968_98
; %bb.93:
	v_cmp_ne_u16_sdwa s[2:3], v6, v7 src0_sel:WORD_1 src1_sel:DWORD
	v_add_u32_e32 v4, 19, v40
	v_cndmask_b32_e64 v5, 0, 1, s[2:3]
	v_alignbit_b32 v33, v5, v2, 16
	v_cmp_gt_u32_e32 vcc, s63, v4
	s_mov_b64 s[52:53], 0
	v_mov_b32_e32 v34, 0
	v_mov_b32_e32 v35, 0
                                        ; implicit-def: $sgpr76_sgpr77
                                        ; implicit-def: $vgpr36
	s_and_saveexec_b64 s[50:51], vcc
	s_cbranch_execz .LBB968_97
; %bb.94:
	v_cmp_ne_u16_sdwa s[2:3], v7, v7 src0_sel:DWORD src1_sel:WORD_1
	v_and_b32_e32 v2, 0xffff, v3
	v_add_u32_e32 v4, 20, v40
	v_cndmask_b32_e64 v5, 0, 1, s[2:3]
	v_lshl_or_b32 v34, v5, 16, v2
	v_cmp_gt_u32_e32 vcc, s63, v4
	s_mov_b64 s[2:3], 0
	v_mov_b32_e32 v35, 0
                                        ; implicit-def: $sgpr52_sgpr53
                                        ; implicit-def: $vgpr36
	s_and_saveexec_b64 s[76:77], vcc
	s_xor_b64 s[76:77], exec, s[76:77]
	s_cbranch_execz .LBB968_96
; %bb.95:
	ds_read_u16 v36, v37 offset:42
	v_add_u32_e32 v2, 21, v40
	v_cmp_ne_u16_sdwa s[2:3], v7, v38 src0_sel:WORD_1 src1_sel:DWORD
	v_cmp_ne_u16_e32 vcc, v38, v39
	v_cndmask_b32_e64 v4, 0, 1, s[2:3]
	v_cmp_gt_u32_e64 s[2:3], s63, v2
	v_alignbit_b32 v35, v4, v3, 16
	s_and_b64 s[52:53], vcc, exec
	s_and_b64 s[2:3], s[2:3], exec
.LBB968_96:
	s_or_b64 exec, exec, s[76:77]
	s_and_b64 s[76:77], s[52:53], exec
	s_and_b64 s[52:53], s[2:3], exec
.LBB968_97:
	s_or_b64 exec, exec, s[50:51]
	s_and_b64 s[2:3], s[76:77], exec
	s_and_b64 s[50:51], s[52:53], exec
.LBB968_98:
	s_or_b64 exec, exec, s[48:49]
	s_and_b64 s[2:3], s[2:3], exec
	s_and_b64 s[48:49], s[50:51], exec
.LBB968_99:
	s_or_b64 exec, exec, s[46:47]
	s_and_b64 s[2:3], s[2:3], exec
	s_and_b64 s[46:47], s[48:49], exec
.LBB968_100:
	s_or_b64 exec, exec, s[44:45]
	s_and_b64 s[2:3], s[2:3], exec
	s_and_b64 s[44:45], s[46:47], exec
.LBB968_101:
	s_or_b64 exec, exec, s[42:43]
	s_and_b64 s[2:3], s[2:3], exec
	s_and_b64 s[42:43], s[44:45], exec
.LBB968_102:
	s_or_b64 exec, exec, s[40:41]
	s_and_b64 s[2:3], s[2:3], exec
	s_and_b64 s[40:41], s[42:43], exec
.LBB968_103:
	s_or_b64 exec, exec, s[38:39]
	s_and_b64 s[2:3], s[2:3], exec
	s_and_b64 s[38:39], s[40:41], exec
.LBB968_104:
	s_or_b64 exec, exec, s[36:37]
	s_and_b64 s[2:3], s[2:3], exec
	s_and_b64 s[36:37], s[38:39], exec
.LBB968_105:
	s_or_b64 exec, exec, s[34:35]
	s_and_b64 s[2:3], s[2:3], exec
	s_and_b64 s[34:35], s[36:37], exec
.LBB968_106:
	s_or_b64 exec, exec, s[30:31]
	s_and_b64 s[2:3], s[2:3], exec
	s_and_b64 s[30:31], s[34:35], exec
.LBB968_107:
	s_or_b64 exec, exec, s[28:29]
	s_and_b64 s[2:3], s[2:3], exec
	s_and_b64 s[28:29], s[30:31], exec
.LBB968_108:
	s_or_b64 exec, exec, s[26:27]
	s_and_b64 s[2:3], s[2:3], exec
	s_and_b64 s[26:27], s[28:29], exec
.LBB968_109:
	s_or_b64 exec, exec, s[24:25]
	s_and_b64 s[2:3], s[2:3], exec
	s_and_b64 s[24:25], s[26:27], exec
.LBB968_110:
	s_or_b64 exec, exec, s[22:23]
	s_and_b64 s[2:3], s[2:3], exec
	s_and_b64 s[22:23], s[24:25], exec
.LBB968_111:
	s_or_b64 exec, exec, s[20:21]
	s_and_b64 s[2:3], s[2:3], exec
	s_and_b64 s[20:21], s[22:23], exec
.LBB968_112:
	s_or_b64 exec, exec, s[18:19]
	s_and_b64 s[2:3], s[2:3], exec
	s_and_b64 s[18:19], s[20:21], exec
.LBB968_113:
	s_or_b64 exec, exec, s[16:17]
	s_and_b64 s[2:3], s[2:3], exec
	s_and_b64 s[16:17], s[18:19], exec
.LBB968_114:
	s_or_b64 exec, exec, s[14:15]
	s_and_b64 s[2:3], s[2:3], exec
	s_and_b64 s[14:15], s[16:17], exec
.LBB968_115:
	s_or_b64 exec, exec, s[12:13]
	s_and_b64 s[2:3], s[2:3], exec
	s_and_b64 s[12:13], s[14:15], exec
.LBB968_116:
	s_or_b64 exec, exec, s[10:11]
	s_and_b64 vcc, exec, s[8:9]
	v_lshlrev_b32_e32 v12, 1, v0
	s_cbranch_vccnz .LBB968_118
	s_branch .LBB968_126
.LBB968_117:
                                        ; implicit-def: $sgpr2_sgpr3
                                        ; implicit-def: $vgpr36
                                        ; implicit-def: $vgpr1
                                        ; implicit-def: $vgpr16
                                        ; implicit-def: $vgpr17
                                        ; implicit-def: $vgpr18
                                        ; implicit-def: $vgpr19
                                        ; implicit-def: $vgpr20
                                        ; implicit-def: $vgpr21
                                        ; implicit-def: $vgpr22
                                        ; implicit-def: $vgpr23
                                        ; implicit-def: $vgpr24
                                        ; implicit-def: $vgpr25
                                        ; implicit-def: $vgpr26
                                        ; implicit-def: $vgpr27
                                        ; implicit-def: $vgpr28
                                        ; implicit-def: $vgpr29
                                        ; implicit-def: $vgpr30
                                        ; implicit-def: $vgpr31
                                        ; implicit-def: $vgpr32
                                        ; implicit-def: $vgpr33
                                        ; implicit-def: $vgpr34
                                        ; implicit-def: $vgpr35
                                        ; implicit-def: $sgpr7
	s_and_b64 vcc, exec, s[8:9]
	v_lshlrev_b32_e32 v12, 1, v0
	s_cbranch_vccz .LBB968_126
.LBB968_118:
	v_mov_b32_e32 v1, s71
	v_add_co_u32_e32 v2, vcc, s70, v12
	v_addc_co_u32_e32 v3, vcc, 0, v1, vcc
	v_add_co_u32_e32 v4, vcc, 0x1000, v2
	s_waitcnt vmcnt(0)
	v_addc_co_u32_e32 v5, vcc, 0, v3, vcc
	flat_load_ushort v6, v[2:3]
	flat_load_ushort v7, v[2:3] offset:512
	flat_load_ushort v8, v[2:3] offset:1024
	;; [unrolled: 1-line block ×7, first 2 shown]
	v_add_co_u32_e32 v2, vcc, 0x2000, v2
	v_addc_co_u32_e32 v3, vcc, 0, v3, vcc
	flat_load_ushort v15, v[4:5]
	flat_load_ushort v16, v[4:5] offset:512
	flat_load_ushort v17, v[4:5] offset:1024
	;; [unrolled: 1-line block ×7, first 2 shown]
	s_nop 0
	flat_load_ushort v4, v[2:3]
	flat_load_ushort v5, v[2:3] offset:512
	flat_load_ushort v23, v[2:3] offset:1024
	;; [unrolled: 1-line block ×5, first 2 shown]
	v_mad_u32_u24 v1, v0, 42, v12
	s_cmp_eq_u64 s[74:75], 0
	s_waitcnt vmcnt(0) lgkmcnt(0)
	ds_write_b16 v12, v6
	ds_write_b16 v12, v7 offset:512
	ds_write_b16 v12, v8 offset:1024
	;; [unrolled: 1-line block ×21, first 2 shown]
	s_waitcnt lgkmcnt(0)
	s_barrier
	ds_read2_b32 v[10:11], v1 offset1:1
	ds_read2_b32 v[8:9], v1 offset0:2 offset1:3
	ds_read2_b32 v[6:7], v1 offset0:4 offset1:5
	;; [unrolled: 1-line block ×4, first 2 shown]
	ds_read_b32 v13, v1 offset:40
	s_cbranch_scc1 .LBB968_123
; %bb.119:
	s_andn2_b64 vcc, exec, s[72:73]
	s_cbranch_vccnz .LBB968_284
; %bb.120:
	s_lshl_b64 s[2:3], s[74:75], 1
	s_add_u32 s2, s58, s2
	s_addc_u32 s3, s59, s3
	s_add_u32 s2, s2, -2
	s_addc_u32 s3, s3, -1
	s_cbranch_execnz .LBB968_122
.LBB968_121:
	s_add_u32 s2, s70, -2
	s_addc_u32 s3, s71, -1
.LBB968_122:
	s_mov_b64 s[70:71], s[2:3]
.LBB968_123:
	v_pk_mov_b32 v[14:15], s[70:71], s[70:71] op_sel:[0,1]
	flat_load_ushort v14, v[14:15]
	s_movk_i32 s2, 0xffd6
	s_waitcnt lgkmcnt(0)
	v_lshrrev_b32_e32 v15, 16, v13
	v_mad_i32_i24 v16, v0, s2, v1
	v_cmp_ne_u32_e32 vcc, 0, v0
	ds_write_b16 v16, v15 offset:11264
	s_waitcnt lgkmcnt(0)
	s_barrier
	s_and_saveexec_b64 s[2:3], vcc
	s_cbranch_execz .LBB968_125
; %bb.124:
	s_waitcnt vmcnt(0)
	v_mul_i32_i24_e32 v14, 0xffffffd6, v0
	v_add_u32_e32 v14, v1, v14
	ds_read_u16 v14, v14 offset:11262
.LBB968_125:
	s_or_b64 exec, exec, s[2:3]
	v_mov_b32_e32 v16, s69
	v_add_co_u32_e32 v18, vcc, s68, v12
	v_addc_co_u32_e32 v19, vcc, 0, v16, vcc
	s_movk_i32 s2, 0x1000
	v_add_co_u32_e32 v16, vcc, s2, v18
	v_addc_co_u32_e32 v17, vcc, 0, v19, vcc
	s_movk_i32 s2, 0x2000
	s_waitcnt lgkmcnt(0)
	s_barrier
	global_load_ushort v20, v12, s[68:69]
	global_load_ushort v21, v12, s[68:69] offset:512
	global_load_ushort v22, v12, s[68:69] offset:1024
	;; [unrolled: 1-line block ×7, first 2 shown]
	v_add_co_u32_e32 v18, vcc, s2, v18
	v_addc_co_u32_e32 v19, vcc, 0, v19, vcc
	global_load_ushort v28, v[18:19], off offset:-4096
	global_load_ushort v29, v[16:17], off offset:512
	global_load_ushort v30, v[16:17], off offset:1024
	;; [unrolled: 1-line block ×7, first 2 shown]
	global_load_ushort v36, v[18:19], off
	global_load_ushort v37, v[18:19], off offset:512
	global_load_ushort v38, v[18:19], off offset:1024
	;; [unrolled: 1-line block ×5, first 2 shown]
	v_cmp_ne_u16_e64 s[2:3], v13, v15
	s_waitcnt vmcnt(0)
	v_cmp_ne_u16_e32 vcc, v14, v10
	v_cndmask_b32_e64 v14, 0, 1, vcc
	v_cmp_ne_u16_sdwa s[8:9], v10, v10 src0_sel:DWORD src1_sel:WORD_1
	s_mov_b64 s[12:13], -1
                                        ; implicit-def: $sgpr7
	v_sub_u16_e32 v15, 0, v20
	v_sub_u16_e32 v16, 0, v21
	;; [unrolled: 1-line block ×8, first 2 shown]
	ds_write_b16 v12, v15
	ds_write_b16 v12, v16 offset:512
	ds_write_b16 v12, v17 offset:1024
	;; [unrolled: 1-line block ×7, first 2 shown]
	v_sub_u16_e32 v15, 0, v28
	v_sub_u16_e32 v18, 0, v31
	;; [unrolled: 1-line block ×14, first 2 shown]
	ds_write_b16 v12, v15 offset:4096
	ds_write_b16 v12, v16 offset:4608
	;; [unrolled: 1-line block ×14, first 2 shown]
	s_waitcnt lgkmcnt(0)
	s_barrier
	ds_read2_b32 v[34:35], v1 offset0:8 offset1:9
	ds_read_b32 v15, v1 offset:40
	ds_read2_b32 v[18:19], v1 offset1:1
	ds_read2_b32 v[22:23], v1 offset0:2 offset1:3
	ds_read2_b32 v[26:27], v1 offset0:4 offset1:5
	;; [unrolled: 1-line block ×3, first 2 shown]
	s_waitcnt lgkmcnt(4)
	v_lshrrev_b32_e32 v36, 16, v15
	s_waitcnt lgkmcnt(3)
	v_and_b32_e32 v1, 0xffff, v18
	v_lshl_or_b32 v1, v14, 16, v1
	v_cndmask_b32_e64 v14, 0, 1, s[8:9]
	v_cmp_ne_u16_sdwa s[8:9], v10, v11 src0_sel:WORD_1 src1_sel:DWORD
	v_alignbit_b32 v16, v14, v18, 16
	v_and_b32_e32 v14, 0xffff, v19
	v_cndmask_b32_e64 v10, 0, 1, s[8:9]
	v_cmp_ne_u16_sdwa s[8:9], v11, v11 src0_sel:DWORD src1_sel:WORD_1
	v_lshl_or_b32 v17, v10, 16, v14
	v_cndmask_b32_e64 v10, 0, 1, s[8:9]
	v_cmp_ne_u16_sdwa s[8:9], v11, v8 src0_sel:WORD_1 src1_sel:DWORD
	v_alignbit_b32 v18, v10, v19, 16
	s_waitcnt lgkmcnt(2)
	v_and_b32_e32 v10, 0xffff, v22
	v_cndmask_b32_e64 v11, 0, 1, s[8:9]
	v_cmp_ne_u16_sdwa s[8:9], v8, v8 src0_sel:DWORD src1_sel:WORD_1
	v_lshl_or_b32 v19, v11, 16, v10
	v_cndmask_b32_e64 v10, 0, 1, s[8:9]
	v_cmp_ne_u16_sdwa s[8:9], v8, v9 src0_sel:WORD_1 src1_sel:DWORD
	v_alignbit_b32 v20, v10, v22, 16
	v_and_b32_e32 v10, 0xffff, v23
	v_cndmask_b32_e64 v8, 0, 1, s[8:9]
	v_cmp_ne_u16_sdwa s[8:9], v9, v9 src0_sel:DWORD src1_sel:WORD_1
	v_lshl_or_b32 v21, v8, 16, v10
	v_cndmask_b32_e64 v8, 0, 1, s[8:9]
	v_cmp_ne_u16_sdwa s[8:9], v9, v6 src0_sel:WORD_1 src1_sel:DWORD
	v_alignbit_b32 v22, v8, v23, 16
	s_waitcnt lgkmcnt(1)
	v_and_b32_e32 v8, 0xffff, v26
	v_cndmask_b32_e64 v9, 0, 1, s[8:9]
	v_cmp_ne_u16_sdwa s[8:9], v6, v6 src0_sel:DWORD src1_sel:WORD_1
	;; [unrolled: 15-line block ×3, first 2 shown]
	v_lshl_or_b32 v27, v7, 16, v6
	v_cndmask_b32_e64 v6, 0, 1, s[8:9]
	v_cmp_ne_u16_sdwa s[8:9], v4, v5 src0_sel:WORD_1 src1_sel:DWORD
	v_alignbit_b32 v28, v6, v30, 16
	v_and_b32_e32 v6, 0xffff, v31
	v_cndmask_b32_e64 v4, 0, 1, s[8:9]
	v_cmp_ne_u16_sdwa s[8:9], v5, v5 src0_sel:DWORD src1_sel:WORD_1
	v_lshl_or_b32 v29, v4, 16, v6
	v_cndmask_b32_e64 v4, 0, 1, s[8:9]
	v_cmp_ne_u16_sdwa s[8:9], v5, v2 src0_sel:WORD_1 src1_sel:DWORD
	v_alignbit_b32 v30, v4, v31, 16
	v_and_b32_e32 v4, 0xffff, v34
	v_cndmask_b32_e64 v5, 0, 1, s[8:9]
	v_cmp_ne_u16_sdwa s[8:9], v2, v2 src0_sel:DWORD src1_sel:WORD_1
	;; [unrolled: 7-line block ×3, first 2 shown]
	v_lshl_or_b32 v33, v2, 16, v4
	v_cndmask_b32_e64 v2, 0, 1, s[8:9]
	v_cmp_ne_u16_sdwa s[8:9], v3, v13 src0_sel:WORD_1 src1_sel:DWORD
	v_alignbit_b32 v34, v2, v35, 16
	v_and_b32_e32 v2, 0xffff, v15
	v_cndmask_b32_e64 v3, 0, 1, s[8:9]
	v_lshl_or_b32 v35, v3, 16, v2
.LBB968_126:
	v_mov_b32_e32 v13, s7
	s_and_saveexec_b64 s[8:9], s[12:13]
	s_cbranch_execz .LBB968_128
; %bb.127:
	v_mov_b32_e32 v2, 0x10000
	v_cndmask_b32_e64 v2, 0, v2, s[2:3]
	s_waitcnt lgkmcnt(0)
	v_or_b32_sdwa v13, v2, v36 dst_sel:DWORD dst_unused:UNUSED_PAD src0_sel:DWORD src1_sel:WORD_0
.LBB968_128:
	s_or_b64 exec, exec, s[8:9]
	v_or3_b32 v2, v13, v35, v34
	s_cmp_lg_u32 s6, 0
	v_or3_b32 v15, v2, v33, v32
	v_lshrrev_b32_e32 v14, 5, v0
	v_cmp_gt_u32_e32 vcc, 64, v0
	s_waitcnt lgkmcnt(0)
	s_barrier
	s_cbranch_scc0 .LBB968_189
; %bb.129:
	s_mov_b32 s7, 0x10000
	v_cmp_gt_u32_e64 s[2:3], s7, v16
	v_cndmask_b32_e64 v2, 0, v1, s[2:3]
	v_add_u16_e32 v2, v2, v16
	v_cmp_gt_u32_e64 s[52:53], s7, v17
	v_cndmask_b32_e64 v2, 0, v2, s[52:53]
	v_add_u16_e32 v2, v2, v17
	v_cmp_gt_u32_e64 s[8:9], s7, v18
	v_cndmask_b32_e64 v2, 0, v2, s[8:9]
	v_add_u16_e32 v2, v2, v18
	v_cmp_gt_u32_e64 s[10:11], s7, v19
	v_cndmask_b32_e64 v2, 0, v2, s[10:11]
	v_add_u16_e32 v2, v2, v19
	v_cmp_gt_u32_e64 s[12:13], s7, v20
	v_cndmask_b32_e64 v2, 0, v2, s[12:13]
	v_add_u16_e32 v2, v2, v20
	v_cmp_gt_u32_e64 s[14:15], s7, v21
	v_cndmask_b32_e64 v2, 0, v2, s[14:15]
	v_add_u16_e32 v2, v2, v21
	v_cmp_gt_u32_e64 s[16:17], s7, v22
	v_cndmask_b32_e64 v2, 0, v2, s[16:17]
	v_add_u16_e32 v2, v2, v22
	v_cmp_gt_u32_e64 s[18:19], s7, v23
	v_cndmask_b32_e64 v2, 0, v2, s[18:19]
	v_add_u16_e32 v2, v2, v23
	v_cmp_gt_u32_e64 s[20:21], s7, v24
	v_cndmask_b32_e64 v2, 0, v2, s[20:21]
	v_add_u16_e32 v2, v2, v24
	v_cmp_gt_u32_e64 s[22:23], s7, v25
	v_cndmask_b32_e64 v2, 0, v2, s[22:23]
	v_add_u16_e32 v2, v2, v25
	v_cmp_gt_u32_e64 s[24:25], s7, v26
	v_cndmask_b32_e64 v2, 0, v2, s[24:25]
	v_add_u16_e32 v2, v2, v26
	v_cmp_gt_u32_e64 s[26:27], s7, v27
	v_cndmask_b32_e64 v2, 0, v2, s[26:27]
	v_add_u16_e32 v2, v2, v27
	v_cmp_gt_u32_e64 s[28:29], s7, v28
	v_cndmask_b32_e64 v2, 0, v2, s[28:29]
	v_add_u16_e32 v2, v2, v28
	v_cmp_gt_u32_e64 s[30:31], s7, v29
	v_cndmask_b32_e64 v2, 0, v2, s[30:31]
	v_add_u16_e32 v2, v2, v29
	v_cmp_gt_u32_e64 s[34:35], s7, v30
	v_cndmask_b32_e64 v2, 0, v2, s[34:35]
	v_add_u16_e32 v2, v2, v30
	v_cmp_gt_u32_e64 s[36:37], s7, v31
	v_cndmask_b32_e64 v2, 0, v2, s[36:37]
	v_add_u16_e32 v2, v2, v31
	v_cmp_gt_u32_e64 s[38:39], s7, v32
	v_cndmask_b32_e64 v2, 0, v2, s[38:39]
	v_add_u16_e32 v2, v2, v32
	v_cmp_gt_u32_e64 s[40:41], s7, v33
	v_cndmask_b32_e64 v2, 0, v2, s[40:41]
	v_add_u16_e32 v2, v2, v33
	v_cmp_gt_u32_e64 s[42:43], s7, v34
	v_cndmask_b32_e64 v2, 0, v2, s[42:43]
	v_add_u16_e32 v2, v2, v34
	v_cmp_gt_u32_e64 s[44:45], s7, v35
	v_cndmask_b32_e64 v2, 0, v2, s[44:45]
	v_add_u16_e32 v2, v2, v35
	v_cmp_gt_u32_e64 s[46:47], s7, v13
	v_cndmask_b32_e64 v2, 0, v2, s[46:47]
	v_add_u16_e32 v37, v2, v13
	v_or3_b32 v2, v15, v31, v30
	v_or3_b32 v2, v2, v29, v28
	;; [unrolled: 1-line block ×8, first 2 shown]
	v_and_b32_e32 v2, 0x10000, v2
	v_lshrrev_b32_e32 v36, 16, v1
	v_cmp_ne_u32_e64 s[48:49], 0, v2
	s_waitcnt vmcnt(0)
	v_mov_b32_e32 v5, 0x10000
	v_cndmask_b32_e64 v38, v36, 1, s[48:49]
	v_add_lshl_u32 v2, v14, v0, 2
	ds_write_b16 v2, v37
	ds_write_b8 v2, v38 offset:2
	s_waitcnt lgkmcnt(0)
	s_barrier
	s_and_saveexec_b64 s[50:51], vcc
	s_cbranch_execz .LBB968_143
; %bb.130:
	v_lshlrev_b32_e32 v2, 2, v0
	v_lshrrev_b32_e32 v3, 3, v0
	v_add_lshl_u32 v2, v3, v2, 2
	ds_read_b32 v3, v2
	ds_read_u16 v4, v2 offset:4
	ds_read_u8 v6, v2 offset:6
	ds_read_u16 v7, v2 offset:8
	ds_read_u8 v8, v2 offset:10
	;; [unrolled: 2-line block ×3, first 2 shown]
	v_mov_b32_e32 v11, 0
	s_waitcnt lgkmcnt(4)
	v_cmp_eq_u16_sdwa s[48:49], v6, v11 src0_sel:BYTE_0 src1_sel:DWORD
	v_cndmask_b32_e64 v39, 0, v3, s[48:49]
	v_add_u16_e32 v39, v39, v4
	s_waitcnt lgkmcnt(2)
	v_cmp_eq_u16_sdwa s[48:49], v8, v11 src0_sel:BYTE_0 src1_sel:DWORD
	s_waitcnt lgkmcnt(0)
	v_or_b32_e32 v8, v10, v8
	v_cndmask_b32_e64 v11, 0, v39, s[48:49]
	v_or_b32_e32 v6, v8, v6
	v_add_u16_e32 v7, v11, v7
	v_cmp_eq_u16_e64 s[48:49], 0, v10
	v_and_b32_e32 v6, 1, v6
	v_and_b32_e32 v4, 0x10000, v3
	v_cndmask_b32_e64 v11, 0, v7, s[48:49]
	v_cmp_eq_u32_e64 s[48:49], 1, v6
	v_mbcnt_lo_u32_b32 v6, -1, 0
	v_add_u16_e32 v7, v11, v9
	v_cndmask_b32_e64 v39, v4, v5, s[48:49]
	v_add_u16_e32 v9, v11, v9
	v_and_b32_e32 v5, 0xff000000, v3
	v_mbcnt_hi_u32_b32 v6, -1, v6
	v_or_b32_e32 v10, v39, v5
	v_and_b32_e32 v11, 15, v6
	v_or3_b32 v9, v5, v9, v39
	s_movk_i32 s7, 0xff
	v_lshrrev_b32_e32 v8, 16, v10
	v_mov_b32_dpp v39, v9 row_shr:1 row_mask:0xf bank_mask:0xf
	v_cmp_ne_u32_e64 s[48:49], 0, v11
	s_and_saveexec_b64 s[58:59], s[48:49]
	s_cbranch_execz .LBB968_132
; %bb.131:
	v_and_b32_sdwa v8, v10, s7 dst_sel:DWORD dst_unused:UNUSED_PAD src0_sel:WORD_1 src1_sel:DWORD
	v_cmp_eq_u16_e64 s[48:49], 0, v8
	v_and_b32_e32 v8, 0x10000, v10
	v_mov_b32_e32 v10, 1
	v_cndmask_b32_e64 v9, 0, v39, s[48:49]
	v_and_b32_sdwa v10, v39, v10 dst_sel:DWORD dst_unused:UNUSED_PAD src0_sel:WORD_1 src1_sel:DWORD
	v_cmp_ne_u32_e64 s[48:49], 0, v8
	v_cndmask_b32_e64 v8, v10, 1, s[48:49]
	v_add_u16_e32 v40, v9, v7
	v_lshlrev_b32_e32 v10, 16, v8
	v_add_u16_e32 v7, v9, v7
	v_or3_b32 v9, v10, v7, v5
	v_mov_b32_e32 v7, v40
.LBB968_132:
	s_or_b64 exec, exec, s[58:59]
	v_lshrrev_b32_e32 v10, 16, v9
	v_mov_b32_dpp v39, v9 row_shr:2 row_mask:0xf bank_mask:0xf
	v_cmp_lt_u32_e64 s[48:49], 1, v11
	s_and_saveexec_b64 s[58:59], s[48:49]
	s_cbranch_execz .LBB968_134
; %bb.133:
	v_mov_b32_e32 v8, 0
	v_cmp_eq_u16_sdwa s[48:49], v10, v8 src0_sel:BYTE_0 src1_sel:DWORD
	v_and_b32_e32 v8, 0x10000, v9
	v_mov_b32_e32 v9, 1
	v_cndmask_b32_e64 v10, 0, v39, s[48:49]
	v_and_b32_sdwa v9, v39, v9 dst_sel:DWORD dst_unused:UNUSED_PAD src0_sel:WORD_1 src1_sel:DWORD
	v_cmp_ne_u32_e64 s[48:49], 0, v8
	v_cndmask_b32_e64 v8, v9, 1, s[48:49]
	v_add_u16_e32 v40, v10, v7
	v_lshlrev_b32_e32 v9, 16, v8
	v_add_u16_e32 v7, v10, v7
	v_or3_b32 v9, v9, v7, v5
	v_mov_b32_e32 v10, v8
	v_mov_b32_e32 v7, v40
.LBB968_134:
	s_or_b64 exec, exec, s[58:59]
	v_mov_b32_dpp v39, v9 row_shr:4 row_mask:0xf bank_mask:0xf
	v_cmp_lt_u32_e64 s[48:49], 3, v11
	s_and_saveexec_b64 s[58:59], s[48:49]
	s_cbranch_execz .LBB968_136
; %bb.135:
	v_mov_b32_e32 v8, 0
	v_cmp_eq_u16_sdwa s[48:49], v10, v8 src0_sel:BYTE_0 src1_sel:DWORD
	v_and_b32_e32 v8, 1, v10
	v_mov_b32_e32 v10, 1
	v_cndmask_b32_e64 v9, 0, v39, s[48:49]
	v_and_b32_sdwa v10, v39, v10 dst_sel:DWORD dst_unused:UNUSED_PAD src0_sel:WORD_1 src1_sel:DWORD
	v_cmp_eq_u32_e64 s[48:49], 1, v8
	v_cndmask_b32_e64 v8, v10, 1, s[48:49]
	v_add_u16_e32 v40, v9, v7
	v_lshlrev_b32_e32 v10, 16, v8
	v_add_u16_e32 v7, v9, v7
	v_or3_b32 v9, v10, v7, v5
	v_mov_b32_e32 v10, v8
	v_mov_b32_e32 v7, v40
.LBB968_136:
	s_or_b64 exec, exec, s[58:59]
	v_mov_b32_dpp v39, v9 row_shr:8 row_mask:0xf bank_mask:0xf
	v_cmp_lt_u32_e64 s[48:49], 7, v11
	s_and_saveexec_b64 s[58:59], s[48:49]
	s_cbranch_execz .LBB968_138
; %bb.137:
	v_mov_b32_e32 v8, 0
	v_cmp_eq_u16_sdwa s[48:49], v10, v8 src0_sel:BYTE_0 src1_sel:DWORD
	v_and_b32_e32 v8, 1, v10
	v_mov_b32_e32 v10, 1
	v_cndmask_b32_e64 v9, 0, v39, s[48:49]
	v_and_b32_sdwa v10, v39, v10 dst_sel:DWORD dst_unused:UNUSED_PAD src0_sel:WORD_1 src1_sel:DWORD
	v_cmp_eq_u32_e64 s[48:49], 1, v8
	v_cndmask_b32_e64 v8, v10, 1, s[48:49]
	v_add_u16_e32 v11, v9, v7
	v_lshlrev_b32_e32 v10, 16, v8
	v_add_u16_e32 v7, v9, v7
	v_or3_b32 v9, v10, v7, v5
	v_mov_b32_e32 v10, v8
	v_mov_b32_e32 v7, v11
.LBB968_138:
	s_or_b64 exec, exec, s[58:59]
	v_and_b32_e32 v39, 16, v6
	v_mov_b32_dpp v11, v9 row_bcast:15 row_mask:0xf bank_mask:0xf
	v_cmp_ne_u32_e64 s[48:49], 0, v39
	s_and_saveexec_b64 s[58:59], s[48:49]
	s_cbranch_execz .LBB968_140
; %bb.139:
	v_mov_b32_e32 v8, 0
	v_cmp_eq_u16_sdwa s[48:49], v10, v8 src0_sel:BYTE_0 src1_sel:DWORD
	v_and_b32_e32 v8, 1, v10
	v_mov_b32_e32 v10, 1
	v_cndmask_b32_e64 v9, 0, v11, s[48:49]
	v_and_b32_sdwa v10, v11, v10 dst_sel:DWORD dst_unused:UNUSED_PAD src0_sel:WORD_1 src1_sel:DWORD
	v_cmp_eq_u32_e64 s[48:49], 1, v8
	v_cndmask_b32_e64 v8, v10, 1, s[48:49]
	v_add_u16_e32 v39, v9, v7
	v_lshlrev_b32_e32 v10, 16, v8
	v_add_u16_e32 v7, v9, v7
	v_or3_b32 v9, v10, v7, v5
	v_mov_b32_e32 v10, v8
	v_mov_b32_e32 v7, v39
.LBB968_140:
	s_or_b64 exec, exec, s[58:59]
	v_mov_b32_dpp v9, v9 row_bcast:31 row_mask:0xf bank_mask:0xf
	v_cmp_lt_u32_e64 s[48:49], 31, v6
	s_and_saveexec_b64 s[58:59], s[48:49]
; %bb.141:
	v_mov_b32_e32 v8, 0
	v_cmp_eq_u16_sdwa s[48:49], v10, v8 src0_sel:BYTE_0 src1_sel:DWORD
	v_cndmask_b32_e64 v8, 0, v9, s[48:49]
	v_add_u16_e32 v7, v8, v7
	v_and_b32_e32 v8, 1, v10
	v_mov_b32_e32 v10, 1
	v_and_b32_sdwa v9, v9, v10 dst_sel:DWORD dst_unused:UNUSED_PAD src0_sel:WORD_1 src1_sel:DWORD
	v_cmp_eq_u32_e64 s[48:49], 1, v8
	v_cndmask_b32_e64 v8, v9, 1, s[48:49]
; %bb.142:
	s_or_b64 exec, exec, s[58:59]
	v_and_b32_e32 v8, 0xff, v8
	v_lshlrev_b32_e32 v8, 16, v8
	v_and_b32_e32 v7, 0xffff, v7
	v_or3_b32 v5, v8, v7, v5
	v_add_u32_e32 v7, -1, v6
	v_and_b32_e32 v8, 64, v6
	v_cmp_lt_i32_e64 s[48:49], v7, v8
	v_cndmask_b32_e64 v6, v7, v6, s[48:49]
	v_lshlrev_b32_e32 v6, 2, v6
	ds_bpermute_b32 v5, v6, v5
	v_and_b32_e32 v6, 0xff0000, v3
	v_cmp_eq_u32_e64 s[48:49], 0, v6
	; wave barrier
	s_waitcnt lgkmcnt(0)
	v_cndmask_b32_e64 v6, 0, v5, s[48:49]
	v_add_u16_e32 v3, v6, v3
	v_mov_b32_e32 v6, 1
	v_and_b32_sdwa v5, v5, v6 dst_sel:DWORD dst_unused:UNUSED_PAD src0_sel:WORD_1 src1_sel:DWORD
	v_cmp_eq_u32_e64 s[48:49], 0, v4
	v_cndmask_b32_e64 v4, 1, v5, s[48:49]
	v_cmp_eq_u32_e64 s[48:49], 0, v0
	v_cndmask_b32_e64 v3, v3, v37, s[48:49]
	v_cndmask_b32_e64 v4, v4, v38, s[48:49]
	ds_write_b16 v2, v3
	ds_write_b8 v2, v4 offset:2
	; wave barrier
	ds_read_u16 v5, v2 offset:4
	ds_read_u8 v6, v2 offset:6
	ds_read_u16 v7, v2 offset:8
	ds_read_u8 v8, v2 offset:10
	;; [unrolled: 2-line block ×3, first 2 shown]
	s_waitcnt lgkmcnt(4)
	v_cmp_eq_u16_e64 s[48:49], 0, v6
	v_cndmask_b32_e64 v3, 0, v3, s[48:49]
	v_add_u16_e32 v3, v3, v5
	v_and_b32_e32 v5, 1, v6
	v_cmp_eq_u32_e64 s[48:49], 1, v5
	v_cndmask_b32_e64 v4, v4, 1, s[48:49]
	s_waitcnt lgkmcnt(2)
	v_cmp_eq_u16_e64 s[48:49], 0, v8
	v_and_b32_e32 v5, 1, v8
	ds_write_b16 v2, v3 offset:4
	ds_write_b8 v2, v4 offset:6
	v_cndmask_b32_e64 v3, 0, v3, s[48:49]
	v_cmp_eq_u32_e64 s[48:49], 1, v5
	v_add_u16_e32 v3, v3, v7
	v_cndmask_b32_e64 v4, v4, 1, s[48:49]
	s_waitcnt lgkmcnt(2)
	v_cmp_eq_u16_e64 s[48:49], 0, v10
	ds_write_b16 v2, v3 offset:8
	ds_write_b8 v2, v4 offset:10
	v_cndmask_b32_e64 v3, 0, v3, s[48:49]
	v_and_b32_e32 v5, 1, v10
	v_add_u16_e32 v3, v3, v9
	v_cmp_eq_u32_e64 s[48:49], 1, v5
	v_cndmask_b32_e64 v4, v4, 1, s[48:49]
	ds_write_b16 v2, v3 offset:12
	ds_write_b8 v2, v4 offset:14
.LBB968_143:
	s_or_b64 exec, exec, s[50:51]
	v_cmp_eq_u32_e64 s[48:49], 0, v0
	v_cmp_ne_u32_e64 s[50:51], 0, v0
	s_waitcnt lgkmcnt(0)
	s_barrier
	s_and_saveexec_b64 s[58:59], s[50:51]
	s_cbranch_execz .LBB968_145
; %bb.144:
	v_add_u32_e32 v2, -1, v0
	v_lshrrev_b32_e32 v3, 5, v2
	v_add_lshl_u32 v2, v3, v2, 2
	ds_read_u16 v37, v2
	ds_read_u8 v38, v2 offset:2
.LBB968_145:
	s_or_b64 exec, exec, s[58:59]
	s_and_saveexec_b64 s[58:59], vcc
	s_cbranch_execz .LBB968_188
; %bb.146:
	v_mov_b32_e32 v9, 0
	ds_read_b32 v2, v9 offset:1048
	v_mbcnt_lo_u32_b32 v3, -1, 0
	v_mbcnt_hi_u32_b32 v5, -1, v3
	s_mov_b32 s71, 0
	v_cmp_eq_u32_e64 s[50:51], 0, v5
	s_and_saveexec_b64 s[68:69], s[50:51]
	s_cbranch_execz .LBB968_148
; %bb.147:
	s_add_i32 s70, s6, 64
	s_lshl_b64 s[70:71], s[70:71], 3
	s_add_u32 s70, s60, s70
	v_mov_b32_e32 v3, 1
	s_addc_u32 s71, s61, s71
	s_waitcnt lgkmcnt(0)
	global_store_dwordx2 v9, v[2:3], s[70:71]
.LBB968_148:
	s_or_b64 exec, exec, s[68:69]
	v_xad_u32 v4, v5, -1, s6
	v_add_u32_e32 v8, 64, v4
	v_lshlrev_b64 v[6:7], 3, v[8:9]
	v_mov_b32_e32 v3, s61
	v_add_co_u32_e32 v10, vcc, s60, v6
	v_addc_co_u32_e32 v11, vcc, v3, v7, vcc
	global_load_dwordx2 v[6:7], v[10:11], off glc
	s_waitcnt vmcnt(0)
	v_cmp_eq_u16_sdwa s[70:71], v7, v9 src0_sel:BYTE_0 src1_sel:DWORD
	s_and_saveexec_b64 s[68:69], s[70:71]
	s_cbranch_execz .LBB968_152
; %bb.149:
	s_mov_b64 s[70:71], 0
	v_mov_b32_e32 v3, 0
.LBB968_150:                            ; =>This Inner Loop Header: Depth=1
	global_load_dwordx2 v[6:7], v[10:11], off glc
	s_waitcnt vmcnt(0)
	v_cmp_ne_u16_sdwa s[72:73], v7, v3 src0_sel:BYTE_0 src1_sel:DWORD
	s_or_b64 s[70:71], s[72:73], s[70:71]
	s_andn2_b64 exec, exec, s[70:71]
	s_cbranch_execnz .LBB968_150
; %bb.151:
	s_or_b64 exec, exec, s[70:71]
.LBB968_152:
	s_or_b64 exec, exec, s[68:69]
	v_mov_b32_e32 v3, 2
	v_cmp_eq_u16_sdwa s[68:69], v7, v3 src0_sel:BYTE_0 src1_sel:DWORD
	v_lshlrev_b64 v[8:9], v5, -1
	v_and_b32_e32 v3, s69, v9
	v_or_b32_e32 v3, 0x80000000, v3
	v_ffbl_b32_e32 v3, v3
	v_add_u32_e32 v11, 32, v3
	v_and_b32_e32 v3, 63, v5
	v_cmp_ne_u32_e32 vcc, 63, v3
	v_addc_co_u32_e32 v39, vcc, 0, v5, vcc
	v_and_b32_e32 v50, 0xffffff, v6
	v_lshlrev_b32_e32 v39, 2, v39
	ds_bpermute_b32 v40, v39, v50
	v_and_b32_e32 v10, s68, v8
	v_ffbl_b32_e32 v10, v10
	v_min_u32_e32 v11, v10, v11
	v_lshrrev_b32_e32 v10, 16, v6
	v_cmp_lt_u32_e32 vcc, v3, v11
	v_bfe_u32 v48, v6, 16, 8
	s_and_saveexec_b64 s[68:69], vcc
	s_cbranch_execz .LBB968_154
; %bb.153:
	v_and_b32_e32 v10, 0xff0000, v6
	v_cmp_eq_u32_e32 vcc, 0, v10
	v_and_b32_e32 v10, 0x10000, v10
	v_mov_b32_e32 v43, 1
	s_waitcnt lgkmcnt(0)
	v_cndmask_b32_e32 v41, 0, v40, vcc
	v_and_b32_sdwa v40, v40, v43 dst_sel:DWORD dst_unused:UNUSED_PAD src0_sel:WORD_1 src1_sel:DWORD
	v_cmp_ne_u32_e32 vcc, 0, v10
	v_cndmask_b32_e64 v10, v40, 1, vcc
	v_add_u16_e32 v42, v41, v6
	v_lshlrev_b32_e32 v40, 16, v10
	v_add_u16_e32 v6, v41, v6
	v_or_b32_e32 v50, v40, v6
	v_mov_b32_e32 v6, v42
	v_mov_b32_e32 v48, v10
.LBB968_154:
	s_or_b64 exec, exec, s[68:69]
	v_cmp_gt_u32_e32 vcc, 62, v3
	s_waitcnt lgkmcnt(0)
	v_cndmask_b32_e64 v40, 0, 1, vcc
	v_lshlrev_b32_e32 v40, 1, v40
	v_add_lshl_u32 v40, v40, v5, 2
	ds_bpermute_b32 v42, v40, v50
	v_add_u32_e32 v41, 2, v3
	v_cmp_le_u32_e32 vcc, v41, v11
	s_and_saveexec_b64 s[68:69], vcc
	s_cbranch_execz .LBB968_156
; %bb.155:
	v_cmp_eq_u16_e32 vcc, 0, v48
	v_and_b32_e32 v10, 1, v48
	v_mov_b32_e32 v45, 1
	s_waitcnt lgkmcnt(0)
	v_cndmask_b32_e32 v43, 0, v42, vcc
	v_and_b32_sdwa v42, v42, v45 dst_sel:DWORD dst_unused:UNUSED_PAD src0_sel:WORD_1 src1_sel:DWORD
	v_cmp_eq_u32_e32 vcc, 1, v10
	v_cndmask_b32_e64 v10, v42, 1, vcc
	v_add_u16_e32 v44, v43, v6
	v_lshlrev_b32_e32 v42, 16, v10
	v_add_u16_e32 v6, v43, v6
	v_or_b32_e32 v50, v42, v6
	v_mov_b32_e32 v6, v44
	v_mov_b32_e32 v48, v10
.LBB968_156:
	s_or_b64 exec, exec, s[68:69]
	v_cmp_gt_u32_e32 vcc, 60, v3
	s_waitcnt lgkmcnt(0)
	v_cndmask_b32_e64 v42, 0, 1, vcc
	v_lshlrev_b32_e32 v42, 2, v42
	v_add_lshl_u32 v42, v42, v5, 2
	ds_bpermute_b32 v44, v42, v50
	v_add_u32_e32 v43, 4, v3
	v_cmp_le_u32_e32 vcc, v43, v11
	s_and_saveexec_b64 s[68:69], vcc
	s_cbranch_execz .LBB968_158
; %bb.157:
	v_cmp_eq_u16_e32 vcc, 0, v48
	v_and_b32_e32 v10, 1, v48
	v_mov_b32_e32 v47, 1
	s_waitcnt lgkmcnt(0)
	v_cndmask_b32_e32 v45, 0, v44, vcc
	v_and_b32_sdwa v44, v44, v47 dst_sel:DWORD dst_unused:UNUSED_PAD src0_sel:WORD_1 src1_sel:DWORD
	v_cmp_eq_u32_e32 vcc, 1, v10
	v_cndmask_b32_e64 v10, v44, 1, vcc
	v_add_u16_e32 v46, v45, v6
	v_lshlrev_b32_e32 v44, 16, v10
	v_add_u16_e32 v6, v45, v6
	v_or_b32_e32 v50, v44, v6
	v_mov_b32_e32 v6, v46
	v_mov_b32_e32 v48, v10
.LBB968_158:
	;; [unrolled: 27-line block ×4, first 2 shown]
	s_or_b64 exec, exec, s[68:69]
	v_cmp_gt_u32_e32 vcc, 32, v3
	s_waitcnt lgkmcnt(0)
	v_cndmask_b32_e64 v49, 0, 1, vcc
	v_lshlrev_b32_e32 v49, 5, v49
	v_add_lshl_u32 v49, v49, v5, 2
	ds_bpermute_b32 v5, v49, v50
	v_add_u32_e32 v50, 32, v3
	v_cmp_le_u32_e32 vcc, v50, v11
	s_and_saveexec_b64 s[68:69], vcc
	s_cbranch_execz .LBB968_164
; %bb.163:
	v_cmp_eq_u16_e32 vcc, 0, v48
	s_waitcnt lgkmcnt(0)
	v_cndmask_b32_e32 v10, 0, v5, vcc
	v_add_u16_e32 v6, v10, v6
	v_and_b32_e32 v10, 1, v48
	v_mov_b32_e32 v11, 1
	v_and_b32_sdwa v5, v5, v11 dst_sel:DWORD dst_unused:UNUSED_PAD src0_sel:WORD_1 src1_sel:DWORD
	v_cmp_eq_u32_e32 vcc, 1, v10
	v_cndmask_b32_e64 v10, v5, 1, vcc
.LBB968_164:
	s_or_b64 exec, exec, s[68:69]
	s_waitcnt lgkmcnt(0)
	v_mov_b32_e32 v5, 0
	v_mov_b32_e32 v52, 2
	;; [unrolled: 1-line block ×3, first 2 shown]
	s_branch .LBB968_166
.LBB968_165:                            ;   in Loop: Header=BB968_166 Depth=1
	s_or_b64 exec, exec, s[68:69]
	v_cmp_eq_u16_sdwa vcc, v48, v5 src0_sel:BYTE_0 src1_sel:DWORD
	v_and_b32_e32 v10, 1, v48
	v_cndmask_b32_e32 v6, 0, v6, vcc
	v_and_b32_e32 v11, 1, v11
	v_cmp_eq_u32_e32 vcc, 1, v10
	v_subrev_u32_e32 v4, 64, v4
	v_add_u16_e32 v6, v6, v51
	v_cndmask_b32_e64 v10, v11, 1, vcc
.LBB968_166:                            ; =>This Loop Header: Depth=1
                                        ;     Child Loop BB968_169 Depth 2
	v_cmp_ne_u16_sdwa s[68:69], v7, v52 src0_sel:BYTE_0 src1_sel:DWORD
	v_cndmask_b32_e64 v7, 0, 1, s[68:69]
	;;#ASMSTART
	;;#ASMEND
	v_cmp_ne_u32_e32 vcc, 0, v7
	v_mov_b32_e32 v48, v10
	s_cmp_lg_u64 vcc, exec
	v_mov_b32_e32 v51, v6
	s_cbranch_scc1 .LBB968_183
; %bb.167:                              ;   in Loop: Header=BB968_166 Depth=1
	v_lshlrev_b64 v[6:7], 3, v[4:5]
	v_mov_b32_e32 v11, s61
	v_add_co_u32_e32 v10, vcc, s60, v6
	v_addc_co_u32_e32 v11, vcc, v11, v7, vcc
	global_load_dwordx2 v[6:7], v[10:11], off glc
	s_waitcnt vmcnt(0)
	v_cmp_eq_u16_sdwa s[70:71], v7, v5 src0_sel:BYTE_0 src1_sel:DWORD
	s_and_saveexec_b64 s[68:69], s[70:71]
	s_cbranch_execz .LBB968_171
; %bb.168:                              ;   in Loop: Header=BB968_166 Depth=1
	s_mov_b64 s[70:71], 0
.LBB968_169:                            ;   Parent Loop BB968_166 Depth=1
                                        ; =>  This Inner Loop Header: Depth=2
	global_load_dwordx2 v[6:7], v[10:11], off glc
	s_waitcnt vmcnt(0)
	v_cmp_ne_u16_sdwa s[72:73], v7, v5 src0_sel:BYTE_0 src1_sel:DWORD
	s_or_b64 s[70:71], s[72:73], s[70:71]
	s_andn2_b64 exec, exec, s[70:71]
	s_cbranch_execnz .LBB968_169
; %bb.170:                              ;   in Loop: Header=BB968_166 Depth=1
	s_or_b64 exec, exec, s[70:71]
.LBB968_171:                            ;   in Loop: Header=BB968_166 Depth=1
	s_or_b64 exec, exec, s[68:69]
	v_cmp_eq_u16_sdwa s[68:69], v7, v52 src0_sel:BYTE_0 src1_sel:DWORD
	v_and_b32_e32 v10, s69, v9
	s_waitcnt lgkmcnt(0)
	v_and_b32_e32 v55, 0xffffff, v6
	v_or_b32_e32 v10, 0x80000000, v10
	ds_bpermute_b32 v56, v39, v55
	v_and_b32_e32 v11, s68, v8
	v_ffbl_b32_e32 v10, v10
	v_add_u32_e32 v10, 32, v10
	v_ffbl_b32_e32 v11, v11
	v_min_u32_e32 v10, v11, v10
	v_lshrrev_b32_e32 v11, 16, v6
	v_cmp_lt_u32_e32 vcc, v3, v10
	v_bfe_u32 v54, v6, 16, 8
	s_and_saveexec_b64 s[68:69], vcc
	s_cbranch_execz .LBB968_173
; %bb.172:                              ;   in Loop: Header=BB968_166 Depth=1
	v_and_b32_e32 v11, 0xff0000, v6
	v_cmp_eq_u32_e32 vcc, 0, v11
	v_and_b32_e32 v11, 0x10000, v11
	s_waitcnt lgkmcnt(0)
	v_cndmask_b32_e32 v54, 0, v56, vcc
	v_and_b32_sdwa v55, v56, v53 dst_sel:DWORD dst_unused:UNUSED_PAD src0_sel:WORD_1 src1_sel:DWORD
	v_cmp_ne_u32_e32 vcc, 0, v11
	v_cndmask_b32_e64 v11, v55, 1, vcc
	v_add_u16_e32 v57, v54, v6
	v_lshlrev_b32_e32 v55, 16, v11
	v_add_u16_e32 v6, v54, v6
	v_or_b32_e32 v55, v55, v6
	v_mov_b32_e32 v6, v57
	v_mov_b32_e32 v54, v11
.LBB968_173:                            ;   in Loop: Header=BB968_166 Depth=1
	s_or_b64 exec, exec, s[68:69]
	s_waitcnt lgkmcnt(0)
	ds_bpermute_b32 v56, v40, v55
	v_cmp_le_u32_e32 vcc, v41, v10
	s_and_saveexec_b64 s[68:69], vcc
	s_cbranch_execz .LBB968_175
; %bb.174:                              ;   in Loop: Header=BB968_166 Depth=1
	v_cmp_eq_u16_e32 vcc, 0, v54
	v_and_b32_e32 v11, 1, v54
	s_waitcnt lgkmcnt(0)
	v_cndmask_b32_e32 v55, 0, v56, vcc
	v_and_b32_sdwa v54, v56, v53 dst_sel:DWORD dst_unused:UNUSED_PAD src0_sel:WORD_1 src1_sel:DWORD
	v_cmp_eq_u32_e32 vcc, 1, v11
	v_cndmask_b32_e64 v11, v54, 1, vcc
	v_add_u16_e32 v57, v55, v6
	v_lshlrev_b32_e32 v54, 16, v11
	v_add_u16_e32 v6, v55, v6
	v_or_b32_e32 v55, v54, v6
	v_mov_b32_e32 v6, v57
	v_mov_b32_e32 v54, v11
.LBB968_175:                            ;   in Loop: Header=BB968_166 Depth=1
	s_or_b64 exec, exec, s[68:69]
	s_waitcnt lgkmcnt(0)
	ds_bpermute_b32 v56, v42, v55
	v_cmp_le_u32_e32 vcc, v43, v10
	s_and_saveexec_b64 s[68:69], vcc
	s_cbranch_execz .LBB968_177
; %bb.176:                              ;   in Loop: Header=BB968_166 Depth=1
	v_cmp_eq_u16_e32 vcc, 0, v54
	v_and_b32_e32 v11, 1, v54
	s_waitcnt lgkmcnt(0)
	v_cndmask_b32_e32 v55, 0, v56, vcc
	v_and_b32_sdwa v54, v56, v53 dst_sel:DWORD dst_unused:UNUSED_PAD src0_sel:WORD_1 src1_sel:DWORD
	v_cmp_eq_u32_e32 vcc, 1, v11
	v_cndmask_b32_e64 v11, v54, 1, vcc
	v_add_u16_e32 v57, v55, v6
	v_lshlrev_b32_e32 v54, 16, v11
	v_add_u16_e32 v6, v55, v6
	v_or_b32_e32 v55, v54, v6
	v_mov_b32_e32 v6, v57
	v_mov_b32_e32 v54, v11
.LBB968_177:                            ;   in Loop: Header=BB968_166 Depth=1
	;; [unrolled: 21-line block ×4, first 2 shown]
	s_or_b64 exec, exec, s[68:69]
	ds_bpermute_b32 v55, v49, v55
	v_cmp_le_u32_e32 vcc, v50, v10
	s_and_saveexec_b64 s[68:69], vcc
	s_cbranch_execz .LBB968_165
; %bb.182:                              ;   in Loop: Header=BB968_166 Depth=1
	v_cmp_eq_u16_e32 vcc, 0, v54
	s_waitcnt lgkmcnt(0)
	v_cndmask_b32_e32 v10, 0, v55, vcc
	v_add_u16_e32 v6, v10, v6
	v_and_b32_e32 v10, 1, v54
	v_lshrrev_b32_e32 v11, 16, v55
	v_cmp_eq_u32_e32 vcc, 1, v10
	v_cndmask_b32_e64 v11, v11, 1, vcc
	s_branch .LBB968_165
.LBB968_183:                            ;   in Loop: Header=BB968_166 Depth=1
                                        ; implicit-def: $vgpr10
                                        ; implicit-def: $vgpr6
	s_cbranch_execz .LBB968_166
; %bb.184:
	s_and_saveexec_b64 s[68:69], s[50:51]
	s_cbranch_execz .LBB968_186
; %bb.185:
	v_and_b32_e32 v3, 0xff0000, v2
	s_mov_b32 s7, 0
	v_cmp_eq_u32_e32 vcc, 0, v3
	v_and_b32_e32 v4, 0x10000, v2
	v_mov_b32_e32 v5, 1
	s_add_i32 s6, s6, 64
	v_cndmask_b32_e32 v3, 0, v51, vcc
	v_and_b32_sdwa v5, v48, v5 dst_sel:WORD_1 dst_unused:UNUSED_PAD src0_sel:DWORD src1_sel:DWORD
	v_mov_b32_e32 v6, 0x10000
	v_cmp_eq_u32_e32 vcc, 0, v4
	s_lshl_b64 s[6:7], s[6:7], 3
	v_cndmask_b32_e32 v4, v6, v5, vcc
	s_add_u32 s6, s60, s6
	v_add_u16_e32 v2, v3, v2
	s_addc_u32 s7, s61, s7
	v_mov_b32_e32 v5, 0
	v_or_b32_e32 v2, v4, v2
	v_mov_b32_e32 v3, 2
	global_store_dwordx2 v5, v[2:3], s[6:7]
.LBB968_186:
	s_or_b64 exec, exec, s[68:69]
	s_and_b64 exec, exec, s[48:49]
	s_cbranch_execz .LBB968_188
; %bb.187:
	v_mov_b32_e32 v2, 0
	ds_write_b16 v2, v51
	ds_write_b8 v2, v48 offset:2
.LBB968_188:
	s_or_b64 exec, exec, s[58:59]
	v_mov_b32_e32 v2, 0
	s_mov_b32 s6, 0x10000
	s_waitcnt lgkmcnt(0)
	s_barrier
	ds_read_b32 v3, v2
	v_cmp_gt_u32_e32 vcc, s6, v1
	v_and_b32_e32 v5, 0x10000, v1
	v_cndmask_b32_e32 v4, 0, v37, vcc
	v_and_b32_e32 v6, 1, v38
	v_cmp_ne_u32_e32 vcc, 0, v5
	v_cndmask_b32_e64 v5, v6, 1, vcc
	v_cndmask_b32_e64 v5, v5, v36, s[48:49]
	v_cndmask_b32_e64 v4, v4, 0, s[48:49]
	v_cmp_eq_u16_sdwa vcc, v5, v2 src0_sel:BYTE_0 src1_sel:DWORD
	v_add_u16_e32 v4, v4, v1
	s_waitcnt lgkmcnt(0)
	v_cndmask_b32_e32 v2, 0, v3, vcc
	v_add_u16_e32 v49, v4, v2
	v_cndmask_b32_e64 v2, 0, v49, s[2:3]
	v_add_u16_e32 v4, v2, v16
	v_cndmask_b32_e64 v2, 0, v4, s[52:53]
	;; [unrolled: 2-line block ×21, first 2 shown]
	v_add_u16_e32 v48, v2, v13
	s_load_dwordx2 s[50:51], s[4:5], 0x20
	s_branch .LBB968_211
.LBB968_189:
                                        ; implicit-def: $vgpr49
                                        ; implicit-def: $vgpr4
                                        ; implicit-def: $vgpr5
                                        ; implicit-def: $vgpr6
                                        ; implicit-def: $vgpr7
                                        ; implicit-def: $vgpr8
                                        ; implicit-def: $vgpr9
                                        ; implicit-def: $vgpr10
                                        ; implicit-def: $vgpr11
                                        ; implicit-def: $vgpr36
                                        ; implicit-def: $vgpr37
                                        ; implicit-def: $vgpr38
                                        ; implicit-def: $vgpr39
                                        ; implicit-def: $vgpr40
                                        ; implicit-def: $vgpr41
                                        ; implicit-def: $vgpr42
                                        ; implicit-def: $vgpr43
                                        ; implicit-def: $vgpr44
                                        ; implicit-def: $vgpr45
                                        ; implicit-def: $vgpr46
                                        ; implicit-def: $vgpr47
                                        ; implicit-def: $vgpr48
	s_load_dwordx2 s[50:51], s[4:5], 0x20
	s_cbranch_execz .LBB968_211
; %bb.190:
	s_cmp_lg_u64 s[66:67], 0
	s_cselect_b32 s5, s55, 0
	s_cselect_b32 s4, s54, 0
	s_cmp_lg_u64 s[4:5], 0
	s_cselect_b64 s[6:7], -1, 0
	v_cmp_eq_u32_e32 vcc, 0, v0
	v_cmp_ne_u32_e64 s[2:3], 0, v0
	s_and_b64 s[8:9], vcc, s[6:7]
	s_and_saveexec_b64 s[6:7], s[8:9]
	s_cbranch_execz .LBB968_192
; %bb.191:
	v_mov_b32_e32 v2, 0
	global_load_ushort v3, v2, s[4:5]
	global_load_ubyte v4, v2, s[4:5] offset:2
	s_mov_b32 s4, 0x10000
	v_and_b32_e32 v2, 0x10000, v1
	s_waitcnt vmcnt(0)
	v_mov_b32_e32 v5, 1
	v_cmp_gt_u32_e64 s[4:5], s4, v1
	v_mov_b32_e32 v6, 0x10000
	v_cndmask_b32_e64 v3, 0, v3, s[4:5]
	v_and_b32_sdwa v4, v4, v5 dst_sel:WORD_1 dst_unused:UNUSED_PAD src0_sel:DWORD src1_sel:DWORD
	v_cmp_eq_u32_e64 s[4:5], 0, v2
	v_add_u16_e32 v1, v3, v1
	v_cndmask_b32_e64 v2, v6, v4, s[4:5]
	v_or_b32_e32 v1, v2, v1
.LBB968_192:
	s_or_b64 exec, exec, s[6:7]
	s_mov_b32 s46, 0x10000
	v_cmp_gt_u32_e64 s[4:5], s46, v16
	v_cndmask_b32_e64 v3, 0, v1, s[4:5]
	v_add_u16_e32 v4, v3, v16
	v_cmp_gt_u32_e64 s[6:7], s46, v17
	v_cndmask_b32_e64 v3, 0, v4, s[6:7]
	s_waitcnt vmcnt(0)
	v_add_u16_e32 v5, v3, v17
	v_cmp_gt_u32_e64 s[8:9], s46, v18
	v_cndmask_b32_e64 v3, 0, v5, s[8:9]
	v_add_u16_e32 v6, v3, v18
	v_cmp_gt_u32_e64 s[10:11], s46, v19
	v_cndmask_b32_e64 v3, 0, v6, s[10:11]
	;; [unrolled: 3-line block ×19, first 2 shown]
	v_add_u16_e32 v48, v3, v13
	v_or3_b32 v3, v15, v31, v30
	v_or3_b32 v3, v3, v29, v28
	;; [unrolled: 1-line block ×8, first 2 shown]
	v_and_b32_e32 v3, 0x10000, v3
	v_lshrrev_b32_e32 v2, 16, v1
	v_cmp_ne_u32_e64 s[48:49], 0, v3
	v_mov_b32_e32 v49, 0x10000
	v_cndmask_b32_e64 v3, v2, 1, s[48:49]
	v_add_lshl_u32 v2, v14, v0, 2
	v_cmp_gt_u32_e64 s[48:49], 64, v0
	ds_write_b16 v2, v48
	ds_write_b8 v2, v3 offset:2
	s_waitcnt lgkmcnt(0)
	s_barrier
	s_and_saveexec_b64 s[52:53], s[48:49]
	s_cbranch_execz .LBB968_206
; %bb.193:
	v_lshlrev_b32_e32 v2, 2, v0
	v_lshrrev_b32_e32 v14, 3, v0
	v_add_lshl_u32 v2, v14, v2, 2
	ds_read_b32 v14, v2
	ds_read_u16 v15, v2 offset:4
	ds_read_u8 v50, v2 offset:6
	ds_read_u16 v51, v2 offset:8
	ds_read_u8 v52, v2 offset:10
	;; [unrolled: 2-line block ×3, first 2 shown]
	v_mov_b32_e32 v55, 0
	s_waitcnt lgkmcnt(4)
	v_cmp_eq_u16_sdwa s[48:49], v50, v55 src0_sel:BYTE_0 src1_sel:DWORD
	v_cndmask_b32_e64 v56, 0, v14, s[48:49]
	v_add_u16_e32 v56, v56, v15
	s_waitcnt lgkmcnt(2)
	v_cmp_eq_u16_sdwa s[48:49], v52, v55 src0_sel:BYTE_0 src1_sel:DWORD
	s_waitcnt lgkmcnt(0)
	v_or_b32_e32 v52, v54, v52
	v_cndmask_b32_e64 v55, 0, v56, s[48:49]
	v_or_b32_e32 v50, v52, v50
	v_add_u16_e32 v51, v55, v51
	v_cmp_eq_u16_e64 s[48:49], 0, v54
	v_and_b32_e32 v50, 1, v50
	v_and_b32_e32 v15, 0x10000, v14
	v_cndmask_b32_e64 v55, 0, v51, s[48:49]
	v_cmp_eq_u32_e64 s[48:49], 1, v50
	v_mbcnt_lo_u32_b32 v50, -1, 0
	v_add_u16_e32 v51, v55, v53
	v_cndmask_b32_e64 v56, v15, v49, s[48:49]
	v_add_u16_e32 v53, v55, v53
	v_and_b32_e32 v49, 0xff000000, v14
	v_mbcnt_hi_u32_b32 v50, -1, v50
	v_or_b32_e32 v54, v56, v49
	v_and_b32_e32 v55, 15, v50
	v_or3_b32 v53, v49, v53, v56
	s_movk_i32 s58, 0xff
	v_lshrrev_b32_e32 v52, 16, v54
	v_mov_b32_dpp v56, v53 row_shr:1 row_mask:0xf bank_mask:0xf
	v_cmp_ne_u32_e64 s[48:49], 0, v55
	s_and_saveexec_b64 s[54:55], s[48:49]
	s_cbranch_execz .LBB968_195
; %bb.194:
	v_and_b32_sdwa v52, v54, s58 dst_sel:DWORD dst_unused:UNUSED_PAD src0_sel:WORD_1 src1_sel:DWORD
	v_cmp_eq_u16_e64 s[48:49], 0, v52
	v_and_b32_e32 v52, 0x10000, v54
	v_mov_b32_e32 v54, 1
	v_cndmask_b32_e64 v53, 0, v56, s[48:49]
	v_and_b32_sdwa v54, v56, v54 dst_sel:DWORD dst_unused:UNUSED_PAD src0_sel:WORD_1 src1_sel:DWORD
	v_cmp_ne_u32_e64 s[48:49], 0, v52
	v_cndmask_b32_e64 v52, v54, 1, s[48:49]
	v_add_u16_e32 v57, v53, v51
	v_lshlrev_b32_e32 v54, 16, v52
	v_add_u16_e32 v51, v53, v51
	v_or3_b32 v53, v54, v51, v49
	v_mov_b32_e32 v51, v57
.LBB968_195:
	s_or_b64 exec, exec, s[54:55]
	v_lshrrev_b32_e32 v54, 16, v53
	v_mov_b32_dpp v56, v53 row_shr:2 row_mask:0xf bank_mask:0xf
	v_cmp_lt_u32_e64 s[48:49], 1, v55
	s_and_saveexec_b64 s[54:55], s[48:49]
	s_cbranch_execz .LBB968_197
; %bb.196:
	v_mov_b32_e32 v52, 0
	v_cmp_eq_u16_sdwa s[48:49], v54, v52 src0_sel:BYTE_0 src1_sel:DWORD
	v_and_b32_e32 v52, 0x10000, v53
	v_mov_b32_e32 v53, 1
	v_cndmask_b32_e64 v54, 0, v56, s[48:49]
	v_and_b32_sdwa v53, v56, v53 dst_sel:DWORD dst_unused:UNUSED_PAD src0_sel:WORD_1 src1_sel:DWORD
	v_cmp_ne_u32_e64 s[48:49], 0, v52
	v_cndmask_b32_e64 v52, v53, 1, s[48:49]
	v_add_u16_e32 v57, v54, v51
	v_lshlrev_b32_e32 v53, 16, v52
	v_add_u16_e32 v51, v54, v51
	v_or3_b32 v53, v53, v51, v49
	v_mov_b32_e32 v54, v52
	v_mov_b32_e32 v51, v57
.LBB968_197:
	s_or_b64 exec, exec, s[54:55]
	v_mov_b32_dpp v56, v53 row_shr:4 row_mask:0xf bank_mask:0xf
	v_cmp_lt_u32_e64 s[48:49], 3, v55
	s_and_saveexec_b64 s[54:55], s[48:49]
	s_cbranch_execz .LBB968_199
; %bb.198:
	v_mov_b32_e32 v52, 0
	v_cmp_eq_u16_sdwa s[48:49], v54, v52 src0_sel:BYTE_0 src1_sel:DWORD
	v_and_b32_e32 v52, 1, v54
	v_mov_b32_e32 v54, 1
	v_cndmask_b32_e64 v53, 0, v56, s[48:49]
	v_and_b32_sdwa v54, v56, v54 dst_sel:DWORD dst_unused:UNUSED_PAD src0_sel:WORD_1 src1_sel:DWORD
	v_cmp_eq_u32_e64 s[48:49], 1, v52
	v_cndmask_b32_e64 v52, v54, 1, s[48:49]
	v_add_u16_e32 v57, v53, v51
	v_lshlrev_b32_e32 v54, 16, v52
	v_add_u16_e32 v51, v53, v51
	v_or3_b32 v53, v54, v51, v49
	v_mov_b32_e32 v54, v52
	v_mov_b32_e32 v51, v57
.LBB968_199:
	s_or_b64 exec, exec, s[54:55]
	v_mov_b32_dpp v56, v53 row_shr:8 row_mask:0xf bank_mask:0xf
	v_cmp_lt_u32_e64 s[48:49], 7, v55
	s_and_saveexec_b64 s[54:55], s[48:49]
	s_cbranch_execz .LBB968_201
; %bb.200:
	v_mov_b32_e32 v52, 0
	v_cmp_eq_u16_sdwa s[48:49], v54, v52 src0_sel:BYTE_0 src1_sel:DWORD
	v_and_b32_e32 v52, 1, v54
	v_mov_b32_e32 v54, 1
	v_cndmask_b32_e64 v53, 0, v56, s[48:49]
	v_and_b32_sdwa v54, v56, v54 dst_sel:DWORD dst_unused:UNUSED_PAD src0_sel:WORD_1 src1_sel:DWORD
	v_cmp_eq_u32_e64 s[48:49], 1, v52
	v_cndmask_b32_e64 v52, v54, 1, s[48:49]
	v_add_u16_e32 v55, v53, v51
	v_lshlrev_b32_e32 v54, 16, v52
	v_add_u16_e32 v51, v53, v51
	v_or3_b32 v53, v54, v51, v49
	v_mov_b32_e32 v54, v52
	v_mov_b32_e32 v51, v55
.LBB968_201:
	s_or_b64 exec, exec, s[54:55]
	v_and_b32_e32 v56, 16, v50
	v_mov_b32_dpp v55, v53 row_bcast:15 row_mask:0xf bank_mask:0xf
	v_cmp_ne_u32_e64 s[48:49], 0, v56
	s_and_saveexec_b64 s[54:55], s[48:49]
	s_cbranch_execz .LBB968_203
; %bb.202:
	v_mov_b32_e32 v52, 0
	v_cmp_eq_u16_sdwa s[48:49], v54, v52 src0_sel:BYTE_0 src1_sel:DWORD
	v_and_b32_e32 v52, 1, v54
	v_mov_b32_e32 v54, 1
	v_cndmask_b32_e64 v53, 0, v55, s[48:49]
	v_and_b32_sdwa v54, v55, v54 dst_sel:DWORD dst_unused:UNUSED_PAD src0_sel:WORD_1 src1_sel:DWORD
	v_cmp_eq_u32_e64 s[48:49], 1, v52
	v_cndmask_b32_e64 v52, v54, 1, s[48:49]
	v_add_u16_e32 v56, v53, v51
	v_lshlrev_b32_e32 v54, 16, v52
	v_add_u16_e32 v51, v53, v51
	v_or3_b32 v53, v54, v51, v49
	v_mov_b32_e32 v54, v52
	v_mov_b32_e32 v51, v56
.LBB968_203:
	s_or_b64 exec, exec, s[54:55]
	v_mov_b32_dpp v53, v53 row_bcast:31 row_mask:0xf bank_mask:0xf
	v_cmp_lt_u32_e64 s[48:49], 31, v50
	s_and_saveexec_b64 s[54:55], s[48:49]
; %bb.204:
	v_mov_b32_e32 v52, 0
	v_cmp_eq_u16_sdwa s[48:49], v54, v52 src0_sel:BYTE_0 src1_sel:DWORD
	v_cndmask_b32_e64 v52, 0, v53, s[48:49]
	v_add_u16_e32 v51, v52, v51
	v_and_b32_e32 v52, 1, v54
	v_mov_b32_e32 v54, 1
	v_and_b32_sdwa v53, v53, v54 dst_sel:DWORD dst_unused:UNUSED_PAD src0_sel:WORD_1 src1_sel:DWORD
	v_cmp_eq_u32_e64 s[48:49], 1, v52
	v_cndmask_b32_e64 v52, v53, 1, s[48:49]
; %bb.205:
	s_or_b64 exec, exec, s[54:55]
	v_and_b32_e32 v52, 0xff, v52
	v_lshlrev_b32_e32 v52, 16, v52
	v_and_b32_e32 v51, 0xffff, v51
	v_or3_b32 v49, v52, v51, v49
	v_add_u32_e32 v51, -1, v50
	v_and_b32_e32 v52, 64, v50
	v_cmp_lt_i32_e64 s[48:49], v51, v52
	v_cndmask_b32_e64 v50, v51, v50, s[48:49]
	v_lshlrev_b32_e32 v50, 2, v50
	ds_bpermute_b32 v49, v50, v49
	v_and_b32_e32 v50, 0xff0000, v14
	v_cmp_eq_u32_e64 s[48:49], 0, v50
	; wave barrier
	s_waitcnt lgkmcnt(0)
	v_cndmask_b32_e64 v50, 0, v49, s[48:49]
	v_add_u16_e32 v14, v50, v14
	v_mov_b32_e32 v50, 1
	v_and_b32_sdwa v49, v49, v50 dst_sel:DWORD dst_unused:UNUSED_PAD src0_sel:WORD_1 src1_sel:DWORD
	v_cmp_eq_u32_e64 s[48:49], 0, v15
	v_cndmask_b32_e64 v15, 1, v49, s[48:49]
	v_cndmask_b32_e32 v14, v14, v48, vcc
	v_cndmask_b32_e32 v3, v15, v3, vcc
	ds_write_b16 v2, v14
	ds_write_b8 v2, v3 offset:2
	; wave barrier
	ds_read_u16 v15, v2 offset:4
	ds_read_u8 v49, v2 offset:6
	ds_read_u16 v50, v2 offset:8
	ds_read_u8 v51, v2 offset:10
	;; [unrolled: 2-line block ×3, first 2 shown]
	s_waitcnt lgkmcnt(4)
	v_cmp_eq_u16_e64 s[48:49], 0, v49
	v_cndmask_b32_e64 v14, 0, v14, s[48:49]
	v_add_u16_e32 v14, v14, v15
	v_and_b32_e32 v15, 1, v49
	v_cmp_eq_u32_e64 s[48:49], 1, v15
	v_cndmask_b32_e64 v3, v3, 1, s[48:49]
	s_waitcnt lgkmcnt(2)
	v_cmp_eq_u16_e64 s[48:49], 0, v51
	v_and_b32_e32 v15, 1, v51
	ds_write_b16 v2, v14 offset:4
	ds_write_b8 v2, v3 offset:6
	v_cndmask_b32_e64 v14, 0, v14, s[48:49]
	v_cmp_eq_u32_e64 s[48:49], 1, v15
	v_add_u16_e32 v14, v14, v50
	v_cndmask_b32_e64 v3, v3, 1, s[48:49]
	s_waitcnt lgkmcnt(2)
	v_cmp_eq_u16_e64 s[48:49], 0, v53
	ds_write_b16 v2, v14 offset:8
	ds_write_b8 v2, v3 offset:10
	v_cndmask_b32_e64 v14, 0, v14, s[48:49]
	v_and_b32_e32 v15, 1, v53
	v_add_u16_e32 v14, v14, v52
	v_cmp_eq_u32_e64 s[48:49], 1, v15
	v_cndmask_b32_e64 v3, v3, 1, s[48:49]
	ds_write_b16 v2, v14 offset:12
	ds_write_b8 v2, v3 offset:14
.LBB968_206:
	s_or_b64 exec, exec, s[52:53]
	v_mov_b32_e32 v2, v48
	s_waitcnt lgkmcnt(0)
	s_barrier
	s_and_saveexec_b64 s[48:49], s[2:3]
	s_cbranch_execnz .LBB968_281
; %bb.207:
	s_or_b64 exec, exec, s[48:49]
	s_and_saveexec_b64 s[48:49], s[2:3]
	s_cbranch_execnz .LBB968_282
.LBB968_208:
	s_or_b64 exec, exec, s[48:49]
	s_and_saveexec_b64 s[2:3], vcc
	s_cbranch_execz .LBB968_210
.LBB968_209:
	v_mov_b32_e32 v13, 0
	s_waitcnt lgkmcnt(0)
	ds_read_u8 v2, v13 offset:1050
	ds_read_u16 v3, v13 offset:1048
	s_waitcnt lgkmcnt(1)
	v_lshlrev_b32_e32 v2, 16, v2
	s_waitcnt lgkmcnt(0)
	v_or_b32_e32 v2, v2, v3
	v_mov_b32_e32 v3, 2
	global_store_dwordx2 v13, v[2:3], s[60:61] offset:512
.LBB968_210:
	s_or_b64 exec, exec, s[2:3]
	v_mov_b32_e32 v49, v1
.LBB968_211:
	s_waitcnt lgkmcnt(0)
	s_add_u32 s2, s50, s64
	s_addc_u32 s3, s51, s65
	s_add_u32 s4, s2, s56
	s_addc_u32 s5, s3, s57
	s_and_b64 vcc, exec, s[0:1]
	v_mul_u32_u24_e32 v14, 22, v0
	s_cbranch_vccz .LBB968_255
; %bb.212:
	s_mov_b32 s0, 0x5040100
	v_lshlrev_b32_e32 v33, 1, v14
	s_waitcnt vmcnt(0)
	v_perm_b32 v1, v6, v5, s0
	v_perm_b32 v2, v4, v49, s0
	s_barrier
	ds_write2_b32 v33, v2, v1 offset1:1
	v_perm_b32 v1, v10, v9, s0
	v_perm_b32 v2, v8, v7, s0
	ds_write2_b32 v33, v2, v1 offset0:2 offset1:3
	v_perm_b32 v1, v38, v37, s0
	v_perm_b32 v2, v36, v11, s0
	ds_write2_b32 v33, v2, v1 offset0:4 offset1:5
	;; [unrolled: 3-line block ×4, first 2 shown]
	v_perm_b32 v1, v48, v47, s0
	s_movk_i32 s0, 0xffd6
	v_mad_i32_i24 v2, v0, s0, v33
	ds_write_b32 v33, v1 offset:40
	s_waitcnt lgkmcnt(0)
	s_barrier
	ds_read_u16 v35, v2 offset:512
	ds_read_u16 v34, v2 offset:1024
	;; [unrolled: 1-line block ×21, first 2 shown]
	v_mov_b32_e32 v3, s5
	v_add_co_u32_e32 v2, vcc, s4, v12
	s_add_i32 s33, s33, s62
	v_addc_co_u32_e32 v3, vcc, 0, v3, vcc
	v_mov_b32_e32 v1, 0
	v_cmp_gt_u32_e32 vcc, s33, v0
	s_and_saveexec_b64 s[0:1], vcc
	s_cbranch_execz .LBB968_214
; %bb.213:
	v_mul_i32_i24_e32 v50, 0xffffffd6, v0
	v_add_u32_e32 v33, v33, v50
	ds_read_u16 v33, v33
	s_waitcnt lgkmcnt(0)
	flat_store_short v[2:3], v33
.LBB968_214:
	s_or_b64 exec, exec, s[0:1]
	v_or_b32_e32 v33, 0x100, v0
	v_cmp_gt_u32_e32 vcc, s33, v33
	s_and_saveexec_b64 s[0:1], vcc
	s_cbranch_execz .LBB968_216
; %bb.215:
	s_waitcnt lgkmcnt(0)
	flat_store_short v[2:3], v35 offset:512
.LBB968_216:
	s_or_b64 exec, exec, s[0:1]
	v_or_b32_e32 v33, 0x200, v0
	v_cmp_gt_u32_e32 vcc, s33, v33
	s_and_saveexec_b64 s[0:1], vcc
	s_cbranch_execz .LBB968_218
; %bb.217:
	s_waitcnt lgkmcnt(0)
	flat_store_short v[2:3], v34 offset:1024
.LBB968_218:
	s_or_b64 exec, exec, s[0:1]
	v_or_b32_e32 v33, 0x300, v0
	v_cmp_gt_u32_e32 vcc, s33, v33
	s_and_saveexec_b64 s[0:1], vcc
	s_cbranch_execz .LBB968_220
; %bb.219:
	s_waitcnt lgkmcnt(0)
	flat_store_short v[2:3], v32 offset:1536
.LBB968_220:
	s_or_b64 exec, exec, s[0:1]
	s_waitcnt lgkmcnt(0)
	v_or_b32_e32 v32, 0x400, v0
	v_cmp_gt_u32_e32 vcc, s33, v32
	s_and_saveexec_b64 s[0:1], vcc
	s_cbranch_execz .LBB968_222
; %bb.221:
	flat_store_short v[2:3], v31 offset:2048
.LBB968_222:
	s_or_b64 exec, exec, s[0:1]
	v_or_b32_e32 v31, 0x500, v0
	v_cmp_gt_u32_e32 vcc, s33, v31
	s_and_saveexec_b64 s[0:1], vcc
	s_cbranch_execz .LBB968_224
; %bb.223:
	flat_store_short v[2:3], v30 offset:2560
.LBB968_224:
	s_or_b64 exec, exec, s[0:1]
	;; [unrolled: 8-line block ×4, first 2 shown]
	v_or_b32_e32 v28, 0x800, v0
	v_cmp_gt_u32_e32 vcc, s33, v28
	s_and_saveexec_b64 s[0:1], vcc
	s_cbranch_execz .LBB968_230
; %bb.229:
	v_add_co_u32_e32 v28, vcc, 0x1000, v2
	v_addc_co_u32_e32 v29, vcc, 0, v3, vcc
	flat_store_short v[28:29], v27
.LBB968_230:
	s_or_b64 exec, exec, s[0:1]
	v_or_b32_e32 v27, 0x900, v0
	v_cmp_gt_u32_e32 vcc, s33, v27
	s_and_saveexec_b64 s[0:1], vcc
	s_cbranch_execz .LBB968_232
; %bb.231:
	v_add_co_u32_e32 v28, vcc, 0x1000, v2
	v_addc_co_u32_e32 v29, vcc, 0, v3, vcc
	flat_store_short v[28:29], v26 offset:512
.LBB968_232:
	s_or_b64 exec, exec, s[0:1]
	v_or_b32_e32 v26, 0xa00, v0
	v_cmp_gt_u32_e32 vcc, s33, v26
	s_and_saveexec_b64 s[0:1], vcc
	s_cbranch_execz .LBB968_234
; %bb.233:
	v_add_co_u32_e32 v26, vcc, 0x1000, v2
	v_addc_co_u32_e32 v27, vcc, 0, v3, vcc
	flat_store_short v[26:27], v25 offset:1024
.LBB968_234:
	s_or_b64 exec, exec, s[0:1]
	v_or_b32_e32 v25, 0xb00, v0
	v_cmp_gt_u32_e32 vcc, s33, v25
	s_and_saveexec_b64 s[0:1], vcc
	s_cbranch_execz .LBB968_236
; %bb.235:
	v_add_co_u32_e32 v26, vcc, 0x1000, v2
	v_addc_co_u32_e32 v27, vcc, 0, v3, vcc
	flat_store_short v[26:27], v24 offset:1536
.LBB968_236:
	s_or_b64 exec, exec, s[0:1]
	v_or_b32_e32 v24, 0xc00, v0
	v_cmp_gt_u32_e32 vcc, s33, v24
	s_and_saveexec_b64 s[0:1], vcc
	s_cbranch_execz .LBB968_238
; %bb.237:
	v_add_co_u32_e32 v24, vcc, 0x1000, v2
	v_addc_co_u32_e32 v25, vcc, 0, v3, vcc
	flat_store_short v[24:25], v23 offset:2048
.LBB968_238:
	s_or_b64 exec, exec, s[0:1]
	v_or_b32_e32 v23, 0xd00, v0
	v_cmp_gt_u32_e32 vcc, s33, v23
	s_and_saveexec_b64 s[0:1], vcc
	s_cbranch_execz .LBB968_240
; %bb.239:
	v_add_co_u32_e32 v24, vcc, 0x1000, v2
	v_addc_co_u32_e32 v25, vcc, 0, v3, vcc
	flat_store_short v[24:25], v22 offset:2560
.LBB968_240:
	s_or_b64 exec, exec, s[0:1]
	v_or_b32_e32 v22, 0xe00, v0
	v_cmp_gt_u32_e32 vcc, s33, v22
	s_and_saveexec_b64 s[0:1], vcc
	s_cbranch_execz .LBB968_242
; %bb.241:
	v_add_co_u32_e32 v22, vcc, 0x1000, v2
	v_addc_co_u32_e32 v23, vcc, 0, v3, vcc
	flat_store_short v[22:23], v21 offset:3072
.LBB968_242:
	s_or_b64 exec, exec, s[0:1]
	v_or_b32_e32 v21, 0xf00, v0
	v_cmp_gt_u32_e32 vcc, s33, v21
	s_and_saveexec_b64 s[0:1], vcc
	s_cbranch_execz .LBB968_244
; %bb.243:
	v_add_co_u32_e32 v22, vcc, 0x1000, v2
	v_addc_co_u32_e32 v23, vcc, 0, v3, vcc
	flat_store_short v[22:23], v20 offset:3584
.LBB968_244:
	s_or_b64 exec, exec, s[0:1]
	v_or_b32_e32 v20, 0x1000, v0
	v_cmp_gt_u32_e32 vcc, s33, v20
	s_and_saveexec_b64 s[0:1], vcc
	s_cbranch_execz .LBB968_246
; %bb.245:
	v_add_co_u32_e32 v20, vcc, 0x2000, v2
	v_addc_co_u32_e32 v21, vcc, 0, v3, vcc
	flat_store_short v[20:21], v19
.LBB968_246:
	s_or_b64 exec, exec, s[0:1]
	v_or_b32_e32 v19, 0x1100, v0
	v_cmp_gt_u32_e32 vcc, s33, v19
	s_and_saveexec_b64 s[0:1], vcc
	s_cbranch_execz .LBB968_248
; %bb.247:
	v_add_co_u32_e32 v20, vcc, 0x2000, v2
	v_addc_co_u32_e32 v21, vcc, 0, v3, vcc
	flat_store_short v[20:21], v18 offset:512
.LBB968_248:
	s_or_b64 exec, exec, s[0:1]
	v_or_b32_e32 v18, 0x1200, v0
	v_cmp_gt_u32_e32 vcc, s33, v18
	s_and_saveexec_b64 s[0:1], vcc
	s_cbranch_execz .LBB968_250
; %bb.249:
	v_add_co_u32_e32 v18, vcc, 0x2000, v2
	v_addc_co_u32_e32 v19, vcc, 0, v3, vcc
	flat_store_short v[18:19], v17 offset:1024
.LBB968_250:
	;; [unrolled: 10-line block ×4, first 2 shown]
	s_or_b64 exec, exec, s[0:1]
	v_or_b32_e32 v2, 0x1500, v0
	v_cmp_gt_u32_e64 s[0:1], s33, v2
	s_branch .LBB968_257
.LBB968_255:
	s_mov_b64 s[0:1], 0
                                        ; implicit-def: $vgpr13
	s_cbranch_execz .LBB968_257
; %bb.256:
	s_mov_b32 s2, 0x5040100
	v_lshlrev_b32_e32 v2, 1, v14
	s_waitcnt vmcnt(0)
	v_perm_b32 v1, v6, v5, s2
	v_perm_b32 v3, v4, v49, s2
	s_waitcnt lgkmcnt(0)
	s_barrier
	ds_write2_b32 v2, v3, v1 offset1:1
	v_perm_b32 v1, v10, v9, s2
	v_perm_b32 v3, v8, v7, s2
	ds_write2_b32 v2, v3, v1 offset0:2 offset1:3
	v_perm_b32 v1, v38, v37, s2
	v_perm_b32 v3, v36, v11, s2
	ds_write2_b32 v2, v3, v1 offset0:4 offset1:5
	;; [unrolled: 3-line block ×4, first 2 shown]
	v_perm_b32 v1, v48, v47, s2
	s_movk_i32 s2, 0xffd6
	ds_write_b32 v2, v1 offset:40
	v_mad_i32_i24 v2, v0, s2, v2
	s_waitcnt lgkmcnt(0)
	s_barrier
	ds_read_u16 v4, v2
	ds_read_u16 v5, v2 offset:512
	ds_read_u16 v6, v2 offset:1024
	;; [unrolled: 1-line block ×21, first 2 shown]
	v_mov_b32_e32 v3, s5
	v_add_co_u32_e32 v2, vcc, s4, v12
	v_addc_co_u32_e32 v3, vcc, 0, v3, vcc
	s_movk_i32 s2, 0x1000
	s_waitcnt lgkmcnt(14)
	flat_store_short v[2:3], v4
	flat_store_short v[2:3], v5 offset:512
	flat_store_short v[2:3], v6 offset:1024
	;; [unrolled: 1-line block ×7, first 2 shown]
	v_add_co_u32_e32 v4, vcc, s2, v2
	v_addc_co_u32_e32 v5, vcc, 0, v3, vcc
	v_add_co_u32_e32 v2, vcc, 0x2000, v2
	v_mov_b32_e32 v1, 0
	v_addc_co_u32_e32 v3, vcc, 0, v3, vcc
	s_or_b64 s[0:1], s[0:1], exec
	s_waitcnt lgkmcnt(0)
	flat_store_short v[4:5], v14
	flat_store_short v[4:5], v15 offset:512
	flat_store_short v[4:5], v16 offset:1024
	;; [unrolled: 1-line block ×7, first 2 shown]
	flat_store_short v[2:3], v22
	flat_store_short v[2:3], v23 offset:512
	flat_store_short v[2:3], v24 offset:1024
	;; [unrolled: 1-line block ×4, first 2 shown]
.LBB968_257:
	s_and_saveexec_b64 s[2:3], s[0:1]
	s_cbranch_execnz .LBB968_259
; %bb.258:
	s_endpgm
.LBB968_259:
	v_lshlrev_b64 v[0:1], 1, v[0:1]
	v_mov_b32_e32 v2, s5
	v_add_co_u32_e32 v0, vcc, s4, v0
	v_addc_co_u32_e32 v1, vcc, v2, v1, vcc
	v_add_co_u32_e32 v0, vcc, 0x2000, v0
	v_addc_co_u32_e32 v1, vcc, 0, v1, vcc
	flat_store_short v[0:1], v13 offset:2560
	s_endpgm
.LBB968_260:
	global_load_ushort v27, v24, s[68:69]
	s_waitcnt vmcnt(0)
	v_sub_u16_e32 v27, 0, v27
	s_or_b64 exec, exec, s[52:53]
                                        ; implicit-def: $vgpr28
	s_and_saveexec_b64 s[2:3], s[50:51]
	s_cbranch_execz .LBB968_53
.LBB968_261:
	global_load_ushort v28, v24, s[68:69] offset:512
	s_waitcnt vmcnt(0)
	v_sub_u16_e32 v28, 0, v28
	s_or_b64 exec, exec, s[2:3]
                                        ; implicit-def: $vgpr29
	s_and_saveexec_b64 s[2:3], s[8:9]
	s_cbranch_execz .LBB968_54
.LBB968_262:
	global_load_ushort v29, v24, s[68:69] offset:1024
	s_waitcnt vmcnt(0)
	v_sub_u16_e32 v29, 0, v29
	s_or_b64 exec, exec, s[2:3]
                                        ; implicit-def: $vgpr30
	s_and_saveexec_b64 s[2:3], s[10:11]
	s_cbranch_execz .LBB968_55
.LBB968_263:
	global_load_ushort v30, v24, s[68:69] offset:1536
	s_waitcnt vmcnt(0)
	v_sub_u16_e32 v30, 0, v30
	s_or_b64 exec, exec, s[2:3]
                                        ; implicit-def: $vgpr31
	s_and_saveexec_b64 s[2:3], s[12:13]
	s_cbranch_execz .LBB968_56
.LBB968_264:
	global_load_ushort v31, v24, s[68:69] offset:2048
	s_waitcnt vmcnt(0)
	v_sub_u16_e32 v31, 0, v31
	s_or_b64 exec, exec, s[2:3]
                                        ; implicit-def: $vgpr32
	s_and_saveexec_b64 s[2:3], s[14:15]
	s_cbranch_execz .LBB968_57
.LBB968_265:
	global_load_ushort v32, v24, s[68:69] offset:2560
	s_waitcnt vmcnt(0)
	v_sub_u16_e32 v32, 0, v32
	s_or_b64 exec, exec, s[2:3]
                                        ; implicit-def: $vgpr33
	s_and_saveexec_b64 s[2:3], s[16:17]
	s_cbranch_execz .LBB968_58
.LBB968_266:
	global_load_ushort v33, v24, s[68:69] offset:3072
	s_waitcnt vmcnt(0)
	v_sub_u16_e32 v33, 0, v33
	s_or_b64 exec, exec, s[2:3]
                                        ; implicit-def: $vgpr34
	s_and_saveexec_b64 s[2:3], s[18:19]
	s_cbranch_execz .LBB968_59
.LBB968_267:
	global_load_ushort v34, v24, s[68:69] offset:3584
	s_waitcnt vmcnt(0)
	v_sub_u16_e32 v34, 0, v34
	s_or_b64 exec, exec, s[2:3]
                                        ; implicit-def: $vgpr35
	s_and_saveexec_b64 s[2:3], s[20:21]
	s_cbranch_execz .LBB968_60
.LBB968_268:
	global_load_ushort v1, v1, s[68:69]
	s_waitcnt vmcnt(0)
	v_sub_u16_e32 v35, 0, v1
	s_or_b64 exec, exec, s[2:3]
                                        ; implicit-def: $vgpr1
	s_and_saveexec_b64 s[2:3], s[22:23]
	s_cbranch_execz .LBB968_61
.LBB968_269:
	global_load_ushort v1, v2, s[68:69]
	s_waitcnt vmcnt(0)
	v_sub_u16_e32 v1, 0, v1
	s_or_b64 exec, exec, s[2:3]
                                        ; implicit-def: $vgpr2
	s_and_saveexec_b64 s[2:3], s[24:25]
	s_cbranch_execz .LBB968_62
.LBB968_270:
	global_load_ushort v2, v3, s[68:69]
	s_waitcnt vmcnt(0)
	v_sub_u16_e32 v2, 0, v2
	s_or_b64 exec, exec, s[2:3]
                                        ; implicit-def: $vgpr3
	s_and_saveexec_b64 s[2:3], s[26:27]
	s_cbranch_execz .LBB968_63
.LBB968_271:
	global_load_ushort v3, v4, s[68:69]
	s_waitcnt vmcnt(0)
	v_sub_u16_e32 v3, 0, v3
	s_or_b64 exec, exec, s[2:3]
                                        ; implicit-def: $vgpr4
	s_and_saveexec_b64 s[2:3], s[28:29]
	s_cbranch_execz .LBB968_64
.LBB968_272:
	global_load_ushort v4, v16, s[68:69]
	s_waitcnt vmcnt(0)
	v_sub_u16_e32 v4, 0, v4
	s_or_b64 exec, exec, s[2:3]
                                        ; implicit-def: $vgpr16
	s_and_saveexec_b64 s[2:3], s[30:31]
	s_cbranch_execz .LBB968_65
.LBB968_273:
	global_load_ushort v16, v17, s[68:69]
	s_waitcnt vmcnt(0)
	v_sub_u16_e32 v16, 0, v16
	s_or_b64 exec, exec, s[2:3]
                                        ; implicit-def: $vgpr17
	s_and_saveexec_b64 s[2:3], s[34:35]
	s_cbranch_execz .LBB968_66
.LBB968_274:
	global_load_ushort v17, v18, s[68:69]
	s_waitcnt vmcnt(0)
	v_sub_u16_e32 v17, 0, v17
	s_or_b64 exec, exec, s[2:3]
                                        ; implicit-def: $vgpr18
	s_and_saveexec_b64 s[2:3], s[36:37]
	s_cbranch_execz .LBB968_67
.LBB968_275:
	global_load_ushort v18, v19, s[68:69]
	s_waitcnt vmcnt(0)
	v_sub_u16_e32 v18, 0, v18
	s_or_b64 exec, exec, s[2:3]
                                        ; implicit-def: $vgpr19
	s_and_saveexec_b64 s[2:3], s[38:39]
	s_cbranch_execz .LBB968_68
.LBB968_276:
	global_load_ushort v19, v20, s[68:69]
	s_waitcnt vmcnt(0)
	v_sub_u16_e32 v19, 0, v19
	s_or_b64 exec, exec, s[2:3]
                                        ; implicit-def: $vgpr20
	s_and_saveexec_b64 s[2:3], s[40:41]
	s_cbranch_execz .LBB968_69
.LBB968_277:
	global_load_ushort v20, v21, s[68:69]
	s_waitcnt vmcnt(0)
	v_sub_u16_e32 v20, 0, v20
	s_or_b64 exec, exec, s[2:3]
                                        ; implicit-def: $vgpr21
	s_and_saveexec_b64 s[2:3], s[42:43]
	s_cbranch_execz .LBB968_70
.LBB968_278:
	global_load_ushort v21, v22, s[68:69]
	s_waitcnt vmcnt(0)
	v_sub_u16_e32 v21, 0, v21
	s_or_b64 exec, exec, s[2:3]
                                        ; implicit-def: $vgpr22
	s_and_saveexec_b64 s[2:3], s[44:45]
	s_cbranch_execz .LBB968_71
.LBB968_279:
	global_load_ushort v22, v23, s[68:69]
	s_waitcnt vmcnt(0)
	v_sub_u16_e32 v22, 0, v22
	s_or_b64 exec, exec, s[2:3]
                                        ; implicit-def: $vgpr23
	s_and_saveexec_b64 s[2:3], s[46:47]
	s_cbranch_execz .LBB968_72
.LBB968_280:
	global_load_ushort v23, v25, s[68:69]
	s_waitcnt vmcnt(0)
	v_sub_u16_e32 v23, 0, v23
	s_or_b64 exec, exec, s[2:3]
                                        ; implicit-def: $vgpr25
	s_and_saveexec_b64 s[2:3], s[48:49]
	s_cbranch_execnz .LBB968_73
	s_branch .LBB968_74
.LBB968_281:
	v_add_u32_e32 v2, -1, v0
	v_lshrrev_b32_e32 v3, 5, v2
	v_add_lshl_u32 v2, v3, v2, 2
	ds_read_u16 v2, v2
	s_or_b64 exec, exec, s[48:49]
	s_and_saveexec_b64 s[48:49], s[2:3]
	s_cbranch_execz .LBB968_208
.LBB968_282:
	s_mov_b32 s2, 0x10000
	s_waitcnt lgkmcnt(0)
	v_and_b32_e32 v2, 0xffff, v2
	v_cmp_gt_u32_e64 s[2:3], s2, v1
	v_cndmask_b32_e64 v2, 0, v2, s[2:3]
	v_add_u32_e32 v1, v2, v1
	v_cndmask_b32_e64 v2, 0, v1, s[4:5]
	v_add_u16_e32 v4, v2, v16
	v_cndmask_b32_e64 v2, 0, v4, s[6:7]
	v_add_u16_e32 v5, v2, v17
	;; [unrolled: 2-line block ×21, first 2 shown]
	;;#ASMSTART
	;;#ASMEND
	s_or_b64 exec, exec, s[48:49]
	s_and_saveexec_b64 s[2:3], vcc
	s_cbranch_execnz .LBB968_209
	s_branch .LBB968_210
.LBB968_283:
                                        ; implicit-def: $sgpr52_sgpr53
	s_branch .LBB968_48
.LBB968_284:
                                        ; implicit-def: $sgpr2_sgpr3
	s_branch .LBB968_121
	.section	.rodata,"a",@progbits
	.p2align	6, 0x0
	.amdhsa_kernel _ZN7rocprim17ROCPRIM_400000_NS6detail17trampoline_kernelINS0_14default_configENS1_27scan_by_key_config_selectorIssEEZZNS1_16scan_by_key_implILNS1_25lookback_scan_determinismE0ELb0ES3_N6thrust23THRUST_200600_302600_NS6detail15normal_iteratorINS9_10device_ptrIsEEEENS9_18transform_iteratorINS9_6negateIsEESE_NS9_11use_defaultESI_EESE_sNS9_4plusIvEENS9_8equal_toIvEEsEE10hipError_tPvRmT2_T3_T4_T5_mT6_T7_P12ihipStream_tbENKUlT_T0_E_clISt17integral_constantIbLb0EES14_EEDaSZ_S10_EUlSZ_E_NS1_11comp_targetILNS1_3genE4ELNS1_11target_archE910ELNS1_3gpuE8ELNS1_3repE0EEENS1_30default_config_static_selectorELNS0_4arch9wavefront6targetE1EEEvT1_
		.amdhsa_group_segment_fixed_size 12288
		.amdhsa_private_segment_fixed_size 0
		.amdhsa_kernarg_size 120
		.amdhsa_user_sgpr_count 6
		.amdhsa_user_sgpr_private_segment_buffer 1
		.amdhsa_user_sgpr_dispatch_ptr 0
		.amdhsa_user_sgpr_queue_ptr 0
		.amdhsa_user_sgpr_kernarg_segment_ptr 1
		.amdhsa_user_sgpr_dispatch_id 0
		.amdhsa_user_sgpr_flat_scratch_init 0
		.amdhsa_user_sgpr_kernarg_preload_length 0
		.amdhsa_user_sgpr_kernarg_preload_offset 0
		.amdhsa_user_sgpr_private_segment_size 0
		.amdhsa_uses_dynamic_stack 0
		.amdhsa_system_sgpr_private_segment_wavefront_offset 0
		.amdhsa_system_sgpr_workgroup_id_x 1
		.amdhsa_system_sgpr_workgroup_id_y 0
		.amdhsa_system_sgpr_workgroup_id_z 0
		.amdhsa_system_sgpr_workgroup_info 0
		.amdhsa_system_vgpr_workitem_id 0
		.amdhsa_next_free_vgpr 58
		.amdhsa_next_free_sgpr 78
		.amdhsa_accum_offset 60
		.amdhsa_reserve_vcc 1
		.amdhsa_reserve_flat_scratch 0
		.amdhsa_float_round_mode_32 0
		.amdhsa_float_round_mode_16_64 0
		.amdhsa_float_denorm_mode_32 3
		.amdhsa_float_denorm_mode_16_64 3
		.amdhsa_dx10_clamp 1
		.amdhsa_ieee_mode 1
		.amdhsa_fp16_overflow 0
		.amdhsa_tg_split 0
		.amdhsa_exception_fp_ieee_invalid_op 0
		.amdhsa_exception_fp_denorm_src 0
		.amdhsa_exception_fp_ieee_div_zero 0
		.amdhsa_exception_fp_ieee_overflow 0
		.amdhsa_exception_fp_ieee_underflow 0
		.amdhsa_exception_fp_ieee_inexact 0
		.amdhsa_exception_int_div_zero 0
	.end_amdhsa_kernel
	.section	.text._ZN7rocprim17ROCPRIM_400000_NS6detail17trampoline_kernelINS0_14default_configENS1_27scan_by_key_config_selectorIssEEZZNS1_16scan_by_key_implILNS1_25lookback_scan_determinismE0ELb0ES3_N6thrust23THRUST_200600_302600_NS6detail15normal_iteratorINS9_10device_ptrIsEEEENS9_18transform_iteratorINS9_6negateIsEESE_NS9_11use_defaultESI_EESE_sNS9_4plusIvEENS9_8equal_toIvEEsEE10hipError_tPvRmT2_T3_T4_T5_mT6_T7_P12ihipStream_tbENKUlT_T0_E_clISt17integral_constantIbLb0EES14_EEDaSZ_S10_EUlSZ_E_NS1_11comp_targetILNS1_3genE4ELNS1_11target_archE910ELNS1_3gpuE8ELNS1_3repE0EEENS1_30default_config_static_selectorELNS0_4arch9wavefront6targetE1EEEvT1_,"axG",@progbits,_ZN7rocprim17ROCPRIM_400000_NS6detail17trampoline_kernelINS0_14default_configENS1_27scan_by_key_config_selectorIssEEZZNS1_16scan_by_key_implILNS1_25lookback_scan_determinismE0ELb0ES3_N6thrust23THRUST_200600_302600_NS6detail15normal_iteratorINS9_10device_ptrIsEEEENS9_18transform_iteratorINS9_6negateIsEESE_NS9_11use_defaultESI_EESE_sNS9_4plusIvEENS9_8equal_toIvEEsEE10hipError_tPvRmT2_T3_T4_T5_mT6_T7_P12ihipStream_tbENKUlT_T0_E_clISt17integral_constantIbLb0EES14_EEDaSZ_S10_EUlSZ_E_NS1_11comp_targetILNS1_3genE4ELNS1_11target_archE910ELNS1_3gpuE8ELNS1_3repE0EEENS1_30default_config_static_selectorELNS0_4arch9wavefront6targetE1EEEvT1_,comdat
.Lfunc_end968:
	.size	_ZN7rocprim17ROCPRIM_400000_NS6detail17trampoline_kernelINS0_14default_configENS1_27scan_by_key_config_selectorIssEEZZNS1_16scan_by_key_implILNS1_25lookback_scan_determinismE0ELb0ES3_N6thrust23THRUST_200600_302600_NS6detail15normal_iteratorINS9_10device_ptrIsEEEENS9_18transform_iteratorINS9_6negateIsEESE_NS9_11use_defaultESI_EESE_sNS9_4plusIvEENS9_8equal_toIvEEsEE10hipError_tPvRmT2_T3_T4_T5_mT6_T7_P12ihipStream_tbENKUlT_T0_E_clISt17integral_constantIbLb0EES14_EEDaSZ_S10_EUlSZ_E_NS1_11comp_targetILNS1_3genE4ELNS1_11target_archE910ELNS1_3gpuE8ELNS1_3repE0EEENS1_30default_config_static_selectorELNS0_4arch9wavefront6targetE1EEEvT1_, .Lfunc_end968-_ZN7rocprim17ROCPRIM_400000_NS6detail17trampoline_kernelINS0_14default_configENS1_27scan_by_key_config_selectorIssEEZZNS1_16scan_by_key_implILNS1_25lookback_scan_determinismE0ELb0ES3_N6thrust23THRUST_200600_302600_NS6detail15normal_iteratorINS9_10device_ptrIsEEEENS9_18transform_iteratorINS9_6negateIsEESE_NS9_11use_defaultESI_EESE_sNS9_4plusIvEENS9_8equal_toIvEEsEE10hipError_tPvRmT2_T3_T4_T5_mT6_T7_P12ihipStream_tbENKUlT_T0_E_clISt17integral_constantIbLb0EES14_EEDaSZ_S10_EUlSZ_E_NS1_11comp_targetILNS1_3genE4ELNS1_11target_archE910ELNS1_3gpuE8ELNS1_3repE0EEENS1_30default_config_static_selectorELNS0_4arch9wavefront6targetE1EEEvT1_
                                        ; -- End function
	.section	.AMDGPU.csdata,"",@progbits
; Kernel info:
; codeLenInByte = 15560
; NumSgprs: 82
; NumVgprs: 58
; NumAgprs: 0
; TotalNumVgprs: 58
; ScratchSize: 0
; MemoryBound: 0
; FloatMode: 240
; IeeeMode: 1
; LDSByteSize: 12288 bytes/workgroup (compile time only)
; SGPRBlocks: 10
; VGPRBlocks: 7
; NumSGPRsForWavesPerEU: 82
; NumVGPRsForWavesPerEU: 58
; AccumOffset: 60
; Occupancy: 5
; WaveLimiterHint : 1
; COMPUTE_PGM_RSRC2:SCRATCH_EN: 0
; COMPUTE_PGM_RSRC2:USER_SGPR: 6
; COMPUTE_PGM_RSRC2:TRAP_HANDLER: 0
; COMPUTE_PGM_RSRC2:TGID_X_EN: 1
; COMPUTE_PGM_RSRC2:TGID_Y_EN: 0
; COMPUTE_PGM_RSRC2:TGID_Z_EN: 0
; COMPUTE_PGM_RSRC2:TIDIG_COMP_CNT: 0
; COMPUTE_PGM_RSRC3_GFX90A:ACCUM_OFFSET: 14
; COMPUTE_PGM_RSRC3_GFX90A:TG_SPLIT: 0
	.section	.text._ZN7rocprim17ROCPRIM_400000_NS6detail17trampoline_kernelINS0_14default_configENS1_27scan_by_key_config_selectorIssEEZZNS1_16scan_by_key_implILNS1_25lookback_scan_determinismE0ELb0ES3_N6thrust23THRUST_200600_302600_NS6detail15normal_iteratorINS9_10device_ptrIsEEEENS9_18transform_iteratorINS9_6negateIsEESE_NS9_11use_defaultESI_EESE_sNS9_4plusIvEENS9_8equal_toIvEEsEE10hipError_tPvRmT2_T3_T4_T5_mT6_T7_P12ihipStream_tbENKUlT_T0_E_clISt17integral_constantIbLb0EES14_EEDaSZ_S10_EUlSZ_E_NS1_11comp_targetILNS1_3genE3ELNS1_11target_archE908ELNS1_3gpuE7ELNS1_3repE0EEENS1_30default_config_static_selectorELNS0_4arch9wavefront6targetE1EEEvT1_,"axG",@progbits,_ZN7rocprim17ROCPRIM_400000_NS6detail17trampoline_kernelINS0_14default_configENS1_27scan_by_key_config_selectorIssEEZZNS1_16scan_by_key_implILNS1_25lookback_scan_determinismE0ELb0ES3_N6thrust23THRUST_200600_302600_NS6detail15normal_iteratorINS9_10device_ptrIsEEEENS9_18transform_iteratorINS9_6negateIsEESE_NS9_11use_defaultESI_EESE_sNS9_4plusIvEENS9_8equal_toIvEEsEE10hipError_tPvRmT2_T3_T4_T5_mT6_T7_P12ihipStream_tbENKUlT_T0_E_clISt17integral_constantIbLb0EES14_EEDaSZ_S10_EUlSZ_E_NS1_11comp_targetILNS1_3genE3ELNS1_11target_archE908ELNS1_3gpuE7ELNS1_3repE0EEENS1_30default_config_static_selectorELNS0_4arch9wavefront6targetE1EEEvT1_,comdat
	.protected	_ZN7rocprim17ROCPRIM_400000_NS6detail17trampoline_kernelINS0_14default_configENS1_27scan_by_key_config_selectorIssEEZZNS1_16scan_by_key_implILNS1_25lookback_scan_determinismE0ELb0ES3_N6thrust23THRUST_200600_302600_NS6detail15normal_iteratorINS9_10device_ptrIsEEEENS9_18transform_iteratorINS9_6negateIsEESE_NS9_11use_defaultESI_EESE_sNS9_4plusIvEENS9_8equal_toIvEEsEE10hipError_tPvRmT2_T3_T4_T5_mT6_T7_P12ihipStream_tbENKUlT_T0_E_clISt17integral_constantIbLb0EES14_EEDaSZ_S10_EUlSZ_E_NS1_11comp_targetILNS1_3genE3ELNS1_11target_archE908ELNS1_3gpuE7ELNS1_3repE0EEENS1_30default_config_static_selectorELNS0_4arch9wavefront6targetE1EEEvT1_ ; -- Begin function _ZN7rocprim17ROCPRIM_400000_NS6detail17trampoline_kernelINS0_14default_configENS1_27scan_by_key_config_selectorIssEEZZNS1_16scan_by_key_implILNS1_25lookback_scan_determinismE0ELb0ES3_N6thrust23THRUST_200600_302600_NS6detail15normal_iteratorINS9_10device_ptrIsEEEENS9_18transform_iteratorINS9_6negateIsEESE_NS9_11use_defaultESI_EESE_sNS9_4plusIvEENS9_8equal_toIvEEsEE10hipError_tPvRmT2_T3_T4_T5_mT6_T7_P12ihipStream_tbENKUlT_T0_E_clISt17integral_constantIbLb0EES14_EEDaSZ_S10_EUlSZ_E_NS1_11comp_targetILNS1_3genE3ELNS1_11target_archE908ELNS1_3gpuE7ELNS1_3repE0EEENS1_30default_config_static_selectorELNS0_4arch9wavefront6targetE1EEEvT1_
	.globl	_ZN7rocprim17ROCPRIM_400000_NS6detail17trampoline_kernelINS0_14default_configENS1_27scan_by_key_config_selectorIssEEZZNS1_16scan_by_key_implILNS1_25lookback_scan_determinismE0ELb0ES3_N6thrust23THRUST_200600_302600_NS6detail15normal_iteratorINS9_10device_ptrIsEEEENS9_18transform_iteratorINS9_6negateIsEESE_NS9_11use_defaultESI_EESE_sNS9_4plusIvEENS9_8equal_toIvEEsEE10hipError_tPvRmT2_T3_T4_T5_mT6_T7_P12ihipStream_tbENKUlT_T0_E_clISt17integral_constantIbLb0EES14_EEDaSZ_S10_EUlSZ_E_NS1_11comp_targetILNS1_3genE3ELNS1_11target_archE908ELNS1_3gpuE7ELNS1_3repE0EEENS1_30default_config_static_selectorELNS0_4arch9wavefront6targetE1EEEvT1_
	.p2align	8
	.type	_ZN7rocprim17ROCPRIM_400000_NS6detail17trampoline_kernelINS0_14default_configENS1_27scan_by_key_config_selectorIssEEZZNS1_16scan_by_key_implILNS1_25lookback_scan_determinismE0ELb0ES3_N6thrust23THRUST_200600_302600_NS6detail15normal_iteratorINS9_10device_ptrIsEEEENS9_18transform_iteratorINS9_6negateIsEESE_NS9_11use_defaultESI_EESE_sNS9_4plusIvEENS9_8equal_toIvEEsEE10hipError_tPvRmT2_T3_T4_T5_mT6_T7_P12ihipStream_tbENKUlT_T0_E_clISt17integral_constantIbLb0EES14_EEDaSZ_S10_EUlSZ_E_NS1_11comp_targetILNS1_3genE3ELNS1_11target_archE908ELNS1_3gpuE7ELNS1_3repE0EEENS1_30default_config_static_selectorELNS0_4arch9wavefront6targetE1EEEvT1_,@function
_ZN7rocprim17ROCPRIM_400000_NS6detail17trampoline_kernelINS0_14default_configENS1_27scan_by_key_config_selectorIssEEZZNS1_16scan_by_key_implILNS1_25lookback_scan_determinismE0ELb0ES3_N6thrust23THRUST_200600_302600_NS6detail15normal_iteratorINS9_10device_ptrIsEEEENS9_18transform_iteratorINS9_6negateIsEESE_NS9_11use_defaultESI_EESE_sNS9_4plusIvEENS9_8equal_toIvEEsEE10hipError_tPvRmT2_T3_T4_T5_mT6_T7_P12ihipStream_tbENKUlT_T0_E_clISt17integral_constantIbLb0EES14_EEDaSZ_S10_EUlSZ_E_NS1_11comp_targetILNS1_3genE3ELNS1_11target_archE908ELNS1_3gpuE7ELNS1_3repE0EEENS1_30default_config_static_selectorELNS0_4arch9wavefront6targetE1EEEvT1_: ; @_ZN7rocprim17ROCPRIM_400000_NS6detail17trampoline_kernelINS0_14default_configENS1_27scan_by_key_config_selectorIssEEZZNS1_16scan_by_key_implILNS1_25lookback_scan_determinismE0ELb0ES3_N6thrust23THRUST_200600_302600_NS6detail15normal_iteratorINS9_10device_ptrIsEEEENS9_18transform_iteratorINS9_6negateIsEESE_NS9_11use_defaultESI_EESE_sNS9_4plusIvEENS9_8equal_toIvEEsEE10hipError_tPvRmT2_T3_T4_T5_mT6_T7_P12ihipStream_tbENKUlT_T0_E_clISt17integral_constantIbLb0EES14_EEDaSZ_S10_EUlSZ_E_NS1_11comp_targetILNS1_3genE3ELNS1_11target_archE908ELNS1_3gpuE7ELNS1_3repE0EEENS1_30default_config_static_selectorELNS0_4arch9wavefront6targetE1EEEvT1_
; %bb.0:
	.section	.rodata,"a",@progbits
	.p2align	6, 0x0
	.amdhsa_kernel _ZN7rocprim17ROCPRIM_400000_NS6detail17trampoline_kernelINS0_14default_configENS1_27scan_by_key_config_selectorIssEEZZNS1_16scan_by_key_implILNS1_25lookback_scan_determinismE0ELb0ES3_N6thrust23THRUST_200600_302600_NS6detail15normal_iteratorINS9_10device_ptrIsEEEENS9_18transform_iteratorINS9_6negateIsEESE_NS9_11use_defaultESI_EESE_sNS9_4plusIvEENS9_8equal_toIvEEsEE10hipError_tPvRmT2_T3_T4_T5_mT6_T7_P12ihipStream_tbENKUlT_T0_E_clISt17integral_constantIbLb0EES14_EEDaSZ_S10_EUlSZ_E_NS1_11comp_targetILNS1_3genE3ELNS1_11target_archE908ELNS1_3gpuE7ELNS1_3repE0EEENS1_30default_config_static_selectorELNS0_4arch9wavefront6targetE1EEEvT1_
		.amdhsa_group_segment_fixed_size 0
		.amdhsa_private_segment_fixed_size 0
		.amdhsa_kernarg_size 120
		.amdhsa_user_sgpr_count 6
		.amdhsa_user_sgpr_private_segment_buffer 1
		.amdhsa_user_sgpr_dispatch_ptr 0
		.amdhsa_user_sgpr_queue_ptr 0
		.amdhsa_user_sgpr_kernarg_segment_ptr 1
		.amdhsa_user_sgpr_dispatch_id 0
		.amdhsa_user_sgpr_flat_scratch_init 0
		.amdhsa_user_sgpr_kernarg_preload_length 0
		.amdhsa_user_sgpr_kernarg_preload_offset 0
		.amdhsa_user_sgpr_private_segment_size 0
		.amdhsa_uses_dynamic_stack 0
		.amdhsa_system_sgpr_private_segment_wavefront_offset 0
		.amdhsa_system_sgpr_workgroup_id_x 1
		.amdhsa_system_sgpr_workgroup_id_y 0
		.amdhsa_system_sgpr_workgroup_id_z 0
		.amdhsa_system_sgpr_workgroup_info 0
		.amdhsa_system_vgpr_workitem_id 0
		.amdhsa_next_free_vgpr 1
		.amdhsa_next_free_sgpr 0
		.amdhsa_accum_offset 4
		.amdhsa_reserve_vcc 0
		.amdhsa_reserve_flat_scratch 0
		.amdhsa_float_round_mode_32 0
		.amdhsa_float_round_mode_16_64 0
		.amdhsa_float_denorm_mode_32 3
		.amdhsa_float_denorm_mode_16_64 3
		.amdhsa_dx10_clamp 1
		.amdhsa_ieee_mode 1
		.amdhsa_fp16_overflow 0
		.amdhsa_tg_split 0
		.amdhsa_exception_fp_ieee_invalid_op 0
		.amdhsa_exception_fp_denorm_src 0
		.amdhsa_exception_fp_ieee_div_zero 0
		.amdhsa_exception_fp_ieee_overflow 0
		.amdhsa_exception_fp_ieee_underflow 0
		.amdhsa_exception_fp_ieee_inexact 0
		.amdhsa_exception_int_div_zero 0
	.end_amdhsa_kernel
	.section	.text._ZN7rocprim17ROCPRIM_400000_NS6detail17trampoline_kernelINS0_14default_configENS1_27scan_by_key_config_selectorIssEEZZNS1_16scan_by_key_implILNS1_25lookback_scan_determinismE0ELb0ES3_N6thrust23THRUST_200600_302600_NS6detail15normal_iteratorINS9_10device_ptrIsEEEENS9_18transform_iteratorINS9_6negateIsEESE_NS9_11use_defaultESI_EESE_sNS9_4plusIvEENS9_8equal_toIvEEsEE10hipError_tPvRmT2_T3_T4_T5_mT6_T7_P12ihipStream_tbENKUlT_T0_E_clISt17integral_constantIbLb0EES14_EEDaSZ_S10_EUlSZ_E_NS1_11comp_targetILNS1_3genE3ELNS1_11target_archE908ELNS1_3gpuE7ELNS1_3repE0EEENS1_30default_config_static_selectorELNS0_4arch9wavefront6targetE1EEEvT1_,"axG",@progbits,_ZN7rocprim17ROCPRIM_400000_NS6detail17trampoline_kernelINS0_14default_configENS1_27scan_by_key_config_selectorIssEEZZNS1_16scan_by_key_implILNS1_25lookback_scan_determinismE0ELb0ES3_N6thrust23THRUST_200600_302600_NS6detail15normal_iteratorINS9_10device_ptrIsEEEENS9_18transform_iteratorINS9_6negateIsEESE_NS9_11use_defaultESI_EESE_sNS9_4plusIvEENS9_8equal_toIvEEsEE10hipError_tPvRmT2_T3_T4_T5_mT6_T7_P12ihipStream_tbENKUlT_T0_E_clISt17integral_constantIbLb0EES14_EEDaSZ_S10_EUlSZ_E_NS1_11comp_targetILNS1_3genE3ELNS1_11target_archE908ELNS1_3gpuE7ELNS1_3repE0EEENS1_30default_config_static_selectorELNS0_4arch9wavefront6targetE1EEEvT1_,comdat
.Lfunc_end969:
	.size	_ZN7rocprim17ROCPRIM_400000_NS6detail17trampoline_kernelINS0_14default_configENS1_27scan_by_key_config_selectorIssEEZZNS1_16scan_by_key_implILNS1_25lookback_scan_determinismE0ELb0ES3_N6thrust23THRUST_200600_302600_NS6detail15normal_iteratorINS9_10device_ptrIsEEEENS9_18transform_iteratorINS9_6negateIsEESE_NS9_11use_defaultESI_EESE_sNS9_4plusIvEENS9_8equal_toIvEEsEE10hipError_tPvRmT2_T3_T4_T5_mT6_T7_P12ihipStream_tbENKUlT_T0_E_clISt17integral_constantIbLb0EES14_EEDaSZ_S10_EUlSZ_E_NS1_11comp_targetILNS1_3genE3ELNS1_11target_archE908ELNS1_3gpuE7ELNS1_3repE0EEENS1_30default_config_static_selectorELNS0_4arch9wavefront6targetE1EEEvT1_, .Lfunc_end969-_ZN7rocprim17ROCPRIM_400000_NS6detail17trampoline_kernelINS0_14default_configENS1_27scan_by_key_config_selectorIssEEZZNS1_16scan_by_key_implILNS1_25lookback_scan_determinismE0ELb0ES3_N6thrust23THRUST_200600_302600_NS6detail15normal_iteratorINS9_10device_ptrIsEEEENS9_18transform_iteratorINS9_6negateIsEESE_NS9_11use_defaultESI_EESE_sNS9_4plusIvEENS9_8equal_toIvEEsEE10hipError_tPvRmT2_T3_T4_T5_mT6_T7_P12ihipStream_tbENKUlT_T0_E_clISt17integral_constantIbLb0EES14_EEDaSZ_S10_EUlSZ_E_NS1_11comp_targetILNS1_3genE3ELNS1_11target_archE908ELNS1_3gpuE7ELNS1_3repE0EEENS1_30default_config_static_selectorELNS0_4arch9wavefront6targetE1EEEvT1_
                                        ; -- End function
	.section	.AMDGPU.csdata,"",@progbits
; Kernel info:
; codeLenInByte = 0
; NumSgprs: 4
; NumVgprs: 0
; NumAgprs: 0
; TotalNumVgprs: 0
; ScratchSize: 0
; MemoryBound: 0
; FloatMode: 240
; IeeeMode: 1
; LDSByteSize: 0 bytes/workgroup (compile time only)
; SGPRBlocks: 0
; VGPRBlocks: 0
; NumSGPRsForWavesPerEU: 4
; NumVGPRsForWavesPerEU: 1
; AccumOffset: 4
; Occupancy: 8
; WaveLimiterHint : 0
; COMPUTE_PGM_RSRC2:SCRATCH_EN: 0
; COMPUTE_PGM_RSRC2:USER_SGPR: 6
; COMPUTE_PGM_RSRC2:TRAP_HANDLER: 0
; COMPUTE_PGM_RSRC2:TGID_X_EN: 1
; COMPUTE_PGM_RSRC2:TGID_Y_EN: 0
; COMPUTE_PGM_RSRC2:TGID_Z_EN: 0
; COMPUTE_PGM_RSRC2:TIDIG_COMP_CNT: 0
; COMPUTE_PGM_RSRC3_GFX90A:ACCUM_OFFSET: 0
; COMPUTE_PGM_RSRC3_GFX90A:TG_SPLIT: 0
	.section	.text._ZN7rocprim17ROCPRIM_400000_NS6detail17trampoline_kernelINS0_14default_configENS1_27scan_by_key_config_selectorIssEEZZNS1_16scan_by_key_implILNS1_25lookback_scan_determinismE0ELb0ES3_N6thrust23THRUST_200600_302600_NS6detail15normal_iteratorINS9_10device_ptrIsEEEENS9_18transform_iteratorINS9_6negateIsEESE_NS9_11use_defaultESI_EESE_sNS9_4plusIvEENS9_8equal_toIvEEsEE10hipError_tPvRmT2_T3_T4_T5_mT6_T7_P12ihipStream_tbENKUlT_T0_E_clISt17integral_constantIbLb0EES14_EEDaSZ_S10_EUlSZ_E_NS1_11comp_targetILNS1_3genE2ELNS1_11target_archE906ELNS1_3gpuE6ELNS1_3repE0EEENS1_30default_config_static_selectorELNS0_4arch9wavefront6targetE1EEEvT1_,"axG",@progbits,_ZN7rocprim17ROCPRIM_400000_NS6detail17trampoline_kernelINS0_14default_configENS1_27scan_by_key_config_selectorIssEEZZNS1_16scan_by_key_implILNS1_25lookback_scan_determinismE0ELb0ES3_N6thrust23THRUST_200600_302600_NS6detail15normal_iteratorINS9_10device_ptrIsEEEENS9_18transform_iteratorINS9_6negateIsEESE_NS9_11use_defaultESI_EESE_sNS9_4plusIvEENS9_8equal_toIvEEsEE10hipError_tPvRmT2_T3_T4_T5_mT6_T7_P12ihipStream_tbENKUlT_T0_E_clISt17integral_constantIbLb0EES14_EEDaSZ_S10_EUlSZ_E_NS1_11comp_targetILNS1_3genE2ELNS1_11target_archE906ELNS1_3gpuE6ELNS1_3repE0EEENS1_30default_config_static_selectorELNS0_4arch9wavefront6targetE1EEEvT1_,comdat
	.protected	_ZN7rocprim17ROCPRIM_400000_NS6detail17trampoline_kernelINS0_14default_configENS1_27scan_by_key_config_selectorIssEEZZNS1_16scan_by_key_implILNS1_25lookback_scan_determinismE0ELb0ES3_N6thrust23THRUST_200600_302600_NS6detail15normal_iteratorINS9_10device_ptrIsEEEENS9_18transform_iteratorINS9_6negateIsEESE_NS9_11use_defaultESI_EESE_sNS9_4plusIvEENS9_8equal_toIvEEsEE10hipError_tPvRmT2_T3_T4_T5_mT6_T7_P12ihipStream_tbENKUlT_T0_E_clISt17integral_constantIbLb0EES14_EEDaSZ_S10_EUlSZ_E_NS1_11comp_targetILNS1_3genE2ELNS1_11target_archE906ELNS1_3gpuE6ELNS1_3repE0EEENS1_30default_config_static_selectorELNS0_4arch9wavefront6targetE1EEEvT1_ ; -- Begin function _ZN7rocprim17ROCPRIM_400000_NS6detail17trampoline_kernelINS0_14default_configENS1_27scan_by_key_config_selectorIssEEZZNS1_16scan_by_key_implILNS1_25lookback_scan_determinismE0ELb0ES3_N6thrust23THRUST_200600_302600_NS6detail15normal_iteratorINS9_10device_ptrIsEEEENS9_18transform_iteratorINS9_6negateIsEESE_NS9_11use_defaultESI_EESE_sNS9_4plusIvEENS9_8equal_toIvEEsEE10hipError_tPvRmT2_T3_T4_T5_mT6_T7_P12ihipStream_tbENKUlT_T0_E_clISt17integral_constantIbLb0EES14_EEDaSZ_S10_EUlSZ_E_NS1_11comp_targetILNS1_3genE2ELNS1_11target_archE906ELNS1_3gpuE6ELNS1_3repE0EEENS1_30default_config_static_selectorELNS0_4arch9wavefront6targetE1EEEvT1_
	.globl	_ZN7rocprim17ROCPRIM_400000_NS6detail17trampoline_kernelINS0_14default_configENS1_27scan_by_key_config_selectorIssEEZZNS1_16scan_by_key_implILNS1_25lookback_scan_determinismE0ELb0ES3_N6thrust23THRUST_200600_302600_NS6detail15normal_iteratorINS9_10device_ptrIsEEEENS9_18transform_iteratorINS9_6negateIsEESE_NS9_11use_defaultESI_EESE_sNS9_4plusIvEENS9_8equal_toIvEEsEE10hipError_tPvRmT2_T3_T4_T5_mT6_T7_P12ihipStream_tbENKUlT_T0_E_clISt17integral_constantIbLb0EES14_EEDaSZ_S10_EUlSZ_E_NS1_11comp_targetILNS1_3genE2ELNS1_11target_archE906ELNS1_3gpuE6ELNS1_3repE0EEENS1_30default_config_static_selectorELNS0_4arch9wavefront6targetE1EEEvT1_
	.p2align	8
	.type	_ZN7rocprim17ROCPRIM_400000_NS6detail17trampoline_kernelINS0_14default_configENS1_27scan_by_key_config_selectorIssEEZZNS1_16scan_by_key_implILNS1_25lookback_scan_determinismE0ELb0ES3_N6thrust23THRUST_200600_302600_NS6detail15normal_iteratorINS9_10device_ptrIsEEEENS9_18transform_iteratorINS9_6negateIsEESE_NS9_11use_defaultESI_EESE_sNS9_4plusIvEENS9_8equal_toIvEEsEE10hipError_tPvRmT2_T3_T4_T5_mT6_T7_P12ihipStream_tbENKUlT_T0_E_clISt17integral_constantIbLb0EES14_EEDaSZ_S10_EUlSZ_E_NS1_11comp_targetILNS1_3genE2ELNS1_11target_archE906ELNS1_3gpuE6ELNS1_3repE0EEENS1_30default_config_static_selectorELNS0_4arch9wavefront6targetE1EEEvT1_,@function
_ZN7rocprim17ROCPRIM_400000_NS6detail17trampoline_kernelINS0_14default_configENS1_27scan_by_key_config_selectorIssEEZZNS1_16scan_by_key_implILNS1_25lookback_scan_determinismE0ELb0ES3_N6thrust23THRUST_200600_302600_NS6detail15normal_iteratorINS9_10device_ptrIsEEEENS9_18transform_iteratorINS9_6negateIsEESE_NS9_11use_defaultESI_EESE_sNS9_4plusIvEENS9_8equal_toIvEEsEE10hipError_tPvRmT2_T3_T4_T5_mT6_T7_P12ihipStream_tbENKUlT_T0_E_clISt17integral_constantIbLb0EES14_EEDaSZ_S10_EUlSZ_E_NS1_11comp_targetILNS1_3genE2ELNS1_11target_archE906ELNS1_3gpuE6ELNS1_3repE0EEENS1_30default_config_static_selectorELNS0_4arch9wavefront6targetE1EEEvT1_: ; @_ZN7rocprim17ROCPRIM_400000_NS6detail17trampoline_kernelINS0_14default_configENS1_27scan_by_key_config_selectorIssEEZZNS1_16scan_by_key_implILNS1_25lookback_scan_determinismE0ELb0ES3_N6thrust23THRUST_200600_302600_NS6detail15normal_iteratorINS9_10device_ptrIsEEEENS9_18transform_iteratorINS9_6negateIsEESE_NS9_11use_defaultESI_EESE_sNS9_4plusIvEENS9_8equal_toIvEEsEE10hipError_tPvRmT2_T3_T4_T5_mT6_T7_P12ihipStream_tbENKUlT_T0_E_clISt17integral_constantIbLb0EES14_EEDaSZ_S10_EUlSZ_E_NS1_11comp_targetILNS1_3genE2ELNS1_11target_archE906ELNS1_3gpuE6ELNS1_3repE0EEENS1_30default_config_static_selectorELNS0_4arch9wavefront6targetE1EEEvT1_
; %bb.0:
	.section	.rodata,"a",@progbits
	.p2align	6, 0x0
	.amdhsa_kernel _ZN7rocprim17ROCPRIM_400000_NS6detail17trampoline_kernelINS0_14default_configENS1_27scan_by_key_config_selectorIssEEZZNS1_16scan_by_key_implILNS1_25lookback_scan_determinismE0ELb0ES3_N6thrust23THRUST_200600_302600_NS6detail15normal_iteratorINS9_10device_ptrIsEEEENS9_18transform_iteratorINS9_6negateIsEESE_NS9_11use_defaultESI_EESE_sNS9_4plusIvEENS9_8equal_toIvEEsEE10hipError_tPvRmT2_T3_T4_T5_mT6_T7_P12ihipStream_tbENKUlT_T0_E_clISt17integral_constantIbLb0EES14_EEDaSZ_S10_EUlSZ_E_NS1_11comp_targetILNS1_3genE2ELNS1_11target_archE906ELNS1_3gpuE6ELNS1_3repE0EEENS1_30default_config_static_selectorELNS0_4arch9wavefront6targetE1EEEvT1_
		.amdhsa_group_segment_fixed_size 0
		.amdhsa_private_segment_fixed_size 0
		.amdhsa_kernarg_size 120
		.amdhsa_user_sgpr_count 6
		.amdhsa_user_sgpr_private_segment_buffer 1
		.amdhsa_user_sgpr_dispatch_ptr 0
		.amdhsa_user_sgpr_queue_ptr 0
		.amdhsa_user_sgpr_kernarg_segment_ptr 1
		.amdhsa_user_sgpr_dispatch_id 0
		.amdhsa_user_sgpr_flat_scratch_init 0
		.amdhsa_user_sgpr_kernarg_preload_length 0
		.amdhsa_user_sgpr_kernarg_preload_offset 0
		.amdhsa_user_sgpr_private_segment_size 0
		.amdhsa_uses_dynamic_stack 0
		.amdhsa_system_sgpr_private_segment_wavefront_offset 0
		.amdhsa_system_sgpr_workgroup_id_x 1
		.amdhsa_system_sgpr_workgroup_id_y 0
		.amdhsa_system_sgpr_workgroup_id_z 0
		.amdhsa_system_sgpr_workgroup_info 0
		.amdhsa_system_vgpr_workitem_id 0
		.amdhsa_next_free_vgpr 1
		.amdhsa_next_free_sgpr 0
		.amdhsa_accum_offset 4
		.amdhsa_reserve_vcc 0
		.amdhsa_reserve_flat_scratch 0
		.amdhsa_float_round_mode_32 0
		.amdhsa_float_round_mode_16_64 0
		.amdhsa_float_denorm_mode_32 3
		.amdhsa_float_denorm_mode_16_64 3
		.amdhsa_dx10_clamp 1
		.amdhsa_ieee_mode 1
		.amdhsa_fp16_overflow 0
		.amdhsa_tg_split 0
		.amdhsa_exception_fp_ieee_invalid_op 0
		.amdhsa_exception_fp_denorm_src 0
		.amdhsa_exception_fp_ieee_div_zero 0
		.amdhsa_exception_fp_ieee_overflow 0
		.amdhsa_exception_fp_ieee_underflow 0
		.amdhsa_exception_fp_ieee_inexact 0
		.amdhsa_exception_int_div_zero 0
	.end_amdhsa_kernel
	.section	.text._ZN7rocprim17ROCPRIM_400000_NS6detail17trampoline_kernelINS0_14default_configENS1_27scan_by_key_config_selectorIssEEZZNS1_16scan_by_key_implILNS1_25lookback_scan_determinismE0ELb0ES3_N6thrust23THRUST_200600_302600_NS6detail15normal_iteratorINS9_10device_ptrIsEEEENS9_18transform_iteratorINS9_6negateIsEESE_NS9_11use_defaultESI_EESE_sNS9_4plusIvEENS9_8equal_toIvEEsEE10hipError_tPvRmT2_T3_T4_T5_mT6_T7_P12ihipStream_tbENKUlT_T0_E_clISt17integral_constantIbLb0EES14_EEDaSZ_S10_EUlSZ_E_NS1_11comp_targetILNS1_3genE2ELNS1_11target_archE906ELNS1_3gpuE6ELNS1_3repE0EEENS1_30default_config_static_selectorELNS0_4arch9wavefront6targetE1EEEvT1_,"axG",@progbits,_ZN7rocprim17ROCPRIM_400000_NS6detail17trampoline_kernelINS0_14default_configENS1_27scan_by_key_config_selectorIssEEZZNS1_16scan_by_key_implILNS1_25lookback_scan_determinismE0ELb0ES3_N6thrust23THRUST_200600_302600_NS6detail15normal_iteratorINS9_10device_ptrIsEEEENS9_18transform_iteratorINS9_6negateIsEESE_NS9_11use_defaultESI_EESE_sNS9_4plusIvEENS9_8equal_toIvEEsEE10hipError_tPvRmT2_T3_T4_T5_mT6_T7_P12ihipStream_tbENKUlT_T0_E_clISt17integral_constantIbLb0EES14_EEDaSZ_S10_EUlSZ_E_NS1_11comp_targetILNS1_3genE2ELNS1_11target_archE906ELNS1_3gpuE6ELNS1_3repE0EEENS1_30default_config_static_selectorELNS0_4arch9wavefront6targetE1EEEvT1_,comdat
.Lfunc_end970:
	.size	_ZN7rocprim17ROCPRIM_400000_NS6detail17trampoline_kernelINS0_14default_configENS1_27scan_by_key_config_selectorIssEEZZNS1_16scan_by_key_implILNS1_25lookback_scan_determinismE0ELb0ES3_N6thrust23THRUST_200600_302600_NS6detail15normal_iteratorINS9_10device_ptrIsEEEENS9_18transform_iteratorINS9_6negateIsEESE_NS9_11use_defaultESI_EESE_sNS9_4plusIvEENS9_8equal_toIvEEsEE10hipError_tPvRmT2_T3_T4_T5_mT6_T7_P12ihipStream_tbENKUlT_T0_E_clISt17integral_constantIbLb0EES14_EEDaSZ_S10_EUlSZ_E_NS1_11comp_targetILNS1_3genE2ELNS1_11target_archE906ELNS1_3gpuE6ELNS1_3repE0EEENS1_30default_config_static_selectorELNS0_4arch9wavefront6targetE1EEEvT1_, .Lfunc_end970-_ZN7rocprim17ROCPRIM_400000_NS6detail17trampoline_kernelINS0_14default_configENS1_27scan_by_key_config_selectorIssEEZZNS1_16scan_by_key_implILNS1_25lookback_scan_determinismE0ELb0ES3_N6thrust23THRUST_200600_302600_NS6detail15normal_iteratorINS9_10device_ptrIsEEEENS9_18transform_iteratorINS9_6negateIsEESE_NS9_11use_defaultESI_EESE_sNS9_4plusIvEENS9_8equal_toIvEEsEE10hipError_tPvRmT2_T3_T4_T5_mT6_T7_P12ihipStream_tbENKUlT_T0_E_clISt17integral_constantIbLb0EES14_EEDaSZ_S10_EUlSZ_E_NS1_11comp_targetILNS1_3genE2ELNS1_11target_archE906ELNS1_3gpuE6ELNS1_3repE0EEENS1_30default_config_static_selectorELNS0_4arch9wavefront6targetE1EEEvT1_
                                        ; -- End function
	.section	.AMDGPU.csdata,"",@progbits
; Kernel info:
; codeLenInByte = 0
; NumSgprs: 4
; NumVgprs: 0
; NumAgprs: 0
; TotalNumVgprs: 0
; ScratchSize: 0
; MemoryBound: 0
; FloatMode: 240
; IeeeMode: 1
; LDSByteSize: 0 bytes/workgroup (compile time only)
; SGPRBlocks: 0
; VGPRBlocks: 0
; NumSGPRsForWavesPerEU: 4
; NumVGPRsForWavesPerEU: 1
; AccumOffset: 4
; Occupancy: 8
; WaveLimiterHint : 0
; COMPUTE_PGM_RSRC2:SCRATCH_EN: 0
; COMPUTE_PGM_RSRC2:USER_SGPR: 6
; COMPUTE_PGM_RSRC2:TRAP_HANDLER: 0
; COMPUTE_PGM_RSRC2:TGID_X_EN: 1
; COMPUTE_PGM_RSRC2:TGID_Y_EN: 0
; COMPUTE_PGM_RSRC2:TGID_Z_EN: 0
; COMPUTE_PGM_RSRC2:TIDIG_COMP_CNT: 0
; COMPUTE_PGM_RSRC3_GFX90A:ACCUM_OFFSET: 0
; COMPUTE_PGM_RSRC3_GFX90A:TG_SPLIT: 0
	.section	.text._ZN7rocprim17ROCPRIM_400000_NS6detail17trampoline_kernelINS0_14default_configENS1_27scan_by_key_config_selectorIssEEZZNS1_16scan_by_key_implILNS1_25lookback_scan_determinismE0ELb0ES3_N6thrust23THRUST_200600_302600_NS6detail15normal_iteratorINS9_10device_ptrIsEEEENS9_18transform_iteratorINS9_6negateIsEESE_NS9_11use_defaultESI_EESE_sNS9_4plusIvEENS9_8equal_toIvEEsEE10hipError_tPvRmT2_T3_T4_T5_mT6_T7_P12ihipStream_tbENKUlT_T0_E_clISt17integral_constantIbLb0EES14_EEDaSZ_S10_EUlSZ_E_NS1_11comp_targetILNS1_3genE10ELNS1_11target_archE1200ELNS1_3gpuE4ELNS1_3repE0EEENS1_30default_config_static_selectorELNS0_4arch9wavefront6targetE1EEEvT1_,"axG",@progbits,_ZN7rocprim17ROCPRIM_400000_NS6detail17trampoline_kernelINS0_14default_configENS1_27scan_by_key_config_selectorIssEEZZNS1_16scan_by_key_implILNS1_25lookback_scan_determinismE0ELb0ES3_N6thrust23THRUST_200600_302600_NS6detail15normal_iteratorINS9_10device_ptrIsEEEENS9_18transform_iteratorINS9_6negateIsEESE_NS9_11use_defaultESI_EESE_sNS9_4plusIvEENS9_8equal_toIvEEsEE10hipError_tPvRmT2_T3_T4_T5_mT6_T7_P12ihipStream_tbENKUlT_T0_E_clISt17integral_constantIbLb0EES14_EEDaSZ_S10_EUlSZ_E_NS1_11comp_targetILNS1_3genE10ELNS1_11target_archE1200ELNS1_3gpuE4ELNS1_3repE0EEENS1_30default_config_static_selectorELNS0_4arch9wavefront6targetE1EEEvT1_,comdat
	.protected	_ZN7rocprim17ROCPRIM_400000_NS6detail17trampoline_kernelINS0_14default_configENS1_27scan_by_key_config_selectorIssEEZZNS1_16scan_by_key_implILNS1_25lookback_scan_determinismE0ELb0ES3_N6thrust23THRUST_200600_302600_NS6detail15normal_iteratorINS9_10device_ptrIsEEEENS9_18transform_iteratorINS9_6negateIsEESE_NS9_11use_defaultESI_EESE_sNS9_4plusIvEENS9_8equal_toIvEEsEE10hipError_tPvRmT2_T3_T4_T5_mT6_T7_P12ihipStream_tbENKUlT_T0_E_clISt17integral_constantIbLb0EES14_EEDaSZ_S10_EUlSZ_E_NS1_11comp_targetILNS1_3genE10ELNS1_11target_archE1200ELNS1_3gpuE4ELNS1_3repE0EEENS1_30default_config_static_selectorELNS0_4arch9wavefront6targetE1EEEvT1_ ; -- Begin function _ZN7rocprim17ROCPRIM_400000_NS6detail17trampoline_kernelINS0_14default_configENS1_27scan_by_key_config_selectorIssEEZZNS1_16scan_by_key_implILNS1_25lookback_scan_determinismE0ELb0ES3_N6thrust23THRUST_200600_302600_NS6detail15normal_iteratorINS9_10device_ptrIsEEEENS9_18transform_iteratorINS9_6negateIsEESE_NS9_11use_defaultESI_EESE_sNS9_4plusIvEENS9_8equal_toIvEEsEE10hipError_tPvRmT2_T3_T4_T5_mT6_T7_P12ihipStream_tbENKUlT_T0_E_clISt17integral_constantIbLb0EES14_EEDaSZ_S10_EUlSZ_E_NS1_11comp_targetILNS1_3genE10ELNS1_11target_archE1200ELNS1_3gpuE4ELNS1_3repE0EEENS1_30default_config_static_selectorELNS0_4arch9wavefront6targetE1EEEvT1_
	.globl	_ZN7rocprim17ROCPRIM_400000_NS6detail17trampoline_kernelINS0_14default_configENS1_27scan_by_key_config_selectorIssEEZZNS1_16scan_by_key_implILNS1_25lookback_scan_determinismE0ELb0ES3_N6thrust23THRUST_200600_302600_NS6detail15normal_iteratorINS9_10device_ptrIsEEEENS9_18transform_iteratorINS9_6negateIsEESE_NS9_11use_defaultESI_EESE_sNS9_4plusIvEENS9_8equal_toIvEEsEE10hipError_tPvRmT2_T3_T4_T5_mT6_T7_P12ihipStream_tbENKUlT_T0_E_clISt17integral_constantIbLb0EES14_EEDaSZ_S10_EUlSZ_E_NS1_11comp_targetILNS1_3genE10ELNS1_11target_archE1200ELNS1_3gpuE4ELNS1_3repE0EEENS1_30default_config_static_selectorELNS0_4arch9wavefront6targetE1EEEvT1_
	.p2align	8
	.type	_ZN7rocprim17ROCPRIM_400000_NS6detail17trampoline_kernelINS0_14default_configENS1_27scan_by_key_config_selectorIssEEZZNS1_16scan_by_key_implILNS1_25lookback_scan_determinismE0ELb0ES3_N6thrust23THRUST_200600_302600_NS6detail15normal_iteratorINS9_10device_ptrIsEEEENS9_18transform_iteratorINS9_6negateIsEESE_NS9_11use_defaultESI_EESE_sNS9_4plusIvEENS9_8equal_toIvEEsEE10hipError_tPvRmT2_T3_T4_T5_mT6_T7_P12ihipStream_tbENKUlT_T0_E_clISt17integral_constantIbLb0EES14_EEDaSZ_S10_EUlSZ_E_NS1_11comp_targetILNS1_3genE10ELNS1_11target_archE1200ELNS1_3gpuE4ELNS1_3repE0EEENS1_30default_config_static_selectorELNS0_4arch9wavefront6targetE1EEEvT1_,@function
_ZN7rocprim17ROCPRIM_400000_NS6detail17trampoline_kernelINS0_14default_configENS1_27scan_by_key_config_selectorIssEEZZNS1_16scan_by_key_implILNS1_25lookback_scan_determinismE0ELb0ES3_N6thrust23THRUST_200600_302600_NS6detail15normal_iteratorINS9_10device_ptrIsEEEENS9_18transform_iteratorINS9_6negateIsEESE_NS9_11use_defaultESI_EESE_sNS9_4plusIvEENS9_8equal_toIvEEsEE10hipError_tPvRmT2_T3_T4_T5_mT6_T7_P12ihipStream_tbENKUlT_T0_E_clISt17integral_constantIbLb0EES14_EEDaSZ_S10_EUlSZ_E_NS1_11comp_targetILNS1_3genE10ELNS1_11target_archE1200ELNS1_3gpuE4ELNS1_3repE0EEENS1_30default_config_static_selectorELNS0_4arch9wavefront6targetE1EEEvT1_: ; @_ZN7rocprim17ROCPRIM_400000_NS6detail17trampoline_kernelINS0_14default_configENS1_27scan_by_key_config_selectorIssEEZZNS1_16scan_by_key_implILNS1_25lookback_scan_determinismE0ELb0ES3_N6thrust23THRUST_200600_302600_NS6detail15normal_iteratorINS9_10device_ptrIsEEEENS9_18transform_iteratorINS9_6negateIsEESE_NS9_11use_defaultESI_EESE_sNS9_4plusIvEENS9_8equal_toIvEEsEE10hipError_tPvRmT2_T3_T4_T5_mT6_T7_P12ihipStream_tbENKUlT_T0_E_clISt17integral_constantIbLb0EES14_EEDaSZ_S10_EUlSZ_E_NS1_11comp_targetILNS1_3genE10ELNS1_11target_archE1200ELNS1_3gpuE4ELNS1_3repE0EEENS1_30default_config_static_selectorELNS0_4arch9wavefront6targetE1EEEvT1_
; %bb.0:
	.section	.rodata,"a",@progbits
	.p2align	6, 0x0
	.amdhsa_kernel _ZN7rocprim17ROCPRIM_400000_NS6detail17trampoline_kernelINS0_14default_configENS1_27scan_by_key_config_selectorIssEEZZNS1_16scan_by_key_implILNS1_25lookback_scan_determinismE0ELb0ES3_N6thrust23THRUST_200600_302600_NS6detail15normal_iteratorINS9_10device_ptrIsEEEENS9_18transform_iteratorINS9_6negateIsEESE_NS9_11use_defaultESI_EESE_sNS9_4plusIvEENS9_8equal_toIvEEsEE10hipError_tPvRmT2_T3_T4_T5_mT6_T7_P12ihipStream_tbENKUlT_T0_E_clISt17integral_constantIbLb0EES14_EEDaSZ_S10_EUlSZ_E_NS1_11comp_targetILNS1_3genE10ELNS1_11target_archE1200ELNS1_3gpuE4ELNS1_3repE0EEENS1_30default_config_static_selectorELNS0_4arch9wavefront6targetE1EEEvT1_
		.amdhsa_group_segment_fixed_size 0
		.amdhsa_private_segment_fixed_size 0
		.amdhsa_kernarg_size 120
		.amdhsa_user_sgpr_count 6
		.amdhsa_user_sgpr_private_segment_buffer 1
		.amdhsa_user_sgpr_dispatch_ptr 0
		.amdhsa_user_sgpr_queue_ptr 0
		.amdhsa_user_sgpr_kernarg_segment_ptr 1
		.amdhsa_user_sgpr_dispatch_id 0
		.amdhsa_user_sgpr_flat_scratch_init 0
		.amdhsa_user_sgpr_kernarg_preload_length 0
		.amdhsa_user_sgpr_kernarg_preload_offset 0
		.amdhsa_user_sgpr_private_segment_size 0
		.amdhsa_uses_dynamic_stack 0
		.amdhsa_system_sgpr_private_segment_wavefront_offset 0
		.amdhsa_system_sgpr_workgroup_id_x 1
		.amdhsa_system_sgpr_workgroup_id_y 0
		.amdhsa_system_sgpr_workgroup_id_z 0
		.amdhsa_system_sgpr_workgroup_info 0
		.amdhsa_system_vgpr_workitem_id 0
		.amdhsa_next_free_vgpr 1
		.amdhsa_next_free_sgpr 0
		.amdhsa_accum_offset 4
		.amdhsa_reserve_vcc 0
		.amdhsa_reserve_flat_scratch 0
		.amdhsa_float_round_mode_32 0
		.amdhsa_float_round_mode_16_64 0
		.amdhsa_float_denorm_mode_32 3
		.amdhsa_float_denorm_mode_16_64 3
		.amdhsa_dx10_clamp 1
		.amdhsa_ieee_mode 1
		.amdhsa_fp16_overflow 0
		.amdhsa_tg_split 0
		.amdhsa_exception_fp_ieee_invalid_op 0
		.amdhsa_exception_fp_denorm_src 0
		.amdhsa_exception_fp_ieee_div_zero 0
		.amdhsa_exception_fp_ieee_overflow 0
		.amdhsa_exception_fp_ieee_underflow 0
		.amdhsa_exception_fp_ieee_inexact 0
		.amdhsa_exception_int_div_zero 0
	.end_amdhsa_kernel
	.section	.text._ZN7rocprim17ROCPRIM_400000_NS6detail17trampoline_kernelINS0_14default_configENS1_27scan_by_key_config_selectorIssEEZZNS1_16scan_by_key_implILNS1_25lookback_scan_determinismE0ELb0ES3_N6thrust23THRUST_200600_302600_NS6detail15normal_iteratorINS9_10device_ptrIsEEEENS9_18transform_iteratorINS9_6negateIsEESE_NS9_11use_defaultESI_EESE_sNS9_4plusIvEENS9_8equal_toIvEEsEE10hipError_tPvRmT2_T3_T4_T5_mT6_T7_P12ihipStream_tbENKUlT_T0_E_clISt17integral_constantIbLb0EES14_EEDaSZ_S10_EUlSZ_E_NS1_11comp_targetILNS1_3genE10ELNS1_11target_archE1200ELNS1_3gpuE4ELNS1_3repE0EEENS1_30default_config_static_selectorELNS0_4arch9wavefront6targetE1EEEvT1_,"axG",@progbits,_ZN7rocprim17ROCPRIM_400000_NS6detail17trampoline_kernelINS0_14default_configENS1_27scan_by_key_config_selectorIssEEZZNS1_16scan_by_key_implILNS1_25lookback_scan_determinismE0ELb0ES3_N6thrust23THRUST_200600_302600_NS6detail15normal_iteratorINS9_10device_ptrIsEEEENS9_18transform_iteratorINS9_6negateIsEESE_NS9_11use_defaultESI_EESE_sNS9_4plusIvEENS9_8equal_toIvEEsEE10hipError_tPvRmT2_T3_T4_T5_mT6_T7_P12ihipStream_tbENKUlT_T0_E_clISt17integral_constantIbLb0EES14_EEDaSZ_S10_EUlSZ_E_NS1_11comp_targetILNS1_3genE10ELNS1_11target_archE1200ELNS1_3gpuE4ELNS1_3repE0EEENS1_30default_config_static_selectorELNS0_4arch9wavefront6targetE1EEEvT1_,comdat
.Lfunc_end971:
	.size	_ZN7rocprim17ROCPRIM_400000_NS6detail17trampoline_kernelINS0_14default_configENS1_27scan_by_key_config_selectorIssEEZZNS1_16scan_by_key_implILNS1_25lookback_scan_determinismE0ELb0ES3_N6thrust23THRUST_200600_302600_NS6detail15normal_iteratorINS9_10device_ptrIsEEEENS9_18transform_iteratorINS9_6negateIsEESE_NS9_11use_defaultESI_EESE_sNS9_4plusIvEENS9_8equal_toIvEEsEE10hipError_tPvRmT2_T3_T4_T5_mT6_T7_P12ihipStream_tbENKUlT_T0_E_clISt17integral_constantIbLb0EES14_EEDaSZ_S10_EUlSZ_E_NS1_11comp_targetILNS1_3genE10ELNS1_11target_archE1200ELNS1_3gpuE4ELNS1_3repE0EEENS1_30default_config_static_selectorELNS0_4arch9wavefront6targetE1EEEvT1_, .Lfunc_end971-_ZN7rocprim17ROCPRIM_400000_NS6detail17trampoline_kernelINS0_14default_configENS1_27scan_by_key_config_selectorIssEEZZNS1_16scan_by_key_implILNS1_25lookback_scan_determinismE0ELb0ES3_N6thrust23THRUST_200600_302600_NS6detail15normal_iteratorINS9_10device_ptrIsEEEENS9_18transform_iteratorINS9_6negateIsEESE_NS9_11use_defaultESI_EESE_sNS9_4plusIvEENS9_8equal_toIvEEsEE10hipError_tPvRmT2_T3_T4_T5_mT6_T7_P12ihipStream_tbENKUlT_T0_E_clISt17integral_constantIbLb0EES14_EEDaSZ_S10_EUlSZ_E_NS1_11comp_targetILNS1_3genE10ELNS1_11target_archE1200ELNS1_3gpuE4ELNS1_3repE0EEENS1_30default_config_static_selectorELNS0_4arch9wavefront6targetE1EEEvT1_
                                        ; -- End function
	.section	.AMDGPU.csdata,"",@progbits
; Kernel info:
; codeLenInByte = 0
; NumSgprs: 4
; NumVgprs: 0
; NumAgprs: 0
; TotalNumVgprs: 0
; ScratchSize: 0
; MemoryBound: 0
; FloatMode: 240
; IeeeMode: 1
; LDSByteSize: 0 bytes/workgroup (compile time only)
; SGPRBlocks: 0
; VGPRBlocks: 0
; NumSGPRsForWavesPerEU: 4
; NumVGPRsForWavesPerEU: 1
; AccumOffset: 4
; Occupancy: 8
; WaveLimiterHint : 0
; COMPUTE_PGM_RSRC2:SCRATCH_EN: 0
; COMPUTE_PGM_RSRC2:USER_SGPR: 6
; COMPUTE_PGM_RSRC2:TRAP_HANDLER: 0
; COMPUTE_PGM_RSRC2:TGID_X_EN: 1
; COMPUTE_PGM_RSRC2:TGID_Y_EN: 0
; COMPUTE_PGM_RSRC2:TGID_Z_EN: 0
; COMPUTE_PGM_RSRC2:TIDIG_COMP_CNT: 0
; COMPUTE_PGM_RSRC3_GFX90A:ACCUM_OFFSET: 0
; COMPUTE_PGM_RSRC3_GFX90A:TG_SPLIT: 0
	.section	.text._ZN7rocprim17ROCPRIM_400000_NS6detail17trampoline_kernelINS0_14default_configENS1_27scan_by_key_config_selectorIssEEZZNS1_16scan_by_key_implILNS1_25lookback_scan_determinismE0ELb0ES3_N6thrust23THRUST_200600_302600_NS6detail15normal_iteratorINS9_10device_ptrIsEEEENS9_18transform_iteratorINS9_6negateIsEESE_NS9_11use_defaultESI_EESE_sNS9_4plusIvEENS9_8equal_toIvEEsEE10hipError_tPvRmT2_T3_T4_T5_mT6_T7_P12ihipStream_tbENKUlT_T0_E_clISt17integral_constantIbLb0EES14_EEDaSZ_S10_EUlSZ_E_NS1_11comp_targetILNS1_3genE9ELNS1_11target_archE1100ELNS1_3gpuE3ELNS1_3repE0EEENS1_30default_config_static_selectorELNS0_4arch9wavefront6targetE1EEEvT1_,"axG",@progbits,_ZN7rocprim17ROCPRIM_400000_NS6detail17trampoline_kernelINS0_14default_configENS1_27scan_by_key_config_selectorIssEEZZNS1_16scan_by_key_implILNS1_25lookback_scan_determinismE0ELb0ES3_N6thrust23THRUST_200600_302600_NS6detail15normal_iteratorINS9_10device_ptrIsEEEENS9_18transform_iteratorINS9_6negateIsEESE_NS9_11use_defaultESI_EESE_sNS9_4plusIvEENS9_8equal_toIvEEsEE10hipError_tPvRmT2_T3_T4_T5_mT6_T7_P12ihipStream_tbENKUlT_T0_E_clISt17integral_constantIbLb0EES14_EEDaSZ_S10_EUlSZ_E_NS1_11comp_targetILNS1_3genE9ELNS1_11target_archE1100ELNS1_3gpuE3ELNS1_3repE0EEENS1_30default_config_static_selectorELNS0_4arch9wavefront6targetE1EEEvT1_,comdat
	.protected	_ZN7rocprim17ROCPRIM_400000_NS6detail17trampoline_kernelINS0_14default_configENS1_27scan_by_key_config_selectorIssEEZZNS1_16scan_by_key_implILNS1_25lookback_scan_determinismE0ELb0ES3_N6thrust23THRUST_200600_302600_NS6detail15normal_iteratorINS9_10device_ptrIsEEEENS9_18transform_iteratorINS9_6negateIsEESE_NS9_11use_defaultESI_EESE_sNS9_4plusIvEENS9_8equal_toIvEEsEE10hipError_tPvRmT2_T3_T4_T5_mT6_T7_P12ihipStream_tbENKUlT_T0_E_clISt17integral_constantIbLb0EES14_EEDaSZ_S10_EUlSZ_E_NS1_11comp_targetILNS1_3genE9ELNS1_11target_archE1100ELNS1_3gpuE3ELNS1_3repE0EEENS1_30default_config_static_selectorELNS0_4arch9wavefront6targetE1EEEvT1_ ; -- Begin function _ZN7rocprim17ROCPRIM_400000_NS6detail17trampoline_kernelINS0_14default_configENS1_27scan_by_key_config_selectorIssEEZZNS1_16scan_by_key_implILNS1_25lookback_scan_determinismE0ELb0ES3_N6thrust23THRUST_200600_302600_NS6detail15normal_iteratorINS9_10device_ptrIsEEEENS9_18transform_iteratorINS9_6negateIsEESE_NS9_11use_defaultESI_EESE_sNS9_4plusIvEENS9_8equal_toIvEEsEE10hipError_tPvRmT2_T3_T4_T5_mT6_T7_P12ihipStream_tbENKUlT_T0_E_clISt17integral_constantIbLb0EES14_EEDaSZ_S10_EUlSZ_E_NS1_11comp_targetILNS1_3genE9ELNS1_11target_archE1100ELNS1_3gpuE3ELNS1_3repE0EEENS1_30default_config_static_selectorELNS0_4arch9wavefront6targetE1EEEvT1_
	.globl	_ZN7rocprim17ROCPRIM_400000_NS6detail17trampoline_kernelINS0_14default_configENS1_27scan_by_key_config_selectorIssEEZZNS1_16scan_by_key_implILNS1_25lookback_scan_determinismE0ELb0ES3_N6thrust23THRUST_200600_302600_NS6detail15normal_iteratorINS9_10device_ptrIsEEEENS9_18transform_iteratorINS9_6negateIsEESE_NS9_11use_defaultESI_EESE_sNS9_4plusIvEENS9_8equal_toIvEEsEE10hipError_tPvRmT2_T3_T4_T5_mT6_T7_P12ihipStream_tbENKUlT_T0_E_clISt17integral_constantIbLb0EES14_EEDaSZ_S10_EUlSZ_E_NS1_11comp_targetILNS1_3genE9ELNS1_11target_archE1100ELNS1_3gpuE3ELNS1_3repE0EEENS1_30default_config_static_selectorELNS0_4arch9wavefront6targetE1EEEvT1_
	.p2align	8
	.type	_ZN7rocprim17ROCPRIM_400000_NS6detail17trampoline_kernelINS0_14default_configENS1_27scan_by_key_config_selectorIssEEZZNS1_16scan_by_key_implILNS1_25lookback_scan_determinismE0ELb0ES3_N6thrust23THRUST_200600_302600_NS6detail15normal_iteratorINS9_10device_ptrIsEEEENS9_18transform_iteratorINS9_6negateIsEESE_NS9_11use_defaultESI_EESE_sNS9_4plusIvEENS9_8equal_toIvEEsEE10hipError_tPvRmT2_T3_T4_T5_mT6_T7_P12ihipStream_tbENKUlT_T0_E_clISt17integral_constantIbLb0EES14_EEDaSZ_S10_EUlSZ_E_NS1_11comp_targetILNS1_3genE9ELNS1_11target_archE1100ELNS1_3gpuE3ELNS1_3repE0EEENS1_30default_config_static_selectorELNS0_4arch9wavefront6targetE1EEEvT1_,@function
_ZN7rocprim17ROCPRIM_400000_NS6detail17trampoline_kernelINS0_14default_configENS1_27scan_by_key_config_selectorIssEEZZNS1_16scan_by_key_implILNS1_25lookback_scan_determinismE0ELb0ES3_N6thrust23THRUST_200600_302600_NS6detail15normal_iteratorINS9_10device_ptrIsEEEENS9_18transform_iteratorINS9_6negateIsEESE_NS9_11use_defaultESI_EESE_sNS9_4plusIvEENS9_8equal_toIvEEsEE10hipError_tPvRmT2_T3_T4_T5_mT6_T7_P12ihipStream_tbENKUlT_T0_E_clISt17integral_constantIbLb0EES14_EEDaSZ_S10_EUlSZ_E_NS1_11comp_targetILNS1_3genE9ELNS1_11target_archE1100ELNS1_3gpuE3ELNS1_3repE0EEENS1_30default_config_static_selectorELNS0_4arch9wavefront6targetE1EEEvT1_: ; @_ZN7rocprim17ROCPRIM_400000_NS6detail17trampoline_kernelINS0_14default_configENS1_27scan_by_key_config_selectorIssEEZZNS1_16scan_by_key_implILNS1_25lookback_scan_determinismE0ELb0ES3_N6thrust23THRUST_200600_302600_NS6detail15normal_iteratorINS9_10device_ptrIsEEEENS9_18transform_iteratorINS9_6negateIsEESE_NS9_11use_defaultESI_EESE_sNS9_4plusIvEENS9_8equal_toIvEEsEE10hipError_tPvRmT2_T3_T4_T5_mT6_T7_P12ihipStream_tbENKUlT_T0_E_clISt17integral_constantIbLb0EES14_EEDaSZ_S10_EUlSZ_E_NS1_11comp_targetILNS1_3genE9ELNS1_11target_archE1100ELNS1_3gpuE3ELNS1_3repE0EEENS1_30default_config_static_selectorELNS0_4arch9wavefront6targetE1EEEvT1_
; %bb.0:
	.section	.rodata,"a",@progbits
	.p2align	6, 0x0
	.amdhsa_kernel _ZN7rocprim17ROCPRIM_400000_NS6detail17trampoline_kernelINS0_14default_configENS1_27scan_by_key_config_selectorIssEEZZNS1_16scan_by_key_implILNS1_25lookback_scan_determinismE0ELb0ES3_N6thrust23THRUST_200600_302600_NS6detail15normal_iteratorINS9_10device_ptrIsEEEENS9_18transform_iteratorINS9_6negateIsEESE_NS9_11use_defaultESI_EESE_sNS9_4plusIvEENS9_8equal_toIvEEsEE10hipError_tPvRmT2_T3_T4_T5_mT6_T7_P12ihipStream_tbENKUlT_T0_E_clISt17integral_constantIbLb0EES14_EEDaSZ_S10_EUlSZ_E_NS1_11comp_targetILNS1_3genE9ELNS1_11target_archE1100ELNS1_3gpuE3ELNS1_3repE0EEENS1_30default_config_static_selectorELNS0_4arch9wavefront6targetE1EEEvT1_
		.amdhsa_group_segment_fixed_size 0
		.amdhsa_private_segment_fixed_size 0
		.amdhsa_kernarg_size 120
		.amdhsa_user_sgpr_count 6
		.amdhsa_user_sgpr_private_segment_buffer 1
		.amdhsa_user_sgpr_dispatch_ptr 0
		.amdhsa_user_sgpr_queue_ptr 0
		.amdhsa_user_sgpr_kernarg_segment_ptr 1
		.amdhsa_user_sgpr_dispatch_id 0
		.amdhsa_user_sgpr_flat_scratch_init 0
		.amdhsa_user_sgpr_kernarg_preload_length 0
		.amdhsa_user_sgpr_kernarg_preload_offset 0
		.amdhsa_user_sgpr_private_segment_size 0
		.amdhsa_uses_dynamic_stack 0
		.amdhsa_system_sgpr_private_segment_wavefront_offset 0
		.amdhsa_system_sgpr_workgroup_id_x 1
		.amdhsa_system_sgpr_workgroup_id_y 0
		.amdhsa_system_sgpr_workgroup_id_z 0
		.amdhsa_system_sgpr_workgroup_info 0
		.amdhsa_system_vgpr_workitem_id 0
		.amdhsa_next_free_vgpr 1
		.amdhsa_next_free_sgpr 0
		.amdhsa_accum_offset 4
		.amdhsa_reserve_vcc 0
		.amdhsa_reserve_flat_scratch 0
		.amdhsa_float_round_mode_32 0
		.amdhsa_float_round_mode_16_64 0
		.amdhsa_float_denorm_mode_32 3
		.amdhsa_float_denorm_mode_16_64 3
		.amdhsa_dx10_clamp 1
		.amdhsa_ieee_mode 1
		.amdhsa_fp16_overflow 0
		.amdhsa_tg_split 0
		.amdhsa_exception_fp_ieee_invalid_op 0
		.amdhsa_exception_fp_denorm_src 0
		.amdhsa_exception_fp_ieee_div_zero 0
		.amdhsa_exception_fp_ieee_overflow 0
		.amdhsa_exception_fp_ieee_underflow 0
		.amdhsa_exception_fp_ieee_inexact 0
		.amdhsa_exception_int_div_zero 0
	.end_amdhsa_kernel
	.section	.text._ZN7rocprim17ROCPRIM_400000_NS6detail17trampoline_kernelINS0_14default_configENS1_27scan_by_key_config_selectorIssEEZZNS1_16scan_by_key_implILNS1_25lookback_scan_determinismE0ELb0ES3_N6thrust23THRUST_200600_302600_NS6detail15normal_iteratorINS9_10device_ptrIsEEEENS9_18transform_iteratorINS9_6negateIsEESE_NS9_11use_defaultESI_EESE_sNS9_4plusIvEENS9_8equal_toIvEEsEE10hipError_tPvRmT2_T3_T4_T5_mT6_T7_P12ihipStream_tbENKUlT_T0_E_clISt17integral_constantIbLb0EES14_EEDaSZ_S10_EUlSZ_E_NS1_11comp_targetILNS1_3genE9ELNS1_11target_archE1100ELNS1_3gpuE3ELNS1_3repE0EEENS1_30default_config_static_selectorELNS0_4arch9wavefront6targetE1EEEvT1_,"axG",@progbits,_ZN7rocprim17ROCPRIM_400000_NS6detail17trampoline_kernelINS0_14default_configENS1_27scan_by_key_config_selectorIssEEZZNS1_16scan_by_key_implILNS1_25lookback_scan_determinismE0ELb0ES3_N6thrust23THRUST_200600_302600_NS6detail15normal_iteratorINS9_10device_ptrIsEEEENS9_18transform_iteratorINS9_6negateIsEESE_NS9_11use_defaultESI_EESE_sNS9_4plusIvEENS9_8equal_toIvEEsEE10hipError_tPvRmT2_T3_T4_T5_mT6_T7_P12ihipStream_tbENKUlT_T0_E_clISt17integral_constantIbLb0EES14_EEDaSZ_S10_EUlSZ_E_NS1_11comp_targetILNS1_3genE9ELNS1_11target_archE1100ELNS1_3gpuE3ELNS1_3repE0EEENS1_30default_config_static_selectorELNS0_4arch9wavefront6targetE1EEEvT1_,comdat
.Lfunc_end972:
	.size	_ZN7rocprim17ROCPRIM_400000_NS6detail17trampoline_kernelINS0_14default_configENS1_27scan_by_key_config_selectorIssEEZZNS1_16scan_by_key_implILNS1_25lookback_scan_determinismE0ELb0ES3_N6thrust23THRUST_200600_302600_NS6detail15normal_iteratorINS9_10device_ptrIsEEEENS9_18transform_iteratorINS9_6negateIsEESE_NS9_11use_defaultESI_EESE_sNS9_4plusIvEENS9_8equal_toIvEEsEE10hipError_tPvRmT2_T3_T4_T5_mT6_T7_P12ihipStream_tbENKUlT_T0_E_clISt17integral_constantIbLb0EES14_EEDaSZ_S10_EUlSZ_E_NS1_11comp_targetILNS1_3genE9ELNS1_11target_archE1100ELNS1_3gpuE3ELNS1_3repE0EEENS1_30default_config_static_selectorELNS0_4arch9wavefront6targetE1EEEvT1_, .Lfunc_end972-_ZN7rocprim17ROCPRIM_400000_NS6detail17trampoline_kernelINS0_14default_configENS1_27scan_by_key_config_selectorIssEEZZNS1_16scan_by_key_implILNS1_25lookback_scan_determinismE0ELb0ES3_N6thrust23THRUST_200600_302600_NS6detail15normal_iteratorINS9_10device_ptrIsEEEENS9_18transform_iteratorINS9_6negateIsEESE_NS9_11use_defaultESI_EESE_sNS9_4plusIvEENS9_8equal_toIvEEsEE10hipError_tPvRmT2_T3_T4_T5_mT6_T7_P12ihipStream_tbENKUlT_T0_E_clISt17integral_constantIbLb0EES14_EEDaSZ_S10_EUlSZ_E_NS1_11comp_targetILNS1_3genE9ELNS1_11target_archE1100ELNS1_3gpuE3ELNS1_3repE0EEENS1_30default_config_static_selectorELNS0_4arch9wavefront6targetE1EEEvT1_
                                        ; -- End function
	.section	.AMDGPU.csdata,"",@progbits
; Kernel info:
; codeLenInByte = 0
; NumSgprs: 4
; NumVgprs: 0
; NumAgprs: 0
; TotalNumVgprs: 0
; ScratchSize: 0
; MemoryBound: 0
; FloatMode: 240
; IeeeMode: 1
; LDSByteSize: 0 bytes/workgroup (compile time only)
; SGPRBlocks: 0
; VGPRBlocks: 0
; NumSGPRsForWavesPerEU: 4
; NumVGPRsForWavesPerEU: 1
; AccumOffset: 4
; Occupancy: 8
; WaveLimiterHint : 0
; COMPUTE_PGM_RSRC2:SCRATCH_EN: 0
; COMPUTE_PGM_RSRC2:USER_SGPR: 6
; COMPUTE_PGM_RSRC2:TRAP_HANDLER: 0
; COMPUTE_PGM_RSRC2:TGID_X_EN: 1
; COMPUTE_PGM_RSRC2:TGID_Y_EN: 0
; COMPUTE_PGM_RSRC2:TGID_Z_EN: 0
; COMPUTE_PGM_RSRC2:TIDIG_COMP_CNT: 0
; COMPUTE_PGM_RSRC3_GFX90A:ACCUM_OFFSET: 0
; COMPUTE_PGM_RSRC3_GFX90A:TG_SPLIT: 0
	.section	.text._ZN7rocprim17ROCPRIM_400000_NS6detail17trampoline_kernelINS0_14default_configENS1_27scan_by_key_config_selectorIssEEZZNS1_16scan_by_key_implILNS1_25lookback_scan_determinismE0ELb0ES3_N6thrust23THRUST_200600_302600_NS6detail15normal_iteratorINS9_10device_ptrIsEEEENS9_18transform_iteratorINS9_6negateIsEESE_NS9_11use_defaultESI_EESE_sNS9_4plusIvEENS9_8equal_toIvEEsEE10hipError_tPvRmT2_T3_T4_T5_mT6_T7_P12ihipStream_tbENKUlT_T0_E_clISt17integral_constantIbLb0EES14_EEDaSZ_S10_EUlSZ_E_NS1_11comp_targetILNS1_3genE8ELNS1_11target_archE1030ELNS1_3gpuE2ELNS1_3repE0EEENS1_30default_config_static_selectorELNS0_4arch9wavefront6targetE1EEEvT1_,"axG",@progbits,_ZN7rocprim17ROCPRIM_400000_NS6detail17trampoline_kernelINS0_14default_configENS1_27scan_by_key_config_selectorIssEEZZNS1_16scan_by_key_implILNS1_25lookback_scan_determinismE0ELb0ES3_N6thrust23THRUST_200600_302600_NS6detail15normal_iteratorINS9_10device_ptrIsEEEENS9_18transform_iteratorINS9_6negateIsEESE_NS9_11use_defaultESI_EESE_sNS9_4plusIvEENS9_8equal_toIvEEsEE10hipError_tPvRmT2_T3_T4_T5_mT6_T7_P12ihipStream_tbENKUlT_T0_E_clISt17integral_constantIbLb0EES14_EEDaSZ_S10_EUlSZ_E_NS1_11comp_targetILNS1_3genE8ELNS1_11target_archE1030ELNS1_3gpuE2ELNS1_3repE0EEENS1_30default_config_static_selectorELNS0_4arch9wavefront6targetE1EEEvT1_,comdat
	.protected	_ZN7rocprim17ROCPRIM_400000_NS6detail17trampoline_kernelINS0_14default_configENS1_27scan_by_key_config_selectorIssEEZZNS1_16scan_by_key_implILNS1_25lookback_scan_determinismE0ELb0ES3_N6thrust23THRUST_200600_302600_NS6detail15normal_iteratorINS9_10device_ptrIsEEEENS9_18transform_iteratorINS9_6negateIsEESE_NS9_11use_defaultESI_EESE_sNS9_4plusIvEENS9_8equal_toIvEEsEE10hipError_tPvRmT2_T3_T4_T5_mT6_T7_P12ihipStream_tbENKUlT_T0_E_clISt17integral_constantIbLb0EES14_EEDaSZ_S10_EUlSZ_E_NS1_11comp_targetILNS1_3genE8ELNS1_11target_archE1030ELNS1_3gpuE2ELNS1_3repE0EEENS1_30default_config_static_selectorELNS0_4arch9wavefront6targetE1EEEvT1_ ; -- Begin function _ZN7rocprim17ROCPRIM_400000_NS6detail17trampoline_kernelINS0_14default_configENS1_27scan_by_key_config_selectorIssEEZZNS1_16scan_by_key_implILNS1_25lookback_scan_determinismE0ELb0ES3_N6thrust23THRUST_200600_302600_NS6detail15normal_iteratorINS9_10device_ptrIsEEEENS9_18transform_iteratorINS9_6negateIsEESE_NS9_11use_defaultESI_EESE_sNS9_4plusIvEENS9_8equal_toIvEEsEE10hipError_tPvRmT2_T3_T4_T5_mT6_T7_P12ihipStream_tbENKUlT_T0_E_clISt17integral_constantIbLb0EES14_EEDaSZ_S10_EUlSZ_E_NS1_11comp_targetILNS1_3genE8ELNS1_11target_archE1030ELNS1_3gpuE2ELNS1_3repE0EEENS1_30default_config_static_selectorELNS0_4arch9wavefront6targetE1EEEvT1_
	.globl	_ZN7rocprim17ROCPRIM_400000_NS6detail17trampoline_kernelINS0_14default_configENS1_27scan_by_key_config_selectorIssEEZZNS1_16scan_by_key_implILNS1_25lookback_scan_determinismE0ELb0ES3_N6thrust23THRUST_200600_302600_NS6detail15normal_iteratorINS9_10device_ptrIsEEEENS9_18transform_iteratorINS9_6negateIsEESE_NS9_11use_defaultESI_EESE_sNS9_4plusIvEENS9_8equal_toIvEEsEE10hipError_tPvRmT2_T3_T4_T5_mT6_T7_P12ihipStream_tbENKUlT_T0_E_clISt17integral_constantIbLb0EES14_EEDaSZ_S10_EUlSZ_E_NS1_11comp_targetILNS1_3genE8ELNS1_11target_archE1030ELNS1_3gpuE2ELNS1_3repE0EEENS1_30default_config_static_selectorELNS0_4arch9wavefront6targetE1EEEvT1_
	.p2align	8
	.type	_ZN7rocprim17ROCPRIM_400000_NS6detail17trampoline_kernelINS0_14default_configENS1_27scan_by_key_config_selectorIssEEZZNS1_16scan_by_key_implILNS1_25lookback_scan_determinismE0ELb0ES3_N6thrust23THRUST_200600_302600_NS6detail15normal_iteratorINS9_10device_ptrIsEEEENS9_18transform_iteratorINS9_6negateIsEESE_NS9_11use_defaultESI_EESE_sNS9_4plusIvEENS9_8equal_toIvEEsEE10hipError_tPvRmT2_T3_T4_T5_mT6_T7_P12ihipStream_tbENKUlT_T0_E_clISt17integral_constantIbLb0EES14_EEDaSZ_S10_EUlSZ_E_NS1_11comp_targetILNS1_3genE8ELNS1_11target_archE1030ELNS1_3gpuE2ELNS1_3repE0EEENS1_30default_config_static_selectorELNS0_4arch9wavefront6targetE1EEEvT1_,@function
_ZN7rocprim17ROCPRIM_400000_NS6detail17trampoline_kernelINS0_14default_configENS1_27scan_by_key_config_selectorIssEEZZNS1_16scan_by_key_implILNS1_25lookback_scan_determinismE0ELb0ES3_N6thrust23THRUST_200600_302600_NS6detail15normal_iteratorINS9_10device_ptrIsEEEENS9_18transform_iteratorINS9_6negateIsEESE_NS9_11use_defaultESI_EESE_sNS9_4plusIvEENS9_8equal_toIvEEsEE10hipError_tPvRmT2_T3_T4_T5_mT6_T7_P12ihipStream_tbENKUlT_T0_E_clISt17integral_constantIbLb0EES14_EEDaSZ_S10_EUlSZ_E_NS1_11comp_targetILNS1_3genE8ELNS1_11target_archE1030ELNS1_3gpuE2ELNS1_3repE0EEENS1_30default_config_static_selectorELNS0_4arch9wavefront6targetE1EEEvT1_: ; @_ZN7rocprim17ROCPRIM_400000_NS6detail17trampoline_kernelINS0_14default_configENS1_27scan_by_key_config_selectorIssEEZZNS1_16scan_by_key_implILNS1_25lookback_scan_determinismE0ELb0ES3_N6thrust23THRUST_200600_302600_NS6detail15normal_iteratorINS9_10device_ptrIsEEEENS9_18transform_iteratorINS9_6negateIsEESE_NS9_11use_defaultESI_EESE_sNS9_4plusIvEENS9_8equal_toIvEEsEE10hipError_tPvRmT2_T3_T4_T5_mT6_T7_P12ihipStream_tbENKUlT_T0_E_clISt17integral_constantIbLb0EES14_EEDaSZ_S10_EUlSZ_E_NS1_11comp_targetILNS1_3genE8ELNS1_11target_archE1030ELNS1_3gpuE2ELNS1_3repE0EEENS1_30default_config_static_selectorELNS0_4arch9wavefront6targetE1EEEvT1_
; %bb.0:
	.section	.rodata,"a",@progbits
	.p2align	6, 0x0
	.amdhsa_kernel _ZN7rocprim17ROCPRIM_400000_NS6detail17trampoline_kernelINS0_14default_configENS1_27scan_by_key_config_selectorIssEEZZNS1_16scan_by_key_implILNS1_25lookback_scan_determinismE0ELb0ES3_N6thrust23THRUST_200600_302600_NS6detail15normal_iteratorINS9_10device_ptrIsEEEENS9_18transform_iteratorINS9_6negateIsEESE_NS9_11use_defaultESI_EESE_sNS9_4plusIvEENS9_8equal_toIvEEsEE10hipError_tPvRmT2_T3_T4_T5_mT6_T7_P12ihipStream_tbENKUlT_T0_E_clISt17integral_constantIbLb0EES14_EEDaSZ_S10_EUlSZ_E_NS1_11comp_targetILNS1_3genE8ELNS1_11target_archE1030ELNS1_3gpuE2ELNS1_3repE0EEENS1_30default_config_static_selectorELNS0_4arch9wavefront6targetE1EEEvT1_
		.amdhsa_group_segment_fixed_size 0
		.amdhsa_private_segment_fixed_size 0
		.amdhsa_kernarg_size 120
		.amdhsa_user_sgpr_count 6
		.amdhsa_user_sgpr_private_segment_buffer 1
		.amdhsa_user_sgpr_dispatch_ptr 0
		.amdhsa_user_sgpr_queue_ptr 0
		.amdhsa_user_sgpr_kernarg_segment_ptr 1
		.amdhsa_user_sgpr_dispatch_id 0
		.amdhsa_user_sgpr_flat_scratch_init 0
		.amdhsa_user_sgpr_kernarg_preload_length 0
		.amdhsa_user_sgpr_kernarg_preload_offset 0
		.amdhsa_user_sgpr_private_segment_size 0
		.amdhsa_uses_dynamic_stack 0
		.amdhsa_system_sgpr_private_segment_wavefront_offset 0
		.amdhsa_system_sgpr_workgroup_id_x 1
		.amdhsa_system_sgpr_workgroup_id_y 0
		.amdhsa_system_sgpr_workgroup_id_z 0
		.amdhsa_system_sgpr_workgroup_info 0
		.amdhsa_system_vgpr_workitem_id 0
		.amdhsa_next_free_vgpr 1
		.amdhsa_next_free_sgpr 0
		.amdhsa_accum_offset 4
		.amdhsa_reserve_vcc 0
		.amdhsa_reserve_flat_scratch 0
		.amdhsa_float_round_mode_32 0
		.amdhsa_float_round_mode_16_64 0
		.amdhsa_float_denorm_mode_32 3
		.amdhsa_float_denorm_mode_16_64 3
		.amdhsa_dx10_clamp 1
		.amdhsa_ieee_mode 1
		.amdhsa_fp16_overflow 0
		.amdhsa_tg_split 0
		.amdhsa_exception_fp_ieee_invalid_op 0
		.amdhsa_exception_fp_denorm_src 0
		.amdhsa_exception_fp_ieee_div_zero 0
		.amdhsa_exception_fp_ieee_overflow 0
		.amdhsa_exception_fp_ieee_underflow 0
		.amdhsa_exception_fp_ieee_inexact 0
		.amdhsa_exception_int_div_zero 0
	.end_amdhsa_kernel
	.section	.text._ZN7rocprim17ROCPRIM_400000_NS6detail17trampoline_kernelINS0_14default_configENS1_27scan_by_key_config_selectorIssEEZZNS1_16scan_by_key_implILNS1_25lookback_scan_determinismE0ELb0ES3_N6thrust23THRUST_200600_302600_NS6detail15normal_iteratorINS9_10device_ptrIsEEEENS9_18transform_iteratorINS9_6negateIsEESE_NS9_11use_defaultESI_EESE_sNS9_4plusIvEENS9_8equal_toIvEEsEE10hipError_tPvRmT2_T3_T4_T5_mT6_T7_P12ihipStream_tbENKUlT_T0_E_clISt17integral_constantIbLb0EES14_EEDaSZ_S10_EUlSZ_E_NS1_11comp_targetILNS1_3genE8ELNS1_11target_archE1030ELNS1_3gpuE2ELNS1_3repE0EEENS1_30default_config_static_selectorELNS0_4arch9wavefront6targetE1EEEvT1_,"axG",@progbits,_ZN7rocprim17ROCPRIM_400000_NS6detail17trampoline_kernelINS0_14default_configENS1_27scan_by_key_config_selectorIssEEZZNS1_16scan_by_key_implILNS1_25lookback_scan_determinismE0ELb0ES3_N6thrust23THRUST_200600_302600_NS6detail15normal_iteratorINS9_10device_ptrIsEEEENS9_18transform_iteratorINS9_6negateIsEESE_NS9_11use_defaultESI_EESE_sNS9_4plusIvEENS9_8equal_toIvEEsEE10hipError_tPvRmT2_T3_T4_T5_mT6_T7_P12ihipStream_tbENKUlT_T0_E_clISt17integral_constantIbLb0EES14_EEDaSZ_S10_EUlSZ_E_NS1_11comp_targetILNS1_3genE8ELNS1_11target_archE1030ELNS1_3gpuE2ELNS1_3repE0EEENS1_30default_config_static_selectorELNS0_4arch9wavefront6targetE1EEEvT1_,comdat
.Lfunc_end973:
	.size	_ZN7rocprim17ROCPRIM_400000_NS6detail17trampoline_kernelINS0_14default_configENS1_27scan_by_key_config_selectorIssEEZZNS1_16scan_by_key_implILNS1_25lookback_scan_determinismE0ELb0ES3_N6thrust23THRUST_200600_302600_NS6detail15normal_iteratorINS9_10device_ptrIsEEEENS9_18transform_iteratorINS9_6negateIsEESE_NS9_11use_defaultESI_EESE_sNS9_4plusIvEENS9_8equal_toIvEEsEE10hipError_tPvRmT2_T3_T4_T5_mT6_T7_P12ihipStream_tbENKUlT_T0_E_clISt17integral_constantIbLb0EES14_EEDaSZ_S10_EUlSZ_E_NS1_11comp_targetILNS1_3genE8ELNS1_11target_archE1030ELNS1_3gpuE2ELNS1_3repE0EEENS1_30default_config_static_selectorELNS0_4arch9wavefront6targetE1EEEvT1_, .Lfunc_end973-_ZN7rocprim17ROCPRIM_400000_NS6detail17trampoline_kernelINS0_14default_configENS1_27scan_by_key_config_selectorIssEEZZNS1_16scan_by_key_implILNS1_25lookback_scan_determinismE0ELb0ES3_N6thrust23THRUST_200600_302600_NS6detail15normal_iteratorINS9_10device_ptrIsEEEENS9_18transform_iteratorINS9_6negateIsEESE_NS9_11use_defaultESI_EESE_sNS9_4plusIvEENS9_8equal_toIvEEsEE10hipError_tPvRmT2_T3_T4_T5_mT6_T7_P12ihipStream_tbENKUlT_T0_E_clISt17integral_constantIbLb0EES14_EEDaSZ_S10_EUlSZ_E_NS1_11comp_targetILNS1_3genE8ELNS1_11target_archE1030ELNS1_3gpuE2ELNS1_3repE0EEENS1_30default_config_static_selectorELNS0_4arch9wavefront6targetE1EEEvT1_
                                        ; -- End function
	.section	.AMDGPU.csdata,"",@progbits
; Kernel info:
; codeLenInByte = 0
; NumSgprs: 4
; NumVgprs: 0
; NumAgprs: 0
; TotalNumVgprs: 0
; ScratchSize: 0
; MemoryBound: 0
; FloatMode: 240
; IeeeMode: 1
; LDSByteSize: 0 bytes/workgroup (compile time only)
; SGPRBlocks: 0
; VGPRBlocks: 0
; NumSGPRsForWavesPerEU: 4
; NumVGPRsForWavesPerEU: 1
; AccumOffset: 4
; Occupancy: 8
; WaveLimiterHint : 0
; COMPUTE_PGM_RSRC2:SCRATCH_EN: 0
; COMPUTE_PGM_RSRC2:USER_SGPR: 6
; COMPUTE_PGM_RSRC2:TRAP_HANDLER: 0
; COMPUTE_PGM_RSRC2:TGID_X_EN: 1
; COMPUTE_PGM_RSRC2:TGID_Y_EN: 0
; COMPUTE_PGM_RSRC2:TGID_Z_EN: 0
; COMPUTE_PGM_RSRC2:TIDIG_COMP_CNT: 0
; COMPUTE_PGM_RSRC3_GFX90A:ACCUM_OFFSET: 0
; COMPUTE_PGM_RSRC3_GFX90A:TG_SPLIT: 0
	.section	.text._ZN7rocprim17ROCPRIM_400000_NS6detail17trampoline_kernelINS0_14default_configENS1_27scan_by_key_config_selectorIssEEZZNS1_16scan_by_key_implILNS1_25lookback_scan_determinismE0ELb0ES3_N6thrust23THRUST_200600_302600_NS6detail15normal_iteratorINS9_10device_ptrIsEEEENS9_18transform_iteratorINS9_6negateIsEESE_NS9_11use_defaultESI_EESE_sNS9_4plusIvEENS9_8equal_toIvEEsEE10hipError_tPvRmT2_T3_T4_T5_mT6_T7_P12ihipStream_tbENKUlT_T0_E_clISt17integral_constantIbLb1EES14_EEDaSZ_S10_EUlSZ_E_NS1_11comp_targetILNS1_3genE0ELNS1_11target_archE4294967295ELNS1_3gpuE0ELNS1_3repE0EEENS1_30default_config_static_selectorELNS0_4arch9wavefront6targetE1EEEvT1_,"axG",@progbits,_ZN7rocprim17ROCPRIM_400000_NS6detail17trampoline_kernelINS0_14default_configENS1_27scan_by_key_config_selectorIssEEZZNS1_16scan_by_key_implILNS1_25lookback_scan_determinismE0ELb0ES3_N6thrust23THRUST_200600_302600_NS6detail15normal_iteratorINS9_10device_ptrIsEEEENS9_18transform_iteratorINS9_6negateIsEESE_NS9_11use_defaultESI_EESE_sNS9_4plusIvEENS9_8equal_toIvEEsEE10hipError_tPvRmT2_T3_T4_T5_mT6_T7_P12ihipStream_tbENKUlT_T0_E_clISt17integral_constantIbLb1EES14_EEDaSZ_S10_EUlSZ_E_NS1_11comp_targetILNS1_3genE0ELNS1_11target_archE4294967295ELNS1_3gpuE0ELNS1_3repE0EEENS1_30default_config_static_selectorELNS0_4arch9wavefront6targetE1EEEvT1_,comdat
	.protected	_ZN7rocprim17ROCPRIM_400000_NS6detail17trampoline_kernelINS0_14default_configENS1_27scan_by_key_config_selectorIssEEZZNS1_16scan_by_key_implILNS1_25lookback_scan_determinismE0ELb0ES3_N6thrust23THRUST_200600_302600_NS6detail15normal_iteratorINS9_10device_ptrIsEEEENS9_18transform_iteratorINS9_6negateIsEESE_NS9_11use_defaultESI_EESE_sNS9_4plusIvEENS9_8equal_toIvEEsEE10hipError_tPvRmT2_T3_T4_T5_mT6_T7_P12ihipStream_tbENKUlT_T0_E_clISt17integral_constantIbLb1EES14_EEDaSZ_S10_EUlSZ_E_NS1_11comp_targetILNS1_3genE0ELNS1_11target_archE4294967295ELNS1_3gpuE0ELNS1_3repE0EEENS1_30default_config_static_selectorELNS0_4arch9wavefront6targetE1EEEvT1_ ; -- Begin function _ZN7rocprim17ROCPRIM_400000_NS6detail17trampoline_kernelINS0_14default_configENS1_27scan_by_key_config_selectorIssEEZZNS1_16scan_by_key_implILNS1_25lookback_scan_determinismE0ELb0ES3_N6thrust23THRUST_200600_302600_NS6detail15normal_iteratorINS9_10device_ptrIsEEEENS9_18transform_iteratorINS9_6negateIsEESE_NS9_11use_defaultESI_EESE_sNS9_4plusIvEENS9_8equal_toIvEEsEE10hipError_tPvRmT2_T3_T4_T5_mT6_T7_P12ihipStream_tbENKUlT_T0_E_clISt17integral_constantIbLb1EES14_EEDaSZ_S10_EUlSZ_E_NS1_11comp_targetILNS1_3genE0ELNS1_11target_archE4294967295ELNS1_3gpuE0ELNS1_3repE0EEENS1_30default_config_static_selectorELNS0_4arch9wavefront6targetE1EEEvT1_
	.globl	_ZN7rocprim17ROCPRIM_400000_NS6detail17trampoline_kernelINS0_14default_configENS1_27scan_by_key_config_selectorIssEEZZNS1_16scan_by_key_implILNS1_25lookback_scan_determinismE0ELb0ES3_N6thrust23THRUST_200600_302600_NS6detail15normal_iteratorINS9_10device_ptrIsEEEENS9_18transform_iteratorINS9_6negateIsEESE_NS9_11use_defaultESI_EESE_sNS9_4plusIvEENS9_8equal_toIvEEsEE10hipError_tPvRmT2_T3_T4_T5_mT6_T7_P12ihipStream_tbENKUlT_T0_E_clISt17integral_constantIbLb1EES14_EEDaSZ_S10_EUlSZ_E_NS1_11comp_targetILNS1_3genE0ELNS1_11target_archE4294967295ELNS1_3gpuE0ELNS1_3repE0EEENS1_30default_config_static_selectorELNS0_4arch9wavefront6targetE1EEEvT1_
	.p2align	8
	.type	_ZN7rocprim17ROCPRIM_400000_NS6detail17trampoline_kernelINS0_14default_configENS1_27scan_by_key_config_selectorIssEEZZNS1_16scan_by_key_implILNS1_25lookback_scan_determinismE0ELb0ES3_N6thrust23THRUST_200600_302600_NS6detail15normal_iteratorINS9_10device_ptrIsEEEENS9_18transform_iteratorINS9_6negateIsEESE_NS9_11use_defaultESI_EESE_sNS9_4plusIvEENS9_8equal_toIvEEsEE10hipError_tPvRmT2_T3_T4_T5_mT6_T7_P12ihipStream_tbENKUlT_T0_E_clISt17integral_constantIbLb1EES14_EEDaSZ_S10_EUlSZ_E_NS1_11comp_targetILNS1_3genE0ELNS1_11target_archE4294967295ELNS1_3gpuE0ELNS1_3repE0EEENS1_30default_config_static_selectorELNS0_4arch9wavefront6targetE1EEEvT1_,@function
_ZN7rocprim17ROCPRIM_400000_NS6detail17trampoline_kernelINS0_14default_configENS1_27scan_by_key_config_selectorIssEEZZNS1_16scan_by_key_implILNS1_25lookback_scan_determinismE0ELb0ES3_N6thrust23THRUST_200600_302600_NS6detail15normal_iteratorINS9_10device_ptrIsEEEENS9_18transform_iteratorINS9_6negateIsEESE_NS9_11use_defaultESI_EESE_sNS9_4plusIvEENS9_8equal_toIvEEsEE10hipError_tPvRmT2_T3_T4_T5_mT6_T7_P12ihipStream_tbENKUlT_T0_E_clISt17integral_constantIbLb1EES14_EEDaSZ_S10_EUlSZ_E_NS1_11comp_targetILNS1_3genE0ELNS1_11target_archE4294967295ELNS1_3gpuE0ELNS1_3repE0EEENS1_30default_config_static_selectorELNS0_4arch9wavefront6targetE1EEEvT1_: ; @_ZN7rocprim17ROCPRIM_400000_NS6detail17trampoline_kernelINS0_14default_configENS1_27scan_by_key_config_selectorIssEEZZNS1_16scan_by_key_implILNS1_25lookback_scan_determinismE0ELb0ES3_N6thrust23THRUST_200600_302600_NS6detail15normal_iteratorINS9_10device_ptrIsEEEENS9_18transform_iteratorINS9_6negateIsEESE_NS9_11use_defaultESI_EESE_sNS9_4plusIvEENS9_8equal_toIvEEsEE10hipError_tPvRmT2_T3_T4_T5_mT6_T7_P12ihipStream_tbENKUlT_T0_E_clISt17integral_constantIbLb1EES14_EEDaSZ_S10_EUlSZ_E_NS1_11comp_targetILNS1_3genE0ELNS1_11target_archE4294967295ELNS1_3gpuE0ELNS1_3repE0EEENS1_30default_config_static_selectorELNS0_4arch9wavefront6targetE1EEEvT1_
; %bb.0:
	.section	.rodata,"a",@progbits
	.p2align	6, 0x0
	.amdhsa_kernel _ZN7rocprim17ROCPRIM_400000_NS6detail17trampoline_kernelINS0_14default_configENS1_27scan_by_key_config_selectorIssEEZZNS1_16scan_by_key_implILNS1_25lookback_scan_determinismE0ELb0ES3_N6thrust23THRUST_200600_302600_NS6detail15normal_iteratorINS9_10device_ptrIsEEEENS9_18transform_iteratorINS9_6negateIsEESE_NS9_11use_defaultESI_EESE_sNS9_4plusIvEENS9_8equal_toIvEEsEE10hipError_tPvRmT2_T3_T4_T5_mT6_T7_P12ihipStream_tbENKUlT_T0_E_clISt17integral_constantIbLb1EES14_EEDaSZ_S10_EUlSZ_E_NS1_11comp_targetILNS1_3genE0ELNS1_11target_archE4294967295ELNS1_3gpuE0ELNS1_3repE0EEENS1_30default_config_static_selectorELNS0_4arch9wavefront6targetE1EEEvT1_
		.amdhsa_group_segment_fixed_size 0
		.amdhsa_private_segment_fixed_size 0
		.amdhsa_kernarg_size 120
		.amdhsa_user_sgpr_count 6
		.amdhsa_user_sgpr_private_segment_buffer 1
		.amdhsa_user_sgpr_dispatch_ptr 0
		.amdhsa_user_sgpr_queue_ptr 0
		.amdhsa_user_sgpr_kernarg_segment_ptr 1
		.amdhsa_user_sgpr_dispatch_id 0
		.amdhsa_user_sgpr_flat_scratch_init 0
		.amdhsa_user_sgpr_kernarg_preload_length 0
		.amdhsa_user_sgpr_kernarg_preload_offset 0
		.amdhsa_user_sgpr_private_segment_size 0
		.amdhsa_uses_dynamic_stack 0
		.amdhsa_system_sgpr_private_segment_wavefront_offset 0
		.amdhsa_system_sgpr_workgroup_id_x 1
		.amdhsa_system_sgpr_workgroup_id_y 0
		.amdhsa_system_sgpr_workgroup_id_z 0
		.amdhsa_system_sgpr_workgroup_info 0
		.amdhsa_system_vgpr_workitem_id 0
		.amdhsa_next_free_vgpr 1
		.amdhsa_next_free_sgpr 0
		.amdhsa_accum_offset 4
		.amdhsa_reserve_vcc 0
		.amdhsa_reserve_flat_scratch 0
		.amdhsa_float_round_mode_32 0
		.amdhsa_float_round_mode_16_64 0
		.amdhsa_float_denorm_mode_32 3
		.amdhsa_float_denorm_mode_16_64 3
		.amdhsa_dx10_clamp 1
		.amdhsa_ieee_mode 1
		.amdhsa_fp16_overflow 0
		.amdhsa_tg_split 0
		.amdhsa_exception_fp_ieee_invalid_op 0
		.amdhsa_exception_fp_denorm_src 0
		.amdhsa_exception_fp_ieee_div_zero 0
		.amdhsa_exception_fp_ieee_overflow 0
		.amdhsa_exception_fp_ieee_underflow 0
		.amdhsa_exception_fp_ieee_inexact 0
		.amdhsa_exception_int_div_zero 0
	.end_amdhsa_kernel
	.section	.text._ZN7rocprim17ROCPRIM_400000_NS6detail17trampoline_kernelINS0_14default_configENS1_27scan_by_key_config_selectorIssEEZZNS1_16scan_by_key_implILNS1_25lookback_scan_determinismE0ELb0ES3_N6thrust23THRUST_200600_302600_NS6detail15normal_iteratorINS9_10device_ptrIsEEEENS9_18transform_iteratorINS9_6negateIsEESE_NS9_11use_defaultESI_EESE_sNS9_4plusIvEENS9_8equal_toIvEEsEE10hipError_tPvRmT2_T3_T4_T5_mT6_T7_P12ihipStream_tbENKUlT_T0_E_clISt17integral_constantIbLb1EES14_EEDaSZ_S10_EUlSZ_E_NS1_11comp_targetILNS1_3genE0ELNS1_11target_archE4294967295ELNS1_3gpuE0ELNS1_3repE0EEENS1_30default_config_static_selectorELNS0_4arch9wavefront6targetE1EEEvT1_,"axG",@progbits,_ZN7rocprim17ROCPRIM_400000_NS6detail17trampoline_kernelINS0_14default_configENS1_27scan_by_key_config_selectorIssEEZZNS1_16scan_by_key_implILNS1_25lookback_scan_determinismE0ELb0ES3_N6thrust23THRUST_200600_302600_NS6detail15normal_iteratorINS9_10device_ptrIsEEEENS9_18transform_iteratorINS9_6negateIsEESE_NS9_11use_defaultESI_EESE_sNS9_4plusIvEENS9_8equal_toIvEEsEE10hipError_tPvRmT2_T3_T4_T5_mT6_T7_P12ihipStream_tbENKUlT_T0_E_clISt17integral_constantIbLb1EES14_EEDaSZ_S10_EUlSZ_E_NS1_11comp_targetILNS1_3genE0ELNS1_11target_archE4294967295ELNS1_3gpuE0ELNS1_3repE0EEENS1_30default_config_static_selectorELNS0_4arch9wavefront6targetE1EEEvT1_,comdat
.Lfunc_end974:
	.size	_ZN7rocprim17ROCPRIM_400000_NS6detail17trampoline_kernelINS0_14default_configENS1_27scan_by_key_config_selectorIssEEZZNS1_16scan_by_key_implILNS1_25lookback_scan_determinismE0ELb0ES3_N6thrust23THRUST_200600_302600_NS6detail15normal_iteratorINS9_10device_ptrIsEEEENS9_18transform_iteratorINS9_6negateIsEESE_NS9_11use_defaultESI_EESE_sNS9_4plusIvEENS9_8equal_toIvEEsEE10hipError_tPvRmT2_T3_T4_T5_mT6_T7_P12ihipStream_tbENKUlT_T0_E_clISt17integral_constantIbLb1EES14_EEDaSZ_S10_EUlSZ_E_NS1_11comp_targetILNS1_3genE0ELNS1_11target_archE4294967295ELNS1_3gpuE0ELNS1_3repE0EEENS1_30default_config_static_selectorELNS0_4arch9wavefront6targetE1EEEvT1_, .Lfunc_end974-_ZN7rocprim17ROCPRIM_400000_NS6detail17trampoline_kernelINS0_14default_configENS1_27scan_by_key_config_selectorIssEEZZNS1_16scan_by_key_implILNS1_25lookback_scan_determinismE0ELb0ES3_N6thrust23THRUST_200600_302600_NS6detail15normal_iteratorINS9_10device_ptrIsEEEENS9_18transform_iteratorINS9_6negateIsEESE_NS9_11use_defaultESI_EESE_sNS9_4plusIvEENS9_8equal_toIvEEsEE10hipError_tPvRmT2_T3_T4_T5_mT6_T7_P12ihipStream_tbENKUlT_T0_E_clISt17integral_constantIbLb1EES14_EEDaSZ_S10_EUlSZ_E_NS1_11comp_targetILNS1_3genE0ELNS1_11target_archE4294967295ELNS1_3gpuE0ELNS1_3repE0EEENS1_30default_config_static_selectorELNS0_4arch9wavefront6targetE1EEEvT1_
                                        ; -- End function
	.section	.AMDGPU.csdata,"",@progbits
; Kernel info:
; codeLenInByte = 0
; NumSgprs: 4
; NumVgprs: 0
; NumAgprs: 0
; TotalNumVgprs: 0
; ScratchSize: 0
; MemoryBound: 0
; FloatMode: 240
; IeeeMode: 1
; LDSByteSize: 0 bytes/workgroup (compile time only)
; SGPRBlocks: 0
; VGPRBlocks: 0
; NumSGPRsForWavesPerEU: 4
; NumVGPRsForWavesPerEU: 1
; AccumOffset: 4
; Occupancy: 8
; WaveLimiterHint : 0
; COMPUTE_PGM_RSRC2:SCRATCH_EN: 0
; COMPUTE_PGM_RSRC2:USER_SGPR: 6
; COMPUTE_PGM_RSRC2:TRAP_HANDLER: 0
; COMPUTE_PGM_RSRC2:TGID_X_EN: 1
; COMPUTE_PGM_RSRC2:TGID_Y_EN: 0
; COMPUTE_PGM_RSRC2:TGID_Z_EN: 0
; COMPUTE_PGM_RSRC2:TIDIG_COMP_CNT: 0
; COMPUTE_PGM_RSRC3_GFX90A:ACCUM_OFFSET: 0
; COMPUTE_PGM_RSRC3_GFX90A:TG_SPLIT: 0
	.section	.text._ZN7rocprim17ROCPRIM_400000_NS6detail17trampoline_kernelINS0_14default_configENS1_27scan_by_key_config_selectorIssEEZZNS1_16scan_by_key_implILNS1_25lookback_scan_determinismE0ELb0ES3_N6thrust23THRUST_200600_302600_NS6detail15normal_iteratorINS9_10device_ptrIsEEEENS9_18transform_iteratorINS9_6negateIsEESE_NS9_11use_defaultESI_EESE_sNS9_4plusIvEENS9_8equal_toIvEEsEE10hipError_tPvRmT2_T3_T4_T5_mT6_T7_P12ihipStream_tbENKUlT_T0_E_clISt17integral_constantIbLb1EES14_EEDaSZ_S10_EUlSZ_E_NS1_11comp_targetILNS1_3genE10ELNS1_11target_archE1201ELNS1_3gpuE5ELNS1_3repE0EEENS1_30default_config_static_selectorELNS0_4arch9wavefront6targetE1EEEvT1_,"axG",@progbits,_ZN7rocprim17ROCPRIM_400000_NS6detail17trampoline_kernelINS0_14default_configENS1_27scan_by_key_config_selectorIssEEZZNS1_16scan_by_key_implILNS1_25lookback_scan_determinismE0ELb0ES3_N6thrust23THRUST_200600_302600_NS6detail15normal_iteratorINS9_10device_ptrIsEEEENS9_18transform_iteratorINS9_6negateIsEESE_NS9_11use_defaultESI_EESE_sNS9_4plusIvEENS9_8equal_toIvEEsEE10hipError_tPvRmT2_T3_T4_T5_mT6_T7_P12ihipStream_tbENKUlT_T0_E_clISt17integral_constantIbLb1EES14_EEDaSZ_S10_EUlSZ_E_NS1_11comp_targetILNS1_3genE10ELNS1_11target_archE1201ELNS1_3gpuE5ELNS1_3repE0EEENS1_30default_config_static_selectorELNS0_4arch9wavefront6targetE1EEEvT1_,comdat
	.protected	_ZN7rocprim17ROCPRIM_400000_NS6detail17trampoline_kernelINS0_14default_configENS1_27scan_by_key_config_selectorIssEEZZNS1_16scan_by_key_implILNS1_25lookback_scan_determinismE0ELb0ES3_N6thrust23THRUST_200600_302600_NS6detail15normal_iteratorINS9_10device_ptrIsEEEENS9_18transform_iteratorINS9_6negateIsEESE_NS9_11use_defaultESI_EESE_sNS9_4plusIvEENS9_8equal_toIvEEsEE10hipError_tPvRmT2_T3_T4_T5_mT6_T7_P12ihipStream_tbENKUlT_T0_E_clISt17integral_constantIbLb1EES14_EEDaSZ_S10_EUlSZ_E_NS1_11comp_targetILNS1_3genE10ELNS1_11target_archE1201ELNS1_3gpuE5ELNS1_3repE0EEENS1_30default_config_static_selectorELNS0_4arch9wavefront6targetE1EEEvT1_ ; -- Begin function _ZN7rocprim17ROCPRIM_400000_NS6detail17trampoline_kernelINS0_14default_configENS1_27scan_by_key_config_selectorIssEEZZNS1_16scan_by_key_implILNS1_25lookback_scan_determinismE0ELb0ES3_N6thrust23THRUST_200600_302600_NS6detail15normal_iteratorINS9_10device_ptrIsEEEENS9_18transform_iteratorINS9_6negateIsEESE_NS9_11use_defaultESI_EESE_sNS9_4plusIvEENS9_8equal_toIvEEsEE10hipError_tPvRmT2_T3_T4_T5_mT6_T7_P12ihipStream_tbENKUlT_T0_E_clISt17integral_constantIbLb1EES14_EEDaSZ_S10_EUlSZ_E_NS1_11comp_targetILNS1_3genE10ELNS1_11target_archE1201ELNS1_3gpuE5ELNS1_3repE0EEENS1_30default_config_static_selectorELNS0_4arch9wavefront6targetE1EEEvT1_
	.globl	_ZN7rocprim17ROCPRIM_400000_NS6detail17trampoline_kernelINS0_14default_configENS1_27scan_by_key_config_selectorIssEEZZNS1_16scan_by_key_implILNS1_25lookback_scan_determinismE0ELb0ES3_N6thrust23THRUST_200600_302600_NS6detail15normal_iteratorINS9_10device_ptrIsEEEENS9_18transform_iteratorINS9_6negateIsEESE_NS9_11use_defaultESI_EESE_sNS9_4plusIvEENS9_8equal_toIvEEsEE10hipError_tPvRmT2_T3_T4_T5_mT6_T7_P12ihipStream_tbENKUlT_T0_E_clISt17integral_constantIbLb1EES14_EEDaSZ_S10_EUlSZ_E_NS1_11comp_targetILNS1_3genE10ELNS1_11target_archE1201ELNS1_3gpuE5ELNS1_3repE0EEENS1_30default_config_static_selectorELNS0_4arch9wavefront6targetE1EEEvT1_
	.p2align	8
	.type	_ZN7rocprim17ROCPRIM_400000_NS6detail17trampoline_kernelINS0_14default_configENS1_27scan_by_key_config_selectorIssEEZZNS1_16scan_by_key_implILNS1_25lookback_scan_determinismE0ELb0ES3_N6thrust23THRUST_200600_302600_NS6detail15normal_iteratorINS9_10device_ptrIsEEEENS9_18transform_iteratorINS9_6negateIsEESE_NS9_11use_defaultESI_EESE_sNS9_4plusIvEENS9_8equal_toIvEEsEE10hipError_tPvRmT2_T3_T4_T5_mT6_T7_P12ihipStream_tbENKUlT_T0_E_clISt17integral_constantIbLb1EES14_EEDaSZ_S10_EUlSZ_E_NS1_11comp_targetILNS1_3genE10ELNS1_11target_archE1201ELNS1_3gpuE5ELNS1_3repE0EEENS1_30default_config_static_selectorELNS0_4arch9wavefront6targetE1EEEvT1_,@function
_ZN7rocprim17ROCPRIM_400000_NS6detail17trampoline_kernelINS0_14default_configENS1_27scan_by_key_config_selectorIssEEZZNS1_16scan_by_key_implILNS1_25lookback_scan_determinismE0ELb0ES3_N6thrust23THRUST_200600_302600_NS6detail15normal_iteratorINS9_10device_ptrIsEEEENS9_18transform_iteratorINS9_6negateIsEESE_NS9_11use_defaultESI_EESE_sNS9_4plusIvEENS9_8equal_toIvEEsEE10hipError_tPvRmT2_T3_T4_T5_mT6_T7_P12ihipStream_tbENKUlT_T0_E_clISt17integral_constantIbLb1EES14_EEDaSZ_S10_EUlSZ_E_NS1_11comp_targetILNS1_3genE10ELNS1_11target_archE1201ELNS1_3gpuE5ELNS1_3repE0EEENS1_30default_config_static_selectorELNS0_4arch9wavefront6targetE1EEEvT1_: ; @_ZN7rocprim17ROCPRIM_400000_NS6detail17trampoline_kernelINS0_14default_configENS1_27scan_by_key_config_selectorIssEEZZNS1_16scan_by_key_implILNS1_25lookback_scan_determinismE0ELb0ES3_N6thrust23THRUST_200600_302600_NS6detail15normal_iteratorINS9_10device_ptrIsEEEENS9_18transform_iteratorINS9_6negateIsEESE_NS9_11use_defaultESI_EESE_sNS9_4plusIvEENS9_8equal_toIvEEsEE10hipError_tPvRmT2_T3_T4_T5_mT6_T7_P12ihipStream_tbENKUlT_T0_E_clISt17integral_constantIbLb1EES14_EEDaSZ_S10_EUlSZ_E_NS1_11comp_targetILNS1_3genE10ELNS1_11target_archE1201ELNS1_3gpuE5ELNS1_3repE0EEENS1_30default_config_static_selectorELNS0_4arch9wavefront6targetE1EEEvT1_
; %bb.0:
	.section	.rodata,"a",@progbits
	.p2align	6, 0x0
	.amdhsa_kernel _ZN7rocprim17ROCPRIM_400000_NS6detail17trampoline_kernelINS0_14default_configENS1_27scan_by_key_config_selectorIssEEZZNS1_16scan_by_key_implILNS1_25lookback_scan_determinismE0ELb0ES3_N6thrust23THRUST_200600_302600_NS6detail15normal_iteratorINS9_10device_ptrIsEEEENS9_18transform_iteratorINS9_6negateIsEESE_NS9_11use_defaultESI_EESE_sNS9_4plusIvEENS9_8equal_toIvEEsEE10hipError_tPvRmT2_T3_T4_T5_mT6_T7_P12ihipStream_tbENKUlT_T0_E_clISt17integral_constantIbLb1EES14_EEDaSZ_S10_EUlSZ_E_NS1_11comp_targetILNS1_3genE10ELNS1_11target_archE1201ELNS1_3gpuE5ELNS1_3repE0EEENS1_30default_config_static_selectorELNS0_4arch9wavefront6targetE1EEEvT1_
		.amdhsa_group_segment_fixed_size 0
		.amdhsa_private_segment_fixed_size 0
		.amdhsa_kernarg_size 120
		.amdhsa_user_sgpr_count 6
		.amdhsa_user_sgpr_private_segment_buffer 1
		.amdhsa_user_sgpr_dispatch_ptr 0
		.amdhsa_user_sgpr_queue_ptr 0
		.amdhsa_user_sgpr_kernarg_segment_ptr 1
		.amdhsa_user_sgpr_dispatch_id 0
		.amdhsa_user_sgpr_flat_scratch_init 0
		.amdhsa_user_sgpr_kernarg_preload_length 0
		.amdhsa_user_sgpr_kernarg_preload_offset 0
		.amdhsa_user_sgpr_private_segment_size 0
		.amdhsa_uses_dynamic_stack 0
		.amdhsa_system_sgpr_private_segment_wavefront_offset 0
		.amdhsa_system_sgpr_workgroup_id_x 1
		.amdhsa_system_sgpr_workgroup_id_y 0
		.amdhsa_system_sgpr_workgroup_id_z 0
		.amdhsa_system_sgpr_workgroup_info 0
		.amdhsa_system_vgpr_workitem_id 0
		.amdhsa_next_free_vgpr 1
		.amdhsa_next_free_sgpr 0
		.amdhsa_accum_offset 4
		.amdhsa_reserve_vcc 0
		.amdhsa_reserve_flat_scratch 0
		.amdhsa_float_round_mode_32 0
		.amdhsa_float_round_mode_16_64 0
		.amdhsa_float_denorm_mode_32 3
		.amdhsa_float_denorm_mode_16_64 3
		.amdhsa_dx10_clamp 1
		.amdhsa_ieee_mode 1
		.amdhsa_fp16_overflow 0
		.amdhsa_tg_split 0
		.amdhsa_exception_fp_ieee_invalid_op 0
		.amdhsa_exception_fp_denorm_src 0
		.amdhsa_exception_fp_ieee_div_zero 0
		.amdhsa_exception_fp_ieee_overflow 0
		.amdhsa_exception_fp_ieee_underflow 0
		.amdhsa_exception_fp_ieee_inexact 0
		.amdhsa_exception_int_div_zero 0
	.end_amdhsa_kernel
	.section	.text._ZN7rocprim17ROCPRIM_400000_NS6detail17trampoline_kernelINS0_14default_configENS1_27scan_by_key_config_selectorIssEEZZNS1_16scan_by_key_implILNS1_25lookback_scan_determinismE0ELb0ES3_N6thrust23THRUST_200600_302600_NS6detail15normal_iteratorINS9_10device_ptrIsEEEENS9_18transform_iteratorINS9_6negateIsEESE_NS9_11use_defaultESI_EESE_sNS9_4plusIvEENS9_8equal_toIvEEsEE10hipError_tPvRmT2_T3_T4_T5_mT6_T7_P12ihipStream_tbENKUlT_T0_E_clISt17integral_constantIbLb1EES14_EEDaSZ_S10_EUlSZ_E_NS1_11comp_targetILNS1_3genE10ELNS1_11target_archE1201ELNS1_3gpuE5ELNS1_3repE0EEENS1_30default_config_static_selectorELNS0_4arch9wavefront6targetE1EEEvT1_,"axG",@progbits,_ZN7rocprim17ROCPRIM_400000_NS6detail17trampoline_kernelINS0_14default_configENS1_27scan_by_key_config_selectorIssEEZZNS1_16scan_by_key_implILNS1_25lookback_scan_determinismE0ELb0ES3_N6thrust23THRUST_200600_302600_NS6detail15normal_iteratorINS9_10device_ptrIsEEEENS9_18transform_iteratorINS9_6negateIsEESE_NS9_11use_defaultESI_EESE_sNS9_4plusIvEENS9_8equal_toIvEEsEE10hipError_tPvRmT2_T3_T4_T5_mT6_T7_P12ihipStream_tbENKUlT_T0_E_clISt17integral_constantIbLb1EES14_EEDaSZ_S10_EUlSZ_E_NS1_11comp_targetILNS1_3genE10ELNS1_11target_archE1201ELNS1_3gpuE5ELNS1_3repE0EEENS1_30default_config_static_selectorELNS0_4arch9wavefront6targetE1EEEvT1_,comdat
.Lfunc_end975:
	.size	_ZN7rocprim17ROCPRIM_400000_NS6detail17trampoline_kernelINS0_14default_configENS1_27scan_by_key_config_selectorIssEEZZNS1_16scan_by_key_implILNS1_25lookback_scan_determinismE0ELb0ES3_N6thrust23THRUST_200600_302600_NS6detail15normal_iteratorINS9_10device_ptrIsEEEENS9_18transform_iteratorINS9_6negateIsEESE_NS9_11use_defaultESI_EESE_sNS9_4plusIvEENS9_8equal_toIvEEsEE10hipError_tPvRmT2_T3_T4_T5_mT6_T7_P12ihipStream_tbENKUlT_T0_E_clISt17integral_constantIbLb1EES14_EEDaSZ_S10_EUlSZ_E_NS1_11comp_targetILNS1_3genE10ELNS1_11target_archE1201ELNS1_3gpuE5ELNS1_3repE0EEENS1_30default_config_static_selectorELNS0_4arch9wavefront6targetE1EEEvT1_, .Lfunc_end975-_ZN7rocprim17ROCPRIM_400000_NS6detail17trampoline_kernelINS0_14default_configENS1_27scan_by_key_config_selectorIssEEZZNS1_16scan_by_key_implILNS1_25lookback_scan_determinismE0ELb0ES3_N6thrust23THRUST_200600_302600_NS6detail15normal_iteratorINS9_10device_ptrIsEEEENS9_18transform_iteratorINS9_6negateIsEESE_NS9_11use_defaultESI_EESE_sNS9_4plusIvEENS9_8equal_toIvEEsEE10hipError_tPvRmT2_T3_T4_T5_mT6_T7_P12ihipStream_tbENKUlT_T0_E_clISt17integral_constantIbLb1EES14_EEDaSZ_S10_EUlSZ_E_NS1_11comp_targetILNS1_3genE10ELNS1_11target_archE1201ELNS1_3gpuE5ELNS1_3repE0EEENS1_30default_config_static_selectorELNS0_4arch9wavefront6targetE1EEEvT1_
                                        ; -- End function
	.section	.AMDGPU.csdata,"",@progbits
; Kernel info:
; codeLenInByte = 0
; NumSgprs: 4
; NumVgprs: 0
; NumAgprs: 0
; TotalNumVgprs: 0
; ScratchSize: 0
; MemoryBound: 0
; FloatMode: 240
; IeeeMode: 1
; LDSByteSize: 0 bytes/workgroup (compile time only)
; SGPRBlocks: 0
; VGPRBlocks: 0
; NumSGPRsForWavesPerEU: 4
; NumVGPRsForWavesPerEU: 1
; AccumOffset: 4
; Occupancy: 8
; WaveLimiterHint : 0
; COMPUTE_PGM_RSRC2:SCRATCH_EN: 0
; COMPUTE_PGM_RSRC2:USER_SGPR: 6
; COMPUTE_PGM_RSRC2:TRAP_HANDLER: 0
; COMPUTE_PGM_RSRC2:TGID_X_EN: 1
; COMPUTE_PGM_RSRC2:TGID_Y_EN: 0
; COMPUTE_PGM_RSRC2:TGID_Z_EN: 0
; COMPUTE_PGM_RSRC2:TIDIG_COMP_CNT: 0
; COMPUTE_PGM_RSRC3_GFX90A:ACCUM_OFFSET: 0
; COMPUTE_PGM_RSRC3_GFX90A:TG_SPLIT: 0
	.section	.text._ZN7rocprim17ROCPRIM_400000_NS6detail17trampoline_kernelINS0_14default_configENS1_27scan_by_key_config_selectorIssEEZZNS1_16scan_by_key_implILNS1_25lookback_scan_determinismE0ELb0ES3_N6thrust23THRUST_200600_302600_NS6detail15normal_iteratorINS9_10device_ptrIsEEEENS9_18transform_iteratorINS9_6negateIsEESE_NS9_11use_defaultESI_EESE_sNS9_4plusIvEENS9_8equal_toIvEEsEE10hipError_tPvRmT2_T3_T4_T5_mT6_T7_P12ihipStream_tbENKUlT_T0_E_clISt17integral_constantIbLb1EES14_EEDaSZ_S10_EUlSZ_E_NS1_11comp_targetILNS1_3genE5ELNS1_11target_archE942ELNS1_3gpuE9ELNS1_3repE0EEENS1_30default_config_static_selectorELNS0_4arch9wavefront6targetE1EEEvT1_,"axG",@progbits,_ZN7rocprim17ROCPRIM_400000_NS6detail17trampoline_kernelINS0_14default_configENS1_27scan_by_key_config_selectorIssEEZZNS1_16scan_by_key_implILNS1_25lookback_scan_determinismE0ELb0ES3_N6thrust23THRUST_200600_302600_NS6detail15normal_iteratorINS9_10device_ptrIsEEEENS9_18transform_iteratorINS9_6negateIsEESE_NS9_11use_defaultESI_EESE_sNS9_4plusIvEENS9_8equal_toIvEEsEE10hipError_tPvRmT2_T3_T4_T5_mT6_T7_P12ihipStream_tbENKUlT_T0_E_clISt17integral_constantIbLb1EES14_EEDaSZ_S10_EUlSZ_E_NS1_11comp_targetILNS1_3genE5ELNS1_11target_archE942ELNS1_3gpuE9ELNS1_3repE0EEENS1_30default_config_static_selectorELNS0_4arch9wavefront6targetE1EEEvT1_,comdat
	.protected	_ZN7rocprim17ROCPRIM_400000_NS6detail17trampoline_kernelINS0_14default_configENS1_27scan_by_key_config_selectorIssEEZZNS1_16scan_by_key_implILNS1_25lookback_scan_determinismE0ELb0ES3_N6thrust23THRUST_200600_302600_NS6detail15normal_iteratorINS9_10device_ptrIsEEEENS9_18transform_iteratorINS9_6negateIsEESE_NS9_11use_defaultESI_EESE_sNS9_4plusIvEENS9_8equal_toIvEEsEE10hipError_tPvRmT2_T3_T4_T5_mT6_T7_P12ihipStream_tbENKUlT_T0_E_clISt17integral_constantIbLb1EES14_EEDaSZ_S10_EUlSZ_E_NS1_11comp_targetILNS1_3genE5ELNS1_11target_archE942ELNS1_3gpuE9ELNS1_3repE0EEENS1_30default_config_static_selectorELNS0_4arch9wavefront6targetE1EEEvT1_ ; -- Begin function _ZN7rocprim17ROCPRIM_400000_NS6detail17trampoline_kernelINS0_14default_configENS1_27scan_by_key_config_selectorIssEEZZNS1_16scan_by_key_implILNS1_25lookback_scan_determinismE0ELb0ES3_N6thrust23THRUST_200600_302600_NS6detail15normal_iteratorINS9_10device_ptrIsEEEENS9_18transform_iteratorINS9_6negateIsEESE_NS9_11use_defaultESI_EESE_sNS9_4plusIvEENS9_8equal_toIvEEsEE10hipError_tPvRmT2_T3_T4_T5_mT6_T7_P12ihipStream_tbENKUlT_T0_E_clISt17integral_constantIbLb1EES14_EEDaSZ_S10_EUlSZ_E_NS1_11comp_targetILNS1_3genE5ELNS1_11target_archE942ELNS1_3gpuE9ELNS1_3repE0EEENS1_30default_config_static_selectorELNS0_4arch9wavefront6targetE1EEEvT1_
	.globl	_ZN7rocprim17ROCPRIM_400000_NS6detail17trampoline_kernelINS0_14default_configENS1_27scan_by_key_config_selectorIssEEZZNS1_16scan_by_key_implILNS1_25lookback_scan_determinismE0ELb0ES3_N6thrust23THRUST_200600_302600_NS6detail15normal_iteratorINS9_10device_ptrIsEEEENS9_18transform_iteratorINS9_6negateIsEESE_NS9_11use_defaultESI_EESE_sNS9_4plusIvEENS9_8equal_toIvEEsEE10hipError_tPvRmT2_T3_T4_T5_mT6_T7_P12ihipStream_tbENKUlT_T0_E_clISt17integral_constantIbLb1EES14_EEDaSZ_S10_EUlSZ_E_NS1_11comp_targetILNS1_3genE5ELNS1_11target_archE942ELNS1_3gpuE9ELNS1_3repE0EEENS1_30default_config_static_selectorELNS0_4arch9wavefront6targetE1EEEvT1_
	.p2align	8
	.type	_ZN7rocprim17ROCPRIM_400000_NS6detail17trampoline_kernelINS0_14default_configENS1_27scan_by_key_config_selectorIssEEZZNS1_16scan_by_key_implILNS1_25lookback_scan_determinismE0ELb0ES3_N6thrust23THRUST_200600_302600_NS6detail15normal_iteratorINS9_10device_ptrIsEEEENS9_18transform_iteratorINS9_6negateIsEESE_NS9_11use_defaultESI_EESE_sNS9_4plusIvEENS9_8equal_toIvEEsEE10hipError_tPvRmT2_T3_T4_T5_mT6_T7_P12ihipStream_tbENKUlT_T0_E_clISt17integral_constantIbLb1EES14_EEDaSZ_S10_EUlSZ_E_NS1_11comp_targetILNS1_3genE5ELNS1_11target_archE942ELNS1_3gpuE9ELNS1_3repE0EEENS1_30default_config_static_selectorELNS0_4arch9wavefront6targetE1EEEvT1_,@function
_ZN7rocprim17ROCPRIM_400000_NS6detail17trampoline_kernelINS0_14default_configENS1_27scan_by_key_config_selectorIssEEZZNS1_16scan_by_key_implILNS1_25lookback_scan_determinismE0ELb0ES3_N6thrust23THRUST_200600_302600_NS6detail15normal_iteratorINS9_10device_ptrIsEEEENS9_18transform_iteratorINS9_6negateIsEESE_NS9_11use_defaultESI_EESE_sNS9_4plusIvEENS9_8equal_toIvEEsEE10hipError_tPvRmT2_T3_T4_T5_mT6_T7_P12ihipStream_tbENKUlT_T0_E_clISt17integral_constantIbLb1EES14_EEDaSZ_S10_EUlSZ_E_NS1_11comp_targetILNS1_3genE5ELNS1_11target_archE942ELNS1_3gpuE9ELNS1_3repE0EEENS1_30default_config_static_selectorELNS0_4arch9wavefront6targetE1EEEvT1_: ; @_ZN7rocprim17ROCPRIM_400000_NS6detail17trampoline_kernelINS0_14default_configENS1_27scan_by_key_config_selectorIssEEZZNS1_16scan_by_key_implILNS1_25lookback_scan_determinismE0ELb0ES3_N6thrust23THRUST_200600_302600_NS6detail15normal_iteratorINS9_10device_ptrIsEEEENS9_18transform_iteratorINS9_6negateIsEESE_NS9_11use_defaultESI_EESE_sNS9_4plusIvEENS9_8equal_toIvEEsEE10hipError_tPvRmT2_T3_T4_T5_mT6_T7_P12ihipStream_tbENKUlT_T0_E_clISt17integral_constantIbLb1EES14_EEDaSZ_S10_EUlSZ_E_NS1_11comp_targetILNS1_3genE5ELNS1_11target_archE942ELNS1_3gpuE9ELNS1_3repE0EEENS1_30default_config_static_selectorELNS0_4arch9wavefront6targetE1EEEvT1_
; %bb.0:
	.section	.rodata,"a",@progbits
	.p2align	6, 0x0
	.amdhsa_kernel _ZN7rocprim17ROCPRIM_400000_NS6detail17trampoline_kernelINS0_14default_configENS1_27scan_by_key_config_selectorIssEEZZNS1_16scan_by_key_implILNS1_25lookback_scan_determinismE0ELb0ES3_N6thrust23THRUST_200600_302600_NS6detail15normal_iteratorINS9_10device_ptrIsEEEENS9_18transform_iteratorINS9_6negateIsEESE_NS9_11use_defaultESI_EESE_sNS9_4plusIvEENS9_8equal_toIvEEsEE10hipError_tPvRmT2_T3_T4_T5_mT6_T7_P12ihipStream_tbENKUlT_T0_E_clISt17integral_constantIbLb1EES14_EEDaSZ_S10_EUlSZ_E_NS1_11comp_targetILNS1_3genE5ELNS1_11target_archE942ELNS1_3gpuE9ELNS1_3repE0EEENS1_30default_config_static_selectorELNS0_4arch9wavefront6targetE1EEEvT1_
		.amdhsa_group_segment_fixed_size 0
		.amdhsa_private_segment_fixed_size 0
		.amdhsa_kernarg_size 120
		.amdhsa_user_sgpr_count 6
		.amdhsa_user_sgpr_private_segment_buffer 1
		.amdhsa_user_sgpr_dispatch_ptr 0
		.amdhsa_user_sgpr_queue_ptr 0
		.amdhsa_user_sgpr_kernarg_segment_ptr 1
		.amdhsa_user_sgpr_dispatch_id 0
		.amdhsa_user_sgpr_flat_scratch_init 0
		.amdhsa_user_sgpr_kernarg_preload_length 0
		.amdhsa_user_sgpr_kernarg_preload_offset 0
		.amdhsa_user_sgpr_private_segment_size 0
		.amdhsa_uses_dynamic_stack 0
		.amdhsa_system_sgpr_private_segment_wavefront_offset 0
		.amdhsa_system_sgpr_workgroup_id_x 1
		.amdhsa_system_sgpr_workgroup_id_y 0
		.amdhsa_system_sgpr_workgroup_id_z 0
		.amdhsa_system_sgpr_workgroup_info 0
		.amdhsa_system_vgpr_workitem_id 0
		.amdhsa_next_free_vgpr 1
		.amdhsa_next_free_sgpr 0
		.amdhsa_accum_offset 4
		.amdhsa_reserve_vcc 0
		.amdhsa_reserve_flat_scratch 0
		.amdhsa_float_round_mode_32 0
		.amdhsa_float_round_mode_16_64 0
		.amdhsa_float_denorm_mode_32 3
		.amdhsa_float_denorm_mode_16_64 3
		.amdhsa_dx10_clamp 1
		.amdhsa_ieee_mode 1
		.amdhsa_fp16_overflow 0
		.amdhsa_tg_split 0
		.amdhsa_exception_fp_ieee_invalid_op 0
		.amdhsa_exception_fp_denorm_src 0
		.amdhsa_exception_fp_ieee_div_zero 0
		.amdhsa_exception_fp_ieee_overflow 0
		.amdhsa_exception_fp_ieee_underflow 0
		.amdhsa_exception_fp_ieee_inexact 0
		.amdhsa_exception_int_div_zero 0
	.end_amdhsa_kernel
	.section	.text._ZN7rocprim17ROCPRIM_400000_NS6detail17trampoline_kernelINS0_14default_configENS1_27scan_by_key_config_selectorIssEEZZNS1_16scan_by_key_implILNS1_25lookback_scan_determinismE0ELb0ES3_N6thrust23THRUST_200600_302600_NS6detail15normal_iteratorINS9_10device_ptrIsEEEENS9_18transform_iteratorINS9_6negateIsEESE_NS9_11use_defaultESI_EESE_sNS9_4plusIvEENS9_8equal_toIvEEsEE10hipError_tPvRmT2_T3_T4_T5_mT6_T7_P12ihipStream_tbENKUlT_T0_E_clISt17integral_constantIbLb1EES14_EEDaSZ_S10_EUlSZ_E_NS1_11comp_targetILNS1_3genE5ELNS1_11target_archE942ELNS1_3gpuE9ELNS1_3repE0EEENS1_30default_config_static_selectorELNS0_4arch9wavefront6targetE1EEEvT1_,"axG",@progbits,_ZN7rocprim17ROCPRIM_400000_NS6detail17trampoline_kernelINS0_14default_configENS1_27scan_by_key_config_selectorIssEEZZNS1_16scan_by_key_implILNS1_25lookback_scan_determinismE0ELb0ES3_N6thrust23THRUST_200600_302600_NS6detail15normal_iteratorINS9_10device_ptrIsEEEENS9_18transform_iteratorINS9_6negateIsEESE_NS9_11use_defaultESI_EESE_sNS9_4plusIvEENS9_8equal_toIvEEsEE10hipError_tPvRmT2_T3_T4_T5_mT6_T7_P12ihipStream_tbENKUlT_T0_E_clISt17integral_constantIbLb1EES14_EEDaSZ_S10_EUlSZ_E_NS1_11comp_targetILNS1_3genE5ELNS1_11target_archE942ELNS1_3gpuE9ELNS1_3repE0EEENS1_30default_config_static_selectorELNS0_4arch9wavefront6targetE1EEEvT1_,comdat
.Lfunc_end976:
	.size	_ZN7rocprim17ROCPRIM_400000_NS6detail17trampoline_kernelINS0_14default_configENS1_27scan_by_key_config_selectorIssEEZZNS1_16scan_by_key_implILNS1_25lookback_scan_determinismE0ELb0ES3_N6thrust23THRUST_200600_302600_NS6detail15normal_iteratorINS9_10device_ptrIsEEEENS9_18transform_iteratorINS9_6negateIsEESE_NS9_11use_defaultESI_EESE_sNS9_4plusIvEENS9_8equal_toIvEEsEE10hipError_tPvRmT2_T3_T4_T5_mT6_T7_P12ihipStream_tbENKUlT_T0_E_clISt17integral_constantIbLb1EES14_EEDaSZ_S10_EUlSZ_E_NS1_11comp_targetILNS1_3genE5ELNS1_11target_archE942ELNS1_3gpuE9ELNS1_3repE0EEENS1_30default_config_static_selectorELNS0_4arch9wavefront6targetE1EEEvT1_, .Lfunc_end976-_ZN7rocprim17ROCPRIM_400000_NS6detail17trampoline_kernelINS0_14default_configENS1_27scan_by_key_config_selectorIssEEZZNS1_16scan_by_key_implILNS1_25lookback_scan_determinismE0ELb0ES3_N6thrust23THRUST_200600_302600_NS6detail15normal_iteratorINS9_10device_ptrIsEEEENS9_18transform_iteratorINS9_6negateIsEESE_NS9_11use_defaultESI_EESE_sNS9_4plusIvEENS9_8equal_toIvEEsEE10hipError_tPvRmT2_T3_T4_T5_mT6_T7_P12ihipStream_tbENKUlT_T0_E_clISt17integral_constantIbLb1EES14_EEDaSZ_S10_EUlSZ_E_NS1_11comp_targetILNS1_3genE5ELNS1_11target_archE942ELNS1_3gpuE9ELNS1_3repE0EEENS1_30default_config_static_selectorELNS0_4arch9wavefront6targetE1EEEvT1_
                                        ; -- End function
	.section	.AMDGPU.csdata,"",@progbits
; Kernel info:
; codeLenInByte = 0
; NumSgprs: 4
; NumVgprs: 0
; NumAgprs: 0
; TotalNumVgprs: 0
; ScratchSize: 0
; MemoryBound: 0
; FloatMode: 240
; IeeeMode: 1
; LDSByteSize: 0 bytes/workgroup (compile time only)
; SGPRBlocks: 0
; VGPRBlocks: 0
; NumSGPRsForWavesPerEU: 4
; NumVGPRsForWavesPerEU: 1
; AccumOffset: 4
; Occupancy: 8
; WaveLimiterHint : 0
; COMPUTE_PGM_RSRC2:SCRATCH_EN: 0
; COMPUTE_PGM_RSRC2:USER_SGPR: 6
; COMPUTE_PGM_RSRC2:TRAP_HANDLER: 0
; COMPUTE_PGM_RSRC2:TGID_X_EN: 1
; COMPUTE_PGM_RSRC2:TGID_Y_EN: 0
; COMPUTE_PGM_RSRC2:TGID_Z_EN: 0
; COMPUTE_PGM_RSRC2:TIDIG_COMP_CNT: 0
; COMPUTE_PGM_RSRC3_GFX90A:ACCUM_OFFSET: 0
; COMPUTE_PGM_RSRC3_GFX90A:TG_SPLIT: 0
	.section	.text._ZN7rocprim17ROCPRIM_400000_NS6detail17trampoline_kernelINS0_14default_configENS1_27scan_by_key_config_selectorIssEEZZNS1_16scan_by_key_implILNS1_25lookback_scan_determinismE0ELb0ES3_N6thrust23THRUST_200600_302600_NS6detail15normal_iteratorINS9_10device_ptrIsEEEENS9_18transform_iteratorINS9_6negateIsEESE_NS9_11use_defaultESI_EESE_sNS9_4plusIvEENS9_8equal_toIvEEsEE10hipError_tPvRmT2_T3_T4_T5_mT6_T7_P12ihipStream_tbENKUlT_T0_E_clISt17integral_constantIbLb1EES14_EEDaSZ_S10_EUlSZ_E_NS1_11comp_targetILNS1_3genE4ELNS1_11target_archE910ELNS1_3gpuE8ELNS1_3repE0EEENS1_30default_config_static_selectorELNS0_4arch9wavefront6targetE1EEEvT1_,"axG",@progbits,_ZN7rocprim17ROCPRIM_400000_NS6detail17trampoline_kernelINS0_14default_configENS1_27scan_by_key_config_selectorIssEEZZNS1_16scan_by_key_implILNS1_25lookback_scan_determinismE0ELb0ES3_N6thrust23THRUST_200600_302600_NS6detail15normal_iteratorINS9_10device_ptrIsEEEENS9_18transform_iteratorINS9_6negateIsEESE_NS9_11use_defaultESI_EESE_sNS9_4plusIvEENS9_8equal_toIvEEsEE10hipError_tPvRmT2_T3_T4_T5_mT6_T7_P12ihipStream_tbENKUlT_T0_E_clISt17integral_constantIbLb1EES14_EEDaSZ_S10_EUlSZ_E_NS1_11comp_targetILNS1_3genE4ELNS1_11target_archE910ELNS1_3gpuE8ELNS1_3repE0EEENS1_30default_config_static_selectorELNS0_4arch9wavefront6targetE1EEEvT1_,comdat
	.protected	_ZN7rocprim17ROCPRIM_400000_NS6detail17trampoline_kernelINS0_14default_configENS1_27scan_by_key_config_selectorIssEEZZNS1_16scan_by_key_implILNS1_25lookback_scan_determinismE0ELb0ES3_N6thrust23THRUST_200600_302600_NS6detail15normal_iteratorINS9_10device_ptrIsEEEENS9_18transform_iteratorINS9_6negateIsEESE_NS9_11use_defaultESI_EESE_sNS9_4plusIvEENS9_8equal_toIvEEsEE10hipError_tPvRmT2_T3_T4_T5_mT6_T7_P12ihipStream_tbENKUlT_T0_E_clISt17integral_constantIbLb1EES14_EEDaSZ_S10_EUlSZ_E_NS1_11comp_targetILNS1_3genE4ELNS1_11target_archE910ELNS1_3gpuE8ELNS1_3repE0EEENS1_30default_config_static_selectorELNS0_4arch9wavefront6targetE1EEEvT1_ ; -- Begin function _ZN7rocprim17ROCPRIM_400000_NS6detail17trampoline_kernelINS0_14default_configENS1_27scan_by_key_config_selectorIssEEZZNS1_16scan_by_key_implILNS1_25lookback_scan_determinismE0ELb0ES3_N6thrust23THRUST_200600_302600_NS6detail15normal_iteratorINS9_10device_ptrIsEEEENS9_18transform_iteratorINS9_6negateIsEESE_NS9_11use_defaultESI_EESE_sNS9_4plusIvEENS9_8equal_toIvEEsEE10hipError_tPvRmT2_T3_T4_T5_mT6_T7_P12ihipStream_tbENKUlT_T0_E_clISt17integral_constantIbLb1EES14_EEDaSZ_S10_EUlSZ_E_NS1_11comp_targetILNS1_3genE4ELNS1_11target_archE910ELNS1_3gpuE8ELNS1_3repE0EEENS1_30default_config_static_selectorELNS0_4arch9wavefront6targetE1EEEvT1_
	.globl	_ZN7rocprim17ROCPRIM_400000_NS6detail17trampoline_kernelINS0_14default_configENS1_27scan_by_key_config_selectorIssEEZZNS1_16scan_by_key_implILNS1_25lookback_scan_determinismE0ELb0ES3_N6thrust23THRUST_200600_302600_NS6detail15normal_iteratorINS9_10device_ptrIsEEEENS9_18transform_iteratorINS9_6negateIsEESE_NS9_11use_defaultESI_EESE_sNS9_4plusIvEENS9_8equal_toIvEEsEE10hipError_tPvRmT2_T3_T4_T5_mT6_T7_P12ihipStream_tbENKUlT_T0_E_clISt17integral_constantIbLb1EES14_EEDaSZ_S10_EUlSZ_E_NS1_11comp_targetILNS1_3genE4ELNS1_11target_archE910ELNS1_3gpuE8ELNS1_3repE0EEENS1_30default_config_static_selectorELNS0_4arch9wavefront6targetE1EEEvT1_
	.p2align	8
	.type	_ZN7rocprim17ROCPRIM_400000_NS6detail17trampoline_kernelINS0_14default_configENS1_27scan_by_key_config_selectorIssEEZZNS1_16scan_by_key_implILNS1_25lookback_scan_determinismE0ELb0ES3_N6thrust23THRUST_200600_302600_NS6detail15normal_iteratorINS9_10device_ptrIsEEEENS9_18transform_iteratorINS9_6negateIsEESE_NS9_11use_defaultESI_EESE_sNS9_4plusIvEENS9_8equal_toIvEEsEE10hipError_tPvRmT2_T3_T4_T5_mT6_T7_P12ihipStream_tbENKUlT_T0_E_clISt17integral_constantIbLb1EES14_EEDaSZ_S10_EUlSZ_E_NS1_11comp_targetILNS1_3genE4ELNS1_11target_archE910ELNS1_3gpuE8ELNS1_3repE0EEENS1_30default_config_static_selectorELNS0_4arch9wavefront6targetE1EEEvT1_,@function
_ZN7rocprim17ROCPRIM_400000_NS6detail17trampoline_kernelINS0_14default_configENS1_27scan_by_key_config_selectorIssEEZZNS1_16scan_by_key_implILNS1_25lookback_scan_determinismE0ELb0ES3_N6thrust23THRUST_200600_302600_NS6detail15normal_iteratorINS9_10device_ptrIsEEEENS9_18transform_iteratorINS9_6negateIsEESE_NS9_11use_defaultESI_EESE_sNS9_4plusIvEENS9_8equal_toIvEEsEE10hipError_tPvRmT2_T3_T4_T5_mT6_T7_P12ihipStream_tbENKUlT_T0_E_clISt17integral_constantIbLb1EES14_EEDaSZ_S10_EUlSZ_E_NS1_11comp_targetILNS1_3genE4ELNS1_11target_archE910ELNS1_3gpuE8ELNS1_3repE0EEENS1_30default_config_static_selectorELNS0_4arch9wavefront6targetE1EEEvT1_: ; @_ZN7rocprim17ROCPRIM_400000_NS6detail17trampoline_kernelINS0_14default_configENS1_27scan_by_key_config_selectorIssEEZZNS1_16scan_by_key_implILNS1_25lookback_scan_determinismE0ELb0ES3_N6thrust23THRUST_200600_302600_NS6detail15normal_iteratorINS9_10device_ptrIsEEEENS9_18transform_iteratorINS9_6negateIsEESE_NS9_11use_defaultESI_EESE_sNS9_4plusIvEENS9_8equal_toIvEEsEE10hipError_tPvRmT2_T3_T4_T5_mT6_T7_P12ihipStream_tbENKUlT_T0_E_clISt17integral_constantIbLb1EES14_EEDaSZ_S10_EUlSZ_E_NS1_11comp_targetILNS1_3genE4ELNS1_11target_archE910ELNS1_3gpuE8ELNS1_3repE0EEENS1_30default_config_static_selectorELNS0_4arch9wavefront6targetE1EEEvT1_
; %bb.0:
	s_load_dwordx4 s[8:11], s[4:5], 0x0
	s_load_dwordx2 s[2:3], s[4:5], 0x10
	s_load_dwordx2 s[54:55], s[4:5], 0x20
	s_load_dwordx4 s[64:67], s[4:5], 0x30
	s_load_dwordx2 s[70:71], s[4:5], 0x40
	v_cmp_ne_u32_e64 s[52:53], 0, v0
	v_cmp_eq_u32_e64 s[0:1], 0, v0
	s_and_saveexec_b64 s[6:7], s[0:1]
	s_cbranch_execz .LBB977_4
; %bb.1:
	s_mov_b64 s[14:15], exec
	v_mbcnt_lo_u32_b32 v1, s14, 0
	v_mbcnt_hi_u32_b32 v1, s15, v1
	v_cmp_eq_u32_e32 vcc, 0, v1
                                        ; implicit-def: $vgpr2
	s_and_saveexec_b64 s[12:13], vcc
	s_cbranch_execz .LBB977_3
; %bb.2:
	s_load_dwordx2 s[16:17], s[4:5], 0x70
	s_bcnt1_i32_b64 s14, s[14:15]
	v_mov_b32_e32 v2, 0
	v_mov_b32_e32 v3, s14
	s_waitcnt lgkmcnt(0)
	global_atomic_add v2, v2, v3, s[16:17] glc
.LBB977_3:
	s_or_b64 exec, exec, s[12:13]
	s_waitcnt vmcnt(0)
	v_readfirstlane_b32 s12, v2
	v_add_u32_e32 v1, s12, v1
	v_mov_b32_e32 v2, 0
	ds_write_b32 v2, v1
.LBB977_4:
	s_or_b64 exec, exec, s[6:7]
	v_mov_b32_e32 v1, 0
	s_load_dword s6, s[4:5], 0x48
	s_load_dwordx8 s[56:63], s[4:5], 0x50
	s_waitcnt lgkmcnt(0)
	s_lshl_b64 s[68:69], s[10:11], 1
	s_barrier
	ds_read_b32 v1, v1
	s_add_u32 s4, s8, s68
	s_addc_u32 s5, s9, s69
	s_add_u32 s7, s2, s68
	s_addc_u32 s8, s3, s69
	s_mul_i32 s2, s71, s6
	s_mul_hi_u32 s3, s70, s6
	s_add_i32 s9, s3, s2
	s_waitcnt lgkmcnt(0)
	v_readfirstlane_b32 s67, v1
	s_cmp_lg_u64 s[60:61], 0
	s_mov_b32 s3, 0
	s_mul_i32 s2, s67, 0x1600
	s_cselect_b64 s[76:77], -1, 0
	s_lshl_b64 s[60:61], s[2:3], 1
	s_add_u32 s74, s4, s60
	s_addc_u32 s75, s5, s61
	s_add_u32 s72, s7, s60
	s_mul_i32 s6, s70, s6
	s_addc_u32 s73, s8, s61
	s_add_u32 s78, s6, s67
	s_addc_u32 s79, s9, 0
	s_add_u32 s4, s56, -1
	s_addc_u32 s5, s57, -1
	v_pk_mov_b32 v[2:3], s[4:5], s[4:5] op_sel:[0,1]
	v_cmp_ge_u64_e64 s[2:3], s[78:79], v[2:3]
	s_mov_b64 s[10:11], 0
	s_mov_b64 s[6:7], -1
	s_and_b64 vcc, exec, s[2:3]
	s_mul_i32 s33, s4, 0xffffea00
	s_barrier
	s_barrier
	s_cbranch_vccz .LBB977_121
; %bb.5:
	v_pk_mov_b32 v[2:3], s[74:75], s[74:75] op_sel:[0,1]
	flat_load_ushort v6, v[2:3]
	s_add_i32 s81, s33, s66
	v_cmp_gt_u32_e64 s[6:7], s81, v0
	s_waitcnt vmcnt(0) lgkmcnt(0)
	v_mov_b32_e32 v7, v6
	s_and_saveexec_b64 s[4:5], s[6:7]
	s_cbranch_execz .LBB977_7
; %bb.6:
	v_lshlrev_b32_e32 v1, 1, v0
	v_mov_b32_e32 v3, s75
	v_add_co_u32_e32 v2, vcc, s74, v1
	v_addc_co_u32_e32 v3, vcc, 0, v3, vcc
	flat_load_ushort v7, v[2:3]
.LBB977_7:
	s_or_b64 exec, exec, s[4:5]
	v_or_b32_e32 v1, 0x100, v0
	v_cmp_gt_u32_e64 s[8:9], s81, v1
	v_mov_b32_e32 v8, v6
	s_and_saveexec_b64 s[4:5], s[8:9]
	s_cbranch_execz .LBB977_9
; %bb.8:
	v_lshlrev_b32_e32 v1, 1, v0
	v_mov_b32_e32 v3, s75
	v_add_co_u32_e32 v2, vcc, s74, v1
	v_addc_co_u32_e32 v3, vcc, 0, v3, vcc
	flat_load_ushort v8, v[2:3] offset:512
.LBB977_9:
	s_or_b64 exec, exec, s[4:5]
	v_or_b32_e32 v1, 0x200, v0
	v_cmp_gt_u32_e64 s[10:11], s81, v1
	v_mov_b32_e32 v9, v6
	s_and_saveexec_b64 s[4:5], s[10:11]
	s_cbranch_execz .LBB977_11
; %bb.10:
	v_lshlrev_b32_e32 v1, 1, v0
	v_mov_b32_e32 v3, s75
	v_add_co_u32_e32 v2, vcc, s74, v1
	v_addc_co_u32_e32 v3, vcc, 0, v3, vcc
	flat_load_ushort v9, v[2:3] offset:1024
.LBB977_11:
	;; [unrolled: 13-line block ×7, first 2 shown]
	s_or_b64 exec, exec, s[4:5]
	v_or_b32_e32 v1, 0x800, v0
	v_cmp_gt_u32_e64 s[22:23], s81, v1
	v_mov_b32_e32 v15, v6
	s_and_saveexec_b64 s[4:5], s[22:23]
	s_cbranch_execz .LBB977_23
; %bb.22:
	v_lshlrev_b32_e32 v2, 1, v1
	v_mov_b32_e32 v3, s75
	v_add_co_u32_e32 v2, vcc, s74, v2
	v_addc_co_u32_e32 v3, vcc, 0, v3, vcc
	flat_load_ushort v15, v[2:3]
.LBB977_23:
	s_or_b64 exec, exec, s[4:5]
	v_or_b32_e32 v2, 0x900, v0
	v_cmp_gt_u32_e64 s[24:25], s81, v2
	v_mov_b32_e32 v26, v6
	s_and_saveexec_b64 s[4:5], s[24:25]
	s_cbranch_execz .LBB977_25
; %bb.24:
	v_lshlrev_b32_e32 v3, 1, v2
	v_mov_b32_e32 v5, s75
	v_add_co_u32_e32 v4, vcc, s74, v3
	v_addc_co_u32_e32 v5, vcc, 0, v5, vcc
	flat_load_ushort v26, v[4:5]
.LBB977_25:
	;; [unrolled: 13-line block ×13, first 2 shown]
	s_or_b64 exec, exec, s[4:5]
	v_or_b32_e32 v25, 0x1500, v0
	v_cmp_gt_u32_e64 s[50:51], s81, v25
	s_and_saveexec_b64 s[4:5], s[50:51]
	s_cbranch_execz .LBB977_49
; %bb.48:
	v_lshlrev_b32_e32 v6, 1, v25
	v_mov_b32_e32 v23, s75
	v_add_co_u32_e32 v38, vcc, s74, v6
	v_addc_co_u32_e32 v39, vcc, 0, v23, vcc
	flat_load_ushort v6, v[38:39]
.LBB977_49:
	s_or_b64 exec, exec, s[4:5]
	v_lshlrev_b32_e32 v23, 1, v0
	s_waitcnt vmcnt(0) lgkmcnt(0)
	ds_write_b16 v23, v7
	ds_write_b16 v23, v8 offset:512
	ds_write_b16 v23, v9 offset:1024
	;; [unrolled: 1-line block ×21, first 2 shown]
	v_mad_u32_u24 v37, v0, 42, v23
	s_waitcnt lgkmcnt(0)
	s_barrier
	ds_read2_b32 v[14:15], v37 offset1:1
	ds_read2_b32 v[12:13], v37 offset0:2 offset1:3
	ds_read2_b32 v[10:11], v37 offset0:4 offset1:5
	;; [unrolled: 1-line block ×4, first 2 shown]
	ds_read_b32 v38, v37 offset:40
	s_cmp_eq_u64 s[78:79], 0
	s_mov_b64 s[4:5], s[74:75]
	s_cbranch_scc1 .LBB977_53
; %bb.50:
	s_andn2_b64 vcc, exec, s[76:77]
	s_cbranch_vccnz .LBB977_291
; %bb.51:
	s_lshl_b64 s[4:5], s[78:79], 1
	s_add_u32 s4, s62, s4
	s_addc_u32 s5, s63, s5
	s_add_u32 s4, s4, -2
	s_addc_u32 s5, s5, -1
	s_cbranch_execnz .LBB977_53
.LBB977_52:
	s_add_u32 s4, s74, -2
	s_addc_u32 s5, s75, -1
.LBB977_53:
	v_pk_mov_b32 v[26:27], s[4:5], s[4:5] op_sel:[0,1]
	flat_load_ushort v41, v[26:27]
	s_movk_i32 s4, 0xffd6
	s_waitcnt lgkmcnt(0)
	v_lshrrev_b32_e32 v39, 16, v38
	v_mad_i32_i24 v26, v0, s4, v37
	ds_write_b16 v26, v39 offset:11264
	s_waitcnt lgkmcnt(0)
	s_barrier
	s_and_saveexec_b64 s[4:5], s[52:53]
	s_cbranch_execz .LBB977_55
; %bb.54:
	v_mul_i32_i24_e32 v26, 0xffffffd6, v0
	v_add_u32_e32 v26, v37, v26
	s_waitcnt vmcnt(0)
	ds_read_u16 v41, v26 offset:11262
.LBB977_55:
	s_or_b64 exec, exec, s[4:5]
	s_waitcnt lgkmcnt(0)
	s_barrier
	s_waitcnt lgkmcnt(0)
                                        ; implicit-def: $vgpr26
	s_and_saveexec_b64 s[4:5], s[6:7]
	s_cbranch_execnz .LBB977_268
; %bb.56:
	s_or_b64 exec, exec, s[4:5]
                                        ; implicit-def: $vgpr27
	s_and_saveexec_b64 s[4:5], s[8:9]
	s_cbranch_execnz .LBB977_269
.LBB977_57:
	s_or_b64 exec, exec, s[4:5]
                                        ; implicit-def: $vgpr28
	s_and_saveexec_b64 s[4:5], s[10:11]
	s_cbranch_execnz .LBB977_270
.LBB977_58:
	s_or_b64 exec, exec, s[4:5]
                                        ; implicit-def: $vgpr29
	s_and_saveexec_b64 s[4:5], s[12:13]
	s_cbranch_execnz .LBB977_271
.LBB977_59:
	s_or_b64 exec, exec, s[4:5]
                                        ; implicit-def: $vgpr30
	s_and_saveexec_b64 s[4:5], s[14:15]
	s_cbranch_execnz .LBB977_272
.LBB977_60:
	s_or_b64 exec, exec, s[4:5]
                                        ; implicit-def: $vgpr31
	s_and_saveexec_b64 s[4:5], s[16:17]
	s_cbranch_execnz .LBB977_273
.LBB977_61:
	s_or_b64 exec, exec, s[4:5]
                                        ; implicit-def: $vgpr32
	s_and_saveexec_b64 s[4:5], s[18:19]
	s_cbranch_execnz .LBB977_274
.LBB977_62:
	s_or_b64 exec, exec, s[4:5]
                                        ; implicit-def: $vgpr33
	s_and_saveexec_b64 s[4:5], s[20:21]
	s_cbranch_execnz .LBB977_275
.LBB977_63:
	s_or_b64 exec, exec, s[4:5]
                                        ; implicit-def: $vgpr34
	s_and_saveexec_b64 s[4:5], s[22:23]
	s_cbranch_execnz .LBB977_276
.LBB977_64:
	s_or_b64 exec, exec, s[4:5]
                                        ; implicit-def: $vgpr1
	s_and_saveexec_b64 s[4:5], s[24:25]
	s_cbranch_execnz .LBB977_277
.LBB977_65:
	s_or_b64 exec, exec, s[4:5]
                                        ; implicit-def: $vgpr2
	s_and_saveexec_b64 s[4:5], s[26:27]
	s_cbranch_execnz .LBB977_278
.LBB977_66:
	s_or_b64 exec, exec, s[4:5]
                                        ; implicit-def: $vgpr3
	s_and_saveexec_b64 s[4:5], s[28:29]
	s_cbranch_execnz .LBB977_279
.LBB977_67:
	s_or_b64 exec, exec, s[4:5]
                                        ; implicit-def: $vgpr4
	s_and_saveexec_b64 s[4:5], s[30:31]
	s_cbranch_execnz .LBB977_280
.LBB977_68:
	s_or_b64 exec, exec, s[4:5]
                                        ; implicit-def: $vgpr5
	s_and_saveexec_b64 s[4:5], s[34:35]
	s_cbranch_execnz .LBB977_281
.LBB977_69:
	s_or_b64 exec, exec, s[4:5]
                                        ; implicit-def: $vgpr16
	s_and_saveexec_b64 s[4:5], s[36:37]
	s_cbranch_execnz .LBB977_282
.LBB977_70:
	s_or_b64 exec, exec, s[4:5]
                                        ; implicit-def: $vgpr17
	s_and_saveexec_b64 s[4:5], s[38:39]
	s_cbranch_execnz .LBB977_283
.LBB977_71:
	s_or_b64 exec, exec, s[4:5]
                                        ; implicit-def: $vgpr18
	s_and_saveexec_b64 s[4:5], s[40:41]
	s_cbranch_execnz .LBB977_284
.LBB977_72:
	s_or_b64 exec, exec, s[4:5]
                                        ; implicit-def: $vgpr19
	s_and_saveexec_b64 s[4:5], s[42:43]
	s_cbranch_execnz .LBB977_285
.LBB977_73:
	s_or_b64 exec, exec, s[4:5]
                                        ; implicit-def: $vgpr20
	s_and_saveexec_b64 s[4:5], s[44:45]
	s_cbranch_execnz .LBB977_286
.LBB977_74:
	s_or_b64 exec, exec, s[4:5]
                                        ; implicit-def: $vgpr21
	s_and_saveexec_b64 s[4:5], s[46:47]
	s_cbranch_execnz .LBB977_287
.LBB977_75:
	s_or_b64 exec, exec, s[4:5]
                                        ; implicit-def: $vgpr22
	s_and_saveexec_b64 s[4:5], s[48:49]
	s_cbranch_execnz .LBB977_288
.LBB977_76:
	s_or_b64 exec, exec, s[4:5]
                                        ; implicit-def: $vgpr24
	s_and_saveexec_b64 s[4:5], s[50:51]
	s_cbranch_execz .LBB977_78
.LBB977_77:
	v_lshlrev_b32_e32 v24, 1, v25
	global_load_ushort v24, v24, s[72:73]
	s_waitcnt vmcnt(0)
	v_sub_u16_e32 v24, 0, v24
.LBB977_78:
	s_or_b64 exec, exec, s[4:5]
	v_mul_u32_u24_e32 v40, 22, v0
	ds_write_b16 v23, v26
	ds_write_b16 v23, v27 offset:512
	ds_write_b16 v23, v28 offset:1024
	;; [unrolled: 1-line block ×21, first 2 shown]
	v_cmp_gt_u32_e32 vcc, s81, v40
	s_mov_b64 s[6:7], 0
	s_mov_b32 s80, 0
	v_mov_b32_e32 v1, 0
	s_mov_b64 s[10:11], 0
	v_mov_b32_e32 v16, 0
	v_mov_b32_e32 v17, 0
	;; [unrolled: 1-line block ×20, first 2 shown]
	s_waitcnt lgkmcnt(0)
	s_barrier
	s_waitcnt lgkmcnt(0)
                                        ; implicit-def: $sgpr4_sgpr5
                                        ; implicit-def: $vgpr36
	s_and_saveexec_b64 s[8:9], vcc
	s_cbranch_execz .LBB977_120
; %bb.79:
	ds_read_u16 v1, v37
	s_waitcnt vmcnt(0)
	v_cmp_ne_u16_e32 vcc, v41, v14
	v_or_b32_e32 v2, 1, v40
	v_cndmask_b32_e64 v3, 0, 1, vcc
	v_cmp_gt_u32_e32 vcc, s81, v2
	s_waitcnt lgkmcnt(0)
	v_lshl_or_b32 v1, v3, 16, v1
	s_mov_b64 s[12:13], 0
	v_mov_b32_e32 v16, 0
	v_mov_b32_e32 v17, 0
	;; [unrolled: 1-line block ×20, first 2 shown]
                                        ; implicit-def: $sgpr4_sgpr5
                                        ; implicit-def: $vgpr36
	s_and_saveexec_b64 s[10:11], vcc
	s_cbranch_execz .LBB977_119
; %bb.80:
	ds_read_b128 v[2:5], v37 offset:2
	v_add_u32_e32 v16, 2, v40
	v_cmp_ne_u16_sdwa s[4:5], v14, v14 src0_sel:DWORD src1_sel:WORD_1
	v_cndmask_b32_e64 v17, 0, 1, s[4:5]
	v_cmp_gt_u32_e32 vcc, s81, v16
	s_waitcnt lgkmcnt(0)
	v_and_b32_e32 v16, 0xffff, v2
	v_lshl_or_b32 v16, v17, 16, v16
	s_mov_b64 s[14:15], 0
	v_mov_b32_e32 v17, 0
	v_mov_b32_e32 v18, 0
	;; [unrolled: 1-line block ×19, first 2 shown]
                                        ; implicit-def: $sgpr4_sgpr5
                                        ; implicit-def: $vgpr36
	s_and_saveexec_b64 s[12:13], vcc
	s_cbranch_execz .LBB977_118
; %bb.81:
	v_cmp_ne_u16_sdwa s[4:5], v14, v15 src0_sel:WORD_1 src1_sel:DWORD
	v_add_u32_e32 v18, 3, v40
	v_cndmask_b32_e64 v14, 0, 1, s[4:5]
	v_alignbit_b32 v17, v14, v2, 16
	v_cmp_gt_u32_e32 vcc, s81, v18
	s_mov_b64 s[16:17], 0
	v_mov_b32_e32 v18, 0
	v_mov_b32_e32 v19, 0
	;; [unrolled: 1-line block ×18, first 2 shown]
                                        ; implicit-def: $sgpr4_sgpr5
                                        ; implicit-def: $vgpr36
	s_and_saveexec_b64 s[14:15], vcc
	s_cbranch_execz .LBB977_117
; %bb.82:
	v_cmp_ne_u16_sdwa s[4:5], v15, v15 src0_sel:DWORD src1_sel:WORD_1
	v_and_b32_e32 v2, 0xffff, v3
	v_add_u32_e32 v14, 4, v40
	v_cndmask_b32_e64 v18, 0, 1, s[4:5]
	v_lshl_or_b32 v18, v18, 16, v2
	v_cmp_gt_u32_e32 vcc, s81, v14
	s_mov_b64 s[18:19], 0
	v_mov_b32_e32 v19, 0
	v_mov_b32_e32 v20, 0
	;; [unrolled: 1-line block ×17, first 2 shown]
                                        ; implicit-def: $sgpr4_sgpr5
                                        ; implicit-def: $vgpr36
	s_and_saveexec_b64 s[16:17], vcc
	s_cbranch_execz .LBB977_116
; %bb.83:
	v_cmp_ne_u16_sdwa s[4:5], v15, v12 src0_sel:WORD_1 src1_sel:DWORD
	v_add_u32_e32 v2, 5, v40
	v_cndmask_b32_e64 v14, 0, 1, s[4:5]
	v_alignbit_b32 v19, v14, v3, 16
	v_cmp_gt_u32_e32 vcc, s81, v2
	s_mov_b64 s[20:21], 0
	v_mov_b32_e32 v20, 0
	v_mov_b32_e32 v21, 0
	;; [unrolled: 1-line block ×16, first 2 shown]
                                        ; implicit-def: $sgpr4_sgpr5
                                        ; implicit-def: $vgpr36
	s_and_saveexec_b64 s[18:19], vcc
	s_cbranch_execz .LBB977_115
; %bb.84:
	v_cmp_ne_u16_sdwa s[4:5], v12, v12 src0_sel:DWORD src1_sel:WORD_1
	v_and_b32_e32 v2, 0xffff, v4
	v_add_u32_e32 v3, 6, v40
	v_cndmask_b32_e64 v14, 0, 1, s[4:5]
	v_lshl_or_b32 v20, v14, 16, v2
	v_cmp_gt_u32_e32 vcc, s81, v3
	s_mov_b64 s[22:23], 0
	v_mov_b32_e32 v21, 0
	v_mov_b32_e32 v22, 0
	;; [unrolled: 1-line block ×15, first 2 shown]
                                        ; implicit-def: $sgpr4_sgpr5
                                        ; implicit-def: $vgpr36
	s_and_saveexec_b64 s[20:21], vcc
	s_cbranch_execz .LBB977_114
; %bb.85:
	v_cmp_ne_u16_sdwa s[4:5], v12, v13 src0_sel:WORD_1 src1_sel:DWORD
	v_add_u32_e32 v2, 7, v40
	v_cndmask_b32_e64 v3, 0, 1, s[4:5]
	v_alignbit_b32 v21, v3, v4, 16
	v_cmp_gt_u32_e32 vcc, s81, v2
	s_mov_b64 s[24:25], 0
	v_mov_b32_e32 v22, 0
	v_mov_b32_e32 v23, 0
	v_mov_b32_e32 v24, 0
	v_mov_b32_e32 v25, 0
	v_mov_b32_e32 v26, 0
	v_mov_b32_e32 v27, 0
	v_mov_b32_e32 v28, 0
	v_mov_b32_e32 v29, 0
	v_mov_b32_e32 v30, 0
	v_mov_b32_e32 v31, 0
	v_mov_b32_e32 v32, 0
	v_mov_b32_e32 v33, 0
	v_mov_b32_e32 v34, 0
	v_mov_b32_e32 v35, 0
                                        ; implicit-def: $sgpr4_sgpr5
                                        ; implicit-def: $vgpr36
	s_and_saveexec_b64 s[22:23], vcc
	s_cbranch_execz .LBB977_113
; %bb.86:
	v_cmp_ne_u16_sdwa s[4:5], v13, v13 src0_sel:DWORD src1_sel:WORD_1
	v_and_b32_e32 v2, 0xffff, v5
	v_add_u32_e32 v3, 8, v40
	v_cndmask_b32_e64 v4, 0, 1, s[4:5]
	v_lshl_or_b32 v22, v4, 16, v2
	v_cmp_gt_u32_e32 vcc, s81, v3
	s_mov_b64 s[26:27], 0
	v_mov_b32_e32 v23, 0
	v_mov_b32_e32 v24, 0
	;; [unrolled: 1-line block ×13, first 2 shown]
                                        ; implicit-def: $sgpr4_sgpr5
                                        ; implicit-def: $vgpr36
	s_and_saveexec_b64 s[24:25], vcc
	s_cbranch_execz .LBB977_112
; %bb.87:
	v_cmp_ne_u16_sdwa s[4:5], v13, v10 src0_sel:WORD_1 src1_sel:DWORD
	v_add_u32_e32 v2, 9, v40
	v_cndmask_b32_e64 v3, 0, 1, s[4:5]
	v_alignbit_b32 v23, v3, v5, 16
	v_cmp_gt_u32_e32 vcc, s81, v2
	s_mov_b64 s[28:29], 0
	v_mov_b32_e32 v24, 0
	v_mov_b32_e32 v25, 0
	;; [unrolled: 1-line block ×12, first 2 shown]
                                        ; implicit-def: $sgpr4_sgpr5
                                        ; implicit-def: $vgpr36
	s_and_saveexec_b64 s[26:27], vcc
	s_cbranch_execz .LBB977_111
; %bb.88:
	ds_read_b128 v[2:5], v37 offset:18
	v_add_u32_e32 v12, 10, v40
	v_cmp_ne_u16_sdwa s[4:5], v10, v10 src0_sel:DWORD src1_sel:WORD_1
	v_cndmask_b32_e64 v13, 0, 1, s[4:5]
	v_cmp_gt_u32_e32 vcc, s81, v12
	s_waitcnt lgkmcnt(0)
	v_and_b32_e32 v12, 0xffff, v2
	v_lshl_or_b32 v24, v13, 16, v12
	s_mov_b64 s[30:31], 0
	v_mov_b32_e32 v25, 0
	v_mov_b32_e32 v26, 0
	;; [unrolled: 1-line block ×11, first 2 shown]
                                        ; implicit-def: $sgpr4_sgpr5
                                        ; implicit-def: $vgpr36
	s_and_saveexec_b64 s[28:29], vcc
	s_cbranch_execz .LBB977_110
; %bb.89:
	v_cmp_ne_u16_sdwa s[4:5], v10, v11 src0_sel:WORD_1 src1_sel:DWORD
	v_add_u32_e32 v12, 11, v40
	v_cndmask_b32_e64 v10, 0, 1, s[4:5]
	v_alignbit_b32 v25, v10, v2, 16
	v_cmp_gt_u32_e32 vcc, s81, v12
	s_mov_b64 s[34:35], 0
	v_mov_b32_e32 v26, 0
	v_mov_b32_e32 v27, 0
	;; [unrolled: 1-line block ×10, first 2 shown]
                                        ; implicit-def: $sgpr4_sgpr5
                                        ; implicit-def: $vgpr36
	s_and_saveexec_b64 s[30:31], vcc
	s_cbranch_execz .LBB977_109
; %bb.90:
	v_cmp_ne_u16_sdwa s[4:5], v11, v11 src0_sel:DWORD src1_sel:WORD_1
	v_and_b32_e32 v2, 0xffff, v3
	v_add_u32_e32 v10, 12, v40
	v_cndmask_b32_e64 v12, 0, 1, s[4:5]
	v_lshl_or_b32 v26, v12, 16, v2
	v_cmp_gt_u32_e32 vcc, s81, v10
	s_mov_b64 s[36:37], 0
	v_mov_b32_e32 v27, 0
	v_mov_b32_e32 v28, 0
	;; [unrolled: 1-line block ×9, first 2 shown]
                                        ; implicit-def: $sgpr4_sgpr5
                                        ; implicit-def: $vgpr36
	s_and_saveexec_b64 s[34:35], vcc
	s_cbranch_execz .LBB977_108
; %bb.91:
	v_cmp_ne_u16_sdwa s[4:5], v11, v8 src0_sel:WORD_1 src1_sel:DWORD
	v_add_u32_e32 v2, 13, v40
	v_cndmask_b32_e64 v10, 0, 1, s[4:5]
	v_alignbit_b32 v27, v10, v3, 16
	v_cmp_gt_u32_e32 vcc, s81, v2
	s_mov_b64 s[38:39], 0
	v_mov_b32_e32 v28, 0
	v_mov_b32_e32 v29, 0
	v_mov_b32_e32 v30, 0
	v_mov_b32_e32 v31, 0
	v_mov_b32_e32 v32, 0
	v_mov_b32_e32 v33, 0
	v_mov_b32_e32 v34, 0
	v_mov_b32_e32 v35, 0
                                        ; implicit-def: $sgpr4_sgpr5
                                        ; implicit-def: $vgpr36
	s_and_saveexec_b64 s[36:37], vcc
	s_cbranch_execz .LBB977_107
; %bb.92:
	v_cmp_ne_u16_sdwa s[4:5], v8, v8 src0_sel:DWORD src1_sel:WORD_1
	v_and_b32_e32 v2, 0xffff, v4
	v_add_u32_e32 v3, 14, v40
	v_cndmask_b32_e64 v10, 0, 1, s[4:5]
	v_lshl_or_b32 v28, v10, 16, v2
	v_cmp_gt_u32_e32 vcc, s81, v3
	s_mov_b64 s[40:41], 0
	v_mov_b32_e32 v29, 0
	v_mov_b32_e32 v30, 0
	;; [unrolled: 1-line block ×7, first 2 shown]
                                        ; implicit-def: $sgpr4_sgpr5
                                        ; implicit-def: $vgpr36
	s_and_saveexec_b64 s[38:39], vcc
	s_cbranch_execz .LBB977_106
; %bb.93:
	v_cmp_ne_u16_sdwa s[4:5], v8, v9 src0_sel:WORD_1 src1_sel:DWORD
	v_add_u32_e32 v2, 15, v40
	v_cndmask_b32_e64 v3, 0, 1, s[4:5]
	v_alignbit_b32 v29, v3, v4, 16
	v_cmp_gt_u32_e32 vcc, s81, v2
	s_mov_b64 s[42:43], 0
	v_mov_b32_e32 v30, 0
	v_mov_b32_e32 v31, 0
	;; [unrolled: 1-line block ×6, first 2 shown]
                                        ; implicit-def: $sgpr4_sgpr5
                                        ; implicit-def: $vgpr36
	s_and_saveexec_b64 s[40:41], vcc
	s_cbranch_execz .LBB977_105
; %bb.94:
	v_cmp_ne_u16_sdwa s[4:5], v9, v9 src0_sel:DWORD src1_sel:WORD_1
	v_and_b32_e32 v2, 0xffff, v5
	v_add_u32_e32 v3, 16, v40
	v_cndmask_b32_e64 v4, 0, 1, s[4:5]
	v_lshl_or_b32 v30, v4, 16, v2
	v_cmp_gt_u32_e32 vcc, s81, v3
	s_mov_b64 s[44:45], 0
	v_mov_b32_e32 v31, 0
	v_mov_b32_e32 v32, 0
	;; [unrolled: 1-line block ×5, first 2 shown]
                                        ; implicit-def: $sgpr4_sgpr5
                                        ; implicit-def: $vgpr36
	s_and_saveexec_b64 s[42:43], vcc
	s_cbranch_execz .LBB977_104
; %bb.95:
	v_cmp_ne_u16_sdwa s[4:5], v9, v6 src0_sel:WORD_1 src1_sel:DWORD
	v_add_u32_e32 v2, 17, v40
	v_cndmask_b32_e64 v3, 0, 1, s[4:5]
	v_alignbit_b32 v31, v3, v5, 16
	v_cmp_gt_u32_e32 vcc, s81, v2
	s_mov_b64 s[46:47], 0
	v_mov_b32_e32 v32, 0
	v_mov_b32_e32 v33, 0
	;; [unrolled: 1-line block ×4, first 2 shown]
                                        ; implicit-def: $sgpr4_sgpr5
                                        ; implicit-def: $vgpr36
	s_and_saveexec_b64 s[44:45], vcc
	s_cbranch_execz .LBB977_103
; %bb.96:
	ds_read_b64 v[2:3], v37 offset:34
	v_add_u32_e32 v4, 18, v40
	v_cmp_ne_u16_sdwa s[4:5], v6, v6 src0_sel:DWORD src1_sel:WORD_1
	v_cndmask_b32_e64 v5, 0, 1, s[4:5]
	v_cmp_gt_u32_e32 vcc, s81, v4
	s_waitcnt lgkmcnt(0)
	v_and_b32_e32 v4, 0xffff, v2
	v_lshl_or_b32 v32, v5, 16, v4
	s_mov_b64 s[48:49], 0
	v_mov_b32_e32 v33, 0
	v_mov_b32_e32 v34, 0
	;; [unrolled: 1-line block ×3, first 2 shown]
                                        ; implicit-def: $sgpr4_sgpr5
                                        ; implicit-def: $vgpr36
	s_and_saveexec_b64 s[46:47], vcc
	s_cbranch_execz .LBB977_102
; %bb.97:
	v_cmp_ne_u16_sdwa s[4:5], v6, v7 src0_sel:WORD_1 src1_sel:DWORD
	v_add_u32_e32 v4, 19, v40
	v_cndmask_b32_e64 v5, 0, 1, s[4:5]
	v_alignbit_b32 v33, v5, v2, 16
	v_cmp_gt_u32_e32 vcc, s81, v4
	s_mov_b64 s[50:51], 0
	v_mov_b32_e32 v34, 0
	v_mov_b32_e32 v35, 0
                                        ; implicit-def: $sgpr56_sgpr57
                                        ; implicit-def: $vgpr36
	s_and_saveexec_b64 s[48:49], vcc
	s_cbranch_execz .LBB977_101
; %bb.98:
	v_cmp_ne_u16_sdwa s[4:5], v7, v7 src0_sel:DWORD src1_sel:WORD_1
	v_and_b32_e32 v2, 0xffff, v3
	v_add_u32_e32 v4, 20, v40
	v_cndmask_b32_e64 v5, 0, 1, s[4:5]
	v_lshl_or_b32 v34, v5, 16, v2
	v_cmp_gt_u32_e32 vcc, s81, v4
	s_mov_b64 s[4:5], 0
	v_mov_b32_e32 v35, 0
                                        ; implicit-def: $sgpr50_sgpr51
                                        ; implicit-def: $vgpr36
	s_and_saveexec_b64 s[56:57], vcc
	s_xor_b64 s[56:57], exec, s[56:57]
	s_cbranch_execz .LBB977_100
; %bb.99:
	ds_read_u16 v36, v37 offset:42
	v_add_u32_e32 v2, 21, v40
	v_cmp_ne_u16_sdwa s[4:5], v7, v38 src0_sel:WORD_1 src1_sel:DWORD
	v_cmp_ne_u16_e32 vcc, v38, v39
	v_cndmask_b32_e64 v4, 0, 1, s[4:5]
	v_cmp_gt_u32_e64 s[4:5], s81, v2
	v_alignbit_b32 v35, v4, v3, 16
	s_and_b64 s[50:51], vcc, exec
	s_and_b64 s[4:5], s[4:5], exec
.LBB977_100:
	s_or_b64 exec, exec, s[56:57]
	s_and_b64 s[56:57], s[50:51], exec
	s_and_b64 s[50:51], s[4:5], exec
.LBB977_101:
	s_or_b64 exec, exec, s[48:49]
	s_and_b64 s[4:5], s[56:57], exec
	s_and_b64 s[48:49], s[50:51], exec
.LBB977_102:
	s_or_b64 exec, exec, s[46:47]
	s_and_b64 s[4:5], s[4:5], exec
	s_and_b64 s[46:47], s[48:49], exec
.LBB977_103:
	s_or_b64 exec, exec, s[44:45]
	s_and_b64 s[4:5], s[4:5], exec
	s_and_b64 s[44:45], s[46:47], exec
.LBB977_104:
	s_or_b64 exec, exec, s[42:43]
	s_and_b64 s[4:5], s[4:5], exec
	s_and_b64 s[42:43], s[44:45], exec
.LBB977_105:
	s_or_b64 exec, exec, s[40:41]
	s_and_b64 s[4:5], s[4:5], exec
	s_and_b64 s[40:41], s[42:43], exec
.LBB977_106:
	s_or_b64 exec, exec, s[38:39]
	s_and_b64 s[4:5], s[4:5], exec
	s_and_b64 s[38:39], s[40:41], exec
.LBB977_107:
	s_or_b64 exec, exec, s[36:37]
	s_and_b64 s[4:5], s[4:5], exec
	s_and_b64 s[36:37], s[38:39], exec
.LBB977_108:
	s_or_b64 exec, exec, s[34:35]
	s_and_b64 s[4:5], s[4:5], exec
	s_and_b64 s[34:35], s[36:37], exec
.LBB977_109:
	s_or_b64 exec, exec, s[30:31]
	s_and_b64 s[4:5], s[4:5], exec
	s_and_b64 s[30:31], s[34:35], exec
.LBB977_110:
	s_or_b64 exec, exec, s[28:29]
	s_and_b64 s[4:5], s[4:5], exec
	s_and_b64 s[28:29], s[30:31], exec
.LBB977_111:
	s_or_b64 exec, exec, s[26:27]
	s_and_b64 s[4:5], s[4:5], exec
	s_and_b64 s[26:27], s[28:29], exec
.LBB977_112:
	s_or_b64 exec, exec, s[24:25]
	s_and_b64 s[4:5], s[4:5], exec
	s_and_b64 s[24:25], s[26:27], exec
.LBB977_113:
	s_or_b64 exec, exec, s[22:23]
	s_and_b64 s[4:5], s[4:5], exec
	s_and_b64 s[22:23], s[24:25], exec
.LBB977_114:
	s_or_b64 exec, exec, s[20:21]
	s_and_b64 s[4:5], s[4:5], exec
	s_and_b64 s[20:21], s[22:23], exec
.LBB977_115:
	s_or_b64 exec, exec, s[18:19]
	s_and_b64 s[4:5], s[4:5], exec
	s_and_b64 s[18:19], s[20:21], exec
.LBB977_116:
	s_or_b64 exec, exec, s[16:17]
	s_and_b64 s[4:5], s[4:5], exec
	s_and_b64 s[16:17], s[18:19], exec
.LBB977_117:
	s_or_b64 exec, exec, s[14:15]
	s_and_b64 s[4:5], s[4:5], exec
	s_and_b64 s[14:15], s[16:17], exec
.LBB977_118:
	s_or_b64 exec, exec, s[12:13]
	s_and_b64 s[4:5], s[4:5], exec
	s_and_b64 s[12:13], s[14:15], exec
.LBB977_119:
	s_or_b64 exec, exec, s[10:11]
	s_and_b64 s[4:5], s[4:5], exec
	s_and_b64 s[10:11], s[12:13], exec
.LBB977_120:
	s_or_b64 exec, exec, s[8:9]
	s_and_b64 vcc, exec, s[6:7]
	v_lshlrev_b32_e32 v12, 1, v0
	s_cbranch_vccnz .LBB977_122
	s_branch .LBB977_130
.LBB977_121:
                                        ; implicit-def: $sgpr4_sgpr5
                                        ; implicit-def: $vgpr36
                                        ; implicit-def: $vgpr1
                                        ; implicit-def: $vgpr16
                                        ; implicit-def: $vgpr17
                                        ; implicit-def: $vgpr18
                                        ; implicit-def: $vgpr19
                                        ; implicit-def: $vgpr20
                                        ; implicit-def: $vgpr21
                                        ; implicit-def: $vgpr22
                                        ; implicit-def: $vgpr23
                                        ; implicit-def: $vgpr24
                                        ; implicit-def: $vgpr25
                                        ; implicit-def: $vgpr26
                                        ; implicit-def: $vgpr27
                                        ; implicit-def: $vgpr28
                                        ; implicit-def: $vgpr29
                                        ; implicit-def: $vgpr30
                                        ; implicit-def: $vgpr31
                                        ; implicit-def: $vgpr32
                                        ; implicit-def: $vgpr33
                                        ; implicit-def: $vgpr34
                                        ; implicit-def: $vgpr35
                                        ; implicit-def: $sgpr80
	s_and_b64 vcc, exec, s[6:7]
	v_lshlrev_b32_e32 v12, 1, v0
	s_cbranch_vccz .LBB977_130
.LBB977_122:
	v_mov_b32_e32 v1, s75
	v_add_co_u32_e32 v2, vcc, s74, v12
	v_addc_co_u32_e32 v3, vcc, 0, v1, vcc
	v_add_co_u32_e32 v4, vcc, 0x1000, v2
	v_addc_co_u32_e32 v5, vcc, 0, v3, vcc
	flat_load_ushort v6, v[2:3]
	flat_load_ushort v7, v[2:3] offset:512
	flat_load_ushort v8, v[2:3] offset:1024
	;; [unrolled: 1-line block ×7, first 2 shown]
	v_add_co_u32_e32 v2, vcc, 0x2000, v2
	v_addc_co_u32_e32 v3, vcc, 0, v3, vcc
	flat_load_ushort v15, v[4:5]
	flat_load_ushort v16, v[4:5] offset:512
	flat_load_ushort v17, v[4:5] offset:1024
	;; [unrolled: 1-line block ×7, first 2 shown]
	s_nop 0
	flat_load_ushort v4, v[2:3]
	flat_load_ushort v5, v[2:3] offset:512
	flat_load_ushort v23, v[2:3] offset:1024
	;; [unrolled: 1-line block ×5, first 2 shown]
	v_mad_u32_u24 v1, v0, 42, v12
	s_cmp_eq_u64 s[78:79], 0
	s_waitcnt vmcnt(0) lgkmcnt(0)
	ds_write_b16 v12, v6
	ds_write_b16 v12, v7 offset:512
	ds_write_b16 v12, v8 offset:1024
	;; [unrolled: 1-line block ×21, first 2 shown]
	s_waitcnt lgkmcnt(0)
	s_barrier
	ds_read2_b32 v[10:11], v1 offset1:1
	ds_read2_b32 v[8:9], v1 offset0:2 offset1:3
	ds_read2_b32 v[6:7], v1 offset0:4 offset1:5
	;; [unrolled: 1-line block ×4, first 2 shown]
	ds_read_b32 v13, v1 offset:40
	s_cbranch_scc1 .LBB977_127
; %bb.123:
	s_andn2_b64 vcc, exec, s[76:77]
	s_cbranch_vccnz .LBB977_292
; %bb.124:
	s_lshl_b64 s[4:5], s[78:79], 1
	s_add_u32 s4, s62, s4
	s_addc_u32 s5, s63, s5
	s_add_u32 s4, s4, -2
	s_addc_u32 s5, s5, -1
	s_cbranch_execnz .LBB977_126
.LBB977_125:
	s_add_u32 s4, s74, -2
	s_addc_u32 s5, s75, -1
.LBB977_126:
	s_mov_b64 s[74:75], s[4:5]
.LBB977_127:
	v_pk_mov_b32 v[14:15], s[74:75], s[74:75] op_sel:[0,1]
	flat_load_ushort v14, v[14:15]
	s_movk_i32 s4, 0xffd6
	s_waitcnt lgkmcnt(0)
	v_lshrrev_b32_e32 v15, 16, v13
	v_mad_i32_i24 v16, v0, s4, v1
	ds_write_b16 v16, v15 offset:11264
	s_waitcnt lgkmcnt(0)
	s_barrier
	s_and_saveexec_b64 s[4:5], s[52:53]
	s_cbranch_execz .LBB977_129
; %bb.128:
	s_waitcnt vmcnt(0)
	v_mul_i32_i24_e32 v14, 0xffffffd6, v0
	v_add_u32_e32 v14, v1, v14
	ds_read_u16 v14, v14 offset:11262
.LBB977_129:
	s_or_b64 exec, exec, s[4:5]
	v_mov_b32_e32 v16, s73
	v_add_co_u32_e32 v18, vcc, s72, v12
	v_addc_co_u32_e32 v19, vcc, 0, v16, vcc
	s_movk_i32 s4, 0x1000
	v_add_co_u32_e32 v16, vcc, s4, v18
	v_addc_co_u32_e32 v17, vcc, 0, v19, vcc
	s_movk_i32 s4, 0x2000
	s_waitcnt lgkmcnt(0)
	s_barrier
	global_load_ushort v20, v12, s[72:73]
	global_load_ushort v21, v12, s[72:73] offset:512
	global_load_ushort v22, v12, s[72:73] offset:1024
	;; [unrolled: 1-line block ×7, first 2 shown]
	v_add_co_u32_e32 v18, vcc, s4, v18
	v_addc_co_u32_e32 v19, vcc, 0, v19, vcc
	global_load_ushort v28, v[18:19], off offset:-4096
	global_load_ushort v29, v[16:17], off offset:512
	global_load_ushort v30, v[16:17], off offset:1024
	global_load_ushort v31, v[16:17], off offset:1536
	global_load_ushort v32, v[16:17], off offset:2048
	global_load_ushort v33, v[16:17], off offset:2560
	global_load_ushort v34, v[16:17], off offset:3072
	global_load_ushort v35, v[16:17], off offset:3584
	global_load_ushort v36, v[18:19], off
	global_load_ushort v37, v[18:19], off offset:512
	global_load_ushort v38, v[18:19], off offset:1024
	;; [unrolled: 1-line block ×5, first 2 shown]
	v_cmp_ne_u16_e64 s[4:5], v13, v15
	s_waitcnt vmcnt(0)
	v_cmp_ne_u16_e32 vcc, v14, v10
	v_cndmask_b32_e64 v14, 0, 1, vcc
	v_cmp_ne_u16_sdwa s[6:7], v10, v10 src0_sel:DWORD src1_sel:WORD_1
	s_mov_b64 s[10:11], -1
                                        ; implicit-def: $sgpr80
	v_sub_u16_e32 v15, 0, v20
	v_sub_u16_e32 v16, 0, v21
	;; [unrolled: 1-line block ×8, first 2 shown]
	ds_write_b16 v12, v15
	ds_write_b16 v12, v16 offset:512
	ds_write_b16 v12, v17 offset:1024
	;; [unrolled: 1-line block ×7, first 2 shown]
	v_sub_u16_e32 v15, 0, v28
	v_sub_u16_e32 v18, 0, v31
	;; [unrolled: 1-line block ×14, first 2 shown]
	ds_write_b16 v12, v15 offset:4096
	ds_write_b16 v12, v16 offset:4608
	;; [unrolled: 1-line block ×14, first 2 shown]
	s_waitcnt lgkmcnt(0)
	s_barrier
	ds_read2_b32 v[34:35], v1 offset0:8 offset1:9
	ds_read_b32 v15, v1 offset:40
	ds_read2_b32 v[18:19], v1 offset1:1
	ds_read2_b32 v[22:23], v1 offset0:2 offset1:3
	ds_read2_b32 v[26:27], v1 offset0:4 offset1:5
	ds_read2_b32 v[30:31], v1 offset0:6 offset1:7
	s_waitcnt lgkmcnt(4)
	v_lshrrev_b32_e32 v36, 16, v15
	s_waitcnt lgkmcnt(3)
	v_and_b32_e32 v1, 0xffff, v18
	v_lshl_or_b32 v1, v14, 16, v1
	v_cndmask_b32_e64 v14, 0, 1, s[6:7]
	v_cmp_ne_u16_sdwa s[6:7], v10, v11 src0_sel:WORD_1 src1_sel:DWORD
	v_alignbit_b32 v16, v14, v18, 16
	v_and_b32_e32 v14, 0xffff, v19
	v_cndmask_b32_e64 v10, 0, 1, s[6:7]
	v_cmp_ne_u16_sdwa s[6:7], v11, v11 src0_sel:DWORD src1_sel:WORD_1
	v_lshl_or_b32 v17, v10, 16, v14
	v_cndmask_b32_e64 v10, 0, 1, s[6:7]
	v_cmp_ne_u16_sdwa s[6:7], v11, v8 src0_sel:WORD_1 src1_sel:DWORD
	v_alignbit_b32 v18, v10, v19, 16
	s_waitcnt lgkmcnt(2)
	v_and_b32_e32 v10, 0xffff, v22
	v_cndmask_b32_e64 v11, 0, 1, s[6:7]
	v_cmp_ne_u16_sdwa s[6:7], v8, v8 src0_sel:DWORD src1_sel:WORD_1
	v_lshl_or_b32 v19, v11, 16, v10
	v_cndmask_b32_e64 v10, 0, 1, s[6:7]
	v_cmp_ne_u16_sdwa s[6:7], v8, v9 src0_sel:WORD_1 src1_sel:DWORD
	v_alignbit_b32 v20, v10, v22, 16
	v_and_b32_e32 v10, 0xffff, v23
	v_cndmask_b32_e64 v8, 0, 1, s[6:7]
	v_cmp_ne_u16_sdwa s[6:7], v9, v9 src0_sel:DWORD src1_sel:WORD_1
	v_lshl_or_b32 v21, v8, 16, v10
	v_cndmask_b32_e64 v8, 0, 1, s[6:7]
	v_cmp_ne_u16_sdwa s[6:7], v9, v6 src0_sel:WORD_1 src1_sel:DWORD
	v_alignbit_b32 v22, v8, v23, 16
	s_waitcnt lgkmcnt(1)
	v_and_b32_e32 v8, 0xffff, v26
	v_cndmask_b32_e64 v9, 0, 1, s[6:7]
	v_cmp_ne_u16_sdwa s[6:7], v6, v6 src0_sel:DWORD src1_sel:WORD_1
	;; [unrolled: 15-line block ×3, first 2 shown]
	v_lshl_or_b32 v27, v7, 16, v6
	v_cndmask_b32_e64 v6, 0, 1, s[6:7]
	v_cmp_ne_u16_sdwa s[6:7], v4, v5 src0_sel:WORD_1 src1_sel:DWORD
	v_alignbit_b32 v28, v6, v30, 16
	v_and_b32_e32 v6, 0xffff, v31
	v_cndmask_b32_e64 v4, 0, 1, s[6:7]
	v_cmp_ne_u16_sdwa s[6:7], v5, v5 src0_sel:DWORD src1_sel:WORD_1
	v_lshl_or_b32 v29, v4, 16, v6
	v_cndmask_b32_e64 v4, 0, 1, s[6:7]
	v_cmp_ne_u16_sdwa s[6:7], v5, v2 src0_sel:WORD_1 src1_sel:DWORD
	v_alignbit_b32 v30, v4, v31, 16
	v_and_b32_e32 v4, 0xffff, v34
	v_cndmask_b32_e64 v5, 0, 1, s[6:7]
	v_cmp_ne_u16_sdwa s[6:7], v2, v2 src0_sel:DWORD src1_sel:WORD_1
	;; [unrolled: 7-line block ×3, first 2 shown]
	v_lshl_or_b32 v33, v2, 16, v4
	v_cndmask_b32_e64 v2, 0, 1, s[6:7]
	v_cmp_ne_u16_sdwa s[6:7], v3, v13 src0_sel:WORD_1 src1_sel:DWORD
	v_alignbit_b32 v34, v2, v35, 16
	v_and_b32_e32 v2, 0xffff, v15
	v_cndmask_b32_e64 v3, 0, 1, s[6:7]
	v_lshl_or_b32 v35, v3, 16, v2
.LBB977_130:
	v_mov_b32_e32 v13, s80
	s_and_saveexec_b64 s[6:7], s[10:11]
	s_cbranch_execz .LBB977_132
; %bb.131:
	v_mov_b32_e32 v2, 0x10000
	v_cndmask_b32_e64 v2, 0, v2, s[4:5]
	s_waitcnt lgkmcnt(0)
	v_or_b32_sdwa v13, v2, v36 dst_sel:DWORD dst_unused:UNUSED_PAD src0_sel:DWORD src1_sel:WORD_0
.LBB977_132:
	s_or_b64 exec, exec, s[6:7]
	v_or3_b32 v2, v13, v35, v34
	s_cmp_lg_u32 s67, 0
	v_or3_b32 v15, v2, v33, v32
	v_lshrrev_b32_e32 v14, 5, v0
	v_cmp_gt_u32_e32 vcc, 64, v0
	s_waitcnt lgkmcnt(0)
	s_barrier
	s_cbranch_scc0 .LBB977_197
; %bb.133:
	s_mov_b32 s4, 0x10000
	v_cmp_gt_u32_e64 s[6:7], s4, v16
	v_cndmask_b32_e64 v2, 0, v1, s[6:7]
	v_add_u16_e32 v2, v2, v16
	v_cmp_gt_u32_e64 s[8:9], s4, v17
	v_cndmask_b32_e64 v2, 0, v2, s[8:9]
	v_add_u16_e32 v2, v2, v17
	;; [unrolled: 3-line block ×21, first 2 shown]
	v_or3_b32 v2, v15, v31, v30
	v_or3_b32 v2, v2, v29, v28
	;; [unrolled: 1-line block ×8, first 2 shown]
	v_and_b32_e32 v2, 0x10000, v2
	v_lshrrev_b32_e32 v36, 16, v1
	v_cmp_ne_u32_e64 s[4:5], 0, v2
	v_mov_b32_e32 v5, 0x10000
	v_cndmask_b32_e64 v38, v36, 1, s[4:5]
	v_add_lshl_u32 v2, v14, v0, 2
	ds_write_b16 v2, v37
	ds_write_b8 v2, v38 offset:2
	s_waitcnt lgkmcnt(0)
	s_barrier
	s_and_saveexec_b64 s[50:51], vcc
	s_cbranch_execz .LBB977_147
; %bb.134:
	v_lshlrev_b32_e32 v2, 2, v0
	v_lshrrev_b32_e32 v3, 3, v0
	v_add_lshl_u32 v2, v3, v2, 2
	ds_read_b32 v3, v2
	ds_read_u16 v4, v2 offset:4
	ds_read_u8 v6, v2 offset:6
	ds_read_u16 v7, v2 offset:8
	ds_read_u8 v8, v2 offset:10
	;; [unrolled: 2-line block ×3, first 2 shown]
	v_mov_b32_e32 v11, 0
	s_waitcnt lgkmcnt(0)
	v_cmp_eq_u16_sdwa s[4:5], v6, v11 src0_sel:BYTE_0 src1_sel:DWORD
	v_cndmask_b32_e64 v39, 0, v3, s[4:5]
	v_add_u16_e32 v39, v39, v4
	v_cmp_eq_u16_sdwa s[4:5], v8, v11 src0_sel:BYTE_0 src1_sel:DWORD
	v_or_b32_e32 v8, v10, v8
	v_cndmask_b32_e64 v11, 0, v39, s[4:5]
	v_or_b32_e32 v6, v8, v6
	v_add_u16_e32 v7, v11, v7
	v_cmp_eq_u16_e64 s[4:5], 0, v10
	v_and_b32_e32 v6, 1, v6
	v_and_b32_e32 v4, 0x10000, v3
	v_cndmask_b32_e64 v11, 0, v7, s[4:5]
	v_cmp_eq_u32_e64 s[4:5], 1, v6
	v_mbcnt_lo_u32_b32 v6, -1, 0
	v_add_u16_e32 v7, v11, v9
	v_cndmask_b32_e64 v39, v4, v5, s[4:5]
	v_add_u16_e32 v9, v11, v9
	v_and_b32_e32 v5, 0xff000000, v3
	v_mbcnt_hi_u32_b32 v6, -1, v6
	v_or_b32_e32 v10, v39, v5
	v_and_b32_e32 v11, 15, v6
	v_or3_b32 v9, v5, v9, v39
	s_movk_i32 s62, 0xff
	v_lshrrev_b32_e32 v8, 16, v10
	v_mov_b32_dpp v39, v9 row_shr:1 row_mask:0xf bank_mask:0xf
	v_cmp_ne_u32_e64 s[4:5], 0, v11
	s_and_saveexec_b64 s[56:57], s[4:5]
	s_cbranch_execz .LBB977_136
; %bb.135:
	v_and_b32_sdwa v8, v10, s62 dst_sel:DWORD dst_unused:UNUSED_PAD src0_sel:WORD_1 src1_sel:DWORD
	v_cmp_eq_u16_e64 s[4:5], 0, v8
	v_and_b32_e32 v8, 0x10000, v10
	v_mov_b32_e32 v10, 1
	v_cndmask_b32_e64 v9, 0, v39, s[4:5]
	v_and_b32_sdwa v10, v39, v10 dst_sel:DWORD dst_unused:UNUSED_PAD src0_sel:WORD_1 src1_sel:DWORD
	v_cmp_ne_u32_e64 s[4:5], 0, v8
	v_cndmask_b32_e64 v8, v10, 1, s[4:5]
	v_add_u16_e32 v40, v9, v7
	v_lshlrev_b32_e32 v10, 16, v8
	v_add_u16_e32 v7, v9, v7
	v_or3_b32 v9, v10, v7, v5
	v_mov_b32_e32 v7, v40
.LBB977_136:
	s_or_b64 exec, exec, s[56:57]
	v_lshrrev_b32_e32 v10, 16, v9
	v_mov_b32_dpp v39, v9 row_shr:2 row_mask:0xf bank_mask:0xf
	v_cmp_lt_u32_e64 s[4:5], 1, v11
	s_and_saveexec_b64 s[56:57], s[4:5]
	s_cbranch_execz .LBB977_138
; %bb.137:
	v_mov_b32_e32 v8, 0
	v_cmp_eq_u16_sdwa s[4:5], v10, v8 src0_sel:BYTE_0 src1_sel:DWORD
	v_and_b32_e32 v8, 0x10000, v9
	v_mov_b32_e32 v9, 1
	v_cndmask_b32_e64 v10, 0, v39, s[4:5]
	v_and_b32_sdwa v9, v39, v9 dst_sel:DWORD dst_unused:UNUSED_PAD src0_sel:WORD_1 src1_sel:DWORD
	v_cmp_ne_u32_e64 s[4:5], 0, v8
	v_cndmask_b32_e64 v8, v9, 1, s[4:5]
	v_add_u16_e32 v40, v10, v7
	v_lshlrev_b32_e32 v9, 16, v8
	v_add_u16_e32 v7, v10, v7
	v_or3_b32 v9, v9, v7, v5
	v_mov_b32_e32 v10, v8
	v_mov_b32_e32 v7, v40
.LBB977_138:
	s_or_b64 exec, exec, s[56:57]
	v_mov_b32_dpp v39, v9 row_shr:4 row_mask:0xf bank_mask:0xf
	v_cmp_lt_u32_e64 s[4:5], 3, v11
	s_and_saveexec_b64 s[56:57], s[4:5]
	s_cbranch_execz .LBB977_140
; %bb.139:
	v_mov_b32_e32 v8, 0
	v_cmp_eq_u16_sdwa s[4:5], v10, v8 src0_sel:BYTE_0 src1_sel:DWORD
	v_and_b32_e32 v8, 1, v10
	v_mov_b32_e32 v10, 1
	v_cndmask_b32_e64 v9, 0, v39, s[4:5]
	v_and_b32_sdwa v10, v39, v10 dst_sel:DWORD dst_unused:UNUSED_PAD src0_sel:WORD_1 src1_sel:DWORD
	v_cmp_eq_u32_e64 s[4:5], 1, v8
	v_cndmask_b32_e64 v8, v10, 1, s[4:5]
	v_add_u16_e32 v40, v9, v7
	v_lshlrev_b32_e32 v10, 16, v8
	v_add_u16_e32 v7, v9, v7
	v_or3_b32 v9, v10, v7, v5
	v_mov_b32_e32 v10, v8
	v_mov_b32_e32 v7, v40
.LBB977_140:
	s_or_b64 exec, exec, s[56:57]
	v_mov_b32_dpp v39, v9 row_shr:8 row_mask:0xf bank_mask:0xf
	v_cmp_lt_u32_e64 s[4:5], 7, v11
	s_and_saveexec_b64 s[56:57], s[4:5]
	s_cbranch_execz .LBB977_142
; %bb.141:
	v_mov_b32_e32 v8, 0
	v_cmp_eq_u16_sdwa s[4:5], v10, v8 src0_sel:BYTE_0 src1_sel:DWORD
	v_and_b32_e32 v8, 1, v10
	v_mov_b32_e32 v10, 1
	v_cndmask_b32_e64 v9, 0, v39, s[4:5]
	v_and_b32_sdwa v10, v39, v10 dst_sel:DWORD dst_unused:UNUSED_PAD src0_sel:WORD_1 src1_sel:DWORD
	v_cmp_eq_u32_e64 s[4:5], 1, v8
	v_cndmask_b32_e64 v8, v10, 1, s[4:5]
	v_add_u16_e32 v11, v9, v7
	v_lshlrev_b32_e32 v10, 16, v8
	v_add_u16_e32 v7, v9, v7
	v_or3_b32 v9, v10, v7, v5
	v_mov_b32_e32 v10, v8
	v_mov_b32_e32 v7, v11
.LBB977_142:
	s_or_b64 exec, exec, s[56:57]
	v_and_b32_e32 v39, 16, v6
	v_mov_b32_dpp v11, v9 row_bcast:15 row_mask:0xf bank_mask:0xf
	v_cmp_ne_u32_e64 s[4:5], 0, v39
	s_and_saveexec_b64 s[56:57], s[4:5]
	s_cbranch_execz .LBB977_144
; %bb.143:
	v_mov_b32_e32 v8, 0
	v_cmp_eq_u16_sdwa s[4:5], v10, v8 src0_sel:BYTE_0 src1_sel:DWORD
	v_and_b32_e32 v8, 1, v10
	v_mov_b32_e32 v10, 1
	v_cndmask_b32_e64 v9, 0, v11, s[4:5]
	v_and_b32_sdwa v10, v11, v10 dst_sel:DWORD dst_unused:UNUSED_PAD src0_sel:WORD_1 src1_sel:DWORD
	v_cmp_eq_u32_e64 s[4:5], 1, v8
	v_cndmask_b32_e64 v8, v10, 1, s[4:5]
	v_add_u16_e32 v39, v9, v7
	v_lshlrev_b32_e32 v10, 16, v8
	v_add_u16_e32 v7, v9, v7
	v_or3_b32 v9, v10, v7, v5
	v_mov_b32_e32 v10, v8
	v_mov_b32_e32 v7, v39
.LBB977_144:
	s_or_b64 exec, exec, s[56:57]
	v_mov_b32_dpp v9, v9 row_bcast:31 row_mask:0xf bank_mask:0xf
	v_cmp_lt_u32_e64 s[4:5], 31, v6
	s_and_saveexec_b64 s[56:57], s[4:5]
; %bb.145:
	v_mov_b32_e32 v8, 0
	v_cmp_eq_u16_sdwa s[4:5], v10, v8 src0_sel:BYTE_0 src1_sel:DWORD
	v_cndmask_b32_e64 v8, 0, v9, s[4:5]
	v_add_u16_e32 v7, v8, v7
	v_and_b32_e32 v8, 1, v10
	v_mov_b32_e32 v10, 1
	v_and_b32_sdwa v9, v9, v10 dst_sel:DWORD dst_unused:UNUSED_PAD src0_sel:WORD_1 src1_sel:DWORD
	v_cmp_eq_u32_e64 s[4:5], 1, v8
	v_cndmask_b32_e64 v8, v9, 1, s[4:5]
; %bb.146:
	s_or_b64 exec, exec, s[56:57]
	v_and_b32_e32 v8, 0xff, v8
	v_lshlrev_b32_e32 v8, 16, v8
	v_and_b32_e32 v7, 0xffff, v7
	v_or3_b32 v5, v8, v7, v5
	v_add_u32_e32 v7, -1, v6
	v_and_b32_e32 v8, 64, v6
	v_cmp_lt_i32_e64 s[4:5], v7, v8
	v_cndmask_b32_e64 v6, v7, v6, s[4:5]
	v_lshlrev_b32_e32 v6, 2, v6
	ds_bpermute_b32 v5, v6, v5
	v_and_b32_e32 v6, 0xff0000, v3
	v_cmp_eq_u32_e64 s[4:5], 0, v6
	; wave barrier
	s_waitcnt lgkmcnt(0)
	v_cndmask_b32_e64 v6, 0, v5, s[4:5]
	v_add_u16_e32 v3, v6, v3
	v_mov_b32_e32 v6, 1
	v_and_b32_sdwa v5, v5, v6 dst_sel:DWORD dst_unused:UNUSED_PAD src0_sel:WORD_1 src1_sel:DWORD
	v_cmp_eq_u32_e64 s[4:5], 0, v4
	v_cndmask_b32_e64 v4, 1, v5, s[4:5]
	v_cndmask_b32_e64 v3, v3, v37, s[0:1]
	;; [unrolled: 1-line block ×3, first 2 shown]
	ds_write_b16 v2, v3
	ds_write_b8 v2, v4 offset:2
	; wave barrier
	ds_read_u16 v5, v2 offset:4
	ds_read_u8 v6, v2 offset:6
	ds_read_u16 v7, v2 offset:8
	ds_read_u8 v8, v2 offset:10
	;; [unrolled: 2-line block ×3, first 2 shown]
	s_waitcnt lgkmcnt(0)
	v_cmp_eq_u16_e64 s[4:5], 0, v6
	v_cndmask_b32_e64 v3, 0, v3, s[4:5]
	v_add_u16_e32 v3, v3, v5
	v_and_b32_e32 v5, 1, v6
	v_cmp_eq_u32_e64 s[4:5], 1, v5
	v_cndmask_b32_e64 v4, v4, 1, s[4:5]
	v_cmp_eq_u16_e64 s[4:5], 0, v8
	v_and_b32_e32 v5, 1, v8
	ds_write_b16 v2, v3 offset:4
	ds_write_b8 v2, v4 offset:6
	v_cndmask_b32_e64 v3, 0, v3, s[4:5]
	v_cmp_eq_u32_e64 s[4:5], 1, v5
	v_add_u16_e32 v3, v3, v7
	v_cndmask_b32_e64 v4, v4, 1, s[4:5]
	v_cmp_eq_u16_e64 s[4:5], 0, v10
	ds_write_b16 v2, v3 offset:8
	ds_write_b8 v2, v4 offset:10
	v_cndmask_b32_e64 v3, 0, v3, s[4:5]
	v_and_b32_e32 v5, 1, v10
	v_add_u16_e32 v3, v3, v9
	v_cmp_eq_u32_e64 s[4:5], 1, v5
	v_cndmask_b32_e64 v4, v4, 1, s[4:5]
	ds_write_b16 v2, v3 offset:12
	ds_write_b8 v2, v4 offset:14
.LBB977_147:
	s_or_b64 exec, exec, s[50:51]
	s_waitcnt lgkmcnt(0)
	s_barrier
	s_and_saveexec_b64 s[4:5], s[52:53]
	s_cbranch_execz .LBB977_149
; %bb.148:
	v_add_u32_e32 v2, -1, v0
	v_lshrrev_b32_e32 v3, 5, v2
	v_add_lshl_u32 v2, v3, v2, 2
	ds_read_u16 v37, v2
	ds_read_u8 v38, v2 offset:2
.LBB977_149:
	s_or_b64 exec, exec, s[4:5]
	s_and_saveexec_b64 s[4:5], vcc
	s_cbranch_execz .LBB977_196
; %bb.150:
	v_mov_b32_e32 v11, 0
	ds_read_b32 v2, v11 offset:1048
	v_mbcnt_lo_u32_b32 v3, -1, 0
	v_mbcnt_hi_u32_b32 v5, -1, v3
	s_mov_b32 s63, 0
	v_cmp_eq_u32_e64 s[50:51], 0, v5
	s_and_saveexec_b64 s[56:57], s[50:51]
	s_cbranch_execz .LBB977_152
; %bb.151:
	s_add_i32 s62, s67, 64
	s_lshl_b64 s[62:63], s[62:63], 3
	s_add_u32 s62, s64, s62
	v_mov_b32_e32 v3, 1
	s_addc_u32 s63, s65, s63
	s_waitcnt lgkmcnt(0)
	global_store_dwordx2 v11, v[2:3], s[62:63]
.LBB977_152:
	s_or_b64 exec, exec, s[56:57]
	v_xad_u32 v4, v5, -1, s67
	v_add_u32_e32 v10, 64, v4
	v_lshlrev_b64 v[6:7], 3, v[10:11]
	v_mov_b32_e32 v3, s65
	v_add_co_u32_e32 v6, vcc, s64, v6
	v_addc_co_u32_e32 v7, vcc, v3, v7, vcc
	global_load_dwordx2 v[8:9], v[6:7], off glc
	s_waitcnt vmcnt(0)
	v_cmp_eq_u16_sdwa s[62:63], v9, v11 src0_sel:BYTE_0 src1_sel:DWORD
	s_and_saveexec_b64 s[56:57], s[62:63]
	s_cbranch_execz .LBB977_158
; %bb.153:
	s_mov_b32 s72, 1
	s_mov_b64 s[62:63], 0
	v_mov_b32_e32 v3, 0
.LBB977_154:                            ; =>This Loop Header: Depth=1
                                        ;     Child Loop BB977_155 Depth 2
	s_max_u32 s73, s72, 1
.LBB977_155:                            ;   Parent Loop BB977_154 Depth=1
                                        ; =>  This Inner Loop Header: Depth=2
	s_add_i32 s73, s73, -1
	s_cmp_eq_u32 s73, 0
	s_sleep 1
	s_cbranch_scc0 .LBB977_155
; %bb.156:                              ;   in Loop: Header=BB977_154 Depth=1
	global_load_dwordx2 v[8:9], v[6:7], off glc
	s_cmp_lt_u32 s72, 32
	s_cselect_b64 s[74:75], -1, 0
	s_cmp_lg_u64 s[74:75], 0
	s_addc_u32 s72, s72, 0
	s_waitcnt vmcnt(0)
	v_cmp_ne_u16_sdwa s[74:75], v9, v3 src0_sel:BYTE_0 src1_sel:DWORD
	s_or_b64 s[62:63], s[74:75], s[62:63]
	s_andn2_b64 exec, exec, s[62:63]
	s_cbranch_execnz .LBB977_154
; %bb.157:
	s_or_b64 exec, exec, s[62:63]
.LBB977_158:
	s_or_b64 exec, exec, s[56:57]
	v_mov_b32_e32 v3, 2
	v_cmp_eq_u16_sdwa s[56:57], v9, v3 src0_sel:BYTE_0 src1_sel:DWORD
	v_lshlrev_b64 v[6:7], v5, -1
	v_and_b32_e32 v3, s57, v7
	v_or_b32_e32 v3, 0x80000000, v3
	v_ffbl_b32_e32 v3, v3
	v_add_u32_e32 v11, 32, v3
	v_and_b32_e32 v3, 63, v5
	v_cmp_ne_u32_e32 vcc, 63, v3
	v_addc_co_u32_e32 v39, vcc, 0, v5, vcc
	v_and_b32_e32 v50, 0xffffff, v8
	v_lshlrev_b32_e32 v39, 2, v39
	ds_bpermute_b32 v40, v39, v50
	v_and_b32_e32 v10, s56, v6
	v_ffbl_b32_e32 v10, v10
	v_min_u32_e32 v11, v10, v11
	v_lshrrev_b32_e32 v10, 16, v8
	v_cmp_lt_u32_e32 vcc, v3, v11
	v_bfe_u32 v48, v8, 16, 8
	s_and_saveexec_b64 s[56:57], vcc
	s_cbranch_execz .LBB977_160
; %bb.159:
	v_and_b32_e32 v10, 0xff0000, v8
	v_cmp_eq_u32_e32 vcc, 0, v10
	v_and_b32_e32 v10, 0x10000, v10
	v_mov_b32_e32 v43, 1
	s_waitcnt lgkmcnt(0)
	v_cndmask_b32_e32 v41, 0, v40, vcc
	v_and_b32_sdwa v40, v40, v43 dst_sel:DWORD dst_unused:UNUSED_PAD src0_sel:WORD_1 src1_sel:DWORD
	v_cmp_ne_u32_e32 vcc, 0, v10
	v_cndmask_b32_e64 v10, v40, 1, vcc
	v_add_u16_e32 v42, v41, v8
	v_lshlrev_b32_e32 v40, 16, v10
	v_add_u16_e32 v8, v41, v8
	v_or_b32_e32 v50, v40, v8
	v_mov_b32_e32 v8, v42
	v_mov_b32_e32 v48, v10
.LBB977_160:
	s_or_b64 exec, exec, s[56:57]
	v_cmp_gt_u32_e32 vcc, 62, v3
	s_waitcnt lgkmcnt(0)
	v_cndmask_b32_e64 v40, 0, 1, vcc
	v_lshlrev_b32_e32 v40, 1, v40
	v_add_lshl_u32 v40, v40, v5, 2
	ds_bpermute_b32 v42, v40, v50
	v_add_u32_e32 v41, 2, v3
	v_cmp_le_u32_e32 vcc, v41, v11
	s_and_saveexec_b64 s[56:57], vcc
	s_cbranch_execz .LBB977_162
; %bb.161:
	v_cmp_eq_u16_e32 vcc, 0, v48
	v_and_b32_e32 v10, 1, v48
	v_mov_b32_e32 v45, 1
	s_waitcnt lgkmcnt(0)
	v_cndmask_b32_e32 v43, 0, v42, vcc
	v_and_b32_sdwa v42, v42, v45 dst_sel:DWORD dst_unused:UNUSED_PAD src0_sel:WORD_1 src1_sel:DWORD
	v_cmp_eq_u32_e32 vcc, 1, v10
	v_cndmask_b32_e64 v10, v42, 1, vcc
	v_add_u16_e32 v44, v43, v8
	v_lshlrev_b32_e32 v42, 16, v10
	v_add_u16_e32 v8, v43, v8
	v_or_b32_e32 v50, v42, v8
	v_mov_b32_e32 v8, v44
	v_mov_b32_e32 v48, v10
.LBB977_162:
	s_or_b64 exec, exec, s[56:57]
	v_cmp_gt_u32_e32 vcc, 60, v3
	s_waitcnt lgkmcnt(0)
	v_cndmask_b32_e64 v42, 0, 1, vcc
	v_lshlrev_b32_e32 v42, 2, v42
	v_add_lshl_u32 v42, v42, v5, 2
	ds_bpermute_b32 v44, v42, v50
	v_add_u32_e32 v43, 4, v3
	v_cmp_le_u32_e32 vcc, v43, v11
	s_and_saveexec_b64 s[56:57], vcc
	s_cbranch_execz .LBB977_164
; %bb.163:
	v_cmp_eq_u16_e32 vcc, 0, v48
	v_and_b32_e32 v10, 1, v48
	v_mov_b32_e32 v47, 1
	s_waitcnt lgkmcnt(0)
	v_cndmask_b32_e32 v45, 0, v44, vcc
	v_and_b32_sdwa v44, v44, v47 dst_sel:DWORD dst_unused:UNUSED_PAD src0_sel:WORD_1 src1_sel:DWORD
	v_cmp_eq_u32_e32 vcc, 1, v10
	v_cndmask_b32_e64 v10, v44, 1, vcc
	v_add_u16_e32 v46, v45, v8
	v_lshlrev_b32_e32 v44, 16, v10
	v_add_u16_e32 v8, v45, v8
	v_or_b32_e32 v50, v44, v8
	v_mov_b32_e32 v8, v46
	v_mov_b32_e32 v48, v10
.LBB977_164:
	;; [unrolled: 27-line block ×4, first 2 shown]
	s_or_b64 exec, exec, s[56:57]
	v_cmp_gt_u32_e32 vcc, 32, v3
	s_waitcnt lgkmcnt(0)
	v_cndmask_b32_e64 v49, 0, 1, vcc
	v_lshlrev_b32_e32 v49, 5, v49
	v_add_lshl_u32 v49, v49, v5, 2
	ds_bpermute_b32 v5, v49, v50
	v_add_u32_e32 v50, 32, v3
	v_cmp_le_u32_e32 vcc, v50, v11
	s_and_saveexec_b64 s[56:57], vcc
	s_cbranch_execz .LBB977_170
; %bb.169:
	v_cmp_eq_u16_e32 vcc, 0, v48
	s_waitcnt lgkmcnt(0)
	v_cndmask_b32_e32 v10, 0, v5, vcc
	v_add_u16_e32 v8, v10, v8
	v_and_b32_e32 v10, 1, v48
	v_mov_b32_e32 v11, 1
	v_and_b32_sdwa v5, v5, v11 dst_sel:DWORD dst_unused:UNUSED_PAD src0_sel:WORD_1 src1_sel:DWORD
	v_cmp_eq_u32_e32 vcc, 1, v10
	v_cndmask_b32_e64 v10, v5, 1, vcc
.LBB977_170:
	s_or_b64 exec, exec, s[56:57]
	s_waitcnt lgkmcnt(0)
	v_mov_b32_e32 v5, 0
	v_mov_b32_e32 v52, 2
	;; [unrolled: 1-line block ×3, first 2 shown]
	s_branch .LBB977_172
.LBB977_171:                            ;   in Loop: Header=BB977_172 Depth=1
	s_or_b64 exec, exec, s[56:57]
	v_cmp_eq_u16_sdwa vcc, v48, v5 src0_sel:BYTE_0 src1_sel:DWORD
	v_and_b32_e32 v10, 1, v48
	v_cndmask_b32_e32 v8, 0, v8, vcc
	v_and_b32_e32 v11, 1, v11
	v_cmp_eq_u32_e32 vcc, 1, v10
	v_subrev_u32_e32 v4, 64, v4
	v_add_u16_e32 v8, v8, v51
	v_cndmask_b32_e64 v10, v11, 1, vcc
.LBB977_172:                            ; =>This Loop Header: Depth=1
                                        ;     Child Loop BB977_175 Depth 2
                                        ;       Child Loop BB977_176 Depth 3
	v_cmp_ne_u16_sdwa s[56:57], v9, v52 src0_sel:BYTE_0 src1_sel:DWORD
	v_cndmask_b32_e64 v9, 0, 1, s[56:57]
	;;#ASMSTART
	;;#ASMEND
	v_cmp_ne_u32_e32 vcc, 0, v9
	v_mov_b32_e32 v48, v10
	s_cmp_lg_u64 vcc, exec
	v_mov_b32_e32 v51, v8
	s_cbranch_scc1 .LBB977_191
; %bb.173:                              ;   in Loop: Header=BB977_172 Depth=1
	v_lshlrev_b64 v[8:9], 3, v[4:5]
	v_mov_b32_e32 v11, s65
	v_add_co_u32_e32 v10, vcc, s64, v8
	v_addc_co_u32_e32 v11, vcc, v11, v9, vcc
	global_load_dwordx2 v[8:9], v[10:11], off glc
	s_waitcnt vmcnt(0)
	v_cmp_eq_u16_sdwa s[62:63], v9, v5 src0_sel:BYTE_0 src1_sel:DWORD
	s_and_saveexec_b64 s[56:57], s[62:63]
	s_cbranch_execz .LBB977_179
; %bb.174:                              ;   in Loop: Header=BB977_172 Depth=1
	s_mov_b32 s72, 1
	s_mov_b64 s[62:63], 0
.LBB977_175:                            ;   Parent Loop BB977_172 Depth=1
                                        ; =>  This Loop Header: Depth=2
                                        ;       Child Loop BB977_176 Depth 3
	s_max_u32 s73, s72, 1
.LBB977_176:                            ;   Parent Loop BB977_172 Depth=1
                                        ;     Parent Loop BB977_175 Depth=2
                                        ; =>    This Inner Loop Header: Depth=3
	s_add_i32 s73, s73, -1
	s_cmp_eq_u32 s73, 0
	s_sleep 1
	s_cbranch_scc0 .LBB977_176
; %bb.177:                              ;   in Loop: Header=BB977_175 Depth=2
	global_load_dwordx2 v[8:9], v[10:11], off glc
	s_cmp_lt_u32 s72, 32
	s_cselect_b64 s[74:75], -1, 0
	s_cmp_lg_u64 s[74:75], 0
	s_addc_u32 s72, s72, 0
	s_waitcnt vmcnt(0)
	v_cmp_ne_u16_sdwa s[74:75], v9, v5 src0_sel:BYTE_0 src1_sel:DWORD
	s_or_b64 s[62:63], s[74:75], s[62:63]
	s_andn2_b64 exec, exec, s[62:63]
	s_cbranch_execnz .LBB977_175
; %bb.178:                              ;   in Loop: Header=BB977_172 Depth=1
	s_or_b64 exec, exec, s[62:63]
.LBB977_179:                            ;   in Loop: Header=BB977_172 Depth=1
	s_or_b64 exec, exec, s[56:57]
	v_cmp_eq_u16_sdwa s[56:57], v9, v52 src0_sel:BYTE_0 src1_sel:DWORD
	v_and_b32_e32 v10, s57, v7
	s_waitcnt lgkmcnt(0)
	v_and_b32_e32 v55, 0xffffff, v8
	v_or_b32_e32 v10, 0x80000000, v10
	ds_bpermute_b32 v56, v39, v55
	v_and_b32_e32 v11, s56, v6
	v_ffbl_b32_e32 v10, v10
	v_add_u32_e32 v10, 32, v10
	v_ffbl_b32_e32 v11, v11
	v_min_u32_e32 v10, v11, v10
	v_lshrrev_b32_e32 v11, 16, v8
	v_cmp_lt_u32_e32 vcc, v3, v10
	v_bfe_u32 v54, v8, 16, 8
	s_and_saveexec_b64 s[56:57], vcc
	s_cbranch_execz .LBB977_181
; %bb.180:                              ;   in Loop: Header=BB977_172 Depth=1
	v_and_b32_e32 v11, 0xff0000, v8
	v_cmp_eq_u32_e32 vcc, 0, v11
	v_and_b32_e32 v11, 0x10000, v11
	s_waitcnt lgkmcnt(0)
	v_cndmask_b32_e32 v54, 0, v56, vcc
	v_and_b32_sdwa v55, v56, v53 dst_sel:DWORD dst_unused:UNUSED_PAD src0_sel:WORD_1 src1_sel:DWORD
	v_cmp_ne_u32_e32 vcc, 0, v11
	v_cndmask_b32_e64 v11, v55, 1, vcc
	v_add_u16_e32 v57, v54, v8
	v_lshlrev_b32_e32 v55, 16, v11
	v_add_u16_e32 v8, v54, v8
	v_or_b32_e32 v55, v55, v8
	v_mov_b32_e32 v8, v57
	v_mov_b32_e32 v54, v11
.LBB977_181:                            ;   in Loop: Header=BB977_172 Depth=1
	s_or_b64 exec, exec, s[56:57]
	s_waitcnt lgkmcnt(0)
	ds_bpermute_b32 v56, v40, v55
	v_cmp_le_u32_e32 vcc, v41, v10
	s_and_saveexec_b64 s[56:57], vcc
	s_cbranch_execz .LBB977_183
; %bb.182:                              ;   in Loop: Header=BB977_172 Depth=1
	v_cmp_eq_u16_e32 vcc, 0, v54
	v_and_b32_e32 v11, 1, v54
	s_waitcnt lgkmcnt(0)
	v_cndmask_b32_e32 v55, 0, v56, vcc
	v_and_b32_sdwa v54, v56, v53 dst_sel:DWORD dst_unused:UNUSED_PAD src0_sel:WORD_1 src1_sel:DWORD
	v_cmp_eq_u32_e32 vcc, 1, v11
	v_cndmask_b32_e64 v11, v54, 1, vcc
	v_add_u16_e32 v57, v55, v8
	v_lshlrev_b32_e32 v54, 16, v11
	v_add_u16_e32 v8, v55, v8
	v_or_b32_e32 v55, v54, v8
	v_mov_b32_e32 v8, v57
	v_mov_b32_e32 v54, v11
.LBB977_183:                            ;   in Loop: Header=BB977_172 Depth=1
	s_or_b64 exec, exec, s[56:57]
	s_waitcnt lgkmcnt(0)
	ds_bpermute_b32 v56, v42, v55
	v_cmp_le_u32_e32 vcc, v43, v10
	s_and_saveexec_b64 s[56:57], vcc
	s_cbranch_execz .LBB977_185
; %bb.184:                              ;   in Loop: Header=BB977_172 Depth=1
	v_cmp_eq_u16_e32 vcc, 0, v54
	v_and_b32_e32 v11, 1, v54
	s_waitcnt lgkmcnt(0)
	v_cndmask_b32_e32 v55, 0, v56, vcc
	v_and_b32_sdwa v54, v56, v53 dst_sel:DWORD dst_unused:UNUSED_PAD src0_sel:WORD_1 src1_sel:DWORD
	v_cmp_eq_u32_e32 vcc, 1, v11
	v_cndmask_b32_e64 v11, v54, 1, vcc
	v_add_u16_e32 v57, v55, v8
	v_lshlrev_b32_e32 v54, 16, v11
	v_add_u16_e32 v8, v55, v8
	v_or_b32_e32 v55, v54, v8
	v_mov_b32_e32 v8, v57
	v_mov_b32_e32 v54, v11
.LBB977_185:                            ;   in Loop: Header=BB977_172 Depth=1
	;; [unrolled: 21-line block ×4, first 2 shown]
	s_or_b64 exec, exec, s[56:57]
	ds_bpermute_b32 v55, v49, v55
	v_cmp_le_u32_e32 vcc, v50, v10
	s_and_saveexec_b64 s[56:57], vcc
	s_cbranch_execz .LBB977_171
; %bb.190:                              ;   in Loop: Header=BB977_172 Depth=1
	v_cmp_eq_u16_e32 vcc, 0, v54
	s_waitcnt lgkmcnt(0)
	v_cndmask_b32_e32 v10, 0, v55, vcc
	v_add_u16_e32 v8, v10, v8
	v_and_b32_e32 v10, 1, v54
	v_lshrrev_b32_e32 v11, 16, v55
	v_cmp_eq_u32_e32 vcc, 1, v10
	v_cndmask_b32_e64 v11, v11, 1, vcc
	s_branch .LBB977_171
.LBB977_191:                            ;   in Loop: Header=BB977_172 Depth=1
                                        ; implicit-def: $vgpr10
                                        ; implicit-def: $vgpr8
	s_cbranch_execz .LBB977_172
; %bb.192:
	s_and_saveexec_b64 s[56:57], s[50:51]
	s_cbranch_execz .LBB977_194
; %bb.193:
	v_and_b32_e32 v3, 0xff0000, v2
	s_mov_b32 s51, 0
	v_cmp_eq_u32_e32 vcc, 0, v3
	v_and_b32_e32 v4, 0x10000, v2
	v_mov_b32_e32 v5, 1
	s_add_i32 s50, s67, 64
	v_cndmask_b32_e32 v3, 0, v51, vcc
	v_and_b32_sdwa v5, v48, v5 dst_sel:WORD_1 dst_unused:UNUSED_PAD src0_sel:DWORD src1_sel:DWORD
	v_mov_b32_e32 v6, 0x10000
	v_cmp_eq_u32_e32 vcc, 0, v4
	s_lshl_b64 s[50:51], s[50:51], 3
	v_cndmask_b32_e32 v4, v6, v5, vcc
	s_add_u32 s50, s64, s50
	v_add_u16_e32 v2, v3, v2
	s_addc_u32 s51, s65, s51
	v_mov_b32_e32 v5, 0
	v_or_b32_e32 v2, v4, v2
	v_mov_b32_e32 v3, 2
	global_store_dwordx2 v5, v[2:3], s[50:51]
.LBB977_194:
	s_or_b64 exec, exec, s[56:57]
	s_and_b64 exec, exec, s[0:1]
	s_cbranch_execz .LBB977_196
; %bb.195:
	v_mov_b32_e32 v2, 0
	ds_write_b16 v2, v51
	ds_write_b8 v2, v48 offset:2
.LBB977_196:
	s_or_b64 exec, exec, s[4:5]
	v_mov_b32_e32 v2, 0
	s_mov_b32 s4, 0x10000
	s_waitcnt lgkmcnt(0)
	s_barrier
	ds_read_b32 v3, v2
	v_cmp_gt_u32_e32 vcc, s4, v1
	v_and_b32_e32 v5, 0x10000, v1
	v_cndmask_b32_e32 v4, 0, v37, vcc
	v_and_b32_e32 v6, 1, v38
	v_cmp_ne_u32_e32 vcc, 0, v5
	v_cndmask_b32_e64 v5, v6, 1, vcc
	v_cndmask_b32_e64 v5, v5, v36, s[0:1]
	v_cndmask_b32_e64 v4, v4, 0, s[0:1]
	v_cmp_eq_u16_sdwa vcc, v5, v2 src0_sel:BYTE_0 src1_sel:DWORD
	v_add_u16_e32 v4, v4, v1
	s_waitcnt lgkmcnt(0)
	v_cndmask_b32_e32 v2, 0, v3, vcc
	v_add_u16_e32 v49, v4, v2
	v_cndmask_b32_e64 v2, 0, v49, s[6:7]
	v_add_u16_e32 v4, v2, v16
	v_cndmask_b32_e64 v2, 0, v4, s[8:9]
	;; [unrolled: 2-line block ×14, first 2 shown]
	s_waitcnt vmcnt(0)
	v_add_u16_e32 v41, v2, v29
	v_cndmask_b32_e64 v2, 0, v41, s[36:37]
	v_add_u16_e32 v42, v2, v30
	v_cndmask_b32_e64 v2, 0, v42, s[38:39]
	;; [unrolled: 2-line block ×7, first 2 shown]
	v_add_u16_e32 v48, v2, v13
	s_branch .LBB977_219
.LBB977_197:
                                        ; implicit-def: $vgpr49
                                        ; implicit-def: $vgpr4
                                        ; implicit-def: $vgpr5
                                        ; implicit-def: $vgpr6
                                        ; implicit-def: $vgpr7
                                        ; implicit-def: $vgpr8
                                        ; implicit-def: $vgpr9
                                        ; implicit-def: $vgpr10
                                        ; implicit-def: $vgpr11
                                        ; implicit-def: $vgpr36
                                        ; implicit-def: $vgpr37
                                        ; implicit-def: $vgpr38
                                        ; implicit-def: $vgpr39
                                        ; implicit-def: $vgpr40
                                        ; implicit-def: $vgpr41
                                        ; implicit-def: $vgpr42
                                        ; implicit-def: $vgpr43
                                        ; implicit-def: $vgpr44
                                        ; implicit-def: $vgpr45
                                        ; implicit-def: $vgpr46
                                        ; implicit-def: $vgpr47
                                        ; implicit-def: $vgpr48
	s_cbranch_execz .LBB977_219
; %bb.198:
	s_cmp_lg_u64 s[70:71], 0
	s_cselect_b32 s7, s59, 0
	s_cselect_b32 s6, s58, 0
	s_cmp_lg_u64 s[6:7], 0
	s_cselect_b64 s[4:5], -1, 0
	s_and_b64 s[8:9], s[0:1], s[4:5]
	s_and_saveexec_b64 s[4:5], s[8:9]
	s_cbranch_execz .LBB977_200
; %bb.199:
	v_mov_b32_e32 v2, 0
	global_load_ushort v3, v2, s[6:7]
	global_load_ubyte v4, v2, s[6:7] offset:2
	s_mov_b32 s6, 0x10000
	v_and_b32_e32 v2, 0x10000, v1
	v_mov_b32_e32 v5, 1
	v_cmp_gt_u32_e32 vcc, s6, v1
	v_mov_b32_e32 v6, 0x10000
	s_waitcnt vmcnt(0)
	v_cndmask_b32_e32 v3, 0, v3, vcc
	v_and_b32_sdwa v4, v4, v5 dst_sel:WORD_1 dst_unused:UNUSED_PAD src0_sel:DWORD src1_sel:DWORD
	v_cmp_eq_u32_e32 vcc, 0, v2
	v_add_u16_e32 v1, v3, v1
	v_cndmask_b32_e32 v2, v6, v4, vcc
	v_or_b32_e32 v1, v2, v1
.LBB977_200:
	s_or_b64 exec, exec, s[4:5]
	s_mov_b32 s4, 0x10000
	v_cmp_gt_u32_e32 vcc, s4, v16
	v_cndmask_b32_e32 v3, 0, v1, vcc
	v_add_u16_e32 v4, v3, v16
	v_cmp_gt_u32_e64 s[6:7], s4, v17
	v_cndmask_b32_e64 v3, 0, v4, s[6:7]
	v_add_u16_e32 v5, v3, v17
	v_cmp_gt_u32_e64 s[8:9], s4, v18
	v_cndmask_b32_e64 v3, 0, v5, s[8:9]
	;; [unrolled: 3-line block ×13, first 2 shown]
	s_waitcnt vmcnt(0)
	v_add_u16_e32 v41, v3, v29
	v_cmp_gt_u32_e64 s[34:35], s4, v30
	v_cndmask_b32_e64 v3, 0, v41, s[34:35]
	v_add_u16_e32 v42, v3, v30
	v_cmp_gt_u32_e64 s[36:37], s4, v31
	v_cndmask_b32_e64 v3, 0, v42, s[36:37]
	;; [unrolled: 3-line block ×7, first 2 shown]
	v_add_u16_e32 v48, v3, v13
	v_or3_b32 v3, v15, v31, v30
	v_or3_b32 v3, v3, v29, v28
	;; [unrolled: 1-line block ×8, first 2 shown]
	v_and_b32_e32 v3, 0x10000, v3
	v_lshrrev_b32_e32 v2, 16, v1
	v_cmp_ne_u32_e64 s[4:5], 0, v3
	v_mov_b32_e32 v49, 0x10000
	v_cndmask_b32_e64 v3, v2, 1, s[4:5]
	v_add_lshl_u32 v2, v14, v0, 2
	v_cmp_gt_u32_e64 s[4:5], 64, v0
	ds_write_b16 v2, v48
	ds_write_b8 v2, v3 offset:2
	s_waitcnt lgkmcnt(0)
	s_barrier
	s_and_saveexec_b64 s[48:49], s[4:5]
	s_cbranch_execz .LBB977_214
; %bb.201:
	v_lshlrev_b32_e32 v2, 2, v0
	v_lshrrev_b32_e32 v14, 3, v0
	v_add_lshl_u32 v2, v14, v2, 2
	ds_read_b32 v14, v2
	ds_read_u16 v15, v2 offset:4
	ds_read_u8 v50, v2 offset:6
	ds_read_u16 v51, v2 offset:8
	ds_read_u8 v52, v2 offset:10
	;; [unrolled: 2-line block ×3, first 2 shown]
	v_mov_b32_e32 v55, 0
	s_waitcnt lgkmcnt(4)
	v_cmp_eq_u16_sdwa s[4:5], v50, v55 src0_sel:BYTE_0 src1_sel:DWORD
	v_cndmask_b32_e64 v56, 0, v14, s[4:5]
	v_add_u16_e32 v56, v56, v15
	s_waitcnt lgkmcnt(2)
	v_cmp_eq_u16_sdwa s[4:5], v52, v55 src0_sel:BYTE_0 src1_sel:DWORD
	s_waitcnt lgkmcnt(0)
	v_or_b32_e32 v52, v54, v52
	v_cndmask_b32_e64 v55, 0, v56, s[4:5]
	v_or_b32_e32 v50, v52, v50
	v_add_u16_e32 v51, v55, v51
	v_cmp_eq_u16_e64 s[4:5], 0, v54
	v_and_b32_e32 v50, 1, v50
	v_and_b32_e32 v15, 0x10000, v14
	v_cndmask_b32_e64 v55, 0, v51, s[4:5]
	v_cmp_eq_u32_e64 s[4:5], 1, v50
	v_mbcnt_lo_u32_b32 v50, -1, 0
	v_add_u16_e32 v51, v55, v53
	v_cndmask_b32_e64 v56, v15, v49, s[4:5]
	v_add_u16_e32 v53, v55, v53
	v_and_b32_e32 v49, 0xff000000, v14
	v_mbcnt_hi_u32_b32 v50, -1, v50
	v_or_b32_e32 v54, v56, v49
	v_and_b32_e32 v55, 15, v50
	v_or3_b32 v53, v49, v53, v56
	s_movk_i32 s56, 0xff
	v_lshrrev_b32_e32 v52, 16, v54
	v_mov_b32_dpp v56, v53 row_shr:1 row_mask:0xf bank_mask:0xf
	v_cmp_ne_u32_e64 s[4:5], 0, v55
	s_and_saveexec_b64 s[50:51], s[4:5]
	s_cbranch_execz .LBB977_203
; %bb.202:
	v_and_b32_sdwa v52, v54, s56 dst_sel:DWORD dst_unused:UNUSED_PAD src0_sel:WORD_1 src1_sel:DWORD
	v_cmp_eq_u16_e64 s[4:5], 0, v52
	v_and_b32_e32 v52, 0x10000, v54
	v_mov_b32_e32 v54, 1
	v_cndmask_b32_e64 v53, 0, v56, s[4:5]
	v_and_b32_sdwa v54, v56, v54 dst_sel:DWORD dst_unused:UNUSED_PAD src0_sel:WORD_1 src1_sel:DWORD
	v_cmp_ne_u32_e64 s[4:5], 0, v52
	v_cndmask_b32_e64 v52, v54, 1, s[4:5]
	v_add_u16_e32 v57, v53, v51
	v_lshlrev_b32_e32 v54, 16, v52
	v_add_u16_e32 v51, v53, v51
	v_or3_b32 v53, v54, v51, v49
	v_mov_b32_e32 v51, v57
.LBB977_203:
	s_or_b64 exec, exec, s[50:51]
	v_lshrrev_b32_e32 v54, 16, v53
	v_mov_b32_dpp v56, v53 row_shr:2 row_mask:0xf bank_mask:0xf
	v_cmp_lt_u32_e64 s[4:5], 1, v55
	s_and_saveexec_b64 s[50:51], s[4:5]
	s_cbranch_execz .LBB977_205
; %bb.204:
	v_mov_b32_e32 v52, 0
	v_cmp_eq_u16_sdwa s[4:5], v54, v52 src0_sel:BYTE_0 src1_sel:DWORD
	v_and_b32_e32 v52, 0x10000, v53
	v_mov_b32_e32 v53, 1
	v_cndmask_b32_e64 v54, 0, v56, s[4:5]
	v_and_b32_sdwa v53, v56, v53 dst_sel:DWORD dst_unused:UNUSED_PAD src0_sel:WORD_1 src1_sel:DWORD
	v_cmp_ne_u32_e64 s[4:5], 0, v52
	v_cndmask_b32_e64 v52, v53, 1, s[4:5]
	v_add_u16_e32 v57, v54, v51
	v_lshlrev_b32_e32 v53, 16, v52
	v_add_u16_e32 v51, v54, v51
	v_or3_b32 v53, v53, v51, v49
	v_mov_b32_e32 v54, v52
	v_mov_b32_e32 v51, v57
.LBB977_205:
	s_or_b64 exec, exec, s[50:51]
	v_mov_b32_dpp v56, v53 row_shr:4 row_mask:0xf bank_mask:0xf
	v_cmp_lt_u32_e64 s[4:5], 3, v55
	s_and_saveexec_b64 s[50:51], s[4:5]
	s_cbranch_execz .LBB977_207
; %bb.206:
	v_mov_b32_e32 v52, 0
	v_cmp_eq_u16_sdwa s[4:5], v54, v52 src0_sel:BYTE_0 src1_sel:DWORD
	v_and_b32_e32 v52, 1, v54
	v_mov_b32_e32 v54, 1
	v_cndmask_b32_e64 v53, 0, v56, s[4:5]
	v_and_b32_sdwa v54, v56, v54 dst_sel:DWORD dst_unused:UNUSED_PAD src0_sel:WORD_1 src1_sel:DWORD
	v_cmp_eq_u32_e64 s[4:5], 1, v52
	v_cndmask_b32_e64 v52, v54, 1, s[4:5]
	v_add_u16_e32 v57, v53, v51
	v_lshlrev_b32_e32 v54, 16, v52
	v_add_u16_e32 v51, v53, v51
	v_or3_b32 v53, v54, v51, v49
	v_mov_b32_e32 v54, v52
	v_mov_b32_e32 v51, v57
.LBB977_207:
	s_or_b64 exec, exec, s[50:51]
	v_mov_b32_dpp v56, v53 row_shr:8 row_mask:0xf bank_mask:0xf
	v_cmp_lt_u32_e64 s[4:5], 7, v55
	s_and_saveexec_b64 s[50:51], s[4:5]
	s_cbranch_execz .LBB977_209
; %bb.208:
	v_mov_b32_e32 v52, 0
	v_cmp_eq_u16_sdwa s[4:5], v54, v52 src0_sel:BYTE_0 src1_sel:DWORD
	v_and_b32_e32 v52, 1, v54
	v_mov_b32_e32 v54, 1
	v_cndmask_b32_e64 v53, 0, v56, s[4:5]
	v_and_b32_sdwa v54, v56, v54 dst_sel:DWORD dst_unused:UNUSED_PAD src0_sel:WORD_1 src1_sel:DWORD
	v_cmp_eq_u32_e64 s[4:5], 1, v52
	v_cndmask_b32_e64 v52, v54, 1, s[4:5]
	v_add_u16_e32 v55, v53, v51
	v_lshlrev_b32_e32 v54, 16, v52
	v_add_u16_e32 v51, v53, v51
	v_or3_b32 v53, v54, v51, v49
	v_mov_b32_e32 v54, v52
	v_mov_b32_e32 v51, v55
.LBB977_209:
	s_or_b64 exec, exec, s[50:51]
	v_and_b32_e32 v56, 16, v50
	v_mov_b32_dpp v55, v53 row_bcast:15 row_mask:0xf bank_mask:0xf
	v_cmp_ne_u32_e64 s[4:5], 0, v56
	s_and_saveexec_b64 s[50:51], s[4:5]
	s_cbranch_execz .LBB977_211
; %bb.210:
	v_mov_b32_e32 v52, 0
	v_cmp_eq_u16_sdwa s[4:5], v54, v52 src0_sel:BYTE_0 src1_sel:DWORD
	v_and_b32_e32 v52, 1, v54
	v_mov_b32_e32 v54, 1
	v_cndmask_b32_e64 v53, 0, v55, s[4:5]
	v_and_b32_sdwa v54, v55, v54 dst_sel:DWORD dst_unused:UNUSED_PAD src0_sel:WORD_1 src1_sel:DWORD
	v_cmp_eq_u32_e64 s[4:5], 1, v52
	v_cndmask_b32_e64 v52, v54, 1, s[4:5]
	v_add_u16_e32 v56, v53, v51
	v_lshlrev_b32_e32 v54, 16, v52
	v_add_u16_e32 v51, v53, v51
	v_or3_b32 v53, v54, v51, v49
	v_mov_b32_e32 v54, v52
	v_mov_b32_e32 v51, v56
.LBB977_211:
	s_or_b64 exec, exec, s[50:51]
	v_mov_b32_dpp v53, v53 row_bcast:31 row_mask:0xf bank_mask:0xf
	v_cmp_lt_u32_e64 s[4:5], 31, v50
	s_and_saveexec_b64 s[50:51], s[4:5]
; %bb.212:
	v_mov_b32_e32 v52, 0
	v_cmp_eq_u16_sdwa s[4:5], v54, v52 src0_sel:BYTE_0 src1_sel:DWORD
	v_cndmask_b32_e64 v52, 0, v53, s[4:5]
	v_add_u16_e32 v51, v52, v51
	v_and_b32_e32 v52, 1, v54
	v_mov_b32_e32 v54, 1
	v_and_b32_sdwa v53, v53, v54 dst_sel:DWORD dst_unused:UNUSED_PAD src0_sel:WORD_1 src1_sel:DWORD
	v_cmp_eq_u32_e64 s[4:5], 1, v52
	v_cndmask_b32_e64 v52, v53, 1, s[4:5]
; %bb.213:
	s_or_b64 exec, exec, s[50:51]
	v_and_b32_e32 v52, 0xff, v52
	v_lshlrev_b32_e32 v52, 16, v52
	v_and_b32_e32 v51, 0xffff, v51
	v_or3_b32 v49, v52, v51, v49
	v_add_u32_e32 v51, -1, v50
	v_and_b32_e32 v52, 64, v50
	v_cmp_lt_i32_e64 s[4:5], v51, v52
	v_cndmask_b32_e64 v50, v51, v50, s[4:5]
	v_lshlrev_b32_e32 v50, 2, v50
	ds_bpermute_b32 v49, v50, v49
	v_and_b32_e32 v50, 0xff0000, v14
	v_cmp_eq_u32_e64 s[4:5], 0, v50
	; wave barrier
	s_waitcnt lgkmcnt(0)
	v_cndmask_b32_e64 v50, 0, v49, s[4:5]
	v_add_u16_e32 v14, v50, v14
	v_mov_b32_e32 v50, 1
	v_and_b32_sdwa v49, v49, v50 dst_sel:DWORD dst_unused:UNUSED_PAD src0_sel:WORD_1 src1_sel:DWORD
	v_cmp_eq_u32_e64 s[4:5], 0, v15
	v_cndmask_b32_e64 v15, 1, v49, s[4:5]
	v_cndmask_b32_e64 v14, v14, v48, s[0:1]
	;; [unrolled: 1-line block ×3, first 2 shown]
	ds_write_b16 v2, v14
	ds_write_b8 v2, v3 offset:2
	; wave barrier
	ds_read_u16 v15, v2 offset:4
	ds_read_u8 v49, v2 offset:6
	ds_read_u16 v50, v2 offset:8
	ds_read_u8 v51, v2 offset:10
	ds_read_u16 v52, v2 offset:12
	ds_read_u8 v53, v2 offset:14
	s_waitcnt lgkmcnt(4)
	v_cmp_eq_u16_e64 s[4:5], 0, v49
	v_cndmask_b32_e64 v14, 0, v14, s[4:5]
	v_add_u16_e32 v14, v14, v15
	v_and_b32_e32 v15, 1, v49
	v_cmp_eq_u32_e64 s[4:5], 1, v15
	v_cndmask_b32_e64 v3, v3, 1, s[4:5]
	s_waitcnt lgkmcnt(2)
	v_cmp_eq_u16_e64 s[4:5], 0, v51
	v_and_b32_e32 v15, 1, v51
	ds_write_b16 v2, v14 offset:4
	ds_write_b8 v2, v3 offset:6
	v_cndmask_b32_e64 v14, 0, v14, s[4:5]
	v_cmp_eq_u32_e64 s[4:5], 1, v15
	v_add_u16_e32 v14, v14, v50
	v_cndmask_b32_e64 v3, v3, 1, s[4:5]
	s_waitcnt lgkmcnt(2)
	v_cmp_eq_u16_e64 s[4:5], 0, v53
	ds_write_b16 v2, v14 offset:8
	ds_write_b8 v2, v3 offset:10
	v_cndmask_b32_e64 v14, 0, v14, s[4:5]
	v_and_b32_e32 v15, 1, v53
	v_add_u16_e32 v14, v14, v52
	v_cmp_eq_u32_e64 s[4:5], 1, v15
	v_cndmask_b32_e64 v3, v3, 1, s[4:5]
	ds_write_b16 v2, v14 offset:12
	ds_write_b8 v2, v3 offset:14
.LBB977_214:
	s_or_b64 exec, exec, s[48:49]
	v_mov_b32_e32 v2, v48
	s_waitcnt lgkmcnt(0)
	s_barrier
	s_and_saveexec_b64 s[4:5], s[52:53]
	s_cbranch_execnz .LBB977_289
; %bb.215:
	s_or_b64 exec, exec, s[4:5]
	s_and_saveexec_b64 s[48:49], s[52:53]
	s_cbranch_execnz .LBB977_290
.LBB977_216:
	s_or_b64 exec, exec, s[48:49]
	s_and_saveexec_b64 s[4:5], s[0:1]
	s_cbranch_execz .LBB977_218
.LBB977_217:
	v_mov_b32_e32 v13, 0
	s_waitcnt lgkmcnt(0)
	ds_read_u8 v2, v13 offset:1050
	ds_read_u16 v3, v13 offset:1048
	s_waitcnt lgkmcnt(1)
	v_lshlrev_b32_e32 v2, 16, v2
	s_waitcnt lgkmcnt(0)
	v_or_b32_e32 v2, v2, v3
	v_mov_b32_e32 v3, 2
	global_store_dwordx2 v13, v[2:3], s[64:65] offset:512
.LBB977_218:
	s_or_b64 exec, exec, s[4:5]
	v_mov_b32_e32 v49, v1
.LBB977_219:
	s_add_u32 s0, s54, s68
	s_addc_u32 s1, s55, s69
	s_add_u32 s4, s0, s60
	s_addc_u32 s5, s1, s61
	s_and_b64 vcc, exec, s[2:3]
	v_mul_u32_u24_e32 v14, 22, v0
	s_cbranch_vccz .LBB977_263
; %bb.220:
	s_mov_b32 s0, 0x5040100
	v_lshlrev_b32_e32 v33, 1, v14
	v_perm_b32 v1, v6, v5, s0
	s_waitcnt lgkmcnt(0)
	v_perm_b32 v2, v4, v49, s0
	s_barrier
	ds_write2_b32 v33, v2, v1 offset1:1
	v_perm_b32 v1, v10, v9, s0
	v_perm_b32 v2, v8, v7, s0
	ds_write2_b32 v33, v2, v1 offset0:2 offset1:3
	v_perm_b32 v1, v38, v37, s0
	v_perm_b32 v2, v36, v11, s0
	ds_write2_b32 v33, v2, v1 offset0:4 offset1:5
	s_waitcnt vmcnt(0)
	v_perm_b32 v1, v42, v41, s0
	v_perm_b32 v2, v40, v39, s0
	ds_write2_b32 v33, v2, v1 offset0:6 offset1:7
	v_perm_b32 v1, v46, v45, s0
	v_perm_b32 v2, v44, v43, s0
	ds_write2_b32 v33, v2, v1 offset0:8 offset1:9
	v_perm_b32 v1, v48, v47, s0
	s_movk_i32 s0, 0xffd6
	v_mad_i32_i24 v2, v0, s0, v33
	ds_write_b32 v33, v1 offset:40
	s_waitcnt lgkmcnt(0)
	s_barrier
	ds_read_u16 v35, v2 offset:512
	ds_read_u16 v34, v2 offset:1024
	;; [unrolled: 1-line block ×21, first 2 shown]
	v_mov_b32_e32 v3, s5
	v_add_co_u32_e32 v2, vcc, s4, v12
	s_add_i32 s33, s33, s66
	v_addc_co_u32_e32 v3, vcc, 0, v3, vcc
	v_mov_b32_e32 v1, 0
	v_cmp_gt_u32_e32 vcc, s33, v0
	s_and_saveexec_b64 s[0:1], vcc
	s_cbranch_execz .LBB977_222
; %bb.221:
	v_mul_i32_i24_e32 v50, 0xffffffd6, v0
	v_add_u32_e32 v33, v33, v50
	ds_read_u16 v33, v33
	s_waitcnt lgkmcnt(0)
	flat_store_short v[2:3], v33
.LBB977_222:
	s_or_b64 exec, exec, s[0:1]
	v_or_b32_e32 v33, 0x100, v0
	v_cmp_gt_u32_e32 vcc, s33, v33
	s_and_saveexec_b64 s[0:1], vcc
	s_cbranch_execz .LBB977_224
; %bb.223:
	s_waitcnt lgkmcnt(0)
	flat_store_short v[2:3], v35 offset:512
.LBB977_224:
	s_or_b64 exec, exec, s[0:1]
	v_or_b32_e32 v33, 0x200, v0
	v_cmp_gt_u32_e32 vcc, s33, v33
	s_and_saveexec_b64 s[0:1], vcc
	s_cbranch_execz .LBB977_226
; %bb.225:
	s_waitcnt lgkmcnt(0)
	flat_store_short v[2:3], v34 offset:1024
.LBB977_226:
	;; [unrolled: 9-line block ×3, first 2 shown]
	s_or_b64 exec, exec, s[0:1]
	s_waitcnt lgkmcnt(0)
	v_or_b32_e32 v32, 0x400, v0
	v_cmp_gt_u32_e32 vcc, s33, v32
	s_and_saveexec_b64 s[0:1], vcc
	s_cbranch_execz .LBB977_230
; %bb.229:
	flat_store_short v[2:3], v31 offset:2048
.LBB977_230:
	s_or_b64 exec, exec, s[0:1]
	v_or_b32_e32 v31, 0x500, v0
	v_cmp_gt_u32_e32 vcc, s33, v31
	s_and_saveexec_b64 s[0:1], vcc
	s_cbranch_execz .LBB977_232
; %bb.231:
	flat_store_short v[2:3], v30 offset:2560
.LBB977_232:
	s_or_b64 exec, exec, s[0:1]
	;; [unrolled: 8-line block ×4, first 2 shown]
	v_or_b32_e32 v28, 0x800, v0
	v_cmp_gt_u32_e32 vcc, s33, v28
	s_and_saveexec_b64 s[0:1], vcc
	s_cbranch_execz .LBB977_238
; %bb.237:
	v_add_co_u32_e32 v28, vcc, 0x1000, v2
	v_addc_co_u32_e32 v29, vcc, 0, v3, vcc
	flat_store_short v[28:29], v27
.LBB977_238:
	s_or_b64 exec, exec, s[0:1]
	v_or_b32_e32 v27, 0x900, v0
	v_cmp_gt_u32_e32 vcc, s33, v27
	s_and_saveexec_b64 s[0:1], vcc
	s_cbranch_execz .LBB977_240
; %bb.239:
	v_add_co_u32_e32 v28, vcc, 0x1000, v2
	v_addc_co_u32_e32 v29, vcc, 0, v3, vcc
	flat_store_short v[28:29], v26 offset:512
.LBB977_240:
	s_or_b64 exec, exec, s[0:1]
	v_or_b32_e32 v26, 0xa00, v0
	v_cmp_gt_u32_e32 vcc, s33, v26
	s_and_saveexec_b64 s[0:1], vcc
	s_cbranch_execz .LBB977_242
; %bb.241:
	v_add_co_u32_e32 v26, vcc, 0x1000, v2
	v_addc_co_u32_e32 v27, vcc, 0, v3, vcc
	flat_store_short v[26:27], v25 offset:1024
.LBB977_242:
	;; [unrolled: 10-line block ×7, first 2 shown]
	s_or_b64 exec, exec, s[0:1]
	v_or_b32_e32 v20, 0x1000, v0
	v_cmp_gt_u32_e32 vcc, s33, v20
	s_and_saveexec_b64 s[0:1], vcc
	s_cbranch_execz .LBB977_254
; %bb.253:
	v_add_co_u32_e32 v20, vcc, 0x2000, v2
	v_addc_co_u32_e32 v21, vcc, 0, v3, vcc
	flat_store_short v[20:21], v19
.LBB977_254:
	s_or_b64 exec, exec, s[0:1]
	v_or_b32_e32 v19, 0x1100, v0
	v_cmp_gt_u32_e32 vcc, s33, v19
	s_and_saveexec_b64 s[0:1], vcc
	s_cbranch_execz .LBB977_256
; %bb.255:
	v_add_co_u32_e32 v20, vcc, 0x2000, v2
	v_addc_co_u32_e32 v21, vcc, 0, v3, vcc
	flat_store_short v[20:21], v18 offset:512
.LBB977_256:
	s_or_b64 exec, exec, s[0:1]
	v_or_b32_e32 v18, 0x1200, v0
	v_cmp_gt_u32_e32 vcc, s33, v18
	s_and_saveexec_b64 s[0:1], vcc
	s_cbranch_execz .LBB977_258
; %bb.257:
	v_add_co_u32_e32 v18, vcc, 0x2000, v2
	v_addc_co_u32_e32 v19, vcc, 0, v3, vcc
	flat_store_short v[18:19], v17 offset:1024
.LBB977_258:
	;; [unrolled: 10-line block ×4, first 2 shown]
	s_or_b64 exec, exec, s[0:1]
	v_or_b32_e32 v2, 0x1500, v0
	v_cmp_gt_u32_e64 s[0:1], s33, v2
	s_branch .LBB977_265
.LBB977_263:
	s_mov_b64 s[0:1], 0
                                        ; implicit-def: $vgpr13
	s_cbranch_execz .LBB977_265
; %bb.264:
	s_mov_b32 s2, 0x5040100
	s_waitcnt lgkmcnt(0)
	v_lshlrev_b32_e32 v2, 1, v14
	v_perm_b32 v1, v6, v5, s2
	v_perm_b32 v3, v4, v49, s2
	s_barrier
	ds_write2_b32 v2, v3, v1 offset1:1
	v_perm_b32 v1, v10, v9, s2
	v_perm_b32 v3, v8, v7, s2
	ds_write2_b32 v2, v3, v1 offset0:2 offset1:3
	v_perm_b32 v1, v38, v37, s2
	v_perm_b32 v3, v36, v11, s2
	ds_write2_b32 v2, v3, v1 offset0:4 offset1:5
	s_waitcnt vmcnt(0)
	v_perm_b32 v1, v42, v41, s2
	v_perm_b32 v3, v40, v39, s2
	ds_write2_b32 v2, v3, v1 offset0:6 offset1:7
	v_perm_b32 v1, v46, v45, s2
	v_perm_b32 v3, v44, v43, s2
	ds_write2_b32 v2, v3, v1 offset0:8 offset1:9
	v_perm_b32 v1, v48, v47, s2
	s_movk_i32 s2, 0xffd6
	ds_write_b32 v2, v1 offset:40
	v_mad_i32_i24 v2, v0, s2, v2
	s_waitcnt lgkmcnt(0)
	s_barrier
	ds_read_u16 v4, v2
	ds_read_u16 v5, v2 offset:512
	ds_read_u16 v6, v2 offset:1024
	;; [unrolled: 1-line block ×21, first 2 shown]
	v_mov_b32_e32 v3, s5
	v_add_co_u32_e32 v2, vcc, s4, v12
	v_addc_co_u32_e32 v3, vcc, 0, v3, vcc
	s_movk_i32 s2, 0x1000
	s_waitcnt lgkmcnt(14)
	flat_store_short v[2:3], v4
	flat_store_short v[2:3], v5 offset:512
	flat_store_short v[2:3], v6 offset:1024
	;; [unrolled: 1-line block ×7, first 2 shown]
	v_add_co_u32_e32 v4, vcc, s2, v2
	v_addc_co_u32_e32 v5, vcc, 0, v3, vcc
	v_add_co_u32_e32 v2, vcc, 0x2000, v2
	v_mov_b32_e32 v1, 0
	v_addc_co_u32_e32 v3, vcc, 0, v3, vcc
	s_or_b64 s[0:1], s[0:1], exec
	s_waitcnt lgkmcnt(0)
	flat_store_short v[4:5], v14
	flat_store_short v[4:5], v15 offset:512
	flat_store_short v[4:5], v16 offset:1024
	;; [unrolled: 1-line block ×7, first 2 shown]
	flat_store_short v[2:3], v22
	flat_store_short v[2:3], v23 offset:512
	flat_store_short v[2:3], v24 offset:1024
	;; [unrolled: 1-line block ×4, first 2 shown]
.LBB977_265:
	s_and_saveexec_b64 s[2:3], s[0:1]
	s_cbranch_execnz .LBB977_267
; %bb.266:
	s_endpgm
.LBB977_267:
	v_lshlrev_b64 v[0:1], 1, v[0:1]
	s_waitcnt lgkmcnt(0)
	v_mov_b32_e32 v2, s5
	v_add_co_u32_e32 v0, vcc, s4, v0
	v_addc_co_u32_e32 v1, vcc, v2, v1, vcc
	v_add_co_u32_e32 v0, vcc, 0x2000, v0
	v_addc_co_u32_e32 v1, vcc, 0, v1, vcc
	flat_store_short v[0:1], v13 offset:2560
	s_endpgm
.LBB977_268:
	global_load_ushort v26, v23, s[72:73]
	s_waitcnt vmcnt(0)
	v_sub_u16_e32 v26, 0, v26
	s_or_b64 exec, exec, s[4:5]
                                        ; implicit-def: $vgpr27
	s_and_saveexec_b64 s[4:5], s[8:9]
	s_cbranch_execz .LBB977_57
.LBB977_269:
	global_load_ushort v27, v23, s[72:73] offset:512
	s_waitcnt vmcnt(0)
	v_sub_u16_e32 v27, 0, v27
	s_or_b64 exec, exec, s[4:5]
                                        ; implicit-def: $vgpr28
	s_and_saveexec_b64 s[4:5], s[10:11]
	s_cbranch_execz .LBB977_58
.LBB977_270:
	global_load_ushort v28, v23, s[72:73] offset:1024
	s_waitcnt vmcnt(0)
	v_sub_u16_e32 v28, 0, v28
	s_or_b64 exec, exec, s[4:5]
                                        ; implicit-def: $vgpr29
	s_and_saveexec_b64 s[4:5], s[12:13]
	s_cbranch_execz .LBB977_59
.LBB977_271:
	global_load_ushort v29, v23, s[72:73] offset:1536
	s_waitcnt vmcnt(0)
	v_sub_u16_e32 v29, 0, v29
	s_or_b64 exec, exec, s[4:5]
                                        ; implicit-def: $vgpr30
	s_and_saveexec_b64 s[4:5], s[14:15]
	s_cbranch_execz .LBB977_60
.LBB977_272:
	global_load_ushort v30, v23, s[72:73] offset:2048
	s_waitcnt vmcnt(0)
	v_sub_u16_e32 v30, 0, v30
	s_or_b64 exec, exec, s[4:5]
                                        ; implicit-def: $vgpr31
	s_and_saveexec_b64 s[4:5], s[16:17]
	s_cbranch_execz .LBB977_61
.LBB977_273:
	global_load_ushort v31, v23, s[72:73] offset:2560
	s_waitcnt vmcnt(0)
	v_sub_u16_e32 v31, 0, v31
	s_or_b64 exec, exec, s[4:5]
                                        ; implicit-def: $vgpr32
	s_and_saveexec_b64 s[4:5], s[18:19]
	s_cbranch_execz .LBB977_62
.LBB977_274:
	global_load_ushort v32, v23, s[72:73] offset:3072
	s_waitcnt vmcnt(0)
	v_sub_u16_e32 v32, 0, v32
	s_or_b64 exec, exec, s[4:5]
                                        ; implicit-def: $vgpr33
	s_and_saveexec_b64 s[4:5], s[20:21]
	s_cbranch_execz .LBB977_63
.LBB977_275:
	global_load_ushort v33, v23, s[72:73] offset:3584
	s_waitcnt vmcnt(0)
	v_sub_u16_e32 v33, 0, v33
	s_or_b64 exec, exec, s[4:5]
                                        ; implicit-def: $vgpr34
	s_and_saveexec_b64 s[4:5], s[22:23]
	s_cbranch_execz .LBB977_64
.LBB977_276:
	v_lshlrev_b32_e32 v1, 1, v1
	global_load_ushort v1, v1, s[72:73]
	s_waitcnt vmcnt(0)
	v_sub_u16_e32 v34, 0, v1
	s_or_b64 exec, exec, s[4:5]
                                        ; implicit-def: $vgpr1
	s_and_saveexec_b64 s[4:5], s[24:25]
	s_cbranch_execz .LBB977_65
.LBB977_277:
	v_lshlrev_b32_e32 v1, 1, v2
	global_load_ushort v1, v1, s[72:73]
	s_waitcnt vmcnt(0)
	v_sub_u16_e32 v1, 0, v1
	s_or_b64 exec, exec, s[4:5]
                                        ; implicit-def: $vgpr2
	s_and_saveexec_b64 s[4:5], s[26:27]
	s_cbranch_execz .LBB977_66
.LBB977_278:
	v_lshlrev_b32_e32 v2, 1, v3
	global_load_ushort v2, v2, s[72:73]
	s_waitcnt vmcnt(0)
	v_sub_u16_e32 v2, 0, v2
	s_or_b64 exec, exec, s[4:5]
                                        ; implicit-def: $vgpr3
	s_and_saveexec_b64 s[4:5], s[28:29]
	s_cbranch_execz .LBB977_67
.LBB977_279:
	v_lshlrev_b32_e32 v3, 1, v4
	global_load_ushort v3, v3, s[72:73]
	s_waitcnt vmcnt(0)
	v_sub_u16_e32 v3, 0, v3
	s_or_b64 exec, exec, s[4:5]
                                        ; implicit-def: $vgpr4
	s_and_saveexec_b64 s[4:5], s[30:31]
	s_cbranch_execz .LBB977_68
.LBB977_280:
	v_lshlrev_b32_e32 v4, 1, v5
	global_load_ushort v4, v4, s[72:73]
	s_waitcnt vmcnt(0)
	v_sub_u16_e32 v4, 0, v4
	s_or_b64 exec, exec, s[4:5]
                                        ; implicit-def: $vgpr5
	s_and_saveexec_b64 s[4:5], s[34:35]
	s_cbranch_execz .LBB977_69
.LBB977_281:
	v_lshlrev_b32_e32 v5, 1, v16
	global_load_ushort v5, v5, s[72:73]
	s_waitcnt vmcnt(0)
	v_sub_u16_e32 v5, 0, v5
	s_or_b64 exec, exec, s[4:5]
                                        ; implicit-def: $vgpr16
	s_and_saveexec_b64 s[4:5], s[36:37]
	s_cbranch_execz .LBB977_70
.LBB977_282:
	v_lshlrev_b32_e32 v16, 1, v17
	global_load_ushort v16, v16, s[72:73]
	s_waitcnt vmcnt(0)
	v_sub_u16_e32 v16, 0, v16
	s_or_b64 exec, exec, s[4:5]
                                        ; implicit-def: $vgpr17
	s_and_saveexec_b64 s[4:5], s[38:39]
	s_cbranch_execz .LBB977_71
.LBB977_283:
	v_lshlrev_b32_e32 v17, 1, v18
	global_load_ushort v17, v17, s[72:73]
	s_waitcnt vmcnt(0)
	v_sub_u16_e32 v17, 0, v17
	s_or_b64 exec, exec, s[4:5]
                                        ; implicit-def: $vgpr18
	s_and_saveexec_b64 s[4:5], s[40:41]
	s_cbranch_execz .LBB977_72
.LBB977_284:
	v_lshlrev_b32_e32 v18, 1, v19
	global_load_ushort v18, v18, s[72:73]
	s_waitcnt vmcnt(0)
	v_sub_u16_e32 v18, 0, v18
	s_or_b64 exec, exec, s[4:5]
                                        ; implicit-def: $vgpr19
	s_and_saveexec_b64 s[4:5], s[42:43]
	s_cbranch_execz .LBB977_73
.LBB977_285:
	v_lshlrev_b32_e32 v19, 1, v20
	global_load_ushort v19, v19, s[72:73]
	s_waitcnt vmcnt(0)
	v_sub_u16_e32 v19, 0, v19
	s_or_b64 exec, exec, s[4:5]
                                        ; implicit-def: $vgpr20
	s_and_saveexec_b64 s[4:5], s[44:45]
	s_cbranch_execz .LBB977_74
.LBB977_286:
	v_lshlrev_b32_e32 v20, 1, v21
	global_load_ushort v20, v20, s[72:73]
	s_waitcnt vmcnt(0)
	v_sub_u16_e32 v20, 0, v20
	s_or_b64 exec, exec, s[4:5]
                                        ; implicit-def: $vgpr21
	s_and_saveexec_b64 s[4:5], s[46:47]
	s_cbranch_execz .LBB977_75
.LBB977_287:
	v_lshlrev_b32_e32 v21, 1, v22
	global_load_ushort v21, v21, s[72:73]
	s_waitcnt vmcnt(0)
	v_sub_u16_e32 v21, 0, v21
	s_or_b64 exec, exec, s[4:5]
                                        ; implicit-def: $vgpr22
	s_and_saveexec_b64 s[4:5], s[48:49]
	s_cbranch_execz .LBB977_76
.LBB977_288:
	v_lshlrev_b32_e32 v22, 1, v24
	global_load_ushort v22, v22, s[72:73]
	s_waitcnt vmcnt(0)
	v_sub_u16_e32 v22, 0, v22
	s_or_b64 exec, exec, s[4:5]
                                        ; implicit-def: $vgpr24
	s_and_saveexec_b64 s[4:5], s[50:51]
	s_cbranch_execnz .LBB977_77
	s_branch .LBB977_78
.LBB977_289:
	v_add_u32_e32 v2, -1, v0
	v_lshrrev_b32_e32 v3, 5, v2
	v_add_lshl_u32 v2, v3, v2, 2
	ds_read_u16 v2, v2
	s_or_b64 exec, exec, s[4:5]
	s_and_saveexec_b64 s[48:49], s[52:53]
	s_cbranch_execz .LBB977_216
.LBB977_290:
	s_mov_b32 s4, 0x10000
	s_waitcnt lgkmcnt(0)
	v_and_b32_e32 v2, 0xffff, v2
	v_cmp_gt_u32_e64 s[4:5], s4, v1
	v_cndmask_b32_e64 v2, 0, v2, s[4:5]
	v_add_u32_e32 v1, v2, v1
	v_cndmask_b32_e32 v2, 0, v1, vcc
	v_add_u16_e32 v4, v2, v16
	v_cndmask_b32_e64 v2, 0, v4, s[6:7]
	v_add_u16_e32 v5, v2, v17
	v_cndmask_b32_e64 v2, 0, v5, s[8:9]
	;; [unrolled: 2-line block ×20, first 2 shown]
	v_add_u16_e32 v48, v2, v13
	;;#ASMSTART
	;;#ASMEND
	s_or_b64 exec, exec, s[48:49]
	s_and_saveexec_b64 s[4:5], s[0:1]
	s_cbranch_execnz .LBB977_217
	s_branch .LBB977_218
.LBB977_291:
                                        ; implicit-def: $sgpr4_sgpr5
	s_branch .LBB977_52
.LBB977_292:
                                        ; implicit-def: $sgpr4_sgpr5
	s_branch .LBB977_125
	.section	.rodata,"a",@progbits
	.p2align	6, 0x0
	.amdhsa_kernel _ZN7rocprim17ROCPRIM_400000_NS6detail17trampoline_kernelINS0_14default_configENS1_27scan_by_key_config_selectorIssEEZZNS1_16scan_by_key_implILNS1_25lookback_scan_determinismE0ELb0ES3_N6thrust23THRUST_200600_302600_NS6detail15normal_iteratorINS9_10device_ptrIsEEEENS9_18transform_iteratorINS9_6negateIsEESE_NS9_11use_defaultESI_EESE_sNS9_4plusIvEENS9_8equal_toIvEEsEE10hipError_tPvRmT2_T3_T4_T5_mT6_T7_P12ihipStream_tbENKUlT_T0_E_clISt17integral_constantIbLb1EES14_EEDaSZ_S10_EUlSZ_E_NS1_11comp_targetILNS1_3genE4ELNS1_11target_archE910ELNS1_3gpuE8ELNS1_3repE0EEENS1_30default_config_static_selectorELNS0_4arch9wavefront6targetE1EEEvT1_
		.amdhsa_group_segment_fixed_size 12288
		.amdhsa_private_segment_fixed_size 0
		.amdhsa_kernarg_size 120
		.amdhsa_user_sgpr_count 6
		.amdhsa_user_sgpr_private_segment_buffer 1
		.amdhsa_user_sgpr_dispatch_ptr 0
		.amdhsa_user_sgpr_queue_ptr 0
		.amdhsa_user_sgpr_kernarg_segment_ptr 1
		.amdhsa_user_sgpr_dispatch_id 0
		.amdhsa_user_sgpr_flat_scratch_init 0
		.amdhsa_user_sgpr_kernarg_preload_length 0
		.amdhsa_user_sgpr_kernarg_preload_offset 0
		.amdhsa_user_sgpr_private_segment_size 0
		.amdhsa_uses_dynamic_stack 0
		.amdhsa_system_sgpr_private_segment_wavefront_offset 0
		.amdhsa_system_sgpr_workgroup_id_x 1
		.amdhsa_system_sgpr_workgroup_id_y 0
		.amdhsa_system_sgpr_workgroup_id_z 0
		.amdhsa_system_sgpr_workgroup_info 0
		.amdhsa_system_vgpr_workitem_id 0
		.amdhsa_next_free_vgpr 58
		.amdhsa_next_free_sgpr 82
		.amdhsa_accum_offset 60
		.amdhsa_reserve_vcc 1
		.amdhsa_reserve_flat_scratch 0
		.amdhsa_float_round_mode_32 0
		.amdhsa_float_round_mode_16_64 0
		.amdhsa_float_denorm_mode_32 3
		.amdhsa_float_denorm_mode_16_64 3
		.amdhsa_dx10_clamp 1
		.amdhsa_ieee_mode 1
		.amdhsa_fp16_overflow 0
		.amdhsa_tg_split 0
		.amdhsa_exception_fp_ieee_invalid_op 0
		.amdhsa_exception_fp_denorm_src 0
		.amdhsa_exception_fp_ieee_div_zero 0
		.amdhsa_exception_fp_ieee_overflow 0
		.amdhsa_exception_fp_ieee_underflow 0
		.amdhsa_exception_fp_ieee_inexact 0
		.amdhsa_exception_int_div_zero 0
	.end_amdhsa_kernel
	.section	.text._ZN7rocprim17ROCPRIM_400000_NS6detail17trampoline_kernelINS0_14default_configENS1_27scan_by_key_config_selectorIssEEZZNS1_16scan_by_key_implILNS1_25lookback_scan_determinismE0ELb0ES3_N6thrust23THRUST_200600_302600_NS6detail15normal_iteratorINS9_10device_ptrIsEEEENS9_18transform_iteratorINS9_6negateIsEESE_NS9_11use_defaultESI_EESE_sNS9_4plusIvEENS9_8equal_toIvEEsEE10hipError_tPvRmT2_T3_T4_T5_mT6_T7_P12ihipStream_tbENKUlT_T0_E_clISt17integral_constantIbLb1EES14_EEDaSZ_S10_EUlSZ_E_NS1_11comp_targetILNS1_3genE4ELNS1_11target_archE910ELNS1_3gpuE8ELNS1_3repE0EEENS1_30default_config_static_selectorELNS0_4arch9wavefront6targetE1EEEvT1_,"axG",@progbits,_ZN7rocprim17ROCPRIM_400000_NS6detail17trampoline_kernelINS0_14default_configENS1_27scan_by_key_config_selectorIssEEZZNS1_16scan_by_key_implILNS1_25lookback_scan_determinismE0ELb0ES3_N6thrust23THRUST_200600_302600_NS6detail15normal_iteratorINS9_10device_ptrIsEEEENS9_18transform_iteratorINS9_6negateIsEESE_NS9_11use_defaultESI_EESE_sNS9_4plusIvEENS9_8equal_toIvEEsEE10hipError_tPvRmT2_T3_T4_T5_mT6_T7_P12ihipStream_tbENKUlT_T0_E_clISt17integral_constantIbLb1EES14_EEDaSZ_S10_EUlSZ_E_NS1_11comp_targetILNS1_3genE4ELNS1_11target_archE910ELNS1_3gpuE8ELNS1_3repE0EEENS1_30default_config_static_selectorELNS0_4arch9wavefront6targetE1EEEvT1_,comdat
.Lfunc_end977:
	.size	_ZN7rocprim17ROCPRIM_400000_NS6detail17trampoline_kernelINS0_14default_configENS1_27scan_by_key_config_selectorIssEEZZNS1_16scan_by_key_implILNS1_25lookback_scan_determinismE0ELb0ES3_N6thrust23THRUST_200600_302600_NS6detail15normal_iteratorINS9_10device_ptrIsEEEENS9_18transform_iteratorINS9_6negateIsEESE_NS9_11use_defaultESI_EESE_sNS9_4plusIvEENS9_8equal_toIvEEsEE10hipError_tPvRmT2_T3_T4_T5_mT6_T7_P12ihipStream_tbENKUlT_T0_E_clISt17integral_constantIbLb1EES14_EEDaSZ_S10_EUlSZ_E_NS1_11comp_targetILNS1_3genE4ELNS1_11target_archE910ELNS1_3gpuE8ELNS1_3repE0EEENS1_30default_config_static_selectorELNS0_4arch9wavefront6targetE1EEEvT1_, .Lfunc_end977-_ZN7rocprim17ROCPRIM_400000_NS6detail17trampoline_kernelINS0_14default_configENS1_27scan_by_key_config_selectorIssEEZZNS1_16scan_by_key_implILNS1_25lookback_scan_determinismE0ELb0ES3_N6thrust23THRUST_200600_302600_NS6detail15normal_iteratorINS9_10device_ptrIsEEEENS9_18transform_iteratorINS9_6negateIsEESE_NS9_11use_defaultESI_EESE_sNS9_4plusIvEENS9_8equal_toIvEEsEE10hipError_tPvRmT2_T3_T4_T5_mT6_T7_P12ihipStream_tbENKUlT_T0_E_clISt17integral_constantIbLb1EES14_EEDaSZ_S10_EUlSZ_E_NS1_11comp_targetILNS1_3genE4ELNS1_11target_archE910ELNS1_3gpuE8ELNS1_3repE0EEENS1_30default_config_static_selectorELNS0_4arch9wavefront6targetE1EEEvT1_
                                        ; -- End function
	.section	.AMDGPU.csdata,"",@progbits
; Kernel info:
; codeLenInByte = 15756
; NumSgprs: 86
; NumVgprs: 58
; NumAgprs: 0
; TotalNumVgprs: 58
; ScratchSize: 0
; MemoryBound: 0
; FloatMode: 240
; IeeeMode: 1
; LDSByteSize: 12288 bytes/workgroup (compile time only)
; SGPRBlocks: 10
; VGPRBlocks: 7
; NumSGPRsForWavesPerEU: 86
; NumVGPRsForWavesPerEU: 58
; AccumOffset: 60
; Occupancy: 5
; WaveLimiterHint : 1
; COMPUTE_PGM_RSRC2:SCRATCH_EN: 0
; COMPUTE_PGM_RSRC2:USER_SGPR: 6
; COMPUTE_PGM_RSRC2:TRAP_HANDLER: 0
; COMPUTE_PGM_RSRC2:TGID_X_EN: 1
; COMPUTE_PGM_RSRC2:TGID_Y_EN: 0
; COMPUTE_PGM_RSRC2:TGID_Z_EN: 0
; COMPUTE_PGM_RSRC2:TIDIG_COMP_CNT: 0
; COMPUTE_PGM_RSRC3_GFX90A:ACCUM_OFFSET: 14
; COMPUTE_PGM_RSRC3_GFX90A:TG_SPLIT: 0
	.section	.text._ZN7rocprim17ROCPRIM_400000_NS6detail17trampoline_kernelINS0_14default_configENS1_27scan_by_key_config_selectorIssEEZZNS1_16scan_by_key_implILNS1_25lookback_scan_determinismE0ELb0ES3_N6thrust23THRUST_200600_302600_NS6detail15normal_iteratorINS9_10device_ptrIsEEEENS9_18transform_iteratorINS9_6negateIsEESE_NS9_11use_defaultESI_EESE_sNS9_4plusIvEENS9_8equal_toIvEEsEE10hipError_tPvRmT2_T3_T4_T5_mT6_T7_P12ihipStream_tbENKUlT_T0_E_clISt17integral_constantIbLb1EES14_EEDaSZ_S10_EUlSZ_E_NS1_11comp_targetILNS1_3genE3ELNS1_11target_archE908ELNS1_3gpuE7ELNS1_3repE0EEENS1_30default_config_static_selectorELNS0_4arch9wavefront6targetE1EEEvT1_,"axG",@progbits,_ZN7rocprim17ROCPRIM_400000_NS6detail17trampoline_kernelINS0_14default_configENS1_27scan_by_key_config_selectorIssEEZZNS1_16scan_by_key_implILNS1_25lookback_scan_determinismE0ELb0ES3_N6thrust23THRUST_200600_302600_NS6detail15normal_iteratorINS9_10device_ptrIsEEEENS9_18transform_iteratorINS9_6negateIsEESE_NS9_11use_defaultESI_EESE_sNS9_4plusIvEENS9_8equal_toIvEEsEE10hipError_tPvRmT2_T3_T4_T5_mT6_T7_P12ihipStream_tbENKUlT_T0_E_clISt17integral_constantIbLb1EES14_EEDaSZ_S10_EUlSZ_E_NS1_11comp_targetILNS1_3genE3ELNS1_11target_archE908ELNS1_3gpuE7ELNS1_3repE0EEENS1_30default_config_static_selectorELNS0_4arch9wavefront6targetE1EEEvT1_,comdat
	.protected	_ZN7rocprim17ROCPRIM_400000_NS6detail17trampoline_kernelINS0_14default_configENS1_27scan_by_key_config_selectorIssEEZZNS1_16scan_by_key_implILNS1_25lookback_scan_determinismE0ELb0ES3_N6thrust23THRUST_200600_302600_NS6detail15normal_iteratorINS9_10device_ptrIsEEEENS9_18transform_iteratorINS9_6negateIsEESE_NS9_11use_defaultESI_EESE_sNS9_4plusIvEENS9_8equal_toIvEEsEE10hipError_tPvRmT2_T3_T4_T5_mT6_T7_P12ihipStream_tbENKUlT_T0_E_clISt17integral_constantIbLb1EES14_EEDaSZ_S10_EUlSZ_E_NS1_11comp_targetILNS1_3genE3ELNS1_11target_archE908ELNS1_3gpuE7ELNS1_3repE0EEENS1_30default_config_static_selectorELNS0_4arch9wavefront6targetE1EEEvT1_ ; -- Begin function _ZN7rocprim17ROCPRIM_400000_NS6detail17trampoline_kernelINS0_14default_configENS1_27scan_by_key_config_selectorIssEEZZNS1_16scan_by_key_implILNS1_25lookback_scan_determinismE0ELb0ES3_N6thrust23THRUST_200600_302600_NS6detail15normal_iteratorINS9_10device_ptrIsEEEENS9_18transform_iteratorINS9_6negateIsEESE_NS9_11use_defaultESI_EESE_sNS9_4plusIvEENS9_8equal_toIvEEsEE10hipError_tPvRmT2_T3_T4_T5_mT6_T7_P12ihipStream_tbENKUlT_T0_E_clISt17integral_constantIbLb1EES14_EEDaSZ_S10_EUlSZ_E_NS1_11comp_targetILNS1_3genE3ELNS1_11target_archE908ELNS1_3gpuE7ELNS1_3repE0EEENS1_30default_config_static_selectorELNS0_4arch9wavefront6targetE1EEEvT1_
	.globl	_ZN7rocprim17ROCPRIM_400000_NS6detail17trampoline_kernelINS0_14default_configENS1_27scan_by_key_config_selectorIssEEZZNS1_16scan_by_key_implILNS1_25lookback_scan_determinismE0ELb0ES3_N6thrust23THRUST_200600_302600_NS6detail15normal_iteratorINS9_10device_ptrIsEEEENS9_18transform_iteratorINS9_6negateIsEESE_NS9_11use_defaultESI_EESE_sNS9_4plusIvEENS9_8equal_toIvEEsEE10hipError_tPvRmT2_T3_T4_T5_mT6_T7_P12ihipStream_tbENKUlT_T0_E_clISt17integral_constantIbLb1EES14_EEDaSZ_S10_EUlSZ_E_NS1_11comp_targetILNS1_3genE3ELNS1_11target_archE908ELNS1_3gpuE7ELNS1_3repE0EEENS1_30default_config_static_selectorELNS0_4arch9wavefront6targetE1EEEvT1_
	.p2align	8
	.type	_ZN7rocprim17ROCPRIM_400000_NS6detail17trampoline_kernelINS0_14default_configENS1_27scan_by_key_config_selectorIssEEZZNS1_16scan_by_key_implILNS1_25lookback_scan_determinismE0ELb0ES3_N6thrust23THRUST_200600_302600_NS6detail15normal_iteratorINS9_10device_ptrIsEEEENS9_18transform_iteratorINS9_6negateIsEESE_NS9_11use_defaultESI_EESE_sNS9_4plusIvEENS9_8equal_toIvEEsEE10hipError_tPvRmT2_T3_T4_T5_mT6_T7_P12ihipStream_tbENKUlT_T0_E_clISt17integral_constantIbLb1EES14_EEDaSZ_S10_EUlSZ_E_NS1_11comp_targetILNS1_3genE3ELNS1_11target_archE908ELNS1_3gpuE7ELNS1_3repE0EEENS1_30default_config_static_selectorELNS0_4arch9wavefront6targetE1EEEvT1_,@function
_ZN7rocprim17ROCPRIM_400000_NS6detail17trampoline_kernelINS0_14default_configENS1_27scan_by_key_config_selectorIssEEZZNS1_16scan_by_key_implILNS1_25lookback_scan_determinismE0ELb0ES3_N6thrust23THRUST_200600_302600_NS6detail15normal_iteratorINS9_10device_ptrIsEEEENS9_18transform_iteratorINS9_6negateIsEESE_NS9_11use_defaultESI_EESE_sNS9_4plusIvEENS9_8equal_toIvEEsEE10hipError_tPvRmT2_T3_T4_T5_mT6_T7_P12ihipStream_tbENKUlT_T0_E_clISt17integral_constantIbLb1EES14_EEDaSZ_S10_EUlSZ_E_NS1_11comp_targetILNS1_3genE3ELNS1_11target_archE908ELNS1_3gpuE7ELNS1_3repE0EEENS1_30default_config_static_selectorELNS0_4arch9wavefront6targetE1EEEvT1_: ; @_ZN7rocprim17ROCPRIM_400000_NS6detail17trampoline_kernelINS0_14default_configENS1_27scan_by_key_config_selectorIssEEZZNS1_16scan_by_key_implILNS1_25lookback_scan_determinismE0ELb0ES3_N6thrust23THRUST_200600_302600_NS6detail15normal_iteratorINS9_10device_ptrIsEEEENS9_18transform_iteratorINS9_6negateIsEESE_NS9_11use_defaultESI_EESE_sNS9_4plusIvEENS9_8equal_toIvEEsEE10hipError_tPvRmT2_T3_T4_T5_mT6_T7_P12ihipStream_tbENKUlT_T0_E_clISt17integral_constantIbLb1EES14_EEDaSZ_S10_EUlSZ_E_NS1_11comp_targetILNS1_3genE3ELNS1_11target_archE908ELNS1_3gpuE7ELNS1_3repE0EEENS1_30default_config_static_selectorELNS0_4arch9wavefront6targetE1EEEvT1_
; %bb.0:
	.section	.rodata,"a",@progbits
	.p2align	6, 0x0
	.amdhsa_kernel _ZN7rocprim17ROCPRIM_400000_NS6detail17trampoline_kernelINS0_14default_configENS1_27scan_by_key_config_selectorIssEEZZNS1_16scan_by_key_implILNS1_25lookback_scan_determinismE0ELb0ES3_N6thrust23THRUST_200600_302600_NS6detail15normal_iteratorINS9_10device_ptrIsEEEENS9_18transform_iteratorINS9_6negateIsEESE_NS9_11use_defaultESI_EESE_sNS9_4plusIvEENS9_8equal_toIvEEsEE10hipError_tPvRmT2_T3_T4_T5_mT6_T7_P12ihipStream_tbENKUlT_T0_E_clISt17integral_constantIbLb1EES14_EEDaSZ_S10_EUlSZ_E_NS1_11comp_targetILNS1_3genE3ELNS1_11target_archE908ELNS1_3gpuE7ELNS1_3repE0EEENS1_30default_config_static_selectorELNS0_4arch9wavefront6targetE1EEEvT1_
		.amdhsa_group_segment_fixed_size 0
		.amdhsa_private_segment_fixed_size 0
		.amdhsa_kernarg_size 120
		.amdhsa_user_sgpr_count 6
		.amdhsa_user_sgpr_private_segment_buffer 1
		.amdhsa_user_sgpr_dispatch_ptr 0
		.amdhsa_user_sgpr_queue_ptr 0
		.amdhsa_user_sgpr_kernarg_segment_ptr 1
		.amdhsa_user_sgpr_dispatch_id 0
		.amdhsa_user_sgpr_flat_scratch_init 0
		.amdhsa_user_sgpr_kernarg_preload_length 0
		.amdhsa_user_sgpr_kernarg_preload_offset 0
		.amdhsa_user_sgpr_private_segment_size 0
		.amdhsa_uses_dynamic_stack 0
		.amdhsa_system_sgpr_private_segment_wavefront_offset 0
		.amdhsa_system_sgpr_workgroup_id_x 1
		.amdhsa_system_sgpr_workgroup_id_y 0
		.amdhsa_system_sgpr_workgroup_id_z 0
		.amdhsa_system_sgpr_workgroup_info 0
		.amdhsa_system_vgpr_workitem_id 0
		.amdhsa_next_free_vgpr 1
		.amdhsa_next_free_sgpr 0
		.amdhsa_accum_offset 4
		.amdhsa_reserve_vcc 0
		.amdhsa_reserve_flat_scratch 0
		.amdhsa_float_round_mode_32 0
		.amdhsa_float_round_mode_16_64 0
		.amdhsa_float_denorm_mode_32 3
		.amdhsa_float_denorm_mode_16_64 3
		.amdhsa_dx10_clamp 1
		.amdhsa_ieee_mode 1
		.amdhsa_fp16_overflow 0
		.amdhsa_tg_split 0
		.amdhsa_exception_fp_ieee_invalid_op 0
		.amdhsa_exception_fp_denorm_src 0
		.amdhsa_exception_fp_ieee_div_zero 0
		.amdhsa_exception_fp_ieee_overflow 0
		.amdhsa_exception_fp_ieee_underflow 0
		.amdhsa_exception_fp_ieee_inexact 0
		.amdhsa_exception_int_div_zero 0
	.end_amdhsa_kernel
	.section	.text._ZN7rocprim17ROCPRIM_400000_NS6detail17trampoline_kernelINS0_14default_configENS1_27scan_by_key_config_selectorIssEEZZNS1_16scan_by_key_implILNS1_25lookback_scan_determinismE0ELb0ES3_N6thrust23THRUST_200600_302600_NS6detail15normal_iteratorINS9_10device_ptrIsEEEENS9_18transform_iteratorINS9_6negateIsEESE_NS9_11use_defaultESI_EESE_sNS9_4plusIvEENS9_8equal_toIvEEsEE10hipError_tPvRmT2_T3_T4_T5_mT6_T7_P12ihipStream_tbENKUlT_T0_E_clISt17integral_constantIbLb1EES14_EEDaSZ_S10_EUlSZ_E_NS1_11comp_targetILNS1_3genE3ELNS1_11target_archE908ELNS1_3gpuE7ELNS1_3repE0EEENS1_30default_config_static_selectorELNS0_4arch9wavefront6targetE1EEEvT1_,"axG",@progbits,_ZN7rocprim17ROCPRIM_400000_NS6detail17trampoline_kernelINS0_14default_configENS1_27scan_by_key_config_selectorIssEEZZNS1_16scan_by_key_implILNS1_25lookback_scan_determinismE0ELb0ES3_N6thrust23THRUST_200600_302600_NS6detail15normal_iteratorINS9_10device_ptrIsEEEENS9_18transform_iteratorINS9_6negateIsEESE_NS9_11use_defaultESI_EESE_sNS9_4plusIvEENS9_8equal_toIvEEsEE10hipError_tPvRmT2_T3_T4_T5_mT6_T7_P12ihipStream_tbENKUlT_T0_E_clISt17integral_constantIbLb1EES14_EEDaSZ_S10_EUlSZ_E_NS1_11comp_targetILNS1_3genE3ELNS1_11target_archE908ELNS1_3gpuE7ELNS1_3repE0EEENS1_30default_config_static_selectorELNS0_4arch9wavefront6targetE1EEEvT1_,comdat
.Lfunc_end978:
	.size	_ZN7rocprim17ROCPRIM_400000_NS6detail17trampoline_kernelINS0_14default_configENS1_27scan_by_key_config_selectorIssEEZZNS1_16scan_by_key_implILNS1_25lookback_scan_determinismE0ELb0ES3_N6thrust23THRUST_200600_302600_NS6detail15normal_iteratorINS9_10device_ptrIsEEEENS9_18transform_iteratorINS9_6negateIsEESE_NS9_11use_defaultESI_EESE_sNS9_4plusIvEENS9_8equal_toIvEEsEE10hipError_tPvRmT2_T3_T4_T5_mT6_T7_P12ihipStream_tbENKUlT_T0_E_clISt17integral_constantIbLb1EES14_EEDaSZ_S10_EUlSZ_E_NS1_11comp_targetILNS1_3genE3ELNS1_11target_archE908ELNS1_3gpuE7ELNS1_3repE0EEENS1_30default_config_static_selectorELNS0_4arch9wavefront6targetE1EEEvT1_, .Lfunc_end978-_ZN7rocprim17ROCPRIM_400000_NS6detail17trampoline_kernelINS0_14default_configENS1_27scan_by_key_config_selectorIssEEZZNS1_16scan_by_key_implILNS1_25lookback_scan_determinismE0ELb0ES3_N6thrust23THRUST_200600_302600_NS6detail15normal_iteratorINS9_10device_ptrIsEEEENS9_18transform_iteratorINS9_6negateIsEESE_NS9_11use_defaultESI_EESE_sNS9_4plusIvEENS9_8equal_toIvEEsEE10hipError_tPvRmT2_T3_T4_T5_mT6_T7_P12ihipStream_tbENKUlT_T0_E_clISt17integral_constantIbLb1EES14_EEDaSZ_S10_EUlSZ_E_NS1_11comp_targetILNS1_3genE3ELNS1_11target_archE908ELNS1_3gpuE7ELNS1_3repE0EEENS1_30default_config_static_selectorELNS0_4arch9wavefront6targetE1EEEvT1_
                                        ; -- End function
	.section	.AMDGPU.csdata,"",@progbits
; Kernel info:
; codeLenInByte = 0
; NumSgprs: 4
; NumVgprs: 0
; NumAgprs: 0
; TotalNumVgprs: 0
; ScratchSize: 0
; MemoryBound: 0
; FloatMode: 240
; IeeeMode: 1
; LDSByteSize: 0 bytes/workgroup (compile time only)
; SGPRBlocks: 0
; VGPRBlocks: 0
; NumSGPRsForWavesPerEU: 4
; NumVGPRsForWavesPerEU: 1
; AccumOffset: 4
; Occupancy: 8
; WaveLimiterHint : 0
; COMPUTE_PGM_RSRC2:SCRATCH_EN: 0
; COMPUTE_PGM_RSRC2:USER_SGPR: 6
; COMPUTE_PGM_RSRC2:TRAP_HANDLER: 0
; COMPUTE_PGM_RSRC2:TGID_X_EN: 1
; COMPUTE_PGM_RSRC2:TGID_Y_EN: 0
; COMPUTE_PGM_RSRC2:TGID_Z_EN: 0
; COMPUTE_PGM_RSRC2:TIDIG_COMP_CNT: 0
; COMPUTE_PGM_RSRC3_GFX90A:ACCUM_OFFSET: 0
; COMPUTE_PGM_RSRC3_GFX90A:TG_SPLIT: 0
	.section	.text._ZN7rocprim17ROCPRIM_400000_NS6detail17trampoline_kernelINS0_14default_configENS1_27scan_by_key_config_selectorIssEEZZNS1_16scan_by_key_implILNS1_25lookback_scan_determinismE0ELb0ES3_N6thrust23THRUST_200600_302600_NS6detail15normal_iteratorINS9_10device_ptrIsEEEENS9_18transform_iteratorINS9_6negateIsEESE_NS9_11use_defaultESI_EESE_sNS9_4plusIvEENS9_8equal_toIvEEsEE10hipError_tPvRmT2_T3_T4_T5_mT6_T7_P12ihipStream_tbENKUlT_T0_E_clISt17integral_constantIbLb1EES14_EEDaSZ_S10_EUlSZ_E_NS1_11comp_targetILNS1_3genE2ELNS1_11target_archE906ELNS1_3gpuE6ELNS1_3repE0EEENS1_30default_config_static_selectorELNS0_4arch9wavefront6targetE1EEEvT1_,"axG",@progbits,_ZN7rocprim17ROCPRIM_400000_NS6detail17trampoline_kernelINS0_14default_configENS1_27scan_by_key_config_selectorIssEEZZNS1_16scan_by_key_implILNS1_25lookback_scan_determinismE0ELb0ES3_N6thrust23THRUST_200600_302600_NS6detail15normal_iteratorINS9_10device_ptrIsEEEENS9_18transform_iteratorINS9_6negateIsEESE_NS9_11use_defaultESI_EESE_sNS9_4plusIvEENS9_8equal_toIvEEsEE10hipError_tPvRmT2_T3_T4_T5_mT6_T7_P12ihipStream_tbENKUlT_T0_E_clISt17integral_constantIbLb1EES14_EEDaSZ_S10_EUlSZ_E_NS1_11comp_targetILNS1_3genE2ELNS1_11target_archE906ELNS1_3gpuE6ELNS1_3repE0EEENS1_30default_config_static_selectorELNS0_4arch9wavefront6targetE1EEEvT1_,comdat
	.protected	_ZN7rocprim17ROCPRIM_400000_NS6detail17trampoline_kernelINS0_14default_configENS1_27scan_by_key_config_selectorIssEEZZNS1_16scan_by_key_implILNS1_25lookback_scan_determinismE0ELb0ES3_N6thrust23THRUST_200600_302600_NS6detail15normal_iteratorINS9_10device_ptrIsEEEENS9_18transform_iteratorINS9_6negateIsEESE_NS9_11use_defaultESI_EESE_sNS9_4plusIvEENS9_8equal_toIvEEsEE10hipError_tPvRmT2_T3_T4_T5_mT6_T7_P12ihipStream_tbENKUlT_T0_E_clISt17integral_constantIbLb1EES14_EEDaSZ_S10_EUlSZ_E_NS1_11comp_targetILNS1_3genE2ELNS1_11target_archE906ELNS1_3gpuE6ELNS1_3repE0EEENS1_30default_config_static_selectorELNS0_4arch9wavefront6targetE1EEEvT1_ ; -- Begin function _ZN7rocprim17ROCPRIM_400000_NS6detail17trampoline_kernelINS0_14default_configENS1_27scan_by_key_config_selectorIssEEZZNS1_16scan_by_key_implILNS1_25lookback_scan_determinismE0ELb0ES3_N6thrust23THRUST_200600_302600_NS6detail15normal_iteratorINS9_10device_ptrIsEEEENS9_18transform_iteratorINS9_6negateIsEESE_NS9_11use_defaultESI_EESE_sNS9_4plusIvEENS9_8equal_toIvEEsEE10hipError_tPvRmT2_T3_T4_T5_mT6_T7_P12ihipStream_tbENKUlT_T0_E_clISt17integral_constantIbLb1EES14_EEDaSZ_S10_EUlSZ_E_NS1_11comp_targetILNS1_3genE2ELNS1_11target_archE906ELNS1_3gpuE6ELNS1_3repE0EEENS1_30default_config_static_selectorELNS0_4arch9wavefront6targetE1EEEvT1_
	.globl	_ZN7rocprim17ROCPRIM_400000_NS6detail17trampoline_kernelINS0_14default_configENS1_27scan_by_key_config_selectorIssEEZZNS1_16scan_by_key_implILNS1_25lookback_scan_determinismE0ELb0ES3_N6thrust23THRUST_200600_302600_NS6detail15normal_iteratorINS9_10device_ptrIsEEEENS9_18transform_iteratorINS9_6negateIsEESE_NS9_11use_defaultESI_EESE_sNS9_4plusIvEENS9_8equal_toIvEEsEE10hipError_tPvRmT2_T3_T4_T5_mT6_T7_P12ihipStream_tbENKUlT_T0_E_clISt17integral_constantIbLb1EES14_EEDaSZ_S10_EUlSZ_E_NS1_11comp_targetILNS1_3genE2ELNS1_11target_archE906ELNS1_3gpuE6ELNS1_3repE0EEENS1_30default_config_static_selectorELNS0_4arch9wavefront6targetE1EEEvT1_
	.p2align	8
	.type	_ZN7rocprim17ROCPRIM_400000_NS6detail17trampoline_kernelINS0_14default_configENS1_27scan_by_key_config_selectorIssEEZZNS1_16scan_by_key_implILNS1_25lookback_scan_determinismE0ELb0ES3_N6thrust23THRUST_200600_302600_NS6detail15normal_iteratorINS9_10device_ptrIsEEEENS9_18transform_iteratorINS9_6negateIsEESE_NS9_11use_defaultESI_EESE_sNS9_4plusIvEENS9_8equal_toIvEEsEE10hipError_tPvRmT2_T3_T4_T5_mT6_T7_P12ihipStream_tbENKUlT_T0_E_clISt17integral_constantIbLb1EES14_EEDaSZ_S10_EUlSZ_E_NS1_11comp_targetILNS1_3genE2ELNS1_11target_archE906ELNS1_3gpuE6ELNS1_3repE0EEENS1_30default_config_static_selectorELNS0_4arch9wavefront6targetE1EEEvT1_,@function
_ZN7rocprim17ROCPRIM_400000_NS6detail17trampoline_kernelINS0_14default_configENS1_27scan_by_key_config_selectorIssEEZZNS1_16scan_by_key_implILNS1_25lookback_scan_determinismE0ELb0ES3_N6thrust23THRUST_200600_302600_NS6detail15normal_iteratorINS9_10device_ptrIsEEEENS9_18transform_iteratorINS9_6negateIsEESE_NS9_11use_defaultESI_EESE_sNS9_4plusIvEENS9_8equal_toIvEEsEE10hipError_tPvRmT2_T3_T4_T5_mT6_T7_P12ihipStream_tbENKUlT_T0_E_clISt17integral_constantIbLb1EES14_EEDaSZ_S10_EUlSZ_E_NS1_11comp_targetILNS1_3genE2ELNS1_11target_archE906ELNS1_3gpuE6ELNS1_3repE0EEENS1_30default_config_static_selectorELNS0_4arch9wavefront6targetE1EEEvT1_: ; @_ZN7rocprim17ROCPRIM_400000_NS6detail17trampoline_kernelINS0_14default_configENS1_27scan_by_key_config_selectorIssEEZZNS1_16scan_by_key_implILNS1_25lookback_scan_determinismE0ELb0ES3_N6thrust23THRUST_200600_302600_NS6detail15normal_iteratorINS9_10device_ptrIsEEEENS9_18transform_iteratorINS9_6negateIsEESE_NS9_11use_defaultESI_EESE_sNS9_4plusIvEENS9_8equal_toIvEEsEE10hipError_tPvRmT2_T3_T4_T5_mT6_T7_P12ihipStream_tbENKUlT_T0_E_clISt17integral_constantIbLb1EES14_EEDaSZ_S10_EUlSZ_E_NS1_11comp_targetILNS1_3genE2ELNS1_11target_archE906ELNS1_3gpuE6ELNS1_3repE0EEENS1_30default_config_static_selectorELNS0_4arch9wavefront6targetE1EEEvT1_
; %bb.0:
	.section	.rodata,"a",@progbits
	.p2align	6, 0x0
	.amdhsa_kernel _ZN7rocprim17ROCPRIM_400000_NS6detail17trampoline_kernelINS0_14default_configENS1_27scan_by_key_config_selectorIssEEZZNS1_16scan_by_key_implILNS1_25lookback_scan_determinismE0ELb0ES3_N6thrust23THRUST_200600_302600_NS6detail15normal_iteratorINS9_10device_ptrIsEEEENS9_18transform_iteratorINS9_6negateIsEESE_NS9_11use_defaultESI_EESE_sNS9_4plusIvEENS9_8equal_toIvEEsEE10hipError_tPvRmT2_T3_T4_T5_mT6_T7_P12ihipStream_tbENKUlT_T0_E_clISt17integral_constantIbLb1EES14_EEDaSZ_S10_EUlSZ_E_NS1_11comp_targetILNS1_3genE2ELNS1_11target_archE906ELNS1_3gpuE6ELNS1_3repE0EEENS1_30default_config_static_selectorELNS0_4arch9wavefront6targetE1EEEvT1_
		.amdhsa_group_segment_fixed_size 0
		.amdhsa_private_segment_fixed_size 0
		.amdhsa_kernarg_size 120
		.amdhsa_user_sgpr_count 6
		.amdhsa_user_sgpr_private_segment_buffer 1
		.amdhsa_user_sgpr_dispatch_ptr 0
		.amdhsa_user_sgpr_queue_ptr 0
		.amdhsa_user_sgpr_kernarg_segment_ptr 1
		.amdhsa_user_sgpr_dispatch_id 0
		.amdhsa_user_sgpr_flat_scratch_init 0
		.amdhsa_user_sgpr_kernarg_preload_length 0
		.amdhsa_user_sgpr_kernarg_preload_offset 0
		.amdhsa_user_sgpr_private_segment_size 0
		.amdhsa_uses_dynamic_stack 0
		.amdhsa_system_sgpr_private_segment_wavefront_offset 0
		.amdhsa_system_sgpr_workgroup_id_x 1
		.amdhsa_system_sgpr_workgroup_id_y 0
		.amdhsa_system_sgpr_workgroup_id_z 0
		.amdhsa_system_sgpr_workgroup_info 0
		.amdhsa_system_vgpr_workitem_id 0
		.amdhsa_next_free_vgpr 1
		.amdhsa_next_free_sgpr 0
		.amdhsa_accum_offset 4
		.amdhsa_reserve_vcc 0
		.amdhsa_reserve_flat_scratch 0
		.amdhsa_float_round_mode_32 0
		.amdhsa_float_round_mode_16_64 0
		.amdhsa_float_denorm_mode_32 3
		.amdhsa_float_denorm_mode_16_64 3
		.amdhsa_dx10_clamp 1
		.amdhsa_ieee_mode 1
		.amdhsa_fp16_overflow 0
		.amdhsa_tg_split 0
		.amdhsa_exception_fp_ieee_invalid_op 0
		.amdhsa_exception_fp_denorm_src 0
		.amdhsa_exception_fp_ieee_div_zero 0
		.amdhsa_exception_fp_ieee_overflow 0
		.amdhsa_exception_fp_ieee_underflow 0
		.amdhsa_exception_fp_ieee_inexact 0
		.amdhsa_exception_int_div_zero 0
	.end_amdhsa_kernel
	.section	.text._ZN7rocprim17ROCPRIM_400000_NS6detail17trampoline_kernelINS0_14default_configENS1_27scan_by_key_config_selectorIssEEZZNS1_16scan_by_key_implILNS1_25lookback_scan_determinismE0ELb0ES3_N6thrust23THRUST_200600_302600_NS6detail15normal_iteratorINS9_10device_ptrIsEEEENS9_18transform_iteratorINS9_6negateIsEESE_NS9_11use_defaultESI_EESE_sNS9_4plusIvEENS9_8equal_toIvEEsEE10hipError_tPvRmT2_T3_T4_T5_mT6_T7_P12ihipStream_tbENKUlT_T0_E_clISt17integral_constantIbLb1EES14_EEDaSZ_S10_EUlSZ_E_NS1_11comp_targetILNS1_3genE2ELNS1_11target_archE906ELNS1_3gpuE6ELNS1_3repE0EEENS1_30default_config_static_selectorELNS0_4arch9wavefront6targetE1EEEvT1_,"axG",@progbits,_ZN7rocprim17ROCPRIM_400000_NS6detail17trampoline_kernelINS0_14default_configENS1_27scan_by_key_config_selectorIssEEZZNS1_16scan_by_key_implILNS1_25lookback_scan_determinismE0ELb0ES3_N6thrust23THRUST_200600_302600_NS6detail15normal_iteratorINS9_10device_ptrIsEEEENS9_18transform_iteratorINS9_6negateIsEESE_NS9_11use_defaultESI_EESE_sNS9_4plusIvEENS9_8equal_toIvEEsEE10hipError_tPvRmT2_T3_T4_T5_mT6_T7_P12ihipStream_tbENKUlT_T0_E_clISt17integral_constantIbLb1EES14_EEDaSZ_S10_EUlSZ_E_NS1_11comp_targetILNS1_3genE2ELNS1_11target_archE906ELNS1_3gpuE6ELNS1_3repE0EEENS1_30default_config_static_selectorELNS0_4arch9wavefront6targetE1EEEvT1_,comdat
.Lfunc_end979:
	.size	_ZN7rocprim17ROCPRIM_400000_NS6detail17trampoline_kernelINS0_14default_configENS1_27scan_by_key_config_selectorIssEEZZNS1_16scan_by_key_implILNS1_25lookback_scan_determinismE0ELb0ES3_N6thrust23THRUST_200600_302600_NS6detail15normal_iteratorINS9_10device_ptrIsEEEENS9_18transform_iteratorINS9_6negateIsEESE_NS9_11use_defaultESI_EESE_sNS9_4plusIvEENS9_8equal_toIvEEsEE10hipError_tPvRmT2_T3_T4_T5_mT6_T7_P12ihipStream_tbENKUlT_T0_E_clISt17integral_constantIbLb1EES14_EEDaSZ_S10_EUlSZ_E_NS1_11comp_targetILNS1_3genE2ELNS1_11target_archE906ELNS1_3gpuE6ELNS1_3repE0EEENS1_30default_config_static_selectorELNS0_4arch9wavefront6targetE1EEEvT1_, .Lfunc_end979-_ZN7rocprim17ROCPRIM_400000_NS6detail17trampoline_kernelINS0_14default_configENS1_27scan_by_key_config_selectorIssEEZZNS1_16scan_by_key_implILNS1_25lookback_scan_determinismE0ELb0ES3_N6thrust23THRUST_200600_302600_NS6detail15normal_iteratorINS9_10device_ptrIsEEEENS9_18transform_iteratorINS9_6negateIsEESE_NS9_11use_defaultESI_EESE_sNS9_4plusIvEENS9_8equal_toIvEEsEE10hipError_tPvRmT2_T3_T4_T5_mT6_T7_P12ihipStream_tbENKUlT_T0_E_clISt17integral_constantIbLb1EES14_EEDaSZ_S10_EUlSZ_E_NS1_11comp_targetILNS1_3genE2ELNS1_11target_archE906ELNS1_3gpuE6ELNS1_3repE0EEENS1_30default_config_static_selectorELNS0_4arch9wavefront6targetE1EEEvT1_
                                        ; -- End function
	.section	.AMDGPU.csdata,"",@progbits
; Kernel info:
; codeLenInByte = 0
; NumSgprs: 4
; NumVgprs: 0
; NumAgprs: 0
; TotalNumVgprs: 0
; ScratchSize: 0
; MemoryBound: 0
; FloatMode: 240
; IeeeMode: 1
; LDSByteSize: 0 bytes/workgroup (compile time only)
; SGPRBlocks: 0
; VGPRBlocks: 0
; NumSGPRsForWavesPerEU: 4
; NumVGPRsForWavesPerEU: 1
; AccumOffset: 4
; Occupancy: 8
; WaveLimiterHint : 0
; COMPUTE_PGM_RSRC2:SCRATCH_EN: 0
; COMPUTE_PGM_RSRC2:USER_SGPR: 6
; COMPUTE_PGM_RSRC2:TRAP_HANDLER: 0
; COMPUTE_PGM_RSRC2:TGID_X_EN: 1
; COMPUTE_PGM_RSRC2:TGID_Y_EN: 0
; COMPUTE_PGM_RSRC2:TGID_Z_EN: 0
; COMPUTE_PGM_RSRC2:TIDIG_COMP_CNT: 0
; COMPUTE_PGM_RSRC3_GFX90A:ACCUM_OFFSET: 0
; COMPUTE_PGM_RSRC3_GFX90A:TG_SPLIT: 0
	.section	.text._ZN7rocprim17ROCPRIM_400000_NS6detail17trampoline_kernelINS0_14default_configENS1_27scan_by_key_config_selectorIssEEZZNS1_16scan_by_key_implILNS1_25lookback_scan_determinismE0ELb0ES3_N6thrust23THRUST_200600_302600_NS6detail15normal_iteratorINS9_10device_ptrIsEEEENS9_18transform_iteratorINS9_6negateIsEESE_NS9_11use_defaultESI_EESE_sNS9_4plusIvEENS9_8equal_toIvEEsEE10hipError_tPvRmT2_T3_T4_T5_mT6_T7_P12ihipStream_tbENKUlT_T0_E_clISt17integral_constantIbLb1EES14_EEDaSZ_S10_EUlSZ_E_NS1_11comp_targetILNS1_3genE10ELNS1_11target_archE1200ELNS1_3gpuE4ELNS1_3repE0EEENS1_30default_config_static_selectorELNS0_4arch9wavefront6targetE1EEEvT1_,"axG",@progbits,_ZN7rocprim17ROCPRIM_400000_NS6detail17trampoline_kernelINS0_14default_configENS1_27scan_by_key_config_selectorIssEEZZNS1_16scan_by_key_implILNS1_25lookback_scan_determinismE0ELb0ES3_N6thrust23THRUST_200600_302600_NS6detail15normal_iteratorINS9_10device_ptrIsEEEENS9_18transform_iteratorINS9_6negateIsEESE_NS9_11use_defaultESI_EESE_sNS9_4plusIvEENS9_8equal_toIvEEsEE10hipError_tPvRmT2_T3_T4_T5_mT6_T7_P12ihipStream_tbENKUlT_T0_E_clISt17integral_constantIbLb1EES14_EEDaSZ_S10_EUlSZ_E_NS1_11comp_targetILNS1_3genE10ELNS1_11target_archE1200ELNS1_3gpuE4ELNS1_3repE0EEENS1_30default_config_static_selectorELNS0_4arch9wavefront6targetE1EEEvT1_,comdat
	.protected	_ZN7rocprim17ROCPRIM_400000_NS6detail17trampoline_kernelINS0_14default_configENS1_27scan_by_key_config_selectorIssEEZZNS1_16scan_by_key_implILNS1_25lookback_scan_determinismE0ELb0ES3_N6thrust23THRUST_200600_302600_NS6detail15normal_iteratorINS9_10device_ptrIsEEEENS9_18transform_iteratorINS9_6negateIsEESE_NS9_11use_defaultESI_EESE_sNS9_4plusIvEENS9_8equal_toIvEEsEE10hipError_tPvRmT2_T3_T4_T5_mT6_T7_P12ihipStream_tbENKUlT_T0_E_clISt17integral_constantIbLb1EES14_EEDaSZ_S10_EUlSZ_E_NS1_11comp_targetILNS1_3genE10ELNS1_11target_archE1200ELNS1_3gpuE4ELNS1_3repE0EEENS1_30default_config_static_selectorELNS0_4arch9wavefront6targetE1EEEvT1_ ; -- Begin function _ZN7rocprim17ROCPRIM_400000_NS6detail17trampoline_kernelINS0_14default_configENS1_27scan_by_key_config_selectorIssEEZZNS1_16scan_by_key_implILNS1_25lookback_scan_determinismE0ELb0ES3_N6thrust23THRUST_200600_302600_NS6detail15normal_iteratorINS9_10device_ptrIsEEEENS9_18transform_iteratorINS9_6negateIsEESE_NS9_11use_defaultESI_EESE_sNS9_4plusIvEENS9_8equal_toIvEEsEE10hipError_tPvRmT2_T3_T4_T5_mT6_T7_P12ihipStream_tbENKUlT_T0_E_clISt17integral_constantIbLb1EES14_EEDaSZ_S10_EUlSZ_E_NS1_11comp_targetILNS1_3genE10ELNS1_11target_archE1200ELNS1_3gpuE4ELNS1_3repE0EEENS1_30default_config_static_selectorELNS0_4arch9wavefront6targetE1EEEvT1_
	.globl	_ZN7rocprim17ROCPRIM_400000_NS6detail17trampoline_kernelINS0_14default_configENS1_27scan_by_key_config_selectorIssEEZZNS1_16scan_by_key_implILNS1_25lookback_scan_determinismE0ELb0ES3_N6thrust23THRUST_200600_302600_NS6detail15normal_iteratorINS9_10device_ptrIsEEEENS9_18transform_iteratorINS9_6negateIsEESE_NS9_11use_defaultESI_EESE_sNS9_4plusIvEENS9_8equal_toIvEEsEE10hipError_tPvRmT2_T3_T4_T5_mT6_T7_P12ihipStream_tbENKUlT_T0_E_clISt17integral_constantIbLb1EES14_EEDaSZ_S10_EUlSZ_E_NS1_11comp_targetILNS1_3genE10ELNS1_11target_archE1200ELNS1_3gpuE4ELNS1_3repE0EEENS1_30default_config_static_selectorELNS0_4arch9wavefront6targetE1EEEvT1_
	.p2align	8
	.type	_ZN7rocprim17ROCPRIM_400000_NS6detail17trampoline_kernelINS0_14default_configENS1_27scan_by_key_config_selectorIssEEZZNS1_16scan_by_key_implILNS1_25lookback_scan_determinismE0ELb0ES3_N6thrust23THRUST_200600_302600_NS6detail15normal_iteratorINS9_10device_ptrIsEEEENS9_18transform_iteratorINS9_6negateIsEESE_NS9_11use_defaultESI_EESE_sNS9_4plusIvEENS9_8equal_toIvEEsEE10hipError_tPvRmT2_T3_T4_T5_mT6_T7_P12ihipStream_tbENKUlT_T0_E_clISt17integral_constantIbLb1EES14_EEDaSZ_S10_EUlSZ_E_NS1_11comp_targetILNS1_3genE10ELNS1_11target_archE1200ELNS1_3gpuE4ELNS1_3repE0EEENS1_30default_config_static_selectorELNS0_4arch9wavefront6targetE1EEEvT1_,@function
_ZN7rocprim17ROCPRIM_400000_NS6detail17trampoline_kernelINS0_14default_configENS1_27scan_by_key_config_selectorIssEEZZNS1_16scan_by_key_implILNS1_25lookback_scan_determinismE0ELb0ES3_N6thrust23THRUST_200600_302600_NS6detail15normal_iteratorINS9_10device_ptrIsEEEENS9_18transform_iteratorINS9_6negateIsEESE_NS9_11use_defaultESI_EESE_sNS9_4plusIvEENS9_8equal_toIvEEsEE10hipError_tPvRmT2_T3_T4_T5_mT6_T7_P12ihipStream_tbENKUlT_T0_E_clISt17integral_constantIbLb1EES14_EEDaSZ_S10_EUlSZ_E_NS1_11comp_targetILNS1_3genE10ELNS1_11target_archE1200ELNS1_3gpuE4ELNS1_3repE0EEENS1_30default_config_static_selectorELNS0_4arch9wavefront6targetE1EEEvT1_: ; @_ZN7rocprim17ROCPRIM_400000_NS6detail17trampoline_kernelINS0_14default_configENS1_27scan_by_key_config_selectorIssEEZZNS1_16scan_by_key_implILNS1_25lookback_scan_determinismE0ELb0ES3_N6thrust23THRUST_200600_302600_NS6detail15normal_iteratorINS9_10device_ptrIsEEEENS9_18transform_iteratorINS9_6negateIsEESE_NS9_11use_defaultESI_EESE_sNS9_4plusIvEENS9_8equal_toIvEEsEE10hipError_tPvRmT2_T3_T4_T5_mT6_T7_P12ihipStream_tbENKUlT_T0_E_clISt17integral_constantIbLb1EES14_EEDaSZ_S10_EUlSZ_E_NS1_11comp_targetILNS1_3genE10ELNS1_11target_archE1200ELNS1_3gpuE4ELNS1_3repE0EEENS1_30default_config_static_selectorELNS0_4arch9wavefront6targetE1EEEvT1_
; %bb.0:
	.section	.rodata,"a",@progbits
	.p2align	6, 0x0
	.amdhsa_kernel _ZN7rocprim17ROCPRIM_400000_NS6detail17trampoline_kernelINS0_14default_configENS1_27scan_by_key_config_selectorIssEEZZNS1_16scan_by_key_implILNS1_25lookback_scan_determinismE0ELb0ES3_N6thrust23THRUST_200600_302600_NS6detail15normal_iteratorINS9_10device_ptrIsEEEENS9_18transform_iteratorINS9_6negateIsEESE_NS9_11use_defaultESI_EESE_sNS9_4plusIvEENS9_8equal_toIvEEsEE10hipError_tPvRmT2_T3_T4_T5_mT6_T7_P12ihipStream_tbENKUlT_T0_E_clISt17integral_constantIbLb1EES14_EEDaSZ_S10_EUlSZ_E_NS1_11comp_targetILNS1_3genE10ELNS1_11target_archE1200ELNS1_3gpuE4ELNS1_3repE0EEENS1_30default_config_static_selectorELNS0_4arch9wavefront6targetE1EEEvT1_
		.amdhsa_group_segment_fixed_size 0
		.amdhsa_private_segment_fixed_size 0
		.amdhsa_kernarg_size 120
		.amdhsa_user_sgpr_count 6
		.amdhsa_user_sgpr_private_segment_buffer 1
		.amdhsa_user_sgpr_dispatch_ptr 0
		.amdhsa_user_sgpr_queue_ptr 0
		.amdhsa_user_sgpr_kernarg_segment_ptr 1
		.amdhsa_user_sgpr_dispatch_id 0
		.amdhsa_user_sgpr_flat_scratch_init 0
		.amdhsa_user_sgpr_kernarg_preload_length 0
		.amdhsa_user_sgpr_kernarg_preload_offset 0
		.amdhsa_user_sgpr_private_segment_size 0
		.amdhsa_uses_dynamic_stack 0
		.amdhsa_system_sgpr_private_segment_wavefront_offset 0
		.amdhsa_system_sgpr_workgroup_id_x 1
		.amdhsa_system_sgpr_workgroup_id_y 0
		.amdhsa_system_sgpr_workgroup_id_z 0
		.amdhsa_system_sgpr_workgroup_info 0
		.amdhsa_system_vgpr_workitem_id 0
		.amdhsa_next_free_vgpr 1
		.amdhsa_next_free_sgpr 0
		.amdhsa_accum_offset 4
		.amdhsa_reserve_vcc 0
		.amdhsa_reserve_flat_scratch 0
		.amdhsa_float_round_mode_32 0
		.amdhsa_float_round_mode_16_64 0
		.amdhsa_float_denorm_mode_32 3
		.amdhsa_float_denorm_mode_16_64 3
		.amdhsa_dx10_clamp 1
		.amdhsa_ieee_mode 1
		.amdhsa_fp16_overflow 0
		.amdhsa_tg_split 0
		.amdhsa_exception_fp_ieee_invalid_op 0
		.amdhsa_exception_fp_denorm_src 0
		.amdhsa_exception_fp_ieee_div_zero 0
		.amdhsa_exception_fp_ieee_overflow 0
		.amdhsa_exception_fp_ieee_underflow 0
		.amdhsa_exception_fp_ieee_inexact 0
		.amdhsa_exception_int_div_zero 0
	.end_amdhsa_kernel
	.section	.text._ZN7rocprim17ROCPRIM_400000_NS6detail17trampoline_kernelINS0_14default_configENS1_27scan_by_key_config_selectorIssEEZZNS1_16scan_by_key_implILNS1_25lookback_scan_determinismE0ELb0ES3_N6thrust23THRUST_200600_302600_NS6detail15normal_iteratorINS9_10device_ptrIsEEEENS9_18transform_iteratorINS9_6negateIsEESE_NS9_11use_defaultESI_EESE_sNS9_4plusIvEENS9_8equal_toIvEEsEE10hipError_tPvRmT2_T3_T4_T5_mT6_T7_P12ihipStream_tbENKUlT_T0_E_clISt17integral_constantIbLb1EES14_EEDaSZ_S10_EUlSZ_E_NS1_11comp_targetILNS1_3genE10ELNS1_11target_archE1200ELNS1_3gpuE4ELNS1_3repE0EEENS1_30default_config_static_selectorELNS0_4arch9wavefront6targetE1EEEvT1_,"axG",@progbits,_ZN7rocprim17ROCPRIM_400000_NS6detail17trampoline_kernelINS0_14default_configENS1_27scan_by_key_config_selectorIssEEZZNS1_16scan_by_key_implILNS1_25lookback_scan_determinismE0ELb0ES3_N6thrust23THRUST_200600_302600_NS6detail15normal_iteratorINS9_10device_ptrIsEEEENS9_18transform_iteratorINS9_6negateIsEESE_NS9_11use_defaultESI_EESE_sNS9_4plusIvEENS9_8equal_toIvEEsEE10hipError_tPvRmT2_T3_T4_T5_mT6_T7_P12ihipStream_tbENKUlT_T0_E_clISt17integral_constantIbLb1EES14_EEDaSZ_S10_EUlSZ_E_NS1_11comp_targetILNS1_3genE10ELNS1_11target_archE1200ELNS1_3gpuE4ELNS1_3repE0EEENS1_30default_config_static_selectorELNS0_4arch9wavefront6targetE1EEEvT1_,comdat
.Lfunc_end980:
	.size	_ZN7rocprim17ROCPRIM_400000_NS6detail17trampoline_kernelINS0_14default_configENS1_27scan_by_key_config_selectorIssEEZZNS1_16scan_by_key_implILNS1_25lookback_scan_determinismE0ELb0ES3_N6thrust23THRUST_200600_302600_NS6detail15normal_iteratorINS9_10device_ptrIsEEEENS9_18transform_iteratorINS9_6negateIsEESE_NS9_11use_defaultESI_EESE_sNS9_4plusIvEENS9_8equal_toIvEEsEE10hipError_tPvRmT2_T3_T4_T5_mT6_T7_P12ihipStream_tbENKUlT_T0_E_clISt17integral_constantIbLb1EES14_EEDaSZ_S10_EUlSZ_E_NS1_11comp_targetILNS1_3genE10ELNS1_11target_archE1200ELNS1_3gpuE4ELNS1_3repE0EEENS1_30default_config_static_selectorELNS0_4arch9wavefront6targetE1EEEvT1_, .Lfunc_end980-_ZN7rocprim17ROCPRIM_400000_NS6detail17trampoline_kernelINS0_14default_configENS1_27scan_by_key_config_selectorIssEEZZNS1_16scan_by_key_implILNS1_25lookback_scan_determinismE0ELb0ES3_N6thrust23THRUST_200600_302600_NS6detail15normal_iteratorINS9_10device_ptrIsEEEENS9_18transform_iteratorINS9_6negateIsEESE_NS9_11use_defaultESI_EESE_sNS9_4plusIvEENS9_8equal_toIvEEsEE10hipError_tPvRmT2_T3_T4_T5_mT6_T7_P12ihipStream_tbENKUlT_T0_E_clISt17integral_constantIbLb1EES14_EEDaSZ_S10_EUlSZ_E_NS1_11comp_targetILNS1_3genE10ELNS1_11target_archE1200ELNS1_3gpuE4ELNS1_3repE0EEENS1_30default_config_static_selectorELNS0_4arch9wavefront6targetE1EEEvT1_
                                        ; -- End function
	.section	.AMDGPU.csdata,"",@progbits
; Kernel info:
; codeLenInByte = 0
; NumSgprs: 4
; NumVgprs: 0
; NumAgprs: 0
; TotalNumVgprs: 0
; ScratchSize: 0
; MemoryBound: 0
; FloatMode: 240
; IeeeMode: 1
; LDSByteSize: 0 bytes/workgroup (compile time only)
; SGPRBlocks: 0
; VGPRBlocks: 0
; NumSGPRsForWavesPerEU: 4
; NumVGPRsForWavesPerEU: 1
; AccumOffset: 4
; Occupancy: 8
; WaveLimiterHint : 0
; COMPUTE_PGM_RSRC2:SCRATCH_EN: 0
; COMPUTE_PGM_RSRC2:USER_SGPR: 6
; COMPUTE_PGM_RSRC2:TRAP_HANDLER: 0
; COMPUTE_PGM_RSRC2:TGID_X_EN: 1
; COMPUTE_PGM_RSRC2:TGID_Y_EN: 0
; COMPUTE_PGM_RSRC2:TGID_Z_EN: 0
; COMPUTE_PGM_RSRC2:TIDIG_COMP_CNT: 0
; COMPUTE_PGM_RSRC3_GFX90A:ACCUM_OFFSET: 0
; COMPUTE_PGM_RSRC3_GFX90A:TG_SPLIT: 0
	.section	.text._ZN7rocprim17ROCPRIM_400000_NS6detail17trampoline_kernelINS0_14default_configENS1_27scan_by_key_config_selectorIssEEZZNS1_16scan_by_key_implILNS1_25lookback_scan_determinismE0ELb0ES3_N6thrust23THRUST_200600_302600_NS6detail15normal_iteratorINS9_10device_ptrIsEEEENS9_18transform_iteratorINS9_6negateIsEESE_NS9_11use_defaultESI_EESE_sNS9_4plusIvEENS9_8equal_toIvEEsEE10hipError_tPvRmT2_T3_T4_T5_mT6_T7_P12ihipStream_tbENKUlT_T0_E_clISt17integral_constantIbLb1EES14_EEDaSZ_S10_EUlSZ_E_NS1_11comp_targetILNS1_3genE9ELNS1_11target_archE1100ELNS1_3gpuE3ELNS1_3repE0EEENS1_30default_config_static_selectorELNS0_4arch9wavefront6targetE1EEEvT1_,"axG",@progbits,_ZN7rocprim17ROCPRIM_400000_NS6detail17trampoline_kernelINS0_14default_configENS1_27scan_by_key_config_selectorIssEEZZNS1_16scan_by_key_implILNS1_25lookback_scan_determinismE0ELb0ES3_N6thrust23THRUST_200600_302600_NS6detail15normal_iteratorINS9_10device_ptrIsEEEENS9_18transform_iteratorINS9_6negateIsEESE_NS9_11use_defaultESI_EESE_sNS9_4plusIvEENS9_8equal_toIvEEsEE10hipError_tPvRmT2_T3_T4_T5_mT6_T7_P12ihipStream_tbENKUlT_T0_E_clISt17integral_constantIbLb1EES14_EEDaSZ_S10_EUlSZ_E_NS1_11comp_targetILNS1_3genE9ELNS1_11target_archE1100ELNS1_3gpuE3ELNS1_3repE0EEENS1_30default_config_static_selectorELNS0_4arch9wavefront6targetE1EEEvT1_,comdat
	.protected	_ZN7rocprim17ROCPRIM_400000_NS6detail17trampoline_kernelINS0_14default_configENS1_27scan_by_key_config_selectorIssEEZZNS1_16scan_by_key_implILNS1_25lookback_scan_determinismE0ELb0ES3_N6thrust23THRUST_200600_302600_NS6detail15normal_iteratorINS9_10device_ptrIsEEEENS9_18transform_iteratorINS9_6negateIsEESE_NS9_11use_defaultESI_EESE_sNS9_4plusIvEENS9_8equal_toIvEEsEE10hipError_tPvRmT2_T3_T4_T5_mT6_T7_P12ihipStream_tbENKUlT_T0_E_clISt17integral_constantIbLb1EES14_EEDaSZ_S10_EUlSZ_E_NS1_11comp_targetILNS1_3genE9ELNS1_11target_archE1100ELNS1_3gpuE3ELNS1_3repE0EEENS1_30default_config_static_selectorELNS0_4arch9wavefront6targetE1EEEvT1_ ; -- Begin function _ZN7rocprim17ROCPRIM_400000_NS6detail17trampoline_kernelINS0_14default_configENS1_27scan_by_key_config_selectorIssEEZZNS1_16scan_by_key_implILNS1_25lookback_scan_determinismE0ELb0ES3_N6thrust23THRUST_200600_302600_NS6detail15normal_iteratorINS9_10device_ptrIsEEEENS9_18transform_iteratorINS9_6negateIsEESE_NS9_11use_defaultESI_EESE_sNS9_4plusIvEENS9_8equal_toIvEEsEE10hipError_tPvRmT2_T3_T4_T5_mT6_T7_P12ihipStream_tbENKUlT_T0_E_clISt17integral_constantIbLb1EES14_EEDaSZ_S10_EUlSZ_E_NS1_11comp_targetILNS1_3genE9ELNS1_11target_archE1100ELNS1_3gpuE3ELNS1_3repE0EEENS1_30default_config_static_selectorELNS0_4arch9wavefront6targetE1EEEvT1_
	.globl	_ZN7rocprim17ROCPRIM_400000_NS6detail17trampoline_kernelINS0_14default_configENS1_27scan_by_key_config_selectorIssEEZZNS1_16scan_by_key_implILNS1_25lookback_scan_determinismE0ELb0ES3_N6thrust23THRUST_200600_302600_NS6detail15normal_iteratorINS9_10device_ptrIsEEEENS9_18transform_iteratorINS9_6negateIsEESE_NS9_11use_defaultESI_EESE_sNS9_4plusIvEENS9_8equal_toIvEEsEE10hipError_tPvRmT2_T3_T4_T5_mT6_T7_P12ihipStream_tbENKUlT_T0_E_clISt17integral_constantIbLb1EES14_EEDaSZ_S10_EUlSZ_E_NS1_11comp_targetILNS1_3genE9ELNS1_11target_archE1100ELNS1_3gpuE3ELNS1_3repE0EEENS1_30default_config_static_selectorELNS0_4arch9wavefront6targetE1EEEvT1_
	.p2align	8
	.type	_ZN7rocprim17ROCPRIM_400000_NS6detail17trampoline_kernelINS0_14default_configENS1_27scan_by_key_config_selectorIssEEZZNS1_16scan_by_key_implILNS1_25lookback_scan_determinismE0ELb0ES3_N6thrust23THRUST_200600_302600_NS6detail15normal_iteratorINS9_10device_ptrIsEEEENS9_18transform_iteratorINS9_6negateIsEESE_NS9_11use_defaultESI_EESE_sNS9_4plusIvEENS9_8equal_toIvEEsEE10hipError_tPvRmT2_T3_T4_T5_mT6_T7_P12ihipStream_tbENKUlT_T0_E_clISt17integral_constantIbLb1EES14_EEDaSZ_S10_EUlSZ_E_NS1_11comp_targetILNS1_3genE9ELNS1_11target_archE1100ELNS1_3gpuE3ELNS1_3repE0EEENS1_30default_config_static_selectorELNS0_4arch9wavefront6targetE1EEEvT1_,@function
_ZN7rocprim17ROCPRIM_400000_NS6detail17trampoline_kernelINS0_14default_configENS1_27scan_by_key_config_selectorIssEEZZNS1_16scan_by_key_implILNS1_25lookback_scan_determinismE0ELb0ES3_N6thrust23THRUST_200600_302600_NS6detail15normal_iteratorINS9_10device_ptrIsEEEENS9_18transform_iteratorINS9_6negateIsEESE_NS9_11use_defaultESI_EESE_sNS9_4plusIvEENS9_8equal_toIvEEsEE10hipError_tPvRmT2_T3_T4_T5_mT6_T7_P12ihipStream_tbENKUlT_T0_E_clISt17integral_constantIbLb1EES14_EEDaSZ_S10_EUlSZ_E_NS1_11comp_targetILNS1_3genE9ELNS1_11target_archE1100ELNS1_3gpuE3ELNS1_3repE0EEENS1_30default_config_static_selectorELNS0_4arch9wavefront6targetE1EEEvT1_: ; @_ZN7rocprim17ROCPRIM_400000_NS6detail17trampoline_kernelINS0_14default_configENS1_27scan_by_key_config_selectorIssEEZZNS1_16scan_by_key_implILNS1_25lookback_scan_determinismE0ELb0ES3_N6thrust23THRUST_200600_302600_NS6detail15normal_iteratorINS9_10device_ptrIsEEEENS9_18transform_iteratorINS9_6negateIsEESE_NS9_11use_defaultESI_EESE_sNS9_4plusIvEENS9_8equal_toIvEEsEE10hipError_tPvRmT2_T3_T4_T5_mT6_T7_P12ihipStream_tbENKUlT_T0_E_clISt17integral_constantIbLb1EES14_EEDaSZ_S10_EUlSZ_E_NS1_11comp_targetILNS1_3genE9ELNS1_11target_archE1100ELNS1_3gpuE3ELNS1_3repE0EEENS1_30default_config_static_selectorELNS0_4arch9wavefront6targetE1EEEvT1_
; %bb.0:
	.section	.rodata,"a",@progbits
	.p2align	6, 0x0
	.amdhsa_kernel _ZN7rocprim17ROCPRIM_400000_NS6detail17trampoline_kernelINS0_14default_configENS1_27scan_by_key_config_selectorIssEEZZNS1_16scan_by_key_implILNS1_25lookback_scan_determinismE0ELb0ES3_N6thrust23THRUST_200600_302600_NS6detail15normal_iteratorINS9_10device_ptrIsEEEENS9_18transform_iteratorINS9_6negateIsEESE_NS9_11use_defaultESI_EESE_sNS9_4plusIvEENS9_8equal_toIvEEsEE10hipError_tPvRmT2_T3_T4_T5_mT6_T7_P12ihipStream_tbENKUlT_T0_E_clISt17integral_constantIbLb1EES14_EEDaSZ_S10_EUlSZ_E_NS1_11comp_targetILNS1_3genE9ELNS1_11target_archE1100ELNS1_3gpuE3ELNS1_3repE0EEENS1_30default_config_static_selectorELNS0_4arch9wavefront6targetE1EEEvT1_
		.amdhsa_group_segment_fixed_size 0
		.amdhsa_private_segment_fixed_size 0
		.amdhsa_kernarg_size 120
		.amdhsa_user_sgpr_count 6
		.amdhsa_user_sgpr_private_segment_buffer 1
		.amdhsa_user_sgpr_dispatch_ptr 0
		.amdhsa_user_sgpr_queue_ptr 0
		.amdhsa_user_sgpr_kernarg_segment_ptr 1
		.amdhsa_user_sgpr_dispatch_id 0
		.amdhsa_user_sgpr_flat_scratch_init 0
		.amdhsa_user_sgpr_kernarg_preload_length 0
		.amdhsa_user_sgpr_kernarg_preload_offset 0
		.amdhsa_user_sgpr_private_segment_size 0
		.amdhsa_uses_dynamic_stack 0
		.amdhsa_system_sgpr_private_segment_wavefront_offset 0
		.amdhsa_system_sgpr_workgroup_id_x 1
		.amdhsa_system_sgpr_workgroup_id_y 0
		.amdhsa_system_sgpr_workgroup_id_z 0
		.amdhsa_system_sgpr_workgroup_info 0
		.amdhsa_system_vgpr_workitem_id 0
		.amdhsa_next_free_vgpr 1
		.amdhsa_next_free_sgpr 0
		.amdhsa_accum_offset 4
		.amdhsa_reserve_vcc 0
		.amdhsa_reserve_flat_scratch 0
		.amdhsa_float_round_mode_32 0
		.amdhsa_float_round_mode_16_64 0
		.amdhsa_float_denorm_mode_32 3
		.amdhsa_float_denorm_mode_16_64 3
		.amdhsa_dx10_clamp 1
		.amdhsa_ieee_mode 1
		.amdhsa_fp16_overflow 0
		.amdhsa_tg_split 0
		.amdhsa_exception_fp_ieee_invalid_op 0
		.amdhsa_exception_fp_denorm_src 0
		.amdhsa_exception_fp_ieee_div_zero 0
		.amdhsa_exception_fp_ieee_overflow 0
		.amdhsa_exception_fp_ieee_underflow 0
		.amdhsa_exception_fp_ieee_inexact 0
		.amdhsa_exception_int_div_zero 0
	.end_amdhsa_kernel
	.section	.text._ZN7rocprim17ROCPRIM_400000_NS6detail17trampoline_kernelINS0_14default_configENS1_27scan_by_key_config_selectorIssEEZZNS1_16scan_by_key_implILNS1_25lookback_scan_determinismE0ELb0ES3_N6thrust23THRUST_200600_302600_NS6detail15normal_iteratorINS9_10device_ptrIsEEEENS9_18transform_iteratorINS9_6negateIsEESE_NS9_11use_defaultESI_EESE_sNS9_4plusIvEENS9_8equal_toIvEEsEE10hipError_tPvRmT2_T3_T4_T5_mT6_T7_P12ihipStream_tbENKUlT_T0_E_clISt17integral_constantIbLb1EES14_EEDaSZ_S10_EUlSZ_E_NS1_11comp_targetILNS1_3genE9ELNS1_11target_archE1100ELNS1_3gpuE3ELNS1_3repE0EEENS1_30default_config_static_selectorELNS0_4arch9wavefront6targetE1EEEvT1_,"axG",@progbits,_ZN7rocprim17ROCPRIM_400000_NS6detail17trampoline_kernelINS0_14default_configENS1_27scan_by_key_config_selectorIssEEZZNS1_16scan_by_key_implILNS1_25lookback_scan_determinismE0ELb0ES3_N6thrust23THRUST_200600_302600_NS6detail15normal_iteratorINS9_10device_ptrIsEEEENS9_18transform_iteratorINS9_6negateIsEESE_NS9_11use_defaultESI_EESE_sNS9_4plusIvEENS9_8equal_toIvEEsEE10hipError_tPvRmT2_T3_T4_T5_mT6_T7_P12ihipStream_tbENKUlT_T0_E_clISt17integral_constantIbLb1EES14_EEDaSZ_S10_EUlSZ_E_NS1_11comp_targetILNS1_3genE9ELNS1_11target_archE1100ELNS1_3gpuE3ELNS1_3repE0EEENS1_30default_config_static_selectorELNS0_4arch9wavefront6targetE1EEEvT1_,comdat
.Lfunc_end981:
	.size	_ZN7rocprim17ROCPRIM_400000_NS6detail17trampoline_kernelINS0_14default_configENS1_27scan_by_key_config_selectorIssEEZZNS1_16scan_by_key_implILNS1_25lookback_scan_determinismE0ELb0ES3_N6thrust23THRUST_200600_302600_NS6detail15normal_iteratorINS9_10device_ptrIsEEEENS9_18transform_iteratorINS9_6negateIsEESE_NS9_11use_defaultESI_EESE_sNS9_4plusIvEENS9_8equal_toIvEEsEE10hipError_tPvRmT2_T3_T4_T5_mT6_T7_P12ihipStream_tbENKUlT_T0_E_clISt17integral_constantIbLb1EES14_EEDaSZ_S10_EUlSZ_E_NS1_11comp_targetILNS1_3genE9ELNS1_11target_archE1100ELNS1_3gpuE3ELNS1_3repE0EEENS1_30default_config_static_selectorELNS0_4arch9wavefront6targetE1EEEvT1_, .Lfunc_end981-_ZN7rocprim17ROCPRIM_400000_NS6detail17trampoline_kernelINS0_14default_configENS1_27scan_by_key_config_selectorIssEEZZNS1_16scan_by_key_implILNS1_25lookback_scan_determinismE0ELb0ES3_N6thrust23THRUST_200600_302600_NS6detail15normal_iteratorINS9_10device_ptrIsEEEENS9_18transform_iteratorINS9_6negateIsEESE_NS9_11use_defaultESI_EESE_sNS9_4plusIvEENS9_8equal_toIvEEsEE10hipError_tPvRmT2_T3_T4_T5_mT6_T7_P12ihipStream_tbENKUlT_T0_E_clISt17integral_constantIbLb1EES14_EEDaSZ_S10_EUlSZ_E_NS1_11comp_targetILNS1_3genE9ELNS1_11target_archE1100ELNS1_3gpuE3ELNS1_3repE0EEENS1_30default_config_static_selectorELNS0_4arch9wavefront6targetE1EEEvT1_
                                        ; -- End function
	.section	.AMDGPU.csdata,"",@progbits
; Kernel info:
; codeLenInByte = 0
; NumSgprs: 4
; NumVgprs: 0
; NumAgprs: 0
; TotalNumVgprs: 0
; ScratchSize: 0
; MemoryBound: 0
; FloatMode: 240
; IeeeMode: 1
; LDSByteSize: 0 bytes/workgroup (compile time only)
; SGPRBlocks: 0
; VGPRBlocks: 0
; NumSGPRsForWavesPerEU: 4
; NumVGPRsForWavesPerEU: 1
; AccumOffset: 4
; Occupancy: 8
; WaveLimiterHint : 0
; COMPUTE_PGM_RSRC2:SCRATCH_EN: 0
; COMPUTE_PGM_RSRC2:USER_SGPR: 6
; COMPUTE_PGM_RSRC2:TRAP_HANDLER: 0
; COMPUTE_PGM_RSRC2:TGID_X_EN: 1
; COMPUTE_PGM_RSRC2:TGID_Y_EN: 0
; COMPUTE_PGM_RSRC2:TGID_Z_EN: 0
; COMPUTE_PGM_RSRC2:TIDIG_COMP_CNT: 0
; COMPUTE_PGM_RSRC3_GFX90A:ACCUM_OFFSET: 0
; COMPUTE_PGM_RSRC3_GFX90A:TG_SPLIT: 0
	.section	.text._ZN7rocprim17ROCPRIM_400000_NS6detail17trampoline_kernelINS0_14default_configENS1_27scan_by_key_config_selectorIssEEZZNS1_16scan_by_key_implILNS1_25lookback_scan_determinismE0ELb0ES3_N6thrust23THRUST_200600_302600_NS6detail15normal_iteratorINS9_10device_ptrIsEEEENS9_18transform_iteratorINS9_6negateIsEESE_NS9_11use_defaultESI_EESE_sNS9_4plusIvEENS9_8equal_toIvEEsEE10hipError_tPvRmT2_T3_T4_T5_mT6_T7_P12ihipStream_tbENKUlT_T0_E_clISt17integral_constantIbLb1EES14_EEDaSZ_S10_EUlSZ_E_NS1_11comp_targetILNS1_3genE8ELNS1_11target_archE1030ELNS1_3gpuE2ELNS1_3repE0EEENS1_30default_config_static_selectorELNS0_4arch9wavefront6targetE1EEEvT1_,"axG",@progbits,_ZN7rocprim17ROCPRIM_400000_NS6detail17trampoline_kernelINS0_14default_configENS1_27scan_by_key_config_selectorIssEEZZNS1_16scan_by_key_implILNS1_25lookback_scan_determinismE0ELb0ES3_N6thrust23THRUST_200600_302600_NS6detail15normal_iteratorINS9_10device_ptrIsEEEENS9_18transform_iteratorINS9_6negateIsEESE_NS9_11use_defaultESI_EESE_sNS9_4plusIvEENS9_8equal_toIvEEsEE10hipError_tPvRmT2_T3_T4_T5_mT6_T7_P12ihipStream_tbENKUlT_T0_E_clISt17integral_constantIbLb1EES14_EEDaSZ_S10_EUlSZ_E_NS1_11comp_targetILNS1_3genE8ELNS1_11target_archE1030ELNS1_3gpuE2ELNS1_3repE0EEENS1_30default_config_static_selectorELNS0_4arch9wavefront6targetE1EEEvT1_,comdat
	.protected	_ZN7rocprim17ROCPRIM_400000_NS6detail17trampoline_kernelINS0_14default_configENS1_27scan_by_key_config_selectorIssEEZZNS1_16scan_by_key_implILNS1_25lookback_scan_determinismE0ELb0ES3_N6thrust23THRUST_200600_302600_NS6detail15normal_iteratorINS9_10device_ptrIsEEEENS9_18transform_iteratorINS9_6negateIsEESE_NS9_11use_defaultESI_EESE_sNS9_4plusIvEENS9_8equal_toIvEEsEE10hipError_tPvRmT2_T3_T4_T5_mT6_T7_P12ihipStream_tbENKUlT_T0_E_clISt17integral_constantIbLb1EES14_EEDaSZ_S10_EUlSZ_E_NS1_11comp_targetILNS1_3genE8ELNS1_11target_archE1030ELNS1_3gpuE2ELNS1_3repE0EEENS1_30default_config_static_selectorELNS0_4arch9wavefront6targetE1EEEvT1_ ; -- Begin function _ZN7rocprim17ROCPRIM_400000_NS6detail17trampoline_kernelINS0_14default_configENS1_27scan_by_key_config_selectorIssEEZZNS1_16scan_by_key_implILNS1_25lookback_scan_determinismE0ELb0ES3_N6thrust23THRUST_200600_302600_NS6detail15normal_iteratorINS9_10device_ptrIsEEEENS9_18transform_iteratorINS9_6negateIsEESE_NS9_11use_defaultESI_EESE_sNS9_4plusIvEENS9_8equal_toIvEEsEE10hipError_tPvRmT2_T3_T4_T5_mT6_T7_P12ihipStream_tbENKUlT_T0_E_clISt17integral_constantIbLb1EES14_EEDaSZ_S10_EUlSZ_E_NS1_11comp_targetILNS1_3genE8ELNS1_11target_archE1030ELNS1_3gpuE2ELNS1_3repE0EEENS1_30default_config_static_selectorELNS0_4arch9wavefront6targetE1EEEvT1_
	.globl	_ZN7rocprim17ROCPRIM_400000_NS6detail17trampoline_kernelINS0_14default_configENS1_27scan_by_key_config_selectorIssEEZZNS1_16scan_by_key_implILNS1_25lookback_scan_determinismE0ELb0ES3_N6thrust23THRUST_200600_302600_NS6detail15normal_iteratorINS9_10device_ptrIsEEEENS9_18transform_iteratorINS9_6negateIsEESE_NS9_11use_defaultESI_EESE_sNS9_4plusIvEENS9_8equal_toIvEEsEE10hipError_tPvRmT2_T3_T4_T5_mT6_T7_P12ihipStream_tbENKUlT_T0_E_clISt17integral_constantIbLb1EES14_EEDaSZ_S10_EUlSZ_E_NS1_11comp_targetILNS1_3genE8ELNS1_11target_archE1030ELNS1_3gpuE2ELNS1_3repE0EEENS1_30default_config_static_selectorELNS0_4arch9wavefront6targetE1EEEvT1_
	.p2align	8
	.type	_ZN7rocprim17ROCPRIM_400000_NS6detail17trampoline_kernelINS0_14default_configENS1_27scan_by_key_config_selectorIssEEZZNS1_16scan_by_key_implILNS1_25lookback_scan_determinismE0ELb0ES3_N6thrust23THRUST_200600_302600_NS6detail15normal_iteratorINS9_10device_ptrIsEEEENS9_18transform_iteratorINS9_6negateIsEESE_NS9_11use_defaultESI_EESE_sNS9_4plusIvEENS9_8equal_toIvEEsEE10hipError_tPvRmT2_T3_T4_T5_mT6_T7_P12ihipStream_tbENKUlT_T0_E_clISt17integral_constantIbLb1EES14_EEDaSZ_S10_EUlSZ_E_NS1_11comp_targetILNS1_3genE8ELNS1_11target_archE1030ELNS1_3gpuE2ELNS1_3repE0EEENS1_30default_config_static_selectorELNS0_4arch9wavefront6targetE1EEEvT1_,@function
_ZN7rocprim17ROCPRIM_400000_NS6detail17trampoline_kernelINS0_14default_configENS1_27scan_by_key_config_selectorIssEEZZNS1_16scan_by_key_implILNS1_25lookback_scan_determinismE0ELb0ES3_N6thrust23THRUST_200600_302600_NS6detail15normal_iteratorINS9_10device_ptrIsEEEENS9_18transform_iteratorINS9_6negateIsEESE_NS9_11use_defaultESI_EESE_sNS9_4plusIvEENS9_8equal_toIvEEsEE10hipError_tPvRmT2_T3_T4_T5_mT6_T7_P12ihipStream_tbENKUlT_T0_E_clISt17integral_constantIbLb1EES14_EEDaSZ_S10_EUlSZ_E_NS1_11comp_targetILNS1_3genE8ELNS1_11target_archE1030ELNS1_3gpuE2ELNS1_3repE0EEENS1_30default_config_static_selectorELNS0_4arch9wavefront6targetE1EEEvT1_: ; @_ZN7rocprim17ROCPRIM_400000_NS6detail17trampoline_kernelINS0_14default_configENS1_27scan_by_key_config_selectorIssEEZZNS1_16scan_by_key_implILNS1_25lookback_scan_determinismE0ELb0ES3_N6thrust23THRUST_200600_302600_NS6detail15normal_iteratorINS9_10device_ptrIsEEEENS9_18transform_iteratorINS9_6negateIsEESE_NS9_11use_defaultESI_EESE_sNS9_4plusIvEENS9_8equal_toIvEEsEE10hipError_tPvRmT2_T3_T4_T5_mT6_T7_P12ihipStream_tbENKUlT_T0_E_clISt17integral_constantIbLb1EES14_EEDaSZ_S10_EUlSZ_E_NS1_11comp_targetILNS1_3genE8ELNS1_11target_archE1030ELNS1_3gpuE2ELNS1_3repE0EEENS1_30default_config_static_selectorELNS0_4arch9wavefront6targetE1EEEvT1_
; %bb.0:
	.section	.rodata,"a",@progbits
	.p2align	6, 0x0
	.amdhsa_kernel _ZN7rocprim17ROCPRIM_400000_NS6detail17trampoline_kernelINS0_14default_configENS1_27scan_by_key_config_selectorIssEEZZNS1_16scan_by_key_implILNS1_25lookback_scan_determinismE0ELb0ES3_N6thrust23THRUST_200600_302600_NS6detail15normal_iteratorINS9_10device_ptrIsEEEENS9_18transform_iteratorINS9_6negateIsEESE_NS9_11use_defaultESI_EESE_sNS9_4plusIvEENS9_8equal_toIvEEsEE10hipError_tPvRmT2_T3_T4_T5_mT6_T7_P12ihipStream_tbENKUlT_T0_E_clISt17integral_constantIbLb1EES14_EEDaSZ_S10_EUlSZ_E_NS1_11comp_targetILNS1_3genE8ELNS1_11target_archE1030ELNS1_3gpuE2ELNS1_3repE0EEENS1_30default_config_static_selectorELNS0_4arch9wavefront6targetE1EEEvT1_
		.amdhsa_group_segment_fixed_size 0
		.amdhsa_private_segment_fixed_size 0
		.amdhsa_kernarg_size 120
		.amdhsa_user_sgpr_count 6
		.amdhsa_user_sgpr_private_segment_buffer 1
		.amdhsa_user_sgpr_dispatch_ptr 0
		.amdhsa_user_sgpr_queue_ptr 0
		.amdhsa_user_sgpr_kernarg_segment_ptr 1
		.amdhsa_user_sgpr_dispatch_id 0
		.amdhsa_user_sgpr_flat_scratch_init 0
		.amdhsa_user_sgpr_kernarg_preload_length 0
		.amdhsa_user_sgpr_kernarg_preload_offset 0
		.amdhsa_user_sgpr_private_segment_size 0
		.amdhsa_uses_dynamic_stack 0
		.amdhsa_system_sgpr_private_segment_wavefront_offset 0
		.amdhsa_system_sgpr_workgroup_id_x 1
		.amdhsa_system_sgpr_workgroup_id_y 0
		.amdhsa_system_sgpr_workgroup_id_z 0
		.amdhsa_system_sgpr_workgroup_info 0
		.amdhsa_system_vgpr_workitem_id 0
		.amdhsa_next_free_vgpr 1
		.amdhsa_next_free_sgpr 0
		.amdhsa_accum_offset 4
		.amdhsa_reserve_vcc 0
		.amdhsa_reserve_flat_scratch 0
		.amdhsa_float_round_mode_32 0
		.amdhsa_float_round_mode_16_64 0
		.amdhsa_float_denorm_mode_32 3
		.amdhsa_float_denorm_mode_16_64 3
		.amdhsa_dx10_clamp 1
		.amdhsa_ieee_mode 1
		.amdhsa_fp16_overflow 0
		.amdhsa_tg_split 0
		.amdhsa_exception_fp_ieee_invalid_op 0
		.amdhsa_exception_fp_denorm_src 0
		.amdhsa_exception_fp_ieee_div_zero 0
		.amdhsa_exception_fp_ieee_overflow 0
		.amdhsa_exception_fp_ieee_underflow 0
		.amdhsa_exception_fp_ieee_inexact 0
		.amdhsa_exception_int_div_zero 0
	.end_amdhsa_kernel
	.section	.text._ZN7rocprim17ROCPRIM_400000_NS6detail17trampoline_kernelINS0_14default_configENS1_27scan_by_key_config_selectorIssEEZZNS1_16scan_by_key_implILNS1_25lookback_scan_determinismE0ELb0ES3_N6thrust23THRUST_200600_302600_NS6detail15normal_iteratorINS9_10device_ptrIsEEEENS9_18transform_iteratorINS9_6negateIsEESE_NS9_11use_defaultESI_EESE_sNS9_4plusIvEENS9_8equal_toIvEEsEE10hipError_tPvRmT2_T3_T4_T5_mT6_T7_P12ihipStream_tbENKUlT_T0_E_clISt17integral_constantIbLb1EES14_EEDaSZ_S10_EUlSZ_E_NS1_11comp_targetILNS1_3genE8ELNS1_11target_archE1030ELNS1_3gpuE2ELNS1_3repE0EEENS1_30default_config_static_selectorELNS0_4arch9wavefront6targetE1EEEvT1_,"axG",@progbits,_ZN7rocprim17ROCPRIM_400000_NS6detail17trampoline_kernelINS0_14default_configENS1_27scan_by_key_config_selectorIssEEZZNS1_16scan_by_key_implILNS1_25lookback_scan_determinismE0ELb0ES3_N6thrust23THRUST_200600_302600_NS6detail15normal_iteratorINS9_10device_ptrIsEEEENS9_18transform_iteratorINS9_6negateIsEESE_NS9_11use_defaultESI_EESE_sNS9_4plusIvEENS9_8equal_toIvEEsEE10hipError_tPvRmT2_T3_T4_T5_mT6_T7_P12ihipStream_tbENKUlT_T0_E_clISt17integral_constantIbLb1EES14_EEDaSZ_S10_EUlSZ_E_NS1_11comp_targetILNS1_3genE8ELNS1_11target_archE1030ELNS1_3gpuE2ELNS1_3repE0EEENS1_30default_config_static_selectorELNS0_4arch9wavefront6targetE1EEEvT1_,comdat
.Lfunc_end982:
	.size	_ZN7rocprim17ROCPRIM_400000_NS6detail17trampoline_kernelINS0_14default_configENS1_27scan_by_key_config_selectorIssEEZZNS1_16scan_by_key_implILNS1_25lookback_scan_determinismE0ELb0ES3_N6thrust23THRUST_200600_302600_NS6detail15normal_iteratorINS9_10device_ptrIsEEEENS9_18transform_iteratorINS9_6negateIsEESE_NS9_11use_defaultESI_EESE_sNS9_4plusIvEENS9_8equal_toIvEEsEE10hipError_tPvRmT2_T3_T4_T5_mT6_T7_P12ihipStream_tbENKUlT_T0_E_clISt17integral_constantIbLb1EES14_EEDaSZ_S10_EUlSZ_E_NS1_11comp_targetILNS1_3genE8ELNS1_11target_archE1030ELNS1_3gpuE2ELNS1_3repE0EEENS1_30default_config_static_selectorELNS0_4arch9wavefront6targetE1EEEvT1_, .Lfunc_end982-_ZN7rocprim17ROCPRIM_400000_NS6detail17trampoline_kernelINS0_14default_configENS1_27scan_by_key_config_selectorIssEEZZNS1_16scan_by_key_implILNS1_25lookback_scan_determinismE0ELb0ES3_N6thrust23THRUST_200600_302600_NS6detail15normal_iteratorINS9_10device_ptrIsEEEENS9_18transform_iteratorINS9_6negateIsEESE_NS9_11use_defaultESI_EESE_sNS9_4plusIvEENS9_8equal_toIvEEsEE10hipError_tPvRmT2_T3_T4_T5_mT6_T7_P12ihipStream_tbENKUlT_T0_E_clISt17integral_constantIbLb1EES14_EEDaSZ_S10_EUlSZ_E_NS1_11comp_targetILNS1_3genE8ELNS1_11target_archE1030ELNS1_3gpuE2ELNS1_3repE0EEENS1_30default_config_static_selectorELNS0_4arch9wavefront6targetE1EEEvT1_
                                        ; -- End function
	.section	.AMDGPU.csdata,"",@progbits
; Kernel info:
; codeLenInByte = 0
; NumSgprs: 4
; NumVgprs: 0
; NumAgprs: 0
; TotalNumVgprs: 0
; ScratchSize: 0
; MemoryBound: 0
; FloatMode: 240
; IeeeMode: 1
; LDSByteSize: 0 bytes/workgroup (compile time only)
; SGPRBlocks: 0
; VGPRBlocks: 0
; NumSGPRsForWavesPerEU: 4
; NumVGPRsForWavesPerEU: 1
; AccumOffset: 4
; Occupancy: 8
; WaveLimiterHint : 0
; COMPUTE_PGM_RSRC2:SCRATCH_EN: 0
; COMPUTE_PGM_RSRC2:USER_SGPR: 6
; COMPUTE_PGM_RSRC2:TRAP_HANDLER: 0
; COMPUTE_PGM_RSRC2:TGID_X_EN: 1
; COMPUTE_PGM_RSRC2:TGID_Y_EN: 0
; COMPUTE_PGM_RSRC2:TGID_Z_EN: 0
; COMPUTE_PGM_RSRC2:TIDIG_COMP_CNT: 0
; COMPUTE_PGM_RSRC3_GFX90A:ACCUM_OFFSET: 0
; COMPUTE_PGM_RSRC3_GFX90A:TG_SPLIT: 0
	.section	.text._ZN7rocprim17ROCPRIM_400000_NS6detail17trampoline_kernelINS0_14default_configENS1_27scan_by_key_config_selectorIssEEZZNS1_16scan_by_key_implILNS1_25lookback_scan_determinismE0ELb0ES3_N6thrust23THRUST_200600_302600_NS6detail15normal_iteratorINS9_10device_ptrIsEEEENS9_18transform_iteratorINS9_6negateIsEESE_NS9_11use_defaultESI_EESE_sNS9_4plusIvEENS9_8equal_toIvEEsEE10hipError_tPvRmT2_T3_T4_T5_mT6_T7_P12ihipStream_tbENKUlT_T0_E_clISt17integral_constantIbLb1EES13_IbLb0EEEEDaSZ_S10_EUlSZ_E_NS1_11comp_targetILNS1_3genE0ELNS1_11target_archE4294967295ELNS1_3gpuE0ELNS1_3repE0EEENS1_30default_config_static_selectorELNS0_4arch9wavefront6targetE1EEEvT1_,"axG",@progbits,_ZN7rocprim17ROCPRIM_400000_NS6detail17trampoline_kernelINS0_14default_configENS1_27scan_by_key_config_selectorIssEEZZNS1_16scan_by_key_implILNS1_25lookback_scan_determinismE0ELb0ES3_N6thrust23THRUST_200600_302600_NS6detail15normal_iteratorINS9_10device_ptrIsEEEENS9_18transform_iteratorINS9_6negateIsEESE_NS9_11use_defaultESI_EESE_sNS9_4plusIvEENS9_8equal_toIvEEsEE10hipError_tPvRmT2_T3_T4_T5_mT6_T7_P12ihipStream_tbENKUlT_T0_E_clISt17integral_constantIbLb1EES13_IbLb0EEEEDaSZ_S10_EUlSZ_E_NS1_11comp_targetILNS1_3genE0ELNS1_11target_archE4294967295ELNS1_3gpuE0ELNS1_3repE0EEENS1_30default_config_static_selectorELNS0_4arch9wavefront6targetE1EEEvT1_,comdat
	.protected	_ZN7rocprim17ROCPRIM_400000_NS6detail17trampoline_kernelINS0_14default_configENS1_27scan_by_key_config_selectorIssEEZZNS1_16scan_by_key_implILNS1_25lookback_scan_determinismE0ELb0ES3_N6thrust23THRUST_200600_302600_NS6detail15normal_iteratorINS9_10device_ptrIsEEEENS9_18transform_iteratorINS9_6negateIsEESE_NS9_11use_defaultESI_EESE_sNS9_4plusIvEENS9_8equal_toIvEEsEE10hipError_tPvRmT2_T3_T4_T5_mT6_T7_P12ihipStream_tbENKUlT_T0_E_clISt17integral_constantIbLb1EES13_IbLb0EEEEDaSZ_S10_EUlSZ_E_NS1_11comp_targetILNS1_3genE0ELNS1_11target_archE4294967295ELNS1_3gpuE0ELNS1_3repE0EEENS1_30default_config_static_selectorELNS0_4arch9wavefront6targetE1EEEvT1_ ; -- Begin function _ZN7rocprim17ROCPRIM_400000_NS6detail17trampoline_kernelINS0_14default_configENS1_27scan_by_key_config_selectorIssEEZZNS1_16scan_by_key_implILNS1_25lookback_scan_determinismE0ELb0ES3_N6thrust23THRUST_200600_302600_NS6detail15normal_iteratorINS9_10device_ptrIsEEEENS9_18transform_iteratorINS9_6negateIsEESE_NS9_11use_defaultESI_EESE_sNS9_4plusIvEENS9_8equal_toIvEEsEE10hipError_tPvRmT2_T3_T4_T5_mT6_T7_P12ihipStream_tbENKUlT_T0_E_clISt17integral_constantIbLb1EES13_IbLb0EEEEDaSZ_S10_EUlSZ_E_NS1_11comp_targetILNS1_3genE0ELNS1_11target_archE4294967295ELNS1_3gpuE0ELNS1_3repE0EEENS1_30default_config_static_selectorELNS0_4arch9wavefront6targetE1EEEvT1_
	.globl	_ZN7rocprim17ROCPRIM_400000_NS6detail17trampoline_kernelINS0_14default_configENS1_27scan_by_key_config_selectorIssEEZZNS1_16scan_by_key_implILNS1_25lookback_scan_determinismE0ELb0ES3_N6thrust23THRUST_200600_302600_NS6detail15normal_iteratorINS9_10device_ptrIsEEEENS9_18transform_iteratorINS9_6negateIsEESE_NS9_11use_defaultESI_EESE_sNS9_4plusIvEENS9_8equal_toIvEEsEE10hipError_tPvRmT2_T3_T4_T5_mT6_T7_P12ihipStream_tbENKUlT_T0_E_clISt17integral_constantIbLb1EES13_IbLb0EEEEDaSZ_S10_EUlSZ_E_NS1_11comp_targetILNS1_3genE0ELNS1_11target_archE4294967295ELNS1_3gpuE0ELNS1_3repE0EEENS1_30default_config_static_selectorELNS0_4arch9wavefront6targetE1EEEvT1_
	.p2align	8
	.type	_ZN7rocprim17ROCPRIM_400000_NS6detail17trampoline_kernelINS0_14default_configENS1_27scan_by_key_config_selectorIssEEZZNS1_16scan_by_key_implILNS1_25lookback_scan_determinismE0ELb0ES3_N6thrust23THRUST_200600_302600_NS6detail15normal_iteratorINS9_10device_ptrIsEEEENS9_18transform_iteratorINS9_6negateIsEESE_NS9_11use_defaultESI_EESE_sNS9_4plusIvEENS9_8equal_toIvEEsEE10hipError_tPvRmT2_T3_T4_T5_mT6_T7_P12ihipStream_tbENKUlT_T0_E_clISt17integral_constantIbLb1EES13_IbLb0EEEEDaSZ_S10_EUlSZ_E_NS1_11comp_targetILNS1_3genE0ELNS1_11target_archE4294967295ELNS1_3gpuE0ELNS1_3repE0EEENS1_30default_config_static_selectorELNS0_4arch9wavefront6targetE1EEEvT1_,@function
_ZN7rocprim17ROCPRIM_400000_NS6detail17trampoline_kernelINS0_14default_configENS1_27scan_by_key_config_selectorIssEEZZNS1_16scan_by_key_implILNS1_25lookback_scan_determinismE0ELb0ES3_N6thrust23THRUST_200600_302600_NS6detail15normal_iteratorINS9_10device_ptrIsEEEENS9_18transform_iteratorINS9_6negateIsEESE_NS9_11use_defaultESI_EESE_sNS9_4plusIvEENS9_8equal_toIvEEsEE10hipError_tPvRmT2_T3_T4_T5_mT6_T7_P12ihipStream_tbENKUlT_T0_E_clISt17integral_constantIbLb1EES13_IbLb0EEEEDaSZ_S10_EUlSZ_E_NS1_11comp_targetILNS1_3genE0ELNS1_11target_archE4294967295ELNS1_3gpuE0ELNS1_3repE0EEENS1_30default_config_static_selectorELNS0_4arch9wavefront6targetE1EEEvT1_: ; @_ZN7rocprim17ROCPRIM_400000_NS6detail17trampoline_kernelINS0_14default_configENS1_27scan_by_key_config_selectorIssEEZZNS1_16scan_by_key_implILNS1_25lookback_scan_determinismE0ELb0ES3_N6thrust23THRUST_200600_302600_NS6detail15normal_iteratorINS9_10device_ptrIsEEEENS9_18transform_iteratorINS9_6negateIsEESE_NS9_11use_defaultESI_EESE_sNS9_4plusIvEENS9_8equal_toIvEEsEE10hipError_tPvRmT2_T3_T4_T5_mT6_T7_P12ihipStream_tbENKUlT_T0_E_clISt17integral_constantIbLb1EES13_IbLb0EEEEDaSZ_S10_EUlSZ_E_NS1_11comp_targetILNS1_3genE0ELNS1_11target_archE4294967295ELNS1_3gpuE0ELNS1_3repE0EEENS1_30default_config_static_selectorELNS0_4arch9wavefront6targetE1EEEvT1_
; %bb.0:
	.section	.rodata,"a",@progbits
	.p2align	6, 0x0
	.amdhsa_kernel _ZN7rocprim17ROCPRIM_400000_NS6detail17trampoline_kernelINS0_14default_configENS1_27scan_by_key_config_selectorIssEEZZNS1_16scan_by_key_implILNS1_25lookback_scan_determinismE0ELb0ES3_N6thrust23THRUST_200600_302600_NS6detail15normal_iteratorINS9_10device_ptrIsEEEENS9_18transform_iteratorINS9_6negateIsEESE_NS9_11use_defaultESI_EESE_sNS9_4plusIvEENS9_8equal_toIvEEsEE10hipError_tPvRmT2_T3_T4_T5_mT6_T7_P12ihipStream_tbENKUlT_T0_E_clISt17integral_constantIbLb1EES13_IbLb0EEEEDaSZ_S10_EUlSZ_E_NS1_11comp_targetILNS1_3genE0ELNS1_11target_archE4294967295ELNS1_3gpuE0ELNS1_3repE0EEENS1_30default_config_static_selectorELNS0_4arch9wavefront6targetE1EEEvT1_
		.amdhsa_group_segment_fixed_size 0
		.amdhsa_private_segment_fixed_size 0
		.amdhsa_kernarg_size 120
		.amdhsa_user_sgpr_count 6
		.amdhsa_user_sgpr_private_segment_buffer 1
		.amdhsa_user_sgpr_dispatch_ptr 0
		.amdhsa_user_sgpr_queue_ptr 0
		.amdhsa_user_sgpr_kernarg_segment_ptr 1
		.amdhsa_user_sgpr_dispatch_id 0
		.amdhsa_user_sgpr_flat_scratch_init 0
		.amdhsa_user_sgpr_kernarg_preload_length 0
		.amdhsa_user_sgpr_kernarg_preload_offset 0
		.amdhsa_user_sgpr_private_segment_size 0
		.amdhsa_uses_dynamic_stack 0
		.amdhsa_system_sgpr_private_segment_wavefront_offset 0
		.amdhsa_system_sgpr_workgroup_id_x 1
		.amdhsa_system_sgpr_workgroup_id_y 0
		.amdhsa_system_sgpr_workgroup_id_z 0
		.amdhsa_system_sgpr_workgroup_info 0
		.amdhsa_system_vgpr_workitem_id 0
		.amdhsa_next_free_vgpr 1
		.amdhsa_next_free_sgpr 0
		.amdhsa_accum_offset 4
		.amdhsa_reserve_vcc 0
		.amdhsa_reserve_flat_scratch 0
		.amdhsa_float_round_mode_32 0
		.amdhsa_float_round_mode_16_64 0
		.amdhsa_float_denorm_mode_32 3
		.amdhsa_float_denorm_mode_16_64 3
		.amdhsa_dx10_clamp 1
		.amdhsa_ieee_mode 1
		.amdhsa_fp16_overflow 0
		.amdhsa_tg_split 0
		.amdhsa_exception_fp_ieee_invalid_op 0
		.amdhsa_exception_fp_denorm_src 0
		.amdhsa_exception_fp_ieee_div_zero 0
		.amdhsa_exception_fp_ieee_overflow 0
		.amdhsa_exception_fp_ieee_underflow 0
		.amdhsa_exception_fp_ieee_inexact 0
		.amdhsa_exception_int_div_zero 0
	.end_amdhsa_kernel
	.section	.text._ZN7rocprim17ROCPRIM_400000_NS6detail17trampoline_kernelINS0_14default_configENS1_27scan_by_key_config_selectorIssEEZZNS1_16scan_by_key_implILNS1_25lookback_scan_determinismE0ELb0ES3_N6thrust23THRUST_200600_302600_NS6detail15normal_iteratorINS9_10device_ptrIsEEEENS9_18transform_iteratorINS9_6negateIsEESE_NS9_11use_defaultESI_EESE_sNS9_4plusIvEENS9_8equal_toIvEEsEE10hipError_tPvRmT2_T3_T4_T5_mT6_T7_P12ihipStream_tbENKUlT_T0_E_clISt17integral_constantIbLb1EES13_IbLb0EEEEDaSZ_S10_EUlSZ_E_NS1_11comp_targetILNS1_3genE0ELNS1_11target_archE4294967295ELNS1_3gpuE0ELNS1_3repE0EEENS1_30default_config_static_selectorELNS0_4arch9wavefront6targetE1EEEvT1_,"axG",@progbits,_ZN7rocprim17ROCPRIM_400000_NS6detail17trampoline_kernelINS0_14default_configENS1_27scan_by_key_config_selectorIssEEZZNS1_16scan_by_key_implILNS1_25lookback_scan_determinismE0ELb0ES3_N6thrust23THRUST_200600_302600_NS6detail15normal_iteratorINS9_10device_ptrIsEEEENS9_18transform_iteratorINS9_6negateIsEESE_NS9_11use_defaultESI_EESE_sNS9_4plusIvEENS9_8equal_toIvEEsEE10hipError_tPvRmT2_T3_T4_T5_mT6_T7_P12ihipStream_tbENKUlT_T0_E_clISt17integral_constantIbLb1EES13_IbLb0EEEEDaSZ_S10_EUlSZ_E_NS1_11comp_targetILNS1_3genE0ELNS1_11target_archE4294967295ELNS1_3gpuE0ELNS1_3repE0EEENS1_30default_config_static_selectorELNS0_4arch9wavefront6targetE1EEEvT1_,comdat
.Lfunc_end983:
	.size	_ZN7rocprim17ROCPRIM_400000_NS6detail17trampoline_kernelINS0_14default_configENS1_27scan_by_key_config_selectorIssEEZZNS1_16scan_by_key_implILNS1_25lookback_scan_determinismE0ELb0ES3_N6thrust23THRUST_200600_302600_NS6detail15normal_iteratorINS9_10device_ptrIsEEEENS9_18transform_iteratorINS9_6negateIsEESE_NS9_11use_defaultESI_EESE_sNS9_4plusIvEENS9_8equal_toIvEEsEE10hipError_tPvRmT2_T3_T4_T5_mT6_T7_P12ihipStream_tbENKUlT_T0_E_clISt17integral_constantIbLb1EES13_IbLb0EEEEDaSZ_S10_EUlSZ_E_NS1_11comp_targetILNS1_3genE0ELNS1_11target_archE4294967295ELNS1_3gpuE0ELNS1_3repE0EEENS1_30default_config_static_selectorELNS0_4arch9wavefront6targetE1EEEvT1_, .Lfunc_end983-_ZN7rocprim17ROCPRIM_400000_NS6detail17trampoline_kernelINS0_14default_configENS1_27scan_by_key_config_selectorIssEEZZNS1_16scan_by_key_implILNS1_25lookback_scan_determinismE0ELb0ES3_N6thrust23THRUST_200600_302600_NS6detail15normal_iteratorINS9_10device_ptrIsEEEENS9_18transform_iteratorINS9_6negateIsEESE_NS9_11use_defaultESI_EESE_sNS9_4plusIvEENS9_8equal_toIvEEsEE10hipError_tPvRmT2_T3_T4_T5_mT6_T7_P12ihipStream_tbENKUlT_T0_E_clISt17integral_constantIbLb1EES13_IbLb0EEEEDaSZ_S10_EUlSZ_E_NS1_11comp_targetILNS1_3genE0ELNS1_11target_archE4294967295ELNS1_3gpuE0ELNS1_3repE0EEENS1_30default_config_static_selectorELNS0_4arch9wavefront6targetE1EEEvT1_
                                        ; -- End function
	.section	.AMDGPU.csdata,"",@progbits
; Kernel info:
; codeLenInByte = 0
; NumSgprs: 4
; NumVgprs: 0
; NumAgprs: 0
; TotalNumVgprs: 0
; ScratchSize: 0
; MemoryBound: 0
; FloatMode: 240
; IeeeMode: 1
; LDSByteSize: 0 bytes/workgroup (compile time only)
; SGPRBlocks: 0
; VGPRBlocks: 0
; NumSGPRsForWavesPerEU: 4
; NumVGPRsForWavesPerEU: 1
; AccumOffset: 4
; Occupancy: 8
; WaveLimiterHint : 0
; COMPUTE_PGM_RSRC2:SCRATCH_EN: 0
; COMPUTE_PGM_RSRC2:USER_SGPR: 6
; COMPUTE_PGM_RSRC2:TRAP_HANDLER: 0
; COMPUTE_PGM_RSRC2:TGID_X_EN: 1
; COMPUTE_PGM_RSRC2:TGID_Y_EN: 0
; COMPUTE_PGM_RSRC2:TGID_Z_EN: 0
; COMPUTE_PGM_RSRC2:TIDIG_COMP_CNT: 0
; COMPUTE_PGM_RSRC3_GFX90A:ACCUM_OFFSET: 0
; COMPUTE_PGM_RSRC3_GFX90A:TG_SPLIT: 0
	.section	.text._ZN7rocprim17ROCPRIM_400000_NS6detail17trampoline_kernelINS0_14default_configENS1_27scan_by_key_config_selectorIssEEZZNS1_16scan_by_key_implILNS1_25lookback_scan_determinismE0ELb0ES3_N6thrust23THRUST_200600_302600_NS6detail15normal_iteratorINS9_10device_ptrIsEEEENS9_18transform_iteratorINS9_6negateIsEESE_NS9_11use_defaultESI_EESE_sNS9_4plusIvEENS9_8equal_toIvEEsEE10hipError_tPvRmT2_T3_T4_T5_mT6_T7_P12ihipStream_tbENKUlT_T0_E_clISt17integral_constantIbLb1EES13_IbLb0EEEEDaSZ_S10_EUlSZ_E_NS1_11comp_targetILNS1_3genE10ELNS1_11target_archE1201ELNS1_3gpuE5ELNS1_3repE0EEENS1_30default_config_static_selectorELNS0_4arch9wavefront6targetE1EEEvT1_,"axG",@progbits,_ZN7rocprim17ROCPRIM_400000_NS6detail17trampoline_kernelINS0_14default_configENS1_27scan_by_key_config_selectorIssEEZZNS1_16scan_by_key_implILNS1_25lookback_scan_determinismE0ELb0ES3_N6thrust23THRUST_200600_302600_NS6detail15normal_iteratorINS9_10device_ptrIsEEEENS9_18transform_iteratorINS9_6negateIsEESE_NS9_11use_defaultESI_EESE_sNS9_4plusIvEENS9_8equal_toIvEEsEE10hipError_tPvRmT2_T3_T4_T5_mT6_T7_P12ihipStream_tbENKUlT_T0_E_clISt17integral_constantIbLb1EES13_IbLb0EEEEDaSZ_S10_EUlSZ_E_NS1_11comp_targetILNS1_3genE10ELNS1_11target_archE1201ELNS1_3gpuE5ELNS1_3repE0EEENS1_30default_config_static_selectorELNS0_4arch9wavefront6targetE1EEEvT1_,comdat
	.protected	_ZN7rocprim17ROCPRIM_400000_NS6detail17trampoline_kernelINS0_14default_configENS1_27scan_by_key_config_selectorIssEEZZNS1_16scan_by_key_implILNS1_25lookback_scan_determinismE0ELb0ES3_N6thrust23THRUST_200600_302600_NS6detail15normal_iteratorINS9_10device_ptrIsEEEENS9_18transform_iteratorINS9_6negateIsEESE_NS9_11use_defaultESI_EESE_sNS9_4plusIvEENS9_8equal_toIvEEsEE10hipError_tPvRmT2_T3_T4_T5_mT6_T7_P12ihipStream_tbENKUlT_T0_E_clISt17integral_constantIbLb1EES13_IbLb0EEEEDaSZ_S10_EUlSZ_E_NS1_11comp_targetILNS1_3genE10ELNS1_11target_archE1201ELNS1_3gpuE5ELNS1_3repE0EEENS1_30default_config_static_selectorELNS0_4arch9wavefront6targetE1EEEvT1_ ; -- Begin function _ZN7rocprim17ROCPRIM_400000_NS6detail17trampoline_kernelINS0_14default_configENS1_27scan_by_key_config_selectorIssEEZZNS1_16scan_by_key_implILNS1_25lookback_scan_determinismE0ELb0ES3_N6thrust23THRUST_200600_302600_NS6detail15normal_iteratorINS9_10device_ptrIsEEEENS9_18transform_iteratorINS9_6negateIsEESE_NS9_11use_defaultESI_EESE_sNS9_4plusIvEENS9_8equal_toIvEEsEE10hipError_tPvRmT2_T3_T4_T5_mT6_T7_P12ihipStream_tbENKUlT_T0_E_clISt17integral_constantIbLb1EES13_IbLb0EEEEDaSZ_S10_EUlSZ_E_NS1_11comp_targetILNS1_3genE10ELNS1_11target_archE1201ELNS1_3gpuE5ELNS1_3repE0EEENS1_30default_config_static_selectorELNS0_4arch9wavefront6targetE1EEEvT1_
	.globl	_ZN7rocprim17ROCPRIM_400000_NS6detail17trampoline_kernelINS0_14default_configENS1_27scan_by_key_config_selectorIssEEZZNS1_16scan_by_key_implILNS1_25lookback_scan_determinismE0ELb0ES3_N6thrust23THRUST_200600_302600_NS6detail15normal_iteratorINS9_10device_ptrIsEEEENS9_18transform_iteratorINS9_6negateIsEESE_NS9_11use_defaultESI_EESE_sNS9_4plusIvEENS9_8equal_toIvEEsEE10hipError_tPvRmT2_T3_T4_T5_mT6_T7_P12ihipStream_tbENKUlT_T0_E_clISt17integral_constantIbLb1EES13_IbLb0EEEEDaSZ_S10_EUlSZ_E_NS1_11comp_targetILNS1_3genE10ELNS1_11target_archE1201ELNS1_3gpuE5ELNS1_3repE0EEENS1_30default_config_static_selectorELNS0_4arch9wavefront6targetE1EEEvT1_
	.p2align	8
	.type	_ZN7rocprim17ROCPRIM_400000_NS6detail17trampoline_kernelINS0_14default_configENS1_27scan_by_key_config_selectorIssEEZZNS1_16scan_by_key_implILNS1_25lookback_scan_determinismE0ELb0ES3_N6thrust23THRUST_200600_302600_NS6detail15normal_iteratorINS9_10device_ptrIsEEEENS9_18transform_iteratorINS9_6negateIsEESE_NS9_11use_defaultESI_EESE_sNS9_4plusIvEENS9_8equal_toIvEEsEE10hipError_tPvRmT2_T3_T4_T5_mT6_T7_P12ihipStream_tbENKUlT_T0_E_clISt17integral_constantIbLb1EES13_IbLb0EEEEDaSZ_S10_EUlSZ_E_NS1_11comp_targetILNS1_3genE10ELNS1_11target_archE1201ELNS1_3gpuE5ELNS1_3repE0EEENS1_30default_config_static_selectorELNS0_4arch9wavefront6targetE1EEEvT1_,@function
_ZN7rocprim17ROCPRIM_400000_NS6detail17trampoline_kernelINS0_14default_configENS1_27scan_by_key_config_selectorIssEEZZNS1_16scan_by_key_implILNS1_25lookback_scan_determinismE0ELb0ES3_N6thrust23THRUST_200600_302600_NS6detail15normal_iteratorINS9_10device_ptrIsEEEENS9_18transform_iteratorINS9_6negateIsEESE_NS9_11use_defaultESI_EESE_sNS9_4plusIvEENS9_8equal_toIvEEsEE10hipError_tPvRmT2_T3_T4_T5_mT6_T7_P12ihipStream_tbENKUlT_T0_E_clISt17integral_constantIbLb1EES13_IbLb0EEEEDaSZ_S10_EUlSZ_E_NS1_11comp_targetILNS1_3genE10ELNS1_11target_archE1201ELNS1_3gpuE5ELNS1_3repE0EEENS1_30default_config_static_selectorELNS0_4arch9wavefront6targetE1EEEvT1_: ; @_ZN7rocprim17ROCPRIM_400000_NS6detail17trampoline_kernelINS0_14default_configENS1_27scan_by_key_config_selectorIssEEZZNS1_16scan_by_key_implILNS1_25lookback_scan_determinismE0ELb0ES3_N6thrust23THRUST_200600_302600_NS6detail15normal_iteratorINS9_10device_ptrIsEEEENS9_18transform_iteratorINS9_6negateIsEESE_NS9_11use_defaultESI_EESE_sNS9_4plusIvEENS9_8equal_toIvEEsEE10hipError_tPvRmT2_T3_T4_T5_mT6_T7_P12ihipStream_tbENKUlT_T0_E_clISt17integral_constantIbLb1EES13_IbLb0EEEEDaSZ_S10_EUlSZ_E_NS1_11comp_targetILNS1_3genE10ELNS1_11target_archE1201ELNS1_3gpuE5ELNS1_3repE0EEENS1_30default_config_static_selectorELNS0_4arch9wavefront6targetE1EEEvT1_
; %bb.0:
	.section	.rodata,"a",@progbits
	.p2align	6, 0x0
	.amdhsa_kernel _ZN7rocprim17ROCPRIM_400000_NS6detail17trampoline_kernelINS0_14default_configENS1_27scan_by_key_config_selectorIssEEZZNS1_16scan_by_key_implILNS1_25lookback_scan_determinismE0ELb0ES3_N6thrust23THRUST_200600_302600_NS6detail15normal_iteratorINS9_10device_ptrIsEEEENS9_18transform_iteratorINS9_6negateIsEESE_NS9_11use_defaultESI_EESE_sNS9_4plusIvEENS9_8equal_toIvEEsEE10hipError_tPvRmT2_T3_T4_T5_mT6_T7_P12ihipStream_tbENKUlT_T0_E_clISt17integral_constantIbLb1EES13_IbLb0EEEEDaSZ_S10_EUlSZ_E_NS1_11comp_targetILNS1_3genE10ELNS1_11target_archE1201ELNS1_3gpuE5ELNS1_3repE0EEENS1_30default_config_static_selectorELNS0_4arch9wavefront6targetE1EEEvT1_
		.amdhsa_group_segment_fixed_size 0
		.amdhsa_private_segment_fixed_size 0
		.amdhsa_kernarg_size 120
		.amdhsa_user_sgpr_count 6
		.amdhsa_user_sgpr_private_segment_buffer 1
		.amdhsa_user_sgpr_dispatch_ptr 0
		.amdhsa_user_sgpr_queue_ptr 0
		.amdhsa_user_sgpr_kernarg_segment_ptr 1
		.amdhsa_user_sgpr_dispatch_id 0
		.amdhsa_user_sgpr_flat_scratch_init 0
		.amdhsa_user_sgpr_kernarg_preload_length 0
		.amdhsa_user_sgpr_kernarg_preload_offset 0
		.amdhsa_user_sgpr_private_segment_size 0
		.amdhsa_uses_dynamic_stack 0
		.amdhsa_system_sgpr_private_segment_wavefront_offset 0
		.amdhsa_system_sgpr_workgroup_id_x 1
		.amdhsa_system_sgpr_workgroup_id_y 0
		.amdhsa_system_sgpr_workgroup_id_z 0
		.amdhsa_system_sgpr_workgroup_info 0
		.amdhsa_system_vgpr_workitem_id 0
		.amdhsa_next_free_vgpr 1
		.amdhsa_next_free_sgpr 0
		.amdhsa_accum_offset 4
		.amdhsa_reserve_vcc 0
		.amdhsa_reserve_flat_scratch 0
		.amdhsa_float_round_mode_32 0
		.amdhsa_float_round_mode_16_64 0
		.amdhsa_float_denorm_mode_32 3
		.amdhsa_float_denorm_mode_16_64 3
		.amdhsa_dx10_clamp 1
		.amdhsa_ieee_mode 1
		.amdhsa_fp16_overflow 0
		.amdhsa_tg_split 0
		.amdhsa_exception_fp_ieee_invalid_op 0
		.amdhsa_exception_fp_denorm_src 0
		.amdhsa_exception_fp_ieee_div_zero 0
		.amdhsa_exception_fp_ieee_overflow 0
		.amdhsa_exception_fp_ieee_underflow 0
		.amdhsa_exception_fp_ieee_inexact 0
		.amdhsa_exception_int_div_zero 0
	.end_amdhsa_kernel
	.section	.text._ZN7rocprim17ROCPRIM_400000_NS6detail17trampoline_kernelINS0_14default_configENS1_27scan_by_key_config_selectorIssEEZZNS1_16scan_by_key_implILNS1_25lookback_scan_determinismE0ELb0ES3_N6thrust23THRUST_200600_302600_NS6detail15normal_iteratorINS9_10device_ptrIsEEEENS9_18transform_iteratorINS9_6negateIsEESE_NS9_11use_defaultESI_EESE_sNS9_4plusIvEENS9_8equal_toIvEEsEE10hipError_tPvRmT2_T3_T4_T5_mT6_T7_P12ihipStream_tbENKUlT_T0_E_clISt17integral_constantIbLb1EES13_IbLb0EEEEDaSZ_S10_EUlSZ_E_NS1_11comp_targetILNS1_3genE10ELNS1_11target_archE1201ELNS1_3gpuE5ELNS1_3repE0EEENS1_30default_config_static_selectorELNS0_4arch9wavefront6targetE1EEEvT1_,"axG",@progbits,_ZN7rocprim17ROCPRIM_400000_NS6detail17trampoline_kernelINS0_14default_configENS1_27scan_by_key_config_selectorIssEEZZNS1_16scan_by_key_implILNS1_25lookback_scan_determinismE0ELb0ES3_N6thrust23THRUST_200600_302600_NS6detail15normal_iteratorINS9_10device_ptrIsEEEENS9_18transform_iteratorINS9_6negateIsEESE_NS9_11use_defaultESI_EESE_sNS9_4plusIvEENS9_8equal_toIvEEsEE10hipError_tPvRmT2_T3_T4_T5_mT6_T7_P12ihipStream_tbENKUlT_T0_E_clISt17integral_constantIbLb1EES13_IbLb0EEEEDaSZ_S10_EUlSZ_E_NS1_11comp_targetILNS1_3genE10ELNS1_11target_archE1201ELNS1_3gpuE5ELNS1_3repE0EEENS1_30default_config_static_selectorELNS0_4arch9wavefront6targetE1EEEvT1_,comdat
.Lfunc_end984:
	.size	_ZN7rocprim17ROCPRIM_400000_NS6detail17trampoline_kernelINS0_14default_configENS1_27scan_by_key_config_selectorIssEEZZNS1_16scan_by_key_implILNS1_25lookback_scan_determinismE0ELb0ES3_N6thrust23THRUST_200600_302600_NS6detail15normal_iteratorINS9_10device_ptrIsEEEENS9_18transform_iteratorINS9_6negateIsEESE_NS9_11use_defaultESI_EESE_sNS9_4plusIvEENS9_8equal_toIvEEsEE10hipError_tPvRmT2_T3_T4_T5_mT6_T7_P12ihipStream_tbENKUlT_T0_E_clISt17integral_constantIbLb1EES13_IbLb0EEEEDaSZ_S10_EUlSZ_E_NS1_11comp_targetILNS1_3genE10ELNS1_11target_archE1201ELNS1_3gpuE5ELNS1_3repE0EEENS1_30default_config_static_selectorELNS0_4arch9wavefront6targetE1EEEvT1_, .Lfunc_end984-_ZN7rocprim17ROCPRIM_400000_NS6detail17trampoline_kernelINS0_14default_configENS1_27scan_by_key_config_selectorIssEEZZNS1_16scan_by_key_implILNS1_25lookback_scan_determinismE0ELb0ES3_N6thrust23THRUST_200600_302600_NS6detail15normal_iteratorINS9_10device_ptrIsEEEENS9_18transform_iteratorINS9_6negateIsEESE_NS9_11use_defaultESI_EESE_sNS9_4plusIvEENS9_8equal_toIvEEsEE10hipError_tPvRmT2_T3_T4_T5_mT6_T7_P12ihipStream_tbENKUlT_T0_E_clISt17integral_constantIbLb1EES13_IbLb0EEEEDaSZ_S10_EUlSZ_E_NS1_11comp_targetILNS1_3genE10ELNS1_11target_archE1201ELNS1_3gpuE5ELNS1_3repE0EEENS1_30default_config_static_selectorELNS0_4arch9wavefront6targetE1EEEvT1_
                                        ; -- End function
	.section	.AMDGPU.csdata,"",@progbits
; Kernel info:
; codeLenInByte = 0
; NumSgprs: 4
; NumVgprs: 0
; NumAgprs: 0
; TotalNumVgprs: 0
; ScratchSize: 0
; MemoryBound: 0
; FloatMode: 240
; IeeeMode: 1
; LDSByteSize: 0 bytes/workgroup (compile time only)
; SGPRBlocks: 0
; VGPRBlocks: 0
; NumSGPRsForWavesPerEU: 4
; NumVGPRsForWavesPerEU: 1
; AccumOffset: 4
; Occupancy: 8
; WaveLimiterHint : 0
; COMPUTE_PGM_RSRC2:SCRATCH_EN: 0
; COMPUTE_PGM_RSRC2:USER_SGPR: 6
; COMPUTE_PGM_RSRC2:TRAP_HANDLER: 0
; COMPUTE_PGM_RSRC2:TGID_X_EN: 1
; COMPUTE_PGM_RSRC2:TGID_Y_EN: 0
; COMPUTE_PGM_RSRC2:TGID_Z_EN: 0
; COMPUTE_PGM_RSRC2:TIDIG_COMP_CNT: 0
; COMPUTE_PGM_RSRC3_GFX90A:ACCUM_OFFSET: 0
; COMPUTE_PGM_RSRC3_GFX90A:TG_SPLIT: 0
	.section	.text._ZN7rocprim17ROCPRIM_400000_NS6detail17trampoline_kernelINS0_14default_configENS1_27scan_by_key_config_selectorIssEEZZNS1_16scan_by_key_implILNS1_25lookback_scan_determinismE0ELb0ES3_N6thrust23THRUST_200600_302600_NS6detail15normal_iteratorINS9_10device_ptrIsEEEENS9_18transform_iteratorINS9_6negateIsEESE_NS9_11use_defaultESI_EESE_sNS9_4plusIvEENS9_8equal_toIvEEsEE10hipError_tPvRmT2_T3_T4_T5_mT6_T7_P12ihipStream_tbENKUlT_T0_E_clISt17integral_constantIbLb1EES13_IbLb0EEEEDaSZ_S10_EUlSZ_E_NS1_11comp_targetILNS1_3genE5ELNS1_11target_archE942ELNS1_3gpuE9ELNS1_3repE0EEENS1_30default_config_static_selectorELNS0_4arch9wavefront6targetE1EEEvT1_,"axG",@progbits,_ZN7rocprim17ROCPRIM_400000_NS6detail17trampoline_kernelINS0_14default_configENS1_27scan_by_key_config_selectorIssEEZZNS1_16scan_by_key_implILNS1_25lookback_scan_determinismE0ELb0ES3_N6thrust23THRUST_200600_302600_NS6detail15normal_iteratorINS9_10device_ptrIsEEEENS9_18transform_iteratorINS9_6negateIsEESE_NS9_11use_defaultESI_EESE_sNS9_4plusIvEENS9_8equal_toIvEEsEE10hipError_tPvRmT2_T3_T4_T5_mT6_T7_P12ihipStream_tbENKUlT_T0_E_clISt17integral_constantIbLb1EES13_IbLb0EEEEDaSZ_S10_EUlSZ_E_NS1_11comp_targetILNS1_3genE5ELNS1_11target_archE942ELNS1_3gpuE9ELNS1_3repE0EEENS1_30default_config_static_selectorELNS0_4arch9wavefront6targetE1EEEvT1_,comdat
	.protected	_ZN7rocprim17ROCPRIM_400000_NS6detail17trampoline_kernelINS0_14default_configENS1_27scan_by_key_config_selectorIssEEZZNS1_16scan_by_key_implILNS1_25lookback_scan_determinismE0ELb0ES3_N6thrust23THRUST_200600_302600_NS6detail15normal_iteratorINS9_10device_ptrIsEEEENS9_18transform_iteratorINS9_6negateIsEESE_NS9_11use_defaultESI_EESE_sNS9_4plusIvEENS9_8equal_toIvEEsEE10hipError_tPvRmT2_T3_T4_T5_mT6_T7_P12ihipStream_tbENKUlT_T0_E_clISt17integral_constantIbLb1EES13_IbLb0EEEEDaSZ_S10_EUlSZ_E_NS1_11comp_targetILNS1_3genE5ELNS1_11target_archE942ELNS1_3gpuE9ELNS1_3repE0EEENS1_30default_config_static_selectorELNS0_4arch9wavefront6targetE1EEEvT1_ ; -- Begin function _ZN7rocprim17ROCPRIM_400000_NS6detail17trampoline_kernelINS0_14default_configENS1_27scan_by_key_config_selectorIssEEZZNS1_16scan_by_key_implILNS1_25lookback_scan_determinismE0ELb0ES3_N6thrust23THRUST_200600_302600_NS6detail15normal_iteratorINS9_10device_ptrIsEEEENS9_18transform_iteratorINS9_6negateIsEESE_NS9_11use_defaultESI_EESE_sNS9_4plusIvEENS9_8equal_toIvEEsEE10hipError_tPvRmT2_T3_T4_T5_mT6_T7_P12ihipStream_tbENKUlT_T0_E_clISt17integral_constantIbLb1EES13_IbLb0EEEEDaSZ_S10_EUlSZ_E_NS1_11comp_targetILNS1_3genE5ELNS1_11target_archE942ELNS1_3gpuE9ELNS1_3repE0EEENS1_30default_config_static_selectorELNS0_4arch9wavefront6targetE1EEEvT1_
	.globl	_ZN7rocprim17ROCPRIM_400000_NS6detail17trampoline_kernelINS0_14default_configENS1_27scan_by_key_config_selectorIssEEZZNS1_16scan_by_key_implILNS1_25lookback_scan_determinismE0ELb0ES3_N6thrust23THRUST_200600_302600_NS6detail15normal_iteratorINS9_10device_ptrIsEEEENS9_18transform_iteratorINS9_6negateIsEESE_NS9_11use_defaultESI_EESE_sNS9_4plusIvEENS9_8equal_toIvEEsEE10hipError_tPvRmT2_T3_T4_T5_mT6_T7_P12ihipStream_tbENKUlT_T0_E_clISt17integral_constantIbLb1EES13_IbLb0EEEEDaSZ_S10_EUlSZ_E_NS1_11comp_targetILNS1_3genE5ELNS1_11target_archE942ELNS1_3gpuE9ELNS1_3repE0EEENS1_30default_config_static_selectorELNS0_4arch9wavefront6targetE1EEEvT1_
	.p2align	8
	.type	_ZN7rocprim17ROCPRIM_400000_NS6detail17trampoline_kernelINS0_14default_configENS1_27scan_by_key_config_selectorIssEEZZNS1_16scan_by_key_implILNS1_25lookback_scan_determinismE0ELb0ES3_N6thrust23THRUST_200600_302600_NS6detail15normal_iteratorINS9_10device_ptrIsEEEENS9_18transform_iteratorINS9_6negateIsEESE_NS9_11use_defaultESI_EESE_sNS9_4plusIvEENS9_8equal_toIvEEsEE10hipError_tPvRmT2_T3_T4_T5_mT6_T7_P12ihipStream_tbENKUlT_T0_E_clISt17integral_constantIbLb1EES13_IbLb0EEEEDaSZ_S10_EUlSZ_E_NS1_11comp_targetILNS1_3genE5ELNS1_11target_archE942ELNS1_3gpuE9ELNS1_3repE0EEENS1_30default_config_static_selectorELNS0_4arch9wavefront6targetE1EEEvT1_,@function
_ZN7rocprim17ROCPRIM_400000_NS6detail17trampoline_kernelINS0_14default_configENS1_27scan_by_key_config_selectorIssEEZZNS1_16scan_by_key_implILNS1_25lookback_scan_determinismE0ELb0ES3_N6thrust23THRUST_200600_302600_NS6detail15normal_iteratorINS9_10device_ptrIsEEEENS9_18transform_iteratorINS9_6negateIsEESE_NS9_11use_defaultESI_EESE_sNS9_4plusIvEENS9_8equal_toIvEEsEE10hipError_tPvRmT2_T3_T4_T5_mT6_T7_P12ihipStream_tbENKUlT_T0_E_clISt17integral_constantIbLb1EES13_IbLb0EEEEDaSZ_S10_EUlSZ_E_NS1_11comp_targetILNS1_3genE5ELNS1_11target_archE942ELNS1_3gpuE9ELNS1_3repE0EEENS1_30default_config_static_selectorELNS0_4arch9wavefront6targetE1EEEvT1_: ; @_ZN7rocprim17ROCPRIM_400000_NS6detail17trampoline_kernelINS0_14default_configENS1_27scan_by_key_config_selectorIssEEZZNS1_16scan_by_key_implILNS1_25lookback_scan_determinismE0ELb0ES3_N6thrust23THRUST_200600_302600_NS6detail15normal_iteratorINS9_10device_ptrIsEEEENS9_18transform_iteratorINS9_6negateIsEESE_NS9_11use_defaultESI_EESE_sNS9_4plusIvEENS9_8equal_toIvEEsEE10hipError_tPvRmT2_T3_T4_T5_mT6_T7_P12ihipStream_tbENKUlT_T0_E_clISt17integral_constantIbLb1EES13_IbLb0EEEEDaSZ_S10_EUlSZ_E_NS1_11comp_targetILNS1_3genE5ELNS1_11target_archE942ELNS1_3gpuE9ELNS1_3repE0EEENS1_30default_config_static_selectorELNS0_4arch9wavefront6targetE1EEEvT1_
; %bb.0:
	.section	.rodata,"a",@progbits
	.p2align	6, 0x0
	.amdhsa_kernel _ZN7rocprim17ROCPRIM_400000_NS6detail17trampoline_kernelINS0_14default_configENS1_27scan_by_key_config_selectorIssEEZZNS1_16scan_by_key_implILNS1_25lookback_scan_determinismE0ELb0ES3_N6thrust23THRUST_200600_302600_NS6detail15normal_iteratorINS9_10device_ptrIsEEEENS9_18transform_iteratorINS9_6negateIsEESE_NS9_11use_defaultESI_EESE_sNS9_4plusIvEENS9_8equal_toIvEEsEE10hipError_tPvRmT2_T3_T4_T5_mT6_T7_P12ihipStream_tbENKUlT_T0_E_clISt17integral_constantIbLb1EES13_IbLb0EEEEDaSZ_S10_EUlSZ_E_NS1_11comp_targetILNS1_3genE5ELNS1_11target_archE942ELNS1_3gpuE9ELNS1_3repE0EEENS1_30default_config_static_selectorELNS0_4arch9wavefront6targetE1EEEvT1_
		.amdhsa_group_segment_fixed_size 0
		.amdhsa_private_segment_fixed_size 0
		.amdhsa_kernarg_size 120
		.amdhsa_user_sgpr_count 6
		.amdhsa_user_sgpr_private_segment_buffer 1
		.amdhsa_user_sgpr_dispatch_ptr 0
		.amdhsa_user_sgpr_queue_ptr 0
		.amdhsa_user_sgpr_kernarg_segment_ptr 1
		.amdhsa_user_sgpr_dispatch_id 0
		.amdhsa_user_sgpr_flat_scratch_init 0
		.amdhsa_user_sgpr_kernarg_preload_length 0
		.amdhsa_user_sgpr_kernarg_preload_offset 0
		.amdhsa_user_sgpr_private_segment_size 0
		.amdhsa_uses_dynamic_stack 0
		.amdhsa_system_sgpr_private_segment_wavefront_offset 0
		.amdhsa_system_sgpr_workgroup_id_x 1
		.amdhsa_system_sgpr_workgroup_id_y 0
		.amdhsa_system_sgpr_workgroup_id_z 0
		.amdhsa_system_sgpr_workgroup_info 0
		.amdhsa_system_vgpr_workitem_id 0
		.amdhsa_next_free_vgpr 1
		.amdhsa_next_free_sgpr 0
		.amdhsa_accum_offset 4
		.amdhsa_reserve_vcc 0
		.amdhsa_reserve_flat_scratch 0
		.amdhsa_float_round_mode_32 0
		.amdhsa_float_round_mode_16_64 0
		.amdhsa_float_denorm_mode_32 3
		.amdhsa_float_denorm_mode_16_64 3
		.amdhsa_dx10_clamp 1
		.amdhsa_ieee_mode 1
		.amdhsa_fp16_overflow 0
		.amdhsa_tg_split 0
		.amdhsa_exception_fp_ieee_invalid_op 0
		.amdhsa_exception_fp_denorm_src 0
		.amdhsa_exception_fp_ieee_div_zero 0
		.amdhsa_exception_fp_ieee_overflow 0
		.amdhsa_exception_fp_ieee_underflow 0
		.amdhsa_exception_fp_ieee_inexact 0
		.amdhsa_exception_int_div_zero 0
	.end_amdhsa_kernel
	.section	.text._ZN7rocprim17ROCPRIM_400000_NS6detail17trampoline_kernelINS0_14default_configENS1_27scan_by_key_config_selectorIssEEZZNS1_16scan_by_key_implILNS1_25lookback_scan_determinismE0ELb0ES3_N6thrust23THRUST_200600_302600_NS6detail15normal_iteratorINS9_10device_ptrIsEEEENS9_18transform_iteratorINS9_6negateIsEESE_NS9_11use_defaultESI_EESE_sNS9_4plusIvEENS9_8equal_toIvEEsEE10hipError_tPvRmT2_T3_T4_T5_mT6_T7_P12ihipStream_tbENKUlT_T0_E_clISt17integral_constantIbLb1EES13_IbLb0EEEEDaSZ_S10_EUlSZ_E_NS1_11comp_targetILNS1_3genE5ELNS1_11target_archE942ELNS1_3gpuE9ELNS1_3repE0EEENS1_30default_config_static_selectorELNS0_4arch9wavefront6targetE1EEEvT1_,"axG",@progbits,_ZN7rocprim17ROCPRIM_400000_NS6detail17trampoline_kernelINS0_14default_configENS1_27scan_by_key_config_selectorIssEEZZNS1_16scan_by_key_implILNS1_25lookback_scan_determinismE0ELb0ES3_N6thrust23THRUST_200600_302600_NS6detail15normal_iteratorINS9_10device_ptrIsEEEENS9_18transform_iteratorINS9_6negateIsEESE_NS9_11use_defaultESI_EESE_sNS9_4plusIvEENS9_8equal_toIvEEsEE10hipError_tPvRmT2_T3_T4_T5_mT6_T7_P12ihipStream_tbENKUlT_T0_E_clISt17integral_constantIbLb1EES13_IbLb0EEEEDaSZ_S10_EUlSZ_E_NS1_11comp_targetILNS1_3genE5ELNS1_11target_archE942ELNS1_3gpuE9ELNS1_3repE0EEENS1_30default_config_static_selectorELNS0_4arch9wavefront6targetE1EEEvT1_,comdat
.Lfunc_end985:
	.size	_ZN7rocprim17ROCPRIM_400000_NS6detail17trampoline_kernelINS0_14default_configENS1_27scan_by_key_config_selectorIssEEZZNS1_16scan_by_key_implILNS1_25lookback_scan_determinismE0ELb0ES3_N6thrust23THRUST_200600_302600_NS6detail15normal_iteratorINS9_10device_ptrIsEEEENS9_18transform_iteratorINS9_6negateIsEESE_NS9_11use_defaultESI_EESE_sNS9_4plusIvEENS9_8equal_toIvEEsEE10hipError_tPvRmT2_T3_T4_T5_mT6_T7_P12ihipStream_tbENKUlT_T0_E_clISt17integral_constantIbLb1EES13_IbLb0EEEEDaSZ_S10_EUlSZ_E_NS1_11comp_targetILNS1_3genE5ELNS1_11target_archE942ELNS1_3gpuE9ELNS1_3repE0EEENS1_30default_config_static_selectorELNS0_4arch9wavefront6targetE1EEEvT1_, .Lfunc_end985-_ZN7rocprim17ROCPRIM_400000_NS6detail17trampoline_kernelINS0_14default_configENS1_27scan_by_key_config_selectorIssEEZZNS1_16scan_by_key_implILNS1_25lookback_scan_determinismE0ELb0ES3_N6thrust23THRUST_200600_302600_NS6detail15normal_iteratorINS9_10device_ptrIsEEEENS9_18transform_iteratorINS9_6negateIsEESE_NS9_11use_defaultESI_EESE_sNS9_4plusIvEENS9_8equal_toIvEEsEE10hipError_tPvRmT2_T3_T4_T5_mT6_T7_P12ihipStream_tbENKUlT_T0_E_clISt17integral_constantIbLb1EES13_IbLb0EEEEDaSZ_S10_EUlSZ_E_NS1_11comp_targetILNS1_3genE5ELNS1_11target_archE942ELNS1_3gpuE9ELNS1_3repE0EEENS1_30default_config_static_selectorELNS0_4arch9wavefront6targetE1EEEvT1_
                                        ; -- End function
	.section	.AMDGPU.csdata,"",@progbits
; Kernel info:
; codeLenInByte = 0
; NumSgprs: 4
; NumVgprs: 0
; NumAgprs: 0
; TotalNumVgprs: 0
; ScratchSize: 0
; MemoryBound: 0
; FloatMode: 240
; IeeeMode: 1
; LDSByteSize: 0 bytes/workgroup (compile time only)
; SGPRBlocks: 0
; VGPRBlocks: 0
; NumSGPRsForWavesPerEU: 4
; NumVGPRsForWavesPerEU: 1
; AccumOffset: 4
; Occupancy: 8
; WaveLimiterHint : 0
; COMPUTE_PGM_RSRC2:SCRATCH_EN: 0
; COMPUTE_PGM_RSRC2:USER_SGPR: 6
; COMPUTE_PGM_RSRC2:TRAP_HANDLER: 0
; COMPUTE_PGM_RSRC2:TGID_X_EN: 1
; COMPUTE_PGM_RSRC2:TGID_Y_EN: 0
; COMPUTE_PGM_RSRC2:TGID_Z_EN: 0
; COMPUTE_PGM_RSRC2:TIDIG_COMP_CNT: 0
; COMPUTE_PGM_RSRC3_GFX90A:ACCUM_OFFSET: 0
; COMPUTE_PGM_RSRC3_GFX90A:TG_SPLIT: 0
	.section	.text._ZN7rocprim17ROCPRIM_400000_NS6detail17trampoline_kernelINS0_14default_configENS1_27scan_by_key_config_selectorIssEEZZNS1_16scan_by_key_implILNS1_25lookback_scan_determinismE0ELb0ES3_N6thrust23THRUST_200600_302600_NS6detail15normal_iteratorINS9_10device_ptrIsEEEENS9_18transform_iteratorINS9_6negateIsEESE_NS9_11use_defaultESI_EESE_sNS9_4plusIvEENS9_8equal_toIvEEsEE10hipError_tPvRmT2_T3_T4_T5_mT6_T7_P12ihipStream_tbENKUlT_T0_E_clISt17integral_constantIbLb1EES13_IbLb0EEEEDaSZ_S10_EUlSZ_E_NS1_11comp_targetILNS1_3genE4ELNS1_11target_archE910ELNS1_3gpuE8ELNS1_3repE0EEENS1_30default_config_static_selectorELNS0_4arch9wavefront6targetE1EEEvT1_,"axG",@progbits,_ZN7rocprim17ROCPRIM_400000_NS6detail17trampoline_kernelINS0_14default_configENS1_27scan_by_key_config_selectorIssEEZZNS1_16scan_by_key_implILNS1_25lookback_scan_determinismE0ELb0ES3_N6thrust23THRUST_200600_302600_NS6detail15normal_iteratorINS9_10device_ptrIsEEEENS9_18transform_iteratorINS9_6negateIsEESE_NS9_11use_defaultESI_EESE_sNS9_4plusIvEENS9_8equal_toIvEEsEE10hipError_tPvRmT2_T3_T4_T5_mT6_T7_P12ihipStream_tbENKUlT_T0_E_clISt17integral_constantIbLb1EES13_IbLb0EEEEDaSZ_S10_EUlSZ_E_NS1_11comp_targetILNS1_3genE4ELNS1_11target_archE910ELNS1_3gpuE8ELNS1_3repE0EEENS1_30default_config_static_selectorELNS0_4arch9wavefront6targetE1EEEvT1_,comdat
	.protected	_ZN7rocprim17ROCPRIM_400000_NS6detail17trampoline_kernelINS0_14default_configENS1_27scan_by_key_config_selectorIssEEZZNS1_16scan_by_key_implILNS1_25lookback_scan_determinismE0ELb0ES3_N6thrust23THRUST_200600_302600_NS6detail15normal_iteratorINS9_10device_ptrIsEEEENS9_18transform_iteratorINS9_6negateIsEESE_NS9_11use_defaultESI_EESE_sNS9_4plusIvEENS9_8equal_toIvEEsEE10hipError_tPvRmT2_T3_T4_T5_mT6_T7_P12ihipStream_tbENKUlT_T0_E_clISt17integral_constantIbLb1EES13_IbLb0EEEEDaSZ_S10_EUlSZ_E_NS1_11comp_targetILNS1_3genE4ELNS1_11target_archE910ELNS1_3gpuE8ELNS1_3repE0EEENS1_30default_config_static_selectorELNS0_4arch9wavefront6targetE1EEEvT1_ ; -- Begin function _ZN7rocprim17ROCPRIM_400000_NS6detail17trampoline_kernelINS0_14default_configENS1_27scan_by_key_config_selectorIssEEZZNS1_16scan_by_key_implILNS1_25lookback_scan_determinismE0ELb0ES3_N6thrust23THRUST_200600_302600_NS6detail15normal_iteratorINS9_10device_ptrIsEEEENS9_18transform_iteratorINS9_6negateIsEESE_NS9_11use_defaultESI_EESE_sNS9_4plusIvEENS9_8equal_toIvEEsEE10hipError_tPvRmT2_T3_T4_T5_mT6_T7_P12ihipStream_tbENKUlT_T0_E_clISt17integral_constantIbLb1EES13_IbLb0EEEEDaSZ_S10_EUlSZ_E_NS1_11comp_targetILNS1_3genE4ELNS1_11target_archE910ELNS1_3gpuE8ELNS1_3repE0EEENS1_30default_config_static_selectorELNS0_4arch9wavefront6targetE1EEEvT1_
	.globl	_ZN7rocprim17ROCPRIM_400000_NS6detail17trampoline_kernelINS0_14default_configENS1_27scan_by_key_config_selectorIssEEZZNS1_16scan_by_key_implILNS1_25lookback_scan_determinismE0ELb0ES3_N6thrust23THRUST_200600_302600_NS6detail15normal_iteratorINS9_10device_ptrIsEEEENS9_18transform_iteratorINS9_6negateIsEESE_NS9_11use_defaultESI_EESE_sNS9_4plusIvEENS9_8equal_toIvEEsEE10hipError_tPvRmT2_T3_T4_T5_mT6_T7_P12ihipStream_tbENKUlT_T0_E_clISt17integral_constantIbLb1EES13_IbLb0EEEEDaSZ_S10_EUlSZ_E_NS1_11comp_targetILNS1_3genE4ELNS1_11target_archE910ELNS1_3gpuE8ELNS1_3repE0EEENS1_30default_config_static_selectorELNS0_4arch9wavefront6targetE1EEEvT1_
	.p2align	8
	.type	_ZN7rocprim17ROCPRIM_400000_NS6detail17trampoline_kernelINS0_14default_configENS1_27scan_by_key_config_selectorIssEEZZNS1_16scan_by_key_implILNS1_25lookback_scan_determinismE0ELb0ES3_N6thrust23THRUST_200600_302600_NS6detail15normal_iteratorINS9_10device_ptrIsEEEENS9_18transform_iteratorINS9_6negateIsEESE_NS9_11use_defaultESI_EESE_sNS9_4plusIvEENS9_8equal_toIvEEsEE10hipError_tPvRmT2_T3_T4_T5_mT6_T7_P12ihipStream_tbENKUlT_T0_E_clISt17integral_constantIbLb1EES13_IbLb0EEEEDaSZ_S10_EUlSZ_E_NS1_11comp_targetILNS1_3genE4ELNS1_11target_archE910ELNS1_3gpuE8ELNS1_3repE0EEENS1_30default_config_static_selectorELNS0_4arch9wavefront6targetE1EEEvT1_,@function
_ZN7rocprim17ROCPRIM_400000_NS6detail17trampoline_kernelINS0_14default_configENS1_27scan_by_key_config_selectorIssEEZZNS1_16scan_by_key_implILNS1_25lookback_scan_determinismE0ELb0ES3_N6thrust23THRUST_200600_302600_NS6detail15normal_iteratorINS9_10device_ptrIsEEEENS9_18transform_iteratorINS9_6negateIsEESE_NS9_11use_defaultESI_EESE_sNS9_4plusIvEENS9_8equal_toIvEEsEE10hipError_tPvRmT2_T3_T4_T5_mT6_T7_P12ihipStream_tbENKUlT_T0_E_clISt17integral_constantIbLb1EES13_IbLb0EEEEDaSZ_S10_EUlSZ_E_NS1_11comp_targetILNS1_3genE4ELNS1_11target_archE910ELNS1_3gpuE8ELNS1_3repE0EEENS1_30default_config_static_selectorELNS0_4arch9wavefront6targetE1EEEvT1_: ; @_ZN7rocprim17ROCPRIM_400000_NS6detail17trampoline_kernelINS0_14default_configENS1_27scan_by_key_config_selectorIssEEZZNS1_16scan_by_key_implILNS1_25lookback_scan_determinismE0ELb0ES3_N6thrust23THRUST_200600_302600_NS6detail15normal_iteratorINS9_10device_ptrIsEEEENS9_18transform_iteratorINS9_6negateIsEESE_NS9_11use_defaultESI_EESE_sNS9_4plusIvEENS9_8equal_toIvEEsEE10hipError_tPvRmT2_T3_T4_T5_mT6_T7_P12ihipStream_tbENKUlT_T0_E_clISt17integral_constantIbLb1EES13_IbLb0EEEEDaSZ_S10_EUlSZ_E_NS1_11comp_targetILNS1_3genE4ELNS1_11target_archE910ELNS1_3gpuE8ELNS1_3repE0EEENS1_30default_config_static_selectorELNS0_4arch9wavefront6targetE1EEEvT1_
; %bb.0:
	s_load_dwordx4 s[0:3], s[4:5], 0x0
	s_load_dwordx2 s[8:9], s[4:5], 0x10
	s_load_dwordx4 s[60:63], s[4:5], 0x30
	s_load_dwordx2 s[66:67], s[4:5], 0x40
	s_load_dword s7, s[4:5], 0x48
	s_load_dwordx8 s[52:59], s[4:5], 0x50
	s_waitcnt lgkmcnt(0)
	s_lshl_b64 s[64:65], s[2:3], 1
	s_add_u32 s2, s0, s64
	s_addc_u32 s3, s1, s65
	s_add_u32 s8, s8, s64
	s_mul_i32 s0, s67, s7
	s_mul_hi_u32 s1, s66, s7
	s_addc_u32 s9, s9, s65
	s_add_i32 s10, s1, s0
	s_cmp_lg_u64 s[56:57], 0
	s_mul_i32 s0, s6, 0x1600
	s_mov_b32 s1, 0
	s_cselect_b64 s[72:73], -1, 0
	s_lshl_b64 s[56:57], s[0:1], 1
	s_add_u32 s70, s2, s56
	s_addc_u32 s71, s3, s57
	s_add_u32 s68, s8, s56
	s_mul_i32 s7, s66, s7
	s_addc_u32 s69, s9, s57
	s_add_u32 s74, s7, s6
	s_addc_u32 s75, s10, 0
	s_add_u32 s2, s52, -1
	s_addc_u32 s3, s53, -1
	v_pk_mov_b32 v[2:3], s[2:3], s[2:3] op_sel:[0,1]
	v_cmp_ge_u64_e64 s[0:1], s[74:75], v[2:3]
	s_mov_b64 s[12:13], 0
	s_mov_b64 s[8:9], -1
	s_and_b64 vcc, exec, s[0:1]
	s_mul_i32 s33, s2, 0xffffea00
	s_barrier
	s_cbranch_vccz .LBB986_117
; %bb.1:
	v_pk_mov_b32 v[2:3], s[70:71], s[70:71] op_sel:[0,1]
	flat_load_ushort v6, v[2:3]
	s_add_i32 s63, s33, s62
	v_cmp_gt_u32_e64 s[2:3], s63, v0
	s_waitcnt vmcnt(0) lgkmcnt(0)
	v_mov_b32_e32 v7, v6
	s_and_saveexec_b64 s[8:9], s[2:3]
	s_cbranch_execz .LBB986_3
; %bb.2:
	v_lshlrev_b32_e32 v1, 1, v0
	v_mov_b32_e32 v3, s71
	v_add_co_u32_e32 v2, vcc, s70, v1
	v_addc_co_u32_e32 v3, vcc, 0, v3, vcc
	flat_load_ushort v7, v[2:3]
.LBB986_3:
	s_or_b64 exec, exec, s[8:9]
	v_or_b32_e32 v1, 0x100, v0
	v_cmp_gt_u32_e64 s[50:51], s63, v1
	v_mov_b32_e32 v8, v6
	s_and_saveexec_b64 s[8:9], s[50:51]
	s_cbranch_execz .LBB986_5
; %bb.4:
	v_lshlrev_b32_e32 v1, 1, v0
	v_mov_b32_e32 v3, s71
	v_add_co_u32_e32 v2, vcc, s70, v1
	v_addc_co_u32_e32 v3, vcc, 0, v3, vcc
	flat_load_ushort v8, v[2:3] offset:512
.LBB986_5:
	s_or_b64 exec, exec, s[8:9]
	v_or_b32_e32 v1, 0x200, v0
	v_cmp_gt_u32_e64 s[8:9], s63, v1
	v_mov_b32_e32 v9, v6
	s_and_saveexec_b64 s[10:11], s[8:9]
	s_cbranch_execz .LBB986_7
; %bb.6:
	v_lshlrev_b32_e32 v1, 1, v0
	v_mov_b32_e32 v3, s71
	v_add_co_u32_e32 v2, vcc, s70, v1
	v_addc_co_u32_e32 v3, vcc, 0, v3, vcc
	flat_load_ushort v9, v[2:3] offset:1024
.LBB986_7:
	;; [unrolled: 13-line block ×7, first 2 shown]
	s_or_b64 exec, exec, s[20:21]
	v_or_b32_e32 v1, 0x800, v0
	v_cmp_gt_u32_e64 s[20:21], s63, v1
	v_mov_b32_e32 v15, v6
	s_and_saveexec_b64 s[22:23], s[20:21]
	s_cbranch_execz .LBB986_19
; %bb.18:
	v_lshlrev_b32_e32 v2, 1, v1
	v_mov_b32_e32 v3, s71
	v_add_co_u32_e32 v2, vcc, s70, v2
	v_addc_co_u32_e32 v3, vcc, 0, v3, vcc
	flat_load_ushort v15, v[2:3]
.LBB986_19:
	s_or_b64 exec, exec, s[22:23]
	v_or_b32_e32 v2, 0x900, v0
	v_cmp_gt_u32_e64 s[22:23], s63, v2
	v_mov_b32_e32 v26, v6
	s_and_saveexec_b64 s[24:25], s[22:23]
	s_cbranch_execz .LBB986_21
; %bb.20:
	v_lshlrev_b32_e32 v3, 1, v2
	v_mov_b32_e32 v5, s71
	v_add_co_u32_e32 v4, vcc, s70, v3
	v_addc_co_u32_e32 v5, vcc, 0, v5, vcc
	flat_load_ushort v26, v[4:5]
.LBB986_21:
	;; [unrolled: 13-line block ×13, first 2 shown]
	s_or_b64 exec, exec, s[48:49]
	v_or_b32_e32 v25, 0x1500, v0
	v_cmp_gt_u32_e64 s[48:49], s63, v25
	s_and_saveexec_b64 s[52:53], s[48:49]
	s_cbranch_execz .LBB986_45
; %bb.44:
	v_lshlrev_b32_e32 v6, 1, v25
	v_mov_b32_e32 v23, s71
	v_add_co_u32_e32 v38, vcc, s70, v6
	v_addc_co_u32_e32 v39, vcc, 0, v23, vcc
	flat_load_ushort v6, v[38:39]
.LBB986_45:
	s_or_b64 exec, exec, s[52:53]
	v_lshlrev_b32_e32 v23, 1, v0
	s_waitcnt vmcnt(0) lgkmcnt(0)
	ds_write_b16 v23, v7
	ds_write_b16 v23, v8 offset:512
	ds_write_b16 v23, v9 offset:1024
	;; [unrolled: 1-line block ×21, first 2 shown]
	v_mad_u32_u24 v37, v0, 42, v23
	s_waitcnt lgkmcnt(0)
	s_barrier
	ds_read2_b32 v[14:15], v37 offset1:1
	ds_read2_b32 v[12:13], v37 offset0:2 offset1:3
	ds_read2_b32 v[10:11], v37 offset0:4 offset1:5
	;; [unrolled: 1-line block ×4, first 2 shown]
	ds_read_b32 v38, v37 offset:40
	s_cmp_eq_u64 s[74:75], 0
	s_mov_b64 s[52:53], s[70:71]
	s_cbranch_scc1 .LBB986_49
; %bb.46:
	s_andn2_b64 vcc, exec, s[72:73]
	s_cbranch_vccnz .LBB986_287
; %bb.47:
	s_lshl_b64 s[52:53], s[74:75], 1
	s_add_u32 s7, s58, s52
	s_addc_u32 s53, s59, s53
	s_add_u32 s52, s7, -2
	s_addc_u32 s53, s53, -1
	s_cbranch_execnz .LBB986_49
.LBB986_48:
	s_add_u32 s52, s70, -2
	s_addc_u32 s53, s71, -1
.LBB986_49:
	v_pk_mov_b32 v[26:27], s[52:53], s[52:53] op_sel:[0,1]
	flat_load_ushort v41, v[26:27]
	s_movk_i32 s7, 0xffd6
	s_waitcnt lgkmcnt(0)
	v_lshrrev_b32_e32 v39, 16, v38
	v_mad_i32_i24 v26, v0, s7, v37
	v_cmp_ne_u32_e32 vcc, 0, v0
	ds_write_b16 v26, v39 offset:11264
	s_waitcnt lgkmcnt(0)
	s_barrier
	s_and_saveexec_b64 s[52:53], vcc
	s_cbranch_execz .LBB986_51
; %bb.50:
	v_mul_i32_i24_e32 v26, 0xffffffd6, v0
	v_add_u32_e32 v26, v37, v26
	s_waitcnt vmcnt(0)
	ds_read_u16 v41, v26 offset:11262
.LBB986_51:
	s_or_b64 exec, exec, s[52:53]
	s_waitcnt lgkmcnt(0)
	s_barrier
	s_waitcnt lgkmcnt(0)
                                        ; implicit-def: $vgpr26
	s_and_saveexec_b64 s[52:53], s[2:3]
	s_cbranch_execnz .LBB986_264
; %bb.52:
	s_or_b64 exec, exec, s[52:53]
                                        ; implicit-def: $vgpr27
	s_and_saveexec_b64 s[2:3], s[50:51]
	s_cbranch_execnz .LBB986_265
.LBB986_53:
	s_or_b64 exec, exec, s[2:3]
                                        ; implicit-def: $vgpr28
	s_and_saveexec_b64 s[2:3], s[8:9]
	s_cbranch_execnz .LBB986_266
.LBB986_54:
	s_or_b64 exec, exec, s[2:3]
                                        ; implicit-def: $vgpr29
	s_and_saveexec_b64 s[2:3], s[10:11]
	s_cbranch_execnz .LBB986_267
.LBB986_55:
	s_or_b64 exec, exec, s[2:3]
                                        ; implicit-def: $vgpr30
	s_and_saveexec_b64 s[2:3], s[12:13]
	s_cbranch_execnz .LBB986_268
.LBB986_56:
	s_or_b64 exec, exec, s[2:3]
                                        ; implicit-def: $vgpr31
	s_and_saveexec_b64 s[2:3], s[14:15]
	s_cbranch_execnz .LBB986_269
.LBB986_57:
	s_or_b64 exec, exec, s[2:3]
                                        ; implicit-def: $vgpr32
	s_and_saveexec_b64 s[2:3], s[16:17]
	s_cbranch_execnz .LBB986_270
.LBB986_58:
	s_or_b64 exec, exec, s[2:3]
                                        ; implicit-def: $vgpr33
	s_and_saveexec_b64 s[2:3], s[18:19]
	s_cbranch_execnz .LBB986_271
.LBB986_59:
	s_or_b64 exec, exec, s[2:3]
                                        ; implicit-def: $vgpr34
	s_and_saveexec_b64 s[2:3], s[20:21]
	s_cbranch_execnz .LBB986_272
.LBB986_60:
	s_or_b64 exec, exec, s[2:3]
                                        ; implicit-def: $vgpr1
	s_and_saveexec_b64 s[2:3], s[22:23]
	s_cbranch_execnz .LBB986_273
.LBB986_61:
	s_or_b64 exec, exec, s[2:3]
                                        ; implicit-def: $vgpr2
	s_and_saveexec_b64 s[2:3], s[24:25]
	s_cbranch_execnz .LBB986_274
.LBB986_62:
	s_or_b64 exec, exec, s[2:3]
                                        ; implicit-def: $vgpr3
	s_and_saveexec_b64 s[2:3], s[26:27]
	s_cbranch_execnz .LBB986_275
.LBB986_63:
	s_or_b64 exec, exec, s[2:3]
                                        ; implicit-def: $vgpr4
	s_and_saveexec_b64 s[2:3], s[28:29]
	s_cbranch_execnz .LBB986_276
.LBB986_64:
	s_or_b64 exec, exec, s[2:3]
                                        ; implicit-def: $vgpr5
	s_and_saveexec_b64 s[2:3], s[30:31]
	s_cbranch_execnz .LBB986_277
.LBB986_65:
	s_or_b64 exec, exec, s[2:3]
                                        ; implicit-def: $vgpr16
	s_and_saveexec_b64 s[2:3], s[34:35]
	s_cbranch_execnz .LBB986_278
.LBB986_66:
	s_or_b64 exec, exec, s[2:3]
                                        ; implicit-def: $vgpr17
	s_and_saveexec_b64 s[2:3], s[36:37]
	s_cbranch_execnz .LBB986_279
.LBB986_67:
	s_or_b64 exec, exec, s[2:3]
                                        ; implicit-def: $vgpr18
	s_and_saveexec_b64 s[2:3], s[38:39]
	s_cbranch_execnz .LBB986_280
.LBB986_68:
	s_or_b64 exec, exec, s[2:3]
                                        ; implicit-def: $vgpr19
	s_and_saveexec_b64 s[2:3], s[40:41]
	s_cbranch_execnz .LBB986_281
.LBB986_69:
	s_or_b64 exec, exec, s[2:3]
                                        ; implicit-def: $vgpr20
	s_and_saveexec_b64 s[2:3], s[42:43]
	s_cbranch_execnz .LBB986_282
.LBB986_70:
	s_or_b64 exec, exec, s[2:3]
                                        ; implicit-def: $vgpr21
	s_and_saveexec_b64 s[2:3], s[44:45]
	s_cbranch_execnz .LBB986_283
.LBB986_71:
	s_or_b64 exec, exec, s[2:3]
                                        ; implicit-def: $vgpr22
	s_and_saveexec_b64 s[2:3], s[46:47]
	s_cbranch_execnz .LBB986_284
.LBB986_72:
	s_or_b64 exec, exec, s[2:3]
                                        ; implicit-def: $vgpr24
	s_and_saveexec_b64 s[2:3], s[48:49]
	s_cbranch_execz .LBB986_74
.LBB986_73:
	v_lshlrev_b32_e32 v24, 1, v25
	global_load_ushort v24, v24, s[68:69]
	s_waitcnt vmcnt(0)
	v_sub_u16_e32 v24, 0, v24
.LBB986_74:
	s_or_b64 exec, exec, s[2:3]
	v_mul_u32_u24_e32 v40, 22, v0
	ds_write_b16 v23, v26
	ds_write_b16 v23, v27 offset:512
	ds_write_b16 v23, v28 offset:1024
	;; [unrolled: 1-line block ×21, first 2 shown]
	v_cmp_gt_u32_e32 vcc, s63, v40
	s_mov_b64 s[8:9], 0
	s_mov_b32 s7, 0
	v_mov_b32_e32 v1, 0
	s_mov_b64 s[12:13], 0
	v_mov_b32_e32 v16, 0
	v_mov_b32_e32 v17, 0
	;; [unrolled: 1-line block ×20, first 2 shown]
	s_waitcnt lgkmcnt(0)
	s_barrier
	s_waitcnt lgkmcnt(0)
                                        ; implicit-def: $sgpr2_sgpr3
                                        ; implicit-def: $vgpr36
	s_and_saveexec_b64 s[10:11], vcc
	s_cbranch_execz .LBB986_116
; %bb.75:
	ds_read_u16 v1, v37
	s_waitcnt vmcnt(0)
	v_cmp_ne_u16_e32 vcc, v41, v14
	v_or_b32_e32 v2, 1, v40
	v_cndmask_b32_e64 v3, 0, 1, vcc
	v_cmp_gt_u32_e32 vcc, s63, v2
	s_waitcnt lgkmcnt(0)
	v_lshl_or_b32 v1, v3, 16, v1
	s_mov_b64 s[14:15], 0
	v_mov_b32_e32 v16, 0
	v_mov_b32_e32 v17, 0
	;; [unrolled: 1-line block ×20, first 2 shown]
                                        ; implicit-def: $sgpr2_sgpr3
                                        ; implicit-def: $vgpr36
	s_and_saveexec_b64 s[12:13], vcc
	s_cbranch_execz .LBB986_115
; %bb.76:
	ds_read_b128 v[2:5], v37 offset:2
	v_add_u32_e32 v16, 2, v40
	v_cmp_ne_u16_sdwa s[2:3], v14, v14 src0_sel:DWORD src1_sel:WORD_1
	v_cndmask_b32_e64 v17, 0, 1, s[2:3]
	v_cmp_gt_u32_e32 vcc, s63, v16
	s_waitcnt lgkmcnt(0)
	v_and_b32_e32 v16, 0xffff, v2
	v_lshl_or_b32 v16, v17, 16, v16
	s_mov_b64 s[16:17], 0
	v_mov_b32_e32 v17, 0
	v_mov_b32_e32 v18, 0
	;; [unrolled: 1-line block ×19, first 2 shown]
                                        ; implicit-def: $sgpr2_sgpr3
                                        ; implicit-def: $vgpr36
	s_and_saveexec_b64 s[14:15], vcc
	s_cbranch_execz .LBB986_114
; %bb.77:
	v_cmp_ne_u16_sdwa s[2:3], v14, v15 src0_sel:WORD_1 src1_sel:DWORD
	v_add_u32_e32 v18, 3, v40
	v_cndmask_b32_e64 v14, 0, 1, s[2:3]
	v_alignbit_b32 v17, v14, v2, 16
	v_cmp_gt_u32_e32 vcc, s63, v18
	s_mov_b64 s[18:19], 0
	v_mov_b32_e32 v18, 0
	v_mov_b32_e32 v19, 0
	;; [unrolled: 1-line block ×18, first 2 shown]
                                        ; implicit-def: $sgpr2_sgpr3
                                        ; implicit-def: $vgpr36
	s_and_saveexec_b64 s[16:17], vcc
	s_cbranch_execz .LBB986_113
; %bb.78:
	v_cmp_ne_u16_sdwa s[2:3], v15, v15 src0_sel:DWORD src1_sel:WORD_1
	v_and_b32_e32 v2, 0xffff, v3
	v_add_u32_e32 v14, 4, v40
	v_cndmask_b32_e64 v18, 0, 1, s[2:3]
	v_lshl_or_b32 v18, v18, 16, v2
	v_cmp_gt_u32_e32 vcc, s63, v14
	s_mov_b64 s[20:21], 0
	v_mov_b32_e32 v19, 0
	v_mov_b32_e32 v20, 0
	;; [unrolled: 1-line block ×17, first 2 shown]
                                        ; implicit-def: $sgpr2_sgpr3
                                        ; implicit-def: $vgpr36
	s_and_saveexec_b64 s[18:19], vcc
	s_cbranch_execz .LBB986_112
; %bb.79:
	v_cmp_ne_u16_sdwa s[2:3], v15, v12 src0_sel:WORD_1 src1_sel:DWORD
	v_add_u32_e32 v2, 5, v40
	v_cndmask_b32_e64 v14, 0, 1, s[2:3]
	v_alignbit_b32 v19, v14, v3, 16
	v_cmp_gt_u32_e32 vcc, s63, v2
	s_mov_b64 s[22:23], 0
	v_mov_b32_e32 v20, 0
	v_mov_b32_e32 v21, 0
	;; [unrolled: 1-line block ×16, first 2 shown]
                                        ; implicit-def: $sgpr2_sgpr3
                                        ; implicit-def: $vgpr36
	s_and_saveexec_b64 s[20:21], vcc
	s_cbranch_execz .LBB986_111
; %bb.80:
	v_cmp_ne_u16_sdwa s[2:3], v12, v12 src0_sel:DWORD src1_sel:WORD_1
	v_and_b32_e32 v2, 0xffff, v4
	v_add_u32_e32 v3, 6, v40
	v_cndmask_b32_e64 v14, 0, 1, s[2:3]
	v_lshl_or_b32 v20, v14, 16, v2
	v_cmp_gt_u32_e32 vcc, s63, v3
	s_mov_b64 s[24:25], 0
	v_mov_b32_e32 v21, 0
	v_mov_b32_e32 v22, 0
	;; [unrolled: 1-line block ×15, first 2 shown]
                                        ; implicit-def: $sgpr2_sgpr3
                                        ; implicit-def: $vgpr36
	s_and_saveexec_b64 s[22:23], vcc
	s_cbranch_execz .LBB986_110
; %bb.81:
	v_cmp_ne_u16_sdwa s[2:3], v12, v13 src0_sel:WORD_1 src1_sel:DWORD
	v_add_u32_e32 v2, 7, v40
	v_cndmask_b32_e64 v3, 0, 1, s[2:3]
	v_alignbit_b32 v21, v3, v4, 16
	v_cmp_gt_u32_e32 vcc, s63, v2
	s_mov_b64 s[26:27], 0
	v_mov_b32_e32 v22, 0
	v_mov_b32_e32 v23, 0
	;; [unrolled: 1-line block ×14, first 2 shown]
                                        ; implicit-def: $sgpr2_sgpr3
                                        ; implicit-def: $vgpr36
	s_and_saveexec_b64 s[24:25], vcc
	s_cbranch_execz .LBB986_109
; %bb.82:
	v_cmp_ne_u16_sdwa s[2:3], v13, v13 src0_sel:DWORD src1_sel:WORD_1
	v_and_b32_e32 v2, 0xffff, v5
	v_add_u32_e32 v3, 8, v40
	v_cndmask_b32_e64 v4, 0, 1, s[2:3]
	v_lshl_or_b32 v22, v4, 16, v2
	v_cmp_gt_u32_e32 vcc, s63, v3
	s_mov_b64 s[28:29], 0
	v_mov_b32_e32 v23, 0
	v_mov_b32_e32 v24, 0
	;; [unrolled: 1-line block ×13, first 2 shown]
                                        ; implicit-def: $sgpr2_sgpr3
                                        ; implicit-def: $vgpr36
	s_and_saveexec_b64 s[26:27], vcc
	s_cbranch_execz .LBB986_108
; %bb.83:
	v_cmp_ne_u16_sdwa s[2:3], v13, v10 src0_sel:WORD_1 src1_sel:DWORD
	v_add_u32_e32 v2, 9, v40
	v_cndmask_b32_e64 v3, 0, 1, s[2:3]
	v_alignbit_b32 v23, v3, v5, 16
	v_cmp_gt_u32_e32 vcc, s63, v2
	s_mov_b64 s[30:31], 0
	v_mov_b32_e32 v24, 0
	v_mov_b32_e32 v25, 0
	;; [unrolled: 1-line block ×12, first 2 shown]
                                        ; implicit-def: $sgpr2_sgpr3
                                        ; implicit-def: $vgpr36
	s_and_saveexec_b64 s[28:29], vcc
	s_cbranch_execz .LBB986_107
; %bb.84:
	ds_read_b128 v[2:5], v37 offset:18
	v_add_u32_e32 v12, 10, v40
	v_cmp_ne_u16_sdwa s[2:3], v10, v10 src0_sel:DWORD src1_sel:WORD_1
	v_cndmask_b32_e64 v13, 0, 1, s[2:3]
	v_cmp_gt_u32_e32 vcc, s63, v12
	s_waitcnt lgkmcnt(0)
	v_and_b32_e32 v12, 0xffff, v2
	v_lshl_or_b32 v24, v13, 16, v12
	s_mov_b64 s[34:35], 0
	v_mov_b32_e32 v25, 0
	v_mov_b32_e32 v26, 0
	;; [unrolled: 1-line block ×11, first 2 shown]
                                        ; implicit-def: $sgpr2_sgpr3
                                        ; implicit-def: $vgpr36
	s_and_saveexec_b64 s[30:31], vcc
	s_cbranch_execz .LBB986_106
; %bb.85:
	v_cmp_ne_u16_sdwa s[2:3], v10, v11 src0_sel:WORD_1 src1_sel:DWORD
	v_add_u32_e32 v12, 11, v40
	v_cndmask_b32_e64 v10, 0, 1, s[2:3]
	v_alignbit_b32 v25, v10, v2, 16
	v_cmp_gt_u32_e32 vcc, s63, v12
	s_mov_b64 s[36:37], 0
	v_mov_b32_e32 v26, 0
	v_mov_b32_e32 v27, 0
	v_mov_b32_e32 v28, 0
	v_mov_b32_e32 v29, 0
	v_mov_b32_e32 v30, 0
	v_mov_b32_e32 v31, 0
	v_mov_b32_e32 v32, 0
	v_mov_b32_e32 v33, 0
	v_mov_b32_e32 v34, 0
	v_mov_b32_e32 v35, 0
                                        ; implicit-def: $sgpr2_sgpr3
                                        ; implicit-def: $vgpr36
	s_and_saveexec_b64 s[34:35], vcc
	s_cbranch_execz .LBB986_105
; %bb.86:
	v_cmp_ne_u16_sdwa s[2:3], v11, v11 src0_sel:DWORD src1_sel:WORD_1
	v_and_b32_e32 v2, 0xffff, v3
	v_add_u32_e32 v10, 12, v40
	v_cndmask_b32_e64 v12, 0, 1, s[2:3]
	v_lshl_or_b32 v26, v12, 16, v2
	v_cmp_gt_u32_e32 vcc, s63, v10
	s_mov_b64 s[38:39], 0
	v_mov_b32_e32 v27, 0
	v_mov_b32_e32 v28, 0
	;; [unrolled: 1-line block ×9, first 2 shown]
                                        ; implicit-def: $sgpr2_sgpr3
                                        ; implicit-def: $vgpr36
	s_and_saveexec_b64 s[36:37], vcc
	s_cbranch_execz .LBB986_104
; %bb.87:
	v_cmp_ne_u16_sdwa s[2:3], v11, v8 src0_sel:WORD_1 src1_sel:DWORD
	v_add_u32_e32 v2, 13, v40
	v_cndmask_b32_e64 v10, 0, 1, s[2:3]
	v_alignbit_b32 v27, v10, v3, 16
	v_cmp_gt_u32_e32 vcc, s63, v2
	s_mov_b64 s[40:41], 0
	v_mov_b32_e32 v28, 0
	v_mov_b32_e32 v29, 0
	;; [unrolled: 1-line block ×8, first 2 shown]
                                        ; implicit-def: $sgpr2_sgpr3
                                        ; implicit-def: $vgpr36
	s_and_saveexec_b64 s[38:39], vcc
	s_cbranch_execz .LBB986_103
; %bb.88:
	v_cmp_ne_u16_sdwa s[2:3], v8, v8 src0_sel:DWORD src1_sel:WORD_1
	v_and_b32_e32 v2, 0xffff, v4
	v_add_u32_e32 v3, 14, v40
	v_cndmask_b32_e64 v10, 0, 1, s[2:3]
	v_lshl_or_b32 v28, v10, 16, v2
	v_cmp_gt_u32_e32 vcc, s63, v3
	s_mov_b64 s[42:43], 0
	v_mov_b32_e32 v29, 0
	v_mov_b32_e32 v30, 0
	;; [unrolled: 1-line block ×7, first 2 shown]
                                        ; implicit-def: $sgpr2_sgpr3
                                        ; implicit-def: $vgpr36
	s_and_saveexec_b64 s[40:41], vcc
	s_cbranch_execz .LBB986_102
; %bb.89:
	v_cmp_ne_u16_sdwa s[2:3], v8, v9 src0_sel:WORD_1 src1_sel:DWORD
	v_add_u32_e32 v2, 15, v40
	v_cndmask_b32_e64 v3, 0, 1, s[2:3]
	v_alignbit_b32 v29, v3, v4, 16
	v_cmp_gt_u32_e32 vcc, s63, v2
	s_mov_b64 s[44:45], 0
	v_mov_b32_e32 v30, 0
	v_mov_b32_e32 v31, 0
	v_mov_b32_e32 v32, 0
	v_mov_b32_e32 v33, 0
	v_mov_b32_e32 v34, 0
	v_mov_b32_e32 v35, 0
                                        ; implicit-def: $sgpr2_sgpr3
                                        ; implicit-def: $vgpr36
	s_and_saveexec_b64 s[42:43], vcc
	s_cbranch_execz .LBB986_101
; %bb.90:
	v_cmp_ne_u16_sdwa s[2:3], v9, v9 src0_sel:DWORD src1_sel:WORD_1
	v_and_b32_e32 v2, 0xffff, v5
	v_add_u32_e32 v3, 16, v40
	v_cndmask_b32_e64 v4, 0, 1, s[2:3]
	v_lshl_or_b32 v30, v4, 16, v2
	v_cmp_gt_u32_e32 vcc, s63, v3
	s_mov_b64 s[46:47], 0
	v_mov_b32_e32 v31, 0
	v_mov_b32_e32 v32, 0
	;; [unrolled: 1-line block ×5, first 2 shown]
                                        ; implicit-def: $sgpr2_sgpr3
                                        ; implicit-def: $vgpr36
	s_and_saveexec_b64 s[44:45], vcc
	s_cbranch_execz .LBB986_100
; %bb.91:
	v_cmp_ne_u16_sdwa s[2:3], v9, v6 src0_sel:WORD_1 src1_sel:DWORD
	v_add_u32_e32 v2, 17, v40
	v_cndmask_b32_e64 v3, 0, 1, s[2:3]
	v_alignbit_b32 v31, v3, v5, 16
	v_cmp_gt_u32_e32 vcc, s63, v2
	s_mov_b64 s[48:49], 0
	v_mov_b32_e32 v32, 0
	v_mov_b32_e32 v33, 0
	;; [unrolled: 1-line block ×4, first 2 shown]
                                        ; implicit-def: $sgpr2_sgpr3
                                        ; implicit-def: $vgpr36
	s_and_saveexec_b64 s[46:47], vcc
	s_cbranch_execz .LBB986_99
; %bb.92:
	ds_read_b64 v[2:3], v37 offset:34
	v_add_u32_e32 v4, 18, v40
	v_cmp_ne_u16_sdwa s[2:3], v6, v6 src0_sel:DWORD src1_sel:WORD_1
	v_cndmask_b32_e64 v5, 0, 1, s[2:3]
	v_cmp_gt_u32_e32 vcc, s63, v4
	s_waitcnt lgkmcnt(0)
	v_and_b32_e32 v4, 0xffff, v2
	v_lshl_or_b32 v32, v5, 16, v4
	s_mov_b64 s[50:51], 0
	v_mov_b32_e32 v33, 0
	v_mov_b32_e32 v34, 0
	;; [unrolled: 1-line block ×3, first 2 shown]
                                        ; implicit-def: $sgpr2_sgpr3
                                        ; implicit-def: $vgpr36
	s_and_saveexec_b64 s[48:49], vcc
	s_cbranch_execz .LBB986_98
; %bb.93:
	v_cmp_ne_u16_sdwa s[2:3], v6, v7 src0_sel:WORD_1 src1_sel:DWORD
	v_add_u32_e32 v4, 19, v40
	v_cndmask_b32_e64 v5, 0, 1, s[2:3]
	v_alignbit_b32 v33, v5, v2, 16
	v_cmp_gt_u32_e32 vcc, s63, v4
	s_mov_b64 s[52:53], 0
	v_mov_b32_e32 v34, 0
	v_mov_b32_e32 v35, 0
                                        ; implicit-def: $sgpr76_sgpr77
                                        ; implicit-def: $vgpr36
	s_and_saveexec_b64 s[50:51], vcc
	s_cbranch_execz .LBB986_97
; %bb.94:
	v_cmp_ne_u16_sdwa s[2:3], v7, v7 src0_sel:DWORD src1_sel:WORD_1
	v_and_b32_e32 v2, 0xffff, v3
	v_add_u32_e32 v4, 20, v40
	v_cndmask_b32_e64 v5, 0, 1, s[2:3]
	v_lshl_or_b32 v34, v5, 16, v2
	v_cmp_gt_u32_e32 vcc, s63, v4
	s_mov_b64 s[2:3], 0
	v_mov_b32_e32 v35, 0
                                        ; implicit-def: $sgpr52_sgpr53
                                        ; implicit-def: $vgpr36
	s_and_saveexec_b64 s[76:77], vcc
	s_xor_b64 s[76:77], exec, s[76:77]
	s_cbranch_execz .LBB986_96
; %bb.95:
	ds_read_u16 v36, v37 offset:42
	v_add_u32_e32 v2, 21, v40
	v_cmp_ne_u16_sdwa s[2:3], v7, v38 src0_sel:WORD_1 src1_sel:DWORD
	v_cmp_ne_u16_e32 vcc, v38, v39
	v_cndmask_b32_e64 v4, 0, 1, s[2:3]
	v_cmp_gt_u32_e64 s[2:3], s63, v2
	v_alignbit_b32 v35, v4, v3, 16
	s_and_b64 s[52:53], vcc, exec
	s_and_b64 s[2:3], s[2:3], exec
.LBB986_96:
	s_or_b64 exec, exec, s[76:77]
	s_and_b64 s[76:77], s[52:53], exec
	s_and_b64 s[52:53], s[2:3], exec
.LBB986_97:
	s_or_b64 exec, exec, s[50:51]
	s_and_b64 s[2:3], s[76:77], exec
	s_and_b64 s[50:51], s[52:53], exec
.LBB986_98:
	s_or_b64 exec, exec, s[48:49]
	s_and_b64 s[2:3], s[2:3], exec
	s_and_b64 s[48:49], s[50:51], exec
.LBB986_99:
	s_or_b64 exec, exec, s[46:47]
	s_and_b64 s[2:3], s[2:3], exec
	s_and_b64 s[46:47], s[48:49], exec
.LBB986_100:
	s_or_b64 exec, exec, s[44:45]
	s_and_b64 s[2:3], s[2:3], exec
	s_and_b64 s[44:45], s[46:47], exec
.LBB986_101:
	s_or_b64 exec, exec, s[42:43]
	s_and_b64 s[2:3], s[2:3], exec
	s_and_b64 s[42:43], s[44:45], exec
.LBB986_102:
	s_or_b64 exec, exec, s[40:41]
	s_and_b64 s[2:3], s[2:3], exec
	s_and_b64 s[40:41], s[42:43], exec
.LBB986_103:
	s_or_b64 exec, exec, s[38:39]
	s_and_b64 s[2:3], s[2:3], exec
	s_and_b64 s[38:39], s[40:41], exec
.LBB986_104:
	s_or_b64 exec, exec, s[36:37]
	s_and_b64 s[2:3], s[2:3], exec
	s_and_b64 s[36:37], s[38:39], exec
.LBB986_105:
	s_or_b64 exec, exec, s[34:35]
	s_and_b64 s[2:3], s[2:3], exec
	s_and_b64 s[34:35], s[36:37], exec
.LBB986_106:
	s_or_b64 exec, exec, s[30:31]
	s_and_b64 s[2:3], s[2:3], exec
	s_and_b64 s[30:31], s[34:35], exec
.LBB986_107:
	s_or_b64 exec, exec, s[28:29]
	s_and_b64 s[2:3], s[2:3], exec
	s_and_b64 s[28:29], s[30:31], exec
.LBB986_108:
	s_or_b64 exec, exec, s[26:27]
	s_and_b64 s[2:3], s[2:3], exec
	s_and_b64 s[26:27], s[28:29], exec
.LBB986_109:
	s_or_b64 exec, exec, s[24:25]
	s_and_b64 s[2:3], s[2:3], exec
	s_and_b64 s[24:25], s[26:27], exec
.LBB986_110:
	s_or_b64 exec, exec, s[22:23]
	s_and_b64 s[2:3], s[2:3], exec
	s_and_b64 s[22:23], s[24:25], exec
.LBB986_111:
	s_or_b64 exec, exec, s[20:21]
	s_and_b64 s[2:3], s[2:3], exec
	s_and_b64 s[20:21], s[22:23], exec
.LBB986_112:
	s_or_b64 exec, exec, s[18:19]
	s_and_b64 s[2:3], s[2:3], exec
	s_and_b64 s[18:19], s[20:21], exec
.LBB986_113:
	s_or_b64 exec, exec, s[16:17]
	s_and_b64 s[2:3], s[2:3], exec
	s_and_b64 s[16:17], s[18:19], exec
.LBB986_114:
	s_or_b64 exec, exec, s[14:15]
	s_and_b64 s[2:3], s[2:3], exec
	s_and_b64 s[14:15], s[16:17], exec
.LBB986_115:
	s_or_b64 exec, exec, s[12:13]
	s_and_b64 s[2:3], s[2:3], exec
	s_and_b64 s[12:13], s[14:15], exec
.LBB986_116:
	s_or_b64 exec, exec, s[10:11]
	s_and_b64 vcc, exec, s[8:9]
	v_lshlrev_b32_e32 v12, 1, v0
	s_cbranch_vccnz .LBB986_118
	s_branch .LBB986_126
.LBB986_117:
                                        ; implicit-def: $sgpr2_sgpr3
                                        ; implicit-def: $vgpr36
                                        ; implicit-def: $vgpr1
                                        ; implicit-def: $vgpr16
                                        ; implicit-def: $vgpr17
                                        ; implicit-def: $vgpr18
                                        ; implicit-def: $vgpr19
                                        ; implicit-def: $vgpr20
                                        ; implicit-def: $vgpr21
                                        ; implicit-def: $vgpr22
                                        ; implicit-def: $vgpr23
                                        ; implicit-def: $vgpr24
                                        ; implicit-def: $vgpr25
                                        ; implicit-def: $vgpr26
                                        ; implicit-def: $vgpr27
                                        ; implicit-def: $vgpr28
                                        ; implicit-def: $vgpr29
                                        ; implicit-def: $vgpr30
                                        ; implicit-def: $vgpr31
                                        ; implicit-def: $vgpr32
                                        ; implicit-def: $vgpr33
                                        ; implicit-def: $vgpr34
                                        ; implicit-def: $vgpr35
                                        ; implicit-def: $sgpr7
	s_and_b64 vcc, exec, s[8:9]
	v_lshlrev_b32_e32 v12, 1, v0
	s_cbranch_vccz .LBB986_126
.LBB986_118:
	v_mov_b32_e32 v1, s71
	v_add_co_u32_e32 v2, vcc, s70, v12
	v_addc_co_u32_e32 v3, vcc, 0, v1, vcc
	v_add_co_u32_e32 v4, vcc, 0x1000, v2
	v_addc_co_u32_e32 v5, vcc, 0, v3, vcc
	flat_load_ushort v6, v[2:3]
	flat_load_ushort v7, v[2:3] offset:512
	flat_load_ushort v8, v[2:3] offset:1024
	;; [unrolled: 1-line block ×7, first 2 shown]
	v_add_co_u32_e32 v2, vcc, 0x2000, v2
	v_addc_co_u32_e32 v3, vcc, 0, v3, vcc
	flat_load_ushort v15, v[4:5]
	flat_load_ushort v16, v[4:5] offset:512
	flat_load_ushort v17, v[4:5] offset:1024
	;; [unrolled: 1-line block ×7, first 2 shown]
	s_nop 0
	flat_load_ushort v4, v[2:3]
	flat_load_ushort v5, v[2:3] offset:512
	flat_load_ushort v23, v[2:3] offset:1024
	;; [unrolled: 1-line block ×5, first 2 shown]
	v_mad_u32_u24 v1, v0, 42, v12
	s_cmp_eq_u64 s[74:75], 0
	s_waitcnt vmcnt(0) lgkmcnt(0)
	ds_write_b16 v12, v6
	ds_write_b16 v12, v7 offset:512
	ds_write_b16 v12, v8 offset:1024
	;; [unrolled: 1-line block ×21, first 2 shown]
	s_waitcnt lgkmcnt(0)
	s_barrier
	ds_read2_b32 v[10:11], v1 offset1:1
	ds_read2_b32 v[8:9], v1 offset0:2 offset1:3
	ds_read2_b32 v[6:7], v1 offset0:4 offset1:5
	;; [unrolled: 1-line block ×4, first 2 shown]
	ds_read_b32 v13, v1 offset:40
	s_cbranch_scc1 .LBB986_123
; %bb.119:
	s_andn2_b64 vcc, exec, s[72:73]
	s_cbranch_vccnz .LBB986_288
; %bb.120:
	s_lshl_b64 s[2:3], s[74:75], 1
	s_add_u32 s2, s58, s2
	s_addc_u32 s3, s59, s3
	s_add_u32 s2, s2, -2
	s_addc_u32 s3, s3, -1
	s_cbranch_execnz .LBB986_122
.LBB986_121:
	s_add_u32 s2, s70, -2
	s_addc_u32 s3, s71, -1
.LBB986_122:
	s_mov_b64 s[70:71], s[2:3]
.LBB986_123:
	v_pk_mov_b32 v[14:15], s[70:71], s[70:71] op_sel:[0,1]
	flat_load_ushort v14, v[14:15]
	s_movk_i32 s2, 0xffd6
	s_waitcnt lgkmcnt(0)
	v_lshrrev_b32_e32 v15, 16, v13
	v_mad_i32_i24 v16, v0, s2, v1
	v_cmp_ne_u32_e32 vcc, 0, v0
	ds_write_b16 v16, v15 offset:11264
	s_waitcnt lgkmcnt(0)
	s_barrier
	s_and_saveexec_b64 s[2:3], vcc
	s_cbranch_execz .LBB986_125
; %bb.124:
	s_waitcnt vmcnt(0)
	v_mul_i32_i24_e32 v14, 0xffffffd6, v0
	v_add_u32_e32 v14, v1, v14
	ds_read_u16 v14, v14 offset:11262
.LBB986_125:
	s_or_b64 exec, exec, s[2:3]
	v_mov_b32_e32 v16, s69
	v_add_co_u32_e32 v18, vcc, s68, v12
	v_addc_co_u32_e32 v19, vcc, 0, v16, vcc
	s_movk_i32 s2, 0x1000
	v_add_co_u32_e32 v16, vcc, s2, v18
	v_addc_co_u32_e32 v17, vcc, 0, v19, vcc
	s_movk_i32 s2, 0x2000
	s_waitcnt lgkmcnt(0)
	s_barrier
	global_load_ushort v20, v12, s[68:69]
	global_load_ushort v21, v12, s[68:69] offset:512
	global_load_ushort v22, v12, s[68:69] offset:1024
	;; [unrolled: 1-line block ×7, first 2 shown]
	v_add_co_u32_e32 v18, vcc, s2, v18
	v_addc_co_u32_e32 v19, vcc, 0, v19, vcc
	global_load_ushort v28, v[18:19], off offset:-4096
	global_load_ushort v29, v[16:17], off offset:512
	global_load_ushort v30, v[16:17], off offset:1024
	global_load_ushort v31, v[16:17], off offset:1536
	global_load_ushort v32, v[16:17], off offset:2048
	global_load_ushort v33, v[16:17], off offset:2560
	global_load_ushort v34, v[16:17], off offset:3072
	global_load_ushort v35, v[16:17], off offset:3584
	global_load_ushort v36, v[18:19], off
	global_load_ushort v37, v[18:19], off offset:512
	global_load_ushort v38, v[18:19], off offset:1024
	;; [unrolled: 1-line block ×5, first 2 shown]
	v_cmp_ne_u16_e64 s[2:3], v13, v15
	s_waitcnt vmcnt(0)
	v_cmp_ne_u16_e32 vcc, v14, v10
	v_cndmask_b32_e64 v14, 0, 1, vcc
	v_cmp_ne_u16_sdwa s[8:9], v10, v10 src0_sel:DWORD src1_sel:WORD_1
	s_mov_b64 s[12:13], -1
                                        ; implicit-def: $sgpr7
	v_sub_u16_e32 v15, 0, v20
	v_sub_u16_e32 v16, 0, v21
	;; [unrolled: 1-line block ×8, first 2 shown]
	ds_write_b16 v12, v15
	ds_write_b16 v12, v16 offset:512
	ds_write_b16 v12, v17 offset:1024
	;; [unrolled: 1-line block ×7, first 2 shown]
	v_sub_u16_e32 v15, 0, v28
	v_sub_u16_e32 v18, 0, v31
	;; [unrolled: 1-line block ×14, first 2 shown]
	ds_write_b16 v12, v15 offset:4096
	ds_write_b16 v12, v16 offset:4608
	;; [unrolled: 1-line block ×14, first 2 shown]
	s_waitcnt lgkmcnt(0)
	s_barrier
	ds_read2_b32 v[34:35], v1 offset0:8 offset1:9
	ds_read_b32 v15, v1 offset:40
	ds_read2_b32 v[18:19], v1 offset1:1
	ds_read2_b32 v[22:23], v1 offset0:2 offset1:3
	ds_read2_b32 v[26:27], v1 offset0:4 offset1:5
	;; [unrolled: 1-line block ×3, first 2 shown]
	s_waitcnt lgkmcnt(4)
	v_lshrrev_b32_e32 v36, 16, v15
	s_waitcnt lgkmcnt(3)
	v_and_b32_e32 v1, 0xffff, v18
	v_lshl_or_b32 v1, v14, 16, v1
	v_cndmask_b32_e64 v14, 0, 1, s[8:9]
	v_cmp_ne_u16_sdwa s[8:9], v10, v11 src0_sel:WORD_1 src1_sel:DWORD
	v_alignbit_b32 v16, v14, v18, 16
	v_and_b32_e32 v14, 0xffff, v19
	v_cndmask_b32_e64 v10, 0, 1, s[8:9]
	v_cmp_ne_u16_sdwa s[8:9], v11, v11 src0_sel:DWORD src1_sel:WORD_1
	v_lshl_or_b32 v17, v10, 16, v14
	v_cndmask_b32_e64 v10, 0, 1, s[8:9]
	v_cmp_ne_u16_sdwa s[8:9], v11, v8 src0_sel:WORD_1 src1_sel:DWORD
	v_alignbit_b32 v18, v10, v19, 16
	s_waitcnt lgkmcnt(2)
	v_and_b32_e32 v10, 0xffff, v22
	v_cndmask_b32_e64 v11, 0, 1, s[8:9]
	v_cmp_ne_u16_sdwa s[8:9], v8, v8 src0_sel:DWORD src1_sel:WORD_1
	v_lshl_or_b32 v19, v11, 16, v10
	v_cndmask_b32_e64 v10, 0, 1, s[8:9]
	v_cmp_ne_u16_sdwa s[8:9], v8, v9 src0_sel:WORD_1 src1_sel:DWORD
	v_alignbit_b32 v20, v10, v22, 16
	v_and_b32_e32 v10, 0xffff, v23
	v_cndmask_b32_e64 v8, 0, 1, s[8:9]
	v_cmp_ne_u16_sdwa s[8:9], v9, v9 src0_sel:DWORD src1_sel:WORD_1
	v_lshl_or_b32 v21, v8, 16, v10
	v_cndmask_b32_e64 v8, 0, 1, s[8:9]
	v_cmp_ne_u16_sdwa s[8:9], v9, v6 src0_sel:WORD_1 src1_sel:DWORD
	v_alignbit_b32 v22, v8, v23, 16
	s_waitcnt lgkmcnt(1)
	v_and_b32_e32 v8, 0xffff, v26
	v_cndmask_b32_e64 v9, 0, 1, s[8:9]
	v_cmp_ne_u16_sdwa s[8:9], v6, v6 src0_sel:DWORD src1_sel:WORD_1
	;; [unrolled: 15-line block ×3, first 2 shown]
	v_lshl_or_b32 v27, v7, 16, v6
	v_cndmask_b32_e64 v6, 0, 1, s[8:9]
	v_cmp_ne_u16_sdwa s[8:9], v4, v5 src0_sel:WORD_1 src1_sel:DWORD
	v_alignbit_b32 v28, v6, v30, 16
	v_and_b32_e32 v6, 0xffff, v31
	v_cndmask_b32_e64 v4, 0, 1, s[8:9]
	v_cmp_ne_u16_sdwa s[8:9], v5, v5 src0_sel:DWORD src1_sel:WORD_1
	v_lshl_or_b32 v29, v4, 16, v6
	v_cndmask_b32_e64 v4, 0, 1, s[8:9]
	v_cmp_ne_u16_sdwa s[8:9], v5, v2 src0_sel:WORD_1 src1_sel:DWORD
	v_alignbit_b32 v30, v4, v31, 16
	v_and_b32_e32 v4, 0xffff, v34
	v_cndmask_b32_e64 v5, 0, 1, s[8:9]
	v_cmp_ne_u16_sdwa s[8:9], v2, v2 src0_sel:DWORD src1_sel:WORD_1
	;; [unrolled: 7-line block ×3, first 2 shown]
	v_lshl_or_b32 v33, v2, 16, v4
	v_cndmask_b32_e64 v2, 0, 1, s[8:9]
	v_cmp_ne_u16_sdwa s[8:9], v3, v13 src0_sel:WORD_1 src1_sel:DWORD
	v_alignbit_b32 v34, v2, v35, 16
	v_and_b32_e32 v2, 0xffff, v15
	v_cndmask_b32_e64 v3, 0, 1, s[8:9]
	v_lshl_or_b32 v35, v3, 16, v2
.LBB986_126:
	v_mov_b32_e32 v13, s7
	s_and_saveexec_b64 s[8:9], s[12:13]
	s_cbranch_execz .LBB986_128
; %bb.127:
	v_mov_b32_e32 v2, 0x10000
	v_cndmask_b32_e64 v2, 0, v2, s[2:3]
	s_waitcnt lgkmcnt(0)
	v_or_b32_sdwa v13, v2, v36 dst_sel:DWORD dst_unused:UNUSED_PAD src0_sel:DWORD src1_sel:WORD_0
.LBB986_128:
	s_or_b64 exec, exec, s[8:9]
	v_or3_b32 v2, v13, v35, v34
	s_cmp_lg_u32 s6, 0
	v_or3_b32 v15, v2, v33, v32
	v_lshrrev_b32_e32 v14, 5, v0
	v_cmp_gt_u32_e32 vcc, 64, v0
	s_waitcnt lgkmcnt(0)
	s_barrier
	s_cbranch_scc0 .LBB986_193
; %bb.129:
	s_mov_b32 s7, 0x10000
	v_cmp_gt_u32_e64 s[2:3], s7, v16
	v_cndmask_b32_e64 v2, 0, v1, s[2:3]
	v_add_u16_e32 v2, v2, v16
	v_cmp_gt_u32_e64 s[52:53], s7, v17
	v_cndmask_b32_e64 v2, 0, v2, s[52:53]
	v_add_u16_e32 v2, v2, v17
	;; [unrolled: 3-line block ×21, first 2 shown]
	v_or3_b32 v2, v15, v31, v30
	v_or3_b32 v2, v2, v29, v28
	;; [unrolled: 1-line block ×8, first 2 shown]
	v_and_b32_e32 v2, 0x10000, v2
	v_lshrrev_b32_e32 v36, 16, v1
	v_cmp_ne_u32_e64 s[48:49], 0, v2
	v_mov_b32_e32 v5, 0x10000
	v_cndmask_b32_e64 v38, v36, 1, s[48:49]
	v_add_lshl_u32 v2, v14, v0, 2
	ds_write_b16 v2, v37
	ds_write_b8 v2, v38 offset:2
	s_waitcnt lgkmcnt(0)
	s_barrier
	s_and_saveexec_b64 s[50:51], vcc
	s_cbranch_execz .LBB986_143
; %bb.130:
	v_lshlrev_b32_e32 v2, 2, v0
	v_lshrrev_b32_e32 v3, 3, v0
	v_add_lshl_u32 v2, v3, v2, 2
	ds_read_b32 v3, v2
	ds_read_u16 v4, v2 offset:4
	ds_read_u8 v6, v2 offset:6
	ds_read_u16 v7, v2 offset:8
	ds_read_u8 v8, v2 offset:10
	;; [unrolled: 2-line block ×3, first 2 shown]
	v_mov_b32_e32 v11, 0
	s_waitcnt lgkmcnt(0)
	v_cmp_eq_u16_sdwa s[48:49], v6, v11 src0_sel:BYTE_0 src1_sel:DWORD
	v_cndmask_b32_e64 v39, 0, v3, s[48:49]
	v_add_u16_e32 v39, v39, v4
	v_cmp_eq_u16_sdwa s[48:49], v8, v11 src0_sel:BYTE_0 src1_sel:DWORD
	v_or_b32_e32 v8, v10, v8
	v_cndmask_b32_e64 v11, 0, v39, s[48:49]
	v_or_b32_e32 v6, v8, v6
	v_add_u16_e32 v7, v11, v7
	v_cmp_eq_u16_e64 s[48:49], 0, v10
	v_and_b32_e32 v6, 1, v6
	v_and_b32_e32 v4, 0x10000, v3
	v_cndmask_b32_e64 v11, 0, v7, s[48:49]
	v_cmp_eq_u32_e64 s[48:49], 1, v6
	v_mbcnt_lo_u32_b32 v6, -1, 0
	v_add_u16_e32 v7, v11, v9
	v_cndmask_b32_e64 v39, v4, v5, s[48:49]
	v_add_u16_e32 v9, v11, v9
	v_and_b32_e32 v5, 0xff000000, v3
	v_mbcnt_hi_u32_b32 v6, -1, v6
	v_or_b32_e32 v10, v39, v5
	v_and_b32_e32 v11, 15, v6
	v_or3_b32 v9, v5, v9, v39
	s_movk_i32 s7, 0xff
	v_lshrrev_b32_e32 v8, 16, v10
	v_mov_b32_dpp v39, v9 row_shr:1 row_mask:0xf bank_mask:0xf
	v_cmp_ne_u32_e64 s[48:49], 0, v11
	s_and_saveexec_b64 s[58:59], s[48:49]
	s_cbranch_execz .LBB986_132
; %bb.131:
	v_and_b32_sdwa v8, v10, s7 dst_sel:DWORD dst_unused:UNUSED_PAD src0_sel:WORD_1 src1_sel:DWORD
	v_cmp_eq_u16_e64 s[48:49], 0, v8
	v_and_b32_e32 v8, 0x10000, v10
	v_mov_b32_e32 v10, 1
	v_cndmask_b32_e64 v9, 0, v39, s[48:49]
	v_and_b32_sdwa v10, v39, v10 dst_sel:DWORD dst_unused:UNUSED_PAD src0_sel:WORD_1 src1_sel:DWORD
	v_cmp_ne_u32_e64 s[48:49], 0, v8
	v_cndmask_b32_e64 v8, v10, 1, s[48:49]
	v_add_u16_e32 v40, v9, v7
	v_lshlrev_b32_e32 v10, 16, v8
	v_add_u16_e32 v7, v9, v7
	v_or3_b32 v9, v10, v7, v5
	v_mov_b32_e32 v7, v40
.LBB986_132:
	s_or_b64 exec, exec, s[58:59]
	v_lshrrev_b32_e32 v10, 16, v9
	v_mov_b32_dpp v39, v9 row_shr:2 row_mask:0xf bank_mask:0xf
	v_cmp_lt_u32_e64 s[48:49], 1, v11
	s_and_saveexec_b64 s[58:59], s[48:49]
	s_cbranch_execz .LBB986_134
; %bb.133:
	v_mov_b32_e32 v8, 0
	v_cmp_eq_u16_sdwa s[48:49], v10, v8 src0_sel:BYTE_0 src1_sel:DWORD
	v_and_b32_e32 v8, 0x10000, v9
	v_mov_b32_e32 v9, 1
	v_cndmask_b32_e64 v10, 0, v39, s[48:49]
	v_and_b32_sdwa v9, v39, v9 dst_sel:DWORD dst_unused:UNUSED_PAD src0_sel:WORD_1 src1_sel:DWORD
	v_cmp_ne_u32_e64 s[48:49], 0, v8
	v_cndmask_b32_e64 v8, v9, 1, s[48:49]
	v_add_u16_e32 v40, v10, v7
	v_lshlrev_b32_e32 v9, 16, v8
	v_add_u16_e32 v7, v10, v7
	v_or3_b32 v9, v9, v7, v5
	v_mov_b32_e32 v10, v8
	v_mov_b32_e32 v7, v40
.LBB986_134:
	s_or_b64 exec, exec, s[58:59]
	v_mov_b32_dpp v39, v9 row_shr:4 row_mask:0xf bank_mask:0xf
	v_cmp_lt_u32_e64 s[48:49], 3, v11
	s_and_saveexec_b64 s[58:59], s[48:49]
	s_cbranch_execz .LBB986_136
; %bb.135:
	v_mov_b32_e32 v8, 0
	v_cmp_eq_u16_sdwa s[48:49], v10, v8 src0_sel:BYTE_0 src1_sel:DWORD
	v_and_b32_e32 v8, 1, v10
	v_mov_b32_e32 v10, 1
	v_cndmask_b32_e64 v9, 0, v39, s[48:49]
	v_and_b32_sdwa v10, v39, v10 dst_sel:DWORD dst_unused:UNUSED_PAD src0_sel:WORD_1 src1_sel:DWORD
	v_cmp_eq_u32_e64 s[48:49], 1, v8
	v_cndmask_b32_e64 v8, v10, 1, s[48:49]
	v_add_u16_e32 v40, v9, v7
	v_lshlrev_b32_e32 v10, 16, v8
	v_add_u16_e32 v7, v9, v7
	v_or3_b32 v9, v10, v7, v5
	v_mov_b32_e32 v10, v8
	v_mov_b32_e32 v7, v40
.LBB986_136:
	s_or_b64 exec, exec, s[58:59]
	v_mov_b32_dpp v39, v9 row_shr:8 row_mask:0xf bank_mask:0xf
	v_cmp_lt_u32_e64 s[48:49], 7, v11
	s_and_saveexec_b64 s[58:59], s[48:49]
	s_cbranch_execz .LBB986_138
; %bb.137:
	v_mov_b32_e32 v8, 0
	v_cmp_eq_u16_sdwa s[48:49], v10, v8 src0_sel:BYTE_0 src1_sel:DWORD
	v_and_b32_e32 v8, 1, v10
	v_mov_b32_e32 v10, 1
	v_cndmask_b32_e64 v9, 0, v39, s[48:49]
	v_and_b32_sdwa v10, v39, v10 dst_sel:DWORD dst_unused:UNUSED_PAD src0_sel:WORD_1 src1_sel:DWORD
	v_cmp_eq_u32_e64 s[48:49], 1, v8
	v_cndmask_b32_e64 v8, v10, 1, s[48:49]
	v_add_u16_e32 v11, v9, v7
	v_lshlrev_b32_e32 v10, 16, v8
	v_add_u16_e32 v7, v9, v7
	v_or3_b32 v9, v10, v7, v5
	v_mov_b32_e32 v10, v8
	v_mov_b32_e32 v7, v11
.LBB986_138:
	s_or_b64 exec, exec, s[58:59]
	v_and_b32_e32 v39, 16, v6
	v_mov_b32_dpp v11, v9 row_bcast:15 row_mask:0xf bank_mask:0xf
	v_cmp_ne_u32_e64 s[48:49], 0, v39
	s_and_saveexec_b64 s[58:59], s[48:49]
	s_cbranch_execz .LBB986_140
; %bb.139:
	v_mov_b32_e32 v8, 0
	v_cmp_eq_u16_sdwa s[48:49], v10, v8 src0_sel:BYTE_0 src1_sel:DWORD
	v_and_b32_e32 v8, 1, v10
	v_mov_b32_e32 v10, 1
	v_cndmask_b32_e64 v9, 0, v11, s[48:49]
	v_and_b32_sdwa v10, v11, v10 dst_sel:DWORD dst_unused:UNUSED_PAD src0_sel:WORD_1 src1_sel:DWORD
	v_cmp_eq_u32_e64 s[48:49], 1, v8
	v_cndmask_b32_e64 v8, v10, 1, s[48:49]
	v_add_u16_e32 v39, v9, v7
	v_lshlrev_b32_e32 v10, 16, v8
	v_add_u16_e32 v7, v9, v7
	v_or3_b32 v9, v10, v7, v5
	v_mov_b32_e32 v10, v8
	v_mov_b32_e32 v7, v39
.LBB986_140:
	s_or_b64 exec, exec, s[58:59]
	v_mov_b32_dpp v9, v9 row_bcast:31 row_mask:0xf bank_mask:0xf
	v_cmp_lt_u32_e64 s[48:49], 31, v6
	s_and_saveexec_b64 s[58:59], s[48:49]
; %bb.141:
	v_mov_b32_e32 v8, 0
	v_cmp_eq_u16_sdwa s[48:49], v10, v8 src0_sel:BYTE_0 src1_sel:DWORD
	v_cndmask_b32_e64 v8, 0, v9, s[48:49]
	v_add_u16_e32 v7, v8, v7
	v_and_b32_e32 v8, 1, v10
	v_mov_b32_e32 v10, 1
	v_and_b32_sdwa v9, v9, v10 dst_sel:DWORD dst_unused:UNUSED_PAD src0_sel:WORD_1 src1_sel:DWORD
	v_cmp_eq_u32_e64 s[48:49], 1, v8
	v_cndmask_b32_e64 v8, v9, 1, s[48:49]
; %bb.142:
	s_or_b64 exec, exec, s[58:59]
	v_and_b32_e32 v8, 0xff, v8
	v_lshlrev_b32_e32 v8, 16, v8
	v_and_b32_e32 v7, 0xffff, v7
	v_or3_b32 v5, v8, v7, v5
	v_add_u32_e32 v7, -1, v6
	v_and_b32_e32 v8, 64, v6
	v_cmp_lt_i32_e64 s[48:49], v7, v8
	v_cndmask_b32_e64 v6, v7, v6, s[48:49]
	v_lshlrev_b32_e32 v6, 2, v6
	ds_bpermute_b32 v5, v6, v5
	v_and_b32_e32 v6, 0xff0000, v3
	v_cmp_eq_u32_e64 s[48:49], 0, v6
	; wave barrier
	s_waitcnt lgkmcnt(0)
	v_cndmask_b32_e64 v6, 0, v5, s[48:49]
	v_add_u16_e32 v3, v6, v3
	v_mov_b32_e32 v6, 1
	v_and_b32_sdwa v5, v5, v6 dst_sel:DWORD dst_unused:UNUSED_PAD src0_sel:WORD_1 src1_sel:DWORD
	v_cmp_eq_u32_e64 s[48:49], 0, v4
	v_cndmask_b32_e64 v4, 1, v5, s[48:49]
	v_cmp_eq_u32_e64 s[48:49], 0, v0
	v_cndmask_b32_e64 v3, v3, v37, s[48:49]
	v_cndmask_b32_e64 v4, v4, v38, s[48:49]
	ds_write_b16 v2, v3
	ds_write_b8 v2, v4 offset:2
	; wave barrier
	ds_read_u16 v5, v2 offset:4
	ds_read_u8 v6, v2 offset:6
	ds_read_u16 v7, v2 offset:8
	ds_read_u8 v8, v2 offset:10
	;; [unrolled: 2-line block ×3, first 2 shown]
	s_waitcnt lgkmcnt(0)
	v_cmp_eq_u16_e64 s[48:49], 0, v6
	v_cndmask_b32_e64 v3, 0, v3, s[48:49]
	v_add_u16_e32 v3, v3, v5
	v_and_b32_e32 v5, 1, v6
	v_cmp_eq_u32_e64 s[48:49], 1, v5
	v_cndmask_b32_e64 v4, v4, 1, s[48:49]
	v_cmp_eq_u16_e64 s[48:49], 0, v8
	v_and_b32_e32 v5, 1, v8
	ds_write_b16 v2, v3 offset:4
	ds_write_b8 v2, v4 offset:6
	v_cndmask_b32_e64 v3, 0, v3, s[48:49]
	v_cmp_eq_u32_e64 s[48:49], 1, v5
	v_add_u16_e32 v3, v3, v7
	v_cndmask_b32_e64 v4, v4, 1, s[48:49]
	v_cmp_eq_u16_e64 s[48:49], 0, v10
	ds_write_b16 v2, v3 offset:8
	ds_write_b8 v2, v4 offset:10
	v_cndmask_b32_e64 v3, 0, v3, s[48:49]
	v_and_b32_e32 v5, 1, v10
	v_add_u16_e32 v3, v3, v9
	v_cmp_eq_u32_e64 s[48:49], 1, v5
	v_cndmask_b32_e64 v4, v4, 1, s[48:49]
	ds_write_b16 v2, v3 offset:12
	ds_write_b8 v2, v4 offset:14
.LBB986_143:
	s_or_b64 exec, exec, s[50:51]
	v_cmp_eq_u32_e64 s[48:49], 0, v0
	v_cmp_ne_u32_e64 s[50:51], 0, v0
	s_waitcnt lgkmcnt(0)
	s_barrier
	s_and_saveexec_b64 s[58:59], s[50:51]
	s_cbranch_execz .LBB986_145
; %bb.144:
	v_add_u32_e32 v2, -1, v0
	v_lshrrev_b32_e32 v3, 5, v2
	v_add_lshl_u32 v2, v3, v2, 2
	ds_read_u16 v37, v2
	ds_read_u8 v38, v2 offset:2
.LBB986_145:
	s_or_b64 exec, exec, s[58:59]
	s_and_saveexec_b64 s[58:59], vcc
	s_cbranch_execz .LBB986_192
; %bb.146:
	v_mov_b32_e32 v11, 0
	ds_read_b32 v2, v11 offset:1048
	v_mbcnt_lo_u32_b32 v3, -1, 0
	v_mbcnt_hi_u32_b32 v5, -1, v3
	s_mov_b32 s71, 0
	v_cmp_eq_u32_e64 s[50:51], 0, v5
	s_and_saveexec_b64 s[68:69], s[50:51]
	s_cbranch_execz .LBB986_148
; %bb.147:
	s_add_i32 s70, s6, 64
	s_lshl_b64 s[70:71], s[70:71], 3
	s_add_u32 s70, s60, s70
	v_mov_b32_e32 v3, 1
	s_addc_u32 s71, s61, s71
	s_waitcnt lgkmcnt(0)
	global_store_dwordx2 v11, v[2:3], s[70:71]
.LBB986_148:
	s_or_b64 exec, exec, s[68:69]
	v_xad_u32 v4, v5, -1, s6
	v_add_u32_e32 v10, 64, v4
	v_lshlrev_b64 v[6:7], 3, v[10:11]
	v_mov_b32_e32 v3, s61
	v_add_co_u32_e32 v6, vcc, s60, v6
	v_addc_co_u32_e32 v7, vcc, v3, v7, vcc
	global_load_dwordx2 v[8:9], v[6:7], off glc
	s_waitcnt vmcnt(0)
	v_cmp_eq_u16_sdwa s[70:71], v9, v11 src0_sel:BYTE_0 src1_sel:DWORD
	s_and_saveexec_b64 s[68:69], s[70:71]
	s_cbranch_execz .LBB986_154
; %bb.149:
	s_mov_b32 s7, 1
	s_mov_b64 s[70:71], 0
	v_mov_b32_e32 v3, 0
.LBB986_150:                            ; =>This Loop Header: Depth=1
                                        ;     Child Loop BB986_151 Depth 2
	s_max_u32 s63, s7, 1
.LBB986_151:                            ;   Parent Loop BB986_150 Depth=1
                                        ; =>  This Inner Loop Header: Depth=2
	s_add_i32 s63, s63, -1
	s_cmp_eq_u32 s63, 0
	s_sleep 1
	s_cbranch_scc0 .LBB986_151
; %bb.152:                              ;   in Loop: Header=BB986_150 Depth=1
	global_load_dwordx2 v[8:9], v[6:7], off glc
	s_cmp_lt_u32 s7, 32
	s_cselect_b64 s[72:73], -1, 0
	s_cmp_lg_u64 s[72:73], 0
	s_addc_u32 s7, s7, 0
	s_waitcnt vmcnt(0)
	v_cmp_ne_u16_sdwa s[72:73], v9, v3 src0_sel:BYTE_0 src1_sel:DWORD
	s_or_b64 s[70:71], s[72:73], s[70:71]
	s_andn2_b64 exec, exec, s[70:71]
	s_cbranch_execnz .LBB986_150
; %bb.153:
	s_or_b64 exec, exec, s[70:71]
.LBB986_154:
	s_or_b64 exec, exec, s[68:69]
	v_mov_b32_e32 v3, 2
	v_cmp_eq_u16_sdwa s[68:69], v9, v3 src0_sel:BYTE_0 src1_sel:DWORD
	v_lshlrev_b64 v[6:7], v5, -1
	v_and_b32_e32 v3, s69, v7
	v_or_b32_e32 v3, 0x80000000, v3
	v_ffbl_b32_e32 v3, v3
	v_add_u32_e32 v11, 32, v3
	v_and_b32_e32 v3, 63, v5
	v_cmp_ne_u32_e32 vcc, 63, v3
	v_addc_co_u32_e32 v39, vcc, 0, v5, vcc
	v_and_b32_e32 v50, 0xffffff, v8
	v_lshlrev_b32_e32 v39, 2, v39
	ds_bpermute_b32 v40, v39, v50
	v_and_b32_e32 v10, s68, v6
	v_ffbl_b32_e32 v10, v10
	v_min_u32_e32 v11, v10, v11
	v_lshrrev_b32_e32 v10, 16, v8
	v_cmp_lt_u32_e32 vcc, v3, v11
	v_bfe_u32 v48, v8, 16, 8
	s_and_saveexec_b64 s[68:69], vcc
	s_cbranch_execz .LBB986_156
; %bb.155:
	v_and_b32_e32 v10, 0xff0000, v8
	v_cmp_eq_u32_e32 vcc, 0, v10
	v_and_b32_e32 v10, 0x10000, v10
	v_mov_b32_e32 v43, 1
	s_waitcnt lgkmcnt(0)
	v_cndmask_b32_e32 v41, 0, v40, vcc
	v_and_b32_sdwa v40, v40, v43 dst_sel:DWORD dst_unused:UNUSED_PAD src0_sel:WORD_1 src1_sel:DWORD
	v_cmp_ne_u32_e32 vcc, 0, v10
	v_cndmask_b32_e64 v10, v40, 1, vcc
	v_add_u16_e32 v42, v41, v8
	v_lshlrev_b32_e32 v40, 16, v10
	v_add_u16_e32 v8, v41, v8
	v_or_b32_e32 v50, v40, v8
	v_mov_b32_e32 v8, v42
	v_mov_b32_e32 v48, v10
.LBB986_156:
	s_or_b64 exec, exec, s[68:69]
	v_cmp_gt_u32_e32 vcc, 62, v3
	s_waitcnt lgkmcnt(0)
	v_cndmask_b32_e64 v40, 0, 1, vcc
	v_lshlrev_b32_e32 v40, 1, v40
	v_add_lshl_u32 v40, v40, v5, 2
	ds_bpermute_b32 v42, v40, v50
	v_add_u32_e32 v41, 2, v3
	v_cmp_le_u32_e32 vcc, v41, v11
	s_and_saveexec_b64 s[68:69], vcc
	s_cbranch_execz .LBB986_158
; %bb.157:
	v_cmp_eq_u16_e32 vcc, 0, v48
	v_and_b32_e32 v10, 1, v48
	v_mov_b32_e32 v45, 1
	s_waitcnt lgkmcnt(0)
	v_cndmask_b32_e32 v43, 0, v42, vcc
	v_and_b32_sdwa v42, v42, v45 dst_sel:DWORD dst_unused:UNUSED_PAD src0_sel:WORD_1 src1_sel:DWORD
	v_cmp_eq_u32_e32 vcc, 1, v10
	v_cndmask_b32_e64 v10, v42, 1, vcc
	v_add_u16_e32 v44, v43, v8
	v_lshlrev_b32_e32 v42, 16, v10
	v_add_u16_e32 v8, v43, v8
	v_or_b32_e32 v50, v42, v8
	v_mov_b32_e32 v8, v44
	v_mov_b32_e32 v48, v10
.LBB986_158:
	s_or_b64 exec, exec, s[68:69]
	v_cmp_gt_u32_e32 vcc, 60, v3
	s_waitcnt lgkmcnt(0)
	v_cndmask_b32_e64 v42, 0, 1, vcc
	v_lshlrev_b32_e32 v42, 2, v42
	v_add_lshl_u32 v42, v42, v5, 2
	ds_bpermute_b32 v44, v42, v50
	v_add_u32_e32 v43, 4, v3
	v_cmp_le_u32_e32 vcc, v43, v11
	s_and_saveexec_b64 s[68:69], vcc
	s_cbranch_execz .LBB986_160
; %bb.159:
	v_cmp_eq_u16_e32 vcc, 0, v48
	v_and_b32_e32 v10, 1, v48
	v_mov_b32_e32 v47, 1
	s_waitcnt lgkmcnt(0)
	v_cndmask_b32_e32 v45, 0, v44, vcc
	v_and_b32_sdwa v44, v44, v47 dst_sel:DWORD dst_unused:UNUSED_PAD src0_sel:WORD_1 src1_sel:DWORD
	v_cmp_eq_u32_e32 vcc, 1, v10
	v_cndmask_b32_e64 v10, v44, 1, vcc
	v_add_u16_e32 v46, v45, v8
	v_lshlrev_b32_e32 v44, 16, v10
	v_add_u16_e32 v8, v45, v8
	v_or_b32_e32 v50, v44, v8
	v_mov_b32_e32 v8, v46
	v_mov_b32_e32 v48, v10
.LBB986_160:
	s_or_b64 exec, exec, s[68:69]
	v_cmp_gt_u32_e32 vcc, 56, v3
	s_waitcnt lgkmcnt(0)
	v_cndmask_b32_e64 v44, 0, 1, vcc
	v_lshlrev_b32_e32 v44, 3, v44
	v_add_lshl_u32 v44, v44, v5, 2
	ds_bpermute_b32 v46, v44, v50
	v_add_u32_e32 v45, 8, v3
	v_cmp_le_u32_e32 vcc, v45, v11
	s_and_saveexec_b64 s[68:69], vcc
	s_cbranch_execz .LBB986_162
; %bb.161:
	v_cmp_eq_u16_e32 vcc, 0, v48
	v_and_b32_e32 v10, 1, v48
	v_mov_b32_e32 v48, 1
	s_waitcnt lgkmcnt(0)
	v_cndmask_b32_e32 v47, 0, v46, vcc
	v_and_b32_sdwa v46, v46, v48 dst_sel:DWORD dst_unused:UNUSED_PAD src0_sel:WORD_1 src1_sel:DWORD
	v_cmp_eq_u32_e32 vcc, 1, v10
	v_cndmask_b32_e64 v10, v46, 1, vcc
	v_add_u16_e32 v49, v47, v8
	v_lshlrev_b32_e32 v46, 16, v10
	v_add_u16_e32 v8, v47, v8
	v_or_b32_e32 v50, v46, v8
	v_mov_b32_e32 v8, v49
	v_mov_b32_e32 v48, v10
.LBB986_162:
	s_or_b64 exec, exec, s[68:69]
	v_cmp_gt_u32_e32 vcc, 48, v3
	s_waitcnt lgkmcnt(0)
	v_cndmask_b32_e64 v46, 0, 1, vcc
	v_lshlrev_b32_e32 v46, 4, v46
	v_add_lshl_u32 v46, v46, v5, 2
	ds_bpermute_b32 v49, v46, v50
	v_add_u32_e32 v47, 16, v3
	v_cmp_le_u32_e32 vcc, v47, v11
	s_and_saveexec_b64 s[68:69], vcc
	s_cbranch_execz .LBB986_164
; %bb.163:
	v_cmp_eq_u16_e32 vcc, 0, v48
	v_and_b32_e32 v10, 1, v48
	v_mov_b32_e32 v48, 1
	s_waitcnt lgkmcnt(0)
	v_cndmask_b32_e32 v50, 0, v49, vcc
	v_and_b32_sdwa v48, v49, v48 dst_sel:DWORD dst_unused:UNUSED_PAD src0_sel:WORD_1 src1_sel:DWORD
	v_cmp_eq_u32_e32 vcc, 1, v10
	v_cndmask_b32_e64 v10, v48, 1, vcc
	v_add_u16_e32 v51, v50, v8
	v_lshlrev_b32_e32 v48, 16, v10
	v_add_u16_e32 v8, v50, v8
	v_or_b32_e32 v50, v48, v8
	v_mov_b32_e32 v8, v51
	v_mov_b32_e32 v48, v10
.LBB986_164:
	s_or_b64 exec, exec, s[68:69]
	v_cmp_gt_u32_e32 vcc, 32, v3
	s_waitcnt lgkmcnt(0)
	v_cndmask_b32_e64 v49, 0, 1, vcc
	v_lshlrev_b32_e32 v49, 5, v49
	v_add_lshl_u32 v49, v49, v5, 2
	ds_bpermute_b32 v5, v49, v50
	v_add_u32_e32 v50, 32, v3
	v_cmp_le_u32_e32 vcc, v50, v11
	s_and_saveexec_b64 s[68:69], vcc
	s_cbranch_execz .LBB986_166
; %bb.165:
	v_cmp_eq_u16_e32 vcc, 0, v48
	s_waitcnt lgkmcnt(0)
	v_cndmask_b32_e32 v10, 0, v5, vcc
	v_add_u16_e32 v8, v10, v8
	v_and_b32_e32 v10, 1, v48
	v_mov_b32_e32 v11, 1
	v_and_b32_sdwa v5, v5, v11 dst_sel:DWORD dst_unused:UNUSED_PAD src0_sel:WORD_1 src1_sel:DWORD
	v_cmp_eq_u32_e32 vcc, 1, v10
	v_cndmask_b32_e64 v10, v5, 1, vcc
.LBB986_166:
	s_or_b64 exec, exec, s[68:69]
	s_waitcnt lgkmcnt(0)
	v_mov_b32_e32 v5, 0
	v_mov_b32_e32 v52, 2
	;; [unrolled: 1-line block ×3, first 2 shown]
	s_branch .LBB986_168
.LBB986_167:                            ;   in Loop: Header=BB986_168 Depth=1
	s_or_b64 exec, exec, s[68:69]
	v_cmp_eq_u16_sdwa vcc, v48, v5 src0_sel:BYTE_0 src1_sel:DWORD
	v_and_b32_e32 v10, 1, v48
	v_cndmask_b32_e32 v8, 0, v8, vcc
	v_and_b32_e32 v11, 1, v11
	v_cmp_eq_u32_e32 vcc, 1, v10
	v_subrev_u32_e32 v4, 64, v4
	v_add_u16_e32 v8, v8, v51
	v_cndmask_b32_e64 v10, v11, 1, vcc
.LBB986_168:                            ; =>This Loop Header: Depth=1
                                        ;     Child Loop BB986_171 Depth 2
                                        ;       Child Loop BB986_172 Depth 3
	v_cmp_ne_u16_sdwa s[68:69], v9, v52 src0_sel:BYTE_0 src1_sel:DWORD
	v_cndmask_b32_e64 v9, 0, 1, s[68:69]
	;;#ASMSTART
	;;#ASMEND
	v_cmp_ne_u32_e32 vcc, 0, v9
	v_mov_b32_e32 v48, v10
	s_cmp_lg_u64 vcc, exec
	v_mov_b32_e32 v51, v8
	s_cbranch_scc1 .LBB986_187
; %bb.169:                              ;   in Loop: Header=BB986_168 Depth=1
	v_lshlrev_b64 v[8:9], 3, v[4:5]
	v_mov_b32_e32 v11, s61
	v_add_co_u32_e32 v10, vcc, s60, v8
	v_addc_co_u32_e32 v11, vcc, v11, v9, vcc
	global_load_dwordx2 v[8:9], v[10:11], off glc
	s_waitcnt vmcnt(0)
	v_cmp_eq_u16_sdwa s[70:71], v9, v5 src0_sel:BYTE_0 src1_sel:DWORD
	s_and_saveexec_b64 s[68:69], s[70:71]
	s_cbranch_execz .LBB986_175
; %bb.170:                              ;   in Loop: Header=BB986_168 Depth=1
	s_mov_b32 s7, 1
	s_mov_b64 s[70:71], 0
.LBB986_171:                            ;   Parent Loop BB986_168 Depth=1
                                        ; =>  This Loop Header: Depth=2
                                        ;       Child Loop BB986_172 Depth 3
	s_max_u32 s63, s7, 1
.LBB986_172:                            ;   Parent Loop BB986_168 Depth=1
                                        ;     Parent Loop BB986_171 Depth=2
                                        ; =>    This Inner Loop Header: Depth=3
	s_add_i32 s63, s63, -1
	s_cmp_eq_u32 s63, 0
	s_sleep 1
	s_cbranch_scc0 .LBB986_172
; %bb.173:                              ;   in Loop: Header=BB986_171 Depth=2
	global_load_dwordx2 v[8:9], v[10:11], off glc
	s_cmp_lt_u32 s7, 32
	s_cselect_b64 s[72:73], -1, 0
	s_cmp_lg_u64 s[72:73], 0
	s_addc_u32 s7, s7, 0
	s_waitcnt vmcnt(0)
	v_cmp_ne_u16_sdwa s[72:73], v9, v5 src0_sel:BYTE_0 src1_sel:DWORD
	s_or_b64 s[70:71], s[72:73], s[70:71]
	s_andn2_b64 exec, exec, s[70:71]
	s_cbranch_execnz .LBB986_171
; %bb.174:                              ;   in Loop: Header=BB986_168 Depth=1
	s_or_b64 exec, exec, s[70:71]
.LBB986_175:                            ;   in Loop: Header=BB986_168 Depth=1
	s_or_b64 exec, exec, s[68:69]
	v_cmp_eq_u16_sdwa s[68:69], v9, v52 src0_sel:BYTE_0 src1_sel:DWORD
	v_and_b32_e32 v10, s69, v7
	s_waitcnt lgkmcnt(0)
	v_and_b32_e32 v55, 0xffffff, v8
	v_or_b32_e32 v10, 0x80000000, v10
	ds_bpermute_b32 v56, v39, v55
	v_and_b32_e32 v11, s68, v6
	v_ffbl_b32_e32 v10, v10
	v_add_u32_e32 v10, 32, v10
	v_ffbl_b32_e32 v11, v11
	v_min_u32_e32 v10, v11, v10
	v_lshrrev_b32_e32 v11, 16, v8
	v_cmp_lt_u32_e32 vcc, v3, v10
	v_bfe_u32 v54, v8, 16, 8
	s_and_saveexec_b64 s[68:69], vcc
	s_cbranch_execz .LBB986_177
; %bb.176:                              ;   in Loop: Header=BB986_168 Depth=1
	v_and_b32_e32 v11, 0xff0000, v8
	v_cmp_eq_u32_e32 vcc, 0, v11
	v_and_b32_e32 v11, 0x10000, v11
	s_waitcnt lgkmcnt(0)
	v_cndmask_b32_e32 v54, 0, v56, vcc
	v_and_b32_sdwa v55, v56, v53 dst_sel:DWORD dst_unused:UNUSED_PAD src0_sel:WORD_1 src1_sel:DWORD
	v_cmp_ne_u32_e32 vcc, 0, v11
	v_cndmask_b32_e64 v11, v55, 1, vcc
	v_add_u16_e32 v57, v54, v8
	v_lshlrev_b32_e32 v55, 16, v11
	v_add_u16_e32 v8, v54, v8
	v_or_b32_e32 v55, v55, v8
	v_mov_b32_e32 v8, v57
	v_mov_b32_e32 v54, v11
.LBB986_177:                            ;   in Loop: Header=BB986_168 Depth=1
	s_or_b64 exec, exec, s[68:69]
	s_waitcnt lgkmcnt(0)
	ds_bpermute_b32 v56, v40, v55
	v_cmp_le_u32_e32 vcc, v41, v10
	s_and_saveexec_b64 s[68:69], vcc
	s_cbranch_execz .LBB986_179
; %bb.178:                              ;   in Loop: Header=BB986_168 Depth=1
	v_cmp_eq_u16_e32 vcc, 0, v54
	v_and_b32_e32 v11, 1, v54
	s_waitcnt lgkmcnt(0)
	v_cndmask_b32_e32 v55, 0, v56, vcc
	v_and_b32_sdwa v54, v56, v53 dst_sel:DWORD dst_unused:UNUSED_PAD src0_sel:WORD_1 src1_sel:DWORD
	v_cmp_eq_u32_e32 vcc, 1, v11
	v_cndmask_b32_e64 v11, v54, 1, vcc
	v_add_u16_e32 v57, v55, v8
	v_lshlrev_b32_e32 v54, 16, v11
	v_add_u16_e32 v8, v55, v8
	v_or_b32_e32 v55, v54, v8
	v_mov_b32_e32 v8, v57
	v_mov_b32_e32 v54, v11
.LBB986_179:                            ;   in Loop: Header=BB986_168 Depth=1
	s_or_b64 exec, exec, s[68:69]
	s_waitcnt lgkmcnt(0)
	ds_bpermute_b32 v56, v42, v55
	v_cmp_le_u32_e32 vcc, v43, v10
	s_and_saveexec_b64 s[68:69], vcc
	s_cbranch_execz .LBB986_181
; %bb.180:                              ;   in Loop: Header=BB986_168 Depth=1
	v_cmp_eq_u16_e32 vcc, 0, v54
	v_and_b32_e32 v11, 1, v54
	s_waitcnt lgkmcnt(0)
	v_cndmask_b32_e32 v55, 0, v56, vcc
	v_and_b32_sdwa v54, v56, v53 dst_sel:DWORD dst_unused:UNUSED_PAD src0_sel:WORD_1 src1_sel:DWORD
	v_cmp_eq_u32_e32 vcc, 1, v11
	v_cndmask_b32_e64 v11, v54, 1, vcc
	v_add_u16_e32 v57, v55, v8
	v_lshlrev_b32_e32 v54, 16, v11
	v_add_u16_e32 v8, v55, v8
	v_or_b32_e32 v55, v54, v8
	v_mov_b32_e32 v8, v57
	v_mov_b32_e32 v54, v11
.LBB986_181:                            ;   in Loop: Header=BB986_168 Depth=1
	;; [unrolled: 21-line block ×4, first 2 shown]
	s_or_b64 exec, exec, s[68:69]
	ds_bpermute_b32 v55, v49, v55
	v_cmp_le_u32_e32 vcc, v50, v10
	s_and_saveexec_b64 s[68:69], vcc
	s_cbranch_execz .LBB986_167
; %bb.186:                              ;   in Loop: Header=BB986_168 Depth=1
	v_cmp_eq_u16_e32 vcc, 0, v54
	s_waitcnt lgkmcnt(0)
	v_cndmask_b32_e32 v10, 0, v55, vcc
	v_add_u16_e32 v8, v10, v8
	v_and_b32_e32 v10, 1, v54
	v_lshrrev_b32_e32 v11, 16, v55
	v_cmp_eq_u32_e32 vcc, 1, v10
	v_cndmask_b32_e64 v11, v11, 1, vcc
	s_branch .LBB986_167
.LBB986_187:                            ;   in Loop: Header=BB986_168 Depth=1
                                        ; implicit-def: $vgpr10
                                        ; implicit-def: $vgpr8
	s_cbranch_execz .LBB986_168
; %bb.188:
	s_and_saveexec_b64 s[68:69], s[50:51]
	s_cbranch_execz .LBB986_190
; %bb.189:
	v_and_b32_e32 v3, 0xff0000, v2
	s_mov_b32 s7, 0
	v_cmp_eq_u32_e32 vcc, 0, v3
	v_and_b32_e32 v4, 0x10000, v2
	v_mov_b32_e32 v5, 1
	s_add_i32 s6, s6, 64
	v_cndmask_b32_e32 v3, 0, v51, vcc
	v_and_b32_sdwa v5, v48, v5 dst_sel:WORD_1 dst_unused:UNUSED_PAD src0_sel:DWORD src1_sel:DWORD
	v_mov_b32_e32 v6, 0x10000
	v_cmp_eq_u32_e32 vcc, 0, v4
	s_lshl_b64 s[6:7], s[6:7], 3
	v_cndmask_b32_e32 v4, v6, v5, vcc
	s_add_u32 s6, s60, s6
	v_add_u16_e32 v2, v3, v2
	s_addc_u32 s7, s61, s7
	v_mov_b32_e32 v5, 0
	v_or_b32_e32 v2, v4, v2
	v_mov_b32_e32 v3, 2
	global_store_dwordx2 v5, v[2:3], s[6:7]
.LBB986_190:
	s_or_b64 exec, exec, s[68:69]
	s_and_b64 exec, exec, s[48:49]
	s_cbranch_execz .LBB986_192
; %bb.191:
	v_mov_b32_e32 v2, 0
	ds_write_b16 v2, v51
	ds_write_b8 v2, v48 offset:2
.LBB986_192:
	s_or_b64 exec, exec, s[58:59]
	v_mov_b32_e32 v2, 0
	s_mov_b32 s6, 0x10000
	s_waitcnt lgkmcnt(0)
	s_barrier
	ds_read_b32 v3, v2
	v_cmp_gt_u32_e32 vcc, s6, v1
	v_and_b32_e32 v5, 0x10000, v1
	v_cndmask_b32_e32 v4, 0, v37, vcc
	v_and_b32_e32 v6, 1, v38
	v_cmp_ne_u32_e32 vcc, 0, v5
	v_cndmask_b32_e64 v5, v6, 1, vcc
	v_cndmask_b32_e64 v5, v5, v36, s[48:49]
	v_cndmask_b32_e64 v4, v4, 0, s[48:49]
	v_cmp_eq_u16_sdwa vcc, v5, v2 src0_sel:BYTE_0 src1_sel:DWORD
	v_add_u16_e32 v4, v4, v1
	s_waitcnt lgkmcnt(0)
	v_cndmask_b32_e32 v2, 0, v3, vcc
	v_add_u16_e32 v49, v4, v2
	v_cndmask_b32_e64 v2, 0, v49, s[2:3]
	v_add_u16_e32 v4, v2, v16
	v_cndmask_b32_e64 v2, 0, v4, s[52:53]
	;; [unrolled: 2-line block ×14, first 2 shown]
	s_waitcnt vmcnt(0)
	v_add_u16_e32 v41, v2, v29
	v_cndmask_b32_e64 v2, 0, v41, s[34:35]
	v_add_u16_e32 v42, v2, v30
	v_cndmask_b32_e64 v2, 0, v42, s[36:37]
	;; [unrolled: 2-line block ×7, first 2 shown]
	v_add_u16_e32 v48, v2, v13
	s_load_dwordx2 s[50:51], s[4:5], 0x20
	s_branch .LBB986_215
.LBB986_193:
                                        ; implicit-def: $vgpr49
                                        ; implicit-def: $vgpr4
                                        ; implicit-def: $vgpr5
                                        ; implicit-def: $vgpr6
                                        ; implicit-def: $vgpr7
                                        ; implicit-def: $vgpr8
                                        ; implicit-def: $vgpr9
                                        ; implicit-def: $vgpr10
                                        ; implicit-def: $vgpr11
                                        ; implicit-def: $vgpr36
                                        ; implicit-def: $vgpr37
                                        ; implicit-def: $vgpr38
                                        ; implicit-def: $vgpr39
                                        ; implicit-def: $vgpr40
                                        ; implicit-def: $vgpr41
                                        ; implicit-def: $vgpr42
                                        ; implicit-def: $vgpr43
                                        ; implicit-def: $vgpr44
                                        ; implicit-def: $vgpr45
                                        ; implicit-def: $vgpr46
                                        ; implicit-def: $vgpr47
                                        ; implicit-def: $vgpr48
	s_load_dwordx2 s[50:51], s[4:5], 0x20
	s_cbranch_execz .LBB986_215
; %bb.194:
	s_cmp_lg_u64 s[66:67], 0
	s_cselect_b32 s5, s55, 0
	s_cselect_b32 s4, s54, 0
	s_cmp_lg_u64 s[4:5], 0
	s_cselect_b64 s[6:7], -1, 0
	v_cmp_eq_u32_e32 vcc, 0, v0
	v_cmp_ne_u32_e64 s[2:3], 0, v0
	s_and_b64 s[8:9], vcc, s[6:7]
	s_and_saveexec_b64 s[6:7], s[8:9]
	s_cbranch_execz .LBB986_196
; %bb.195:
	v_mov_b32_e32 v2, 0
	global_load_ushort v3, v2, s[4:5]
	global_load_ubyte v4, v2, s[4:5] offset:2
	s_mov_b32 s4, 0x10000
	v_and_b32_e32 v2, 0x10000, v1
	v_mov_b32_e32 v5, 1
	v_cmp_gt_u32_e64 s[4:5], s4, v1
	v_mov_b32_e32 v6, 0x10000
	s_waitcnt vmcnt(0)
	v_cndmask_b32_e64 v3, 0, v3, s[4:5]
	v_and_b32_sdwa v4, v4, v5 dst_sel:WORD_1 dst_unused:UNUSED_PAD src0_sel:DWORD src1_sel:DWORD
	v_cmp_eq_u32_e64 s[4:5], 0, v2
	v_add_u16_e32 v1, v3, v1
	v_cndmask_b32_e64 v2, v6, v4, s[4:5]
	v_or_b32_e32 v1, v2, v1
.LBB986_196:
	s_or_b64 exec, exec, s[6:7]
	s_mov_b32 s46, 0x10000
	v_cmp_gt_u32_e64 s[4:5], s46, v16
	v_cndmask_b32_e64 v3, 0, v1, s[4:5]
	v_add_u16_e32 v4, v3, v16
	v_cmp_gt_u32_e64 s[6:7], s46, v17
	v_cndmask_b32_e64 v3, 0, v4, s[6:7]
	v_add_u16_e32 v5, v3, v17
	;; [unrolled: 3-line block ×13, first 2 shown]
	v_cmp_gt_u32_e64 s[30:31], s46, v29
	v_cndmask_b32_e64 v3, 0, v40, s[30:31]
	s_waitcnt vmcnt(0)
	v_add_u16_e32 v41, v3, v29
	v_cmp_gt_u32_e64 s[34:35], s46, v30
	v_cndmask_b32_e64 v3, 0, v41, s[34:35]
	v_add_u16_e32 v42, v3, v30
	v_cmp_gt_u32_e64 s[36:37], s46, v31
	v_cndmask_b32_e64 v3, 0, v42, s[36:37]
	;; [unrolled: 3-line block ×7, first 2 shown]
	v_add_u16_e32 v48, v3, v13
	v_or3_b32 v3, v15, v31, v30
	v_or3_b32 v3, v3, v29, v28
	;; [unrolled: 1-line block ×8, first 2 shown]
	v_and_b32_e32 v3, 0x10000, v3
	v_lshrrev_b32_e32 v2, 16, v1
	v_cmp_ne_u32_e64 s[48:49], 0, v3
	v_mov_b32_e32 v49, 0x10000
	v_cndmask_b32_e64 v3, v2, 1, s[48:49]
	v_add_lshl_u32 v2, v14, v0, 2
	v_cmp_gt_u32_e64 s[48:49], 64, v0
	ds_write_b16 v2, v48
	ds_write_b8 v2, v3 offset:2
	s_waitcnt lgkmcnt(0)
	s_barrier
	s_and_saveexec_b64 s[52:53], s[48:49]
	s_cbranch_execz .LBB986_210
; %bb.197:
	v_lshlrev_b32_e32 v2, 2, v0
	v_lshrrev_b32_e32 v14, 3, v0
	v_add_lshl_u32 v2, v14, v2, 2
	ds_read_b32 v14, v2
	ds_read_u16 v15, v2 offset:4
	ds_read_u8 v50, v2 offset:6
	ds_read_u16 v51, v2 offset:8
	ds_read_u8 v52, v2 offset:10
	;; [unrolled: 2-line block ×3, first 2 shown]
	v_mov_b32_e32 v55, 0
	s_waitcnt lgkmcnt(4)
	v_cmp_eq_u16_sdwa s[48:49], v50, v55 src0_sel:BYTE_0 src1_sel:DWORD
	v_cndmask_b32_e64 v56, 0, v14, s[48:49]
	v_add_u16_e32 v56, v56, v15
	s_waitcnt lgkmcnt(2)
	v_cmp_eq_u16_sdwa s[48:49], v52, v55 src0_sel:BYTE_0 src1_sel:DWORD
	s_waitcnt lgkmcnt(0)
	v_or_b32_e32 v52, v54, v52
	v_cndmask_b32_e64 v55, 0, v56, s[48:49]
	v_or_b32_e32 v50, v52, v50
	v_add_u16_e32 v51, v55, v51
	v_cmp_eq_u16_e64 s[48:49], 0, v54
	v_and_b32_e32 v50, 1, v50
	v_and_b32_e32 v15, 0x10000, v14
	v_cndmask_b32_e64 v55, 0, v51, s[48:49]
	v_cmp_eq_u32_e64 s[48:49], 1, v50
	v_mbcnt_lo_u32_b32 v50, -1, 0
	v_add_u16_e32 v51, v55, v53
	v_cndmask_b32_e64 v56, v15, v49, s[48:49]
	v_add_u16_e32 v53, v55, v53
	v_and_b32_e32 v49, 0xff000000, v14
	v_mbcnt_hi_u32_b32 v50, -1, v50
	v_or_b32_e32 v54, v56, v49
	v_and_b32_e32 v55, 15, v50
	v_or3_b32 v53, v49, v53, v56
	s_movk_i32 s58, 0xff
	v_lshrrev_b32_e32 v52, 16, v54
	v_mov_b32_dpp v56, v53 row_shr:1 row_mask:0xf bank_mask:0xf
	v_cmp_ne_u32_e64 s[48:49], 0, v55
	s_and_saveexec_b64 s[54:55], s[48:49]
	s_cbranch_execz .LBB986_199
; %bb.198:
	v_and_b32_sdwa v52, v54, s58 dst_sel:DWORD dst_unused:UNUSED_PAD src0_sel:WORD_1 src1_sel:DWORD
	v_cmp_eq_u16_e64 s[48:49], 0, v52
	v_and_b32_e32 v52, 0x10000, v54
	v_mov_b32_e32 v54, 1
	v_cndmask_b32_e64 v53, 0, v56, s[48:49]
	v_and_b32_sdwa v54, v56, v54 dst_sel:DWORD dst_unused:UNUSED_PAD src0_sel:WORD_1 src1_sel:DWORD
	v_cmp_ne_u32_e64 s[48:49], 0, v52
	v_cndmask_b32_e64 v52, v54, 1, s[48:49]
	v_add_u16_e32 v57, v53, v51
	v_lshlrev_b32_e32 v54, 16, v52
	v_add_u16_e32 v51, v53, v51
	v_or3_b32 v53, v54, v51, v49
	v_mov_b32_e32 v51, v57
.LBB986_199:
	s_or_b64 exec, exec, s[54:55]
	v_lshrrev_b32_e32 v54, 16, v53
	v_mov_b32_dpp v56, v53 row_shr:2 row_mask:0xf bank_mask:0xf
	v_cmp_lt_u32_e64 s[48:49], 1, v55
	s_and_saveexec_b64 s[54:55], s[48:49]
	s_cbranch_execz .LBB986_201
; %bb.200:
	v_mov_b32_e32 v52, 0
	v_cmp_eq_u16_sdwa s[48:49], v54, v52 src0_sel:BYTE_0 src1_sel:DWORD
	v_and_b32_e32 v52, 0x10000, v53
	v_mov_b32_e32 v53, 1
	v_cndmask_b32_e64 v54, 0, v56, s[48:49]
	v_and_b32_sdwa v53, v56, v53 dst_sel:DWORD dst_unused:UNUSED_PAD src0_sel:WORD_1 src1_sel:DWORD
	v_cmp_ne_u32_e64 s[48:49], 0, v52
	v_cndmask_b32_e64 v52, v53, 1, s[48:49]
	v_add_u16_e32 v57, v54, v51
	v_lshlrev_b32_e32 v53, 16, v52
	v_add_u16_e32 v51, v54, v51
	v_or3_b32 v53, v53, v51, v49
	v_mov_b32_e32 v54, v52
	v_mov_b32_e32 v51, v57
.LBB986_201:
	s_or_b64 exec, exec, s[54:55]
	v_mov_b32_dpp v56, v53 row_shr:4 row_mask:0xf bank_mask:0xf
	v_cmp_lt_u32_e64 s[48:49], 3, v55
	s_and_saveexec_b64 s[54:55], s[48:49]
	s_cbranch_execz .LBB986_203
; %bb.202:
	v_mov_b32_e32 v52, 0
	v_cmp_eq_u16_sdwa s[48:49], v54, v52 src0_sel:BYTE_0 src1_sel:DWORD
	v_and_b32_e32 v52, 1, v54
	v_mov_b32_e32 v54, 1
	v_cndmask_b32_e64 v53, 0, v56, s[48:49]
	v_and_b32_sdwa v54, v56, v54 dst_sel:DWORD dst_unused:UNUSED_PAD src0_sel:WORD_1 src1_sel:DWORD
	v_cmp_eq_u32_e64 s[48:49], 1, v52
	v_cndmask_b32_e64 v52, v54, 1, s[48:49]
	v_add_u16_e32 v57, v53, v51
	v_lshlrev_b32_e32 v54, 16, v52
	v_add_u16_e32 v51, v53, v51
	v_or3_b32 v53, v54, v51, v49
	v_mov_b32_e32 v54, v52
	v_mov_b32_e32 v51, v57
.LBB986_203:
	s_or_b64 exec, exec, s[54:55]
	v_mov_b32_dpp v56, v53 row_shr:8 row_mask:0xf bank_mask:0xf
	v_cmp_lt_u32_e64 s[48:49], 7, v55
	s_and_saveexec_b64 s[54:55], s[48:49]
	s_cbranch_execz .LBB986_205
; %bb.204:
	v_mov_b32_e32 v52, 0
	v_cmp_eq_u16_sdwa s[48:49], v54, v52 src0_sel:BYTE_0 src1_sel:DWORD
	v_and_b32_e32 v52, 1, v54
	v_mov_b32_e32 v54, 1
	v_cndmask_b32_e64 v53, 0, v56, s[48:49]
	v_and_b32_sdwa v54, v56, v54 dst_sel:DWORD dst_unused:UNUSED_PAD src0_sel:WORD_1 src1_sel:DWORD
	v_cmp_eq_u32_e64 s[48:49], 1, v52
	v_cndmask_b32_e64 v52, v54, 1, s[48:49]
	v_add_u16_e32 v55, v53, v51
	v_lshlrev_b32_e32 v54, 16, v52
	v_add_u16_e32 v51, v53, v51
	v_or3_b32 v53, v54, v51, v49
	v_mov_b32_e32 v54, v52
	v_mov_b32_e32 v51, v55
.LBB986_205:
	s_or_b64 exec, exec, s[54:55]
	v_and_b32_e32 v56, 16, v50
	v_mov_b32_dpp v55, v53 row_bcast:15 row_mask:0xf bank_mask:0xf
	v_cmp_ne_u32_e64 s[48:49], 0, v56
	s_and_saveexec_b64 s[54:55], s[48:49]
	s_cbranch_execz .LBB986_207
; %bb.206:
	v_mov_b32_e32 v52, 0
	v_cmp_eq_u16_sdwa s[48:49], v54, v52 src0_sel:BYTE_0 src1_sel:DWORD
	v_and_b32_e32 v52, 1, v54
	v_mov_b32_e32 v54, 1
	v_cndmask_b32_e64 v53, 0, v55, s[48:49]
	v_and_b32_sdwa v54, v55, v54 dst_sel:DWORD dst_unused:UNUSED_PAD src0_sel:WORD_1 src1_sel:DWORD
	v_cmp_eq_u32_e64 s[48:49], 1, v52
	v_cndmask_b32_e64 v52, v54, 1, s[48:49]
	v_add_u16_e32 v56, v53, v51
	v_lshlrev_b32_e32 v54, 16, v52
	v_add_u16_e32 v51, v53, v51
	v_or3_b32 v53, v54, v51, v49
	v_mov_b32_e32 v54, v52
	v_mov_b32_e32 v51, v56
.LBB986_207:
	s_or_b64 exec, exec, s[54:55]
	v_mov_b32_dpp v53, v53 row_bcast:31 row_mask:0xf bank_mask:0xf
	v_cmp_lt_u32_e64 s[48:49], 31, v50
	s_and_saveexec_b64 s[54:55], s[48:49]
; %bb.208:
	v_mov_b32_e32 v52, 0
	v_cmp_eq_u16_sdwa s[48:49], v54, v52 src0_sel:BYTE_0 src1_sel:DWORD
	v_cndmask_b32_e64 v52, 0, v53, s[48:49]
	v_add_u16_e32 v51, v52, v51
	v_and_b32_e32 v52, 1, v54
	v_mov_b32_e32 v54, 1
	v_and_b32_sdwa v53, v53, v54 dst_sel:DWORD dst_unused:UNUSED_PAD src0_sel:WORD_1 src1_sel:DWORD
	v_cmp_eq_u32_e64 s[48:49], 1, v52
	v_cndmask_b32_e64 v52, v53, 1, s[48:49]
; %bb.209:
	s_or_b64 exec, exec, s[54:55]
	v_and_b32_e32 v52, 0xff, v52
	v_lshlrev_b32_e32 v52, 16, v52
	v_and_b32_e32 v51, 0xffff, v51
	v_or3_b32 v49, v52, v51, v49
	v_add_u32_e32 v51, -1, v50
	v_and_b32_e32 v52, 64, v50
	v_cmp_lt_i32_e64 s[48:49], v51, v52
	v_cndmask_b32_e64 v50, v51, v50, s[48:49]
	v_lshlrev_b32_e32 v50, 2, v50
	ds_bpermute_b32 v49, v50, v49
	v_and_b32_e32 v50, 0xff0000, v14
	v_cmp_eq_u32_e64 s[48:49], 0, v50
	; wave barrier
	s_waitcnt lgkmcnt(0)
	v_cndmask_b32_e64 v50, 0, v49, s[48:49]
	v_add_u16_e32 v14, v50, v14
	v_mov_b32_e32 v50, 1
	v_and_b32_sdwa v49, v49, v50 dst_sel:DWORD dst_unused:UNUSED_PAD src0_sel:WORD_1 src1_sel:DWORD
	v_cmp_eq_u32_e64 s[48:49], 0, v15
	v_cndmask_b32_e64 v15, 1, v49, s[48:49]
	v_cndmask_b32_e32 v14, v14, v48, vcc
	v_cndmask_b32_e32 v3, v15, v3, vcc
	ds_write_b16 v2, v14
	ds_write_b8 v2, v3 offset:2
	; wave barrier
	ds_read_u16 v15, v2 offset:4
	ds_read_u8 v49, v2 offset:6
	ds_read_u16 v50, v2 offset:8
	ds_read_u8 v51, v2 offset:10
	;; [unrolled: 2-line block ×3, first 2 shown]
	s_waitcnt lgkmcnt(4)
	v_cmp_eq_u16_e64 s[48:49], 0, v49
	v_cndmask_b32_e64 v14, 0, v14, s[48:49]
	v_add_u16_e32 v14, v14, v15
	v_and_b32_e32 v15, 1, v49
	v_cmp_eq_u32_e64 s[48:49], 1, v15
	v_cndmask_b32_e64 v3, v3, 1, s[48:49]
	s_waitcnt lgkmcnt(2)
	v_cmp_eq_u16_e64 s[48:49], 0, v51
	v_and_b32_e32 v15, 1, v51
	ds_write_b16 v2, v14 offset:4
	ds_write_b8 v2, v3 offset:6
	v_cndmask_b32_e64 v14, 0, v14, s[48:49]
	v_cmp_eq_u32_e64 s[48:49], 1, v15
	v_add_u16_e32 v14, v14, v50
	v_cndmask_b32_e64 v3, v3, 1, s[48:49]
	s_waitcnt lgkmcnt(2)
	v_cmp_eq_u16_e64 s[48:49], 0, v53
	ds_write_b16 v2, v14 offset:8
	ds_write_b8 v2, v3 offset:10
	v_cndmask_b32_e64 v14, 0, v14, s[48:49]
	v_and_b32_e32 v15, 1, v53
	v_add_u16_e32 v14, v14, v52
	v_cmp_eq_u32_e64 s[48:49], 1, v15
	v_cndmask_b32_e64 v3, v3, 1, s[48:49]
	ds_write_b16 v2, v14 offset:12
	ds_write_b8 v2, v3 offset:14
.LBB986_210:
	s_or_b64 exec, exec, s[52:53]
	v_mov_b32_e32 v2, v48
	s_waitcnt lgkmcnt(0)
	s_barrier
	s_and_saveexec_b64 s[48:49], s[2:3]
	s_cbranch_execnz .LBB986_285
; %bb.211:
	s_or_b64 exec, exec, s[48:49]
	s_and_saveexec_b64 s[48:49], s[2:3]
	s_cbranch_execnz .LBB986_286
.LBB986_212:
	s_or_b64 exec, exec, s[48:49]
	s_and_saveexec_b64 s[2:3], vcc
	s_cbranch_execz .LBB986_214
.LBB986_213:
	v_mov_b32_e32 v13, 0
	s_waitcnt lgkmcnt(0)
	ds_read_u8 v2, v13 offset:1050
	ds_read_u16 v3, v13 offset:1048
	s_waitcnt lgkmcnt(1)
	v_lshlrev_b32_e32 v2, 16, v2
	s_waitcnt lgkmcnt(0)
	v_or_b32_e32 v2, v2, v3
	v_mov_b32_e32 v3, 2
	global_store_dwordx2 v13, v[2:3], s[60:61] offset:512
.LBB986_214:
	s_or_b64 exec, exec, s[2:3]
	v_mov_b32_e32 v49, v1
.LBB986_215:
	s_waitcnt lgkmcnt(0)
	s_add_u32 s2, s50, s64
	s_addc_u32 s3, s51, s65
	s_add_u32 s4, s2, s56
	s_addc_u32 s5, s3, s57
	s_and_b64 vcc, exec, s[0:1]
	v_mul_u32_u24_e32 v14, 22, v0
	s_cbranch_vccz .LBB986_259
; %bb.216:
	s_mov_b32 s0, 0x5040100
	v_lshlrev_b32_e32 v33, 1, v14
	v_perm_b32 v1, v6, v5, s0
	v_perm_b32 v2, v4, v49, s0
	s_barrier
	ds_write2_b32 v33, v2, v1 offset1:1
	v_perm_b32 v1, v10, v9, s0
	v_perm_b32 v2, v8, v7, s0
	ds_write2_b32 v33, v2, v1 offset0:2 offset1:3
	v_perm_b32 v1, v38, v37, s0
	v_perm_b32 v2, v36, v11, s0
	ds_write2_b32 v33, v2, v1 offset0:4 offset1:5
	s_waitcnt vmcnt(0)
	v_perm_b32 v1, v42, v41, s0
	v_perm_b32 v2, v40, v39, s0
	ds_write2_b32 v33, v2, v1 offset0:6 offset1:7
	v_perm_b32 v1, v46, v45, s0
	v_perm_b32 v2, v44, v43, s0
	ds_write2_b32 v33, v2, v1 offset0:8 offset1:9
	v_perm_b32 v1, v48, v47, s0
	s_movk_i32 s0, 0xffd6
	v_mad_i32_i24 v2, v0, s0, v33
	ds_write_b32 v33, v1 offset:40
	s_waitcnt lgkmcnt(0)
	s_barrier
	ds_read_u16 v35, v2 offset:512
	ds_read_u16 v34, v2 offset:1024
	;; [unrolled: 1-line block ×21, first 2 shown]
	v_mov_b32_e32 v3, s5
	v_add_co_u32_e32 v2, vcc, s4, v12
	s_add_i32 s33, s33, s62
	v_addc_co_u32_e32 v3, vcc, 0, v3, vcc
	v_mov_b32_e32 v1, 0
	v_cmp_gt_u32_e32 vcc, s33, v0
	s_and_saveexec_b64 s[0:1], vcc
	s_cbranch_execz .LBB986_218
; %bb.217:
	v_mul_i32_i24_e32 v50, 0xffffffd6, v0
	v_add_u32_e32 v33, v33, v50
	ds_read_u16 v33, v33
	s_waitcnt lgkmcnt(0)
	flat_store_short v[2:3], v33
.LBB986_218:
	s_or_b64 exec, exec, s[0:1]
	v_or_b32_e32 v33, 0x100, v0
	v_cmp_gt_u32_e32 vcc, s33, v33
	s_and_saveexec_b64 s[0:1], vcc
	s_cbranch_execz .LBB986_220
; %bb.219:
	s_waitcnt lgkmcnt(0)
	flat_store_short v[2:3], v35 offset:512
.LBB986_220:
	s_or_b64 exec, exec, s[0:1]
	v_or_b32_e32 v33, 0x200, v0
	v_cmp_gt_u32_e32 vcc, s33, v33
	s_and_saveexec_b64 s[0:1], vcc
	s_cbranch_execz .LBB986_222
; %bb.221:
	s_waitcnt lgkmcnt(0)
	flat_store_short v[2:3], v34 offset:1024
.LBB986_222:
	;; [unrolled: 9-line block ×3, first 2 shown]
	s_or_b64 exec, exec, s[0:1]
	s_waitcnt lgkmcnt(0)
	v_or_b32_e32 v32, 0x400, v0
	v_cmp_gt_u32_e32 vcc, s33, v32
	s_and_saveexec_b64 s[0:1], vcc
	s_cbranch_execz .LBB986_226
; %bb.225:
	flat_store_short v[2:3], v31 offset:2048
.LBB986_226:
	s_or_b64 exec, exec, s[0:1]
	v_or_b32_e32 v31, 0x500, v0
	v_cmp_gt_u32_e32 vcc, s33, v31
	s_and_saveexec_b64 s[0:1], vcc
	s_cbranch_execz .LBB986_228
; %bb.227:
	flat_store_short v[2:3], v30 offset:2560
.LBB986_228:
	s_or_b64 exec, exec, s[0:1]
	;; [unrolled: 8-line block ×4, first 2 shown]
	v_or_b32_e32 v28, 0x800, v0
	v_cmp_gt_u32_e32 vcc, s33, v28
	s_and_saveexec_b64 s[0:1], vcc
	s_cbranch_execz .LBB986_234
; %bb.233:
	v_add_co_u32_e32 v28, vcc, 0x1000, v2
	v_addc_co_u32_e32 v29, vcc, 0, v3, vcc
	flat_store_short v[28:29], v27
.LBB986_234:
	s_or_b64 exec, exec, s[0:1]
	v_or_b32_e32 v27, 0x900, v0
	v_cmp_gt_u32_e32 vcc, s33, v27
	s_and_saveexec_b64 s[0:1], vcc
	s_cbranch_execz .LBB986_236
; %bb.235:
	v_add_co_u32_e32 v28, vcc, 0x1000, v2
	v_addc_co_u32_e32 v29, vcc, 0, v3, vcc
	flat_store_short v[28:29], v26 offset:512
.LBB986_236:
	s_or_b64 exec, exec, s[0:1]
	v_or_b32_e32 v26, 0xa00, v0
	v_cmp_gt_u32_e32 vcc, s33, v26
	s_and_saveexec_b64 s[0:1], vcc
	s_cbranch_execz .LBB986_238
; %bb.237:
	v_add_co_u32_e32 v26, vcc, 0x1000, v2
	v_addc_co_u32_e32 v27, vcc, 0, v3, vcc
	flat_store_short v[26:27], v25 offset:1024
.LBB986_238:
	;; [unrolled: 10-line block ×7, first 2 shown]
	s_or_b64 exec, exec, s[0:1]
	v_or_b32_e32 v20, 0x1000, v0
	v_cmp_gt_u32_e32 vcc, s33, v20
	s_and_saveexec_b64 s[0:1], vcc
	s_cbranch_execz .LBB986_250
; %bb.249:
	v_add_co_u32_e32 v20, vcc, 0x2000, v2
	v_addc_co_u32_e32 v21, vcc, 0, v3, vcc
	flat_store_short v[20:21], v19
.LBB986_250:
	s_or_b64 exec, exec, s[0:1]
	v_or_b32_e32 v19, 0x1100, v0
	v_cmp_gt_u32_e32 vcc, s33, v19
	s_and_saveexec_b64 s[0:1], vcc
	s_cbranch_execz .LBB986_252
; %bb.251:
	v_add_co_u32_e32 v20, vcc, 0x2000, v2
	v_addc_co_u32_e32 v21, vcc, 0, v3, vcc
	flat_store_short v[20:21], v18 offset:512
.LBB986_252:
	s_or_b64 exec, exec, s[0:1]
	v_or_b32_e32 v18, 0x1200, v0
	v_cmp_gt_u32_e32 vcc, s33, v18
	s_and_saveexec_b64 s[0:1], vcc
	s_cbranch_execz .LBB986_254
; %bb.253:
	v_add_co_u32_e32 v18, vcc, 0x2000, v2
	v_addc_co_u32_e32 v19, vcc, 0, v3, vcc
	flat_store_short v[18:19], v17 offset:1024
.LBB986_254:
	;; [unrolled: 10-line block ×4, first 2 shown]
	s_or_b64 exec, exec, s[0:1]
	v_or_b32_e32 v2, 0x1500, v0
	v_cmp_gt_u32_e64 s[0:1], s33, v2
	s_branch .LBB986_261
.LBB986_259:
	s_mov_b64 s[0:1], 0
                                        ; implicit-def: $vgpr13
	s_cbranch_execz .LBB986_261
; %bb.260:
	s_mov_b32 s2, 0x5040100
	v_lshlrev_b32_e32 v2, 1, v14
	v_perm_b32 v1, v6, v5, s2
	v_perm_b32 v3, v4, v49, s2
	s_waitcnt lgkmcnt(0)
	s_barrier
	ds_write2_b32 v2, v3, v1 offset1:1
	v_perm_b32 v1, v10, v9, s2
	v_perm_b32 v3, v8, v7, s2
	ds_write2_b32 v2, v3, v1 offset0:2 offset1:3
	v_perm_b32 v1, v38, v37, s2
	v_perm_b32 v3, v36, v11, s2
	ds_write2_b32 v2, v3, v1 offset0:4 offset1:5
	s_waitcnt vmcnt(0)
	v_perm_b32 v1, v42, v41, s2
	v_perm_b32 v3, v40, v39, s2
	ds_write2_b32 v2, v3, v1 offset0:6 offset1:7
	v_perm_b32 v1, v46, v45, s2
	v_perm_b32 v3, v44, v43, s2
	ds_write2_b32 v2, v3, v1 offset0:8 offset1:9
	v_perm_b32 v1, v48, v47, s2
	s_movk_i32 s2, 0xffd6
	ds_write_b32 v2, v1 offset:40
	v_mad_i32_i24 v2, v0, s2, v2
	s_waitcnt lgkmcnt(0)
	s_barrier
	ds_read_u16 v4, v2
	ds_read_u16 v5, v2 offset:512
	ds_read_u16 v6, v2 offset:1024
	ds_read_u16 v7, v2 offset:1536
	ds_read_u16 v8, v2 offset:2048
	ds_read_u16 v9, v2 offset:2560
	ds_read_u16 v10, v2 offset:3072
	ds_read_u16 v11, v2 offset:3584
	ds_read_u16 v14, v2 offset:4096
	ds_read_u16 v15, v2 offset:4608
	ds_read_u16 v16, v2 offset:5120
	ds_read_u16 v17, v2 offset:5632
	ds_read_u16 v18, v2 offset:6144
	ds_read_u16 v19, v2 offset:6656
	ds_read_u16 v20, v2 offset:7168
	ds_read_u16 v21, v2 offset:7680
	ds_read_u16 v22, v2 offset:8192
	ds_read_u16 v23, v2 offset:8704
	ds_read_u16 v24, v2 offset:9216
	ds_read_u16 v25, v2 offset:9728
	ds_read_u16 v26, v2 offset:10240
	ds_read_u16 v13, v2 offset:10752
	v_mov_b32_e32 v3, s5
	v_add_co_u32_e32 v2, vcc, s4, v12
	v_addc_co_u32_e32 v3, vcc, 0, v3, vcc
	s_movk_i32 s2, 0x1000
	s_waitcnt lgkmcnt(14)
	flat_store_short v[2:3], v4
	flat_store_short v[2:3], v5 offset:512
	flat_store_short v[2:3], v6 offset:1024
	;; [unrolled: 1-line block ×7, first 2 shown]
	v_add_co_u32_e32 v4, vcc, s2, v2
	v_addc_co_u32_e32 v5, vcc, 0, v3, vcc
	v_add_co_u32_e32 v2, vcc, 0x2000, v2
	v_mov_b32_e32 v1, 0
	v_addc_co_u32_e32 v3, vcc, 0, v3, vcc
	s_or_b64 s[0:1], s[0:1], exec
	s_waitcnt lgkmcnt(0)
	flat_store_short v[4:5], v14
	flat_store_short v[4:5], v15 offset:512
	flat_store_short v[4:5], v16 offset:1024
	;; [unrolled: 1-line block ×7, first 2 shown]
	flat_store_short v[2:3], v22
	flat_store_short v[2:3], v23 offset:512
	flat_store_short v[2:3], v24 offset:1024
	;; [unrolled: 1-line block ×4, first 2 shown]
.LBB986_261:
	s_and_saveexec_b64 s[2:3], s[0:1]
	s_cbranch_execnz .LBB986_263
; %bb.262:
	s_endpgm
.LBB986_263:
	v_lshlrev_b64 v[0:1], 1, v[0:1]
	v_mov_b32_e32 v2, s5
	v_add_co_u32_e32 v0, vcc, s4, v0
	v_addc_co_u32_e32 v1, vcc, v2, v1, vcc
	v_add_co_u32_e32 v0, vcc, 0x2000, v0
	v_addc_co_u32_e32 v1, vcc, 0, v1, vcc
	flat_store_short v[0:1], v13 offset:2560
	s_endpgm
.LBB986_264:
	global_load_ushort v26, v23, s[68:69]
	s_waitcnt vmcnt(0)
	v_sub_u16_e32 v26, 0, v26
	s_or_b64 exec, exec, s[52:53]
                                        ; implicit-def: $vgpr27
	s_and_saveexec_b64 s[2:3], s[50:51]
	s_cbranch_execz .LBB986_53
.LBB986_265:
	global_load_ushort v27, v23, s[68:69] offset:512
	s_waitcnt vmcnt(0)
	v_sub_u16_e32 v27, 0, v27
	s_or_b64 exec, exec, s[2:3]
                                        ; implicit-def: $vgpr28
	s_and_saveexec_b64 s[2:3], s[8:9]
	s_cbranch_execz .LBB986_54
.LBB986_266:
	global_load_ushort v28, v23, s[68:69] offset:1024
	s_waitcnt vmcnt(0)
	v_sub_u16_e32 v28, 0, v28
	s_or_b64 exec, exec, s[2:3]
                                        ; implicit-def: $vgpr29
	s_and_saveexec_b64 s[2:3], s[10:11]
	s_cbranch_execz .LBB986_55
.LBB986_267:
	global_load_ushort v29, v23, s[68:69] offset:1536
	s_waitcnt vmcnt(0)
	v_sub_u16_e32 v29, 0, v29
	s_or_b64 exec, exec, s[2:3]
                                        ; implicit-def: $vgpr30
	s_and_saveexec_b64 s[2:3], s[12:13]
	s_cbranch_execz .LBB986_56
.LBB986_268:
	global_load_ushort v30, v23, s[68:69] offset:2048
	s_waitcnt vmcnt(0)
	v_sub_u16_e32 v30, 0, v30
	s_or_b64 exec, exec, s[2:3]
                                        ; implicit-def: $vgpr31
	s_and_saveexec_b64 s[2:3], s[14:15]
	s_cbranch_execz .LBB986_57
.LBB986_269:
	global_load_ushort v31, v23, s[68:69] offset:2560
	s_waitcnt vmcnt(0)
	v_sub_u16_e32 v31, 0, v31
	s_or_b64 exec, exec, s[2:3]
                                        ; implicit-def: $vgpr32
	s_and_saveexec_b64 s[2:3], s[16:17]
	s_cbranch_execz .LBB986_58
.LBB986_270:
	global_load_ushort v32, v23, s[68:69] offset:3072
	s_waitcnt vmcnt(0)
	v_sub_u16_e32 v32, 0, v32
	s_or_b64 exec, exec, s[2:3]
                                        ; implicit-def: $vgpr33
	s_and_saveexec_b64 s[2:3], s[18:19]
	s_cbranch_execz .LBB986_59
.LBB986_271:
	global_load_ushort v33, v23, s[68:69] offset:3584
	s_waitcnt vmcnt(0)
	v_sub_u16_e32 v33, 0, v33
	s_or_b64 exec, exec, s[2:3]
                                        ; implicit-def: $vgpr34
	s_and_saveexec_b64 s[2:3], s[20:21]
	s_cbranch_execz .LBB986_60
.LBB986_272:
	v_lshlrev_b32_e32 v1, 1, v1
	global_load_ushort v1, v1, s[68:69]
	s_waitcnt vmcnt(0)
	v_sub_u16_e32 v34, 0, v1
	s_or_b64 exec, exec, s[2:3]
                                        ; implicit-def: $vgpr1
	s_and_saveexec_b64 s[2:3], s[22:23]
	s_cbranch_execz .LBB986_61
.LBB986_273:
	v_lshlrev_b32_e32 v1, 1, v2
	global_load_ushort v1, v1, s[68:69]
	s_waitcnt vmcnt(0)
	v_sub_u16_e32 v1, 0, v1
	s_or_b64 exec, exec, s[2:3]
                                        ; implicit-def: $vgpr2
	s_and_saveexec_b64 s[2:3], s[24:25]
	s_cbranch_execz .LBB986_62
.LBB986_274:
	v_lshlrev_b32_e32 v2, 1, v3
	global_load_ushort v2, v2, s[68:69]
	s_waitcnt vmcnt(0)
	v_sub_u16_e32 v2, 0, v2
	s_or_b64 exec, exec, s[2:3]
                                        ; implicit-def: $vgpr3
	s_and_saveexec_b64 s[2:3], s[26:27]
	s_cbranch_execz .LBB986_63
.LBB986_275:
	v_lshlrev_b32_e32 v3, 1, v4
	global_load_ushort v3, v3, s[68:69]
	s_waitcnt vmcnt(0)
	v_sub_u16_e32 v3, 0, v3
	s_or_b64 exec, exec, s[2:3]
                                        ; implicit-def: $vgpr4
	s_and_saveexec_b64 s[2:3], s[28:29]
	s_cbranch_execz .LBB986_64
.LBB986_276:
	v_lshlrev_b32_e32 v4, 1, v5
	global_load_ushort v4, v4, s[68:69]
	s_waitcnt vmcnt(0)
	v_sub_u16_e32 v4, 0, v4
	s_or_b64 exec, exec, s[2:3]
                                        ; implicit-def: $vgpr5
	s_and_saveexec_b64 s[2:3], s[30:31]
	s_cbranch_execz .LBB986_65
.LBB986_277:
	v_lshlrev_b32_e32 v5, 1, v16
	global_load_ushort v5, v5, s[68:69]
	s_waitcnt vmcnt(0)
	v_sub_u16_e32 v5, 0, v5
	s_or_b64 exec, exec, s[2:3]
                                        ; implicit-def: $vgpr16
	s_and_saveexec_b64 s[2:3], s[34:35]
	s_cbranch_execz .LBB986_66
.LBB986_278:
	v_lshlrev_b32_e32 v16, 1, v17
	global_load_ushort v16, v16, s[68:69]
	s_waitcnt vmcnt(0)
	v_sub_u16_e32 v16, 0, v16
	s_or_b64 exec, exec, s[2:3]
                                        ; implicit-def: $vgpr17
	s_and_saveexec_b64 s[2:3], s[36:37]
	s_cbranch_execz .LBB986_67
.LBB986_279:
	v_lshlrev_b32_e32 v17, 1, v18
	global_load_ushort v17, v17, s[68:69]
	s_waitcnt vmcnt(0)
	v_sub_u16_e32 v17, 0, v17
	s_or_b64 exec, exec, s[2:3]
                                        ; implicit-def: $vgpr18
	s_and_saveexec_b64 s[2:3], s[38:39]
	s_cbranch_execz .LBB986_68
.LBB986_280:
	v_lshlrev_b32_e32 v18, 1, v19
	global_load_ushort v18, v18, s[68:69]
	s_waitcnt vmcnt(0)
	v_sub_u16_e32 v18, 0, v18
	s_or_b64 exec, exec, s[2:3]
                                        ; implicit-def: $vgpr19
	s_and_saveexec_b64 s[2:3], s[40:41]
	s_cbranch_execz .LBB986_69
.LBB986_281:
	v_lshlrev_b32_e32 v19, 1, v20
	global_load_ushort v19, v19, s[68:69]
	s_waitcnt vmcnt(0)
	v_sub_u16_e32 v19, 0, v19
	s_or_b64 exec, exec, s[2:3]
                                        ; implicit-def: $vgpr20
	s_and_saveexec_b64 s[2:3], s[42:43]
	s_cbranch_execz .LBB986_70
.LBB986_282:
	v_lshlrev_b32_e32 v20, 1, v21
	global_load_ushort v20, v20, s[68:69]
	s_waitcnt vmcnt(0)
	v_sub_u16_e32 v20, 0, v20
	s_or_b64 exec, exec, s[2:3]
                                        ; implicit-def: $vgpr21
	s_and_saveexec_b64 s[2:3], s[44:45]
	s_cbranch_execz .LBB986_71
.LBB986_283:
	v_lshlrev_b32_e32 v21, 1, v22
	global_load_ushort v21, v21, s[68:69]
	s_waitcnt vmcnt(0)
	v_sub_u16_e32 v21, 0, v21
	s_or_b64 exec, exec, s[2:3]
                                        ; implicit-def: $vgpr22
	s_and_saveexec_b64 s[2:3], s[46:47]
	s_cbranch_execz .LBB986_72
.LBB986_284:
	v_lshlrev_b32_e32 v22, 1, v24
	global_load_ushort v22, v22, s[68:69]
	s_waitcnt vmcnt(0)
	v_sub_u16_e32 v22, 0, v22
	s_or_b64 exec, exec, s[2:3]
                                        ; implicit-def: $vgpr24
	s_and_saveexec_b64 s[2:3], s[48:49]
	s_cbranch_execnz .LBB986_73
	s_branch .LBB986_74
.LBB986_285:
	v_add_u32_e32 v2, -1, v0
	v_lshrrev_b32_e32 v3, 5, v2
	v_add_lshl_u32 v2, v3, v2, 2
	ds_read_u16 v2, v2
	s_or_b64 exec, exec, s[48:49]
	s_and_saveexec_b64 s[48:49], s[2:3]
	s_cbranch_execz .LBB986_212
.LBB986_286:
	s_mov_b32 s2, 0x10000
	s_waitcnt lgkmcnt(0)
	v_and_b32_e32 v2, 0xffff, v2
	v_cmp_gt_u32_e64 s[2:3], s2, v1
	v_cndmask_b32_e64 v2, 0, v2, s[2:3]
	v_add_u32_e32 v1, v2, v1
	v_cndmask_b32_e64 v2, 0, v1, s[4:5]
	v_add_u16_e32 v4, v2, v16
	v_cndmask_b32_e64 v2, 0, v4, s[6:7]
	v_add_u16_e32 v5, v2, v17
	;; [unrolled: 2-line block ×21, first 2 shown]
	;;#ASMSTART
	;;#ASMEND
	s_or_b64 exec, exec, s[48:49]
	s_and_saveexec_b64 s[2:3], vcc
	s_cbranch_execnz .LBB986_213
	s_branch .LBB986_214
.LBB986_287:
                                        ; implicit-def: $sgpr52_sgpr53
	s_branch .LBB986_48
.LBB986_288:
                                        ; implicit-def: $sgpr2_sgpr3
	s_branch .LBB986_121
	.section	.rodata,"a",@progbits
	.p2align	6, 0x0
	.amdhsa_kernel _ZN7rocprim17ROCPRIM_400000_NS6detail17trampoline_kernelINS0_14default_configENS1_27scan_by_key_config_selectorIssEEZZNS1_16scan_by_key_implILNS1_25lookback_scan_determinismE0ELb0ES3_N6thrust23THRUST_200600_302600_NS6detail15normal_iteratorINS9_10device_ptrIsEEEENS9_18transform_iteratorINS9_6negateIsEESE_NS9_11use_defaultESI_EESE_sNS9_4plusIvEENS9_8equal_toIvEEsEE10hipError_tPvRmT2_T3_T4_T5_mT6_T7_P12ihipStream_tbENKUlT_T0_E_clISt17integral_constantIbLb1EES13_IbLb0EEEEDaSZ_S10_EUlSZ_E_NS1_11comp_targetILNS1_3genE4ELNS1_11target_archE910ELNS1_3gpuE8ELNS1_3repE0EEENS1_30default_config_static_selectorELNS0_4arch9wavefront6targetE1EEEvT1_
		.amdhsa_group_segment_fixed_size 12288
		.amdhsa_private_segment_fixed_size 0
		.amdhsa_kernarg_size 120
		.amdhsa_user_sgpr_count 6
		.amdhsa_user_sgpr_private_segment_buffer 1
		.amdhsa_user_sgpr_dispatch_ptr 0
		.amdhsa_user_sgpr_queue_ptr 0
		.amdhsa_user_sgpr_kernarg_segment_ptr 1
		.amdhsa_user_sgpr_dispatch_id 0
		.amdhsa_user_sgpr_flat_scratch_init 0
		.amdhsa_user_sgpr_kernarg_preload_length 0
		.amdhsa_user_sgpr_kernarg_preload_offset 0
		.amdhsa_user_sgpr_private_segment_size 0
		.amdhsa_uses_dynamic_stack 0
		.amdhsa_system_sgpr_private_segment_wavefront_offset 0
		.amdhsa_system_sgpr_workgroup_id_x 1
		.amdhsa_system_sgpr_workgroup_id_y 0
		.amdhsa_system_sgpr_workgroup_id_z 0
		.amdhsa_system_sgpr_workgroup_info 0
		.amdhsa_system_vgpr_workitem_id 0
		.amdhsa_next_free_vgpr 58
		.amdhsa_next_free_sgpr 78
		.amdhsa_accum_offset 60
		.amdhsa_reserve_vcc 1
		.amdhsa_reserve_flat_scratch 0
		.amdhsa_float_round_mode_32 0
		.amdhsa_float_round_mode_16_64 0
		.amdhsa_float_denorm_mode_32 3
		.amdhsa_float_denorm_mode_16_64 3
		.amdhsa_dx10_clamp 1
		.amdhsa_ieee_mode 1
		.amdhsa_fp16_overflow 0
		.amdhsa_tg_split 0
		.amdhsa_exception_fp_ieee_invalid_op 0
		.amdhsa_exception_fp_denorm_src 0
		.amdhsa_exception_fp_ieee_div_zero 0
		.amdhsa_exception_fp_ieee_overflow 0
		.amdhsa_exception_fp_ieee_underflow 0
		.amdhsa_exception_fp_ieee_inexact 0
		.amdhsa_exception_int_div_zero 0
	.end_amdhsa_kernel
	.section	.text._ZN7rocprim17ROCPRIM_400000_NS6detail17trampoline_kernelINS0_14default_configENS1_27scan_by_key_config_selectorIssEEZZNS1_16scan_by_key_implILNS1_25lookback_scan_determinismE0ELb0ES3_N6thrust23THRUST_200600_302600_NS6detail15normal_iteratorINS9_10device_ptrIsEEEENS9_18transform_iteratorINS9_6negateIsEESE_NS9_11use_defaultESI_EESE_sNS9_4plusIvEENS9_8equal_toIvEEsEE10hipError_tPvRmT2_T3_T4_T5_mT6_T7_P12ihipStream_tbENKUlT_T0_E_clISt17integral_constantIbLb1EES13_IbLb0EEEEDaSZ_S10_EUlSZ_E_NS1_11comp_targetILNS1_3genE4ELNS1_11target_archE910ELNS1_3gpuE8ELNS1_3repE0EEENS1_30default_config_static_selectorELNS0_4arch9wavefront6targetE1EEEvT1_,"axG",@progbits,_ZN7rocprim17ROCPRIM_400000_NS6detail17trampoline_kernelINS0_14default_configENS1_27scan_by_key_config_selectorIssEEZZNS1_16scan_by_key_implILNS1_25lookback_scan_determinismE0ELb0ES3_N6thrust23THRUST_200600_302600_NS6detail15normal_iteratorINS9_10device_ptrIsEEEENS9_18transform_iteratorINS9_6negateIsEESE_NS9_11use_defaultESI_EESE_sNS9_4plusIvEENS9_8equal_toIvEEsEE10hipError_tPvRmT2_T3_T4_T5_mT6_T7_P12ihipStream_tbENKUlT_T0_E_clISt17integral_constantIbLb1EES13_IbLb0EEEEDaSZ_S10_EUlSZ_E_NS1_11comp_targetILNS1_3genE4ELNS1_11target_archE910ELNS1_3gpuE8ELNS1_3repE0EEENS1_30default_config_static_selectorELNS0_4arch9wavefront6targetE1EEEvT1_,comdat
.Lfunc_end986:
	.size	_ZN7rocprim17ROCPRIM_400000_NS6detail17trampoline_kernelINS0_14default_configENS1_27scan_by_key_config_selectorIssEEZZNS1_16scan_by_key_implILNS1_25lookback_scan_determinismE0ELb0ES3_N6thrust23THRUST_200600_302600_NS6detail15normal_iteratorINS9_10device_ptrIsEEEENS9_18transform_iteratorINS9_6negateIsEESE_NS9_11use_defaultESI_EESE_sNS9_4plusIvEENS9_8equal_toIvEEsEE10hipError_tPvRmT2_T3_T4_T5_mT6_T7_P12ihipStream_tbENKUlT_T0_E_clISt17integral_constantIbLb1EES13_IbLb0EEEEDaSZ_S10_EUlSZ_E_NS1_11comp_targetILNS1_3genE4ELNS1_11target_archE910ELNS1_3gpuE8ELNS1_3repE0EEENS1_30default_config_static_selectorELNS0_4arch9wavefront6targetE1EEEvT1_, .Lfunc_end986-_ZN7rocprim17ROCPRIM_400000_NS6detail17trampoline_kernelINS0_14default_configENS1_27scan_by_key_config_selectorIssEEZZNS1_16scan_by_key_implILNS1_25lookback_scan_determinismE0ELb0ES3_N6thrust23THRUST_200600_302600_NS6detail15normal_iteratorINS9_10device_ptrIsEEEENS9_18transform_iteratorINS9_6negateIsEESE_NS9_11use_defaultESI_EESE_sNS9_4plusIvEENS9_8equal_toIvEEsEE10hipError_tPvRmT2_T3_T4_T5_mT6_T7_P12ihipStream_tbENKUlT_T0_E_clISt17integral_constantIbLb1EES13_IbLb0EEEEDaSZ_S10_EUlSZ_E_NS1_11comp_targetILNS1_3genE4ELNS1_11target_archE910ELNS1_3gpuE8ELNS1_3repE0EEENS1_30default_config_static_selectorELNS0_4arch9wavefront6targetE1EEEvT1_
                                        ; -- End function
	.section	.AMDGPU.csdata,"",@progbits
; Kernel info:
; codeLenInByte = 15676
; NumSgprs: 82
; NumVgprs: 58
; NumAgprs: 0
; TotalNumVgprs: 58
; ScratchSize: 0
; MemoryBound: 0
; FloatMode: 240
; IeeeMode: 1
; LDSByteSize: 12288 bytes/workgroup (compile time only)
; SGPRBlocks: 10
; VGPRBlocks: 7
; NumSGPRsForWavesPerEU: 82
; NumVGPRsForWavesPerEU: 58
; AccumOffset: 60
; Occupancy: 5
; WaveLimiterHint : 1
; COMPUTE_PGM_RSRC2:SCRATCH_EN: 0
; COMPUTE_PGM_RSRC2:USER_SGPR: 6
; COMPUTE_PGM_RSRC2:TRAP_HANDLER: 0
; COMPUTE_PGM_RSRC2:TGID_X_EN: 1
; COMPUTE_PGM_RSRC2:TGID_Y_EN: 0
; COMPUTE_PGM_RSRC2:TGID_Z_EN: 0
; COMPUTE_PGM_RSRC2:TIDIG_COMP_CNT: 0
; COMPUTE_PGM_RSRC3_GFX90A:ACCUM_OFFSET: 14
; COMPUTE_PGM_RSRC3_GFX90A:TG_SPLIT: 0
	.section	.text._ZN7rocprim17ROCPRIM_400000_NS6detail17trampoline_kernelINS0_14default_configENS1_27scan_by_key_config_selectorIssEEZZNS1_16scan_by_key_implILNS1_25lookback_scan_determinismE0ELb0ES3_N6thrust23THRUST_200600_302600_NS6detail15normal_iteratorINS9_10device_ptrIsEEEENS9_18transform_iteratorINS9_6negateIsEESE_NS9_11use_defaultESI_EESE_sNS9_4plusIvEENS9_8equal_toIvEEsEE10hipError_tPvRmT2_T3_T4_T5_mT6_T7_P12ihipStream_tbENKUlT_T0_E_clISt17integral_constantIbLb1EES13_IbLb0EEEEDaSZ_S10_EUlSZ_E_NS1_11comp_targetILNS1_3genE3ELNS1_11target_archE908ELNS1_3gpuE7ELNS1_3repE0EEENS1_30default_config_static_selectorELNS0_4arch9wavefront6targetE1EEEvT1_,"axG",@progbits,_ZN7rocprim17ROCPRIM_400000_NS6detail17trampoline_kernelINS0_14default_configENS1_27scan_by_key_config_selectorIssEEZZNS1_16scan_by_key_implILNS1_25lookback_scan_determinismE0ELb0ES3_N6thrust23THRUST_200600_302600_NS6detail15normal_iteratorINS9_10device_ptrIsEEEENS9_18transform_iteratorINS9_6negateIsEESE_NS9_11use_defaultESI_EESE_sNS9_4plusIvEENS9_8equal_toIvEEsEE10hipError_tPvRmT2_T3_T4_T5_mT6_T7_P12ihipStream_tbENKUlT_T0_E_clISt17integral_constantIbLb1EES13_IbLb0EEEEDaSZ_S10_EUlSZ_E_NS1_11comp_targetILNS1_3genE3ELNS1_11target_archE908ELNS1_3gpuE7ELNS1_3repE0EEENS1_30default_config_static_selectorELNS0_4arch9wavefront6targetE1EEEvT1_,comdat
	.protected	_ZN7rocprim17ROCPRIM_400000_NS6detail17trampoline_kernelINS0_14default_configENS1_27scan_by_key_config_selectorIssEEZZNS1_16scan_by_key_implILNS1_25lookback_scan_determinismE0ELb0ES3_N6thrust23THRUST_200600_302600_NS6detail15normal_iteratorINS9_10device_ptrIsEEEENS9_18transform_iteratorINS9_6negateIsEESE_NS9_11use_defaultESI_EESE_sNS9_4plusIvEENS9_8equal_toIvEEsEE10hipError_tPvRmT2_T3_T4_T5_mT6_T7_P12ihipStream_tbENKUlT_T0_E_clISt17integral_constantIbLb1EES13_IbLb0EEEEDaSZ_S10_EUlSZ_E_NS1_11comp_targetILNS1_3genE3ELNS1_11target_archE908ELNS1_3gpuE7ELNS1_3repE0EEENS1_30default_config_static_selectorELNS0_4arch9wavefront6targetE1EEEvT1_ ; -- Begin function _ZN7rocprim17ROCPRIM_400000_NS6detail17trampoline_kernelINS0_14default_configENS1_27scan_by_key_config_selectorIssEEZZNS1_16scan_by_key_implILNS1_25lookback_scan_determinismE0ELb0ES3_N6thrust23THRUST_200600_302600_NS6detail15normal_iteratorINS9_10device_ptrIsEEEENS9_18transform_iteratorINS9_6negateIsEESE_NS9_11use_defaultESI_EESE_sNS9_4plusIvEENS9_8equal_toIvEEsEE10hipError_tPvRmT2_T3_T4_T5_mT6_T7_P12ihipStream_tbENKUlT_T0_E_clISt17integral_constantIbLb1EES13_IbLb0EEEEDaSZ_S10_EUlSZ_E_NS1_11comp_targetILNS1_3genE3ELNS1_11target_archE908ELNS1_3gpuE7ELNS1_3repE0EEENS1_30default_config_static_selectorELNS0_4arch9wavefront6targetE1EEEvT1_
	.globl	_ZN7rocprim17ROCPRIM_400000_NS6detail17trampoline_kernelINS0_14default_configENS1_27scan_by_key_config_selectorIssEEZZNS1_16scan_by_key_implILNS1_25lookback_scan_determinismE0ELb0ES3_N6thrust23THRUST_200600_302600_NS6detail15normal_iteratorINS9_10device_ptrIsEEEENS9_18transform_iteratorINS9_6negateIsEESE_NS9_11use_defaultESI_EESE_sNS9_4plusIvEENS9_8equal_toIvEEsEE10hipError_tPvRmT2_T3_T4_T5_mT6_T7_P12ihipStream_tbENKUlT_T0_E_clISt17integral_constantIbLb1EES13_IbLb0EEEEDaSZ_S10_EUlSZ_E_NS1_11comp_targetILNS1_3genE3ELNS1_11target_archE908ELNS1_3gpuE7ELNS1_3repE0EEENS1_30default_config_static_selectorELNS0_4arch9wavefront6targetE1EEEvT1_
	.p2align	8
	.type	_ZN7rocprim17ROCPRIM_400000_NS6detail17trampoline_kernelINS0_14default_configENS1_27scan_by_key_config_selectorIssEEZZNS1_16scan_by_key_implILNS1_25lookback_scan_determinismE0ELb0ES3_N6thrust23THRUST_200600_302600_NS6detail15normal_iteratorINS9_10device_ptrIsEEEENS9_18transform_iteratorINS9_6negateIsEESE_NS9_11use_defaultESI_EESE_sNS9_4plusIvEENS9_8equal_toIvEEsEE10hipError_tPvRmT2_T3_T4_T5_mT6_T7_P12ihipStream_tbENKUlT_T0_E_clISt17integral_constantIbLb1EES13_IbLb0EEEEDaSZ_S10_EUlSZ_E_NS1_11comp_targetILNS1_3genE3ELNS1_11target_archE908ELNS1_3gpuE7ELNS1_3repE0EEENS1_30default_config_static_selectorELNS0_4arch9wavefront6targetE1EEEvT1_,@function
_ZN7rocprim17ROCPRIM_400000_NS6detail17trampoline_kernelINS0_14default_configENS1_27scan_by_key_config_selectorIssEEZZNS1_16scan_by_key_implILNS1_25lookback_scan_determinismE0ELb0ES3_N6thrust23THRUST_200600_302600_NS6detail15normal_iteratorINS9_10device_ptrIsEEEENS9_18transform_iteratorINS9_6negateIsEESE_NS9_11use_defaultESI_EESE_sNS9_4plusIvEENS9_8equal_toIvEEsEE10hipError_tPvRmT2_T3_T4_T5_mT6_T7_P12ihipStream_tbENKUlT_T0_E_clISt17integral_constantIbLb1EES13_IbLb0EEEEDaSZ_S10_EUlSZ_E_NS1_11comp_targetILNS1_3genE3ELNS1_11target_archE908ELNS1_3gpuE7ELNS1_3repE0EEENS1_30default_config_static_selectorELNS0_4arch9wavefront6targetE1EEEvT1_: ; @_ZN7rocprim17ROCPRIM_400000_NS6detail17trampoline_kernelINS0_14default_configENS1_27scan_by_key_config_selectorIssEEZZNS1_16scan_by_key_implILNS1_25lookback_scan_determinismE0ELb0ES3_N6thrust23THRUST_200600_302600_NS6detail15normal_iteratorINS9_10device_ptrIsEEEENS9_18transform_iteratorINS9_6negateIsEESE_NS9_11use_defaultESI_EESE_sNS9_4plusIvEENS9_8equal_toIvEEsEE10hipError_tPvRmT2_T3_T4_T5_mT6_T7_P12ihipStream_tbENKUlT_T0_E_clISt17integral_constantIbLb1EES13_IbLb0EEEEDaSZ_S10_EUlSZ_E_NS1_11comp_targetILNS1_3genE3ELNS1_11target_archE908ELNS1_3gpuE7ELNS1_3repE0EEENS1_30default_config_static_selectorELNS0_4arch9wavefront6targetE1EEEvT1_
; %bb.0:
	.section	.rodata,"a",@progbits
	.p2align	6, 0x0
	.amdhsa_kernel _ZN7rocprim17ROCPRIM_400000_NS6detail17trampoline_kernelINS0_14default_configENS1_27scan_by_key_config_selectorIssEEZZNS1_16scan_by_key_implILNS1_25lookback_scan_determinismE0ELb0ES3_N6thrust23THRUST_200600_302600_NS6detail15normal_iteratorINS9_10device_ptrIsEEEENS9_18transform_iteratorINS9_6negateIsEESE_NS9_11use_defaultESI_EESE_sNS9_4plusIvEENS9_8equal_toIvEEsEE10hipError_tPvRmT2_T3_T4_T5_mT6_T7_P12ihipStream_tbENKUlT_T0_E_clISt17integral_constantIbLb1EES13_IbLb0EEEEDaSZ_S10_EUlSZ_E_NS1_11comp_targetILNS1_3genE3ELNS1_11target_archE908ELNS1_3gpuE7ELNS1_3repE0EEENS1_30default_config_static_selectorELNS0_4arch9wavefront6targetE1EEEvT1_
		.amdhsa_group_segment_fixed_size 0
		.amdhsa_private_segment_fixed_size 0
		.amdhsa_kernarg_size 120
		.amdhsa_user_sgpr_count 6
		.amdhsa_user_sgpr_private_segment_buffer 1
		.amdhsa_user_sgpr_dispatch_ptr 0
		.amdhsa_user_sgpr_queue_ptr 0
		.amdhsa_user_sgpr_kernarg_segment_ptr 1
		.amdhsa_user_sgpr_dispatch_id 0
		.amdhsa_user_sgpr_flat_scratch_init 0
		.amdhsa_user_sgpr_kernarg_preload_length 0
		.amdhsa_user_sgpr_kernarg_preload_offset 0
		.amdhsa_user_sgpr_private_segment_size 0
		.amdhsa_uses_dynamic_stack 0
		.amdhsa_system_sgpr_private_segment_wavefront_offset 0
		.amdhsa_system_sgpr_workgroup_id_x 1
		.amdhsa_system_sgpr_workgroup_id_y 0
		.amdhsa_system_sgpr_workgroup_id_z 0
		.amdhsa_system_sgpr_workgroup_info 0
		.amdhsa_system_vgpr_workitem_id 0
		.amdhsa_next_free_vgpr 1
		.amdhsa_next_free_sgpr 0
		.amdhsa_accum_offset 4
		.amdhsa_reserve_vcc 0
		.amdhsa_reserve_flat_scratch 0
		.amdhsa_float_round_mode_32 0
		.amdhsa_float_round_mode_16_64 0
		.amdhsa_float_denorm_mode_32 3
		.amdhsa_float_denorm_mode_16_64 3
		.amdhsa_dx10_clamp 1
		.amdhsa_ieee_mode 1
		.amdhsa_fp16_overflow 0
		.amdhsa_tg_split 0
		.amdhsa_exception_fp_ieee_invalid_op 0
		.amdhsa_exception_fp_denorm_src 0
		.amdhsa_exception_fp_ieee_div_zero 0
		.amdhsa_exception_fp_ieee_overflow 0
		.amdhsa_exception_fp_ieee_underflow 0
		.amdhsa_exception_fp_ieee_inexact 0
		.amdhsa_exception_int_div_zero 0
	.end_amdhsa_kernel
	.section	.text._ZN7rocprim17ROCPRIM_400000_NS6detail17trampoline_kernelINS0_14default_configENS1_27scan_by_key_config_selectorIssEEZZNS1_16scan_by_key_implILNS1_25lookback_scan_determinismE0ELb0ES3_N6thrust23THRUST_200600_302600_NS6detail15normal_iteratorINS9_10device_ptrIsEEEENS9_18transform_iteratorINS9_6negateIsEESE_NS9_11use_defaultESI_EESE_sNS9_4plusIvEENS9_8equal_toIvEEsEE10hipError_tPvRmT2_T3_T4_T5_mT6_T7_P12ihipStream_tbENKUlT_T0_E_clISt17integral_constantIbLb1EES13_IbLb0EEEEDaSZ_S10_EUlSZ_E_NS1_11comp_targetILNS1_3genE3ELNS1_11target_archE908ELNS1_3gpuE7ELNS1_3repE0EEENS1_30default_config_static_selectorELNS0_4arch9wavefront6targetE1EEEvT1_,"axG",@progbits,_ZN7rocprim17ROCPRIM_400000_NS6detail17trampoline_kernelINS0_14default_configENS1_27scan_by_key_config_selectorIssEEZZNS1_16scan_by_key_implILNS1_25lookback_scan_determinismE0ELb0ES3_N6thrust23THRUST_200600_302600_NS6detail15normal_iteratorINS9_10device_ptrIsEEEENS9_18transform_iteratorINS9_6negateIsEESE_NS9_11use_defaultESI_EESE_sNS9_4plusIvEENS9_8equal_toIvEEsEE10hipError_tPvRmT2_T3_T4_T5_mT6_T7_P12ihipStream_tbENKUlT_T0_E_clISt17integral_constantIbLb1EES13_IbLb0EEEEDaSZ_S10_EUlSZ_E_NS1_11comp_targetILNS1_3genE3ELNS1_11target_archE908ELNS1_3gpuE7ELNS1_3repE0EEENS1_30default_config_static_selectorELNS0_4arch9wavefront6targetE1EEEvT1_,comdat
.Lfunc_end987:
	.size	_ZN7rocprim17ROCPRIM_400000_NS6detail17trampoline_kernelINS0_14default_configENS1_27scan_by_key_config_selectorIssEEZZNS1_16scan_by_key_implILNS1_25lookback_scan_determinismE0ELb0ES3_N6thrust23THRUST_200600_302600_NS6detail15normal_iteratorINS9_10device_ptrIsEEEENS9_18transform_iteratorINS9_6negateIsEESE_NS9_11use_defaultESI_EESE_sNS9_4plusIvEENS9_8equal_toIvEEsEE10hipError_tPvRmT2_T3_T4_T5_mT6_T7_P12ihipStream_tbENKUlT_T0_E_clISt17integral_constantIbLb1EES13_IbLb0EEEEDaSZ_S10_EUlSZ_E_NS1_11comp_targetILNS1_3genE3ELNS1_11target_archE908ELNS1_3gpuE7ELNS1_3repE0EEENS1_30default_config_static_selectorELNS0_4arch9wavefront6targetE1EEEvT1_, .Lfunc_end987-_ZN7rocprim17ROCPRIM_400000_NS6detail17trampoline_kernelINS0_14default_configENS1_27scan_by_key_config_selectorIssEEZZNS1_16scan_by_key_implILNS1_25lookback_scan_determinismE0ELb0ES3_N6thrust23THRUST_200600_302600_NS6detail15normal_iteratorINS9_10device_ptrIsEEEENS9_18transform_iteratorINS9_6negateIsEESE_NS9_11use_defaultESI_EESE_sNS9_4plusIvEENS9_8equal_toIvEEsEE10hipError_tPvRmT2_T3_T4_T5_mT6_T7_P12ihipStream_tbENKUlT_T0_E_clISt17integral_constantIbLb1EES13_IbLb0EEEEDaSZ_S10_EUlSZ_E_NS1_11comp_targetILNS1_3genE3ELNS1_11target_archE908ELNS1_3gpuE7ELNS1_3repE0EEENS1_30default_config_static_selectorELNS0_4arch9wavefront6targetE1EEEvT1_
                                        ; -- End function
	.section	.AMDGPU.csdata,"",@progbits
; Kernel info:
; codeLenInByte = 0
; NumSgprs: 4
; NumVgprs: 0
; NumAgprs: 0
; TotalNumVgprs: 0
; ScratchSize: 0
; MemoryBound: 0
; FloatMode: 240
; IeeeMode: 1
; LDSByteSize: 0 bytes/workgroup (compile time only)
; SGPRBlocks: 0
; VGPRBlocks: 0
; NumSGPRsForWavesPerEU: 4
; NumVGPRsForWavesPerEU: 1
; AccumOffset: 4
; Occupancy: 8
; WaveLimiterHint : 0
; COMPUTE_PGM_RSRC2:SCRATCH_EN: 0
; COMPUTE_PGM_RSRC2:USER_SGPR: 6
; COMPUTE_PGM_RSRC2:TRAP_HANDLER: 0
; COMPUTE_PGM_RSRC2:TGID_X_EN: 1
; COMPUTE_PGM_RSRC2:TGID_Y_EN: 0
; COMPUTE_PGM_RSRC2:TGID_Z_EN: 0
; COMPUTE_PGM_RSRC2:TIDIG_COMP_CNT: 0
; COMPUTE_PGM_RSRC3_GFX90A:ACCUM_OFFSET: 0
; COMPUTE_PGM_RSRC3_GFX90A:TG_SPLIT: 0
	.section	.text._ZN7rocprim17ROCPRIM_400000_NS6detail17trampoline_kernelINS0_14default_configENS1_27scan_by_key_config_selectorIssEEZZNS1_16scan_by_key_implILNS1_25lookback_scan_determinismE0ELb0ES3_N6thrust23THRUST_200600_302600_NS6detail15normal_iteratorINS9_10device_ptrIsEEEENS9_18transform_iteratorINS9_6negateIsEESE_NS9_11use_defaultESI_EESE_sNS9_4plusIvEENS9_8equal_toIvEEsEE10hipError_tPvRmT2_T3_T4_T5_mT6_T7_P12ihipStream_tbENKUlT_T0_E_clISt17integral_constantIbLb1EES13_IbLb0EEEEDaSZ_S10_EUlSZ_E_NS1_11comp_targetILNS1_3genE2ELNS1_11target_archE906ELNS1_3gpuE6ELNS1_3repE0EEENS1_30default_config_static_selectorELNS0_4arch9wavefront6targetE1EEEvT1_,"axG",@progbits,_ZN7rocprim17ROCPRIM_400000_NS6detail17trampoline_kernelINS0_14default_configENS1_27scan_by_key_config_selectorIssEEZZNS1_16scan_by_key_implILNS1_25lookback_scan_determinismE0ELb0ES3_N6thrust23THRUST_200600_302600_NS6detail15normal_iteratorINS9_10device_ptrIsEEEENS9_18transform_iteratorINS9_6negateIsEESE_NS9_11use_defaultESI_EESE_sNS9_4plusIvEENS9_8equal_toIvEEsEE10hipError_tPvRmT2_T3_T4_T5_mT6_T7_P12ihipStream_tbENKUlT_T0_E_clISt17integral_constantIbLb1EES13_IbLb0EEEEDaSZ_S10_EUlSZ_E_NS1_11comp_targetILNS1_3genE2ELNS1_11target_archE906ELNS1_3gpuE6ELNS1_3repE0EEENS1_30default_config_static_selectorELNS0_4arch9wavefront6targetE1EEEvT1_,comdat
	.protected	_ZN7rocprim17ROCPRIM_400000_NS6detail17trampoline_kernelINS0_14default_configENS1_27scan_by_key_config_selectorIssEEZZNS1_16scan_by_key_implILNS1_25lookback_scan_determinismE0ELb0ES3_N6thrust23THRUST_200600_302600_NS6detail15normal_iteratorINS9_10device_ptrIsEEEENS9_18transform_iteratorINS9_6negateIsEESE_NS9_11use_defaultESI_EESE_sNS9_4plusIvEENS9_8equal_toIvEEsEE10hipError_tPvRmT2_T3_T4_T5_mT6_T7_P12ihipStream_tbENKUlT_T0_E_clISt17integral_constantIbLb1EES13_IbLb0EEEEDaSZ_S10_EUlSZ_E_NS1_11comp_targetILNS1_3genE2ELNS1_11target_archE906ELNS1_3gpuE6ELNS1_3repE0EEENS1_30default_config_static_selectorELNS0_4arch9wavefront6targetE1EEEvT1_ ; -- Begin function _ZN7rocprim17ROCPRIM_400000_NS6detail17trampoline_kernelINS0_14default_configENS1_27scan_by_key_config_selectorIssEEZZNS1_16scan_by_key_implILNS1_25lookback_scan_determinismE0ELb0ES3_N6thrust23THRUST_200600_302600_NS6detail15normal_iteratorINS9_10device_ptrIsEEEENS9_18transform_iteratorINS9_6negateIsEESE_NS9_11use_defaultESI_EESE_sNS9_4plusIvEENS9_8equal_toIvEEsEE10hipError_tPvRmT2_T3_T4_T5_mT6_T7_P12ihipStream_tbENKUlT_T0_E_clISt17integral_constantIbLb1EES13_IbLb0EEEEDaSZ_S10_EUlSZ_E_NS1_11comp_targetILNS1_3genE2ELNS1_11target_archE906ELNS1_3gpuE6ELNS1_3repE0EEENS1_30default_config_static_selectorELNS0_4arch9wavefront6targetE1EEEvT1_
	.globl	_ZN7rocprim17ROCPRIM_400000_NS6detail17trampoline_kernelINS0_14default_configENS1_27scan_by_key_config_selectorIssEEZZNS1_16scan_by_key_implILNS1_25lookback_scan_determinismE0ELb0ES3_N6thrust23THRUST_200600_302600_NS6detail15normal_iteratorINS9_10device_ptrIsEEEENS9_18transform_iteratorINS9_6negateIsEESE_NS9_11use_defaultESI_EESE_sNS9_4plusIvEENS9_8equal_toIvEEsEE10hipError_tPvRmT2_T3_T4_T5_mT6_T7_P12ihipStream_tbENKUlT_T0_E_clISt17integral_constantIbLb1EES13_IbLb0EEEEDaSZ_S10_EUlSZ_E_NS1_11comp_targetILNS1_3genE2ELNS1_11target_archE906ELNS1_3gpuE6ELNS1_3repE0EEENS1_30default_config_static_selectorELNS0_4arch9wavefront6targetE1EEEvT1_
	.p2align	8
	.type	_ZN7rocprim17ROCPRIM_400000_NS6detail17trampoline_kernelINS0_14default_configENS1_27scan_by_key_config_selectorIssEEZZNS1_16scan_by_key_implILNS1_25lookback_scan_determinismE0ELb0ES3_N6thrust23THRUST_200600_302600_NS6detail15normal_iteratorINS9_10device_ptrIsEEEENS9_18transform_iteratorINS9_6negateIsEESE_NS9_11use_defaultESI_EESE_sNS9_4plusIvEENS9_8equal_toIvEEsEE10hipError_tPvRmT2_T3_T4_T5_mT6_T7_P12ihipStream_tbENKUlT_T0_E_clISt17integral_constantIbLb1EES13_IbLb0EEEEDaSZ_S10_EUlSZ_E_NS1_11comp_targetILNS1_3genE2ELNS1_11target_archE906ELNS1_3gpuE6ELNS1_3repE0EEENS1_30default_config_static_selectorELNS0_4arch9wavefront6targetE1EEEvT1_,@function
_ZN7rocprim17ROCPRIM_400000_NS6detail17trampoline_kernelINS0_14default_configENS1_27scan_by_key_config_selectorIssEEZZNS1_16scan_by_key_implILNS1_25lookback_scan_determinismE0ELb0ES3_N6thrust23THRUST_200600_302600_NS6detail15normal_iteratorINS9_10device_ptrIsEEEENS9_18transform_iteratorINS9_6negateIsEESE_NS9_11use_defaultESI_EESE_sNS9_4plusIvEENS9_8equal_toIvEEsEE10hipError_tPvRmT2_T3_T4_T5_mT6_T7_P12ihipStream_tbENKUlT_T0_E_clISt17integral_constantIbLb1EES13_IbLb0EEEEDaSZ_S10_EUlSZ_E_NS1_11comp_targetILNS1_3genE2ELNS1_11target_archE906ELNS1_3gpuE6ELNS1_3repE0EEENS1_30default_config_static_selectorELNS0_4arch9wavefront6targetE1EEEvT1_: ; @_ZN7rocprim17ROCPRIM_400000_NS6detail17trampoline_kernelINS0_14default_configENS1_27scan_by_key_config_selectorIssEEZZNS1_16scan_by_key_implILNS1_25lookback_scan_determinismE0ELb0ES3_N6thrust23THRUST_200600_302600_NS6detail15normal_iteratorINS9_10device_ptrIsEEEENS9_18transform_iteratorINS9_6negateIsEESE_NS9_11use_defaultESI_EESE_sNS9_4plusIvEENS9_8equal_toIvEEsEE10hipError_tPvRmT2_T3_T4_T5_mT6_T7_P12ihipStream_tbENKUlT_T0_E_clISt17integral_constantIbLb1EES13_IbLb0EEEEDaSZ_S10_EUlSZ_E_NS1_11comp_targetILNS1_3genE2ELNS1_11target_archE906ELNS1_3gpuE6ELNS1_3repE0EEENS1_30default_config_static_selectorELNS0_4arch9wavefront6targetE1EEEvT1_
; %bb.0:
	.section	.rodata,"a",@progbits
	.p2align	6, 0x0
	.amdhsa_kernel _ZN7rocprim17ROCPRIM_400000_NS6detail17trampoline_kernelINS0_14default_configENS1_27scan_by_key_config_selectorIssEEZZNS1_16scan_by_key_implILNS1_25lookback_scan_determinismE0ELb0ES3_N6thrust23THRUST_200600_302600_NS6detail15normal_iteratorINS9_10device_ptrIsEEEENS9_18transform_iteratorINS9_6negateIsEESE_NS9_11use_defaultESI_EESE_sNS9_4plusIvEENS9_8equal_toIvEEsEE10hipError_tPvRmT2_T3_T4_T5_mT6_T7_P12ihipStream_tbENKUlT_T0_E_clISt17integral_constantIbLb1EES13_IbLb0EEEEDaSZ_S10_EUlSZ_E_NS1_11comp_targetILNS1_3genE2ELNS1_11target_archE906ELNS1_3gpuE6ELNS1_3repE0EEENS1_30default_config_static_selectorELNS0_4arch9wavefront6targetE1EEEvT1_
		.amdhsa_group_segment_fixed_size 0
		.amdhsa_private_segment_fixed_size 0
		.amdhsa_kernarg_size 120
		.amdhsa_user_sgpr_count 6
		.amdhsa_user_sgpr_private_segment_buffer 1
		.amdhsa_user_sgpr_dispatch_ptr 0
		.amdhsa_user_sgpr_queue_ptr 0
		.amdhsa_user_sgpr_kernarg_segment_ptr 1
		.amdhsa_user_sgpr_dispatch_id 0
		.amdhsa_user_sgpr_flat_scratch_init 0
		.amdhsa_user_sgpr_kernarg_preload_length 0
		.amdhsa_user_sgpr_kernarg_preload_offset 0
		.amdhsa_user_sgpr_private_segment_size 0
		.amdhsa_uses_dynamic_stack 0
		.amdhsa_system_sgpr_private_segment_wavefront_offset 0
		.amdhsa_system_sgpr_workgroup_id_x 1
		.amdhsa_system_sgpr_workgroup_id_y 0
		.amdhsa_system_sgpr_workgroup_id_z 0
		.amdhsa_system_sgpr_workgroup_info 0
		.amdhsa_system_vgpr_workitem_id 0
		.amdhsa_next_free_vgpr 1
		.amdhsa_next_free_sgpr 0
		.amdhsa_accum_offset 4
		.amdhsa_reserve_vcc 0
		.amdhsa_reserve_flat_scratch 0
		.amdhsa_float_round_mode_32 0
		.amdhsa_float_round_mode_16_64 0
		.amdhsa_float_denorm_mode_32 3
		.amdhsa_float_denorm_mode_16_64 3
		.amdhsa_dx10_clamp 1
		.amdhsa_ieee_mode 1
		.amdhsa_fp16_overflow 0
		.amdhsa_tg_split 0
		.amdhsa_exception_fp_ieee_invalid_op 0
		.amdhsa_exception_fp_denorm_src 0
		.amdhsa_exception_fp_ieee_div_zero 0
		.amdhsa_exception_fp_ieee_overflow 0
		.amdhsa_exception_fp_ieee_underflow 0
		.amdhsa_exception_fp_ieee_inexact 0
		.amdhsa_exception_int_div_zero 0
	.end_amdhsa_kernel
	.section	.text._ZN7rocprim17ROCPRIM_400000_NS6detail17trampoline_kernelINS0_14default_configENS1_27scan_by_key_config_selectorIssEEZZNS1_16scan_by_key_implILNS1_25lookback_scan_determinismE0ELb0ES3_N6thrust23THRUST_200600_302600_NS6detail15normal_iteratorINS9_10device_ptrIsEEEENS9_18transform_iteratorINS9_6negateIsEESE_NS9_11use_defaultESI_EESE_sNS9_4plusIvEENS9_8equal_toIvEEsEE10hipError_tPvRmT2_T3_T4_T5_mT6_T7_P12ihipStream_tbENKUlT_T0_E_clISt17integral_constantIbLb1EES13_IbLb0EEEEDaSZ_S10_EUlSZ_E_NS1_11comp_targetILNS1_3genE2ELNS1_11target_archE906ELNS1_3gpuE6ELNS1_3repE0EEENS1_30default_config_static_selectorELNS0_4arch9wavefront6targetE1EEEvT1_,"axG",@progbits,_ZN7rocprim17ROCPRIM_400000_NS6detail17trampoline_kernelINS0_14default_configENS1_27scan_by_key_config_selectorIssEEZZNS1_16scan_by_key_implILNS1_25lookback_scan_determinismE0ELb0ES3_N6thrust23THRUST_200600_302600_NS6detail15normal_iteratorINS9_10device_ptrIsEEEENS9_18transform_iteratorINS9_6negateIsEESE_NS9_11use_defaultESI_EESE_sNS9_4plusIvEENS9_8equal_toIvEEsEE10hipError_tPvRmT2_T3_T4_T5_mT6_T7_P12ihipStream_tbENKUlT_T0_E_clISt17integral_constantIbLb1EES13_IbLb0EEEEDaSZ_S10_EUlSZ_E_NS1_11comp_targetILNS1_3genE2ELNS1_11target_archE906ELNS1_3gpuE6ELNS1_3repE0EEENS1_30default_config_static_selectorELNS0_4arch9wavefront6targetE1EEEvT1_,comdat
.Lfunc_end988:
	.size	_ZN7rocprim17ROCPRIM_400000_NS6detail17trampoline_kernelINS0_14default_configENS1_27scan_by_key_config_selectorIssEEZZNS1_16scan_by_key_implILNS1_25lookback_scan_determinismE0ELb0ES3_N6thrust23THRUST_200600_302600_NS6detail15normal_iteratorINS9_10device_ptrIsEEEENS9_18transform_iteratorINS9_6negateIsEESE_NS9_11use_defaultESI_EESE_sNS9_4plusIvEENS9_8equal_toIvEEsEE10hipError_tPvRmT2_T3_T4_T5_mT6_T7_P12ihipStream_tbENKUlT_T0_E_clISt17integral_constantIbLb1EES13_IbLb0EEEEDaSZ_S10_EUlSZ_E_NS1_11comp_targetILNS1_3genE2ELNS1_11target_archE906ELNS1_3gpuE6ELNS1_3repE0EEENS1_30default_config_static_selectorELNS0_4arch9wavefront6targetE1EEEvT1_, .Lfunc_end988-_ZN7rocprim17ROCPRIM_400000_NS6detail17trampoline_kernelINS0_14default_configENS1_27scan_by_key_config_selectorIssEEZZNS1_16scan_by_key_implILNS1_25lookback_scan_determinismE0ELb0ES3_N6thrust23THRUST_200600_302600_NS6detail15normal_iteratorINS9_10device_ptrIsEEEENS9_18transform_iteratorINS9_6negateIsEESE_NS9_11use_defaultESI_EESE_sNS9_4plusIvEENS9_8equal_toIvEEsEE10hipError_tPvRmT2_T3_T4_T5_mT6_T7_P12ihipStream_tbENKUlT_T0_E_clISt17integral_constantIbLb1EES13_IbLb0EEEEDaSZ_S10_EUlSZ_E_NS1_11comp_targetILNS1_3genE2ELNS1_11target_archE906ELNS1_3gpuE6ELNS1_3repE0EEENS1_30default_config_static_selectorELNS0_4arch9wavefront6targetE1EEEvT1_
                                        ; -- End function
	.section	.AMDGPU.csdata,"",@progbits
; Kernel info:
; codeLenInByte = 0
; NumSgprs: 4
; NumVgprs: 0
; NumAgprs: 0
; TotalNumVgprs: 0
; ScratchSize: 0
; MemoryBound: 0
; FloatMode: 240
; IeeeMode: 1
; LDSByteSize: 0 bytes/workgroup (compile time only)
; SGPRBlocks: 0
; VGPRBlocks: 0
; NumSGPRsForWavesPerEU: 4
; NumVGPRsForWavesPerEU: 1
; AccumOffset: 4
; Occupancy: 8
; WaveLimiterHint : 0
; COMPUTE_PGM_RSRC2:SCRATCH_EN: 0
; COMPUTE_PGM_RSRC2:USER_SGPR: 6
; COMPUTE_PGM_RSRC2:TRAP_HANDLER: 0
; COMPUTE_PGM_RSRC2:TGID_X_EN: 1
; COMPUTE_PGM_RSRC2:TGID_Y_EN: 0
; COMPUTE_PGM_RSRC2:TGID_Z_EN: 0
; COMPUTE_PGM_RSRC2:TIDIG_COMP_CNT: 0
; COMPUTE_PGM_RSRC3_GFX90A:ACCUM_OFFSET: 0
; COMPUTE_PGM_RSRC3_GFX90A:TG_SPLIT: 0
	.section	.text._ZN7rocprim17ROCPRIM_400000_NS6detail17trampoline_kernelINS0_14default_configENS1_27scan_by_key_config_selectorIssEEZZNS1_16scan_by_key_implILNS1_25lookback_scan_determinismE0ELb0ES3_N6thrust23THRUST_200600_302600_NS6detail15normal_iteratorINS9_10device_ptrIsEEEENS9_18transform_iteratorINS9_6negateIsEESE_NS9_11use_defaultESI_EESE_sNS9_4plusIvEENS9_8equal_toIvEEsEE10hipError_tPvRmT2_T3_T4_T5_mT6_T7_P12ihipStream_tbENKUlT_T0_E_clISt17integral_constantIbLb1EES13_IbLb0EEEEDaSZ_S10_EUlSZ_E_NS1_11comp_targetILNS1_3genE10ELNS1_11target_archE1200ELNS1_3gpuE4ELNS1_3repE0EEENS1_30default_config_static_selectorELNS0_4arch9wavefront6targetE1EEEvT1_,"axG",@progbits,_ZN7rocprim17ROCPRIM_400000_NS6detail17trampoline_kernelINS0_14default_configENS1_27scan_by_key_config_selectorIssEEZZNS1_16scan_by_key_implILNS1_25lookback_scan_determinismE0ELb0ES3_N6thrust23THRUST_200600_302600_NS6detail15normal_iteratorINS9_10device_ptrIsEEEENS9_18transform_iteratorINS9_6negateIsEESE_NS9_11use_defaultESI_EESE_sNS9_4plusIvEENS9_8equal_toIvEEsEE10hipError_tPvRmT2_T3_T4_T5_mT6_T7_P12ihipStream_tbENKUlT_T0_E_clISt17integral_constantIbLb1EES13_IbLb0EEEEDaSZ_S10_EUlSZ_E_NS1_11comp_targetILNS1_3genE10ELNS1_11target_archE1200ELNS1_3gpuE4ELNS1_3repE0EEENS1_30default_config_static_selectorELNS0_4arch9wavefront6targetE1EEEvT1_,comdat
	.protected	_ZN7rocprim17ROCPRIM_400000_NS6detail17trampoline_kernelINS0_14default_configENS1_27scan_by_key_config_selectorIssEEZZNS1_16scan_by_key_implILNS1_25lookback_scan_determinismE0ELb0ES3_N6thrust23THRUST_200600_302600_NS6detail15normal_iteratorINS9_10device_ptrIsEEEENS9_18transform_iteratorINS9_6negateIsEESE_NS9_11use_defaultESI_EESE_sNS9_4plusIvEENS9_8equal_toIvEEsEE10hipError_tPvRmT2_T3_T4_T5_mT6_T7_P12ihipStream_tbENKUlT_T0_E_clISt17integral_constantIbLb1EES13_IbLb0EEEEDaSZ_S10_EUlSZ_E_NS1_11comp_targetILNS1_3genE10ELNS1_11target_archE1200ELNS1_3gpuE4ELNS1_3repE0EEENS1_30default_config_static_selectorELNS0_4arch9wavefront6targetE1EEEvT1_ ; -- Begin function _ZN7rocprim17ROCPRIM_400000_NS6detail17trampoline_kernelINS0_14default_configENS1_27scan_by_key_config_selectorIssEEZZNS1_16scan_by_key_implILNS1_25lookback_scan_determinismE0ELb0ES3_N6thrust23THRUST_200600_302600_NS6detail15normal_iteratorINS9_10device_ptrIsEEEENS9_18transform_iteratorINS9_6negateIsEESE_NS9_11use_defaultESI_EESE_sNS9_4plusIvEENS9_8equal_toIvEEsEE10hipError_tPvRmT2_T3_T4_T5_mT6_T7_P12ihipStream_tbENKUlT_T0_E_clISt17integral_constantIbLb1EES13_IbLb0EEEEDaSZ_S10_EUlSZ_E_NS1_11comp_targetILNS1_3genE10ELNS1_11target_archE1200ELNS1_3gpuE4ELNS1_3repE0EEENS1_30default_config_static_selectorELNS0_4arch9wavefront6targetE1EEEvT1_
	.globl	_ZN7rocprim17ROCPRIM_400000_NS6detail17trampoline_kernelINS0_14default_configENS1_27scan_by_key_config_selectorIssEEZZNS1_16scan_by_key_implILNS1_25lookback_scan_determinismE0ELb0ES3_N6thrust23THRUST_200600_302600_NS6detail15normal_iteratorINS9_10device_ptrIsEEEENS9_18transform_iteratorINS9_6negateIsEESE_NS9_11use_defaultESI_EESE_sNS9_4plusIvEENS9_8equal_toIvEEsEE10hipError_tPvRmT2_T3_T4_T5_mT6_T7_P12ihipStream_tbENKUlT_T0_E_clISt17integral_constantIbLb1EES13_IbLb0EEEEDaSZ_S10_EUlSZ_E_NS1_11comp_targetILNS1_3genE10ELNS1_11target_archE1200ELNS1_3gpuE4ELNS1_3repE0EEENS1_30default_config_static_selectorELNS0_4arch9wavefront6targetE1EEEvT1_
	.p2align	8
	.type	_ZN7rocprim17ROCPRIM_400000_NS6detail17trampoline_kernelINS0_14default_configENS1_27scan_by_key_config_selectorIssEEZZNS1_16scan_by_key_implILNS1_25lookback_scan_determinismE0ELb0ES3_N6thrust23THRUST_200600_302600_NS6detail15normal_iteratorINS9_10device_ptrIsEEEENS9_18transform_iteratorINS9_6negateIsEESE_NS9_11use_defaultESI_EESE_sNS9_4plusIvEENS9_8equal_toIvEEsEE10hipError_tPvRmT2_T3_T4_T5_mT6_T7_P12ihipStream_tbENKUlT_T0_E_clISt17integral_constantIbLb1EES13_IbLb0EEEEDaSZ_S10_EUlSZ_E_NS1_11comp_targetILNS1_3genE10ELNS1_11target_archE1200ELNS1_3gpuE4ELNS1_3repE0EEENS1_30default_config_static_selectorELNS0_4arch9wavefront6targetE1EEEvT1_,@function
_ZN7rocprim17ROCPRIM_400000_NS6detail17trampoline_kernelINS0_14default_configENS1_27scan_by_key_config_selectorIssEEZZNS1_16scan_by_key_implILNS1_25lookback_scan_determinismE0ELb0ES3_N6thrust23THRUST_200600_302600_NS6detail15normal_iteratorINS9_10device_ptrIsEEEENS9_18transform_iteratorINS9_6negateIsEESE_NS9_11use_defaultESI_EESE_sNS9_4plusIvEENS9_8equal_toIvEEsEE10hipError_tPvRmT2_T3_T4_T5_mT6_T7_P12ihipStream_tbENKUlT_T0_E_clISt17integral_constantIbLb1EES13_IbLb0EEEEDaSZ_S10_EUlSZ_E_NS1_11comp_targetILNS1_3genE10ELNS1_11target_archE1200ELNS1_3gpuE4ELNS1_3repE0EEENS1_30default_config_static_selectorELNS0_4arch9wavefront6targetE1EEEvT1_: ; @_ZN7rocprim17ROCPRIM_400000_NS6detail17trampoline_kernelINS0_14default_configENS1_27scan_by_key_config_selectorIssEEZZNS1_16scan_by_key_implILNS1_25lookback_scan_determinismE0ELb0ES3_N6thrust23THRUST_200600_302600_NS6detail15normal_iteratorINS9_10device_ptrIsEEEENS9_18transform_iteratorINS9_6negateIsEESE_NS9_11use_defaultESI_EESE_sNS9_4plusIvEENS9_8equal_toIvEEsEE10hipError_tPvRmT2_T3_T4_T5_mT6_T7_P12ihipStream_tbENKUlT_T0_E_clISt17integral_constantIbLb1EES13_IbLb0EEEEDaSZ_S10_EUlSZ_E_NS1_11comp_targetILNS1_3genE10ELNS1_11target_archE1200ELNS1_3gpuE4ELNS1_3repE0EEENS1_30default_config_static_selectorELNS0_4arch9wavefront6targetE1EEEvT1_
; %bb.0:
	.section	.rodata,"a",@progbits
	.p2align	6, 0x0
	.amdhsa_kernel _ZN7rocprim17ROCPRIM_400000_NS6detail17trampoline_kernelINS0_14default_configENS1_27scan_by_key_config_selectorIssEEZZNS1_16scan_by_key_implILNS1_25lookback_scan_determinismE0ELb0ES3_N6thrust23THRUST_200600_302600_NS6detail15normal_iteratorINS9_10device_ptrIsEEEENS9_18transform_iteratorINS9_6negateIsEESE_NS9_11use_defaultESI_EESE_sNS9_4plusIvEENS9_8equal_toIvEEsEE10hipError_tPvRmT2_T3_T4_T5_mT6_T7_P12ihipStream_tbENKUlT_T0_E_clISt17integral_constantIbLb1EES13_IbLb0EEEEDaSZ_S10_EUlSZ_E_NS1_11comp_targetILNS1_3genE10ELNS1_11target_archE1200ELNS1_3gpuE4ELNS1_3repE0EEENS1_30default_config_static_selectorELNS0_4arch9wavefront6targetE1EEEvT1_
		.amdhsa_group_segment_fixed_size 0
		.amdhsa_private_segment_fixed_size 0
		.amdhsa_kernarg_size 120
		.amdhsa_user_sgpr_count 6
		.amdhsa_user_sgpr_private_segment_buffer 1
		.amdhsa_user_sgpr_dispatch_ptr 0
		.amdhsa_user_sgpr_queue_ptr 0
		.amdhsa_user_sgpr_kernarg_segment_ptr 1
		.amdhsa_user_sgpr_dispatch_id 0
		.amdhsa_user_sgpr_flat_scratch_init 0
		.amdhsa_user_sgpr_kernarg_preload_length 0
		.amdhsa_user_sgpr_kernarg_preload_offset 0
		.amdhsa_user_sgpr_private_segment_size 0
		.amdhsa_uses_dynamic_stack 0
		.amdhsa_system_sgpr_private_segment_wavefront_offset 0
		.amdhsa_system_sgpr_workgroup_id_x 1
		.amdhsa_system_sgpr_workgroup_id_y 0
		.amdhsa_system_sgpr_workgroup_id_z 0
		.amdhsa_system_sgpr_workgroup_info 0
		.amdhsa_system_vgpr_workitem_id 0
		.amdhsa_next_free_vgpr 1
		.amdhsa_next_free_sgpr 0
		.amdhsa_accum_offset 4
		.amdhsa_reserve_vcc 0
		.amdhsa_reserve_flat_scratch 0
		.amdhsa_float_round_mode_32 0
		.amdhsa_float_round_mode_16_64 0
		.amdhsa_float_denorm_mode_32 3
		.amdhsa_float_denorm_mode_16_64 3
		.amdhsa_dx10_clamp 1
		.amdhsa_ieee_mode 1
		.amdhsa_fp16_overflow 0
		.amdhsa_tg_split 0
		.amdhsa_exception_fp_ieee_invalid_op 0
		.amdhsa_exception_fp_denorm_src 0
		.amdhsa_exception_fp_ieee_div_zero 0
		.amdhsa_exception_fp_ieee_overflow 0
		.amdhsa_exception_fp_ieee_underflow 0
		.amdhsa_exception_fp_ieee_inexact 0
		.amdhsa_exception_int_div_zero 0
	.end_amdhsa_kernel
	.section	.text._ZN7rocprim17ROCPRIM_400000_NS6detail17trampoline_kernelINS0_14default_configENS1_27scan_by_key_config_selectorIssEEZZNS1_16scan_by_key_implILNS1_25lookback_scan_determinismE0ELb0ES3_N6thrust23THRUST_200600_302600_NS6detail15normal_iteratorINS9_10device_ptrIsEEEENS9_18transform_iteratorINS9_6negateIsEESE_NS9_11use_defaultESI_EESE_sNS9_4plusIvEENS9_8equal_toIvEEsEE10hipError_tPvRmT2_T3_T4_T5_mT6_T7_P12ihipStream_tbENKUlT_T0_E_clISt17integral_constantIbLb1EES13_IbLb0EEEEDaSZ_S10_EUlSZ_E_NS1_11comp_targetILNS1_3genE10ELNS1_11target_archE1200ELNS1_3gpuE4ELNS1_3repE0EEENS1_30default_config_static_selectorELNS0_4arch9wavefront6targetE1EEEvT1_,"axG",@progbits,_ZN7rocprim17ROCPRIM_400000_NS6detail17trampoline_kernelINS0_14default_configENS1_27scan_by_key_config_selectorIssEEZZNS1_16scan_by_key_implILNS1_25lookback_scan_determinismE0ELb0ES3_N6thrust23THRUST_200600_302600_NS6detail15normal_iteratorINS9_10device_ptrIsEEEENS9_18transform_iteratorINS9_6negateIsEESE_NS9_11use_defaultESI_EESE_sNS9_4plusIvEENS9_8equal_toIvEEsEE10hipError_tPvRmT2_T3_T4_T5_mT6_T7_P12ihipStream_tbENKUlT_T0_E_clISt17integral_constantIbLb1EES13_IbLb0EEEEDaSZ_S10_EUlSZ_E_NS1_11comp_targetILNS1_3genE10ELNS1_11target_archE1200ELNS1_3gpuE4ELNS1_3repE0EEENS1_30default_config_static_selectorELNS0_4arch9wavefront6targetE1EEEvT1_,comdat
.Lfunc_end989:
	.size	_ZN7rocprim17ROCPRIM_400000_NS6detail17trampoline_kernelINS0_14default_configENS1_27scan_by_key_config_selectorIssEEZZNS1_16scan_by_key_implILNS1_25lookback_scan_determinismE0ELb0ES3_N6thrust23THRUST_200600_302600_NS6detail15normal_iteratorINS9_10device_ptrIsEEEENS9_18transform_iteratorINS9_6negateIsEESE_NS9_11use_defaultESI_EESE_sNS9_4plusIvEENS9_8equal_toIvEEsEE10hipError_tPvRmT2_T3_T4_T5_mT6_T7_P12ihipStream_tbENKUlT_T0_E_clISt17integral_constantIbLb1EES13_IbLb0EEEEDaSZ_S10_EUlSZ_E_NS1_11comp_targetILNS1_3genE10ELNS1_11target_archE1200ELNS1_3gpuE4ELNS1_3repE0EEENS1_30default_config_static_selectorELNS0_4arch9wavefront6targetE1EEEvT1_, .Lfunc_end989-_ZN7rocprim17ROCPRIM_400000_NS6detail17trampoline_kernelINS0_14default_configENS1_27scan_by_key_config_selectorIssEEZZNS1_16scan_by_key_implILNS1_25lookback_scan_determinismE0ELb0ES3_N6thrust23THRUST_200600_302600_NS6detail15normal_iteratorINS9_10device_ptrIsEEEENS9_18transform_iteratorINS9_6negateIsEESE_NS9_11use_defaultESI_EESE_sNS9_4plusIvEENS9_8equal_toIvEEsEE10hipError_tPvRmT2_T3_T4_T5_mT6_T7_P12ihipStream_tbENKUlT_T0_E_clISt17integral_constantIbLb1EES13_IbLb0EEEEDaSZ_S10_EUlSZ_E_NS1_11comp_targetILNS1_3genE10ELNS1_11target_archE1200ELNS1_3gpuE4ELNS1_3repE0EEENS1_30default_config_static_selectorELNS0_4arch9wavefront6targetE1EEEvT1_
                                        ; -- End function
	.section	.AMDGPU.csdata,"",@progbits
; Kernel info:
; codeLenInByte = 0
; NumSgprs: 4
; NumVgprs: 0
; NumAgprs: 0
; TotalNumVgprs: 0
; ScratchSize: 0
; MemoryBound: 0
; FloatMode: 240
; IeeeMode: 1
; LDSByteSize: 0 bytes/workgroup (compile time only)
; SGPRBlocks: 0
; VGPRBlocks: 0
; NumSGPRsForWavesPerEU: 4
; NumVGPRsForWavesPerEU: 1
; AccumOffset: 4
; Occupancy: 8
; WaveLimiterHint : 0
; COMPUTE_PGM_RSRC2:SCRATCH_EN: 0
; COMPUTE_PGM_RSRC2:USER_SGPR: 6
; COMPUTE_PGM_RSRC2:TRAP_HANDLER: 0
; COMPUTE_PGM_RSRC2:TGID_X_EN: 1
; COMPUTE_PGM_RSRC2:TGID_Y_EN: 0
; COMPUTE_PGM_RSRC2:TGID_Z_EN: 0
; COMPUTE_PGM_RSRC2:TIDIG_COMP_CNT: 0
; COMPUTE_PGM_RSRC3_GFX90A:ACCUM_OFFSET: 0
; COMPUTE_PGM_RSRC3_GFX90A:TG_SPLIT: 0
	.section	.text._ZN7rocprim17ROCPRIM_400000_NS6detail17trampoline_kernelINS0_14default_configENS1_27scan_by_key_config_selectorIssEEZZNS1_16scan_by_key_implILNS1_25lookback_scan_determinismE0ELb0ES3_N6thrust23THRUST_200600_302600_NS6detail15normal_iteratorINS9_10device_ptrIsEEEENS9_18transform_iteratorINS9_6negateIsEESE_NS9_11use_defaultESI_EESE_sNS9_4plusIvEENS9_8equal_toIvEEsEE10hipError_tPvRmT2_T3_T4_T5_mT6_T7_P12ihipStream_tbENKUlT_T0_E_clISt17integral_constantIbLb1EES13_IbLb0EEEEDaSZ_S10_EUlSZ_E_NS1_11comp_targetILNS1_3genE9ELNS1_11target_archE1100ELNS1_3gpuE3ELNS1_3repE0EEENS1_30default_config_static_selectorELNS0_4arch9wavefront6targetE1EEEvT1_,"axG",@progbits,_ZN7rocprim17ROCPRIM_400000_NS6detail17trampoline_kernelINS0_14default_configENS1_27scan_by_key_config_selectorIssEEZZNS1_16scan_by_key_implILNS1_25lookback_scan_determinismE0ELb0ES3_N6thrust23THRUST_200600_302600_NS6detail15normal_iteratorINS9_10device_ptrIsEEEENS9_18transform_iteratorINS9_6negateIsEESE_NS9_11use_defaultESI_EESE_sNS9_4plusIvEENS9_8equal_toIvEEsEE10hipError_tPvRmT2_T3_T4_T5_mT6_T7_P12ihipStream_tbENKUlT_T0_E_clISt17integral_constantIbLb1EES13_IbLb0EEEEDaSZ_S10_EUlSZ_E_NS1_11comp_targetILNS1_3genE9ELNS1_11target_archE1100ELNS1_3gpuE3ELNS1_3repE0EEENS1_30default_config_static_selectorELNS0_4arch9wavefront6targetE1EEEvT1_,comdat
	.protected	_ZN7rocprim17ROCPRIM_400000_NS6detail17trampoline_kernelINS0_14default_configENS1_27scan_by_key_config_selectorIssEEZZNS1_16scan_by_key_implILNS1_25lookback_scan_determinismE0ELb0ES3_N6thrust23THRUST_200600_302600_NS6detail15normal_iteratorINS9_10device_ptrIsEEEENS9_18transform_iteratorINS9_6negateIsEESE_NS9_11use_defaultESI_EESE_sNS9_4plusIvEENS9_8equal_toIvEEsEE10hipError_tPvRmT2_T3_T4_T5_mT6_T7_P12ihipStream_tbENKUlT_T0_E_clISt17integral_constantIbLb1EES13_IbLb0EEEEDaSZ_S10_EUlSZ_E_NS1_11comp_targetILNS1_3genE9ELNS1_11target_archE1100ELNS1_3gpuE3ELNS1_3repE0EEENS1_30default_config_static_selectorELNS0_4arch9wavefront6targetE1EEEvT1_ ; -- Begin function _ZN7rocprim17ROCPRIM_400000_NS6detail17trampoline_kernelINS0_14default_configENS1_27scan_by_key_config_selectorIssEEZZNS1_16scan_by_key_implILNS1_25lookback_scan_determinismE0ELb0ES3_N6thrust23THRUST_200600_302600_NS6detail15normal_iteratorINS9_10device_ptrIsEEEENS9_18transform_iteratorINS9_6negateIsEESE_NS9_11use_defaultESI_EESE_sNS9_4plusIvEENS9_8equal_toIvEEsEE10hipError_tPvRmT2_T3_T4_T5_mT6_T7_P12ihipStream_tbENKUlT_T0_E_clISt17integral_constantIbLb1EES13_IbLb0EEEEDaSZ_S10_EUlSZ_E_NS1_11comp_targetILNS1_3genE9ELNS1_11target_archE1100ELNS1_3gpuE3ELNS1_3repE0EEENS1_30default_config_static_selectorELNS0_4arch9wavefront6targetE1EEEvT1_
	.globl	_ZN7rocprim17ROCPRIM_400000_NS6detail17trampoline_kernelINS0_14default_configENS1_27scan_by_key_config_selectorIssEEZZNS1_16scan_by_key_implILNS1_25lookback_scan_determinismE0ELb0ES3_N6thrust23THRUST_200600_302600_NS6detail15normal_iteratorINS9_10device_ptrIsEEEENS9_18transform_iteratorINS9_6negateIsEESE_NS9_11use_defaultESI_EESE_sNS9_4plusIvEENS9_8equal_toIvEEsEE10hipError_tPvRmT2_T3_T4_T5_mT6_T7_P12ihipStream_tbENKUlT_T0_E_clISt17integral_constantIbLb1EES13_IbLb0EEEEDaSZ_S10_EUlSZ_E_NS1_11comp_targetILNS1_3genE9ELNS1_11target_archE1100ELNS1_3gpuE3ELNS1_3repE0EEENS1_30default_config_static_selectorELNS0_4arch9wavefront6targetE1EEEvT1_
	.p2align	8
	.type	_ZN7rocprim17ROCPRIM_400000_NS6detail17trampoline_kernelINS0_14default_configENS1_27scan_by_key_config_selectorIssEEZZNS1_16scan_by_key_implILNS1_25lookback_scan_determinismE0ELb0ES3_N6thrust23THRUST_200600_302600_NS6detail15normal_iteratorINS9_10device_ptrIsEEEENS9_18transform_iteratorINS9_6negateIsEESE_NS9_11use_defaultESI_EESE_sNS9_4plusIvEENS9_8equal_toIvEEsEE10hipError_tPvRmT2_T3_T4_T5_mT6_T7_P12ihipStream_tbENKUlT_T0_E_clISt17integral_constantIbLb1EES13_IbLb0EEEEDaSZ_S10_EUlSZ_E_NS1_11comp_targetILNS1_3genE9ELNS1_11target_archE1100ELNS1_3gpuE3ELNS1_3repE0EEENS1_30default_config_static_selectorELNS0_4arch9wavefront6targetE1EEEvT1_,@function
_ZN7rocprim17ROCPRIM_400000_NS6detail17trampoline_kernelINS0_14default_configENS1_27scan_by_key_config_selectorIssEEZZNS1_16scan_by_key_implILNS1_25lookback_scan_determinismE0ELb0ES3_N6thrust23THRUST_200600_302600_NS6detail15normal_iteratorINS9_10device_ptrIsEEEENS9_18transform_iteratorINS9_6negateIsEESE_NS9_11use_defaultESI_EESE_sNS9_4plusIvEENS9_8equal_toIvEEsEE10hipError_tPvRmT2_T3_T4_T5_mT6_T7_P12ihipStream_tbENKUlT_T0_E_clISt17integral_constantIbLb1EES13_IbLb0EEEEDaSZ_S10_EUlSZ_E_NS1_11comp_targetILNS1_3genE9ELNS1_11target_archE1100ELNS1_3gpuE3ELNS1_3repE0EEENS1_30default_config_static_selectorELNS0_4arch9wavefront6targetE1EEEvT1_: ; @_ZN7rocprim17ROCPRIM_400000_NS6detail17trampoline_kernelINS0_14default_configENS1_27scan_by_key_config_selectorIssEEZZNS1_16scan_by_key_implILNS1_25lookback_scan_determinismE0ELb0ES3_N6thrust23THRUST_200600_302600_NS6detail15normal_iteratorINS9_10device_ptrIsEEEENS9_18transform_iteratorINS9_6negateIsEESE_NS9_11use_defaultESI_EESE_sNS9_4plusIvEENS9_8equal_toIvEEsEE10hipError_tPvRmT2_T3_T4_T5_mT6_T7_P12ihipStream_tbENKUlT_T0_E_clISt17integral_constantIbLb1EES13_IbLb0EEEEDaSZ_S10_EUlSZ_E_NS1_11comp_targetILNS1_3genE9ELNS1_11target_archE1100ELNS1_3gpuE3ELNS1_3repE0EEENS1_30default_config_static_selectorELNS0_4arch9wavefront6targetE1EEEvT1_
; %bb.0:
	.section	.rodata,"a",@progbits
	.p2align	6, 0x0
	.amdhsa_kernel _ZN7rocprim17ROCPRIM_400000_NS6detail17trampoline_kernelINS0_14default_configENS1_27scan_by_key_config_selectorIssEEZZNS1_16scan_by_key_implILNS1_25lookback_scan_determinismE0ELb0ES3_N6thrust23THRUST_200600_302600_NS6detail15normal_iteratorINS9_10device_ptrIsEEEENS9_18transform_iteratorINS9_6negateIsEESE_NS9_11use_defaultESI_EESE_sNS9_4plusIvEENS9_8equal_toIvEEsEE10hipError_tPvRmT2_T3_T4_T5_mT6_T7_P12ihipStream_tbENKUlT_T0_E_clISt17integral_constantIbLb1EES13_IbLb0EEEEDaSZ_S10_EUlSZ_E_NS1_11comp_targetILNS1_3genE9ELNS1_11target_archE1100ELNS1_3gpuE3ELNS1_3repE0EEENS1_30default_config_static_selectorELNS0_4arch9wavefront6targetE1EEEvT1_
		.amdhsa_group_segment_fixed_size 0
		.amdhsa_private_segment_fixed_size 0
		.amdhsa_kernarg_size 120
		.amdhsa_user_sgpr_count 6
		.amdhsa_user_sgpr_private_segment_buffer 1
		.amdhsa_user_sgpr_dispatch_ptr 0
		.amdhsa_user_sgpr_queue_ptr 0
		.amdhsa_user_sgpr_kernarg_segment_ptr 1
		.amdhsa_user_sgpr_dispatch_id 0
		.amdhsa_user_sgpr_flat_scratch_init 0
		.amdhsa_user_sgpr_kernarg_preload_length 0
		.amdhsa_user_sgpr_kernarg_preload_offset 0
		.amdhsa_user_sgpr_private_segment_size 0
		.amdhsa_uses_dynamic_stack 0
		.amdhsa_system_sgpr_private_segment_wavefront_offset 0
		.amdhsa_system_sgpr_workgroup_id_x 1
		.amdhsa_system_sgpr_workgroup_id_y 0
		.amdhsa_system_sgpr_workgroup_id_z 0
		.amdhsa_system_sgpr_workgroup_info 0
		.amdhsa_system_vgpr_workitem_id 0
		.amdhsa_next_free_vgpr 1
		.amdhsa_next_free_sgpr 0
		.amdhsa_accum_offset 4
		.amdhsa_reserve_vcc 0
		.amdhsa_reserve_flat_scratch 0
		.amdhsa_float_round_mode_32 0
		.amdhsa_float_round_mode_16_64 0
		.amdhsa_float_denorm_mode_32 3
		.amdhsa_float_denorm_mode_16_64 3
		.amdhsa_dx10_clamp 1
		.amdhsa_ieee_mode 1
		.amdhsa_fp16_overflow 0
		.amdhsa_tg_split 0
		.amdhsa_exception_fp_ieee_invalid_op 0
		.amdhsa_exception_fp_denorm_src 0
		.amdhsa_exception_fp_ieee_div_zero 0
		.amdhsa_exception_fp_ieee_overflow 0
		.amdhsa_exception_fp_ieee_underflow 0
		.amdhsa_exception_fp_ieee_inexact 0
		.amdhsa_exception_int_div_zero 0
	.end_amdhsa_kernel
	.section	.text._ZN7rocprim17ROCPRIM_400000_NS6detail17trampoline_kernelINS0_14default_configENS1_27scan_by_key_config_selectorIssEEZZNS1_16scan_by_key_implILNS1_25lookback_scan_determinismE0ELb0ES3_N6thrust23THRUST_200600_302600_NS6detail15normal_iteratorINS9_10device_ptrIsEEEENS9_18transform_iteratorINS9_6negateIsEESE_NS9_11use_defaultESI_EESE_sNS9_4plusIvEENS9_8equal_toIvEEsEE10hipError_tPvRmT2_T3_T4_T5_mT6_T7_P12ihipStream_tbENKUlT_T0_E_clISt17integral_constantIbLb1EES13_IbLb0EEEEDaSZ_S10_EUlSZ_E_NS1_11comp_targetILNS1_3genE9ELNS1_11target_archE1100ELNS1_3gpuE3ELNS1_3repE0EEENS1_30default_config_static_selectorELNS0_4arch9wavefront6targetE1EEEvT1_,"axG",@progbits,_ZN7rocprim17ROCPRIM_400000_NS6detail17trampoline_kernelINS0_14default_configENS1_27scan_by_key_config_selectorIssEEZZNS1_16scan_by_key_implILNS1_25lookback_scan_determinismE0ELb0ES3_N6thrust23THRUST_200600_302600_NS6detail15normal_iteratorINS9_10device_ptrIsEEEENS9_18transform_iteratorINS9_6negateIsEESE_NS9_11use_defaultESI_EESE_sNS9_4plusIvEENS9_8equal_toIvEEsEE10hipError_tPvRmT2_T3_T4_T5_mT6_T7_P12ihipStream_tbENKUlT_T0_E_clISt17integral_constantIbLb1EES13_IbLb0EEEEDaSZ_S10_EUlSZ_E_NS1_11comp_targetILNS1_3genE9ELNS1_11target_archE1100ELNS1_3gpuE3ELNS1_3repE0EEENS1_30default_config_static_selectorELNS0_4arch9wavefront6targetE1EEEvT1_,comdat
.Lfunc_end990:
	.size	_ZN7rocprim17ROCPRIM_400000_NS6detail17trampoline_kernelINS0_14default_configENS1_27scan_by_key_config_selectorIssEEZZNS1_16scan_by_key_implILNS1_25lookback_scan_determinismE0ELb0ES3_N6thrust23THRUST_200600_302600_NS6detail15normal_iteratorINS9_10device_ptrIsEEEENS9_18transform_iteratorINS9_6negateIsEESE_NS9_11use_defaultESI_EESE_sNS9_4plusIvEENS9_8equal_toIvEEsEE10hipError_tPvRmT2_T3_T4_T5_mT6_T7_P12ihipStream_tbENKUlT_T0_E_clISt17integral_constantIbLb1EES13_IbLb0EEEEDaSZ_S10_EUlSZ_E_NS1_11comp_targetILNS1_3genE9ELNS1_11target_archE1100ELNS1_3gpuE3ELNS1_3repE0EEENS1_30default_config_static_selectorELNS0_4arch9wavefront6targetE1EEEvT1_, .Lfunc_end990-_ZN7rocprim17ROCPRIM_400000_NS6detail17trampoline_kernelINS0_14default_configENS1_27scan_by_key_config_selectorIssEEZZNS1_16scan_by_key_implILNS1_25lookback_scan_determinismE0ELb0ES3_N6thrust23THRUST_200600_302600_NS6detail15normal_iteratorINS9_10device_ptrIsEEEENS9_18transform_iteratorINS9_6negateIsEESE_NS9_11use_defaultESI_EESE_sNS9_4plusIvEENS9_8equal_toIvEEsEE10hipError_tPvRmT2_T3_T4_T5_mT6_T7_P12ihipStream_tbENKUlT_T0_E_clISt17integral_constantIbLb1EES13_IbLb0EEEEDaSZ_S10_EUlSZ_E_NS1_11comp_targetILNS1_3genE9ELNS1_11target_archE1100ELNS1_3gpuE3ELNS1_3repE0EEENS1_30default_config_static_selectorELNS0_4arch9wavefront6targetE1EEEvT1_
                                        ; -- End function
	.section	.AMDGPU.csdata,"",@progbits
; Kernel info:
; codeLenInByte = 0
; NumSgprs: 4
; NumVgprs: 0
; NumAgprs: 0
; TotalNumVgprs: 0
; ScratchSize: 0
; MemoryBound: 0
; FloatMode: 240
; IeeeMode: 1
; LDSByteSize: 0 bytes/workgroup (compile time only)
; SGPRBlocks: 0
; VGPRBlocks: 0
; NumSGPRsForWavesPerEU: 4
; NumVGPRsForWavesPerEU: 1
; AccumOffset: 4
; Occupancy: 8
; WaveLimiterHint : 0
; COMPUTE_PGM_RSRC2:SCRATCH_EN: 0
; COMPUTE_PGM_RSRC2:USER_SGPR: 6
; COMPUTE_PGM_RSRC2:TRAP_HANDLER: 0
; COMPUTE_PGM_RSRC2:TGID_X_EN: 1
; COMPUTE_PGM_RSRC2:TGID_Y_EN: 0
; COMPUTE_PGM_RSRC2:TGID_Z_EN: 0
; COMPUTE_PGM_RSRC2:TIDIG_COMP_CNT: 0
; COMPUTE_PGM_RSRC3_GFX90A:ACCUM_OFFSET: 0
; COMPUTE_PGM_RSRC3_GFX90A:TG_SPLIT: 0
	.section	.text._ZN7rocprim17ROCPRIM_400000_NS6detail17trampoline_kernelINS0_14default_configENS1_27scan_by_key_config_selectorIssEEZZNS1_16scan_by_key_implILNS1_25lookback_scan_determinismE0ELb0ES3_N6thrust23THRUST_200600_302600_NS6detail15normal_iteratorINS9_10device_ptrIsEEEENS9_18transform_iteratorINS9_6negateIsEESE_NS9_11use_defaultESI_EESE_sNS9_4plusIvEENS9_8equal_toIvEEsEE10hipError_tPvRmT2_T3_T4_T5_mT6_T7_P12ihipStream_tbENKUlT_T0_E_clISt17integral_constantIbLb1EES13_IbLb0EEEEDaSZ_S10_EUlSZ_E_NS1_11comp_targetILNS1_3genE8ELNS1_11target_archE1030ELNS1_3gpuE2ELNS1_3repE0EEENS1_30default_config_static_selectorELNS0_4arch9wavefront6targetE1EEEvT1_,"axG",@progbits,_ZN7rocprim17ROCPRIM_400000_NS6detail17trampoline_kernelINS0_14default_configENS1_27scan_by_key_config_selectorIssEEZZNS1_16scan_by_key_implILNS1_25lookback_scan_determinismE0ELb0ES3_N6thrust23THRUST_200600_302600_NS6detail15normal_iteratorINS9_10device_ptrIsEEEENS9_18transform_iteratorINS9_6negateIsEESE_NS9_11use_defaultESI_EESE_sNS9_4plusIvEENS9_8equal_toIvEEsEE10hipError_tPvRmT2_T3_T4_T5_mT6_T7_P12ihipStream_tbENKUlT_T0_E_clISt17integral_constantIbLb1EES13_IbLb0EEEEDaSZ_S10_EUlSZ_E_NS1_11comp_targetILNS1_3genE8ELNS1_11target_archE1030ELNS1_3gpuE2ELNS1_3repE0EEENS1_30default_config_static_selectorELNS0_4arch9wavefront6targetE1EEEvT1_,comdat
	.protected	_ZN7rocprim17ROCPRIM_400000_NS6detail17trampoline_kernelINS0_14default_configENS1_27scan_by_key_config_selectorIssEEZZNS1_16scan_by_key_implILNS1_25lookback_scan_determinismE0ELb0ES3_N6thrust23THRUST_200600_302600_NS6detail15normal_iteratorINS9_10device_ptrIsEEEENS9_18transform_iteratorINS9_6negateIsEESE_NS9_11use_defaultESI_EESE_sNS9_4plusIvEENS9_8equal_toIvEEsEE10hipError_tPvRmT2_T3_T4_T5_mT6_T7_P12ihipStream_tbENKUlT_T0_E_clISt17integral_constantIbLb1EES13_IbLb0EEEEDaSZ_S10_EUlSZ_E_NS1_11comp_targetILNS1_3genE8ELNS1_11target_archE1030ELNS1_3gpuE2ELNS1_3repE0EEENS1_30default_config_static_selectorELNS0_4arch9wavefront6targetE1EEEvT1_ ; -- Begin function _ZN7rocprim17ROCPRIM_400000_NS6detail17trampoline_kernelINS0_14default_configENS1_27scan_by_key_config_selectorIssEEZZNS1_16scan_by_key_implILNS1_25lookback_scan_determinismE0ELb0ES3_N6thrust23THRUST_200600_302600_NS6detail15normal_iteratorINS9_10device_ptrIsEEEENS9_18transform_iteratorINS9_6negateIsEESE_NS9_11use_defaultESI_EESE_sNS9_4plusIvEENS9_8equal_toIvEEsEE10hipError_tPvRmT2_T3_T4_T5_mT6_T7_P12ihipStream_tbENKUlT_T0_E_clISt17integral_constantIbLb1EES13_IbLb0EEEEDaSZ_S10_EUlSZ_E_NS1_11comp_targetILNS1_3genE8ELNS1_11target_archE1030ELNS1_3gpuE2ELNS1_3repE0EEENS1_30default_config_static_selectorELNS0_4arch9wavefront6targetE1EEEvT1_
	.globl	_ZN7rocprim17ROCPRIM_400000_NS6detail17trampoline_kernelINS0_14default_configENS1_27scan_by_key_config_selectorIssEEZZNS1_16scan_by_key_implILNS1_25lookback_scan_determinismE0ELb0ES3_N6thrust23THRUST_200600_302600_NS6detail15normal_iteratorINS9_10device_ptrIsEEEENS9_18transform_iteratorINS9_6negateIsEESE_NS9_11use_defaultESI_EESE_sNS9_4plusIvEENS9_8equal_toIvEEsEE10hipError_tPvRmT2_T3_T4_T5_mT6_T7_P12ihipStream_tbENKUlT_T0_E_clISt17integral_constantIbLb1EES13_IbLb0EEEEDaSZ_S10_EUlSZ_E_NS1_11comp_targetILNS1_3genE8ELNS1_11target_archE1030ELNS1_3gpuE2ELNS1_3repE0EEENS1_30default_config_static_selectorELNS0_4arch9wavefront6targetE1EEEvT1_
	.p2align	8
	.type	_ZN7rocprim17ROCPRIM_400000_NS6detail17trampoline_kernelINS0_14default_configENS1_27scan_by_key_config_selectorIssEEZZNS1_16scan_by_key_implILNS1_25lookback_scan_determinismE0ELb0ES3_N6thrust23THRUST_200600_302600_NS6detail15normal_iteratorINS9_10device_ptrIsEEEENS9_18transform_iteratorINS9_6negateIsEESE_NS9_11use_defaultESI_EESE_sNS9_4plusIvEENS9_8equal_toIvEEsEE10hipError_tPvRmT2_T3_T4_T5_mT6_T7_P12ihipStream_tbENKUlT_T0_E_clISt17integral_constantIbLb1EES13_IbLb0EEEEDaSZ_S10_EUlSZ_E_NS1_11comp_targetILNS1_3genE8ELNS1_11target_archE1030ELNS1_3gpuE2ELNS1_3repE0EEENS1_30default_config_static_selectorELNS0_4arch9wavefront6targetE1EEEvT1_,@function
_ZN7rocprim17ROCPRIM_400000_NS6detail17trampoline_kernelINS0_14default_configENS1_27scan_by_key_config_selectorIssEEZZNS1_16scan_by_key_implILNS1_25lookback_scan_determinismE0ELb0ES3_N6thrust23THRUST_200600_302600_NS6detail15normal_iteratorINS9_10device_ptrIsEEEENS9_18transform_iteratorINS9_6negateIsEESE_NS9_11use_defaultESI_EESE_sNS9_4plusIvEENS9_8equal_toIvEEsEE10hipError_tPvRmT2_T3_T4_T5_mT6_T7_P12ihipStream_tbENKUlT_T0_E_clISt17integral_constantIbLb1EES13_IbLb0EEEEDaSZ_S10_EUlSZ_E_NS1_11comp_targetILNS1_3genE8ELNS1_11target_archE1030ELNS1_3gpuE2ELNS1_3repE0EEENS1_30default_config_static_selectorELNS0_4arch9wavefront6targetE1EEEvT1_: ; @_ZN7rocprim17ROCPRIM_400000_NS6detail17trampoline_kernelINS0_14default_configENS1_27scan_by_key_config_selectorIssEEZZNS1_16scan_by_key_implILNS1_25lookback_scan_determinismE0ELb0ES3_N6thrust23THRUST_200600_302600_NS6detail15normal_iteratorINS9_10device_ptrIsEEEENS9_18transform_iteratorINS9_6negateIsEESE_NS9_11use_defaultESI_EESE_sNS9_4plusIvEENS9_8equal_toIvEEsEE10hipError_tPvRmT2_T3_T4_T5_mT6_T7_P12ihipStream_tbENKUlT_T0_E_clISt17integral_constantIbLb1EES13_IbLb0EEEEDaSZ_S10_EUlSZ_E_NS1_11comp_targetILNS1_3genE8ELNS1_11target_archE1030ELNS1_3gpuE2ELNS1_3repE0EEENS1_30default_config_static_selectorELNS0_4arch9wavefront6targetE1EEEvT1_
; %bb.0:
	.section	.rodata,"a",@progbits
	.p2align	6, 0x0
	.amdhsa_kernel _ZN7rocprim17ROCPRIM_400000_NS6detail17trampoline_kernelINS0_14default_configENS1_27scan_by_key_config_selectorIssEEZZNS1_16scan_by_key_implILNS1_25lookback_scan_determinismE0ELb0ES3_N6thrust23THRUST_200600_302600_NS6detail15normal_iteratorINS9_10device_ptrIsEEEENS9_18transform_iteratorINS9_6negateIsEESE_NS9_11use_defaultESI_EESE_sNS9_4plusIvEENS9_8equal_toIvEEsEE10hipError_tPvRmT2_T3_T4_T5_mT6_T7_P12ihipStream_tbENKUlT_T0_E_clISt17integral_constantIbLb1EES13_IbLb0EEEEDaSZ_S10_EUlSZ_E_NS1_11comp_targetILNS1_3genE8ELNS1_11target_archE1030ELNS1_3gpuE2ELNS1_3repE0EEENS1_30default_config_static_selectorELNS0_4arch9wavefront6targetE1EEEvT1_
		.amdhsa_group_segment_fixed_size 0
		.amdhsa_private_segment_fixed_size 0
		.amdhsa_kernarg_size 120
		.amdhsa_user_sgpr_count 6
		.amdhsa_user_sgpr_private_segment_buffer 1
		.amdhsa_user_sgpr_dispatch_ptr 0
		.amdhsa_user_sgpr_queue_ptr 0
		.amdhsa_user_sgpr_kernarg_segment_ptr 1
		.amdhsa_user_sgpr_dispatch_id 0
		.amdhsa_user_sgpr_flat_scratch_init 0
		.amdhsa_user_sgpr_kernarg_preload_length 0
		.amdhsa_user_sgpr_kernarg_preload_offset 0
		.amdhsa_user_sgpr_private_segment_size 0
		.amdhsa_uses_dynamic_stack 0
		.amdhsa_system_sgpr_private_segment_wavefront_offset 0
		.amdhsa_system_sgpr_workgroup_id_x 1
		.amdhsa_system_sgpr_workgroup_id_y 0
		.amdhsa_system_sgpr_workgroup_id_z 0
		.amdhsa_system_sgpr_workgroup_info 0
		.amdhsa_system_vgpr_workitem_id 0
		.amdhsa_next_free_vgpr 1
		.amdhsa_next_free_sgpr 0
		.amdhsa_accum_offset 4
		.amdhsa_reserve_vcc 0
		.amdhsa_reserve_flat_scratch 0
		.amdhsa_float_round_mode_32 0
		.amdhsa_float_round_mode_16_64 0
		.amdhsa_float_denorm_mode_32 3
		.amdhsa_float_denorm_mode_16_64 3
		.amdhsa_dx10_clamp 1
		.amdhsa_ieee_mode 1
		.amdhsa_fp16_overflow 0
		.amdhsa_tg_split 0
		.amdhsa_exception_fp_ieee_invalid_op 0
		.amdhsa_exception_fp_denorm_src 0
		.amdhsa_exception_fp_ieee_div_zero 0
		.amdhsa_exception_fp_ieee_overflow 0
		.amdhsa_exception_fp_ieee_underflow 0
		.amdhsa_exception_fp_ieee_inexact 0
		.amdhsa_exception_int_div_zero 0
	.end_amdhsa_kernel
	.section	.text._ZN7rocprim17ROCPRIM_400000_NS6detail17trampoline_kernelINS0_14default_configENS1_27scan_by_key_config_selectorIssEEZZNS1_16scan_by_key_implILNS1_25lookback_scan_determinismE0ELb0ES3_N6thrust23THRUST_200600_302600_NS6detail15normal_iteratorINS9_10device_ptrIsEEEENS9_18transform_iteratorINS9_6negateIsEESE_NS9_11use_defaultESI_EESE_sNS9_4plusIvEENS9_8equal_toIvEEsEE10hipError_tPvRmT2_T3_T4_T5_mT6_T7_P12ihipStream_tbENKUlT_T0_E_clISt17integral_constantIbLb1EES13_IbLb0EEEEDaSZ_S10_EUlSZ_E_NS1_11comp_targetILNS1_3genE8ELNS1_11target_archE1030ELNS1_3gpuE2ELNS1_3repE0EEENS1_30default_config_static_selectorELNS0_4arch9wavefront6targetE1EEEvT1_,"axG",@progbits,_ZN7rocprim17ROCPRIM_400000_NS6detail17trampoline_kernelINS0_14default_configENS1_27scan_by_key_config_selectorIssEEZZNS1_16scan_by_key_implILNS1_25lookback_scan_determinismE0ELb0ES3_N6thrust23THRUST_200600_302600_NS6detail15normal_iteratorINS9_10device_ptrIsEEEENS9_18transform_iteratorINS9_6negateIsEESE_NS9_11use_defaultESI_EESE_sNS9_4plusIvEENS9_8equal_toIvEEsEE10hipError_tPvRmT2_T3_T4_T5_mT6_T7_P12ihipStream_tbENKUlT_T0_E_clISt17integral_constantIbLb1EES13_IbLb0EEEEDaSZ_S10_EUlSZ_E_NS1_11comp_targetILNS1_3genE8ELNS1_11target_archE1030ELNS1_3gpuE2ELNS1_3repE0EEENS1_30default_config_static_selectorELNS0_4arch9wavefront6targetE1EEEvT1_,comdat
.Lfunc_end991:
	.size	_ZN7rocprim17ROCPRIM_400000_NS6detail17trampoline_kernelINS0_14default_configENS1_27scan_by_key_config_selectorIssEEZZNS1_16scan_by_key_implILNS1_25lookback_scan_determinismE0ELb0ES3_N6thrust23THRUST_200600_302600_NS6detail15normal_iteratorINS9_10device_ptrIsEEEENS9_18transform_iteratorINS9_6negateIsEESE_NS9_11use_defaultESI_EESE_sNS9_4plusIvEENS9_8equal_toIvEEsEE10hipError_tPvRmT2_T3_T4_T5_mT6_T7_P12ihipStream_tbENKUlT_T0_E_clISt17integral_constantIbLb1EES13_IbLb0EEEEDaSZ_S10_EUlSZ_E_NS1_11comp_targetILNS1_3genE8ELNS1_11target_archE1030ELNS1_3gpuE2ELNS1_3repE0EEENS1_30default_config_static_selectorELNS0_4arch9wavefront6targetE1EEEvT1_, .Lfunc_end991-_ZN7rocprim17ROCPRIM_400000_NS6detail17trampoline_kernelINS0_14default_configENS1_27scan_by_key_config_selectorIssEEZZNS1_16scan_by_key_implILNS1_25lookback_scan_determinismE0ELb0ES3_N6thrust23THRUST_200600_302600_NS6detail15normal_iteratorINS9_10device_ptrIsEEEENS9_18transform_iteratorINS9_6negateIsEESE_NS9_11use_defaultESI_EESE_sNS9_4plusIvEENS9_8equal_toIvEEsEE10hipError_tPvRmT2_T3_T4_T5_mT6_T7_P12ihipStream_tbENKUlT_T0_E_clISt17integral_constantIbLb1EES13_IbLb0EEEEDaSZ_S10_EUlSZ_E_NS1_11comp_targetILNS1_3genE8ELNS1_11target_archE1030ELNS1_3gpuE2ELNS1_3repE0EEENS1_30default_config_static_selectorELNS0_4arch9wavefront6targetE1EEEvT1_
                                        ; -- End function
	.section	.AMDGPU.csdata,"",@progbits
; Kernel info:
; codeLenInByte = 0
; NumSgprs: 4
; NumVgprs: 0
; NumAgprs: 0
; TotalNumVgprs: 0
; ScratchSize: 0
; MemoryBound: 0
; FloatMode: 240
; IeeeMode: 1
; LDSByteSize: 0 bytes/workgroup (compile time only)
; SGPRBlocks: 0
; VGPRBlocks: 0
; NumSGPRsForWavesPerEU: 4
; NumVGPRsForWavesPerEU: 1
; AccumOffset: 4
; Occupancy: 8
; WaveLimiterHint : 0
; COMPUTE_PGM_RSRC2:SCRATCH_EN: 0
; COMPUTE_PGM_RSRC2:USER_SGPR: 6
; COMPUTE_PGM_RSRC2:TRAP_HANDLER: 0
; COMPUTE_PGM_RSRC2:TGID_X_EN: 1
; COMPUTE_PGM_RSRC2:TGID_Y_EN: 0
; COMPUTE_PGM_RSRC2:TGID_Z_EN: 0
; COMPUTE_PGM_RSRC2:TIDIG_COMP_CNT: 0
; COMPUTE_PGM_RSRC3_GFX90A:ACCUM_OFFSET: 0
; COMPUTE_PGM_RSRC3_GFX90A:TG_SPLIT: 0
	.section	.text._ZN7rocprim17ROCPRIM_400000_NS6detail17trampoline_kernelINS0_14default_configENS1_27scan_by_key_config_selectorIssEEZZNS1_16scan_by_key_implILNS1_25lookback_scan_determinismE0ELb0ES3_N6thrust23THRUST_200600_302600_NS6detail15normal_iteratorINS9_10device_ptrIsEEEENS9_18transform_iteratorINS9_6negateIsEESE_NS9_11use_defaultESI_EESE_sNS9_4plusIvEENS9_8equal_toIvEEsEE10hipError_tPvRmT2_T3_T4_T5_mT6_T7_P12ihipStream_tbENKUlT_T0_E_clISt17integral_constantIbLb0EES13_IbLb1EEEEDaSZ_S10_EUlSZ_E_NS1_11comp_targetILNS1_3genE0ELNS1_11target_archE4294967295ELNS1_3gpuE0ELNS1_3repE0EEENS1_30default_config_static_selectorELNS0_4arch9wavefront6targetE1EEEvT1_,"axG",@progbits,_ZN7rocprim17ROCPRIM_400000_NS6detail17trampoline_kernelINS0_14default_configENS1_27scan_by_key_config_selectorIssEEZZNS1_16scan_by_key_implILNS1_25lookback_scan_determinismE0ELb0ES3_N6thrust23THRUST_200600_302600_NS6detail15normal_iteratorINS9_10device_ptrIsEEEENS9_18transform_iteratorINS9_6negateIsEESE_NS9_11use_defaultESI_EESE_sNS9_4plusIvEENS9_8equal_toIvEEsEE10hipError_tPvRmT2_T3_T4_T5_mT6_T7_P12ihipStream_tbENKUlT_T0_E_clISt17integral_constantIbLb0EES13_IbLb1EEEEDaSZ_S10_EUlSZ_E_NS1_11comp_targetILNS1_3genE0ELNS1_11target_archE4294967295ELNS1_3gpuE0ELNS1_3repE0EEENS1_30default_config_static_selectorELNS0_4arch9wavefront6targetE1EEEvT1_,comdat
	.protected	_ZN7rocprim17ROCPRIM_400000_NS6detail17trampoline_kernelINS0_14default_configENS1_27scan_by_key_config_selectorIssEEZZNS1_16scan_by_key_implILNS1_25lookback_scan_determinismE0ELb0ES3_N6thrust23THRUST_200600_302600_NS6detail15normal_iteratorINS9_10device_ptrIsEEEENS9_18transform_iteratorINS9_6negateIsEESE_NS9_11use_defaultESI_EESE_sNS9_4plusIvEENS9_8equal_toIvEEsEE10hipError_tPvRmT2_T3_T4_T5_mT6_T7_P12ihipStream_tbENKUlT_T0_E_clISt17integral_constantIbLb0EES13_IbLb1EEEEDaSZ_S10_EUlSZ_E_NS1_11comp_targetILNS1_3genE0ELNS1_11target_archE4294967295ELNS1_3gpuE0ELNS1_3repE0EEENS1_30default_config_static_selectorELNS0_4arch9wavefront6targetE1EEEvT1_ ; -- Begin function _ZN7rocprim17ROCPRIM_400000_NS6detail17trampoline_kernelINS0_14default_configENS1_27scan_by_key_config_selectorIssEEZZNS1_16scan_by_key_implILNS1_25lookback_scan_determinismE0ELb0ES3_N6thrust23THRUST_200600_302600_NS6detail15normal_iteratorINS9_10device_ptrIsEEEENS9_18transform_iteratorINS9_6negateIsEESE_NS9_11use_defaultESI_EESE_sNS9_4plusIvEENS9_8equal_toIvEEsEE10hipError_tPvRmT2_T3_T4_T5_mT6_T7_P12ihipStream_tbENKUlT_T0_E_clISt17integral_constantIbLb0EES13_IbLb1EEEEDaSZ_S10_EUlSZ_E_NS1_11comp_targetILNS1_3genE0ELNS1_11target_archE4294967295ELNS1_3gpuE0ELNS1_3repE0EEENS1_30default_config_static_selectorELNS0_4arch9wavefront6targetE1EEEvT1_
	.globl	_ZN7rocprim17ROCPRIM_400000_NS6detail17trampoline_kernelINS0_14default_configENS1_27scan_by_key_config_selectorIssEEZZNS1_16scan_by_key_implILNS1_25lookback_scan_determinismE0ELb0ES3_N6thrust23THRUST_200600_302600_NS6detail15normal_iteratorINS9_10device_ptrIsEEEENS9_18transform_iteratorINS9_6negateIsEESE_NS9_11use_defaultESI_EESE_sNS9_4plusIvEENS9_8equal_toIvEEsEE10hipError_tPvRmT2_T3_T4_T5_mT6_T7_P12ihipStream_tbENKUlT_T0_E_clISt17integral_constantIbLb0EES13_IbLb1EEEEDaSZ_S10_EUlSZ_E_NS1_11comp_targetILNS1_3genE0ELNS1_11target_archE4294967295ELNS1_3gpuE0ELNS1_3repE0EEENS1_30default_config_static_selectorELNS0_4arch9wavefront6targetE1EEEvT1_
	.p2align	8
	.type	_ZN7rocprim17ROCPRIM_400000_NS6detail17trampoline_kernelINS0_14default_configENS1_27scan_by_key_config_selectorIssEEZZNS1_16scan_by_key_implILNS1_25lookback_scan_determinismE0ELb0ES3_N6thrust23THRUST_200600_302600_NS6detail15normal_iteratorINS9_10device_ptrIsEEEENS9_18transform_iteratorINS9_6negateIsEESE_NS9_11use_defaultESI_EESE_sNS9_4plusIvEENS9_8equal_toIvEEsEE10hipError_tPvRmT2_T3_T4_T5_mT6_T7_P12ihipStream_tbENKUlT_T0_E_clISt17integral_constantIbLb0EES13_IbLb1EEEEDaSZ_S10_EUlSZ_E_NS1_11comp_targetILNS1_3genE0ELNS1_11target_archE4294967295ELNS1_3gpuE0ELNS1_3repE0EEENS1_30default_config_static_selectorELNS0_4arch9wavefront6targetE1EEEvT1_,@function
_ZN7rocprim17ROCPRIM_400000_NS6detail17trampoline_kernelINS0_14default_configENS1_27scan_by_key_config_selectorIssEEZZNS1_16scan_by_key_implILNS1_25lookback_scan_determinismE0ELb0ES3_N6thrust23THRUST_200600_302600_NS6detail15normal_iteratorINS9_10device_ptrIsEEEENS9_18transform_iteratorINS9_6negateIsEESE_NS9_11use_defaultESI_EESE_sNS9_4plusIvEENS9_8equal_toIvEEsEE10hipError_tPvRmT2_T3_T4_T5_mT6_T7_P12ihipStream_tbENKUlT_T0_E_clISt17integral_constantIbLb0EES13_IbLb1EEEEDaSZ_S10_EUlSZ_E_NS1_11comp_targetILNS1_3genE0ELNS1_11target_archE4294967295ELNS1_3gpuE0ELNS1_3repE0EEENS1_30default_config_static_selectorELNS0_4arch9wavefront6targetE1EEEvT1_: ; @_ZN7rocprim17ROCPRIM_400000_NS6detail17trampoline_kernelINS0_14default_configENS1_27scan_by_key_config_selectorIssEEZZNS1_16scan_by_key_implILNS1_25lookback_scan_determinismE0ELb0ES3_N6thrust23THRUST_200600_302600_NS6detail15normal_iteratorINS9_10device_ptrIsEEEENS9_18transform_iteratorINS9_6negateIsEESE_NS9_11use_defaultESI_EESE_sNS9_4plusIvEENS9_8equal_toIvEEsEE10hipError_tPvRmT2_T3_T4_T5_mT6_T7_P12ihipStream_tbENKUlT_T0_E_clISt17integral_constantIbLb0EES13_IbLb1EEEEDaSZ_S10_EUlSZ_E_NS1_11comp_targetILNS1_3genE0ELNS1_11target_archE4294967295ELNS1_3gpuE0ELNS1_3repE0EEENS1_30default_config_static_selectorELNS0_4arch9wavefront6targetE1EEEvT1_
; %bb.0:
	.section	.rodata,"a",@progbits
	.p2align	6, 0x0
	.amdhsa_kernel _ZN7rocprim17ROCPRIM_400000_NS6detail17trampoline_kernelINS0_14default_configENS1_27scan_by_key_config_selectorIssEEZZNS1_16scan_by_key_implILNS1_25lookback_scan_determinismE0ELb0ES3_N6thrust23THRUST_200600_302600_NS6detail15normal_iteratorINS9_10device_ptrIsEEEENS9_18transform_iteratorINS9_6negateIsEESE_NS9_11use_defaultESI_EESE_sNS9_4plusIvEENS9_8equal_toIvEEsEE10hipError_tPvRmT2_T3_T4_T5_mT6_T7_P12ihipStream_tbENKUlT_T0_E_clISt17integral_constantIbLb0EES13_IbLb1EEEEDaSZ_S10_EUlSZ_E_NS1_11comp_targetILNS1_3genE0ELNS1_11target_archE4294967295ELNS1_3gpuE0ELNS1_3repE0EEENS1_30default_config_static_selectorELNS0_4arch9wavefront6targetE1EEEvT1_
		.amdhsa_group_segment_fixed_size 0
		.amdhsa_private_segment_fixed_size 0
		.amdhsa_kernarg_size 120
		.amdhsa_user_sgpr_count 6
		.amdhsa_user_sgpr_private_segment_buffer 1
		.amdhsa_user_sgpr_dispatch_ptr 0
		.amdhsa_user_sgpr_queue_ptr 0
		.amdhsa_user_sgpr_kernarg_segment_ptr 1
		.amdhsa_user_sgpr_dispatch_id 0
		.amdhsa_user_sgpr_flat_scratch_init 0
		.amdhsa_user_sgpr_kernarg_preload_length 0
		.amdhsa_user_sgpr_kernarg_preload_offset 0
		.amdhsa_user_sgpr_private_segment_size 0
		.amdhsa_uses_dynamic_stack 0
		.amdhsa_system_sgpr_private_segment_wavefront_offset 0
		.amdhsa_system_sgpr_workgroup_id_x 1
		.amdhsa_system_sgpr_workgroup_id_y 0
		.amdhsa_system_sgpr_workgroup_id_z 0
		.amdhsa_system_sgpr_workgroup_info 0
		.amdhsa_system_vgpr_workitem_id 0
		.amdhsa_next_free_vgpr 1
		.amdhsa_next_free_sgpr 0
		.amdhsa_accum_offset 4
		.amdhsa_reserve_vcc 0
		.amdhsa_reserve_flat_scratch 0
		.amdhsa_float_round_mode_32 0
		.amdhsa_float_round_mode_16_64 0
		.amdhsa_float_denorm_mode_32 3
		.amdhsa_float_denorm_mode_16_64 3
		.amdhsa_dx10_clamp 1
		.amdhsa_ieee_mode 1
		.amdhsa_fp16_overflow 0
		.amdhsa_tg_split 0
		.amdhsa_exception_fp_ieee_invalid_op 0
		.amdhsa_exception_fp_denorm_src 0
		.amdhsa_exception_fp_ieee_div_zero 0
		.amdhsa_exception_fp_ieee_overflow 0
		.amdhsa_exception_fp_ieee_underflow 0
		.amdhsa_exception_fp_ieee_inexact 0
		.amdhsa_exception_int_div_zero 0
	.end_amdhsa_kernel
	.section	.text._ZN7rocprim17ROCPRIM_400000_NS6detail17trampoline_kernelINS0_14default_configENS1_27scan_by_key_config_selectorIssEEZZNS1_16scan_by_key_implILNS1_25lookback_scan_determinismE0ELb0ES3_N6thrust23THRUST_200600_302600_NS6detail15normal_iteratorINS9_10device_ptrIsEEEENS9_18transform_iteratorINS9_6negateIsEESE_NS9_11use_defaultESI_EESE_sNS9_4plusIvEENS9_8equal_toIvEEsEE10hipError_tPvRmT2_T3_T4_T5_mT6_T7_P12ihipStream_tbENKUlT_T0_E_clISt17integral_constantIbLb0EES13_IbLb1EEEEDaSZ_S10_EUlSZ_E_NS1_11comp_targetILNS1_3genE0ELNS1_11target_archE4294967295ELNS1_3gpuE0ELNS1_3repE0EEENS1_30default_config_static_selectorELNS0_4arch9wavefront6targetE1EEEvT1_,"axG",@progbits,_ZN7rocprim17ROCPRIM_400000_NS6detail17trampoline_kernelINS0_14default_configENS1_27scan_by_key_config_selectorIssEEZZNS1_16scan_by_key_implILNS1_25lookback_scan_determinismE0ELb0ES3_N6thrust23THRUST_200600_302600_NS6detail15normal_iteratorINS9_10device_ptrIsEEEENS9_18transform_iteratorINS9_6negateIsEESE_NS9_11use_defaultESI_EESE_sNS9_4plusIvEENS9_8equal_toIvEEsEE10hipError_tPvRmT2_T3_T4_T5_mT6_T7_P12ihipStream_tbENKUlT_T0_E_clISt17integral_constantIbLb0EES13_IbLb1EEEEDaSZ_S10_EUlSZ_E_NS1_11comp_targetILNS1_3genE0ELNS1_11target_archE4294967295ELNS1_3gpuE0ELNS1_3repE0EEENS1_30default_config_static_selectorELNS0_4arch9wavefront6targetE1EEEvT1_,comdat
.Lfunc_end992:
	.size	_ZN7rocprim17ROCPRIM_400000_NS6detail17trampoline_kernelINS0_14default_configENS1_27scan_by_key_config_selectorIssEEZZNS1_16scan_by_key_implILNS1_25lookback_scan_determinismE0ELb0ES3_N6thrust23THRUST_200600_302600_NS6detail15normal_iteratorINS9_10device_ptrIsEEEENS9_18transform_iteratorINS9_6negateIsEESE_NS9_11use_defaultESI_EESE_sNS9_4plusIvEENS9_8equal_toIvEEsEE10hipError_tPvRmT2_T3_T4_T5_mT6_T7_P12ihipStream_tbENKUlT_T0_E_clISt17integral_constantIbLb0EES13_IbLb1EEEEDaSZ_S10_EUlSZ_E_NS1_11comp_targetILNS1_3genE0ELNS1_11target_archE4294967295ELNS1_3gpuE0ELNS1_3repE0EEENS1_30default_config_static_selectorELNS0_4arch9wavefront6targetE1EEEvT1_, .Lfunc_end992-_ZN7rocprim17ROCPRIM_400000_NS6detail17trampoline_kernelINS0_14default_configENS1_27scan_by_key_config_selectorIssEEZZNS1_16scan_by_key_implILNS1_25lookback_scan_determinismE0ELb0ES3_N6thrust23THRUST_200600_302600_NS6detail15normal_iteratorINS9_10device_ptrIsEEEENS9_18transform_iteratorINS9_6negateIsEESE_NS9_11use_defaultESI_EESE_sNS9_4plusIvEENS9_8equal_toIvEEsEE10hipError_tPvRmT2_T3_T4_T5_mT6_T7_P12ihipStream_tbENKUlT_T0_E_clISt17integral_constantIbLb0EES13_IbLb1EEEEDaSZ_S10_EUlSZ_E_NS1_11comp_targetILNS1_3genE0ELNS1_11target_archE4294967295ELNS1_3gpuE0ELNS1_3repE0EEENS1_30default_config_static_selectorELNS0_4arch9wavefront6targetE1EEEvT1_
                                        ; -- End function
	.section	.AMDGPU.csdata,"",@progbits
; Kernel info:
; codeLenInByte = 0
; NumSgprs: 4
; NumVgprs: 0
; NumAgprs: 0
; TotalNumVgprs: 0
; ScratchSize: 0
; MemoryBound: 0
; FloatMode: 240
; IeeeMode: 1
; LDSByteSize: 0 bytes/workgroup (compile time only)
; SGPRBlocks: 0
; VGPRBlocks: 0
; NumSGPRsForWavesPerEU: 4
; NumVGPRsForWavesPerEU: 1
; AccumOffset: 4
; Occupancy: 8
; WaveLimiterHint : 0
; COMPUTE_PGM_RSRC2:SCRATCH_EN: 0
; COMPUTE_PGM_RSRC2:USER_SGPR: 6
; COMPUTE_PGM_RSRC2:TRAP_HANDLER: 0
; COMPUTE_PGM_RSRC2:TGID_X_EN: 1
; COMPUTE_PGM_RSRC2:TGID_Y_EN: 0
; COMPUTE_PGM_RSRC2:TGID_Z_EN: 0
; COMPUTE_PGM_RSRC2:TIDIG_COMP_CNT: 0
; COMPUTE_PGM_RSRC3_GFX90A:ACCUM_OFFSET: 0
; COMPUTE_PGM_RSRC3_GFX90A:TG_SPLIT: 0
	.section	.text._ZN7rocprim17ROCPRIM_400000_NS6detail17trampoline_kernelINS0_14default_configENS1_27scan_by_key_config_selectorIssEEZZNS1_16scan_by_key_implILNS1_25lookback_scan_determinismE0ELb0ES3_N6thrust23THRUST_200600_302600_NS6detail15normal_iteratorINS9_10device_ptrIsEEEENS9_18transform_iteratorINS9_6negateIsEESE_NS9_11use_defaultESI_EESE_sNS9_4plusIvEENS9_8equal_toIvEEsEE10hipError_tPvRmT2_T3_T4_T5_mT6_T7_P12ihipStream_tbENKUlT_T0_E_clISt17integral_constantIbLb0EES13_IbLb1EEEEDaSZ_S10_EUlSZ_E_NS1_11comp_targetILNS1_3genE10ELNS1_11target_archE1201ELNS1_3gpuE5ELNS1_3repE0EEENS1_30default_config_static_selectorELNS0_4arch9wavefront6targetE1EEEvT1_,"axG",@progbits,_ZN7rocprim17ROCPRIM_400000_NS6detail17trampoline_kernelINS0_14default_configENS1_27scan_by_key_config_selectorIssEEZZNS1_16scan_by_key_implILNS1_25lookback_scan_determinismE0ELb0ES3_N6thrust23THRUST_200600_302600_NS6detail15normal_iteratorINS9_10device_ptrIsEEEENS9_18transform_iteratorINS9_6negateIsEESE_NS9_11use_defaultESI_EESE_sNS9_4plusIvEENS9_8equal_toIvEEsEE10hipError_tPvRmT2_T3_T4_T5_mT6_T7_P12ihipStream_tbENKUlT_T0_E_clISt17integral_constantIbLb0EES13_IbLb1EEEEDaSZ_S10_EUlSZ_E_NS1_11comp_targetILNS1_3genE10ELNS1_11target_archE1201ELNS1_3gpuE5ELNS1_3repE0EEENS1_30default_config_static_selectorELNS0_4arch9wavefront6targetE1EEEvT1_,comdat
	.protected	_ZN7rocprim17ROCPRIM_400000_NS6detail17trampoline_kernelINS0_14default_configENS1_27scan_by_key_config_selectorIssEEZZNS1_16scan_by_key_implILNS1_25lookback_scan_determinismE0ELb0ES3_N6thrust23THRUST_200600_302600_NS6detail15normal_iteratorINS9_10device_ptrIsEEEENS9_18transform_iteratorINS9_6negateIsEESE_NS9_11use_defaultESI_EESE_sNS9_4plusIvEENS9_8equal_toIvEEsEE10hipError_tPvRmT2_T3_T4_T5_mT6_T7_P12ihipStream_tbENKUlT_T0_E_clISt17integral_constantIbLb0EES13_IbLb1EEEEDaSZ_S10_EUlSZ_E_NS1_11comp_targetILNS1_3genE10ELNS1_11target_archE1201ELNS1_3gpuE5ELNS1_3repE0EEENS1_30default_config_static_selectorELNS0_4arch9wavefront6targetE1EEEvT1_ ; -- Begin function _ZN7rocprim17ROCPRIM_400000_NS6detail17trampoline_kernelINS0_14default_configENS1_27scan_by_key_config_selectorIssEEZZNS1_16scan_by_key_implILNS1_25lookback_scan_determinismE0ELb0ES3_N6thrust23THRUST_200600_302600_NS6detail15normal_iteratorINS9_10device_ptrIsEEEENS9_18transform_iteratorINS9_6negateIsEESE_NS9_11use_defaultESI_EESE_sNS9_4plusIvEENS9_8equal_toIvEEsEE10hipError_tPvRmT2_T3_T4_T5_mT6_T7_P12ihipStream_tbENKUlT_T0_E_clISt17integral_constantIbLb0EES13_IbLb1EEEEDaSZ_S10_EUlSZ_E_NS1_11comp_targetILNS1_3genE10ELNS1_11target_archE1201ELNS1_3gpuE5ELNS1_3repE0EEENS1_30default_config_static_selectorELNS0_4arch9wavefront6targetE1EEEvT1_
	.globl	_ZN7rocprim17ROCPRIM_400000_NS6detail17trampoline_kernelINS0_14default_configENS1_27scan_by_key_config_selectorIssEEZZNS1_16scan_by_key_implILNS1_25lookback_scan_determinismE0ELb0ES3_N6thrust23THRUST_200600_302600_NS6detail15normal_iteratorINS9_10device_ptrIsEEEENS9_18transform_iteratorINS9_6negateIsEESE_NS9_11use_defaultESI_EESE_sNS9_4plusIvEENS9_8equal_toIvEEsEE10hipError_tPvRmT2_T3_T4_T5_mT6_T7_P12ihipStream_tbENKUlT_T0_E_clISt17integral_constantIbLb0EES13_IbLb1EEEEDaSZ_S10_EUlSZ_E_NS1_11comp_targetILNS1_3genE10ELNS1_11target_archE1201ELNS1_3gpuE5ELNS1_3repE0EEENS1_30default_config_static_selectorELNS0_4arch9wavefront6targetE1EEEvT1_
	.p2align	8
	.type	_ZN7rocprim17ROCPRIM_400000_NS6detail17trampoline_kernelINS0_14default_configENS1_27scan_by_key_config_selectorIssEEZZNS1_16scan_by_key_implILNS1_25lookback_scan_determinismE0ELb0ES3_N6thrust23THRUST_200600_302600_NS6detail15normal_iteratorINS9_10device_ptrIsEEEENS9_18transform_iteratorINS9_6negateIsEESE_NS9_11use_defaultESI_EESE_sNS9_4plusIvEENS9_8equal_toIvEEsEE10hipError_tPvRmT2_T3_T4_T5_mT6_T7_P12ihipStream_tbENKUlT_T0_E_clISt17integral_constantIbLb0EES13_IbLb1EEEEDaSZ_S10_EUlSZ_E_NS1_11comp_targetILNS1_3genE10ELNS1_11target_archE1201ELNS1_3gpuE5ELNS1_3repE0EEENS1_30default_config_static_selectorELNS0_4arch9wavefront6targetE1EEEvT1_,@function
_ZN7rocprim17ROCPRIM_400000_NS6detail17trampoline_kernelINS0_14default_configENS1_27scan_by_key_config_selectorIssEEZZNS1_16scan_by_key_implILNS1_25lookback_scan_determinismE0ELb0ES3_N6thrust23THRUST_200600_302600_NS6detail15normal_iteratorINS9_10device_ptrIsEEEENS9_18transform_iteratorINS9_6negateIsEESE_NS9_11use_defaultESI_EESE_sNS9_4plusIvEENS9_8equal_toIvEEsEE10hipError_tPvRmT2_T3_T4_T5_mT6_T7_P12ihipStream_tbENKUlT_T0_E_clISt17integral_constantIbLb0EES13_IbLb1EEEEDaSZ_S10_EUlSZ_E_NS1_11comp_targetILNS1_3genE10ELNS1_11target_archE1201ELNS1_3gpuE5ELNS1_3repE0EEENS1_30default_config_static_selectorELNS0_4arch9wavefront6targetE1EEEvT1_: ; @_ZN7rocprim17ROCPRIM_400000_NS6detail17trampoline_kernelINS0_14default_configENS1_27scan_by_key_config_selectorIssEEZZNS1_16scan_by_key_implILNS1_25lookback_scan_determinismE0ELb0ES3_N6thrust23THRUST_200600_302600_NS6detail15normal_iteratorINS9_10device_ptrIsEEEENS9_18transform_iteratorINS9_6negateIsEESE_NS9_11use_defaultESI_EESE_sNS9_4plusIvEENS9_8equal_toIvEEsEE10hipError_tPvRmT2_T3_T4_T5_mT6_T7_P12ihipStream_tbENKUlT_T0_E_clISt17integral_constantIbLb0EES13_IbLb1EEEEDaSZ_S10_EUlSZ_E_NS1_11comp_targetILNS1_3genE10ELNS1_11target_archE1201ELNS1_3gpuE5ELNS1_3repE0EEENS1_30default_config_static_selectorELNS0_4arch9wavefront6targetE1EEEvT1_
; %bb.0:
	.section	.rodata,"a",@progbits
	.p2align	6, 0x0
	.amdhsa_kernel _ZN7rocprim17ROCPRIM_400000_NS6detail17trampoline_kernelINS0_14default_configENS1_27scan_by_key_config_selectorIssEEZZNS1_16scan_by_key_implILNS1_25lookback_scan_determinismE0ELb0ES3_N6thrust23THRUST_200600_302600_NS6detail15normal_iteratorINS9_10device_ptrIsEEEENS9_18transform_iteratorINS9_6negateIsEESE_NS9_11use_defaultESI_EESE_sNS9_4plusIvEENS9_8equal_toIvEEsEE10hipError_tPvRmT2_T3_T4_T5_mT6_T7_P12ihipStream_tbENKUlT_T0_E_clISt17integral_constantIbLb0EES13_IbLb1EEEEDaSZ_S10_EUlSZ_E_NS1_11comp_targetILNS1_3genE10ELNS1_11target_archE1201ELNS1_3gpuE5ELNS1_3repE0EEENS1_30default_config_static_selectorELNS0_4arch9wavefront6targetE1EEEvT1_
		.amdhsa_group_segment_fixed_size 0
		.amdhsa_private_segment_fixed_size 0
		.amdhsa_kernarg_size 120
		.amdhsa_user_sgpr_count 6
		.amdhsa_user_sgpr_private_segment_buffer 1
		.amdhsa_user_sgpr_dispatch_ptr 0
		.amdhsa_user_sgpr_queue_ptr 0
		.amdhsa_user_sgpr_kernarg_segment_ptr 1
		.amdhsa_user_sgpr_dispatch_id 0
		.amdhsa_user_sgpr_flat_scratch_init 0
		.amdhsa_user_sgpr_kernarg_preload_length 0
		.amdhsa_user_sgpr_kernarg_preload_offset 0
		.amdhsa_user_sgpr_private_segment_size 0
		.amdhsa_uses_dynamic_stack 0
		.amdhsa_system_sgpr_private_segment_wavefront_offset 0
		.amdhsa_system_sgpr_workgroup_id_x 1
		.amdhsa_system_sgpr_workgroup_id_y 0
		.amdhsa_system_sgpr_workgroup_id_z 0
		.amdhsa_system_sgpr_workgroup_info 0
		.amdhsa_system_vgpr_workitem_id 0
		.amdhsa_next_free_vgpr 1
		.amdhsa_next_free_sgpr 0
		.amdhsa_accum_offset 4
		.amdhsa_reserve_vcc 0
		.amdhsa_reserve_flat_scratch 0
		.amdhsa_float_round_mode_32 0
		.amdhsa_float_round_mode_16_64 0
		.amdhsa_float_denorm_mode_32 3
		.amdhsa_float_denorm_mode_16_64 3
		.amdhsa_dx10_clamp 1
		.amdhsa_ieee_mode 1
		.amdhsa_fp16_overflow 0
		.amdhsa_tg_split 0
		.amdhsa_exception_fp_ieee_invalid_op 0
		.amdhsa_exception_fp_denorm_src 0
		.amdhsa_exception_fp_ieee_div_zero 0
		.amdhsa_exception_fp_ieee_overflow 0
		.amdhsa_exception_fp_ieee_underflow 0
		.amdhsa_exception_fp_ieee_inexact 0
		.amdhsa_exception_int_div_zero 0
	.end_amdhsa_kernel
	.section	.text._ZN7rocprim17ROCPRIM_400000_NS6detail17trampoline_kernelINS0_14default_configENS1_27scan_by_key_config_selectorIssEEZZNS1_16scan_by_key_implILNS1_25lookback_scan_determinismE0ELb0ES3_N6thrust23THRUST_200600_302600_NS6detail15normal_iteratorINS9_10device_ptrIsEEEENS9_18transform_iteratorINS9_6negateIsEESE_NS9_11use_defaultESI_EESE_sNS9_4plusIvEENS9_8equal_toIvEEsEE10hipError_tPvRmT2_T3_T4_T5_mT6_T7_P12ihipStream_tbENKUlT_T0_E_clISt17integral_constantIbLb0EES13_IbLb1EEEEDaSZ_S10_EUlSZ_E_NS1_11comp_targetILNS1_3genE10ELNS1_11target_archE1201ELNS1_3gpuE5ELNS1_3repE0EEENS1_30default_config_static_selectorELNS0_4arch9wavefront6targetE1EEEvT1_,"axG",@progbits,_ZN7rocprim17ROCPRIM_400000_NS6detail17trampoline_kernelINS0_14default_configENS1_27scan_by_key_config_selectorIssEEZZNS1_16scan_by_key_implILNS1_25lookback_scan_determinismE0ELb0ES3_N6thrust23THRUST_200600_302600_NS6detail15normal_iteratorINS9_10device_ptrIsEEEENS9_18transform_iteratorINS9_6negateIsEESE_NS9_11use_defaultESI_EESE_sNS9_4plusIvEENS9_8equal_toIvEEsEE10hipError_tPvRmT2_T3_T4_T5_mT6_T7_P12ihipStream_tbENKUlT_T0_E_clISt17integral_constantIbLb0EES13_IbLb1EEEEDaSZ_S10_EUlSZ_E_NS1_11comp_targetILNS1_3genE10ELNS1_11target_archE1201ELNS1_3gpuE5ELNS1_3repE0EEENS1_30default_config_static_selectorELNS0_4arch9wavefront6targetE1EEEvT1_,comdat
.Lfunc_end993:
	.size	_ZN7rocprim17ROCPRIM_400000_NS6detail17trampoline_kernelINS0_14default_configENS1_27scan_by_key_config_selectorIssEEZZNS1_16scan_by_key_implILNS1_25lookback_scan_determinismE0ELb0ES3_N6thrust23THRUST_200600_302600_NS6detail15normal_iteratorINS9_10device_ptrIsEEEENS9_18transform_iteratorINS9_6negateIsEESE_NS9_11use_defaultESI_EESE_sNS9_4plusIvEENS9_8equal_toIvEEsEE10hipError_tPvRmT2_T3_T4_T5_mT6_T7_P12ihipStream_tbENKUlT_T0_E_clISt17integral_constantIbLb0EES13_IbLb1EEEEDaSZ_S10_EUlSZ_E_NS1_11comp_targetILNS1_3genE10ELNS1_11target_archE1201ELNS1_3gpuE5ELNS1_3repE0EEENS1_30default_config_static_selectorELNS0_4arch9wavefront6targetE1EEEvT1_, .Lfunc_end993-_ZN7rocprim17ROCPRIM_400000_NS6detail17trampoline_kernelINS0_14default_configENS1_27scan_by_key_config_selectorIssEEZZNS1_16scan_by_key_implILNS1_25lookback_scan_determinismE0ELb0ES3_N6thrust23THRUST_200600_302600_NS6detail15normal_iteratorINS9_10device_ptrIsEEEENS9_18transform_iteratorINS9_6negateIsEESE_NS9_11use_defaultESI_EESE_sNS9_4plusIvEENS9_8equal_toIvEEsEE10hipError_tPvRmT2_T3_T4_T5_mT6_T7_P12ihipStream_tbENKUlT_T0_E_clISt17integral_constantIbLb0EES13_IbLb1EEEEDaSZ_S10_EUlSZ_E_NS1_11comp_targetILNS1_3genE10ELNS1_11target_archE1201ELNS1_3gpuE5ELNS1_3repE0EEENS1_30default_config_static_selectorELNS0_4arch9wavefront6targetE1EEEvT1_
                                        ; -- End function
	.section	.AMDGPU.csdata,"",@progbits
; Kernel info:
; codeLenInByte = 0
; NumSgprs: 4
; NumVgprs: 0
; NumAgprs: 0
; TotalNumVgprs: 0
; ScratchSize: 0
; MemoryBound: 0
; FloatMode: 240
; IeeeMode: 1
; LDSByteSize: 0 bytes/workgroup (compile time only)
; SGPRBlocks: 0
; VGPRBlocks: 0
; NumSGPRsForWavesPerEU: 4
; NumVGPRsForWavesPerEU: 1
; AccumOffset: 4
; Occupancy: 8
; WaveLimiterHint : 0
; COMPUTE_PGM_RSRC2:SCRATCH_EN: 0
; COMPUTE_PGM_RSRC2:USER_SGPR: 6
; COMPUTE_PGM_RSRC2:TRAP_HANDLER: 0
; COMPUTE_PGM_RSRC2:TGID_X_EN: 1
; COMPUTE_PGM_RSRC2:TGID_Y_EN: 0
; COMPUTE_PGM_RSRC2:TGID_Z_EN: 0
; COMPUTE_PGM_RSRC2:TIDIG_COMP_CNT: 0
; COMPUTE_PGM_RSRC3_GFX90A:ACCUM_OFFSET: 0
; COMPUTE_PGM_RSRC3_GFX90A:TG_SPLIT: 0
	.section	.text._ZN7rocprim17ROCPRIM_400000_NS6detail17trampoline_kernelINS0_14default_configENS1_27scan_by_key_config_selectorIssEEZZNS1_16scan_by_key_implILNS1_25lookback_scan_determinismE0ELb0ES3_N6thrust23THRUST_200600_302600_NS6detail15normal_iteratorINS9_10device_ptrIsEEEENS9_18transform_iteratorINS9_6negateIsEESE_NS9_11use_defaultESI_EESE_sNS9_4plusIvEENS9_8equal_toIvEEsEE10hipError_tPvRmT2_T3_T4_T5_mT6_T7_P12ihipStream_tbENKUlT_T0_E_clISt17integral_constantIbLb0EES13_IbLb1EEEEDaSZ_S10_EUlSZ_E_NS1_11comp_targetILNS1_3genE5ELNS1_11target_archE942ELNS1_3gpuE9ELNS1_3repE0EEENS1_30default_config_static_selectorELNS0_4arch9wavefront6targetE1EEEvT1_,"axG",@progbits,_ZN7rocprim17ROCPRIM_400000_NS6detail17trampoline_kernelINS0_14default_configENS1_27scan_by_key_config_selectorIssEEZZNS1_16scan_by_key_implILNS1_25lookback_scan_determinismE0ELb0ES3_N6thrust23THRUST_200600_302600_NS6detail15normal_iteratorINS9_10device_ptrIsEEEENS9_18transform_iteratorINS9_6negateIsEESE_NS9_11use_defaultESI_EESE_sNS9_4plusIvEENS9_8equal_toIvEEsEE10hipError_tPvRmT2_T3_T4_T5_mT6_T7_P12ihipStream_tbENKUlT_T0_E_clISt17integral_constantIbLb0EES13_IbLb1EEEEDaSZ_S10_EUlSZ_E_NS1_11comp_targetILNS1_3genE5ELNS1_11target_archE942ELNS1_3gpuE9ELNS1_3repE0EEENS1_30default_config_static_selectorELNS0_4arch9wavefront6targetE1EEEvT1_,comdat
	.protected	_ZN7rocprim17ROCPRIM_400000_NS6detail17trampoline_kernelINS0_14default_configENS1_27scan_by_key_config_selectorIssEEZZNS1_16scan_by_key_implILNS1_25lookback_scan_determinismE0ELb0ES3_N6thrust23THRUST_200600_302600_NS6detail15normal_iteratorINS9_10device_ptrIsEEEENS9_18transform_iteratorINS9_6negateIsEESE_NS9_11use_defaultESI_EESE_sNS9_4plusIvEENS9_8equal_toIvEEsEE10hipError_tPvRmT2_T3_T4_T5_mT6_T7_P12ihipStream_tbENKUlT_T0_E_clISt17integral_constantIbLb0EES13_IbLb1EEEEDaSZ_S10_EUlSZ_E_NS1_11comp_targetILNS1_3genE5ELNS1_11target_archE942ELNS1_3gpuE9ELNS1_3repE0EEENS1_30default_config_static_selectorELNS0_4arch9wavefront6targetE1EEEvT1_ ; -- Begin function _ZN7rocprim17ROCPRIM_400000_NS6detail17trampoline_kernelINS0_14default_configENS1_27scan_by_key_config_selectorIssEEZZNS1_16scan_by_key_implILNS1_25lookback_scan_determinismE0ELb0ES3_N6thrust23THRUST_200600_302600_NS6detail15normal_iteratorINS9_10device_ptrIsEEEENS9_18transform_iteratorINS9_6negateIsEESE_NS9_11use_defaultESI_EESE_sNS9_4plusIvEENS9_8equal_toIvEEsEE10hipError_tPvRmT2_T3_T4_T5_mT6_T7_P12ihipStream_tbENKUlT_T0_E_clISt17integral_constantIbLb0EES13_IbLb1EEEEDaSZ_S10_EUlSZ_E_NS1_11comp_targetILNS1_3genE5ELNS1_11target_archE942ELNS1_3gpuE9ELNS1_3repE0EEENS1_30default_config_static_selectorELNS0_4arch9wavefront6targetE1EEEvT1_
	.globl	_ZN7rocprim17ROCPRIM_400000_NS6detail17trampoline_kernelINS0_14default_configENS1_27scan_by_key_config_selectorIssEEZZNS1_16scan_by_key_implILNS1_25lookback_scan_determinismE0ELb0ES3_N6thrust23THRUST_200600_302600_NS6detail15normal_iteratorINS9_10device_ptrIsEEEENS9_18transform_iteratorINS9_6negateIsEESE_NS9_11use_defaultESI_EESE_sNS9_4plusIvEENS9_8equal_toIvEEsEE10hipError_tPvRmT2_T3_T4_T5_mT6_T7_P12ihipStream_tbENKUlT_T0_E_clISt17integral_constantIbLb0EES13_IbLb1EEEEDaSZ_S10_EUlSZ_E_NS1_11comp_targetILNS1_3genE5ELNS1_11target_archE942ELNS1_3gpuE9ELNS1_3repE0EEENS1_30default_config_static_selectorELNS0_4arch9wavefront6targetE1EEEvT1_
	.p2align	8
	.type	_ZN7rocprim17ROCPRIM_400000_NS6detail17trampoline_kernelINS0_14default_configENS1_27scan_by_key_config_selectorIssEEZZNS1_16scan_by_key_implILNS1_25lookback_scan_determinismE0ELb0ES3_N6thrust23THRUST_200600_302600_NS6detail15normal_iteratorINS9_10device_ptrIsEEEENS9_18transform_iteratorINS9_6negateIsEESE_NS9_11use_defaultESI_EESE_sNS9_4plusIvEENS9_8equal_toIvEEsEE10hipError_tPvRmT2_T3_T4_T5_mT6_T7_P12ihipStream_tbENKUlT_T0_E_clISt17integral_constantIbLb0EES13_IbLb1EEEEDaSZ_S10_EUlSZ_E_NS1_11comp_targetILNS1_3genE5ELNS1_11target_archE942ELNS1_3gpuE9ELNS1_3repE0EEENS1_30default_config_static_selectorELNS0_4arch9wavefront6targetE1EEEvT1_,@function
_ZN7rocprim17ROCPRIM_400000_NS6detail17trampoline_kernelINS0_14default_configENS1_27scan_by_key_config_selectorIssEEZZNS1_16scan_by_key_implILNS1_25lookback_scan_determinismE0ELb0ES3_N6thrust23THRUST_200600_302600_NS6detail15normal_iteratorINS9_10device_ptrIsEEEENS9_18transform_iteratorINS9_6negateIsEESE_NS9_11use_defaultESI_EESE_sNS9_4plusIvEENS9_8equal_toIvEEsEE10hipError_tPvRmT2_T3_T4_T5_mT6_T7_P12ihipStream_tbENKUlT_T0_E_clISt17integral_constantIbLb0EES13_IbLb1EEEEDaSZ_S10_EUlSZ_E_NS1_11comp_targetILNS1_3genE5ELNS1_11target_archE942ELNS1_3gpuE9ELNS1_3repE0EEENS1_30default_config_static_selectorELNS0_4arch9wavefront6targetE1EEEvT1_: ; @_ZN7rocprim17ROCPRIM_400000_NS6detail17trampoline_kernelINS0_14default_configENS1_27scan_by_key_config_selectorIssEEZZNS1_16scan_by_key_implILNS1_25lookback_scan_determinismE0ELb0ES3_N6thrust23THRUST_200600_302600_NS6detail15normal_iteratorINS9_10device_ptrIsEEEENS9_18transform_iteratorINS9_6negateIsEESE_NS9_11use_defaultESI_EESE_sNS9_4plusIvEENS9_8equal_toIvEEsEE10hipError_tPvRmT2_T3_T4_T5_mT6_T7_P12ihipStream_tbENKUlT_T0_E_clISt17integral_constantIbLb0EES13_IbLb1EEEEDaSZ_S10_EUlSZ_E_NS1_11comp_targetILNS1_3genE5ELNS1_11target_archE942ELNS1_3gpuE9ELNS1_3repE0EEENS1_30default_config_static_selectorELNS0_4arch9wavefront6targetE1EEEvT1_
; %bb.0:
	.section	.rodata,"a",@progbits
	.p2align	6, 0x0
	.amdhsa_kernel _ZN7rocprim17ROCPRIM_400000_NS6detail17trampoline_kernelINS0_14default_configENS1_27scan_by_key_config_selectorIssEEZZNS1_16scan_by_key_implILNS1_25lookback_scan_determinismE0ELb0ES3_N6thrust23THRUST_200600_302600_NS6detail15normal_iteratorINS9_10device_ptrIsEEEENS9_18transform_iteratorINS9_6negateIsEESE_NS9_11use_defaultESI_EESE_sNS9_4plusIvEENS9_8equal_toIvEEsEE10hipError_tPvRmT2_T3_T4_T5_mT6_T7_P12ihipStream_tbENKUlT_T0_E_clISt17integral_constantIbLb0EES13_IbLb1EEEEDaSZ_S10_EUlSZ_E_NS1_11comp_targetILNS1_3genE5ELNS1_11target_archE942ELNS1_3gpuE9ELNS1_3repE0EEENS1_30default_config_static_selectorELNS0_4arch9wavefront6targetE1EEEvT1_
		.amdhsa_group_segment_fixed_size 0
		.amdhsa_private_segment_fixed_size 0
		.amdhsa_kernarg_size 120
		.amdhsa_user_sgpr_count 6
		.amdhsa_user_sgpr_private_segment_buffer 1
		.amdhsa_user_sgpr_dispatch_ptr 0
		.amdhsa_user_sgpr_queue_ptr 0
		.amdhsa_user_sgpr_kernarg_segment_ptr 1
		.amdhsa_user_sgpr_dispatch_id 0
		.amdhsa_user_sgpr_flat_scratch_init 0
		.amdhsa_user_sgpr_kernarg_preload_length 0
		.amdhsa_user_sgpr_kernarg_preload_offset 0
		.amdhsa_user_sgpr_private_segment_size 0
		.amdhsa_uses_dynamic_stack 0
		.amdhsa_system_sgpr_private_segment_wavefront_offset 0
		.amdhsa_system_sgpr_workgroup_id_x 1
		.amdhsa_system_sgpr_workgroup_id_y 0
		.amdhsa_system_sgpr_workgroup_id_z 0
		.amdhsa_system_sgpr_workgroup_info 0
		.amdhsa_system_vgpr_workitem_id 0
		.amdhsa_next_free_vgpr 1
		.amdhsa_next_free_sgpr 0
		.amdhsa_accum_offset 4
		.amdhsa_reserve_vcc 0
		.amdhsa_reserve_flat_scratch 0
		.amdhsa_float_round_mode_32 0
		.amdhsa_float_round_mode_16_64 0
		.amdhsa_float_denorm_mode_32 3
		.amdhsa_float_denorm_mode_16_64 3
		.amdhsa_dx10_clamp 1
		.amdhsa_ieee_mode 1
		.amdhsa_fp16_overflow 0
		.amdhsa_tg_split 0
		.amdhsa_exception_fp_ieee_invalid_op 0
		.amdhsa_exception_fp_denorm_src 0
		.amdhsa_exception_fp_ieee_div_zero 0
		.amdhsa_exception_fp_ieee_overflow 0
		.amdhsa_exception_fp_ieee_underflow 0
		.amdhsa_exception_fp_ieee_inexact 0
		.amdhsa_exception_int_div_zero 0
	.end_amdhsa_kernel
	.section	.text._ZN7rocprim17ROCPRIM_400000_NS6detail17trampoline_kernelINS0_14default_configENS1_27scan_by_key_config_selectorIssEEZZNS1_16scan_by_key_implILNS1_25lookback_scan_determinismE0ELb0ES3_N6thrust23THRUST_200600_302600_NS6detail15normal_iteratorINS9_10device_ptrIsEEEENS9_18transform_iteratorINS9_6negateIsEESE_NS9_11use_defaultESI_EESE_sNS9_4plusIvEENS9_8equal_toIvEEsEE10hipError_tPvRmT2_T3_T4_T5_mT6_T7_P12ihipStream_tbENKUlT_T0_E_clISt17integral_constantIbLb0EES13_IbLb1EEEEDaSZ_S10_EUlSZ_E_NS1_11comp_targetILNS1_3genE5ELNS1_11target_archE942ELNS1_3gpuE9ELNS1_3repE0EEENS1_30default_config_static_selectorELNS0_4arch9wavefront6targetE1EEEvT1_,"axG",@progbits,_ZN7rocprim17ROCPRIM_400000_NS6detail17trampoline_kernelINS0_14default_configENS1_27scan_by_key_config_selectorIssEEZZNS1_16scan_by_key_implILNS1_25lookback_scan_determinismE0ELb0ES3_N6thrust23THRUST_200600_302600_NS6detail15normal_iteratorINS9_10device_ptrIsEEEENS9_18transform_iteratorINS9_6negateIsEESE_NS9_11use_defaultESI_EESE_sNS9_4plusIvEENS9_8equal_toIvEEsEE10hipError_tPvRmT2_T3_T4_T5_mT6_T7_P12ihipStream_tbENKUlT_T0_E_clISt17integral_constantIbLb0EES13_IbLb1EEEEDaSZ_S10_EUlSZ_E_NS1_11comp_targetILNS1_3genE5ELNS1_11target_archE942ELNS1_3gpuE9ELNS1_3repE0EEENS1_30default_config_static_selectorELNS0_4arch9wavefront6targetE1EEEvT1_,comdat
.Lfunc_end994:
	.size	_ZN7rocprim17ROCPRIM_400000_NS6detail17trampoline_kernelINS0_14default_configENS1_27scan_by_key_config_selectorIssEEZZNS1_16scan_by_key_implILNS1_25lookback_scan_determinismE0ELb0ES3_N6thrust23THRUST_200600_302600_NS6detail15normal_iteratorINS9_10device_ptrIsEEEENS9_18transform_iteratorINS9_6negateIsEESE_NS9_11use_defaultESI_EESE_sNS9_4plusIvEENS9_8equal_toIvEEsEE10hipError_tPvRmT2_T3_T4_T5_mT6_T7_P12ihipStream_tbENKUlT_T0_E_clISt17integral_constantIbLb0EES13_IbLb1EEEEDaSZ_S10_EUlSZ_E_NS1_11comp_targetILNS1_3genE5ELNS1_11target_archE942ELNS1_3gpuE9ELNS1_3repE0EEENS1_30default_config_static_selectorELNS0_4arch9wavefront6targetE1EEEvT1_, .Lfunc_end994-_ZN7rocprim17ROCPRIM_400000_NS6detail17trampoline_kernelINS0_14default_configENS1_27scan_by_key_config_selectorIssEEZZNS1_16scan_by_key_implILNS1_25lookback_scan_determinismE0ELb0ES3_N6thrust23THRUST_200600_302600_NS6detail15normal_iteratorINS9_10device_ptrIsEEEENS9_18transform_iteratorINS9_6negateIsEESE_NS9_11use_defaultESI_EESE_sNS9_4plusIvEENS9_8equal_toIvEEsEE10hipError_tPvRmT2_T3_T4_T5_mT6_T7_P12ihipStream_tbENKUlT_T0_E_clISt17integral_constantIbLb0EES13_IbLb1EEEEDaSZ_S10_EUlSZ_E_NS1_11comp_targetILNS1_3genE5ELNS1_11target_archE942ELNS1_3gpuE9ELNS1_3repE0EEENS1_30default_config_static_selectorELNS0_4arch9wavefront6targetE1EEEvT1_
                                        ; -- End function
	.section	.AMDGPU.csdata,"",@progbits
; Kernel info:
; codeLenInByte = 0
; NumSgprs: 4
; NumVgprs: 0
; NumAgprs: 0
; TotalNumVgprs: 0
; ScratchSize: 0
; MemoryBound: 0
; FloatMode: 240
; IeeeMode: 1
; LDSByteSize: 0 bytes/workgroup (compile time only)
; SGPRBlocks: 0
; VGPRBlocks: 0
; NumSGPRsForWavesPerEU: 4
; NumVGPRsForWavesPerEU: 1
; AccumOffset: 4
; Occupancy: 8
; WaveLimiterHint : 0
; COMPUTE_PGM_RSRC2:SCRATCH_EN: 0
; COMPUTE_PGM_RSRC2:USER_SGPR: 6
; COMPUTE_PGM_RSRC2:TRAP_HANDLER: 0
; COMPUTE_PGM_RSRC2:TGID_X_EN: 1
; COMPUTE_PGM_RSRC2:TGID_Y_EN: 0
; COMPUTE_PGM_RSRC2:TGID_Z_EN: 0
; COMPUTE_PGM_RSRC2:TIDIG_COMP_CNT: 0
; COMPUTE_PGM_RSRC3_GFX90A:ACCUM_OFFSET: 0
; COMPUTE_PGM_RSRC3_GFX90A:TG_SPLIT: 0
	.section	.text._ZN7rocprim17ROCPRIM_400000_NS6detail17trampoline_kernelINS0_14default_configENS1_27scan_by_key_config_selectorIssEEZZNS1_16scan_by_key_implILNS1_25lookback_scan_determinismE0ELb0ES3_N6thrust23THRUST_200600_302600_NS6detail15normal_iteratorINS9_10device_ptrIsEEEENS9_18transform_iteratorINS9_6negateIsEESE_NS9_11use_defaultESI_EESE_sNS9_4plusIvEENS9_8equal_toIvEEsEE10hipError_tPvRmT2_T3_T4_T5_mT6_T7_P12ihipStream_tbENKUlT_T0_E_clISt17integral_constantIbLb0EES13_IbLb1EEEEDaSZ_S10_EUlSZ_E_NS1_11comp_targetILNS1_3genE4ELNS1_11target_archE910ELNS1_3gpuE8ELNS1_3repE0EEENS1_30default_config_static_selectorELNS0_4arch9wavefront6targetE1EEEvT1_,"axG",@progbits,_ZN7rocprim17ROCPRIM_400000_NS6detail17trampoline_kernelINS0_14default_configENS1_27scan_by_key_config_selectorIssEEZZNS1_16scan_by_key_implILNS1_25lookback_scan_determinismE0ELb0ES3_N6thrust23THRUST_200600_302600_NS6detail15normal_iteratorINS9_10device_ptrIsEEEENS9_18transform_iteratorINS9_6negateIsEESE_NS9_11use_defaultESI_EESE_sNS9_4plusIvEENS9_8equal_toIvEEsEE10hipError_tPvRmT2_T3_T4_T5_mT6_T7_P12ihipStream_tbENKUlT_T0_E_clISt17integral_constantIbLb0EES13_IbLb1EEEEDaSZ_S10_EUlSZ_E_NS1_11comp_targetILNS1_3genE4ELNS1_11target_archE910ELNS1_3gpuE8ELNS1_3repE0EEENS1_30default_config_static_selectorELNS0_4arch9wavefront6targetE1EEEvT1_,comdat
	.protected	_ZN7rocprim17ROCPRIM_400000_NS6detail17trampoline_kernelINS0_14default_configENS1_27scan_by_key_config_selectorIssEEZZNS1_16scan_by_key_implILNS1_25lookback_scan_determinismE0ELb0ES3_N6thrust23THRUST_200600_302600_NS6detail15normal_iteratorINS9_10device_ptrIsEEEENS9_18transform_iteratorINS9_6negateIsEESE_NS9_11use_defaultESI_EESE_sNS9_4plusIvEENS9_8equal_toIvEEsEE10hipError_tPvRmT2_T3_T4_T5_mT6_T7_P12ihipStream_tbENKUlT_T0_E_clISt17integral_constantIbLb0EES13_IbLb1EEEEDaSZ_S10_EUlSZ_E_NS1_11comp_targetILNS1_3genE4ELNS1_11target_archE910ELNS1_3gpuE8ELNS1_3repE0EEENS1_30default_config_static_selectorELNS0_4arch9wavefront6targetE1EEEvT1_ ; -- Begin function _ZN7rocprim17ROCPRIM_400000_NS6detail17trampoline_kernelINS0_14default_configENS1_27scan_by_key_config_selectorIssEEZZNS1_16scan_by_key_implILNS1_25lookback_scan_determinismE0ELb0ES3_N6thrust23THRUST_200600_302600_NS6detail15normal_iteratorINS9_10device_ptrIsEEEENS9_18transform_iteratorINS9_6negateIsEESE_NS9_11use_defaultESI_EESE_sNS9_4plusIvEENS9_8equal_toIvEEsEE10hipError_tPvRmT2_T3_T4_T5_mT6_T7_P12ihipStream_tbENKUlT_T0_E_clISt17integral_constantIbLb0EES13_IbLb1EEEEDaSZ_S10_EUlSZ_E_NS1_11comp_targetILNS1_3genE4ELNS1_11target_archE910ELNS1_3gpuE8ELNS1_3repE0EEENS1_30default_config_static_selectorELNS0_4arch9wavefront6targetE1EEEvT1_
	.globl	_ZN7rocprim17ROCPRIM_400000_NS6detail17trampoline_kernelINS0_14default_configENS1_27scan_by_key_config_selectorIssEEZZNS1_16scan_by_key_implILNS1_25lookback_scan_determinismE0ELb0ES3_N6thrust23THRUST_200600_302600_NS6detail15normal_iteratorINS9_10device_ptrIsEEEENS9_18transform_iteratorINS9_6negateIsEESE_NS9_11use_defaultESI_EESE_sNS9_4plusIvEENS9_8equal_toIvEEsEE10hipError_tPvRmT2_T3_T4_T5_mT6_T7_P12ihipStream_tbENKUlT_T0_E_clISt17integral_constantIbLb0EES13_IbLb1EEEEDaSZ_S10_EUlSZ_E_NS1_11comp_targetILNS1_3genE4ELNS1_11target_archE910ELNS1_3gpuE8ELNS1_3repE0EEENS1_30default_config_static_selectorELNS0_4arch9wavefront6targetE1EEEvT1_
	.p2align	8
	.type	_ZN7rocprim17ROCPRIM_400000_NS6detail17trampoline_kernelINS0_14default_configENS1_27scan_by_key_config_selectorIssEEZZNS1_16scan_by_key_implILNS1_25lookback_scan_determinismE0ELb0ES3_N6thrust23THRUST_200600_302600_NS6detail15normal_iteratorINS9_10device_ptrIsEEEENS9_18transform_iteratorINS9_6negateIsEESE_NS9_11use_defaultESI_EESE_sNS9_4plusIvEENS9_8equal_toIvEEsEE10hipError_tPvRmT2_T3_T4_T5_mT6_T7_P12ihipStream_tbENKUlT_T0_E_clISt17integral_constantIbLb0EES13_IbLb1EEEEDaSZ_S10_EUlSZ_E_NS1_11comp_targetILNS1_3genE4ELNS1_11target_archE910ELNS1_3gpuE8ELNS1_3repE0EEENS1_30default_config_static_selectorELNS0_4arch9wavefront6targetE1EEEvT1_,@function
_ZN7rocprim17ROCPRIM_400000_NS6detail17trampoline_kernelINS0_14default_configENS1_27scan_by_key_config_selectorIssEEZZNS1_16scan_by_key_implILNS1_25lookback_scan_determinismE0ELb0ES3_N6thrust23THRUST_200600_302600_NS6detail15normal_iteratorINS9_10device_ptrIsEEEENS9_18transform_iteratorINS9_6negateIsEESE_NS9_11use_defaultESI_EESE_sNS9_4plusIvEENS9_8equal_toIvEEsEE10hipError_tPvRmT2_T3_T4_T5_mT6_T7_P12ihipStream_tbENKUlT_T0_E_clISt17integral_constantIbLb0EES13_IbLb1EEEEDaSZ_S10_EUlSZ_E_NS1_11comp_targetILNS1_3genE4ELNS1_11target_archE910ELNS1_3gpuE8ELNS1_3repE0EEENS1_30default_config_static_selectorELNS0_4arch9wavefront6targetE1EEEvT1_: ; @_ZN7rocprim17ROCPRIM_400000_NS6detail17trampoline_kernelINS0_14default_configENS1_27scan_by_key_config_selectorIssEEZZNS1_16scan_by_key_implILNS1_25lookback_scan_determinismE0ELb0ES3_N6thrust23THRUST_200600_302600_NS6detail15normal_iteratorINS9_10device_ptrIsEEEENS9_18transform_iteratorINS9_6negateIsEESE_NS9_11use_defaultESI_EESE_sNS9_4plusIvEENS9_8equal_toIvEEsEE10hipError_tPvRmT2_T3_T4_T5_mT6_T7_P12ihipStream_tbENKUlT_T0_E_clISt17integral_constantIbLb0EES13_IbLb1EEEEDaSZ_S10_EUlSZ_E_NS1_11comp_targetILNS1_3genE4ELNS1_11target_archE910ELNS1_3gpuE8ELNS1_3repE0EEENS1_30default_config_static_selectorELNS0_4arch9wavefront6targetE1EEEvT1_
; %bb.0:
	s_load_dwordx4 s[8:11], s[4:5], 0x0
	s_load_dwordx2 s[2:3], s[4:5], 0x10
	s_load_dwordx2 s[54:55], s[4:5], 0x20
	s_load_dwordx4 s[64:67], s[4:5], 0x30
	s_load_dwordx2 s[70:71], s[4:5], 0x40
	v_cmp_ne_u32_e64 s[52:53], 0, v0
	v_cmp_eq_u32_e64 s[0:1], 0, v0
	s_and_saveexec_b64 s[6:7], s[0:1]
	s_cbranch_execz .LBB995_4
; %bb.1:
	s_mov_b64 s[14:15], exec
	v_mbcnt_lo_u32_b32 v1, s14, 0
	v_mbcnt_hi_u32_b32 v1, s15, v1
	v_cmp_eq_u32_e32 vcc, 0, v1
                                        ; implicit-def: $vgpr2
	s_and_saveexec_b64 s[12:13], vcc
	s_cbranch_execz .LBB995_3
; %bb.2:
	s_load_dwordx2 s[16:17], s[4:5], 0x70
	s_bcnt1_i32_b64 s14, s[14:15]
	v_mov_b32_e32 v2, 0
	v_mov_b32_e32 v3, s14
	s_waitcnt lgkmcnt(0)
	global_atomic_add v2, v2, v3, s[16:17] glc
.LBB995_3:
	s_or_b64 exec, exec, s[12:13]
	s_waitcnt vmcnt(0)
	v_readfirstlane_b32 s12, v2
	v_add_u32_e32 v1, s12, v1
	v_mov_b32_e32 v2, 0
	ds_write_b32 v2, v1
.LBB995_4:
	s_or_b64 exec, exec, s[6:7]
	v_mov_b32_e32 v1, 0
	s_load_dword s6, s[4:5], 0x48
	s_load_dwordx8 s[56:63], s[4:5], 0x50
	s_waitcnt lgkmcnt(0)
	s_lshl_b64 s[68:69], s[10:11], 1
	s_barrier
	ds_read_b32 v1, v1
	s_add_u32 s4, s8, s68
	s_addc_u32 s5, s9, s69
	s_add_u32 s7, s2, s68
	s_addc_u32 s8, s3, s69
	s_mul_i32 s2, s71, s6
	s_mul_hi_u32 s3, s70, s6
	s_add_i32 s9, s3, s2
	s_waitcnt lgkmcnt(0)
	v_readfirstlane_b32 s67, v1
	s_cmp_lg_u64 s[60:61], 0
	s_mov_b32 s3, 0
	s_mul_i32 s2, s67, 0x1600
	s_cselect_b64 s[76:77], -1, 0
	s_lshl_b64 s[60:61], s[2:3], 1
	s_add_u32 s74, s4, s60
	s_addc_u32 s75, s5, s61
	s_add_u32 s72, s7, s60
	s_mul_i32 s6, s70, s6
	s_addc_u32 s73, s8, s61
	s_add_u32 s78, s6, s67
	s_addc_u32 s79, s9, 0
	s_add_u32 s4, s56, -1
	s_addc_u32 s5, s57, -1
	v_pk_mov_b32 v[2:3], s[4:5], s[4:5] op_sel:[0,1]
	v_cmp_ge_u64_e64 s[2:3], s[78:79], v[2:3]
	s_mov_b64 s[10:11], 0
	s_mov_b64 s[6:7], -1
	s_and_b64 vcc, exec, s[2:3]
	s_mul_i32 s33, s4, 0xffffea00
	s_barrier
	s_barrier
	s_cbranch_vccz .LBB995_121
; %bb.5:
	v_pk_mov_b32 v[2:3], s[74:75], s[74:75] op_sel:[0,1]
	flat_load_ushort v5, v[2:3]
	s_add_i32 s81, s33, s66
	v_cmp_gt_u32_e64 s[6:7], s81, v0
	s_waitcnt vmcnt(0) lgkmcnt(0)
	v_mov_b32_e32 v6, v5
	s_and_saveexec_b64 s[4:5], s[6:7]
	s_cbranch_execz .LBB995_7
; %bb.6:
	v_lshlrev_b32_e32 v1, 1, v0
	v_mov_b32_e32 v3, s75
	v_add_co_u32_e32 v2, vcc, s74, v1
	v_addc_co_u32_e32 v3, vcc, 0, v3, vcc
	flat_load_ushort v6, v[2:3]
.LBB995_7:
	s_or_b64 exec, exec, s[4:5]
	v_or_b32_e32 v1, 0x100, v0
	v_cmp_gt_u32_e64 s[8:9], s81, v1
	v_mov_b32_e32 v7, v5
	s_and_saveexec_b64 s[4:5], s[8:9]
	s_cbranch_execz .LBB995_9
; %bb.8:
	v_lshlrev_b32_e32 v1, 1, v0
	v_mov_b32_e32 v3, s75
	v_add_co_u32_e32 v2, vcc, s74, v1
	v_addc_co_u32_e32 v3, vcc, 0, v3, vcc
	flat_load_ushort v7, v[2:3] offset:512
.LBB995_9:
	s_or_b64 exec, exec, s[4:5]
	v_or_b32_e32 v1, 0x200, v0
	v_cmp_gt_u32_e64 s[10:11], s81, v1
	v_mov_b32_e32 v8, v5
	s_and_saveexec_b64 s[4:5], s[10:11]
	s_cbranch_execz .LBB995_11
; %bb.10:
	v_lshlrev_b32_e32 v1, 1, v0
	v_mov_b32_e32 v3, s75
	v_add_co_u32_e32 v2, vcc, s74, v1
	v_addc_co_u32_e32 v3, vcc, 0, v3, vcc
	flat_load_ushort v8, v[2:3] offset:1024
.LBB995_11:
	;; [unrolled: 13-line block ×7, first 2 shown]
	s_or_b64 exec, exec, s[4:5]
	v_or_b32_e32 v1, 0x800, v0
	v_cmp_gt_u32_e64 s[22:23], s81, v1
	v_lshlrev_b32_e32 v1, 1, v1
	v_mov_b32_e32 v14, v5
	s_and_saveexec_b64 s[4:5], s[22:23]
	s_cbranch_execz .LBB995_23
; %bb.22:
	v_mov_b32_e32 v3, s75
	v_add_co_u32_e32 v2, vcc, s74, v1
	v_addc_co_u32_e32 v3, vcc, 0, v3, vcc
	flat_load_ushort v14, v[2:3]
.LBB995_23:
	s_or_b64 exec, exec, s[4:5]
	v_or_b32_e32 v2, 0x900, v0
	v_cmp_gt_u32_e64 s[24:25], s81, v2
	v_lshlrev_b32_e32 v2, 1, v2
	v_mov_b32_e32 v15, v5
	s_and_saveexec_b64 s[4:5], s[24:25]
	s_cbranch_execz .LBB995_25
; %bb.24:
	v_mov_b32_e32 v3, s75
	v_add_co_u32_e32 v16, vcc, s74, v2
	v_addc_co_u32_e32 v17, vcc, 0, v3, vcc
	flat_load_ushort v15, v[16:17]
.LBB995_25:
	;; [unrolled: 13-line block ×13, first 2 shown]
	s_or_b64 exec, exec, s[4:5]
	v_or_b32_e32 v24, 0x1500, v0
	v_cmp_gt_u32_e64 s[50:51], s81, v24
	v_lshlrev_b32_e32 v26, 1, v24
	s_and_saveexec_b64 s[4:5], s[50:51]
	s_cbranch_execz .LBB995_49
; %bb.48:
	v_mov_b32_e32 v5, s75
	v_add_co_u32_e32 v38, vcc, s74, v26
	v_addc_co_u32_e32 v39, vcc, 0, v5, vcc
	flat_load_ushort v5, v[38:39]
.LBB995_49:
	s_or_b64 exec, exec, s[4:5]
	v_lshlrev_b32_e32 v24, 1, v0
	s_waitcnt vmcnt(0) lgkmcnt(0)
	ds_write_b16 v24, v6
	ds_write_b16 v24, v7 offset:512
	ds_write_b16 v24, v8 offset:1024
	;; [unrolled: 1-line block ×21, first 2 shown]
	v_mad_u32_u24 v37, v0, 42, v24
	s_waitcnt lgkmcnt(0)
	s_barrier
	ds_read2_b32 v[14:15], v37 offset1:1
	ds_read2_b32 v[12:13], v37 offset0:2 offset1:3
	ds_read2_b32 v[10:11], v37 offset0:4 offset1:5
	;; [unrolled: 1-line block ×4, first 2 shown]
	ds_read_b32 v38, v37 offset:40
	s_cmp_eq_u64 s[78:79], 0
	s_mov_b64 s[4:5], s[74:75]
	s_cbranch_scc1 .LBB995_53
; %bb.50:
	s_andn2_b64 vcc, exec, s[76:77]
	s_cbranch_vccnz .LBB995_287
; %bb.51:
	s_lshl_b64 s[4:5], s[78:79], 1
	s_add_u32 s4, s62, s4
	s_addc_u32 s5, s63, s5
	s_add_u32 s4, s4, -2
	s_addc_u32 s5, s5, -1
	s_cbranch_execnz .LBB995_53
.LBB995_52:
	s_add_u32 s4, s74, -2
	s_addc_u32 s5, s75, -1
.LBB995_53:
	v_pk_mov_b32 v[28:29], s[4:5], s[4:5] op_sel:[0,1]
	flat_load_ushort v5, v[28:29]
	s_movk_i32 s4, 0xffd6
	s_waitcnt lgkmcnt(0)
	v_lshrrev_b32_e32 v39, 16, v38
	v_mad_i32_i24 v27, v0, s4, v37
	ds_write_b16 v27, v39 offset:11264
	s_waitcnt lgkmcnt(0)
	s_barrier
	s_and_saveexec_b64 s[4:5], s[52:53]
	s_cbranch_execz .LBB995_55
; %bb.54:
	s_waitcnt vmcnt(0)
	v_mul_i32_i24_e32 v5, 0xffffffd6, v0
	v_add_u32_e32 v5, v37, v5
	ds_read_u16 v5, v5 offset:11262
.LBB995_55:
	s_or_b64 exec, exec, s[4:5]
	s_waitcnt lgkmcnt(0)
	s_barrier
	s_waitcnt lgkmcnt(0)
                                        ; implicit-def: $vgpr27
	s_and_saveexec_b64 s[4:5], s[6:7]
	s_cbranch_execnz .LBB995_264
; %bb.56:
	s_or_b64 exec, exec, s[4:5]
                                        ; implicit-def: $vgpr28
	s_and_saveexec_b64 s[4:5], s[8:9]
	s_cbranch_execnz .LBB995_265
.LBB995_57:
	s_or_b64 exec, exec, s[4:5]
                                        ; implicit-def: $vgpr29
	s_and_saveexec_b64 s[4:5], s[10:11]
	s_cbranch_execnz .LBB995_266
.LBB995_58:
	s_or_b64 exec, exec, s[4:5]
                                        ; implicit-def: $vgpr30
	s_and_saveexec_b64 s[4:5], s[12:13]
	s_cbranch_execnz .LBB995_267
.LBB995_59:
	s_or_b64 exec, exec, s[4:5]
                                        ; implicit-def: $vgpr31
	s_and_saveexec_b64 s[4:5], s[14:15]
	s_cbranch_execnz .LBB995_268
.LBB995_60:
	s_or_b64 exec, exec, s[4:5]
                                        ; implicit-def: $vgpr32
	s_and_saveexec_b64 s[4:5], s[16:17]
	s_cbranch_execnz .LBB995_269
.LBB995_61:
	s_or_b64 exec, exec, s[4:5]
                                        ; implicit-def: $vgpr33
	s_and_saveexec_b64 s[4:5], s[18:19]
	s_cbranch_execnz .LBB995_270
.LBB995_62:
	s_or_b64 exec, exec, s[4:5]
                                        ; implicit-def: $vgpr34
	s_and_saveexec_b64 s[4:5], s[20:21]
	s_cbranch_execnz .LBB995_271
.LBB995_63:
	s_or_b64 exec, exec, s[4:5]
                                        ; implicit-def: $vgpr35
	s_and_saveexec_b64 s[4:5], s[22:23]
	s_cbranch_execnz .LBB995_272
.LBB995_64:
	s_or_b64 exec, exec, s[4:5]
                                        ; implicit-def: $vgpr1
	s_and_saveexec_b64 s[4:5], s[24:25]
	s_cbranch_execnz .LBB995_273
.LBB995_65:
	s_or_b64 exec, exec, s[4:5]
                                        ; implicit-def: $vgpr2
	s_and_saveexec_b64 s[4:5], s[26:27]
	s_cbranch_execnz .LBB995_274
.LBB995_66:
	s_or_b64 exec, exec, s[4:5]
                                        ; implicit-def: $vgpr3
	s_and_saveexec_b64 s[4:5], s[28:29]
	s_cbranch_execnz .LBB995_275
.LBB995_67:
	s_or_b64 exec, exec, s[4:5]
                                        ; implicit-def: $vgpr4
	s_and_saveexec_b64 s[4:5], s[30:31]
	s_cbranch_execnz .LBB995_276
.LBB995_68:
	s_or_b64 exec, exec, s[4:5]
                                        ; implicit-def: $vgpr16
	s_and_saveexec_b64 s[4:5], s[34:35]
	s_cbranch_execnz .LBB995_277
.LBB995_69:
	s_or_b64 exec, exec, s[4:5]
                                        ; implicit-def: $vgpr17
	s_and_saveexec_b64 s[4:5], s[36:37]
	s_cbranch_execnz .LBB995_278
.LBB995_70:
	s_or_b64 exec, exec, s[4:5]
                                        ; implicit-def: $vgpr18
	s_and_saveexec_b64 s[4:5], s[38:39]
	s_cbranch_execnz .LBB995_279
.LBB995_71:
	s_or_b64 exec, exec, s[4:5]
                                        ; implicit-def: $vgpr19
	s_and_saveexec_b64 s[4:5], s[40:41]
	s_cbranch_execnz .LBB995_280
.LBB995_72:
	s_or_b64 exec, exec, s[4:5]
                                        ; implicit-def: $vgpr20
	s_and_saveexec_b64 s[4:5], s[42:43]
	s_cbranch_execnz .LBB995_281
.LBB995_73:
	s_or_b64 exec, exec, s[4:5]
                                        ; implicit-def: $vgpr21
	s_and_saveexec_b64 s[4:5], s[44:45]
	s_cbranch_execnz .LBB995_282
.LBB995_74:
	s_or_b64 exec, exec, s[4:5]
                                        ; implicit-def: $vgpr22
	s_and_saveexec_b64 s[4:5], s[46:47]
	s_cbranch_execnz .LBB995_283
.LBB995_75:
	s_or_b64 exec, exec, s[4:5]
                                        ; implicit-def: $vgpr23
	s_and_saveexec_b64 s[4:5], s[48:49]
	s_cbranch_execnz .LBB995_284
.LBB995_76:
	s_or_b64 exec, exec, s[4:5]
                                        ; implicit-def: $vgpr25
	s_and_saveexec_b64 s[4:5], s[50:51]
	s_cbranch_execz .LBB995_78
.LBB995_77:
	global_load_ushort v25, v26, s[72:73]
	s_waitcnt vmcnt(0)
	v_sub_u16_e32 v25, 0, v25
.LBB995_78:
	s_or_b64 exec, exec, s[4:5]
	v_mul_u32_u24_e32 v40, 22, v0
	ds_write_b16 v24, v27
	ds_write_b16 v24, v28 offset:512
	ds_write_b16 v24, v29 offset:1024
	ds_write_b16 v24, v30 offset:1536
	ds_write_b16 v24, v31 offset:2048
	ds_write_b16 v24, v32 offset:2560
	ds_write_b16 v24, v33 offset:3072
	ds_write_b16 v24, v34 offset:3584
	ds_write_b16 v24, v35 offset:4096
	ds_write_b16 v24, v1 offset:4608
	ds_write_b16 v24, v2 offset:5120
	ds_write_b16 v24, v3 offset:5632
	ds_write_b16 v24, v4 offset:6144
	ds_write_b16 v24, v16 offset:6656
	ds_write_b16 v24, v17 offset:7168
	ds_write_b16 v24, v18 offset:7680
	ds_write_b16 v24, v19 offset:8192
	ds_write_b16 v24, v20 offset:8704
	ds_write_b16 v24, v21 offset:9216
	ds_write_b16 v24, v22 offset:9728
	ds_write_b16 v24, v23 offset:10240
	ds_write_b16 v24, v25 offset:10752
	v_cmp_gt_u32_e32 vcc, s81, v40
	s_mov_b64 s[6:7], 0
	s_mov_b32 s80, 0
	v_mov_b32_e32 v1, 0
	s_mov_b64 s[10:11], 0
	v_mov_b32_e32 v16, 0
	v_mov_b32_e32 v17, 0
	;; [unrolled: 1-line block ×20, first 2 shown]
	s_waitcnt lgkmcnt(0)
	s_barrier
	s_waitcnt lgkmcnt(0)
                                        ; implicit-def: $sgpr4_sgpr5
                                        ; implicit-def: $vgpr36
	s_and_saveexec_b64 s[8:9], vcc
	s_cbranch_execz .LBB995_120
; %bb.79:
	ds_read_u16 v1, v37
	s_waitcnt vmcnt(0)
	v_cmp_ne_u16_e32 vcc, v5, v14
	v_or_b32_e32 v2, 1, v40
	v_cndmask_b32_e64 v3, 0, 1, vcc
	v_cmp_gt_u32_e32 vcc, s81, v2
	s_waitcnt lgkmcnt(0)
	v_lshl_or_b32 v1, v3, 16, v1
	s_mov_b64 s[12:13], 0
	v_mov_b32_e32 v16, 0
	v_mov_b32_e32 v17, 0
	;; [unrolled: 1-line block ×20, first 2 shown]
                                        ; implicit-def: $sgpr4_sgpr5
                                        ; implicit-def: $vgpr36
	s_and_saveexec_b64 s[10:11], vcc
	s_cbranch_execz .LBB995_119
; %bb.80:
	ds_read_b128 v[2:5], v37 offset:2
	v_add_u32_e32 v16, 2, v40
	v_cmp_ne_u16_sdwa s[4:5], v14, v14 src0_sel:DWORD src1_sel:WORD_1
	v_cndmask_b32_e64 v17, 0, 1, s[4:5]
	v_cmp_gt_u32_e32 vcc, s81, v16
	s_waitcnt lgkmcnt(0)
	v_and_b32_e32 v16, 0xffff, v2
	v_lshl_or_b32 v16, v17, 16, v16
	s_mov_b64 s[14:15], 0
	v_mov_b32_e32 v17, 0
	v_mov_b32_e32 v18, 0
	v_mov_b32_e32 v19, 0
	v_mov_b32_e32 v20, 0
	v_mov_b32_e32 v21, 0
	v_mov_b32_e32 v22, 0
	v_mov_b32_e32 v23, 0
	v_mov_b32_e32 v24, 0
	v_mov_b32_e32 v25, 0
	v_mov_b32_e32 v26, 0
	v_mov_b32_e32 v27, 0
	v_mov_b32_e32 v28, 0
	v_mov_b32_e32 v29, 0
	v_mov_b32_e32 v30, 0
	v_mov_b32_e32 v31, 0
	v_mov_b32_e32 v32, 0
	v_mov_b32_e32 v33, 0
	v_mov_b32_e32 v34, 0
	v_mov_b32_e32 v35, 0
                                        ; implicit-def: $sgpr4_sgpr5
                                        ; implicit-def: $vgpr36
	s_and_saveexec_b64 s[12:13], vcc
	s_cbranch_execz .LBB995_118
; %bb.81:
	v_cmp_ne_u16_sdwa s[4:5], v14, v15 src0_sel:WORD_1 src1_sel:DWORD
	v_add_u32_e32 v18, 3, v40
	v_cndmask_b32_e64 v14, 0, 1, s[4:5]
	v_alignbit_b32 v17, v14, v2, 16
	v_cmp_gt_u32_e32 vcc, s81, v18
	s_mov_b64 s[16:17], 0
	v_mov_b32_e32 v18, 0
	v_mov_b32_e32 v19, 0
	;; [unrolled: 1-line block ×18, first 2 shown]
                                        ; implicit-def: $sgpr4_sgpr5
                                        ; implicit-def: $vgpr36
	s_and_saveexec_b64 s[14:15], vcc
	s_cbranch_execz .LBB995_117
; %bb.82:
	v_cmp_ne_u16_sdwa s[4:5], v15, v15 src0_sel:DWORD src1_sel:WORD_1
	v_and_b32_e32 v2, 0xffff, v3
	v_add_u32_e32 v14, 4, v40
	v_cndmask_b32_e64 v18, 0, 1, s[4:5]
	v_lshl_or_b32 v18, v18, 16, v2
	v_cmp_gt_u32_e32 vcc, s81, v14
	s_mov_b64 s[18:19], 0
	v_mov_b32_e32 v19, 0
	v_mov_b32_e32 v20, 0
	;; [unrolled: 1-line block ×17, first 2 shown]
                                        ; implicit-def: $sgpr4_sgpr5
                                        ; implicit-def: $vgpr36
	s_and_saveexec_b64 s[16:17], vcc
	s_cbranch_execz .LBB995_116
; %bb.83:
	v_cmp_ne_u16_sdwa s[4:5], v15, v12 src0_sel:WORD_1 src1_sel:DWORD
	v_add_u32_e32 v2, 5, v40
	v_cndmask_b32_e64 v14, 0, 1, s[4:5]
	v_alignbit_b32 v19, v14, v3, 16
	v_cmp_gt_u32_e32 vcc, s81, v2
	s_mov_b64 s[20:21], 0
	v_mov_b32_e32 v20, 0
	v_mov_b32_e32 v21, 0
	;; [unrolled: 1-line block ×16, first 2 shown]
                                        ; implicit-def: $sgpr4_sgpr5
                                        ; implicit-def: $vgpr36
	s_and_saveexec_b64 s[18:19], vcc
	s_cbranch_execz .LBB995_115
; %bb.84:
	v_cmp_ne_u16_sdwa s[4:5], v12, v12 src0_sel:DWORD src1_sel:WORD_1
	v_and_b32_e32 v2, 0xffff, v4
	v_add_u32_e32 v3, 6, v40
	v_cndmask_b32_e64 v14, 0, 1, s[4:5]
	v_lshl_or_b32 v20, v14, 16, v2
	v_cmp_gt_u32_e32 vcc, s81, v3
	s_mov_b64 s[22:23], 0
	v_mov_b32_e32 v21, 0
	v_mov_b32_e32 v22, 0
	;; [unrolled: 1-line block ×15, first 2 shown]
                                        ; implicit-def: $sgpr4_sgpr5
                                        ; implicit-def: $vgpr36
	s_and_saveexec_b64 s[20:21], vcc
	s_cbranch_execz .LBB995_114
; %bb.85:
	v_cmp_ne_u16_sdwa s[4:5], v12, v13 src0_sel:WORD_1 src1_sel:DWORD
	v_add_u32_e32 v2, 7, v40
	v_cndmask_b32_e64 v3, 0, 1, s[4:5]
	v_alignbit_b32 v21, v3, v4, 16
	v_cmp_gt_u32_e32 vcc, s81, v2
	s_mov_b64 s[24:25], 0
	v_mov_b32_e32 v22, 0
	v_mov_b32_e32 v23, 0
	;; [unrolled: 1-line block ×14, first 2 shown]
                                        ; implicit-def: $sgpr4_sgpr5
                                        ; implicit-def: $vgpr36
	s_and_saveexec_b64 s[22:23], vcc
	s_cbranch_execz .LBB995_113
; %bb.86:
	v_cmp_ne_u16_sdwa s[4:5], v13, v13 src0_sel:DWORD src1_sel:WORD_1
	v_and_b32_e32 v2, 0xffff, v5
	v_add_u32_e32 v3, 8, v40
	v_cndmask_b32_e64 v4, 0, 1, s[4:5]
	v_lshl_or_b32 v22, v4, 16, v2
	v_cmp_gt_u32_e32 vcc, s81, v3
	s_mov_b64 s[26:27], 0
	v_mov_b32_e32 v23, 0
	v_mov_b32_e32 v24, 0
	;; [unrolled: 1-line block ×13, first 2 shown]
                                        ; implicit-def: $sgpr4_sgpr5
                                        ; implicit-def: $vgpr36
	s_and_saveexec_b64 s[24:25], vcc
	s_cbranch_execz .LBB995_112
; %bb.87:
	v_cmp_ne_u16_sdwa s[4:5], v13, v10 src0_sel:WORD_1 src1_sel:DWORD
	v_add_u32_e32 v2, 9, v40
	v_cndmask_b32_e64 v3, 0, 1, s[4:5]
	v_alignbit_b32 v23, v3, v5, 16
	v_cmp_gt_u32_e32 vcc, s81, v2
	s_mov_b64 s[28:29], 0
	v_mov_b32_e32 v24, 0
	v_mov_b32_e32 v25, 0
	;; [unrolled: 1-line block ×12, first 2 shown]
                                        ; implicit-def: $sgpr4_sgpr5
                                        ; implicit-def: $vgpr36
	s_and_saveexec_b64 s[26:27], vcc
	s_cbranch_execz .LBB995_111
; %bb.88:
	ds_read_b128 v[2:5], v37 offset:18
	v_add_u32_e32 v12, 10, v40
	v_cmp_ne_u16_sdwa s[4:5], v10, v10 src0_sel:DWORD src1_sel:WORD_1
	v_cndmask_b32_e64 v13, 0, 1, s[4:5]
	v_cmp_gt_u32_e32 vcc, s81, v12
	s_waitcnt lgkmcnt(0)
	v_and_b32_e32 v12, 0xffff, v2
	v_lshl_or_b32 v24, v13, 16, v12
	s_mov_b64 s[30:31], 0
	v_mov_b32_e32 v25, 0
	v_mov_b32_e32 v26, 0
	;; [unrolled: 1-line block ×11, first 2 shown]
                                        ; implicit-def: $sgpr4_sgpr5
                                        ; implicit-def: $vgpr36
	s_and_saveexec_b64 s[28:29], vcc
	s_cbranch_execz .LBB995_110
; %bb.89:
	v_cmp_ne_u16_sdwa s[4:5], v10, v11 src0_sel:WORD_1 src1_sel:DWORD
	v_add_u32_e32 v12, 11, v40
	v_cndmask_b32_e64 v10, 0, 1, s[4:5]
	v_alignbit_b32 v25, v10, v2, 16
	v_cmp_gt_u32_e32 vcc, s81, v12
	s_mov_b64 s[34:35], 0
	v_mov_b32_e32 v26, 0
	v_mov_b32_e32 v27, 0
	;; [unrolled: 1-line block ×10, first 2 shown]
                                        ; implicit-def: $sgpr4_sgpr5
                                        ; implicit-def: $vgpr36
	s_and_saveexec_b64 s[30:31], vcc
	s_cbranch_execz .LBB995_109
; %bb.90:
	v_cmp_ne_u16_sdwa s[4:5], v11, v11 src0_sel:DWORD src1_sel:WORD_1
	v_and_b32_e32 v2, 0xffff, v3
	v_add_u32_e32 v10, 12, v40
	v_cndmask_b32_e64 v12, 0, 1, s[4:5]
	v_lshl_or_b32 v26, v12, 16, v2
	v_cmp_gt_u32_e32 vcc, s81, v10
	s_mov_b64 s[36:37], 0
	v_mov_b32_e32 v27, 0
	v_mov_b32_e32 v28, 0
	;; [unrolled: 1-line block ×9, first 2 shown]
                                        ; implicit-def: $sgpr4_sgpr5
                                        ; implicit-def: $vgpr36
	s_and_saveexec_b64 s[34:35], vcc
	s_cbranch_execz .LBB995_108
; %bb.91:
	v_cmp_ne_u16_sdwa s[4:5], v11, v8 src0_sel:WORD_1 src1_sel:DWORD
	v_add_u32_e32 v2, 13, v40
	v_cndmask_b32_e64 v10, 0, 1, s[4:5]
	v_alignbit_b32 v27, v10, v3, 16
	v_cmp_gt_u32_e32 vcc, s81, v2
	s_mov_b64 s[38:39], 0
	v_mov_b32_e32 v28, 0
	v_mov_b32_e32 v29, 0
	;; [unrolled: 1-line block ×8, first 2 shown]
                                        ; implicit-def: $sgpr4_sgpr5
                                        ; implicit-def: $vgpr36
	s_and_saveexec_b64 s[36:37], vcc
	s_cbranch_execz .LBB995_107
; %bb.92:
	v_cmp_ne_u16_sdwa s[4:5], v8, v8 src0_sel:DWORD src1_sel:WORD_1
	v_and_b32_e32 v2, 0xffff, v4
	v_add_u32_e32 v3, 14, v40
	v_cndmask_b32_e64 v10, 0, 1, s[4:5]
	v_lshl_or_b32 v28, v10, 16, v2
	v_cmp_gt_u32_e32 vcc, s81, v3
	s_mov_b64 s[40:41], 0
	v_mov_b32_e32 v29, 0
	v_mov_b32_e32 v30, 0
	;; [unrolled: 1-line block ×7, first 2 shown]
                                        ; implicit-def: $sgpr4_sgpr5
                                        ; implicit-def: $vgpr36
	s_and_saveexec_b64 s[38:39], vcc
	s_cbranch_execz .LBB995_106
; %bb.93:
	v_cmp_ne_u16_sdwa s[4:5], v8, v9 src0_sel:WORD_1 src1_sel:DWORD
	v_add_u32_e32 v2, 15, v40
	v_cndmask_b32_e64 v3, 0, 1, s[4:5]
	v_alignbit_b32 v29, v3, v4, 16
	v_cmp_gt_u32_e32 vcc, s81, v2
	s_mov_b64 s[42:43], 0
	v_mov_b32_e32 v30, 0
	v_mov_b32_e32 v31, 0
	;; [unrolled: 1-line block ×6, first 2 shown]
                                        ; implicit-def: $sgpr4_sgpr5
                                        ; implicit-def: $vgpr36
	s_and_saveexec_b64 s[40:41], vcc
	s_cbranch_execz .LBB995_105
; %bb.94:
	v_cmp_ne_u16_sdwa s[4:5], v9, v9 src0_sel:DWORD src1_sel:WORD_1
	v_and_b32_e32 v2, 0xffff, v5
	v_add_u32_e32 v3, 16, v40
	v_cndmask_b32_e64 v4, 0, 1, s[4:5]
	v_lshl_or_b32 v30, v4, 16, v2
	v_cmp_gt_u32_e32 vcc, s81, v3
	s_mov_b64 s[44:45], 0
	v_mov_b32_e32 v31, 0
	v_mov_b32_e32 v32, 0
	;; [unrolled: 1-line block ×5, first 2 shown]
                                        ; implicit-def: $sgpr4_sgpr5
                                        ; implicit-def: $vgpr36
	s_and_saveexec_b64 s[42:43], vcc
	s_cbranch_execz .LBB995_104
; %bb.95:
	v_cmp_ne_u16_sdwa s[4:5], v9, v6 src0_sel:WORD_1 src1_sel:DWORD
	v_add_u32_e32 v2, 17, v40
	v_cndmask_b32_e64 v3, 0, 1, s[4:5]
	v_alignbit_b32 v31, v3, v5, 16
	v_cmp_gt_u32_e32 vcc, s81, v2
	s_mov_b64 s[46:47], 0
	v_mov_b32_e32 v32, 0
	v_mov_b32_e32 v33, 0
	;; [unrolled: 1-line block ×4, first 2 shown]
                                        ; implicit-def: $sgpr4_sgpr5
                                        ; implicit-def: $vgpr36
	s_and_saveexec_b64 s[44:45], vcc
	s_cbranch_execz .LBB995_103
; %bb.96:
	ds_read_b64 v[2:3], v37 offset:34
	v_add_u32_e32 v4, 18, v40
	v_cmp_ne_u16_sdwa s[4:5], v6, v6 src0_sel:DWORD src1_sel:WORD_1
	v_cndmask_b32_e64 v5, 0, 1, s[4:5]
	v_cmp_gt_u32_e32 vcc, s81, v4
	s_waitcnt lgkmcnt(0)
	v_and_b32_e32 v4, 0xffff, v2
	v_lshl_or_b32 v32, v5, 16, v4
	s_mov_b64 s[48:49], 0
	v_mov_b32_e32 v33, 0
	v_mov_b32_e32 v34, 0
	;; [unrolled: 1-line block ×3, first 2 shown]
                                        ; implicit-def: $sgpr4_sgpr5
                                        ; implicit-def: $vgpr36
	s_and_saveexec_b64 s[46:47], vcc
	s_cbranch_execz .LBB995_102
; %bb.97:
	v_cmp_ne_u16_sdwa s[4:5], v6, v7 src0_sel:WORD_1 src1_sel:DWORD
	v_add_u32_e32 v4, 19, v40
	v_cndmask_b32_e64 v5, 0, 1, s[4:5]
	v_alignbit_b32 v33, v5, v2, 16
	v_cmp_gt_u32_e32 vcc, s81, v4
	s_mov_b64 s[50:51], 0
	v_mov_b32_e32 v34, 0
	v_mov_b32_e32 v35, 0
                                        ; implicit-def: $sgpr56_sgpr57
                                        ; implicit-def: $vgpr36
	s_and_saveexec_b64 s[48:49], vcc
	s_cbranch_execz .LBB995_101
; %bb.98:
	v_cmp_ne_u16_sdwa s[4:5], v7, v7 src0_sel:DWORD src1_sel:WORD_1
	v_and_b32_e32 v2, 0xffff, v3
	v_add_u32_e32 v4, 20, v40
	v_cndmask_b32_e64 v5, 0, 1, s[4:5]
	v_lshl_or_b32 v34, v5, 16, v2
	v_cmp_gt_u32_e32 vcc, s81, v4
	s_mov_b64 s[4:5], 0
	v_mov_b32_e32 v35, 0
                                        ; implicit-def: $sgpr50_sgpr51
                                        ; implicit-def: $vgpr36
	s_and_saveexec_b64 s[56:57], vcc
	s_xor_b64 s[56:57], exec, s[56:57]
	s_cbranch_execz .LBB995_100
; %bb.99:
	ds_read_u16 v36, v37 offset:42
	v_add_u32_e32 v2, 21, v40
	v_cmp_ne_u16_sdwa s[4:5], v7, v38 src0_sel:WORD_1 src1_sel:DWORD
	v_cmp_ne_u16_e32 vcc, v38, v39
	v_cndmask_b32_e64 v4, 0, 1, s[4:5]
	v_cmp_gt_u32_e64 s[4:5], s81, v2
	v_alignbit_b32 v35, v4, v3, 16
	s_and_b64 s[50:51], vcc, exec
	s_and_b64 s[4:5], s[4:5], exec
.LBB995_100:
	s_or_b64 exec, exec, s[56:57]
	s_and_b64 s[56:57], s[50:51], exec
	s_and_b64 s[50:51], s[4:5], exec
.LBB995_101:
	s_or_b64 exec, exec, s[48:49]
	s_and_b64 s[4:5], s[56:57], exec
	s_and_b64 s[48:49], s[50:51], exec
.LBB995_102:
	s_or_b64 exec, exec, s[46:47]
	s_and_b64 s[4:5], s[4:5], exec
	s_and_b64 s[46:47], s[48:49], exec
.LBB995_103:
	s_or_b64 exec, exec, s[44:45]
	s_and_b64 s[4:5], s[4:5], exec
	s_and_b64 s[44:45], s[46:47], exec
.LBB995_104:
	s_or_b64 exec, exec, s[42:43]
	s_and_b64 s[4:5], s[4:5], exec
	s_and_b64 s[42:43], s[44:45], exec
.LBB995_105:
	s_or_b64 exec, exec, s[40:41]
	s_and_b64 s[4:5], s[4:5], exec
	s_and_b64 s[40:41], s[42:43], exec
.LBB995_106:
	s_or_b64 exec, exec, s[38:39]
	s_and_b64 s[4:5], s[4:5], exec
	s_and_b64 s[38:39], s[40:41], exec
.LBB995_107:
	s_or_b64 exec, exec, s[36:37]
	s_and_b64 s[4:5], s[4:5], exec
	s_and_b64 s[36:37], s[38:39], exec
.LBB995_108:
	s_or_b64 exec, exec, s[34:35]
	s_and_b64 s[4:5], s[4:5], exec
	s_and_b64 s[34:35], s[36:37], exec
.LBB995_109:
	s_or_b64 exec, exec, s[30:31]
	s_and_b64 s[4:5], s[4:5], exec
	s_and_b64 s[30:31], s[34:35], exec
.LBB995_110:
	s_or_b64 exec, exec, s[28:29]
	s_and_b64 s[4:5], s[4:5], exec
	s_and_b64 s[28:29], s[30:31], exec
.LBB995_111:
	s_or_b64 exec, exec, s[26:27]
	s_and_b64 s[4:5], s[4:5], exec
	s_and_b64 s[26:27], s[28:29], exec
.LBB995_112:
	s_or_b64 exec, exec, s[24:25]
	s_and_b64 s[4:5], s[4:5], exec
	s_and_b64 s[24:25], s[26:27], exec
.LBB995_113:
	s_or_b64 exec, exec, s[22:23]
	s_and_b64 s[4:5], s[4:5], exec
	s_and_b64 s[22:23], s[24:25], exec
.LBB995_114:
	s_or_b64 exec, exec, s[20:21]
	s_and_b64 s[4:5], s[4:5], exec
	s_and_b64 s[20:21], s[22:23], exec
.LBB995_115:
	s_or_b64 exec, exec, s[18:19]
	s_and_b64 s[4:5], s[4:5], exec
	s_and_b64 s[18:19], s[20:21], exec
.LBB995_116:
	s_or_b64 exec, exec, s[16:17]
	s_and_b64 s[4:5], s[4:5], exec
	s_and_b64 s[16:17], s[18:19], exec
.LBB995_117:
	s_or_b64 exec, exec, s[14:15]
	s_and_b64 s[4:5], s[4:5], exec
	s_and_b64 s[14:15], s[16:17], exec
.LBB995_118:
	s_or_b64 exec, exec, s[12:13]
	s_and_b64 s[4:5], s[4:5], exec
	s_and_b64 s[12:13], s[14:15], exec
.LBB995_119:
	s_or_b64 exec, exec, s[10:11]
	s_and_b64 s[4:5], s[4:5], exec
	s_and_b64 s[10:11], s[12:13], exec
.LBB995_120:
	s_or_b64 exec, exec, s[8:9]
	s_and_b64 vcc, exec, s[6:7]
	v_lshlrev_b32_e32 v12, 1, v0
	s_cbranch_vccnz .LBB995_122
	s_branch .LBB995_130
.LBB995_121:
                                        ; implicit-def: $sgpr4_sgpr5
                                        ; implicit-def: $vgpr36
                                        ; implicit-def: $vgpr1
                                        ; implicit-def: $vgpr16
                                        ; implicit-def: $vgpr17
                                        ; implicit-def: $vgpr18
                                        ; implicit-def: $vgpr19
                                        ; implicit-def: $vgpr20
                                        ; implicit-def: $vgpr21
                                        ; implicit-def: $vgpr22
                                        ; implicit-def: $vgpr23
                                        ; implicit-def: $vgpr24
                                        ; implicit-def: $vgpr25
                                        ; implicit-def: $vgpr26
                                        ; implicit-def: $vgpr27
                                        ; implicit-def: $vgpr28
                                        ; implicit-def: $vgpr29
                                        ; implicit-def: $vgpr30
                                        ; implicit-def: $vgpr31
                                        ; implicit-def: $vgpr32
                                        ; implicit-def: $vgpr33
                                        ; implicit-def: $vgpr34
                                        ; implicit-def: $vgpr35
                                        ; implicit-def: $sgpr80
	s_and_b64 vcc, exec, s[6:7]
	v_lshlrev_b32_e32 v12, 1, v0
	s_cbranch_vccz .LBB995_130
.LBB995_122:
	v_mov_b32_e32 v1, s75
	v_add_co_u32_e32 v2, vcc, s74, v12
	v_addc_co_u32_e32 v3, vcc, 0, v1, vcc
	v_add_co_u32_e32 v4, vcc, 0x1000, v2
	s_waitcnt vmcnt(0)
	v_addc_co_u32_e32 v5, vcc, 0, v3, vcc
	flat_load_ushort v6, v[2:3]
	flat_load_ushort v7, v[2:3] offset:512
	flat_load_ushort v8, v[2:3] offset:1024
	;; [unrolled: 1-line block ×7, first 2 shown]
	v_add_co_u32_e32 v2, vcc, 0x2000, v2
	v_addc_co_u32_e32 v3, vcc, 0, v3, vcc
	flat_load_ushort v15, v[4:5]
	flat_load_ushort v16, v[4:5] offset:512
	flat_load_ushort v17, v[4:5] offset:1024
	;; [unrolled: 1-line block ×7, first 2 shown]
	s_nop 0
	flat_load_ushort v4, v[2:3]
	flat_load_ushort v5, v[2:3] offset:512
	flat_load_ushort v23, v[2:3] offset:1024
	;; [unrolled: 1-line block ×5, first 2 shown]
	v_mad_u32_u24 v1, v0, 42, v12
	s_cmp_eq_u64 s[78:79], 0
	s_waitcnt vmcnt(0) lgkmcnt(0)
	ds_write_b16 v12, v6
	ds_write_b16 v12, v7 offset:512
	ds_write_b16 v12, v8 offset:1024
	;; [unrolled: 1-line block ×21, first 2 shown]
	s_waitcnt lgkmcnt(0)
	s_barrier
	ds_read2_b32 v[10:11], v1 offset1:1
	ds_read2_b32 v[8:9], v1 offset0:2 offset1:3
	ds_read2_b32 v[6:7], v1 offset0:4 offset1:5
	;; [unrolled: 1-line block ×4, first 2 shown]
	ds_read_b32 v13, v1 offset:40
	s_cbranch_scc1 .LBB995_127
; %bb.123:
	s_andn2_b64 vcc, exec, s[76:77]
	s_cbranch_vccnz .LBB995_288
; %bb.124:
	s_lshl_b64 s[4:5], s[78:79], 1
	s_add_u32 s4, s62, s4
	s_addc_u32 s5, s63, s5
	s_add_u32 s4, s4, -2
	s_addc_u32 s5, s5, -1
	s_cbranch_execnz .LBB995_126
.LBB995_125:
	s_add_u32 s4, s74, -2
	s_addc_u32 s5, s75, -1
.LBB995_126:
	s_mov_b64 s[74:75], s[4:5]
.LBB995_127:
	v_pk_mov_b32 v[14:15], s[74:75], s[74:75] op_sel:[0,1]
	flat_load_ushort v14, v[14:15]
	s_movk_i32 s4, 0xffd6
	s_waitcnt lgkmcnt(0)
	v_lshrrev_b32_e32 v15, 16, v13
	v_mad_i32_i24 v16, v0, s4, v1
	ds_write_b16 v16, v15 offset:11264
	s_waitcnt lgkmcnt(0)
	s_barrier
	s_and_saveexec_b64 s[4:5], s[52:53]
	s_cbranch_execz .LBB995_129
; %bb.128:
	s_waitcnt vmcnt(0)
	v_mul_i32_i24_e32 v14, 0xffffffd6, v0
	v_add_u32_e32 v14, v1, v14
	ds_read_u16 v14, v14 offset:11262
.LBB995_129:
	s_or_b64 exec, exec, s[4:5]
	v_mov_b32_e32 v16, s73
	v_add_co_u32_e32 v18, vcc, s72, v12
	v_addc_co_u32_e32 v19, vcc, 0, v16, vcc
	s_movk_i32 s4, 0x1000
	v_add_co_u32_e32 v16, vcc, s4, v18
	v_addc_co_u32_e32 v17, vcc, 0, v19, vcc
	s_movk_i32 s4, 0x2000
	s_waitcnt lgkmcnt(0)
	s_barrier
	global_load_ushort v20, v12, s[72:73]
	global_load_ushort v21, v12, s[72:73] offset:512
	global_load_ushort v22, v12, s[72:73] offset:1024
	;; [unrolled: 1-line block ×7, first 2 shown]
	v_add_co_u32_e32 v18, vcc, s4, v18
	v_addc_co_u32_e32 v19, vcc, 0, v19, vcc
	global_load_ushort v28, v[18:19], off offset:-4096
	global_load_ushort v29, v[16:17], off offset:512
	global_load_ushort v30, v[16:17], off offset:1024
	;; [unrolled: 1-line block ×7, first 2 shown]
	global_load_ushort v36, v[18:19], off
	global_load_ushort v37, v[18:19], off offset:512
	global_load_ushort v38, v[18:19], off offset:1024
	;; [unrolled: 1-line block ×5, first 2 shown]
	v_cmp_ne_u16_e64 s[4:5], v13, v15
	s_waitcnt vmcnt(0)
	v_cmp_ne_u16_e32 vcc, v14, v10
	v_cndmask_b32_e64 v14, 0, 1, vcc
	v_cmp_ne_u16_sdwa s[6:7], v10, v10 src0_sel:DWORD src1_sel:WORD_1
	s_mov_b64 s[10:11], -1
                                        ; implicit-def: $sgpr80
	v_sub_u16_e32 v15, 0, v20
	v_sub_u16_e32 v16, 0, v21
	;; [unrolled: 1-line block ×8, first 2 shown]
	ds_write_b16 v12, v15
	ds_write_b16 v12, v16 offset:512
	ds_write_b16 v12, v17 offset:1024
	ds_write_b16 v12, v18 offset:1536
	ds_write_b16 v12, v19 offset:2048
	ds_write_b16 v12, v20 offset:2560
	ds_write_b16 v12, v21 offset:3072
	ds_write_b16 v12, v22 offset:3584
	v_sub_u16_e32 v15, 0, v28
	v_sub_u16_e32 v18, 0, v31
	;; [unrolled: 1-line block ×14, first 2 shown]
	ds_write_b16 v12, v15 offset:4096
	ds_write_b16 v12, v16 offset:4608
	;; [unrolled: 1-line block ×14, first 2 shown]
	s_waitcnt lgkmcnt(0)
	s_barrier
	ds_read2_b32 v[34:35], v1 offset0:8 offset1:9
	ds_read_b32 v15, v1 offset:40
	ds_read2_b32 v[18:19], v1 offset1:1
	ds_read2_b32 v[22:23], v1 offset0:2 offset1:3
	ds_read2_b32 v[26:27], v1 offset0:4 offset1:5
	;; [unrolled: 1-line block ×3, first 2 shown]
	s_waitcnt lgkmcnt(4)
	v_lshrrev_b32_e32 v36, 16, v15
	s_waitcnt lgkmcnt(3)
	v_and_b32_e32 v1, 0xffff, v18
	v_lshl_or_b32 v1, v14, 16, v1
	v_cndmask_b32_e64 v14, 0, 1, s[6:7]
	v_cmp_ne_u16_sdwa s[6:7], v10, v11 src0_sel:WORD_1 src1_sel:DWORD
	v_alignbit_b32 v16, v14, v18, 16
	v_and_b32_e32 v14, 0xffff, v19
	v_cndmask_b32_e64 v10, 0, 1, s[6:7]
	v_cmp_ne_u16_sdwa s[6:7], v11, v11 src0_sel:DWORD src1_sel:WORD_1
	v_lshl_or_b32 v17, v10, 16, v14
	v_cndmask_b32_e64 v10, 0, 1, s[6:7]
	v_cmp_ne_u16_sdwa s[6:7], v11, v8 src0_sel:WORD_1 src1_sel:DWORD
	v_alignbit_b32 v18, v10, v19, 16
	s_waitcnt lgkmcnt(2)
	v_and_b32_e32 v10, 0xffff, v22
	v_cndmask_b32_e64 v11, 0, 1, s[6:7]
	v_cmp_ne_u16_sdwa s[6:7], v8, v8 src0_sel:DWORD src1_sel:WORD_1
	v_lshl_or_b32 v19, v11, 16, v10
	v_cndmask_b32_e64 v10, 0, 1, s[6:7]
	v_cmp_ne_u16_sdwa s[6:7], v8, v9 src0_sel:WORD_1 src1_sel:DWORD
	v_alignbit_b32 v20, v10, v22, 16
	v_and_b32_e32 v10, 0xffff, v23
	v_cndmask_b32_e64 v8, 0, 1, s[6:7]
	v_cmp_ne_u16_sdwa s[6:7], v9, v9 src0_sel:DWORD src1_sel:WORD_1
	v_lshl_or_b32 v21, v8, 16, v10
	v_cndmask_b32_e64 v8, 0, 1, s[6:7]
	v_cmp_ne_u16_sdwa s[6:7], v9, v6 src0_sel:WORD_1 src1_sel:DWORD
	v_alignbit_b32 v22, v8, v23, 16
	s_waitcnt lgkmcnt(1)
	v_and_b32_e32 v8, 0xffff, v26
	v_cndmask_b32_e64 v9, 0, 1, s[6:7]
	v_cmp_ne_u16_sdwa s[6:7], v6, v6 src0_sel:DWORD src1_sel:WORD_1
	;; [unrolled: 15-line block ×3, first 2 shown]
	v_lshl_or_b32 v27, v7, 16, v6
	v_cndmask_b32_e64 v6, 0, 1, s[6:7]
	v_cmp_ne_u16_sdwa s[6:7], v4, v5 src0_sel:WORD_1 src1_sel:DWORD
	v_alignbit_b32 v28, v6, v30, 16
	v_and_b32_e32 v6, 0xffff, v31
	v_cndmask_b32_e64 v4, 0, 1, s[6:7]
	v_cmp_ne_u16_sdwa s[6:7], v5, v5 src0_sel:DWORD src1_sel:WORD_1
	v_lshl_or_b32 v29, v4, 16, v6
	v_cndmask_b32_e64 v4, 0, 1, s[6:7]
	v_cmp_ne_u16_sdwa s[6:7], v5, v2 src0_sel:WORD_1 src1_sel:DWORD
	v_alignbit_b32 v30, v4, v31, 16
	v_and_b32_e32 v4, 0xffff, v34
	v_cndmask_b32_e64 v5, 0, 1, s[6:7]
	v_cmp_ne_u16_sdwa s[6:7], v2, v2 src0_sel:DWORD src1_sel:WORD_1
	;; [unrolled: 7-line block ×3, first 2 shown]
	v_lshl_or_b32 v33, v2, 16, v4
	v_cndmask_b32_e64 v2, 0, 1, s[6:7]
	v_cmp_ne_u16_sdwa s[6:7], v3, v13 src0_sel:WORD_1 src1_sel:DWORD
	v_alignbit_b32 v34, v2, v35, 16
	v_and_b32_e32 v2, 0xffff, v15
	v_cndmask_b32_e64 v3, 0, 1, s[6:7]
	v_lshl_or_b32 v35, v3, 16, v2
.LBB995_130:
	v_mov_b32_e32 v13, s80
	s_and_saveexec_b64 s[6:7], s[10:11]
	s_cbranch_execz .LBB995_132
; %bb.131:
	v_mov_b32_e32 v2, 0x10000
	v_cndmask_b32_e64 v2, 0, v2, s[4:5]
	s_waitcnt lgkmcnt(0)
	v_or_b32_sdwa v13, v2, v36 dst_sel:DWORD dst_unused:UNUSED_PAD src0_sel:DWORD src1_sel:WORD_0
.LBB995_132:
	s_or_b64 exec, exec, s[6:7]
	v_or3_b32 v2, v13, v35, v34
	s_cmp_lg_u32 s67, 0
	v_or3_b32 v15, v2, v33, v32
	v_lshrrev_b32_e32 v14, 5, v0
	v_cmp_gt_u32_e32 vcc, 64, v0
	s_waitcnt lgkmcnt(0)
	s_barrier
	s_cbranch_scc0 .LBB995_193
; %bb.133:
	s_mov_b32 s4, 0x10000
	v_cmp_gt_u32_e64 s[6:7], s4, v16
	v_cndmask_b32_e64 v2, 0, v1, s[6:7]
	v_add_u16_e32 v2, v2, v16
	v_cmp_gt_u32_e64 s[8:9], s4, v17
	v_cndmask_b32_e64 v2, 0, v2, s[8:9]
	v_add_u16_e32 v2, v2, v17
	;; [unrolled: 3-line block ×21, first 2 shown]
	v_or3_b32 v2, v15, v31, v30
	v_or3_b32 v2, v2, v29, v28
	;; [unrolled: 1-line block ×8, first 2 shown]
	v_and_b32_e32 v2, 0x10000, v2
	v_lshrrev_b32_e32 v36, 16, v1
	v_cmp_ne_u32_e64 s[4:5], 0, v2
	s_waitcnt vmcnt(0)
	v_mov_b32_e32 v5, 0x10000
	v_cndmask_b32_e64 v38, v36, 1, s[4:5]
	v_add_lshl_u32 v2, v14, v0, 2
	ds_write_b16 v2, v37
	ds_write_b8 v2, v38 offset:2
	s_waitcnt lgkmcnt(0)
	s_barrier
	s_and_saveexec_b64 s[50:51], vcc
	s_cbranch_execz .LBB995_147
; %bb.134:
	v_lshlrev_b32_e32 v2, 2, v0
	v_lshrrev_b32_e32 v3, 3, v0
	v_add_lshl_u32 v2, v3, v2, 2
	ds_read_b32 v3, v2
	ds_read_u16 v4, v2 offset:4
	ds_read_u8 v6, v2 offset:6
	ds_read_u16 v7, v2 offset:8
	ds_read_u8 v8, v2 offset:10
	;; [unrolled: 2-line block ×3, first 2 shown]
	v_mov_b32_e32 v11, 0
	s_waitcnt lgkmcnt(4)
	v_cmp_eq_u16_sdwa s[4:5], v6, v11 src0_sel:BYTE_0 src1_sel:DWORD
	v_cndmask_b32_e64 v39, 0, v3, s[4:5]
	v_add_u16_e32 v39, v39, v4
	s_waitcnt lgkmcnt(2)
	v_cmp_eq_u16_sdwa s[4:5], v8, v11 src0_sel:BYTE_0 src1_sel:DWORD
	s_waitcnt lgkmcnt(0)
	v_or_b32_e32 v8, v10, v8
	v_cndmask_b32_e64 v11, 0, v39, s[4:5]
	v_or_b32_e32 v6, v8, v6
	v_add_u16_e32 v7, v11, v7
	v_cmp_eq_u16_e64 s[4:5], 0, v10
	v_and_b32_e32 v6, 1, v6
	v_and_b32_e32 v4, 0x10000, v3
	v_cndmask_b32_e64 v11, 0, v7, s[4:5]
	v_cmp_eq_u32_e64 s[4:5], 1, v6
	v_mbcnt_lo_u32_b32 v6, -1, 0
	v_add_u16_e32 v7, v11, v9
	v_cndmask_b32_e64 v39, v4, v5, s[4:5]
	v_add_u16_e32 v9, v11, v9
	v_and_b32_e32 v5, 0xff000000, v3
	v_mbcnt_hi_u32_b32 v6, -1, v6
	v_or_b32_e32 v10, v39, v5
	v_and_b32_e32 v11, 15, v6
	v_or3_b32 v9, v5, v9, v39
	s_movk_i32 s62, 0xff
	v_lshrrev_b32_e32 v8, 16, v10
	v_mov_b32_dpp v39, v9 row_shr:1 row_mask:0xf bank_mask:0xf
	v_cmp_ne_u32_e64 s[4:5], 0, v11
	s_and_saveexec_b64 s[56:57], s[4:5]
	s_cbranch_execz .LBB995_136
; %bb.135:
	v_and_b32_sdwa v8, v10, s62 dst_sel:DWORD dst_unused:UNUSED_PAD src0_sel:WORD_1 src1_sel:DWORD
	v_cmp_eq_u16_e64 s[4:5], 0, v8
	v_and_b32_e32 v8, 0x10000, v10
	v_mov_b32_e32 v10, 1
	v_cndmask_b32_e64 v9, 0, v39, s[4:5]
	v_and_b32_sdwa v10, v39, v10 dst_sel:DWORD dst_unused:UNUSED_PAD src0_sel:WORD_1 src1_sel:DWORD
	v_cmp_ne_u32_e64 s[4:5], 0, v8
	v_cndmask_b32_e64 v8, v10, 1, s[4:5]
	v_add_u16_e32 v40, v9, v7
	v_lshlrev_b32_e32 v10, 16, v8
	v_add_u16_e32 v7, v9, v7
	v_or3_b32 v9, v10, v7, v5
	v_mov_b32_e32 v7, v40
.LBB995_136:
	s_or_b64 exec, exec, s[56:57]
	v_lshrrev_b32_e32 v10, 16, v9
	v_mov_b32_dpp v39, v9 row_shr:2 row_mask:0xf bank_mask:0xf
	v_cmp_lt_u32_e64 s[4:5], 1, v11
	s_and_saveexec_b64 s[56:57], s[4:5]
	s_cbranch_execz .LBB995_138
; %bb.137:
	v_mov_b32_e32 v8, 0
	v_cmp_eq_u16_sdwa s[4:5], v10, v8 src0_sel:BYTE_0 src1_sel:DWORD
	v_and_b32_e32 v8, 0x10000, v9
	v_mov_b32_e32 v9, 1
	v_cndmask_b32_e64 v10, 0, v39, s[4:5]
	v_and_b32_sdwa v9, v39, v9 dst_sel:DWORD dst_unused:UNUSED_PAD src0_sel:WORD_1 src1_sel:DWORD
	v_cmp_ne_u32_e64 s[4:5], 0, v8
	v_cndmask_b32_e64 v8, v9, 1, s[4:5]
	v_add_u16_e32 v40, v10, v7
	v_lshlrev_b32_e32 v9, 16, v8
	v_add_u16_e32 v7, v10, v7
	v_or3_b32 v9, v9, v7, v5
	v_mov_b32_e32 v10, v8
	v_mov_b32_e32 v7, v40
.LBB995_138:
	s_or_b64 exec, exec, s[56:57]
	v_mov_b32_dpp v39, v9 row_shr:4 row_mask:0xf bank_mask:0xf
	v_cmp_lt_u32_e64 s[4:5], 3, v11
	s_and_saveexec_b64 s[56:57], s[4:5]
	s_cbranch_execz .LBB995_140
; %bb.139:
	v_mov_b32_e32 v8, 0
	v_cmp_eq_u16_sdwa s[4:5], v10, v8 src0_sel:BYTE_0 src1_sel:DWORD
	v_and_b32_e32 v8, 1, v10
	v_mov_b32_e32 v10, 1
	v_cndmask_b32_e64 v9, 0, v39, s[4:5]
	v_and_b32_sdwa v10, v39, v10 dst_sel:DWORD dst_unused:UNUSED_PAD src0_sel:WORD_1 src1_sel:DWORD
	v_cmp_eq_u32_e64 s[4:5], 1, v8
	v_cndmask_b32_e64 v8, v10, 1, s[4:5]
	v_add_u16_e32 v40, v9, v7
	v_lshlrev_b32_e32 v10, 16, v8
	v_add_u16_e32 v7, v9, v7
	v_or3_b32 v9, v10, v7, v5
	v_mov_b32_e32 v10, v8
	v_mov_b32_e32 v7, v40
.LBB995_140:
	s_or_b64 exec, exec, s[56:57]
	v_mov_b32_dpp v39, v9 row_shr:8 row_mask:0xf bank_mask:0xf
	v_cmp_lt_u32_e64 s[4:5], 7, v11
	s_and_saveexec_b64 s[56:57], s[4:5]
	s_cbranch_execz .LBB995_142
; %bb.141:
	v_mov_b32_e32 v8, 0
	v_cmp_eq_u16_sdwa s[4:5], v10, v8 src0_sel:BYTE_0 src1_sel:DWORD
	v_and_b32_e32 v8, 1, v10
	v_mov_b32_e32 v10, 1
	v_cndmask_b32_e64 v9, 0, v39, s[4:5]
	v_and_b32_sdwa v10, v39, v10 dst_sel:DWORD dst_unused:UNUSED_PAD src0_sel:WORD_1 src1_sel:DWORD
	v_cmp_eq_u32_e64 s[4:5], 1, v8
	v_cndmask_b32_e64 v8, v10, 1, s[4:5]
	v_add_u16_e32 v11, v9, v7
	v_lshlrev_b32_e32 v10, 16, v8
	v_add_u16_e32 v7, v9, v7
	v_or3_b32 v9, v10, v7, v5
	v_mov_b32_e32 v10, v8
	v_mov_b32_e32 v7, v11
.LBB995_142:
	s_or_b64 exec, exec, s[56:57]
	v_and_b32_e32 v39, 16, v6
	v_mov_b32_dpp v11, v9 row_bcast:15 row_mask:0xf bank_mask:0xf
	v_cmp_ne_u32_e64 s[4:5], 0, v39
	s_and_saveexec_b64 s[56:57], s[4:5]
	s_cbranch_execz .LBB995_144
; %bb.143:
	v_mov_b32_e32 v8, 0
	v_cmp_eq_u16_sdwa s[4:5], v10, v8 src0_sel:BYTE_0 src1_sel:DWORD
	v_and_b32_e32 v8, 1, v10
	v_mov_b32_e32 v10, 1
	v_cndmask_b32_e64 v9, 0, v11, s[4:5]
	v_and_b32_sdwa v10, v11, v10 dst_sel:DWORD dst_unused:UNUSED_PAD src0_sel:WORD_1 src1_sel:DWORD
	v_cmp_eq_u32_e64 s[4:5], 1, v8
	v_cndmask_b32_e64 v8, v10, 1, s[4:5]
	v_add_u16_e32 v39, v9, v7
	v_lshlrev_b32_e32 v10, 16, v8
	v_add_u16_e32 v7, v9, v7
	v_or3_b32 v9, v10, v7, v5
	v_mov_b32_e32 v10, v8
	v_mov_b32_e32 v7, v39
.LBB995_144:
	s_or_b64 exec, exec, s[56:57]
	v_mov_b32_dpp v9, v9 row_bcast:31 row_mask:0xf bank_mask:0xf
	v_cmp_lt_u32_e64 s[4:5], 31, v6
	s_and_saveexec_b64 s[56:57], s[4:5]
; %bb.145:
	v_mov_b32_e32 v8, 0
	v_cmp_eq_u16_sdwa s[4:5], v10, v8 src0_sel:BYTE_0 src1_sel:DWORD
	v_cndmask_b32_e64 v8, 0, v9, s[4:5]
	v_add_u16_e32 v7, v8, v7
	v_and_b32_e32 v8, 1, v10
	v_mov_b32_e32 v10, 1
	v_and_b32_sdwa v9, v9, v10 dst_sel:DWORD dst_unused:UNUSED_PAD src0_sel:WORD_1 src1_sel:DWORD
	v_cmp_eq_u32_e64 s[4:5], 1, v8
	v_cndmask_b32_e64 v8, v9, 1, s[4:5]
; %bb.146:
	s_or_b64 exec, exec, s[56:57]
	v_and_b32_e32 v8, 0xff, v8
	v_lshlrev_b32_e32 v8, 16, v8
	v_and_b32_e32 v7, 0xffff, v7
	v_or3_b32 v5, v8, v7, v5
	v_add_u32_e32 v7, -1, v6
	v_and_b32_e32 v8, 64, v6
	v_cmp_lt_i32_e64 s[4:5], v7, v8
	v_cndmask_b32_e64 v6, v7, v6, s[4:5]
	v_lshlrev_b32_e32 v6, 2, v6
	ds_bpermute_b32 v5, v6, v5
	v_and_b32_e32 v6, 0xff0000, v3
	v_cmp_eq_u32_e64 s[4:5], 0, v6
	; wave barrier
	s_waitcnt lgkmcnt(0)
	v_cndmask_b32_e64 v6, 0, v5, s[4:5]
	v_add_u16_e32 v3, v6, v3
	v_mov_b32_e32 v6, 1
	v_and_b32_sdwa v5, v5, v6 dst_sel:DWORD dst_unused:UNUSED_PAD src0_sel:WORD_1 src1_sel:DWORD
	v_cmp_eq_u32_e64 s[4:5], 0, v4
	v_cndmask_b32_e64 v4, 1, v5, s[4:5]
	v_cndmask_b32_e64 v3, v3, v37, s[0:1]
	;; [unrolled: 1-line block ×3, first 2 shown]
	ds_write_b16 v2, v3
	ds_write_b8 v2, v4 offset:2
	; wave barrier
	ds_read_u16 v5, v2 offset:4
	ds_read_u8 v6, v2 offset:6
	ds_read_u16 v7, v2 offset:8
	ds_read_u8 v8, v2 offset:10
	ds_read_u16 v9, v2 offset:12
	ds_read_u8 v10, v2 offset:14
	s_waitcnt lgkmcnt(4)
	v_cmp_eq_u16_e64 s[4:5], 0, v6
	v_cndmask_b32_e64 v3, 0, v3, s[4:5]
	v_add_u16_e32 v3, v3, v5
	v_and_b32_e32 v5, 1, v6
	v_cmp_eq_u32_e64 s[4:5], 1, v5
	v_cndmask_b32_e64 v4, v4, 1, s[4:5]
	s_waitcnt lgkmcnt(2)
	v_cmp_eq_u16_e64 s[4:5], 0, v8
	v_and_b32_e32 v5, 1, v8
	ds_write_b16 v2, v3 offset:4
	ds_write_b8 v2, v4 offset:6
	v_cndmask_b32_e64 v3, 0, v3, s[4:5]
	v_cmp_eq_u32_e64 s[4:5], 1, v5
	v_add_u16_e32 v3, v3, v7
	v_cndmask_b32_e64 v4, v4, 1, s[4:5]
	s_waitcnt lgkmcnt(2)
	v_cmp_eq_u16_e64 s[4:5], 0, v10
	ds_write_b16 v2, v3 offset:8
	ds_write_b8 v2, v4 offset:10
	v_cndmask_b32_e64 v3, 0, v3, s[4:5]
	v_and_b32_e32 v5, 1, v10
	v_add_u16_e32 v3, v3, v9
	v_cmp_eq_u32_e64 s[4:5], 1, v5
	v_cndmask_b32_e64 v4, v4, 1, s[4:5]
	ds_write_b16 v2, v3 offset:12
	ds_write_b8 v2, v4 offset:14
.LBB995_147:
	s_or_b64 exec, exec, s[50:51]
	s_waitcnt lgkmcnt(0)
	s_barrier
	s_and_saveexec_b64 s[4:5], s[52:53]
	s_cbranch_execz .LBB995_149
; %bb.148:
	v_add_u32_e32 v2, -1, v0
	v_lshrrev_b32_e32 v3, 5, v2
	v_add_lshl_u32 v2, v3, v2, 2
	ds_read_u16 v37, v2
	ds_read_u8 v38, v2 offset:2
.LBB995_149:
	s_or_b64 exec, exec, s[4:5]
	s_and_saveexec_b64 s[4:5], vcc
	s_cbranch_execz .LBB995_192
; %bb.150:
	v_mov_b32_e32 v9, 0
	ds_read_b32 v2, v9 offset:1048
	v_mbcnt_lo_u32_b32 v3, -1, 0
	v_mbcnt_hi_u32_b32 v5, -1, v3
	s_mov_b32 s63, 0
	v_cmp_eq_u32_e64 s[50:51], 0, v5
	s_and_saveexec_b64 s[56:57], s[50:51]
	s_cbranch_execz .LBB995_152
; %bb.151:
	s_add_i32 s62, s67, 64
	s_lshl_b64 s[62:63], s[62:63], 3
	s_add_u32 s62, s64, s62
	v_mov_b32_e32 v3, 1
	s_addc_u32 s63, s65, s63
	s_waitcnt lgkmcnt(0)
	global_store_dwordx2 v9, v[2:3], s[62:63]
.LBB995_152:
	s_or_b64 exec, exec, s[56:57]
	v_xad_u32 v4, v5, -1, s67
	v_add_u32_e32 v8, 64, v4
	v_lshlrev_b64 v[6:7], 3, v[8:9]
	v_mov_b32_e32 v3, s65
	v_add_co_u32_e32 v10, vcc, s64, v6
	v_addc_co_u32_e32 v11, vcc, v3, v7, vcc
	global_load_dwordx2 v[6:7], v[10:11], off glc
	s_waitcnt vmcnt(0)
	v_cmp_eq_u16_sdwa s[62:63], v7, v9 src0_sel:BYTE_0 src1_sel:DWORD
	s_and_saveexec_b64 s[56:57], s[62:63]
	s_cbranch_execz .LBB995_156
; %bb.153:
	s_mov_b64 s[62:63], 0
	v_mov_b32_e32 v3, 0
.LBB995_154:                            ; =>This Inner Loop Header: Depth=1
	global_load_dwordx2 v[6:7], v[10:11], off glc
	s_waitcnt vmcnt(0)
	v_cmp_ne_u16_sdwa s[72:73], v7, v3 src0_sel:BYTE_0 src1_sel:DWORD
	s_or_b64 s[62:63], s[72:73], s[62:63]
	s_andn2_b64 exec, exec, s[62:63]
	s_cbranch_execnz .LBB995_154
; %bb.155:
	s_or_b64 exec, exec, s[62:63]
.LBB995_156:
	s_or_b64 exec, exec, s[56:57]
	v_mov_b32_e32 v3, 2
	v_cmp_eq_u16_sdwa s[56:57], v7, v3 src0_sel:BYTE_0 src1_sel:DWORD
	v_lshlrev_b64 v[8:9], v5, -1
	v_and_b32_e32 v3, s57, v9
	v_or_b32_e32 v3, 0x80000000, v3
	v_ffbl_b32_e32 v3, v3
	v_add_u32_e32 v11, 32, v3
	v_and_b32_e32 v3, 63, v5
	v_cmp_ne_u32_e32 vcc, 63, v3
	v_addc_co_u32_e32 v39, vcc, 0, v5, vcc
	v_and_b32_e32 v50, 0xffffff, v6
	v_lshlrev_b32_e32 v39, 2, v39
	ds_bpermute_b32 v40, v39, v50
	v_and_b32_e32 v10, s56, v8
	v_ffbl_b32_e32 v10, v10
	v_min_u32_e32 v11, v10, v11
	v_lshrrev_b32_e32 v10, 16, v6
	v_cmp_lt_u32_e32 vcc, v3, v11
	v_bfe_u32 v48, v6, 16, 8
	s_and_saveexec_b64 s[56:57], vcc
	s_cbranch_execz .LBB995_158
; %bb.157:
	v_and_b32_e32 v10, 0xff0000, v6
	v_cmp_eq_u32_e32 vcc, 0, v10
	v_and_b32_e32 v10, 0x10000, v10
	v_mov_b32_e32 v43, 1
	s_waitcnt lgkmcnt(0)
	v_cndmask_b32_e32 v41, 0, v40, vcc
	v_and_b32_sdwa v40, v40, v43 dst_sel:DWORD dst_unused:UNUSED_PAD src0_sel:WORD_1 src1_sel:DWORD
	v_cmp_ne_u32_e32 vcc, 0, v10
	v_cndmask_b32_e64 v10, v40, 1, vcc
	v_add_u16_e32 v42, v41, v6
	v_lshlrev_b32_e32 v40, 16, v10
	v_add_u16_e32 v6, v41, v6
	v_or_b32_e32 v50, v40, v6
	v_mov_b32_e32 v6, v42
	v_mov_b32_e32 v48, v10
.LBB995_158:
	s_or_b64 exec, exec, s[56:57]
	v_cmp_gt_u32_e32 vcc, 62, v3
	s_waitcnt lgkmcnt(0)
	v_cndmask_b32_e64 v40, 0, 1, vcc
	v_lshlrev_b32_e32 v40, 1, v40
	v_add_lshl_u32 v40, v40, v5, 2
	ds_bpermute_b32 v42, v40, v50
	v_add_u32_e32 v41, 2, v3
	v_cmp_le_u32_e32 vcc, v41, v11
	s_and_saveexec_b64 s[56:57], vcc
	s_cbranch_execz .LBB995_160
; %bb.159:
	v_cmp_eq_u16_e32 vcc, 0, v48
	v_and_b32_e32 v10, 1, v48
	v_mov_b32_e32 v45, 1
	s_waitcnt lgkmcnt(0)
	v_cndmask_b32_e32 v43, 0, v42, vcc
	v_and_b32_sdwa v42, v42, v45 dst_sel:DWORD dst_unused:UNUSED_PAD src0_sel:WORD_1 src1_sel:DWORD
	v_cmp_eq_u32_e32 vcc, 1, v10
	v_cndmask_b32_e64 v10, v42, 1, vcc
	v_add_u16_e32 v44, v43, v6
	v_lshlrev_b32_e32 v42, 16, v10
	v_add_u16_e32 v6, v43, v6
	v_or_b32_e32 v50, v42, v6
	v_mov_b32_e32 v6, v44
	v_mov_b32_e32 v48, v10
.LBB995_160:
	s_or_b64 exec, exec, s[56:57]
	v_cmp_gt_u32_e32 vcc, 60, v3
	s_waitcnt lgkmcnt(0)
	v_cndmask_b32_e64 v42, 0, 1, vcc
	v_lshlrev_b32_e32 v42, 2, v42
	v_add_lshl_u32 v42, v42, v5, 2
	ds_bpermute_b32 v44, v42, v50
	v_add_u32_e32 v43, 4, v3
	v_cmp_le_u32_e32 vcc, v43, v11
	s_and_saveexec_b64 s[56:57], vcc
	s_cbranch_execz .LBB995_162
; %bb.161:
	v_cmp_eq_u16_e32 vcc, 0, v48
	v_and_b32_e32 v10, 1, v48
	v_mov_b32_e32 v47, 1
	s_waitcnt lgkmcnt(0)
	v_cndmask_b32_e32 v45, 0, v44, vcc
	v_and_b32_sdwa v44, v44, v47 dst_sel:DWORD dst_unused:UNUSED_PAD src0_sel:WORD_1 src1_sel:DWORD
	v_cmp_eq_u32_e32 vcc, 1, v10
	v_cndmask_b32_e64 v10, v44, 1, vcc
	v_add_u16_e32 v46, v45, v6
	v_lshlrev_b32_e32 v44, 16, v10
	v_add_u16_e32 v6, v45, v6
	v_or_b32_e32 v50, v44, v6
	v_mov_b32_e32 v6, v46
	v_mov_b32_e32 v48, v10
.LBB995_162:
	;; [unrolled: 27-line block ×4, first 2 shown]
	s_or_b64 exec, exec, s[56:57]
	v_cmp_gt_u32_e32 vcc, 32, v3
	s_waitcnt lgkmcnt(0)
	v_cndmask_b32_e64 v49, 0, 1, vcc
	v_lshlrev_b32_e32 v49, 5, v49
	v_add_lshl_u32 v49, v49, v5, 2
	ds_bpermute_b32 v5, v49, v50
	v_add_u32_e32 v50, 32, v3
	v_cmp_le_u32_e32 vcc, v50, v11
	s_and_saveexec_b64 s[56:57], vcc
	s_cbranch_execz .LBB995_168
; %bb.167:
	v_cmp_eq_u16_e32 vcc, 0, v48
	s_waitcnt lgkmcnt(0)
	v_cndmask_b32_e32 v10, 0, v5, vcc
	v_add_u16_e32 v6, v10, v6
	v_and_b32_e32 v10, 1, v48
	v_mov_b32_e32 v11, 1
	v_and_b32_sdwa v5, v5, v11 dst_sel:DWORD dst_unused:UNUSED_PAD src0_sel:WORD_1 src1_sel:DWORD
	v_cmp_eq_u32_e32 vcc, 1, v10
	v_cndmask_b32_e64 v10, v5, 1, vcc
.LBB995_168:
	s_or_b64 exec, exec, s[56:57]
	s_waitcnt lgkmcnt(0)
	v_mov_b32_e32 v5, 0
	v_mov_b32_e32 v52, 2
	;; [unrolled: 1-line block ×3, first 2 shown]
	s_branch .LBB995_170
.LBB995_169:                            ;   in Loop: Header=BB995_170 Depth=1
	s_or_b64 exec, exec, s[56:57]
	v_cmp_eq_u16_sdwa vcc, v48, v5 src0_sel:BYTE_0 src1_sel:DWORD
	v_and_b32_e32 v10, 1, v48
	v_cndmask_b32_e32 v6, 0, v6, vcc
	v_and_b32_e32 v11, 1, v11
	v_cmp_eq_u32_e32 vcc, 1, v10
	v_subrev_u32_e32 v4, 64, v4
	v_add_u16_e32 v6, v6, v51
	v_cndmask_b32_e64 v10, v11, 1, vcc
.LBB995_170:                            ; =>This Loop Header: Depth=1
                                        ;     Child Loop BB995_173 Depth 2
	v_cmp_ne_u16_sdwa s[56:57], v7, v52 src0_sel:BYTE_0 src1_sel:DWORD
	v_cndmask_b32_e64 v7, 0, 1, s[56:57]
	;;#ASMSTART
	;;#ASMEND
	v_cmp_ne_u32_e32 vcc, 0, v7
	v_mov_b32_e32 v48, v10
	s_cmp_lg_u64 vcc, exec
	v_mov_b32_e32 v51, v6
	s_cbranch_scc1 .LBB995_187
; %bb.171:                              ;   in Loop: Header=BB995_170 Depth=1
	v_lshlrev_b64 v[6:7], 3, v[4:5]
	v_mov_b32_e32 v11, s65
	v_add_co_u32_e32 v10, vcc, s64, v6
	v_addc_co_u32_e32 v11, vcc, v11, v7, vcc
	global_load_dwordx2 v[6:7], v[10:11], off glc
	s_waitcnt vmcnt(0)
	v_cmp_eq_u16_sdwa s[62:63], v7, v5 src0_sel:BYTE_0 src1_sel:DWORD
	s_and_saveexec_b64 s[56:57], s[62:63]
	s_cbranch_execz .LBB995_175
; %bb.172:                              ;   in Loop: Header=BB995_170 Depth=1
	s_mov_b64 s[62:63], 0
.LBB995_173:                            ;   Parent Loop BB995_170 Depth=1
                                        ; =>  This Inner Loop Header: Depth=2
	global_load_dwordx2 v[6:7], v[10:11], off glc
	s_waitcnt vmcnt(0)
	v_cmp_ne_u16_sdwa s[72:73], v7, v5 src0_sel:BYTE_0 src1_sel:DWORD
	s_or_b64 s[62:63], s[72:73], s[62:63]
	s_andn2_b64 exec, exec, s[62:63]
	s_cbranch_execnz .LBB995_173
; %bb.174:                              ;   in Loop: Header=BB995_170 Depth=1
	s_or_b64 exec, exec, s[62:63]
.LBB995_175:                            ;   in Loop: Header=BB995_170 Depth=1
	s_or_b64 exec, exec, s[56:57]
	v_cmp_eq_u16_sdwa s[56:57], v7, v52 src0_sel:BYTE_0 src1_sel:DWORD
	v_and_b32_e32 v10, s57, v9
	s_waitcnt lgkmcnt(0)
	v_and_b32_e32 v55, 0xffffff, v6
	v_or_b32_e32 v10, 0x80000000, v10
	ds_bpermute_b32 v56, v39, v55
	v_and_b32_e32 v11, s56, v8
	v_ffbl_b32_e32 v10, v10
	v_add_u32_e32 v10, 32, v10
	v_ffbl_b32_e32 v11, v11
	v_min_u32_e32 v10, v11, v10
	v_lshrrev_b32_e32 v11, 16, v6
	v_cmp_lt_u32_e32 vcc, v3, v10
	v_bfe_u32 v54, v6, 16, 8
	s_and_saveexec_b64 s[56:57], vcc
	s_cbranch_execz .LBB995_177
; %bb.176:                              ;   in Loop: Header=BB995_170 Depth=1
	v_and_b32_e32 v11, 0xff0000, v6
	v_cmp_eq_u32_e32 vcc, 0, v11
	v_and_b32_e32 v11, 0x10000, v11
	s_waitcnt lgkmcnt(0)
	v_cndmask_b32_e32 v54, 0, v56, vcc
	v_and_b32_sdwa v55, v56, v53 dst_sel:DWORD dst_unused:UNUSED_PAD src0_sel:WORD_1 src1_sel:DWORD
	v_cmp_ne_u32_e32 vcc, 0, v11
	v_cndmask_b32_e64 v11, v55, 1, vcc
	v_add_u16_e32 v57, v54, v6
	v_lshlrev_b32_e32 v55, 16, v11
	v_add_u16_e32 v6, v54, v6
	v_or_b32_e32 v55, v55, v6
	v_mov_b32_e32 v6, v57
	v_mov_b32_e32 v54, v11
.LBB995_177:                            ;   in Loop: Header=BB995_170 Depth=1
	s_or_b64 exec, exec, s[56:57]
	s_waitcnt lgkmcnt(0)
	ds_bpermute_b32 v56, v40, v55
	v_cmp_le_u32_e32 vcc, v41, v10
	s_and_saveexec_b64 s[56:57], vcc
	s_cbranch_execz .LBB995_179
; %bb.178:                              ;   in Loop: Header=BB995_170 Depth=1
	v_cmp_eq_u16_e32 vcc, 0, v54
	v_and_b32_e32 v11, 1, v54
	s_waitcnt lgkmcnt(0)
	v_cndmask_b32_e32 v55, 0, v56, vcc
	v_and_b32_sdwa v54, v56, v53 dst_sel:DWORD dst_unused:UNUSED_PAD src0_sel:WORD_1 src1_sel:DWORD
	v_cmp_eq_u32_e32 vcc, 1, v11
	v_cndmask_b32_e64 v11, v54, 1, vcc
	v_add_u16_e32 v57, v55, v6
	v_lshlrev_b32_e32 v54, 16, v11
	v_add_u16_e32 v6, v55, v6
	v_or_b32_e32 v55, v54, v6
	v_mov_b32_e32 v6, v57
	v_mov_b32_e32 v54, v11
.LBB995_179:                            ;   in Loop: Header=BB995_170 Depth=1
	s_or_b64 exec, exec, s[56:57]
	s_waitcnt lgkmcnt(0)
	ds_bpermute_b32 v56, v42, v55
	v_cmp_le_u32_e32 vcc, v43, v10
	s_and_saveexec_b64 s[56:57], vcc
	s_cbranch_execz .LBB995_181
; %bb.180:                              ;   in Loop: Header=BB995_170 Depth=1
	v_cmp_eq_u16_e32 vcc, 0, v54
	v_and_b32_e32 v11, 1, v54
	s_waitcnt lgkmcnt(0)
	v_cndmask_b32_e32 v55, 0, v56, vcc
	v_and_b32_sdwa v54, v56, v53 dst_sel:DWORD dst_unused:UNUSED_PAD src0_sel:WORD_1 src1_sel:DWORD
	v_cmp_eq_u32_e32 vcc, 1, v11
	v_cndmask_b32_e64 v11, v54, 1, vcc
	v_add_u16_e32 v57, v55, v6
	v_lshlrev_b32_e32 v54, 16, v11
	v_add_u16_e32 v6, v55, v6
	v_or_b32_e32 v55, v54, v6
	v_mov_b32_e32 v6, v57
	v_mov_b32_e32 v54, v11
.LBB995_181:                            ;   in Loop: Header=BB995_170 Depth=1
	;; [unrolled: 21-line block ×4, first 2 shown]
	s_or_b64 exec, exec, s[56:57]
	ds_bpermute_b32 v55, v49, v55
	v_cmp_le_u32_e32 vcc, v50, v10
	s_and_saveexec_b64 s[56:57], vcc
	s_cbranch_execz .LBB995_169
; %bb.186:                              ;   in Loop: Header=BB995_170 Depth=1
	v_cmp_eq_u16_e32 vcc, 0, v54
	s_waitcnt lgkmcnt(0)
	v_cndmask_b32_e32 v10, 0, v55, vcc
	v_add_u16_e32 v6, v10, v6
	v_and_b32_e32 v10, 1, v54
	v_lshrrev_b32_e32 v11, 16, v55
	v_cmp_eq_u32_e32 vcc, 1, v10
	v_cndmask_b32_e64 v11, v11, 1, vcc
	s_branch .LBB995_169
.LBB995_187:                            ;   in Loop: Header=BB995_170 Depth=1
                                        ; implicit-def: $vgpr10
                                        ; implicit-def: $vgpr6
	s_cbranch_execz .LBB995_170
; %bb.188:
	s_and_saveexec_b64 s[56:57], s[50:51]
	s_cbranch_execz .LBB995_190
; %bb.189:
	v_and_b32_e32 v3, 0xff0000, v2
	s_mov_b32 s51, 0
	v_cmp_eq_u32_e32 vcc, 0, v3
	v_and_b32_e32 v4, 0x10000, v2
	v_mov_b32_e32 v5, 1
	s_add_i32 s50, s67, 64
	v_cndmask_b32_e32 v3, 0, v51, vcc
	v_and_b32_sdwa v5, v48, v5 dst_sel:WORD_1 dst_unused:UNUSED_PAD src0_sel:DWORD src1_sel:DWORD
	v_mov_b32_e32 v6, 0x10000
	v_cmp_eq_u32_e32 vcc, 0, v4
	s_lshl_b64 s[50:51], s[50:51], 3
	v_cndmask_b32_e32 v4, v6, v5, vcc
	s_add_u32 s50, s64, s50
	v_add_u16_e32 v2, v3, v2
	s_addc_u32 s51, s65, s51
	v_mov_b32_e32 v5, 0
	v_or_b32_e32 v2, v4, v2
	v_mov_b32_e32 v3, 2
	global_store_dwordx2 v5, v[2:3], s[50:51]
.LBB995_190:
	s_or_b64 exec, exec, s[56:57]
	s_and_b64 exec, exec, s[0:1]
	s_cbranch_execz .LBB995_192
; %bb.191:
	v_mov_b32_e32 v2, 0
	ds_write_b16 v2, v51
	ds_write_b8 v2, v48 offset:2
.LBB995_192:
	s_or_b64 exec, exec, s[4:5]
	v_mov_b32_e32 v2, 0
	s_mov_b32 s4, 0x10000
	s_waitcnt lgkmcnt(0)
	s_barrier
	ds_read_b32 v3, v2
	v_cmp_gt_u32_e32 vcc, s4, v1
	v_and_b32_e32 v5, 0x10000, v1
	v_cndmask_b32_e32 v4, 0, v37, vcc
	v_and_b32_e32 v6, 1, v38
	v_cmp_ne_u32_e32 vcc, 0, v5
	v_cndmask_b32_e64 v5, v6, 1, vcc
	v_cndmask_b32_e64 v5, v5, v36, s[0:1]
	v_cndmask_b32_e64 v4, v4, 0, s[0:1]
	v_cmp_eq_u16_sdwa vcc, v5, v2 src0_sel:BYTE_0 src1_sel:DWORD
	v_add_u16_e32 v4, v4, v1
	s_waitcnt lgkmcnt(0)
	v_cndmask_b32_e32 v2, 0, v3, vcc
	v_add_u16_e32 v49, v4, v2
	v_cndmask_b32_e64 v2, 0, v49, s[6:7]
	v_add_u16_e32 v4, v2, v16
	v_cndmask_b32_e64 v2, 0, v4, s[8:9]
	;; [unrolled: 2-line block ×21, first 2 shown]
	v_add_u16_e32 v48, v2, v13
	s_branch .LBB995_215
.LBB995_193:
                                        ; implicit-def: $vgpr49
                                        ; implicit-def: $vgpr4
                                        ; implicit-def: $vgpr5
                                        ; implicit-def: $vgpr6
                                        ; implicit-def: $vgpr7
                                        ; implicit-def: $vgpr8
                                        ; implicit-def: $vgpr9
                                        ; implicit-def: $vgpr10
                                        ; implicit-def: $vgpr11
                                        ; implicit-def: $vgpr36
                                        ; implicit-def: $vgpr37
                                        ; implicit-def: $vgpr38
                                        ; implicit-def: $vgpr39
                                        ; implicit-def: $vgpr40
                                        ; implicit-def: $vgpr41
                                        ; implicit-def: $vgpr42
                                        ; implicit-def: $vgpr43
                                        ; implicit-def: $vgpr44
                                        ; implicit-def: $vgpr45
                                        ; implicit-def: $vgpr46
                                        ; implicit-def: $vgpr47
                                        ; implicit-def: $vgpr48
	s_cbranch_execz .LBB995_215
; %bb.194:
	s_cmp_lg_u64 s[70:71], 0
	s_cselect_b32 s7, s59, 0
	s_cselect_b32 s6, s58, 0
	s_cmp_lg_u64 s[6:7], 0
	s_cselect_b64 s[4:5], -1, 0
	s_and_b64 s[8:9], s[0:1], s[4:5]
	s_and_saveexec_b64 s[4:5], s[8:9]
	s_cbranch_execz .LBB995_196
; %bb.195:
	v_mov_b32_e32 v2, 0
	global_load_ushort v3, v2, s[6:7]
	global_load_ubyte v4, v2, s[6:7] offset:2
	s_mov_b32 s6, 0x10000
	v_and_b32_e32 v2, 0x10000, v1
	s_waitcnt vmcnt(0)
	v_mov_b32_e32 v5, 1
	v_cmp_gt_u32_e32 vcc, s6, v1
	v_mov_b32_e32 v6, 0x10000
	v_cndmask_b32_e32 v3, 0, v3, vcc
	v_and_b32_sdwa v4, v4, v5 dst_sel:WORD_1 dst_unused:UNUSED_PAD src0_sel:DWORD src1_sel:DWORD
	v_cmp_eq_u32_e32 vcc, 0, v2
	v_add_u16_e32 v1, v3, v1
	v_cndmask_b32_e32 v2, v6, v4, vcc
	v_or_b32_e32 v1, v2, v1
.LBB995_196:
	s_or_b64 exec, exec, s[4:5]
	s_mov_b32 s4, 0x10000
	v_cmp_gt_u32_e32 vcc, s4, v16
	v_cndmask_b32_e32 v3, 0, v1, vcc
	v_add_u16_e32 v4, v3, v16
	v_cmp_gt_u32_e64 s[6:7], s4, v17
	v_cndmask_b32_e64 v3, 0, v4, s[6:7]
	s_waitcnt vmcnt(0)
	v_add_u16_e32 v5, v3, v17
	v_cmp_gt_u32_e64 s[8:9], s4, v18
	v_cndmask_b32_e64 v3, 0, v5, s[8:9]
	v_add_u16_e32 v6, v3, v18
	v_cmp_gt_u32_e64 s[10:11], s4, v19
	v_cndmask_b32_e64 v3, 0, v6, s[10:11]
	;; [unrolled: 3-line block ×19, first 2 shown]
	v_add_u16_e32 v48, v3, v13
	v_or3_b32 v3, v15, v31, v30
	v_or3_b32 v3, v3, v29, v28
	v_or3_b32 v3, v3, v27, v26
	v_or3_b32 v3, v3, v25, v24
	v_or3_b32 v3, v3, v23, v22
	v_or3_b32 v3, v3, v21, v20
	v_or3_b32 v3, v3, v19, v18
	v_or3_b32 v3, v3, v17, v16
	v_and_b32_e32 v3, 0x10000, v3
	v_lshrrev_b32_e32 v2, 16, v1
	v_cmp_ne_u32_e64 s[4:5], 0, v3
	v_mov_b32_e32 v49, 0x10000
	v_cndmask_b32_e64 v3, v2, 1, s[4:5]
	v_add_lshl_u32 v2, v14, v0, 2
	v_cmp_gt_u32_e64 s[4:5], 64, v0
	ds_write_b16 v2, v48
	ds_write_b8 v2, v3 offset:2
	s_waitcnt lgkmcnt(0)
	s_barrier
	s_and_saveexec_b64 s[48:49], s[4:5]
	s_cbranch_execz .LBB995_210
; %bb.197:
	v_lshlrev_b32_e32 v2, 2, v0
	v_lshrrev_b32_e32 v14, 3, v0
	v_add_lshl_u32 v2, v14, v2, 2
	ds_read_b32 v14, v2
	ds_read_u16 v15, v2 offset:4
	ds_read_u8 v50, v2 offset:6
	ds_read_u16 v51, v2 offset:8
	ds_read_u8 v52, v2 offset:10
	;; [unrolled: 2-line block ×3, first 2 shown]
	v_mov_b32_e32 v55, 0
	s_waitcnt lgkmcnt(4)
	v_cmp_eq_u16_sdwa s[4:5], v50, v55 src0_sel:BYTE_0 src1_sel:DWORD
	v_cndmask_b32_e64 v56, 0, v14, s[4:5]
	v_add_u16_e32 v56, v56, v15
	s_waitcnt lgkmcnt(2)
	v_cmp_eq_u16_sdwa s[4:5], v52, v55 src0_sel:BYTE_0 src1_sel:DWORD
	s_waitcnt lgkmcnt(0)
	v_or_b32_e32 v52, v54, v52
	v_cndmask_b32_e64 v55, 0, v56, s[4:5]
	v_or_b32_e32 v50, v52, v50
	v_add_u16_e32 v51, v55, v51
	v_cmp_eq_u16_e64 s[4:5], 0, v54
	v_and_b32_e32 v50, 1, v50
	v_and_b32_e32 v15, 0x10000, v14
	v_cndmask_b32_e64 v55, 0, v51, s[4:5]
	v_cmp_eq_u32_e64 s[4:5], 1, v50
	v_mbcnt_lo_u32_b32 v50, -1, 0
	v_add_u16_e32 v51, v55, v53
	v_cndmask_b32_e64 v56, v15, v49, s[4:5]
	v_add_u16_e32 v53, v55, v53
	v_and_b32_e32 v49, 0xff000000, v14
	v_mbcnt_hi_u32_b32 v50, -1, v50
	v_or_b32_e32 v54, v56, v49
	v_and_b32_e32 v55, 15, v50
	v_or3_b32 v53, v49, v53, v56
	s_movk_i32 s56, 0xff
	v_lshrrev_b32_e32 v52, 16, v54
	v_mov_b32_dpp v56, v53 row_shr:1 row_mask:0xf bank_mask:0xf
	v_cmp_ne_u32_e64 s[4:5], 0, v55
	s_and_saveexec_b64 s[50:51], s[4:5]
	s_cbranch_execz .LBB995_199
; %bb.198:
	v_and_b32_sdwa v52, v54, s56 dst_sel:DWORD dst_unused:UNUSED_PAD src0_sel:WORD_1 src1_sel:DWORD
	v_cmp_eq_u16_e64 s[4:5], 0, v52
	v_and_b32_e32 v52, 0x10000, v54
	v_mov_b32_e32 v54, 1
	v_cndmask_b32_e64 v53, 0, v56, s[4:5]
	v_and_b32_sdwa v54, v56, v54 dst_sel:DWORD dst_unused:UNUSED_PAD src0_sel:WORD_1 src1_sel:DWORD
	v_cmp_ne_u32_e64 s[4:5], 0, v52
	v_cndmask_b32_e64 v52, v54, 1, s[4:5]
	v_add_u16_e32 v57, v53, v51
	v_lshlrev_b32_e32 v54, 16, v52
	v_add_u16_e32 v51, v53, v51
	v_or3_b32 v53, v54, v51, v49
	v_mov_b32_e32 v51, v57
.LBB995_199:
	s_or_b64 exec, exec, s[50:51]
	v_lshrrev_b32_e32 v54, 16, v53
	v_mov_b32_dpp v56, v53 row_shr:2 row_mask:0xf bank_mask:0xf
	v_cmp_lt_u32_e64 s[4:5], 1, v55
	s_and_saveexec_b64 s[50:51], s[4:5]
	s_cbranch_execz .LBB995_201
; %bb.200:
	v_mov_b32_e32 v52, 0
	v_cmp_eq_u16_sdwa s[4:5], v54, v52 src0_sel:BYTE_0 src1_sel:DWORD
	v_and_b32_e32 v52, 0x10000, v53
	v_mov_b32_e32 v53, 1
	v_cndmask_b32_e64 v54, 0, v56, s[4:5]
	v_and_b32_sdwa v53, v56, v53 dst_sel:DWORD dst_unused:UNUSED_PAD src0_sel:WORD_1 src1_sel:DWORD
	v_cmp_ne_u32_e64 s[4:5], 0, v52
	v_cndmask_b32_e64 v52, v53, 1, s[4:5]
	v_add_u16_e32 v57, v54, v51
	v_lshlrev_b32_e32 v53, 16, v52
	v_add_u16_e32 v51, v54, v51
	v_or3_b32 v53, v53, v51, v49
	v_mov_b32_e32 v54, v52
	v_mov_b32_e32 v51, v57
.LBB995_201:
	s_or_b64 exec, exec, s[50:51]
	v_mov_b32_dpp v56, v53 row_shr:4 row_mask:0xf bank_mask:0xf
	v_cmp_lt_u32_e64 s[4:5], 3, v55
	s_and_saveexec_b64 s[50:51], s[4:5]
	s_cbranch_execz .LBB995_203
; %bb.202:
	v_mov_b32_e32 v52, 0
	v_cmp_eq_u16_sdwa s[4:5], v54, v52 src0_sel:BYTE_0 src1_sel:DWORD
	v_and_b32_e32 v52, 1, v54
	v_mov_b32_e32 v54, 1
	v_cndmask_b32_e64 v53, 0, v56, s[4:5]
	v_and_b32_sdwa v54, v56, v54 dst_sel:DWORD dst_unused:UNUSED_PAD src0_sel:WORD_1 src1_sel:DWORD
	v_cmp_eq_u32_e64 s[4:5], 1, v52
	v_cndmask_b32_e64 v52, v54, 1, s[4:5]
	v_add_u16_e32 v57, v53, v51
	v_lshlrev_b32_e32 v54, 16, v52
	v_add_u16_e32 v51, v53, v51
	v_or3_b32 v53, v54, v51, v49
	v_mov_b32_e32 v54, v52
	v_mov_b32_e32 v51, v57
.LBB995_203:
	s_or_b64 exec, exec, s[50:51]
	v_mov_b32_dpp v56, v53 row_shr:8 row_mask:0xf bank_mask:0xf
	v_cmp_lt_u32_e64 s[4:5], 7, v55
	s_and_saveexec_b64 s[50:51], s[4:5]
	s_cbranch_execz .LBB995_205
; %bb.204:
	v_mov_b32_e32 v52, 0
	v_cmp_eq_u16_sdwa s[4:5], v54, v52 src0_sel:BYTE_0 src1_sel:DWORD
	v_and_b32_e32 v52, 1, v54
	v_mov_b32_e32 v54, 1
	v_cndmask_b32_e64 v53, 0, v56, s[4:5]
	v_and_b32_sdwa v54, v56, v54 dst_sel:DWORD dst_unused:UNUSED_PAD src0_sel:WORD_1 src1_sel:DWORD
	v_cmp_eq_u32_e64 s[4:5], 1, v52
	v_cndmask_b32_e64 v52, v54, 1, s[4:5]
	v_add_u16_e32 v55, v53, v51
	v_lshlrev_b32_e32 v54, 16, v52
	v_add_u16_e32 v51, v53, v51
	v_or3_b32 v53, v54, v51, v49
	v_mov_b32_e32 v54, v52
	v_mov_b32_e32 v51, v55
.LBB995_205:
	s_or_b64 exec, exec, s[50:51]
	v_and_b32_e32 v56, 16, v50
	v_mov_b32_dpp v55, v53 row_bcast:15 row_mask:0xf bank_mask:0xf
	v_cmp_ne_u32_e64 s[4:5], 0, v56
	s_and_saveexec_b64 s[50:51], s[4:5]
	s_cbranch_execz .LBB995_207
; %bb.206:
	v_mov_b32_e32 v52, 0
	v_cmp_eq_u16_sdwa s[4:5], v54, v52 src0_sel:BYTE_0 src1_sel:DWORD
	v_and_b32_e32 v52, 1, v54
	v_mov_b32_e32 v54, 1
	v_cndmask_b32_e64 v53, 0, v55, s[4:5]
	v_and_b32_sdwa v54, v55, v54 dst_sel:DWORD dst_unused:UNUSED_PAD src0_sel:WORD_1 src1_sel:DWORD
	v_cmp_eq_u32_e64 s[4:5], 1, v52
	v_cndmask_b32_e64 v52, v54, 1, s[4:5]
	v_add_u16_e32 v56, v53, v51
	v_lshlrev_b32_e32 v54, 16, v52
	v_add_u16_e32 v51, v53, v51
	v_or3_b32 v53, v54, v51, v49
	v_mov_b32_e32 v54, v52
	v_mov_b32_e32 v51, v56
.LBB995_207:
	s_or_b64 exec, exec, s[50:51]
	v_mov_b32_dpp v53, v53 row_bcast:31 row_mask:0xf bank_mask:0xf
	v_cmp_lt_u32_e64 s[4:5], 31, v50
	s_and_saveexec_b64 s[50:51], s[4:5]
; %bb.208:
	v_mov_b32_e32 v52, 0
	v_cmp_eq_u16_sdwa s[4:5], v54, v52 src0_sel:BYTE_0 src1_sel:DWORD
	v_cndmask_b32_e64 v52, 0, v53, s[4:5]
	v_add_u16_e32 v51, v52, v51
	v_and_b32_e32 v52, 1, v54
	v_mov_b32_e32 v54, 1
	v_and_b32_sdwa v53, v53, v54 dst_sel:DWORD dst_unused:UNUSED_PAD src0_sel:WORD_1 src1_sel:DWORD
	v_cmp_eq_u32_e64 s[4:5], 1, v52
	v_cndmask_b32_e64 v52, v53, 1, s[4:5]
; %bb.209:
	s_or_b64 exec, exec, s[50:51]
	v_and_b32_e32 v52, 0xff, v52
	v_lshlrev_b32_e32 v52, 16, v52
	v_and_b32_e32 v51, 0xffff, v51
	v_or3_b32 v49, v52, v51, v49
	v_add_u32_e32 v51, -1, v50
	v_and_b32_e32 v52, 64, v50
	v_cmp_lt_i32_e64 s[4:5], v51, v52
	v_cndmask_b32_e64 v50, v51, v50, s[4:5]
	v_lshlrev_b32_e32 v50, 2, v50
	ds_bpermute_b32 v49, v50, v49
	v_and_b32_e32 v50, 0xff0000, v14
	v_cmp_eq_u32_e64 s[4:5], 0, v50
	; wave barrier
	s_waitcnt lgkmcnt(0)
	v_cndmask_b32_e64 v50, 0, v49, s[4:5]
	v_add_u16_e32 v14, v50, v14
	v_mov_b32_e32 v50, 1
	v_and_b32_sdwa v49, v49, v50 dst_sel:DWORD dst_unused:UNUSED_PAD src0_sel:WORD_1 src1_sel:DWORD
	v_cmp_eq_u32_e64 s[4:5], 0, v15
	v_cndmask_b32_e64 v15, 1, v49, s[4:5]
	v_cndmask_b32_e64 v14, v14, v48, s[0:1]
	;; [unrolled: 1-line block ×3, first 2 shown]
	ds_write_b16 v2, v14
	ds_write_b8 v2, v3 offset:2
	; wave barrier
	ds_read_u16 v15, v2 offset:4
	ds_read_u8 v49, v2 offset:6
	ds_read_u16 v50, v2 offset:8
	ds_read_u8 v51, v2 offset:10
	ds_read_u16 v52, v2 offset:12
	ds_read_u8 v53, v2 offset:14
	s_waitcnt lgkmcnt(4)
	v_cmp_eq_u16_e64 s[4:5], 0, v49
	v_cndmask_b32_e64 v14, 0, v14, s[4:5]
	v_add_u16_e32 v14, v14, v15
	v_and_b32_e32 v15, 1, v49
	v_cmp_eq_u32_e64 s[4:5], 1, v15
	v_cndmask_b32_e64 v3, v3, 1, s[4:5]
	s_waitcnt lgkmcnt(2)
	v_cmp_eq_u16_e64 s[4:5], 0, v51
	v_and_b32_e32 v15, 1, v51
	ds_write_b16 v2, v14 offset:4
	ds_write_b8 v2, v3 offset:6
	v_cndmask_b32_e64 v14, 0, v14, s[4:5]
	v_cmp_eq_u32_e64 s[4:5], 1, v15
	v_add_u16_e32 v14, v14, v50
	v_cndmask_b32_e64 v3, v3, 1, s[4:5]
	s_waitcnt lgkmcnt(2)
	v_cmp_eq_u16_e64 s[4:5], 0, v53
	ds_write_b16 v2, v14 offset:8
	ds_write_b8 v2, v3 offset:10
	v_cndmask_b32_e64 v14, 0, v14, s[4:5]
	v_and_b32_e32 v15, 1, v53
	v_add_u16_e32 v14, v14, v52
	v_cmp_eq_u32_e64 s[4:5], 1, v15
	v_cndmask_b32_e64 v3, v3, 1, s[4:5]
	ds_write_b16 v2, v14 offset:12
	ds_write_b8 v2, v3 offset:14
.LBB995_210:
	s_or_b64 exec, exec, s[48:49]
	v_mov_b32_e32 v2, v48
	s_waitcnt lgkmcnt(0)
	s_barrier
	s_and_saveexec_b64 s[4:5], s[52:53]
	s_cbranch_execnz .LBB995_285
; %bb.211:
	s_or_b64 exec, exec, s[4:5]
	s_and_saveexec_b64 s[48:49], s[52:53]
	s_cbranch_execnz .LBB995_286
.LBB995_212:
	s_or_b64 exec, exec, s[48:49]
	s_and_saveexec_b64 s[4:5], s[0:1]
	s_cbranch_execz .LBB995_214
.LBB995_213:
	v_mov_b32_e32 v13, 0
	s_waitcnt lgkmcnt(0)
	ds_read_u8 v2, v13 offset:1050
	ds_read_u16 v3, v13 offset:1048
	s_waitcnt lgkmcnt(1)
	v_lshlrev_b32_e32 v2, 16, v2
	s_waitcnt lgkmcnt(0)
	v_or_b32_e32 v2, v2, v3
	v_mov_b32_e32 v3, 2
	global_store_dwordx2 v13, v[2:3], s[64:65] offset:512
.LBB995_214:
	s_or_b64 exec, exec, s[4:5]
	v_mov_b32_e32 v49, v1
.LBB995_215:
	s_add_u32 s0, s54, s68
	s_addc_u32 s1, s55, s69
	s_add_u32 s4, s0, s60
	s_addc_u32 s5, s1, s61
	s_and_b64 vcc, exec, s[2:3]
	v_mul_u32_u24_e32 v14, 22, v0
	s_cbranch_vccz .LBB995_259
; %bb.216:
	s_mov_b32 s0, 0x5040100
	v_lshlrev_b32_e32 v33, 1, v14
	s_waitcnt vmcnt(0)
	v_perm_b32 v1, v6, v5, s0
	s_waitcnt lgkmcnt(0)
	v_perm_b32 v2, v4, v49, s0
	s_barrier
	ds_write2_b32 v33, v2, v1 offset1:1
	v_perm_b32 v1, v10, v9, s0
	v_perm_b32 v2, v8, v7, s0
	ds_write2_b32 v33, v2, v1 offset0:2 offset1:3
	v_perm_b32 v1, v38, v37, s0
	v_perm_b32 v2, v36, v11, s0
	ds_write2_b32 v33, v2, v1 offset0:4 offset1:5
	;; [unrolled: 3-line block ×4, first 2 shown]
	v_perm_b32 v1, v48, v47, s0
	s_movk_i32 s0, 0xffd6
	v_mad_i32_i24 v2, v0, s0, v33
	ds_write_b32 v33, v1 offset:40
	s_waitcnt lgkmcnt(0)
	s_barrier
	ds_read_u16 v35, v2 offset:512
	ds_read_u16 v34, v2 offset:1024
	;; [unrolled: 1-line block ×21, first 2 shown]
	v_mov_b32_e32 v3, s5
	v_add_co_u32_e32 v2, vcc, s4, v12
	s_add_i32 s33, s33, s66
	v_addc_co_u32_e32 v3, vcc, 0, v3, vcc
	v_mov_b32_e32 v1, 0
	v_cmp_gt_u32_e32 vcc, s33, v0
	s_and_saveexec_b64 s[0:1], vcc
	s_cbranch_execz .LBB995_218
; %bb.217:
	v_mul_i32_i24_e32 v50, 0xffffffd6, v0
	v_add_u32_e32 v33, v33, v50
	ds_read_u16 v33, v33
	s_waitcnt lgkmcnt(0)
	flat_store_short v[2:3], v33
.LBB995_218:
	s_or_b64 exec, exec, s[0:1]
	v_or_b32_e32 v33, 0x100, v0
	v_cmp_gt_u32_e32 vcc, s33, v33
	s_and_saveexec_b64 s[0:1], vcc
	s_cbranch_execz .LBB995_220
; %bb.219:
	s_waitcnt lgkmcnt(0)
	flat_store_short v[2:3], v35 offset:512
.LBB995_220:
	s_or_b64 exec, exec, s[0:1]
	v_or_b32_e32 v33, 0x200, v0
	v_cmp_gt_u32_e32 vcc, s33, v33
	s_and_saveexec_b64 s[0:1], vcc
	s_cbranch_execz .LBB995_222
; %bb.221:
	s_waitcnt lgkmcnt(0)
	flat_store_short v[2:3], v34 offset:1024
.LBB995_222:
	;; [unrolled: 9-line block ×3, first 2 shown]
	s_or_b64 exec, exec, s[0:1]
	s_waitcnt lgkmcnt(0)
	v_or_b32_e32 v32, 0x400, v0
	v_cmp_gt_u32_e32 vcc, s33, v32
	s_and_saveexec_b64 s[0:1], vcc
	s_cbranch_execz .LBB995_226
; %bb.225:
	flat_store_short v[2:3], v31 offset:2048
.LBB995_226:
	s_or_b64 exec, exec, s[0:1]
	v_or_b32_e32 v31, 0x500, v0
	v_cmp_gt_u32_e32 vcc, s33, v31
	s_and_saveexec_b64 s[0:1], vcc
	s_cbranch_execz .LBB995_228
; %bb.227:
	flat_store_short v[2:3], v30 offset:2560
.LBB995_228:
	s_or_b64 exec, exec, s[0:1]
	;; [unrolled: 8-line block ×4, first 2 shown]
	v_or_b32_e32 v28, 0x800, v0
	v_cmp_gt_u32_e32 vcc, s33, v28
	s_and_saveexec_b64 s[0:1], vcc
	s_cbranch_execz .LBB995_234
; %bb.233:
	v_add_co_u32_e32 v28, vcc, 0x1000, v2
	v_addc_co_u32_e32 v29, vcc, 0, v3, vcc
	flat_store_short v[28:29], v27
.LBB995_234:
	s_or_b64 exec, exec, s[0:1]
	v_or_b32_e32 v27, 0x900, v0
	v_cmp_gt_u32_e32 vcc, s33, v27
	s_and_saveexec_b64 s[0:1], vcc
	s_cbranch_execz .LBB995_236
; %bb.235:
	v_add_co_u32_e32 v28, vcc, 0x1000, v2
	v_addc_co_u32_e32 v29, vcc, 0, v3, vcc
	flat_store_short v[28:29], v26 offset:512
.LBB995_236:
	s_or_b64 exec, exec, s[0:1]
	v_or_b32_e32 v26, 0xa00, v0
	v_cmp_gt_u32_e32 vcc, s33, v26
	s_and_saveexec_b64 s[0:1], vcc
	s_cbranch_execz .LBB995_238
; %bb.237:
	v_add_co_u32_e32 v26, vcc, 0x1000, v2
	v_addc_co_u32_e32 v27, vcc, 0, v3, vcc
	flat_store_short v[26:27], v25 offset:1024
.LBB995_238:
	;; [unrolled: 10-line block ×7, first 2 shown]
	s_or_b64 exec, exec, s[0:1]
	v_or_b32_e32 v20, 0x1000, v0
	v_cmp_gt_u32_e32 vcc, s33, v20
	s_and_saveexec_b64 s[0:1], vcc
	s_cbranch_execz .LBB995_250
; %bb.249:
	v_add_co_u32_e32 v20, vcc, 0x2000, v2
	v_addc_co_u32_e32 v21, vcc, 0, v3, vcc
	flat_store_short v[20:21], v19
.LBB995_250:
	s_or_b64 exec, exec, s[0:1]
	v_or_b32_e32 v19, 0x1100, v0
	v_cmp_gt_u32_e32 vcc, s33, v19
	s_and_saveexec_b64 s[0:1], vcc
	s_cbranch_execz .LBB995_252
; %bb.251:
	v_add_co_u32_e32 v20, vcc, 0x2000, v2
	v_addc_co_u32_e32 v21, vcc, 0, v3, vcc
	flat_store_short v[20:21], v18 offset:512
.LBB995_252:
	s_or_b64 exec, exec, s[0:1]
	v_or_b32_e32 v18, 0x1200, v0
	v_cmp_gt_u32_e32 vcc, s33, v18
	s_and_saveexec_b64 s[0:1], vcc
	s_cbranch_execz .LBB995_254
; %bb.253:
	v_add_co_u32_e32 v18, vcc, 0x2000, v2
	v_addc_co_u32_e32 v19, vcc, 0, v3, vcc
	flat_store_short v[18:19], v17 offset:1024
.LBB995_254:
	;; [unrolled: 10-line block ×4, first 2 shown]
	s_or_b64 exec, exec, s[0:1]
	v_or_b32_e32 v2, 0x1500, v0
	v_cmp_gt_u32_e64 s[0:1], s33, v2
	s_branch .LBB995_261
.LBB995_259:
	s_mov_b64 s[0:1], 0
                                        ; implicit-def: $vgpr13
	s_cbranch_execz .LBB995_261
; %bb.260:
	s_mov_b32 s2, 0x5040100
	s_waitcnt lgkmcnt(0)
	v_lshlrev_b32_e32 v2, 1, v14
	s_waitcnt vmcnt(0)
	v_perm_b32 v1, v6, v5, s2
	v_perm_b32 v3, v4, v49, s2
	s_barrier
	ds_write2_b32 v2, v3, v1 offset1:1
	v_perm_b32 v1, v10, v9, s2
	v_perm_b32 v3, v8, v7, s2
	ds_write2_b32 v2, v3, v1 offset0:2 offset1:3
	v_perm_b32 v1, v38, v37, s2
	v_perm_b32 v3, v36, v11, s2
	ds_write2_b32 v2, v3, v1 offset0:4 offset1:5
	;; [unrolled: 3-line block ×4, first 2 shown]
	v_perm_b32 v1, v48, v47, s2
	s_movk_i32 s2, 0xffd6
	ds_write_b32 v2, v1 offset:40
	v_mad_i32_i24 v2, v0, s2, v2
	s_waitcnt lgkmcnt(0)
	s_barrier
	ds_read_u16 v4, v2
	ds_read_u16 v5, v2 offset:512
	ds_read_u16 v6, v2 offset:1024
	;; [unrolled: 1-line block ×21, first 2 shown]
	v_mov_b32_e32 v3, s5
	v_add_co_u32_e32 v2, vcc, s4, v12
	v_addc_co_u32_e32 v3, vcc, 0, v3, vcc
	s_movk_i32 s2, 0x1000
	s_waitcnt lgkmcnt(14)
	flat_store_short v[2:3], v4
	flat_store_short v[2:3], v5 offset:512
	flat_store_short v[2:3], v6 offset:1024
	;; [unrolled: 1-line block ×7, first 2 shown]
	v_add_co_u32_e32 v4, vcc, s2, v2
	v_addc_co_u32_e32 v5, vcc, 0, v3, vcc
	v_add_co_u32_e32 v2, vcc, 0x2000, v2
	v_mov_b32_e32 v1, 0
	v_addc_co_u32_e32 v3, vcc, 0, v3, vcc
	s_or_b64 s[0:1], s[0:1], exec
	s_waitcnt lgkmcnt(0)
	flat_store_short v[4:5], v14
	flat_store_short v[4:5], v15 offset:512
	flat_store_short v[4:5], v16 offset:1024
	;; [unrolled: 1-line block ×7, first 2 shown]
	flat_store_short v[2:3], v22
	flat_store_short v[2:3], v23 offset:512
	flat_store_short v[2:3], v24 offset:1024
	;; [unrolled: 1-line block ×4, first 2 shown]
.LBB995_261:
	s_and_saveexec_b64 s[2:3], s[0:1]
	s_cbranch_execnz .LBB995_263
; %bb.262:
	s_endpgm
.LBB995_263:
	v_lshlrev_b64 v[0:1], 1, v[0:1]
	s_waitcnt lgkmcnt(0)
	v_mov_b32_e32 v2, s5
	v_add_co_u32_e32 v0, vcc, s4, v0
	v_addc_co_u32_e32 v1, vcc, v2, v1, vcc
	v_add_co_u32_e32 v0, vcc, 0x2000, v0
	v_addc_co_u32_e32 v1, vcc, 0, v1, vcc
	flat_store_short v[0:1], v13 offset:2560
	s_endpgm
.LBB995_264:
	global_load_ushort v27, v24, s[72:73]
	s_waitcnt vmcnt(0)
	v_sub_u16_e32 v27, 0, v27
	s_or_b64 exec, exec, s[4:5]
                                        ; implicit-def: $vgpr28
	s_and_saveexec_b64 s[4:5], s[8:9]
	s_cbranch_execz .LBB995_57
.LBB995_265:
	global_load_ushort v28, v24, s[72:73] offset:512
	s_waitcnt vmcnt(0)
	v_sub_u16_e32 v28, 0, v28
	s_or_b64 exec, exec, s[4:5]
                                        ; implicit-def: $vgpr29
	s_and_saveexec_b64 s[4:5], s[10:11]
	s_cbranch_execz .LBB995_58
.LBB995_266:
	global_load_ushort v29, v24, s[72:73] offset:1024
	s_waitcnt vmcnt(0)
	v_sub_u16_e32 v29, 0, v29
	s_or_b64 exec, exec, s[4:5]
                                        ; implicit-def: $vgpr30
	s_and_saveexec_b64 s[4:5], s[12:13]
	s_cbranch_execz .LBB995_59
.LBB995_267:
	global_load_ushort v30, v24, s[72:73] offset:1536
	s_waitcnt vmcnt(0)
	v_sub_u16_e32 v30, 0, v30
	s_or_b64 exec, exec, s[4:5]
                                        ; implicit-def: $vgpr31
	s_and_saveexec_b64 s[4:5], s[14:15]
	s_cbranch_execz .LBB995_60
.LBB995_268:
	global_load_ushort v31, v24, s[72:73] offset:2048
	s_waitcnt vmcnt(0)
	v_sub_u16_e32 v31, 0, v31
	s_or_b64 exec, exec, s[4:5]
                                        ; implicit-def: $vgpr32
	s_and_saveexec_b64 s[4:5], s[16:17]
	s_cbranch_execz .LBB995_61
.LBB995_269:
	global_load_ushort v32, v24, s[72:73] offset:2560
	s_waitcnt vmcnt(0)
	v_sub_u16_e32 v32, 0, v32
	s_or_b64 exec, exec, s[4:5]
                                        ; implicit-def: $vgpr33
	s_and_saveexec_b64 s[4:5], s[18:19]
	s_cbranch_execz .LBB995_62
.LBB995_270:
	global_load_ushort v33, v24, s[72:73] offset:3072
	s_waitcnt vmcnt(0)
	v_sub_u16_e32 v33, 0, v33
	s_or_b64 exec, exec, s[4:5]
                                        ; implicit-def: $vgpr34
	s_and_saveexec_b64 s[4:5], s[20:21]
	s_cbranch_execz .LBB995_63
.LBB995_271:
	global_load_ushort v34, v24, s[72:73] offset:3584
	s_waitcnt vmcnt(0)
	v_sub_u16_e32 v34, 0, v34
	s_or_b64 exec, exec, s[4:5]
                                        ; implicit-def: $vgpr35
	s_and_saveexec_b64 s[4:5], s[22:23]
	s_cbranch_execz .LBB995_64
.LBB995_272:
	global_load_ushort v1, v1, s[72:73]
	s_waitcnt vmcnt(0)
	v_sub_u16_e32 v35, 0, v1
	s_or_b64 exec, exec, s[4:5]
                                        ; implicit-def: $vgpr1
	s_and_saveexec_b64 s[4:5], s[24:25]
	s_cbranch_execz .LBB995_65
.LBB995_273:
	global_load_ushort v1, v2, s[72:73]
	s_waitcnt vmcnt(0)
	v_sub_u16_e32 v1, 0, v1
	s_or_b64 exec, exec, s[4:5]
                                        ; implicit-def: $vgpr2
	s_and_saveexec_b64 s[4:5], s[26:27]
	s_cbranch_execz .LBB995_66
.LBB995_274:
	global_load_ushort v2, v3, s[72:73]
	s_waitcnt vmcnt(0)
	v_sub_u16_e32 v2, 0, v2
	s_or_b64 exec, exec, s[4:5]
                                        ; implicit-def: $vgpr3
	s_and_saveexec_b64 s[4:5], s[28:29]
	s_cbranch_execz .LBB995_67
.LBB995_275:
	global_load_ushort v3, v4, s[72:73]
	s_waitcnt vmcnt(0)
	v_sub_u16_e32 v3, 0, v3
	s_or_b64 exec, exec, s[4:5]
                                        ; implicit-def: $vgpr4
	s_and_saveexec_b64 s[4:5], s[30:31]
	s_cbranch_execz .LBB995_68
.LBB995_276:
	global_load_ushort v4, v16, s[72:73]
	s_waitcnt vmcnt(0)
	v_sub_u16_e32 v4, 0, v4
	s_or_b64 exec, exec, s[4:5]
                                        ; implicit-def: $vgpr16
	s_and_saveexec_b64 s[4:5], s[34:35]
	s_cbranch_execz .LBB995_69
.LBB995_277:
	global_load_ushort v16, v17, s[72:73]
	s_waitcnt vmcnt(0)
	v_sub_u16_e32 v16, 0, v16
	s_or_b64 exec, exec, s[4:5]
                                        ; implicit-def: $vgpr17
	s_and_saveexec_b64 s[4:5], s[36:37]
	s_cbranch_execz .LBB995_70
.LBB995_278:
	global_load_ushort v17, v18, s[72:73]
	s_waitcnt vmcnt(0)
	v_sub_u16_e32 v17, 0, v17
	s_or_b64 exec, exec, s[4:5]
                                        ; implicit-def: $vgpr18
	s_and_saveexec_b64 s[4:5], s[38:39]
	s_cbranch_execz .LBB995_71
.LBB995_279:
	global_load_ushort v18, v19, s[72:73]
	s_waitcnt vmcnt(0)
	v_sub_u16_e32 v18, 0, v18
	s_or_b64 exec, exec, s[4:5]
                                        ; implicit-def: $vgpr19
	s_and_saveexec_b64 s[4:5], s[40:41]
	s_cbranch_execz .LBB995_72
.LBB995_280:
	global_load_ushort v19, v20, s[72:73]
	s_waitcnt vmcnt(0)
	v_sub_u16_e32 v19, 0, v19
	s_or_b64 exec, exec, s[4:5]
                                        ; implicit-def: $vgpr20
	s_and_saveexec_b64 s[4:5], s[42:43]
	s_cbranch_execz .LBB995_73
.LBB995_281:
	global_load_ushort v20, v21, s[72:73]
	s_waitcnt vmcnt(0)
	v_sub_u16_e32 v20, 0, v20
	s_or_b64 exec, exec, s[4:5]
                                        ; implicit-def: $vgpr21
	s_and_saveexec_b64 s[4:5], s[44:45]
	s_cbranch_execz .LBB995_74
.LBB995_282:
	global_load_ushort v21, v22, s[72:73]
	s_waitcnt vmcnt(0)
	v_sub_u16_e32 v21, 0, v21
	s_or_b64 exec, exec, s[4:5]
                                        ; implicit-def: $vgpr22
	s_and_saveexec_b64 s[4:5], s[46:47]
	s_cbranch_execz .LBB995_75
.LBB995_283:
	global_load_ushort v22, v23, s[72:73]
	s_waitcnt vmcnt(0)
	v_sub_u16_e32 v22, 0, v22
	s_or_b64 exec, exec, s[4:5]
                                        ; implicit-def: $vgpr23
	s_and_saveexec_b64 s[4:5], s[48:49]
	s_cbranch_execz .LBB995_76
.LBB995_284:
	global_load_ushort v23, v25, s[72:73]
	s_waitcnt vmcnt(0)
	v_sub_u16_e32 v23, 0, v23
	s_or_b64 exec, exec, s[4:5]
                                        ; implicit-def: $vgpr25
	s_and_saveexec_b64 s[4:5], s[50:51]
	s_cbranch_execnz .LBB995_77
	s_branch .LBB995_78
.LBB995_285:
	v_add_u32_e32 v2, -1, v0
	v_lshrrev_b32_e32 v3, 5, v2
	v_add_lshl_u32 v2, v3, v2, 2
	ds_read_u16 v2, v2
	s_or_b64 exec, exec, s[4:5]
	s_and_saveexec_b64 s[48:49], s[52:53]
	s_cbranch_execz .LBB995_212
.LBB995_286:
	s_mov_b32 s4, 0x10000
	s_waitcnt lgkmcnt(0)
	v_and_b32_e32 v2, 0xffff, v2
	v_cmp_gt_u32_e64 s[4:5], s4, v1
	v_cndmask_b32_e64 v2, 0, v2, s[4:5]
	v_add_u32_e32 v1, v2, v1
	v_cndmask_b32_e32 v2, 0, v1, vcc
	v_add_u16_e32 v4, v2, v16
	v_cndmask_b32_e64 v2, 0, v4, s[6:7]
	v_add_u16_e32 v5, v2, v17
	v_cndmask_b32_e64 v2, 0, v5, s[8:9]
	v_add_u16_e32 v6, v2, v18
	v_cndmask_b32_e64 v2, 0, v6, s[10:11]
	v_add_u16_e32 v7, v2, v19
	v_cndmask_b32_e64 v2, 0, v7, s[12:13]
	v_add_u16_e32 v8, v2, v20
	v_cndmask_b32_e64 v2, 0, v8, s[14:15]
	v_add_u16_e32 v9, v2, v21
	v_cndmask_b32_e64 v2, 0, v9, s[16:17]
	v_add_u16_e32 v10, v2, v22
	v_cndmask_b32_e64 v2, 0, v10, s[18:19]
	v_add_u16_e32 v11, v2, v23
	v_cndmask_b32_e64 v2, 0, v11, s[20:21]
	v_add_u16_e32 v36, v2, v24
	v_cndmask_b32_e64 v2, 0, v36, s[22:23]
	v_add_u16_e32 v37, v2, v25
	v_cndmask_b32_e64 v2, 0, v37, s[24:25]
	v_add_u16_e32 v38, v2, v26
	v_cndmask_b32_e64 v2, 0, v38, s[26:27]
	v_add_u16_e32 v39, v2, v27
	v_cndmask_b32_e64 v2, 0, v39, s[28:29]
	v_add_u16_e32 v40, v2, v28
	v_cndmask_b32_e64 v2, 0, v40, s[30:31]
	v_add_u16_e32 v41, v2, v29
	v_cndmask_b32_e64 v2, 0, v41, s[34:35]
	v_add_u16_e32 v42, v2, v30
	v_cndmask_b32_e64 v2, 0, v42, s[36:37]
	v_add_u16_e32 v43, v2, v31
	v_cndmask_b32_e64 v2, 0, v43, s[38:39]
	v_add_u16_e32 v44, v2, v32
	v_cndmask_b32_e64 v2, 0, v44, s[40:41]
	v_add_u16_e32 v45, v2, v33
	v_cndmask_b32_e64 v2, 0, v45, s[42:43]
	v_add_u16_e32 v46, v2, v34
	v_cndmask_b32_e64 v2, 0, v46, s[44:45]
	v_add_u16_e32 v47, v2, v35
	v_cndmask_b32_e64 v2, 0, v47, s[46:47]
	v_add_u16_e32 v48, v2, v13
	;;#ASMSTART
	;;#ASMEND
	s_or_b64 exec, exec, s[48:49]
	s_and_saveexec_b64 s[4:5], s[0:1]
	s_cbranch_execnz .LBB995_213
	s_branch .LBB995_214
.LBB995_287:
                                        ; implicit-def: $sgpr4_sgpr5
	s_branch .LBB995_52
.LBB995_288:
                                        ; implicit-def: $sgpr4_sgpr5
	s_branch .LBB995_125
	.section	.rodata,"a",@progbits
	.p2align	6, 0x0
	.amdhsa_kernel _ZN7rocprim17ROCPRIM_400000_NS6detail17trampoline_kernelINS0_14default_configENS1_27scan_by_key_config_selectorIssEEZZNS1_16scan_by_key_implILNS1_25lookback_scan_determinismE0ELb0ES3_N6thrust23THRUST_200600_302600_NS6detail15normal_iteratorINS9_10device_ptrIsEEEENS9_18transform_iteratorINS9_6negateIsEESE_NS9_11use_defaultESI_EESE_sNS9_4plusIvEENS9_8equal_toIvEEsEE10hipError_tPvRmT2_T3_T4_T5_mT6_T7_P12ihipStream_tbENKUlT_T0_E_clISt17integral_constantIbLb0EES13_IbLb1EEEEDaSZ_S10_EUlSZ_E_NS1_11comp_targetILNS1_3genE4ELNS1_11target_archE910ELNS1_3gpuE8ELNS1_3repE0EEENS1_30default_config_static_selectorELNS0_4arch9wavefront6targetE1EEEvT1_
		.amdhsa_group_segment_fixed_size 12288
		.amdhsa_private_segment_fixed_size 0
		.amdhsa_kernarg_size 120
		.amdhsa_user_sgpr_count 6
		.amdhsa_user_sgpr_private_segment_buffer 1
		.amdhsa_user_sgpr_dispatch_ptr 0
		.amdhsa_user_sgpr_queue_ptr 0
		.amdhsa_user_sgpr_kernarg_segment_ptr 1
		.amdhsa_user_sgpr_dispatch_id 0
		.amdhsa_user_sgpr_flat_scratch_init 0
		.amdhsa_user_sgpr_kernarg_preload_length 0
		.amdhsa_user_sgpr_kernarg_preload_offset 0
		.amdhsa_user_sgpr_private_segment_size 0
		.amdhsa_uses_dynamic_stack 0
		.amdhsa_system_sgpr_private_segment_wavefront_offset 0
		.amdhsa_system_sgpr_workgroup_id_x 1
		.amdhsa_system_sgpr_workgroup_id_y 0
		.amdhsa_system_sgpr_workgroup_id_z 0
		.amdhsa_system_sgpr_workgroup_info 0
		.amdhsa_system_vgpr_workitem_id 0
		.amdhsa_next_free_vgpr 58
		.amdhsa_next_free_sgpr 82
		.amdhsa_accum_offset 60
		.amdhsa_reserve_vcc 1
		.amdhsa_reserve_flat_scratch 0
		.amdhsa_float_round_mode_32 0
		.amdhsa_float_round_mode_16_64 0
		.amdhsa_float_denorm_mode_32 3
		.amdhsa_float_denorm_mode_16_64 3
		.amdhsa_dx10_clamp 1
		.amdhsa_ieee_mode 1
		.amdhsa_fp16_overflow 0
		.amdhsa_tg_split 0
		.amdhsa_exception_fp_ieee_invalid_op 0
		.amdhsa_exception_fp_denorm_src 0
		.amdhsa_exception_fp_ieee_div_zero 0
		.amdhsa_exception_fp_ieee_overflow 0
		.amdhsa_exception_fp_ieee_underflow 0
		.amdhsa_exception_fp_ieee_inexact 0
		.amdhsa_exception_int_div_zero 0
	.end_amdhsa_kernel
	.section	.text._ZN7rocprim17ROCPRIM_400000_NS6detail17trampoline_kernelINS0_14default_configENS1_27scan_by_key_config_selectorIssEEZZNS1_16scan_by_key_implILNS1_25lookback_scan_determinismE0ELb0ES3_N6thrust23THRUST_200600_302600_NS6detail15normal_iteratorINS9_10device_ptrIsEEEENS9_18transform_iteratorINS9_6negateIsEESE_NS9_11use_defaultESI_EESE_sNS9_4plusIvEENS9_8equal_toIvEEsEE10hipError_tPvRmT2_T3_T4_T5_mT6_T7_P12ihipStream_tbENKUlT_T0_E_clISt17integral_constantIbLb0EES13_IbLb1EEEEDaSZ_S10_EUlSZ_E_NS1_11comp_targetILNS1_3genE4ELNS1_11target_archE910ELNS1_3gpuE8ELNS1_3repE0EEENS1_30default_config_static_selectorELNS0_4arch9wavefront6targetE1EEEvT1_,"axG",@progbits,_ZN7rocprim17ROCPRIM_400000_NS6detail17trampoline_kernelINS0_14default_configENS1_27scan_by_key_config_selectorIssEEZZNS1_16scan_by_key_implILNS1_25lookback_scan_determinismE0ELb0ES3_N6thrust23THRUST_200600_302600_NS6detail15normal_iteratorINS9_10device_ptrIsEEEENS9_18transform_iteratorINS9_6negateIsEESE_NS9_11use_defaultESI_EESE_sNS9_4plusIvEENS9_8equal_toIvEEsEE10hipError_tPvRmT2_T3_T4_T5_mT6_T7_P12ihipStream_tbENKUlT_T0_E_clISt17integral_constantIbLb0EES13_IbLb1EEEEDaSZ_S10_EUlSZ_E_NS1_11comp_targetILNS1_3genE4ELNS1_11target_archE910ELNS1_3gpuE8ELNS1_3repE0EEENS1_30default_config_static_selectorELNS0_4arch9wavefront6targetE1EEEvT1_,comdat
.Lfunc_end995:
	.size	_ZN7rocprim17ROCPRIM_400000_NS6detail17trampoline_kernelINS0_14default_configENS1_27scan_by_key_config_selectorIssEEZZNS1_16scan_by_key_implILNS1_25lookback_scan_determinismE0ELb0ES3_N6thrust23THRUST_200600_302600_NS6detail15normal_iteratorINS9_10device_ptrIsEEEENS9_18transform_iteratorINS9_6negateIsEESE_NS9_11use_defaultESI_EESE_sNS9_4plusIvEENS9_8equal_toIvEEsEE10hipError_tPvRmT2_T3_T4_T5_mT6_T7_P12ihipStream_tbENKUlT_T0_E_clISt17integral_constantIbLb0EES13_IbLb1EEEEDaSZ_S10_EUlSZ_E_NS1_11comp_targetILNS1_3genE4ELNS1_11target_archE910ELNS1_3gpuE8ELNS1_3repE0EEENS1_30default_config_static_selectorELNS0_4arch9wavefront6targetE1EEEvT1_, .Lfunc_end995-_ZN7rocprim17ROCPRIM_400000_NS6detail17trampoline_kernelINS0_14default_configENS1_27scan_by_key_config_selectorIssEEZZNS1_16scan_by_key_implILNS1_25lookback_scan_determinismE0ELb0ES3_N6thrust23THRUST_200600_302600_NS6detail15normal_iteratorINS9_10device_ptrIsEEEENS9_18transform_iteratorINS9_6negateIsEESE_NS9_11use_defaultESI_EESE_sNS9_4plusIvEENS9_8equal_toIvEEsEE10hipError_tPvRmT2_T3_T4_T5_mT6_T7_P12ihipStream_tbENKUlT_T0_E_clISt17integral_constantIbLb0EES13_IbLb1EEEEDaSZ_S10_EUlSZ_E_NS1_11comp_targetILNS1_3genE4ELNS1_11target_archE910ELNS1_3gpuE8ELNS1_3repE0EEENS1_30default_config_static_selectorELNS0_4arch9wavefront6targetE1EEEvT1_
                                        ; -- End function
	.section	.AMDGPU.csdata,"",@progbits
; Kernel info:
; codeLenInByte = 15640
; NumSgprs: 86
; NumVgprs: 58
; NumAgprs: 0
; TotalNumVgprs: 58
; ScratchSize: 0
; MemoryBound: 0
; FloatMode: 240
; IeeeMode: 1
; LDSByteSize: 12288 bytes/workgroup (compile time only)
; SGPRBlocks: 10
; VGPRBlocks: 7
; NumSGPRsForWavesPerEU: 86
; NumVGPRsForWavesPerEU: 58
; AccumOffset: 60
; Occupancy: 5
; WaveLimiterHint : 1
; COMPUTE_PGM_RSRC2:SCRATCH_EN: 0
; COMPUTE_PGM_RSRC2:USER_SGPR: 6
; COMPUTE_PGM_RSRC2:TRAP_HANDLER: 0
; COMPUTE_PGM_RSRC2:TGID_X_EN: 1
; COMPUTE_PGM_RSRC2:TGID_Y_EN: 0
; COMPUTE_PGM_RSRC2:TGID_Z_EN: 0
; COMPUTE_PGM_RSRC2:TIDIG_COMP_CNT: 0
; COMPUTE_PGM_RSRC3_GFX90A:ACCUM_OFFSET: 14
; COMPUTE_PGM_RSRC3_GFX90A:TG_SPLIT: 0
	.section	.text._ZN7rocprim17ROCPRIM_400000_NS6detail17trampoline_kernelINS0_14default_configENS1_27scan_by_key_config_selectorIssEEZZNS1_16scan_by_key_implILNS1_25lookback_scan_determinismE0ELb0ES3_N6thrust23THRUST_200600_302600_NS6detail15normal_iteratorINS9_10device_ptrIsEEEENS9_18transform_iteratorINS9_6negateIsEESE_NS9_11use_defaultESI_EESE_sNS9_4plusIvEENS9_8equal_toIvEEsEE10hipError_tPvRmT2_T3_T4_T5_mT6_T7_P12ihipStream_tbENKUlT_T0_E_clISt17integral_constantIbLb0EES13_IbLb1EEEEDaSZ_S10_EUlSZ_E_NS1_11comp_targetILNS1_3genE3ELNS1_11target_archE908ELNS1_3gpuE7ELNS1_3repE0EEENS1_30default_config_static_selectorELNS0_4arch9wavefront6targetE1EEEvT1_,"axG",@progbits,_ZN7rocprim17ROCPRIM_400000_NS6detail17trampoline_kernelINS0_14default_configENS1_27scan_by_key_config_selectorIssEEZZNS1_16scan_by_key_implILNS1_25lookback_scan_determinismE0ELb0ES3_N6thrust23THRUST_200600_302600_NS6detail15normal_iteratorINS9_10device_ptrIsEEEENS9_18transform_iteratorINS9_6negateIsEESE_NS9_11use_defaultESI_EESE_sNS9_4plusIvEENS9_8equal_toIvEEsEE10hipError_tPvRmT2_T3_T4_T5_mT6_T7_P12ihipStream_tbENKUlT_T0_E_clISt17integral_constantIbLb0EES13_IbLb1EEEEDaSZ_S10_EUlSZ_E_NS1_11comp_targetILNS1_3genE3ELNS1_11target_archE908ELNS1_3gpuE7ELNS1_3repE0EEENS1_30default_config_static_selectorELNS0_4arch9wavefront6targetE1EEEvT1_,comdat
	.protected	_ZN7rocprim17ROCPRIM_400000_NS6detail17trampoline_kernelINS0_14default_configENS1_27scan_by_key_config_selectorIssEEZZNS1_16scan_by_key_implILNS1_25lookback_scan_determinismE0ELb0ES3_N6thrust23THRUST_200600_302600_NS6detail15normal_iteratorINS9_10device_ptrIsEEEENS9_18transform_iteratorINS9_6negateIsEESE_NS9_11use_defaultESI_EESE_sNS9_4plusIvEENS9_8equal_toIvEEsEE10hipError_tPvRmT2_T3_T4_T5_mT6_T7_P12ihipStream_tbENKUlT_T0_E_clISt17integral_constantIbLb0EES13_IbLb1EEEEDaSZ_S10_EUlSZ_E_NS1_11comp_targetILNS1_3genE3ELNS1_11target_archE908ELNS1_3gpuE7ELNS1_3repE0EEENS1_30default_config_static_selectorELNS0_4arch9wavefront6targetE1EEEvT1_ ; -- Begin function _ZN7rocprim17ROCPRIM_400000_NS6detail17trampoline_kernelINS0_14default_configENS1_27scan_by_key_config_selectorIssEEZZNS1_16scan_by_key_implILNS1_25lookback_scan_determinismE0ELb0ES3_N6thrust23THRUST_200600_302600_NS6detail15normal_iteratorINS9_10device_ptrIsEEEENS9_18transform_iteratorINS9_6negateIsEESE_NS9_11use_defaultESI_EESE_sNS9_4plusIvEENS9_8equal_toIvEEsEE10hipError_tPvRmT2_T3_T4_T5_mT6_T7_P12ihipStream_tbENKUlT_T0_E_clISt17integral_constantIbLb0EES13_IbLb1EEEEDaSZ_S10_EUlSZ_E_NS1_11comp_targetILNS1_3genE3ELNS1_11target_archE908ELNS1_3gpuE7ELNS1_3repE0EEENS1_30default_config_static_selectorELNS0_4arch9wavefront6targetE1EEEvT1_
	.globl	_ZN7rocprim17ROCPRIM_400000_NS6detail17trampoline_kernelINS0_14default_configENS1_27scan_by_key_config_selectorIssEEZZNS1_16scan_by_key_implILNS1_25lookback_scan_determinismE0ELb0ES3_N6thrust23THRUST_200600_302600_NS6detail15normal_iteratorINS9_10device_ptrIsEEEENS9_18transform_iteratorINS9_6negateIsEESE_NS9_11use_defaultESI_EESE_sNS9_4plusIvEENS9_8equal_toIvEEsEE10hipError_tPvRmT2_T3_T4_T5_mT6_T7_P12ihipStream_tbENKUlT_T0_E_clISt17integral_constantIbLb0EES13_IbLb1EEEEDaSZ_S10_EUlSZ_E_NS1_11comp_targetILNS1_3genE3ELNS1_11target_archE908ELNS1_3gpuE7ELNS1_3repE0EEENS1_30default_config_static_selectorELNS0_4arch9wavefront6targetE1EEEvT1_
	.p2align	8
	.type	_ZN7rocprim17ROCPRIM_400000_NS6detail17trampoline_kernelINS0_14default_configENS1_27scan_by_key_config_selectorIssEEZZNS1_16scan_by_key_implILNS1_25lookback_scan_determinismE0ELb0ES3_N6thrust23THRUST_200600_302600_NS6detail15normal_iteratorINS9_10device_ptrIsEEEENS9_18transform_iteratorINS9_6negateIsEESE_NS9_11use_defaultESI_EESE_sNS9_4plusIvEENS9_8equal_toIvEEsEE10hipError_tPvRmT2_T3_T4_T5_mT6_T7_P12ihipStream_tbENKUlT_T0_E_clISt17integral_constantIbLb0EES13_IbLb1EEEEDaSZ_S10_EUlSZ_E_NS1_11comp_targetILNS1_3genE3ELNS1_11target_archE908ELNS1_3gpuE7ELNS1_3repE0EEENS1_30default_config_static_selectorELNS0_4arch9wavefront6targetE1EEEvT1_,@function
_ZN7rocprim17ROCPRIM_400000_NS6detail17trampoline_kernelINS0_14default_configENS1_27scan_by_key_config_selectorIssEEZZNS1_16scan_by_key_implILNS1_25lookback_scan_determinismE0ELb0ES3_N6thrust23THRUST_200600_302600_NS6detail15normal_iteratorINS9_10device_ptrIsEEEENS9_18transform_iteratorINS9_6negateIsEESE_NS9_11use_defaultESI_EESE_sNS9_4plusIvEENS9_8equal_toIvEEsEE10hipError_tPvRmT2_T3_T4_T5_mT6_T7_P12ihipStream_tbENKUlT_T0_E_clISt17integral_constantIbLb0EES13_IbLb1EEEEDaSZ_S10_EUlSZ_E_NS1_11comp_targetILNS1_3genE3ELNS1_11target_archE908ELNS1_3gpuE7ELNS1_3repE0EEENS1_30default_config_static_selectorELNS0_4arch9wavefront6targetE1EEEvT1_: ; @_ZN7rocprim17ROCPRIM_400000_NS6detail17trampoline_kernelINS0_14default_configENS1_27scan_by_key_config_selectorIssEEZZNS1_16scan_by_key_implILNS1_25lookback_scan_determinismE0ELb0ES3_N6thrust23THRUST_200600_302600_NS6detail15normal_iteratorINS9_10device_ptrIsEEEENS9_18transform_iteratorINS9_6negateIsEESE_NS9_11use_defaultESI_EESE_sNS9_4plusIvEENS9_8equal_toIvEEsEE10hipError_tPvRmT2_T3_T4_T5_mT6_T7_P12ihipStream_tbENKUlT_T0_E_clISt17integral_constantIbLb0EES13_IbLb1EEEEDaSZ_S10_EUlSZ_E_NS1_11comp_targetILNS1_3genE3ELNS1_11target_archE908ELNS1_3gpuE7ELNS1_3repE0EEENS1_30default_config_static_selectorELNS0_4arch9wavefront6targetE1EEEvT1_
; %bb.0:
	.section	.rodata,"a",@progbits
	.p2align	6, 0x0
	.amdhsa_kernel _ZN7rocprim17ROCPRIM_400000_NS6detail17trampoline_kernelINS0_14default_configENS1_27scan_by_key_config_selectorIssEEZZNS1_16scan_by_key_implILNS1_25lookback_scan_determinismE0ELb0ES3_N6thrust23THRUST_200600_302600_NS6detail15normal_iteratorINS9_10device_ptrIsEEEENS9_18transform_iteratorINS9_6negateIsEESE_NS9_11use_defaultESI_EESE_sNS9_4plusIvEENS9_8equal_toIvEEsEE10hipError_tPvRmT2_T3_T4_T5_mT6_T7_P12ihipStream_tbENKUlT_T0_E_clISt17integral_constantIbLb0EES13_IbLb1EEEEDaSZ_S10_EUlSZ_E_NS1_11comp_targetILNS1_3genE3ELNS1_11target_archE908ELNS1_3gpuE7ELNS1_3repE0EEENS1_30default_config_static_selectorELNS0_4arch9wavefront6targetE1EEEvT1_
		.amdhsa_group_segment_fixed_size 0
		.amdhsa_private_segment_fixed_size 0
		.amdhsa_kernarg_size 120
		.amdhsa_user_sgpr_count 6
		.amdhsa_user_sgpr_private_segment_buffer 1
		.amdhsa_user_sgpr_dispatch_ptr 0
		.amdhsa_user_sgpr_queue_ptr 0
		.amdhsa_user_sgpr_kernarg_segment_ptr 1
		.amdhsa_user_sgpr_dispatch_id 0
		.amdhsa_user_sgpr_flat_scratch_init 0
		.amdhsa_user_sgpr_kernarg_preload_length 0
		.amdhsa_user_sgpr_kernarg_preload_offset 0
		.amdhsa_user_sgpr_private_segment_size 0
		.amdhsa_uses_dynamic_stack 0
		.amdhsa_system_sgpr_private_segment_wavefront_offset 0
		.amdhsa_system_sgpr_workgroup_id_x 1
		.amdhsa_system_sgpr_workgroup_id_y 0
		.amdhsa_system_sgpr_workgroup_id_z 0
		.amdhsa_system_sgpr_workgroup_info 0
		.amdhsa_system_vgpr_workitem_id 0
		.amdhsa_next_free_vgpr 1
		.amdhsa_next_free_sgpr 0
		.amdhsa_accum_offset 4
		.amdhsa_reserve_vcc 0
		.amdhsa_reserve_flat_scratch 0
		.amdhsa_float_round_mode_32 0
		.amdhsa_float_round_mode_16_64 0
		.amdhsa_float_denorm_mode_32 3
		.amdhsa_float_denorm_mode_16_64 3
		.amdhsa_dx10_clamp 1
		.amdhsa_ieee_mode 1
		.amdhsa_fp16_overflow 0
		.amdhsa_tg_split 0
		.amdhsa_exception_fp_ieee_invalid_op 0
		.amdhsa_exception_fp_denorm_src 0
		.amdhsa_exception_fp_ieee_div_zero 0
		.amdhsa_exception_fp_ieee_overflow 0
		.amdhsa_exception_fp_ieee_underflow 0
		.amdhsa_exception_fp_ieee_inexact 0
		.amdhsa_exception_int_div_zero 0
	.end_amdhsa_kernel
	.section	.text._ZN7rocprim17ROCPRIM_400000_NS6detail17trampoline_kernelINS0_14default_configENS1_27scan_by_key_config_selectorIssEEZZNS1_16scan_by_key_implILNS1_25lookback_scan_determinismE0ELb0ES3_N6thrust23THRUST_200600_302600_NS6detail15normal_iteratorINS9_10device_ptrIsEEEENS9_18transform_iteratorINS9_6negateIsEESE_NS9_11use_defaultESI_EESE_sNS9_4plusIvEENS9_8equal_toIvEEsEE10hipError_tPvRmT2_T3_T4_T5_mT6_T7_P12ihipStream_tbENKUlT_T0_E_clISt17integral_constantIbLb0EES13_IbLb1EEEEDaSZ_S10_EUlSZ_E_NS1_11comp_targetILNS1_3genE3ELNS1_11target_archE908ELNS1_3gpuE7ELNS1_3repE0EEENS1_30default_config_static_selectorELNS0_4arch9wavefront6targetE1EEEvT1_,"axG",@progbits,_ZN7rocprim17ROCPRIM_400000_NS6detail17trampoline_kernelINS0_14default_configENS1_27scan_by_key_config_selectorIssEEZZNS1_16scan_by_key_implILNS1_25lookback_scan_determinismE0ELb0ES3_N6thrust23THRUST_200600_302600_NS6detail15normal_iteratorINS9_10device_ptrIsEEEENS9_18transform_iteratorINS9_6negateIsEESE_NS9_11use_defaultESI_EESE_sNS9_4plusIvEENS9_8equal_toIvEEsEE10hipError_tPvRmT2_T3_T4_T5_mT6_T7_P12ihipStream_tbENKUlT_T0_E_clISt17integral_constantIbLb0EES13_IbLb1EEEEDaSZ_S10_EUlSZ_E_NS1_11comp_targetILNS1_3genE3ELNS1_11target_archE908ELNS1_3gpuE7ELNS1_3repE0EEENS1_30default_config_static_selectorELNS0_4arch9wavefront6targetE1EEEvT1_,comdat
.Lfunc_end996:
	.size	_ZN7rocprim17ROCPRIM_400000_NS6detail17trampoline_kernelINS0_14default_configENS1_27scan_by_key_config_selectorIssEEZZNS1_16scan_by_key_implILNS1_25lookback_scan_determinismE0ELb0ES3_N6thrust23THRUST_200600_302600_NS6detail15normal_iteratorINS9_10device_ptrIsEEEENS9_18transform_iteratorINS9_6negateIsEESE_NS9_11use_defaultESI_EESE_sNS9_4plusIvEENS9_8equal_toIvEEsEE10hipError_tPvRmT2_T3_T4_T5_mT6_T7_P12ihipStream_tbENKUlT_T0_E_clISt17integral_constantIbLb0EES13_IbLb1EEEEDaSZ_S10_EUlSZ_E_NS1_11comp_targetILNS1_3genE3ELNS1_11target_archE908ELNS1_3gpuE7ELNS1_3repE0EEENS1_30default_config_static_selectorELNS0_4arch9wavefront6targetE1EEEvT1_, .Lfunc_end996-_ZN7rocprim17ROCPRIM_400000_NS6detail17trampoline_kernelINS0_14default_configENS1_27scan_by_key_config_selectorIssEEZZNS1_16scan_by_key_implILNS1_25lookback_scan_determinismE0ELb0ES3_N6thrust23THRUST_200600_302600_NS6detail15normal_iteratorINS9_10device_ptrIsEEEENS9_18transform_iteratorINS9_6negateIsEESE_NS9_11use_defaultESI_EESE_sNS9_4plusIvEENS9_8equal_toIvEEsEE10hipError_tPvRmT2_T3_T4_T5_mT6_T7_P12ihipStream_tbENKUlT_T0_E_clISt17integral_constantIbLb0EES13_IbLb1EEEEDaSZ_S10_EUlSZ_E_NS1_11comp_targetILNS1_3genE3ELNS1_11target_archE908ELNS1_3gpuE7ELNS1_3repE0EEENS1_30default_config_static_selectorELNS0_4arch9wavefront6targetE1EEEvT1_
                                        ; -- End function
	.section	.AMDGPU.csdata,"",@progbits
; Kernel info:
; codeLenInByte = 0
; NumSgprs: 4
; NumVgprs: 0
; NumAgprs: 0
; TotalNumVgprs: 0
; ScratchSize: 0
; MemoryBound: 0
; FloatMode: 240
; IeeeMode: 1
; LDSByteSize: 0 bytes/workgroup (compile time only)
; SGPRBlocks: 0
; VGPRBlocks: 0
; NumSGPRsForWavesPerEU: 4
; NumVGPRsForWavesPerEU: 1
; AccumOffset: 4
; Occupancy: 8
; WaveLimiterHint : 0
; COMPUTE_PGM_RSRC2:SCRATCH_EN: 0
; COMPUTE_PGM_RSRC2:USER_SGPR: 6
; COMPUTE_PGM_RSRC2:TRAP_HANDLER: 0
; COMPUTE_PGM_RSRC2:TGID_X_EN: 1
; COMPUTE_PGM_RSRC2:TGID_Y_EN: 0
; COMPUTE_PGM_RSRC2:TGID_Z_EN: 0
; COMPUTE_PGM_RSRC2:TIDIG_COMP_CNT: 0
; COMPUTE_PGM_RSRC3_GFX90A:ACCUM_OFFSET: 0
; COMPUTE_PGM_RSRC3_GFX90A:TG_SPLIT: 0
	.section	.text._ZN7rocprim17ROCPRIM_400000_NS6detail17trampoline_kernelINS0_14default_configENS1_27scan_by_key_config_selectorIssEEZZNS1_16scan_by_key_implILNS1_25lookback_scan_determinismE0ELb0ES3_N6thrust23THRUST_200600_302600_NS6detail15normal_iteratorINS9_10device_ptrIsEEEENS9_18transform_iteratorINS9_6negateIsEESE_NS9_11use_defaultESI_EESE_sNS9_4plusIvEENS9_8equal_toIvEEsEE10hipError_tPvRmT2_T3_T4_T5_mT6_T7_P12ihipStream_tbENKUlT_T0_E_clISt17integral_constantIbLb0EES13_IbLb1EEEEDaSZ_S10_EUlSZ_E_NS1_11comp_targetILNS1_3genE2ELNS1_11target_archE906ELNS1_3gpuE6ELNS1_3repE0EEENS1_30default_config_static_selectorELNS0_4arch9wavefront6targetE1EEEvT1_,"axG",@progbits,_ZN7rocprim17ROCPRIM_400000_NS6detail17trampoline_kernelINS0_14default_configENS1_27scan_by_key_config_selectorIssEEZZNS1_16scan_by_key_implILNS1_25lookback_scan_determinismE0ELb0ES3_N6thrust23THRUST_200600_302600_NS6detail15normal_iteratorINS9_10device_ptrIsEEEENS9_18transform_iteratorINS9_6negateIsEESE_NS9_11use_defaultESI_EESE_sNS9_4plusIvEENS9_8equal_toIvEEsEE10hipError_tPvRmT2_T3_T4_T5_mT6_T7_P12ihipStream_tbENKUlT_T0_E_clISt17integral_constantIbLb0EES13_IbLb1EEEEDaSZ_S10_EUlSZ_E_NS1_11comp_targetILNS1_3genE2ELNS1_11target_archE906ELNS1_3gpuE6ELNS1_3repE0EEENS1_30default_config_static_selectorELNS0_4arch9wavefront6targetE1EEEvT1_,comdat
	.protected	_ZN7rocprim17ROCPRIM_400000_NS6detail17trampoline_kernelINS0_14default_configENS1_27scan_by_key_config_selectorIssEEZZNS1_16scan_by_key_implILNS1_25lookback_scan_determinismE0ELb0ES3_N6thrust23THRUST_200600_302600_NS6detail15normal_iteratorINS9_10device_ptrIsEEEENS9_18transform_iteratorINS9_6negateIsEESE_NS9_11use_defaultESI_EESE_sNS9_4plusIvEENS9_8equal_toIvEEsEE10hipError_tPvRmT2_T3_T4_T5_mT6_T7_P12ihipStream_tbENKUlT_T0_E_clISt17integral_constantIbLb0EES13_IbLb1EEEEDaSZ_S10_EUlSZ_E_NS1_11comp_targetILNS1_3genE2ELNS1_11target_archE906ELNS1_3gpuE6ELNS1_3repE0EEENS1_30default_config_static_selectorELNS0_4arch9wavefront6targetE1EEEvT1_ ; -- Begin function _ZN7rocprim17ROCPRIM_400000_NS6detail17trampoline_kernelINS0_14default_configENS1_27scan_by_key_config_selectorIssEEZZNS1_16scan_by_key_implILNS1_25lookback_scan_determinismE0ELb0ES3_N6thrust23THRUST_200600_302600_NS6detail15normal_iteratorINS9_10device_ptrIsEEEENS9_18transform_iteratorINS9_6negateIsEESE_NS9_11use_defaultESI_EESE_sNS9_4plusIvEENS9_8equal_toIvEEsEE10hipError_tPvRmT2_T3_T4_T5_mT6_T7_P12ihipStream_tbENKUlT_T0_E_clISt17integral_constantIbLb0EES13_IbLb1EEEEDaSZ_S10_EUlSZ_E_NS1_11comp_targetILNS1_3genE2ELNS1_11target_archE906ELNS1_3gpuE6ELNS1_3repE0EEENS1_30default_config_static_selectorELNS0_4arch9wavefront6targetE1EEEvT1_
	.globl	_ZN7rocprim17ROCPRIM_400000_NS6detail17trampoline_kernelINS0_14default_configENS1_27scan_by_key_config_selectorIssEEZZNS1_16scan_by_key_implILNS1_25lookback_scan_determinismE0ELb0ES3_N6thrust23THRUST_200600_302600_NS6detail15normal_iteratorINS9_10device_ptrIsEEEENS9_18transform_iteratorINS9_6negateIsEESE_NS9_11use_defaultESI_EESE_sNS9_4plusIvEENS9_8equal_toIvEEsEE10hipError_tPvRmT2_T3_T4_T5_mT6_T7_P12ihipStream_tbENKUlT_T0_E_clISt17integral_constantIbLb0EES13_IbLb1EEEEDaSZ_S10_EUlSZ_E_NS1_11comp_targetILNS1_3genE2ELNS1_11target_archE906ELNS1_3gpuE6ELNS1_3repE0EEENS1_30default_config_static_selectorELNS0_4arch9wavefront6targetE1EEEvT1_
	.p2align	8
	.type	_ZN7rocprim17ROCPRIM_400000_NS6detail17trampoline_kernelINS0_14default_configENS1_27scan_by_key_config_selectorIssEEZZNS1_16scan_by_key_implILNS1_25lookback_scan_determinismE0ELb0ES3_N6thrust23THRUST_200600_302600_NS6detail15normal_iteratorINS9_10device_ptrIsEEEENS9_18transform_iteratorINS9_6negateIsEESE_NS9_11use_defaultESI_EESE_sNS9_4plusIvEENS9_8equal_toIvEEsEE10hipError_tPvRmT2_T3_T4_T5_mT6_T7_P12ihipStream_tbENKUlT_T0_E_clISt17integral_constantIbLb0EES13_IbLb1EEEEDaSZ_S10_EUlSZ_E_NS1_11comp_targetILNS1_3genE2ELNS1_11target_archE906ELNS1_3gpuE6ELNS1_3repE0EEENS1_30default_config_static_selectorELNS0_4arch9wavefront6targetE1EEEvT1_,@function
_ZN7rocprim17ROCPRIM_400000_NS6detail17trampoline_kernelINS0_14default_configENS1_27scan_by_key_config_selectorIssEEZZNS1_16scan_by_key_implILNS1_25lookback_scan_determinismE0ELb0ES3_N6thrust23THRUST_200600_302600_NS6detail15normal_iteratorINS9_10device_ptrIsEEEENS9_18transform_iteratorINS9_6negateIsEESE_NS9_11use_defaultESI_EESE_sNS9_4plusIvEENS9_8equal_toIvEEsEE10hipError_tPvRmT2_T3_T4_T5_mT6_T7_P12ihipStream_tbENKUlT_T0_E_clISt17integral_constantIbLb0EES13_IbLb1EEEEDaSZ_S10_EUlSZ_E_NS1_11comp_targetILNS1_3genE2ELNS1_11target_archE906ELNS1_3gpuE6ELNS1_3repE0EEENS1_30default_config_static_selectorELNS0_4arch9wavefront6targetE1EEEvT1_: ; @_ZN7rocprim17ROCPRIM_400000_NS6detail17trampoline_kernelINS0_14default_configENS1_27scan_by_key_config_selectorIssEEZZNS1_16scan_by_key_implILNS1_25lookback_scan_determinismE0ELb0ES3_N6thrust23THRUST_200600_302600_NS6detail15normal_iteratorINS9_10device_ptrIsEEEENS9_18transform_iteratorINS9_6negateIsEESE_NS9_11use_defaultESI_EESE_sNS9_4plusIvEENS9_8equal_toIvEEsEE10hipError_tPvRmT2_T3_T4_T5_mT6_T7_P12ihipStream_tbENKUlT_T0_E_clISt17integral_constantIbLb0EES13_IbLb1EEEEDaSZ_S10_EUlSZ_E_NS1_11comp_targetILNS1_3genE2ELNS1_11target_archE906ELNS1_3gpuE6ELNS1_3repE0EEENS1_30default_config_static_selectorELNS0_4arch9wavefront6targetE1EEEvT1_
; %bb.0:
	.section	.rodata,"a",@progbits
	.p2align	6, 0x0
	.amdhsa_kernel _ZN7rocprim17ROCPRIM_400000_NS6detail17trampoline_kernelINS0_14default_configENS1_27scan_by_key_config_selectorIssEEZZNS1_16scan_by_key_implILNS1_25lookback_scan_determinismE0ELb0ES3_N6thrust23THRUST_200600_302600_NS6detail15normal_iteratorINS9_10device_ptrIsEEEENS9_18transform_iteratorINS9_6negateIsEESE_NS9_11use_defaultESI_EESE_sNS9_4plusIvEENS9_8equal_toIvEEsEE10hipError_tPvRmT2_T3_T4_T5_mT6_T7_P12ihipStream_tbENKUlT_T0_E_clISt17integral_constantIbLb0EES13_IbLb1EEEEDaSZ_S10_EUlSZ_E_NS1_11comp_targetILNS1_3genE2ELNS1_11target_archE906ELNS1_3gpuE6ELNS1_3repE0EEENS1_30default_config_static_selectorELNS0_4arch9wavefront6targetE1EEEvT1_
		.amdhsa_group_segment_fixed_size 0
		.amdhsa_private_segment_fixed_size 0
		.amdhsa_kernarg_size 120
		.amdhsa_user_sgpr_count 6
		.amdhsa_user_sgpr_private_segment_buffer 1
		.amdhsa_user_sgpr_dispatch_ptr 0
		.amdhsa_user_sgpr_queue_ptr 0
		.amdhsa_user_sgpr_kernarg_segment_ptr 1
		.amdhsa_user_sgpr_dispatch_id 0
		.amdhsa_user_sgpr_flat_scratch_init 0
		.amdhsa_user_sgpr_kernarg_preload_length 0
		.amdhsa_user_sgpr_kernarg_preload_offset 0
		.amdhsa_user_sgpr_private_segment_size 0
		.amdhsa_uses_dynamic_stack 0
		.amdhsa_system_sgpr_private_segment_wavefront_offset 0
		.amdhsa_system_sgpr_workgroup_id_x 1
		.amdhsa_system_sgpr_workgroup_id_y 0
		.amdhsa_system_sgpr_workgroup_id_z 0
		.amdhsa_system_sgpr_workgroup_info 0
		.amdhsa_system_vgpr_workitem_id 0
		.amdhsa_next_free_vgpr 1
		.amdhsa_next_free_sgpr 0
		.amdhsa_accum_offset 4
		.amdhsa_reserve_vcc 0
		.amdhsa_reserve_flat_scratch 0
		.amdhsa_float_round_mode_32 0
		.amdhsa_float_round_mode_16_64 0
		.amdhsa_float_denorm_mode_32 3
		.amdhsa_float_denorm_mode_16_64 3
		.amdhsa_dx10_clamp 1
		.amdhsa_ieee_mode 1
		.amdhsa_fp16_overflow 0
		.amdhsa_tg_split 0
		.amdhsa_exception_fp_ieee_invalid_op 0
		.amdhsa_exception_fp_denorm_src 0
		.amdhsa_exception_fp_ieee_div_zero 0
		.amdhsa_exception_fp_ieee_overflow 0
		.amdhsa_exception_fp_ieee_underflow 0
		.amdhsa_exception_fp_ieee_inexact 0
		.amdhsa_exception_int_div_zero 0
	.end_amdhsa_kernel
	.section	.text._ZN7rocprim17ROCPRIM_400000_NS6detail17trampoline_kernelINS0_14default_configENS1_27scan_by_key_config_selectorIssEEZZNS1_16scan_by_key_implILNS1_25lookback_scan_determinismE0ELb0ES3_N6thrust23THRUST_200600_302600_NS6detail15normal_iteratorINS9_10device_ptrIsEEEENS9_18transform_iteratorINS9_6negateIsEESE_NS9_11use_defaultESI_EESE_sNS9_4plusIvEENS9_8equal_toIvEEsEE10hipError_tPvRmT2_T3_T4_T5_mT6_T7_P12ihipStream_tbENKUlT_T0_E_clISt17integral_constantIbLb0EES13_IbLb1EEEEDaSZ_S10_EUlSZ_E_NS1_11comp_targetILNS1_3genE2ELNS1_11target_archE906ELNS1_3gpuE6ELNS1_3repE0EEENS1_30default_config_static_selectorELNS0_4arch9wavefront6targetE1EEEvT1_,"axG",@progbits,_ZN7rocprim17ROCPRIM_400000_NS6detail17trampoline_kernelINS0_14default_configENS1_27scan_by_key_config_selectorIssEEZZNS1_16scan_by_key_implILNS1_25lookback_scan_determinismE0ELb0ES3_N6thrust23THRUST_200600_302600_NS6detail15normal_iteratorINS9_10device_ptrIsEEEENS9_18transform_iteratorINS9_6negateIsEESE_NS9_11use_defaultESI_EESE_sNS9_4plusIvEENS9_8equal_toIvEEsEE10hipError_tPvRmT2_T3_T4_T5_mT6_T7_P12ihipStream_tbENKUlT_T0_E_clISt17integral_constantIbLb0EES13_IbLb1EEEEDaSZ_S10_EUlSZ_E_NS1_11comp_targetILNS1_3genE2ELNS1_11target_archE906ELNS1_3gpuE6ELNS1_3repE0EEENS1_30default_config_static_selectorELNS0_4arch9wavefront6targetE1EEEvT1_,comdat
.Lfunc_end997:
	.size	_ZN7rocprim17ROCPRIM_400000_NS6detail17trampoline_kernelINS0_14default_configENS1_27scan_by_key_config_selectorIssEEZZNS1_16scan_by_key_implILNS1_25lookback_scan_determinismE0ELb0ES3_N6thrust23THRUST_200600_302600_NS6detail15normal_iteratorINS9_10device_ptrIsEEEENS9_18transform_iteratorINS9_6negateIsEESE_NS9_11use_defaultESI_EESE_sNS9_4plusIvEENS9_8equal_toIvEEsEE10hipError_tPvRmT2_T3_T4_T5_mT6_T7_P12ihipStream_tbENKUlT_T0_E_clISt17integral_constantIbLb0EES13_IbLb1EEEEDaSZ_S10_EUlSZ_E_NS1_11comp_targetILNS1_3genE2ELNS1_11target_archE906ELNS1_3gpuE6ELNS1_3repE0EEENS1_30default_config_static_selectorELNS0_4arch9wavefront6targetE1EEEvT1_, .Lfunc_end997-_ZN7rocprim17ROCPRIM_400000_NS6detail17trampoline_kernelINS0_14default_configENS1_27scan_by_key_config_selectorIssEEZZNS1_16scan_by_key_implILNS1_25lookback_scan_determinismE0ELb0ES3_N6thrust23THRUST_200600_302600_NS6detail15normal_iteratorINS9_10device_ptrIsEEEENS9_18transform_iteratorINS9_6negateIsEESE_NS9_11use_defaultESI_EESE_sNS9_4plusIvEENS9_8equal_toIvEEsEE10hipError_tPvRmT2_T3_T4_T5_mT6_T7_P12ihipStream_tbENKUlT_T0_E_clISt17integral_constantIbLb0EES13_IbLb1EEEEDaSZ_S10_EUlSZ_E_NS1_11comp_targetILNS1_3genE2ELNS1_11target_archE906ELNS1_3gpuE6ELNS1_3repE0EEENS1_30default_config_static_selectorELNS0_4arch9wavefront6targetE1EEEvT1_
                                        ; -- End function
	.section	.AMDGPU.csdata,"",@progbits
; Kernel info:
; codeLenInByte = 0
; NumSgprs: 4
; NumVgprs: 0
; NumAgprs: 0
; TotalNumVgprs: 0
; ScratchSize: 0
; MemoryBound: 0
; FloatMode: 240
; IeeeMode: 1
; LDSByteSize: 0 bytes/workgroup (compile time only)
; SGPRBlocks: 0
; VGPRBlocks: 0
; NumSGPRsForWavesPerEU: 4
; NumVGPRsForWavesPerEU: 1
; AccumOffset: 4
; Occupancy: 8
; WaveLimiterHint : 0
; COMPUTE_PGM_RSRC2:SCRATCH_EN: 0
; COMPUTE_PGM_RSRC2:USER_SGPR: 6
; COMPUTE_PGM_RSRC2:TRAP_HANDLER: 0
; COMPUTE_PGM_RSRC2:TGID_X_EN: 1
; COMPUTE_PGM_RSRC2:TGID_Y_EN: 0
; COMPUTE_PGM_RSRC2:TGID_Z_EN: 0
; COMPUTE_PGM_RSRC2:TIDIG_COMP_CNT: 0
; COMPUTE_PGM_RSRC3_GFX90A:ACCUM_OFFSET: 0
; COMPUTE_PGM_RSRC3_GFX90A:TG_SPLIT: 0
	.section	.text._ZN7rocprim17ROCPRIM_400000_NS6detail17trampoline_kernelINS0_14default_configENS1_27scan_by_key_config_selectorIssEEZZNS1_16scan_by_key_implILNS1_25lookback_scan_determinismE0ELb0ES3_N6thrust23THRUST_200600_302600_NS6detail15normal_iteratorINS9_10device_ptrIsEEEENS9_18transform_iteratorINS9_6negateIsEESE_NS9_11use_defaultESI_EESE_sNS9_4plusIvEENS9_8equal_toIvEEsEE10hipError_tPvRmT2_T3_T4_T5_mT6_T7_P12ihipStream_tbENKUlT_T0_E_clISt17integral_constantIbLb0EES13_IbLb1EEEEDaSZ_S10_EUlSZ_E_NS1_11comp_targetILNS1_3genE10ELNS1_11target_archE1200ELNS1_3gpuE4ELNS1_3repE0EEENS1_30default_config_static_selectorELNS0_4arch9wavefront6targetE1EEEvT1_,"axG",@progbits,_ZN7rocprim17ROCPRIM_400000_NS6detail17trampoline_kernelINS0_14default_configENS1_27scan_by_key_config_selectorIssEEZZNS1_16scan_by_key_implILNS1_25lookback_scan_determinismE0ELb0ES3_N6thrust23THRUST_200600_302600_NS6detail15normal_iteratorINS9_10device_ptrIsEEEENS9_18transform_iteratorINS9_6negateIsEESE_NS9_11use_defaultESI_EESE_sNS9_4plusIvEENS9_8equal_toIvEEsEE10hipError_tPvRmT2_T3_T4_T5_mT6_T7_P12ihipStream_tbENKUlT_T0_E_clISt17integral_constantIbLb0EES13_IbLb1EEEEDaSZ_S10_EUlSZ_E_NS1_11comp_targetILNS1_3genE10ELNS1_11target_archE1200ELNS1_3gpuE4ELNS1_3repE0EEENS1_30default_config_static_selectorELNS0_4arch9wavefront6targetE1EEEvT1_,comdat
	.protected	_ZN7rocprim17ROCPRIM_400000_NS6detail17trampoline_kernelINS0_14default_configENS1_27scan_by_key_config_selectorIssEEZZNS1_16scan_by_key_implILNS1_25lookback_scan_determinismE0ELb0ES3_N6thrust23THRUST_200600_302600_NS6detail15normal_iteratorINS9_10device_ptrIsEEEENS9_18transform_iteratorINS9_6negateIsEESE_NS9_11use_defaultESI_EESE_sNS9_4plusIvEENS9_8equal_toIvEEsEE10hipError_tPvRmT2_T3_T4_T5_mT6_T7_P12ihipStream_tbENKUlT_T0_E_clISt17integral_constantIbLb0EES13_IbLb1EEEEDaSZ_S10_EUlSZ_E_NS1_11comp_targetILNS1_3genE10ELNS1_11target_archE1200ELNS1_3gpuE4ELNS1_3repE0EEENS1_30default_config_static_selectorELNS0_4arch9wavefront6targetE1EEEvT1_ ; -- Begin function _ZN7rocprim17ROCPRIM_400000_NS6detail17trampoline_kernelINS0_14default_configENS1_27scan_by_key_config_selectorIssEEZZNS1_16scan_by_key_implILNS1_25lookback_scan_determinismE0ELb0ES3_N6thrust23THRUST_200600_302600_NS6detail15normal_iteratorINS9_10device_ptrIsEEEENS9_18transform_iteratorINS9_6negateIsEESE_NS9_11use_defaultESI_EESE_sNS9_4plusIvEENS9_8equal_toIvEEsEE10hipError_tPvRmT2_T3_T4_T5_mT6_T7_P12ihipStream_tbENKUlT_T0_E_clISt17integral_constantIbLb0EES13_IbLb1EEEEDaSZ_S10_EUlSZ_E_NS1_11comp_targetILNS1_3genE10ELNS1_11target_archE1200ELNS1_3gpuE4ELNS1_3repE0EEENS1_30default_config_static_selectorELNS0_4arch9wavefront6targetE1EEEvT1_
	.globl	_ZN7rocprim17ROCPRIM_400000_NS6detail17trampoline_kernelINS0_14default_configENS1_27scan_by_key_config_selectorIssEEZZNS1_16scan_by_key_implILNS1_25lookback_scan_determinismE0ELb0ES3_N6thrust23THRUST_200600_302600_NS6detail15normal_iteratorINS9_10device_ptrIsEEEENS9_18transform_iteratorINS9_6negateIsEESE_NS9_11use_defaultESI_EESE_sNS9_4plusIvEENS9_8equal_toIvEEsEE10hipError_tPvRmT2_T3_T4_T5_mT6_T7_P12ihipStream_tbENKUlT_T0_E_clISt17integral_constantIbLb0EES13_IbLb1EEEEDaSZ_S10_EUlSZ_E_NS1_11comp_targetILNS1_3genE10ELNS1_11target_archE1200ELNS1_3gpuE4ELNS1_3repE0EEENS1_30default_config_static_selectorELNS0_4arch9wavefront6targetE1EEEvT1_
	.p2align	8
	.type	_ZN7rocprim17ROCPRIM_400000_NS6detail17trampoline_kernelINS0_14default_configENS1_27scan_by_key_config_selectorIssEEZZNS1_16scan_by_key_implILNS1_25lookback_scan_determinismE0ELb0ES3_N6thrust23THRUST_200600_302600_NS6detail15normal_iteratorINS9_10device_ptrIsEEEENS9_18transform_iteratorINS9_6negateIsEESE_NS9_11use_defaultESI_EESE_sNS9_4plusIvEENS9_8equal_toIvEEsEE10hipError_tPvRmT2_T3_T4_T5_mT6_T7_P12ihipStream_tbENKUlT_T0_E_clISt17integral_constantIbLb0EES13_IbLb1EEEEDaSZ_S10_EUlSZ_E_NS1_11comp_targetILNS1_3genE10ELNS1_11target_archE1200ELNS1_3gpuE4ELNS1_3repE0EEENS1_30default_config_static_selectorELNS0_4arch9wavefront6targetE1EEEvT1_,@function
_ZN7rocprim17ROCPRIM_400000_NS6detail17trampoline_kernelINS0_14default_configENS1_27scan_by_key_config_selectorIssEEZZNS1_16scan_by_key_implILNS1_25lookback_scan_determinismE0ELb0ES3_N6thrust23THRUST_200600_302600_NS6detail15normal_iteratorINS9_10device_ptrIsEEEENS9_18transform_iteratorINS9_6negateIsEESE_NS9_11use_defaultESI_EESE_sNS9_4plusIvEENS9_8equal_toIvEEsEE10hipError_tPvRmT2_T3_T4_T5_mT6_T7_P12ihipStream_tbENKUlT_T0_E_clISt17integral_constantIbLb0EES13_IbLb1EEEEDaSZ_S10_EUlSZ_E_NS1_11comp_targetILNS1_3genE10ELNS1_11target_archE1200ELNS1_3gpuE4ELNS1_3repE0EEENS1_30default_config_static_selectorELNS0_4arch9wavefront6targetE1EEEvT1_: ; @_ZN7rocprim17ROCPRIM_400000_NS6detail17trampoline_kernelINS0_14default_configENS1_27scan_by_key_config_selectorIssEEZZNS1_16scan_by_key_implILNS1_25lookback_scan_determinismE0ELb0ES3_N6thrust23THRUST_200600_302600_NS6detail15normal_iteratorINS9_10device_ptrIsEEEENS9_18transform_iteratorINS9_6negateIsEESE_NS9_11use_defaultESI_EESE_sNS9_4plusIvEENS9_8equal_toIvEEsEE10hipError_tPvRmT2_T3_T4_T5_mT6_T7_P12ihipStream_tbENKUlT_T0_E_clISt17integral_constantIbLb0EES13_IbLb1EEEEDaSZ_S10_EUlSZ_E_NS1_11comp_targetILNS1_3genE10ELNS1_11target_archE1200ELNS1_3gpuE4ELNS1_3repE0EEENS1_30default_config_static_selectorELNS0_4arch9wavefront6targetE1EEEvT1_
; %bb.0:
	.section	.rodata,"a",@progbits
	.p2align	6, 0x0
	.amdhsa_kernel _ZN7rocprim17ROCPRIM_400000_NS6detail17trampoline_kernelINS0_14default_configENS1_27scan_by_key_config_selectorIssEEZZNS1_16scan_by_key_implILNS1_25lookback_scan_determinismE0ELb0ES3_N6thrust23THRUST_200600_302600_NS6detail15normal_iteratorINS9_10device_ptrIsEEEENS9_18transform_iteratorINS9_6negateIsEESE_NS9_11use_defaultESI_EESE_sNS9_4plusIvEENS9_8equal_toIvEEsEE10hipError_tPvRmT2_T3_T4_T5_mT6_T7_P12ihipStream_tbENKUlT_T0_E_clISt17integral_constantIbLb0EES13_IbLb1EEEEDaSZ_S10_EUlSZ_E_NS1_11comp_targetILNS1_3genE10ELNS1_11target_archE1200ELNS1_3gpuE4ELNS1_3repE0EEENS1_30default_config_static_selectorELNS0_4arch9wavefront6targetE1EEEvT1_
		.amdhsa_group_segment_fixed_size 0
		.amdhsa_private_segment_fixed_size 0
		.amdhsa_kernarg_size 120
		.amdhsa_user_sgpr_count 6
		.amdhsa_user_sgpr_private_segment_buffer 1
		.amdhsa_user_sgpr_dispatch_ptr 0
		.amdhsa_user_sgpr_queue_ptr 0
		.amdhsa_user_sgpr_kernarg_segment_ptr 1
		.amdhsa_user_sgpr_dispatch_id 0
		.amdhsa_user_sgpr_flat_scratch_init 0
		.amdhsa_user_sgpr_kernarg_preload_length 0
		.amdhsa_user_sgpr_kernarg_preload_offset 0
		.amdhsa_user_sgpr_private_segment_size 0
		.amdhsa_uses_dynamic_stack 0
		.amdhsa_system_sgpr_private_segment_wavefront_offset 0
		.amdhsa_system_sgpr_workgroup_id_x 1
		.amdhsa_system_sgpr_workgroup_id_y 0
		.amdhsa_system_sgpr_workgroup_id_z 0
		.amdhsa_system_sgpr_workgroup_info 0
		.amdhsa_system_vgpr_workitem_id 0
		.amdhsa_next_free_vgpr 1
		.amdhsa_next_free_sgpr 0
		.amdhsa_accum_offset 4
		.amdhsa_reserve_vcc 0
		.amdhsa_reserve_flat_scratch 0
		.amdhsa_float_round_mode_32 0
		.amdhsa_float_round_mode_16_64 0
		.amdhsa_float_denorm_mode_32 3
		.amdhsa_float_denorm_mode_16_64 3
		.amdhsa_dx10_clamp 1
		.amdhsa_ieee_mode 1
		.amdhsa_fp16_overflow 0
		.amdhsa_tg_split 0
		.amdhsa_exception_fp_ieee_invalid_op 0
		.amdhsa_exception_fp_denorm_src 0
		.amdhsa_exception_fp_ieee_div_zero 0
		.amdhsa_exception_fp_ieee_overflow 0
		.amdhsa_exception_fp_ieee_underflow 0
		.amdhsa_exception_fp_ieee_inexact 0
		.amdhsa_exception_int_div_zero 0
	.end_amdhsa_kernel
	.section	.text._ZN7rocprim17ROCPRIM_400000_NS6detail17trampoline_kernelINS0_14default_configENS1_27scan_by_key_config_selectorIssEEZZNS1_16scan_by_key_implILNS1_25lookback_scan_determinismE0ELb0ES3_N6thrust23THRUST_200600_302600_NS6detail15normal_iteratorINS9_10device_ptrIsEEEENS9_18transform_iteratorINS9_6negateIsEESE_NS9_11use_defaultESI_EESE_sNS9_4plusIvEENS9_8equal_toIvEEsEE10hipError_tPvRmT2_T3_T4_T5_mT6_T7_P12ihipStream_tbENKUlT_T0_E_clISt17integral_constantIbLb0EES13_IbLb1EEEEDaSZ_S10_EUlSZ_E_NS1_11comp_targetILNS1_3genE10ELNS1_11target_archE1200ELNS1_3gpuE4ELNS1_3repE0EEENS1_30default_config_static_selectorELNS0_4arch9wavefront6targetE1EEEvT1_,"axG",@progbits,_ZN7rocprim17ROCPRIM_400000_NS6detail17trampoline_kernelINS0_14default_configENS1_27scan_by_key_config_selectorIssEEZZNS1_16scan_by_key_implILNS1_25lookback_scan_determinismE0ELb0ES3_N6thrust23THRUST_200600_302600_NS6detail15normal_iteratorINS9_10device_ptrIsEEEENS9_18transform_iteratorINS9_6negateIsEESE_NS9_11use_defaultESI_EESE_sNS9_4plusIvEENS9_8equal_toIvEEsEE10hipError_tPvRmT2_T3_T4_T5_mT6_T7_P12ihipStream_tbENKUlT_T0_E_clISt17integral_constantIbLb0EES13_IbLb1EEEEDaSZ_S10_EUlSZ_E_NS1_11comp_targetILNS1_3genE10ELNS1_11target_archE1200ELNS1_3gpuE4ELNS1_3repE0EEENS1_30default_config_static_selectorELNS0_4arch9wavefront6targetE1EEEvT1_,comdat
.Lfunc_end998:
	.size	_ZN7rocprim17ROCPRIM_400000_NS6detail17trampoline_kernelINS0_14default_configENS1_27scan_by_key_config_selectorIssEEZZNS1_16scan_by_key_implILNS1_25lookback_scan_determinismE0ELb0ES3_N6thrust23THRUST_200600_302600_NS6detail15normal_iteratorINS9_10device_ptrIsEEEENS9_18transform_iteratorINS9_6negateIsEESE_NS9_11use_defaultESI_EESE_sNS9_4plusIvEENS9_8equal_toIvEEsEE10hipError_tPvRmT2_T3_T4_T5_mT6_T7_P12ihipStream_tbENKUlT_T0_E_clISt17integral_constantIbLb0EES13_IbLb1EEEEDaSZ_S10_EUlSZ_E_NS1_11comp_targetILNS1_3genE10ELNS1_11target_archE1200ELNS1_3gpuE4ELNS1_3repE0EEENS1_30default_config_static_selectorELNS0_4arch9wavefront6targetE1EEEvT1_, .Lfunc_end998-_ZN7rocprim17ROCPRIM_400000_NS6detail17trampoline_kernelINS0_14default_configENS1_27scan_by_key_config_selectorIssEEZZNS1_16scan_by_key_implILNS1_25lookback_scan_determinismE0ELb0ES3_N6thrust23THRUST_200600_302600_NS6detail15normal_iteratorINS9_10device_ptrIsEEEENS9_18transform_iteratorINS9_6negateIsEESE_NS9_11use_defaultESI_EESE_sNS9_4plusIvEENS9_8equal_toIvEEsEE10hipError_tPvRmT2_T3_T4_T5_mT6_T7_P12ihipStream_tbENKUlT_T0_E_clISt17integral_constantIbLb0EES13_IbLb1EEEEDaSZ_S10_EUlSZ_E_NS1_11comp_targetILNS1_3genE10ELNS1_11target_archE1200ELNS1_3gpuE4ELNS1_3repE0EEENS1_30default_config_static_selectorELNS0_4arch9wavefront6targetE1EEEvT1_
                                        ; -- End function
	.section	.AMDGPU.csdata,"",@progbits
; Kernel info:
; codeLenInByte = 0
; NumSgprs: 4
; NumVgprs: 0
; NumAgprs: 0
; TotalNumVgprs: 0
; ScratchSize: 0
; MemoryBound: 0
; FloatMode: 240
; IeeeMode: 1
; LDSByteSize: 0 bytes/workgroup (compile time only)
; SGPRBlocks: 0
; VGPRBlocks: 0
; NumSGPRsForWavesPerEU: 4
; NumVGPRsForWavesPerEU: 1
; AccumOffset: 4
; Occupancy: 8
; WaveLimiterHint : 0
; COMPUTE_PGM_RSRC2:SCRATCH_EN: 0
; COMPUTE_PGM_RSRC2:USER_SGPR: 6
; COMPUTE_PGM_RSRC2:TRAP_HANDLER: 0
; COMPUTE_PGM_RSRC2:TGID_X_EN: 1
; COMPUTE_PGM_RSRC2:TGID_Y_EN: 0
; COMPUTE_PGM_RSRC2:TGID_Z_EN: 0
; COMPUTE_PGM_RSRC2:TIDIG_COMP_CNT: 0
; COMPUTE_PGM_RSRC3_GFX90A:ACCUM_OFFSET: 0
; COMPUTE_PGM_RSRC3_GFX90A:TG_SPLIT: 0
	.section	.text._ZN7rocprim17ROCPRIM_400000_NS6detail17trampoline_kernelINS0_14default_configENS1_27scan_by_key_config_selectorIssEEZZNS1_16scan_by_key_implILNS1_25lookback_scan_determinismE0ELb0ES3_N6thrust23THRUST_200600_302600_NS6detail15normal_iteratorINS9_10device_ptrIsEEEENS9_18transform_iteratorINS9_6negateIsEESE_NS9_11use_defaultESI_EESE_sNS9_4plusIvEENS9_8equal_toIvEEsEE10hipError_tPvRmT2_T3_T4_T5_mT6_T7_P12ihipStream_tbENKUlT_T0_E_clISt17integral_constantIbLb0EES13_IbLb1EEEEDaSZ_S10_EUlSZ_E_NS1_11comp_targetILNS1_3genE9ELNS1_11target_archE1100ELNS1_3gpuE3ELNS1_3repE0EEENS1_30default_config_static_selectorELNS0_4arch9wavefront6targetE1EEEvT1_,"axG",@progbits,_ZN7rocprim17ROCPRIM_400000_NS6detail17trampoline_kernelINS0_14default_configENS1_27scan_by_key_config_selectorIssEEZZNS1_16scan_by_key_implILNS1_25lookback_scan_determinismE0ELb0ES3_N6thrust23THRUST_200600_302600_NS6detail15normal_iteratorINS9_10device_ptrIsEEEENS9_18transform_iteratorINS9_6negateIsEESE_NS9_11use_defaultESI_EESE_sNS9_4plusIvEENS9_8equal_toIvEEsEE10hipError_tPvRmT2_T3_T4_T5_mT6_T7_P12ihipStream_tbENKUlT_T0_E_clISt17integral_constantIbLb0EES13_IbLb1EEEEDaSZ_S10_EUlSZ_E_NS1_11comp_targetILNS1_3genE9ELNS1_11target_archE1100ELNS1_3gpuE3ELNS1_3repE0EEENS1_30default_config_static_selectorELNS0_4arch9wavefront6targetE1EEEvT1_,comdat
	.protected	_ZN7rocprim17ROCPRIM_400000_NS6detail17trampoline_kernelINS0_14default_configENS1_27scan_by_key_config_selectorIssEEZZNS1_16scan_by_key_implILNS1_25lookback_scan_determinismE0ELb0ES3_N6thrust23THRUST_200600_302600_NS6detail15normal_iteratorINS9_10device_ptrIsEEEENS9_18transform_iteratorINS9_6negateIsEESE_NS9_11use_defaultESI_EESE_sNS9_4plusIvEENS9_8equal_toIvEEsEE10hipError_tPvRmT2_T3_T4_T5_mT6_T7_P12ihipStream_tbENKUlT_T0_E_clISt17integral_constantIbLb0EES13_IbLb1EEEEDaSZ_S10_EUlSZ_E_NS1_11comp_targetILNS1_3genE9ELNS1_11target_archE1100ELNS1_3gpuE3ELNS1_3repE0EEENS1_30default_config_static_selectorELNS0_4arch9wavefront6targetE1EEEvT1_ ; -- Begin function _ZN7rocprim17ROCPRIM_400000_NS6detail17trampoline_kernelINS0_14default_configENS1_27scan_by_key_config_selectorIssEEZZNS1_16scan_by_key_implILNS1_25lookback_scan_determinismE0ELb0ES3_N6thrust23THRUST_200600_302600_NS6detail15normal_iteratorINS9_10device_ptrIsEEEENS9_18transform_iteratorINS9_6negateIsEESE_NS9_11use_defaultESI_EESE_sNS9_4plusIvEENS9_8equal_toIvEEsEE10hipError_tPvRmT2_T3_T4_T5_mT6_T7_P12ihipStream_tbENKUlT_T0_E_clISt17integral_constantIbLb0EES13_IbLb1EEEEDaSZ_S10_EUlSZ_E_NS1_11comp_targetILNS1_3genE9ELNS1_11target_archE1100ELNS1_3gpuE3ELNS1_3repE0EEENS1_30default_config_static_selectorELNS0_4arch9wavefront6targetE1EEEvT1_
	.globl	_ZN7rocprim17ROCPRIM_400000_NS6detail17trampoline_kernelINS0_14default_configENS1_27scan_by_key_config_selectorIssEEZZNS1_16scan_by_key_implILNS1_25lookback_scan_determinismE0ELb0ES3_N6thrust23THRUST_200600_302600_NS6detail15normal_iteratorINS9_10device_ptrIsEEEENS9_18transform_iteratorINS9_6negateIsEESE_NS9_11use_defaultESI_EESE_sNS9_4plusIvEENS9_8equal_toIvEEsEE10hipError_tPvRmT2_T3_T4_T5_mT6_T7_P12ihipStream_tbENKUlT_T0_E_clISt17integral_constantIbLb0EES13_IbLb1EEEEDaSZ_S10_EUlSZ_E_NS1_11comp_targetILNS1_3genE9ELNS1_11target_archE1100ELNS1_3gpuE3ELNS1_3repE0EEENS1_30default_config_static_selectorELNS0_4arch9wavefront6targetE1EEEvT1_
	.p2align	8
	.type	_ZN7rocprim17ROCPRIM_400000_NS6detail17trampoline_kernelINS0_14default_configENS1_27scan_by_key_config_selectorIssEEZZNS1_16scan_by_key_implILNS1_25lookback_scan_determinismE0ELb0ES3_N6thrust23THRUST_200600_302600_NS6detail15normal_iteratorINS9_10device_ptrIsEEEENS9_18transform_iteratorINS9_6negateIsEESE_NS9_11use_defaultESI_EESE_sNS9_4plusIvEENS9_8equal_toIvEEsEE10hipError_tPvRmT2_T3_T4_T5_mT6_T7_P12ihipStream_tbENKUlT_T0_E_clISt17integral_constantIbLb0EES13_IbLb1EEEEDaSZ_S10_EUlSZ_E_NS1_11comp_targetILNS1_3genE9ELNS1_11target_archE1100ELNS1_3gpuE3ELNS1_3repE0EEENS1_30default_config_static_selectorELNS0_4arch9wavefront6targetE1EEEvT1_,@function
_ZN7rocprim17ROCPRIM_400000_NS6detail17trampoline_kernelINS0_14default_configENS1_27scan_by_key_config_selectorIssEEZZNS1_16scan_by_key_implILNS1_25lookback_scan_determinismE0ELb0ES3_N6thrust23THRUST_200600_302600_NS6detail15normal_iteratorINS9_10device_ptrIsEEEENS9_18transform_iteratorINS9_6negateIsEESE_NS9_11use_defaultESI_EESE_sNS9_4plusIvEENS9_8equal_toIvEEsEE10hipError_tPvRmT2_T3_T4_T5_mT6_T7_P12ihipStream_tbENKUlT_T0_E_clISt17integral_constantIbLb0EES13_IbLb1EEEEDaSZ_S10_EUlSZ_E_NS1_11comp_targetILNS1_3genE9ELNS1_11target_archE1100ELNS1_3gpuE3ELNS1_3repE0EEENS1_30default_config_static_selectorELNS0_4arch9wavefront6targetE1EEEvT1_: ; @_ZN7rocprim17ROCPRIM_400000_NS6detail17trampoline_kernelINS0_14default_configENS1_27scan_by_key_config_selectorIssEEZZNS1_16scan_by_key_implILNS1_25lookback_scan_determinismE0ELb0ES3_N6thrust23THRUST_200600_302600_NS6detail15normal_iteratorINS9_10device_ptrIsEEEENS9_18transform_iteratorINS9_6negateIsEESE_NS9_11use_defaultESI_EESE_sNS9_4plusIvEENS9_8equal_toIvEEsEE10hipError_tPvRmT2_T3_T4_T5_mT6_T7_P12ihipStream_tbENKUlT_T0_E_clISt17integral_constantIbLb0EES13_IbLb1EEEEDaSZ_S10_EUlSZ_E_NS1_11comp_targetILNS1_3genE9ELNS1_11target_archE1100ELNS1_3gpuE3ELNS1_3repE0EEENS1_30default_config_static_selectorELNS0_4arch9wavefront6targetE1EEEvT1_
; %bb.0:
	.section	.rodata,"a",@progbits
	.p2align	6, 0x0
	.amdhsa_kernel _ZN7rocprim17ROCPRIM_400000_NS6detail17trampoline_kernelINS0_14default_configENS1_27scan_by_key_config_selectorIssEEZZNS1_16scan_by_key_implILNS1_25lookback_scan_determinismE0ELb0ES3_N6thrust23THRUST_200600_302600_NS6detail15normal_iteratorINS9_10device_ptrIsEEEENS9_18transform_iteratorINS9_6negateIsEESE_NS9_11use_defaultESI_EESE_sNS9_4plusIvEENS9_8equal_toIvEEsEE10hipError_tPvRmT2_T3_T4_T5_mT6_T7_P12ihipStream_tbENKUlT_T0_E_clISt17integral_constantIbLb0EES13_IbLb1EEEEDaSZ_S10_EUlSZ_E_NS1_11comp_targetILNS1_3genE9ELNS1_11target_archE1100ELNS1_3gpuE3ELNS1_3repE0EEENS1_30default_config_static_selectorELNS0_4arch9wavefront6targetE1EEEvT1_
		.amdhsa_group_segment_fixed_size 0
		.amdhsa_private_segment_fixed_size 0
		.amdhsa_kernarg_size 120
		.amdhsa_user_sgpr_count 6
		.amdhsa_user_sgpr_private_segment_buffer 1
		.amdhsa_user_sgpr_dispatch_ptr 0
		.amdhsa_user_sgpr_queue_ptr 0
		.amdhsa_user_sgpr_kernarg_segment_ptr 1
		.amdhsa_user_sgpr_dispatch_id 0
		.amdhsa_user_sgpr_flat_scratch_init 0
		.amdhsa_user_sgpr_kernarg_preload_length 0
		.amdhsa_user_sgpr_kernarg_preload_offset 0
		.amdhsa_user_sgpr_private_segment_size 0
		.amdhsa_uses_dynamic_stack 0
		.amdhsa_system_sgpr_private_segment_wavefront_offset 0
		.amdhsa_system_sgpr_workgroup_id_x 1
		.amdhsa_system_sgpr_workgroup_id_y 0
		.amdhsa_system_sgpr_workgroup_id_z 0
		.amdhsa_system_sgpr_workgroup_info 0
		.amdhsa_system_vgpr_workitem_id 0
		.amdhsa_next_free_vgpr 1
		.amdhsa_next_free_sgpr 0
		.amdhsa_accum_offset 4
		.amdhsa_reserve_vcc 0
		.amdhsa_reserve_flat_scratch 0
		.amdhsa_float_round_mode_32 0
		.amdhsa_float_round_mode_16_64 0
		.amdhsa_float_denorm_mode_32 3
		.amdhsa_float_denorm_mode_16_64 3
		.amdhsa_dx10_clamp 1
		.amdhsa_ieee_mode 1
		.amdhsa_fp16_overflow 0
		.amdhsa_tg_split 0
		.amdhsa_exception_fp_ieee_invalid_op 0
		.amdhsa_exception_fp_denorm_src 0
		.amdhsa_exception_fp_ieee_div_zero 0
		.amdhsa_exception_fp_ieee_overflow 0
		.amdhsa_exception_fp_ieee_underflow 0
		.amdhsa_exception_fp_ieee_inexact 0
		.amdhsa_exception_int_div_zero 0
	.end_amdhsa_kernel
	.section	.text._ZN7rocprim17ROCPRIM_400000_NS6detail17trampoline_kernelINS0_14default_configENS1_27scan_by_key_config_selectorIssEEZZNS1_16scan_by_key_implILNS1_25lookback_scan_determinismE0ELb0ES3_N6thrust23THRUST_200600_302600_NS6detail15normal_iteratorINS9_10device_ptrIsEEEENS9_18transform_iteratorINS9_6negateIsEESE_NS9_11use_defaultESI_EESE_sNS9_4plusIvEENS9_8equal_toIvEEsEE10hipError_tPvRmT2_T3_T4_T5_mT6_T7_P12ihipStream_tbENKUlT_T0_E_clISt17integral_constantIbLb0EES13_IbLb1EEEEDaSZ_S10_EUlSZ_E_NS1_11comp_targetILNS1_3genE9ELNS1_11target_archE1100ELNS1_3gpuE3ELNS1_3repE0EEENS1_30default_config_static_selectorELNS0_4arch9wavefront6targetE1EEEvT1_,"axG",@progbits,_ZN7rocprim17ROCPRIM_400000_NS6detail17trampoline_kernelINS0_14default_configENS1_27scan_by_key_config_selectorIssEEZZNS1_16scan_by_key_implILNS1_25lookback_scan_determinismE0ELb0ES3_N6thrust23THRUST_200600_302600_NS6detail15normal_iteratorINS9_10device_ptrIsEEEENS9_18transform_iteratorINS9_6negateIsEESE_NS9_11use_defaultESI_EESE_sNS9_4plusIvEENS9_8equal_toIvEEsEE10hipError_tPvRmT2_T3_T4_T5_mT6_T7_P12ihipStream_tbENKUlT_T0_E_clISt17integral_constantIbLb0EES13_IbLb1EEEEDaSZ_S10_EUlSZ_E_NS1_11comp_targetILNS1_3genE9ELNS1_11target_archE1100ELNS1_3gpuE3ELNS1_3repE0EEENS1_30default_config_static_selectorELNS0_4arch9wavefront6targetE1EEEvT1_,comdat
.Lfunc_end999:
	.size	_ZN7rocprim17ROCPRIM_400000_NS6detail17trampoline_kernelINS0_14default_configENS1_27scan_by_key_config_selectorIssEEZZNS1_16scan_by_key_implILNS1_25lookback_scan_determinismE0ELb0ES3_N6thrust23THRUST_200600_302600_NS6detail15normal_iteratorINS9_10device_ptrIsEEEENS9_18transform_iteratorINS9_6negateIsEESE_NS9_11use_defaultESI_EESE_sNS9_4plusIvEENS9_8equal_toIvEEsEE10hipError_tPvRmT2_T3_T4_T5_mT6_T7_P12ihipStream_tbENKUlT_T0_E_clISt17integral_constantIbLb0EES13_IbLb1EEEEDaSZ_S10_EUlSZ_E_NS1_11comp_targetILNS1_3genE9ELNS1_11target_archE1100ELNS1_3gpuE3ELNS1_3repE0EEENS1_30default_config_static_selectorELNS0_4arch9wavefront6targetE1EEEvT1_, .Lfunc_end999-_ZN7rocprim17ROCPRIM_400000_NS6detail17trampoline_kernelINS0_14default_configENS1_27scan_by_key_config_selectorIssEEZZNS1_16scan_by_key_implILNS1_25lookback_scan_determinismE0ELb0ES3_N6thrust23THRUST_200600_302600_NS6detail15normal_iteratorINS9_10device_ptrIsEEEENS9_18transform_iteratorINS9_6negateIsEESE_NS9_11use_defaultESI_EESE_sNS9_4plusIvEENS9_8equal_toIvEEsEE10hipError_tPvRmT2_T3_T4_T5_mT6_T7_P12ihipStream_tbENKUlT_T0_E_clISt17integral_constantIbLb0EES13_IbLb1EEEEDaSZ_S10_EUlSZ_E_NS1_11comp_targetILNS1_3genE9ELNS1_11target_archE1100ELNS1_3gpuE3ELNS1_3repE0EEENS1_30default_config_static_selectorELNS0_4arch9wavefront6targetE1EEEvT1_
                                        ; -- End function
	.section	.AMDGPU.csdata,"",@progbits
; Kernel info:
; codeLenInByte = 0
; NumSgprs: 4
; NumVgprs: 0
; NumAgprs: 0
; TotalNumVgprs: 0
; ScratchSize: 0
; MemoryBound: 0
; FloatMode: 240
; IeeeMode: 1
; LDSByteSize: 0 bytes/workgroup (compile time only)
; SGPRBlocks: 0
; VGPRBlocks: 0
; NumSGPRsForWavesPerEU: 4
; NumVGPRsForWavesPerEU: 1
; AccumOffset: 4
; Occupancy: 8
; WaveLimiterHint : 0
; COMPUTE_PGM_RSRC2:SCRATCH_EN: 0
; COMPUTE_PGM_RSRC2:USER_SGPR: 6
; COMPUTE_PGM_RSRC2:TRAP_HANDLER: 0
; COMPUTE_PGM_RSRC2:TGID_X_EN: 1
; COMPUTE_PGM_RSRC2:TGID_Y_EN: 0
; COMPUTE_PGM_RSRC2:TGID_Z_EN: 0
; COMPUTE_PGM_RSRC2:TIDIG_COMP_CNT: 0
; COMPUTE_PGM_RSRC3_GFX90A:ACCUM_OFFSET: 0
; COMPUTE_PGM_RSRC3_GFX90A:TG_SPLIT: 0
	.section	.text._ZN7rocprim17ROCPRIM_400000_NS6detail17trampoline_kernelINS0_14default_configENS1_27scan_by_key_config_selectorIssEEZZNS1_16scan_by_key_implILNS1_25lookback_scan_determinismE0ELb0ES3_N6thrust23THRUST_200600_302600_NS6detail15normal_iteratorINS9_10device_ptrIsEEEENS9_18transform_iteratorINS9_6negateIsEESE_NS9_11use_defaultESI_EESE_sNS9_4plusIvEENS9_8equal_toIvEEsEE10hipError_tPvRmT2_T3_T4_T5_mT6_T7_P12ihipStream_tbENKUlT_T0_E_clISt17integral_constantIbLb0EES13_IbLb1EEEEDaSZ_S10_EUlSZ_E_NS1_11comp_targetILNS1_3genE8ELNS1_11target_archE1030ELNS1_3gpuE2ELNS1_3repE0EEENS1_30default_config_static_selectorELNS0_4arch9wavefront6targetE1EEEvT1_,"axG",@progbits,_ZN7rocprim17ROCPRIM_400000_NS6detail17trampoline_kernelINS0_14default_configENS1_27scan_by_key_config_selectorIssEEZZNS1_16scan_by_key_implILNS1_25lookback_scan_determinismE0ELb0ES3_N6thrust23THRUST_200600_302600_NS6detail15normal_iteratorINS9_10device_ptrIsEEEENS9_18transform_iteratorINS9_6negateIsEESE_NS9_11use_defaultESI_EESE_sNS9_4plusIvEENS9_8equal_toIvEEsEE10hipError_tPvRmT2_T3_T4_T5_mT6_T7_P12ihipStream_tbENKUlT_T0_E_clISt17integral_constantIbLb0EES13_IbLb1EEEEDaSZ_S10_EUlSZ_E_NS1_11comp_targetILNS1_3genE8ELNS1_11target_archE1030ELNS1_3gpuE2ELNS1_3repE0EEENS1_30default_config_static_selectorELNS0_4arch9wavefront6targetE1EEEvT1_,comdat
	.protected	_ZN7rocprim17ROCPRIM_400000_NS6detail17trampoline_kernelINS0_14default_configENS1_27scan_by_key_config_selectorIssEEZZNS1_16scan_by_key_implILNS1_25lookback_scan_determinismE0ELb0ES3_N6thrust23THRUST_200600_302600_NS6detail15normal_iteratorINS9_10device_ptrIsEEEENS9_18transform_iteratorINS9_6negateIsEESE_NS9_11use_defaultESI_EESE_sNS9_4plusIvEENS9_8equal_toIvEEsEE10hipError_tPvRmT2_T3_T4_T5_mT6_T7_P12ihipStream_tbENKUlT_T0_E_clISt17integral_constantIbLb0EES13_IbLb1EEEEDaSZ_S10_EUlSZ_E_NS1_11comp_targetILNS1_3genE8ELNS1_11target_archE1030ELNS1_3gpuE2ELNS1_3repE0EEENS1_30default_config_static_selectorELNS0_4arch9wavefront6targetE1EEEvT1_ ; -- Begin function _ZN7rocprim17ROCPRIM_400000_NS6detail17trampoline_kernelINS0_14default_configENS1_27scan_by_key_config_selectorIssEEZZNS1_16scan_by_key_implILNS1_25lookback_scan_determinismE0ELb0ES3_N6thrust23THRUST_200600_302600_NS6detail15normal_iteratorINS9_10device_ptrIsEEEENS9_18transform_iteratorINS9_6negateIsEESE_NS9_11use_defaultESI_EESE_sNS9_4plusIvEENS9_8equal_toIvEEsEE10hipError_tPvRmT2_T3_T4_T5_mT6_T7_P12ihipStream_tbENKUlT_T0_E_clISt17integral_constantIbLb0EES13_IbLb1EEEEDaSZ_S10_EUlSZ_E_NS1_11comp_targetILNS1_3genE8ELNS1_11target_archE1030ELNS1_3gpuE2ELNS1_3repE0EEENS1_30default_config_static_selectorELNS0_4arch9wavefront6targetE1EEEvT1_
	.globl	_ZN7rocprim17ROCPRIM_400000_NS6detail17trampoline_kernelINS0_14default_configENS1_27scan_by_key_config_selectorIssEEZZNS1_16scan_by_key_implILNS1_25lookback_scan_determinismE0ELb0ES3_N6thrust23THRUST_200600_302600_NS6detail15normal_iteratorINS9_10device_ptrIsEEEENS9_18transform_iteratorINS9_6negateIsEESE_NS9_11use_defaultESI_EESE_sNS9_4plusIvEENS9_8equal_toIvEEsEE10hipError_tPvRmT2_T3_T4_T5_mT6_T7_P12ihipStream_tbENKUlT_T0_E_clISt17integral_constantIbLb0EES13_IbLb1EEEEDaSZ_S10_EUlSZ_E_NS1_11comp_targetILNS1_3genE8ELNS1_11target_archE1030ELNS1_3gpuE2ELNS1_3repE0EEENS1_30default_config_static_selectorELNS0_4arch9wavefront6targetE1EEEvT1_
	.p2align	8
	.type	_ZN7rocprim17ROCPRIM_400000_NS6detail17trampoline_kernelINS0_14default_configENS1_27scan_by_key_config_selectorIssEEZZNS1_16scan_by_key_implILNS1_25lookback_scan_determinismE0ELb0ES3_N6thrust23THRUST_200600_302600_NS6detail15normal_iteratorINS9_10device_ptrIsEEEENS9_18transform_iteratorINS9_6negateIsEESE_NS9_11use_defaultESI_EESE_sNS9_4plusIvEENS9_8equal_toIvEEsEE10hipError_tPvRmT2_T3_T4_T5_mT6_T7_P12ihipStream_tbENKUlT_T0_E_clISt17integral_constantIbLb0EES13_IbLb1EEEEDaSZ_S10_EUlSZ_E_NS1_11comp_targetILNS1_3genE8ELNS1_11target_archE1030ELNS1_3gpuE2ELNS1_3repE0EEENS1_30default_config_static_selectorELNS0_4arch9wavefront6targetE1EEEvT1_,@function
_ZN7rocprim17ROCPRIM_400000_NS6detail17trampoline_kernelINS0_14default_configENS1_27scan_by_key_config_selectorIssEEZZNS1_16scan_by_key_implILNS1_25lookback_scan_determinismE0ELb0ES3_N6thrust23THRUST_200600_302600_NS6detail15normal_iteratorINS9_10device_ptrIsEEEENS9_18transform_iteratorINS9_6negateIsEESE_NS9_11use_defaultESI_EESE_sNS9_4plusIvEENS9_8equal_toIvEEsEE10hipError_tPvRmT2_T3_T4_T5_mT6_T7_P12ihipStream_tbENKUlT_T0_E_clISt17integral_constantIbLb0EES13_IbLb1EEEEDaSZ_S10_EUlSZ_E_NS1_11comp_targetILNS1_3genE8ELNS1_11target_archE1030ELNS1_3gpuE2ELNS1_3repE0EEENS1_30default_config_static_selectorELNS0_4arch9wavefront6targetE1EEEvT1_: ; @_ZN7rocprim17ROCPRIM_400000_NS6detail17trampoline_kernelINS0_14default_configENS1_27scan_by_key_config_selectorIssEEZZNS1_16scan_by_key_implILNS1_25lookback_scan_determinismE0ELb0ES3_N6thrust23THRUST_200600_302600_NS6detail15normal_iteratorINS9_10device_ptrIsEEEENS9_18transform_iteratorINS9_6negateIsEESE_NS9_11use_defaultESI_EESE_sNS9_4plusIvEENS9_8equal_toIvEEsEE10hipError_tPvRmT2_T3_T4_T5_mT6_T7_P12ihipStream_tbENKUlT_T0_E_clISt17integral_constantIbLb0EES13_IbLb1EEEEDaSZ_S10_EUlSZ_E_NS1_11comp_targetILNS1_3genE8ELNS1_11target_archE1030ELNS1_3gpuE2ELNS1_3repE0EEENS1_30default_config_static_selectorELNS0_4arch9wavefront6targetE1EEEvT1_
; %bb.0:
	.section	.rodata,"a",@progbits
	.p2align	6, 0x0
	.amdhsa_kernel _ZN7rocprim17ROCPRIM_400000_NS6detail17trampoline_kernelINS0_14default_configENS1_27scan_by_key_config_selectorIssEEZZNS1_16scan_by_key_implILNS1_25lookback_scan_determinismE0ELb0ES3_N6thrust23THRUST_200600_302600_NS6detail15normal_iteratorINS9_10device_ptrIsEEEENS9_18transform_iteratorINS9_6negateIsEESE_NS9_11use_defaultESI_EESE_sNS9_4plusIvEENS9_8equal_toIvEEsEE10hipError_tPvRmT2_T3_T4_T5_mT6_T7_P12ihipStream_tbENKUlT_T0_E_clISt17integral_constantIbLb0EES13_IbLb1EEEEDaSZ_S10_EUlSZ_E_NS1_11comp_targetILNS1_3genE8ELNS1_11target_archE1030ELNS1_3gpuE2ELNS1_3repE0EEENS1_30default_config_static_selectorELNS0_4arch9wavefront6targetE1EEEvT1_
		.amdhsa_group_segment_fixed_size 0
		.amdhsa_private_segment_fixed_size 0
		.amdhsa_kernarg_size 120
		.amdhsa_user_sgpr_count 6
		.amdhsa_user_sgpr_private_segment_buffer 1
		.amdhsa_user_sgpr_dispatch_ptr 0
		.amdhsa_user_sgpr_queue_ptr 0
		.amdhsa_user_sgpr_kernarg_segment_ptr 1
		.amdhsa_user_sgpr_dispatch_id 0
		.amdhsa_user_sgpr_flat_scratch_init 0
		.amdhsa_user_sgpr_kernarg_preload_length 0
		.amdhsa_user_sgpr_kernarg_preload_offset 0
		.amdhsa_user_sgpr_private_segment_size 0
		.amdhsa_uses_dynamic_stack 0
		.amdhsa_system_sgpr_private_segment_wavefront_offset 0
		.amdhsa_system_sgpr_workgroup_id_x 1
		.amdhsa_system_sgpr_workgroup_id_y 0
		.amdhsa_system_sgpr_workgroup_id_z 0
		.amdhsa_system_sgpr_workgroup_info 0
		.amdhsa_system_vgpr_workitem_id 0
		.amdhsa_next_free_vgpr 1
		.amdhsa_next_free_sgpr 0
		.amdhsa_accum_offset 4
		.amdhsa_reserve_vcc 0
		.amdhsa_reserve_flat_scratch 0
		.amdhsa_float_round_mode_32 0
		.amdhsa_float_round_mode_16_64 0
		.amdhsa_float_denorm_mode_32 3
		.amdhsa_float_denorm_mode_16_64 3
		.amdhsa_dx10_clamp 1
		.amdhsa_ieee_mode 1
		.amdhsa_fp16_overflow 0
		.amdhsa_tg_split 0
		.amdhsa_exception_fp_ieee_invalid_op 0
		.amdhsa_exception_fp_denorm_src 0
		.amdhsa_exception_fp_ieee_div_zero 0
		.amdhsa_exception_fp_ieee_overflow 0
		.amdhsa_exception_fp_ieee_underflow 0
		.amdhsa_exception_fp_ieee_inexact 0
		.amdhsa_exception_int_div_zero 0
	.end_amdhsa_kernel
	.section	.text._ZN7rocprim17ROCPRIM_400000_NS6detail17trampoline_kernelINS0_14default_configENS1_27scan_by_key_config_selectorIssEEZZNS1_16scan_by_key_implILNS1_25lookback_scan_determinismE0ELb0ES3_N6thrust23THRUST_200600_302600_NS6detail15normal_iteratorINS9_10device_ptrIsEEEENS9_18transform_iteratorINS9_6negateIsEESE_NS9_11use_defaultESI_EESE_sNS9_4plusIvEENS9_8equal_toIvEEsEE10hipError_tPvRmT2_T3_T4_T5_mT6_T7_P12ihipStream_tbENKUlT_T0_E_clISt17integral_constantIbLb0EES13_IbLb1EEEEDaSZ_S10_EUlSZ_E_NS1_11comp_targetILNS1_3genE8ELNS1_11target_archE1030ELNS1_3gpuE2ELNS1_3repE0EEENS1_30default_config_static_selectorELNS0_4arch9wavefront6targetE1EEEvT1_,"axG",@progbits,_ZN7rocprim17ROCPRIM_400000_NS6detail17trampoline_kernelINS0_14default_configENS1_27scan_by_key_config_selectorIssEEZZNS1_16scan_by_key_implILNS1_25lookback_scan_determinismE0ELb0ES3_N6thrust23THRUST_200600_302600_NS6detail15normal_iteratorINS9_10device_ptrIsEEEENS9_18transform_iteratorINS9_6negateIsEESE_NS9_11use_defaultESI_EESE_sNS9_4plusIvEENS9_8equal_toIvEEsEE10hipError_tPvRmT2_T3_T4_T5_mT6_T7_P12ihipStream_tbENKUlT_T0_E_clISt17integral_constantIbLb0EES13_IbLb1EEEEDaSZ_S10_EUlSZ_E_NS1_11comp_targetILNS1_3genE8ELNS1_11target_archE1030ELNS1_3gpuE2ELNS1_3repE0EEENS1_30default_config_static_selectorELNS0_4arch9wavefront6targetE1EEEvT1_,comdat
.Lfunc_end1000:
	.size	_ZN7rocprim17ROCPRIM_400000_NS6detail17trampoline_kernelINS0_14default_configENS1_27scan_by_key_config_selectorIssEEZZNS1_16scan_by_key_implILNS1_25lookback_scan_determinismE0ELb0ES3_N6thrust23THRUST_200600_302600_NS6detail15normal_iteratorINS9_10device_ptrIsEEEENS9_18transform_iteratorINS9_6negateIsEESE_NS9_11use_defaultESI_EESE_sNS9_4plusIvEENS9_8equal_toIvEEsEE10hipError_tPvRmT2_T3_T4_T5_mT6_T7_P12ihipStream_tbENKUlT_T0_E_clISt17integral_constantIbLb0EES13_IbLb1EEEEDaSZ_S10_EUlSZ_E_NS1_11comp_targetILNS1_3genE8ELNS1_11target_archE1030ELNS1_3gpuE2ELNS1_3repE0EEENS1_30default_config_static_selectorELNS0_4arch9wavefront6targetE1EEEvT1_, .Lfunc_end1000-_ZN7rocprim17ROCPRIM_400000_NS6detail17trampoline_kernelINS0_14default_configENS1_27scan_by_key_config_selectorIssEEZZNS1_16scan_by_key_implILNS1_25lookback_scan_determinismE0ELb0ES3_N6thrust23THRUST_200600_302600_NS6detail15normal_iteratorINS9_10device_ptrIsEEEENS9_18transform_iteratorINS9_6negateIsEESE_NS9_11use_defaultESI_EESE_sNS9_4plusIvEENS9_8equal_toIvEEsEE10hipError_tPvRmT2_T3_T4_T5_mT6_T7_P12ihipStream_tbENKUlT_T0_E_clISt17integral_constantIbLb0EES13_IbLb1EEEEDaSZ_S10_EUlSZ_E_NS1_11comp_targetILNS1_3genE8ELNS1_11target_archE1030ELNS1_3gpuE2ELNS1_3repE0EEENS1_30default_config_static_selectorELNS0_4arch9wavefront6targetE1EEEvT1_
                                        ; -- End function
	.section	.AMDGPU.csdata,"",@progbits
; Kernel info:
; codeLenInByte = 0
; NumSgprs: 4
; NumVgprs: 0
; NumAgprs: 0
; TotalNumVgprs: 0
; ScratchSize: 0
; MemoryBound: 0
; FloatMode: 240
; IeeeMode: 1
; LDSByteSize: 0 bytes/workgroup (compile time only)
; SGPRBlocks: 0
; VGPRBlocks: 0
; NumSGPRsForWavesPerEU: 4
; NumVGPRsForWavesPerEU: 1
; AccumOffset: 4
; Occupancy: 8
; WaveLimiterHint : 0
; COMPUTE_PGM_RSRC2:SCRATCH_EN: 0
; COMPUTE_PGM_RSRC2:USER_SGPR: 6
; COMPUTE_PGM_RSRC2:TRAP_HANDLER: 0
; COMPUTE_PGM_RSRC2:TGID_X_EN: 1
; COMPUTE_PGM_RSRC2:TGID_Y_EN: 0
; COMPUTE_PGM_RSRC2:TGID_Z_EN: 0
; COMPUTE_PGM_RSRC2:TIDIG_COMP_CNT: 0
; COMPUTE_PGM_RSRC3_GFX90A:ACCUM_OFFSET: 0
; COMPUTE_PGM_RSRC3_GFX90A:TG_SPLIT: 0
	.section	.text._ZN7rocprim17ROCPRIM_400000_NS6detail30init_device_scan_by_key_kernelINS1_19lookback_scan_stateINS0_5tupleIJibEEELb0ELb1EEEN6thrust23THRUST_200600_302600_NS6detail15normal_iteratorINS8_10device_ptrIxEEEEjNS1_16block_id_wrapperIjLb0EEEEEvT_jjPNSG_10value_typeET0_PNSt15iterator_traitsISJ_E10value_typeEmT1_T2_,"axG",@progbits,_ZN7rocprim17ROCPRIM_400000_NS6detail30init_device_scan_by_key_kernelINS1_19lookback_scan_stateINS0_5tupleIJibEEELb0ELb1EEEN6thrust23THRUST_200600_302600_NS6detail15normal_iteratorINS8_10device_ptrIxEEEEjNS1_16block_id_wrapperIjLb0EEEEEvT_jjPNSG_10value_typeET0_PNSt15iterator_traitsISJ_E10value_typeEmT1_T2_,comdat
	.protected	_ZN7rocprim17ROCPRIM_400000_NS6detail30init_device_scan_by_key_kernelINS1_19lookback_scan_stateINS0_5tupleIJibEEELb0ELb1EEEN6thrust23THRUST_200600_302600_NS6detail15normal_iteratorINS8_10device_ptrIxEEEEjNS1_16block_id_wrapperIjLb0EEEEEvT_jjPNSG_10value_typeET0_PNSt15iterator_traitsISJ_E10value_typeEmT1_T2_ ; -- Begin function _ZN7rocprim17ROCPRIM_400000_NS6detail30init_device_scan_by_key_kernelINS1_19lookback_scan_stateINS0_5tupleIJibEEELb0ELb1EEEN6thrust23THRUST_200600_302600_NS6detail15normal_iteratorINS8_10device_ptrIxEEEEjNS1_16block_id_wrapperIjLb0EEEEEvT_jjPNSG_10value_typeET0_PNSt15iterator_traitsISJ_E10value_typeEmT1_T2_
	.globl	_ZN7rocprim17ROCPRIM_400000_NS6detail30init_device_scan_by_key_kernelINS1_19lookback_scan_stateINS0_5tupleIJibEEELb0ELb1EEEN6thrust23THRUST_200600_302600_NS6detail15normal_iteratorINS8_10device_ptrIxEEEEjNS1_16block_id_wrapperIjLb0EEEEEvT_jjPNSG_10value_typeET0_PNSt15iterator_traitsISJ_E10value_typeEmT1_T2_
	.p2align	8
	.type	_ZN7rocprim17ROCPRIM_400000_NS6detail30init_device_scan_by_key_kernelINS1_19lookback_scan_stateINS0_5tupleIJibEEELb0ELb1EEEN6thrust23THRUST_200600_302600_NS6detail15normal_iteratorINS8_10device_ptrIxEEEEjNS1_16block_id_wrapperIjLb0EEEEEvT_jjPNSG_10value_typeET0_PNSt15iterator_traitsISJ_E10value_typeEmT1_T2_,@function
_ZN7rocprim17ROCPRIM_400000_NS6detail30init_device_scan_by_key_kernelINS1_19lookback_scan_stateINS0_5tupleIJibEEELb0ELb1EEEN6thrust23THRUST_200600_302600_NS6detail15normal_iteratorINS8_10device_ptrIxEEEEjNS1_16block_id_wrapperIjLb0EEEEEvT_jjPNSG_10value_typeET0_PNSt15iterator_traitsISJ_E10value_typeEmT1_T2_: ; @_ZN7rocprim17ROCPRIM_400000_NS6detail30init_device_scan_by_key_kernelINS1_19lookback_scan_stateINS0_5tupleIJibEEELb0ELb1EEEN6thrust23THRUST_200600_302600_NS6detail15normal_iteratorINS8_10device_ptrIxEEEEjNS1_16block_id_wrapperIjLb0EEEEEvT_jjPNSG_10value_typeET0_PNSt15iterator_traitsISJ_E10value_typeEmT1_T2_
; %bb.0:
	s_load_dword s0, s[4:5], 0x44
	s_load_dwordx8 s[8:15], s[4:5], 0x0
	s_load_dword s18, s[4:5], 0x38
	s_waitcnt lgkmcnt(0)
	s_and_b32 s19, s0, 0xffff
	s_mul_i32 s6, s6, s19
	s_cmp_eq_u64 s[12:13], 0
	v_add_u32_e32 v4, s6, v0
	s_cbranch_scc1 .LBB1001_8
; %bb.1:
	s_cmp_lt_u32 s11, s10
	s_cselect_b32 s0, s11, 0
	s_mov_b32 s3, 0
	v_cmp_eq_u32_e32 vcc, s0, v4
	s_and_saveexec_b64 s[0:1], vcc
	s_cbranch_execz .LBB1001_7
; %bb.2:
	s_add_i32 s2, s11, 64
	s_lshl_b64 s[2:3], s[2:3], 4
	s_add_u32 s16, s8, s2
	s_addc_u32 s17, s9, s3
	v_pk_mov_b32 v[0:1], s[16:17], s[16:17] op_sel:[0,1]
	;;#ASMSTART
	global_load_dwordx4 v[0:3], v[0:1] off glc	
s_waitcnt vmcnt(0)
	;;#ASMEND
	v_mov_b32_e32 v7, 0
	v_and_b32_e32 v6, 0xff, v2
	s_mov_b64 s[6:7], 0
	v_cmp_eq_u64_e32 vcc, 0, v[6:7]
	s_and_saveexec_b64 s[2:3], vcc
	s_cbranch_execz .LBB1001_6
; %bb.3:
	v_pk_mov_b32 v[8:9], s[16:17], s[16:17] op_sel:[0,1]
.LBB1001_4:                             ; =>This Inner Loop Header: Depth=1
	;;#ASMSTART
	global_load_dwordx4 v[0:3], v[8:9] off glc	
s_waitcnt vmcnt(0)
	;;#ASMEND
	v_and_b32_e32 v6, 0xff, v2
	v_cmp_ne_u64_e32 vcc, 0, v[6:7]
	s_or_b64 s[6:7], vcc, s[6:7]
	s_andn2_b64 exec, exec, s[6:7]
	s_cbranch_execnz .LBB1001_4
; %bb.5:
	s_or_b64 exec, exec, s[6:7]
.LBB1001_6:
	s_or_b64 exec, exec, s[2:3]
	v_mov_b32_e32 v2, 0
	global_store_dword v2, v0, s[12:13]
	global_store_byte v2, v1, s[12:13] offset:4
.LBB1001_7:
	s_or_b64 exec, exec, s[0:1]
.LBB1001_8:
	v_cmp_gt_u32_e32 vcc, s10, v4
	s_and_saveexec_b64 s[0:1], vcc
	s_cbranch_execz .LBB1001_10
; %bb.9:
	v_add_u32_e32 v0, 64, v4
	v_mov_b32_e32 v1, 0
	v_lshlrev_b64 v[2:3], 4, v[0:1]
	v_mov_b32_e32 v0, s9
	v_add_co_u32_e32 v6, vcc, s8, v2
	v_addc_co_u32_e32 v7, vcc, v0, v3, vcc
	v_mov_b32_e32 v0, v1
	v_mov_b32_e32 v2, v1
	;; [unrolled: 1-line block ×3, first 2 shown]
	global_store_dwordx4 v[6:7], v[0:3], off
.LBB1001_10:
	s_or_b64 exec, exec, s[0:1]
	v_cmp_gt_u32_e32 vcc, 64, v4
	v_mov_b32_e32 v5, 0
	s_and_saveexec_b64 s[0:1], vcc
	s_cbranch_execz .LBB1001_12
; %bb.11:
	v_lshlrev_b64 v[0:1], 4, v[4:5]
	v_mov_b32_e32 v2, s9
	v_add_co_u32_e32 v6, vcc, s8, v0
	v_addc_co_u32_e32 v7, vcc, v2, v1, vcc
	v_mov_b32_e32 v2, 0xff
	v_mov_b32_e32 v0, v5
	v_mov_b32_e32 v1, v5
	v_mov_b32_e32 v3, v5
	global_store_dwordx4 v[6:7], v[0:3], off
.LBB1001_12:
	s_or_b64 exec, exec, s[0:1]
	s_load_dwordx2 s[0:1], s[4:5], 0x28
	s_waitcnt lgkmcnt(0)
	v_cmp_gt_u64_e32 vcc, s[0:1], v[4:5]
	s_and_saveexec_b64 s[2:3], vcc
	s_cbranch_execz .LBB1001_15
; %bb.13:
	s_load_dword s10, s[4:5], 0x30
	s_load_dwordx2 s[6:7], s[4:5], 0x20
	s_mov_b32 s5, 0
	s_mov_b32 s3, s5
	s_mul_i32 s2, s18, s19
	s_waitcnt lgkmcnt(0)
	s_add_i32 s4, s10, -1
	s_lshl_b64 s[4:5], s[4:5], 3
	v_mad_u64_u32 v[0:1], s[8:9], s10, v4, 0
	s_add_u32 s4, s14, s4
	v_lshlrev_b64 v[0:1], 3, v[0:1]
	s_addc_u32 s5, s15, s5
	v_mov_b32_e32 v2, s5
	v_add_co_u32_e32 v0, vcc, s4, v0
	v_addc_co_u32_e32 v1, vcc, v2, v1, vcc
	s_mul_hi_u32 s5, s10, s2
	s_mul_i32 s4, s10, s2
	v_lshlrev_b64 v[2:3], 3, v[4:5]
	s_lshl_b64 s[4:5], s[4:5], 3
	v_mov_b32_e32 v6, s7
	v_add_co_u32_e32 v2, vcc, s6, v2
	s_lshl_b64 s[6:7], s[2:3], 3
	v_addc_co_u32_e32 v3, vcc, v6, v3, vcc
	s_mov_b64 s[8:9], 0
	v_mov_b32_e32 v6, s3
	v_mov_b32_e32 v7, s5
	;; [unrolled: 1-line block ×3, first 2 shown]
.LBB1001_14:                            ; =>This Inner Loop Header: Depth=1
	global_load_dwordx2 v[10:11], v[0:1], off
	v_add_co_u32_e32 v4, vcc, s2, v4
	v_addc_co_u32_e32 v5, vcc, v5, v6, vcc
	v_add_co_u32_e32 v0, vcc, s4, v0
	v_addc_co_u32_e32 v1, vcc, v1, v7, vcc
	v_cmp_le_u64_e32 vcc, s[0:1], v[4:5]
	s_or_b64 s[8:9], vcc, s[8:9]
	s_waitcnt vmcnt(0)
	global_store_dwordx2 v[2:3], v[10:11], off
	v_add_co_u32_e32 v2, vcc, s6, v2
	v_addc_co_u32_e32 v3, vcc, v3, v8, vcc
	s_andn2_b64 exec, exec, s[8:9]
	s_cbranch_execnz .LBB1001_14
.LBB1001_15:
	s_endpgm
	.section	.rodata,"a",@progbits
	.p2align	6, 0x0
	.amdhsa_kernel _ZN7rocprim17ROCPRIM_400000_NS6detail30init_device_scan_by_key_kernelINS1_19lookback_scan_stateINS0_5tupleIJibEEELb0ELb1EEEN6thrust23THRUST_200600_302600_NS6detail15normal_iteratorINS8_10device_ptrIxEEEEjNS1_16block_id_wrapperIjLb0EEEEEvT_jjPNSG_10value_typeET0_PNSt15iterator_traitsISJ_E10value_typeEmT1_T2_
		.amdhsa_group_segment_fixed_size 0
		.amdhsa_private_segment_fixed_size 0
		.amdhsa_kernarg_size 312
		.amdhsa_user_sgpr_count 6
		.amdhsa_user_sgpr_private_segment_buffer 1
		.amdhsa_user_sgpr_dispatch_ptr 0
		.amdhsa_user_sgpr_queue_ptr 0
		.amdhsa_user_sgpr_kernarg_segment_ptr 1
		.amdhsa_user_sgpr_dispatch_id 0
		.amdhsa_user_sgpr_flat_scratch_init 0
		.amdhsa_user_sgpr_kernarg_preload_length 0
		.amdhsa_user_sgpr_kernarg_preload_offset 0
		.amdhsa_user_sgpr_private_segment_size 0
		.amdhsa_uses_dynamic_stack 0
		.amdhsa_system_sgpr_private_segment_wavefront_offset 0
		.amdhsa_system_sgpr_workgroup_id_x 1
		.amdhsa_system_sgpr_workgroup_id_y 0
		.amdhsa_system_sgpr_workgroup_id_z 0
		.amdhsa_system_sgpr_workgroup_info 0
		.amdhsa_system_vgpr_workitem_id 0
		.amdhsa_next_free_vgpr 12
		.amdhsa_next_free_sgpr 20
		.amdhsa_accum_offset 12
		.amdhsa_reserve_vcc 1
		.amdhsa_reserve_flat_scratch 0
		.amdhsa_float_round_mode_32 0
		.amdhsa_float_round_mode_16_64 0
		.amdhsa_float_denorm_mode_32 3
		.amdhsa_float_denorm_mode_16_64 3
		.amdhsa_dx10_clamp 1
		.amdhsa_ieee_mode 1
		.amdhsa_fp16_overflow 0
		.amdhsa_tg_split 0
		.amdhsa_exception_fp_ieee_invalid_op 0
		.amdhsa_exception_fp_denorm_src 0
		.amdhsa_exception_fp_ieee_div_zero 0
		.amdhsa_exception_fp_ieee_overflow 0
		.amdhsa_exception_fp_ieee_underflow 0
		.amdhsa_exception_fp_ieee_inexact 0
		.amdhsa_exception_int_div_zero 0
	.end_amdhsa_kernel
	.section	.text._ZN7rocprim17ROCPRIM_400000_NS6detail30init_device_scan_by_key_kernelINS1_19lookback_scan_stateINS0_5tupleIJibEEELb0ELb1EEEN6thrust23THRUST_200600_302600_NS6detail15normal_iteratorINS8_10device_ptrIxEEEEjNS1_16block_id_wrapperIjLb0EEEEEvT_jjPNSG_10value_typeET0_PNSt15iterator_traitsISJ_E10value_typeEmT1_T2_,"axG",@progbits,_ZN7rocprim17ROCPRIM_400000_NS6detail30init_device_scan_by_key_kernelINS1_19lookback_scan_stateINS0_5tupleIJibEEELb0ELb1EEEN6thrust23THRUST_200600_302600_NS6detail15normal_iteratorINS8_10device_ptrIxEEEEjNS1_16block_id_wrapperIjLb0EEEEEvT_jjPNSG_10value_typeET0_PNSt15iterator_traitsISJ_E10value_typeEmT1_T2_,comdat
.Lfunc_end1001:
	.size	_ZN7rocprim17ROCPRIM_400000_NS6detail30init_device_scan_by_key_kernelINS1_19lookback_scan_stateINS0_5tupleIJibEEELb0ELb1EEEN6thrust23THRUST_200600_302600_NS6detail15normal_iteratorINS8_10device_ptrIxEEEEjNS1_16block_id_wrapperIjLb0EEEEEvT_jjPNSG_10value_typeET0_PNSt15iterator_traitsISJ_E10value_typeEmT1_T2_, .Lfunc_end1001-_ZN7rocprim17ROCPRIM_400000_NS6detail30init_device_scan_by_key_kernelINS1_19lookback_scan_stateINS0_5tupleIJibEEELb0ELb1EEEN6thrust23THRUST_200600_302600_NS6detail15normal_iteratorINS8_10device_ptrIxEEEEjNS1_16block_id_wrapperIjLb0EEEEEvT_jjPNSG_10value_typeET0_PNSt15iterator_traitsISJ_E10value_typeEmT1_T2_
                                        ; -- End function
	.section	.AMDGPU.csdata,"",@progbits
; Kernel info:
; codeLenInByte = 572
; NumSgprs: 24
; NumVgprs: 12
; NumAgprs: 0
; TotalNumVgprs: 12
; ScratchSize: 0
; MemoryBound: 0
; FloatMode: 240
; IeeeMode: 1
; LDSByteSize: 0 bytes/workgroup (compile time only)
; SGPRBlocks: 2
; VGPRBlocks: 1
; NumSGPRsForWavesPerEU: 24
; NumVGPRsForWavesPerEU: 12
; AccumOffset: 12
; Occupancy: 8
; WaveLimiterHint : 0
; COMPUTE_PGM_RSRC2:SCRATCH_EN: 0
; COMPUTE_PGM_RSRC2:USER_SGPR: 6
; COMPUTE_PGM_RSRC2:TRAP_HANDLER: 0
; COMPUTE_PGM_RSRC2:TGID_X_EN: 1
; COMPUTE_PGM_RSRC2:TGID_Y_EN: 0
; COMPUTE_PGM_RSRC2:TGID_Z_EN: 0
; COMPUTE_PGM_RSRC2:TIDIG_COMP_CNT: 0
; COMPUTE_PGM_RSRC3_GFX90A:ACCUM_OFFSET: 2
; COMPUTE_PGM_RSRC3_GFX90A:TG_SPLIT: 0
	.section	.text._ZN7rocprim17ROCPRIM_400000_NS6detail17trampoline_kernelINS0_14default_configENS1_27scan_by_key_config_selectorIxiEEZZNS1_16scan_by_key_implILNS1_25lookback_scan_determinismE0ELb1ES3_N6thrust23THRUST_200600_302600_NS6detail15normal_iteratorINS9_10device_ptrIxEEEESE_SE_iNS9_4plusIvEENS9_8equal_toIvEEiEE10hipError_tPvRmT2_T3_T4_T5_mT6_T7_P12ihipStream_tbENKUlT_T0_E_clISt17integral_constantIbLb0EESZ_EEDaSU_SV_EUlSU_E_NS1_11comp_targetILNS1_3genE0ELNS1_11target_archE4294967295ELNS1_3gpuE0ELNS1_3repE0EEENS1_30default_config_static_selectorELNS0_4arch9wavefront6targetE1EEEvT1_,"axG",@progbits,_ZN7rocprim17ROCPRIM_400000_NS6detail17trampoline_kernelINS0_14default_configENS1_27scan_by_key_config_selectorIxiEEZZNS1_16scan_by_key_implILNS1_25lookback_scan_determinismE0ELb1ES3_N6thrust23THRUST_200600_302600_NS6detail15normal_iteratorINS9_10device_ptrIxEEEESE_SE_iNS9_4plusIvEENS9_8equal_toIvEEiEE10hipError_tPvRmT2_T3_T4_T5_mT6_T7_P12ihipStream_tbENKUlT_T0_E_clISt17integral_constantIbLb0EESZ_EEDaSU_SV_EUlSU_E_NS1_11comp_targetILNS1_3genE0ELNS1_11target_archE4294967295ELNS1_3gpuE0ELNS1_3repE0EEENS1_30default_config_static_selectorELNS0_4arch9wavefront6targetE1EEEvT1_,comdat
	.protected	_ZN7rocprim17ROCPRIM_400000_NS6detail17trampoline_kernelINS0_14default_configENS1_27scan_by_key_config_selectorIxiEEZZNS1_16scan_by_key_implILNS1_25lookback_scan_determinismE0ELb1ES3_N6thrust23THRUST_200600_302600_NS6detail15normal_iteratorINS9_10device_ptrIxEEEESE_SE_iNS9_4plusIvEENS9_8equal_toIvEEiEE10hipError_tPvRmT2_T3_T4_T5_mT6_T7_P12ihipStream_tbENKUlT_T0_E_clISt17integral_constantIbLb0EESZ_EEDaSU_SV_EUlSU_E_NS1_11comp_targetILNS1_3genE0ELNS1_11target_archE4294967295ELNS1_3gpuE0ELNS1_3repE0EEENS1_30default_config_static_selectorELNS0_4arch9wavefront6targetE1EEEvT1_ ; -- Begin function _ZN7rocprim17ROCPRIM_400000_NS6detail17trampoline_kernelINS0_14default_configENS1_27scan_by_key_config_selectorIxiEEZZNS1_16scan_by_key_implILNS1_25lookback_scan_determinismE0ELb1ES3_N6thrust23THRUST_200600_302600_NS6detail15normal_iteratorINS9_10device_ptrIxEEEESE_SE_iNS9_4plusIvEENS9_8equal_toIvEEiEE10hipError_tPvRmT2_T3_T4_T5_mT6_T7_P12ihipStream_tbENKUlT_T0_E_clISt17integral_constantIbLb0EESZ_EEDaSU_SV_EUlSU_E_NS1_11comp_targetILNS1_3genE0ELNS1_11target_archE4294967295ELNS1_3gpuE0ELNS1_3repE0EEENS1_30default_config_static_selectorELNS0_4arch9wavefront6targetE1EEEvT1_
	.globl	_ZN7rocprim17ROCPRIM_400000_NS6detail17trampoline_kernelINS0_14default_configENS1_27scan_by_key_config_selectorIxiEEZZNS1_16scan_by_key_implILNS1_25lookback_scan_determinismE0ELb1ES3_N6thrust23THRUST_200600_302600_NS6detail15normal_iteratorINS9_10device_ptrIxEEEESE_SE_iNS9_4plusIvEENS9_8equal_toIvEEiEE10hipError_tPvRmT2_T3_T4_T5_mT6_T7_P12ihipStream_tbENKUlT_T0_E_clISt17integral_constantIbLb0EESZ_EEDaSU_SV_EUlSU_E_NS1_11comp_targetILNS1_3genE0ELNS1_11target_archE4294967295ELNS1_3gpuE0ELNS1_3repE0EEENS1_30default_config_static_selectorELNS0_4arch9wavefront6targetE1EEEvT1_
	.p2align	8
	.type	_ZN7rocprim17ROCPRIM_400000_NS6detail17trampoline_kernelINS0_14default_configENS1_27scan_by_key_config_selectorIxiEEZZNS1_16scan_by_key_implILNS1_25lookback_scan_determinismE0ELb1ES3_N6thrust23THRUST_200600_302600_NS6detail15normal_iteratorINS9_10device_ptrIxEEEESE_SE_iNS9_4plusIvEENS9_8equal_toIvEEiEE10hipError_tPvRmT2_T3_T4_T5_mT6_T7_P12ihipStream_tbENKUlT_T0_E_clISt17integral_constantIbLb0EESZ_EEDaSU_SV_EUlSU_E_NS1_11comp_targetILNS1_3genE0ELNS1_11target_archE4294967295ELNS1_3gpuE0ELNS1_3repE0EEENS1_30default_config_static_selectorELNS0_4arch9wavefront6targetE1EEEvT1_,@function
_ZN7rocprim17ROCPRIM_400000_NS6detail17trampoline_kernelINS0_14default_configENS1_27scan_by_key_config_selectorIxiEEZZNS1_16scan_by_key_implILNS1_25lookback_scan_determinismE0ELb1ES3_N6thrust23THRUST_200600_302600_NS6detail15normal_iteratorINS9_10device_ptrIxEEEESE_SE_iNS9_4plusIvEENS9_8equal_toIvEEiEE10hipError_tPvRmT2_T3_T4_T5_mT6_T7_P12ihipStream_tbENKUlT_T0_E_clISt17integral_constantIbLb0EESZ_EEDaSU_SV_EUlSU_E_NS1_11comp_targetILNS1_3genE0ELNS1_11target_archE4294967295ELNS1_3gpuE0ELNS1_3repE0EEENS1_30default_config_static_selectorELNS0_4arch9wavefront6targetE1EEEvT1_: ; @_ZN7rocprim17ROCPRIM_400000_NS6detail17trampoline_kernelINS0_14default_configENS1_27scan_by_key_config_selectorIxiEEZZNS1_16scan_by_key_implILNS1_25lookback_scan_determinismE0ELb1ES3_N6thrust23THRUST_200600_302600_NS6detail15normal_iteratorINS9_10device_ptrIxEEEESE_SE_iNS9_4plusIvEENS9_8equal_toIvEEiEE10hipError_tPvRmT2_T3_T4_T5_mT6_T7_P12ihipStream_tbENKUlT_T0_E_clISt17integral_constantIbLb0EESZ_EEDaSU_SV_EUlSU_E_NS1_11comp_targetILNS1_3genE0ELNS1_11target_archE4294967295ELNS1_3gpuE0ELNS1_3repE0EEENS1_30default_config_static_selectorELNS0_4arch9wavefront6targetE1EEEvT1_
; %bb.0:
	.section	.rodata,"a",@progbits
	.p2align	6, 0x0
	.amdhsa_kernel _ZN7rocprim17ROCPRIM_400000_NS6detail17trampoline_kernelINS0_14default_configENS1_27scan_by_key_config_selectorIxiEEZZNS1_16scan_by_key_implILNS1_25lookback_scan_determinismE0ELb1ES3_N6thrust23THRUST_200600_302600_NS6detail15normal_iteratorINS9_10device_ptrIxEEEESE_SE_iNS9_4plusIvEENS9_8equal_toIvEEiEE10hipError_tPvRmT2_T3_T4_T5_mT6_T7_P12ihipStream_tbENKUlT_T0_E_clISt17integral_constantIbLb0EESZ_EEDaSU_SV_EUlSU_E_NS1_11comp_targetILNS1_3genE0ELNS1_11target_archE4294967295ELNS1_3gpuE0ELNS1_3repE0EEENS1_30default_config_static_selectorELNS0_4arch9wavefront6targetE1EEEvT1_
		.amdhsa_group_segment_fixed_size 0
		.amdhsa_private_segment_fixed_size 0
		.amdhsa_kernarg_size 112
		.amdhsa_user_sgpr_count 6
		.amdhsa_user_sgpr_private_segment_buffer 1
		.amdhsa_user_sgpr_dispatch_ptr 0
		.amdhsa_user_sgpr_queue_ptr 0
		.amdhsa_user_sgpr_kernarg_segment_ptr 1
		.amdhsa_user_sgpr_dispatch_id 0
		.amdhsa_user_sgpr_flat_scratch_init 0
		.amdhsa_user_sgpr_kernarg_preload_length 0
		.amdhsa_user_sgpr_kernarg_preload_offset 0
		.amdhsa_user_sgpr_private_segment_size 0
		.amdhsa_uses_dynamic_stack 0
		.amdhsa_system_sgpr_private_segment_wavefront_offset 0
		.amdhsa_system_sgpr_workgroup_id_x 1
		.amdhsa_system_sgpr_workgroup_id_y 0
		.amdhsa_system_sgpr_workgroup_id_z 0
		.amdhsa_system_sgpr_workgroup_info 0
		.amdhsa_system_vgpr_workitem_id 0
		.amdhsa_next_free_vgpr 1
		.amdhsa_next_free_sgpr 0
		.amdhsa_accum_offset 4
		.amdhsa_reserve_vcc 0
		.amdhsa_reserve_flat_scratch 0
		.amdhsa_float_round_mode_32 0
		.amdhsa_float_round_mode_16_64 0
		.amdhsa_float_denorm_mode_32 3
		.amdhsa_float_denorm_mode_16_64 3
		.amdhsa_dx10_clamp 1
		.amdhsa_ieee_mode 1
		.amdhsa_fp16_overflow 0
		.amdhsa_tg_split 0
		.amdhsa_exception_fp_ieee_invalid_op 0
		.amdhsa_exception_fp_denorm_src 0
		.amdhsa_exception_fp_ieee_div_zero 0
		.amdhsa_exception_fp_ieee_overflow 0
		.amdhsa_exception_fp_ieee_underflow 0
		.amdhsa_exception_fp_ieee_inexact 0
		.amdhsa_exception_int_div_zero 0
	.end_amdhsa_kernel
	.section	.text._ZN7rocprim17ROCPRIM_400000_NS6detail17trampoline_kernelINS0_14default_configENS1_27scan_by_key_config_selectorIxiEEZZNS1_16scan_by_key_implILNS1_25lookback_scan_determinismE0ELb1ES3_N6thrust23THRUST_200600_302600_NS6detail15normal_iteratorINS9_10device_ptrIxEEEESE_SE_iNS9_4plusIvEENS9_8equal_toIvEEiEE10hipError_tPvRmT2_T3_T4_T5_mT6_T7_P12ihipStream_tbENKUlT_T0_E_clISt17integral_constantIbLb0EESZ_EEDaSU_SV_EUlSU_E_NS1_11comp_targetILNS1_3genE0ELNS1_11target_archE4294967295ELNS1_3gpuE0ELNS1_3repE0EEENS1_30default_config_static_selectorELNS0_4arch9wavefront6targetE1EEEvT1_,"axG",@progbits,_ZN7rocprim17ROCPRIM_400000_NS6detail17trampoline_kernelINS0_14default_configENS1_27scan_by_key_config_selectorIxiEEZZNS1_16scan_by_key_implILNS1_25lookback_scan_determinismE0ELb1ES3_N6thrust23THRUST_200600_302600_NS6detail15normal_iteratorINS9_10device_ptrIxEEEESE_SE_iNS9_4plusIvEENS9_8equal_toIvEEiEE10hipError_tPvRmT2_T3_T4_T5_mT6_T7_P12ihipStream_tbENKUlT_T0_E_clISt17integral_constantIbLb0EESZ_EEDaSU_SV_EUlSU_E_NS1_11comp_targetILNS1_3genE0ELNS1_11target_archE4294967295ELNS1_3gpuE0ELNS1_3repE0EEENS1_30default_config_static_selectorELNS0_4arch9wavefront6targetE1EEEvT1_,comdat
.Lfunc_end1002:
	.size	_ZN7rocprim17ROCPRIM_400000_NS6detail17trampoline_kernelINS0_14default_configENS1_27scan_by_key_config_selectorIxiEEZZNS1_16scan_by_key_implILNS1_25lookback_scan_determinismE0ELb1ES3_N6thrust23THRUST_200600_302600_NS6detail15normal_iteratorINS9_10device_ptrIxEEEESE_SE_iNS9_4plusIvEENS9_8equal_toIvEEiEE10hipError_tPvRmT2_T3_T4_T5_mT6_T7_P12ihipStream_tbENKUlT_T0_E_clISt17integral_constantIbLb0EESZ_EEDaSU_SV_EUlSU_E_NS1_11comp_targetILNS1_3genE0ELNS1_11target_archE4294967295ELNS1_3gpuE0ELNS1_3repE0EEENS1_30default_config_static_selectorELNS0_4arch9wavefront6targetE1EEEvT1_, .Lfunc_end1002-_ZN7rocprim17ROCPRIM_400000_NS6detail17trampoline_kernelINS0_14default_configENS1_27scan_by_key_config_selectorIxiEEZZNS1_16scan_by_key_implILNS1_25lookback_scan_determinismE0ELb1ES3_N6thrust23THRUST_200600_302600_NS6detail15normal_iteratorINS9_10device_ptrIxEEEESE_SE_iNS9_4plusIvEENS9_8equal_toIvEEiEE10hipError_tPvRmT2_T3_T4_T5_mT6_T7_P12ihipStream_tbENKUlT_T0_E_clISt17integral_constantIbLb0EESZ_EEDaSU_SV_EUlSU_E_NS1_11comp_targetILNS1_3genE0ELNS1_11target_archE4294967295ELNS1_3gpuE0ELNS1_3repE0EEENS1_30default_config_static_selectorELNS0_4arch9wavefront6targetE1EEEvT1_
                                        ; -- End function
	.section	.AMDGPU.csdata,"",@progbits
; Kernel info:
; codeLenInByte = 0
; NumSgprs: 4
; NumVgprs: 0
; NumAgprs: 0
; TotalNumVgprs: 0
; ScratchSize: 0
; MemoryBound: 0
; FloatMode: 240
; IeeeMode: 1
; LDSByteSize: 0 bytes/workgroup (compile time only)
; SGPRBlocks: 0
; VGPRBlocks: 0
; NumSGPRsForWavesPerEU: 4
; NumVGPRsForWavesPerEU: 1
; AccumOffset: 4
; Occupancy: 8
; WaveLimiterHint : 0
; COMPUTE_PGM_RSRC2:SCRATCH_EN: 0
; COMPUTE_PGM_RSRC2:USER_SGPR: 6
; COMPUTE_PGM_RSRC2:TRAP_HANDLER: 0
; COMPUTE_PGM_RSRC2:TGID_X_EN: 1
; COMPUTE_PGM_RSRC2:TGID_Y_EN: 0
; COMPUTE_PGM_RSRC2:TGID_Z_EN: 0
; COMPUTE_PGM_RSRC2:TIDIG_COMP_CNT: 0
; COMPUTE_PGM_RSRC3_GFX90A:ACCUM_OFFSET: 0
; COMPUTE_PGM_RSRC3_GFX90A:TG_SPLIT: 0
	.section	.text._ZN7rocprim17ROCPRIM_400000_NS6detail17trampoline_kernelINS0_14default_configENS1_27scan_by_key_config_selectorIxiEEZZNS1_16scan_by_key_implILNS1_25lookback_scan_determinismE0ELb1ES3_N6thrust23THRUST_200600_302600_NS6detail15normal_iteratorINS9_10device_ptrIxEEEESE_SE_iNS9_4plusIvEENS9_8equal_toIvEEiEE10hipError_tPvRmT2_T3_T4_T5_mT6_T7_P12ihipStream_tbENKUlT_T0_E_clISt17integral_constantIbLb0EESZ_EEDaSU_SV_EUlSU_E_NS1_11comp_targetILNS1_3genE10ELNS1_11target_archE1201ELNS1_3gpuE5ELNS1_3repE0EEENS1_30default_config_static_selectorELNS0_4arch9wavefront6targetE1EEEvT1_,"axG",@progbits,_ZN7rocprim17ROCPRIM_400000_NS6detail17trampoline_kernelINS0_14default_configENS1_27scan_by_key_config_selectorIxiEEZZNS1_16scan_by_key_implILNS1_25lookback_scan_determinismE0ELb1ES3_N6thrust23THRUST_200600_302600_NS6detail15normal_iteratorINS9_10device_ptrIxEEEESE_SE_iNS9_4plusIvEENS9_8equal_toIvEEiEE10hipError_tPvRmT2_T3_T4_T5_mT6_T7_P12ihipStream_tbENKUlT_T0_E_clISt17integral_constantIbLb0EESZ_EEDaSU_SV_EUlSU_E_NS1_11comp_targetILNS1_3genE10ELNS1_11target_archE1201ELNS1_3gpuE5ELNS1_3repE0EEENS1_30default_config_static_selectorELNS0_4arch9wavefront6targetE1EEEvT1_,comdat
	.protected	_ZN7rocprim17ROCPRIM_400000_NS6detail17trampoline_kernelINS0_14default_configENS1_27scan_by_key_config_selectorIxiEEZZNS1_16scan_by_key_implILNS1_25lookback_scan_determinismE0ELb1ES3_N6thrust23THRUST_200600_302600_NS6detail15normal_iteratorINS9_10device_ptrIxEEEESE_SE_iNS9_4plusIvEENS9_8equal_toIvEEiEE10hipError_tPvRmT2_T3_T4_T5_mT6_T7_P12ihipStream_tbENKUlT_T0_E_clISt17integral_constantIbLb0EESZ_EEDaSU_SV_EUlSU_E_NS1_11comp_targetILNS1_3genE10ELNS1_11target_archE1201ELNS1_3gpuE5ELNS1_3repE0EEENS1_30default_config_static_selectorELNS0_4arch9wavefront6targetE1EEEvT1_ ; -- Begin function _ZN7rocprim17ROCPRIM_400000_NS6detail17trampoline_kernelINS0_14default_configENS1_27scan_by_key_config_selectorIxiEEZZNS1_16scan_by_key_implILNS1_25lookback_scan_determinismE0ELb1ES3_N6thrust23THRUST_200600_302600_NS6detail15normal_iteratorINS9_10device_ptrIxEEEESE_SE_iNS9_4plusIvEENS9_8equal_toIvEEiEE10hipError_tPvRmT2_T3_T4_T5_mT6_T7_P12ihipStream_tbENKUlT_T0_E_clISt17integral_constantIbLb0EESZ_EEDaSU_SV_EUlSU_E_NS1_11comp_targetILNS1_3genE10ELNS1_11target_archE1201ELNS1_3gpuE5ELNS1_3repE0EEENS1_30default_config_static_selectorELNS0_4arch9wavefront6targetE1EEEvT1_
	.globl	_ZN7rocprim17ROCPRIM_400000_NS6detail17trampoline_kernelINS0_14default_configENS1_27scan_by_key_config_selectorIxiEEZZNS1_16scan_by_key_implILNS1_25lookback_scan_determinismE0ELb1ES3_N6thrust23THRUST_200600_302600_NS6detail15normal_iteratorINS9_10device_ptrIxEEEESE_SE_iNS9_4plusIvEENS9_8equal_toIvEEiEE10hipError_tPvRmT2_T3_T4_T5_mT6_T7_P12ihipStream_tbENKUlT_T0_E_clISt17integral_constantIbLb0EESZ_EEDaSU_SV_EUlSU_E_NS1_11comp_targetILNS1_3genE10ELNS1_11target_archE1201ELNS1_3gpuE5ELNS1_3repE0EEENS1_30default_config_static_selectorELNS0_4arch9wavefront6targetE1EEEvT1_
	.p2align	8
	.type	_ZN7rocprim17ROCPRIM_400000_NS6detail17trampoline_kernelINS0_14default_configENS1_27scan_by_key_config_selectorIxiEEZZNS1_16scan_by_key_implILNS1_25lookback_scan_determinismE0ELb1ES3_N6thrust23THRUST_200600_302600_NS6detail15normal_iteratorINS9_10device_ptrIxEEEESE_SE_iNS9_4plusIvEENS9_8equal_toIvEEiEE10hipError_tPvRmT2_T3_T4_T5_mT6_T7_P12ihipStream_tbENKUlT_T0_E_clISt17integral_constantIbLb0EESZ_EEDaSU_SV_EUlSU_E_NS1_11comp_targetILNS1_3genE10ELNS1_11target_archE1201ELNS1_3gpuE5ELNS1_3repE0EEENS1_30default_config_static_selectorELNS0_4arch9wavefront6targetE1EEEvT1_,@function
_ZN7rocprim17ROCPRIM_400000_NS6detail17trampoline_kernelINS0_14default_configENS1_27scan_by_key_config_selectorIxiEEZZNS1_16scan_by_key_implILNS1_25lookback_scan_determinismE0ELb1ES3_N6thrust23THRUST_200600_302600_NS6detail15normal_iteratorINS9_10device_ptrIxEEEESE_SE_iNS9_4plusIvEENS9_8equal_toIvEEiEE10hipError_tPvRmT2_T3_T4_T5_mT6_T7_P12ihipStream_tbENKUlT_T0_E_clISt17integral_constantIbLb0EESZ_EEDaSU_SV_EUlSU_E_NS1_11comp_targetILNS1_3genE10ELNS1_11target_archE1201ELNS1_3gpuE5ELNS1_3repE0EEENS1_30default_config_static_selectorELNS0_4arch9wavefront6targetE1EEEvT1_: ; @_ZN7rocprim17ROCPRIM_400000_NS6detail17trampoline_kernelINS0_14default_configENS1_27scan_by_key_config_selectorIxiEEZZNS1_16scan_by_key_implILNS1_25lookback_scan_determinismE0ELb1ES3_N6thrust23THRUST_200600_302600_NS6detail15normal_iteratorINS9_10device_ptrIxEEEESE_SE_iNS9_4plusIvEENS9_8equal_toIvEEiEE10hipError_tPvRmT2_T3_T4_T5_mT6_T7_P12ihipStream_tbENKUlT_T0_E_clISt17integral_constantIbLb0EESZ_EEDaSU_SV_EUlSU_E_NS1_11comp_targetILNS1_3genE10ELNS1_11target_archE1201ELNS1_3gpuE5ELNS1_3repE0EEENS1_30default_config_static_selectorELNS0_4arch9wavefront6targetE1EEEvT1_
; %bb.0:
	.section	.rodata,"a",@progbits
	.p2align	6, 0x0
	.amdhsa_kernel _ZN7rocprim17ROCPRIM_400000_NS6detail17trampoline_kernelINS0_14default_configENS1_27scan_by_key_config_selectorIxiEEZZNS1_16scan_by_key_implILNS1_25lookback_scan_determinismE0ELb1ES3_N6thrust23THRUST_200600_302600_NS6detail15normal_iteratorINS9_10device_ptrIxEEEESE_SE_iNS9_4plusIvEENS9_8equal_toIvEEiEE10hipError_tPvRmT2_T3_T4_T5_mT6_T7_P12ihipStream_tbENKUlT_T0_E_clISt17integral_constantIbLb0EESZ_EEDaSU_SV_EUlSU_E_NS1_11comp_targetILNS1_3genE10ELNS1_11target_archE1201ELNS1_3gpuE5ELNS1_3repE0EEENS1_30default_config_static_selectorELNS0_4arch9wavefront6targetE1EEEvT1_
		.amdhsa_group_segment_fixed_size 0
		.amdhsa_private_segment_fixed_size 0
		.amdhsa_kernarg_size 112
		.amdhsa_user_sgpr_count 6
		.amdhsa_user_sgpr_private_segment_buffer 1
		.amdhsa_user_sgpr_dispatch_ptr 0
		.amdhsa_user_sgpr_queue_ptr 0
		.amdhsa_user_sgpr_kernarg_segment_ptr 1
		.amdhsa_user_sgpr_dispatch_id 0
		.amdhsa_user_sgpr_flat_scratch_init 0
		.amdhsa_user_sgpr_kernarg_preload_length 0
		.amdhsa_user_sgpr_kernarg_preload_offset 0
		.amdhsa_user_sgpr_private_segment_size 0
		.amdhsa_uses_dynamic_stack 0
		.amdhsa_system_sgpr_private_segment_wavefront_offset 0
		.amdhsa_system_sgpr_workgroup_id_x 1
		.amdhsa_system_sgpr_workgroup_id_y 0
		.amdhsa_system_sgpr_workgroup_id_z 0
		.amdhsa_system_sgpr_workgroup_info 0
		.amdhsa_system_vgpr_workitem_id 0
		.amdhsa_next_free_vgpr 1
		.amdhsa_next_free_sgpr 0
		.amdhsa_accum_offset 4
		.amdhsa_reserve_vcc 0
		.amdhsa_reserve_flat_scratch 0
		.amdhsa_float_round_mode_32 0
		.amdhsa_float_round_mode_16_64 0
		.amdhsa_float_denorm_mode_32 3
		.amdhsa_float_denorm_mode_16_64 3
		.amdhsa_dx10_clamp 1
		.amdhsa_ieee_mode 1
		.amdhsa_fp16_overflow 0
		.amdhsa_tg_split 0
		.amdhsa_exception_fp_ieee_invalid_op 0
		.amdhsa_exception_fp_denorm_src 0
		.amdhsa_exception_fp_ieee_div_zero 0
		.amdhsa_exception_fp_ieee_overflow 0
		.amdhsa_exception_fp_ieee_underflow 0
		.amdhsa_exception_fp_ieee_inexact 0
		.amdhsa_exception_int_div_zero 0
	.end_amdhsa_kernel
	.section	.text._ZN7rocprim17ROCPRIM_400000_NS6detail17trampoline_kernelINS0_14default_configENS1_27scan_by_key_config_selectorIxiEEZZNS1_16scan_by_key_implILNS1_25lookback_scan_determinismE0ELb1ES3_N6thrust23THRUST_200600_302600_NS6detail15normal_iteratorINS9_10device_ptrIxEEEESE_SE_iNS9_4plusIvEENS9_8equal_toIvEEiEE10hipError_tPvRmT2_T3_T4_T5_mT6_T7_P12ihipStream_tbENKUlT_T0_E_clISt17integral_constantIbLb0EESZ_EEDaSU_SV_EUlSU_E_NS1_11comp_targetILNS1_3genE10ELNS1_11target_archE1201ELNS1_3gpuE5ELNS1_3repE0EEENS1_30default_config_static_selectorELNS0_4arch9wavefront6targetE1EEEvT1_,"axG",@progbits,_ZN7rocprim17ROCPRIM_400000_NS6detail17trampoline_kernelINS0_14default_configENS1_27scan_by_key_config_selectorIxiEEZZNS1_16scan_by_key_implILNS1_25lookback_scan_determinismE0ELb1ES3_N6thrust23THRUST_200600_302600_NS6detail15normal_iteratorINS9_10device_ptrIxEEEESE_SE_iNS9_4plusIvEENS9_8equal_toIvEEiEE10hipError_tPvRmT2_T3_T4_T5_mT6_T7_P12ihipStream_tbENKUlT_T0_E_clISt17integral_constantIbLb0EESZ_EEDaSU_SV_EUlSU_E_NS1_11comp_targetILNS1_3genE10ELNS1_11target_archE1201ELNS1_3gpuE5ELNS1_3repE0EEENS1_30default_config_static_selectorELNS0_4arch9wavefront6targetE1EEEvT1_,comdat
.Lfunc_end1003:
	.size	_ZN7rocprim17ROCPRIM_400000_NS6detail17trampoline_kernelINS0_14default_configENS1_27scan_by_key_config_selectorIxiEEZZNS1_16scan_by_key_implILNS1_25lookback_scan_determinismE0ELb1ES3_N6thrust23THRUST_200600_302600_NS6detail15normal_iteratorINS9_10device_ptrIxEEEESE_SE_iNS9_4plusIvEENS9_8equal_toIvEEiEE10hipError_tPvRmT2_T3_T4_T5_mT6_T7_P12ihipStream_tbENKUlT_T0_E_clISt17integral_constantIbLb0EESZ_EEDaSU_SV_EUlSU_E_NS1_11comp_targetILNS1_3genE10ELNS1_11target_archE1201ELNS1_3gpuE5ELNS1_3repE0EEENS1_30default_config_static_selectorELNS0_4arch9wavefront6targetE1EEEvT1_, .Lfunc_end1003-_ZN7rocprim17ROCPRIM_400000_NS6detail17trampoline_kernelINS0_14default_configENS1_27scan_by_key_config_selectorIxiEEZZNS1_16scan_by_key_implILNS1_25lookback_scan_determinismE0ELb1ES3_N6thrust23THRUST_200600_302600_NS6detail15normal_iteratorINS9_10device_ptrIxEEEESE_SE_iNS9_4plusIvEENS9_8equal_toIvEEiEE10hipError_tPvRmT2_T3_T4_T5_mT6_T7_P12ihipStream_tbENKUlT_T0_E_clISt17integral_constantIbLb0EESZ_EEDaSU_SV_EUlSU_E_NS1_11comp_targetILNS1_3genE10ELNS1_11target_archE1201ELNS1_3gpuE5ELNS1_3repE0EEENS1_30default_config_static_selectorELNS0_4arch9wavefront6targetE1EEEvT1_
                                        ; -- End function
	.section	.AMDGPU.csdata,"",@progbits
; Kernel info:
; codeLenInByte = 0
; NumSgprs: 4
; NumVgprs: 0
; NumAgprs: 0
; TotalNumVgprs: 0
; ScratchSize: 0
; MemoryBound: 0
; FloatMode: 240
; IeeeMode: 1
; LDSByteSize: 0 bytes/workgroup (compile time only)
; SGPRBlocks: 0
; VGPRBlocks: 0
; NumSGPRsForWavesPerEU: 4
; NumVGPRsForWavesPerEU: 1
; AccumOffset: 4
; Occupancy: 8
; WaveLimiterHint : 0
; COMPUTE_PGM_RSRC2:SCRATCH_EN: 0
; COMPUTE_PGM_RSRC2:USER_SGPR: 6
; COMPUTE_PGM_RSRC2:TRAP_HANDLER: 0
; COMPUTE_PGM_RSRC2:TGID_X_EN: 1
; COMPUTE_PGM_RSRC2:TGID_Y_EN: 0
; COMPUTE_PGM_RSRC2:TGID_Z_EN: 0
; COMPUTE_PGM_RSRC2:TIDIG_COMP_CNT: 0
; COMPUTE_PGM_RSRC3_GFX90A:ACCUM_OFFSET: 0
; COMPUTE_PGM_RSRC3_GFX90A:TG_SPLIT: 0
	.section	.text._ZN7rocprim17ROCPRIM_400000_NS6detail17trampoline_kernelINS0_14default_configENS1_27scan_by_key_config_selectorIxiEEZZNS1_16scan_by_key_implILNS1_25lookback_scan_determinismE0ELb1ES3_N6thrust23THRUST_200600_302600_NS6detail15normal_iteratorINS9_10device_ptrIxEEEESE_SE_iNS9_4plusIvEENS9_8equal_toIvEEiEE10hipError_tPvRmT2_T3_T4_T5_mT6_T7_P12ihipStream_tbENKUlT_T0_E_clISt17integral_constantIbLb0EESZ_EEDaSU_SV_EUlSU_E_NS1_11comp_targetILNS1_3genE5ELNS1_11target_archE942ELNS1_3gpuE9ELNS1_3repE0EEENS1_30default_config_static_selectorELNS0_4arch9wavefront6targetE1EEEvT1_,"axG",@progbits,_ZN7rocprim17ROCPRIM_400000_NS6detail17trampoline_kernelINS0_14default_configENS1_27scan_by_key_config_selectorIxiEEZZNS1_16scan_by_key_implILNS1_25lookback_scan_determinismE0ELb1ES3_N6thrust23THRUST_200600_302600_NS6detail15normal_iteratorINS9_10device_ptrIxEEEESE_SE_iNS9_4plusIvEENS9_8equal_toIvEEiEE10hipError_tPvRmT2_T3_T4_T5_mT6_T7_P12ihipStream_tbENKUlT_T0_E_clISt17integral_constantIbLb0EESZ_EEDaSU_SV_EUlSU_E_NS1_11comp_targetILNS1_3genE5ELNS1_11target_archE942ELNS1_3gpuE9ELNS1_3repE0EEENS1_30default_config_static_selectorELNS0_4arch9wavefront6targetE1EEEvT1_,comdat
	.protected	_ZN7rocprim17ROCPRIM_400000_NS6detail17trampoline_kernelINS0_14default_configENS1_27scan_by_key_config_selectorIxiEEZZNS1_16scan_by_key_implILNS1_25lookback_scan_determinismE0ELb1ES3_N6thrust23THRUST_200600_302600_NS6detail15normal_iteratorINS9_10device_ptrIxEEEESE_SE_iNS9_4plusIvEENS9_8equal_toIvEEiEE10hipError_tPvRmT2_T3_T4_T5_mT6_T7_P12ihipStream_tbENKUlT_T0_E_clISt17integral_constantIbLb0EESZ_EEDaSU_SV_EUlSU_E_NS1_11comp_targetILNS1_3genE5ELNS1_11target_archE942ELNS1_3gpuE9ELNS1_3repE0EEENS1_30default_config_static_selectorELNS0_4arch9wavefront6targetE1EEEvT1_ ; -- Begin function _ZN7rocprim17ROCPRIM_400000_NS6detail17trampoline_kernelINS0_14default_configENS1_27scan_by_key_config_selectorIxiEEZZNS1_16scan_by_key_implILNS1_25lookback_scan_determinismE0ELb1ES3_N6thrust23THRUST_200600_302600_NS6detail15normal_iteratorINS9_10device_ptrIxEEEESE_SE_iNS9_4plusIvEENS9_8equal_toIvEEiEE10hipError_tPvRmT2_T3_T4_T5_mT6_T7_P12ihipStream_tbENKUlT_T0_E_clISt17integral_constantIbLb0EESZ_EEDaSU_SV_EUlSU_E_NS1_11comp_targetILNS1_3genE5ELNS1_11target_archE942ELNS1_3gpuE9ELNS1_3repE0EEENS1_30default_config_static_selectorELNS0_4arch9wavefront6targetE1EEEvT1_
	.globl	_ZN7rocprim17ROCPRIM_400000_NS6detail17trampoline_kernelINS0_14default_configENS1_27scan_by_key_config_selectorIxiEEZZNS1_16scan_by_key_implILNS1_25lookback_scan_determinismE0ELb1ES3_N6thrust23THRUST_200600_302600_NS6detail15normal_iteratorINS9_10device_ptrIxEEEESE_SE_iNS9_4plusIvEENS9_8equal_toIvEEiEE10hipError_tPvRmT2_T3_T4_T5_mT6_T7_P12ihipStream_tbENKUlT_T0_E_clISt17integral_constantIbLb0EESZ_EEDaSU_SV_EUlSU_E_NS1_11comp_targetILNS1_3genE5ELNS1_11target_archE942ELNS1_3gpuE9ELNS1_3repE0EEENS1_30default_config_static_selectorELNS0_4arch9wavefront6targetE1EEEvT1_
	.p2align	8
	.type	_ZN7rocprim17ROCPRIM_400000_NS6detail17trampoline_kernelINS0_14default_configENS1_27scan_by_key_config_selectorIxiEEZZNS1_16scan_by_key_implILNS1_25lookback_scan_determinismE0ELb1ES3_N6thrust23THRUST_200600_302600_NS6detail15normal_iteratorINS9_10device_ptrIxEEEESE_SE_iNS9_4plusIvEENS9_8equal_toIvEEiEE10hipError_tPvRmT2_T3_T4_T5_mT6_T7_P12ihipStream_tbENKUlT_T0_E_clISt17integral_constantIbLb0EESZ_EEDaSU_SV_EUlSU_E_NS1_11comp_targetILNS1_3genE5ELNS1_11target_archE942ELNS1_3gpuE9ELNS1_3repE0EEENS1_30default_config_static_selectorELNS0_4arch9wavefront6targetE1EEEvT1_,@function
_ZN7rocprim17ROCPRIM_400000_NS6detail17trampoline_kernelINS0_14default_configENS1_27scan_by_key_config_selectorIxiEEZZNS1_16scan_by_key_implILNS1_25lookback_scan_determinismE0ELb1ES3_N6thrust23THRUST_200600_302600_NS6detail15normal_iteratorINS9_10device_ptrIxEEEESE_SE_iNS9_4plusIvEENS9_8equal_toIvEEiEE10hipError_tPvRmT2_T3_T4_T5_mT6_T7_P12ihipStream_tbENKUlT_T0_E_clISt17integral_constantIbLb0EESZ_EEDaSU_SV_EUlSU_E_NS1_11comp_targetILNS1_3genE5ELNS1_11target_archE942ELNS1_3gpuE9ELNS1_3repE0EEENS1_30default_config_static_selectorELNS0_4arch9wavefront6targetE1EEEvT1_: ; @_ZN7rocprim17ROCPRIM_400000_NS6detail17trampoline_kernelINS0_14default_configENS1_27scan_by_key_config_selectorIxiEEZZNS1_16scan_by_key_implILNS1_25lookback_scan_determinismE0ELb1ES3_N6thrust23THRUST_200600_302600_NS6detail15normal_iteratorINS9_10device_ptrIxEEEESE_SE_iNS9_4plusIvEENS9_8equal_toIvEEiEE10hipError_tPvRmT2_T3_T4_T5_mT6_T7_P12ihipStream_tbENKUlT_T0_E_clISt17integral_constantIbLb0EESZ_EEDaSU_SV_EUlSU_E_NS1_11comp_targetILNS1_3genE5ELNS1_11target_archE942ELNS1_3gpuE9ELNS1_3repE0EEENS1_30default_config_static_selectorELNS0_4arch9wavefront6targetE1EEEvT1_
; %bb.0:
	.section	.rodata,"a",@progbits
	.p2align	6, 0x0
	.amdhsa_kernel _ZN7rocprim17ROCPRIM_400000_NS6detail17trampoline_kernelINS0_14default_configENS1_27scan_by_key_config_selectorIxiEEZZNS1_16scan_by_key_implILNS1_25lookback_scan_determinismE0ELb1ES3_N6thrust23THRUST_200600_302600_NS6detail15normal_iteratorINS9_10device_ptrIxEEEESE_SE_iNS9_4plusIvEENS9_8equal_toIvEEiEE10hipError_tPvRmT2_T3_T4_T5_mT6_T7_P12ihipStream_tbENKUlT_T0_E_clISt17integral_constantIbLb0EESZ_EEDaSU_SV_EUlSU_E_NS1_11comp_targetILNS1_3genE5ELNS1_11target_archE942ELNS1_3gpuE9ELNS1_3repE0EEENS1_30default_config_static_selectorELNS0_4arch9wavefront6targetE1EEEvT1_
		.amdhsa_group_segment_fixed_size 0
		.amdhsa_private_segment_fixed_size 0
		.amdhsa_kernarg_size 112
		.amdhsa_user_sgpr_count 6
		.amdhsa_user_sgpr_private_segment_buffer 1
		.amdhsa_user_sgpr_dispatch_ptr 0
		.amdhsa_user_sgpr_queue_ptr 0
		.amdhsa_user_sgpr_kernarg_segment_ptr 1
		.amdhsa_user_sgpr_dispatch_id 0
		.amdhsa_user_sgpr_flat_scratch_init 0
		.amdhsa_user_sgpr_kernarg_preload_length 0
		.amdhsa_user_sgpr_kernarg_preload_offset 0
		.amdhsa_user_sgpr_private_segment_size 0
		.amdhsa_uses_dynamic_stack 0
		.amdhsa_system_sgpr_private_segment_wavefront_offset 0
		.amdhsa_system_sgpr_workgroup_id_x 1
		.amdhsa_system_sgpr_workgroup_id_y 0
		.amdhsa_system_sgpr_workgroup_id_z 0
		.amdhsa_system_sgpr_workgroup_info 0
		.amdhsa_system_vgpr_workitem_id 0
		.amdhsa_next_free_vgpr 1
		.amdhsa_next_free_sgpr 0
		.amdhsa_accum_offset 4
		.amdhsa_reserve_vcc 0
		.amdhsa_reserve_flat_scratch 0
		.amdhsa_float_round_mode_32 0
		.amdhsa_float_round_mode_16_64 0
		.amdhsa_float_denorm_mode_32 3
		.amdhsa_float_denorm_mode_16_64 3
		.amdhsa_dx10_clamp 1
		.amdhsa_ieee_mode 1
		.amdhsa_fp16_overflow 0
		.amdhsa_tg_split 0
		.amdhsa_exception_fp_ieee_invalid_op 0
		.amdhsa_exception_fp_denorm_src 0
		.amdhsa_exception_fp_ieee_div_zero 0
		.amdhsa_exception_fp_ieee_overflow 0
		.amdhsa_exception_fp_ieee_underflow 0
		.amdhsa_exception_fp_ieee_inexact 0
		.amdhsa_exception_int_div_zero 0
	.end_amdhsa_kernel
	.section	.text._ZN7rocprim17ROCPRIM_400000_NS6detail17trampoline_kernelINS0_14default_configENS1_27scan_by_key_config_selectorIxiEEZZNS1_16scan_by_key_implILNS1_25lookback_scan_determinismE0ELb1ES3_N6thrust23THRUST_200600_302600_NS6detail15normal_iteratorINS9_10device_ptrIxEEEESE_SE_iNS9_4plusIvEENS9_8equal_toIvEEiEE10hipError_tPvRmT2_T3_T4_T5_mT6_T7_P12ihipStream_tbENKUlT_T0_E_clISt17integral_constantIbLb0EESZ_EEDaSU_SV_EUlSU_E_NS1_11comp_targetILNS1_3genE5ELNS1_11target_archE942ELNS1_3gpuE9ELNS1_3repE0EEENS1_30default_config_static_selectorELNS0_4arch9wavefront6targetE1EEEvT1_,"axG",@progbits,_ZN7rocprim17ROCPRIM_400000_NS6detail17trampoline_kernelINS0_14default_configENS1_27scan_by_key_config_selectorIxiEEZZNS1_16scan_by_key_implILNS1_25lookback_scan_determinismE0ELb1ES3_N6thrust23THRUST_200600_302600_NS6detail15normal_iteratorINS9_10device_ptrIxEEEESE_SE_iNS9_4plusIvEENS9_8equal_toIvEEiEE10hipError_tPvRmT2_T3_T4_T5_mT6_T7_P12ihipStream_tbENKUlT_T0_E_clISt17integral_constantIbLb0EESZ_EEDaSU_SV_EUlSU_E_NS1_11comp_targetILNS1_3genE5ELNS1_11target_archE942ELNS1_3gpuE9ELNS1_3repE0EEENS1_30default_config_static_selectorELNS0_4arch9wavefront6targetE1EEEvT1_,comdat
.Lfunc_end1004:
	.size	_ZN7rocprim17ROCPRIM_400000_NS6detail17trampoline_kernelINS0_14default_configENS1_27scan_by_key_config_selectorIxiEEZZNS1_16scan_by_key_implILNS1_25lookback_scan_determinismE0ELb1ES3_N6thrust23THRUST_200600_302600_NS6detail15normal_iteratorINS9_10device_ptrIxEEEESE_SE_iNS9_4plusIvEENS9_8equal_toIvEEiEE10hipError_tPvRmT2_T3_T4_T5_mT6_T7_P12ihipStream_tbENKUlT_T0_E_clISt17integral_constantIbLb0EESZ_EEDaSU_SV_EUlSU_E_NS1_11comp_targetILNS1_3genE5ELNS1_11target_archE942ELNS1_3gpuE9ELNS1_3repE0EEENS1_30default_config_static_selectorELNS0_4arch9wavefront6targetE1EEEvT1_, .Lfunc_end1004-_ZN7rocprim17ROCPRIM_400000_NS6detail17trampoline_kernelINS0_14default_configENS1_27scan_by_key_config_selectorIxiEEZZNS1_16scan_by_key_implILNS1_25lookback_scan_determinismE0ELb1ES3_N6thrust23THRUST_200600_302600_NS6detail15normal_iteratorINS9_10device_ptrIxEEEESE_SE_iNS9_4plusIvEENS9_8equal_toIvEEiEE10hipError_tPvRmT2_T3_T4_T5_mT6_T7_P12ihipStream_tbENKUlT_T0_E_clISt17integral_constantIbLb0EESZ_EEDaSU_SV_EUlSU_E_NS1_11comp_targetILNS1_3genE5ELNS1_11target_archE942ELNS1_3gpuE9ELNS1_3repE0EEENS1_30default_config_static_selectorELNS0_4arch9wavefront6targetE1EEEvT1_
                                        ; -- End function
	.section	.AMDGPU.csdata,"",@progbits
; Kernel info:
; codeLenInByte = 0
; NumSgprs: 4
; NumVgprs: 0
; NumAgprs: 0
; TotalNumVgprs: 0
; ScratchSize: 0
; MemoryBound: 0
; FloatMode: 240
; IeeeMode: 1
; LDSByteSize: 0 bytes/workgroup (compile time only)
; SGPRBlocks: 0
; VGPRBlocks: 0
; NumSGPRsForWavesPerEU: 4
; NumVGPRsForWavesPerEU: 1
; AccumOffset: 4
; Occupancy: 8
; WaveLimiterHint : 0
; COMPUTE_PGM_RSRC2:SCRATCH_EN: 0
; COMPUTE_PGM_RSRC2:USER_SGPR: 6
; COMPUTE_PGM_RSRC2:TRAP_HANDLER: 0
; COMPUTE_PGM_RSRC2:TGID_X_EN: 1
; COMPUTE_PGM_RSRC2:TGID_Y_EN: 0
; COMPUTE_PGM_RSRC2:TGID_Z_EN: 0
; COMPUTE_PGM_RSRC2:TIDIG_COMP_CNT: 0
; COMPUTE_PGM_RSRC3_GFX90A:ACCUM_OFFSET: 0
; COMPUTE_PGM_RSRC3_GFX90A:TG_SPLIT: 0
	.section	.text._ZN7rocprim17ROCPRIM_400000_NS6detail17trampoline_kernelINS0_14default_configENS1_27scan_by_key_config_selectorIxiEEZZNS1_16scan_by_key_implILNS1_25lookback_scan_determinismE0ELb1ES3_N6thrust23THRUST_200600_302600_NS6detail15normal_iteratorINS9_10device_ptrIxEEEESE_SE_iNS9_4plusIvEENS9_8equal_toIvEEiEE10hipError_tPvRmT2_T3_T4_T5_mT6_T7_P12ihipStream_tbENKUlT_T0_E_clISt17integral_constantIbLb0EESZ_EEDaSU_SV_EUlSU_E_NS1_11comp_targetILNS1_3genE4ELNS1_11target_archE910ELNS1_3gpuE8ELNS1_3repE0EEENS1_30default_config_static_selectorELNS0_4arch9wavefront6targetE1EEEvT1_,"axG",@progbits,_ZN7rocprim17ROCPRIM_400000_NS6detail17trampoline_kernelINS0_14default_configENS1_27scan_by_key_config_selectorIxiEEZZNS1_16scan_by_key_implILNS1_25lookback_scan_determinismE0ELb1ES3_N6thrust23THRUST_200600_302600_NS6detail15normal_iteratorINS9_10device_ptrIxEEEESE_SE_iNS9_4plusIvEENS9_8equal_toIvEEiEE10hipError_tPvRmT2_T3_T4_T5_mT6_T7_P12ihipStream_tbENKUlT_T0_E_clISt17integral_constantIbLb0EESZ_EEDaSU_SV_EUlSU_E_NS1_11comp_targetILNS1_3genE4ELNS1_11target_archE910ELNS1_3gpuE8ELNS1_3repE0EEENS1_30default_config_static_selectorELNS0_4arch9wavefront6targetE1EEEvT1_,comdat
	.protected	_ZN7rocprim17ROCPRIM_400000_NS6detail17trampoline_kernelINS0_14default_configENS1_27scan_by_key_config_selectorIxiEEZZNS1_16scan_by_key_implILNS1_25lookback_scan_determinismE0ELb1ES3_N6thrust23THRUST_200600_302600_NS6detail15normal_iteratorINS9_10device_ptrIxEEEESE_SE_iNS9_4plusIvEENS9_8equal_toIvEEiEE10hipError_tPvRmT2_T3_T4_T5_mT6_T7_P12ihipStream_tbENKUlT_T0_E_clISt17integral_constantIbLb0EESZ_EEDaSU_SV_EUlSU_E_NS1_11comp_targetILNS1_3genE4ELNS1_11target_archE910ELNS1_3gpuE8ELNS1_3repE0EEENS1_30default_config_static_selectorELNS0_4arch9wavefront6targetE1EEEvT1_ ; -- Begin function _ZN7rocprim17ROCPRIM_400000_NS6detail17trampoline_kernelINS0_14default_configENS1_27scan_by_key_config_selectorIxiEEZZNS1_16scan_by_key_implILNS1_25lookback_scan_determinismE0ELb1ES3_N6thrust23THRUST_200600_302600_NS6detail15normal_iteratorINS9_10device_ptrIxEEEESE_SE_iNS9_4plusIvEENS9_8equal_toIvEEiEE10hipError_tPvRmT2_T3_T4_T5_mT6_T7_P12ihipStream_tbENKUlT_T0_E_clISt17integral_constantIbLb0EESZ_EEDaSU_SV_EUlSU_E_NS1_11comp_targetILNS1_3genE4ELNS1_11target_archE910ELNS1_3gpuE8ELNS1_3repE0EEENS1_30default_config_static_selectorELNS0_4arch9wavefront6targetE1EEEvT1_
	.globl	_ZN7rocprim17ROCPRIM_400000_NS6detail17trampoline_kernelINS0_14default_configENS1_27scan_by_key_config_selectorIxiEEZZNS1_16scan_by_key_implILNS1_25lookback_scan_determinismE0ELb1ES3_N6thrust23THRUST_200600_302600_NS6detail15normal_iteratorINS9_10device_ptrIxEEEESE_SE_iNS9_4plusIvEENS9_8equal_toIvEEiEE10hipError_tPvRmT2_T3_T4_T5_mT6_T7_P12ihipStream_tbENKUlT_T0_E_clISt17integral_constantIbLb0EESZ_EEDaSU_SV_EUlSU_E_NS1_11comp_targetILNS1_3genE4ELNS1_11target_archE910ELNS1_3gpuE8ELNS1_3repE0EEENS1_30default_config_static_selectorELNS0_4arch9wavefront6targetE1EEEvT1_
	.p2align	8
	.type	_ZN7rocprim17ROCPRIM_400000_NS6detail17trampoline_kernelINS0_14default_configENS1_27scan_by_key_config_selectorIxiEEZZNS1_16scan_by_key_implILNS1_25lookback_scan_determinismE0ELb1ES3_N6thrust23THRUST_200600_302600_NS6detail15normal_iteratorINS9_10device_ptrIxEEEESE_SE_iNS9_4plusIvEENS9_8equal_toIvEEiEE10hipError_tPvRmT2_T3_T4_T5_mT6_T7_P12ihipStream_tbENKUlT_T0_E_clISt17integral_constantIbLb0EESZ_EEDaSU_SV_EUlSU_E_NS1_11comp_targetILNS1_3genE4ELNS1_11target_archE910ELNS1_3gpuE8ELNS1_3repE0EEENS1_30default_config_static_selectorELNS0_4arch9wavefront6targetE1EEEvT1_,@function
_ZN7rocprim17ROCPRIM_400000_NS6detail17trampoline_kernelINS0_14default_configENS1_27scan_by_key_config_selectorIxiEEZZNS1_16scan_by_key_implILNS1_25lookback_scan_determinismE0ELb1ES3_N6thrust23THRUST_200600_302600_NS6detail15normal_iteratorINS9_10device_ptrIxEEEESE_SE_iNS9_4plusIvEENS9_8equal_toIvEEiEE10hipError_tPvRmT2_T3_T4_T5_mT6_T7_P12ihipStream_tbENKUlT_T0_E_clISt17integral_constantIbLb0EESZ_EEDaSU_SV_EUlSU_E_NS1_11comp_targetILNS1_3genE4ELNS1_11target_archE910ELNS1_3gpuE8ELNS1_3repE0EEENS1_30default_config_static_selectorELNS0_4arch9wavefront6targetE1EEEvT1_: ; @_ZN7rocprim17ROCPRIM_400000_NS6detail17trampoline_kernelINS0_14default_configENS1_27scan_by_key_config_selectorIxiEEZZNS1_16scan_by_key_implILNS1_25lookback_scan_determinismE0ELb1ES3_N6thrust23THRUST_200600_302600_NS6detail15normal_iteratorINS9_10device_ptrIxEEEESE_SE_iNS9_4plusIvEENS9_8equal_toIvEEiEE10hipError_tPvRmT2_T3_T4_T5_mT6_T7_P12ihipStream_tbENKUlT_T0_E_clISt17integral_constantIbLb0EESZ_EEDaSU_SV_EUlSU_E_NS1_11comp_targetILNS1_3genE4ELNS1_11target_archE910ELNS1_3gpuE8ELNS1_3repE0EEENS1_30default_config_static_selectorELNS0_4arch9wavefront6targetE1EEEvT1_
; %bb.0:
	s_load_dwordx8 s[36:43], s[4:5], 0x0
	s_load_dword s56, s[4:5], 0x20
	s_load_dwordx4 s[44:47], s[4:5], 0x28
	s_load_dwordx2 s[52:53], s[4:5], 0x38
	s_load_dword s0, s[4:5], 0x40
	s_load_dwordx4 s[48:51], s[4:5], 0x48
	s_waitcnt lgkmcnt(0)
	s_lshl_b64 s[34:35], s[38:39], 3
	s_add_u32 s2, s36, s34
	s_addc_u32 s3, s37, s35
	s_add_u32 s4, s40, s34
	s_mul_i32 s1, s53, s0
	s_mul_hi_u32 s7, s52, s0
	s_addc_u32 s5, s41, s35
	s_add_i32 s8, s7, s1
	s_mul_i32 s9, s52, s0
	s_mul_i32 s0, s6, 0xe00
	s_mov_b32 s1, 0
	s_lshl_b64 s[36:37], s[0:1], 3
	s_add_u32 s38, s2, s36
	s_addc_u32 s39, s3, s37
	s_add_u32 s7, s4, s36
	s_addc_u32 s47, s5, s37
	;; [unrolled: 2-line block ×3, first 2 shown]
	s_add_u32 s4, s48, -1
	s_addc_u32 s5, s49, -1
	v_pk_mov_b32 v[2:3], s[4:5], s[4:5] op_sel:[0,1]
	v_cmp_ge_u64_e64 s[0:1], s[0:1], v[2:3]
	s_mov_b64 s[2:3], -1
	s_and_b64 vcc, exec, s[0:1]
	s_mul_i32 s33, s4, 0xfffff200
	s_barrier
	s_cbranch_vccz .LBB1005_76
; %bb.1:
	v_pk_mov_b32 v[2:3], s[38:39], s[38:39] op_sel:[0,1]
	flat_load_dwordx2 v[2:3], v[2:3]
	s_add_i32 s54, s33, s46
	v_cmp_gt_u32_e32 vcc, s54, v0
	s_waitcnt vmcnt(0) lgkmcnt(0)
	v_pk_mov_b32 v[4:5], v[2:3], v[2:3] op_sel:[0,1]
	s_and_saveexec_b64 s[4:5], vcc
	s_cbranch_execz .LBB1005_3
; %bb.2:
	v_lshlrev_b32_e32 v1, 3, v0
	v_mov_b32_e32 v5, s39
	v_add_co_u32_e64 v4, s[2:3], s38, v1
	v_addc_co_u32_e64 v5, s[2:3], 0, v5, s[2:3]
	flat_load_dwordx2 v[4:5], v[4:5]
.LBB1005_3:
	s_or_b64 exec, exec, s[4:5]
	v_or_b32_e32 v1, 0x100, v0
	v_cmp_gt_u32_e64 s[2:3], s54, v1
	v_pk_mov_b32 v[6:7], v[2:3], v[2:3] op_sel:[0,1]
	s_and_saveexec_b64 s[8:9], s[2:3]
	s_cbranch_execz .LBB1005_5
; %bb.4:
	v_lshlrev_b32_e32 v1, 3, v0
	v_mov_b32_e32 v7, s39
	v_add_co_u32_e64 v6, s[4:5], s38, v1
	v_addc_co_u32_e64 v7, s[4:5], 0, v7, s[4:5]
	flat_load_dwordx2 v[6:7], v[6:7] offset:2048
.LBB1005_5:
	s_or_b64 exec, exec, s[8:9]
	v_or_b32_e32 v1, 0x200, v0
	v_cmp_gt_u32_e64 s[4:5], s54, v1
	v_lshlrev_b32_e32 v1, 3, v1
	v_pk_mov_b32 v[8:9], v[2:3], v[2:3] op_sel:[0,1]
	s_and_saveexec_b64 s[10:11], s[4:5]
	s_cbranch_execz .LBB1005_7
; %bb.6:
	v_mov_b32_e32 v9, s39
	v_add_co_u32_e64 v8, s[8:9], s38, v1
	v_addc_co_u32_e64 v9, s[8:9], 0, v9, s[8:9]
	flat_load_dwordx2 v[8:9], v[8:9]
.LBB1005_7:
	s_or_b64 exec, exec, s[10:11]
	v_or_b32_e32 v10, 0x300, v0
	v_cmp_gt_u32_e64 s[28:29], s54, v10
	v_lshlrev_b32_e32 v54, 3, v10
	v_pk_mov_b32 v[10:11], v[2:3], v[2:3] op_sel:[0,1]
	s_and_saveexec_b64 s[10:11], s[28:29]
	s_cbranch_execz .LBB1005_9
; %bb.8:
	v_mov_b32_e32 v11, s39
	v_add_co_u32_e64 v10, s[8:9], s38, v54
	v_addc_co_u32_e64 v11, s[8:9], 0, v11, s[8:9]
	flat_load_dwordx2 v[10:11], v[10:11]
.LBB1005_9:
	;; [unrolled: 13-line block ×11, first 2 shown]
	s_or_b64 exec, exec, s[30:31]
	v_or_b32_e32 v30, 0xd00, v0
	v_cmp_gt_u32_e64 s[26:27], s54, v30
	v_lshlrev_b32_e32 v66, 3, v30
	s_and_saveexec_b64 s[40:41], s[26:27]
	s_cbranch_execz .LBB1005_29
; %bb.28:
	v_mov_b32_e32 v3, s39
	v_add_co_u32_e64 v2, s[30:31], s38, v66
	v_addc_co_u32_e64 v3, s[30:31], 0, v3, s[30:31]
	flat_load_dwordx2 v[2:3], v[2:3]
.LBB1005_29:
	s_or_b64 exec, exec, s[40:41]
	v_lshlrev_b32_e32 v67, 3, v0
	s_waitcnt vmcnt(0) lgkmcnt(0)
	ds_write2st64_b64 v67, v[4:5], v[6:7] offset1:4
	ds_write2st64_b64 v67, v[8:9], v[10:11] offset0:8 offset1:12
	ds_write2st64_b64 v67, v[12:13], v[14:15] offset0:16 offset1:20
	;; [unrolled: 1-line block ×6, first 2 shown]
	v_pk_mov_b32 v[2:3], s[38:39], s[38:39] op_sel:[0,1]
	s_waitcnt lgkmcnt(0)
	s_barrier
	flat_load_dwordx2 v[56:57], v[2:3]
	s_movk_i32 s30, 0x68
	v_mad_u32_u24 v2, v0, s30, v67
	s_movk_i32 s30, 0xff98
	ds_read_b128 v[50:53], v2
	ds_read_b128 v[46:49], v2 offset:16
	ds_read_b128 v[42:45], v2 offset:32
	;; [unrolled: 1-line block ×6, first 2 shown]
	v_mad_i32_i24 v2, v0, s30, v2
	s_movk_i32 s30, 0xff
	v_cmp_ne_u32_e64 s[30:31], s30, v0
	s_waitcnt lgkmcnt(0)
	ds_write_b64 v2, v[50:51] offset:30720
	s_waitcnt lgkmcnt(0)
	s_barrier
	s_and_saveexec_b64 s[40:41], s[30:31]
	s_cbranch_execz .LBB1005_31
; %bb.30:
	s_waitcnt vmcnt(0)
	ds_read_b64 v[56:57], v67 offset:30728
.LBB1005_31:
	s_or_b64 exec, exec, s[40:41]
	s_waitcnt lgkmcnt(0)
	s_barrier
	s_waitcnt lgkmcnt(0)
                                        ; implicit-def: $vgpr3
	s_and_saveexec_b64 s[30:31], vcc
	s_cbranch_execz .LBB1005_113
; %bb.32:
	v_mov_b32_e32 v3, s47
	v_add_co_u32_e32 v4, vcc, s7, v67
	v_addc_co_u32_e32 v5, vcc, 0, v3, vcc
	flat_load_dword v3, v[4:5]
	s_or_b64 exec, exec, s[30:31]
                                        ; implicit-def: $vgpr4
	s_and_saveexec_b64 s[30:31], s[2:3]
	s_cbranch_execnz .LBB1005_114
.LBB1005_33:
	s_or_b64 exec, exec, s[30:31]
                                        ; implicit-def: $vgpr5
	s_and_saveexec_b64 s[2:3], s[4:5]
	s_cbranch_execz .LBB1005_115
.LBB1005_34:
	v_mov_b32_e32 v5, s47
	v_add_co_u32_e32 v6, vcc, s7, v1
	v_addc_co_u32_e32 v7, vcc, 0, v5, vcc
	flat_load_dword v5, v[6:7]
	s_or_b64 exec, exec, s[2:3]
                                        ; implicit-def: $vgpr6
	s_and_saveexec_b64 s[2:3], s[28:29]
	s_cbranch_execnz .LBB1005_116
.LBB1005_35:
	s_or_b64 exec, exec, s[2:3]
                                        ; implicit-def: $vgpr7
	s_and_saveexec_b64 s[2:3], s[8:9]
	s_cbranch_execz .LBB1005_117
.LBB1005_36:
	v_mov_b32_e32 v1, s47
	v_add_co_u32_e32 v8, vcc, s7, v55
	v_addc_co_u32_e32 v9, vcc, 0, v1, vcc
	flat_load_dword v7, v[8:9]
	s_or_b64 exec, exec, s[2:3]
                                        ; implicit-def: $vgpr8
	s_and_saveexec_b64 s[2:3], s[10:11]
	s_cbranch_execnz .LBB1005_118
.LBB1005_37:
	s_or_b64 exec, exec, s[2:3]
                                        ; implicit-def: $vgpr9
	s_and_saveexec_b64 s[2:3], s[12:13]
	s_cbranch_execz .LBB1005_119
.LBB1005_38:
	v_mov_b32_e32 v1, s47
	v_add_co_u32_e32 v10, vcc, s7, v59
	v_addc_co_u32_e32 v11, vcc, 0, v1, vcc
	flat_load_dword v9, v[10:11]
	s_or_b64 exec, exec, s[2:3]
                                        ; implicit-def: $vgpr10
	s_and_saveexec_b64 s[2:3], s[14:15]
	s_cbranch_execnz .LBB1005_120
.LBB1005_39:
	s_or_b64 exec, exec, s[2:3]
                                        ; implicit-def: $vgpr11
	s_and_saveexec_b64 s[2:3], s[16:17]
	s_cbranch_execz .LBB1005_121
.LBB1005_40:
	v_mov_b32_e32 v1, s47
	v_add_co_u32_e32 v12, vcc, s7, v61
	v_addc_co_u32_e32 v13, vcc, 0, v1, vcc
	flat_load_dword v11, v[12:13]
	s_or_b64 exec, exec, s[2:3]
                                        ; implicit-def: $vgpr12
	s_and_saveexec_b64 s[2:3], s[18:19]
	s_cbranch_execnz .LBB1005_122
.LBB1005_41:
	s_or_b64 exec, exec, s[2:3]
                                        ; implicit-def: $vgpr13
	s_and_saveexec_b64 s[2:3], s[20:21]
	s_cbranch_execz .LBB1005_123
.LBB1005_42:
	v_mov_b32_e32 v1, s47
	v_add_co_u32_e32 v14, vcc, s7, v63
	v_addc_co_u32_e32 v15, vcc, 0, v1, vcc
	flat_load_dword v13, v[14:15]
	s_or_b64 exec, exec, s[2:3]
                                        ; implicit-def: $vgpr14
	s_and_saveexec_b64 s[2:3], s[22:23]
	s_cbranch_execnz .LBB1005_124
.LBB1005_43:
	s_or_b64 exec, exec, s[2:3]
                                        ; implicit-def: $vgpr15
	s_and_saveexec_b64 s[2:3], s[24:25]
	s_cbranch_execz .LBB1005_45
.LBB1005_44:
	v_mov_b32_e32 v1, s47
	v_add_co_u32_e32 v16, vcc, s7, v65
	v_addc_co_u32_e32 v17, vcc, 0, v1, vcc
	flat_load_dword v15, v[16:17]
.LBB1005_45:
	s_or_b64 exec, exec, s[2:3]
	v_mul_u32_u24_e32 v1, 14, v0
                                        ; implicit-def: $vgpr16
	s_and_saveexec_b64 s[2:3], s[26:27]
	s_cbranch_execz .LBB1005_47
; %bb.46:
	v_mov_b32_e32 v17, s47
	v_add_co_u32_e32 v16, vcc, s7, v66
	v_addc_co_u32_e32 v17, vcc, 0, v17, vcc
	flat_load_dword v16, v[16:17]
.LBB1005_47:
	s_or_b64 exec, exec, s[2:3]
	v_lshlrev_b32_e32 v17, 2, v0
	s_mov_b32 s8, 0
	v_sub_u32_e32 v59, v2, v17
	s_mov_b32 s9, s8
	s_waitcnt vmcnt(0) lgkmcnt(0)
	ds_write2st64_b32 v59, v3, v4 offset1:4
	ds_write2st64_b32 v59, v5, v6 offset0:8 offset1:12
	ds_write2st64_b32 v59, v7, v8 offset0:16 offset1:20
	;; [unrolled: 1-line block ×6, first 2 shown]
	s_mov_b32 s10, s8
	s_mov_b32 s11, s8
	;; [unrolled: 1-line block ×6, first 2 shown]
	v_pk_mov_b32 v[2:3], s[8:9], s[8:9] op_sel:[0,1]
	v_pk_mov_b32 v[8:9], s[14:15], s[14:15] op_sel:[0,1]
	;; [unrolled: 1-line block ×6, first 2 shown]
	v_cmp_gt_u32_e32 vcc, s54, v1
	s_mov_b64 s[2:3], 0
	v_pk_mov_b32 v[54:55], 0, 0
	s_mov_b64 s[18:19], 0
	v_pk_mov_b32 v[14:15], v[6:7], v[6:7] op_sel:[0,1]
	v_pk_mov_b32 v[12:13], v[4:5], v[4:5] op_sel:[0,1]
	;; [unrolled: 1-line block ×6, first 2 shown]
	s_waitcnt lgkmcnt(0)
	s_barrier
	s_waitcnt lgkmcnt(0)
                                        ; implicit-def: $sgpr16_sgpr17
                                        ; implicit-def: $vgpr58
	s_and_saveexec_b64 s[4:5], vcc
	s_cbranch_execz .LBB1005_75
; %bb.48:
	v_mad_u32_u24 v2, v0, 52, v59
	ds_read_b32 v2, v2
	v_mov_b32_e32 v4, s56
	v_cmp_eq_u64_e32 vcc, v[50:51], v[52:53]
	v_or_b32_e32 v3, 1, v1
                                        ; implicit-def: $vgpr58
	s_waitcnt lgkmcnt(0)
	v_cndmask_b32_e32 v54, v4, v2, vcc
	v_cmp_ne_u64_e32 vcc, v[50:51], v[52:53]
	v_cndmask_b32_e64 v55, 0, 1, vcc
	v_cmp_gt_u32_e32 vcc, s54, v3
	v_pk_mov_b32 v[2:3], s[8:9], s[8:9] op_sel:[0,1]
	v_pk_mov_b32 v[8:9], s[14:15], s[14:15] op_sel:[0,1]
	;; [unrolled: 1-line block ×12, first 2 shown]
                                        ; implicit-def: $sgpr8_sgpr9
	s_and_saveexec_b64 s[16:17], vcc
	s_cbranch_execz .LBB1005_74
; %bb.49:
	v_mul_u32_u24_e32 v2, 52, v0
	v_add_u32_e32 v59, v59, v2
	ds_read2_b32 v[50:51], v59 offset0:1 offset1:2
	s_mov_b32 s8, 0
	v_mov_b32_e32 v3, s56
	v_cmp_eq_u64_e32 vcc, v[52:53], v[46:47]
	s_mov_b32 s14, s8
	s_mov_b32 s15, s8
	v_add_u32_e32 v2, 2, v1
	s_waitcnt lgkmcnt(0)
	v_cndmask_b32_e32 v8, v3, v50, vcc
	v_cmp_ne_u64_e32 vcc, v[52:53], v[46:47]
	s_mov_b32 s9, s8
	s_mov_b32 s10, s8
	;; [unrolled: 1-line block ×5, first 2 shown]
	v_pk_mov_b32 v[16:17], s[14:15], s[14:15] op_sel:[0,1]
	v_cndmask_b32_e64 v9, 0, 1, vcc
	v_cmp_gt_u32_e32 vcc, s54, v2
	v_mov_b32_e32 v2, 0
	v_pk_mov_b32 v[14:15], s[12:13], s[12:13] op_sel:[0,1]
	v_pk_mov_b32 v[12:13], s[10:11], s[10:11] op_sel:[0,1]
	;; [unrolled: 1-line block ×4, first 2 shown]
	v_mov_b32_e32 v3, v2
	v_mov_b32_e32 v4, v2
	;; [unrolled: 1-line block ×5, first 2 shown]
	s_mov_b64 s[20:21], 0
	v_pk_mov_b32 v[22:23], v[14:15], v[14:15] op_sel:[0,1]
	v_pk_mov_b32 v[20:21], v[12:13], v[12:13] op_sel:[0,1]
	;; [unrolled: 1-line block ×3, first 2 shown]
                                        ; implicit-def: $sgpr24_sgpr25
                                        ; implicit-def: $vgpr58
	s_and_saveexec_b64 s[18:19], vcc
	s_cbranch_execz .LBB1005_73
; %bb.50:
	v_mov_b32_e32 v4, s56
	v_cmp_eq_u64_e32 vcc, v[46:47], v[48:49]
	v_pk_mov_b32 v[16:17], s[14:15], s[14:15] op_sel:[0,1]
	v_add_u32_e32 v3, 3, v1
	v_cndmask_b32_e32 v6, v4, v51, vcc
	v_cmp_ne_u64_e32 vcc, v[46:47], v[48:49]
	v_pk_mov_b32 v[14:15], s[12:13], s[12:13] op_sel:[0,1]
	v_pk_mov_b32 v[12:13], s[10:11], s[10:11] op_sel:[0,1]
	;; [unrolled: 1-line block ×4, first 2 shown]
	v_cndmask_b32_e64 v7, 0, 1, vcc
	v_cmp_gt_u32_e32 vcc, s54, v3
	v_mov_b32_e32 v3, v2
	v_mov_b32_e32 v4, v2
	;; [unrolled: 1-line block ×3, first 2 shown]
	s_mov_b64 s[22:23], 0
	v_pk_mov_b32 v[22:23], v[14:15], v[14:15] op_sel:[0,1]
	v_pk_mov_b32 v[20:21], v[12:13], v[12:13] op_sel:[0,1]
	;; [unrolled: 1-line block ×3, first 2 shown]
                                        ; implicit-def: $sgpr8_sgpr9
                                        ; implicit-def: $vgpr58
	s_and_saveexec_b64 s[20:21], vcc
	s_cbranch_execz .LBB1005_72
; %bb.51:
	ds_read2_b32 v[46:47], v59 offset0:3 offset1:4
	s_mov_b32 s8, 0
	s_mov_b32 s14, s8
	;; [unrolled: 1-line block ×3, first 2 shown]
	v_mov_b32_e32 v3, s56
	v_cmp_eq_u64_e32 vcc, v[48:49], v[42:43]
	s_mov_b32 s9, s8
	s_mov_b32 s10, s8
	;; [unrolled: 1-line block ×5, first 2 shown]
	v_pk_mov_b32 v[16:17], s[14:15], s[14:15] op_sel:[0,1]
	v_add_u32_e32 v2, 4, v1
	s_waitcnt lgkmcnt(0)
	v_cndmask_b32_e32 v4, v3, v46, vcc
	v_cmp_ne_u64_e32 vcc, v[48:49], v[42:43]
	v_pk_mov_b32 v[14:15], s[12:13], s[12:13] op_sel:[0,1]
	v_pk_mov_b32 v[12:13], s[10:11], s[10:11] op_sel:[0,1]
	;; [unrolled: 1-line block ×4, first 2 shown]
	v_cndmask_b32_e64 v5, 0, 1, vcc
	v_cmp_gt_u32_e32 vcc, s54, v2
	v_mov_b32_e32 v2, s8
	v_mov_b32_e32 v3, s8
	s_mov_b64 s[24:25], 0
	v_pk_mov_b32 v[22:23], v[14:15], v[14:15] op_sel:[0,1]
	v_pk_mov_b32 v[20:21], v[12:13], v[12:13] op_sel:[0,1]
	;; [unrolled: 1-line block ×3, first 2 shown]
                                        ; implicit-def: $sgpr26_sgpr27
                                        ; implicit-def: $vgpr58
	s_and_saveexec_b64 s[22:23], vcc
	s_cbranch_execz .LBB1005_71
; %bb.52:
	v_mov_b32_e32 v2, s56
	v_cmp_eq_u64_e32 vcc, v[42:43], v[44:45]
	v_add_u32_e32 v10, 5, v1
	v_cndmask_b32_e32 v2, v2, v47, vcc
	v_cmp_ne_u64_e32 vcc, v[42:43], v[44:45]
	v_cndmask_b32_e64 v3, 0, 1, vcc
	v_cmp_gt_u32_e32 vcc, s54, v10
	v_pk_mov_b32 v[16:17], s[14:15], s[14:15] op_sel:[0,1]
	v_pk_mov_b32 v[14:15], s[12:13], s[12:13] op_sel:[0,1]
	;; [unrolled: 1-line block ×5, first 2 shown]
	s_mov_b64 s[28:29], 0
	v_pk_mov_b32 v[22:23], v[14:15], v[14:15] op_sel:[0,1]
	v_pk_mov_b32 v[20:21], v[12:13], v[12:13] op_sel:[0,1]
	;; [unrolled: 1-line block ×3, first 2 shown]
                                        ; implicit-def: $sgpr8_sgpr9
                                        ; implicit-def: $vgpr58
	s_and_saveexec_b64 s[24:25], vcc
	s_cbranch_execz .LBB1005_70
; %bb.53:
	ds_read2_b32 v[42:43], v59 offset0:5 offset1:6
	v_mov_b32_e32 v11, s56
	v_cmp_eq_u64_e32 vcc, v[44:45], v[38:39]
	s_mov_b32 s8, 0
	v_add_u32_e32 v10, 6, v1
	s_waitcnt lgkmcnt(0)
	v_cndmask_b32_e32 v16, v11, v42, vcc
	v_cmp_ne_u64_e32 vcc, v[44:45], v[38:39]
	s_mov_b32 s14, s8
	s_mov_b32 s15, s8
	v_cndmask_b32_e64 v17, 0, 1, vcc
	v_cmp_gt_u32_e32 vcc, s54, v10
	v_mov_b32_e32 v10, 0
	s_mov_b32 s9, s8
	s_mov_b32 s10, s8
	;; [unrolled: 1-line block ×5, first 2 shown]
	v_pk_mov_b32 v[24:25], s[14:15], s[14:15] op_sel:[0,1]
	v_mov_b32_e32 v11, v10
	v_mov_b32_e32 v12, v10
	;; [unrolled: 1-line block ×5, first 2 shown]
	v_pk_mov_b32 v[22:23], s[12:13], s[12:13] op_sel:[0,1]
	v_pk_mov_b32 v[20:21], s[10:11], s[10:11] op_sel:[0,1]
	;; [unrolled: 1-line block ×3, first 2 shown]
                                        ; implicit-def: $sgpr40_sgpr41
                                        ; implicit-def: $vgpr58
	s_and_saveexec_b64 s[26:27], vcc
	s_cbranch_execz .LBB1005_69
; %bb.54:
	v_mov_b32_e32 v12, s56
	v_cmp_eq_u64_e32 vcc, v[38:39], v[40:41]
	v_add_u32_e32 v11, 7, v1
	v_cndmask_b32_e32 v14, v12, v43, vcc
	v_cmp_ne_u64_e32 vcc, v[38:39], v[40:41]
	v_pk_mov_b32 v[24:25], s[14:15], s[14:15] op_sel:[0,1]
	v_cndmask_b32_e64 v15, 0, 1, vcc
	v_cmp_gt_u32_e32 vcc, s54, v11
	v_mov_b32_e32 v11, v10
	v_mov_b32_e32 v12, v10
	;; [unrolled: 1-line block ×3, first 2 shown]
	s_mov_b64 s[30:31], 0
	v_pk_mov_b32 v[22:23], s[12:13], s[12:13] op_sel:[0,1]
	v_pk_mov_b32 v[20:21], s[10:11], s[10:11] op_sel:[0,1]
	;; [unrolled: 1-line block ×3, first 2 shown]
                                        ; implicit-def: $sgpr8_sgpr9
                                        ; implicit-def: $vgpr58
	s_and_saveexec_b64 s[28:29], vcc
	s_cbranch_execz .LBB1005_68
; %bb.55:
	ds_read2_b32 v[38:39], v59 offset0:7 offset1:8
	s_mov_b32 s8, 0
	v_mov_b32_e32 v11, s56
	v_cmp_eq_u64_e32 vcc, v[40:41], v[34:35]
	s_mov_b32 s14, s8
	s_mov_b32 s15, s8
	v_add_u32_e32 v10, 8, v1
	s_waitcnt lgkmcnt(0)
	v_cndmask_b32_e32 v12, v11, v38, vcc
	v_cmp_ne_u64_e32 vcc, v[40:41], v[34:35]
	s_mov_b32 s9, s8
	s_mov_b32 s10, s8
	;; [unrolled: 1-line block ×5, first 2 shown]
	v_pk_mov_b32 v[24:25], s[14:15], s[14:15] op_sel:[0,1]
	v_cndmask_b32_e64 v13, 0, 1, vcc
	v_cmp_gt_u32_e32 vcc, s54, v10
	v_mov_b32_e32 v10, s8
	v_mov_b32_e32 v11, s8
	s_mov_b64 s[40:41], 0
	v_pk_mov_b32 v[22:23], s[12:13], s[12:13] op_sel:[0,1]
	v_pk_mov_b32 v[20:21], s[10:11], s[10:11] op_sel:[0,1]
	;; [unrolled: 1-line block ×3, first 2 shown]
                                        ; implicit-def: $sgpr48_sgpr49
                                        ; implicit-def: $vgpr58
	s_and_saveexec_b64 s[30:31], vcc
	s_cbranch_execz .LBB1005_67
; %bb.56:
	v_mov_b32_e32 v10, s56
	v_cmp_eq_u64_e32 vcc, v[34:35], v[36:37]
	v_add_u32_e32 v18, 9, v1
	v_cndmask_b32_e32 v10, v10, v39, vcc
	v_cmp_ne_u64_e32 vcc, v[34:35], v[36:37]
	v_cndmask_b32_e64 v11, 0, 1, vcc
	v_cmp_gt_u32_e32 vcc, s54, v18
	v_pk_mov_b32 v[24:25], s[14:15], s[14:15] op_sel:[0,1]
	v_pk_mov_b32 v[22:23], s[12:13], s[12:13] op_sel:[0,1]
	;; [unrolled: 1-line block ×4, first 2 shown]
                                        ; implicit-def: $sgpr10_sgpr11
                                        ; implicit-def: $vgpr58
	s_and_saveexec_b64 s[8:9], vcc
	s_cbranch_execz .LBB1005_66
; %bb.57:
	ds_read2_b32 v[34:35], v59 offset0:9 offset1:10
	v_mov_b32_e32 v18, s56
	v_cmp_eq_u64_e32 vcc, v[36:37], v[30:31]
	v_add_u32_e32 v20, 10, v1
	v_mov_b32_e32 v22, 0
	s_waitcnt lgkmcnt(0)
	v_cndmask_b32_e32 v18, v18, v34, vcc
	v_cmp_ne_u64_e32 vcc, v[36:37], v[30:31]
	v_cndmask_b32_e64 v19, 0, 1, vcc
	v_cmp_gt_u32_e32 vcc, s54, v20
	v_mov_b32_e32 v20, v22
	v_mov_b32_e32 v21, v22
	;; [unrolled: 1-line block ×5, first 2 shown]
	s_mov_b64 s[12:13], 0
                                        ; implicit-def: $sgpr40_sgpr41
                                        ; implicit-def: $vgpr58
	s_and_saveexec_b64 s[10:11], vcc
	s_cbranch_execz .LBB1005_65
; %bb.58:
	v_mov_b32_e32 v20, s56
	v_cmp_eq_u64_e32 vcc, v[30:31], v[32:33]
	v_add_u32_e32 v23, 11, v1
	v_cndmask_b32_e32 v20, v20, v35, vcc
	v_cmp_ne_u64_e32 vcc, v[30:31], v[32:33]
	v_cndmask_b32_e64 v21, 0, 1, vcc
	v_cmp_gt_u32_e32 vcc, s54, v23
	s_mov_b32 s40, 0
	v_mov_b32_e32 v23, v22
	v_mov_b32_e32 v24, v22
	;; [unrolled: 1-line block ×3, first 2 shown]
	s_mov_b64 s[14:15], 0
                                        ; implicit-def: $sgpr48_sgpr49
                                        ; implicit-def: $vgpr58
	s_and_saveexec_b64 s[12:13], vcc
	s_cbranch_execz .LBB1005_64
; %bb.59:
	ds_read2_b32 v[30:31], v59 offset0:11 offset1:12
	v_mov_b32_e32 v22, s56
	v_cmp_eq_u64_e32 vcc, v[32:33], v[26:27]
	v_add_u32_e32 v24, 12, v1
	v_mov_b32_e32 v25, s40
	s_waitcnt lgkmcnt(0)
	v_cndmask_b32_e32 v22, v22, v30, vcc
	v_cmp_ne_u64_e32 vcc, v[32:33], v[26:27]
	v_cndmask_b32_e64 v23, 0, 1, vcc
	v_cmp_gt_u32_e32 vcc, s54, v24
	v_mov_b32_e32 v24, s40
	s_mov_b64 s[40:41], 0
                                        ; implicit-def: $sgpr48_sgpr49
                                        ; implicit-def: $vgpr58
	s_and_saveexec_b64 s[14:15], vcc
	s_cbranch_execz .LBB1005_63
; %bb.60:
	v_mov_b32_e32 v24, s56
	v_cmp_eq_u64_e32 vcc, v[26:27], v[28:29]
	v_add_u32_e32 v1, 13, v1
	v_cndmask_b32_e32 v24, v24, v31, vcc
	v_cmp_ne_u64_e32 vcc, v[26:27], v[28:29]
	v_cndmask_b32_e64 v25, 0, 1, vcc
	v_cmp_gt_u32_e32 vcc, s54, v1
                                        ; implicit-def: $sgpr48_sgpr49
                                        ; implicit-def: $vgpr58
	s_and_saveexec_b64 s[54:55], vcc
	s_xor_b64 s[54:55], exec, s[54:55]
	s_cbranch_execz .LBB1005_62
; %bb.61:
	ds_read_b32 v1, v59 offset:52
	v_mov_b32_e32 v26, s56
	v_cmp_ne_u64_e32 vcc, v[28:29], v[56:57]
	s_mov_b64 s[40:41], exec
	s_and_b64 s[48:49], vcc, exec
	s_waitcnt lgkmcnt(0)
	v_cndmask_b32_e32 v58, v1, v26, vcc
.LBB1005_62:
	s_or_b64 exec, exec, s[54:55]
	s_and_b64 s[48:49], s[48:49], exec
	s_and_b64 s[40:41], s[40:41], exec
.LBB1005_63:
	s_or_b64 exec, exec, s[14:15]
	s_and_b64 s[48:49], s[48:49], exec
	s_and_b64 s[14:15], s[40:41], exec
.LBB1005_64:
	s_or_b64 exec, exec, s[12:13]
	s_and_b64 s[40:41], s[48:49], exec
	s_and_b64 s[12:13], s[14:15], exec
.LBB1005_65:
	s_or_b64 exec, exec, s[10:11]
	s_and_b64 s[10:11], s[40:41], exec
	s_and_b64 s[40:41], s[12:13], exec
.LBB1005_66:
	s_or_b64 exec, exec, s[8:9]
	s_and_b64 s[48:49], s[10:11], exec
	s_and_b64 s[40:41], s[40:41], exec
.LBB1005_67:
	s_or_b64 exec, exec, s[30:31]
	s_and_b64 s[8:9], s[48:49], exec
	s_and_b64 s[30:31], s[40:41], exec
.LBB1005_68:
	s_or_b64 exec, exec, s[28:29]
	s_and_b64 s[40:41], s[8:9], exec
	s_and_b64 s[28:29], s[30:31], exec
.LBB1005_69:
	s_or_b64 exec, exec, s[26:27]
	s_and_b64 s[8:9], s[40:41], exec
	s_and_b64 s[28:29], s[28:29], exec
.LBB1005_70:
	s_or_b64 exec, exec, s[24:25]
	s_and_b64 s[26:27], s[8:9], exec
	s_and_b64 s[24:25], s[28:29], exec
.LBB1005_71:
	s_or_b64 exec, exec, s[22:23]
	s_and_b64 s[8:9], s[26:27], exec
	s_and_b64 s[22:23], s[24:25], exec
.LBB1005_72:
	s_or_b64 exec, exec, s[20:21]
	s_and_b64 s[24:25], s[8:9], exec
	s_and_b64 s[20:21], s[22:23], exec
.LBB1005_73:
	s_or_b64 exec, exec, s[18:19]
	s_and_b64 s[8:9], s[24:25], exec
	s_and_b64 s[18:19], s[20:21], exec
.LBB1005_74:
	s_or_b64 exec, exec, s[16:17]
	s_and_b64 s[16:17], s[8:9], exec
	s_and_b64 s[18:19], s[18:19], exec
.LBB1005_75:
	s_or_b64 exec, exec, s[4:5]
	s_and_b64 vcc, exec, s[2:3]
	v_lshlrev_b32_e32 v48, 3, v0
	s_cbranch_vccnz .LBB1005_77
	s_branch .LBB1005_82
.LBB1005_76:
	s_mov_b64 s[18:19], 0
                                        ; implicit-def: $sgpr16_sgpr17
                                        ; implicit-def: $vgpr2_vgpr3_vgpr4_vgpr5_vgpr6_vgpr7_vgpr8_vgpr9
                                        ; implicit-def: $vgpr10_vgpr11_vgpr12_vgpr13_vgpr14_vgpr15_vgpr16_vgpr17
                                        ; implicit-def: $vgpr18_vgpr19_vgpr20_vgpr21_vgpr22_vgpr23_vgpr24_vgpr25
                                        ; implicit-def: $vgpr58
                                        ; implicit-def: $vgpr54_vgpr55
	s_and_b64 vcc, exec, s[2:3]
	v_lshlrev_b32_e32 v48, 3, v0
	s_cbranch_vccz .LBB1005_82
.LBB1005_77:
	v_mov_b32_e32 v1, s39
	v_add_co_u32_e32 v2, vcc, s38, v48
	v_addc_co_u32_e32 v3, vcc, 0, v1, vcc
	v_add_co_u32_e32 v4, vcc, 0x1000, v2
	v_addc_co_u32_e32 v5, vcc, 0, v3, vcc
	flat_load_dwordx2 v[6:7], v[2:3]
	flat_load_dwordx2 v[8:9], v[2:3] offset:2048
	flat_load_dwordx2 v[10:11], v[4:5]
	flat_load_dwordx2 v[12:13], v[4:5] offset:2048
	v_add_co_u32_e32 v4, vcc, 0x2000, v2
	v_addc_co_u32_e32 v5, vcc, 0, v3, vcc
	v_add_co_u32_e32 v14, vcc, 0x3000, v2
	v_addc_co_u32_e32 v15, vcc, 0, v3, vcc
	flat_load_dwordx2 v[16:17], v[4:5]
	flat_load_dwordx2 v[18:19], v[4:5] offset:2048
	flat_load_dwordx2 v[20:21], v[14:15]
	flat_load_dwordx2 v[22:23], v[14:15] offset:2048
	v_add_co_u32_e32 v4, vcc, 0x4000, v2
	v_addc_co_u32_e32 v5, vcc, 0, v3, vcc
	v_add_co_u32_e32 v14, vcc, 0x5000, v2
	v_addc_co_u32_e32 v15, vcc, 0, v3, vcc
	v_add_co_u32_e32 v2, vcc, 0x6000, v2
	v_addc_co_u32_e32 v3, vcc, 0, v3, vcc
	flat_load_dwordx2 v[24:25], v[4:5]
	flat_load_dwordx2 v[26:27], v[4:5] offset:2048
	flat_load_dwordx2 v[28:29], v[14:15]
	flat_load_dwordx2 v[30:31], v[14:15] offset:2048
	s_nop 0
	flat_load_dwordx2 v[4:5], v[2:3]
	flat_load_dwordx2 v[14:15], v[2:3] offset:2048
	v_mov_b32_e32 v1, s38
	v_mov_b32_e32 v3, s39
	v_add_co_u32_e32 v2, vcc, 0x7000, v1
	v_addc_co_u32_e32 v3, vcc, 0, v3, vcc
	s_movk_i32 s4, 0x68
	v_mad_u32_u24 v1, v0, s4, v48
	s_movk_i32 s4, 0xff98
	s_movk_i32 s12, 0x1000
	s_mov_b32 s2, 0
	s_movk_i32 s11, 0x2000
	s_movk_i32 s10, 0x3000
	;; [unrolled: 1-line block ×5, first 2 shown]
	s_waitcnt vmcnt(0) lgkmcnt(0)
	ds_write2st64_b64 v48, v[6:7], v[8:9] offset1:4
	ds_write2st64_b64 v48, v[10:11], v[12:13] offset0:8 offset1:12
	ds_write2st64_b64 v48, v[16:17], v[18:19] offset0:16 offset1:20
	ds_write2st64_b64 v48, v[20:21], v[22:23] offset0:24 offset1:28
	ds_write2st64_b64 v48, v[24:25], v[26:27] offset0:32 offset1:36
	ds_write2st64_b64 v48, v[28:29], v[30:31] offset0:40 offset1:44
	ds_write2st64_b64 v48, v[4:5], v[14:15] offset0:48 offset1:52
	s_waitcnt lgkmcnt(0)
	s_barrier
	flat_load_dwordx2 v[40:41], v[2:3]
	ds_read2_b64 v[24:27], v1 offset1:13
	ds_read2_b64 v[10:13], v1 offset0:3 offset1:4
	ds_read2_b64 v[14:17], v1 offset0:1 offset1:2
	;; [unrolled: 1-line block ×6, first 2 shown]
	v_mad_i32_i24 v1, v0, s4, v1
	s_movk_i32 s4, 0xff
	v_cmp_ne_u32_e32 vcc, s4, v0
	s_waitcnt lgkmcnt(0)
	ds_write_b64 v1, v[24:25] offset:30720
	s_waitcnt lgkmcnt(0)
	s_barrier
	s_and_saveexec_b64 s[4:5], vcc
	s_cbranch_execz .LBB1005_79
; %bb.78:
	s_waitcnt vmcnt(0)
	ds_read_b64 v[40:41], v48 offset:30728
.LBB1005_79:
	s_or_b64 exec, exec, s[4:5]
	v_mov_b32_e32 v3, s47
	v_add_co_u32_e32 v2, vcc, s7, v48
	v_addc_co_u32_e32 v3, vcc, 0, v3, vcc
	v_add_co_u32_e32 v4, vcc, s12, v2
	v_addc_co_u32_e32 v5, vcc, 0, v3, vcc
	;; [unrolled: 2-line block ×4, first 2 shown]
	s_waitcnt lgkmcnt(0)
	s_barrier
	flat_load_dword v22, v[2:3]
	flat_load_dword v23, v[2:3] offset:2048
	flat_load_dword v42, v[4:5]
	flat_load_dword v43, v[4:5] offset:2048
	;; [unrolled: 2-line block ×4, first 2 shown]
	v_add_co_u32_e32 v4, vcc, s9, v2
	v_addc_co_u32_e32 v5, vcc, 0, v3, vcc
	v_add_co_u32_e32 v6, vcc, s8, v2
	v_addc_co_u32_e32 v7, vcc, 0, v3, vcc
	v_add_co_u32_e32 v2, vcc, s3, v2
	v_addc_co_u32_e32 v3, vcc, 0, v3, vcc
	flat_load_dword v8, v[4:5]
	flat_load_dword v9, v[4:5] offset:2048
	flat_load_dword v49, v[6:7]
	flat_load_dword v50, v[6:7] offset:2048
	;; [unrolled: 2-line block ×3, first 2 shown]
	v_lshlrev_b32_e32 v2, 2, v0
	v_sub_u32_e32 v7, v1, v2
	v_mad_u32_u24 v6, v0, 52, v7
	s_mov_b32 s3, 1
	v_cmp_eq_u64_e32 vcc, v[24:25], v[14:15]
	v_pk_mov_b32 v[54:55], s[2:3], s[2:3] op_sel:[0,1]
	s_waitcnt vmcnt(0) lgkmcnt(0)
	ds_write2st64_b32 v7, v22, v23 offset1:4
	ds_write2st64_b32 v7, v42, v43 offset0:8 offset1:12
	ds_write2st64_b32 v7, v44, v45 offset0:16 offset1:20
	;; [unrolled: 1-line block ×6, first 2 shown]
	s_waitcnt lgkmcnt(0)
	s_barrier
	ds_read2_b32 v[44:45], v6 offset0:7 offset1:8
	ds_read2_b32 v[46:47], v6 offset0:5 offset1:6
	;; [unrolled: 1-line block ×4, first 2 shown]
	ds_read_b32 v1, v6 offset:52
	ds_read2_b32 v[22:23], v6 offset0:11 offset1:12
	ds_read2_b32 v[42:43], v6 offset0:9 offset1:10
	v_mov_b32_e32 v6, s56
	s_and_saveexec_b64 s[2:3], vcc
	s_cbranch_execz .LBB1005_81
; %bb.80:
	v_mul_u32_u24_e32 v6, 52, v0
	v_add_u32_e32 v6, v7, v6
	ds_read_b32 v6, v6
	v_pk_mov_b32 v[54:55], 0, 0
.LBB1005_81:
	s_or_b64 exec, exec, s[2:3]
	v_mov_b32_e32 v49, s56
	v_cmp_eq_u64_e32 vcc, v[14:15], v[16:17]
	s_waitcnt lgkmcnt(3)
	v_cndmask_b32_e32 v8, v49, v4, vcc
	v_cmp_eq_u64_e32 vcc, v[16:17], v[10:11]
	s_waitcnt lgkmcnt(0)
	v_or_b32_e32 v54, v54, v6
	v_cndmask_b32_e32 v6, v49, v5, vcc
	v_cmp_eq_u64_e32 vcc, v[10:11], v[12:13]
	v_cndmask_b32_e32 v4, v49, v2, vcc
	v_cmp_eq_u64_e32 vcc, v[12:13], v[36:37]
	v_cndmask_b32_e32 v2, v49, v3, vcc
	v_cmp_ne_u64_e32 vcc, v[14:15], v[16:17]
	v_cndmask_b32_e64 v9, 0, 1, vcc
	v_cmp_ne_u64_e32 vcc, v[16:17], v[10:11]
	v_cndmask_b32_e64 v7, 0, 1, vcc
	;; [unrolled: 2-line block ×4, first 2 shown]
	v_cmp_eq_u64_e32 vcc, v[36:37], v[38:39]
	v_cndmask_b32_e32 v16, v49, v46, vcc
	v_cmp_eq_u64_e32 vcc, v[38:39], v[18:19]
	v_cndmask_b32_e32 v14, v49, v47, vcc
	;; [unrolled: 2-line block ×4, first 2 shown]
	v_cmp_ne_u64_e32 vcc, v[36:37], v[38:39]
	v_cndmask_b32_e64 v17, 0, 1, vcc
	v_cmp_ne_u64_e32 vcc, v[38:39], v[18:19]
	v_cndmask_b32_e64 v15, 0, 1, vcc
	;; [unrolled: 2-line block ×4, first 2 shown]
	v_cmp_eq_u64_e32 vcc, v[34:35], v[26:27]
	v_cndmask_b32_e32 v24, v49, v23, vcc
	v_cmp_eq_u64_e32 vcc, v[32:33], v[34:35]
	v_cndmask_b32_e32 v22, v49, v22, vcc
	;; [unrolled: 2-line block ×4, first 2 shown]
	v_cmp_ne_u64_e32 vcc, v[34:35], v[26:27]
	v_cndmask_b32_e64 v25, 0, 1, vcc
	v_cmp_ne_u64_e32 vcc, v[32:33], v[34:35]
	v_cndmask_b32_e64 v23, 0, 1, vcc
	;; [unrolled: 2-line block ×3, first 2 shown]
	v_cmp_ne_u64_e32 vcc, v[28:29], v[30:31]
	v_cmp_ne_u64_e64 s[16:17], v[26:27], v[40:41]
	v_cndmask_b32_e64 v19, 0, 1, vcc
	v_cndmask_b32_e64 v58, v1, v49, s[16:17]
	s_mov_b64 s[18:19], -1
                                        ; implicit-def: $sgpr2_sgpr3
.LBB1005_82:
	v_pk_mov_b32 v[38:39], s[2:3], s[2:3] op_sel:[0,1]
	s_and_saveexec_b64 s[2:3], s[18:19]
; %bb.83:
	v_cndmask_b32_e64 v59, 0, 1, s[16:17]
	v_pk_mov_b32 v[38:39], v[58:59], v[58:59] op_sel:[0,1]
; %bb.84:
	s_or_b64 exec, exec, s[2:3]
	s_mov_b32 s26, 0
	s_cmp_lg_u32 s6, 0
	v_mbcnt_lo_u32_b32 v50, -1, 0
	v_lshrrev_b32_e32 v1, 6, v0
	v_or_b32_e32 v49, 63, v0
	s_barrier
	s_cbranch_scc0 .LBB1005_125
; %bb.85:
	s_mov_b32 s27, 1
	v_cmp_gt_u64_e64 s[2:3], s[26:27], v[8:9]
	v_cndmask_b32_e64 v27, 0, v54, s[2:3]
	v_add_u32_e32 v27, v27, v8
	v_cmp_gt_u64_e64 s[4:5], s[26:27], v[6:7]
	v_cndmask_b32_e64 v27, 0, v27, s[4:5]
	v_add_u32_e32 v27, v27, v6
	;; [unrolled: 3-line block ×12, first 2 shown]
	v_cmp_gt_u64_e32 vcc, s[26:27], v[38:39]
	v_cndmask_b32_e32 v27, 0, v27, vcc
	v_add_u32_e32 v28, v27, v38
	v_or3_b32 v27, v39, v25, v23
	v_or3_b32 v27, v27, v21, v19
	;; [unrolled: 1-line block ×6, first 2 shown]
	v_mov_b32_e32 v26, 0
	v_and_b32_e32 v27, 1, v27
	v_cmp_eq_u64_e32 vcc, 0, v[26:27]
	v_cndmask_b32_e32 v27, 1, v55, vcc
	v_and_b32_e32 v29, 0xff, v27
	v_mov_b32_dpp v31, v28 row_shr:1 row_mask:0xf bank_mask:0xf
	v_cmp_eq_u16_e32 vcc, 0, v29
	v_mov_b32_dpp v32, v29 row_shr:1 row_mask:0xf bank_mask:0xf
	v_and_b32_e32 v33, 1, v27
	v_mbcnt_hi_u32_b32 v44, -1, v50
	v_cndmask_b32_e32 v31, 0, v31, vcc
	v_and_b32_e32 v32, 1, v32
	v_cmp_eq_u32_e32 vcc, 1, v33
	v_and_b32_e32 v30, 15, v44
	v_cndmask_b32_e64 v32, v32, 1, vcc
	v_and_b32_e32 v33, 0xffff, v32
	v_cmp_eq_u32_e32 vcc, 0, v30
	v_cndmask_b32_e32 v27, v32, v27, vcc
	v_cndmask_b32_e32 v29, v33, v29, vcc
	v_and_b32_e32 v33, 1, v27
	v_cndmask_b32_e64 v31, v31, 0, vcc
	v_mov_b32_dpp v32, v29 row_shr:2 row_mask:0xf bank_mask:0xf
	v_and_b32_e32 v32, 1, v32
	v_cmp_eq_u32_e32 vcc, 1, v33
	v_cndmask_b32_e64 v32, v32, 1, vcc
	v_and_b32_e32 v33, 0xffff, v32
	v_cmp_lt_u32_e32 vcc, 1, v30
	v_add_u32_e32 v28, v31, v28
	v_cmp_eq_u16_sdwa s[26:27], v27, v26 src0_sel:BYTE_0 src1_sel:DWORD
	v_cndmask_b32_e32 v27, v27, v32, vcc
	v_cndmask_b32_e32 v29, v29, v33, vcc
	v_mov_b32_dpp v31, v28 row_shr:2 row_mask:0xf bank_mask:0xf
	s_and_b64 vcc, vcc, s[26:27]
	v_mov_b32_dpp v32, v29 row_shr:4 row_mask:0xf bank_mask:0xf
	v_and_b32_e32 v33, 1, v27
	v_cndmask_b32_e32 v31, 0, v31, vcc
	v_and_b32_e32 v32, 1, v32
	v_cmp_eq_u32_e32 vcc, 1, v33
	v_cndmask_b32_e64 v32, v32, 1, vcc
	v_and_b32_e32 v33, 0xffff, v32
	v_cmp_lt_u32_e32 vcc, 3, v30
	v_add_u32_e32 v28, v31, v28
	v_cmp_eq_u16_sdwa s[26:27], v27, v26 src0_sel:BYTE_0 src1_sel:DWORD
	v_cndmask_b32_e32 v27, v27, v32, vcc
	v_cndmask_b32_e32 v29, v29, v33, vcc
	v_mov_b32_dpp v31, v28 row_shr:4 row_mask:0xf bank_mask:0xf
	s_and_b64 vcc, vcc, s[26:27]
	v_mov_b32_dpp v32, v29 row_shr:8 row_mask:0xf bank_mask:0xf
	v_and_b32_e32 v33, 1, v27
	v_cndmask_b32_e32 v31, 0, v31, vcc
	v_and_b32_e32 v32, 1, v32
	v_cmp_eq_u32_e32 vcc, 1, v33
	v_cndmask_b32_e64 v32, v32, 1, vcc
	v_add_u32_e32 v28, v31, v28
	v_cmp_eq_u16_sdwa s[26:27], v27, v26 src0_sel:BYTE_0 src1_sel:DWORD
	v_and_b32_e32 v33, 0xffff, v32
	v_cmp_lt_u32_e32 vcc, 7, v30
	v_mov_b32_dpp v31, v28 row_shr:8 row_mask:0xf bank_mask:0xf
	v_cndmask_b32_e32 v27, v27, v32, vcc
	v_cndmask_b32_e32 v29, v29, v33, vcc
	s_and_b64 vcc, vcc, s[26:27]
	v_cndmask_b32_e32 v30, 0, v31, vcc
	v_add_u32_e32 v28, v30, v28
	v_mov_b32_dpp v31, v29 row_bcast:15 row_mask:0xf bank_mask:0xf
	v_cmp_eq_u16_sdwa vcc, v27, v26 src0_sel:BYTE_0 src1_sel:DWORD
	v_mov_b32_dpp v30, v28 row_bcast:15 row_mask:0xf bank_mask:0xf
	v_and_b32_e32 v34, 1, v27
	v_cndmask_b32_e32 v30, 0, v30, vcc
	v_and_b32_e32 v31, 1, v31
	v_cmp_eq_u32_e32 vcc, 1, v34
	v_and_b32_e32 v33, 16, v44
	v_cndmask_b32_e64 v31, v31, 1, vcc
	v_and_b32_e32 v34, 0xffff, v31
	v_cmp_eq_u32_e32 vcc, 0, v33
	v_cndmask_b32_e32 v27, v31, v27, vcc
	v_cndmask_b32_e32 v29, v34, v29, vcc
	v_bfe_i32 v32, v44, 4, 1
	v_cmp_eq_u16_sdwa s[26:27], v27, v26 src0_sel:BYTE_0 src1_sel:DWORD
	v_mov_b32_dpp v29, v29 row_bcast:31 row_mask:0xf bank_mask:0xf
	v_and_b32_e32 v26, 1, v27
	v_and_b32_e32 v30, v32, v30
	;; [unrolled: 1-line block ×3, first 2 shown]
	v_cmp_eq_u32_e32 vcc, 1, v26
	v_add_u32_e32 v28, v30, v28
	v_cndmask_b32_e64 v26, v29, 1, vcc
	v_cmp_lt_u32_e32 vcc, 31, v44
	v_mov_b32_dpp v30, v28 row_bcast:31 row_mask:0xf bank_mask:0xf
	v_cndmask_b32_e32 v29, v27, v26, vcc
	s_and_b64 vcc, vcc, s[26:27]
	v_cndmask_b32_e32 v26, 0, v30, vcc
	v_add_u32_e32 v28, v26, v28
	v_cmp_eq_u32_e32 vcc, v49, v0
	s_and_saveexec_b64 s[26:27], vcc
	s_cbranch_execz .LBB1005_87
; %bb.86:
	v_lshlrev_b32_e32 v26, 3, v1
	ds_write_b32 v26, v28
	ds_write_b8 v26, v29 offset:4
.LBB1005_87:
	s_or_b64 exec, exec, s[26:27]
	v_cmp_gt_u32_e32 vcc, 4, v0
	s_waitcnt lgkmcnt(0)
	s_barrier
	s_and_saveexec_b64 s[26:27], vcc
	s_cbranch_execz .LBB1005_91
; %bb.88:
	ds_read_b64 v[26:27], v48
	v_and_b32_e32 v30, 3, v44
	v_cmp_ne_u32_e32 vcc, 0, v30
	s_waitcnt lgkmcnt(0)
	v_mov_b32_dpp v31, v26 row_shr:1 row_mask:0xf bank_mask:0xf
	v_mov_b32_dpp v33, v27 row_shr:1 row_mask:0xf bank_mask:0xf
	v_mov_b32_e32 v32, v27
	s_and_saveexec_b64 s[30:31], vcc
	s_cbranch_execz .LBB1005_90
; %bb.89:
	v_and_b32_e32 v32, 1, v27
	v_and_b32_e32 v33, 1, v33
	v_cmp_eq_u32_e32 vcc, 1, v32
	v_mov_b32_e32 v32, 0
	v_cndmask_b32_e64 v33, v33, 1, vcc
	v_cmp_eq_u16_sdwa vcc, v27, v32 src0_sel:BYTE_0 src1_sel:DWORD
	v_cndmask_b32_e32 v31, 0, v31, vcc
	v_add_u32_e32 v26, v31, v26
	v_and_b32_e32 v31, 0xffff, v33
	s_movk_i32 s7, 0xff00
	v_and_or_b32 v32, v27, s7, v31
	v_mov_b32_e32 v27, v33
.LBB1005_90:
	s_or_b64 exec, exec, s[30:31]
	v_mov_b32_dpp v32, v32 row_shr:2 row_mask:0xf bank_mask:0xf
	v_and_b32_e32 v33, 1, v27
	v_and_b32_e32 v32, 1, v32
	v_cmp_eq_u32_e32 vcc, 1, v33
	v_mov_b32_e32 v33, 0
	v_cndmask_b32_e64 v32, v32, 1, vcc
	v_cmp_eq_u16_sdwa s[30:31], v27, v33 src0_sel:BYTE_0 src1_sel:DWORD
	v_cmp_lt_u32_e32 vcc, 1, v30
	v_mov_b32_dpp v31, v26 row_shr:2 row_mask:0xf bank_mask:0xf
	v_cndmask_b32_e32 v27, v27, v32, vcc
	s_and_b64 vcc, vcc, s[30:31]
	v_cndmask_b32_e32 v30, 0, v31, vcc
	v_add_u32_e32 v26, v30, v26
	ds_write_b32 v48, v26
	ds_write_b8 v48, v27 offset:4
.LBB1005_91:
	s_or_b64 exec, exec, s[26:27]
	v_cmp_gt_u32_e32 vcc, 64, v0
	v_cmp_lt_u32_e64 s[26:27], 63, v0
	v_mov_b32_e32 v40, 0
	v_mov_b32_e32 v41, 0
	s_waitcnt lgkmcnt(0)
	s_barrier
	s_and_saveexec_b64 s[30:31], s[26:27]
	s_cbranch_execz .LBB1005_93
; %bb.92:
	v_lshl_add_u32 v26, v1, 3, -8
	ds_read_b32 v40, v26
	ds_read_u8 v41, v26 offset:4
	v_mov_b32_e32 v27, 0
	v_and_b32_e32 v30, 1, v29
	v_cmp_eq_u16_sdwa s[26:27], v29, v27 src0_sel:BYTE_0 src1_sel:DWORD
	s_waitcnt lgkmcnt(1)
	v_cndmask_b32_e64 v26, 0, v40, s[26:27]
	v_cmp_eq_u32_e64 s[26:27], 1, v30
	v_add_u32_e32 v28, v26, v28
	s_waitcnt lgkmcnt(0)
	v_cndmask_b32_e64 v29, v41, 1, s[26:27]
.LBB1005_93:
	s_or_b64 exec, exec, s[30:31]
	v_and_b32_e32 v26, 0xff, v29
	v_add_u32_e32 v27, -1, v44
	v_and_b32_e32 v29, 64, v44
	v_cmp_lt_i32_e64 s[26:27], v27, v29
	v_cndmask_b32_e64 v27, v27, v44, s[26:27]
	v_lshlrev_b32_e32 v27, 2, v27
	ds_bpermute_b32 v42, v27, v28
	ds_bpermute_b32 v43, v27, v26
	v_cmp_eq_u32_e64 s[26:27], 0, v44
	s_and_saveexec_b64 s[38:39], vcc
	s_cbranch_execz .LBB1005_112
; %bb.94:
	v_mov_b32_e32 v29, 0
	ds_read_b64 v[26:27], v29 offset:24
	s_waitcnt lgkmcnt(0)
	v_readfirstlane_b32 s7, v27
	s_and_saveexec_b64 s[30:31], s[26:27]
	s_cbranch_execz .LBB1005_96
; %bb.95:
	s_add_i32 s40, s6, 64
	s_mov_b32 s41, 0
	s_lshl_b64 s[48:49], s[40:41], 4
	s_add_u32 s48, s44, s48
	s_addc_u32 s49, s45, s49
	s_and_b32 s55, s7, 0xff000000
	s_mov_b32 s54, s41
	s_and_b32 s59, s7, 0xff0000
	s_mov_b32 s58, s41
	s_or_b64 s[54:55], s[58:59], s[54:55]
	s_and_b32 s59, s7, 0xff00
	s_or_b64 s[54:55], s[54:55], s[58:59]
	s_and_b32 s59, s7, 0xff
	s_or_b64 s[40:41], s[54:55], s[58:59]
	v_mov_b32_e32 v27, s41
	v_mov_b32_e32 v28, 1
	v_pk_mov_b32 v[30:31], s[48:49], s[48:49] op_sel:[0,1]
	;;#ASMSTART
	global_store_dwordx4 v[30:31], v[26:29] off	
s_waitcnt vmcnt(0)
	;;#ASMEND
.LBB1005_96:
	s_or_b64 exec, exec, s[30:31]
	v_xad_u32 v34, v44, -1, s6
	v_add_u32_e32 v28, 64, v34
	v_lshlrev_b64 v[30:31], 4, v[28:29]
	v_mov_b32_e32 v27, s45
	v_add_co_u32_e32 v36, vcc, s44, v30
	v_addc_co_u32_e32 v37, vcc, v27, v31, vcc
	;;#ASMSTART
	global_load_dwordx4 v[30:33], v[36:37] off glc	
s_waitcnt vmcnt(0)
	;;#ASMEND
	v_and_b32_e32 v27, 0xff0000, v30
	v_or_b32_sdwa v27, v30, v27 dst_sel:DWORD dst_unused:UNUSED_PAD src0_sel:WORD_0 src1_sel:DWORD
	v_and_b32_e32 v28, 0xff000000, v30
	v_and_b32_e32 v30, 0xff, v31
	v_or3_b32 v31, 0, 0, v30
	v_or3_b32 v30, v27, v28, 0
	v_cmp_eq_u16_sdwa s[40:41], v32, v29 src0_sel:BYTE_0 src1_sel:DWORD
	s_and_saveexec_b64 s[30:31], s[40:41]
	s_cbranch_execz .LBB1005_100
; %bb.97:
	s_mov_b64 s[40:41], 0
	v_mov_b32_e32 v27, 0
.LBB1005_98:                            ; =>This Inner Loop Header: Depth=1
	;;#ASMSTART
	global_load_dwordx4 v[30:33], v[36:37] off glc	
s_waitcnt vmcnt(0)
	;;#ASMEND
	v_cmp_ne_u16_sdwa s[48:49], v32, v27 src0_sel:BYTE_0 src1_sel:DWORD
	s_or_b64 s[40:41], s[48:49], s[40:41]
	s_andn2_b64 exec, exec, s[40:41]
	s_cbranch_execnz .LBB1005_98
; %bb.99:
	s_or_b64 exec, exec, s[40:41]
	v_and_b32_e32 v31, 0xff, v31
.LBB1005_100:
	s_or_b64 exec, exec, s[30:31]
	v_mov_b32_e32 v27, 2
	v_cmp_eq_u16_sdwa s[30:31], v32, v27 src0_sel:BYTE_0 src1_sel:DWORD
	v_lshlrev_b64 v[28:29], v44, -1
	v_and_b32_e32 v33, s31, v29
	v_or_b32_e32 v33, 0x80000000, v33
	v_and_b32_e32 v35, s30, v28
	v_ffbl_b32_e32 v33, v33
	v_and_b32_e32 v45, 63, v44
	v_add_u32_e32 v33, 32, v33
	v_ffbl_b32_e32 v35, v35
	v_cmp_ne_u32_e32 vcc, 63, v45
	v_min_u32_e32 v33, v35, v33
	v_addc_co_u32_e32 v35, vcc, 0, v44, vcc
	v_lshlrev_b32_e32 v46, 2, v35
	ds_bpermute_b32 v35, v46, v31
	ds_bpermute_b32 v36, v46, v30
	s_mov_b32 s40, 0
	v_and_b32_e32 v37, 1, v31
	s_mov_b32 s41, 1
	s_waitcnt lgkmcnt(1)
	v_and_b32_e32 v35, 1, v35
	v_cmp_eq_u32_e32 vcc, 1, v37
	v_cndmask_b32_e64 v35, v35, 1, vcc
	v_cmp_gt_u64_e32 vcc, s[40:41], v[30:31]
	v_cmp_lt_u32_e64 s[30:31], v45, v33
	s_and_b64 vcc, s[30:31], vcc
	v_and_b32_e32 v37, 0xffff, v35
	v_cndmask_b32_e64 v52, v31, v35, s[30:31]
	s_waitcnt lgkmcnt(0)
	v_cndmask_b32_e32 v35, 0, v36, vcc
	v_cmp_gt_u32_e32 vcc, 62, v45
	v_cndmask_b32_e64 v36, 0, 1, vcc
	v_lshlrev_b32_e32 v36, 1, v36
	v_cndmask_b32_e64 v31, v31, v37, s[30:31]
	v_add_lshl_u32 v47, v36, v44, 2
	ds_bpermute_b32 v36, v47, v31
	v_add_u32_e32 v30, v35, v30
	ds_bpermute_b32 v37, v47, v30
	v_and_b32_e32 v35, 1, v52
	v_cmp_eq_u32_e32 vcc, 1, v35
	s_waitcnt lgkmcnt(1)
	v_and_b32_e32 v36, 1, v36
	v_mov_b32_e32 v35, 0
	v_add_u32_e32 v51, 2, v45
	v_cndmask_b32_e64 v36, v36, 1, vcc
	v_cmp_eq_u16_sdwa vcc, v52, v35 src0_sel:BYTE_0 src1_sel:DWORD
	v_and_b32_e32 v53, 0xffff, v36
	s_waitcnt lgkmcnt(0)
	v_cndmask_b32_e32 v37, 0, v37, vcc
	v_cmp_gt_u32_e32 vcc, v51, v33
	v_cndmask_b32_e32 v36, v36, v52, vcc
	v_cndmask_b32_e64 v37, v37, 0, vcc
	v_cndmask_b32_e32 v31, v53, v31, vcc
	v_cmp_gt_u32_e32 vcc, 60, v45
	v_cndmask_b32_e64 v52, 0, 1, vcc
	v_lshlrev_b32_e32 v52, 2, v52
	v_add_lshl_u32 v52, v52, v44, 2
	ds_bpermute_b32 v56, v52, v31
	v_add_u32_e32 v30, v37, v30
	ds_bpermute_b32 v37, v52, v30
	v_and_b32_e32 v57, 1, v36
	v_cmp_eq_u32_e32 vcc, 1, v57
	s_waitcnt lgkmcnt(1)
	v_and_b32_e32 v56, 1, v56
	v_add_u32_e32 v53, 4, v45
	v_cndmask_b32_e64 v56, v56, 1, vcc
	v_cmp_eq_u16_sdwa vcc, v36, v35 src0_sel:BYTE_0 src1_sel:DWORD
	v_and_b32_e32 v57, 0xffff, v56
	s_waitcnt lgkmcnt(0)
	v_cndmask_b32_e32 v37, 0, v37, vcc
	v_cmp_gt_u32_e32 vcc, v53, v33
	v_cndmask_b32_e32 v36, v56, v36, vcc
	v_cndmask_b32_e64 v37, v37, 0, vcc
	v_cndmask_b32_e32 v31, v57, v31, vcc
	v_cmp_gt_u32_e32 vcc, 56, v45
	v_cndmask_b32_e64 v56, 0, 1, vcc
	v_lshlrev_b32_e32 v56, 3, v56
	v_add_lshl_u32 v56, v56, v44, 2
	ds_bpermute_b32 v58, v56, v31
	v_add_u32_e32 v30, v37, v30
	ds_bpermute_b32 v37, v56, v30
	v_and_b32_e32 v59, 1, v36
	v_cmp_eq_u32_e32 vcc, 1, v59
	s_waitcnt lgkmcnt(1)
	v_and_b32_e32 v58, 1, v58
	;; [unrolled: 21-line block ×4, first 2 shown]
	v_add_u32_e32 v62, 32, v45
	v_cndmask_b32_e64 v31, v31, 1, vcc
	v_cmp_eq_u16_sdwa vcc, v36, v35 src0_sel:BYTE_0 src1_sel:DWORD
	s_waitcnt lgkmcnt(0)
	v_cndmask_b32_e32 v37, 0, v37, vcc
	v_cmp_gt_u32_e32 vcc, v62, v33
	v_cndmask_b32_e64 v33, v37, 0, vcc
	v_cndmask_b32_e32 v31, v31, v36, vcc
	v_add_u32_e32 v30, v33, v30
	s_branch .LBB1005_102
.LBB1005_101:                           ;   in Loop: Header=BB1005_102 Depth=1
	s_or_b64 exec, exec, s[30:31]
	v_cmp_eq_u16_sdwa s[30:31], v32, v27 src0_sel:BYTE_0 src1_sel:DWORD
	v_and_b32_e32 v33, s31, v29
	ds_bpermute_b32 v37, v46, v31
	v_or_b32_e32 v33, 0x80000000, v33
	v_and_b32_e32 v36, s30, v28
	v_ffbl_b32_e32 v33, v33
	v_add_u32_e32 v33, 32, v33
	v_ffbl_b32_e32 v36, v36
	v_min_u32_e32 v33, v36, v33
	ds_bpermute_b32 v36, v46, v30
	v_and_b32_e32 v63, 1, v31
	s_waitcnt lgkmcnt(1)
	v_and_b32_e32 v37, 1, v37
	v_cmp_eq_u32_e32 vcc, 1, v63
	v_cndmask_b32_e64 v37, v37, 1, vcc
	v_cmp_gt_u64_e32 vcc, s[40:41], v[30:31]
	v_and_b32_e32 v63, 0xffff, v37
	v_cmp_lt_u32_e64 s[30:31], v45, v33
	v_cndmask_b32_e64 v37, v31, v37, s[30:31]
	v_cndmask_b32_e64 v31, v31, v63, s[30:31]
	s_and_b64 vcc, s[30:31], vcc
	ds_bpermute_b32 v63, v47, v31
	s_waitcnt lgkmcnt(1)
	v_cndmask_b32_e32 v36, 0, v36, vcc
	v_add_u32_e32 v30, v36, v30
	ds_bpermute_b32 v36, v47, v30
	v_and_b32_e32 v64, 1, v37
	s_waitcnt lgkmcnt(1)
	v_and_b32_e32 v63, 1, v63
	v_cmp_eq_u32_e32 vcc, 1, v64
	v_cndmask_b32_e64 v63, v63, 1, vcc
	v_cmp_eq_u16_sdwa vcc, v37, v35 src0_sel:BYTE_0 src1_sel:DWORD
	v_and_b32_e32 v64, 0xffff, v63
	s_waitcnt lgkmcnt(0)
	v_cndmask_b32_e32 v36, 0, v36, vcc
	v_cmp_gt_u32_e32 vcc, v51, v33
	v_cndmask_b32_e32 v31, v64, v31, vcc
	v_cndmask_b32_e32 v37, v63, v37, vcc
	ds_bpermute_b32 v63, v52, v31
	v_cndmask_b32_e64 v36, v36, 0, vcc
	v_add_u32_e32 v30, v36, v30
	ds_bpermute_b32 v36, v52, v30
	v_and_b32_e32 v64, 1, v37
	s_waitcnt lgkmcnt(1)
	v_and_b32_e32 v63, 1, v63
	v_cmp_eq_u32_e32 vcc, 1, v64
	v_cndmask_b32_e64 v63, v63, 1, vcc
	v_cmp_eq_u16_sdwa vcc, v37, v35 src0_sel:BYTE_0 src1_sel:DWORD
	v_and_b32_e32 v64, 0xffff, v63
	s_waitcnt lgkmcnt(0)
	v_cndmask_b32_e32 v36, 0, v36, vcc
	v_cmp_gt_u32_e32 vcc, v53, v33
	v_cndmask_b32_e32 v31, v64, v31, vcc
	v_cndmask_b32_e32 v37, v63, v37, vcc
	ds_bpermute_b32 v63, v56, v31
	v_cndmask_b32_e64 v36, v36, 0, vcc
	;; [unrolled: 16-line block ×3, first 2 shown]
	v_add_u32_e32 v30, v36, v30
	ds_bpermute_b32 v36, v58, v30
	v_and_b32_e32 v64, 1, v37
	s_waitcnt lgkmcnt(1)
	v_and_b32_e32 v63, 1, v63
	v_cmp_eq_u32_e32 vcc, 1, v64
	v_cndmask_b32_e64 v63, v63, 1, vcc
	v_cmp_eq_u16_sdwa vcc, v37, v35 src0_sel:BYTE_0 src1_sel:DWORD
	v_and_b32_e32 v64, 0xffff, v63
	s_waitcnt lgkmcnt(0)
	v_cndmask_b32_e32 v36, 0, v36, vcc
	v_cmp_gt_u32_e32 vcc, v59, v33
	v_cndmask_b32_e64 v36, v36, 0, vcc
	v_cndmask_b32_e32 v31, v64, v31, vcc
	ds_bpermute_b32 v31, v61, v31
	v_add_u32_e32 v30, v36, v30
	ds_bpermute_b32 v36, v61, v30
	v_cndmask_b32_e32 v37, v63, v37, vcc
	v_and_b32_e32 v63, 1, v37
	v_cmp_eq_u32_e32 vcc, 1, v63
	s_waitcnt lgkmcnt(1)
	v_cndmask_b32_e64 v31, v31, 1, vcc
	v_cmp_eq_u16_sdwa vcc, v37, v35 src0_sel:BYTE_0 src1_sel:DWORD
	s_waitcnt lgkmcnt(0)
	v_cndmask_b32_e32 v36, 0, v36, vcc
	v_cmp_gt_u32_e32 vcc, v62, v33
	v_cndmask_b32_e64 v33, v36, 0, vcc
	v_cndmask_b32_e32 v31, v31, v37, vcc
	v_add_u32_e32 v30, v33, v30
	v_cmp_eq_u16_sdwa vcc, v44, v35 src0_sel:BYTE_0 src1_sel:DWORD
	v_and_b32_e32 v33, 1, v44
	v_cndmask_b32_e32 v30, 0, v30, vcc
	v_and_b32_e32 v31, 1, v31
	v_cmp_eq_u32_e32 vcc, 1, v33
	v_subrev_u32_e32 v34, 64, v34
	v_add_u32_e32 v30, v30, v60
	v_cndmask_b32_e64 v31, v31, 1, vcc
.LBB1005_102:                           ; =>This Loop Header: Depth=1
                                        ;     Child Loop BB1005_105 Depth 2
	v_cmp_ne_u16_sdwa s[30:31], v32, v27 src0_sel:BYTE_0 src1_sel:DWORD
	v_mov_b32_e32 v44, v31
	v_cndmask_b32_e64 v31, 0, 1, s[30:31]
	;;#ASMSTART
	;;#ASMEND
	v_cmp_ne_u32_e32 vcc, 0, v31
	s_cmp_lg_u64 vcc, exec
	v_mov_b32_e32 v60, v30
	s_cbranch_scc1 .LBB1005_107
; %bb.103:                              ;   in Loop: Header=BB1005_102 Depth=1
	v_lshlrev_b64 v[30:31], 4, v[34:35]
	v_mov_b32_e32 v32, s45
	v_add_co_u32_e32 v36, vcc, s44, v30
	v_addc_co_u32_e32 v37, vcc, v32, v31, vcc
	;;#ASMSTART
	global_load_dwordx4 v[30:33], v[36:37] off glc	
s_waitcnt vmcnt(0)
	;;#ASMEND
	v_and_b32_e32 v33, 0xff0000, v30
	v_or_b32_sdwa v33, v30, v33 dst_sel:DWORD dst_unused:UNUSED_PAD src0_sel:WORD_0 src1_sel:DWORD
	v_and_b32_e32 v30, 0xff000000, v30
	v_and_b32_e32 v31, 0xff, v31
	v_or3_b32 v31, 0, 0, v31
	v_or3_b32 v30, v33, v30, 0
	v_cmp_eq_u16_sdwa s[48:49], v32, v35 src0_sel:BYTE_0 src1_sel:DWORD
	s_and_saveexec_b64 s[30:31], s[48:49]
	s_cbranch_execz .LBB1005_101
; %bb.104:                              ;   in Loop: Header=BB1005_102 Depth=1
	s_mov_b64 s[48:49], 0
.LBB1005_105:                           ;   Parent Loop BB1005_102 Depth=1
                                        ; =>  This Inner Loop Header: Depth=2
	;;#ASMSTART
	global_load_dwordx4 v[30:33], v[36:37] off glc	
s_waitcnt vmcnt(0)
	;;#ASMEND
	v_cmp_ne_u16_sdwa s[54:55], v32, v35 src0_sel:BYTE_0 src1_sel:DWORD
	s_or_b64 s[48:49], s[54:55], s[48:49]
	s_andn2_b64 exec, exec, s[48:49]
	s_cbranch_execnz .LBB1005_105
; %bb.106:                              ;   in Loop: Header=BB1005_102 Depth=1
	s_or_b64 exec, exec, s[48:49]
	v_and_b32_e32 v31, 0xff, v31
	s_branch .LBB1005_101
.LBB1005_107:                           ;   in Loop: Header=BB1005_102 Depth=1
                                        ; implicit-def: $vgpr31
                                        ; implicit-def: $vgpr30
                                        ; implicit-def: $vgpr32
	s_cbranch_execz .LBB1005_102
; %bb.108:
	s_and_saveexec_b64 s[30:31], s[26:27]
	s_cbranch_execz .LBB1005_110
; %bb.109:
	s_and_b32 s40, s7, 0xff
	s_cmp_eq_u32 s40, 0
	s_cselect_b64 vcc, -1, 0
	s_bitcmp1_b32 s7, 0
	s_mov_b32 s41, 0
	s_cselect_b64 s[48:49], -1, 0
	s_add_i32 s40, s6, 64
	s_lshl_b64 s[6:7], s[40:41], 4
	v_cndmask_b32_e32 v27, 0, v60, vcc
	s_add_u32 s6, s44, s6
	v_add_u32_e32 v26, v27, v26
	v_and_b32_e32 v27, 1, v44
	s_addc_u32 s7, s45, s7
	v_mov_b32_e32 v29, 0
	v_cndmask_b32_e64 v27, v27, 1, s[48:49]
	v_mov_b32_e32 v28, 2
	v_pk_mov_b32 v[30:31], s[6:7], s[6:7] op_sel:[0,1]
	;;#ASMSTART
	global_store_dwordx4 v[30:31], v[26:29] off	
s_waitcnt vmcnt(0)
	;;#ASMEND
.LBB1005_110:
	s_or_b64 exec, exec, s[30:31]
	v_cmp_eq_u32_e32 vcc, 0, v0
	s_and_b64 exec, exec, vcc
	s_cbranch_execz .LBB1005_112
; %bb.111:
	v_mov_b32_e32 v26, 0
	ds_write_b32 v26, v60 offset:24
	ds_write_b8 v26, v44 offset:28
.LBB1005_112:
	s_or_b64 exec, exec, s[38:39]
	v_mov_b32_e32 v28, 0
	s_waitcnt lgkmcnt(0)
	s_barrier
	ds_read_b32 v26, v28 offset:24
	v_cndmask_b32_e64 v27, v43, v41, s[26:27]
	v_cmp_eq_u16_sdwa vcc, v27, v28 src0_sel:BYTE_0 src1_sel:DWORD
	v_cndmask_b32_e64 v29, v42, v40, s[26:27]
	s_waitcnt lgkmcnt(0)
	v_cndmask_b32_e32 v27, 0, v26, vcc
	v_add_u32_e32 v27, v27, v29
	v_cmp_eq_u32_e32 vcc, 0, v0
	v_and_b32_e32 v29, 0xff, v55
	v_cndmask_b32_e32 v26, v27, v26, vcc
	v_cmp_eq_u64_e32 vcc, 0, v[28:29]
	v_cndmask_b32_e32 v27, 0, v26, vcc
	v_add_u32_e32 v27, v27, v54
	v_cndmask_b32_e64 v28, 0, v27, s[2:3]
	v_add_u32_e32 v40, v28, v8
	v_cndmask_b32_e64 v28, 0, v40, s[4:5]
	;; [unrolled: 2-line block ×12, first 2 shown]
	v_add_u32_e32 v47, v28, v24
	s_branch .LBB1005_139
.LBB1005_113:
	s_or_b64 exec, exec, s[30:31]
                                        ; implicit-def: $vgpr4
	s_and_saveexec_b64 s[30:31], s[2:3]
	s_cbranch_execz .LBB1005_33
.LBB1005_114:
	v_mov_b32_e32 v5, s47
	v_add_co_u32_e32 v4, vcc, s7, v67
	v_addc_co_u32_e32 v5, vcc, 0, v5, vcc
	flat_load_dword v4, v[4:5] offset:2048
	s_or_b64 exec, exec, s[30:31]
                                        ; implicit-def: $vgpr5
	s_and_saveexec_b64 s[2:3], s[4:5]
	s_cbranch_execnz .LBB1005_34
.LBB1005_115:
	s_or_b64 exec, exec, s[2:3]
                                        ; implicit-def: $vgpr6
	s_and_saveexec_b64 s[2:3], s[28:29]
	s_cbranch_execz .LBB1005_35
.LBB1005_116:
	v_mov_b32_e32 v1, s47
	v_add_co_u32_e32 v6, vcc, s7, v54
	v_addc_co_u32_e32 v7, vcc, 0, v1, vcc
	flat_load_dword v6, v[6:7]
	s_or_b64 exec, exec, s[2:3]
                                        ; implicit-def: $vgpr7
	s_and_saveexec_b64 s[2:3], s[8:9]
	s_cbranch_execnz .LBB1005_36
.LBB1005_117:
	s_or_b64 exec, exec, s[2:3]
                                        ; implicit-def: $vgpr8
	s_and_saveexec_b64 s[2:3], s[10:11]
	s_cbranch_execz .LBB1005_37
.LBB1005_118:
	v_mov_b32_e32 v1, s47
	v_add_co_u32_e32 v8, vcc, s7, v58
	v_addc_co_u32_e32 v9, vcc, 0, v1, vcc
	flat_load_dword v8, v[8:9]
	s_or_b64 exec, exec, s[2:3]
                                        ; implicit-def: $vgpr9
	s_and_saveexec_b64 s[2:3], s[12:13]
	s_cbranch_execnz .LBB1005_38
.LBB1005_119:
	s_or_b64 exec, exec, s[2:3]
                                        ; implicit-def: $vgpr10
	s_and_saveexec_b64 s[2:3], s[14:15]
	s_cbranch_execz .LBB1005_39
.LBB1005_120:
	v_mov_b32_e32 v1, s47
	v_add_co_u32_e32 v10, vcc, s7, v60
	v_addc_co_u32_e32 v11, vcc, 0, v1, vcc
	flat_load_dword v10, v[10:11]
	s_or_b64 exec, exec, s[2:3]
                                        ; implicit-def: $vgpr11
	s_and_saveexec_b64 s[2:3], s[16:17]
	s_cbranch_execnz .LBB1005_40
.LBB1005_121:
	s_or_b64 exec, exec, s[2:3]
                                        ; implicit-def: $vgpr12
	s_and_saveexec_b64 s[2:3], s[18:19]
	s_cbranch_execz .LBB1005_41
.LBB1005_122:
	v_mov_b32_e32 v1, s47
	v_add_co_u32_e32 v12, vcc, s7, v62
	v_addc_co_u32_e32 v13, vcc, 0, v1, vcc
	flat_load_dword v12, v[12:13]
	s_or_b64 exec, exec, s[2:3]
                                        ; implicit-def: $vgpr13
	s_and_saveexec_b64 s[2:3], s[20:21]
	s_cbranch_execnz .LBB1005_42
.LBB1005_123:
	s_or_b64 exec, exec, s[2:3]
                                        ; implicit-def: $vgpr14
	s_and_saveexec_b64 s[2:3], s[22:23]
	s_cbranch_execz .LBB1005_43
.LBB1005_124:
	v_mov_b32_e32 v1, s47
	v_add_co_u32_e32 v14, vcc, s7, v64
	v_addc_co_u32_e32 v15, vcc, 0, v1, vcc
	flat_load_dword v14, v[14:15]
	s_or_b64 exec, exec, s[2:3]
                                        ; implicit-def: $vgpr15
	s_and_saveexec_b64 s[2:3], s[24:25]
	s_cbranch_execz .LBB1005_45
	s_branch .LBB1005_44
.LBB1005_125:
                                        ; implicit-def: $vgpr47
                                        ; implicit-def: $vgpr45
                                        ; implicit-def: $vgpr43
                                        ; implicit-def: $vgpr41
                                        ; implicit-def: $vgpr34_vgpr35_vgpr36_vgpr37
                                        ; implicit-def: $vgpr30_vgpr31_vgpr32_vgpr33
                                        ; implicit-def: $vgpr26_vgpr27_vgpr28_vgpr29
	s_cbranch_execz .LBB1005_139
; %bb.126:
	s_cmp_lg_u64 s[52:53], 0
	s_cselect_b32 s3, s51, 0
	s_cselect_b32 s2, s50, 0
	s_mov_b32 s24, 0
	s_cmp_eq_u64 s[2:3], 0
	v_mov_b32_e32 v32, s56
	s_cbranch_scc1 .LBB1005_128
; %bb.127:
	v_mov_b32_e32 v26, 0
	global_load_dword v32, v26, s[2:3]
.LBB1005_128:
	s_mov_b32 s25, 1
	v_cmp_gt_u64_e32 vcc, s[24:25], v[8:9]
	v_cndmask_b32_e32 v27, 0, v54, vcc
	v_add_u32_e32 v27, v27, v8
	v_cmp_gt_u64_e64 s[2:3], s[24:25], v[6:7]
	v_cndmask_b32_e64 v27, 0, v27, s[2:3]
	v_add_u32_e32 v27, v27, v6
	v_cmp_gt_u64_e64 s[4:5], s[24:25], v[4:5]
	v_cndmask_b32_e64 v27, 0, v27, s[4:5]
	;; [unrolled: 3-line block ×11, first 2 shown]
	v_mov_b32_e32 v26, 0
	v_add_u32_e32 v27, v27, v24
	v_cmp_gt_u64_e64 s[24:25], s[24:25], v[38:39]
	v_or3_b32 v7, v23, v15, v7
	v_cndmask_b32_e64 v27, 0, v27, s[24:25]
	v_or3_b32 v9, v25, v17, v9
	v_and_b32_e32 v35, 1, v7
	v_mov_b32_e32 v34, v26
	v_add_u32_e32 v33, v27, v38
	v_and_b32_e32 v27, 1, v39
	v_or3_b32 v3, v19, v11, v3
	v_and_b32_e32 v31, 1, v9
	v_mov_b32_e32 v30, v26
	v_cmp_ne_u64_e64 s[26:27], 0, v[34:35]
	v_cmp_eq_u32_e64 s[24:25], 1, v27
	v_or3_b32 v5, v21, v13, v5
	v_and_b32_e32 v27, 1, v3
	v_cndmask_b32_e64 v3, 0, 1, s[26:27]
	v_cmp_ne_u64_e64 s[26:27], 0, v[30:31]
	v_and_b32_e32 v29, 1, v5
	v_mov_b32_e32 v28, v26
	v_cndmask_b32_e64 v5, 0, 1, s[26:27]
	v_lshlrev_b16_e32 v3, 2, v3
	v_lshlrev_b16_e32 v5, 3, v5
	v_cmp_ne_u64_e64 s[26:27], 0, v[28:29]
	v_or_b32_e32 v3, v5, v3
	v_cndmask_b32_e64 v5, 0, 1, s[26:27]
	v_cmp_ne_u64_e64 s[26:27], 0, v[26:27]
	v_lshlrev_b16_e32 v5, 1, v5
	v_cndmask_b32_e64 v7, 0, 1, s[26:27]
	v_or_b32_e32 v5, v7, v5
	v_and_b32_e32 v5, 3, v5
	v_or_b32_e32 v3, v5, v3
	v_and_b32_e32 v3, 15, v3
	v_cmp_ne_u16_e64 s[26:27], 0, v3
	s_or_b64 s[24:25], s[24:25], s[26:27]
	v_cndmask_b32_e64 v5, v55, 1, s[24:25]
	v_and_b32_e32 v7, 0xff, v5
	v_mov_b32_dpp v11, v33 row_shr:1 row_mask:0xf bank_mask:0xf
	v_cmp_eq_u16_e64 s[24:25], 0, v7
	v_mov_b32_dpp v13, v7 row_shr:1 row_mask:0xf bank_mask:0xf
	v_and_b32_e32 v15, 1, v5
	v_mbcnt_hi_u32_b32 v3, -1, v50
	v_cndmask_b32_e64 v11, 0, v11, s[24:25]
	v_and_b32_e32 v13, 1, v13
	v_cmp_eq_u32_e64 s[24:25], 1, v15
	v_and_b32_e32 v9, 15, v3
	v_cndmask_b32_e64 v13, v13, 1, s[24:25]
	v_and_b32_e32 v15, 0xffff, v13
	v_cmp_eq_u32_e64 s[24:25], 0, v9
	v_cndmask_b32_e64 v5, v13, v5, s[24:25]
	v_cndmask_b32_e64 v7, v15, v7, s[24:25]
	v_and_b32_e32 v17, 1, v5
	v_cndmask_b32_e64 v11, v11, 0, s[24:25]
	v_mov_b32_dpp v15, v7 row_shr:2 row_mask:0xf bank_mask:0xf
	v_and_b32_e32 v15, 1, v15
	v_cmp_eq_u32_e64 s[24:25], 1, v17
	v_cndmask_b32_e64 v15, v15, 1, s[24:25]
	v_and_b32_e32 v17, 0xffff, v15
	v_cmp_lt_u32_e64 s[24:25], 1, v9
	v_add_u32_e32 v11, v11, v33
	v_cmp_eq_u16_sdwa s[26:27], v5, v26 src0_sel:BYTE_0 src1_sel:DWORD
	v_cndmask_b32_e64 v5, v5, v15, s[24:25]
	v_cndmask_b32_e64 v7, v7, v17, s[24:25]
	v_mov_b32_dpp v13, v11 row_shr:2 row_mask:0xf bank_mask:0xf
	s_and_b64 s[24:25], s[24:25], s[26:27]
	v_mov_b32_dpp v15, v7 row_shr:4 row_mask:0xf bank_mask:0xf
	v_and_b32_e32 v17, 1, v5
	v_cndmask_b32_e64 v13, 0, v13, s[24:25]
	v_and_b32_e32 v15, 1, v15
	v_cmp_eq_u32_e64 s[24:25], 1, v17
	v_cndmask_b32_e64 v15, v15, 1, s[24:25]
	v_and_b32_e32 v17, 0xffff, v15
	v_cmp_lt_u32_e64 s[24:25], 3, v9
	v_add_u32_e32 v11, v13, v11
	v_cmp_eq_u16_sdwa s[26:27], v5, v26 src0_sel:BYTE_0 src1_sel:DWORD
	v_cndmask_b32_e64 v5, v5, v15, s[24:25]
	v_cndmask_b32_e64 v7, v7, v17, s[24:25]
	v_mov_b32_dpp v13, v11 row_shr:4 row_mask:0xf bank_mask:0xf
	s_and_b64 s[24:25], s[24:25], s[26:27]
	v_mov_b32_dpp v15, v7 row_shr:8 row_mask:0xf bank_mask:0xf
	v_and_b32_e32 v17, 1, v5
	v_cndmask_b32_e64 v13, 0, v13, s[24:25]
	v_and_b32_e32 v15, 1, v15
	v_cmp_eq_u32_e64 s[24:25], 1, v17
	v_cndmask_b32_e64 v15, v15, 1, s[24:25]
	v_add_u32_e32 v11, v13, v11
	v_cmp_eq_u16_sdwa s[26:27], v5, v26 src0_sel:BYTE_0 src1_sel:DWORD
	v_and_b32_e32 v17, 0xffff, v15
	v_cmp_lt_u32_e64 s[24:25], 7, v9
	v_mov_b32_dpp v13, v11 row_shr:8 row_mask:0xf bank_mask:0xf
	v_cndmask_b32_e64 v5, v5, v15, s[24:25]
	v_cndmask_b32_e64 v7, v7, v17, s[24:25]
	s_and_b64 s[24:25], s[24:25], s[26:27]
	v_cndmask_b32_e64 v9, 0, v13, s[24:25]
	v_add_u32_e32 v9, v9, v11
	v_mov_b32_dpp v13, v7 row_bcast:15 row_mask:0xf bank_mask:0xf
	v_cmp_eq_u16_sdwa s[24:25], v5, v26 src0_sel:BYTE_0 src1_sel:DWORD
	v_mov_b32_dpp v11, v9 row_bcast:15 row_mask:0xf bank_mask:0xf
	v_and_b32_e32 v19, 1, v5
	v_cndmask_b32_e64 v11, 0, v11, s[24:25]
	v_and_b32_e32 v13, 1, v13
	v_cmp_eq_u32_e64 s[24:25], 1, v19
	v_and_b32_e32 v17, 16, v3
	v_cndmask_b32_e64 v13, v13, 1, s[24:25]
	v_and_b32_e32 v19, 0xffff, v13
	v_cmp_eq_u32_e64 s[24:25], 0, v17
	v_cndmask_b32_e64 v5, v13, v5, s[24:25]
	v_cndmask_b32_e64 v7, v19, v7, s[24:25]
	v_bfe_i32 v15, v3, 4, 1
	v_and_b32_e32 v13, 1, v5
	v_mov_b32_dpp v7, v7 row_bcast:31 row_mask:0xf bank_mask:0xf
	v_and_b32_e32 v11, v15, v11
	v_and_b32_e32 v7, 1, v7
	v_cmp_eq_u32_e64 s[24:25], 1, v13
	v_add_u32_e32 v9, v11, v9
	v_cmp_eq_u16_sdwa s[26:27], v5, v26 src0_sel:BYTE_0 src1_sel:DWORD
	v_cndmask_b32_e64 v7, v7, 1, s[24:25]
	v_cmp_lt_u32_e64 s[24:25], 31, v3
	v_mov_b32_dpp v11, v9 row_bcast:31 row_mask:0xf bank_mask:0xf
	v_cndmask_b32_e64 v5, v5, v7, s[24:25]
	s_and_b64 s[24:25], s[24:25], s[26:27]
	v_cndmask_b32_e64 v7, 0, v11, s[24:25]
	v_add_u32_e32 v7, v7, v9
	v_cmp_eq_u32_e64 s[24:25], v49, v0
	s_and_saveexec_b64 s[26:27], s[24:25]
	s_cbranch_execz .LBB1005_130
; %bb.129:
	v_lshlrev_b32_e32 v9, 3, v1
	ds_write_b32 v9, v7
	ds_write_b8 v9, v5 offset:4
.LBB1005_130:
	s_or_b64 exec, exec, s[26:27]
	v_cmp_gt_u32_e64 s[24:25], 4, v0
	s_waitcnt lgkmcnt(0)
	s_barrier
	s_and_saveexec_b64 s[26:27], s[24:25]
	s_cbranch_execz .LBB1005_134
; %bb.131:
	ds_read_b64 v[26:27], v48
	v_and_b32_e32 v9, 3, v3
	v_cmp_ne_u32_e64 s[24:25], 0, v9
	s_waitcnt lgkmcnt(0)
	v_mov_b32_dpp v11, v26 row_shr:1 row_mask:0xf bank_mask:0xf
	v_mov_b32_dpp v15, v27 row_shr:1 row_mask:0xf bank_mask:0xf
	v_mov_b32_e32 v13, v27
	s_and_saveexec_b64 s[28:29], s[24:25]
	s_cbranch_execz .LBB1005_133
; %bb.132:
	v_and_b32_e32 v13, 1, v27
	v_and_b32_e32 v15, 1, v15
	v_cmp_eq_u32_e64 s[24:25], 1, v13
	v_mov_b32_e32 v13, 0
	v_cndmask_b32_e64 v15, v15, 1, s[24:25]
	v_cmp_eq_u16_sdwa s[24:25], v27, v13 src0_sel:BYTE_0 src1_sel:DWORD
	v_cndmask_b32_e64 v11, 0, v11, s[24:25]
	v_add_u32_e32 v26, v11, v26
	v_and_b32_e32 v11, 0xffff, v15
	s_movk_i32 s24, 0xff00
	v_and_or_b32 v13, v27, s24, v11
	v_mov_b32_e32 v27, v15
.LBB1005_133:
	s_or_b64 exec, exec, s[28:29]
	v_mov_b32_dpp v13, v13 row_shr:2 row_mask:0xf bank_mask:0xf
	v_and_b32_e32 v15, 1, v27
	v_and_b32_e32 v13, 1, v13
	v_cmp_eq_u32_e64 s[24:25], 1, v15
	v_mov_b32_e32 v15, 0
	v_cndmask_b32_e64 v13, v13, 1, s[24:25]
	v_cmp_eq_u16_sdwa s[28:29], v27, v15 src0_sel:BYTE_0 src1_sel:DWORD
	v_cmp_lt_u32_e64 s[24:25], 1, v9
	v_mov_b32_dpp v11, v26 row_shr:2 row_mask:0xf bank_mask:0xf
	v_cndmask_b32_e64 v9, v27, v13, s[24:25]
	s_and_b64 s[24:25], s[24:25], s[28:29]
	v_cndmask_b32_e64 v11, 0, v11, s[24:25]
	v_add_u32_e32 v11, v11, v26
	ds_write_b32 v48, v11
	ds_write_b8 v48, v9 offset:4
.LBB1005_134:
	s_or_b64 exec, exec, s[26:27]
	v_cmp_lt_u32_e64 s[24:25], 63, v0
	s_waitcnt vmcnt(0)
	v_mov_b32_e32 v9, v32
	s_waitcnt lgkmcnt(0)
	s_barrier
	s_and_saveexec_b64 s[26:27], s[24:25]
	s_cbranch_execz .LBB1005_136
; %bb.135:
	v_lshl_add_u32 v1, v1, 3, -8
	ds_read_u8 v9, v1 offset:4
	ds_read_b32 v1, v1
	s_waitcnt lgkmcnt(1)
	v_cmp_eq_u16_e64 s[24:25], 0, v9
	v_cndmask_b32_e64 v9, 0, v32, s[24:25]
	s_waitcnt lgkmcnt(0)
	v_add_u32_e32 v9, v9, v1
.LBB1005_136:
	s_or_b64 exec, exec, s[26:27]
	v_mov_b32_e32 v28, 0
	v_cmp_eq_u16_sdwa s[24:25], v5, v28 src0_sel:BYTE_0 src1_sel:DWORD
	v_cndmask_b32_e64 v1, 0, v9, s[24:25]
	v_add_u32_e32 v1, v1, v7
	v_add_u32_e32 v5, -1, v3
	v_and_b32_e32 v7, 64, v3
	v_cmp_lt_i32_e64 s[24:25], v5, v7
	v_cndmask_b32_e64 v5, v5, v3, s[24:25]
	v_lshlrev_b32_e32 v5, 2, v5
	ds_bpermute_b32 v1, v5, v1
	v_cmp_eq_u32_e64 s[24:25], 0, v3
	v_and_b32_e32 v29, 0xff, v55
	v_cmp_eq_u64_e64 s[26:27], 0, v[28:29]
	s_waitcnt lgkmcnt(0)
	v_cndmask_b32_e64 v26, v1, v9, s[24:25]
	v_cmp_eq_u32_e64 s[24:25], 0, v0
	v_cndmask_b32_e64 v1, v26, v32, s[24:25]
	v_cndmask_b32_e64 v1, 0, v1, s[26:27]
	v_add_u32_e32 v27, v1, v54
	v_cndmask_b32_e32 v1, 0, v27, vcc
	v_add_u32_e32 v40, v1, v8
	v_cndmask_b32_e64 v1, 0, v40, s[2:3]
	v_add_u32_e32 v41, v1, v6
	v_cndmask_b32_e64 v1, 0, v41, s[4:5]
	v_add_u32_e32 v30, v1, v4
	v_cndmask_b32_e64 v1, 0, v30, s[6:7]
	v_add_u32_e32 v31, v1, v2
	v_cndmask_b32_e64 v1, 0, v31, s[8:9]
	v_add_u32_e32 v42, v1, v16
	v_cndmask_b32_e64 v1, 0, v42, s[10:11]
	v_add_u32_e32 v43, v1, v14
	v_cndmask_b32_e64 v1, 0, v43, s[12:13]
	v_add_u32_e32 v34, v1, v12
	v_cndmask_b32_e64 v1, 0, v34, s[14:15]
	v_add_u32_e32 v35, v1, v10
	v_cndmask_b32_e64 v1, 0, v35, s[16:17]
	v_add_u32_e32 v44, v1, v18
	v_cndmask_b32_e64 v1, 0, v44, s[18:19]
	v_add_u32_e32 v45, v1, v20
	v_cndmask_b32_e64 v1, 0, v45, s[20:21]
	v_add_u32_e32 v46, v1, v22
	v_cndmask_b32_e64 v1, 0, v46, s[22:23]
	s_and_saveexec_b64 s[2:3], s[24:25]
	s_cbranch_execz .LBB1005_138
; %bb.137:
	ds_read_u8 v3, v28 offset:28
	ds_read_b32 v2, v28 offset:24
	s_add_u32 s4, s44, 0x400
	s_addc_u32 s5, s45, 0
	v_mov_b32_e32 v5, v28
	s_waitcnt lgkmcnt(1)
	v_cmp_eq_u16_e32 vcc, 0, v3
	v_cndmask_b32_e32 v4, 0, v32, vcc
	s_waitcnt lgkmcnt(0)
	v_add_u32_e32 v2, v4, v2
	v_and_b32_e32 v3, 0xffff, v3
	v_mov_b32_e32 v4, 2
	v_pk_mov_b32 v[6:7], s[4:5], s[4:5] op_sel:[0,1]
	;;#ASMSTART
	global_store_dwordx4 v[6:7], v[2:5] off	
s_waitcnt vmcnt(0)
	;;#ASMEND
	v_mov_b32_e32 v26, v32
.LBB1005_138:
	s_or_b64 exec, exec, s[2:3]
	v_add_u32_e32 v47, v1, v24
.LBB1005_139:
	s_add_u32 s2, s42, s34
	s_addc_u32 s3, s43, s35
	s_add_u32 s4, s2, s36
	v_mul_u32_u24_e32 v1, 14, v0
	s_addc_u32 s5, s3, s37
	s_and_b64 vcc, exec, s[0:1]
	v_lshlrev_b32_e32 v2, 2, v1
	s_cbranch_vccz .LBB1005_167
; %bb.140:
	s_movk_i32 s0, 0xffcc
	v_mad_i32_i24 v3, v0, s0, v2
	s_barrier
	ds_write2_b64 v2, v[26:27], v[40:41] offset1:1
	ds_write2_b64 v2, v[30:31], v[42:43] offset0:2 offset1:3
	ds_write2_b64 v2, v[34:35], v[44:45] offset0:4 offset1:5
	ds_write_b64 v2, v[46:47] offset:48
	s_waitcnt lgkmcnt(0)
	s_barrier
	ds_read2st64_b32 v[16:17], v3 offset0:4 offset1:8
	ds_read2st64_b32 v[14:15], v3 offset0:12 offset1:16
	;; [unrolled: 1-line block ×6, first 2 shown]
	ds_read_b32 v3, v3 offset:13312
	v_mov_b32_e32 v7, s5
	v_add_co_u32_e32 v6, vcc, s4, v48
	s_add_i32 s33, s33, s46
	v_addc_co_u32_e32 v7, vcc, 0, v7, vcc
	v_mov_b32_e32 v1, 0
	v_cmp_gt_u32_e32 vcc, s33, v0
	s_and_saveexec_b64 s[0:1], vcc
	s_cbranch_execz .LBB1005_142
; %bb.141:
	v_mul_i32_i24_e32 v18, 0xffffffcc, v0
	v_add_u32_e32 v18, v2, v18
	ds_read_b32 v18, v18
	s_waitcnt lgkmcnt(0)
	v_ashrrev_i32_e32 v19, 31, v18
	flat_store_dwordx2 v[6:7], v[18:19]
.LBB1005_142:
	s_or_b64 exec, exec, s[0:1]
	v_or_b32_e32 v18, 0x100, v0
	v_cmp_gt_u32_e32 vcc, s33, v18
	s_and_saveexec_b64 s[0:1], vcc
	s_cbranch_execz .LBB1005_144
; %bb.143:
	s_waitcnt lgkmcnt(0)
	v_ashrrev_i32_e32 v19, 31, v16
	v_mov_b32_e32 v18, v16
	flat_store_dwordx2 v[6:7], v[18:19] offset:2048
.LBB1005_144:
	s_or_b64 exec, exec, s[0:1]
	s_waitcnt lgkmcnt(0)
	v_or_b32_e32 v16, 0x200, v0
	v_cmp_gt_u32_e32 vcc, s33, v16
	s_and_saveexec_b64 s[0:1], vcc
	s_cbranch_execz .LBB1005_146
; %bb.145:
	v_add_co_u32_e32 v16, vcc, 0x1000, v6
	v_ashrrev_i32_e32 v19, 31, v17
	v_mov_b32_e32 v18, v17
	v_addc_co_u32_e32 v17, vcc, 0, v7, vcc
	flat_store_dwordx2 v[16:17], v[18:19]
.LBB1005_146:
	s_or_b64 exec, exec, s[0:1]
	v_or_b32_e32 v16, 0x300, v0
	v_cmp_gt_u32_e32 vcc, s33, v16
	s_and_saveexec_b64 s[0:1], vcc
	s_cbranch_execz .LBB1005_148
; %bb.147:
	v_add_co_u32_e32 v18, vcc, 0x1000, v6
	v_ashrrev_i32_e32 v17, 31, v14
	v_mov_b32_e32 v16, v14
	v_addc_co_u32_e32 v19, vcc, 0, v7, vcc
	flat_store_dwordx2 v[18:19], v[16:17] offset:2048
.LBB1005_148:
	s_or_b64 exec, exec, s[0:1]
	v_or_b32_e32 v14, 0x400, v0
	v_cmp_gt_u32_e32 vcc, s33, v14
	s_and_saveexec_b64 s[0:1], vcc
	s_cbranch_execz .LBB1005_150
; %bb.149:
	v_add_co_u32_e32 v14, vcc, 0x2000, v6
	v_ashrrev_i32_e32 v17, 31, v15
	v_mov_b32_e32 v16, v15
	v_addc_co_u32_e32 v15, vcc, 0, v7, vcc
	flat_store_dwordx2 v[14:15], v[16:17]
.LBB1005_150:
	s_or_b64 exec, exec, s[0:1]
	v_or_b32_e32 v14, 0x500, v0
	v_cmp_gt_u32_e32 vcc, s33, v14
	s_and_saveexec_b64 s[0:1], vcc
	s_cbranch_execz .LBB1005_152
; %bb.151:
	v_add_co_u32_e32 v16, vcc, 0x2000, v6
	v_ashrrev_i32_e32 v15, 31, v12
	v_mov_b32_e32 v14, v12
	v_addc_co_u32_e32 v17, vcc, 0, v7, vcc
	flat_store_dwordx2 v[16:17], v[14:15] offset:2048
.LBB1005_152:
	s_or_b64 exec, exec, s[0:1]
	v_or_b32_e32 v12, 0x600, v0
	v_cmp_gt_u32_e32 vcc, s33, v12
	s_and_saveexec_b64 s[0:1], vcc
	s_cbranch_execz .LBB1005_154
; %bb.153:
	v_add_co_u32_e32 v12, vcc, 0x3000, v6
	v_ashrrev_i32_e32 v15, 31, v13
	v_mov_b32_e32 v14, v13
	v_addc_co_u32_e32 v13, vcc, 0, v7, vcc
	flat_store_dwordx2 v[12:13], v[14:15]
.LBB1005_154:
	s_or_b64 exec, exec, s[0:1]
	v_or_b32_e32 v12, 0x700, v0
	v_cmp_gt_u32_e32 vcc, s33, v12
	s_and_saveexec_b64 s[0:1], vcc
	s_cbranch_execz .LBB1005_156
; %bb.155:
	v_add_co_u32_e32 v14, vcc, 0x3000, v6
	v_ashrrev_i32_e32 v13, 31, v10
	v_mov_b32_e32 v12, v10
	v_addc_co_u32_e32 v15, vcc, 0, v7, vcc
	flat_store_dwordx2 v[14:15], v[12:13] offset:2048
.LBB1005_156:
	s_or_b64 exec, exec, s[0:1]
	v_or_b32_e32 v10, 0x800, v0
	v_cmp_gt_u32_e32 vcc, s33, v10
	s_and_saveexec_b64 s[0:1], vcc
	s_cbranch_execz .LBB1005_158
; %bb.157:
	v_add_co_u32_e32 v10, vcc, 0x4000, v6
	v_ashrrev_i32_e32 v13, 31, v11
	v_mov_b32_e32 v12, v11
	v_addc_co_u32_e32 v11, vcc, 0, v7, vcc
	flat_store_dwordx2 v[10:11], v[12:13]
.LBB1005_158:
	s_or_b64 exec, exec, s[0:1]
	v_or_b32_e32 v10, 0x900, v0
	v_cmp_gt_u32_e32 vcc, s33, v10
	s_and_saveexec_b64 s[0:1], vcc
	s_cbranch_execz .LBB1005_160
; %bb.159:
	v_add_co_u32_e32 v12, vcc, 0x4000, v6
	v_ashrrev_i32_e32 v11, 31, v8
	v_mov_b32_e32 v10, v8
	v_addc_co_u32_e32 v13, vcc, 0, v7, vcc
	flat_store_dwordx2 v[12:13], v[10:11] offset:2048
.LBB1005_160:
	s_or_b64 exec, exec, s[0:1]
	v_or_b32_e32 v8, 0xa00, v0
	v_cmp_gt_u32_e32 vcc, s33, v8
	s_and_saveexec_b64 s[0:1], vcc
	s_cbranch_execz .LBB1005_162
; %bb.161:
	v_add_co_u32_e32 v8, vcc, 0x5000, v6
	v_ashrrev_i32_e32 v11, 31, v9
	v_mov_b32_e32 v10, v9
	v_addc_co_u32_e32 v9, vcc, 0, v7, vcc
	flat_store_dwordx2 v[8:9], v[10:11]
.LBB1005_162:
	s_or_b64 exec, exec, s[0:1]
	v_or_b32_e32 v8, 0xb00, v0
	v_cmp_gt_u32_e32 vcc, s33, v8
	s_and_saveexec_b64 s[0:1], vcc
	s_cbranch_execz .LBB1005_164
; %bb.163:
	v_add_co_u32_e32 v10, vcc, 0x5000, v6
	v_ashrrev_i32_e32 v9, 31, v4
	v_mov_b32_e32 v8, v4
	v_addc_co_u32_e32 v11, vcc, 0, v7, vcc
	flat_store_dwordx2 v[10:11], v[8:9] offset:2048
.LBB1005_164:
	s_or_b64 exec, exec, s[0:1]
	v_or_b32_e32 v4, 0xc00, v0
	v_cmp_gt_u32_e32 vcc, s33, v4
	s_and_saveexec_b64 s[0:1], vcc
	s_cbranch_execz .LBB1005_166
; %bb.165:
	v_add_co_u32_e32 v4, vcc, 0x6000, v6
	v_ashrrev_i32_e32 v9, 31, v5
	v_mov_b32_e32 v8, v5
	v_addc_co_u32_e32 v5, vcc, 0, v7, vcc
	flat_store_dwordx2 v[4:5], v[8:9]
.LBB1005_166:
	s_or_b64 exec, exec, s[0:1]
	v_or_b32_e32 v4, 0xd00, v0
	v_cmp_gt_u32_e64 s[0:1], s33, v4
	s_branch .LBB1005_169
.LBB1005_167:
	s_mov_b64 s[0:1], 0
                                        ; implicit-def: $vgpr3
	s_cbranch_execz .LBB1005_169
; %bb.168:
	s_movk_i32 s2, 0xffcc
	s_waitcnt lgkmcnt(0)
	s_barrier
	ds_write2_b64 v2, v[26:27], v[40:41] offset1:1
	ds_write2_b64 v2, v[30:31], v[42:43] offset0:2 offset1:3
	ds_write2_b64 v2, v[34:35], v[44:45] offset0:4 offset1:5
	ds_write_b64 v2, v[46:47] offset:48
	v_mad_i32_i24 v26, v0, s2, v2
	s_waitcnt lgkmcnt(0)
	s_barrier
	ds_read2st64_b32 v[2:3], v26 offset1:4
	ds_read2st64_b32 v[6:7], v26 offset0:8 offset1:12
	ds_read2st64_b32 v[14:15], v26 offset0:24 offset1:28
	;; [unrolled: 1-line block ×3, first 2 shown]
	v_add_co_u32_e32 v30, vcc, s4, v48
	s_waitcnt lgkmcnt(0)
	v_ashrrev_i32_e32 v5, 31, v2
	v_mov_b32_e32 v4, v2
	v_ashrrev_i32_e32 v9, 31, v3
	v_mov_b32_e32 v8, v3
	ds_read2st64_b32 v[2:3], v26 offset0:16 offset1:20
	v_ashrrev_i32_e32 v11, 31, v6
	v_mov_b32_e32 v10, v6
	v_ashrrev_i32_e32 v13, 31, v7
	v_mov_b32_e32 v12, v7
	s_waitcnt lgkmcnt(0)
	v_ashrrev_i32_e32 v7, 31, v2
	v_mov_b32_e32 v6, v2
	v_ashrrev_i32_e32 v17, 31, v3
	v_mov_b32_e32 v16, v3
	ds_read2st64_b32 v[2:3], v26 offset0:32 offset1:36
	v_ashrrev_i32_e32 v19, 31, v14
	v_mov_b32_e32 v18, v14
	v_ashrrev_i32_e32 v21, 31, v15
	v_mov_b32_e32 v20, v15
	;; [unrolled: 10-line block ×3, first 2 shown]
	s_waitcnt lgkmcnt(0)
	v_ashrrev_i32_e32 v23, 31, v2
	v_mov_b32_e32 v22, v2
	v_mov_b32_e32 v2, s5
	v_addc_co_u32_e32 v31, vcc, 0, v2, vcc
	s_movk_i32 s2, 0x1000
	flat_store_dwordx2 v[30:31], v[4:5]
	flat_store_dwordx2 v[30:31], v[8:9] offset:2048
	v_add_co_u32_e32 v4, vcc, s2, v30
	v_addc_co_u32_e32 v5, vcc, 0, v31, vcc
	s_movk_i32 s2, 0x2000
	flat_store_dwordx2 v[4:5], v[10:11]
	flat_store_dwordx2 v[4:5], v[12:13] offset:2048
	v_add_co_u32_e32 v4, vcc, s2, v30
	;; [unrolled: 5-line block ×4, first 2 shown]
	v_addc_co_u32_e32 v5, vcc, 0, v31, vcc
	flat_store_dwordx2 v[4:5], v[14:15]
	flat_store_dwordx2 v[4:5], v[24:25] offset:2048
	v_add_co_u32_e32 v4, vcc, 0x5000, v30
	v_addc_co_u32_e32 v5, vcc, 0, v31, vcc
	flat_store_dwordx2 v[4:5], v[26:27]
	flat_store_dwordx2 v[4:5], v[28:29] offset:2048
	v_add_co_u32_e32 v4, vcc, 0x6000, v30
	v_mov_b32_e32 v1, 0
	v_addc_co_u32_e32 v5, vcc, 0, v31, vcc
	s_or_b64 s[0:1], s[0:1], exec
	flat_store_dwordx2 v[4:5], v[22:23]
.LBB1005_169:
	s_and_saveexec_b64 s[2:3], s[0:1]
	s_cbranch_execz .LBB1005_171
; %bb.170:
	v_lshlrev_b64 v[0:1], 3, v[0:1]
	v_mov_b32_e32 v2, s5
	v_add_co_u32_e32 v4, vcc, s4, v0
	v_addc_co_u32_e32 v5, vcc, v2, v1, vcc
	v_add_co_u32_e32 v2, vcc, 0x6000, v4
	v_ashrrev_i32_e32 v1, 31, v3
	v_mov_b32_e32 v0, v3
	v_addc_co_u32_e32 v3, vcc, 0, v5, vcc
	flat_store_dwordx2 v[2:3], v[0:1] offset:2048
	s_endpgm
.LBB1005_171:
	s_endpgm
	.section	.rodata,"a",@progbits
	.p2align	6, 0x0
	.amdhsa_kernel _ZN7rocprim17ROCPRIM_400000_NS6detail17trampoline_kernelINS0_14default_configENS1_27scan_by_key_config_selectorIxiEEZZNS1_16scan_by_key_implILNS1_25lookback_scan_determinismE0ELb1ES3_N6thrust23THRUST_200600_302600_NS6detail15normal_iteratorINS9_10device_ptrIxEEEESE_SE_iNS9_4plusIvEENS9_8equal_toIvEEiEE10hipError_tPvRmT2_T3_T4_T5_mT6_T7_P12ihipStream_tbENKUlT_T0_E_clISt17integral_constantIbLb0EESZ_EEDaSU_SV_EUlSU_E_NS1_11comp_targetILNS1_3genE4ELNS1_11target_archE910ELNS1_3gpuE8ELNS1_3repE0EEENS1_30default_config_static_selectorELNS0_4arch9wavefront6targetE1EEEvT1_
		.amdhsa_group_segment_fixed_size 32768
		.amdhsa_private_segment_fixed_size 0
		.amdhsa_kernarg_size 112
		.amdhsa_user_sgpr_count 6
		.amdhsa_user_sgpr_private_segment_buffer 1
		.amdhsa_user_sgpr_dispatch_ptr 0
		.amdhsa_user_sgpr_queue_ptr 0
		.amdhsa_user_sgpr_kernarg_segment_ptr 1
		.amdhsa_user_sgpr_dispatch_id 0
		.amdhsa_user_sgpr_flat_scratch_init 0
		.amdhsa_user_sgpr_kernarg_preload_length 0
		.amdhsa_user_sgpr_kernarg_preload_offset 0
		.amdhsa_user_sgpr_private_segment_size 0
		.amdhsa_uses_dynamic_stack 0
		.amdhsa_system_sgpr_private_segment_wavefront_offset 0
		.amdhsa_system_sgpr_workgroup_id_x 1
		.amdhsa_system_sgpr_workgroup_id_y 0
		.amdhsa_system_sgpr_workgroup_id_z 0
		.amdhsa_system_sgpr_workgroup_info 0
		.amdhsa_system_vgpr_workitem_id 0
		.amdhsa_next_free_vgpr 68
		.amdhsa_next_free_sgpr 60
		.amdhsa_accum_offset 68
		.amdhsa_reserve_vcc 1
		.amdhsa_reserve_flat_scratch 0
		.amdhsa_float_round_mode_32 0
		.amdhsa_float_round_mode_16_64 0
		.amdhsa_float_denorm_mode_32 3
		.amdhsa_float_denorm_mode_16_64 3
		.amdhsa_dx10_clamp 1
		.amdhsa_ieee_mode 1
		.amdhsa_fp16_overflow 0
		.amdhsa_tg_split 0
		.amdhsa_exception_fp_ieee_invalid_op 0
		.amdhsa_exception_fp_denorm_src 0
		.amdhsa_exception_fp_ieee_div_zero 0
		.amdhsa_exception_fp_ieee_overflow 0
		.amdhsa_exception_fp_ieee_underflow 0
		.amdhsa_exception_fp_ieee_inexact 0
		.amdhsa_exception_int_div_zero 0
	.end_amdhsa_kernel
	.section	.text._ZN7rocprim17ROCPRIM_400000_NS6detail17trampoline_kernelINS0_14default_configENS1_27scan_by_key_config_selectorIxiEEZZNS1_16scan_by_key_implILNS1_25lookback_scan_determinismE0ELb1ES3_N6thrust23THRUST_200600_302600_NS6detail15normal_iteratorINS9_10device_ptrIxEEEESE_SE_iNS9_4plusIvEENS9_8equal_toIvEEiEE10hipError_tPvRmT2_T3_T4_T5_mT6_T7_P12ihipStream_tbENKUlT_T0_E_clISt17integral_constantIbLb0EESZ_EEDaSU_SV_EUlSU_E_NS1_11comp_targetILNS1_3genE4ELNS1_11target_archE910ELNS1_3gpuE8ELNS1_3repE0EEENS1_30default_config_static_selectorELNS0_4arch9wavefront6targetE1EEEvT1_,"axG",@progbits,_ZN7rocprim17ROCPRIM_400000_NS6detail17trampoline_kernelINS0_14default_configENS1_27scan_by_key_config_selectorIxiEEZZNS1_16scan_by_key_implILNS1_25lookback_scan_determinismE0ELb1ES3_N6thrust23THRUST_200600_302600_NS6detail15normal_iteratorINS9_10device_ptrIxEEEESE_SE_iNS9_4plusIvEENS9_8equal_toIvEEiEE10hipError_tPvRmT2_T3_T4_T5_mT6_T7_P12ihipStream_tbENKUlT_T0_E_clISt17integral_constantIbLb0EESZ_EEDaSU_SV_EUlSU_E_NS1_11comp_targetILNS1_3genE4ELNS1_11target_archE910ELNS1_3gpuE8ELNS1_3repE0EEENS1_30default_config_static_selectorELNS0_4arch9wavefront6targetE1EEEvT1_,comdat
.Lfunc_end1005:
	.size	_ZN7rocprim17ROCPRIM_400000_NS6detail17trampoline_kernelINS0_14default_configENS1_27scan_by_key_config_selectorIxiEEZZNS1_16scan_by_key_implILNS1_25lookback_scan_determinismE0ELb1ES3_N6thrust23THRUST_200600_302600_NS6detail15normal_iteratorINS9_10device_ptrIxEEEESE_SE_iNS9_4plusIvEENS9_8equal_toIvEEiEE10hipError_tPvRmT2_T3_T4_T5_mT6_T7_P12ihipStream_tbENKUlT_T0_E_clISt17integral_constantIbLb0EESZ_EEDaSU_SV_EUlSU_E_NS1_11comp_targetILNS1_3genE4ELNS1_11target_archE910ELNS1_3gpuE8ELNS1_3repE0EEENS1_30default_config_static_selectorELNS0_4arch9wavefront6targetE1EEEvT1_, .Lfunc_end1005-_ZN7rocprim17ROCPRIM_400000_NS6detail17trampoline_kernelINS0_14default_configENS1_27scan_by_key_config_selectorIxiEEZZNS1_16scan_by_key_implILNS1_25lookback_scan_determinismE0ELb1ES3_N6thrust23THRUST_200600_302600_NS6detail15normal_iteratorINS9_10device_ptrIxEEEESE_SE_iNS9_4plusIvEENS9_8equal_toIvEEiEE10hipError_tPvRmT2_T3_T4_T5_mT6_T7_P12ihipStream_tbENKUlT_T0_E_clISt17integral_constantIbLb0EESZ_EEDaSU_SV_EUlSU_E_NS1_11comp_targetILNS1_3genE4ELNS1_11target_archE910ELNS1_3gpuE8ELNS1_3repE0EEENS1_30default_config_static_selectorELNS0_4arch9wavefront6targetE1EEEvT1_
                                        ; -- End function
	.section	.AMDGPU.csdata,"",@progbits
; Kernel info:
; codeLenInByte = 11668
; NumSgprs: 64
; NumVgprs: 68
; NumAgprs: 0
; TotalNumVgprs: 68
; ScratchSize: 0
; MemoryBound: 0
; FloatMode: 240
; IeeeMode: 1
; LDSByteSize: 32768 bytes/workgroup (compile time only)
; SGPRBlocks: 7
; VGPRBlocks: 8
; NumSGPRsForWavesPerEU: 64
; NumVGPRsForWavesPerEU: 68
; AccumOffset: 68
; Occupancy: 2
; WaveLimiterHint : 1
; COMPUTE_PGM_RSRC2:SCRATCH_EN: 0
; COMPUTE_PGM_RSRC2:USER_SGPR: 6
; COMPUTE_PGM_RSRC2:TRAP_HANDLER: 0
; COMPUTE_PGM_RSRC2:TGID_X_EN: 1
; COMPUTE_PGM_RSRC2:TGID_Y_EN: 0
; COMPUTE_PGM_RSRC2:TGID_Z_EN: 0
; COMPUTE_PGM_RSRC2:TIDIG_COMP_CNT: 0
; COMPUTE_PGM_RSRC3_GFX90A:ACCUM_OFFSET: 16
; COMPUTE_PGM_RSRC3_GFX90A:TG_SPLIT: 0
	.section	.text._ZN7rocprim17ROCPRIM_400000_NS6detail17trampoline_kernelINS0_14default_configENS1_27scan_by_key_config_selectorIxiEEZZNS1_16scan_by_key_implILNS1_25lookback_scan_determinismE0ELb1ES3_N6thrust23THRUST_200600_302600_NS6detail15normal_iteratorINS9_10device_ptrIxEEEESE_SE_iNS9_4plusIvEENS9_8equal_toIvEEiEE10hipError_tPvRmT2_T3_T4_T5_mT6_T7_P12ihipStream_tbENKUlT_T0_E_clISt17integral_constantIbLb0EESZ_EEDaSU_SV_EUlSU_E_NS1_11comp_targetILNS1_3genE3ELNS1_11target_archE908ELNS1_3gpuE7ELNS1_3repE0EEENS1_30default_config_static_selectorELNS0_4arch9wavefront6targetE1EEEvT1_,"axG",@progbits,_ZN7rocprim17ROCPRIM_400000_NS6detail17trampoline_kernelINS0_14default_configENS1_27scan_by_key_config_selectorIxiEEZZNS1_16scan_by_key_implILNS1_25lookback_scan_determinismE0ELb1ES3_N6thrust23THRUST_200600_302600_NS6detail15normal_iteratorINS9_10device_ptrIxEEEESE_SE_iNS9_4plusIvEENS9_8equal_toIvEEiEE10hipError_tPvRmT2_T3_T4_T5_mT6_T7_P12ihipStream_tbENKUlT_T0_E_clISt17integral_constantIbLb0EESZ_EEDaSU_SV_EUlSU_E_NS1_11comp_targetILNS1_3genE3ELNS1_11target_archE908ELNS1_3gpuE7ELNS1_3repE0EEENS1_30default_config_static_selectorELNS0_4arch9wavefront6targetE1EEEvT1_,comdat
	.protected	_ZN7rocprim17ROCPRIM_400000_NS6detail17trampoline_kernelINS0_14default_configENS1_27scan_by_key_config_selectorIxiEEZZNS1_16scan_by_key_implILNS1_25lookback_scan_determinismE0ELb1ES3_N6thrust23THRUST_200600_302600_NS6detail15normal_iteratorINS9_10device_ptrIxEEEESE_SE_iNS9_4plusIvEENS9_8equal_toIvEEiEE10hipError_tPvRmT2_T3_T4_T5_mT6_T7_P12ihipStream_tbENKUlT_T0_E_clISt17integral_constantIbLb0EESZ_EEDaSU_SV_EUlSU_E_NS1_11comp_targetILNS1_3genE3ELNS1_11target_archE908ELNS1_3gpuE7ELNS1_3repE0EEENS1_30default_config_static_selectorELNS0_4arch9wavefront6targetE1EEEvT1_ ; -- Begin function _ZN7rocprim17ROCPRIM_400000_NS6detail17trampoline_kernelINS0_14default_configENS1_27scan_by_key_config_selectorIxiEEZZNS1_16scan_by_key_implILNS1_25lookback_scan_determinismE0ELb1ES3_N6thrust23THRUST_200600_302600_NS6detail15normal_iteratorINS9_10device_ptrIxEEEESE_SE_iNS9_4plusIvEENS9_8equal_toIvEEiEE10hipError_tPvRmT2_T3_T4_T5_mT6_T7_P12ihipStream_tbENKUlT_T0_E_clISt17integral_constantIbLb0EESZ_EEDaSU_SV_EUlSU_E_NS1_11comp_targetILNS1_3genE3ELNS1_11target_archE908ELNS1_3gpuE7ELNS1_3repE0EEENS1_30default_config_static_selectorELNS0_4arch9wavefront6targetE1EEEvT1_
	.globl	_ZN7rocprim17ROCPRIM_400000_NS6detail17trampoline_kernelINS0_14default_configENS1_27scan_by_key_config_selectorIxiEEZZNS1_16scan_by_key_implILNS1_25lookback_scan_determinismE0ELb1ES3_N6thrust23THRUST_200600_302600_NS6detail15normal_iteratorINS9_10device_ptrIxEEEESE_SE_iNS9_4plusIvEENS9_8equal_toIvEEiEE10hipError_tPvRmT2_T3_T4_T5_mT6_T7_P12ihipStream_tbENKUlT_T0_E_clISt17integral_constantIbLb0EESZ_EEDaSU_SV_EUlSU_E_NS1_11comp_targetILNS1_3genE3ELNS1_11target_archE908ELNS1_3gpuE7ELNS1_3repE0EEENS1_30default_config_static_selectorELNS0_4arch9wavefront6targetE1EEEvT1_
	.p2align	8
	.type	_ZN7rocprim17ROCPRIM_400000_NS6detail17trampoline_kernelINS0_14default_configENS1_27scan_by_key_config_selectorIxiEEZZNS1_16scan_by_key_implILNS1_25lookback_scan_determinismE0ELb1ES3_N6thrust23THRUST_200600_302600_NS6detail15normal_iteratorINS9_10device_ptrIxEEEESE_SE_iNS9_4plusIvEENS9_8equal_toIvEEiEE10hipError_tPvRmT2_T3_T4_T5_mT6_T7_P12ihipStream_tbENKUlT_T0_E_clISt17integral_constantIbLb0EESZ_EEDaSU_SV_EUlSU_E_NS1_11comp_targetILNS1_3genE3ELNS1_11target_archE908ELNS1_3gpuE7ELNS1_3repE0EEENS1_30default_config_static_selectorELNS0_4arch9wavefront6targetE1EEEvT1_,@function
_ZN7rocprim17ROCPRIM_400000_NS6detail17trampoline_kernelINS0_14default_configENS1_27scan_by_key_config_selectorIxiEEZZNS1_16scan_by_key_implILNS1_25lookback_scan_determinismE0ELb1ES3_N6thrust23THRUST_200600_302600_NS6detail15normal_iteratorINS9_10device_ptrIxEEEESE_SE_iNS9_4plusIvEENS9_8equal_toIvEEiEE10hipError_tPvRmT2_T3_T4_T5_mT6_T7_P12ihipStream_tbENKUlT_T0_E_clISt17integral_constantIbLb0EESZ_EEDaSU_SV_EUlSU_E_NS1_11comp_targetILNS1_3genE3ELNS1_11target_archE908ELNS1_3gpuE7ELNS1_3repE0EEENS1_30default_config_static_selectorELNS0_4arch9wavefront6targetE1EEEvT1_: ; @_ZN7rocprim17ROCPRIM_400000_NS6detail17trampoline_kernelINS0_14default_configENS1_27scan_by_key_config_selectorIxiEEZZNS1_16scan_by_key_implILNS1_25lookback_scan_determinismE0ELb1ES3_N6thrust23THRUST_200600_302600_NS6detail15normal_iteratorINS9_10device_ptrIxEEEESE_SE_iNS9_4plusIvEENS9_8equal_toIvEEiEE10hipError_tPvRmT2_T3_T4_T5_mT6_T7_P12ihipStream_tbENKUlT_T0_E_clISt17integral_constantIbLb0EESZ_EEDaSU_SV_EUlSU_E_NS1_11comp_targetILNS1_3genE3ELNS1_11target_archE908ELNS1_3gpuE7ELNS1_3repE0EEENS1_30default_config_static_selectorELNS0_4arch9wavefront6targetE1EEEvT1_
; %bb.0:
	.section	.rodata,"a",@progbits
	.p2align	6, 0x0
	.amdhsa_kernel _ZN7rocprim17ROCPRIM_400000_NS6detail17trampoline_kernelINS0_14default_configENS1_27scan_by_key_config_selectorIxiEEZZNS1_16scan_by_key_implILNS1_25lookback_scan_determinismE0ELb1ES3_N6thrust23THRUST_200600_302600_NS6detail15normal_iteratorINS9_10device_ptrIxEEEESE_SE_iNS9_4plusIvEENS9_8equal_toIvEEiEE10hipError_tPvRmT2_T3_T4_T5_mT6_T7_P12ihipStream_tbENKUlT_T0_E_clISt17integral_constantIbLb0EESZ_EEDaSU_SV_EUlSU_E_NS1_11comp_targetILNS1_3genE3ELNS1_11target_archE908ELNS1_3gpuE7ELNS1_3repE0EEENS1_30default_config_static_selectorELNS0_4arch9wavefront6targetE1EEEvT1_
		.amdhsa_group_segment_fixed_size 0
		.amdhsa_private_segment_fixed_size 0
		.amdhsa_kernarg_size 112
		.amdhsa_user_sgpr_count 6
		.amdhsa_user_sgpr_private_segment_buffer 1
		.amdhsa_user_sgpr_dispatch_ptr 0
		.amdhsa_user_sgpr_queue_ptr 0
		.amdhsa_user_sgpr_kernarg_segment_ptr 1
		.amdhsa_user_sgpr_dispatch_id 0
		.amdhsa_user_sgpr_flat_scratch_init 0
		.amdhsa_user_sgpr_kernarg_preload_length 0
		.amdhsa_user_sgpr_kernarg_preload_offset 0
		.amdhsa_user_sgpr_private_segment_size 0
		.amdhsa_uses_dynamic_stack 0
		.amdhsa_system_sgpr_private_segment_wavefront_offset 0
		.amdhsa_system_sgpr_workgroup_id_x 1
		.amdhsa_system_sgpr_workgroup_id_y 0
		.amdhsa_system_sgpr_workgroup_id_z 0
		.amdhsa_system_sgpr_workgroup_info 0
		.amdhsa_system_vgpr_workitem_id 0
		.amdhsa_next_free_vgpr 1
		.amdhsa_next_free_sgpr 0
		.amdhsa_accum_offset 4
		.amdhsa_reserve_vcc 0
		.amdhsa_reserve_flat_scratch 0
		.amdhsa_float_round_mode_32 0
		.amdhsa_float_round_mode_16_64 0
		.amdhsa_float_denorm_mode_32 3
		.amdhsa_float_denorm_mode_16_64 3
		.amdhsa_dx10_clamp 1
		.amdhsa_ieee_mode 1
		.amdhsa_fp16_overflow 0
		.amdhsa_tg_split 0
		.amdhsa_exception_fp_ieee_invalid_op 0
		.amdhsa_exception_fp_denorm_src 0
		.amdhsa_exception_fp_ieee_div_zero 0
		.amdhsa_exception_fp_ieee_overflow 0
		.amdhsa_exception_fp_ieee_underflow 0
		.amdhsa_exception_fp_ieee_inexact 0
		.amdhsa_exception_int_div_zero 0
	.end_amdhsa_kernel
	.section	.text._ZN7rocprim17ROCPRIM_400000_NS6detail17trampoline_kernelINS0_14default_configENS1_27scan_by_key_config_selectorIxiEEZZNS1_16scan_by_key_implILNS1_25lookback_scan_determinismE0ELb1ES3_N6thrust23THRUST_200600_302600_NS6detail15normal_iteratorINS9_10device_ptrIxEEEESE_SE_iNS9_4plusIvEENS9_8equal_toIvEEiEE10hipError_tPvRmT2_T3_T4_T5_mT6_T7_P12ihipStream_tbENKUlT_T0_E_clISt17integral_constantIbLb0EESZ_EEDaSU_SV_EUlSU_E_NS1_11comp_targetILNS1_3genE3ELNS1_11target_archE908ELNS1_3gpuE7ELNS1_3repE0EEENS1_30default_config_static_selectorELNS0_4arch9wavefront6targetE1EEEvT1_,"axG",@progbits,_ZN7rocprim17ROCPRIM_400000_NS6detail17trampoline_kernelINS0_14default_configENS1_27scan_by_key_config_selectorIxiEEZZNS1_16scan_by_key_implILNS1_25lookback_scan_determinismE0ELb1ES3_N6thrust23THRUST_200600_302600_NS6detail15normal_iteratorINS9_10device_ptrIxEEEESE_SE_iNS9_4plusIvEENS9_8equal_toIvEEiEE10hipError_tPvRmT2_T3_T4_T5_mT6_T7_P12ihipStream_tbENKUlT_T0_E_clISt17integral_constantIbLb0EESZ_EEDaSU_SV_EUlSU_E_NS1_11comp_targetILNS1_3genE3ELNS1_11target_archE908ELNS1_3gpuE7ELNS1_3repE0EEENS1_30default_config_static_selectorELNS0_4arch9wavefront6targetE1EEEvT1_,comdat
.Lfunc_end1006:
	.size	_ZN7rocprim17ROCPRIM_400000_NS6detail17trampoline_kernelINS0_14default_configENS1_27scan_by_key_config_selectorIxiEEZZNS1_16scan_by_key_implILNS1_25lookback_scan_determinismE0ELb1ES3_N6thrust23THRUST_200600_302600_NS6detail15normal_iteratorINS9_10device_ptrIxEEEESE_SE_iNS9_4plusIvEENS9_8equal_toIvEEiEE10hipError_tPvRmT2_T3_T4_T5_mT6_T7_P12ihipStream_tbENKUlT_T0_E_clISt17integral_constantIbLb0EESZ_EEDaSU_SV_EUlSU_E_NS1_11comp_targetILNS1_3genE3ELNS1_11target_archE908ELNS1_3gpuE7ELNS1_3repE0EEENS1_30default_config_static_selectorELNS0_4arch9wavefront6targetE1EEEvT1_, .Lfunc_end1006-_ZN7rocprim17ROCPRIM_400000_NS6detail17trampoline_kernelINS0_14default_configENS1_27scan_by_key_config_selectorIxiEEZZNS1_16scan_by_key_implILNS1_25lookback_scan_determinismE0ELb1ES3_N6thrust23THRUST_200600_302600_NS6detail15normal_iteratorINS9_10device_ptrIxEEEESE_SE_iNS9_4plusIvEENS9_8equal_toIvEEiEE10hipError_tPvRmT2_T3_T4_T5_mT6_T7_P12ihipStream_tbENKUlT_T0_E_clISt17integral_constantIbLb0EESZ_EEDaSU_SV_EUlSU_E_NS1_11comp_targetILNS1_3genE3ELNS1_11target_archE908ELNS1_3gpuE7ELNS1_3repE0EEENS1_30default_config_static_selectorELNS0_4arch9wavefront6targetE1EEEvT1_
                                        ; -- End function
	.section	.AMDGPU.csdata,"",@progbits
; Kernel info:
; codeLenInByte = 0
; NumSgprs: 4
; NumVgprs: 0
; NumAgprs: 0
; TotalNumVgprs: 0
; ScratchSize: 0
; MemoryBound: 0
; FloatMode: 240
; IeeeMode: 1
; LDSByteSize: 0 bytes/workgroup (compile time only)
; SGPRBlocks: 0
; VGPRBlocks: 0
; NumSGPRsForWavesPerEU: 4
; NumVGPRsForWavesPerEU: 1
; AccumOffset: 4
; Occupancy: 8
; WaveLimiterHint : 0
; COMPUTE_PGM_RSRC2:SCRATCH_EN: 0
; COMPUTE_PGM_RSRC2:USER_SGPR: 6
; COMPUTE_PGM_RSRC2:TRAP_HANDLER: 0
; COMPUTE_PGM_RSRC2:TGID_X_EN: 1
; COMPUTE_PGM_RSRC2:TGID_Y_EN: 0
; COMPUTE_PGM_RSRC2:TGID_Z_EN: 0
; COMPUTE_PGM_RSRC2:TIDIG_COMP_CNT: 0
; COMPUTE_PGM_RSRC3_GFX90A:ACCUM_OFFSET: 0
; COMPUTE_PGM_RSRC3_GFX90A:TG_SPLIT: 0
	.section	.text._ZN7rocprim17ROCPRIM_400000_NS6detail17trampoline_kernelINS0_14default_configENS1_27scan_by_key_config_selectorIxiEEZZNS1_16scan_by_key_implILNS1_25lookback_scan_determinismE0ELb1ES3_N6thrust23THRUST_200600_302600_NS6detail15normal_iteratorINS9_10device_ptrIxEEEESE_SE_iNS9_4plusIvEENS9_8equal_toIvEEiEE10hipError_tPvRmT2_T3_T4_T5_mT6_T7_P12ihipStream_tbENKUlT_T0_E_clISt17integral_constantIbLb0EESZ_EEDaSU_SV_EUlSU_E_NS1_11comp_targetILNS1_3genE2ELNS1_11target_archE906ELNS1_3gpuE6ELNS1_3repE0EEENS1_30default_config_static_selectorELNS0_4arch9wavefront6targetE1EEEvT1_,"axG",@progbits,_ZN7rocprim17ROCPRIM_400000_NS6detail17trampoline_kernelINS0_14default_configENS1_27scan_by_key_config_selectorIxiEEZZNS1_16scan_by_key_implILNS1_25lookback_scan_determinismE0ELb1ES3_N6thrust23THRUST_200600_302600_NS6detail15normal_iteratorINS9_10device_ptrIxEEEESE_SE_iNS9_4plusIvEENS9_8equal_toIvEEiEE10hipError_tPvRmT2_T3_T4_T5_mT6_T7_P12ihipStream_tbENKUlT_T0_E_clISt17integral_constantIbLb0EESZ_EEDaSU_SV_EUlSU_E_NS1_11comp_targetILNS1_3genE2ELNS1_11target_archE906ELNS1_3gpuE6ELNS1_3repE0EEENS1_30default_config_static_selectorELNS0_4arch9wavefront6targetE1EEEvT1_,comdat
	.protected	_ZN7rocprim17ROCPRIM_400000_NS6detail17trampoline_kernelINS0_14default_configENS1_27scan_by_key_config_selectorIxiEEZZNS1_16scan_by_key_implILNS1_25lookback_scan_determinismE0ELb1ES3_N6thrust23THRUST_200600_302600_NS6detail15normal_iteratorINS9_10device_ptrIxEEEESE_SE_iNS9_4plusIvEENS9_8equal_toIvEEiEE10hipError_tPvRmT2_T3_T4_T5_mT6_T7_P12ihipStream_tbENKUlT_T0_E_clISt17integral_constantIbLb0EESZ_EEDaSU_SV_EUlSU_E_NS1_11comp_targetILNS1_3genE2ELNS1_11target_archE906ELNS1_3gpuE6ELNS1_3repE0EEENS1_30default_config_static_selectorELNS0_4arch9wavefront6targetE1EEEvT1_ ; -- Begin function _ZN7rocprim17ROCPRIM_400000_NS6detail17trampoline_kernelINS0_14default_configENS1_27scan_by_key_config_selectorIxiEEZZNS1_16scan_by_key_implILNS1_25lookback_scan_determinismE0ELb1ES3_N6thrust23THRUST_200600_302600_NS6detail15normal_iteratorINS9_10device_ptrIxEEEESE_SE_iNS9_4plusIvEENS9_8equal_toIvEEiEE10hipError_tPvRmT2_T3_T4_T5_mT6_T7_P12ihipStream_tbENKUlT_T0_E_clISt17integral_constantIbLb0EESZ_EEDaSU_SV_EUlSU_E_NS1_11comp_targetILNS1_3genE2ELNS1_11target_archE906ELNS1_3gpuE6ELNS1_3repE0EEENS1_30default_config_static_selectorELNS0_4arch9wavefront6targetE1EEEvT1_
	.globl	_ZN7rocprim17ROCPRIM_400000_NS6detail17trampoline_kernelINS0_14default_configENS1_27scan_by_key_config_selectorIxiEEZZNS1_16scan_by_key_implILNS1_25lookback_scan_determinismE0ELb1ES3_N6thrust23THRUST_200600_302600_NS6detail15normal_iteratorINS9_10device_ptrIxEEEESE_SE_iNS9_4plusIvEENS9_8equal_toIvEEiEE10hipError_tPvRmT2_T3_T4_T5_mT6_T7_P12ihipStream_tbENKUlT_T0_E_clISt17integral_constantIbLb0EESZ_EEDaSU_SV_EUlSU_E_NS1_11comp_targetILNS1_3genE2ELNS1_11target_archE906ELNS1_3gpuE6ELNS1_3repE0EEENS1_30default_config_static_selectorELNS0_4arch9wavefront6targetE1EEEvT1_
	.p2align	8
	.type	_ZN7rocprim17ROCPRIM_400000_NS6detail17trampoline_kernelINS0_14default_configENS1_27scan_by_key_config_selectorIxiEEZZNS1_16scan_by_key_implILNS1_25lookback_scan_determinismE0ELb1ES3_N6thrust23THRUST_200600_302600_NS6detail15normal_iteratorINS9_10device_ptrIxEEEESE_SE_iNS9_4plusIvEENS9_8equal_toIvEEiEE10hipError_tPvRmT2_T3_T4_T5_mT6_T7_P12ihipStream_tbENKUlT_T0_E_clISt17integral_constantIbLb0EESZ_EEDaSU_SV_EUlSU_E_NS1_11comp_targetILNS1_3genE2ELNS1_11target_archE906ELNS1_3gpuE6ELNS1_3repE0EEENS1_30default_config_static_selectorELNS0_4arch9wavefront6targetE1EEEvT1_,@function
_ZN7rocprim17ROCPRIM_400000_NS6detail17trampoline_kernelINS0_14default_configENS1_27scan_by_key_config_selectorIxiEEZZNS1_16scan_by_key_implILNS1_25lookback_scan_determinismE0ELb1ES3_N6thrust23THRUST_200600_302600_NS6detail15normal_iteratorINS9_10device_ptrIxEEEESE_SE_iNS9_4plusIvEENS9_8equal_toIvEEiEE10hipError_tPvRmT2_T3_T4_T5_mT6_T7_P12ihipStream_tbENKUlT_T0_E_clISt17integral_constantIbLb0EESZ_EEDaSU_SV_EUlSU_E_NS1_11comp_targetILNS1_3genE2ELNS1_11target_archE906ELNS1_3gpuE6ELNS1_3repE0EEENS1_30default_config_static_selectorELNS0_4arch9wavefront6targetE1EEEvT1_: ; @_ZN7rocprim17ROCPRIM_400000_NS6detail17trampoline_kernelINS0_14default_configENS1_27scan_by_key_config_selectorIxiEEZZNS1_16scan_by_key_implILNS1_25lookback_scan_determinismE0ELb1ES3_N6thrust23THRUST_200600_302600_NS6detail15normal_iteratorINS9_10device_ptrIxEEEESE_SE_iNS9_4plusIvEENS9_8equal_toIvEEiEE10hipError_tPvRmT2_T3_T4_T5_mT6_T7_P12ihipStream_tbENKUlT_T0_E_clISt17integral_constantIbLb0EESZ_EEDaSU_SV_EUlSU_E_NS1_11comp_targetILNS1_3genE2ELNS1_11target_archE906ELNS1_3gpuE6ELNS1_3repE0EEENS1_30default_config_static_selectorELNS0_4arch9wavefront6targetE1EEEvT1_
; %bb.0:
	.section	.rodata,"a",@progbits
	.p2align	6, 0x0
	.amdhsa_kernel _ZN7rocprim17ROCPRIM_400000_NS6detail17trampoline_kernelINS0_14default_configENS1_27scan_by_key_config_selectorIxiEEZZNS1_16scan_by_key_implILNS1_25lookback_scan_determinismE0ELb1ES3_N6thrust23THRUST_200600_302600_NS6detail15normal_iteratorINS9_10device_ptrIxEEEESE_SE_iNS9_4plusIvEENS9_8equal_toIvEEiEE10hipError_tPvRmT2_T3_T4_T5_mT6_T7_P12ihipStream_tbENKUlT_T0_E_clISt17integral_constantIbLb0EESZ_EEDaSU_SV_EUlSU_E_NS1_11comp_targetILNS1_3genE2ELNS1_11target_archE906ELNS1_3gpuE6ELNS1_3repE0EEENS1_30default_config_static_selectorELNS0_4arch9wavefront6targetE1EEEvT1_
		.amdhsa_group_segment_fixed_size 0
		.amdhsa_private_segment_fixed_size 0
		.amdhsa_kernarg_size 112
		.amdhsa_user_sgpr_count 6
		.amdhsa_user_sgpr_private_segment_buffer 1
		.amdhsa_user_sgpr_dispatch_ptr 0
		.amdhsa_user_sgpr_queue_ptr 0
		.amdhsa_user_sgpr_kernarg_segment_ptr 1
		.amdhsa_user_sgpr_dispatch_id 0
		.amdhsa_user_sgpr_flat_scratch_init 0
		.amdhsa_user_sgpr_kernarg_preload_length 0
		.amdhsa_user_sgpr_kernarg_preload_offset 0
		.amdhsa_user_sgpr_private_segment_size 0
		.amdhsa_uses_dynamic_stack 0
		.amdhsa_system_sgpr_private_segment_wavefront_offset 0
		.amdhsa_system_sgpr_workgroup_id_x 1
		.amdhsa_system_sgpr_workgroup_id_y 0
		.amdhsa_system_sgpr_workgroup_id_z 0
		.amdhsa_system_sgpr_workgroup_info 0
		.amdhsa_system_vgpr_workitem_id 0
		.amdhsa_next_free_vgpr 1
		.amdhsa_next_free_sgpr 0
		.amdhsa_accum_offset 4
		.amdhsa_reserve_vcc 0
		.amdhsa_reserve_flat_scratch 0
		.amdhsa_float_round_mode_32 0
		.amdhsa_float_round_mode_16_64 0
		.amdhsa_float_denorm_mode_32 3
		.amdhsa_float_denorm_mode_16_64 3
		.amdhsa_dx10_clamp 1
		.amdhsa_ieee_mode 1
		.amdhsa_fp16_overflow 0
		.amdhsa_tg_split 0
		.amdhsa_exception_fp_ieee_invalid_op 0
		.amdhsa_exception_fp_denorm_src 0
		.amdhsa_exception_fp_ieee_div_zero 0
		.amdhsa_exception_fp_ieee_overflow 0
		.amdhsa_exception_fp_ieee_underflow 0
		.amdhsa_exception_fp_ieee_inexact 0
		.amdhsa_exception_int_div_zero 0
	.end_amdhsa_kernel
	.section	.text._ZN7rocprim17ROCPRIM_400000_NS6detail17trampoline_kernelINS0_14default_configENS1_27scan_by_key_config_selectorIxiEEZZNS1_16scan_by_key_implILNS1_25lookback_scan_determinismE0ELb1ES3_N6thrust23THRUST_200600_302600_NS6detail15normal_iteratorINS9_10device_ptrIxEEEESE_SE_iNS9_4plusIvEENS9_8equal_toIvEEiEE10hipError_tPvRmT2_T3_T4_T5_mT6_T7_P12ihipStream_tbENKUlT_T0_E_clISt17integral_constantIbLb0EESZ_EEDaSU_SV_EUlSU_E_NS1_11comp_targetILNS1_3genE2ELNS1_11target_archE906ELNS1_3gpuE6ELNS1_3repE0EEENS1_30default_config_static_selectorELNS0_4arch9wavefront6targetE1EEEvT1_,"axG",@progbits,_ZN7rocprim17ROCPRIM_400000_NS6detail17trampoline_kernelINS0_14default_configENS1_27scan_by_key_config_selectorIxiEEZZNS1_16scan_by_key_implILNS1_25lookback_scan_determinismE0ELb1ES3_N6thrust23THRUST_200600_302600_NS6detail15normal_iteratorINS9_10device_ptrIxEEEESE_SE_iNS9_4plusIvEENS9_8equal_toIvEEiEE10hipError_tPvRmT2_T3_T4_T5_mT6_T7_P12ihipStream_tbENKUlT_T0_E_clISt17integral_constantIbLb0EESZ_EEDaSU_SV_EUlSU_E_NS1_11comp_targetILNS1_3genE2ELNS1_11target_archE906ELNS1_3gpuE6ELNS1_3repE0EEENS1_30default_config_static_selectorELNS0_4arch9wavefront6targetE1EEEvT1_,comdat
.Lfunc_end1007:
	.size	_ZN7rocprim17ROCPRIM_400000_NS6detail17trampoline_kernelINS0_14default_configENS1_27scan_by_key_config_selectorIxiEEZZNS1_16scan_by_key_implILNS1_25lookback_scan_determinismE0ELb1ES3_N6thrust23THRUST_200600_302600_NS6detail15normal_iteratorINS9_10device_ptrIxEEEESE_SE_iNS9_4plusIvEENS9_8equal_toIvEEiEE10hipError_tPvRmT2_T3_T4_T5_mT6_T7_P12ihipStream_tbENKUlT_T0_E_clISt17integral_constantIbLb0EESZ_EEDaSU_SV_EUlSU_E_NS1_11comp_targetILNS1_3genE2ELNS1_11target_archE906ELNS1_3gpuE6ELNS1_3repE0EEENS1_30default_config_static_selectorELNS0_4arch9wavefront6targetE1EEEvT1_, .Lfunc_end1007-_ZN7rocprim17ROCPRIM_400000_NS6detail17trampoline_kernelINS0_14default_configENS1_27scan_by_key_config_selectorIxiEEZZNS1_16scan_by_key_implILNS1_25lookback_scan_determinismE0ELb1ES3_N6thrust23THRUST_200600_302600_NS6detail15normal_iteratorINS9_10device_ptrIxEEEESE_SE_iNS9_4plusIvEENS9_8equal_toIvEEiEE10hipError_tPvRmT2_T3_T4_T5_mT6_T7_P12ihipStream_tbENKUlT_T0_E_clISt17integral_constantIbLb0EESZ_EEDaSU_SV_EUlSU_E_NS1_11comp_targetILNS1_3genE2ELNS1_11target_archE906ELNS1_3gpuE6ELNS1_3repE0EEENS1_30default_config_static_selectorELNS0_4arch9wavefront6targetE1EEEvT1_
                                        ; -- End function
	.section	.AMDGPU.csdata,"",@progbits
; Kernel info:
; codeLenInByte = 0
; NumSgprs: 4
; NumVgprs: 0
; NumAgprs: 0
; TotalNumVgprs: 0
; ScratchSize: 0
; MemoryBound: 0
; FloatMode: 240
; IeeeMode: 1
; LDSByteSize: 0 bytes/workgroup (compile time only)
; SGPRBlocks: 0
; VGPRBlocks: 0
; NumSGPRsForWavesPerEU: 4
; NumVGPRsForWavesPerEU: 1
; AccumOffset: 4
; Occupancy: 8
; WaveLimiterHint : 0
; COMPUTE_PGM_RSRC2:SCRATCH_EN: 0
; COMPUTE_PGM_RSRC2:USER_SGPR: 6
; COMPUTE_PGM_RSRC2:TRAP_HANDLER: 0
; COMPUTE_PGM_RSRC2:TGID_X_EN: 1
; COMPUTE_PGM_RSRC2:TGID_Y_EN: 0
; COMPUTE_PGM_RSRC2:TGID_Z_EN: 0
; COMPUTE_PGM_RSRC2:TIDIG_COMP_CNT: 0
; COMPUTE_PGM_RSRC3_GFX90A:ACCUM_OFFSET: 0
; COMPUTE_PGM_RSRC3_GFX90A:TG_SPLIT: 0
	.section	.text._ZN7rocprim17ROCPRIM_400000_NS6detail17trampoline_kernelINS0_14default_configENS1_27scan_by_key_config_selectorIxiEEZZNS1_16scan_by_key_implILNS1_25lookback_scan_determinismE0ELb1ES3_N6thrust23THRUST_200600_302600_NS6detail15normal_iteratorINS9_10device_ptrIxEEEESE_SE_iNS9_4plusIvEENS9_8equal_toIvEEiEE10hipError_tPvRmT2_T3_T4_T5_mT6_T7_P12ihipStream_tbENKUlT_T0_E_clISt17integral_constantIbLb0EESZ_EEDaSU_SV_EUlSU_E_NS1_11comp_targetILNS1_3genE10ELNS1_11target_archE1200ELNS1_3gpuE4ELNS1_3repE0EEENS1_30default_config_static_selectorELNS0_4arch9wavefront6targetE1EEEvT1_,"axG",@progbits,_ZN7rocprim17ROCPRIM_400000_NS6detail17trampoline_kernelINS0_14default_configENS1_27scan_by_key_config_selectorIxiEEZZNS1_16scan_by_key_implILNS1_25lookback_scan_determinismE0ELb1ES3_N6thrust23THRUST_200600_302600_NS6detail15normal_iteratorINS9_10device_ptrIxEEEESE_SE_iNS9_4plusIvEENS9_8equal_toIvEEiEE10hipError_tPvRmT2_T3_T4_T5_mT6_T7_P12ihipStream_tbENKUlT_T0_E_clISt17integral_constantIbLb0EESZ_EEDaSU_SV_EUlSU_E_NS1_11comp_targetILNS1_3genE10ELNS1_11target_archE1200ELNS1_3gpuE4ELNS1_3repE0EEENS1_30default_config_static_selectorELNS0_4arch9wavefront6targetE1EEEvT1_,comdat
	.protected	_ZN7rocprim17ROCPRIM_400000_NS6detail17trampoline_kernelINS0_14default_configENS1_27scan_by_key_config_selectorIxiEEZZNS1_16scan_by_key_implILNS1_25lookback_scan_determinismE0ELb1ES3_N6thrust23THRUST_200600_302600_NS6detail15normal_iteratorINS9_10device_ptrIxEEEESE_SE_iNS9_4plusIvEENS9_8equal_toIvEEiEE10hipError_tPvRmT2_T3_T4_T5_mT6_T7_P12ihipStream_tbENKUlT_T0_E_clISt17integral_constantIbLb0EESZ_EEDaSU_SV_EUlSU_E_NS1_11comp_targetILNS1_3genE10ELNS1_11target_archE1200ELNS1_3gpuE4ELNS1_3repE0EEENS1_30default_config_static_selectorELNS0_4arch9wavefront6targetE1EEEvT1_ ; -- Begin function _ZN7rocprim17ROCPRIM_400000_NS6detail17trampoline_kernelINS0_14default_configENS1_27scan_by_key_config_selectorIxiEEZZNS1_16scan_by_key_implILNS1_25lookback_scan_determinismE0ELb1ES3_N6thrust23THRUST_200600_302600_NS6detail15normal_iteratorINS9_10device_ptrIxEEEESE_SE_iNS9_4plusIvEENS9_8equal_toIvEEiEE10hipError_tPvRmT2_T3_T4_T5_mT6_T7_P12ihipStream_tbENKUlT_T0_E_clISt17integral_constantIbLb0EESZ_EEDaSU_SV_EUlSU_E_NS1_11comp_targetILNS1_3genE10ELNS1_11target_archE1200ELNS1_3gpuE4ELNS1_3repE0EEENS1_30default_config_static_selectorELNS0_4arch9wavefront6targetE1EEEvT1_
	.globl	_ZN7rocprim17ROCPRIM_400000_NS6detail17trampoline_kernelINS0_14default_configENS1_27scan_by_key_config_selectorIxiEEZZNS1_16scan_by_key_implILNS1_25lookback_scan_determinismE0ELb1ES3_N6thrust23THRUST_200600_302600_NS6detail15normal_iteratorINS9_10device_ptrIxEEEESE_SE_iNS9_4plusIvEENS9_8equal_toIvEEiEE10hipError_tPvRmT2_T3_T4_T5_mT6_T7_P12ihipStream_tbENKUlT_T0_E_clISt17integral_constantIbLb0EESZ_EEDaSU_SV_EUlSU_E_NS1_11comp_targetILNS1_3genE10ELNS1_11target_archE1200ELNS1_3gpuE4ELNS1_3repE0EEENS1_30default_config_static_selectorELNS0_4arch9wavefront6targetE1EEEvT1_
	.p2align	8
	.type	_ZN7rocprim17ROCPRIM_400000_NS6detail17trampoline_kernelINS0_14default_configENS1_27scan_by_key_config_selectorIxiEEZZNS1_16scan_by_key_implILNS1_25lookback_scan_determinismE0ELb1ES3_N6thrust23THRUST_200600_302600_NS6detail15normal_iteratorINS9_10device_ptrIxEEEESE_SE_iNS9_4plusIvEENS9_8equal_toIvEEiEE10hipError_tPvRmT2_T3_T4_T5_mT6_T7_P12ihipStream_tbENKUlT_T0_E_clISt17integral_constantIbLb0EESZ_EEDaSU_SV_EUlSU_E_NS1_11comp_targetILNS1_3genE10ELNS1_11target_archE1200ELNS1_3gpuE4ELNS1_3repE0EEENS1_30default_config_static_selectorELNS0_4arch9wavefront6targetE1EEEvT1_,@function
_ZN7rocprim17ROCPRIM_400000_NS6detail17trampoline_kernelINS0_14default_configENS1_27scan_by_key_config_selectorIxiEEZZNS1_16scan_by_key_implILNS1_25lookback_scan_determinismE0ELb1ES3_N6thrust23THRUST_200600_302600_NS6detail15normal_iteratorINS9_10device_ptrIxEEEESE_SE_iNS9_4plusIvEENS9_8equal_toIvEEiEE10hipError_tPvRmT2_T3_T4_T5_mT6_T7_P12ihipStream_tbENKUlT_T0_E_clISt17integral_constantIbLb0EESZ_EEDaSU_SV_EUlSU_E_NS1_11comp_targetILNS1_3genE10ELNS1_11target_archE1200ELNS1_3gpuE4ELNS1_3repE0EEENS1_30default_config_static_selectorELNS0_4arch9wavefront6targetE1EEEvT1_: ; @_ZN7rocprim17ROCPRIM_400000_NS6detail17trampoline_kernelINS0_14default_configENS1_27scan_by_key_config_selectorIxiEEZZNS1_16scan_by_key_implILNS1_25lookback_scan_determinismE0ELb1ES3_N6thrust23THRUST_200600_302600_NS6detail15normal_iteratorINS9_10device_ptrIxEEEESE_SE_iNS9_4plusIvEENS9_8equal_toIvEEiEE10hipError_tPvRmT2_T3_T4_T5_mT6_T7_P12ihipStream_tbENKUlT_T0_E_clISt17integral_constantIbLb0EESZ_EEDaSU_SV_EUlSU_E_NS1_11comp_targetILNS1_3genE10ELNS1_11target_archE1200ELNS1_3gpuE4ELNS1_3repE0EEENS1_30default_config_static_selectorELNS0_4arch9wavefront6targetE1EEEvT1_
; %bb.0:
	.section	.rodata,"a",@progbits
	.p2align	6, 0x0
	.amdhsa_kernel _ZN7rocprim17ROCPRIM_400000_NS6detail17trampoline_kernelINS0_14default_configENS1_27scan_by_key_config_selectorIxiEEZZNS1_16scan_by_key_implILNS1_25lookback_scan_determinismE0ELb1ES3_N6thrust23THRUST_200600_302600_NS6detail15normal_iteratorINS9_10device_ptrIxEEEESE_SE_iNS9_4plusIvEENS9_8equal_toIvEEiEE10hipError_tPvRmT2_T3_T4_T5_mT6_T7_P12ihipStream_tbENKUlT_T0_E_clISt17integral_constantIbLb0EESZ_EEDaSU_SV_EUlSU_E_NS1_11comp_targetILNS1_3genE10ELNS1_11target_archE1200ELNS1_3gpuE4ELNS1_3repE0EEENS1_30default_config_static_selectorELNS0_4arch9wavefront6targetE1EEEvT1_
		.amdhsa_group_segment_fixed_size 0
		.amdhsa_private_segment_fixed_size 0
		.amdhsa_kernarg_size 112
		.amdhsa_user_sgpr_count 6
		.amdhsa_user_sgpr_private_segment_buffer 1
		.amdhsa_user_sgpr_dispatch_ptr 0
		.amdhsa_user_sgpr_queue_ptr 0
		.amdhsa_user_sgpr_kernarg_segment_ptr 1
		.amdhsa_user_sgpr_dispatch_id 0
		.amdhsa_user_sgpr_flat_scratch_init 0
		.amdhsa_user_sgpr_kernarg_preload_length 0
		.amdhsa_user_sgpr_kernarg_preload_offset 0
		.amdhsa_user_sgpr_private_segment_size 0
		.amdhsa_uses_dynamic_stack 0
		.amdhsa_system_sgpr_private_segment_wavefront_offset 0
		.amdhsa_system_sgpr_workgroup_id_x 1
		.amdhsa_system_sgpr_workgroup_id_y 0
		.amdhsa_system_sgpr_workgroup_id_z 0
		.amdhsa_system_sgpr_workgroup_info 0
		.amdhsa_system_vgpr_workitem_id 0
		.amdhsa_next_free_vgpr 1
		.amdhsa_next_free_sgpr 0
		.amdhsa_accum_offset 4
		.amdhsa_reserve_vcc 0
		.amdhsa_reserve_flat_scratch 0
		.amdhsa_float_round_mode_32 0
		.amdhsa_float_round_mode_16_64 0
		.amdhsa_float_denorm_mode_32 3
		.amdhsa_float_denorm_mode_16_64 3
		.amdhsa_dx10_clamp 1
		.amdhsa_ieee_mode 1
		.amdhsa_fp16_overflow 0
		.amdhsa_tg_split 0
		.amdhsa_exception_fp_ieee_invalid_op 0
		.amdhsa_exception_fp_denorm_src 0
		.amdhsa_exception_fp_ieee_div_zero 0
		.amdhsa_exception_fp_ieee_overflow 0
		.amdhsa_exception_fp_ieee_underflow 0
		.amdhsa_exception_fp_ieee_inexact 0
		.amdhsa_exception_int_div_zero 0
	.end_amdhsa_kernel
	.section	.text._ZN7rocprim17ROCPRIM_400000_NS6detail17trampoline_kernelINS0_14default_configENS1_27scan_by_key_config_selectorIxiEEZZNS1_16scan_by_key_implILNS1_25lookback_scan_determinismE0ELb1ES3_N6thrust23THRUST_200600_302600_NS6detail15normal_iteratorINS9_10device_ptrIxEEEESE_SE_iNS9_4plusIvEENS9_8equal_toIvEEiEE10hipError_tPvRmT2_T3_T4_T5_mT6_T7_P12ihipStream_tbENKUlT_T0_E_clISt17integral_constantIbLb0EESZ_EEDaSU_SV_EUlSU_E_NS1_11comp_targetILNS1_3genE10ELNS1_11target_archE1200ELNS1_3gpuE4ELNS1_3repE0EEENS1_30default_config_static_selectorELNS0_4arch9wavefront6targetE1EEEvT1_,"axG",@progbits,_ZN7rocprim17ROCPRIM_400000_NS6detail17trampoline_kernelINS0_14default_configENS1_27scan_by_key_config_selectorIxiEEZZNS1_16scan_by_key_implILNS1_25lookback_scan_determinismE0ELb1ES3_N6thrust23THRUST_200600_302600_NS6detail15normal_iteratorINS9_10device_ptrIxEEEESE_SE_iNS9_4plusIvEENS9_8equal_toIvEEiEE10hipError_tPvRmT2_T3_T4_T5_mT6_T7_P12ihipStream_tbENKUlT_T0_E_clISt17integral_constantIbLb0EESZ_EEDaSU_SV_EUlSU_E_NS1_11comp_targetILNS1_3genE10ELNS1_11target_archE1200ELNS1_3gpuE4ELNS1_3repE0EEENS1_30default_config_static_selectorELNS0_4arch9wavefront6targetE1EEEvT1_,comdat
.Lfunc_end1008:
	.size	_ZN7rocprim17ROCPRIM_400000_NS6detail17trampoline_kernelINS0_14default_configENS1_27scan_by_key_config_selectorIxiEEZZNS1_16scan_by_key_implILNS1_25lookback_scan_determinismE0ELb1ES3_N6thrust23THRUST_200600_302600_NS6detail15normal_iteratorINS9_10device_ptrIxEEEESE_SE_iNS9_4plusIvEENS9_8equal_toIvEEiEE10hipError_tPvRmT2_T3_T4_T5_mT6_T7_P12ihipStream_tbENKUlT_T0_E_clISt17integral_constantIbLb0EESZ_EEDaSU_SV_EUlSU_E_NS1_11comp_targetILNS1_3genE10ELNS1_11target_archE1200ELNS1_3gpuE4ELNS1_3repE0EEENS1_30default_config_static_selectorELNS0_4arch9wavefront6targetE1EEEvT1_, .Lfunc_end1008-_ZN7rocprim17ROCPRIM_400000_NS6detail17trampoline_kernelINS0_14default_configENS1_27scan_by_key_config_selectorIxiEEZZNS1_16scan_by_key_implILNS1_25lookback_scan_determinismE0ELb1ES3_N6thrust23THRUST_200600_302600_NS6detail15normal_iteratorINS9_10device_ptrIxEEEESE_SE_iNS9_4plusIvEENS9_8equal_toIvEEiEE10hipError_tPvRmT2_T3_T4_T5_mT6_T7_P12ihipStream_tbENKUlT_T0_E_clISt17integral_constantIbLb0EESZ_EEDaSU_SV_EUlSU_E_NS1_11comp_targetILNS1_3genE10ELNS1_11target_archE1200ELNS1_3gpuE4ELNS1_3repE0EEENS1_30default_config_static_selectorELNS0_4arch9wavefront6targetE1EEEvT1_
                                        ; -- End function
	.section	.AMDGPU.csdata,"",@progbits
; Kernel info:
; codeLenInByte = 0
; NumSgprs: 4
; NumVgprs: 0
; NumAgprs: 0
; TotalNumVgprs: 0
; ScratchSize: 0
; MemoryBound: 0
; FloatMode: 240
; IeeeMode: 1
; LDSByteSize: 0 bytes/workgroup (compile time only)
; SGPRBlocks: 0
; VGPRBlocks: 0
; NumSGPRsForWavesPerEU: 4
; NumVGPRsForWavesPerEU: 1
; AccumOffset: 4
; Occupancy: 8
; WaveLimiterHint : 0
; COMPUTE_PGM_RSRC2:SCRATCH_EN: 0
; COMPUTE_PGM_RSRC2:USER_SGPR: 6
; COMPUTE_PGM_RSRC2:TRAP_HANDLER: 0
; COMPUTE_PGM_RSRC2:TGID_X_EN: 1
; COMPUTE_PGM_RSRC2:TGID_Y_EN: 0
; COMPUTE_PGM_RSRC2:TGID_Z_EN: 0
; COMPUTE_PGM_RSRC2:TIDIG_COMP_CNT: 0
; COMPUTE_PGM_RSRC3_GFX90A:ACCUM_OFFSET: 0
; COMPUTE_PGM_RSRC3_GFX90A:TG_SPLIT: 0
	.section	.text._ZN7rocprim17ROCPRIM_400000_NS6detail17trampoline_kernelINS0_14default_configENS1_27scan_by_key_config_selectorIxiEEZZNS1_16scan_by_key_implILNS1_25lookback_scan_determinismE0ELb1ES3_N6thrust23THRUST_200600_302600_NS6detail15normal_iteratorINS9_10device_ptrIxEEEESE_SE_iNS9_4plusIvEENS9_8equal_toIvEEiEE10hipError_tPvRmT2_T3_T4_T5_mT6_T7_P12ihipStream_tbENKUlT_T0_E_clISt17integral_constantIbLb0EESZ_EEDaSU_SV_EUlSU_E_NS1_11comp_targetILNS1_3genE9ELNS1_11target_archE1100ELNS1_3gpuE3ELNS1_3repE0EEENS1_30default_config_static_selectorELNS0_4arch9wavefront6targetE1EEEvT1_,"axG",@progbits,_ZN7rocprim17ROCPRIM_400000_NS6detail17trampoline_kernelINS0_14default_configENS1_27scan_by_key_config_selectorIxiEEZZNS1_16scan_by_key_implILNS1_25lookback_scan_determinismE0ELb1ES3_N6thrust23THRUST_200600_302600_NS6detail15normal_iteratorINS9_10device_ptrIxEEEESE_SE_iNS9_4plusIvEENS9_8equal_toIvEEiEE10hipError_tPvRmT2_T3_T4_T5_mT6_T7_P12ihipStream_tbENKUlT_T0_E_clISt17integral_constantIbLb0EESZ_EEDaSU_SV_EUlSU_E_NS1_11comp_targetILNS1_3genE9ELNS1_11target_archE1100ELNS1_3gpuE3ELNS1_3repE0EEENS1_30default_config_static_selectorELNS0_4arch9wavefront6targetE1EEEvT1_,comdat
	.protected	_ZN7rocprim17ROCPRIM_400000_NS6detail17trampoline_kernelINS0_14default_configENS1_27scan_by_key_config_selectorIxiEEZZNS1_16scan_by_key_implILNS1_25lookback_scan_determinismE0ELb1ES3_N6thrust23THRUST_200600_302600_NS6detail15normal_iteratorINS9_10device_ptrIxEEEESE_SE_iNS9_4plusIvEENS9_8equal_toIvEEiEE10hipError_tPvRmT2_T3_T4_T5_mT6_T7_P12ihipStream_tbENKUlT_T0_E_clISt17integral_constantIbLb0EESZ_EEDaSU_SV_EUlSU_E_NS1_11comp_targetILNS1_3genE9ELNS1_11target_archE1100ELNS1_3gpuE3ELNS1_3repE0EEENS1_30default_config_static_selectorELNS0_4arch9wavefront6targetE1EEEvT1_ ; -- Begin function _ZN7rocprim17ROCPRIM_400000_NS6detail17trampoline_kernelINS0_14default_configENS1_27scan_by_key_config_selectorIxiEEZZNS1_16scan_by_key_implILNS1_25lookback_scan_determinismE0ELb1ES3_N6thrust23THRUST_200600_302600_NS6detail15normal_iteratorINS9_10device_ptrIxEEEESE_SE_iNS9_4plusIvEENS9_8equal_toIvEEiEE10hipError_tPvRmT2_T3_T4_T5_mT6_T7_P12ihipStream_tbENKUlT_T0_E_clISt17integral_constantIbLb0EESZ_EEDaSU_SV_EUlSU_E_NS1_11comp_targetILNS1_3genE9ELNS1_11target_archE1100ELNS1_3gpuE3ELNS1_3repE0EEENS1_30default_config_static_selectorELNS0_4arch9wavefront6targetE1EEEvT1_
	.globl	_ZN7rocprim17ROCPRIM_400000_NS6detail17trampoline_kernelINS0_14default_configENS1_27scan_by_key_config_selectorIxiEEZZNS1_16scan_by_key_implILNS1_25lookback_scan_determinismE0ELb1ES3_N6thrust23THRUST_200600_302600_NS6detail15normal_iteratorINS9_10device_ptrIxEEEESE_SE_iNS9_4plusIvEENS9_8equal_toIvEEiEE10hipError_tPvRmT2_T3_T4_T5_mT6_T7_P12ihipStream_tbENKUlT_T0_E_clISt17integral_constantIbLb0EESZ_EEDaSU_SV_EUlSU_E_NS1_11comp_targetILNS1_3genE9ELNS1_11target_archE1100ELNS1_3gpuE3ELNS1_3repE0EEENS1_30default_config_static_selectorELNS0_4arch9wavefront6targetE1EEEvT1_
	.p2align	8
	.type	_ZN7rocprim17ROCPRIM_400000_NS6detail17trampoline_kernelINS0_14default_configENS1_27scan_by_key_config_selectorIxiEEZZNS1_16scan_by_key_implILNS1_25lookback_scan_determinismE0ELb1ES3_N6thrust23THRUST_200600_302600_NS6detail15normal_iteratorINS9_10device_ptrIxEEEESE_SE_iNS9_4plusIvEENS9_8equal_toIvEEiEE10hipError_tPvRmT2_T3_T4_T5_mT6_T7_P12ihipStream_tbENKUlT_T0_E_clISt17integral_constantIbLb0EESZ_EEDaSU_SV_EUlSU_E_NS1_11comp_targetILNS1_3genE9ELNS1_11target_archE1100ELNS1_3gpuE3ELNS1_3repE0EEENS1_30default_config_static_selectorELNS0_4arch9wavefront6targetE1EEEvT1_,@function
_ZN7rocprim17ROCPRIM_400000_NS6detail17trampoline_kernelINS0_14default_configENS1_27scan_by_key_config_selectorIxiEEZZNS1_16scan_by_key_implILNS1_25lookback_scan_determinismE0ELb1ES3_N6thrust23THRUST_200600_302600_NS6detail15normal_iteratorINS9_10device_ptrIxEEEESE_SE_iNS9_4plusIvEENS9_8equal_toIvEEiEE10hipError_tPvRmT2_T3_T4_T5_mT6_T7_P12ihipStream_tbENKUlT_T0_E_clISt17integral_constantIbLb0EESZ_EEDaSU_SV_EUlSU_E_NS1_11comp_targetILNS1_3genE9ELNS1_11target_archE1100ELNS1_3gpuE3ELNS1_3repE0EEENS1_30default_config_static_selectorELNS0_4arch9wavefront6targetE1EEEvT1_: ; @_ZN7rocprim17ROCPRIM_400000_NS6detail17trampoline_kernelINS0_14default_configENS1_27scan_by_key_config_selectorIxiEEZZNS1_16scan_by_key_implILNS1_25lookback_scan_determinismE0ELb1ES3_N6thrust23THRUST_200600_302600_NS6detail15normal_iteratorINS9_10device_ptrIxEEEESE_SE_iNS9_4plusIvEENS9_8equal_toIvEEiEE10hipError_tPvRmT2_T3_T4_T5_mT6_T7_P12ihipStream_tbENKUlT_T0_E_clISt17integral_constantIbLb0EESZ_EEDaSU_SV_EUlSU_E_NS1_11comp_targetILNS1_3genE9ELNS1_11target_archE1100ELNS1_3gpuE3ELNS1_3repE0EEENS1_30default_config_static_selectorELNS0_4arch9wavefront6targetE1EEEvT1_
; %bb.0:
	.section	.rodata,"a",@progbits
	.p2align	6, 0x0
	.amdhsa_kernel _ZN7rocprim17ROCPRIM_400000_NS6detail17trampoline_kernelINS0_14default_configENS1_27scan_by_key_config_selectorIxiEEZZNS1_16scan_by_key_implILNS1_25lookback_scan_determinismE0ELb1ES3_N6thrust23THRUST_200600_302600_NS6detail15normal_iteratorINS9_10device_ptrIxEEEESE_SE_iNS9_4plusIvEENS9_8equal_toIvEEiEE10hipError_tPvRmT2_T3_T4_T5_mT6_T7_P12ihipStream_tbENKUlT_T0_E_clISt17integral_constantIbLb0EESZ_EEDaSU_SV_EUlSU_E_NS1_11comp_targetILNS1_3genE9ELNS1_11target_archE1100ELNS1_3gpuE3ELNS1_3repE0EEENS1_30default_config_static_selectorELNS0_4arch9wavefront6targetE1EEEvT1_
		.amdhsa_group_segment_fixed_size 0
		.amdhsa_private_segment_fixed_size 0
		.amdhsa_kernarg_size 112
		.amdhsa_user_sgpr_count 6
		.amdhsa_user_sgpr_private_segment_buffer 1
		.amdhsa_user_sgpr_dispatch_ptr 0
		.amdhsa_user_sgpr_queue_ptr 0
		.amdhsa_user_sgpr_kernarg_segment_ptr 1
		.amdhsa_user_sgpr_dispatch_id 0
		.amdhsa_user_sgpr_flat_scratch_init 0
		.amdhsa_user_sgpr_kernarg_preload_length 0
		.amdhsa_user_sgpr_kernarg_preload_offset 0
		.amdhsa_user_sgpr_private_segment_size 0
		.amdhsa_uses_dynamic_stack 0
		.amdhsa_system_sgpr_private_segment_wavefront_offset 0
		.amdhsa_system_sgpr_workgroup_id_x 1
		.amdhsa_system_sgpr_workgroup_id_y 0
		.amdhsa_system_sgpr_workgroup_id_z 0
		.amdhsa_system_sgpr_workgroup_info 0
		.amdhsa_system_vgpr_workitem_id 0
		.amdhsa_next_free_vgpr 1
		.amdhsa_next_free_sgpr 0
		.amdhsa_accum_offset 4
		.amdhsa_reserve_vcc 0
		.amdhsa_reserve_flat_scratch 0
		.amdhsa_float_round_mode_32 0
		.amdhsa_float_round_mode_16_64 0
		.amdhsa_float_denorm_mode_32 3
		.amdhsa_float_denorm_mode_16_64 3
		.amdhsa_dx10_clamp 1
		.amdhsa_ieee_mode 1
		.amdhsa_fp16_overflow 0
		.amdhsa_tg_split 0
		.amdhsa_exception_fp_ieee_invalid_op 0
		.amdhsa_exception_fp_denorm_src 0
		.amdhsa_exception_fp_ieee_div_zero 0
		.amdhsa_exception_fp_ieee_overflow 0
		.amdhsa_exception_fp_ieee_underflow 0
		.amdhsa_exception_fp_ieee_inexact 0
		.amdhsa_exception_int_div_zero 0
	.end_amdhsa_kernel
	.section	.text._ZN7rocprim17ROCPRIM_400000_NS6detail17trampoline_kernelINS0_14default_configENS1_27scan_by_key_config_selectorIxiEEZZNS1_16scan_by_key_implILNS1_25lookback_scan_determinismE0ELb1ES3_N6thrust23THRUST_200600_302600_NS6detail15normal_iteratorINS9_10device_ptrIxEEEESE_SE_iNS9_4plusIvEENS9_8equal_toIvEEiEE10hipError_tPvRmT2_T3_T4_T5_mT6_T7_P12ihipStream_tbENKUlT_T0_E_clISt17integral_constantIbLb0EESZ_EEDaSU_SV_EUlSU_E_NS1_11comp_targetILNS1_3genE9ELNS1_11target_archE1100ELNS1_3gpuE3ELNS1_3repE0EEENS1_30default_config_static_selectorELNS0_4arch9wavefront6targetE1EEEvT1_,"axG",@progbits,_ZN7rocprim17ROCPRIM_400000_NS6detail17trampoline_kernelINS0_14default_configENS1_27scan_by_key_config_selectorIxiEEZZNS1_16scan_by_key_implILNS1_25lookback_scan_determinismE0ELb1ES3_N6thrust23THRUST_200600_302600_NS6detail15normal_iteratorINS9_10device_ptrIxEEEESE_SE_iNS9_4plusIvEENS9_8equal_toIvEEiEE10hipError_tPvRmT2_T3_T4_T5_mT6_T7_P12ihipStream_tbENKUlT_T0_E_clISt17integral_constantIbLb0EESZ_EEDaSU_SV_EUlSU_E_NS1_11comp_targetILNS1_3genE9ELNS1_11target_archE1100ELNS1_3gpuE3ELNS1_3repE0EEENS1_30default_config_static_selectorELNS0_4arch9wavefront6targetE1EEEvT1_,comdat
.Lfunc_end1009:
	.size	_ZN7rocprim17ROCPRIM_400000_NS6detail17trampoline_kernelINS0_14default_configENS1_27scan_by_key_config_selectorIxiEEZZNS1_16scan_by_key_implILNS1_25lookback_scan_determinismE0ELb1ES3_N6thrust23THRUST_200600_302600_NS6detail15normal_iteratorINS9_10device_ptrIxEEEESE_SE_iNS9_4plusIvEENS9_8equal_toIvEEiEE10hipError_tPvRmT2_T3_T4_T5_mT6_T7_P12ihipStream_tbENKUlT_T0_E_clISt17integral_constantIbLb0EESZ_EEDaSU_SV_EUlSU_E_NS1_11comp_targetILNS1_3genE9ELNS1_11target_archE1100ELNS1_3gpuE3ELNS1_3repE0EEENS1_30default_config_static_selectorELNS0_4arch9wavefront6targetE1EEEvT1_, .Lfunc_end1009-_ZN7rocprim17ROCPRIM_400000_NS6detail17trampoline_kernelINS0_14default_configENS1_27scan_by_key_config_selectorIxiEEZZNS1_16scan_by_key_implILNS1_25lookback_scan_determinismE0ELb1ES3_N6thrust23THRUST_200600_302600_NS6detail15normal_iteratorINS9_10device_ptrIxEEEESE_SE_iNS9_4plusIvEENS9_8equal_toIvEEiEE10hipError_tPvRmT2_T3_T4_T5_mT6_T7_P12ihipStream_tbENKUlT_T0_E_clISt17integral_constantIbLb0EESZ_EEDaSU_SV_EUlSU_E_NS1_11comp_targetILNS1_3genE9ELNS1_11target_archE1100ELNS1_3gpuE3ELNS1_3repE0EEENS1_30default_config_static_selectorELNS0_4arch9wavefront6targetE1EEEvT1_
                                        ; -- End function
	.section	.AMDGPU.csdata,"",@progbits
; Kernel info:
; codeLenInByte = 0
; NumSgprs: 4
; NumVgprs: 0
; NumAgprs: 0
; TotalNumVgprs: 0
; ScratchSize: 0
; MemoryBound: 0
; FloatMode: 240
; IeeeMode: 1
; LDSByteSize: 0 bytes/workgroup (compile time only)
; SGPRBlocks: 0
; VGPRBlocks: 0
; NumSGPRsForWavesPerEU: 4
; NumVGPRsForWavesPerEU: 1
; AccumOffset: 4
; Occupancy: 8
; WaveLimiterHint : 0
; COMPUTE_PGM_RSRC2:SCRATCH_EN: 0
; COMPUTE_PGM_RSRC2:USER_SGPR: 6
; COMPUTE_PGM_RSRC2:TRAP_HANDLER: 0
; COMPUTE_PGM_RSRC2:TGID_X_EN: 1
; COMPUTE_PGM_RSRC2:TGID_Y_EN: 0
; COMPUTE_PGM_RSRC2:TGID_Z_EN: 0
; COMPUTE_PGM_RSRC2:TIDIG_COMP_CNT: 0
; COMPUTE_PGM_RSRC3_GFX90A:ACCUM_OFFSET: 0
; COMPUTE_PGM_RSRC3_GFX90A:TG_SPLIT: 0
	.section	.text._ZN7rocprim17ROCPRIM_400000_NS6detail17trampoline_kernelINS0_14default_configENS1_27scan_by_key_config_selectorIxiEEZZNS1_16scan_by_key_implILNS1_25lookback_scan_determinismE0ELb1ES3_N6thrust23THRUST_200600_302600_NS6detail15normal_iteratorINS9_10device_ptrIxEEEESE_SE_iNS9_4plusIvEENS9_8equal_toIvEEiEE10hipError_tPvRmT2_T3_T4_T5_mT6_T7_P12ihipStream_tbENKUlT_T0_E_clISt17integral_constantIbLb0EESZ_EEDaSU_SV_EUlSU_E_NS1_11comp_targetILNS1_3genE8ELNS1_11target_archE1030ELNS1_3gpuE2ELNS1_3repE0EEENS1_30default_config_static_selectorELNS0_4arch9wavefront6targetE1EEEvT1_,"axG",@progbits,_ZN7rocprim17ROCPRIM_400000_NS6detail17trampoline_kernelINS0_14default_configENS1_27scan_by_key_config_selectorIxiEEZZNS1_16scan_by_key_implILNS1_25lookback_scan_determinismE0ELb1ES3_N6thrust23THRUST_200600_302600_NS6detail15normal_iteratorINS9_10device_ptrIxEEEESE_SE_iNS9_4plusIvEENS9_8equal_toIvEEiEE10hipError_tPvRmT2_T3_T4_T5_mT6_T7_P12ihipStream_tbENKUlT_T0_E_clISt17integral_constantIbLb0EESZ_EEDaSU_SV_EUlSU_E_NS1_11comp_targetILNS1_3genE8ELNS1_11target_archE1030ELNS1_3gpuE2ELNS1_3repE0EEENS1_30default_config_static_selectorELNS0_4arch9wavefront6targetE1EEEvT1_,comdat
	.protected	_ZN7rocprim17ROCPRIM_400000_NS6detail17trampoline_kernelINS0_14default_configENS1_27scan_by_key_config_selectorIxiEEZZNS1_16scan_by_key_implILNS1_25lookback_scan_determinismE0ELb1ES3_N6thrust23THRUST_200600_302600_NS6detail15normal_iteratorINS9_10device_ptrIxEEEESE_SE_iNS9_4plusIvEENS9_8equal_toIvEEiEE10hipError_tPvRmT2_T3_T4_T5_mT6_T7_P12ihipStream_tbENKUlT_T0_E_clISt17integral_constantIbLb0EESZ_EEDaSU_SV_EUlSU_E_NS1_11comp_targetILNS1_3genE8ELNS1_11target_archE1030ELNS1_3gpuE2ELNS1_3repE0EEENS1_30default_config_static_selectorELNS0_4arch9wavefront6targetE1EEEvT1_ ; -- Begin function _ZN7rocprim17ROCPRIM_400000_NS6detail17trampoline_kernelINS0_14default_configENS1_27scan_by_key_config_selectorIxiEEZZNS1_16scan_by_key_implILNS1_25lookback_scan_determinismE0ELb1ES3_N6thrust23THRUST_200600_302600_NS6detail15normal_iteratorINS9_10device_ptrIxEEEESE_SE_iNS9_4plusIvEENS9_8equal_toIvEEiEE10hipError_tPvRmT2_T3_T4_T5_mT6_T7_P12ihipStream_tbENKUlT_T0_E_clISt17integral_constantIbLb0EESZ_EEDaSU_SV_EUlSU_E_NS1_11comp_targetILNS1_3genE8ELNS1_11target_archE1030ELNS1_3gpuE2ELNS1_3repE0EEENS1_30default_config_static_selectorELNS0_4arch9wavefront6targetE1EEEvT1_
	.globl	_ZN7rocprim17ROCPRIM_400000_NS6detail17trampoline_kernelINS0_14default_configENS1_27scan_by_key_config_selectorIxiEEZZNS1_16scan_by_key_implILNS1_25lookback_scan_determinismE0ELb1ES3_N6thrust23THRUST_200600_302600_NS6detail15normal_iteratorINS9_10device_ptrIxEEEESE_SE_iNS9_4plusIvEENS9_8equal_toIvEEiEE10hipError_tPvRmT2_T3_T4_T5_mT6_T7_P12ihipStream_tbENKUlT_T0_E_clISt17integral_constantIbLb0EESZ_EEDaSU_SV_EUlSU_E_NS1_11comp_targetILNS1_3genE8ELNS1_11target_archE1030ELNS1_3gpuE2ELNS1_3repE0EEENS1_30default_config_static_selectorELNS0_4arch9wavefront6targetE1EEEvT1_
	.p2align	8
	.type	_ZN7rocprim17ROCPRIM_400000_NS6detail17trampoline_kernelINS0_14default_configENS1_27scan_by_key_config_selectorIxiEEZZNS1_16scan_by_key_implILNS1_25lookback_scan_determinismE0ELb1ES3_N6thrust23THRUST_200600_302600_NS6detail15normal_iteratorINS9_10device_ptrIxEEEESE_SE_iNS9_4plusIvEENS9_8equal_toIvEEiEE10hipError_tPvRmT2_T3_T4_T5_mT6_T7_P12ihipStream_tbENKUlT_T0_E_clISt17integral_constantIbLb0EESZ_EEDaSU_SV_EUlSU_E_NS1_11comp_targetILNS1_3genE8ELNS1_11target_archE1030ELNS1_3gpuE2ELNS1_3repE0EEENS1_30default_config_static_selectorELNS0_4arch9wavefront6targetE1EEEvT1_,@function
_ZN7rocprim17ROCPRIM_400000_NS6detail17trampoline_kernelINS0_14default_configENS1_27scan_by_key_config_selectorIxiEEZZNS1_16scan_by_key_implILNS1_25lookback_scan_determinismE0ELb1ES3_N6thrust23THRUST_200600_302600_NS6detail15normal_iteratorINS9_10device_ptrIxEEEESE_SE_iNS9_4plusIvEENS9_8equal_toIvEEiEE10hipError_tPvRmT2_T3_T4_T5_mT6_T7_P12ihipStream_tbENKUlT_T0_E_clISt17integral_constantIbLb0EESZ_EEDaSU_SV_EUlSU_E_NS1_11comp_targetILNS1_3genE8ELNS1_11target_archE1030ELNS1_3gpuE2ELNS1_3repE0EEENS1_30default_config_static_selectorELNS0_4arch9wavefront6targetE1EEEvT1_: ; @_ZN7rocprim17ROCPRIM_400000_NS6detail17trampoline_kernelINS0_14default_configENS1_27scan_by_key_config_selectorIxiEEZZNS1_16scan_by_key_implILNS1_25lookback_scan_determinismE0ELb1ES3_N6thrust23THRUST_200600_302600_NS6detail15normal_iteratorINS9_10device_ptrIxEEEESE_SE_iNS9_4plusIvEENS9_8equal_toIvEEiEE10hipError_tPvRmT2_T3_T4_T5_mT6_T7_P12ihipStream_tbENKUlT_T0_E_clISt17integral_constantIbLb0EESZ_EEDaSU_SV_EUlSU_E_NS1_11comp_targetILNS1_3genE8ELNS1_11target_archE1030ELNS1_3gpuE2ELNS1_3repE0EEENS1_30default_config_static_selectorELNS0_4arch9wavefront6targetE1EEEvT1_
; %bb.0:
	.section	.rodata,"a",@progbits
	.p2align	6, 0x0
	.amdhsa_kernel _ZN7rocprim17ROCPRIM_400000_NS6detail17trampoline_kernelINS0_14default_configENS1_27scan_by_key_config_selectorIxiEEZZNS1_16scan_by_key_implILNS1_25lookback_scan_determinismE0ELb1ES3_N6thrust23THRUST_200600_302600_NS6detail15normal_iteratorINS9_10device_ptrIxEEEESE_SE_iNS9_4plusIvEENS9_8equal_toIvEEiEE10hipError_tPvRmT2_T3_T4_T5_mT6_T7_P12ihipStream_tbENKUlT_T0_E_clISt17integral_constantIbLb0EESZ_EEDaSU_SV_EUlSU_E_NS1_11comp_targetILNS1_3genE8ELNS1_11target_archE1030ELNS1_3gpuE2ELNS1_3repE0EEENS1_30default_config_static_selectorELNS0_4arch9wavefront6targetE1EEEvT1_
		.amdhsa_group_segment_fixed_size 0
		.amdhsa_private_segment_fixed_size 0
		.amdhsa_kernarg_size 112
		.amdhsa_user_sgpr_count 6
		.amdhsa_user_sgpr_private_segment_buffer 1
		.amdhsa_user_sgpr_dispatch_ptr 0
		.amdhsa_user_sgpr_queue_ptr 0
		.amdhsa_user_sgpr_kernarg_segment_ptr 1
		.amdhsa_user_sgpr_dispatch_id 0
		.amdhsa_user_sgpr_flat_scratch_init 0
		.amdhsa_user_sgpr_kernarg_preload_length 0
		.amdhsa_user_sgpr_kernarg_preload_offset 0
		.amdhsa_user_sgpr_private_segment_size 0
		.amdhsa_uses_dynamic_stack 0
		.amdhsa_system_sgpr_private_segment_wavefront_offset 0
		.amdhsa_system_sgpr_workgroup_id_x 1
		.amdhsa_system_sgpr_workgroup_id_y 0
		.amdhsa_system_sgpr_workgroup_id_z 0
		.amdhsa_system_sgpr_workgroup_info 0
		.amdhsa_system_vgpr_workitem_id 0
		.amdhsa_next_free_vgpr 1
		.amdhsa_next_free_sgpr 0
		.amdhsa_accum_offset 4
		.amdhsa_reserve_vcc 0
		.amdhsa_reserve_flat_scratch 0
		.amdhsa_float_round_mode_32 0
		.amdhsa_float_round_mode_16_64 0
		.amdhsa_float_denorm_mode_32 3
		.amdhsa_float_denorm_mode_16_64 3
		.amdhsa_dx10_clamp 1
		.amdhsa_ieee_mode 1
		.amdhsa_fp16_overflow 0
		.amdhsa_tg_split 0
		.amdhsa_exception_fp_ieee_invalid_op 0
		.amdhsa_exception_fp_denorm_src 0
		.amdhsa_exception_fp_ieee_div_zero 0
		.amdhsa_exception_fp_ieee_overflow 0
		.amdhsa_exception_fp_ieee_underflow 0
		.amdhsa_exception_fp_ieee_inexact 0
		.amdhsa_exception_int_div_zero 0
	.end_amdhsa_kernel
	.section	.text._ZN7rocprim17ROCPRIM_400000_NS6detail17trampoline_kernelINS0_14default_configENS1_27scan_by_key_config_selectorIxiEEZZNS1_16scan_by_key_implILNS1_25lookback_scan_determinismE0ELb1ES3_N6thrust23THRUST_200600_302600_NS6detail15normal_iteratorINS9_10device_ptrIxEEEESE_SE_iNS9_4plusIvEENS9_8equal_toIvEEiEE10hipError_tPvRmT2_T3_T4_T5_mT6_T7_P12ihipStream_tbENKUlT_T0_E_clISt17integral_constantIbLb0EESZ_EEDaSU_SV_EUlSU_E_NS1_11comp_targetILNS1_3genE8ELNS1_11target_archE1030ELNS1_3gpuE2ELNS1_3repE0EEENS1_30default_config_static_selectorELNS0_4arch9wavefront6targetE1EEEvT1_,"axG",@progbits,_ZN7rocprim17ROCPRIM_400000_NS6detail17trampoline_kernelINS0_14default_configENS1_27scan_by_key_config_selectorIxiEEZZNS1_16scan_by_key_implILNS1_25lookback_scan_determinismE0ELb1ES3_N6thrust23THRUST_200600_302600_NS6detail15normal_iteratorINS9_10device_ptrIxEEEESE_SE_iNS9_4plusIvEENS9_8equal_toIvEEiEE10hipError_tPvRmT2_T3_T4_T5_mT6_T7_P12ihipStream_tbENKUlT_T0_E_clISt17integral_constantIbLb0EESZ_EEDaSU_SV_EUlSU_E_NS1_11comp_targetILNS1_3genE8ELNS1_11target_archE1030ELNS1_3gpuE2ELNS1_3repE0EEENS1_30default_config_static_selectorELNS0_4arch9wavefront6targetE1EEEvT1_,comdat
.Lfunc_end1010:
	.size	_ZN7rocprim17ROCPRIM_400000_NS6detail17trampoline_kernelINS0_14default_configENS1_27scan_by_key_config_selectorIxiEEZZNS1_16scan_by_key_implILNS1_25lookback_scan_determinismE0ELb1ES3_N6thrust23THRUST_200600_302600_NS6detail15normal_iteratorINS9_10device_ptrIxEEEESE_SE_iNS9_4plusIvEENS9_8equal_toIvEEiEE10hipError_tPvRmT2_T3_T4_T5_mT6_T7_P12ihipStream_tbENKUlT_T0_E_clISt17integral_constantIbLb0EESZ_EEDaSU_SV_EUlSU_E_NS1_11comp_targetILNS1_3genE8ELNS1_11target_archE1030ELNS1_3gpuE2ELNS1_3repE0EEENS1_30default_config_static_selectorELNS0_4arch9wavefront6targetE1EEEvT1_, .Lfunc_end1010-_ZN7rocprim17ROCPRIM_400000_NS6detail17trampoline_kernelINS0_14default_configENS1_27scan_by_key_config_selectorIxiEEZZNS1_16scan_by_key_implILNS1_25lookback_scan_determinismE0ELb1ES3_N6thrust23THRUST_200600_302600_NS6detail15normal_iteratorINS9_10device_ptrIxEEEESE_SE_iNS9_4plusIvEENS9_8equal_toIvEEiEE10hipError_tPvRmT2_T3_T4_T5_mT6_T7_P12ihipStream_tbENKUlT_T0_E_clISt17integral_constantIbLb0EESZ_EEDaSU_SV_EUlSU_E_NS1_11comp_targetILNS1_3genE8ELNS1_11target_archE1030ELNS1_3gpuE2ELNS1_3repE0EEENS1_30default_config_static_selectorELNS0_4arch9wavefront6targetE1EEEvT1_
                                        ; -- End function
	.section	.AMDGPU.csdata,"",@progbits
; Kernel info:
; codeLenInByte = 0
; NumSgprs: 4
; NumVgprs: 0
; NumAgprs: 0
; TotalNumVgprs: 0
; ScratchSize: 0
; MemoryBound: 0
; FloatMode: 240
; IeeeMode: 1
; LDSByteSize: 0 bytes/workgroup (compile time only)
; SGPRBlocks: 0
; VGPRBlocks: 0
; NumSGPRsForWavesPerEU: 4
; NumVGPRsForWavesPerEU: 1
; AccumOffset: 4
; Occupancy: 8
; WaveLimiterHint : 0
; COMPUTE_PGM_RSRC2:SCRATCH_EN: 0
; COMPUTE_PGM_RSRC2:USER_SGPR: 6
; COMPUTE_PGM_RSRC2:TRAP_HANDLER: 0
; COMPUTE_PGM_RSRC2:TGID_X_EN: 1
; COMPUTE_PGM_RSRC2:TGID_Y_EN: 0
; COMPUTE_PGM_RSRC2:TGID_Z_EN: 0
; COMPUTE_PGM_RSRC2:TIDIG_COMP_CNT: 0
; COMPUTE_PGM_RSRC3_GFX90A:ACCUM_OFFSET: 0
; COMPUTE_PGM_RSRC3_GFX90A:TG_SPLIT: 0
	.section	.text._ZN7rocprim17ROCPRIM_400000_NS6detail30init_device_scan_by_key_kernelINS1_19lookback_scan_stateINS0_5tupleIJibEEELb1ELb1EEEN6thrust23THRUST_200600_302600_NS6detail15normal_iteratorINS8_10device_ptrIxEEEEjNS1_16block_id_wrapperIjLb1EEEEEvT_jjPNSG_10value_typeET0_PNSt15iterator_traitsISJ_E10value_typeEmT1_T2_,"axG",@progbits,_ZN7rocprim17ROCPRIM_400000_NS6detail30init_device_scan_by_key_kernelINS1_19lookback_scan_stateINS0_5tupleIJibEEELb1ELb1EEEN6thrust23THRUST_200600_302600_NS6detail15normal_iteratorINS8_10device_ptrIxEEEEjNS1_16block_id_wrapperIjLb1EEEEEvT_jjPNSG_10value_typeET0_PNSt15iterator_traitsISJ_E10value_typeEmT1_T2_,comdat
	.protected	_ZN7rocprim17ROCPRIM_400000_NS6detail30init_device_scan_by_key_kernelINS1_19lookback_scan_stateINS0_5tupleIJibEEELb1ELb1EEEN6thrust23THRUST_200600_302600_NS6detail15normal_iteratorINS8_10device_ptrIxEEEEjNS1_16block_id_wrapperIjLb1EEEEEvT_jjPNSG_10value_typeET0_PNSt15iterator_traitsISJ_E10value_typeEmT1_T2_ ; -- Begin function _ZN7rocprim17ROCPRIM_400000_NS6detail30init_device_scan_by_key_kernelINS1_19lookback_scan_stateINS0_5tupleIJibEEELb1ELb1EEEN6thrust23THRUST_200600_302600_NS6detail15normal_iteratorINS8_10device_ptrIxEEEEjNS1_16block_id_wrapperIjLb1EEEEEvT_jjPNSG_10value_typeET0_PNSt15iterator_traitsISJ_E10value_typeEmT1_T2_
	.globl	_ZN7rocprim17ROCPRIM_400000_NS6detail30init_device_scan_by_key_kernelINS1_19lookback_scan_stateINS0_5tupleIJibEEELb1ELb1EEEN6thrust23THRUST_200600_302600_NS6detail15normal_iteratorINS8_10device_ptrIxEEEEjNS1_16block_id_wrapperIjLb1EEEEEvT_jjPNSG_10value_typeET0_PNSt15iterator_traitsISJ_E10value_typeEmT1_T2_
	.p2align	8
	.type	_ZN7rocprim17ROCPRIM_400000_NS6detail30init_device_scan_by_key_kernelINS1_19lookback_scan_stateINS0_5tupleIJibEEELb1ELb1EEEN6thrust23THRUST_200600_302600_NS6detail15normal_iteratorINS8_10device_ptrIxEEEEjNS1_16block_id_wrapperIjLb1EEEEEvT_jjPNSG_10value_typeET0_PNSt15iterator_traitsISJ_E10value_typeEmT1_T2_,@function
_ZN7rocprim17ROCPRIM_400000_NS6detail30init_device_scan_by_key_kernelINS1_19lookback_scan_stateINS0_5tupleIJibEEELb1ELb1EEEN6thrust23THRUST_200600_302600_NS6detail15normal_iteratorINS8_10device_ptrIxEEEEjNS1_16block_id_wrapperIjLb1EEEEEvT_jjPNSG_10value_typeET0_PNSt15iterator_traitsISJ_E10value_typeEmT1_T2_: ; @_ZN7rocprim17ROCPRIM_400000_NS6detail30init_device_scan_by_key_kernelINS1_19lookback_scan_stateINS0_5tupleIJibEEELb1ELb1EEEN6thrust23THRUST_200600_302600_NS6detail15normal_iteratorINS8_10device_ptrIxEEEEjNS1_16block_id_wrapperIjLb1EEEEEvT_jjPNSG_10value_typeET0_PNSt15iterator_traitsISJ_E10value_typeEmT1_T2_
; %bb.0:
	s_load_dword s0, s[4:5], 0x4c
	s_load_dwordx8 s[8:15], s[4:5], 0x0
	s_load_dword s18, s[4:5], 0x40
	s_waitcnt lgkmcnt(0)
	s_and_b32 s19, s0, 0xffff
	s_mul_i32 s6, s6, s19
	s_cmp_eq_u64 s[12:13], 0
	v_add_u32_e32 v4, s6, v0
	s_cbranch_scc1 .LBB1011_10
; %bb.1:
	s_cmp_lt_u32 s11, s10
	s_cselect_b32 s0, s11, 0
	s_mov_b32 s3, 0
	v_cmp_eq_u32_e32 vcc, s0, v4
	s_and_saveexec_b64 s[0:1], vcc
	s_cbranch_execz .LBB1011_9
; %bb.2:
	s_add_i32 s2, s11, 64
	s_lshl_b64 s[2:3], s[2:3], 4
	s_add_u32 s16, s8, s2
	s_addc_u32 s17, s9, s3
	v_pk_mov_b32 v[0:1], s[16:17], s[16:17] op_sel:[0,1]
	;;#ASMSTART
	global_load_dwordx4 v[0:3], v[0:1] off glc	
s_waitcnt vmcnt(0)
	;;#ASMEND
	v_mov_b32_e32 v7, 0
	v_and_b32_e32 v6, 0xff, v2
	s_mov_b64 s[6:7], 0
	v_cmp_eq_u64_e32 vcc, 0, v[6:7]
	s_and_saveexec_b64 s[2:3], vcc
	s_cbranch_execz .LBB1011_8
; %bb.3:
	s_mov_b32 s11, 1
	v_pk_mov_b32 v[8:9], s[16:17], s[16:17] op_sel:[0,1]
.LBB1011_4:                             ; =>This Loop Header: Depth=1
                                        ;     Child Loop BB1011_5 Depth 2
	s_max_u32 s16, s11, 1
.LBB1011_5:                             ;   Parent Loop BB1011_4 Depth=1
                                        ; =>  This Inner Loop Header: Depth=2
	s_add_i32 s16, s16, -1
	s_cmp_eq_u32 s16, 0
	s_sleep 1
	s_cbranch_scc0 .LBB1011_5
; %bb.6:                                ;   in Loop: Header=BB1011_4 Depth=1
	s_cmp_lt_u32 s11, 32
	s_cselect_b64 s[16:17], -1, 0
	s_cmp_lg_u64 s[16:17], 0
	;;#ASMSTART
	global_load_dwordx4 v[0:3], v[8:9] off glc	
s_waitcnt vmcnt(0)
	;;#ASMEND
	v_and_b32_e32 v6, 0xff, v2
	s_addc_u32 s11, s11, 0
	v_cmp_ne_u64_e32 vcc, 0, v[6:7]
	s_or_b64 s[6:7], vcc, s[6:7]
	s_andn2_b64 exec, exec, s[6:7]
	s_cbranch_execnz .LBB1011_4
; %bb.7:
	s_or_b64 exec, exec, s[6:7]
.LBB1011_8:
	s_or_b64 exec, exec, s[2:3]
	v_mov_b32_e32 v2, 0
	global_store_dword v2, v0, s[12:13]
	global_store_byte v2, v1, s[12:13] offset:4
.LBB1011_9:
	s_or_b64 exec, exec, s[0:1]
.LBB1011_10:
	v_cmp_eq_u32_e32 vcc, 0, v4
	s_and_saveexec_b64 s[0:1], vcc
	s_cbranch_execz .LBB1011_12
; %bb.11:
	s_load_dwordx2 s[2:3], s[4:5], 0x38
	v_mov_b32_e32 v0, 0
	s_waitcnt lgkmcnt(0)
	global_store_dword v0, v0, s[2:3]
.LBB1011_12:
	s_or_b64 exec, exec, s[0:1]
	v_cmp_gt_u32_e32 vcc, s10, v4
	s_and_saveexec_b64 s[0:1], vcc
	s_cbranch_execz .LBB1011_14
; %bb.13:
	v_add_u32_e32 v0, 64, v4
	v_mov_b32_e32 v1, 0
	v_lshlrev_b64 v[2:3], 4, v[0:1]
	v_mov_b32_e32 v0, s9
	v_add_co_u32_e32 v6, vcc, s8, v2
	v_addc_co_u32_e32 v7, vcc, v0, v3, vcc
	v_mov_b32_e32 v0, v1
	v_mov_b32_e32 v2, v1
	;; [unrolled: 1-line block ×3, first 2 shown]
	global_store_dwordx4 v[6:7], v[0:3], off
.LBB1011_14:
	s_or_b64 exec, exec, s[0:1]
	v_cmp_gt_u32_e32 vcc, 64, v4
	v_mov_b32_e32 v5, 0
	s_and_saveexec_b64 s[0:1], vcc
	s_cbranch_execz .LBB1011_16
; %bb.15:
	v_lshlrev_b64 v[0:1], 4, v[4:5]
	v_mov_b32_e32 v2, s9
	v_add_co_u32_e32 v6, vcc, s8, v0
	v_addc_co_u32_e32 v7, vcc, v2, v1, vcc
	v_mov_b32_e32 v2, 0xff
	v_mov_b32_e32 v0, v5
	v_mov_b32_e32 v1, v5
	v_mov_b32_e32 v3, v5
	global_store_dwordx4 v[6:7], v[0:3], off
.LBB1011_16:
	s_or_b64 exec, exec, s[0:1]
	s_load_dwordx2 s[0:1], s[4:5], 0x28
	s_waitcnt lgkmcnt(0)
	v_cmp_gt_u64_e32 vcc, s[0:1], v[4:5]
	s_and_saveexec_b64 s[2:3], vcc
	s_cbranch_execz .LBB1011_19
; %bb.17:
	s_load_dword s10, s[4:5], 0x30
	s_load_dwordx2 s[6:7], s[4:5], 0x20
	s_mov_b32 s5, 0
	s_mov_b32 s3, s5
	s_mul_i32 s2, s18, s19
	s_waitcnt lgkmcnt(0)
	s_add_i32 s4, s10, -1
	s_lshl_b64 s[4:5], s[4:5], 3
	v_mad_u64_u32 v[0:1], s[8:9], s10, v4, 0
	s_add_u32 s4, s14, s4
	v_lshlrev_b64 v[0:1], 3, v[0:1]
	s_addc_u32 s5, s15, s5
	v_mov_b32_e32 v2, s5
	v_add_co_u32_e32 v0, vcc, s4, v0
	v_addc_co_u32_e32 v1, vcc, v2, v1, vcc
	s_mul_hi_u32 s5, s10, s2
	s_mul_i32 s4, s10, s2
	v_lshlrev_b64 v[2:3], 3, v[4:5]
	s_lshl_b64 s[4:5], s[4:5], 3
	v_mov_b32_e32 v6, s7
	v_add_co_u32_e32 v2, vcc, s6, v2
	s_lshl_b64 s[6:7], s[2:3], 3
	v_addc_co_u32_e32 v3, vcc, v6, v3, vcc
	s_mov_b64 s[8:9], 0
	v_mov_b32_e32 v6, s3
	v_mov_b32_e32 v7, s5
	v_mov_b32_e32 v8, s7
.LBB1011_18:                            ; =>This Inner Loop Header: Depth=1
	global_load_dwordx2 v[10:11], v[0:1], off
	v_add_co_u32_e32 v4, vcc, s2, v4
	v_addc_co_u32_e32 v5, vcc, v5, v6, vcc
	v_add_co_u32_e32 v0, vcc, s4, v0
	v_addc_co_u32_e32 v1, vcc, v1, v7, vcc
	v_cmp_le_u64_e32 vcc, s[0:1], v[4:5]
	s_or_b64 s[8:9], vcc, s[8:9]
	s_waitcnt vmcnt(0)
	global_store_dwordx2 v[2:3], v[10:11], off
	v_add_co_u32_e32 v2, vcc, s6, v2
	v_addc_co_u32_e32 v3, vcc, v3, v8, vcc
	s_andn2_b64 exec, exec, s[8:9]
	s_cbranch_execnz .LBB1011_18
.LBB1011_19:
	s_endpgm
	.section	.rodata,"a",@progbits
	.p2align	6, 0x0
	.amdhsa_kernel _ZN7rocprim17ROCPRIM_400000_NS6detail30init_device_scan_by_key_kernelINS1_19lookback_scan_stateINS0_5tupleIJibEEELb1ELb1EEEN6thrust23THRUST_200600_302600_NS6detail15normal_iteratorINS8_10device_ptrIxEEEEjNS1_16block_id_wrapperIjLb1EEEEEvT_jjPNSG_10value_typeET0_PNSt15iterator_traitsISJ_E10value_typeEmT1_T2_
		.amdhsa_group_segment_fixed_size 0
		.amdhsa_private_segment_fixed_size 0
		.amdhsa_kernarg_size 320
		.amdhsa_user_sgpr_count 6
		.amdhsa_user_sgpr_private_segment_buffer 1
		.amdhsa_user_sgpr_dispatch_ptr 0
		.amdhsa_user_sgpr_queue_ptr 0
		.amdhsa_user_sgpr_kernarg_segment_ptr 1
		.amdhsa_user_sgpr_dispatch_id 0
		.amdhsa_user_sgpr_flat_scratch_init 0
		.amdhsa_user_sgpr_kernarg_preload_length 0
		.amdhsa_user_sgpr_kernarg_preload_offset 0
		.amdhsa_user_sgpr_private_segment_size 0
		.amdhsa_uses_dynamic_stack 0
		.amdhsa_system_sgpr_private_segment_wavefront_offset 0
		.amdhsa_system_sgpr_workgroup_id_x 1
		.amdhsa_system_sgpr_workgroup_id_y 0
		.amdhsa_system_sgpr_workgroup_id_z 0
		.amdhsa_system_sgpr_workgroup_info 0
		.amdhsa_system_vgpr_workitem_id 0
		.amdhsa_next_free_vgpr 12
		.amdhsa_next_free_sgpr 20
		.amdhsa_accum_offset 12
		.amdhsa_reserve_vcc 1
		.amdhsa_reserve_flat_scratch 0
		.amdhsa_float_round_mode_32 0
		.amdhsa_float_round_mode_16_64 0
		.amdhsa_float_denorm_mode_32 3
		.amdhsa_float_denorm_mode_16_64 3
		.amdhsa_dx10_clamp 1
		.amdhsa_ieee_mode 1
		.amdhsa_fp16_overflow 0
		.amdhsa_tg_split 0
		.amdhsa_exception_fp_ieee_invalid_op 0
		.amdhsa_exception_fp_denorm_src 0
		.amdhsa_exception_fp_ieee_div_zero 0
		.amdhsa_exception_fp_ieee_overflow 0
		.amdhsa_exception_fp_ieee_underflow 0
		.amdhsa_exception_fp_ieee_inexact 0
		.amdhsa_exception_int_div_zero 0
	.end_amdhsa_kernel
	.section	.text._ZN7rocprim17ROCPRIM_400000_NS6detail30init_device_scan_by_key_kernelINS1_19lookback_scan_stateINS0_5tupleIJibEEELb1ELb1EEEN6thrust23THRUST_200600_302600_NS6detail15normal_iteratorINS8_10device_ptrIxEEEEjNS1_16block_id_wrapperIjLb1EEEEEvT_jjPNSG_10value_typeET0_PNSt15iterator_traitsISJ_E10value_typeEmT1_T2_,"axG",@progbits,_ZN7rocprim17ROCPRIM_400000_NS6detail30init_device_scan_by_key_kernelINS1_19lookback_scan_stateINS0_5tupleIJibEEELb1ELb1EEEN6thrust23THRUST_200600_302600_NS6detail15normal_iteratorINS8_10device_ptrIxEEEEjNS1_16block_id_wrapperIjLb1EEEEEvT_jjPNSG_10value_typeET0_PNSt15iterator_traitsISJ_E10value_typeEmT1_T2_,comdat
.Lfunc_end1011:
	.size	_ZN7rocprim17ROCPRIM_400000_NS6detail30init_device_scan_by_key_kernelINS1_19lookback_scan_stateINS0_5tupleIJibEEELb1ELb1EEEN6thrust23THRUST_200600_302600_NS6detail15normal_iteratorINS8_10device_ptrIxEEEEjNS1_16block_id_wrapperIjLb1EEEEEvT_jjPNSG_10value_typeET0_PNSt15iterator_traitsISJ_E10value_typeEmT1_T2_, .Lfunc_end1011-_ZN7rocprim17ROCPRIM_400000_NS6detail30init_device_scan_by_key_kernelINS1_19lookback_scan_stateINS0_5tupleIJibEEELb1ELb1EEEN6thrust23THRUST_200600_302600_NS6detail15normal_iteratorINS8_10device_ptrIxEEEEjNS1_16block_id_wrapperIjLb1EEEEEvT_jjPNSG_10value_typeET0_PNSt15iterator_traitsISJ_E10value_typeEmT1_T2_
                                        ; -- End function
	.section	.AMDGPU.csdata,"",@progbits
; Kernel info:
; codeLenInByte = 652
; NumSgprs: 24
; NumVgprs: 12
; NumAgprs: 0
; TotalNumVgprs: 12
; ScratchSize: 0
; MemoryBound: 0
; FloatMode: 240
; IeeeMode: 1
; LDSByteSize: 0 bytes/workgroup (compile time only)
; SGPRBlocks: 2
; VGPRBlocks: 1
; NumSGPRsForWavesPerEU: 24
; NumVGPRsForWavesPerEU: 12
; AccumOffset: 12
; Occupancy: 8
; WaveLimiterHint : 0
; COMPUTE_PGM_RSRC2:SCRATCH_EN: 0
; COMPUTE_PGM_RSRC2:USER_SGPR: 6
; COMPUTE_PGM_RSRC2:TRAP_HANDLER: 0
; COMPUTE_PGM_RSRC2:TGID_X_EN: 1
; COMPUTE_PGM_RSRC2:TGID_Y_EN: 0
; COMPUTE_PGM_RSRC2:TGID_Z_EN: 0
; COMPUTE_PGM_RSRC2:TIDIG_COMP_CNT: 0
; COMPUTE_PGM_RSRC3_GFX90A:ACCUM_OFFSET: 2
; COMPUTE_PGM_RSRC3_GFX90A:TG_SPLIT: 0
	.section	.text._ZN7rocprim17ROCPRIM_400000_NS6detail17trampoline_kernelINS0_14default_configENS1_27scan_by_key_config_selectorIxiEEZZNS1_16scan_by_key_implILNS1_25lookback_scan_determinismE0ELb1ES3_N6thrust23THRUST_200600_302600_NS6detail15normal_iteratorINS9_10device_ptrIxEEEESE_SE_iNS9_4plusIvEENS9_8equal_toIvEEiEE10hipError_tPvRmT2_T3_T4_T5_mT6_T7_P12ihipStream_tbENKUlT_T0_E_clISt17integral_constantIbLb1EESZ_EEDaSU_SV_EUlSU_E_NS1_11comp_targetILNS1_3genE0ELNS1_11target_archE4294967295ELNS1_3gpuE0ELNS1_3repE0EEENS1_30default_config_static_selectorELNS0_4arch9wavefront6targetE1EEEvT1_,"axG",@progbits,_ZN7rocprim17ROCPRIM_400000_NS6detail17trampoline_kernelINS0_14default_configENS1_27scan_by_key_config_selectorIxiEEZZNS1_16scan_by_key_implILNS1_25lookback_scan_determinismE0ELb1ES3_N6thrust23THRUST_200600_302600_NS6detail15normal_iteratorINS9_10device_ptrIxEEEESE_SE_iNS9_4plusIvEENS9_8equal_toIvEEiEE10hipError_tPvRmT2_T3_T4_T5_mT6_T7_P12ihipStream_tbENKUlT_T0_E_clISt17integral_constantIbLb1EESZ_EEDaSU_SV_EUlSU_E_NS1_11comp_targetILNS1_3genE0ELNS1_11target_archE4294967295ELNS1_3gpuE0ELNS1_3repE0EEENS1_30default_config_static_selectorELNS0_4arch9wavefront6targetE1EEEvT1_,comdat
	.protected	_ZN7rocprim17ROCPRIM_400000_NS6detail17trampoline_kernelINS0_14default_configENS1_27scan_by_key_config_selectorIxiEEZZNS1_16scan_by_key_implILNS1_25lookback_scan_determinismE0ELb1ES3_N6thrust23THRUST_200600_302600_NS6detail15normal_iteratorINS9_10device_ptrIxEEEESE_SE_iNS9_4plusIvEENS9_8equal_toIvEEiEE10hipError_tPvRmT2_T3_T4_T5_mT6_T7_P12ihipStream_tbENKUlT_T0_E_clISt17integral_constantIbLb1EESZ_EEDaSU_SV_EUlSU_E_NS1_11comp_targetILNS1_3genE0ELNS1_11target_archE4294967295ELNS1_3gpuE0ELNS1_3repE0EEENS1_30default_config_static_selectorELNS0_4arch9wavefront6targetE1EEEvT1_ ; -- Begin function _ZN7rocprim17ROCPRIM_400000_NS6detail17trampoline_kernelINS0_14default_configENS1_27scan_by_key_config_selectorIxiEEZZNS1_16scan_by_key_implILNS1_25lookback_scan_determinismE0ELb1ES3_N6thrust23THRUST_200600_302600_NS6detail15normal_iteratorINS9_10device_ptrIxEEEESE_SE_iNS9_4plusIvEENS9_8equal_toIvEEiEE10hipError_tPvRmT2_T3_T4_T5_mT6_T7_P12ihipStream_tbENKUlT_T0_E_clISt17integral_constantIbLb1EESZ_EEDaSU_SV_EUlSU_E_NS1_11comp_targetILNS1_3genE0ELNS1_11target_archE4294967295ELNS1_3gpuE0ELNS1_3repE0EEENS1_30default_config_static_selectorELNS0_4arch9wavefront6targetE1EEEvT1_
	.globl	_ZN7rocprim17ROCPRIM_400000_NS6detail17trampoline_kernelINS0_14default_configENS1_27scan_by_key_config_selectorIxiEEZZNS1_16scan_by_key_implILNS1_25lookback_scan_determinismE0ELb1ES3_N6thrust23THRUST_200600_302600_NS6detail15normal_iteratorINS9_10device_ptrIxEEEESE_SE_iNS9_4plusIvEENS9_8equal_toIvEEiEE10hipError_tPvRmT2_T3_T4_T5_mT6_T7_P12ihipStream_tbENKUlT_T0_E_clISt17integral_constantIbLb1EESZ_EEDaSU_SV_EUlSU_E_NS1_11comp_targetILNS1_3genE0ELNS1_11target_archE4294967295ELNS1_3gpuE0ELNS1_3repE0EEENS1_30default_config_static_selectorELNS0_4arch9wavefront6targetE1EEEvT1_
	.p2align	8
	.type	_ZN7rocprim17ROCPRIM_400000_NS6detail17trampoline_kernelINS0_14default_configENS1_27scan_by_key_config_selectorIxiEEZZNS1_16scan_by_key_implILNS1_25lookback_scan_determinismE0ELb1ES3_N6thrust23THRUST_200600_302600_NS6detail15normal_iteratorINS9_10device_ptrIxEEEESE_SE_iNS9_4plusIvEENS9_8equal_toIvEEiEE10hipError_tPvRmT2_T3_T4_T5_mT6_T7_P12ihipStream_tbENKUlT_T0_E_clISt17integral_constantIbLb1EESZ_EEDaSU_SV_EUlSU_E_NS1_11comp_targetILNS1_3genE0ELNS1_11target_archE4294967295ELNS1_3gpuE0ELNS1_3repE0EEENS1_30default_config_static_selectorELNS0_4arch9wavefront6targetE1EEEvT1_,@function
_ZN7rocprim17ROCPRIM_400000_NS6detail17trampoline_kernelINS0_14default_configENS1_27scan_by_key_config_selectorIxiEEZZNS1_16scan_by_key_implILNS1_25lookback_scan_determinismE0ELb1ES3_N6thrust23THRUST_200600_302600_NS6detail15normal_iteratorINS9_10device_ptrIxEEEESE_SE_iNS9_4plusIvEENS9_8equal_toIvEEiEE10hipError_tPvRmT2_T3_T4_T5_mT6_T7_P12ihipStream_tbENKUlT_T0_E_clISt17integral_constantIbLb1EESZ_EEDaSU_SV_EUlSU_E_NS1_11comp_targetILNS1_3genE0ELNS1_11target_archE4294967295ELNS1_3gpuE0ELNS1_3repE0EEENS1_30default_config_static_selectorELNS0_4arch9wavefront6targetE1EEEvT1_: ; @_ZN7rocprim17ROCPRIM_400000_NS6detail17trampoline_kernelINS0_14default_configENS1_27scan_by_key_config_selectorIxiEEZZNS1_16scan_by_key_implILNS1_25lookback_scan_determinismE0ELb1ES3_N6thrust23THRUST_200600_302600_NS6detail15normal_iteratorINS9_10device_ptrIxEEEESE_SE_iNS9_4plusIvEENS9_8equal_toIvEEiEE10hipError_tPvRmT2_T3_T4_T5_mT6_T7_P12ihipStream_tbENKUlT_T0_E_clISt17integral_constantIbLb1EESZ_EEDaSU_SV_EUlSU_E_NS1_11comp_targetILNS1_3genE0ELNS1_11target_archE4294967295ELNS1_3gpuE0ELNS1_3repE0EEENS1_30default_config_static_selectorELNS0_4arch9wavefront6targetE1EEEvT1_
; %bb.0:
	.section	.rodata,"a",@progbits
	.p2align	6, 0x0
	.amdhsa_kernel _ZN7rocprim17ROCPRIM_400000_NS6detail17trampoline_kernelINS0_14default_configENS1_27scan_by_key_config_selectorIxiEEZZNS1_16scan_by_key_implILNS1_25lookback_scan_determinismE0ELb1ES3_N6thrust23THRUST_200600_302600_NS6detail15normal_iteratorINS9_10device_ptrIxEEEESE_SE_iNS9_4plusIvEENS9_8equal_toIvEEiEE10hipError_tPvRmT2_T3_T4_T5_mT6_T7_P12ihipStream_tbENKUlT_T0_E_clISt17integral_constantIbLb1EESZ_EEDaSU_SV_EUlSU_E_NS1_11comp_targetILNS1_3genE0ELNS1_11target_archE4294967295ELNS1_3gpuE0ELNS1_3repE0EEENS1_30default_config_static_selectorELNS0_4arch9wavefront6targetE1EEEvT1_
		.amdhsa_group_segment_fixed_size 0
		.amdhsa_private_segment_fixed_size 0
		.amdhsa_kernarg_size 112
		.amdhsa_user_sgpr_count 6
		.amdhsa_user_sgpr_private_segment_buffer 1
		.amdhsa_user_sgpr_dispatch_ptr 0
		.amdhsa_user_sgpr_queue_ptr 0
		.amdhsa_user_sgpr_kernarg_segment_ptr 1
		.amdhsa_user_sgpr_dispatch_id 0
		.amdhsa_user_sgpr_flat_scratch_init 0
		.amdhsa_user_sgpr_kernarg_preload_length 0
		.amdhsa_user_sgpr_kernarg_preload_offset 0
		.amdhsa_user_sgpr_private_segment_size 0
		.amdhsa_uses_dynamic_stack 0
		.amdhsa_system_sgpr_private_segment_wavefront_offset 0
		.amdhsa_system_sgpr_workgroup_id_x 1
		.amdhsa_system_sgpr_workgroup_id_y 0
		.amdhsa_system_sgpr_workgroup_id_z 0
		.amdhsa_system_sgpr_workgroup_info 0
		.amdhsa_system_vgpr_workitem_id 0
		.amdhsa_next_free_vgpr 1
		.amdhsa_next_free_sgpr 0
		.amdhsa_accum_offset 4
		.amdhsa_reserve_vcc 0
		.amdhsa_reserve_flat_scratch 0
		.amdhsa_float_round_mode_32 0
		.amdhsa_float_round_mode_16_64 0
		.amdhsa_float_denorm_mode_32 3
		.amdhsa_float_denorm_mode_16_64 3
		.amdhsa_dx10_clamp 1
		.amdhsa_ieee_mode 1
		.amdhsa_fp16_overflow 0
		.amdhsa_tg_split 0
		.amdhsa_exception_fp_ieee_invalid_op 0
		.amdhsa_exception_fp_denorm_src 0
		.amdhsa_exception_fp_ieee_div_zero 0
		.amdhsa_exception_fp_ieee_overflow 0
		.amdhsa_exception_fp_ieee_underflow 0
		.amdhsa_exception_fp_ieee_inexact 0
		.amdhsa_exception_int_div_zero 0
	.end_amdhsa_kernel
	.section	.text._ZN7rocprim17ROCPRIM_400000_NS6detail17trampoline_kernelINS0_14default_configENS1_27scan_by_key_config_selectorIxiEEZZNS1_16scan_by_key_implILNS1_25lookback_scan_determinismE0ELb1ES3_N6thrust23THRUST_200600_302600_NS6detail15normal_iteratorINS9_10device_ptrIxEEEESE_SE_iNS9_4plusIvEENS9_8equal_toIvEEiEE10hipError_tPvRmT2_T3_T4_T5_mT6_T7_P12ihipStream_tbENKUlT_T0_E_clISt17integral_constantIbLb1EESZ_EEDaSU_SV_EUlSU_E_NS1_11comp_targetILNS1_3genE0ELNS1_11target_archE4294967295ELNS1_3gpuE0ELNS1_3repE0EEENS1_30default_config_static_selectorELNS0_4arch9wavefront6targetE1EEEvT1_,"axG",@progbits,_ZN7rocprim17ROCPRIM_400000_NS6detail17trampoline_kernelINS0_14default_configENS1_27scan_by_key_config_selectorIxiEEZZNS1_16scan_by_key_implILNS1_25lookback_scan_determinismE0ELb1ES3_N6thrust23THRUST_200600_302600_NS6detail15normal_iteratorINS9_10device_ptrIxEEEESE_SE_iNS9_4plusIvEENS9_8equal_toIvEEiEE10hipError_tPvRmT2_T3_T4_T5_mT6_T7_P12ihipStream_tbENKUlT_T0_E_clISt17integral_constantIbLb1EESZ_EEDaSU_SV_EUlSU_E_NS1_11comp_targetILNS1_3genE0ELNS1_11target_archE4294967295ELNS1_3gpuE0ELNS1_3repE0EEENS1_30default_config_static_selectorELNS0_4arch9wavefront6targetE1EEEvT1_,comdat
.Lfunc_end1012:
	.size	_ZN7rocprim17ROCPRIM_400000_NS6detail17trampoline_kernelINS0_14default_configENS1_27scan_by_key_config_selectorIxiEEZZNS1_16scan_by_key_implILNS1_25lookback_scan_determinismE0ELb1ES3_N6thrust23THRUST_200600_302600_NS6detail15normal_iteratorINS9_10device_ptrIxEEEESE_SE_iNS9_4plusIvEENS9_8equal_toIvEEiEE10hipError_tPvRmT2_T3_T4_T5_mT6_T7_P12ihipStream_tbENKUlT_T0_E_clISt17integral_constantIbLb1EESZ_EEDaSU_SV_EUlSU_E_NS1_11comp_targetILNS1_3genE0ELNS1_11target_archE4294967295ELNS1_3gpuE0ELNS1_3repE0EEENS1_30default_config_static_selectorELNS0_4arch9wavefront6targetE1EEEvT1_, .Lfunc_end1012-_ZN7rocprim17ROCPRIM_400000_NS6detail17trampoline_kernelINS0_14default_configENS1_27scan_by_key_config_selectorIxiEEZZNS1_16scan_by_key_implILNS1_25lookback_scan_determinismE0ELb1ES3_N6thrust23THRUST_200600_302600_NS6detail15normal_iteratorINS9_10device_ptrIxEEEESE_SE_iNS9_4plusIvEENS9_8equal_toIvEEiEE10hipError_tPvRmT2_T3_T4_T5_mT6_T7_P12ihipStream_tbENKUlT_T0_E_clISt17integral_constantIbLb1EESZ_EEDaSU_SV_EUlSU_E_NS1_11comp_targetILNS1_3genE0ELNS1_11target_archE4294967295ELNS1_3gpuE0ELNS1_3repE0EEENS1_30default_config_static_selectorELNS0_4arch9wavefront6targetE1EEEvT1_
                                        ; -- End function
	.section	.AMDGPU.csdata,"",@progbits
; Kernel info:
; codeLenInByte = 0
; NumSgprs: 4
; NumVgprs: 0
; NumAgprs: 0
; TotalNumVgprs: 0
; ScratchSize: 0
; MemoryBound: 0
; FloatMode: 240
; IeeeMode: 1
; LDSByteSize: 0 bytes/workgroup (compile time only)
; SGPRBlocks: 0
; VGPRBlocks: 0
; NumSGPRsForWavesPerEU: 4
; NumVGPRsForWavesPerEU: 1
; AccumOffset: 4
; Occupancy: 8
; WaveLimiterHint : 0
; COMPUTE_PGM_RSRC2:SCRATCH_EN: 0
; COMPUTE_PGM_RSRC2:USER_SGPR: 6
; COMPUTE_PGM_RSRC2:TRAP_HANDLER: 0
; COMPUTE_PGM_RSRC2:TGID_X_EN: 1
; COMPUTE_PGM_RSRC2:TGID_Y_EN: 0
; COMPUTE_PGM_RSRC2:TGID_Z_EN: 0
; COMPUTE_PGM_RSRC2:TIDIG_COMP_CNT: 0
; COMPUTE_PGM_RSRC3_GFX90A:ACCUM_OFFSET: 0
; COMPUTE_PGM_RSRC3_GFX90A:TG_SPLIT: 0
	.section	.text._ZN7rocprim17ROCPRIM_400000_NS6detail17trampoline_kernelINS0_14default_configENS1_27scan_by_key_config_selectorIxiEEZZNS1_16scan_by_key_implILNS1_25lookback_scan_determinismE0ELb1ES3_N6thrust23THRUST_200600_302600_NS6detail15normal_iteratorINS9_10device_ptrIxEEEESE_SE_iNS9_4plusIvEENS9_8equal_toIvEEiEE10hipError_tPvRmT2_T3_T4_T5_mT6_T7_P12ihipStream_tbENKUlT_T0_E_clISt17integral_constantIbLb1EESZ_EEDaSU_SV_EUlSU_E_NS1_11comp_targetILNS1_3genE10ELNS1_11target_archE1201ELNS1_3gpuE5ELNS1_3repE0EEENS1_30default_config_static_selectorELNS0_4arch9wavefront6targetE1EEEvT1_,"axG",@progbits,_ZN7rocprim17ROCPRIM_400000_NS6detail17trampoline_kernelINS0_14default_configENS1_27scan_by_key_config_selectorIxiEEZZNS1_16scan_by_key_implILNS1_25lookback_scan_determinismE0ELb1ES3_N6thrust23THRUST_200600_302600_NS6detail15normal_iteratorINS9_10device_ptrIxEEEESE_SE_iNS9_4plusIvEENS9_8equal_toIvEEiEE10hipError_tPvRmT2_T3_T4_T5_mT6_T7_P12ihipStream_tbENKUlT_T0_E_clISt17integral_constantIbLb1EESZ_EEDaSU_SV_EUlSU_E_NS1_11comp_targetILNS1_3genE10ELNS1_11target_archE1201ELNS1_3gpuE5ELNS1_3repE0EEENS1_30default_config_static_selectorELNS0_4arch9wavefront6targetE1EEEvT1_,comdat
	.protected	_ZN7rocprim17ROCPRIM_400000_NS6detail17trampoline_kernelINS0_14default_configENS1_27scan_by_key_config_selectorIxiEEZZNS1_16scan_by_key_implILNS1_25lookback_scan_determinismE0ELb1ES3_N6thrust23THRUST_200600_302600_NS6detail15normal_iteratorINS9_10device_ptrIxEEEESE_SE_iNS9_4plusIvEENS9_8equal_toIvEEiEE10hipError_tPvRmT2_T3_T4_T5_mT6_T7_P12ihipStream_tbENKUlT_T0_E_clISt17integral_constantIbLb1EESZ_EEDaSU_SV_EUlSU_E_NS1_11comp_targetILNS1_3genE10ELNS1_11target_archE1201ELNS1_3gpuE5ELNS1_3repE0EEENS1_30default_config_static_selectorELNS0_4arch9wavefront6targetE1EEEvT1_ ; -- Begin function _ZN7rocprim17ROCPRIM_400000_NS6detail17trampoline_kernelINS0_14default_configENS1_27scan_by_key_config_selectorIxiEEZZNS1_16scan_by_key_implILNS1_25lookback_scan_determinismE0ELb1ES3_N6thrust23THRUST_200600_302600_NS6detail15normal_iteratorINS9_10device_ptrIxEEEESE_SE_iNS9_4plusIvEENS9_8equal_toIvEEiEE10hipError_tPvRmT2_T3_T4_T5_mT6_T7_P12ihipStream_tbENKUlT_T0_E_clISt17integral_constantIbLb1EESZ_EEDaSU_SV_EUlSU_E_NS1_11comp_targetILNS1_3genE10ELNS1_11target_archE1201ELNS1_3gpuE5ELNS1_3repE0EEENS1_30default_config_static_selectorELNS0_4arch9wavefront6targetE1EEEvT1_
	.globl	_ZN7rocprim17ROCPRIM_400000_NS6detail17trampoline_kernelINS0_14default_configENS1_27scan_by_key_config_selectorIxiEEZZNS1_16scan_by_key_implILNS1_25lookback_scan_determinismE0ELb1ES3_N6thrust23THRUST_200600_302600_NS6detail15normal_iteratorINS9_10device_ptrIxEEEESE_SE_iNS9_4plusIvEENS9_8equal_toIvEEiEE10hipError_tPvRmT2_T3_T4_T5_mT6_T7_P12ihipStream_tbENKUlT_T0_E_clISt17integral_constantIbLb1EESZ_EEDaSU_SV_EUlSU_E_NS1_11comp_targetILNS1_3genE10ELNS1_11target_archE1201ELNS1_3gpuE5ELNS1_3repE0EEENS1_30default_config_static_selectorELNS0_4arch9wavefront6targetE1EEEvT1_
	.p2align	8
	.type	_ZN7rocprim17ROCPRIM_400000_NS6detail17trampoline_kernelINS0_14default_configENS1_27scan_by_key_config_selectorIxiEEZZNS1_16scan_by_key_implILNS1_25lookback_scan_determinismE0ELb1ES3_N6thrust23THRUST_200600_302600_NS6detail15normal_iteratorINS9_10device_ptrIxEEEESE_SE_iNS9_4plusIvEENS9_8equal_toIvEEiEE10hipError_tPvRmT2_T3_T4_T5_mT6_T7_P12ihipStream_tbENKUlT_T0_E_clISt17integral_constantIbLb1EESZ_EEDaSU_SV_EUlSU_E_NS1_11comp_targetILNS1_3genE10ELNS1_11target_archE1201ELNS1_3gpuE5ELNS1_3repE0EEENS1_30default_config_static_selectorELNS0_4arch9wavefront6targetE1EEEvT1_,@function
_ZN7rocprim17ROCPRIM_400000_NS6detail17trampoline_kernelINS0_14default_configENS1_27scan_by_key_config_selectorIxiEEZZNS1_16scan_by_key_implILNS1_25lookback_scan_determinismE0ELb1ES3_N6thrust23THRUST_200600_302600_NS6detail15normal_iteratorINS9_10device_ptrIxEEEESE_SE_iNS9_4plusIvEENS9_8equal_toIvEEiEE10hipError_tPvRmT2_T3_T4_T5_mT6_T7_P12ihipStream_tbENKUlT_T0_E_clISt17integral_constantIbLb1EESZ_EEDaSU_SV_EUlSU_E_NS1_11comp_targetILNS1_3genE10ELNS1_11target_archE1201ELNS1_3gpuE5ELNS1_3repE0EEENS1_30default_config_static_selectorELNS0_4arch9wavefront6targetE1EEEvT1_: ; @_ZN7rocprim17ROCPRIM_400000_NS6detail17trampoline_kernelINS0_14default_configENS1_27scan_by_key_config_selectorIxiEEZZNS1_16scan_by_key_implILNS1_25lookback_scan_determinismE0ELb1ES3_N6thrust23THRUST_200600_302600_NS6detail15normal_iteratorINS9_10device_ptrIxEEEESE_SE_iNS9_4plusIvEENS9_8equal_toIvEEiEE10hipError_tPvRmT2_T3_T4_T5_mT6_T7_P12ihipStream_tbENKUlT_T0_E_clISt17integral_constantIbLb1EESZ_EEDaSU_SV_EUlSU_E_NS1_11comp_targetILNS1_3genE10ELNS1_11target_archE1201ELNS1_3gpuE5ELNS1_3repE0EEENS1_30default_config_static_selectorELNS0_4arch9wavefront6targetE1EEEvT1_
; %bb.0:
	.section	.rodata,"a",@progbits
	.p2align	6, 0x0
	.amdhsa_kernel _ZN7rocprim17ROCPRIM_400000_NS6detail17trampoline_kernelINS0_14default_configENS1_27scan_by_key_config_selectorIxiEEZZNS1_16scan_by_key_implILNS1_25lookback_scan_determinismE0ELb1ES3_N6thrust23THRUST_200600_302600_NS6detail15normal_iteratorINS9_10device_ptrIxEEEESE_SE_iNS9_4plusIvEENS9_8equal_toIvEEiEE10hipError_tPvRmT2_T3_T4_T5_mT6_T7_P12ihipStream_tbENKUlT_T0_E_clISt17integral_constantIbLb1EESZ_EEDaSU_SV_EUlSU_E_NS1_11comp_targetILNS1_3genE10ELNS1_11target_archE1201ELNS1_3gpuE5ELNS1_3repE0EEENS1_30default_config_static_selectorELNS0_4arch9wavefront6targetE1EEEvT1_
		.amdhsa_group_segment_fixed_size 0
		.amdhsa_private_segment_fixed_size 0
		.amdhsa_kernarg_size 112
		.amdhsa_user_sgpr_count 6
		.amdhsa_user_sgpr_private_segment_buffer 1
		.amdhsa_user_sgpr_dispatch_ptr 0
		.amdhsa_user_sgpr_queue_ptr 0
		.amdhsa_user_sgpr_kernarg_segment_ptr 1
		.amdhsa_user_sgpr_dispatch_id 0
		.amdhsa_user_sgpr_flat_scratch_init 0
		.amdhsa_user_sgpr_kernarg_preload_length 0
		.amdhsa_user_sgpr_kernarg_preload_offset 0
		.amdhsa_user_sgpr_private_segment_size 0
		.amdhsa_uses_dynamic_stack 0
		.amdhsa_system_sgpr_private_segment_wavefront_offset 0
		.amdhsa_system_sgpr_workgroup_id_x 1
		.amdhsa_system_sgpr_workgroup_id_y 0
		.amdhsa_system_sgpr_workgroup_id_z 0
		.amdhsa_system_sgpr_workgroup_info 0
		.amdhsa_system_vgpr_workitem_id 0
		.amdhsa_next_free_vgpr 1
		.amdhsa_next_free_sgpr 0
		.amdhsa_accum_offset 4
		.amdhsa_reserve_vcc 0
		.amdhsa_reserve_flat_scratch 0
		.amdhsa_float_round_mode_32 0
		.amdhsa_float_round_mode_16_64 0
		.amdhsa_float_denorm_mode_32 3
		.amdhsa_float_denorm_mode_16_64 3
		.amdhsa_dx10_clamp 1
		.amdhsa_ieee_mode 1
		.amdhsa_fp16_overflow 0
		.amdhsa_tg_split 0
		.amdhsa_exception_fp_ieee_invalid_op 0
		.amdhsa_exception_fp_denorm_src 0
		.amdhsa_exception_fp_ieee_div_zero 0
		.amdhsa_exception_fp_ieee_overflow 0
		.amdhsa_exception_fp_ieee_underflow 0
		.amdhsa_exception_fp_ieee_inexact 0
		.amdhsa_exception_int_div_zero 0
	.end_amdhsa_kernel
	.section	.text._ZN7rocprim17ROCPRIM_400000_NS6detail17trampoline_kernelINS0_14default_configENS1_27scan_by_key_config_selectorIxiEEZZNS1_16scan_by_key_implILNS1_25lookback_scan_determinismE0ELb1ES3_N6thrust23THRUST_200600_302600_NS6detail15normal_iteratorINS9_10device_ptrIxEEEESE_SE_iNS9_4plusIvEENS9_8equal_toIvEEiEE10hipError_tPvRmT2_T3_T4_T5_mT6_T7_P12ihipStream_tbENKUlT_T0_E_clISt17integral_constantIbLb1EESZ_EEDaSU_SV_EUlSU_E_NS1_11comp_targetILNS1_3genE10ELNS1_11target_archE1201ELNS1_3gpuE5ELNS1_3repE0EEENS1_30default_config_static_selectorELNS0_4arch9wavefront6targetE1EEEvT1_,"axG",@progbits,_ZN7rocprim17ROCPRIM_400000_NS6detail17trampoline_kernelINS0_14default_configENS1_27scan_by_key_config_selectorIxiEEZZNS1_16scan_by_key_implILNS1_25lookback_scan_determinismE0ELb1ES3_N6thrust23THRUST_200600_302600_NS6detail15normal_iteratorINS9_10device_ptrIxEEEESE_SE_iNS9_4plusIvEENS9_8equal_toIvEEiEE10hipError_tPvRmT2_T3_T4_T5_mT6_T7_P12ihipStream_tbENKUlT_T0_E_clISt17integral_constantIbLb1EESZ_EEDaSU_SV_EUlSU_E_NS1_11comp_targetILNS1_3genE10ELNS1_11target_archE1201ELNS1_3gpuE5ELNS1_3repE0EEENS1_30default_config_static_selectorELNS0_4arch9wavefront6targetE1EEEvT1_,comdat
.Lfunc_end1013:
	.size	_ZN7rocprim17ROCPRIM_400000_NS6detail17trampoline_kernelINS0_14default_configENS1_27scan_by_key_config_selectorIxiEEZZNS1_16scan_by_key_implILNS1_25lookback_scan_determinismE0ELb1ES3_N6thrust23THRUST_200600_302600_NS6detail15normal_iteratorINS9_10device_ptrIxEEEESE_SE_iNS9_4plusIvEENS9_8equal_toIvEEiEE10hipError_tPvRmT2_T3_T4_T5_mT6_T7_P12ihipStream_tbENKUlT_T0_E_clISt17integral_constantIbLb1EESZ_EEDaSU_SV_EUlSU_E_NS1_11comp_targetILNS1_3genE10ELNS1_11target_archE1201ELNS1_3gpuE5ELNS1_3repE0EEENS1_30default_config_static_selectorELNS0_4arch9wavefront6targetE1EEEvT1_, .Lfunc_end1013-_ZN7rocprim17ROCPRIM_400000_NS6detail17trampoline_kernelINS0_14default_configENS1_27scan_by_key_config_selectorIxiEEZZNS1_16scan_by_key_implILNS1_25lookback_scan_determinismE0ELb1ES3_N6thrust23THRUST_200600_302600_NS6detail15normal_iteratorINS9_10device_ptrIxEEEESE_SE_iNS9_4plusIvEENS9_8equal_toIvEEiEE10hipError_tPvRmT2_T3_T4_T5_mT6_T7_P12ihipStream_tbENKUlT_T0_E_clISt17integral_constantIbLb1EESZ_EEDaSU_SV_EUlSU_E_NS1_11comp_targetILNS1_3genE10ELNS1_11target_archE1201ELNS1_3gpuE5ELNS1_3repE0EEENS1_30default_config_static_selectorELNS0_4arch9wavefront6targetE1EEEvT1_
                                        ; -- End function
	.section	.AMDGPU.csdata,"",@progbits
; Kernel info:
; codeLenInByte = 0
; NumSgprs: 4
; NumVgprs: 0
; NumAgprs: 0
; TotalNumVgprs: 0
; ScratchSize: 0
; MemoryBound: 0
; FloatMode: 240
; IeeeMode: 1
; LDSByteSize: 0 bytes/workgroup (compile time only)
; SGPRBlocks: 0
; VGPRBlocks: 0
; NumSGPRsForWavesPerEU: 4
; NumVGPRsForWavesPerEU: 1
; AccumOffset: 4
; Occupancy: 8
; WaveLimiterHint : 0
; COMPUTE_PGM_RSRC2:SCRATCH_EN: 0
; COMPUTE_PGM_RSRC2:USER_SGPR: 6
; COMPUTE_PGM_RSRC2:TRAP_HANDLER: 0
; COMPUTE_PGM_RSRC2:TGID_X_EN: 1
; COMPUTE_PGM_RSRC2:TGID_Y_EN: 0
; COMPUTE_PGM_RSRC2:TGID_Z_EN: 0
; COMPUTE_PGM_RSRC2:TIDIG_COMP_CNT: 0
; COMPUTE_PGM_RSRC3_GFX90A:ACCUM_OFFSET: 0
; COMPUTE_PGM_RSRC3_GFX90A:TG_SPLIT: 0
	.section	.text._ZN7rocprim17ROCPRIM_400000_NS6detail17trampoline_kernelINS0_14default_configENS1_27scan_by_key_config_selectorIxiEEZZNS1_16scan_by_key_implILNS1_25lookback_scan_determinismE0ELb1ES3_N6thrust23THRUST_200600_302600_NS6detail15normal_iteratorINS9_10device_ptrIxEEEESE_SE_iNS9_4plusIvEENS9_8equal_toIvEEiEE10hipError_tPvRmT2_T3_T4_T5_mT6_T7_P12ihipStream_tbENKUlT_T0_E_clISt17integral_constantIbLb1EESZ_EEDaSU_SV_EUlSU_E_NS1_11comp_targetILNS1_3genE5ELNS1_11target_archE942ELNS1_3gpuE9ELNS1_3repE0EEENS1_30default_config_static_selectorELNS0_4arch9wavefront6targetE1EEEvT1_,"axG",@progbits,_ZN7rocprim17ROCPRIM_400000_NS6detail17trampoline_kernelINS0_14default_configENS1_27scan_by_key_config_selectorIxiEEZZNS1_16scan_by_key_implILNS1_25lookback_scan_determinismE0ELb1ES3_N6thrust23THRUST_200600_302600_NS6detail15normal_iteratorINS9_10device_ptrIxEEEESE_SE_iNS9_4plusIvEENS9_8equal_toIvEEiEE10hipError_tPvRmT2_T3_T4_T5_mT6_T7_P12ihipStream_tbENKUlT_T0_E_clISt17integral_constantIbLb1EESZ_EEDaSU_SV_EUlSU_E_NS1_11comp_targetILNS1_3genE5ELNS1_11target_archE942ELNS1_3gpuE9ELNS1_3repE0EEENS1_30default_config_static_selectorELNS0_4arch9wavefront6targetE1EEEvT1_,comdat
	.protected	_ZN7rocprim17ROCPRIM_400000_NS6detail17trampoline_kernelINS0_14default_configENS1_27scan_by_key_config_selectorIxiEEZZNS1_16scan_by_key_implILNS1_25lookback_scan_determinismE0ELb1ES3_N6thrust23THRUST_200600_302600_NS6detail15normal_iteratorINS9_10device_ptrIxEEEESE_SE_iNS9_4plusIvEENS9_8equal_toIvEEiEE10hipError_tPvRmT2_T3_T4_T5_mT6_T7_P12ihipStream_tbENKUlT_T0_E_clISt17integral_constantIbLb1EESZ_EEDaSU_SV_EUlSU_E_NS1_11comp_targetILNS1_3genE5ELNS1_11target_archE942ELNS1_3gpuE9ELNS1_3repE0EEENS1_30default_config_static_selectorELNS0_4arch9wavefront6targetE1EEEvT1_ ; -- Begin function _ZN7rocprim17ROCPRIM_400000_NS6detail17trampoline_kernelINS0_14default_configENS1_27scan_by_key_config_selectorIxiEEZZNS1_16scan_by_key_implILNS1_25lookback_scan_determinismE0ELb1ES3_N6thrust23THRUST_200600_302600_NS6detail15normal_iteratorINS9_10device_ptrIxEEEESE_SE_iNS9_4plusIvEENS9_8equal_toIvEEiEE10hipError_tPvRmT2_T3_T4_T5_mT6_T7_P12ihipStream_tbENKUlT_T0_E_clISt17integral_constantIbLb1EESZ_EEDaSU_SV_EUlSU_E_NS1_11comp_targetILNS1_3genE5ELNS1_11target_archE942ELNS1_3gpuE9ELNS1_3repE0EEENS1_30default_config_static_selectorELNS0_4arch9wavefront6targetE1EEEvT1_
	.globl	_ZN7rocprim17ROCPRIM_400000_NS6detail17trampoline_kernelINS0_14default_configENS1_27scan_by_key_config_selectorIxiEEZZNS1_16scan_by_key_implILNS1_25lookback_scan_determinismE0ELb1ES3_N6thrust23THRUST_200600_302600_NS6detail15normal_iteratorINS9_10device_ptrIxEEEESE_SE_iNS9_4plusIvEENS9_8equal_toIvEEiEE10hipError_tPvRmT2_T3_T4_T5_mT6_T7_P12ihipStream_tbENKUlT_T0_E_clISt17integral_constantIbLb1EESZ_EEDaSU_SV_EUlSU_E_NS1_11comp_targetILNS1_3genE5ELNS1_11target_archE942ELNS1_3gpuE9ELNS1_3repE0EEENS1_30default_config_static_selectorELNS0_4arch9wavefront6targetE1EEEvT1_
	.p2align	8
	.type	_ZN7rocprim17ROCPRIM_400000_NS6detail17trampoline_kernelINS0_14default_configENS1_27scan_by_key_config_selectorIxiEEZZNS1_16scan_by_key_implILNS1_25lookback_scan_determinismE0ELb1ES3_N6thrust23THRUST_200600_302600_NS6detail15normal_iteratorINS9_10device_ptrIxEEEESE_SE_iNS9_4plusIvEENS9_8equal_toIvEEiEE10hipError_tPvRmT2_T3_T4_T5_mT6_T7_P12ihipStream_tbENKUlT_T0_E_clISt17integral_constantIbLb1EESZ_EEDaSU_SV_EUlSU_E_NS1_11comp_targetILNS1_3genE5ELNS1_11target_archE942ELNS1_3gpuE9ELNS1_3repE0EEENS1_30default_config_static_selectorELNS0_4arch9wavefront6targetE1EEEvT1_,@function
_ZN7rocprim17ROCPRIM_400000_NS6detail17trampoline_kernelINS0_14default_configENS1_27scan_by_key_config_selectorIxiEEZZNS1_16scan_by_key_implILNS1_25lookback_scan_determinismE0ELb1ES3_N6thrust23THRUST_200600_302600_NS6detail15normal_iteratorINS9_10device_ptrIxEEEESE_SE_iNS9_4plusIvEENS9_8equal_toIvEEiEE10hipError_tPvRmT2_T3_T4_T5_mT6_T7_P12ihipStream_tbENKUlT_T0_E_clISt17integral_constantIbLb1EESZ_EEDaSU_SV_EUlSU_E_NS1_11comp_targetILNS1_3genE5ELNS1_11target_archE942ELNS1_3gpuE9ELNS1_3repE0EEENS1_30default_config_static_selectorELNS0_4arch9wavefront6targetE1EEEvT1_: ; @_ZN7rocprim17ROCPRIM_400000_NS6detail17trampoline_kernelINS0_14default_configENS1_27scan_by_key_config_selectorIxiEEZZNS1_16scan_by_key_implILNS1_25lookback_scan_determinismE0ELb1ES3_N6thrust23THRUST_200600_302600_NS6detail15normal_iteratorINS9_10device_ptrIxEEEESE_SE_iNS9_4plusIvEENS9_8equal_toIvEEiEE10hipError_tPvRmT2_T3_T4_T5_mT6_T7_P12ihipStream_tbENKUlT_T0_E_clISt17integral_constantIbLb1EESZ_EEDaSU_SV_EUlSU_E_NS1_11comp_targetILNS1_3genE5ELNS1_11target_archE942ELNS1_3gpuE9ELNS1_3repE0EEENS1_30default_config_static_selectorELNS0_4arch9wavefront6targetE1EEEvT1_
; %bb.0:
	.section	.rodata,"a",@progbits
	.p2align	6, 0x0
	.amdhsa_kernel _ZN7rocprim17ROCPRIM_400000_NS6detail17trampoline_kernelINS0_14default_configENS1_27scan_by_key_config_selectorIxiEEZZNS1_16scan_by_key_implILNS1_25lookback_scan_determinismE0ELb1ES3_N6thrust23THRUST_200600_302600_NS6detail15normal_iteratorINS9_10device_ptrIxEEEESE_SE_iNS9_4plusIvEENS9_8equal_toIvEEiEE10hipError_tPvRmT2_T3_T4_T5_mT6_T7_P12ihipStream_tbENKUlT_T0_E_clISt17integral_constantIbLb1EESZ_EEDaSU_SV_EUlSU_E_NS1_11comp_targetILNS1_3genE5ELNS1_11target_archE942ELNS1_3gpuE9ELNS1_3repE0EEENS1_30default_config_static_selectorELNS0_4arch9wavefront6targetE1EEEvT1_
		.amdhsa_group_segment_fixed_size 0
		.amdhsa_private_segment_fixed_size 0
		.amdhsa_kernarg_size 112
		.amdhsa_user_sgpr_count 6
		.amdhsa_user_sgpr_private_segment_buffer 1
		.amdhsa_user_sgpr_dispatch_ptr 0
		.amdhsa_user_sgpr_queue_ptr 0
		.amdhsa_user_sgpr_kernarg_segment_ptr 1
		.amdhsa_user_sgpr_dispatch_id 0
		.amdhsa_user_sgpr_flat_scratch_init 0
		.amdhsa_user_sgpr_kernarg_preload_length 0
		.amdhsa_user_sgpr_kernarg_preload_offset 0
		.amdhsa_user_sgpr_private_segment_size 0
		.amdhsa_uses_dynamic_stack 0
		.amdhsa_system_sgpr_private_segment_wavefront_offset 0
		.amdhsa_system_sgpr_workgroup_id_x 1
		.amdhsa_system_sgpr_workgroup_id_y 0
		.amdhsa_system_sgpr_workgroup_id_z 0
		.amdhsa_system_sgpr_workgroup_info 0
		.amdhsa_system_vgpr_workitem_id 0
		.amdhsa_next_free_vgpr 1
		.amdhsa_next_free_sgpr 0
		.amdhsa_accum_offset 4
		.amdhsa_reserve_vcc 0
		.amdhsa_reserve_flat_scratch 0
		.amdhsa_float_round_mode_32 0
		.amdhsa_float_round_mode_16_64 0
		.amdhsa_float_denorm_mode_32 3
		.amdhsa_float_denorm_mode_16_64 3
		.amdhsa_dx10_clamp 1
		.amdhsa_ieee_mode 1
		.amdhsa_fp16_overflow 0
		.amdhsa_tg_split 0
		.amdhsa_exception_fp_ieee_invalid_op 0
		.amdhsa_exception_fp_denorm_src 0
		.amdhsa_exception_fp_ieee_div_zero 0
		.amdhsa_exception_fp_ieee_overflow 0
		.amdhsa_exception_fp_ieee_underflow 0
		.amdhsa_exception_fp_ieee_inexact 0
		.amdhsa_exception_int_div_zero 0
	.end_amdhsa_kernel
	.section	.text._ZN7rocprim17ROCPRIM_400000_NS6detail17trampoline_kernelINS0_14default_configENS1_27scan_by_key_config_selectorIxiEEZZNS1_16scan_by_key_implILNS1_25lookback_scan_determinismE0ELb1ES3_N6thrust23THRUST_200600_302600_NS6detail15normal_iteratorINS9_10device_ptrIxEEEESE_SE_iNS9_4plusIvEENS9_8equal_toIvEEiEE10hipError_tPvRmT2_T3_T4_T5_mT6_T7_P12ihipStream_tbENKUlT_T0_E_clISt17integral_constantIbLb1EESZ_EEDaSU_SV_EUlSU_E_NS1_11comp_targetILNS1_3genE5ELNS1_11target_archE942ELNS1_3gpuE9ELNS1_3repE0EEENS1_30default_config_static_selectorELNS0_4arch9wavefront6targetE1EEEvT1_,"axG",@progbits,_ZN7rocprim17ROCPRIM_400000_NS6detail17trampoline_kernelINS0_14default_configENS1_27scan_by_key_config_selectorIxiEEZZNS1_16scan_by_key_implILNS1_25lookback_scan_determinismE0ELb1ES3_N6thrust23THRUST_200600_302600_NS6detail15normal_iteratorINS9_10device_ptrIxEEEESE_SE_iNS9_4plusIvEENS9_8equal_toIvEEiEE10hipError_tPvRmT2_T3_T4_T5_mT6_T7_P12ihipStream_tbENKUlT_T0_E_clISt17integral_constantIbLb1EESZ_EEDaSU_SV_EUlSU_E_NS1_11comp_targetILNS1_3genE5ELNS1_11target_archE942ELNS1_3gpuE9ELNS1_3repE0EEENS1_30default_config_static_selectorELNS0_4arch9wavefront6targetE1EEEvT1_,comdat
.Lfunc_end1014:
	.size	_ZN7rocprim17ROCPRIM_400000_NS6detail17trampoline_kernelINS0_14default_configENS1_27scan_by_key_config_selectorIxiEEZZNS1_16scan_by_key_implILNS1_25lookback_scan_determinismE0ELb1ES3_N6thrust23THRUST_200600_302600_NS6detail15normal_iteratorINS9_10device_ptrIxEEEESE_SE_iNS9_4plusIvEENS9_8equal_toIvEEiEE10hipError_tPvRmT2_T3_T4_T5_mT6_T7_P12ihipStream_tbENKUlT_T0_E_clISt17integral_constantIbLb1EESZ_EEDaSU_SV_EUlSU_E_NS1_11comp_targetILNS1_3genE5ELNS1_11target_archE942ELNS1_3gpuE9ELNS1_3repE0EEENS1_30default_config_static_selectorELNS0_4arch9wavefront6targetE1EEEvT1_, .Lfunc_end1014-_ZN7rocprim17ROCPRIM_400000_NS6detail17trampoline_kernelINS0_14default_configENS1_27scan_by_key_config_selectorIxiEEZZNS1_16scan_by_key_implILNS1_25lookback_scan_determinismE0ELb1ES3_N6thrust23THRUST_200600_302600_NS6detail15normal_iteratorINS9_10device_ptrIxEEEESE_SE_iNS9_4plusIvEENS9_8equal_toIvEEiEE10hipError_tPvRmT2_T3_T4_T5_mT6_T7_P12ihipStream_tbENKUlT_T0_E_clISt17integral_constantIbLb1EESZ_EEDaSU_SV_EUlSU_E_NS1_11comp_targetILNS1_3genE5ELNS1_11target_archE942ELNS1_3gpuE9ELNS1_3repE0EEENS1_30default_config_static_selectorELNS0_4arch9wavefront6targetE1EEEvT1_
                                        ; -- End function
	.section	.AMDGPU.csdata,"",@progbits
; Kernel info:
; codeLenInByte = 0
; NumSgprs: 4
; NumVgprs: 0
; NumAgprs: 0
; TotalNumVgprs: 0
; ScratchSize: 0
; MemoryBound: 0
; FloatMode: 240
; IeeeMode: 1
; LDSByteSize: 0 bytes/workgroup (compile time only)
; SGPRBlocks: 0
; VGPRBlocks: 0
; NumSGPRsForWavesPerEU: 4
; NumVGPRsForWavesPerEU: 1
; AccumOffset: 4
; Occupancy: 8
; WaveLimiterHint : 0
; COMPUTE_PGM_RSRC2:SCRATCH_EN: 0
; COMPUTE_PGM_RSRC2:USER_SGPR: 6
; COMPUTE_PGM_RSRC2:TRAP_HANDLER: 0
; COMPUTE_PGM_RSRC2:TGID_X_EN: 1
; COMPUTE_PGM_RSRC2:TGID_Y_EN: 0
; COMPUTE_PGM_RSRC2:TGID_Z_EN: 0
; COMPUTE_PGM_RSRC2:TIDIG_COMP_CNT: 0
; COMPUTE_PGM_RSRC3_GFX90A:ACCUM_OFFSET: 0
; COMPUTE_PGM_RSRC3_GFX90A:TG_SPLIT: 0
	.section	.text._ZN7rocprim17ROCPRIM_400000_NS6detail17trampoline_kernelINS0_14default_configENS1_27scan_by_key_config_selectorIxiEEZZNS1_16scan_by_key_implILNS1_25lookback_scan_determinismE0ELb1ES3_N6thrust23THRUST_200600_302600_NS6detail15normal_iteratorINS9_10device_ptrIxEEEESE_SE_iNS9_4plusIvEENS9_8equal_toIvEEiEE10hipError_tPvRmT2_T3_T4_T5_mT6_T7_P12ihipStream_tbENKUlT_T0_E_clISt17integral_constantIbLb1EESZ_EEDaSU_SV_EUlSU_E_NS1_11comp_targetILNS1_3genE4ELNS1_11target_archE910ELNS1_3gpuE8ELNS1_3repE0EEENS1_30default_config_static_selectorELNS0_4arch9wavefront6targetE1EEEvT1_,"axG",@progbits,_ZN7rocprim17ROCPRIM_400000_NS6detail17trampoline_kernelINS0_14default_configENS1_27scan_by_key_config_selectorIxiEEZZNS1_16scan_by_key_implILNS1_25lookback_scan_determinismE0ELb1ES3_N6thrust23THRUST_200600_302600_NS6detail15normal_iteratorINS9_10device_ptrIxEEEESE_SE_iNS9_4plusIvEENS9_8equal_toIvEEiEE10hipError_tPvRmT2_T3_T4_T5_mT6_T7_P12ihipStream_tbENKUlT_T0_E_clISt17integral_constantIbLb1EESZ_EEDaSU_SV_EUlSU_E_NS1_11comp_targetILNS1_3genE4ELNS1_11target_archE910ELNS1_3gpuE8ELNS1_3repE0EEENS1_30default_config_static_selectorELNS0_4arch9wavefront6targetE1EEEvT1_,comdat
	.protected	_ZN7rocprim17ROCPRIM_400000_NS6detail17trampoline_kernelINS0_14default_configENS1_27scan_by_key_config_selectorIxiEEZZNS1_16scan_by_key_implILNS1_25lookback_scan_determinismE0ELb1ES3_N6thrust23THRUST_200600_302600_NS6detail15normal_iteratorINS9_10device_ptrIxEEEESE_SE_iNS9_4plusIvEENS9_8equal_toIvEEiEE10hipError_tPvRmT2_T3_T4_T5_mT6_T7_P12ihipStream_tbENKUlT_T0_E_clISt17integral_constantIbLb1EESZ_EEDaSU_SV_EUlSU_E_NS1_11comp_targetILNS1_3genE4ELNS1_11target_archE910ELNS1_3gpuE8ELNS1_3repE0EEENS1_30default_config_static_selectorELNS0_4arch9wavefront6targetE1EEEvT1_ ; -- Begin function _ZN7rocprim17ROCPRIM_400000_NS6detail17trampoline_kernelINS0_14default_configENS1_27scan_by_key_config_selectorIxiEEZZNS1_16scan_by_key_implILNS1_25lookback_scan_determinismE0ELb1ES3_N6thrust23THRUST_200600_302600_NS6detail15normal_iteratorINS9_10device_ptrIxEEEESE_SE_iNS9_4plusIvEENS9_8equal_toIvEEiEE10hipError_tPvRmT2_T3_T4_T5_mT6_T7_P12ihipStream_tbENKUlT_T0_E_clISt17integral_constantIbLb1EESZ_EEDaSU_SV_EUlSU_E_NS1_11comp_targetILNS1_3genE4ELNS1_11target_archE910ELNS1_3gpuE8ELNS1_3repE0EEENS1_30default_config_static_selectorELNS0_4arch9wavefront6targetE1EEEvT1_
	.globl	_ZN7rocprim17ROCPRIM_400000_NS6detail17trampoline_kernelINS0_14default_configENS1_27scan_by_key_config_selectorIxiEEZZNS1_16scan_by_key_implILNS1_25lookback_scan_determinismE0ELb1ES3_N6thrust23THRUST_200600_302600_NS6detail15normal_iteratorINS9_10device_ptrIxEEEESE_SE_iNS9_4plusIvEENS9_8equal_toIvEEiEE10hipError_tPvRmT2_T3_T4_T5_mT6_T7_P12ihipStream_tbENKUlT_T0_E_clISt17integral_constantIbLb1EESZ_EEDaSU_SV_EUlSU_E_NS1_11comp_targetILNS1_3genE4ELNS1_11target_archE910ELNS1_3gpuE8ELNS1_3repE0EEENS1_30default_config_static_selectorELNS0_4arch9wavefront6targetE1EEEvT1_
	.p2align	8
	.type	_ZN7rocprim17ROCPRIM_400000_NS6detail17trampoline_kernelINS0_14default_configENS1_27scan_by_key_config_selectorIxiEEZZNS1_16scan_by_key_implILNS1_25lookback_scan_determinismE0ELb1ES3_N6thrust23THRUST_200600_302600_NS6detail15normal_iteratorINS9_10device_ptrIxEEEESE_SE_iNS9_4plusIvEENS9_8equal_toIvEEiEE10hipError_tPvRmT2_T3_T4_T5_mT6_T7_P12ihipStream_tbENKUlT_T0_E_clISt17integral_constantIbLb1EESZ_EEDaSU_SV_EUlSU_E_NS1_11comp_targetILNS1_3genE4ELNS1_11target_archE910ELNS1_3gpuE8ELNS1_3repE0EEENS1_30default_config_static_selectorELNS0_4arch9wavefront6targetE1EEEvT1_,@function
_ZN7rocprim17ROCPRIM_400000_NS6detail17trampoline_kernelINS0_14default_configENS1_27scan_by_key_config_selectorIxiEEZZNS1_16scan_by_key_implILNS1_25lookback_scan_determinismE0ELb1ES3_N6thrust23THRUST_200600_302600_NS6detail15normal_iteratorINS9_10device_ptrIxEEEESE_SE_iNS9_4plusIvEENS9_8equal_toIvEEiEE10hipError_tPvRmT2_T3_T4_T5_mT6_T7_P12ihipStream_tbENKUlT_T0_E_clISt17integral_constantIbLb1EESZ_EEDaSU_SV_EUlSU_E_NS1_11comp_targetILNS1_3genE4ELNS1_11target_archE910ELNS1_3gpuE8ELNS1_3repE0EEENS1_30default_config_static_selectorELNS0_4arch9wavefront6targetE1EEEvT1_: ; @_ZN7rocprim17ROCPRIM_400000_NS6detail17trampoline_kernelINS0_14default_configENS1_27scan_by_key_config_selectorIxiEEZZNS1_16scan_by_key_implILNS1_25lookback_scan_determinismE0ELb1ES3_N6thrust23THRUST_200600_302600_NS6detail15normal_iteratorINS9_10device_ptrIxEEEESE_SE_iNS9_4plusIvEENS9_8equal_toIvEEiEE10hipError_tPvRmT2_T3_T4_T5_mT6_T7_P12ihipStream_tbENKUlT_T0_E_clISt17integral_constantIbLb1EESZ_EEDaSU_SV_EUlSU_E_NS1_11comp_targetILNS1_3genE4ELNS1_11target_archE910ELNS1_3gpuE8ELNS1_3repE0EEENS1_30default_config_static_selectorELNS0_4arch9wavefront6targetE1EEEvT1_
; %bb.0:
	s_load_dword s54, s[4:5], 0x20
	s_load_dwordx4 s[44:47], s[4:5], 0x28
	s_load_dwordx2 s[52:53], s[4:5], 0x38
	v_cmp_eq_u32_e64 s[0:1], 0, v0
	s_and_saveexec_b64 s[2:3], s[0:1]
	s_cbranch_execz .LBB1015_4
; %bb.1:
	s_mov_b64 s[8:9], exec
	v_mbcnt_lo_u32_b32 v1, s8, 0
	v_mbcnt_hi_u32_b32 v1, s9, v1
	v_cmp_eq_u32_e32 vcc, 0, v1
                                        ; implicit-def: $vgpr2
	s_and_saveexec_b64 s[6:7], vcc
	s_cbranch_execz .LBB1015_3
; %bb.2:
	s_load_dwordx2 s[10:11], s[4:5], 0x68
	s_bcnt1_i32_b64 s8, s[8:9]
	v_mov_b32_e32 v2, 0
	v_mov_b32_e32 v3, s8
	s_waitcnt lgkmcnt(0)
	global_atomic_add v2, v2, v3, s[10:11] glc
.LBB1015_3:
	s_or_b64 exec, exec, s[6:7]
	s_waitcnt vmcnt(0)
	v_readfirstlane_b32 s6, v2
	v_add_u32_e32 v1, s6, v1
	v_mov_b32_e32 v2, 0
	ds_write_b32 v2, v1
.LBB1015_4:
	s_or_b64 exec, exec, s[2:3]
	s_load_dwordx8 s[36:43], s[4:5], 0x0
	s_load_dword s2, s[4:5], 0x40
	s_load_dwordx4 s[48:51], s[4:5], 0x48
	v_mov_b32_e32 v3, 0
	s_waitcnt lgkmcnt(0)
	s_lshl_b64 s[34:35], s[38:39], 3
	s_barrier
	ds_read_b32 v4, v3
	s_add_u32 s3, s36, s34
	s_addc_u32 s4, s37, s35
	s_add_u32 s5, s40, s34
	s_mul_i32 s7, s53, s2
	s_mul_hi_u32 s8, s52, s2
	s_addc_u32 s6, s41, s35
	s_add_i32 s7, s8, s7
	s_movk_i32 s8, 0xe00
	s_waitcnt lgkmcnt(0)
	v_mul_lo_u32 v2, v4, s8
	v_lshlrev_b64 v[54:55], 3, v[2:3]
	v_mov_b32_e32 v1, s4
	v_add_co_u32_e32 v58, vcc, s3, v54
	v_addc_co_u32_e32 v59, vcc, v1, v55, vcc
	v_mov_b32_e32 v2, s6
	v_add_co_u32_e32 v1, vcc, s5, v54
	s_mul_i32 s2, s52, s2
	v_addc_co_u32_e32 v63, vcc, v2, v55, vcc
	v_mov_b32_e32 v3, s7
	v_add_co_u32_e32 v2, vcc, s2, v4
	s_add_u32 s4, s48, -1
	v_addc_co_u32_e32 v3, vcc, 0, v3, vcc
	s_addc_u32 s5, s49, -1
	v_cmp_le_u64_e64 s[2:3], s[4:5], v[2:3]
	v_readfirstlane_b32 s47, v4
	s_mov_b64 s[12:13], -1
	s_and_b64 vcc, exec, s[2:3]
	s_mul_i32 s33, s4, 0xfffff200
	s_barrier
	s_barrier
	s_cbranch_vccz .LBB1015_80
; %bb.5:
	flat_load_dwordx2 v[2:3], v[58:59]
	s_add_i32 s40, s33, s46
	v_cmp_gt_u32_e32 vcc, s40, v0
	s_waitcnt vmcnt(0) lgkmcnt(0)
	v_pk_mov_b32 v[4:5], v[2:3], v[2:3] op_sel:[0,1]
	s_and_saveexec_b64 s[6:7], vcc
	s_cbranch_execz .LBB1015_7
; %bb.6:
	v_lshlrev_b32_e32 v4, 3, v0
	v_add_co_u32_e64 v4, s[4:5], v58, v4
	v_addc_co_u32_e64 v5, s[4:5], 0, v59, s[4:5]
	flat_load_dwordx2 v[4:5], v[4:5]
.LBB1015_7:
	s_or_b64 exec, exec, s[6:7]
	v_or_b32_e32 v6, 0x100, v0
	v_cmp_gt_u32_e64 s[4:5], s40, v6
	v_pk_mov_b32 v[6:7], v[2:3], v[2:3] op_sel:[0,1]
	s_and_saveexec_b64 s[8:9], s[4:5]
	s_cbranch_execz .LBB1015_9
; %bb.8:
	v_lshlrev_b32_e32 v6, 3, v0
	v_add_co_u32_e64 v6, s[6:7], v58, v6
	v_addc_co_u32_e64 v7, s[6:7], 0, v59, s[6:7]
	flat_load_dwordx2 v[6:7], v[6:7] offset:2048
.LBB1015_9:
	s_or_b64 exec, exec, s[8:9]
	v_or_b32_e32 v56, 0x200, v0
	v_cmp_gt_u32_e64 s[6:7], s40, v56
	v_pk_mov_b32 v[8:9], v[2:3], v[2:3] op_sel:[0,1]
	s_and_saveexec_b64 s[10:11], s[6:7]
	s_cbranch_execz .LBB1015_11
; %bb.10:
	v_lshlrev_b32_e32 v8, 3, v56
	v_add_co_u32_e64 v8, s[8:9], v58, v8
	v_addc_co_u32_e64 v9, s[8:9], 0, v59, s[8:9]
	flat_load_dwordx2 v[8:9], v[8:9]
.LBB1015_11:
	s_or_b64 exec, exec, s[10:11]
	v_or_b32_e32 v57, 0x300, v0
	v_cmp_gt_u32_e64 s[8:9], s40, v57
	v_pk_mov_b32 v[10:11], v[2:3], v[2:3] op_sel:[0,1]
	s_and_saveexec_b64 s[12:13], s[8:9]
	s_cbranch_execz .LBB1015_13
; %bb.12:
	v_lshlrev_b32_e32 v10, 3, v57
	v_add_co_u32_e64 v10, s[10:11], v58, v10
	v_addc_co_u32_e64 v11, s[10:11], 0, v59, s[10:11]
	flat_load_dwordx2 v[10:11], v[10:11]
.LBB1015_13:
	;; [unrolled: 12-line block ×11, first 2 shown]
	s_or_b64 exec, exec, s[30:31]
	v_or_b32_e32 v72, 0xd00, v0
	v_cmp_gt_u32_e64 s[28:29], s40, v72
	s_and_saveexec_b64 s[36:37], s[28:29]
	s_cbranch_execz .LBB1015_33
; %bb.32:
	v_lshlrev_b32_e32 v2, 3, v72
	v_add_co_u32_e64 v2, s[30:31], v58, v2
	v_addc_co_u32_e64 v3, s[30:31], 0, v59, s[30:31]
	flat_load_dwordx2 v[2:3], v[2:3]
.LBB1015_33:
	s_or_b64 exec, exec, s[36:37]
	v_lshlrev_b32_e32 v73, 3, v0
	s_waitcnt vmcnt(0) lgkmcnt(0)
	ds_write2st64_b64 v73, v[4:5], v[6:7] offset1:4
	ds_write2st64_b64 v73, v[8:9], v[10:11] offset0:8 offset1:12
	ds_write2st64_b64 v73, v[12:13], v[14:15] offset0:16 offset1:20
	;; [unrolled: 1-line block ×6, first 2 shown]
	s_waitcnt lgkmcnt(0)
	s_barrier
	flat_load_dwordx2 v[60:61], v[58:59]
	s_movk_i32 s30, 0x68
	v_mad_u32_u24 v2, v0, s30, v73
	s_movk_i32 s30, 0xff98
	ds_read_b128 v[50:53], v2
	ds_read_b128 v[46:49], v2 offset:16
	ds_read_b128 v[42:45], v2 offset:32
	;; [unrolled: 1-line block ×6, first 2 shown]
	v_mad_i32_i24 v2, v0, s30, v2
	s_movk_i32 s30, 0xff
	v_cmp_ne_u32_e64 s[30:31], s30, v0
	s_waitcnt lgkmcnt(0)
	ds_write_b64 v2, v[50:51] offset:30720
	s_waitcnt lgkmcnt(0)
	s_barrier
	s_and_saveexec_b64 s[36:37], s[30:31]
	s_cbranch_execz .LBB1015_35
; %bb.34:
	s_waitcnt vmcnt(0)
	ds_read_b64 v[60:61], v73 offset:30728
.LBB1015_35:
	s_or_b64 exec, exec, s[36:37]
	s_waitcnt lgkmcnt(0)
	s_barrier
	s_waitcnt lgkmcnt(0)
                                        ; implicit-def: $vgpr3
	s_and_saveexec_b64 s[30:31], vcc
	s_cbranch_execz .LBB1015_121
; %bb.36:
	v_add_co_u32_e32 v4, vcc, v1, v73
	v_addc_co_u32_e32 v5, vcc, 0, v63, vcc
	flat_load_dword v3, v[4:5]
	s_or_b64 exec, exec, s[30:31]
                                        ; implicit-def: $vgpr4
	s_and_saveexec_b64 s[30:31], s[4:5]
	s_cbranch_execnz .LBB1015_122
.LBB1015_37:
	s_or_b64 exec, exec, s[30:31]
                                        ; implicit-def: $vgpr5
	s_and_saveexec_b64 s[4:5], s[6:7]
	s_cbranch_execz .LBB1015_123
.LBB1015_38:
	v_lshlrev_b32_e32 v5, 3, v56
	v_add_co_u32_e32 v6, vcc, v1, v5
	v_addc_co_u32_e32 v7, vcc, 0, v63, vcc
	flat_load_dword v5, v[6:7]
	s_or_b64 exec, exec, s[4:5]
                                        ; implicit-def: $vgpr6
	s_and_saveexec_b64 s[4:5], s[8:9]
	s_cbranch_execnz .LBB1015_124
.LBB1015_39:
	s_or_b64 exec, exec, s[4:5]
                                        ; implicit-def: $vgpr7
	s_and_saveexec_b64 s[4:5], s[10:11]
	s_cbranch_execz .LBB1015_125
.LBB1015_40:
	v_lshlrev_b32_e32 v7, 3, v62
	v_add_co_u32_e32 v8, vcc, v1, v7
	v_addc_co_u32_e32 v9, vcc, 0, v63, vcc
	flat_load_dword v7, v[8:9]
	s_or_b64 exec, exec, s[4:5]
                                        ; implicit-def: $vgpr8
	s_and_saveexec_b64 s[4:5], s[12:13]
	s_cbranch_execnz .LBB1015_126
.LBB1015_41:
	s_or_b64 exec, exec, s[4:5]
                                        ; implicit-def: $vgpr9
	s_and_saveexec_b64 s[4:5], s[14:15]
	s_cbranch_execz .LBB1015_127
.LBB1015_42:
	v_lshlrev_b32_e32 v9, 3, v65
	v_add_co_u32_e32 v10, vcc, v1, v9
	v_addc_co_u32_e32 v11, vcc, 0, v63, vcc
	flat_load_dword v9, v[10:11]
	s_or_b64 exec, exec, s[4:5]
                                        ; implicit-def: $vgpr10
	s_and_saveexec_b64 s[4:5], s[16:17]
	s_cbranch_execnz .LBB1015_128
.LBB1015_43:
	s_or_b64 exec, exec, s[4:5]
                                        ; implicit-def: $vgpr11
	s_and_saveexec_b64 s[4:5], s[18:19]
	s_cbranch_execz .LBB1015_129
.LBB1015_44:
	v_lshlrev_b32_e32 v11, 3, v67
	v_add_co_u32_e32 v12, vcc, v1, v11
	v_addc_co_u32_e32 v13, vcc, 0, v63, vcc
	flat_load_dword v11, v[12:13]
	s_or_b64 exec, exec, s[4:5]
                                        ; implicit-def: $vgpr12
	s_and_saveexec_b64 s[4:5], s[20:21]
	s_cbranch_execnz .LBB1015_130
.LBB1015_45:
	s_or_b64 exec, exec, s[4:5]
                                        ; implicit-def: $vgpr13
	s_and_saveexec_b64 s[4:5], s[22:23]
	s_cbranch_execz .LBB1015_131
.LBB1015_46:
	v_lshlrev_b32_e32 v13, 3, v69
	v_add_co_u32_e32 v14, vcc, v1, v13
	v_addc_co_u32_e32 v15, vcc, 0, v63, vcc
	flat_load_dword v13, v[14:15]
	s_or_b64 exec, exec, s[4:5]
                                        ; implicit-def: $vgpr14
	s_and_saveexec_b64 s[4:5], s[24:25]
	s_cbranch_execnz .LBB1015_132
.LBB1015_47:
	s_or_b64 exec, exec, s[4:5]
                                        ; implicit-def: $vgpr15
	s_and_saveexec_b64 s[4:5], s[26:27]
	s_cbranch_execz .LBB1015_49
.LBB1015_48:
	v_lshlrev_b32_e32 v15, 3, v71
	v_add_co_u32_e32 v16, vcc, v1, v15
	v_addc_co_u32_e32 v17, vcc, 0, v63, vcc
	flat_load_dword v15, v[16:17]
.LBB1015_49:
	s_or_b64 exec, exec, s[4:5]
	v_mul_u32_u24_e32 v64, 14, v0
                                        ; implicit-def: $vgpr16
	s_and_saveexec_b64 s[4:5], s[28:29]
	s_cbranch_execz .LBB1015_51
; %bb.50:
	v_lshlrev_b32_e32 v16, 3, v72
	v_add_co_u32_e32 v16, vcc, v1, v16
	v_addc_co_u32_e32 v17, vcc, 0, v63, vcc
	flat_load_dword v16, v[16:17]
.LBB1015_51:
	s_or_b64 exec, exec, s[4:5]
	v_lshlrev_b32_e32 v17, 2, v0
	s_mov_b32 s4, 0
	v_sub_u32_e32 v65, v2, v17
	s_mov_b32 s5, s4
	s_waitcnt vmcnt(0) lgkmcnt(0)
	ds_write2st64_b32 v65, v3, v4 offset1:4
	ds_write2st64_b32 v65, v5, v6 offset0:8 offset1:12
	ds_write2st64_b32 v65, v7, v8 offset0:16 offset1:20
	;; [unrolled: 1-line block ×6, first 2 shown]
	s_mov_b32 s6, s4
	s_mov_b32 s7, s4
	;; [unrolled: 1-line block ×6, first 2 shown]
	v_pk_mov_b32 v[2:3], s[4:5], s[4:5] op_sel:[0,1]
	v_pk_mov_b32 v[8:9], s[10:11], s[10:11] op_sel:[0,1]
	;; [unrolled: 1-line block ×6, first 2 shown]
	v_cmp_gt_u32_e32 vcc, s40, v64
	s_mov_b64 s[12:13], 0
	v_pk_mov_b32 v[56:57], 0, 0
	s_mov_b64 s[18:19], 0
	v_pk_mov_b32 v[14:15], v[6:7], v[6:7] op_sel:[0,1]
	v_pk_mov_b32 v[12:13], v[4:5], v[4:5] op_sel:[0,1]
	;; [unrolled: 1-line block ×6, first 2 shown]
	s_waitcnt lgkmcnt(0)
	s_barrier
	s_waitcnt lgkmcnt(0)
                                        ; implicit-def: $sgpr16_sgpr17
                                        ; implicit-def: $vgpr62
	s_and_saveexec_b64 s[14:15], vcc
	s_cbranch_execz .LBB1015_79
; %bb.52:
	v_mad_u32_u24 v2, v0, 52, v65
	ds_read_b32 v2, v2
	v_mov_b32_e32 v4, s54
	v_cmp_eq_u64_e32 vcc, v[50:51], v[52:53]
	v_or_b32_e32 v3, 1, v64
                                        ; implicit-def: $vgpr62
	s_waitcnt lgkmcnt(0)
	v_cndmask_b32_e32 v56, v4, v2, vcc
	v_cmp_ne_u64_e32 vcc, v[50:51], v[52:53]
	v_cndmask_b32_e64 v57, 0, 1, vcc
	v_cmp_gt_u32_e32 vcc, s40, v3
	v_pk_mov_b32 v[2:3], s[4:5], s[4:5] op_sel:[0,1]
	v_pk_mov_b32 v[8:9], s[10:11], s[10:11] op_sel:[0,1]
	;; [unrolled: 1-line block ×12, first 2 shown]
                                        ; implicit-def: $sgpr4_sgpr5
	s_and_saveexec_b64 s[16:17], vcc
	s_cbranch_execz .LBB1015_78
; %bb.53:
	v_mul_u32_u24_e32 v2, 52, v0
	v_add_u32_e32 v65, v65, v2
	ds_read2_b32 v[50:51], v65 offset0:1 offset1:2
	s_mov_b32 s4, 0
	v_mov_b32_e32 v3, s54
	v_cmp_eq_u64_e32 vcc, v[52:53], v[46:47]
	s_mov_b32 s10, s4
	s_mov_b32 s11, s4
	v_add_u32_e32 v2, 2, v64
	s_waitcnt lgkmcnt(0)
	v_cndmask_b32_e32 v8, v3, v50, vcc
	v_cmp_ne_u64_e32 vcc, v[52:53], v[46:47]
	s_mov_b32 s5, s4
	s_mov_b32 s6, s4
	;; [unrolled: 1-line block ×5, first 2 shown]
	v_pk_mov_b32 v[16:17], s[10:11], s[10:11] op_sel:[0,1]
	v_cndmask_b32_e64 v9, 0, 1, vcc
	v_cmp_gt_u32_e32 vcc, s40, v2
	v_mov_b32_e32 v2, 0
	v_pk_mov_b32 v[14:15], s[8:9], s[8:9] op_sel:[0,1]
	v_pk_mov_b32 v[12:13], s[6:7], s[6:7] op_sel:[0,1]
	;; [unrolled: 1-line block ×4, first 2 shown]
	v_mov_b32_e32 v3, v2
	v_mov_b32_e32 v4, v2
	;; [unrolled: 1-line block ×5, first 2 shown]
	s_mov_b64 s[20:21], 0
	v_pk_mov_b32 v[22:23], v[14:15], v[14:15] op_sel:[0,1]
	v_pk_mov_b32 v[20:21], v[12:13], v[12:13] op_sel:[0,1]
	v_pk_mov_b32 v[18:19], v[10:11], v[10:11] op_sel:[0,1]
                                        ; implicit-def: $sgpr24_sgpr25
                                        ; implicit-def: $vgpr62
	s_and_saveexec_b64 s[18:19], vcc
	s_cbranch_execz .LBB1015_77
; %bb.54:
	v_mov_b32_e32 v4, s54
	v_cmp_eq_u64_e32 vcc, v[46:47], v[48:49]
	v_pk_mov_b32 v[16:17], s[10:11], s[10:11] op_sel:[0,1]
	v_add_u32_e32 v3, 3, v64
	v_cndmask_b32_e32 v6, v4, v51, vcc
	v_cmp_ne_u64_e32 vcc, v[46:47], v[48:49]
	v_pk_mov_b32 v[14:15], s[8:9], s[8:9] op_sel:[0,1]
	v_pk_mov_b32 v[12:13], s[6:7], s[6:7] op_sel:[0,1]
	;; [unrolled: 1-line block ×4, first 2 shown]
	v_cndmask_b32_e64 v7, 0, 1, vcc
	v_cmp_gt_u32_e32 vcc, s40, v3
	v_mov_b32_e32 v3, v2
	v_mov_b32_e32 v4, v2
	v_mov_b32_e32 v5, v2
	s_mov_b64 s[22:23], 0
	v_pk_mov_b32 v[22:23], v[14:15], v[14:15] op_sel:[0,1]
	v_pk_mov_b32 v[20:21], v[12:13], v[12:13] op_sel:[0,1]
	;; [unrolled: 1-line block ×3, first 2 shown]
                                        ; implicit-def: $sgpr4_sgpr5
                                        ; implicit-def: $vgpr62
	s_and_saveexec_b64 s[20:21], vcc
	s_cbranch_execz .LBB1015_76
; %bb.55:
	ds_read2_b32 v[46:47], v65 offset0:3 offset1:4
	s_mov_b32 s4, 0
	s_mov_b32 s10, s4
	s_mov_b32 s11, s4
	v_mov_b32_e32 v3, s54
	v_cmp_eq_u64_e32 vcc, v[48:49], v[42:43]
	s_mov_b32 s5, s4
	s_mov_b32 s6, s4
	;; [unrolled: 1-line block ×5, first 2 shown]
	v_pk_mov_b32 v[16:17], s[10:11], s[10:11] op_sel:[0,1]
	v_add_u32_e32 v2, 4, v64
	s_waitcnt lgkmcnt(0)
	v_cndmask_b32_e32 v4, v3, v46, vcc
	v_cmp_ne_u64_e32 vcc, v[48:49], v[42:43]
	v_pk_mov_b32 v[14:15], s[8:9], s[8:9] op_sel:[0,1]
	v_pk_mov_b32 v[12:13], s[6:7], s[6:7] op_sel:[0,1]
	;; [unrolled: 1-line block ×4, first 2 shown]
	v_cndmask_b32_e64 v5, 0, 1, vcc
	v_cmp_gt_u32_e32 vcc, s40, v2
	v_mov_b32_e32 v2, s4
	v_mov_b32_e32 v3, s4
	s_mov_b64 s[24:25], 0
	v_pk_mov_b32 v[22:23], v[14:15], v[14:15] op_sel:[0,1]
	v_pk_mov_b32 v[20:21], v[12:13], v[12:13] op_sel:[0,1]
	;; [unrolled: 1-line block ×3, first 2 shown]
                                        ; implicit-def: $sgpr26_sgpr27
                                        ; implicit-def: $vgpr62
	s_and_saveexec_b64 s[22:23], vcc
	s_cbranch_execz .LBB1015_75
; %bb.56:
	v_mov_b32_e32 v2, s54
	v_cmp_eq_u64_e32 vcc, v[42:43], v[44:45]
	v_add_u32_e32 v10, 5, v64
	v_cndmask_b32_e32 v2, v2, v47, vcc
	v_cmp_ne_u64_e32 vcc, v[42:43], v[44:45]
	v_cndmask_b32_e64 v3, 0, 1, vcc
	v_cmp_gt_u32_e32 vcc, s40, v10
	v_pk_mov_b32 v[16:17], s[10:11], s[10:11] op_sel:[0,1]
	v_pk_mov_b32 v[14:15], s[8:9], s[8:9] op_sel:[0,1]
	;; [unrolled: 1-line block ×5, first 2 shown]
	s_mov_b64 s[28:29], 0
	v_pk_mov_b32 v[22:23], v[14:15], v[14:15] op_sel:[0,1]
	v_pk_mov_b32 v[20:21], v[12:13], v[12:13] op_sel:[0,1]
	;; [unrolled: 1-line block ×3, first 2 shown]
                                        ; implicit-def: $sgpr4_sgpr5
                                        ; implicit-def: $vgpr62
	s_and_saveexec_b64 s[24:25], vcc
	s_cbranch_execz .LBB1015_74
; %bb.57:
	ds_read2_b32 v[42:43], v65 offset0:5 offset1:6
	v_mov_b32_e32 v11, s54
	v_cmp_eq_u64_e32 vcc, v[44:45], v[38:39]
	s_mov_b32 s4, 0
	v_add_u32_e32 v10, 6, v64
	s_waitcnt lgkmcnt(0)
	v_cndmask_b32_e32 v16, v11, v42, vcc
	v_cmp_ne_u64_e32 vcc, v[44:45], v[38:39]
	s_mov_b32 s10, s4
	s_mov_b32 s11, s4
	v_cndmask_b32_e64 v17, 0, 1, vcc
	v_cmp_gt_u32_e32 vcc, s40, v10
	v_mov_b32_e32 v10, 0
	s_mov_b32 s5, s4
	s_mov_b32 s6, s4
	;; [unrolled: 1-line block ×5, first 2 shown]
	v_pk_mov_b32 v[24:25], s[10:11], s[10:11] op_sel:[0,1]
	v_mov_b32_e32 v11, v10
	v_mov_b32_e32 v12, v10
	v_mov_b32_e32 v13, v10
	v_mov_b32_e32 v14, v10
	v_mov_b32_e32 v15, v10
	v_pk_mov_b32 v[22:23], s[8:9], s[8:9] op_sel:[0,1]
	v_pk_mov_b32 v[20:21], s[6:7], s[6:7] op_sel:[0,1]
	;; [unrolled: 1-line block ×3, first 2 shown]
                                        ; implicit-def: $sgpr36_sgpr37
                                        ; implicit-def: $vgpr62
	s_and_saveexec_b64 s[26:27], vcc
	s_cbranch_execz .LBB1015_73
; %bb.58:
	v_mov_b32_e32 v12, s54
	v_cmp_eq_u64_e32 vcc, v[38:39], v[40:41]
	v_add_u32_e32 v11, 7, v64
	v_cndmask_b32_e32 v14, v12, v43, vcc
	v_cmp_ne_u64_e32 vcc, v[38:39], v[40:41]
	v_pk_mov_b32 v[24:25], s[10:11], s[10:11] op_sel:[0,1]
	v_cndmask_b32_e64 v15, 0, 1, vcc
	v_cmp_gt_u32_e32 vcc, s40, v11
	v_mov_b32_e32 v11, v10
	v_mov_b32_e32 v12, v10
	;; [unrolled: 1-line block ×3, first 2 shown]
	s_mov_b64 s[30:31], 0
	v_pk_mov_b32 v[22:23], s[8:9], s[8:9] op_sel:[0,1]
	v_pk_mov_b32 v[20:21], s[6:7], s[6:7] op_sel:[0,1]
	;; [unrolled: 1-line block ×3, first 2 shown]
                                        ; implicit-def: $sgpr4_sgpr5
                                        ; implicit-def: $vgpr62
	s_and_saveexec_b64 s[28:29], vcc
	s_cbranch_execz .LBB1015_72
; %bb.59:
	ds_read2_b32 v[38:39], v65 offset0:7 offset1:8
	s_mov_b32 s4, 0
	v_mov_b32_e32 v11, s54
	v_cmp_eq_u64_e32 vcc, v[40:41], v[34:35]
	s_mov_b32 s10, s4
	s_mov_b32 s11, s4
	v_add_u32_e32 v10, 8, v64
	s_waitcnt lgkmcnt(0)
	v_cndmask_b32_e32 v12, v11, v38, vcc
	v_cmp_ne_u64_e32 vcc, v[40:41], v[34:35]
	s_mov_b32 s5, s4
	s_mov_b32 s6, s4
	;; [unrolled: 1-line block ×5, first 2 shown]
	v_pk_mov_b32 v[24:25], s[10:11], s[10:11] op_sel:[0,1]
	v_cndmask_b32_e64 v13, 0, 1, vcc
	v_cmp_gt_u32_e32 vcc, s40, v10
	v_mov_b32_e32 v10, s4
	v_mov_b32_e32 v11, s4
	s_mov_b64 s[36:37], 0
	v_pk_mov_b32 v[22:23], s[8:9], s[8:9] op_sel:[0,1]
	v_pk_mov_b32 v[20:21], s[6:7], s[6:7] op_sel:[0,1]
	;; [unrolled: 1-line block ×3, first 2 shown]
                                        ; implicit-def: $sgpr38_sgpr39
                                        ; implicit-def: $vgpr62
	s_and_saveexec_b64 s[30:31], vcc
	s_cbranch_execz .LBB1015_71
; %bb.60:
	v_mov_b32_e32 v10, s54
	v_cmp_eq_u64_e32 vcc, v[34:35], v[36:37]
	v_add_u32_e32 v18, 9, v64
	v_cndmask_b32_e32 v10, v10, v39, vcc
	v_cmp_ne_u64_e32 vcc, v[34:35], v[36:37]
	v_cndmask_b32_e64 v11, 0, 1, vcc
	v_cmp_gt_u32_e32 vcc, s40, v18
	v_pk_mov_b32 v[24:25], s[10:11], s[10:11] op_sel:[0,1]
	v_pk_mov_b32 v[22:23], s[8:9], s[8:9] op_sel:[0,1]
	;; [unrolled: 1-line block ×4, first 2 shown]
                                        ; implicit-def: $sgpr6_sgpr7
                                        ; implicit-def: $vgpr62
	s_and_saveexec_b64 s[4:5], vcc
	s_cbranch_execz .LBB1015_70
; %bb.61:
	ds_read2_b32 v[34:35], v65 offset0:9 offset1:10
	v_mov_b32_e32 v18, s54
	v_cmp_eq_u64_e32 vcc, v[36:37], v[30:31]
	v_add_u32_e32 v20, 10, v64
	v_mov_b32_e32 v22, 0
	s_waitcnt lgkmcnt(0)
	v_cndmask_b32_e32 v18, v18, v34, vcc
	v_cmp_ne_u64_e32 vcc, v[36:37], v[30:31]
	v_cndmask_b32_e64 v19, 0, 1, vcc
	v_cmp_gt_u32_e32 vcc, s40, v20
	v_mov_b32_e32 v20, v22
	v_mov_b32_e32 v21, v22
	;; [unrolled: 1-line block ×5, first 2 shown]
	s_mov_b64 s[8:9], 0
                                        ; implicit-def: $sgpr36_sgpr37
                                        ; implicit-def: $vgpr62
	s_and_saveexec_b64 s[6:7], vcc
	s_cbranch_execz .LBB1015_69
; %bb.62:
	v_mov_b32_e32 v20, s54
	v_cmp_eq_u64_e32 vcc, v[30:31], v[32:33]
	v_add_u32_e32 v23, 11, v64
	v_cndmask_b32_e32 v20, v20, v35, vcc
	v_cmp_ne_u64_e32 vcc, v[30:31], v[32:33]
	v_cndmask_b32_e64 v21, 0, 1, vcc
	v_cmp_gt_u32_e32 vcc, s40, v23
	s_mov_b32 s36, 0
	v_mov_b32_e32 v23, v22
	v_mov_b32_e32 v24, v22
	;; [unrolled: 1-line block ×3, first 2 shown]
	s_mov_b64 s[10:11], 0
                                        ; implicit-def: $sgpr38_sgpr39
                                        ; implicit-def: $vgpr62
	s_and_saveexec_b64 s[8:9], vcc
	s_cbranch_execz .LBB1015_68
; %bb.63:
	ds_read2_b32 v[30:31], v65 offset0:11 offset1:12
	v_mov_b32_e32 v22, s54
	v_cmp_eq_u64_e32 vcc, v[32:33], v[26:27]
	v_add_u32_e32 v24, 12, v64
	v_mov_b32_e32 v25, s36
	s_waitcnt lgkmcnt(0)
	v_cndmask_b32_e32 v22, v22, v30, vcc
	v_cmp_ne_u64_e32 vcc, v[32:33], v[26:27]
	v_cndmask_b32_e64 v23, 0, 1, vcc
	v_cmp_gt_u32_e32 vcc, s40, v24
	v_mov_b32_e32 v24, s36
	s_mov_b64 s[36:37], 0
                                        ; implicit-def: $sgpr38_sgpr39
                                        ; implicit-def: $vgpr62
	s_and_saveexec_b64 s[10:11], vcc
	s_cbranch_execz .LBB1015_67
; %bb.64:
	v_mov_b32_e32 v24, s54
	v_cmp_eq_u64_e32 vcc, v[26:27], v[28:29]
	v_add_u32_e32 v30, 13, v64
	v_cndmask_b32_e32 v24, v24, v31, vcc
	v_cmp_ne_u64_e32 vcc, v[26:27], v[28:29]
	v_cndmask_b32_e64 v25, 0, 1, vcc
	v_cmp_gt_u32_e32 vcc, s40, v30
                                        ; implicit-def: $sgpr38_sgpr39
                                        ; implicit-def: $vgpr62
	s_and_saveexec_b64 s[40:41], vcc
	s_xor_b64 s[40:41], exec, s[40:41]
	s_cbranch_execz .LBB1015_66
; %bb.65:
	ds_read_b32 v26, v65 offset:52
	v_mov_b32_e32 v27, s54
	v_cmp_ne_u64_e32 vcc, v[28:29], v[60:61]
	s_mov_b64 s[36:37], exec
	s_and_b64 s[38:39], vcc, exec
	s_waitcnt lgkmcnt(0)
	v_cndmask_b32_e32 v62, v26, v27, vcc
.LBB1015_66:
	s_or_b64 exec, exec, s[40:41]
	s_and_b64 s[38:39], s[38:39], exec
	s_and_b64 s[36:37], s[36:37], exec
.LBB1015_67:
	s_or_b64 exec, exec, s[10:11]
	s_and_b64 s[38:39], s[38:39], exec
	s_and_b64 s[10:11], s[36:37], exec
.LBB1015_68:
	s_or_b64 exec, exec, s[8:9]
	s_and_b64 s[36:37], s[38:39], exec
	s_and_b64 s[8:9], s[10:11], exec
.LBB1015_69:
	s_or_b64 exec, exec, s[6:7]
	s_and_b64 s[6:7], s[36:37], exec
	s_and_b64 s[36:37], s[8:9], exec
.LBB1015_70:
	s_or_b64 exec, exec, s[4:5]
	s_and_b64 s[38:39], s[6:7], exec
	s_and_b64 s[36:37], s[36:37], exec
.LBB1015_71:
	s_or_b64 exec, exec, s[30:31]
	s_and_b64 s[4:5], s[38:39], exec
	s_and_b64 s[30:31], s[36:37], exec
.LBB1015_72:
	s_or_b64 exec, exec, s[28:29]
	s_and_b64 s[36:37], s[4:5], exec
	s_and_b64 s[28:29], s[30:31], exec
.LBB1015_73:
	s_or_b64 exec, exec, s[26:27]
	s_and_b64 s[4:5], s[36:37], exec
	s_and_b64 s[28:29], s[28:29], exec
.LBB1015_74:
	s_or_b64 exec, exec, s[24:25]
	s_and_b64 s[26:27], s[4:5], exec
	s_and_b64 s[24:25], s[28:29], exec
.LBB1015_75:
	s_or_b64 exec, exec, s[22:23]
	s_and_b64 s[4:5], s[26:27], exec
	s_and_b64 s[22:23], s[24:25], exec
.LBB1015_76:
	s_or_b64 exec, exec, s[20:21]
	s_and_b64 s[24:25], s[4:5], exec
	s_and_b64 s[20:21], s[22:23], exec
.LBB1015_77:
	s_or_b64 exec, exec, s[18:19]
	s_and_b64 s[4:5], s[24:25], exec
	s_and_b64 s[18:19], s[20:21], exec
.LBB1015_78:
	s_or_b64 exec, exec, s[16:17]
	s_and_b64 s[16:17], s[4:5], exec
	s_and_b64 s[18:19], s[18:19], exec
.LBB1015_79:
	s_or_b64 exec, exec, s[14:15]
	s_and_b64 vcc, exec, s[12:13]
	v_lshlrev_b32_e32 v48, 3, v0
	s_cbranch_vccnz .LBB1015_81
	s_branch .LBB1015_86
.LBB1015_80:
	s_mov_b64 s[18:19], 0
                                        ; implicit-def: $sgpr16_sgpr17
                                        ; implicit-def: $vgpr2_vgpr3_vgpr4_vgpr5_vgpr6_vgpr7_vgpr8_vgpr9
                                        ; implicit-def: $vgpr10_vgpr11_vgpr12_vgpr13_vgpr14_vgpr15_vgpr16_vgpr17
                                        ; implicit-def: $vgpr18_vgpr19_vgpr20_vgpr21_vgpr22_vgpr23_vgpr24_vgpr25
                                        ; implicit-def: $vgpr62
                                        ; implicit-def: $vgpr56_vgpr57
	s_and_b64 vcc, exec, s[12:13]
	v_lshlrev_b32_e32 v48, 3, v0
	s_cbranch_vccz .LBB1015_86
.LBB1015_81:
	v_add_co_u32_e32 v2, vcc, v58, v48
	v_addc_co_u32_e32 v3, vcc, 0, v59, vcc
	v_add_co_u32_e32 v4, vcc, 0x1000, v2
	v_addc_co_u32_e32 v5, vcc, 0, v3, vcc
	flat_load_dwordx2 v[6:7], v[2:3]
	flat_load_dwordx2 v[8:9], v[2:3] offset:2048
	flat_load_dwordx2 v[10:11], v[4:5]
	flat_load_dwordx2 v[12:13], v[4:5] offset:2048
	v_add_co_u32_e32 v4, vcc, 0x2000, v2
	v_addc_co_u32_e32 v5, vcc, 0, v3, vcc
	v_add_co_u32_e32 v14, vcc, 0x3000, v2
	v_addc_co_u32_e32 v15, vcc, 0, v3, vcc
	flat_load_dwordx2 v[16:17], v[4:5]
	flat_load_dwordx2 v[18:19], v[4:5] offset:2048
	flat_load_dwordx2 v[20:21], v[14:15]
	flat_load_dwordx2 v[22:23], v[14:15] offset:2048
	v_add_co_u32_e32 v4, vcc, 0x4000, v2
	v_addc_co_u32_e32 v5, vcc, 0, v3, vcc
	v_add_co_u32_e32 v14, vcc, 0x5000, v2
	v_addc_co_u32_e32 v15, vcc, 0, v3, vcc
	;; [unrolled: 2-line block ×3, first 2 shown]
	flat_load_dwordx2 v[24:25], v[4:5]
	flat_load_dwordx2 v[26:27], v[4:5] offset:2048
	flat_load_dwordx2 v[28:29], v[14:15]
	flat_load_dwordx2 v[30:31], v[14:15] offset:2048
	s_nop 0
	flat_load_dwordx2 v[4:5], v[2:3]
	flat_load_dwordx2 v[14:15], v[2:3] offset:2048
	v_add_co_u32_e32 v2, vcc, 0x7000, v58
	v_addc_co_u32_e32 v3, vcc, 0, v59, vcc
	s_movk_i32 s6, 0x68
	s_movk_i32 s12, 0x1000
	s_mov_b32 s4, 0
	s_movk_i32 s11, 0x2000
	s_movk_i32 s10, 0x3000
	;; [unrolled: 1-line block ×5, first 2 shown]
	s_waitcnt vmcnt(0) lgkmcnt(0)
	ds_write2st64_b64 v48, v[6:7], v[8:9] offset1:4
	ds_write2st64_b64 v48, v[10:11], v[12:13] offset0:8 offset1:12
	ds_write2st64_b64 v48, v[16:17], v[18:19] offset0:16 offset1:20
	;; [unrolled: 1-line block ×6, first 2 shown]
	s_waitcnt lgkmcnt(0)
	s_barrier
	flat_load_dwordx2 v[40:41], v[2:3]
	v_mad_u32_u24 v2, v0, s6, v48
	s_movk_i32 s6, 0xff98
	ds_read2_b64 v[24:27], v2 offset1:13
	ds_read2_b64 v[10:13], v2 offset0:3 offset1:4
	ds_read2_b64 v[14:17], v2 offset0:1 offset1:2
	;; [unrolled: 1-line block ×6, first 2 shown]
	v_mad_i32_i24 v2, v0, s6, v2
	s_movk_i32 s6, 0xff
	v_cmp_ne_u32_e32 vcc, s6, v0
	s_waitcnt lgkmcnt(0)
	ds_write_b64 v2, v[24:25] offset:30720
	s_waitcnt lgkmcnt(0)
	s_barrier
	s_and_saveexec_b64 s[6:7], vcc
	s_cbranch_execz .LBB1015_83
; %bb.82:
	s_waitcnt vmcnt(0)
	ds_read_b64 v[40:41], v48 offset:30728
.LBB1015_83:
	s_or_b64 exec, exec, s[6:7]
	v_add_co_u32_e32 v4, vcc, v1, v48
	v_addc_co_u32_e32 v5, vcc, 0, v63, vcc
	v_add_co_u32_e32 v6, vcc, s12, v4
	v_addc_co_u32_e32 v7, vcc, 0, v5, vcc
	;; [unrolled: 2-line block ×4, first 2 shown]
	s_waitcnt lgkmcnt(0)
	s_barrier
	flat_load_dword v1, v[4:5]
	flat_load_dword v3, v[4:5] offset:2048
	flat_load_dword v42, v[6:7]
	flat_load_dword v43, v[6:7] offset:2048
	;; [unrolled: 2-line block ×4, first 2 shown]
	v_add_co_u32_e32 v6, vcc, s9, v4
	v_addc_co_u32_e32 v7, vcc, 0, v5, vcc
	v_add_co_u32_e32 v8, vcc, s8, v4
	v_addc_co_u32_e32 v9, vcc, 0, v5, vcc
	;; [unrolled: 2-line block ×3, first 2 shown]
	flat_load_dword v22, v[6:7]
	flat_load_dword v23, v[6:7] offset:2048
	flat_load_dword v49, v[8:9]
	flat_load_dword v50, v[8:9] offset:2048
	flat_load_dword v51, v[4:5]
	flat_load_dword v52, v[4:5] offset:2048
	v_lshlrev_b32_e32 v4, 2, v0
	v_sub_u32_e32 v7, v2, v4
	v_mad_u32_u24 v6, v0, 52, v7
	s_mov_b32 s5, 1
	v_cmp_eq_u64_e32 vcc, v[24:25], v[14:15]
	v_pk_mov_b32 v[56:57], s[4:5], s[4:5] op_sel:[0,1]
	s_waitcnt vmcnt(0) lgkmcnt(0)
	ds_write2st64_b32 v7, v1, v3 offset1:4
	ds_write2st64_b32 v7, v42, v43 offset0:8 offset1:12
	ds_write2st64_b32 v7, v44, v45 offset0:16 offset1:20
	;; [unrolled: 1-line block ×6, first 2 shown]
	s_waitcnt lgkmcnt(0)
	s_barrier
	ds_read2_b32 v[44:45], v6 offset0:7 offset1:8
	ds_read2_b32 v[46:47], v6 offset0:5 offset1:6
	;; [unrolled: 1-line block ×4, first 2 shown]
	ds_read_b32 v1, v6 offset:52
	ds_read2_b32 v[22:23], v6 offset0:11 offset1:12
	ds_read2_b32 v[42:43], v6 offset0:9 offset1:10
	v_mov_b32_e32 v6, s54
	s_and_saveexec_b64 s[4:5], vcc
	s_cbranch_execz .LBB1015_85
; %bb.84:
	v_mul_u32_u24_e32 v6, 52, v0
	v_add_u32_e32 v6, v7, v6
	ds_read_b32 v6, v6
	v_pk_mov_b32 v[56:57], 0, 0
.LBB1015_85:
	s_or_b64 exec, exec, s[4:5]
	v_mov_b32_e32 v49, s54
	v_cmp_eq_u64_e32 vcc, v[14:15], v[16:17]
	s_waitcnt lgkmcnt(3)
	v_cndmask_b32_e32 v8, v49, v4, vcc
	v_cmp_eq_u64_e32 vcc, v[16:17], v[10:11]
	s_waitcnt lgkmcnt(0)
	v_or_b32_e32 v56, v56, v6
	v_cndmask_b32_e32 v6, v49, v5, vcc
	v_cmp_eq_u64_e32 vcc, v[10:11], v[12:13]
	v_cndmask_b32_e32 v4, v49, v2, vcc
	v_cmp_eq_u64_e32 vcc, v[12:13], v[36:37]
	v_cndmask_b32_e32 v2, v49, v3, vcc
	v_cmp_ne_u64_e32 vcc, v[14:15], v[16:17]
	v_cndmask_b32_e64 v9, 0, 1, vcc
	v_cmp_ne_u64_e32 vcc, v[16:17], v[10:11]
	v_cndmask_b32_e64 v7, 0, 1, vcc
	;; [unrolled: 2-line block ×4, first 2 shown]
	v_cmp_eq_u64_e32 vcc, v[36:37], v[38:39]
	v_cndmask_b32_e32 v16, v49, v46, vcc
	v_cmp_eq_u64_e32 vcc, v[38:39], v[18:19]
	v_cndmask_b32_e32 v14, v49, v47, vcc
	;; [unrolled: 2-line block ×4, first 2 shown]
	v_cmp_ne_u64_e32 vcc, v[36:37], v[38:39]
	v_cndmask_b32_e64 v17, 0, 1, vcc
	v_cmp_ne_u64_e32 vcc, v[38:39], v[18:19]
	v_cndmask_b32_e64 v15, 0, 1, vcc
	;; [unrolled: 2-line block ×4, first 2 shown]
	v_cmp_eq_u64_e32 vcc, v[34:35], v[26:27]
	v_cndmask_b32_e32 v24, v49, v23, vcc
	v_cmp_eq_u64_e32 vcc, v[32:33], v[34:35]
	v_cndmask_b32_e32 v22, v49, v22, vcc
	;; [unrolled: 2-line block ×4, first 2 shown]
	v_cmp_ne_u64_e32 vcc, v[34:35], v[26:27]
	v_cndmask_b32_e64 v25, 0, 1, vcc
	v_cmp_ne_u64_e32 vcc, v[32:33], v[34:35]
	v_cndmask_b32_e64 v23, 0, 1, vcc
	v_cmp_ne_u64_e32 vcc, v[30:31], v[32:33]
	v_cndmask_b32_e64 v21, 0, 1, vcc
	v_cmp_ne_u64_e32 vcc, v[28:29], v[30:31]
	v_cmp_ne_u64_e64 s[16:17], v[26:27], v[40:41]
	v_cndmask_b32_e64 v19, 0, 1, vcc
	v_cndmask_b32_e64 v62, v1, v49, s[16:17]
	s_mov_b64 s[18:19], -1
                                        ; implicit-def: $sgpr12_sgpr13
.LBB1015_86:
	v_pk_mov_b32 v[38:39], s[12:13], s[12:13] op_sel:[0,1]
	s_and_saveexec_b64 s[4:5], s[18:19]
; %bb.87:
	v_cndmask_b32_e64 v63, 0, 1, s[16:17]
	v_pk_mov_b32 v[38:39], v[62:63], v[62:63] op_sel:[0,1]
; %bb.88:
	s_or_b64 exec, exec, s[4:5]
	s_mov_b32 s28, 0
	s_cmp_lg_u32 s47, 0
	v_mbcnt_lo_u32_b32 v50, -1, 0
	v_lshrrev_b32_e32 v1, 6, v0
	v_or_b32_e32 v49, 63, v0
	s_barrier
	s_cbranch_scc0 .LBB1015_133
; %bb.89:
	s_mov_b32 s29, 1
	v_cmp_gt_u64_e64 s[4:5], s[28:29], v[8:9]
	v_cndmask_b32_e64 v27, 0, v56, s[4:5]
	v_add_u32_e32 v27, v27, v8
	v_cmp_gt_u64_e64 s[6:7], s[28:29], v[6:7]
	v_cndmask_b32_e64 v27, 0, v27, s[6:7]
	v_add_u32_e32 v27, v27, v6
	;; [unrolled: 3-line block ×12, first 2 shown]
	v_cmp_gt_u64_e32 vcc, s[28:29], v[38:39]
	v_cndmask_b32_e32 v27, 0, v27, vcc
	v_add_u32_e32 v28, v27, v38
	v_or3_b32 v27, v39, v25, v23
	v_or3_b32 v27, v27, v21, v19
	;; [unrolled: 1-line block ×6, first 2 shown]
	v_mov_b32_e32 v26, 0
	v_and_b32_e32 v27, 1, v27
	v_cmp_eq_u64_e32 vcc, 0, v[26:27]
	v_cndmask_b32_e32 v27, 1, v57, vcc
	v_and_b32_e32 v29, 0xff, v27
	v_mov_b32_dpp v31, v28 row_shr:1 row_mask:0xf bank_mask:0xf
	v_cmp_eq_u16_e32 vcc, 0, v29
	v_mov_b32_dpp v32, v29 row_shr:1 row_mask:0xf bank_mask:0xf
	v_and_b32_e32 v33, 1, v27
	v_mbcnt_hi_u32_b32 v44, -1, v50
	v_cndmask_b32_e32 v31, 0, v31, vcc
	v_and_b32_e32 v32, 1, v32
	v_cmp_eq_u32_e32 vcc, 1, v33
	v_and_b32_e32 v30, 15, v44
	v_cndmask_b32_e64 v32, v32, 1, vcc
	v_and_b32_e32 v33, 0xffff, v32
	v_cmp_eq_u32_e32 vcc, 0, v30
	v_cndmask_b32_e32 v27, v32, v27, vcc
	v_cndmask_b32_e32 v29, v33, v29, vcc
	v_and_b32_e32 v33, 1, v27
	v_cndmask_b32_e64 v31, v31, 0, vcc
	v_mov_b32_dpp v32, v29 row_shr:2 row_mask:0xf bank_mask:0xf
	v_and_b32_e32 v32, 1, v32
	v_cmp_eq_u32_e32 vcc, 1, v33
	v_cndmask_b32_e64 v32, v32, 1, vcc
	v_and_b32_e32 v33, 0xffff, v32
	v_cmp_lt_u32_e32 vcc, 1, v30
	v_add_u32_e32 v28, v31, v28
	v_cmp_eq_u16_sdwa s[28:29], v27, v26 src0_sel:BYTE_0 src1_sel:DWORD
	v_cndmask_b32_e32 v27, v27, v32, vcc
	v_cndmask_b32_e32 v29, v29, v33, vcc
	v_mov_b32_dpp v31, v28 row_shr:2 row_mask:0xf bank_mask:0xf
	s_and_b64 vcc, vcc, s[28:29]
	v_mov_b32_dpp v32, v29 row_shr:4 row_mask:0xf bank_mask:0xf
	v_and_b32_e32 v33, 1, v27
	v_cndmask_b32_e32 v31, 0, v31, vcc
	v_and_b32_e32 v32, 1, v32
	v_cmp_eq_u32_e32 vcc, 1, v33
	v_cndmask_b32_e64 v32, v32, 1, vcc
	v_and_b32_e32 v33, 0xffff, v32
	v_cmp_lt_u32_e32 vcc, 3, v30
	v_add_u32_e32 v28, v31, v28
	v_cmp_eq_u16_sdwa s[28:29], v27, v26 src0_sel:BYTE_0 src1_sel:DWORD
	v_cndmask_b32_e32 v27, v27, v32, vcc
	v_cndmask_b32_e32 v29, v29, v33, vcc
	v_mov_b32_dpp v31, v28 row_shr:4 row_mask:0xf bank_mask:0xf
	s_and_b64 vcc, vcc, s[28:29]
	v_mov_b32_dpp v32, v29 row_shr:8 row_mask:0xf bank_mask:0xf
	v_and_b32_e32 v33, 1, v27
	v_cndmask_b32_e32 v31, 0, v31, vcc
	v_and_b32_e32 v32, 1, v32
	v_cmp_eq_u32_e32 vcc, 1, v33
	v_cndmask_b32_e64 v32, v32, 1, vcc
	v_add_u32_e32 v28, v31, v28
	v_cmp_eq_u16_sdwa s[28:29], v27, v26 src0_sel:BYTE_0 src1_sel:DWORD
	v_and_b32_e32 v33, 0xffff, v32
	v_cmp_lt_u32_e32 vcc, 7, v30
	v_mov_b32_dpp v31, v28 row_shr:8 row_mask:0xf bank_mask:0xf
	v_cndmask_b32_e32 v27, v27, v32, vcc
	v_cndmask_b32_e32 v29, v29, v33, vcc
	s_and_b64 vcc, vcc, s[28:29]
	v_cndmask_b32_e32 v30, 0, v31, vcc
	v_add_u32_e32 v28, v30, v28
	v_mov_b32_dpp v31, v29 row_bcast:15 row_mask:0xf bank_mask:0xf
	v_cmp_eq_u16_sdwa vcc, v27, v26 src0_sel:BYTE_0 src1_sel:DWORD
	v_mov_b32_dpp v30, v28 row_bcast:15 row_mask:0xf bank_mask:0xf
	v_and_b32_e32 v34, 1, v27
	v_cndmask_b32_e32 v30, 0, v30, vcc
	v_and_b32_e32 v31, 1, v31
	v_cmp_eq_u32_e32 vcc, 1, v34
	v_and_b32_e32 v33, 16, v44
	v_cndmask_b32_e64 v31, v31, 1, vcc
	v_and_b32_e32 v34, 0xffff, v31
	v_cmp_eq_u32_e32 vcc, 0, v33
	v_cndmask_b32_e32 v27, v31, v27, vcc
	v_cndmask_b32_e32 v29, v34, v29, vcc
	v_bfe_i32 v32, v44, 4, 1
	v_cmp_eq_u16_sdwa s[28:29], v27, v26 src0_sel:BYTE_0 src1_sel:DWORD
	v_mov_b32_dpp v29, v29 row_bcast:31 row_mask:0xf bank_mask:0xf
	v_and_b32_e32 v26, 1, v27
	v_and_b32_e32 v30, v32, v30
	;; [unrolled: 1-line block ×3, first 2 shown]
	v_cmp_eq_u32_e32 vcc, 1, v26
	v_add_u32_e32 v28, v30, v28
	v_cndmask_b32_e64 v26, v29, 1, vcc
	v_cmp_lt_u32_e32 vcc, 31, v44
	v_mov_b32_dpp v30, v28 row_bcast:31 row_mask:0xf bank_mask:0xf
	v_cndmask_b32_e32 v29, v27, v26, vcc
	s_and_b64 vcc, vcc, s[28:29]
	v_cndmask_b32_e32 v26, 0, v30, vcc
	v_add_u32_e32 v28, v26, v28
	v_cmp_eq_u32_e32 vcc, v49, v0
	s_and_saveexec_b64 s[28:29], vcc
	s_cbranch_execz .LBB1015_91
; %bb.90:
	v_lshlrev_b32_e32 v26, 3, v1
	ds_write_b32 v26, v28
	ds_write_b8 v26, v29 offset:4
.LBB1015_91:
	s_or_b64 exec, exec, s[28:29]
	v_cmp_gt_u32_e32 vcc, 4, v0
	s_waitcnt lgkmcnt(0)
	s_barrier
	s_and_saveexec_b64 s[28:29], vcc
	s_cbranch_execz .LBB1015_95
; %bb.92:
	ds_read_b64 v[26:27], v48
	v_and_b32_e32 v30, 3, v44
	v_cmp_ne_u32_e32 vcc, 0, v30
	s_waitcnt lgkmcnt(0)
	v_mov_b32_dpp v31, v26 row_shr:1 row_mask:0xf bank_mask:0xf
	v_mov_b32_dpp v33, v27 row_shr:1 row_mask:0xf bank_mask:0xf
	v_mov_b32_e32 v32, v27
	s_and_saveexec_b64 s[30:31], vcc
	s_cbranch_execz .LBB1015_94
; %bb.93:
	v_and_b32_e32 v32, 1, v27
	v_and_b32_e32 v33, 1, v33
	v_cmp_eq_u32_e32 vcc, 1, v32
	v_mov_b32_e32 v32, 0
	v_cndmask_b32_e64 v33, v33, 1, vcc
	v_cmp_eq_u16_sdwa vcc, v27, v32 src0_sel:BYTE_0 src1_sel:DWORD
	v_cndmask_b32_e32 v31, 0, v31, vcc
	v_add_u32_e32 v26, v31, v26
	v_and_b32_e32 v31, 0xffff, v33
	s_movk_i32 s36, 0xff00
	v_and_or_b32 v32, v27, s36, v31
	v_mov_b32_e32 v27, v33
.LBB1015_94:
	s_or_b64 exec, exec, s[30:31]
	v_mov_b32_dpp v32, v32 row_shr:2 row_mask:0xf bank_mask:0xf
	v_and_b32_e32 v33, 1, v27
	v_and_b32_e32 v32, 1, v32
	v_cmp_eq_u32_e32 vcc, 1, v33
	v_mov_b32_e32 v33, 0
	v_cndmask_b32_e64 v32, v32, 1, vcc
	v_cmp_eq_u16_sdwa s[30:31], v27, v33 src0_sel:BYTE_0 src1_sel:DWORD
	v_cmp_lt_u32_e32 vcc, 1, v30
	v_mov_b32_dpp v31, v26 row_shr:2 row_mask:0xf bank_mask:0xf
	v_cndmask_b32_e32 v27, v27, v32, vcc
	s_and_b64 vcc, vcc, s[30:31]
	v_cndmask_b32_e32 v30, 0, v31, vcc
	v_add_u32_e32 v26, v30, v26
	ds_write_b32 v48, v26
	ds_write_b8 v48, v27 offset:4
.LBB1015_95:
	s_or_b64 exec, exec, s[28:29]
	v_cmp_gt_u32_e32 vcc, 64, v0
	v_cmp_lt_u32_e64 s[28:29], 63, v0
	v_mov_b32_e32 v40, 0
	v_mov_b32_e32 v41, 0
	s_waitcnt lgkmcnt(0)
	s_barrier
	s_and_saveexec_b64 s[30:31], s[28:29]
	s_cbranch_execz .LBB1015_97
; %bb.96:
	v_lshl_add_u32 v26, v1, 3, -8
	ds_read_b32 v40, v26
	ds_read_u8 v41, v26 offset:4
	v_mov_b32_e32 v27, 0
	v_and_b32_e32 v30, 1, v29
	v_cmp_eq_u16_sdwa s[28:29], v29, v27 src0_sel:BYTE_0 src1_sel:DWORD
	s_waitcnt lgkmcnt(1)
	v_cndmask_b32_e64 v26, 0, v40, s[28:29]
	v_cmp_eq_u32_e64 s[28:29], 1, v30
	v_add_u32_e32 v28, v26, v28
	s_waitcnt lgkmcnt(0)
	v_cndmask_b32_e64 v29, v41, 1, s[28:29]
.LBB1015_97:
	s_or_b64 exec, exec, s[30:31]
	v_and_b32_e32 v26, 0xff, v29
	v_add_u32_e32 v27, -1, v44
	v_and_b32_e32 v29, 64, v44
	v_cmp_lt_i32_e64 s[28:29], v27, v29
	v_cndmask_b32_e64 v27, v27, v44, s[28:29]
	v_lshlrev_b32_e32 v27, 2, v27
	ds_bpermute_b32 v42, v27, v28
	ds_bpermute_b32 v43, v27, v26
	v_cmp_eq_u32_e64 s[28:29], 0, v44
	s_and_saveexec_b64 s[36:37], vcc
	s_cbranch_execz .LBB1015_120
; %bb.98:
	v_mov_b32_e32 v29, 0
	ds_read_b64 v[26:27], v29 offset:24
	s_waitcnt lgkmcnt(0)
	v_readfirstlane_b32 s48, v27
	s_and_saveexec_b64 s[30:31], s[28:29]
	s_cbranch_execz .LBB1015_100
; %bb.99:
	s_add_i32 s38, s47, 64
	s_mov_b32 s39, 0
	s_lshl_b64 s[40:41], s[38:39], 4
	s_add_u32 s40, s44, s40
	s_addc_u32 s41, s45, s41
	s_and_b32 s57, s48, 0xff000000
	s_mov_b32 s56, s39
	s_and_b32 s59, s48, 0xff0000
	s_mov_b32 s58, s39
	s_or_b64 s[56:57], s[58:59], s[56:57]
	s_and_b32 s59, s48, 0xff00
	s_or_b64 s[56:57], s[56:57], s[58:59]
	s_and_b32 s59, s48, 0xff
	s_or_b64 s[38:39], s[56:57], s[58:59]
	v_mov_b32_e32 v27, s39
	v_mov_b32_e32 v28, 1
	v_pk_mov_b32 v[30:31], s[40:41], s[40:41] op_sel:[0,1]
	;;#ASMSTART
	global_store_dwordx4 v[30:31], v[26:29] off	
s_waitcnt vmcnt(0)
	;;#ASMEND
.LBB1015_100:
	s_or_b64 exec, exec, s[30:31]
	v_xad_u32 v34, v44, -1, s47
	v_add_u32_e32 v28, 64, v34
	v_lshlrev_b64 v[30:31], 4, v[28:29]
	v_mov_b32_e32 v27, s45
	v_add_co_u32_e32 v36, vcc, s44, v30
	v_addc_co_u32_e32 v37, vcc, v27, v31, vcc
	;;#ASMSTART
	global_load_dwordx4 v[30:33], v[36:37] off glc	
s_waitcnt vmcnt(0)
	;;#ASMEND
	v_and_b32_e32 v27, 0xff0000, v30
	v_or_b32_sdwa v27, v30, v27 dst_sel:DWORD dst_unused:UNUSED_PAD src0_sel:WORD_0 src1_sel:DWORD
	v_and_b32_e32 v28, 0xff000000, v30
	v_and_b32_e32 v30, 0xff, v31
	v_or3_b32 v31, 0, 0, v30
	v_or3_b32 v30, v27, v28, 0
	v_cmp_eq_u16_sdwa s[38:39], v32, v29 src0_sel:BYTE_0 src1_sel:DWORD
	s_and_saveexec_b64 s[30:31], s[38:39]
	s_cbranch_execz .LBB1015_106
; %bb.101:
	s_mov_b32 s40, 1
	s_mov_b64 s[38:39], 0
	v_mov_b32_e32 v27, 0
.LBB1015_102:                           ; =>This Loop Header: Depth=1
                                        ;     Child Loop BB1015_103 Depth 2
	s_max_u32 s41, s40, 1
.LBB1015_103:                           ;   Parent Loop BB1015_102 Depth=1
                                        ; =>  This Inner Loop Header: Depth=2
	s_add_i32 s41, s41, -1
	s_cmp_eq_u32 s41, 0
	s_sleep 1
	s_cbranch_scc0 .LBB1015_103
; %bb.104:                              ;   in Loop: Header=BB1015_102 Depth=1
	s_cmp_lt_u32 s40, 32
	s_cselect_b64 s[56:57], -1, 0
	s_cmp_lg_u64 s[56:57], 0
	s_addc_u32 s40, s40, 0
	;;#ASMSTART
	global_load_dwordx4 v[30:33], v[36:37] off glc	
s_waitcnt vmcnt(0)
	;;#ASMEND
	v_cmp_ne_u16_sdwa s[56:57], v32, v27 src0_sel:BYTE_0 src1_sel:DWORD
	s_or_b64 s[38:39], s[56:57], s[38:39]
	s_andn2_b64 exec, exec, s[38:39]
	s_cbranch_execnz .LBB1015_102
; %bb.105:
	s_or_b64 exec, exec, s[38:39]
	v_and_b32_e32 v31, 0xff, v31
.LBB1015_106:
	s_or_b64 exec, exec, s[30:31]
	v_mov_b32_e32 v27, 2
	v_cmp_eq_u16_sdwa s[30:31], v32, v27 src0_sel:BYTE_0 src1_sel:DWORD
	v_lshlrev_b64 v[28:29], v44, -1
	v_and_b32_e32 v33, s31, v29
	v_or_b32_e32 v33, 0x80000000, v33
	v_and_b32_e32 v35, s30, v28
	v_ffbl_b32_e32 v33, v33
	v_and_b32_e32 v45, 63, v44
	v_add_u32_e32 v33, 32, v33
	v_ffbl_b32_e32 v35, v35
	v_cmp_ne_u32_e32 vcc, 63, v45
	v_min_u32_e32 v33, v35, v33
	v_addc_co_u32_e32 v35, vcc, 0, v44, vcc
	v_lshlrev_b32_e32 v46, 2, v35
	ds_bpermute_b32 v35, v46, v31
	ds_bpermute_b32 v36, v46, v30
	s_mov_b32 s38, 0
	v_and_b32_e32 v37, 1, v31
	s_mov_b32 s39, 1
	s_waitcnt lgkmcnt(1)
	v_and_b32_e32 v35, 1, v35
	v_cmp_eq_u32_e32 vcc, 1, v37
	v_cndmask_b32_e64 v35, v35, 1, vcc
	v_cmp_gt_u64_e32 vcc, s[38:39], v[30:31]
	v_cmp_lt_u32_e64 s[30:31], v45, v33
	s_and_b64 vcc, s[30:31], vcc
	v_and_b32_e32 v37, 0xffff, v35
	v_cndmask_b32_e64 v52, v31, v35, s[30:31]
	s_waitcnt lgkmcnt(0)
	v_cndmask_b32_e32 v35, 0, v36, vcc
	v_cmp_gt_u32_e32 vcc, 62, v45
	v_cndmask_b32_e64 v36, 0, 1, vcc
	v_lshlrev_b32_e32 v36, 1, v36
	v_cndmask_b32_e64 v31, v31, v37, s[30:31]
	v_add_lshl_u32 v47, v36, v44, 2
	ds_bpermute_b32 v36, v47, v31
	v_add_u32_e32 v30, v35, v30
	ds_bpermute_b32 v37, v47, v30
	v_and_b32_e32 v35, 1, v52
	v_cmp_eq_u32_e32 vcc, 1, v35
	s_waitcnt lgkmcnt(1)
	v_and_b32_e32 v36, 1, v36
	v_mov_b32_e32 v35, 0
	v_add_u32_e32 v51, 2, v45
	v_cndmask_b32_e64 v36, v36, 1, vcc
	v_cmp_eq_u16_sdwa vcc, v52, v35 src0_sel:BYTE_0 src1_sel:DWORD
	v_and_b32_e32 v53, 0xffff, v36
	s_waitcnt lgkmcnt(0)
	v_cndmask_b32_e32 v37, 0, v37, vcc
	v_cmp_gt_u32_e32 vcc, v51, v33
	v_cndmask_b32_e32 v36, v36, v52, vcc
	v_cndmask_b32_e64 v37, v37, 0, vcc
	v_cndmask_b32_e32 v31, v53, v31, vcc
	v_cmp_gt_u32_e32 vcc, 60, v45
	v_cndmask_b32_e64 v52, 0, 1, vcc
	v_lshlrev_b32_e32 v52, 2, v52
	v_add_lshl_u32 v52, v52, v44, 2
	ds_bpermute_b32 v58, v52, v31
	v_add_u32_e32 v30, v37, v30
	ds_bpermute_b32 v37, v52, v30
	v_and_b32_e32 v59, 1, v36
	v_cmp_eq_u32_e32 vcc, 1, v59
	s_waitcnt lgkmcnt(1)
	v_and_b32_e32 v58, 1, v58
	v_add_u32_e32 v53, 4, v45
	v_cndmask_b32_e64 v58, v58, 1, vcc
	v_cmp_eq_u16_sdwa vcc, v36, v35 src0_sel:BYTE_0 src1_sel:DWORD
	v_and_b32_e32 v59, 0xffff, v58
	s_waitcnt lgkmcnt(0)
	v_cndmask_b32_e32 v37, 0, v37, vcc
	v_cmp_gt_u32_e32 vcc, v53, v33
	v_cndmask_b32_e32 v36, v58, v36, vcc
	v_cndmask_b32_e64 v37, v37, 0, vcc
	v_cndmask_b32_e32 v31, v59, v31, vcc
	v_cmp_gt_u32_e32 vcc, 56, v45
	v_cndmask_b32_e64 v58, 0, 1, vcc
	v_lshlrev_b32_e32 v58, 3, v58
	v_add_lshl_u32 v58, v58, v44, 2
	ds_bpermute_b32 v60, v58, v31
	v_add_u32_e32 v30, v37, v30
	ds_bpermute_b32 v37, v58, v30
	v_and_b32_e32 v61, 1, v36
	v_cmp_eq_u32_e32 vcc, 1, v61
	s_waitcnt lgkmcnt(1)
	v_and_b32_e32 v60, 1, v60
	;; [unrolled: 21-line block ×4, first 2 shown]
	v_add_u32_e32 v64, 32, v45
	v_cndmask_b32_e64 v31, v31, 1, vcc
	v_cmp_eq_u16_sdwa vcc, v36, v35 src0_sel:BYTE_0 src1_sel:DWORD
	s_waitcnt lgkmcnt(0)
	v_cndmask_b32_e32 v37, 0, v37, vcc
	v_cmp_gt_u32_e32 vcc, v64, v33
	v_cndmask_b32_e64 v33, v37, 0, vcc
	v_cndmask_b32_e32 v31, v31, v36, vcc
	v_add_u32_e32 v30, v33, v30
	s_branch .LBB1015_108
.LBB1015_107:                           ;   in Loop: Header=BB1015_108 Depth=1
	s_or_b64 exec, exec, s[30:31]
	v_cmp_eq_u16_sdwa s[30:31], v32, v27 src0_sel:BYTE_0 src1_sel:DWORD
	v_and_b32_e32 v33, s31, v29
	ds_bpermute_b32 v37, v46, v31
	v_or_b32_e32 v33, 0x80000000, v33
	v_and_b32_e32 v36, s30, v28
	v_ffbl_b32_e32 v33, v33
	v_add_u32_e32 v33, 32, v33
	v_ffbl_b32_e32 v36, v36
	v_min_u32_e32 v33, v36, v33
	ds_bpermute_b32 v36, v46, v30
	v_and_b32_e32 v65, 1, v31
	s_waitcnt lgkmcnt(1)
	v_and_b32_e32 v37, 1, v37
	v_cmp_eq_u32_e32 vcc, 1, v65
	v_cndmask_b32_e64 v37, v37, 1, vcc
	v_cmp_gt_u64_e32 vcc, s[38:39], v[30:31]
	v_and_b32_e32 v65, 0xffff, v37
	v_cmp_lt_u32_e64 s[30:31], v45, v33
	v_cndmask_b32_e64 v37, v31, v37, s[30:31]
	v_cndmask_b32_e64 v31, v31, v65, s[30:31]
	s_and_b64 vcc, s[30:31], vcc
	ds_bpermute_b32 v65, v47, v31
	s_waitcnt lgkmcnt(1)
	v_cndmask_b32_e32 v36, 0, v36, vcc
	v_add_u32_e32 v30, v36, v30
	ds_bpermute_b32 v36, v47, v30
	v_and_b32_e32 v66, 1, v37
	s_waitcnt lgkmcnt(1)
	v_and_b32_e32 v65, 1, v65
	v_cmp_eq_u32_e32 vcc, 1, v66
	v_cndmask_b32_e64 v65, v65, 1, vcc
	v_cmp_eq_u16_sdwa vcc, v37, v35 src0_sel:BYTE_0 src1_sel:DWORD
	v_and_b32_e32 v66, 0xffff, v65
	s_waitcnt lgkmcnt(0)
	v_cndmask_b32_e32 v36, 0, v36, vcc
	v_cmp_gt_u32_e32 vcc, v51, v33
	v_cndmask_b32_e32 v31, v66, v31, vcc
	v_cndmask_b32_e32 v37, v65, v37, vcc
	ds_bpermute_b32 v65, v52, v31
	v_cndmask_b32_e64 v36, v36, 0, vcc
	v_add_u32_e32 v30, v36, v30
	ds_bpermute_b32 v36, v52, v30
	v_and_b32_e32 v66, 1, v37
	s_waitcnt lgkmcnt(1)
	v_and_b32_e32 v65, 1, v65
	v_cmp_eq_u32_e32 vcc, 1, v66
	v_cndmask_b32_e64 v65, v65, 1, vcc
	v_cmp_eq_u16_sdwa vcc, v37, v35 src0_sel:BYTE_0 src1_sel:DWORD
	v_and_b32_e32 v66, 0xffff, v65
	s_waitcnt lgkmcnt(0)
	v_cndmask_b32_e32 v36, 0, v36, vcc
	v_cmp_gt_u32_e32 vcc, v53, v33
	v_cndmask_b32_e32 v31, v66, v31, vcc
	v_cndmask_b32_e32 v37, v65, v37, vcc
	ds_bpermute_b32 v65, v58, v31
	v_cndmask_b32_e64 v36, v36, 0, vcc
	v_add_u32_e32 v30, v36, v30
	ds_bpermute_b32 v36, v58, v30
	v_and_b32_e32 v66, 1, v37
	s_waitcnt lgkmcnt(1)
	v_and_b32_e32 v65, 1, v65
	v_cmp_eq_u32_e32 vcc, 1, v66
	v_cndmask_b32_e64 v65, v65, 1, vcc
	v_cmp_eq_u16_sdwa vcc, v37, v35 src0_sel:BYTE_0 src1_sel:DWORD
	v_and_b32_e32 v66, 0xffff, v65
	s_waitcnt lgkmcnt(0)
	v_cndmask_b32_e32 v36, 0, v36, vcc
	v_cmp_gt_u32_e32 vcc, v59, v33
	v_cndmask_b32_e32 v31, v66, v31, vcc
	v_cndmask_b32_e32 v37, v65, v37, vcc
	ds_bpermute_b32 v65, v60, v31
	v_cndmask_b32_e64 v36, v36, 0, vcc
	v_add_u32_e32 v30, v36, v30
	ds_bpermute_b32 v36, v60, v30
	v_and_b32_e32 v66, 1, v37
	s_waitcnt lgkmcnt(1)
	v_and_b32_e32 v65, 1, v65
	v_cmp_eq_u32_e32 vcc, 1, v66
	v_cndmask_b32_e64 v65, v65, 1, vcc
	v_cmp_eq_u16_sdwa vcc, v37, v35 src0_sel:BYTE_0 src1_sel:DWORD
	v_and_b32_e32 v66, 0xffff, v65
	s_waitcnt lgkmcnt(0)
	v_cndmask_b32_e32 v36, 0, v36, vcc
	v_cmp_gt_u32_e32 vcc, v61, v33
	v_cndmask_b32_e64 v36, v36, 0, vcc
	v_cndmask_b32_e32 v31, v66, v31, vcc
	ds_bpermute_b32 v31, v63, v31
	v_add_u32_e32 v30, v36, v30
	ds_bpermute_b32 v36, v63, v30
	v_cndmask_b32_e32 v37, v65, v37, vcc
	v_and_b32_e32 v65, 1, v37
	v_cmp_eq_u32_e32 vcc, 1, v65
	s_waitcnt lgkmcnt(1)
	v_cndmask_b32_e64 v31, v31, 1, vcc
	v_cmp_eq_u16_sdwa vcc, v37, v35 src0_sel:BYTE_0 src1_sel:DWORD
	s_waitcnt lgkmcnt(0)
	v_cndmask_b32_e32 v36, 0, v36, vcc
	v_cmp_gt_u32_e32 vcc, v64, v33
	v_cndmask_b32_e64 v33, v36, 0, vcc
	v_cndmask_b32_e32 v31, v31, v37, vcc
	v_add_u32_e32 v30, v33, v30
	v_cmp_eq_u16_sdwa vcc, v44, v35 src0_sel:BYTE_0 src1_sel:DWORD
	v_and_b32_e32 v33, 1, v44
	v_cndmask_b32_e32 v30, 0, v30, vcc
	v_and_b32_e32 v31, 1, v31
	v_cmp_eq_u32_e32 vcc, 1, v33
	v_subrev_u32_e32 v34, 64, v34
	v_add_u32_e32 v30, v30, v62
	v_cndmask_b32_e64 v31, v31, 1, vcc
.LBB1015_108:                           ; =>This Loop Header: Depth=1
                                        ;     Child Loop BB1015_111 Depth 2
                                        ;       Child Loop BB1015_112 Depth 3
	v_cmp_ne_u16_sdwa s[30:31], v32, v27 src0_sel:BYTE_0 src1_sel:DWORD
	v_mov_b32_e32 v44, v31
	v_cndmask_b32_e64 v31, 0, 1, s[30:31]
	;;#ASMSTART
	;;#ASMEND
	v_cmp_ne_u32_e32 vcc, 0, v31
	s_cmp_lg_u64 vcc, exec
	v_mov_b32_e32 v62, v30
	s_cbranch_scc1 .LBB1015_115
; %bb.109:                              ;   in Loop: Header=BB1015_108 Depth=1
	v_lshlrev_b64 v[30:31], 4, v[34:35]
	v_mov_b32_e32 v32, s45
	v_add_co_u32_e32 v36, vcc, s44, v30
	v_addc_co_u32_e32 v37, vcc, v32, v31, vcc
	;;#ASMSTART
	global_load_dwordx4 v[30:33], v[36:37] off glc	
s_waitcnt vmcnt(0)
	;;#ASMEND
	v_and_b32_e32 v33, 0xff0000, v30
	v_or_b32_sdwa v33, v30, v33 dst_sel:DWORD dst_unused:UNUSED_PAD src0_sel:WORD_0 src1_sel:DWORD
	v_and_b32_e32 v30, 0xff000000, v30
	v_and_b32_e32 v31, 0xff, v31
	v_or3_b32 v31, 0, 0, v31
	v_or3_b32 v30, v33, v30, 0
	v_cmp_eq_u16_sdwa s[40:41], v32, v35 src0_sel:BYTE_0 src1_sel:DWORD
	s_and_saveexec_b64 s[30:31], s[40:41]
	s_cbranch_execz .LBB1015_107
; %bb.110:                              ;   in Loop: Header=BB1015_108 Depth=1
	s_mov_b32 s49, 1
	s_mov_b64 s[40:41], 0
.LBB1015_111:                           ;   Parent Loop BB1015_108 Depth=1
                                        ; =>  This Loop Header: Depth=2
                                        ;       Child Loop BB1015_112 Depth 3
	s_max_u32 s55, s49, 1
.LBB1015_112:                           ;   Parent Loop BB1015_108 Depth=1
                                        ;     Parent Loop BB1015_111 Depth=2
                                        ; =>    This Inner Loop Header: Depth=3
	s_add_i32 s55, s55, -1
	s_cmp_eq_u32 s55, 0
	s_sleep 1
	s_cbranch_scc0 .LBB1015_112
; %bb.113:                              ;   in Loop: Header=BB1015_111 Depth=2
	s_cmp_lt_u32 s49, 32
	s_cselect_b64 s[56:57], -1, 0
	s_cmp_lg_u64 s[56:57], 0
	s_addc_u32 s49, s49, 0
	;;#ASMSTART
	global_load_dwordx4 v[30:33], v[36:37] off glc	
s_waitcnt vmcnt(0)
	;;#ASMEND
	v_cmp_ne_u16_sdwa s[56:57], v32, v35 src0_sel:BYTE_0 src1_sel:DWORD
	s_or_b64 s[40:41], s[56:57], s[40:41]
	s_andn2_b64 exec, exec, s[40:41]
	s_cbranch_execnz .LBB1015_111
; %bb.114:                              ;   in Loop: Header=BB1015_108 Depth=1
	s_or_b64 exec, exec, s[40:41]
	v_and_b32_e32 v31, 0xff, v31
	s_branch .LBB1015_107
.LBB1015_115:                           ;   in Loop: Header=BB1015_108 Depth=1
                                        ; implicit-def: $vgpr31
                                        ; implicit-def: $vgpr30
                                        ; implicit-def: $vgpr32
	s_cbranch_execz .LBB1015_108
; %bb.116:
	s_and_saveexec_b64 s[30:31], s[28:29]
	s_cbranch_execz .LBB1015_118
; %bb.117:
	s_and_b32 s38, s48, 0xff
	s_cmp_eq_u32 s38, 0
	s_cselect_b64 vcc, -1, 0
	s_bitcmp1_b32 s48, 0
	s_mov_b32 s39, 0
	s_cselect_b64 s[40:41], -1, 0
	s_add_i32 s38, s47, 64
	s_lshl_b64 s[38:39], s[38:39], 4
	v_cndmask_b32_e32 v27, 0, v62, vcc
	s_add_u32 s38, s44, s38
	v_add_u32_e32 v26, v27, v26
	v_and_b32_e32 v27, 1, v44
	s_addc_u32 s39, s45, s39
	v_mov_b32_e32 v29, 0
	v_cndmask_b32_e64 v27, v27, 1, s[40:41]
	v_mov_b32_e32 v28, 2
	v_pk_mov_b32 v[30:31], s[38:39], s[38:39] op_sel:[0,1]
	;;#ASMSTART
	global_store_dwordx4 v[30:31], v[26:29] off	
s_waitcnt vmcnt(0)
	;;#ASMEND
.LBB1015_118:
	s_or_b64 exec, exec, s[30:31]
	s_and_b64 exec, exec, s[0:1]
	s_cbranch_execz .LBB1015_120
; %bb.119:
	v_mov_b32_e32 v26, 0
	ds_write_b32 v26, v62 offset:24
	ds_write_b8 v26, v44 offset:28
.LBB1015_120:
	s_or_b64 exec, exec, s[36:37]
	v_mov_b32_e32 v28, 0
	s_waitcnt lgkmcnt(0)
	s_barrier
	ds_read_b32 v26, v28 offset:24
	v_cndmask_b32_e64 v27, v43, v41, s[28:29]
	v_cmp_eq_u16_sdwa vcc, v27, v28 src0_sel:BYTE_0 src1_sel:DWORD
	v_cndmask_b32_e64 v29, v42, v40, s[28:29]
	s_waitcnt lgkmcnt(0)
	v_cndmask_b32_e32 v27, 0, v26, vcc
	v_add_u32_e32 v27, v27, v29
	v_and_b32_e32 v29, 0xff, v57
	v_cndmask_b32_e64 v26, v27, v26, s[0:1]
	v_cmp_eq_u64_e32 vcc, 0, v[28:29]
	v_cndmask_b32_e32 v27, 0, v26, vcc
	v_add_u32_e32 v27, v27, v56
	v_cndmask_b32_e64 v28, 0, v27, s[4:5]
	v_add_u32_e32 v40, v28, v8
	v_cndmask_b32_e64 v28, 0, v40, s[6:7]
	;; [unrolled: 2-line block ×12, first 2 shown]
	v_add_u32_e32 v47, v28, v24
	s_branch .LBB1015_147
.LBB1015_121:
	s_or_b64 exec, exec, s[30:31]
                                        ; implicit-def: $vgpr4
	s_and_saveexec_b64 s[30:31], s[4:5]
	s_cbranch_execz .LBB1015_37
.LBB1015_122:
	v_add_co_u32_e32 v4, vcc, v1, v73
	v_addc_co_u32_e32 v5, vcc, 0, v63, vcc
	flat_load_dword v4, v[4:5] offset:2048
	s_or_b64 exec, exec, s[30:31]
                                        ; implicit-def: $vgpr5
	s_and_saveexec_b64 s[4:5], s[6:7]
	s_cbranch_execnz .LBB1015_38
.LBB1015_123:
	s_or_b64 exec, exec, s[4:5]
                                        ; implicit-def: $vgpr6
	s_and_saveexec_b64 s[4:5], s[8:9]
	s_cbranch_execz .LBB1015_39
.LBB1015_124:
	v_lshlrev_b32_e32 v6, 3, v57
	v_add_co_u32_e32 v6, vcc, v1, v6
	v_addc_co_u32_e32 v7, vcc, 0, v63, vcc
	flat_load_dword v6, v[6:7]
	s_or_b64 exec, exec, s[4:5]
                                        ; implicit-def: $vgpr7
	s_and_saveexec_b64 s[4:5], s[10:11]
	s_cbranch_execnz .LBB1015_40
.LBB1015_125:
	s_or_b64 exec, exec, s[4:5]
                                        ; implicit-def: $vgpr8
	s_and_saveexec_b64 s[4:5], s[12:13]
	s_cbranch_execz .LBB1015_41
.LBB1015_126:
	v_lshlrev_b32_e32 v8, 3, v64
	v_add_co_u32_e32 v8, vcc, v1, v8
	v_addc_co_u32_e32 v9, vcc, 0, v63, vcc
	flat_load_dword v8, v[8:9]
	s_or_b64 exec, exec, s[4:5]
                                        ; implicit-def: $vgpr9
	s_and_saveexec_b64 s[4:5], s[14:15]
	s_cbranch_execnz .LBB1015_42
.LBB1015_127:
	s_or_b64 exec, exec, s[4:5]
                                        ; implicit-def: $vgpr10
	s_and_saveexec_b64 s[4:5], s[16:17]
	s_cbranch_execz .LBB1015_43
.LBB1015_128:
	v_lshlrev_b32_e32 v10, 3, v66
	v_add_co_u32_e32 v10, vcc, v1, v10
	v_addc_co_u32_e32 v11, vcc, 0, v63, vcc
	flat_load_dword v10, v[10:11]
	s_or_b64 exec, exec, s[4:5]
                                        ; implicit-def: $vgpr11
	s_and_saveexec_b64 s[4:5], s[18:19]
	s_cbranch_execnz .LBB1015_44
.LBB1015_129:
	s_or_b64 exec, exec, s[4:5]
                                        ; implicit-def: $vgpr12
	s_and_saveexec_b64 s[4:5], s[20:21]
	s_cbranch_execz .LBB1015_45
.LBB1015_130:
	v_lshlrev_b32_e32 v12, 3, v68
	v_add_co_u32_e32 v12, vcc, v1, v12
	v_addc_co_u32_e32 v13, vcc, 0, v63, vcc
	flat_load_dword v12, v[12:13]
	s_or_b64 exec, exec, s[4:5]
                                        ; implicit-def: $vgpr13
	s_and_saveexec_b64 s[4:5], s[22:23]
	s_cbranch_execnz .LBB1015_46
.LBB1015_131:
	s_or_b64 exec, exec, s[4:5]
                                        ; implicit-def: $vgpr14
	s_and_saveexec_b64 s[4:5], s[24:25]
	s_cbranch_execz .LBB1015_47
.LBB1015_132:
	v_lshlrev_b32_e32 v14, 3, v70
	v_add_co_u32_e32 v14, vcc, v1, v14
	v_addc_co_u32_e32 v15, vcc, 0, v63, vcc
	flat_load_dword v14, v[14:15]
	s_or_b64 exec, exec, s[4:5]
                                        ; implicit-def: $vgpr15
	s_and_saveexec_b64 s[4:5], s[26:27]
	s_cbranch_execz .LBB1015_49
	s_branch .LBB1015_48
.LBB1015_133:
                                        ; implicit-def: $vgpr47
                                        ; implicit-def: $vgpr45
                                        ; implicit-def: $vgpr43
                                        ; implicit-def: $vgpr41
                                        ; implicit-def: $vgpr34_vgpr35_vgpr36_vgpr37
                                        ; implicit-def: $vgpr30_vgpr31_vgpr32_vgpr33
                                        ; implicit-def: $vgpr26_vgpr27_vgpr28_vgpr29
	s_cbranch_execz .LBB1015_147
; %bb.134:
	s_cmp_lg_u64 s[52:53], 0
	s_cselect_b32 s5, s51, 0
	s_cselect_b32 s4, s50, 0
	s_mov_b32 s26, 0
	s_cmp_eq_u64 s[4:5], 0
	v_mov_b32_e32 v32, s54
	s_cbranch_scc1 .LBB1015_136
; %bb.135:
	v_mov_b32_e32 v26, 0
	global_load_dword v32, v26, s[4:5]
.LBB1015_136:
	s_mov_b32 s27, 1
	v_cmp_gt_u64_e32 vcc, s[26:27], v[8:9]
	v_cndmask_b32_e32 v27, 0, v56, vcc
	v_add_u32_e32 v27, v27, v8
	v_cmp_gt_u64_e64 s[4:5], s[26:27], v[6:7]
	v_cndmask_b32_e64 v27, 0, v27, s[4:5]
	v_add_u32_e32 v27, v27, v6
	v_cmp_gt_u64_e64 s[6:7], s[26:27], v[4:5]
	v_cndmask_b32_e64 v27, 0, v27, s[6:7]
	;; [unrolled: 3-line block ×11, first 2 shown]
	v_mov_b32_e32 v26, 0
	v_add_u32_e32 v27, v27, v24
	v_cmp_gt_u64_e64 s[26:27], s[26:27], v[38:39]
	v_or3_b32 v7, v23, v15, v7
	v_cndmask_b32_e64 v27, 0, v27, s[26:27]
	v_or3_b32 v9, v25, v17, v9
	v_and_b32_e32 v35, 1, v7
	v_mov_b32_e32 v34, v26
	v_add_u32_e32 v33, v27, v38
	v_and_b32_e32 v27, 1, v39
	v_or3_b32 v3, v19, v11, v3
	v_and_b32_e32 v31, 1, v9
	v_mov_b32_e32 v30, v26
	v_cmp_ne_u64_e64 s[28:29], 0, v[34:35]
	v_cmp_eq_u32_e64 s[26:27], 1, v27
	v_or3_b32 v5, v21, v13, v5
	v_and_b32_e32 v27, 1, v3
	v_cndmask_b32_e64 v3, 0, 1, s[28:29]
	v_cmp_ne_u64_e64 s[28:29], 0, v[30:31]
	v_and_b32_e32 v29, 1, v5
	v_mov_b32_e32 v28, v26
	v_cndmask_b32_e64 v5, 0, 1, s[28:29]
	v_lshlrev_b16_e32 v3, 2, v3
	v_lshlrev_b16_e32 v5, 3, v5
	v_cmp_ne_u64_e64 s[28:29], 0, v[28:29]
	v_or_b32_e32 v3, v5, v3
	v_cndmask_b32_e64 v5, 0, 1, s[28:29]
	v_cmp_ne_u64_e64 s[28:29], 0, v[26:27]
	v_lshlrev_b16_e32 v5, 1, v5
	v_cndmask_b32_e64 v7, 0, 1, s[28:29]
	v_or_b32_e32 v5, v7, v5
	v_and_b32_e32 v5, 3, v5
	v_or_b32_e32 v3, v5, v3
	v_and_b32_e32 v3, 15, v3
	v_cmp_ne_u16_e64 s[28:29], 0, v3
	s_or_b64 s[26:27], s[26:27], s[28:29]
	v_cndmask_b32_e64 v5, v57, 1, s[26:27]
	v_and_b32_e32 v7, 0xff, v5
	v_mov_b32_dpp v11, v33 row_shr:1 row_mask:0xf bank_mask:0xf
	v_cmp_eq_u16_e64 s[26:27], 0, v7
	v_mov_b32_dpp v13, v7 row_shr:1 row_mask:0xf bank_mask:0xf
	v_and_b32_e32 v15, 1, v5
	v_mbcnt_hi_u32_b32 v3, -1, v50
	v_cndmask_b32_e64 v11, 0, v11, s[26:27]
	v_and_b32_e32 v13, 1, v13
	v_cmp_eq_u32_e64 s[26:27], 1, v15
	v_and_b32_e32 v9, 15, v3
	v_cndmask_b32_e64 v13, v13, 1, s[26:27]
	v_and_b32_e32 v15, 0xffff, v13
	v_cmp_eq_u32_e64 s[26:27], 0, v9
	v_cndmask_b32_e64 v5, v13, v5, s[26:27]
	v_cndmask_b32_e64 v7, v15, v7, s[26:27]
	v_and_b32_e32 v17, 1, v5
	v_cndmask_b32_e64 v11, v11, 0, s[26:27]
	v_mov_b32_dpp v15, v7 row_shr:2 row_mask:0xf bank_mask:0xf
	v_and_b32_e32 v15, 1, v15
	v_cmp_eq_u32_e64 s[26:27], 1, v17
	v_cndmask_b32_e64 v15, v15, 1, s[26:27]
	v_and_b32_e32 v17, 0xffff, v15
	v_cmp_lt_u32_e64 s[26:27], 1, v9
	v_add_u32_e32 v11, v11, v33
	v_cmp_eq_u16_sdwa s[28:29], v5, v26 src0_sel:BYTE_0 src1_sel:DWORD
	v_cndmask_b32_e64 v5, v5, v15, s[26:27]
	v_cndmask_b32_e64 v7, v7, v17, s[26:27]
	v_mov_b32_dpp v13, v11 row_shr:2 row_mask:0xf bank_mask:0xf
	s_and_b64 s[26:27], s[26:27], s[28:29]
	v_mov_b32_dpp v15, v7 row_shr:4 row_mask:0xf bank_mask:0xf
	v_and_b32_e32 v17, 1, v5
	v_cndmask_b32_e64 v13, 0, v13, s[26:27]
	v_and_b32_e32 v15, 1, v15
	v_cmp_eq_u32_e64 s[26:27], 1, v17
	v_cndmask_b32_e64 v15, v15, 1, s[26:27]
	v_and_b32_e32 v17, 0xffff, v15
	v_cmp_lt_u32_e64 s[26:27], 3, v9
	v_add_u32_e32 v11, v13, v11
	v_cmp_eq_u16_sdwa s[28:29], v5, v26 src0_sel:BYTE_0 src1_sel:DWORD
	v_cndmask_b32_e64 v5, v5, v15, s[26:27]
	v_cndmask_b32_e64 v7, v7, v17, s[26:27]
	v_mov_b32_dpp v13, v11 row_shr:4 row_mask:0xf bank_mask:0xf
	s_and_b64 s[26:27], s[26:27], s[28:29]
	v_mov_b32_dpp v15, v7 row_shr:8 row_mask:0xf bank_mask:0xf
	v_and_b32_e32 v17, 1, v5
	v_cndmask_b32_e64 v13, 0, v13, s[26:27]
	v_and_b32_e32 v15, 1, v15
	v_cmp_eq_u32_e64 s[26:27], 1, v17
	v_cndmask_b32_e64 v15, v15, 1, s[26:27]
	v_add_u32_e32 v11, v13, v11
	v_cmp_eq_u16_sdwa s[28:29], v5, v26 src0_sel:BYTE_0 src1_sel:DWORD
	v_and_b32_e32 v17, 0xffff, v15
	v_cmp_lt_u32_e64 s[26:27], 7, v9
	v_mov_b32_dpp v13, v11 row_shr:8 row_mask:0xf bank_mask:0xf
	v_cndmask_b32_e64 v5, v5, v15, s[26:27]
	v_cndmask_b32_e64 v7, v7, v17, s[26:27]
	s_and_b64 s[26:27], s[26:27], s[28:29]
	v_cndmask_b32_e64 v9, 0, v13, s[26:27]
	v_add_u32_e32 v9, v9, v11
	v_mov_b32_dpp v13, v7 row_bcast:15 row_mask:0xf bank_mask:0xf
	v_cmp_eq_u16_sdwa s[26:27], v5, v26 src0_sel:BYTE_0 src1_sel:DWORD
	v_mov_b32_dpp v11, v9 row_bcast:15 row_mask:0xf bank_mask:0xf
	v_and_b32_e32 v19, 1, v5
	v_cndmask_b32_e64 v11, 0, v11, s[26:27]
	v_and_b32_e32 v13, 1, v13
	v_cmp_eq_u32_e64 s[26:27], 1, v19
	v_and_b32_e32 v17, 16, v3
	v_cndmask_b32_e64 v13, v13, 1, s[26:27]
	v_and_b32_e32 v19, 0xffff, v13
	v_cmp_eq_u32_e64 s[26:27], 0, v17
	v_cndmask_b32_e64 v5, v13, v5, s[26:27]
	v_cndmask_b32_e64 v7, v19, v7, s[26:27]
	v_bfe_i32 v15, v3, 4, 1
	v_and_b32_e32 v13, 1, v5
	v_mov_b32_dpp v7, v7 row_bcast:31 row_mask:0xf bank_mask:0xf
	v_and_b32_e32 v11, v15, v11
	v_and_b32_e32 v7, 1, v7
	v_cmp_eq_u32_e64 s[26:27], 1, v13
	v_add_u32_e32 v9, v11, v9
	v_cmp_eq_u16_sdwa s[28:29], v5, v26 src0_sel:BYTE_0 src1_sel:DWORD
	v_cndmask_b32_e64 v7, v7, 1, s[26:27]
	v_cmp_lt_u32_e64 s[26:27], 31, v3
	v_mov_b32_dpp v11, v9 row_bcast:31 row_mask:0xf bank_mask:0xf
	v_cndmask_b32_e64 v5, v5, v7, s[26:27]
	s_and_b64 s[26:27], s[26:27], s[28:29]
	v_cndmask_b32_e64 v7, 0, v11, s[26:27]
	v_add_u32_e32 v7, v7, v9
	v_cmp_eq_u32_e64 s[26:27], v49, v0
	s_and_saveexec_b64 s[28:29], s[26:27]
	s_cbranch_execz .LBB1015_138
; %bb.137:
	v_lshlrev_b32_e32 v9, 3, v1
	ds_write_b32 v9, v7
	ds_write_b8 v9, v5 offset:4
.LBB1015_138:
	s_or_b64 exec, exec, s[28:29]
	v_cmp_gt_u32_e64 s[26:27], 4, v0
	s_waitcnt lgkmcnt(0)
	s_barrier
	s_and_saveexec_b64 s[28:29], s[26:27]
	s_cbranch_execz .LBB1015_142
; %bb.139:
	ds_read_b64 v[26:27], v48
	v_and_b32_e32 v9, 3, v3
	v_cmp_ne_u32_e64 s[26:27], 0, v9
	s_waitcnt lgkmcnt(0)
	v_mov_b32_dpp v11, v26 row_shr:1 row_mask:0xf bank_mask:0xf
	v_mov_b32_dpp v15, v27 row_shr:1 row_mask:0xf bank_mask:0xf
	v_mov_b32_e32 v13, v27
	s_and_saveexec_b64 s[30:31], s[26:27]
	s_cbranch_execz .LBB1015_141
; %bb.140:
	v_and_b32_e32 v13, 1, v27
	v_and_b32_e32 v15, 1, v15
	v_cmp_eq_u32_e64 s[26:27], 1, v13
	v_mov_b32_e32 v13, 0
	v_cndmask_b32_e64 v15, v15, 1, s[26:27]
	v_cmp_eq_u16_sdwa s[26:27], v27, v13 src0_sel:BYTE_0 src1_sel:DWORD
	v_cndmask_b32_e64 v11, 0, v11, s[26:27]
	v_add_u32_e32 v26, v11, v26
	v_and_b32_e32 v11, 0xffff, v15
	s_movk_i32 s26, 0xff00
	v_and_or_b32 v13, v27, s26, v11
	v_mov_b32_e32 v27, v15
.LBB1015_141:
	s_or_b64 exec, exec, s[30:31]
	v_mov_b32_dpp v13, v13 row_shr:2 row_mask:0xf bank_mask:0xf
	v_and_b32_e32 v15, 1, v27
	v_and_b32_e32 v13, 1, v13
	v_cmp_eq_u32_e64 s[26:27], 1, v15
	v_mov_b32_e32 v15, 0
	v_cndmask_b32_e64 v13, v13, 1, s[26:27]
	v_cmp_eq_u16_sdwa s[30:31], v27, v15 src0_sel:BYTE_0 src1_sel:DWORD
	v_cmp_lt_u32_e64 s[26:27], 1, v9
	v_mov_b32_dpp v11, v26 row_shr:2 row_mask:0xf bank_mask:0xf
	v_cndmask_b32_e64 v9, v27, v13, s[26:27]
	s_and_b64 s[26:27], s[26:27], s[30:31]
	v_cndmask_b32_e64 v11, 0, v11, s[26:27]
	v_add_u32_e32 v11, v11, v26
	ds_write_b32 v48, v11
	ds_write_b8 v48, v9 offset:4
.LBB1015_142:
	s_or_b64 exec, exec, s[28:29]
	v_cmp_lt_u32_e64 s[26:27], 63, v0
	s_waitcnt vmcnt(0)
	v_mov_b32_e32 v9, v32
	s_waitcnt lgkmcnt(0)
	s_barrier
	s_and_saveexec_b64 s[28:29], s[26:27]
	s_cbranch_execz .LBB1015_144
; %bb.143:
	v_lshl_add_u32 v1, v1, 3, -8
	ds_read_u8 v9, v1 offset:4
	ds_read_b32 v1, v1
	s_waitcnt lgkmcnt(1)
	v_cmp_eq_u16_e64 s[26:27], 0, v9
	v_cndmask_b32_e64 v9, 0, v32, s[26:27]
	s_waitcnt lgkmcnt(0)
	v_add_u32_e32 v9, v9, v1
.LBB1015_144:
	s_or_b64 exec, exec, s[28:29]
	v_mov_b32_e32 v28, 0
	v_cmp_eq_u16_sdwa s[26:27], v5, v28 src0_sel:BYTE_0 src1_sel:DWORD
	v_cndmask_b32_e64 v1, 0, v9, s[26:27]
	v_add_u32_e32 v1, v1, v7
	v_add_u32_e32 v5, -1, v3
	v_and_b32_e32 v7, 64, v3
	v_cmp_lt_i32_e64 s[26:27], v5, v7
	v_cndmask_b32_e64 v5, v5, v3, s[26:27]
	v_lshlrev_b32_e32 v5, 2, v5
	ds_bpermute_b32 v1, v5, v1
	v_cmp_eq_u32_e64 s[26:27], 0, v3
	v_and_b32_e32 v29, 0xff, v57
	s_waitcnt lgkmcnt(0)
	v_cndmask_b32_e64 v26, v1, v9, s[26:27]
	v_cndmask_b32_e64 v1, v26, v32, s[0:1]
	v_cmp_eq_u64_e64 s[26:27], 0, v[28:29]
	v_cndmask_b32_e64 v1, 0, v1, s[26:27]
	v_add_u32_e32 v27, v1, v56
	v_cndmask_b32_e32 v1, 0, v27, vcc
	v_add_u32_e32 v40, v1, v8
	v_cndmask_b32_e64 v1, 0, v40, s[4:5]
	v_add_u32_e32 v41, v1, v6
	v_cndmask_b32_e64 v1, 0, v41, s[6:7]
	v_add_u32_e32 v30, v1, v4
	v_cndmask_b32_e64 v1, 0, v30, s[8:9]
	v_add_u32_e32 v31, v1, v2
	v_cndmask_b32_e64 v1, 0, v31, s[10:11]
	v_add_u32_e32 v42, v1, v16
	v_cndmask_b32_e64 v1, 0, v42, s[12:13]
	v_add_u32_e32 v43, v1, v14
	v_cndmask_b32_e64 v1, 0, v43, s[14:15]
	v_add_u32_e32 v34, v1, v12
	v_cndmask_b32_e64 v1, 0, v34, s[16:17]
	v_add_u32_e32 v35, v1, v10
	v_cndmask_b32_e64 v1, 0, v35, s[18:19]
	v_add_u32_e32 v44, v1, v18
	v_cndmask_b32_e64 v1, 0, v44, s[20:21]
	v_add_u32_e32 v45, v1, v20
	v_cndmask_b32_e64 v1, 0, v45, s[22:23]
	v_add_u32_e32 v46, v1, v22
	v_cndmask_b32_e64 v1, 0, v46, s[24:25]
	s_and_saveexec_b64 s[4:5], s[0:1]
	s_cbranch_execz .LBB1015_146
; %bb.145:
	ds_read_u8 v3, v28 offset:28
	ds_read_b32 v2, v28 offset:24
	s_add_u32 s0, s44, 0x400
	s_addc_u32 s1, s45, 0
	v_mov_b32_e32 v5, v28
	s_waitcnt lgkmcnt(1)
	v_cmp_eq_u16_e32 vcc, 0, v3
	v_cndmask_b32_e32 v4, 0, v32, vcc
	s_waitcnt lgkmcnt(0)
	v_add_u32_e32 v2, v4, v2
	v_and_b32_e32 v3, 0xffff, v3
	v_mov_b32_e32 v4, 2
	v_pk_mov_b32 v[6:7], s[0:1], s[0:1] op_sel:[0,1]
	;;#ASMSTART
	global_store_dwordx4 v[6:7], v[2:5] off	
s_waitcnt vmcnt(0)
	;;#ASMEND
	v_mov_b32_e32 v26, v32
.LBB1015_146:
	s_or_b64 exec, exec, s[4:5]
	v_add_u32_e32 v47, v1, v24
.LBB1015_147:
	s_add_u32 s0, s42, s34
	s_addc_u32 s1, s43, s35
	v_mov_b32_e32 v1, s1
	v_add_co_u32_e32 v18, vcc, s0, v54
	v_addc_co_u32_e32 v19, vcc, v1, v55, vcc
	v_mul_u32_u24_e32 v1, 14, v0
	s_and_b64 vcc, exec, s[2:3]
	v_lshlrev_b32_e32 v2, 2, v1
	s_cbranch_vccz .LBB1015_175
; %bb.148:
	s_movk_i32 s0, 0xffcc
	v_mad_i32_i24 v3, v0, s0, v2
	s_barrier
	ds_write2_b64 v2, v[26:27], v[40:41] offset1:1
	ds_write2_b64 v2, v[30:31], v[42:43] offset0:2 offset1:3
	ds_write2_b64 v2, v[34:35], v[44:45] offset0:4 offset1:5
	ds_write_b64 v2, v[46:47] offset:48
	s_waitcnt lgkmcnt(0)
	s_barrier
	ds_read2st64_b32 v[16:17], v3 offset0:4 offset1:8
	ds_read2st64_b32 v[14:15], v3 offset0:12 offset1:16
	;; [unrolled: 1-line block ×6, first 2 shown]
	ds_read_b32 v3, v3 offset:13312
	v_add_co_u32_e32 v4, vcc, v18, v48
	s_add_i32 s33, s33, s46
	v_addc_co_u32_e32 v5, vcc, 0, v19, vcc
	v_mov_b32_e32 v1, 0
	v_cmp_gt_u32_e32 vcc, s33, v0
	s_and_saveexec_b64 s[0:1], vcc
	s_cbranch_execz .LBB1015_150
; %bb.149:
	v_mul_i32_i24_e32 v20, 0xffffffcc, v0
	v_add_u32_e32 v20, v2, v20
	ds_read_b32 v20, v20
	s_waitcnt lgkmcnt(0)
	v_ashrrev_i32_e32 v21, 31, v20
	flat_store_dwordx2 v[4:5], v[20:21]
.LBB1015_150:
	s_or_b64 exec, exec, s[0:1]
	v_or_b32_e32 v20, 0x100, v0
	v_cmp_gt_u32_e32 vcc, s33, v20
	s_and_saveexec_b64 s[0:1], vcc
	s_cbranch_execz .LBB1015_152
; %bb.151:
	s_waitcnt lgkmcnt(0)
	v_ashrrev_i32_e32 v21, 31, v16
	v_mov_b32_e32 v20, v16
	flat_store_dwordx2 v[4:5], v[20:21] offset:2048
.LBB1015_152:
	s_or_b64 exec, exec, s[0:1]
	s_waitcnt lgkmcnt(0)
	v_or_b32_e32 v16, 0x200, v0
	v_cmp_gt_u32_e32 vcc, s33, v16
	s_and_saveexec_b64 s[0:1], vcc
	s_cbranch_execz .LBB1015_154
; %bb.153:
	v_add_co_u32_e32 v16, vcc, 0x1000, v4
	v_ashrrev_i32_e32 v21, 31, v17
	v_mov_b32_e32 v20, v17
	v_addc_co_u32_e32 v17, vcc, 0, v5, vcc
	flat_store_dwordx2 v[16:17], v[20:21]
.LBB1015_154:
	s_or_b64 exec, exec, s[0:1]
	v_or_b32_e32 v16, 0x300, v0
	v_cmp_gt_u32_e32 vcc, s33, v16
	s_and_saveexec_b64 s[0:1], vcc
	s_cbranch_execz .LBB1015_156
; %bb.155:
	v_add_co_u32_e32 v20, vcc, 0x1000, v4
	v_ashrrev_i32_e32 v17, 31, v14
	v_mov_b32_e32 v16, v14
	v_addc_co_u32_e32 v21, vcc, 0, v5, vcc
	flat_store_dwordx2 v[20:21], v[16:17] offset:2048
.LBB1015_156:
	s_or_b64 exec, exec, s[0:1]
	v_or_b32_e32 v14, 0x400, v0
	v_cmp_gt_u32_e32 vcc, s33, v14
	s_and_saveexec_b64 s[0:1], vcc
	s_cbranch_execz .LBB1015_158
; %bb.157:
	v_add_co_u32_e32 v14, vcc, 0x2000, v4
	v_ashrrev_i32_e32 v17, 31, v15
	v_mov_b32_e32 v16, v15
	v_addc_co_u32_e32 v15, vcc, 0, v5, vcc
	flat_store_dwordx2 v[14:15], v[16:17]
.LBB1015_158:
	s_or_b64 exec, exec, s[0:1]
	v_or_b32_e32 v14, 0x500, v0
	v_cmp_gt_u32_e32 vcc, s33, v14
	s_and_saveexec_b64 s[0:1], vcc
	s_cbranch_execz .LBB1015_160
; %bb.159:
	v_add_co_u32_e32 v16, vcc, 0x2000, v4
	v_ashrrev_i32_e32 v15, 31, v12
	v_mov_b32_e32 v14, v12
	v_addc_co_u32_e32 v17, vcc, 0, v5, vcc
	flat_store_dwordx2 v[16:17], v[14:15] offset:2048
.LBB1015_160:
	s_or_b64 exec, exec, s[0:1]
	;; [unrolled: 24-line block ×5, first 2 shown]
	v_or_b32_e32 v6, 0xc00, v0
	v_cmp_gt_u32_e32 vcc, s33, v6
	s_and_saveexec_b64 s[0:1], vcc
	s_cbranch_execz .LBB1015_174
; %bb.173:
	v_add_co_u32_e32 v4, vcc, 0x6000, v4
	v_ashrrev_i32_e32 v9, 31, v7
	v_mov_b32_e32 v8, v7
	v_addc_co_u32_e32 v5, vcc, 0, v5, vcc
	flat_store_dwordx2 v[4:5], v[8:9]
.LBB1015_174:
	s_or_b64 exec, exec, s[0:1]
	v_or_b32_e32 v4, 0xd00, v0
	v_cmp_gt_u32_e64 s[0:1], s33, v4
	s_branch .LBB1015_177
.LBB1015_175:
	s_mov_b64 s[0:1], 0
                                        ; implicit-def: $vgpr3
	s_cbranch_execz .LBB1015_177
; %bb.176:
	s_movk_i32 s2, 0xffcc
	v_mad_i32_i24 v28, v0, s2, v2
	s_waitcnt lgkmcnt(0)
	s_barrier
	ds_write2_b64 v2, v[26:27], v[40:41] offset1:1
	ds_write2_b64 v2, v[30:31], v[42:43] offset0:2 offset1:3
	ds_write2_b64 v2, v[34:35], v[44:45] offset0:4 offset1:5
	ds_write_b64 v2, v[46:47] offset:48
	s_waitcnt lgkmcnt(0)
	s_barrier
	ds_read2st64_b32 v[2:3], v28 offset1:4
	ds_read2st64_b32 v[6:7], v28 offset0:8 offset1:12
	ds_read2st64_b32 v[14:15], v28 offset0:24 offset1:28
	v_add_co_u32_e32 v32, vcc, v18, v48
	s_waitcnt lgkmcnt(0)
	v_ashrrev_i32_e32 v5, 31, v2
	v_mov_b32_e32 v4, v2
	v_ashrrev_i32_e32 v9, 31, v3
	v_mov_b32_e32 v8, v3
	ds_read2st64_b32 v[2:3], v28 offset0:16 offset1:20
	v_ashrrev_i32_e32 v11, 31, v6
	v_mov_b32_e32 v10, v6
	v_ashrrev_i32_e32 v13, 31, v7
	v_mov_b32_e32 v12, v7
	s_waitcnt lgkmcnt(0)
	v_ashrrev_i32_e32 v7, 31, v2
	v_mov_b32_e32 v6, v2
	v_ashrrev_i32_e32 v17, 31, v3
	v_mov_b32_e32 v16, v3
	ds_read2st64_b32 v[2:3], v28 offset0:32 offset1:36
	v_addc_co_u32_e32 v33, vcc, 0, v19, vcc
	s_movk_i32 s2, 0x1000
	v_ashrrev_i32_e32 v21, 31, v14
	v_mov_b32_e32 v20, v14
	v_ashrrev_i32_e32 v23, 31, v15
	v_mov_b32_e32 v22, v15
	s_waitcnt lgkmcnt(0)
	v_ashrrev_i32_e32 v15, 31, v2
	ds_read2st64_b32 v[24:25], v28 offset0:40 offset1:44
	v_mov_b32_e32 v14, v2
	v_ashrrev_i32_e32 v27, 31, v3
	v_mov_b32_e32 v26, v3
	ds_read2st64_b32 v[2:3], v28 offset0:48 offset1:52
	flat_store_dwordx2 v[32:33], v[4:5]
	flat_store_dwordx2 v[32:33], v[8:9] offset:2048
	v_add_co_u32_e32 v4, vcc, s2, v32
	v_addc_co_u32_e32 v5, vcc, 0, v33, vcc
	s_movk_i32 s2, 0x2000
	flat_store_dwordx2 v[4:5], v[10:11]
	flat_store_dwordx2 v[4:5], v[12:13] offset:2048
	v_add_co_u32_e32 v4, vcc, s2, v32
	v_addc_co_u32_e32 v5, vcc, 0, v33, vcc
	s_movk_i32 s2, 0x3000
	;; [unrolled: 5-line block ×3, first 2 shown]
	flat_store_dwordx2 v[4:5], v[20:21]
	flat_store_dwordx2 v[4:5], v[22:23] offset:2048
	v_add_co_u32_e32 v4, vcc, s2, v32
	v_addc_co_u32_e32 v5, vcc, 0, v33, vcc
	flat_store_dwordx2 v[4:5], v[14:15]
	flat_store_dwordx2 v[4:5], v[26:27] offset:2048
	v_add_co_u32_e32 v4, vcc, 0x5000, v32
	s_waitcnt lgkmcnt(0)
	v_ashrrev_i32_e32 v29, 31, v24
	v_mov_b32_e32 v28, v24
	v_addc_co_u32_e32 v5, vcc, 0, v33, vcc
	v_ashrrev_i32_e32 v31, 31, v25
	v_mov_b32_e32 v30, v25
	flat_store_dwordx2 v[4:5], v[28:29]
	flat_store_dwordx2 v[4:5], v[30:31] offset:2048
	v_add_co_u32_e32 v4, vcc, 0x6000, v32
	v_mov_b32_e32 v1, 0
	v_ashrrev_i32_e32 v25, 31, v2
	v_mov_b32_e32 v24, v2
	v_addc_co_u32_e32 v5, vcc, 0, v33, vcc
	s_or_b64 s[0:1], s[0:1], exec
	flat_store_dwordx2 v[4:5], v[24:25]
.LBB1015_177:
	s_and_saveexec_b64 s[2:3], s[0:1]
	s_cbranch_execz .LBB1015_179
; %bb.178:
	v_lshlrev_b64 v[0:1], 3, v[0:1]
	v_add_co_u32_e32 v2, vcc, v18, v0
	v_addc_co_u32_e32 v4, vcc, v19, v1, vcc
	v_add_co_u32_e32 v2, vcc, 0x6000, v2
	v_ashrrev_i32_e32 v1, 31, v3
	v_mov_b32_e32 v0, v3
	v_addc_co_u32_e32 v3, vcc, 0, v4, vcc
	flat_store_dwordx2 v[2:3], v[0:1] offset:2048
	s_endpgm
.LBB1015_179:
	s_endpgm
	.section	.rodata,"a",@progbits
	.p2align	6, 0x0
	.amdhsa_kernel _ZN7rocprim17ROCPRIM_400000_NS6detail17trampoline_kernelINS0_14default_configENS1_27scan_by_key_config_selectorIxiEEZZNS1_16scan_by_key_implILNS1_25lookback_scan_determinismE0ELb1ES3_N6thrust23THRUST_200600_302600_NS6detail15normal_iteratorINS9_10device_ptrIxEEEESE_SE_iNS9_4plusIvEENS9_8equal_toIvEEiEE10hipError_tPvRmT2_T3_T4_T5_mT6_T7_P12ihipStream_tbENKUlT_T0_E_clISt17integral_constantIbLb1EESZ_EEDaSU_SV_EUlSU_E_NS1_11comp_targetILNS1_3genE4ELNS1_11target_archE910ELNS1_3gpuE8ELNS1_3repE0EEENS1_30default_config_static_selectorELNS0_4arch9wavefront6targetE1EEEvT1_
		.amdhsa_group_segment_fixed_size 32768
		.amdhsa_private_segment_fixed_size 0
		.amdhsa_kernarg_size 112
		.amdhsa_user_sgpr_count 6
		.amdhsa_user_sgpr_private_segment_buffer 1
		.amdhsa_user_sgpr_dispatch_ptr 0
		.amdhsa_user_sgpr_queue_ptr 0
		.amdhsa_user_sgpr_kernarg_segment_ptr 1
		.amdhsa_user_sgpr_dispatch_id 0
		.amdhsa_user_sgpr_flat_scratch_init 0
		.amdhsa_user_sgpr_kernarg_preload_length 0
		.amdhsa_user_sgpr_kernarg_preload_offset 0
		.amdhsa_user_sgpr_private_segment_size 0
		.amdhsa_uses_dynamic_stack 0
		.amdhsa_system_sgpr_private_segment_wavefront_offset 0
		.amdhsa_system_sgpr_workgroup_id_x 1
		.amdhsa_system_sgpr_workgroup_id_y 0
		.amdhsa_system_sgpr_workgroup_id_z 0
		.amdhsa_system_sgpr_workgroup_info 0
		.amdhsa_system_vgpr_workitem_id 0
		.amdhsa_next_free_vgpr 74
		.amdhsa_next_free_sgpr 60
		.amdhsa_accum_offset 76
		.amdhsa_reserve_vcc 1
		.amdhsa_reserve_flat_scratch 0
		.amdhsa_float_round_mode_32 0
		.amdhsa_float_round_mode_16_64 0
		.amdhsa_float_denorm_mode_32 3
		.amdhsa_float_denorm_mode_16_64 3
		.amdhsa_dx10_clamp 1
		.amdhsa_ieee_mode 1
		.amdhsa_fp16_overflow 0
		.amdhsa_tg_split 0
		.amdhsa_exception_fp_ieee_invalid_op 0
		.amdhsa_exception_fp_denorm_src 0
		.amdhsa_exception_fp_ieee_div_zero 0
		.amdhsa_exception_fp_ieee_overflow 0
		.amdhsa_exception_fp_ieee_underflow 0
		.amdhsa_exception_fp_ieee_inexact 0
		.amdhsa_exception_int_div_zero 0
	.end_amdhsa_kernel
	.section	.text._ZN7rocprim17ROCPRIM_400000_NS6detail17trampoline_kernelINS0_14default_configENS1_27scan_by_key_config_selectorIxiEEZZNS1_16scan_by_key_implILNS1_25lookback_scan_determinismE0ELb1ES3_N6thrust23THRUST_200600_302600_NS6detail15normal_iteratorINS9_10device_ptrIxEEEESE_SE_iNS9_4plusIvEENS9_8equal_toIvEEiEE10hipError_tPvRmT2_T3_T4_T5_mT6_T7_P12ihipStream_tbENKUlT_T0_E_clISt17integral_constantIbLb1EESZ_EEDaSU_SV_EUlSU_E_NS1_11comp_targetILNS1_3genE4ELNS1_11target_archE910ELNS1_3gpuE8ELNS1_3repE0EEENS1_30default_config_static_selectorELNS0_4arch9wavefront6targetE1EEEvT1_,"axG",@progbits,_ZN7rocprim17ROCPRIM_400000_NS6detail17trampoline_kernelINS0_14default_configENS1_27scan_by_key_config_selectorIxiEEZZNS1_16scan_by_key_implILNS1_25lookback_scan_determinismE0ELb1ES3_N6thrust23THRUST_200600_302600_NS6detail15normal_iteratorINS9_10device_ptrIxEEEESE_SE_iNS9_4plusIvEENS9_8equal_toIvEEiEE10hipError_tPvRmT2_T3_T4_T5_mT6_T7_P12ihipStream_tbENKUlT_T0_E_clISt17integral_constantIbLb1EESZ_EEDaSU_SV_EUlSU_E_NS1_11comp_targetILNS1_3genE4ELNS1_11target_archE910ELNS1_3gpuE8ELNS1_3repE0EEENS1_30default_config_static_selectorELNS0_4arch9wavefront6targetE1EEEvT1_,comdat
.Lfunc_end1015:
	.size	_ZN7rocprim17ROCPRIM_400000_NS6detail17trampoline_kernelINS0_14default_configENS1_27scan_by_key_config_selectorIxiEEZZNS1_16scan_by_key_implILNS1_25lookback_scan_determinismE0ELb1ES3_N6thrust23THRUST_200600_302600_NS6detail15normal_iteratorINS9_10device_ptrIxEEEESE_SE_iNS9_4plusIvEENS9_8equal_toIvEEiEE10hipError_tPvRmT2_T3_T4_T5_mT6_T7_P12ihipStream_tbENKUlT_T0_E_clISt17integral_constantIbLb1EESZ_EEDaSU_SV_EUlSU_E_NS1_11comp_targetILNS1_3genE4ELNS1_11target_archE910ELNS1_3gpuE8ELNS1_3repE0EEENS1_30default_config_static_selectorELNS0_4arch9wavefront6targetE1EEEvT1_, .Lfunc_end1015-_ZN7rocprim17ROCPRIM_400000_NS6detail17trampoline_kernelINS0_14default_configENS1_27scan_by_key_config_selectorIxiEEZZNS1_16scan_by_key_implILNS1_25lookback_scan_determinismE0ELb1ES3_N6thrust23THRUST_200600_302600_NS6detail15normal_iteratorINS9_10device_ptrIxEEEESE_SE_iNS9_4plusIvEENS9_8equal_toIvEEiEE10hipError_tPvRmT2_T3_T4_T5_mT6_T7_P12ihipStream_tbENKUlT_T0_E_clISt17integral_constantIbLb1EESZ_EEDaSU_SV_EUlSU_E_NS1_11comp_targetILNS1_3genE4ELNS1_11target_archE910ELNS1_3gpuE8ELNS1_3repE0EEENS1_30default_config_static_selectorELNS0_4arch9wavefront6targetE1EEEvT1_
                                        ; -- End function
	.section	.AMDGPU.csdata,"",@progbits
; Kernel info:
; codeLenInByte = 11780
; NumSgprs: 64
; NumVgprs: 74
; NumAgprs: 0
; TotalNumVgprs: 74
; ScratchSize: 0
; MemoryBound: 0
; FloatMode: 240
; IeeeMode: 1
; LDSByteSize: 32768 bytes/workgroup (compile time only)
; SGPRBlocks: 7
; VGPRBlocks: 9
; NumSGPRsForWavesPerEU: 64
; NumVGPRsForWavesPerEU: 74
; AccumOffset: 76
; Occupancy: 2
; WaveLimiterHint : 1
; COMPUTE_PGM_RSRC2:SCRATCH_EN: 0
; COMPUTE_PGM_RSRC2:USER_SGPR: 6
; COMPUTE_PGM_RSRC2:TRAP_HANDLER: 0
; COMPUTE_PGM_RSRC2:TGID_X_EN: 1
; COMPUTE_PGM_RSRC2:TGID_Y_EN: 0
; COMPUTE_PGM_RSRC2:TGID_Z_EN: 0
; COMPUTE_PGM_RSRC2:TIDIG_COMP_CNT: 0
; COMPUTE_PGM_RSRC3_GFX90A:ACCUM_OFFSET: 18
; COMPUTE_PGM_RSRC3_GFX90A:TG_SPLIT: 0
	.section	.text._ZN7rocprim17ROCPRIM_400000_NS6detail17trampoline_kernelINS0_14default_configENS1_27scan_by_key_config_selectorIxiEEZZNS1_16scan_by_key_implILNS1_25lookback_scan_determinismE0ELb1ES3_N6thrust23THRUST_200600_302600_NS6detail15normal_iteratorINS9_10device_ptrIxEEEESE_SE_iNS9_4plusIvEENS9_8equal_toIvEEiEE10hipError_tPvRmT2_T3_T4_T5_mT6_T7_P12ihipStream_tbENKUlT_T0_E_clISt17integral_constantIbLb1EESZ_EEDaSU_SV_EUlSU_E_NS1_11comp_targetILNS1_3genE3ELNS1_11target_archE908ELNS1_3gpuE7ELNS1_3repE0EEENS1_30default_config_static_selectorELNS0_4arch9wavefront6targetE1EEEvT1_,"axG",@progbits,_ZN7rocprim17ROCPRIM_400000_NS6detail17trampoline_kernelINS0_14default_configENS1_27scan_by_key_config_selectorIxiEEZZNS1_16scan_by_key_implILNS1_25lookback_scan_determinismE0ELb1ES3_N6thrust23THRUST_200600_302600_NS6detail15normal_iteratorINS9_10device_ptrIxEEEESE_SE_iNS9_4plusIvEENS9_8equal_toIvEEiEE10hipError_tPvRmT2_T3_T4_T5_mT6_T7_P12ihipStream_tbENKUlT_T0_E_clISt17integral_constantIbLb1EESZ_EEDaSU_SV_EUlSU_E_NS1_11comp_targetILNS1_3genE3ELNS1_11target_archE908ELNS1_3gpuE7ELNS1_3repE0EEENS1_30default_config_static_selectorELNS0_4arch9wavefront6targetE1EEEvT1_,comdat
	.protected	_ZN7rocprim17ROCPRIM_400000_NS6detail17trampoline_kernelINS0_14default_configENS1_27scan_by_key_config_selectorIxiEEZZNS1_16scan_by_key_implILNS1_25lookback_scan_determinismE0ELb1ES3_N6thrust23THRUST_200600_302600_NS6detail15normal_iteratorINS9_10device_ptrIxEEEESE_SE_iNS9_4plusIvEENS9_8equal_toIvEEiEE10hipError_tPvRmT2_T3_T4_T5_mT6_T7_P12ihipStream_tbENKUlT_T0_E_clISt17integral_constantIbLb1EESZ_EEDaSU_SV_EUlSU_E_NS1_11comp_targetILNS1_3genE3ELNS1_11target_archE908ELNS1_3gpuE7ELNS1_3repE0EEENS1_30default_config_static_selectorELNS0_4arch9wavefront6targetE1EEEvT1_ ; -- Begin function _ZN7rocprim17ROCPRIM_400000_NS6detail17trampoline_kernelINS0_14default_configENS1_27scan_by_key_config_selectorIxiEEZZNS1_16scan_by_key_implILNS1_25lookback_scan_determinismE0ELb1ES3_N6thrust23THRUST_200600_302600_NS6detail15normal_iteratorINS9_10device_ptrIxEEEESE_SE_iNS9_4plusIvEENS9_8equal_toIvEEiEE10hipError_tPvRmT2_T3_T4_T5_mT6_T7_P12ihipStream_tbENKUlT_T0_E_clISt17integral_constantIbLb1EESZ_EEDaSU_SV_EUlSU_E_NS1_11comp_targetILNS1_3genE3ELNS1_11target_archE908ELNS1_3gpuE7ELNS1_3repE0EEENS1_30default_config_static_selectorELNS0_4arch9wavefront6targetE1EEEvT1_
	.globl	_ZN7rocprim17ROCPRIM_400000_NS6detail17trampoline_kernelINS0_14default_configENS1_27scan_by_key_config_selectorIxiEEZZNS1_16scan_by_key_implILNS1_25lookback_scan_determinismE0ELb1ES3_N6thrust23THRUST_200600_302600_NS6detail15normal_iteratorINS9_10device_ptrIxEEEESE_SE_iNS9_4plusIvEENS9_8equal_toIvEEiEE10hipError_tPvRmT2_T3_T4_T5_mT6_T7_P12ihipStream_tbENKUlT_T0_E_clISt17integral_constantIbLb1EESZ_EEDaSU_SV_EUlSU_E_NS1_11comp_targetILNS1_3genE3ELNS1_11target_archE908ELNS1_3gpuE7ELNS1_3repE0EEENS1_30default_config_static_selectorELNS0_4arch9wavefront6targetE1EEEvT1_
	.p2align	8
	.type	_ZN7rocprim17ROCPRIM_400000_NS6detail17trampoline_kernelINS0_14default_configENS1_27scan_by_key_config_selectorIxiEEZZNS1_16scan_by_key_implILNS1_25lookback_scan_determinismE0ELb1ES3_N6thrust23THRUST_200600_302600_NS6detail15normal_iteratorINS9_10device_ptrIxEEEESE_SE_iNS9_4plusIvEENS9_8equal_toIvEEiEE10hipError_tPvRmT2_T3_T4_T5_mT6_T7_P12ihipStream_tbENKUlT_T0_E_clISt17integral_constantIbLb1EESZ_EEDaSU_SV_EUlSU_E_NS1_11comp_targetILNS1_3genE3ELNS1_11target_archE908ELNS1_3gpuE7ELNS1_3repE0EEENS1_30default_config_static_selectorELNS0_4arch9wavefront6targetE1EEEvT1_,@function
_ZN7rocprim17ROCPRIM_400000_NS6detail17trampoline_kernelINS0_14default_configENS1_27scan_by_key_config_selectorIxiEEZZNS1_16scan_by_key_implILNS1_25lookback_scan_determinismE0ELb1ES3_N6thrust23THRUST_200600_302600_NS6detail15normal_iteratorINS9_10device_ptrIxEEEESE_SE_iNS9_4plusIvEENS9_8equal_toIvEEiEE10hipError_tPvRmT2_T3_T4_T5_mT6_T7_P12ihipStream_tbENKUlT_T0_E_clISt17integral_constantIbLb1EESZ_EEDaSU_SV_EUlSU_E_NS1_11comp_targetILNS1_3genE3ELNS1_11target_archE908ELNS1_3gpuE7ELNS1_3repE0EEENS1_30default_config_static_selectorELNS0_4arch9wavefront6targetE1EEEvT1_: ; @_ZN7rocprim17ROCPRIM_400000_NS6detail17trampoline_kernelINS0_14default_configENS1_27scan_by_key_config_selectorIxiEEZZNS1_16scan_by_key_implILNS1_25lookback_scan_determinismE0ELb1ES3_N6thrust23THRUST_200600_302600_NS6detail15normal_iteratorINS9_10device_ptrIxEEEESE_SE_iNS9_4plusIvEENS9_8equal_toIvEEiEE10hipError_tPvRmT2_T3_T4_T5_mT6_T7_P12ihipStream_tbENKUlT_T0_E_clISt17integral_constantIbLb1EESZ_EEDaSU_SV_EUlSU_E_NS1_11comp_targetILNS1_3genE3ELNS1_11target_archE908ELNS1_3gpuE7ELNS1_3repE0EEENS1_30default_config_static_selectorELNS0_4arch9wavefront6targetE1EEEvT1_
; %bb.0:
	.section	.rodata,"a",@progbits
	.p2align	6, 0x0
	.amdhsa_kernel _ZN7rocprim17ROCPRIM_400000_NS6detail17trampoline_kernelINS0_14default_configENS1_27scan_by_key_config_selectorIxiEEZZNS1_16scan_by_key_implILNS1_25lookback_scan_determinismE0ELb1ES3_N6thrust23THRUST_200600_302600_NS6detail15normal_iteratorINS9_10device_ptrIxEEEESE_SE_iNS9_4plusIvEENS9_8equal_toIvEEiEE10hipError_tPvRmT2_T3_T4_T5_mT6_T7_P12ihipStream_tbENKUlT_T0_E_clISt17integral_constantIbLb1EESZ_EEDaSU_SV_EUlSU_E_NS1_11comp_targetILNS1_3genE3ELNS1_11target_archE908ELNS1_3gpuE7ELNS1_3repE0EEENS1_30default_config_static_selectorELNS0_4arch9wavefront6targetE1EEEvT1_
		.amdhsa_group_segment_fixed_size 0
		.amdhsa_private_segment_fixed_size 0
		.amdhsa_kernarg_size 112
		.amdhsa_user_sgpr_count 6
		.amdhsa_user_sgpr_private_segment_buffer 1
		.amdhsa_user_sgpr_dispatch_ptr 0
		.amdhsa_user_sgpr_queue_ptr 0
		.amdhsa_user_sgpr_kernarg_segment_ptr 1
		.amdhsa_user_sgpr_dispatch_id 0
		.amdhsa_user_sgpr_flat_scratch_init 0
		.amdhsa_user_sgpr_kernarg_preload_length 0
		.amdhsa_user_sgpr_kernarg_preload_offset 0
		.amdhsa_user_sgpr_private_segment_size 0
		.amdhsa_uses_dynamic_stack 0
		.amdhsa_system_sgpr_private_segment_wavefront_offset 0
		.amdhsa_system_sgpr_workgroup_id_x 1
		.amdhsa_system_sgpr_workgroup_id_y 0
		.amdhsa_system_sgpr_workgroup_id_z 0
		.amdhsa_system_sgpr_workgroup_info 0
		.amdhsa_system_vgpr_workitem_id 0
		.amdhsa_next_free_vgpr 1
		.amdhsa_next_free_sgpr 0
		.amdhsa_accum_offset 4
		.amdhsa_reserve_vcc 0
		.amdhsa_reserve_flat_scratch 0
		.amdhsa_float_round_mode_32 0
		.amdhsa_float_round_mode_16_64 0
		.amdhsa_float_denorm_mode_32 3
		.amdhsa_float_denorm_mode_16_64 3
		.amdhsa_dx10_clamp 1
		.amdhsa_ieee_mode 1
		.amdhsa_fp16_overflow 0
		.amdhsa_tg_split 0
		.amdhsa_exception_fp_ieee_invalid_op 0
		.amdhsa_exception_fp_denorm_src 0
		.amdhsa_exception_fp_ieee_div_zero 0
		.amdhsa_exception_fp_ieee_overflow 0
		.amdhsa_exception_fp_ieee_underflow 0
		.amdhsa_exception_fp_ieee_inexact 0
		.amdhsa_exception_int_div_zero 0
	.end_amdhsa_kernel
	.section	.text._ZN7rocprim17ROCPRIM_400000_NS6detail17trampoline_kernelINS0_14default_configENS1_27scan_by_key_config_selectorIxiEEZZNS1_16scan_by_key_implILNS1_25lookback_scan_determinismE0ELb1ES3_N6thrust23THRUST_200600_302600_NS6detail15normal_iteratorINS9_10device_ptrIxEEEESE_SE_iNS9_4plusIvEENS9_8equal_toIvEEiEE10hipError_tPvRmT2_T3_T4_T5_mT6_T7_P12ihipStream_tbENKUlT_T0_E_clISt17integral_constantIbLb1EESZ_EEDaSU_SV_EUlSU_E_NS1_11comp_targetILNS1_3genE3ELNS1_11target_archE908ELNS1_3gpuE7ELNS1_3repE0EEENS1_30default_config_static_selectorELNS0_4arch9wavefront6targetE1EEEvT1_,"axG",@progbits,_ZN7rocprim17ROCPRIM_400000_NS6detail17trampoline_kernelINS0_14default_configENS1_27scan_by_key_config_selectorIxiEEZZNS1_16scan_by_key_implILNS1_25lookback_scan_determinismE0ELb1ES3_N6thrust23THRUST_200600_302600_NS6detail15normal_iteratorINS9_10device_ptrIxEEEESE_SE_iNS9_4plusIvEENS9_8equal_toIvEEiEE10hipError_tPvRmT2_T3_T4_T5_mT6_T7_P12ihipStream_tbENKUlT_T0_E_clISt17integral_constantIbLb1EESZ_EEDaSU_SV_EUlSU_E_NS1_11comp_targetILNS1_3genE3ELNS1_11target_archE908ELNS1_3gpuE7ELNS1_3repE0EEENS1_30default_config_static_selectorELNS0_4arch9wavefront6targetE1EEEvT1_,comdat
.Lfunc_end1016:
	.size	_ZN7rocprim17ROCPRIM_400000_NS6detail17trampoline_kernelINS0_14default_configENS1_27scan_by_key_config_selectorIxiEEZZNS1_16scan_by_key_implILNS1_25lookback_scan_determinismE0ELb1ES3_N6thrust23THRUST_200600_302600_NS6detail15normal_iteratorINS9_10device_ptrIxEEEESE_SE_iNS9_4plusIvEENS9_8equal_toIvEEiEE10hipError_tPvRmT2_T3_T4_T5_mT6_T7_P12ihipStream_tbENKUlT_T0_E_clISt17integral_constantIbLb1EESZ_EEDaSU_SV_EUlSU_E_NS1_11comp_targetILNS1_3genE3ELNS1_11target_archE908ELNS1_3gpuE7ELNS1_3repE0EEENS1_30default_config_static_selectorELNS0_4arch9wavefront6targetE1EEEvT1_, .Lfunc_end1016-_ZN7rocprim17ROCPRIM_400000_NS6detail17trampoline_kernelINS0_14default_configENS1_27scan_by_key_config_selectorIxiEEZZNS1_16scan_by_key_implILNS1_25lookback_scan_determinismE0ELb1ES3_N6thrust23THRUST_200600_302600_NS6detail15normal_iteratorINS9_10device_ptrIxEEEESE_SE_iNS9_4plusIvEENS9_8equal_toIvEEiEE10hipError_tPvRmT2_T3_T4_T5_mT6_T7_P12ihipStream_tbENKUlT_T0_E_clISt17integral_constantIbLb1EESZ_EEDaSU_SV_EUlSU_E_NS1_11comp_targetILNS1_3genE3ELNS1_11target_archE908ELNS1_3gpuE7ELNS1_3repE0EEENS1_30default_config_static_selectorELNS0_4arch9wavefront6targetE1EEEvT1_
                                        ; -- End function
	.section	.AMDGPU.csdata,"",@progbits
; Kernel info:
; codeLenInByte = 0
; NumSgprs: 4
; NumVgprs: 0
; NumAgprs: 0
; TotalNumVgprs: 0
; ScratchSize: 0
; MemoryBound: 0
; FloatMode: 240
; IeeeMode: 1
; LDSByteSize: 0 bytes/workgroup (compile time only)
; SGPRBlocks: 0
; VGPRBlocks: 0
; NumSGPRsForWavesPerEU: 4
; NumVGPRsForWavesPerEU: 1
; AccumOffset: 4
; Occupancy: 8
; WaveLimiterHint : 0
; COMPUTE_PGM_RSRC2:SCRATCH_EN: 0
; COMPUTE_PGM_RSRC2:USER_SGPR: 6
; COMPUTE_PGM_RSRC2:TRAP_HANDLER: 0
; COMPUTE_PGM_RSRC2:TGID_X_EN: 1
; COMPUTE_PGM_RSRC2:TGID_Y_EN: 0
; COMPUTE_PGM_RSRC2:TGID_Z_EN: 0
; COMPUTE_PGM_RSRC2:TIDIG_COMP_CNT: 0
; COMPUTE_PGM_RSRC3_GFX90A:ACCUM_OFFSET: 0
; COMPUTE_PGM_RSRC3_GFX90A:TG_SPLIT: 0
	.section	.text._ZN7rocprim17ROCPRIM_400000_NS6detail17trampoline_kernelINS0_14default_configENS1_27scan_by_key_config_selectorIxiEEZZNS1_16scan_by_key_implILNS1_25lookback_scan_determinismE0ELb1ES3_N6thrust23THRUST_200600_302600_NS6detail15normal_iteratorINS9_10device_ptrIxEEEESE_SE_iNS9_4plusIvEENS9_8equal_toIvEEiEE10hipError_tPvRmT2_T3_T4_T5_mT6_T7_P12ihipStream_tbENKUlT_T0_E_clISt17integral_constantIbLb1EESZ_EEDaSU_SV_EUlSU_E_NS1_11comp_targetILNS1_3genE2ELNS1_11target_archE906ELNS1_3gpuE6ELNS1_3repE0EEENS1_30default_config_static_selectorELNS0_4arch9wavefront6targetE1EEEvT1_,"axG",@progbits,_ZN7rocprim17ROCPRIM_400000_NS6detail17trampoline_kernelINS0_14default_configENS1_27scan_by_key_config_selectorIxiEEZZNS1_16scan_by_key_implILNS1_25lookback_scan_determinismE0ELb1ES3_N6thrust23THRUST_200600_302600_NS6detail15normal_iteratorINS9_10device_ptrIxEEEESE_SE_iNS9_4plusIvEENS9_8equal_toIvEEiEE10hipError_tPvRmT2_T3_T4_T5_mT6_T7_P12ihipStream_tbENKUlT_T0_E_clISt17integral_constantIbLb1EESZ_EEDaSU_SV_EUlSU_E_NS1_11comp_targetILNS1_3genE2ELNS1_11target_archE906ELNS1_3gpuE6ELNS1_3repE0EEENS1_30default_config_static_selectorELNS0_4arch9wavefront6targetE1EEEvT1_,comdat
	.protected	_ZN7rocprim17ROCPRIM_400000_NS6detail17trampoline_kernelINS0_14default_configENS1_27scan_by_key_config_selectorIxiEEZZNS1_16scan_by_key_implILNS1_25lookback_scan_determinismE0ELb1ES3_N6thrust23THRUST_200600_302600_NS6detail15normal_iteratorINS9_10device_ptrIxEEEESE_SE_iNS9_4plusIvEENS9_8equal_toIvEEiEE10hipError_tPvRmT2_T3_T4_T5_mT6_T7_P12ihipStream_tbENKUlT_T0_E_clISt17integral_constantIbLb1EESZ_EEDaSU_SV_EUlSU_E_NS1_11comp_targetILNS1_3genE2ELNS1_11target_archE906ELNS1_3gpuE6ELNS1_3repE0EEENS1_30default_config_static_selectorELNS0_4arch9wavefront6targetE1EEEvT1_ ; -- Begin function _ZN7rocprim17ROCPRIM_400000_NS6detail17trampoline_kernelINS0_14default_configENS1_27scan_by_key_config_selectorIxiEEZZNS1_16scan_by_key_implILNS1_25lookback_scan_determinismE0ELb1ES3_N6thrust23THRUST_200600_302600_NS6detail15normal_iteratorINS9_10device_ptrIxEEEESE_SE_iNS9_4plusIvEENS9_8equal_toIvEEiEE10hipError_tPvRmT2_T3_T4_T5_mT6_T7_P12ihipStream_tbENKUlT_T0_E_clISt17integral_constantIbLb1EESZ_EEDaSU_SV_EUlSU_E_NS1_11comp_targetILNS1_3genE2ELNS1_11target_archE906ELNS1_3gpuE6ELNS1_3repE0EEENS1_30default_config_static_selectorELNS0_4arch9wavefront6targetE1EEEvT1_
	.globl	_ZN7rocprim17ROCPRIM_400000_NS6detail17trampoline_kernelINS0_14default_configENS1_27scan_by_key_config_selectorIxiEEZZNS1_16scan_by_key_implILNS1_25lookback_scan_determinismE0ELb1ES3_N6thrust23THRUST_200600_302600_NS6detail15normal_iteratorINS9_10device_ptrIxEEEESE_SE_iNS9_4plusIvEENS9_8equal_toIvEEiEE10hipError_tPvRmT2_T3_T4_T5_mT6_T7_P12ihipStream_tbENKUlT_T0_E_clISt17integral_constantIbLb1EESZ_EEDaSU_SV_EUlSU_E_NS1_11comp_targetILNS1_3genE2ELNS1_11target_archE906ELNS1_3gpuE6ELNS1_3repE0EEENS1_30default_config_static_selectorELNS0_4arch9wavefront6targetE1EEEvT1_
	.p2align	8
	.type	_ZN7rocprim17ROCPRIM_400000_NS6detail17trampoline_kernelINS0_14default_configENS1_27scan_by_key_config_selectorIxiEEZZNS1_16scan_by_key_implILNS1_25lookback_scan_determinismE0ELb1ES3_N6thrust23THRUST_200600_302600_NS6detail15normal_iteratorINS9_10device_ptrIxEEEESE_SE_iNS9_4plusIvEENS9_8equal_toIvEEiEE10hipError_tPvRmT2_T3_T4_T5_mT6_T7_P12ihipStream_tbENKUlT_T0_E_clISt17integral_constantIbLb1EESZ_EEDaSU_SV_EUlSU_E_NS1_11comp_targetILNS1_3genE2ELNS1_11target_archE906ELNS1_3gpuE6ELNS1_3repE0EEENS1_30default_config_static_selectorELNS0_4arch9wavefront6targetE1EEEvT1_,@function
_ZN7rocprim17ROCPRIM_400000_NS6detail17trampoline_kernelINS0_14default_configENS1_27scan_by_key_config_selectorIxiEEZZNS1_16scan_by_key_implILNS1_25lookback_scan_determinismE0ELb1ES3_N6thrust23THRUST_200600_302600_NS6detail15normal_iteratorINS9_10device_ptrIxEEEESE_SE_iNS9_4plusIvEENS9_8equal_toIvEEiEE10hipError_tPvRmT2_T3_T4_T5_mT6_T7_P12ihipStream_tbENKUlT_T0_E_clISt17integral_constantIbLb1EESZ_EEDaSU_SV_EUlSU_E_NS1_11comp_targetILNS1_3genE2ELNS1_11target_archE906ELNS1_3gpuE6ELNS1_3repE0EEENS1_30default_config_static_selectorELNS0_4arch9wavefront6targetE1EEEvT1_: ; @_ZN7rocprim17ROCPRIM_400000_NS6detail17trampoline_kernelINS0_14default_configENS1_27scan_by_key_config_selectorIxiEEZZNS1_16scan_by_key_implILNS1_25lookback_scan_determinismE0ELb1ES3_N6thrust23THRUST_200600_302600_NS6detail15normal_iteratorINS9_10device_ptrIxEEEESE_SE_iNS9_4plusIvEENS9_8equal_toIvEEiEE10hipError_tPvRmT2_T3_T4_T5_mT6_T7_P12ihipStream_tbENKUlT_T0_E_clISt17integral_constantIbLb1EESZ_EEDaSU_SV_EUlSU_E_NS1_11comp_targetILNS1_3genE2ELNS1_11target_archE906ELNS1_3gpuE6ELNS1_3repE0EEENS1_30default_config_static_selectorELNS0_4arch9wavefront6targetE1EEEvT1_
; %bb.0:
	.section	.rodata,"a",@progbits
	.p2align	6, 0x0
	.amdhsa_kernel _ZN7rocprim17ROCPRIM_400000_NS6detail17trampoline_kernelINS0_14default_configENS1_27scan_by_key_config_selectorIxiEEZZNS1_16scan_by_key_implILNS1_25lookback_scan_determinismE0ELb1ES3_N6thrust23THRUST_200600_302600_NS6detail15normal_iteratorINS9_10device_ptrIxEEEESE_SE_iNS9_4plusIvEENS9_8equal_toIvEEiEE10hipError_tPvRmT2_T3_T4_T5_mT6_T7_P12ihipStream_tbENKUlT_T0_E_clISt17integral_constantIbLb1EESZ_EEDaSU_SV_EUlSU_E_NS1_11comp_targetILNS1_3genE2ELNS1_11target_archE906ELNS1_3gpuE6ELNS1_3repE0EEENS1_30default_config_static_selectorELNS0_4arch9wavefront6targetE1EEEvT1_
		.amdhsa_group_segment_fixed_size 0
		.amdhsa_private_segment_fixed_size 0
		.amdhsa_kernarg_size 112
		.amdhsa_user_sgpr_count 6
		.amdhsa_user_sgpr_private_segment_buffer 1
		.amdhsa_user_sgpr_dispatch_ptr 0
		.amdhsa_user_sgpr_queue_ptr 0
		.amdhsa_user_sgpr_kernarg_segment_ptr 1
		.amdhsa_user_sgpr_dispatch_id 0
		.amdhsa_user_sgpr_flat_scratch_init 0
		.amdhsa_user_sgpr_kernarg_preload_length 0
		.amdhsa_user_sgpr_kernarg_preload_offset 0
		.amdhsa_user_sgpr_private_segment_size 0
		.amdhsa_uses_dynamic_stack 0
		.amdhsa_system_sgpr_private_segment_wavefront_offset 0
		.amdhsa_system_sgpr_workgroup_id_x 1
		.amdhsa_system_sgpr_workgroup_id_y 0
		.amdhsa_system_sgpr_workgroup_id_z 0
		.amdhsa_system_sgpr_workgroup_info 0
		.amdhsa_system_vgpr_workitem_id 0
		.amdhsa_next_free_vgpr 1
		.amdhsa_next_free_sgpr 0
		.amdhsa_accum_offset 4
		.amdhsa_reserve_vcc 0
		.amdhsa_reserve_flat_scratch 0
		.amdhsa_float_round_mode_32 0
		.amdhsa_float_round_mode_16_64 0
		.amdhsa_float_denorm_mode_32 3
		.amdhsa_float_denorm_mode_16_64 3
		.amdhsa_dx10_clamp 1
		.amdhsa_ieee_mode 1
		.amdhsa_fp16_overflow 0
		.amdhsa_tg_split 0
		.amdhsa_exception_fp_ieee_invalid_op 0
		.amdhsa_exception_fp_denorm_src 0
		.amdhsa_exception_fp_ieee_div_zero 0
		.amdhsa_exception_fp_ieee_overflow 0
		.amdhsa_exception_fp_ieee_underflow 0
		.amdhsa_exception_fp_ieee_inexact 0
		.amdhsa_exception_int_div_zero 0
	.end_amdhsa_kernel
	.section	.text._ZN7rocprim17ROCPRIM_400000_NS6detail17trampoline_kernelINS0_14default_configENS1_27scan_by_key_config_selectorIxiEEZZNS1_16scan_by_key_implILNS1_25lookback_scan_determinismE0ELb1ES3_N6thrust23THRUST_200600_302600_NS6detail15normal_iteratorINS9_10device_ptrIxEEEESE_SE_iNS9_4plusIvEENS9_8equal_toIvEEiEE10hipError_tPvRmT2_T3_T4_T5_mT6_T7_P12ihipStream_tbENKUlT_T0_E_clISt17integral_constantIbLb1EESZ_EEDaSU_SV_EUlSU_E_NS1_11comp_targetILNS1_3genE2ELNS1_11target_archE906ELNS1_3gpuE6ELNS1_3repE0EEENS1_30default_config_static_selectorELNS0_4arch9wavefront6targetE1EEEvT1_,"axG",@progbits,_ZN7rocprim17ROCPRIM_400000_NS6detail17trampoline_kernelINS0_14default_configENS1_27scan_by_key_config_selectorIxiEEZZNS1_16scan_by_key_implILNS1_25lookback_scan_determinismE0ELb1ES3_N6thrust23THRUST_200600_302600_NS6detail15normal_iteratorINS9_10device_ptrIxEEEESE_SE_iNS9_4plusIvEENS9_8equal_toIvEEiEE10hipError_tPvRmT2_T3_T4_T5_mT6_T7_P12ihipStream_tbENKUlT_T0_E_clISt17integral_constantIbLb1EESZ_EEDaSU_SV_EUlSU_E_NS1_11comp_targetILNS1_3genE2ELNS1_11target_archE906ELNS1_3gpuE6ELNS1_3repE0EEENS1_30default_config_static_selectorELNS0_4arch9wavefront6targetE1EEEvT1_,comdat
.Lfunc_end1017:
	.size	_ZN7rocprim17ROCPRIM_400000_NS6detail17trampoline_kernelINS0_14default_configENS1_27scan_by_key_config_selectorIxiEEZZNS1_16scan_by_key_implILNS1_25lookback_scan_determinismE0ELb1ES3_N6thrust23THRUST_200600_302600_NS6detail15normal_iteratorINS9_10device_ptrIxEEEESE_SE_iNS9_4plusIvEENS9_8equal_toIvEEiEE10hipError_tPvRmT2_T3_T4_T5_mT6_T7_P12ihipStream_tbENKUlT_T0_E_clISt17integral_constantIbLb1EESZ_EEDaSU_SV_EUlSU_E_NS1_11comp_targetILNS1_3genE2ELNS1_11target_archE906ELNS1_3gpuE6ELNS1_3repE0EEENS1_30default_config_static_selectorELNS0_4arch9wavefront6targetE1EEEvT1_, .Lfunc_end1017-_ZN7rocprim17ROCPRIM_400000_NS6detail17trampoline_kernelINS0_14default_configENS1_27scan_by_key_config_selectorIxiEEZZNS1_16scan_by_key_implILNS1_25lookback_scan_determinismE0ELb1ES3_N6thrust23THRUST_200600_302600_NS6detail15normal_iteratorINS9_10device_ptrIxEEEESE_SE_iNS9_4plusIvEENS9_8equal_toIvEEiEE10hipError_tPvRmT2_T3_T4_T5_mT6_T7_P12ihipStream_tbENKUlT_T0_E_clISt17integral_constantIbLb1EESZ_EEDaSU_SV_EUlSU_E_NS1_11comp_targetILNS1_3genE2ELNS1_11target_archE906ELNS1_3gpuE6ELNS1_3repE0EEENS1_30default_config_static_selectorELNS0_4arch9wavefront6targetE1EEEvT1_
                                        ; -- End function
	.section	.AMDGPU.csdata,"",@progbits
; Kernel info:
; codeLenInByte = 0
; NumSgprs: 4
; NumVgprs: 0
; NumAgprs: 0
; TotalNumVgprs: 0
; ScratchSize: 0
; MemoryBound: 0
; FloatMode: 240
; IeeeMode: 1
; LDSByteSize: 0 bytes/workgroup (compile time only)
; SGPRBlocks: 0
; VGPRBlocks: 0
; NumSGPRsForWavesPerEU: 4
; NumVGPRsForWavesPerEU: 1
; AccumOffset: 4
; Occupancy: 8
; WaveLimiterHint : 0
; COMPUTE_PGM_RSRC2:SCRATCH_EN: 0
; COMPUTE_PGM_RSRC2:USER_SGPR: 6
; COMPUTE_PGM_RSRC2:TRAP_HANDLER: 0
; COMPUTE_PGM_RSRC2:TGID_X_EN: 1
; COMPUTE_PGM_RSRC2:TGID_Y_EN: 0
; COMPUTE_PGM_RSRC2:TGID_Z_EN: 0
; COMPUTE_PGM_RSRC2:TIDIG_COMP_CNT: 0
; COMPUTE_PGM_RSRC3_GFX90A:ACCUM_OFFSET: 0
; COMPUTE_PGM_RSRC3_GFX90A:TG_SPLIT: 0
	.section	.text._ZN7rocprim17ROCPRIM_400000_NS6detail17trampoline_kernelINS0_14default_configENS1_27scan_by_key_config_selectorIxiEEZZNS1_16scan_by_key_implILNS1_25lookback_scan_determinismE0ELb1ES3_N6thrust23THRUST_200600_302600_NS6detail15normal_iteratorINS9_10device_ptrIxEEEESE_SE_iNS9_4plusIvEENS9_8equal_toIvEEiEE10hipError_tPvRmT2_T3_T4_T5_mT6_T7_P12ihipStream_tbENKUlT_T0_E_clISt17integral_constantIbLb1EESZ_EEDaSU_SV_EUlSU_E_NS1_11comp_targetILNS1_3genE10ELNS1_11target_archE1200ELNS1_3gpuE4ELNS1_3repE0EEENS1_30default_config_static_selectorELNS0_4arch9wavefront6targetE1EEEvT1_,"axG",@progbits,_ZN7rocprim17ROCPRIM_400000_NS6detail17trampoline_kernelINS0_14default_configENS1_27scan_by_key_config_selectorIxiEEZZNS1_16scan_by_key_implILNS1_25lookback_scan_determinismE0ELb1ES3_N6thrust23THRUST_200600_302600_NS6detail15normal_iteratorINS9_10device_ptrIxEEEESE_SE_iNS9_4plusIvEENS9_8equal_toIvEEiEE10hipError_tPvRmT2_T3_T4_T5_mT6_T7_P12ihipStream_tbENKUlT_T0_E_clISt17integral_constantIbLb1EESZ_EEDaSU_SV_EUlSU_E_NS1_11comp_targetILNS1_3genE10ELNS1_11target_archE1200ELNS1_3gpuE4ELNS1_3repE0EEENS1_30default_config_static_selectorELNS0_4arch9wavefront6targetE1EEEvT1_,comdat
	.protected	_ZN7rocprim17ROCPRIM_400000_NS6detail17trampoline_kernelINS0_14default_configENS1_27scan_by_key_config_selectorIxiEEZZNS1_16scan_by_key_implILNS1_25lookback_scan_determinismE0ELb1ES3_N6thrust23THRUST_200600_302600_NS6detail15normal_iteratorINS9_10device_ptrIxEEEESE_SE_iNS9_4plusIvEENS9_8equal_toIvEEiEE10hipError_tPvRmT2_T3_T4_T5_mT6_T7_P12ihipStream_tbENKUlT_T0_E_clISt17integral_constantIbLb1EESZ_EEDaSU_SV_EUlSU_E_NS1_11comp_targetILNS1_3genE10ELNS1_11target_archE1200ELNS1_3gpuE4ELNS1_3repE0EEENS1_30default_config_static_selectorELNS0_4arch9wavefront6targetE1EEEvT1_ ; -- Begin function _ZN7rocprim17ROCPRIM_400000_NS6detail17trampoline_kernelINS0_14default_configENS1_27scan_by_key_config_selectorIxiEEZZNS1_16scan_by_key_implILNS1_25lookback_scan_determinismE0ELb1ES3_N6thrust23THRUST_200600_302600_NS6detail15normal_iteratorINS9_10device_ptrIxEEEESE_SE_iNS9_4plusIvEENS9_8equal_toIvEEiEE10hipError_tPvRmT2_T3_T4_T5_mT6_T7_P12ihipStream_tbENKUlT_T0_E_clISt17integral_constantIbLb1EESZ_EEDaSU_SV_EUlSU_E_NS1_11comp_targetILNS1_3genE10ELNS1_11target_archE1200ELNS1_3gpuE4ELNS1_3repE0EEENS1_30default_config_static_selectorELNS0_4arch9wavefront6targetE1EEEvT1_
	.globl	_ZN7rocprim17ROCPRIM_400000_NS6detail17trampoline_kernelINS0_14default_configENS1_27scan_by_key_config_selectorIxiEEZZNS1_16scan_by_key_implILNS1_25lookback_scan_determinismE0ELb1ES3_N6thrust23THRUST_200600_302600_NS6detail15normal_iteratorINS9_10device_ptrIxEEEESE_SE_iNS9_4plusIvEENS9_8equal_toIvEEiEE10hipError_tPvRmT2_T3_T4_T5_mT6_T7_P12ihipStream_tbENKUlT_T0_E_clISt17integral_constantIbLb1EESZ_EEDaSU_SV_EUlSU_E_NS1_11comp_targetILNS1_3genE10ELNS1_11target_archE1200ELNS1_3gpuE4ELNS1_3repE0EEENS1_30default_config_static_selectorELNS0_4arch9wavefront6targetE1EEEvT1_
	.p2align	8
	.type	_ZN7rocprim17ROCPRIM_400000_NS6detail17trampoline_kernelINS0_14default_configENS1_27scan_by_key_config_selectorIxiEEZZNS1_16scan_by_key_implILNS1_25lookback_scan_determinismE0ELb1ES3_N6thrust23THRUST_200600_302600_NS6detail15normal_iteratorINS9_10device_ptrIxEEEESE_SE_iNS9_4plusIvEENS9_8equal_toIvEEiEE10hipError_tPvRmT2_T3_T4_T5_mT6_T7_P12ihipStream_tbENKUlT_T0_E_clISt17integral_constantIbLb1EESZ_EEDaSU_SV_EUlSU_E_NS1_11comp_targetILNS1_3genE10ELNS1_11target_archE1200ELNS1_3gpuE4ELNS1_3repE0EEENS1_30default_config_static_selectorELNS0_4arch9wavefront6targetE1EEEvT1_,@function
_ZN7rocprim17ROCPRIM_400000_NS6detail17trampoline_kernelINS0_14default_configENS1_27scan_by_key_config_selectorIxiEEZZNS1_16scan_by_key_implILNS1_25lookback_scan_determinismE0ELb1ES3_N6thrust23THRUST_200600_302600_NS6detail15normal_iteratorINS9_10device_ptrIxEEEESE_SE_iNS9_4plusIvEENS9_8equal_toIvEEiEE10hipError_tPvRmT2_T3_T4_T5_mT6_T7_P12ihipStream_tbENKUlT_T0_E_clISt17integral_constantIbLb1EESZ_EEDaSU_SV_EUlSU_E_NS1_11comp_targetILNS1_3genE10ELNS1_11target_archE1200ELNS1_3gpuE4ELNS1_3repE0EEENS1_30default_config_static_selectorELNS0_4arch9wavefront6targetE1EEEvT1_: ; @_ZN7rocprim17ROCPRIM_400000_NS6detail17trampoline_kernelINS0_14default_configENS1_27scan_by_key_config_selectorIxiEEZZNS1_16scan_by_key_implILNS1_25lookback_scan_determinismE0ELb1ES3_N6thrust23THRUST_200600_302600_NS6detail15normal_iteratorINS9_10device_ptrIxEEEESE_SE_iNS9_4plusIvEENS9_8equal_toIvEEiEE10hipError_tPvRmT2_T3_T4_T5_mT6_T7_P12ihipStream_tbENKUlT_T0_E_clISt17integral_constantIbLb1EESZ_EEDaSU_SV_EUlSU_E_NS1_11comp_targetILNS1_3genE10ELNS1_11target_archE1200ELNS1_3gpuE4ELNS1_3repE0EEENS1_30default_config_static_selectorELNS0_4arch9wavefront6targetE1EEEvT1_
; %bb.0:
	.section	.rodata,"a",@progbits
	.p2align	6, 0x0
	.amdhsa_kernel _ZN7rocprim17ROCPRIM_400000_NS6detail17trampoline_kernelINS0_14default_configENS1_27scan_by_key_config_selectorIxiEEZZNS1_16scan_by_key_implILNS1_25lookback_scan_determinismE0ELb1ES3_N6thrust23THRUST_200600_302600_NS6detail15normal_iteratorINS9_10device_ptrIxEEEESE_SE_iNS9_4plusIvEENS9_8equal_toIvEEiEE10hipError_tPvRmT2_T3_T4_T5_mT6_T7_P12ihipStream_tbENKUlT_T0_E_clISt17integral_constantIbLb1EESZ_EEDaSU_SV_EUlSU_E_NS1_11comp_targetILNS1_3genE10ELNS1_11target_archE1200ELNS1_3gpuE4ELNS1_3repE0EEENS1_30default_config_static_selectorELNS0_4arch9wavefront6targetE1EEEvT1_
		.amdhsa_group_segment_fixed_size 0
		.amdhsa_private_segment_fixed_size 0
		.amdhsa_kernarg_size 112
		.amdhsa_user_sgpr_count 6
		.amdhsa_user_sgpr_private_segment_buffer 1
		.amdhsa_user_sgpr_dispatch_ptr 0
		.amdhsa_user_sgpr_queue_ptr 0
		.amdhsa_user_sgpr_kernarg_segment_ptr 1
		.amdhsa_user_sgpr_dispatch_id 0
		.amdhsa_user_sgpr_flat_scratch_init 0
		.amdhsa_user_sgpr_kernarg_preload_length 0
		.amdhsa_user_sgpr_kernarg_preload_offset 0
		.amdhsa_user_sgpr_private_segment_size 0
		.amdhsa_uses_dynamic_stack 0
		.amdhsa_system_sgpr_private_segment_wavefront_offset 0
		.amdhsa_system_sgpr_workgroup_id_x 1
		.amdhsa_system_sgpr_workgroup_id_y 0
		.amdhsa_system_sgpr_workgroup_id_z 0
		.amdhsa_system_sgpr_workgroup_info 0
		.amdhsa_system_vgpr_workitem_id 0
		.amdhsa_next_free_vgpr 1
		.amdhsa_next_free_sgpr 0
		.amdhsa_accum_offset 4
		.amdhsa_reserve_vcc 0
		.amdhsa_reserve_flat_scratch 0
		.amdhsa_float_round_mode_32 0
		.amdhsa_float_round_mode_16_64 0
		.amdhsa_float_denorm_mode_32 3
		.amdhsa_float_denorm_mode_16_64 3
		.amdhsa_dx10_clamp 1
		.amdhsa_ieee_mode 1
		.amdhsa_fp16_overflow 0
		.amdhsa_tg_split 0
		.amdhsa_exception_fp_ieee_invalid_op 0
		.amdhsa_exception_fp_denorm_src 0
		.amdhsa_exception_fp_ieee_div_zero 0
		.amdhsa_exception_fp_ieee_overflow 0
		.amdhsa_exception_fp_ieee_underflow 0
		.amdhsa_exception_fp_ieee_inexact 0
		.amdhsa_exception_int_div_zero 0
	.end_amdhsa_kernel
	.section	.text._ZN7rocprim17ROCPRIM_400000_NS6detail17trampoline_kernelINS0_14default_configENS1_27scan_by_key_config_selectorIxiEEZZNS1_16scan_by_key_implILNS1_25lookback_scan_determinismE0ELb1ES3_N6thrust23THRUST_200600_302600_NS6detail15normal_iteratorINS9_10device_ptrIxEEEESE_SE_iNS9_4plusIvEENS9_8equal_toIvEEiEE10hipError_tPvRmT2_T3_T4_T5_mT6_T7_P12ihipStream_tbENKUlT_T0_E_clISt17integral_constantIbLb1EESZ_EEDaSU_SV_EUlSU_E_NS1_11comp_targetILNS1_3genE10ELNS1_11target_archE1200ELNS1_3gpuE4ELNS1_3repE0EEENS1_30default_config_static_selectorELNS0_4arch9wavefront6targetE1EEEvT1_,"axG",@progbits,_ZN7rocprim17ROCPRIM_400000_NS6detail17trampoline_kernelINS0_14default_configENS1_27scan_by_key_config_selectorIxiEEZZNS1_16scan_by_key_implILNS1_25lookback_scan_determinismE0ELb1ES3_N6thrust23THRUST_200600_302600_NS6detail15normal_iteratorINS9_10device_ptrIxEEEESE_SE_iNS9_4plusIvEENS9_8equal_toIvEEiEE10hipError_tPvRmT2_T3_T4_T5_mT6_T7_P12ihipStream_tbENKUlT_T0_E_clISt17integral_constantIbLb1EESZ_EEDaSU_SV_EUlSU_E_NS1_11comp_targetILNS1_3genE10ELNS1_11target_archE1200ELNS1_3gpuE4ELNS1_3repE0EEENS1_30default_config_static_selectorELNS0_4arch9wavefront6targetE1EEEvT1_,comdat
.Lfunc_end1018:
	.size	_ZN7rocprim17ROCPRIM_400000_NS6detail17trampoline_kernelINS0_14default_configENS1_27scan_by_key_config_selectorIxiEEZZNS1_16scan_by_key_implILNS1_25lookback_scan_determinismE0ELb1ES3_N6thrust23THRUST_200600_302600_NS6detail15normal_iteratorINS9_10device_ptrIxEEEESE_SE_iNS9_4plusIvEENS9_8equal_toIvEEiEE10hipError_tPvRmT2_T3_T4_T5_mT6_T7_P12ihipStream_tbENKUlT_T0_E_clISt17integral_constantIbLb1EESZ_EEDaSU_SV_EUlSU_E_NS1_11comp_targetILNS1_3genE10ELNS1_11target_archE1200ELNS1_3gpuE4ELNS1_3repE0EEENS1_30default_config_static_selectorELNS0_4arch9wavefront6targetE1EEEvT1_, .Lfunc_end1018-_ZN7rocprim17ROCPRIM_400000_NS6detail17trampoline_kernelINS0_14default_configENS1_27scan_by_key_config_selectorIxiEEZZNS1_16scan_by_key_implILNS1_25lookback_scan_determinismE0ELb1ES3_N6thrust23THRUST_200600_302600_NS6detail15normal_iteratorINS9_10device_ptrIxEEEESE_SE_iNS9_4plusIvEENS9_8equal_toIvEEiEE10hipError_tPvRmT2_T3_T4_T5_mT6_T7_P12ihipStream_tbENKUlT_T0_E_clISt17integral_constantIbLb1EESZ_EEDaSU_SV_EUlSU_E_NS1_11comp_targetILNS1_3genE10ELNS1_11target_archE1200ELNS1_3gpuE4ELNS1_3repE0EEENS1_30default_config_static_selectorELNS0_4arch9wavefront6targetE1EEEvT1_
                                        ; -- End function
	.section	.AMDGPU.csdata,"",@progbits
; Kernel info:
; codeLenInByte = 0
; NumSgprs: 4
; NumVgprs: 0
; NumAgprs: 0
; TotalNumVgprs: 0
; ScratchSize: 0
; MemoryBound: 0
; FloatMode: 240
; IeeeMode: 1
; LDSByteSize: 0 bytes/workgroup (compile time only)
; SGPRBlocks: 0
; VGPRBlocks: 0
; NumSGPRsForWavesPerEU: 4
; NumVGPRsForWavesPerEU: 1
; AccumOffset: 4
; Occupancy: 8
; WaveLimiterHint : 0
; COMPUTE_PGM_RSRC2:SCRATCH_EN: 0
; COMPUTE_PGM_RSRC2:USER_SGPR: 6
; COMPUTE_PGM_RSRC2:TRAP_HANDLER: 0
; COMPUTE_PGM_RSRC2:TGID_X_EN: 1
; COMPUTE_PGM_RSRC2:TGID_Y_EN: 0
; COMPUTE_PGM_RSRC2:TGID_Z_EN: 0
; COMPUTE_PGM_RSRC2:TIDIG_COMP_CNT: 0
; COMPUTE_PGM_RSRC3_GFX90A:ACCUM_OFFSET: 0
; COMPUTE_PGM_RSRC3_GFX90A:TG_SPLIT: 0
	.section	.text._ZN7rocprim17ROCPRIM_400000_NS6detail17trampoline_kernelINS0_14default_configENS1_27scan_by_key_config_selectorIxiEEZZNS1_16scan_by_key_implILNS1_25lookback_scan_determinismE0ELb1ES3_N6thrust23THRUST_200600_302600_NS6detail15normal_iteratorINS9_10device_ptrIxEEEESE_SE_iNS9_4plusIvEENS9_8equal_toIvEEiEE10hipError_tPvRmT2_T3_T4_T5_mT6_T7_P12ihipStream_tbENKUlT_T0_E_clISt17integral_constantIbLb1EESZ_EEDaSU_SV_EUlSU_E_NS1_11comp_targetILNS1_3genE9ELNS1_11target_archE1100ELNS1_3gpuE3ELNS1_3repE0EEENS1_30default_config_static_selectorELNS0_4arch9wavefront6targetE1EEEvT1_,"axG",@progbits,_ZN7rocprim17ROCPRIM_400000_NS6detail17trampoline_kernelINS0_14default_configENS1_27scan_by_key_config_selectorIxiEEZZNS1_16scan_by_key_implILNS1_25lookback_scan_determinismE0ELb1ES3_N6thrust23THRUST_200600_302600_NS6detail15normal_iteratorINS9_10device_ptrIxEEEESE_SE_iNS9_4plusIvEENS9_8equal_toIvEEiEE10hipError_tPvRmT2_T3_T4_T5_mT6_T7_P12ihipStream_tbENKUlT_T0_E_clISt17integral_constantIbLb1EESZ_EEDaSU_SV_EUlSU_E_NS1_11comp_targetILNS1_3genE9ELNS1_11target_archE1100ELNS1_3gpuE3ELNS1_3repE0EEENS1_30default_config_static_selectorELNS0_4arch9wavefront6targetE1EEEvT1_,comdat
	.protected	_ZN7rocprim17ROCPRIM_400000_NS6detail17trampoline_kernelINS0_14default_configENS1_27scan_by_key_config_selectorIxiEEZZNS1_16scan_by_key_implILNS1_25lookback_scan_determinismE0ELb1ES3_N6thrust23THRUST_200600_302600_NS6detail15normal_iteratorINS9_10device_ptrIxEEEESE_SE_iNS9_4plusIvEENS9_8equal_toIvEEiEE10hipError_tPvRmT2_T3_T4_T5_mT6_T7_P12ihipStream_tbENKUlT_T0_E_clISt17integral_constantIbLb1EESZ_EEDaSU_SV_EUlSU_E_NS1_11comp_targetILNS1_3genE9ELNS1_11target_archE1100ELNS1_3gpuE3ELNS1_3repE0EEENS1_30default_config_static_selectorELNS0_4arch9wavefront6targetE1EEEvT1_ ; -- Begin function _ZN7rocprim17ROCPRIM_400000_NS6detail17trampoline_kernelINS0_14default_configENS1_27scan_by_key_config_selectorIxiEEZZNS1_16scan_by_key_implILNS1_25lookback_scan_determinismE0ELb1ES3_N6thrust23THRUST_200600_302600_NS6detail15normal_iteratorINS9_10device_ptrIxEEEESE_SE_iNS9_4plusIvEENS9_8equal_toIvEEiEE10hipError_tPvRmT2_T3_T4_T5_mT6_T7_P12ihipStream_tbENKUlT_T0_E_clISt17integral_constantIbLb1EESZ_EEDaSU_SV_EUlSU_E_NS1_11comp_targetILNS1_3genE9ELNS1_11target_archE1100ELNS1_3gpuE3ELNS1_3repE0EEENS1_30default_config_static_selectorELNS0_4arch9wavefront6targetE1EEEvT1_
	.globl	_ZN7rocprim17ROCPRIM_400000_NS6detail17trampoline_kernelINS0_14default_configENS1_27scan_by_key_config_selectorIxiEEZZNS1_16scan_by_key_implILNS1_25lookback_scan_determinismE0ELb1ES3_N6thrust23THRUST_200600_302600_NS6detail15normal_iteratorINS9_10device_ptrIxEEEESE_SE_iNS9_4plusIvEENS9_8equal_toIvEEiEE10hipError_tPvRmT2_T3_T4_T5_mT6_T7_P12ihipStream_tbENKUlT_T0_E_clISt17integral_constantIbLb1EESZ_EEDaSU_SV_EUlSU_E_NS1_11comp_targetILNS1_3genE9ELNS1_11target_archE1100ELNS1_3gpuE3ELNS1_3repE0EEENS1_30default_config_static_selectorELNS0_4arch9wavefront6targetE1EEEvT1_
	.p2align	8
	.type	_ZN7rocprim17ROCPRIM_400000_NS6detail17trampoline_kernelINS0_14default_configENS1_27scan_by_key_config_selectorIxiEEZZNS1_16scan_by_key_implILNS1_25lookback_scan_determinismE0ELb1ES3_N6thrust23THRUST_200600_302600_NS6detail15normal_iteratorINS9_10device_ptrIxEEEESE_SE_iNS9_4plusIvEENS9_8equal_toIvEEiEE10hipError_tPvRmT2_T3_T4_T5_mT6_T7_P12ihipStream_tbENKUlT_T0_E_clISt17integral_constantIbLb1EESZ_EEDaSU_SV_EUlSU_E_NS1_11comp_targetILNS1_3genE9ELNS1_11target_archE1100ELNS1_3gpuE3ELNS1_3repE0EEENS1_30default_config_static_selectorELNS0_4arch9wavefront6targetE1EEEvT1_,@function
_ZN7rocprim17ROCPRIM_400000_NS6detail17trampoline_kernelINS0_14default_configENS1_27scan_by_key_config_selectorIxiEEZZNS1_16scan_by_key_implILNS1_25lookback_scan_determinismE0ELb1ES3_N6thrust23THRUST_200600_302600_NS6detail15normal_iteratorINS9_10device_ptrIxEEEESE_SE_iNS9_4plusIvEENS9_8equal_toIvEEiEE10hipError_tPvRmT2_T3_T4_T5_mT6_T7_P12ihipStream_tbENKUlT_T0_E_clISt17integral_constantIbLb1EESZ_EEDaSU_SV_EUlSU_E_NS1_11comp_targetILNS1_3genE9ELNS1_11target_archE1100ELNS1_3gpuE3ELNS1_3repE0EEENS1_30default_config_static_selectorELNS0_4arch9wavefront6targetE1EEEvT1_: ; @_ZN7rocprim17ROCPRIM_400000_NS6detail17trampoline_kernelINS0_14default_configENS1_27scan_by_key_config_selectorIxiEEZZNS1_16scan_by_key_implILNS1_25lookback_scan_determinismE0ELb1ES3_N6thrust23THRUST_200600_302600_NS6detail15normal_iteratorINS9_10device_ptrIxEEEESE_SE_iNS9_4plusIvEENS9_8equal_toIvEEiEE10hipError_tPvRmT2_T3_T4_T5_mT6_T7_P12ihipStream_tbENKUlT_T0_E_clISt17integral_constantIbLb1EESZ_EEDaSU_SV_EUlSU_E_NS1_11comp_targetILNS1_3genE9ELNS1_11target_archE1100ELNS1_3gpuE3ELNS1_3repE0EEENS1_30default_config_static_selectorELNS0_4arch9wavefront6targetE1EEEvT1_
; %bb.0:
	.section	.rodata,"a",@progbits
	.p2align	6, 0x0
	.amdhsa_kernel _ZN7rocprim17ROCPRIM_400000_NS6detail17trampoline_kernelINS0_14default_configENS1_27scan_by_key_config_selectorIxiEEZZNS1_16scan_by_key_implILNS1_25lookback_scan_determinismE0ELb1ES3_N6thrust23THRUST_200600_302600_NS6detail15normal_iteratorINS9_10device_ptrIxEEEESE_SE_iNS9_4plusIvEENS9_8equal_toIvEEiEE10hipError_tPvRmT2_T3_T4_T5_mT6_T7_P12ihipStream_tbENKUlT_T0_E_clISt17integral_constantIbLb1EESZ_EEDaSU_SV_EUlSU_E_NS1_11comp_targetILNS1_3genE9ELNS1_11target_archE1100ELNS1_3gpuE3ELNS1_3repE0EEENS1_30default_config_static_selectorELNS0_4arch9wavefront6targetE1EEEvT1_
		.amdhsa_group_segment_fixed_size 0
		.amdhsa_private_segment_fixed_size 0
		.amdhsa_kernarg_size 112
		.amdhsa_user_sgpr_count 6
		.amdhsa_user_sgpr_private_segment_buffer 1
		.amdhsa_user_sgpr_dispatch_ptr 0
		.amdhsa_user_sgpr_queue_ptr 0
		.amdhsa_user_sgpr_kernarg_segment_ptr 1
		.amdhsa_user_sgpr_dispatch_id 0
		.amdhsa_user_sgpr_flat_scratch_init 0
		.amdhsa_user_sgpr_kernarg_preload_length 0
		.amdhsa_user_sgpr_kernarg_preload_offset 0
		.amdhsa_user_sgpr_private_segment_size 0
		.amdhsa_uses_dynamic_stack 0
		.amdhsa_system_sgpr_private_segment_wavefront_offset 0
		.amdhsa_system_sgpr_workgroup_id_x 1
		.amdhsa_system_sgpr_workgroup_id_y 0
		.amdhsa_system_sgpr_workgroup_id_z 0
		.amdhsa_system_sgpr_workgroup_info 0
		.amdhsa_system_vgpr_workitem_id 0
		.amdhsa_next_free_vgpr 1
		.amdhsa_next_free_sgpr 0
		.amdhsa_accum_offset 4
		.amdhsa_reserve_vcc 0
		.amdhsa_reserve_flat_scratch 0
		.amdhsa_float_round_mode_32 0
		.amdhsa_float_round_mode_16_64 0
		.amdhsa_float_denorm_mode_32 3
		.amdhsa_float_denorm_mode_16_64 3
		.amdhsa_dx10_clamp 1
		.amdhsa_ieee_mode 1
		.amdhsa_fp16_overflow 0
		.amdhsa_tg_split 0
		.amdhsa_exception_fp_ieee_invalid_op 0
		.amdhsa_exception_fp_denorm_src 0
		.amdhsa_exception_fp_ieee_div_zero 0
		.amdhsa_exception_fp_ieee_overflow 0
		.amdhsa_exception_fp_ieee_underflow 0
		.amdhsa_exception_fp_ieee_inexact 0
		.amdhsa_exception_int_div_zero 0
	.end_amdhsa_kernel
	.section	.text._ZN7rocprim17ROCPRIM_400000_NS6detail17trampoline_kernelINS0_14default_configENS1_27scan_by_key_config_selectorIxiEEZZNS1_16scan_by_key_implILNS1_25lookback_scan_determinismE0ELb1ES3_N6thrust23THRUST_200600_302600_NS6detail15normal_iteratorINS9_10device_ptrIxEEEESE_SE_iNS9_4plusIvEENS9_8equal_toIvEEiEE10hipError_tPvRmT2_T3_T4_T5_mT6_T7_P12ihipStream_tbENKUlT_T0_E_clISt17integral_constantIbLb1EESZ_EEDaSU_SV_EUlSU_E_NS1_11comp_targetILNS1_3genE9ELNS1_11target_archE1100ELNS1_3gpuE3ELNS1_3repE0EEENS1_30default_config_static_selectorELNS0_4arch9wavefront6targetE1EEEvT1_,"axG",@progbits,_ZN7rocprim17ROCPRIM_400000_NS6detail17trampoline_kernelINS0_14default_configENS1_27scan_by_key_config_selectorIxiEEZZNS1_16scan_by_key_implILNS1_25lookback_scan_determinismE0ELb1ES3_N6thrust23THRUST_200600_302600_NS6detail15normal_iteratorINS9_10device_ptrIxEEEESE_SE_iNS9_4plusIvEENS9_8equal_toIvEEiEE10hipError_tPvRmT2_T3_T4_T5_mT6_T7_P12ihipStream_tbENKUlT_T0_E_clISt17integral_constantIbLb1EESZ_EEDaSU_SV_EUlSU_E_NS1_11comp_targetILNS1_3genE9ELNS1_11target_archE1100ELNS1_3gpuE3ELNS1_3repE0EEENS1_30default_config_static_selectorELNS0_4arch9wavefront6targetE1EEEvT1_,comdat
.Lfunc_end1019:
	.size	_ZN7rocprim17ROCPRIM_400000_NS6detail17trampoline_kernelINS0_14default_configENS1_27scan_by_key_config_selectorIxiEEZZNS1_16scan_by_key_implILNS1_25lookback_scan_determinismE0ELb1ES3_N6thrust23THRUST_200600_302600_NS6detail15normal_iteratorINS9_10device_ptrIxEEEESE_SE_iNS9_4plusIvEENS9_8equal_toIvEEiEE10hipError_tPvRmT2_T3_T4_T5_mT6_T7_P12ihipStream_tbENKUlT_T0_E_clISt17integral_constantIbLb1EESZ_EEDaSU_SV_EUlSU_E_NS1_11comp_targetILNS1_3genE9ELNS1_11target_archE1100ELNS1_3gpuE3ELNS1_3repE0EEENS1_30default_config_static_selectorELNS0_4arch9wavefront6targetE1EEEvT1_, .Lfunc_end1019-_ZN7rocprim17ROCPRIM_400000_NS6detail17trampoline_kernelINS0_14default_configENS1_27scan_by_key_config_selectorIxiEEZZNS1_16scan_by_key_implILNS1_25lookback_scan_determinismE0ELb1ES3_N6thrust23THRUST_200600_302600_NS6detail15normal_iteratorINS9_10device_ptrIxEEEESE_SE_iNS9_4plusIvEENS9_8equal_toIvEEiEE10hipError_tPvRmT2_T3_T4_T5_mT6_T7_P12ihipStream_tbENKUlT_T0_E_clISt17integral_constantIbLb1EESZ_EEDaSU_SV_EUlSU_E_NS1_11comp_targetILNS1_3genE9ELNS1_11target_archE1100ELNS1_3gpuE3ELNS1_3repE0EEENS1_30default_config_static_selectorELNS0_4arch9wavefront6targetE1EEEvT1_
                                        ; -- End function
	.section	.AMDGPU.csdata,"",@progbits
; Kernel info:
; codeLenInByte = 0
; NumSgprs: 4
; NumVgprs: 0
; NumAgprs: 0
; TotalNumVgprs: 0
; ScratchSize: 0
; MemoryBound: 0
; FloatMode: 240
; IeeeMode: 1
; LDSByteSize: 0 bytes/workgroup (compile time only)
; SGPRBlocks: 0
; VGPRBlocks: 0
; NumSGPRsForWavesPerEU: 4
; NumVGPRsForWavesPerEU: 1
; AccumOffset: 4
; Occupancy: 8
; WaveLimiterHint : 0
; COMPUTE_PGM_RSRC2:SCRATCH_EN: 0
; COMPUTE_PGM_RSRC2:USER_SGPR: 6
; COMPUTE_PGM_RSRC2:TRAP_HANDLER: 0
; COMPUTE_PGM_RSRC2:TGID_X_EN: 1
; COMPUTE_PGM_RSRC2:TGID_Y_EN: 0
; COMPUTE_PGM_RSRC2:TGID_Z_EN: 0
; COMPUTE_PGM_RSRC2:TIDIG_COMP_CNT: 0
; COMPUTE_PGM_RSRC3_GFX90A:ACCUM_OFFSET: 0
; COMPUTE_PGM_RSRC3_GFX90A:TG_SPLIT: 0
	.section	.text._ZN7rocprim17ROCPRIM_400000_NS6detail17trampoline_kernelINS0_14default_configENS1_27scan_by_key_config_selectorIxiEEZZNS1_16scan_by_key_implILNS1_25lookback_scan_determinismE0ELb1ES3_N6thrust23THRUST_200600_302600_NS6detail15normal_iteratorINS9_10device_ptrIxEEEESE_SE_iNS9_4plusIvEENS9_8equal_toIvEEiEE10hipError_tPvRmT2_T3_T4_T5_mT6_T7_P12ihipStream_tbENKUlT_T0_E_clISt17integral_constantIbLb1EESZ_EEDaSU_SV_EUlSU_E_NS1_11comp_targetILNS1_3genE8ELNS1_11target_archE1030ELNS1_3gpuE2ELNS1_3repE0EEENS1_30default_config_static_selectorELNS0_4arch9wavefront6targetE1EEEvT1_,"axG",@progbits,_ZN7rocprim17ROCPRIM_400000_NS6detail17trampoline_kernelINS0_14default_configENS1_27scan_by_key_config_selectorIxiEEZZNS1_16scan_by_key_implILNS1_25lookback_scan_determinismE0ELb1ES3_N6thrust23THRUST_200600_302600_NS6detail15normal_iteratorINS9_10device_ptrIxEEEESE_SE_iNS9_4plusIvEENS9_8equal_toIvEEiEE10hipError_tPvRmT2_T3_T4_T5_mT6_T7_P12ihipStream_tbENKUlT_T0_E_clISt17integral_constantIbLb1EESZ_EEDaSU_SV_EUlSU_E_NS1_11comp_targetILNS1_3genE8ELNS1_11target_archE1030ELNS1_3gpuE2ELNS1_3repE0EEENS1_30default_config_static_selectorELNS0_4arch9wavefront6targetE1EEEvT1_,comdat
	.protected	_ZN7rocprim17ROCPRIM_400000_NS6detail17trampoline_kernelINS0_14default_configENS1_27scan_by_key_config_selectorIxiEEZZNS1_16scan_by_key_implILNS1_25lookback_scan_determinismE0ELb1ES3_N6thrust23THRUST_200600_302600_NS6detail15normal_iteratorINS9_10device_ptrIxEEEESE_SE_iNS9_4plusIvEENS9_8equal_toIvEEiEE10hipError_tPvRmT2_T3_T4_T5_mT6_T7_P12ihipStream_tbENKUlT_T0_E_clISt17integral_constantIbLb1EESZ_EEDaSU_SV_EUlSU_E_NS1_11comp_targetILNS1_3genE8ELNS1_11target_archE1030ELNS1_3gpuE2ELNS1_3repE0EEENS1_30default_config_static_selectorELNS0_4arch9wavefront6targetE1EEEvT1_ ; -- Begin function _ZN7rocprim17ROCPRIM_400000_NS6detail17trampoline_kernelINS0_14default_configENS1_27scan_by_key_config_selectorIxiEEZZNS1_16scan_by_key_implILNS1_25lookback_scan_determinismE0ELb1ES3_N6thrust23THRUST_200600_302600_NS6detail15normal_iteratorINS9_10device_ptrIxEEEESE_SE_iNS9_4plusIvEENS9_8equal_toIvEEiEE10hipError_tPvRmT2_T3_T4_T5_mT6_T7_P12ihipStream_tbENKUlT_T0_E_clISt17integral_constantIbLb1EESZ_EEDaSU_SV_EUlSU_E_NS1_11comp_targetILNS1_3genE8ELNS1_11target_archE1030ELNS1_3gpuE2ELNS1_3repE0EEENS1_30default_config_static_selectorELNS0_4arch9wavefront6targetE1EEEvT1_
	.globl	_ZN7rocprim17ROCPRIM_400000_NS6detail17trampoline_kernelINS0_14default_configENS1_27scan_by_key_config_selectorIxiEEZZNS1_16scan_by_key_implILNS1_25lookback_scan_determinismE0ELb1ES3_N6thrust23THRUST_200600_302600_NS6detail15normal_iteratorINS9_10device_ptrIxEEEESE_SE_iNS9_4plusIvEENS9_8equal_toIvEEiEE10hipError_tPvRmT2_T3_T4_T5_mT6_T7_P12ihipStream_tbENKUlT_T0_E_clISt17integral_constantIbLb1EESZ_EEDaSU_SV_EUlSU_E_NS1_11comp_targetILNS1_3genE8ELNS1_11target_archE1030ELNS1_3gpuE2ELNS1_3repE0EEENS1_30default_config_static_selectorELNS0_4arch9wavefront6targetE1EEEvT1_
	.p2align	8
	.type	_ZN7rocprim17ROCPRIM_400000_NS6detail17trampoline_kernelINS0_14default_configENS1_27scan_by_key_config_selectorIxiEEZZNS1_16scan_by_key_implILNS1_25lookback_scan_determinismE0ELb1ES3_N6thrust23THRUST_200600_302600_NS6detail15normal_iteratorINS9_10device_ptrIxEEEESE_SE_iNS9_4plusIvEENS9_8equal_toIvEEiEE10hipError_tPvRmT2_T3_T4_T5_mT6_T7_P12ihipStream_tbENKUlT_T0_E_clISt17integral_constantIbLb1EESZ_EEDaSU_SV_EUlSU_E_NS1_11comp_targetILNS1_3genE8ELNS1_11target_archE1030ELNS1_3gpuE2ELNS1_3repE0EEENS1_30default_config_static_selectorELNS0_4arch9wavefront6targetE1EEEvT1_,@function
_ZN7rocprim17ROCPRIM_400000_NS6detail17trampoline_kernelINS0_14default_configENS1_27scan_by_key_config_selectorIxiEEZZNS1_16scan_by_key_implILNS1_25lookback_scan_determinismE0ELb1ES3_N6thrust23THRUST_200600_302600_NS6detail15normal_iteratorINS9_10device_ptrIxEEEESE_SE_iNS9_4plusIvEENS9_8equal_toIvEEiEE10hipError_tPvRmT2_T3_T4_T5_mT6_T7_P12ihipStream_tbENKUlT_T0_E_clISt17integral_constantIbLb1EESZ_EEDaSU_SV_EUlSU_E_NS1_11comp_targetILNS1_3genE8ELNS1_11target_archE1030ELNS1_3gpuE2ELNS1_3repE0EEENS1_30default_config_static_selectorELNS0_4arch9wavefront6targetE1EEEvT1_: ; @_ZN7rocprim17ROCPRIM_400000_NS6detail17trampoline_kernelINS0_14default_configENS1_27scan_by_key_config_selectorIxiEEZZNS1_16scan_by_key_implILNS1_25lookback_scan_determinismE0ELb1ES3_N6thrust23THRUST_200600_302600_NS6detail15normal_iteratorINS9_10device_ptrIxEEEESE_SE_iNS9_4plusIvEENS9_8equal_toIvEEiEE10hipError_tPvRmT2_T3_T4_T5_mT6_T7_P12ihipStream_tbENKUlT_T0_E_clISt17integral_constantIbLb1EESZ_EEDaSU_SV_EUlSU_E_NS1_11comp_targetILNS1_3genE8ELNS1_11target_archE1030ELNS1_3gpuE2ELNS1_3repE0EEENS1_30default_config_static_selectorELNS0_4arch9wavefront6targetE1EEEvT1_
; %bb.0:
	.section	.rodata,"a",@progbits
	.p2align	6, 0x0
	.amdhsa_kernel _ZN7rocprim17ROCPRIM_400000_NS6detail17trampoline_kernelINS0_14default_configENS1_27scan_by_key_config_selectorIxiEEZZNS1_16scan_by_key_implILNS1_25lookback_scan_determinismE0ELb1ES3_N6thrust23THRUST_200600_302600_NS6detail15normal_iteratorINS9_10device_ptrIxEEEESE_SE_iNS9_4plusIvEENS9_8equal_toIvEEiEE10hipError_tPvRmT2_T3_T4_T5_mT6_T7_P12ihipStream_tbENKUlT_T0_E_clISt17integral_constantIbLb1EESZ_EEDaSU_SV_EUlSU_E_NS1_11comp_targetILNS1_3genE8ELNS1_11target_archE1030ELNS1_3gpuE2ELNS1_3repE0EEENS1_30default_config_static_selectorELNS0_4arch9wavefront6targetE1EEEvT1_
		.amdhsa_group_segment_fixed_size 0
		.amdhsa_private_segment_fixed_size 0
		.amdhsa_kernarg_size 112
		.amdhsa_user_sgpr_count 6
		.amdhsa_user_sgpr_private_segment_buffer 1
		.amdhsa_user_sgpr_dispatch_ptr 0
		.amdhsa_user_sgpr_queue_ptr 0
		.amdhsa_user_sgpr_kernarg_segment_ptr 1
		.amdhsa_user_sgpr_dispatch_id 0
		.amdhsa_user_sgpr_flat_scratch_init 0
		.amdhsa_user_sgpr_kernarg_preload_length 0
		.amdhsa_user_sgpr_kernarg_preload_offset 0
		.amdhsa_user_sgpr_private_segment_size 0
		.amdhsa_uses_dynamic_stack 0
		.amdhsa_system_sgpr_private_segment_wavefront_offset 0
		.amdhsa_system_sgpr_workgroup_id_x 1
		.amdhsa_system_sgpr_workgroup_id_y 0
		.amdhsa_system_sgpr_workgroup_id_z 0
		.amdhsa_system_sgpr_workgroup_info 0
		.amdhsa_system_vgpr_workitem_id 0
		.amdhsa_next_free_vgpr 1
		.amdhsa_next_free_sgpr 0
		.amdhsa_accum_offset 4
		.amdhsa_reserve_vcc 0
		.amdhsa_reserve_flat_scratch 0
		.amdhsa_float_round_mode_32 0
		.amdhsa_float_round_mode_16_64 0
		.amdhsa_float_denorm_mode_32 3
		.amdhsa_float_denorm_mode_16_64 3
		.amdhsa_dx10_clamp 1
		.amdhsa_ieee_mode 1
		.amdhsa_fp16_overflow 0
		.amdhsa_tg_split 0
		.amdhsa_exception_fp_ieee_invalid_op 0
		.amdhsa_exception_fp_denorm_src 0
		.amdhsa_exception_fp_ieee_div_zero 0
		.amdhsa_exception_fp_ieee_overflow 0
		.amdhsa_exception_fp_ieee_underflow 0
		.amdhsa_exception_fp_ieee_inexact 0
		.amdhsa_exception_int_div_zero 0
	.end_amdhsa_kernel
	.section	.text._ZN7rocprim17ROCPRIM_400000_NS6detail17trampoline_kernelINS0_14default_configENS1_27scan_by_key_config_selectorIxiEEZZNS1_16scan_by_key_implILNS1_25lookback_scan_determinismE0ELb1ES3_N6thrust23THRUST_200600_302600_NS6detail15normal_iteratorINS9_10device_ptrIxEEEESE_SE_iNS9_4plusIvEENS9_8equal_toIvEEiEE10hipError_tPvRmT2_T3_T4_T5_mT6_T7_P12ihipStream_tbENKUlT_T0_E_clISt17integral_constantIbLb1EESZ_EEDaSU_SV_EUlSU_E_NS1_11comp_targetILNS1_3genE8ELNS1_11target_archE1030ELNS1_3gpuE2ELNS1_3repE0EEENS1_30default_config_static_selectorELNS0_4arch9wavefront6targetE1EEEvT1_,"axG",@progbits,_ZN7rocprim17ROCPRIM_400000_NS6detail17trampoline_kernelINS0_14default_configENS1_27scan_by_key_config_selectorIxiEEZZNS1_16scan_by_key_implILNS1_25lookback_scan_determinismE0ELb1ES3_N6thrust23THRUST_200600_302600_NS6detail15normal_iteratorINS9_10device_ptrIxEEEESE_SE_iNS9_4plusIvEENS9_8equal_toIvEEiEE10hipError_tPvRmT2_T3_T4_T5_mT6_T7_P12ihipStream_tbENKUlT_T0_E_clISt17integral_constantIbLb1EESZ_EEDaSU_SV_EUlSU_E_NS1_11comp_targetILNS1_3genE8ELNS1_11target_archE1030ELNS1_3gpuE2ELNS1_3repE0EEENS1_30default_config_static_selectorELNS0_4arch9wavefront6targetE1EEEvT1_,comdat
.Lfunc_end1020:
	.size	_ZN7rocprim17ROCPRIM_400000_NS6detail17trampoline_kernelINS0_14default_configENS1_27scan_by_key_config_selectorIxiEEZZNS1_16scan_by_key_implILNS1_25lookback_scan_determinismE0ELb1ES3_N6thrust23THRUST_200600_302600_NS6detail15normal_iteratorINS9_10device_ptrIxEEEESE_SE_iNS9_4plusIvEENS9_8equal_toIvEEiEE10hipError_tPvRmT2_T3_T4_T5_mT6_T7_P12ihipStream_tbENKUlT_T0_E_clISt17integral_constantIbLb1EESZ_EEDaSU_SV_EUlSU_E_NS1_11comp_targetILNS1_3genE8ELNS1_11target_archE1030ELNS1_3gpuE2ELNS1_3repE0EEENS1_30default_config_static_selectorELNS0_4arch9wavefront6targetE1EEEvT1_, .Lfunc_end1020-_ZN7rocprim17ROCPRIM_400000_NS6detail17trampoline_kernelINS0_14default_configENS1_27scan_by_key_config_selectorIxiEEZZNS1_16scan_by_key_implILNS1_25lookback_scan_determinismE0ELb1ES3_N6thrust23THRUST_200600_302600_NS6detail15normal_iteratorINS9_10device_ptrIxEEEESE_SE_iNS9_4plusIvEENS9_8equal_toIvEEiEE10hipError_tPvRmT2_T3_T4_T5_mT6_T7_P12ihipStream_tbENKUlT_T0_E_clISt17integral_constantIbLb1EESZ_EEDaSU_SV_EUlSU_E_NS1_11comp_targetILNS1_3genE8ELNS1_11target_archE1030ELNS1_3gpuE2ELNS1_3repE0EEENS1_30default_config_static_selectorELNS0_4arch9wavefront6targetE1EEEvT1_
                                        ; -- End function
	.section	.AMDGPU.csdata,"",@progbits
; Kernel info:
; codeLenInByte = 0
; NumSgprs: 4
; NumVgprs: 0
; NumAgprs: 0
; TotalNumVgprs: 0
; ScratchSize: 0
; MemoryBound: 0
; FloatMode: 240
; IeeeMode: 1
; LDSByteSize: 0 bytes/workgroup (compile time only)
; SGPRBlocks: 0
; VGPRBlocks: 0
; NumSGPRsForWavesPerEU: 4
; NumVGPRsForWavesPerEU: 1
; AccumOffset: 4
; Occupancy: 8
; WaveLimiterHint : 0
; COMPUTE_PGM_RSRC2:SCRATCH_EN: 0
; COMPUTE_PGM_RSRC2:USER_SGPR: 6
; COMPUTE_PGM_RSRC2:TRAP_HANDLER: 0
; COMPUTE_PGM_RSRC2:TGID_X_EN: 1
; COMPUTE_PGM_RSRC2:TGID_Y_EN: 0
; COMPUTE_PGM_RSRC2:TGID_Z_EN: 0
; COMPUTE_PGM_RSRC2:TIDIG_COMP_CNT: 0
; COMPUTE_PGM_RSRC3_GFX90A:ACCUM_OFFSET: 0
; COMPUTE_PGM_RSRC3_GFX90A:TG_SPLIT: 0
	.section	.text._ZN7rocprim17ROCPRIM_400000_NS6detail30init_device_scan_by_key_kernelINS1_19lookback_scan_stateINS0_5tupleIJibEEELb1ELb1EEEN6thrust23THRUST_200600_302600_NS6detail15normal_iteratorINS8_10device_ptrIxEEEEjNS1_16block_id_wrapperIjLb0EEEEEvT_jjPNSG_10value_typeET0_PNSt15iterator_traitsISJ_E10value_typeEmT1_T2_,"axG",@progbits,_ZN7rocprim17ROCPRIM_400000_NS6detail30init_device_scan_by_key_kernelINS1_19lookback_scan_stateINS0_5tupleIJibEEELb1ELb1EEEN6thrust23THRUST_200600_302600_NS6detail15normal_iteratorINS8_10device_ptrIxEEEEjNS1_16block_id_wrapperIjLb0EEEEEvT_jjPNSG_10value_typeET0_PNSt15iterator_traitsISJ_E10value_typeEmT1_T2_,comdat
	.protected	_ZN7rocprim17ROCPRIM_400000_NS6detail30init_device_scan_by_key_kernelINS1_19lookback_scan_stateINS0_5tupleIJibEEELb1ELb1EEEN6thrust23THRUST_200600_302600_NS6detail15normal_iteratorINS8_10device_ptrIxEEEEjNS1_16block_id_wrapperIjLb0EEEEEvT_jjPNSG_10value_typeET0_PNSt15iterator_traitsISJ_E10value_typeEmT1_T2_ ; -- Begin function _ZN7rocprim17ROCPRIM_400000_NS6detail30init_device_scan_by_key_kernelINS1_19lookback_scan_stateINS0_5tupleIJibEEELb1ELb1EEEN6thrust23THRUST_200600_302600_NS6detail15normal_iteratorINS8_10device_ptrIxEEEEjNS1_16block_id_wrapperIjLb0EEEEEvT_jjPNSG_10value_typeET0_PNSt15iterator_traitsISJ_E10value_typeEmT1_T2_
	.globl	_ZN7rocprim17ROCPRIM_400000_NS6detail30init_device_scan_by_key_kernelINS1_19lookback_scan_stateINS0_5tupleIJibEEELb1ELb1EEEN6thrust23THRUST_200600_302600_NS6detail15normal_iteratorINS8_10device_ptrIxEEEEjNS1_16block_id_wrapperIjLb0EEEEEvT_jjPNSG_10value_typeET0_PNSt15iterator_traitsISJ_E10value_typeEmT1_T2_
	.p2align	8
	.type	_ZN7rocprim17ROCPRIM_400000_NS6detail30init_device_scan_by_key_kernelINS1_19lookback_scan_stateINS0_5tupleIJibEEELb1ELb1EEEN6thrust23THRUST_200600_302600_NS6detail15normal_iteratorINS8_10device_ptrIxEEEEjNS1_16block_id_wrapperIjLb0EEEEEvT_jjPNSG_10value_typeET0_PNSt15iterator_traitsISJ_E10value_typeEmT1_T2_,@function
_ZN7rocprim17ROCPRIM_400000_NS6detail30init_device_scan_by_key_kernelINS1_19lookback_scan_stateINS0_5tupleIJibEEELb1ELb1EEEN6thrust23THRUST_200600_302600_NS6detail15normal_iteratorINS8_10device_ptrIxEEEEjNS1_16block_id_wrapperIjLb0EEEEEvT_jjPNSG_10value_typeET0_PNSt15iterator_traitsISJ_E10value_typeEmT1_T2_: ; @_ZN7rocprim17ROCPRIM_400000_NS6detail30init_device_scan_by_key_kernelINS1_19lookback_scan_stateINS0_5tupleIJibEEELb1ELb1EEEN6thrust23THRUST_200600_302600_NS6detail15normal_iteratorINS8_10device_ptrIxEEEEjNS1_16block_id_wrapperIjLb0EEEEEvT_jjPNSG_10value_typeET0_PNSt15iterator_traitsISJ_E10value_typeEmT1_T2_
; %bb.0:
	s_load_dword s0, s[4:5], 0x44
	s_load_dwordx8 s[8:15], s[4:5], 0x0
	s_load_dword s18, s[4:5], 0x38
	s_waitcnt lgkmcnt(0)
	s_and_b32 s19, s0, 0xffff
	s_mul_i32 s6, s6, s19
	s_cmp_eq_u64 s[12:13], 0
	v_add_u32_e32 v4, s6, v0
	s_cbranch_scc1 .LBB1021_10
; %bb.1:
	s_cmp_lt_u32 s11, s10
	s_cselect_b32 s0, s11, 0
	s_mov_b32 s3, 0
	v_cmp_eq_u32_e32 vcc, s0, v4
	s_and_saveexec_b64 s[0:1], vcc
	s_cbranch_execz .LBB1021_9
; %bb.2:
	s_add_i32 s2, s11, 64
	s_lshl_b64 s[2:3], s[2:3], 4
	s_add_u32 s16, s8, s2
	s_addc_u32 s17, s9, s3
	v_pk_mov_b32 v[0:1], s[16:17], s[16:17] op_sel:[0,1]
	;;#ASMSTART
	global_load_dwordx4 v[0:3], v[0:1] off glc	
s_waitcnt vmcnt(0)
	;;#ASMEND
	v_mov_b32_e32 v7, 0
	v_and_b32_e32 v6, 0xff, v2
	s_mov_b64 s[6:7], 0
	v_cmp_eq_u64_e32 vcc, 0, v[6:7]
	s_and_saveexec_b64 s[2:3], vcc
	s_cbranch_execz .LBB1021_8
; %bb.3:
	s_mov_b32 s11, 1
	v_pk_mov_b32 v[8:9], s[16:17], s[16:17] op_sel:[0,1]
.LBB1021_4:                             ; =>This Loop Header: Depth=1
                                        ;     Child Loop BB1021_5 Depth 2
	s_max_u32 s16, s11, 1
.LBB1021_5:                             ;   Parent Loop BB1021_4 Depth=1
                                        ; =>  This Inner Loop Header: Depth=2
	s_add_i32 s16, s16, -1
	s_cmp_eq_u32 s16, 0
	s_sleep 1
	s_cbranch_scc0 .LBB1021_5
; %bb.6:                                ;   in Loop: Header=BB1021_4 Depth=1
	s_cmp_lt_u32 s11, 32
	s_cselect_b64 s[16:17], -1, 0
	s_cmp_lg_u64 s[16:17], 0
	;;#ASMSTART
	global_load_dwordx4 v[0:3], v[8:9] off glc	
s_waitcnt vmcnt(0)
	;;#ASMEND
	v_and_b32_e32 v6, 0xff, v2
	s_addc_u32 s11, s11, 0
	v_cmp_ne_u64_e32 vcc, 0, v[6:7]
	s_or_b64 s[6:7], vcc, s[6:7]
	s_andn2_b64 exec, exec, s[6:7]
	s_cbranch_execnz .LBB1021_4
; %bb.7:
	s_or_b64 exec, exec, s[6:7]
.LBB1021_8:
	s_or_b64 exec, exec, s[2:3]
	v_mov_b32_e32 v2, 0
	global_store_dword v2, v0, s[12:13]
	global_store_byte v2, v1, s[12:13] offset:4
.LBB1021_9:
	s_or_b64 exec, exec, s[0:1]
.LBB1021_10:
	v_cmp_gt_u32_e32 vcc, s10, v4
	s_and_saveexec_b64 s[0:1], vcc
	s_cbranch_execz .LBB1021_12
; %bb.11:
	v_add_u32_e32 v0, 64, v4
	v_mov_b32_e32 v1, 0
	v_lshlrev_b64 v[2:3], 4, v[0:1]
	v_mov_b32_e32 v0, s9
	v_add_co_u32_e32 v6, vcc, s8, v2
	v_addc_co_u32_e32 v7, vcc, v0, v3, vcc
	v_mov_b32_e32 v0, v1
	v_mov_b32_e32 v2, v1
	;; [unrolled: 1-line block ×3, first 2 shown]
	global_store_dwordx4 v[6:7], v[0:3], off
.LBB1021_12:
	s_or_b64 exec, exec, s[0:1]
	v_cmp_gt_u32_e32 vcc, 64, v4
	v_mov_b32_e32 v5, 0
	s_and_saveexec_b64 s[0:1], vcc
	s_cbranch_execz .LBB1021_14
; %bb.13:
	v_lshlrev_b64 v[0:1], 4, v[4:5]
	v_mov_b32_e32 v2, s9
	v_add_co_u32_e32 v6, vcc, s8, v0
	v_addc_co_u32_e32 v7, vcc, v2, v1, vcc
	v_mov_b32_e32 v2, 0xff
	v_mov_b32_e32 v0, v5
	;; [unrolled: 1-line block ×4, first 2 shown]
	global_store_dwordx4 v[6:7], v[0:3], off
.LBB1021_14:
	s_or_b64 exec, exec, s[0:1]
	s_load_dwordx2 s[0:1], s[4:5], 0x28
	s_waitcnt lgkmcnt(0)
	v_cmp_gt_u64_e32 vcc, s[0:1], v[4:5]
	s_and_saveexec_b64 s[2:3], vcc
	s_cbranch_execz .LBB1021_17
; %bb.15:
	s_load_dword s10, s[4:5], 0x30
	s_load_dwordx2 s[6:7], s[4:5], 0x20
	s_mov_b32 s5, 0
	s_mov_b32 s3, s5
	s_mul_i32 s2, s18, s19
	s_waitcnt lgkmcnt(0)
	s_add_i32 s4, s10, -1
	s_lshl_b64 s[4:5], s[4:5], 3
	v_mad_u64_u32 v[0:1], s[8:9], s10, v4, 0
	s_add_u32 s4, s14, s4
	v_lshlrev_b64 v[0:1], 3, v[0:1]
	s_addc_u32 s5, s15, s5
	v_mov_b32_e32 v2, s5
	v_add_co_u32_e32 v0, vcc, s4, v0
	v_addc_co_u32_e32 v1, vcc, v2, v1, vcc
	s_mul_hi_u32 s5, s10, s2
	s_mul_i32 s4, s10, s2
	v_lshlrev_b64 v[2:3], 3, v[4:5]
	s_lshl_b64 s[4:5], s[4:5], 3
	v_mov_b32_e32 v6, s7
	v_add_co_u32_e32 v2, vcc, s6, v2
	s_lshl_b64 s[6:7], s[2:3], 3
	v_addc_co_u32_e32 v3, vcc, v6, v3, vcc
	s_mov_b64 s[8:9], 0
	v_mov_b32_e32 v6, s3
	v_mov_b32_e32 v7, s5
	;; [unrolled: 1-line block ×3, first 2 shown]
.LBB1021_16:                            ; =>This Inner Loop Header: Depth=1
	global_load_dwordx2 v[10:11], v[0:1], off
	v_add_co_u32_e32 v4, vcc, s2, v4
	v_addc_co_u32_e32 v5, vcc, v5, v6, vcc
	v_add_co_u32_e32 v0, vcc, s4, v0
	v_addc_co_u32_e32 v1, vcc, v1, v7, vcc
	v_cmp_le_u64_e32 vcc, s[0:1], v[4:5]
	s_or_b64 s[8:9], vcc, s[8:9]
	s_waitcnt vmcnt(0)
	global_store_dwordx2 v[2:3], v[10:11], off
	v_add_co_u32_e32 v2, vcc, s6, v2
	v_addc_co_u32_e32 v3, vcc, v3, v8, vcc
	s_andn2_b64 exec, exec, s[8:9]
	s_cbranch_execnz .LBB1021_16
.LBB1021_17:
	s_endpgm
	.section	.rodata,"a",@progbits
	.p2align	6, 0x0
	.amdhsa_kernel _ZN7rocprim17ROCPRIM_400000_NS6detail30init_device_scan_by_key_kernelINS1_19lookback_scan_stateINS0_5tupleIJibEEELb1ELb1EEEN6thrust23THRUST_200600_302600_NS6detail15normal_iteratorINS8_10device_ptrIxEEEEjNS1_16block_id_wrapperIjLb0EEEEEvT_jjPNSG_10value_typeET0_PNSt15iterator_traitsISJ_E10value_typeEmT1_T2_
		.amdhsa_group_segment_fixed_size 0
		.amdhsa_private_segment_fixed_size 0
		.amdhsa_kernarg_size 312
		.amdhsa_user_sgpr_count 6
		.amdhsa_user_sgpr_private_segment_buffer 1
		.amdhsa_user_sgpr_dispatch_ptr 0
		.amdhsa_user_sgpr_queue_ptr 0
		.amdhsa_user_sgpr_kernarg_segment_ptr 1
		.amdhsa_user_sgpr_dispatch_id 0
		.amdhsa_user_sgpr_flat_scratch_init 0
		.amdhsa_user_sgpr_kernarg_preload_length 0
		.amdhsa_user_sgpr_kernarg_preload_offset 0
		.amdhsa_user_sgpr_private_segment_size 0
		.amdhsa_uses_dynamic_stack 0
		.amdhsa_system_sgpr_private_segment_wavefront_offset 0
		.amdhsa_system_sgpr_workgroup_id_x 1
		.amdhsa_system_sgpr_workgroup_id_y 0
		.amdhsa_system_sgpr_workgroup_id_z 0
		.amdhsa_system_sgpr_workgroup_info 0
		.amdhsa_system_vgpr_workitem_id 0
		.amdhsa_next_free_vgpr 12
		.amdhsa_next_free_sgpr 20
		.amdhsa_accum_offset 12
		.amdhsa_reserve_vcc 1
		.amdhsa_reserve_flat_scratch 0
		.amdhsa_float_round_mode_32 0
		.amdhsa_float_round_mode_16_64 0
		.amdhsa_float_denorm_mode_32 3
		.amdhsa_float_denorm_mode_16_64 3
		.amdhsa_dx10_clamp 1
		.amdhsa_ieee_mode 1
		.amdhsa_fp16_overflow 0
		.amdhsa_tg_split 0
		.amdhsa_exception_fp_ieee_invalid_op 0
		.amdhsa_exception_fp_denorm_src 0
		.amdhsa_exception_fp_ieee_div_zero 0
		.amdhsa_exception_fp_ieee_overflow 0
		.amdhsa_exception_fp_ieee_underflow 0
		.amdhsa_exception_fp_ieee_inexact 0
		.amdhsa_exception_int_div_zero 0
	.end_amdhsa_kernel
	.section	.text._ZN7rocprim17ROCPRIM_400000_NS6detail30init_device_scan_by_key_kernelINS1_19lookback_scan_stateINS0_5tupleIJibEEELb1ELb1EEEN6thrust23THRUST_200600_302600_NS6detail15normal_iteratorINS8_10device_ptrIxEEEEjNS1_16block_id_wrapperIjLb0EEEEEvT_jjPNSG_10value_typeET0_PNSt15iterator_traitsISJ_E10value_typeEmT1_T2_,"axG",@progbits,_ZN7rocprim17ROCPRIM_400000_NS6detail30init_device_scan_by_key_kernelINS1_19lookback_scan_stateINS0_5tupleIJibEEELb1ELb1EEEN6thrust23THRUST_200600_302600_NS6detail15normal_iteratorINS8_10device_ptrIxEEEEjNS1_16block_id_wrapperIjLb0EEEEEvT_jjPNSG_10value_typeET0_PNSt15iterator_traitsISJ_E10value_typeEmT1_T2_,comdat
.Lfunc_end1021:
	.size	_ZN7rocprim17ROCPRIM_400000_NS6detail30init_device_scan_by_key_kernelINS1_19lookback_scan_stateINS0_5tupleIJibEEELb1ELb1EEEN6thrust23THRUST_200600_302600_NS6detail15normal_iteratorINS8_10device_ptrIxEEEEjNS1_16block_id_wrapperIjLb0EEEEEvT_jjPNSG_10value_typeET0_PNSt15iterator_traitsISJ_E10value_typeEmT1_T2_, .Lfunc_end1021-_ZN7rocprim17ROCPRIM_400000_NS6detail30init_device_scan_by_key_kernelINS1_19lookback_scan_stateINS0_5tupleIJibEEELb1ELb1EEEN6thrust23THRUST_200600_302600_NS6detail15normal_iteratorINS8_10device_ptrIxEEEEjNS1_16block_id_wrapperIjLb0EEEEEvT_jjPNSG_10value_typeET0_PNSt15iterator_traitsISJ_E10value_typeEmT1_T2_
                                        ; -- End function
	.section	.AMDGPU.csdata,"",@progbits
; Kernel info:
; codeLenInByte = 612
; NumSgprs: 24
; NumVgprs: 12
; NumAgprs: 0
; TotalNumVgprs: 12
; ScratchSize: 0
; MemoryBound: 0
; FloatMode: 240
; IeeeMode: 1
; LDSByteSize: 0 bytes/workgroup (compile time only)
; SGPRBlocks: 2
; VGPRBlocks: 1
; NumSGPRsForWavesPerEU: 24
; NumVGPRsForWavesPerEU: 12
; AccumOffset: 12
; Occupancy: 8
; WaveLimiterHint : 0
; COMPUTE_PGM_RSRC2:SCRATCH_EN: 0
; COMPUTE_PGM_RSRC2:USER_SGPR: 6
; COMPUTE_PGM_RSRC2:TRAP_HANDLER: 0
; COMPUTE_PGM_RSRC2:TGID_X_EN: 1
; COMPUTE_PGM_RSRC2:TGID_Y_EN: 0
; COMPUTE_PGM_RSRC2:TGID_Z_EN: 0
; COMPUTE_PGM_RSRC2:TIDIG_COMP_CNT: 0
; COMPUTE_PGM_RSRC3_GFX90A:ACCUM_OFFSET: 2
; COMPUTE_PGM_RSRC3_GFX90A:TG_SPLIT: 0
	.section	.text._ZN7rocprim17ROCPRIM_400000_NS6detail17trampoline_kernelINS0_14default_configENS1_27scan_by_key_config_selectorIxiEEZZNS1_16scan_by_key_implILNS1_25lookback_scan_determinismE0ELb1ES3_N6thrust23THRUST_200600_302600_NS6detail15normal_iteratorINS9_10device_ptrIxEEEESE_SE_iNS9_4plusIvEENS9_8equal_toIvEEiEE10hipError_tPvRmT2_T3_T4_T5_mT6_T7_P12ihipStream_tbENKUlT_T0_E_clISt17integral_constantIbLb1EESY_IbLb0EEEEDaSU_SV_EUlSU_E_NS1_11comp_targetILNS1_3genE0ELNS1_11target_archE4294967295ELNS1_3gpuE0ELNS1_3repE0EEENS1_30default_config_static_selectorELNS0_4arch9wavefront6targetE1EEEvT1_,"axG",@progbits,_ZN7rocprim17ROCPRIM_400000_NS6detail17trampoline_kernelINS0_14default_configENS1_27scan_by_key_config_selectorIxiEEZZNS1_16scan_by_key_implILNS1_25lookback_scan_determinismE0ELb1ES3_N6thrust23THRUST_200600_302600_NS6detail15normal_iteratorINS9_10device_ptrIxEEEESE_SE_iNS9_4plusIvEENS9_8equal_toIvEEiEE10hipError_tPvRmT2_T3_T4_T5_mT6_T7_P12ihipStream_tbENKUlT_T0_E_clISt17integral_constantIbLb1EESY_IbLb0EEEEDaSU_SV_EUlSU_E_NS1_11comp_targetILNS1_3genE0ELNS1_11target_archE4294967295ELNS1_3gpuE0ELNS1_3repE0EEENS1_30default_config_static_selectorELNS0_4arch9wavefront6targetE1EEEvT1_,comdat
	.protected	_ZN7rocprim17ROCPRIM_400000_NS6detail17trampoline_kernelINS0_14default_configENS1_27scan_by_key_config_selectorIxiEEZZNS1_16scan_by_key_implILNS1_25lookback_scan_determinismE0ELb1ES3_N6thrust23THRUST_200600_302600_NS6detail15normal_iteratorINS9_10device_ptrIxEEEESE_SE_iNS9_4plusIvEENS9_8equal_toIvEEiEE10hipError_tPvRmT2_T3_T4_T5_mT6_T7_P12ihipStream_tbENKUlT_T0_E_clISt17integral_constantIbLb1EESY_IbLb0EEEEDaSU_SV_EUlSU_E_NS1_11comp_targetILNS1_3genE0ELNS1_11target_archE4294967295ELNS1_3gpuE0ELNS1_3repE0EEENS1_30default_config_static_selectorELNS0_4arch9wavefront6targetE1EEEvT1_ ; -- Begin function _ZN7rocprim17ROCPRIM_400000_NS6detail17trampoline_kernelINS0_14default_configENS1_27scan_by_key_config_selectorIxiEEZZNS1_16scan_by_key_implILNS1_25lookback_scan_determinismE0ELb1ES3_N6thrust23THRUST_200600_302600_NS6detail15normal_iteratorINS9_10device_ptrIxEEEESE_SE_iNS9_4plusIvEENS9_8equal_toIvEEiEE10hipError_tPvRmT2_T3_T4_T5_mT6_T7_P12ihipStream_tbENKUlT_T0_E_clISt17integral_constantIbLb1EESY_IbLb0EEEEDaSU_SV_EUlSU_E_NS1_11comp_targetILNS1_3genE0ELNS1_11target_archE4294967295ELNS1_3gpuE0ELNS1_3repE0EEENS1_30default_config_static_selectorELNS0_4arch9wavefront6targetE1EEEvT1_
	.globl	_ZN7rocprim17ROCPRIM_400000_NS6detail17trampoline_kernelINS0_14default_configENS1_27scan_by_key_config_selectorIxiEEZZNS1_16scan_by_key_implILNS1_25lookback_scan_determinismE0ELb1ES3_N6thrust23THRUST_200600_302600_NS6detail15normal_iteratorINS9_10device_ptrIxEEEESE_SE_iNS9_4plusIvEENS9_8equal_toIvEEiEE10hipError_tPvRmT2_T3_T4_T5_mT6_T7_P12ihipStream_tbENKUlT_T0_E_clISt17integral_constantIbLb1EESY_IbLb0EEEEDaSU_SV_EUlSU_E_NS1_11comp_targetILNS1_3genE0ELNS1_11target_archE4294967295ELNS1_3gpuE0ELNS1_3repE0EEENS1_30default_config_static_selectorELNS0_4arch9wavefront6targetE1EEEvT1_
	.p2align	8
	.type	_ZN7rocprim17ROCPRIM_400000_NS6detail17trampoline_kernelINS0_14default_configENS1_27scan_by_key_config_selectorIxiEEZZNS1_16scan_by_key_implILNS1_25lookback_scan_determinismE0ELb1ES3_N6thrust23THRUST_200600_302600_NS6detail15normal_iteratorINS9_10device_ptrIxEEEESE_SE_iNS9_4plusIvEENS9_8equal_toIvEEiEE10hipError_tPvRmT2_T3_T4_T5_mT6_T7_P12ihipStream_tbENKUlT_T0_E_clISt17integral_constantIbLb1EESY_IbLb0EEEEDaSU_SV_EUlSU_E_NS1_11comp_targetILNS1_3genE0ELNS1_11target_archE4294967295ELNS1_3gpuE0ELNS1_3repE0EEENS1_30default_config_static_selectorELNS0_4arch9wavefront6targetE1EEEvT1_,@function
_ZN7rocprim17ROCPRIM_400000_NS6detail17trampoline_kernelINS0_14default_configENS1_27scan_by_key_config_selectorIxiEEZZNS1_16scan_by_key_implILNS1_25lookback_scan_determinismE0ELb1ES3_N6thrust23THRUST_200600_302600_NS6detail15normal_iteratorINS9_10device_ptrIxEEEESE_SE_iNS9_4plusIvEENS9_8equal_toIvEEiEE10hipError_tPvRmT2_T3_T4_T5_mT6_T7_P12ihipStream_tbENKUlT_T0_E_clISt17integral_constantIbLb1EESY_IbLb0EEEEDaSU_SV_EUlSU_E_NS1_11comp_targetILNS1_3genE0ELNS1_11target_archE4294967295ELNS1_3gpuE0ELNS1_3repE0EEENS1_30default_config_static_selectorELNS0_4arch9wavefront6targetE1EEEvT1_: ; @_ZN7rocprim17ROCPRIM_400000_NS6detail17trampoline_kernelINS0_14default_configENS1_27scan_by_key_config_selectorIxiEEZZNS1_16scan_by_key_implILNS1_25lookback_scan_determinismE0ELb1ES3_N6thrust23THRUST_200600_302600_NS6detail15normal_iteratorINS9_10device_ptrIxEEEESE_SE_iNS9_4plusIvEENS9_8equal_toIvEEiEE10hipError_tPvRmT2_T3_T4_T5_mT6_T7_P12ihipStream_tbENKUlT_T0_E_clISt17integral_constantIbLb1EESY_IbLb0EEEEDaSU_SV_EUlSU_E_NS1_11comp_targetILNS1_3genE0ELNS1_11target_archE4294967295ELNS1_3gpuE0ELNS1_3repE0EEENS1_30default_config_static_selectorELNS0_4arch9wavefront6targetE1EEEvT1_
; %bb.0:
	.section	.rodata,"a",@progbits
	.p2align	6, 0x0
	.amdhsa_kernel _ZN7rocprim17ROCPRIM_400000_NS6detail17trampoline_kernelINS0_14default_configENS1_27scan_by_key_config_selectorIxiEEZZNS1_16scan_by_key_implILNS1_25lookback_scan_determinismE0ELb1ES3_N6thrust23THRUST_200600_302600_NS6detail15normal_iteratorINS9_10device_ptrIxEEEESE_SE_iNS9_4plusIvEENS9_8equal_toIvEEiEE10hipError_tPvRmT2_T3_T4_T5_mT6_T7_P12ihipStream_tbENKUlT_T0_E_clISt17integral_constantIbLb1EESY_IbLb0EEEEDaSU_SV_EUlSU_E_NS1_11comp_targetILNS1_3genE0ELNS1_11target_archE4294967295ELNS1_3gpuE0ELNS1_3repE0EEENS1_30default_config_static_selectorELNS0_4arch9wavefront6targetE1EEEvT1_
		.amdhsa_group_segment_fixed_size 0
		.amdhsa_private_segment_fixed_size 0
		.amdhsa_kernarg_size 112
		.amdhsa_user_sgpr_count 6
		.amdhsa_user_sgpr_private_segment_buffer 1
		.amdhsa_user_sgpr_dispatch_ptr 0
		.amdhsa_user_sgpr_queue_ptr 0
		.amdhsa_user_sgpr_kernarg_segment_ptr 1
		.amdhsa_user_sgpr_dispatch_id 0
		.amdhsa_user_sgpr_flat_scratch_init 0
		.amdhsa_user_sgpr_kernarg_preload_length 0
		.amdhsa_user_sgpr_kernarg_preload_offset 0
		.amdhsa_user_sgpr_private_segment_size 0
		.amdhsa_uses_dynamic_stack 0
		.amdhsa_system_sgpr_private_segment_wavefront_offset 0
		.amdhsa_system_sgpr_workgroup_id_x 1
		.amdhsa_system_sgpr_workgroup_id_y 0
		.amdhsa_system_sgpr_workgroup_id_z 0
		.amdhsa_system_sgpr_workgroup_info 0
		.amdhsa_system_vgpr_workitem_id 0
		.amdhsa_next_free_vgpr 1
		.amdhsa_next_free_sgpr 0
		.amdhsa_accum_offset 4
		.amdhsa_reserve_vcc 0
		.amdhsa_reserve_flat_scratch 0
		.amdhsa_float_round_mode_32 0
		.amdhsa_float_round_mode_16_64 0
		.amdhsa_float_denorm_mode_32 3
		.amdhsa_float_denorm_mode_16_64 3
		.amdhsa_dx10_clamp 1
		.amdhsa_ieee_mode 1
		.amdhsa_fp16_overflow 0
		.amdhsa_tg_split 0
		.amdhsa_exception_fp_ieee_invalid_op 0
		.amdhsa_exception_fp_denorm_src 0
		.amdhsa_exception_fp_ieee_div_zero 0
		.amdhsa_exception_fp_ieee_overflow 0
		.amdhsa_exception_fp_ieee_underflow 0
		.amdhsa_exception_fp_ieee_inexact 0
		.amdhsa_exception_int_div_zero 0
	.end_amdhsa_kernel
	.section	.text._ZN7rocprim17ROCPRIM_400000_NS6detail17trampoline_kernelINS0_14default_configENS1_27scan_by_key_config_selectorIxiEEZZNS1_16scan_by_key_implILNS1_25lookback_scan_determinismE0ELb1ES3_N6thrust23THRUST_200600_302600_NS6detail15normal_iteratorINS9_10device_ptrIxEEEESE_SE_iNS9_4plusIvEENS9_8equal_toIvEEiEE10hipError_tPvRmT2_T3_T4_T5_mT6_T7_P12ihipStream_tbENKUlT_T0_E_clISt17integral_constantIbLb1EESY_IbLb0EEEEDaSU_SV_EUlSU_E_NS1_11comp_targetILNS1_3genE0ELNS1_11target_archE4294967295ELNS1_3gpuE0ELNS1_3repE0EEENS1_30default_config_static_selectorELNS0_4arch9wavefront6targetE1EEEvT1_,"axG",@progbits,_ZN7rocprim17ROCPRIM_400000_NS6detail17trampoline_kernelINS0_14default_configENS1_27scan_by_key_config_selectorIxiEEZZNS1_16scan_by_key_implILNS1_25lookback_scan_determinismE0ELb1ES3_N6thrust23THRUST_200600_302600_NS6detail15normal_iteratorINS9_10device_ptrIxEEEESE_SE_iNS9_4plusIvEENS9_8equal_toIvEEiEE10hipError_tPvRmT2_T3_T4_T5_mT6_T7_P12ihipStream_tbENKUlT_T0_E_clISt17integral_constantIbLb1EESY_IbLb0EEEEDaSU_SV_EUlSU_E_NS1_11comp_targetILNS1_3genE0ELNS1_11target_archE4294967295ELNS1_3gpuE0ELNS1_3repE0EEENS1_30default_config_static_selectorELNS0_4arch9wavefront6targetE1EEEvT1_,comdat
.Lfunc_end1022:
	.size	_ZN7rocprim17ROCPRIM_400000_NS6detail17trampoline_kernelINS0_14default_configENS1_27scan_by_key_config_selectorIxiEEZZNS1_16scan_by_key_implILNS1_25lookback_scan_determinismE0ELb1ES3_N6thrust23THRUST_200600_302600_NS6detail15normal_iteratorINS9_10device_ptrIxEEEESE_SE_iNS9_4plusIvEENS9_8equal_toIvEEiEE10hipError_tPvRmT2_T3_T4_T5_mT6_T7_P12ihipStream_tbENKUlT_T0_E_clISt17integral_constantIbLb1EESY_IbLb0EEEEDaSU_SV_EUlSU_E_NS1_11comp_targetILNS1_3genE0ELNS1_11target_archE4294967295ELNS1_3gpuE0ELNS1_3repE0EEENS1_30default_config_static_selectorELNS0_4arch9wavefront6targetE1EEEvT1_, .Lfunc_end1022-_ZN7rocprim17ROCPRIM_400000_NS6detail17trampoline_kernelINS0_14default_configENS1_27scan_by_key_config_selectorIxiEEZZNS1_16scan_by_key_implILNS1_25lookback_scan_determinismE0ELb1ES3_N6thrust23THRUST_200600_302600_NS6detail15normal_iteratorINS9_10device_ptrIxEEEESE_SE_iNS9_4plusIvEENS9_8equal_toIvEEiEE10hipError_tPvRmT2_T3_T4_T5_mT6_T7_P12ihipStream_tbENKUlT_T0_E_clISt17integral_constantIbLb1EESY_IbLb0EEEEDaSU_SV_EUlSU_E_NS1_11comp_targetILNS1_3genE0ELNS1_11target_archE4294967295ELNS1_3gpuE0ELNS1_3repE0EEENS1_30default_config_static_selectorELNS0_4arch9wavefront6targetE1EEEvT1_
                                        ; -- End function
	.section	.AMDGPU.csdata,"",@progbits
; Kernel info:
; codeLenInByte = 0
; NumSgprs: 4
; NumVgprs: 0
; NumAgprs: 0
; TotalNumVgprs: 0
; ScratchSize: 0
; MemoryBound: 0
; FloatMode: 240
; IeeeMode: 1
; LDSByteSize: 0 bytes/workgroup (compile time only)
; SGPRBlocks: 0
; VGPRBlocks: 0
; NumSGPRsForWavesPerEU: 4
; NumVGPRsForWavesPerEU: 1
; AccumOffset: 4
; Occupancy: 8
; WaveLimiterHint : 0
; COMPUTE_PGM_RSRC2:SCRATCH_EN: 0
; COMPUTE_PGM_RSRC2:USER_SGPR: 6
; COMPUTE_PGM_RSRC2:TRAP_HANDLER: 0
; COMPUTE_PGM_RSRC2:TGID_X_EN: 1
; COMPUTE_PGM_RSRC2:TGID_Y_EN: 0
; COMPUTE_PGM_RSRC2:TGID_Z_EN: 0
; COMPUTE_PGM_RSRC2:TIDIG_COMP_CNT: 0
; COMPUTE_PGM_RSRC3_GFX90A:ACCUM_OFFSET: 0
; COMPUTE_PGM_RSRC3_GFX90A:TG_SPLIT: 0
	.section	.text._ZN7rocprim17ROCPRIM_400000_NS6detail17trampoline_kernelINS0_14default_configENS1_27scan_by_key_config_selectorIxiEEZZNS1_16scan_by_key_implILNS1_25lookback_scan_determinismE0ELb1ES3_N6thrust23THRUST_200600_302600_NS6detail15normal_iteratorINS9_10device_ptrIxEEEESE_SE_iNS9_4plusIvEENS9_8equal_toIvEEiEE10hipError_tPvRmT2_T3_T4_T5_mT6_T7_P12ihipStream_tbENKUlT_T0_E_clISt17integral_constantIbLb1EESY_IbLb0EEEEDaSU_SV_EUlSU_E_NS1_11comp_targetILNS1_3genE10ELNS1_11target_archE1201ELNS1_3gpuE5ELNS1_3repE0EEENS1_30default_config_static_selectorELNS0_4arch9wavefront6targetE1EEEvT1_,"axG",@progbits,_ZN7rocprim17ROCPRIM_400000_NS6detail17trampoline_kernelINS0_14default_configENS1_27scan_by_key_config_selectorIxiEEZZNS1_16scan_by_key_implILNS1_25lookback_scan_determinismE0ELb1ES3_N6thrust23THRUST_200600_302600_NS6detail15normal_iteratorINS9_10device_ptrIxEEEESE_SE_iNS9_4plusIvEENS9_8equal_toIvEEiEE10hipError_tPvRmT2_T3_T4_T5_mT6_T7_P12ihipStream_tbENKUlT_T0_E_clISt17integral_constantIbLb1EESY_IbLb0EEEEDaSU_SV_EUlSU_E_NS1_11comp_targetILNS1_3genE10ELNS1_11target_archE1201ELNS1_3gpuE5ELNS1_3repE0EEENS1_30default_config_static_selectorELNS0_4arch9wavefront6targetE1EEEvT1_,comdat
	.protected	_ZN7rocprim17ROCPRIM_400000_NS6detail17trampoline_kernelINS0_14default_configENS1_27scan_by_key_config_selectorIxiEEZZNS1_16scan_by_key_implILNS1_25lookback_scan_determinismE0ELb1ES3_N6thrust23THRUST_200600_302600_NS6detail15normal_iteratorINS9_10device_ptrIxEEEESE_SE_iNS9_4plusIvEENS9_8equal_toIvEEiEE10hipError_tPvRmT2_T3_T4_T5_mT6_T7_P12ihipStream_tbENKUlT_T0_E_clISt17integral_constantIbLb1EESY_IbLb0EEEEDaSU_SV_EUlSU_E_NS1_11comp_targetILNS1_3genE10ELNS1_11target_archE1201ELNS1_3gpuE5ELNS1_3repE0EEENS1_30default_config_static_selectorELNS0_4arch9wavefront6targetE1EEEvT1_ ; -- Begin function _ZN7rocprim17ROCPRIM_400000_NS6detail17trampoline_kernelINS0_14default_configENS1_27scan_by_key_config_selectorIxiEEZZNS1_16scan_by_key_implILNS1_25lookback_scan_determinismE0ELb1ES3_N6thrust23THRUST_200600_302600_NS6detail15normal_iteratorINS9_10device_ptrIxEEEESE_SE_iNS9_4plusIvEENS9_8equal_toIvEEiEE10hipError_tPvRmT2_T3_T4_T5_mT6_T7_P12ihipStream_tbENKUlT_T0_E_clISt17integral_constantIbLb1EESY_IbLb0EEEEDaSU_SV_EUlSU_E_NS1_11comp_targetILNS1_3genE10ELNS1_11target_archE1201ELNS1_3gpuE5ELNS1_3repE0EEENS1_30default_config_static_selectorELNS0_4arch9wavefront6targetE1EEEvT1_
	.globl	_ZN7rocprim17ROCPRIM_400000_NS6detail17trampoline_kernelINS0_14default_configENS1_27scan_by_key_config_selectorIxiEEZZNS1_16scan_by_key_implILNS1_25lookback_scan_determinismE0ELb1ES3_N6thrust23THRUST_200600_302600_NS6detail15normal_iteratorINS9_10device_ptrIxEEEESE_SE_iNS9_4plusIvEENS9_8equal_toIvEEiEE10hipError_tPvRmT2_T3_T4_T5_mT6_T7_P12ihipStream_tbENKUlT_T0_E_clISt17integral_constantIbLb1EESY_IbLb0EEEEDaSU_SV_EUlSU_E_NS1_11comp_targetILNS1_3genE10ELNS1_11target_archE1201ELNS1_3gpuE5ELNS1_3repE0EEENS1_30default_config_static_selectorELNS0_4arch9wavefront6targetE1EEEvT1_
	.p2align	8
	.type	_ZN7rocprim17ROCPRIM_400000_NS6detail17trampoline_kernelINS0_14default_configENS1_27scan_by_key_config_selectorIxiEEZZNS1_16scan_by_key_implILNS1_25lookback_scan_determinismE0ELb1ES3_N6thrust23THRUST_200600_302600_NS6detail15normal_iteratorINS9_10device_ptrIxEEEESE_SE_iNS9_4plusIvEENS9_8equal_toIvEEiEE10hipError_tPvRmT2_T3_T4_T5_mT6_T7_P12ihipStream_tbENKUlT_T0_E_clISt17integral_constantIbLb1EESY_IbLb0EEEEDaSU_SV_EUlSU_E_NS1_11comp_targetILNS1_3genE10ELNS1_11target_archE1201ELNS1_3gpuE5ELNS1_3repE0EEENS1_30default_config_static_selectorELNS0_4arch9wavefront6targetE1EEEvT1_,@function
_ZN7rocprim17ROCPRIM_400000_NS6detail17trampoline_kernelINS0_14default_configENS1_27scan_by_key_config_selectorIxiEEZZNS1_16scan_by_key_implILNS1_25lookback_scan_determinismE0ELb1ES3_N6thrust23THRUST_200600_302600_NS6detail15normal_iteratorINS9_10device_ptrIxEEEESE_SE_iNS9_4plusIvEENS9_8equal_toIvEEiEE10hipError_tPvRmT2_T3_T4_T5_mT6_T7_P12ihipStream_tbENKUlT_T0_E_clISt17integral_constantIbLb1EESY_IbLb0EEEEDaSU_SV_EUlSU_E_NS1_11comp_targetILNS1_3genE10ELNS1_11target_archE1201ELNS1_3gpuE5ELNS1_3repE0EEENS1_30default_config_static_selectorELNS0_4arch9wavefront6targetE1EEEvT1_: ; @_ZN7rocprim17ROCPRIM_400000_NS6detail17trampoline_kernelINS0_14default_configENS1_27scan_by_key_config_selectorIxiEEZZNS1_16scan_by_key_implILNS1_25lookback_scan_determinismE0ELb1ES3_N6thrust23THRUST_200600_302600_NS6detail15normal_iteratorINS9_10device_ptrIxEEEESE_SE_iNS9_4plusIvEENS9_8equal_toIvEEiEE10hipError_tPvRmT2_T3_T4_T5_mT6_T7_P12ihipStream_tbENKUlT_T0_E_clISt17integral_constantIbLb1EESY_IbLb0EEEEDaSU_SV_EUlSU_E_NS1_11comp_targetILNS1_3genE10ELNS1_11target_archE1201ELNS1_3gpuE5ELNS1_3repE0EEENS1_30default_config_static_selectorELNS0_4arch9wavefront6targetE1EEEvT1_
; %bb.0:
	.section	.rodata,"a",@progbits
	.p2align	6, 0x0
	.amdhsa_kernel _ZN7rocprim17ROCPRIM_400000_NS6detail17trampoline_kernelINS0_14default_configENS1_27scan_by_key_config_selectorIxiEEZZNS1_16scan_by_key_implILNS1_25lookback_scan_determinismE0ELb1ES3_N6thrust23THRUST_200600_302600_NS6detail15normal_iteratorINS9_10device_ptrIxEEEESE_SE_iNS9_4plusIvEENS9_8equal_toIvEEiEE10hipError_tPvRmT2_T3_T4_T5_mT6_T7_P12ihipStream_tbENKUlT_T0_E_clISt17integral_constantIbLb1EESY_IbLb0EEEEDaSU_SV_EUlSU_E_NS1_11comp_targetILNS1_3genE10ELNS1_11target_archE1201ELNS1_3gpuE5ELNS1_3repE0EEENS1_30default_config_static_selectorELNS0_4arch9wavefront6targetE1EEEvT1_
		.amdhsa_group_segment_fixed_size 0
		.amdhsa_private_segment_fixed_size 0
		.amdhsa_kernarg_size 112
		.amdhsa_user_sgpr_count 6
		.amdhsa_user_sgpr_private_segment_buffer 1
		.amdhsa_user_sgpr_dispatch_ptr 0
		.amdhsa_user_sgpr_queue_ptr 0
		.amdhsa_user_sgpr_kernarg_segment_ptr 1
		.amdhsa_user_sgpr_dispatch_id 0
		.amdhsa_user_sgpr_flat_scratch_init 0
		.amdhsa_user_sgpr_kernarg_preload_length 0
		.amdhsa_user_sgpr_kernarg_preload_offset 0
		.amdhsa_user_sgpr_private_segment_size 0
		.amdhsa_uses_dynamic_stack 0
		.amdhsa_system_sgpr_private_segment_wavefront_offset 0
		.amdhsa_system_sgpr_workgroup_id_x 1
		.amdhsa_system_sgpr_workgroup_id_y 0
		.amdhsa_system_sgpr_workgroup_id_z 0
		.amdhsa_system_sgpr_workgroup_info 0
		.amdhsa_system_vgpr_workitem_id 0
		.amdhsa_next_free_vgpr 1
		.amdhsa_next_free_sgpr 0
		.amdhsa_accum_offset 4
		.amdhsa_reserve_vcc 0
		.amdhsa_reserve_flat_scratch 0
		.amdhsa_float_round_mode_32 0
		.amdhsa_float_round_mode_16_64 0
		.amdhsa_float_denorm_mode_32 3
		.amdhsa_float_denorm_mode_16_64 3
		.amdhsa_dx10_clamp 1
		.amdhsa_ieee_mode 1
		.amdhsa_fp16_overflow 0
		.amdhsa_tg_split 0
		.amdhsa_exception_fp_ieee_invalid_op 0
		.amdhsa_exception_fp_denorm_src 0
		.amdhsa_exception_fp_ieee_div_zero 0
		.amdhsa_exception_fp_ieee_overflow 0
		.amdhsa_exception_fp_ieee_underflow 0
		.amdhsa_exception_fp_ieee_inexact 0
		.amdhsa_exception_int_div_zero 0
	.end_amdhsa_kernel
	.section	.text._ZN7rocprim17ROCPRIM_400000_NS6detail17trampoline_kernelINS0_14default_configENS1_27scan_by_key_config_selectorIxiEEZZNS1_16scan_by_key_implILNS1_25lookback_scan_determinismE0ELb1ES3_N6thrust23THRUST_200600_302600_NS6detail15normal_iteratorINS9_10device_ptrIxEEEESE_SE_iNS9_4plusIvEENS9_8equal_toIvEEiEE10hipError_tPvRmT2_T3_T4_T5_mT6_T7_P12ihipStream_tbENKUlT_T0_E_clISt17integral_constantIbLb1EESY_IbLb0EEEEDaSU_SV_EUlSU_E_NS1_11comp_targetILNS1_3genE10ELNS1_11target_archE1201ELNS1_3gpuE5ELNS1_3repE0EEENS1_30default_config_static_selectorELNS0_4arch9wavefront6targetE1EEEvT1_,"axG",@progbits,_ZN7rocprim17ROCPRIM_400000_NS6detail17trampoline_kernelINS0_14default_configENS1_27scan_by_key_config_selectorIxiEEZZNS1_16scan_by_key_implILNS1_25lookback_scan_determinismE0ELb1ES3_N6thrust23THRUST_200600_302600_NS6detail15normal_iteratorINS9_10device_ptrIxEEEESE_SE_iNS9_4plusIvEENS9_8equal_toIvEEiEE10hipError_tPvRmT2_T3_T4_T5_mT6_T7_P12ihipStream_tbENKUlT_T0_E_clISt17integral_constantIbLb1EESY_IbLb0EEEEDaSU_SV_EUlSU_E_NS1_11comp_targetILNS1_3genE10ELNS1_11target_archE1201ELNS1_3gpuE5ELNS1_3repE0EEENS1_30default_config_static_selectorELNS0_4arch9wavefront6targetE1EEEvT1_,comdat
.Lfunc_end1023:
	.size	_ZN7rocprim17ROCPRIM_400000_NS6detail17trampoline_kernelINS0_14default_configENS1_27scan_by_key_config_selectorIxiEEZZNS1_16scan_by_key_implILNS1_25lookback_scan_determinismE0ELb1ES3_N6thrust23THRUST_200600_302600_NS6detail15normal_iteratorINS9_10device_ptrIxEEEESE_SE_iNS9_4plusIvEENS9_8equal_toIvEEiEE10hipError_tPvRmT2_T3_T4_T5_mT6_T7_P12ihipStream_tbENKUlT_T0_E_clISt17integral_constantIbLb1EESY_IbLb0EEEEDaSU_SV_EUlSU_E_NS1_11comp_targetILNS1_3genE10ELNS1_11target_archE1201ELNS1_3gpuE5ELNS1_3repE0EEENS1_30default_config_static_selectorELNS0_4arch9wavefront6targetE1EEEvT1_, .Lfunc_end1023-_ZN7rocprim17ROCPRIM_400000_NS6detail17trampoline_kernelINS0_14default_configENS1_27scan_by_key_config_selectorIxiEEZZNS1_16scan_by_key_implILNS1_25lookback_scan_determinismE0ELb1ES3_N6thrust23THRUST_200600_302600_NS6detail15normal_iteratorINS9_10device_ptrIxEEEESE_SE_iNS9_4plusIvEENS9_8equal_toIvEEiEE10hipError_tPvRmT2_T3_T4_T5_mT6_T7_P12ihipStream_tbENKUlT_T0_E_clISt17integral_constantIbLb1EESY_IbLb0EEEEDaSU_SV_EUlSU_E_NS1_11comp_targetILNS1_3genE10ELNS1_11target_archE1201ELNS1_3gpuE5ELNS1_3repE0EEENS1_30default_config_static_selectorELNS0_4arch9wavefront6targetE1EEEvT1_
                                        ; -- End function
	.section	.AMDGPU.csdata,"",@progbits
; Kernel info:
; codeLenInByte = 0
; NumSgprs: 4
; NumVgprs: 0
; NumAgprs: 0
; TotalNumVgprs: 0
; ScratchSize: 0
; MemoryBound: 0
; FloatMode: 240
; IeeeMode: 1
; LDSByteSize: 0 bytes/workgroup (compile time only)
; SGPRBlocks: 0
; VGPRBlocks: 0
; NumSGPRsForWavesPerEU: 4
; NumVGPRsForWavesPerEU: 1
; AccumOffset: 4
; Occupancy: 8
; WaveLimiterHint : 0
; COMPUTE_PGM_RSRC2:SCRATCH_EN: 0
; COMPUTE_PGM_RSRC2:USER_SGPR: 6
; COMPUTE_PGM_RSRC2:TRAP_HANDLER: 0
; COMPUTE_PGM_RSRC2:TGID_X_EN: 1
; COMPUTE_PGM_RSRC2:TGID_Y_EN: 0
; COMPUTE_PGM_RSRC2:TGID_Z_EN: 0
; COMPUTE_PGM_RSRC2:TIDIG_COMP_CNT: 0
; COMPUTE_PGM_RSRC3_GFX90A:ACCUM_OFFSET: 0
; COMPUTE_PGM_RSRC3_GFX90A:TG_SPLIT: 0
	.section	.text._ZN7rocprim17ROCPRIM_400000_NS6detail17trampoline_kernelINS0_14default_configENS1_27scan_by_key_config_selectorIxiEEZZNS1_16scan_by_key_implILNS1_25lookback_scan_determinismE0ELb1ES3_N6thrust23THRUST_200600_302600_NS6detail15normal_iteratorINS9_10device_ptrIxEEEESE_SE_iNS9_4plusIvEENS9_8equal_toIvEEiEE10hipError_tPvRmT2_T3_T4_T5_mT6_T7_P12ihipStream_tbENKUlT_T0_E_clISt17integral_constantIbLb1EESY_IbLb0EEEEDaSU_SV_EUlSU_E_NS1_11comp_targetILNS1_3genE5ELNS1_11target_archE942ELNS1_3gpuE9ELNS1_3repE0EEENS1_30default_config_static_selectorELNS0_4arch9wavefront6targetE1EEEvT1_,"axG",@progbits,_ZN7rocprim17ROCPRIM_400000_NS6detail17trampoline_kernelINS0_14default_configENS1_27scan_by_key_config_selectorIxiEEZZNS1_16scan_by_key_implILNS1_25lookback_scan_determinismE0ELb1ES3_N6thrust23THRUST_200600_302600_NS6detail15normal_iteratorINS9_10device_ptrIxEEEESE_SE_iNS9_4plusIvEENS9_8equal_toIvEEiEE10hipError_tPvRmT2_T3_T4_T5_mT6_T7_P12ihipStream_tbENKUlT_T0_E_clISt17integral_constantIbLb1EESY_IbLb0EEEEDaSU_SV_EUlSU_E_NS1_11comp_targetILNS1_3genE5ELNS1_11target_archE942ELNS1_3gpuE9ELNS1_3repE0EEENS1_30default_config_static_selectorELNS0_4arch9wavefront6targetE1EEEvT1_,comdat
	.protected	_ZN7rocprim17ROCPRIM_400000_NS6detail17trampoline_kernelINS0_14default_configENS1_27scan_by_key_config_selectorIxiEEZZNS1_16scan_by_key_implILNS1_25lookback_scan_determinismE0ELb1ES3_N6thrust23THRUST_200600_302600_NS6detail15normal_iteratorINS9_10device_ptrIxEEEESE_SE_iNS9_4plusIvEENS9_8equal_toIvEEiEE10hipError_tPvRmT2_T3_T4_T5_mT6_T7_P12ihipStream_tbENKUlT_T0_E_clISt17integral_constantIbLb1EESY_IbLb0EEEEDaSU_SV_EUlSU_E_NS1_11comp_targetILNS1_3genE5ELNS1_11target_archE942ELNS1_3gpuE9ELNS1_3repE0EEENS1_30default_config_static_selectorELNS0_4arch9wavefront6targetE1EEEvT1_ ; -- Begin function _ZN7rocprim17ROCPRIM_400000_NS6detail17trampoline_kernelINS0_14default_configENS1_27scan_by_key_config_selectorIxiEEZZNS1_16scan_by_key_implILNS1_25lookback_scan_determinismE0ELb1ES3_N6thrust23THRUST_200600_302600_NS6detail15normal_iteratorINS9_10device_ptrIxEEEESE_SE_iNS9_4plusIvEENS9_8equal_toIvEEiEE10hipError_tPvRmT2_T3_T4_T5_mT6_T7_P12ihipStream_tbENKUlT_T0_E_clISt17integral_constantIbLb1EESY_IbLb0EEEEDaSU_SV_EUlSU_E_NS1_11comp_targetILNS1_3genE5ELNS1_11target_archE942ELNS1_3gpuE9ELNS1_3repE0EEENS1_30default_config_static_selectorELNS0_4arch9wavefront6targetE1EEEvT1_
	.globl	_ZN7rocprim17ROCPRIM_400000_NS6detail17trampoline_kernelINS0_14default_configENS1_27scan_by_key_config_selectorIxiEEZZNS1_16scan_by_key_implILNS1_25lookback_scan_determinismE0ELb1ES3_N6thrust23THRUST_200600_302600_NS6detail15normal_iteratorINS9_10device_ptrIxEEEESE_SE_iNS9_4plusIvEENS9_8equal_toIvEEiEE10hipError_tPvRmT2_T3_T4_T5_mT6_T7_P12ihipStream_tbENKUlT_T0_E_clISt17integral_constantIbLb1EESY_IbLb0EEEEDaSU_SV_EUlSU_E_NS1_11comp_targetILNS1_3genE5ELNS1_11target_archE942ELNS1_3gpuE9ELNS1_3repE0EEENS1_30default_config_static_selectorELNS0_4arch9wavefront6targetE1EEEvT1_
	.p2align	8
	.type	_ZN7rocprim17ROCPRIM_400000_NS6detail17trampoline_kernelINS0_14default_configENS1_27scan_by_key_config_selectorIxiEEZZNS1_16scan_by_key_implILNS1_25lookback_scan_determinismE0ELb1ES3_N6thrust23THRUST_200600_302600_NS6detail15normal_iteratorINS9_10device_ptrIxEEEESE_SE_iNS9_4plusIvEENS9_8equal_toIvEEiEE10hipError_tPvRmT2_T3_T4_T5_mT6_T7_P12ihipStream_tbENKUlT_T0_E_clISt17integral_constantIbLb1EESY_IbLb0EEEEDaSU_SV_EUlSU_E_NS1_11comp_targetILNS1_3genE5ELNS1_11target_archE942ELNS1_3gpuE9ELNS1_3repE0EEENS1_30default_config_static_selectorELNS0_4arch9wavefront6targetE1EEEvT1_,@function
_ZN7rocprim17ROCPRIM_400000_NS6detail17trampoline_kernelINS0_14default_configENS1_27scan_by_key_config_selectorIxiEEZZNS1_16scan_by_key_implILNS1_25lookback_scan_determinismE0ELb1ES3_N6thrust23THRUST_200600_302600_NS6detail15normal_iteratorINS9_10device_ptrIxEEEESE_SE_iNS9_4plusIvEENS9_8equal_toIvEEiEE10hipError_tPvRmT2_T3_T4_T5_mT6_T7_P12ihipStream_tbENKUlT_T0_E_clISt17integral_constantIbLb1EESY_IbLb0EEEEDaSU_SV_EUlSU_E_NS1_11comp_targetILNS1_3genE5ELNS1_11target_archE942ELNS1_3gpuE9ELNS1_3repE0EEENS1_30default_config_static_selectorELNS0_4arch9wavefront6targetE1EEEvT1_: ; @_ZN7rocprim17ROCPRIM_400000_NS6detail17trampoline_kernelINS0_14default_configENS1_27scan_by_key_config_selectorIxiEEZZNS1_16scan_by_key_implILNS1_25lookback_scan_determinismE0ELb1ES3_N6thrust23THRUST_200600_302600_NS6detail15normal_iteratorINS9_10device_ptrIxEEEESE_SE_iNS9_4plusIvEENS9_8equal_toIvEEiEE10hipError_tPvRmT2_T3_T4_T5_mT6_T7_P12ihipStream_tbENKUlT_T0_E_clISt17integral_constantIbLb1EESY_IbLb0EEEEDaSU_SV_EUlSU_E_NS1_11comp_targetILNS1_3genE5ELNS1_11target_archE942ELNS1_3gpuE9ELNS1_3repE0EEENS1_30default_config_static_selectorELNS0_4arch9wavefront6targetE1EEEvT1_
; %bb.0:
	.section	.rodata,"a",@progbits
	.p2align	6, 0x0
	.amdhsa_kernel _ZN7rocprim17ROCPRIM_400000_NS6detail17trampoline_kernelINS0_14default_configENS1_27scan_by_key_config_selectorIxiEEZZNS1_16scan_by_key_implILNS1_25lookback_scan_determinismE0ELb1ES3_N6thrust23THRUST_200600_302600_NS6detail15normal_iteratorINS9_10device_ptrIxEEEESE_SE_iNS9_4plusIvEENS9_8equal_toIvEEiEE10hipError_tPvRmT2_T3_T4_T5_mT6_T7_P12ihipStream_tbENKUlT_T0_E_clISt17integral_constantIbLb1EESY_IbLb0EEEEDaSU_SV_EUlSU_E_NS1_11comp_targetILNS1_3genE5ELNS1_11target_archE942ELNS1_3gpuE9ELNS1_3repE0EEENS1_30default_config_static_selectorELNS0_4arch9wavefront6targetE1EEEvT1_
		.amdhsa_group_segment_fixed_size 0
		.amdhsa_private_segment_fixed_size 0
		.amdhsa_kernarg_size 112
		.amdhsa_user_sgpr_count 6
		.amdhsa_user_sgpr_private_segment_buffer 1
		.amdhsa_user_sgpr_dispatch_ptr 0
		.amdhsa_user_sgpr_queue_ptr 0
		.amdhsa_user_sgpr_kernarg_segment_ptr 1
		.amdhsa_user_sgpr_dispatch_id 0
		.amdhsa_user_sgpr_flat_scratch_init 0
		.amdhsa_user_sgpr_kernarg_preload_length 0
		.amdhsa_user_sgpr_kernarg_preload_offset 0
		.amdhsa_user_sgpr_private_segment_size 0
		.amdhsa_uses_dynamic_stack 0
		.amdhsa_system_sgpr_private_segment_wavefront_offset 0
		.amdhsa_system_sgpr_workgroup_id_x 1
		.amdhsa_system_sgpr_workgroup_id_y 0
		.amdhsa_system_sgpr_workgroup_id_z 0
		.amdhsa_system_sgpr_workgroup_info 0
		.amdhsa_system_vgpr_workitem_id 0
		.amdhsa_next_free_vgpr 1
		.amdhsa_next_free_sgpr 0
		.amdhsa_accum_offset 4
		.amdhsa_reserve_vcc 0
		.amdhsa_reserve_flat_scratch 0
		.amdhsa_float_round_mode_32 0
		.amdhsa_float_round_mode_16_64 0
		.amdhsa_float_denorm_mode_32 3
		.amdhsa_float_denorm_mode_16_64 3
		.amdhsa_dx10_clamp 1
		.amdhsa_ieee_mode 1
		.amdhsa_fp16_overflow 0
		.amdhsa_tg_split 0
		.amdhsa_exception_fp_ieee_invalid_op 0
		.amdhsa_exception_fp_denorm_src 0
		.amdhsa_exception_fp_ieee_div_zero 0
		.amdhsa_exception_fp_ieee_overflow 0
		.amdhsa_exception_fp_ieee_underflow 0
		.amdhsa_exception_fp_ieee_inexact 0
		.amdhsa_exception_int_div_zero 0
	.end_amdhsa_kernel
	.section	.text._ZN7rocprim17ROCPRIM_400000_NS6detail17trampoline_kernelINS0_14default_configENS1_27scan_by_key_config_selectorIxiEEZZNS1_16scan_by_key_implILNS1_25lookback_scan_determinismE0ELb1ES3_N6thrust23THRUST_200600_302600_NS6detail15normal_iteratorINS9_10device_ptrIxEEEESE_SE_iNS9_4plusIvEENS9_8equal_toIvEEiEE10hipError_tPvRmT2_T3_T4_T5_mT6_T7_P12ihipStream_tbENKUlT_T0_E_clISt17integral_constantIbLb1EESY_IbLb0EEEEDaSU_SV_EUlSU_E_NS1_11comp_targetILNS1_3genE5ELNS1_11target_archE942ELNS1_3gpuE9ELNS1_3repE0EEENS1_30default_config_static_selectorELNS0_4arch9wavefront6targetE1EEEvT1_,"axG",@progbits,_ZN7rocprim17ROCPRIM_400000_NS6detail17trampoline_kernelINS0_14default_configENS1_27scan_by_key_config_selectorIxiEEZZNS1_16scan_by_key_implILNS1_25lookback_scan_determinismE0ELb1ES3_N6thrust23THRUST_200600_302600_NS6detail15normal_iteratorINS9_10device_ptrIxEEEESE_SE_iNS9_4plusIvEENS9_8equal_toIvEEiEE10hipError_tPvRmT2_T3_T4_T5_mT6_T7_P12ihipStream_tbENKUlT_T0_E_clISt17integral_constantIbLb1EESY_IbLb0EEEEDaSU_SV_EUlSU_E_NS1_11comp_targetILNS1_3genE5ELNS1_11target_archE942ELNS1_3gpuE9ELNS1_3repE0EEENS1_30default_config_static_selectorELNS0_4arch9wavefront6targetE1EEEvT1_,comdat
.Lfunc_end1024:
	.size	_ZN7rocprim17ROCPRIM_400000_NS6detail17trampoline_kernelINS0_14default_configENS1_27scan_by_key_config_selectorIxiEEZZNS1_16scan_by_key_implILNS1_25lookback_scan_determinismE0ELb1ES3_N6thrust23THRUST_200600_302600_NS6detail15normal_iteratorINS9_10device_ptrIxEEEESE_SE_iNS9_4plusIvEENS9_8equal_toIvEEiEE10hipError_tPvRmT2_T3_T4_T5_mT6_T7_P12ihipStream_tbENKUlT_T0_E_clISt17integral_constantIbLb1EESY_IbLb0EEEEDaSU_SV_EUlSU_E_NS1_11comp_targetILNS1_3genE5ELNS1_11target_archE942ELNS1_3gpuE9ELNS1_3repE0EEENS1_30default_config_static_selectorELNS0_4arch9wavefront6targetE1EEEvT1_, .Lfunc_end1024-_ZN7rocprim17ROCPRIM_400000_NS6detail17trampoline_kernelINS0_14default_configENS1_27scan_by_key_config_selectorIxiEEZZNS1_16scan_by_key_implILNS1_25lookback_scan_determinismE0ELb1ES3_N6thrust23THRUST_200600_302600_NS6detail15normal_iteratorINS9_10device_ptrIxEEEESE_SE_iNS9_4plusIvEENS9_8equal_toIvEEiEE10hipError_tPvRmT2_T3_T4_T5_mT6_T7_P12ihipStream_tbENKUlT_T0_E_clISt17integral_constantIbLb1EESY_IbLb0EEEEDaSU_SV_EUlSU_E_NS1_11comp_targetILNS1_3genE5ELNS1_11target_archE942ELNS1_3gpuE9ELNS1_3repE0EEENS1_30default_config_static_selectorELNS0_4arch9wavefront6targetE1EEEvT1_
                                        ; -- End function
	.section	.AMDGPU.csdata,"",@progbits
; Kernel info:
; codeLenInByte = 0
; NumSgprs: 4
; NumVgprs: 0
; NumAgprs: 0
; TotalNumVgprs: 0
; ScratchSize: 0
; MemoryBound: 0
; FloatMode: 240
; IeeeMode: 1
; LDSByteSize: 0 bytes/workgroup (compile time only)
; SGPRBlocks: 0
; VGPRBlocks: 0
; NumSGPRsForWavesPerEU: 4
; NumVGPRsForWavesPerEU: 1
; AccumOffset: 4
; Occupancy: 8
; WaveLimiterHint : 0
; COMPUTE_PGM_RSRC2:SCRATCH_EN: 0
; COMPUTE_PGM_RSRC2:USER_SGPR: 6
; COMPUTE_PGM_RSRC2:TRAP_HANDLER: 0
; COMPUTE_PGM_RSRC2:TGID_X_EN: 1
; COMPUTE_PGM_RSRC2:TGID_Y_EN: 0
; COMPUTE_PGM_RSRC2:TGID_Z_EN: 0
; COMPUTE_PGM_RSRC2:TIDIG_COMP_CNT: 0
; COMPUTE_PGM_RSRC3_GFX90A:ACCUM_OFFSET: 0
; COMPUTE_PGM_RSRC3_GFX90A:TG_SPLIT: 0
	.section	.text._ZN7rocprim17ROCPRIM_400000_NS6detail17trampoline_kernelINS0_14default_configENS1_27scan_by_key_config_selectorIxiEEZZNS1_16scan_by_key_implILNS1_25lookback_scan_determinismE0ELb1ES3_N6thrust23THRUST_200600_302600_NS6detail15normal_iteratorINS9_10device_ptrIxEEEESE_SE_iNS9_4plusIvEENS9_8equal_toIvEEiEE10hipError_tPvRmT2_T3_T4_T5_mT6_T7_P12ihipStream_tbENKUlT_T0_E_clISt17integral_constantIbLb1EESY_IbLb0EEEEDaSU_SV_EUlSU_E_NS1_11comp_targetILNS1_3genE4ELNS1_11target_archE910ELNS1_3gpuE8ELNS1_3repE0EEENS1_30default_config_static_selectorELNS0_4arch9wavefront6targetE1EEEvT1_,"axG",@progbits,_ZN7rocprim17ROCPRIM_400000_NS6detail17trampoline_kernelINS0_14default_configENS1_27scan_by_key_config_selectorIxiEEZZNS1_16scan_by_key_implILNS1_25lookback_scan_determinismE0ELb1ES3_N6thrust23THRUST_200600_302600_NS6detail15normal_iteratorINS9_10device_ptrIxEEEESE_SE_iNS9_4plusIvEENS9_8equal_toIvEEiEE10hipError_tPvRmT2_T3_T4_T5_mT6_T7_P12ihipStream_tbENKUlT_T0_E_clISt17integral_constantIbLb1EESY_IbLb0EEEEDaSU_SV_EUlSU_E_NS1_11comp_targetILNS1_3genE4ELNS1_11target_archE910ELNS1_3gpuE8ELNS1_3repE0EEENS1_30default_config_static_selectorELNS0_4arch9wavefront6targetE1EEEvT1_,comdat
	.protected	_ZN7rocprim17ROCPRIM_400000_NS6detail17trampoline_kernelINS0_14default_configENS1_27scan_by_key_config_selectorIxiEEZZNS1_16scan_by_key_implILNS1_25lookback_scan_determinismE0ELb1ES3_N6thrust23THRUST_200600_302600_NS6detail15normal_iteratorINS9_10device_ptrIxEEEESE_SE_iNS9_4plusIvEENS9_8equal_toIvEEiEE10hipError_tPvRmT2_T3_T4_T5_mT6_T7_P12ihipStream_tbENKUlT_T0_E_clISt17integral_constantIbLb1EESY_IbLb0EEEEDaSU_SV_EUlSU_E_NS1_11comp_targetILNS1_3genE4ELNS1_11target_archE910ELNS1_3gpuE8ELNS1_3repE0EEENS1_30default_config_static_selectorELNS0_4arch9wavefront6targetE1EEEvT1_ ; -- Begin function _ZN7rocprim17ROCPRIM_400000_NS6detail17trampoline_kernelINS0_14default_configENS1_27scan_by_key_config_selectorIxiEEZZNS1_16scan_by_key_implILNS1_25lookback_scan_determinismE0ELb1ES3_N6thrust23THRUST_200600_302600_NS6detail15normal_iteratorINS9_10device_ptrIxEEEESE_SE_iNS9_4plusIvEENS9_8equal_toIvEEiEE10hipError_tPvRmT2_T3_T4_T5_mT6_T7_P12ihipStream_tbENKUlT_T0_E_clISt17integral_constantIbLb1EESY_IbLb0EEEEDaSU_SV_EUlSU_E_NS1_11comp_targetILNS1_3genE4ELNS1_11target_archE910ELNS1_3gpuE8ELNS1_3repE0EEENS1_30default_config_static_selectorELNS0_4arch9wavefront6targetE1EEEvT1_
	.globl	_ZN7rocprim17ROCPRIM_400000_NS6detail17trampoline_kernelINS0_14default_configENS1_27scan_by_key_config_selectorIxiEEZZNS1_16scan_by_key_implILNS1_25lookback_scan_determinismE0ELb1ES3_N6thrust23THRUST_200600_302600_NS6detail15normal_iteratorINS9_10device_ptrIxEEEESE_SE_iNS9_4plusIvEENS9_8equal_toIvEEiEE10hipError_tPvRmT2_T3_T4_T5_mT6_T7_P12ihipStream_tbENKUlT_T0_E_clISt17integral_constantIbLb1EESY_IbLb0EEEEDaSU_SV_EUlSU_E_NS1_11comp_targetILNS1_3genE4ELNS1_11target_archE910ELNS1_3gpuE8ELNS1_3repE0EEENS1_30default_config_static_selectorELNS0_4arch9wavefront6targetE1EEEvT1_
	.p2align	8
	.type	_ZN7rocprim17ROCPRIM_400000_NS6detail17trampoline_kernelINS0_14default_configENS1_27scan_by_key_config_selectorIxiEEZZNS1_16scan_by_key_implILNS1_25lookback_scan_determinismE0ELb1ES3_N6thrust23THRUST_200600_302600_NS6detail15normal_iteratorINS9_10device_ptrIxEEEESE_SE_iNS9_4plusIvEENS9_8equal_toIvEEiEE10hipError_tPvRmT2_T3_T4_T5_mT6_T7_P12ihipStream_tbENKUlT_T0_E_clISt17integral_constantIbLb1EESY_IbLb0EEEEDaSU_SV_EUlSU_E_NS1_11comp_targetILNS1_3genE4ELNS1_11target_archE910ELNS1_3gpuE8ELNS1_3repE0EEENS1_30default_config_static_selectorELNS0_4arch9wavefront6targetE1EEEvT1_,@function
_ZN7rocprim17ROCPRIM_400000_NS6detail17trampoline_kernelINS0_14default_configENS1_27scan_by_key_config_selectorIxiEEZZNS1_16scan_by_key_implILNS1_25lookback_scan_determinismE0ELb1ES3_N6thrust23THRUST_200600_302600_NS6detail15normal_iteratorINS9_10device_ptrIxEEEESE_SE_iNS9_4plusIvEENS9_8equal_toIvEEiEE10hipError_tPvRmT2_T3_T4_T5_mT6_T7_P12ihipStream_tbENKUlT_T0_E_clISt17integral_constantIbLb1EESY_IbLb0EEEEDaSU_SV_EUlSU_E_NS1_11comp_targetILNS1_3genE4ELNS1_11target_archE910ELNS1_3gpuE8ELNS1_3repE0EEENS1_30default_config_static_selectorELNS0_4arch9wavefront6targetE1EEEvT1_: ; @_ZN7rocprim17ROCPRIM_400000_NS6detail17trampoline_kernelINS0_14default_configENS1_27scan_by_key_config_selectorIxiEEZZNS1_16scan_by_key_implILNS1_25lookback_scan_determinismE0ELb1ES3_N6thrust23THRUST_200600_302600_NS6detail15normal_iteratorINS9_10device_ptrIxEEEESE_SE_iNS9_4plusIvEENS9_8equal_toIvEEiEE10hipError_tPvRmT2_T3_T4_T5_mT6_T7_P12ihipStream_tbENKUlT_T0_E_clISt17integral_constantIbLb1EESY_IbLb0EEEEDaSU_SV_EUlSU_E_NS1_11comp_targetILNS1_3genE4ELNS1_11target_archE910ELNS1_3gpuE8ELNS1_3repE0EEENS1_30default_config_static_selectorELNS0_4arch9wavefront6targetE1EEEvT1_
; %bb.0:
	s_load_dwordx8 s[36:43], s[4:5], 0x0
	s_load_dword s56, s[4:5], 0x20
	s_load_dwordx4 s[44:47], s[4:5], 0x28
	s_load_dwordx2 s[52:53], s[4:5], 0x38
	s_load_dword s0, s[4:5], 0x40
	s_load_dwordx4 s[48:51], s[4:5], 0x48
	s_waitcnt lgkmcnt(0)
	s_lshl_b64 s[34:35], s[38:39], 3
	s_add_u32 s2, s36, s34
	s_addc_u32 s3, s37, s35
	s_add_u32 s4, s40, s34
	s_mul_i32 s1, s53, s0
	s_mul_hi_u32 s7, s52, s0
	s_addc_u32 s5, s41, s35
	s_add_i32 s8, s7, s1
	s_mul_i32 s9, s52, s0
	s_mul_i32 s0, s6, 0xe00
	s_mov_b32 s1, 0
	s_lshl_b64 s[36:37], s[0:1], 3
	s_add_u32 s38, s2, s36
	s_addc_u32 s39, s3, s37
	s_add_u32 s7, s4, s36
	s_addc_u32 s47, s5, s37
	;; [unrolled: 2-line block ×3, first 2 shown]
	s_add_u32 s4, s48, -1
	s_addc_u32 s5, s49, -1
	v_pk_mov_b32 v[2:3], s[4:5], s[4:5] op_sel:[0,1]
	v_cmp_ge_u64_e64 s[0:1], s[0:1], v[2:3]
	s_mov_b64 s[2:3], -1
	s_and_b64 vcc, exec, s[0:1]
	s_mul_i32 s33, s4, 0xfffff200
	s_barrier
	s_cbranch_vccz .LBB1025_76
; %bb.1:
	v_pk_mov_b32 v[2:3], s[38:39], s[38:39] op_sel:[0,1]
	flat_load_dwordx2 v[2:3], v[2:3]
	s_add_i32 s54, s33, s46
	v_cmp_gt_u32_e32 vcc, s54, v0
	s_waitcnt vmcnt(0) lgkmcnt(0)
	v_pk_mov_b32 v[4:5], v[2:3], v[2:3] op_sel:[0,1]
	s_and_saveexec_b64 s[4:5], vcc
	s_cbranch_execz .LBB1025_3
; %bb.2:
	v_lshlrev_b32_e32 v1, 3, v0
	v_mov_b32_e32 v5, s39
	v_add_co_u32_e64 v4, s[2:3], s38, v1
	v_addc_co_u32_e64 v5, s[2:3], 0, v5, s[2:3]
	flat_load_dwordx2 v[4:5], v[4:5]
.LBB1025_3:
	s_or_b64 exec, exec, s[4:5]
	v_or_b32_e32 v1, 0x100, v0
	v_cmp_gt_u32_e64 s[2:3], s54, v1
	v_pk_mov_b32 v[6:7], v[2:3], v[2:3] op_sel:[0,1]
	s_and_saveexec_b64 s[8:9], s[2:3]
	s_cbranch_execz .LBB1025_5
; %bb.4:
	v_lshlrev_b32_e32 v1, 3, v0
	v_mov_b32_e32 v7, s39
	v_add_co_u32_e64 v6, s[4:5], s38, v1
	v_addc_co_u32_e64 v7, s[4:5], 0, v7, s[4:5]
	flat_load_dwordx2 v[6:7], v[6:7] offset:2048
.LBB1025_5:
	s_or_b64 exec, exec, s[8:9]
	v_or_b32_e32 v1, 0x200, v0
	v_cmp_gt_u32_e64 s[4:5], s54, v1
	v_pk_mov_b32 v[8:9], v[2:3], v[2:3] op_sel:[0,1]
	s_and_saveexec_b64 s[10:11], s[4:5]
	s_cbranch_execz .LBB1025_7
; %bb.6:
	v_lshlrev_b32_e32 v8, 3, v1
	v_mov_b32_e32 v9, s39
	v_add_co_u32_e64 v8, s[8:9], s38, v8
	v_addc_co_u32_e64 v9, s[8:9], 0, v9, s[8:9]
	flat_load_dwordx2 v[8:9], v[8:9]
.LBB1025_7:
	s_or_b64 exec, exec, s[10:11]
	v_or_b32_e32 v54, 0x300, v0
	v_cmp_gt_u32_e64 s[28:29], s54, v54
	v_pk_mov_b32 v[10:11], v[2:3], v[2:3] op_sel:[0,1]
	s_and_saveexec_b64 s[10:11], s[28:29]
	s_cbranch_execz .LBB1025_9
; %bb.8:
	v_lshlrev_b32_e32 v10, 3, v54
	v_mov_b32_e32 v11, s39
	v_add_co_u32_e64 v10, s[8:9], s38, v10
	v_addc_co_u32_e64 v11, s[8:9], 0, v11, s[8:9]
	flat_load_dwordx2 v[10:11], v[10:11]
.LBB1025_9:
	;; [unrolled: 13-line block ×11, first 2 shown]
	s_or_b64 exec, exec, s[30:31]
	v_or_b32_e32 v66, 0xd00, v0
	v_cmp_gt_u32_e64 s[26:27], s54, v66
	s_and_saveexec_b64 s[40:41], s[26:27]
	s_cbranch_execz .LBB1025_29
; %bb.28:
	v_lshlrev_b32_e32 v2, 3, v66
	v_mov_b32_e32 v3, s39
	v_add_co_u32_e64 v2, s[30:31], s38, v2
	v_addc_co_u32_e64 v3, s[30:31], 0, v3, s[30:31]
	flat_load_dwordx2 v[2:3], v[2:3]
.LBB1025_29:
	s_or_b64 exec, exec, s[40:41]
	v_lshlrev_b32_e32 v67, 3, v0
	s_waitcnt vmcnt(0) lgkmcnt(0)
	ds_write2st64_b64 v67, v[4:5], v[6:7] offset1:4
	ds_write2st64_b64 v67, v[8:9], v[10:11] offset0:8 offset1:12
	ds_write2st64_b64 v67, v[12:13], v[14:15] offset0:16 offset1:20
	;; [unrolled: 1-line block ×6, first 2 shown]
	v_pk_mov_b32 v[2:3], s[38:39], s[38:39] op_sel:[0,1]
	s_waitcnt lgkmcnt(0)
	s_barrier
	flat_load_dwordx2 v[56:57], v[2:3]
	s_movk_i32 s30, 0x68
	v_mad_u32_u24 v2, v0, s30, v67
	s_movk_i32 s30, 0xff98
	ds_read_b128 v[50:53], v2
	ds_read_b128 v[46:49], v2 offset:16
	ds_read_b128 v[42:45], v2 offset:32
	;; [unrolled: 1-line block ×6, first 2 shown]
	v_mad_i32_i24 v2, v0, s30, v2
	s_movk_i32 s30, 0xff
	v_cmp_ne_u32_e64 s[30:31], s30, v0
	s_waitcnt lgkmcnt(0)
	ds_write_b64 v2, v[50:51] offset:30720
	s_waitcnt lgkmcnt(0)
	s_barrier
	s_and_saveexec_b64 s[40:41], s[30:31]
	s_cbranch_execz .LBB1025_31
; %bb.30:
	s_waitcnt vmcnt(0)
	ds_read_b64 v[56:57], v67 offset:30728
.LBB1025_31:
	s_or_b64 exec, exec, s[40:41]
	s_waitcnt lgkmcnt(0)
	s_barrier
	s_waitcnt lgkmcnt(0)
                                        ; implicit-def: $vgpr3
	s_and_saveexec_b64 s[30:31], vcc
	s_cbranch_execz .LBB1025_117
; %bb.32:
	v_mov_b32_e32 v3, s47
	v_add_co_u32_e32 v4, vcc, s7, v67
	v_addc_co_u32_e32 v5, vcc, 0, v3, vcc
	flat_load_dword v3, v[4:5]
	s_or_b64 exec, exec, s[30:31]
                                        ; implicit-def: $vgpr4
	s_and_saveexec_b64 s[30:31], s[2:3]
	s_cbranch_execnz .LBB1025_118
.LBB1025_33:
	s_or_b64 exec, exec, s[30:31]
                                        ; implicit-def: $vgpr5
	s_and_saveexec_b64 s[2:3], s[4:5]
	s_cbranch_execz .LBB1025_119
.LBB1025_34:
	v_lshlrev_b32_e32 v1, 3, v1
	v_mov_b32_e32 v5, s47
	v_add_co_u32_e32 v6, vcc, s7, v1
	v_addc_co_u32_e32 v7, vcc, 0, v5, vcc
	flat_load_dword v5, v[6:7]
	s_or_b64 exec, exec, s[2:3]
                                        ; implicit-def: $vgpr6
	s_and_saveexec_b64 s[2:3], s[28:29]
	s_cbranch_execnz .LBB1025_120
.LBB1025_35:
	s_or_b64 exec, exec, s[2:3]
                                        ; implicit-def: $vgpr7
	s_and_saveexec_b64 s[2:3], s[8:9]
	s_cbranch_execz .LBB1025_121
.LBB1025_36:
	v_lshlrev_b32_e32 v1, 3, v55
	v_mov_b32_e32 v7, s47
	v_add_co_u32_e32 v8, vcc, s7, v1
	v_addc_co_u32_e32 v9, vcc, 0, v7, vcc
	flat_load_dword v7, v[8:9]
	s_or_b64 exec, exec, s[2:3]
                                        ; implicit-def: $vgpr8
	s_and_saveexec_b64 s[2:3], s[10:11]
	s_cbranch_execnz .LBB1025_122
.LBB1025_37:
	s_or_b64 exec, exec, s[2:3]
                                        ; implicit-def: $vgpr9
	s_and_saveexec_b64 s[2:3], s[12:13]
	s_cbranch_execz .LBB1025_123
.LBB1025_38:
	v_lshlrev_b32_e32 v1, 3, v59
	v_mov_b32_e32 v9, s47
	v_add_co_u32_e32 v10, vcc, s7, v1
	v_addc_co_u32_e32 v11, vcc, 0, v9, vcc
	flat_load_dword v9, v[10:11]
	s_or_b64 exec, exec, s[2:3]
                                        ; implicit-def: $vgpr10
	s_and_saveexec_b64 s[2:3], s[14:15]
	s_cbranch_execnz .LBB1025_124
.LBB1025_39:
	s_or_b64 exec, exec, s[2:3]
                                        ; implicit-def: $vgpr11
	s_and_saveexec_b64 s[2:3], s[16:17]
	s_cbranch_execz .LBB1025_125
.LBB1025_40:
	v_lshlrev_b32_e32 v1, 3, v61
	v_mov_b32_e32 v11, s47
	v_add_co_u32_e32 v12, vcc, s7, v1
	v_addc_co_u32_e32 v13, vcc, 0, v11, vcc
	flat_load_dword v11, v[12:13]
	s_or_b64 exec, exec, s[2:3]
                                        ; implicit-def: $vgpr12
	s_and_saveexec_b64 s[2:3], s[18:19]
	s_cbranch_execnz .LBB1025_126
.LBB1025_41:
	s_or_b64 exec, exec, s[2:3]
                                        ; implicit-def: $vgpr13
	s_and_saveexec_b64 s[2:3], s[20:21]
	s_cbranch_execz .LBB1025_127
.LBB1025_42:
	v_lshlrev_b32_e32 v1, 3, v63
	v_mov_b32_e32 v13, s47
	v_add_co_u32_e32 v14, vcc, s7, v1
	v_addc_co_u32_e32 v15, vcc, 0, v13, vcc
	flat_load_dword v13, v[14:15]
	s_or_b64 exec, exec, s[2:3]
                                        ; implicit-def: $vgpr14
	s_and_saveexec_b64 s[2:3], s[22:23]
	s_cbranch_execnz .LBB1025_128
.LBB1025_43:
	s_or_b64 exec, exec, s[2:3]
                                        ; implicit-def: $vgpr15
	s_and_saveexec_b64 s[2:3], s[24:25]
	s_cbranch_execz .LBB1025_45
.LBB1025_44:
	v_lshlrev_b32_e32 v1, 3, v65
	v_mov_b32_e32 v15, s47
	v_add_co_u32_e32 v16, vcc, s7, v1
	v_addc_co_u32_e32 v17, vcc, 0, v15, vcc
	flat_load_dword v15, v[16:17]
.LBB1025_45:
	s_or_b64 exec, exec, s[2:3]
	v_mul_u32_u24_e32 v1, 14, v0
                                        ; implicit-def: $vgpr16
	s_and_saveexec_b64 s[2:3], s[26:27]
	s_cbranch_execz .LBB1025_47
; %bb.46:
	v_lshlrev_b32_e32 v16, 3, v66
	v_mov_b32_e32 v17, s47
	v_add_co_u32_e32 v16, vcc, s7, v16
	v_addc_co_u32_e32 v17, vcc, 0, v17, vcc
	flat_load_dword v16, v[16:17]
.LBB1025_47:
	s_or_b64 exec, exec, s[2:3]
	v_lshlrev_b32_e32 v17, 2, v0
	s_mov_b32 s8, 0
	v_sub_u32_e32 v59, v2, v17
	s_mov_b32 s9, s8
	s_waitcnt vmcnt(0) lgkmcnt(0)
	ds_write2st64_b32 v59, v3, v4 offset1:4
	ds_write2st64_b32 v59, v5, v6 offset0:8 offset1:12
	ds_write2st64_b32 v59, v7, v8 offset0:16 offset1:20
	;; [unrolled: 1-line block ×6, first 2 shown]
	s_mov_b32 s10, s8
	s_mov_b32 s11, s8
	;; [unrolled: 1-line block ×6, first 2 shown]
	v_pk_mov_b32 v[2:3], s[8:9], s[8:9] op_sel:[0,1]
	v_pk_mov_b32 v[8:9], s[14:15], s[14:15] op_sel:[0,1]
	;; [unrolled: 1-line block ×6, first 2 shown]
	v_cmp_gt_u32_e32 vcc, s54, v1
	s_mov_b64 s[2:3], 0
	v_pk_mov_b32 v[54:55], 0, 0
	s_mov_b64 s[18:19], 0
	v_pk_mov_b32 v[14:15], v[6:7], v[6:7] op_sel:[0,1]
	v_pk_mov_b32 v[12:13], v[4:5], v[4:5] op_sel:[0,1]
	;; [unrolled: 1-line block ×6, first 2 shown]
	s_waitcnt lgkmcnt(0)
	s_barrier
	s_waitcnt lgkmcnt(0)
                                        ; implicit-def: $sgpr16_sgpr17
                                        ; implicit-def: $vgpr58
	s_and_saveexec_b64 s[4:5], vcc
	s_cbranch_execz .LBB1025_75
; %bb.48:
	v_mad_u32_u24 v2, v0, 52, v59
	ds_read_b32 v2, v2
	v_mov_b32_e32 v4, s56
	v_cmp_eq_u64_e32 vcc, v[50:51], v[52:53]
	v_or_b32_e32 v3, 1, v1
                                        ; implicit-def: $vgpr58
	s_waitcnt lgkmcnt(0)
	v_cndmask_b32_e32 v54, v4, v2, vcc
	v_cmp_ne_u64_e32 vcc, v[50:51], v[52:53]
	v_cndmask_b32_e64 v55, 0, 1, vcc
	v_cmp_gt_u32_e32 vcc, s54, v3
	v_pk_mov_b32 v[2:3], s[8:9], s[8:9] op_sel:[0,1]
	v_pk_mov_b32 v[8:9], s[14:15], s[14:15] op_sel:[0,1]
	;; [unrolled: 1-line block ×12, first 2 shown]
                                        ; implicit-def: $sgpr8_sgpr9
	s_and_saveexec_b64 s[16:17], vcc
	s_cbranch_execz .LBB1025_74
; %bb.49:
	v_mul_u32_u24_e32 v2, 52, v0
	v_add_u32_e32 v59, v59, v2
	ds_read2_b32 v[50:51], v59 offset0:1 offset1:2
	s_mov_b32 s8, 0
	v_mov_b32_e32 v3, s56
	v_cmp_eq_u64_e32 vcc, v[52:53], v[46:47]
	s_mov_b32 s14, s8
	s_mov_b32 s15, s8
	v_add_u32_e32 v2, 2, v1
	s_waitcnt lgkmcnt(0)
	v_cndmask_b32_e32 v8, v3, v50, vcc
	v_cmp_ne_u64_e32 vcc, v[52:53], v[46:47]
	s_mov_b32 s9, s8
	s_mov_b32 s10, s8
	;; [unrolled: 1-line block ×5, first 2 shown]
	v_pk_mov_b32 v[16:17], s[14:15], s[14:15] op_sel:[0,1]
	v_cndmask_b32_e64 v9, 0, 1, vcc
	v_cmp_gt_u32_e32 vcc, s54, v2
	v_mov_b32_e32 v2, 0
	v_pk_mov_b32 v[14:15], s[12:13], s[12:13] op_sel:[0,1]
	v_pk_mov_b32 v[12:13], s[10:11], s[10:11] op_sel:[0,1]
	;; [unrolled: 1-line block ×4, first 2 shown]
	v_mov_b32_e32 v3, v2
	v_mov_b32_e32 v4, v2
	;; [unrolled: 1-line block ×5, first 2 shown]
	s_mov_b64 s[20:21], 0
	v_pk_mov_b32 v[22:23], v[14:15], v[14:15] op_sel:[0,1]
	v_pk_mov_b32 v[20:21], v[12:13], v[12:13] op_sel:[0,1]
	;; [unrolled: 1-line block ×3, first 2 shown]
                                        ; implicit-def: $sgpr24_sgpr25
                                        ; implicit-def: $vgpr58
	s_and_saveexec_b64 s[18:19], vcc
	s_cbranch_execz .LBB1025_73
; %bb.50:
	v_mov_b32_e32 v4, s56
	v_cmp_eq_u64_e32 vcc, v[46:47], v[48:49]
	v_pk_mov_b32 v[16:17], s[14:15], s[14:15] op_sel:[0,1]
	v_add_u32_e32 v3, 3, v1
	v_cndmask_b32_e32 v6, v4, v51, vcc
	v_cmp_ne_u64_e32 vcc, v[46:47], v[48:49]
	v_pk_mov_b32 v[14:15], s[12:13], s[12:13] op_sel:[0,1]
	v_pk_mov_b32 v[12:13], s[10:11], s[10:11] op_sel:[0,1]
	;; [unrolled: 1-line block ×4, first 2 shown]
	v_cndmask_b32_e64 v7, 0, 1, vcc
	v_cmp_gt_u32_e32 vcc, s54, v3
	v_mov_b32_e32 v3, v2
	v_mov_b32_e32 v4, v2
	;; [unrolled: 1-line block ×3, first 2 shown]
	s_mov_b64 s[22:23], 0
	v_pk_mov_b32 v[22:23], v[14:15], v[14:15] op_sel:[0,1]
	v_pk_mov_b32 v[20:21], v[12:13], v[12:13] op_sel:[0,1]
	;; [unrolled: 1-line block ×3, first 2 shown]
                                        ; implicit-def: $sgpr8_sgpr9
                                        ; implicit-def: $vgpr58
	s_and_saveexec_b64 s[20:21], vcc
	s_cbranch_execz .LBB1025_72
; %bb.51:
	ds_read2_b32 v[46:47], v59 offset0:3 offset1:4
	s_mov_b32 s8, 0
	s_mov_b32 s14, s8
	;; [unrolled: 1-line block ×3, first 2 shown]
	v_mov_b32_e32 v3, s56
	v_cmp_eq_u64_e32 vcc, v[48:49], v[42:43]
	s_mov_b32 s9, s8
	s_mov_b32 s10, s8
	;; [unrolled: 1-line block ×5, first 2 shown]
	v_pk_mov_b32 v[16:17], s[14:15], s[14:15] op_sel:[0,1]
	v_add_u32_e32 v2, 4, v1
	s_waitcnt lgkmcnt(0)
	v_cndmask_b32_e32 v4, v3, v46, vcc
	v_cmp_ne_u64_e32 vcc, v[48:49], v[42:43]
	v_pk_mov_b32 v[14:15], s[12:13], s[12:13] op_sel:[0,1]
	v_pk_mov_b32 v[12:13], s[10:11], s[10:11] op_sel:[0,1]
	;; [unrolled: 1-line block ×4, first 2 shown]
	v_cndmask_b32_e64 v5, 0, 1, vcc
	v_cmp_gt_u32_e32 vcc, s54, v2
	v_mov_b32_e32 v2, s8
	v_mov_b32_e32 v3, s8
	s_mov_b64 s[24:25], 0
	v_pk_mov_b32 v[22:23], v[14:15], v[14:15] op_sel:[0,1]
	v_pk_mov_b32 v[20:21], v[12:13], v[12:13] op_sel:[0,1]
	;; [unrolled: 1-line block ×3, first 2 shown]
                                        ; implicit-def: $sgpr26_sgpr27
                                        ; implicit-def: $vgpr58
	s_and_saveexec_b64 s[22:23], vcc
	s_cbranch_execz .LBB1025_71
; %bb.52:
	v_mov_b32_e32 v2, s56
	v_cmp_eq_u64_e32 vcc, v[42:43], v[44:45]
	v_add_u32_e32 v10, 5, v1
	v_cndmask_b32_e32 v2, v2, v47, vcc
	v_cmp_ne_u64_e32 vcc, v[42:43], v[44:45]
	v_cndmask_b32_e64 v3, 0, 1, vcc
	v_cmp_gt_u32_e32 vcc, s54, v10
	v_pk_mov_b32 v[16:17], s[14:15], s[14:15] op_sel:[0,1]
	v_pk_mov_b32 v[14:15], s[12:13], s[12:13] op_sel:[0,1]
	;; [unrolled: 1-line block ×5, first 2 shown]
	s_mov_b64 s[28:29], 0
	v_pk_mov_b32 v[22:23], v[14:15], v[14:15] op_sel:[0,1]
	v_pk_mov_b32 v[20:21], v[12:13], v[12:13] op_sel:[0,1]
	;; [unrolled: 1-line block ×3, first 2 shown]
                                        ; implicit-def: $sgpr8_sgpr9
                                        ; implicit-def: $vgpr58
	s_and_saveexec_b64 s[24:25], vcc
	s_cbranch_execz .LBB1025_70
; %bb.53:
	ds_read2_b32 v[42:43], v59 offset0:5 offset1:6
	v_mov_b32_e32 v11, s56
	v_cmp_eq_u64_e32 vcc, v[44:45], v[38:39]
	s_mov_b32 s8, 0
	v_add_u32_e32 v10, 6, v1
	s_waitcnt lgkmcnt(0)
	v_cndmask_b32_e32 v16, v11, v42, vcc
	v_cmp_ne_u64_e32 vcc, v[44:45], v[38:39]
	s_mov_b32 s14, s8
	s_mov_b32 s15, s8
	v_cndmask_b32_e64 v17, 0, 1, vcc
	v_cmp_gt_u32_e32 vcc, s54, v10
	v_mov_b32_e32 v10, 0
	s_mov_b32 s9, s8
	s_mov_b32 s10, s8
	;; [unrolled: 1-line block ×5, first 2 shown]
	v_pk_mov_b32 v[24:25], s[14:15], s[14:15] op_sel:[0,1]
	v_mov_b32_e32 v11, v10
	v_mov_b32_e32 v12, v10
	;; [unrolled: 1-line block ×5, first 2 shown]
	v_pk_mov_b32 v[22:23], s[12:13], s[12:13] op_sel:[0,1]
	v_pk_mov_b32 v[20:21], s[10:11], s[10:11] op_sel:[0,1]
	;; [unrolled: 1-line block ×3, first 2 shown]
                                        ; implicit-def: $sgpr40_sgpr41
                                        ; implicit-def: $vgpr58
	s_and_saveexec_b64 s[26:27], vcc
	s_cbranch_execz .LBB1025_69
; %bb.54:
	v_mov_b32_e32 v12, s56
	v_cmp_eq_u64_e32 vcc, v[38:39], v[40:41]
	v_add_u32_e32 v11, 7, v1
	v_cndmask_b32_e32 v14, v12, v43, vcc
	v_cmp_ne_u64_e32 vcc, v[38:39], v[40:41]
	v_pk_mov_b32 v[24:25], s[14:15], s[14:15] op_sel:[0,1]
	v_cndmask_b32_e64 v15, 0, 1, vcc
	v_cmp_gt_u32_e32 vcc, s54, v11
	v_mov_b32_e32 v11, v10
	v_mov_b32_e32 v12, v10
	;; [unrolled: 1-line block ×3, first 2 shown]
	s_mov_b64 s[30:31], 0
	v_pk_mov_b32 v[22:23], s[12:13], s[12:13] op_sel:[0,1]
	v_pk_mov_b32 v[20:21], s[10:11], s[10:11] op_sel:[0,1]
	;; [unrolled: 1-line block ×3, first 2 shown]
                                        ; implicit-def: $sgpr8_sgpr9
                                        ; implicit-def: $vgpr58
	s_and_saveexec_b64 s[28:29], vcc
	s_cbranch_execz .LBB1025_68
; %bb.55:
	ds_read2_b32 v[38:39], v59 offset0:7 offset1:8
	s_mov_b32 s8, 0
	v_mov_b32_e32 v11, s56
	v_cmp_eq_u64_e32 vcc, v[40:41], v[34:35]
	s_mov_b32 s14, s8
	s_mov_b32 s15, s8
	v_add_u32_e32 v10, 8, v1
	s_waitcnt lgkmcnt(0)
	v_cndmask_b32_e32 v12, v11, v38, vcc
	v_cmp_ne_u64_e32 vcc, v[40:41], v[34:35]
	s_mov_b32 s9, s8
	s_mov_b32 s10, s8
	;; [unrolled: 1-line block ×5, first 2 shown]
	v_pk_mov_b32 v[24:25], s[14:15], s[14:15] op_sel:[0,1]
	v_cndmask_b32_e64 v13, 0, 1, vcc
	v_cmp_gt_u32_e32 vcc, s54, v10
	v_mov_b32_e32 v10, s8
	v_mov_b32_e32 v11, s8
	s_mov_b64 s[40:41], 0
	v_pk_mov_b32 v[22:23], s[12:13], s[12:13] op_sel:[0,1]
	v_pk_mov_b32 v[20:21], s[10:11], s[10:11] op_sel:[0,1]
	;; [unrolled: 1-line block ×3, first 2 shown]
                                        ; implicit-def: $sgpr48_sgpr49
                                        ; implicit-def: $vgpr58
	s_and_saveexec_b64 s[30:31], vcc
	s_cbranch_execz .LBB1025_67
; %bb.56:
	v_mov_b32_e32 v10, s56
	v_cmp_eq_u64_e32 vcc, v[34:35], v[36:37]
	v_add_u32_e32 v18, 9, v1
	v_cndmask_b32_e32 v10, v10, v39, vcc
	v_cmp_ne_u64_e32 vcc, v[34:35], v[36:37]
	v_cndmask_b32_e64 v11, 0, 1, vcc
	v_cmp_gt_u32_e32 vcc, s54, v18
	v_pk_mov_b32 v[24:25], s[14:15], s[14:15] op_sel:[0,1]
	v_pk_mov_b32 v[22:23], s[12:13], s[12:13] op_sel:[0,1]
	;; [unrolled: 1-line block ×4, first 2 shown]
                                        ; implicit-def: $sgpr10_sgpr11
                                        ; implicit-def: $vgpr58
	s_and_saveexec_b64 s[8:9], vcc
	s_cbranch_execz .LBB1025_66
; %bb.57:
	ds_read2_b32 v[34:35], v59 offset0:9 offset1:10
	v_mov_b32_e32 v18, s56
	v_cmp_eq_u64_e32 vcc, v[36:37], v[30:31]
	v_add_u32_e32 v20, 10, v1
	v_mov_b32_e32 v22, 0
	s_waitcnt lgkmcnt(0)
	v_cndmask_b32_e32 v18, v18, v34, vcc
	v_cmp_ne_u64_e32 vcc, v[36:37], v[30:31]
	v_cndmask_b32_e64 v19, 0, 1, vcc
	v_cmp_gt_u32_e32 vcc, s54, v20
	v_mov_b32_e32 v20, v22
	v_mov_b32_e32 v21, v22
	v_mov_b32_e32 v23, v22
	v_mov_b32_e32 v24, v22
	v_mov_b32_e32 v25, v22
	s_mov_b64 s[12:13], 0
                                        ; implicit-def: $sgpr40_sgpr41
                                        ; implicit-def: $vgpr58
	s_and_saveexec_b64 s[10:11], vcc
	s_cbranch_execz .LBB1025_65
; %bb.58:
	v_mov_b32_e32 v20, s56
	v_cmp_eq_u64_e32 vcc, v[30:31], v[32:33]
	v_add_u32_e32 v23, 11, v1
	v_cndmask_b32_e32 v20, v20, v35, vcc
	v_cmp_ne_u64_e32 vcc, v[30:31], v[32:33]
	v_cndmask_b32_e64 v21, 0, 1, vcc
	v_cmp_gt_u32_e32 vcc, s54, v23
	s_mov_b32 s40, 0
	v_mov_b32_e32 v23, v22
	v_mov_b32_e32 v24, v22
	v_mov_b32_e32 v25, v22
	s_mov_b64 s[14:15], 0
                                        ; implicit-def: $sgpr48_sgpr49
                                        ; implicit-def: $vgpr58
	s_and_saveexec_b64 s[12:13], vcc
	s_cbranch_execz .LBB1025_64
; %bb.59:
	ds_read2_b32 v[30:31], v59 offset0:11 offset1:12
	v_mov_b32_e32 v22, s56
	v_cmp_eq_u64_e32 vcc, v[32:33], v[26:27]
	v_add_u32_e32 v24, 12, v1
	v_mov_b32_e32 v25, s40
	s_waitcnt lgkmcnt(0)
	v_cndmask_b32_e32 v22, v22, v30, vcc
	v_cmp_ne_u64_e32 vcc, v[32:33], v[26:27]
	v_cndmask_b32_e64 v23, 0, 1, vcc
	v_cmp_gt_u32_e32 vcc, s54, v24
	v_mov_b32_e32 v24, s40
	s_mov_b64 s[40:41], 0
                                        ; implicit-def: $sgpr48_sgpr49
                                        ; implicit-def: $vgpr58
	s_and_saveexec_b64 s[14:15], vcc
	s_cbranch_execz .LBB1025_63
; %bb.60:
	v_mov_b32_e32 v24, s56
	v_cmp_eq_u64_e32 vcc, v[26:27], v[28:29]
	v_add_u32_e32 v1, 13, v1
	v_cndmask_b32_e32 v24, v24, v31, vcc
	v_cmp_ne_u64_e32 vcc, v[26:27], v[28:29]
	v_cndmask_b32_e64 v25, 0, 1, vcc
	v_cmp_gt_u32_e32 vcc, s54, v1
                                        ; implicit-def: $sgpr48_sgpr49
                                        ; implicit-def: $vgpr58
	s_and_saveexec_b64 s[54:55], vcc
	s_xor_b64 s[54:55], exec, s[54:55]
	s_cbranch_execz .LBB1025_62
; %bb.61:
	ds_read_b32 v1, v59 offset:52
	v_mov_b32_e32 v26, s56
	v_cmp_ne_u64_e32 vcc, v[28:29], v[56:57]
	s_mov_b64 s[40:41], exec
	s_and_b64 s[48:49], vcc, exec
	s_waitcnt lgkmcnt(0)
	v_cndmask_b32_e32 v58, v1, v26, vcc
.LBB1025_62:
	s_or_b64 exec, exec, s[54:55]
	s_and_b64 s[48:49], s[48:49], exec
	s_and_b64 s[40:41], s[40:41], exec
.LBB1025_63:
	s_or_b64 exec, exec, s[14:15]
	s_and_b64 s[48:49], s[48:49], exec
	s_and_b64 s[14:15], s[40:41], exec
.LBB1025_64:
	s_or_b64 exec, exec, s[12:13]
	s_and_b64 s[40:41], s[48:49], exec
	s_and_b64 s[12:13], s[14:15], exec
.LBB1025_65:
	s_or_b64 exec, exec, s[10:11]
	s_and_b64 s[10:11], s[40:41], exec
	s_and_b64 s[40:41], s[12:13], exec
.LBB1025_66:
	s_or_b64 exec, exec, s[8:9]
	s_and_b64 s[48:49], s[10:11], exec
	s_and_b64 s[40:41], s[40:41], exec
.LBB1025_67:
	s_or_b64 exec, exec, s[30:31]
	s_and_b64 s[8:9], s[48:49], exec
	s_and_b64 s[30:31], s[40:41], exec
.LBB1025_68:
	s_or_b64 exec, exec, s[28:29]
	s_and_b64 s[40:41], s[8:9], exec
	s_and_b64 s[28:29], s[30:31], exec
.LBB1025_69:
	s_or_b64 exec, exec, s[26:27]
	s_and_b64 s[8:9], s[40:41], exec
	s_and_b64 s[28:29], s[28:29], exec
.LBB1025_70:
	s_or_b64 exec, exec, s[24:25]
	s_and_b64 s[26:27], s[8:9], exec
	s_and_b64 s[24:25], s[28:29], exec
.LBB1025_71:
	s_or_b64 exec, exec, s[22:23]
	s_and_b64 s[8:9], s[26:27], exec
	s_and_b64 s[22:23], s[24:25], exec
.LBB1025_72:
	s_or_b64 exec, exec, s[20:21]
	s_and_b64 s[24:25], s[8:9], exec
	s_and_b64 s[20:21], s[22:23], exec
.LBB1025_73:
	s_or_b64 exec, exec, s[18:19]
	s_and_b64 s[8:9], s[24:25], exec
	s_and_b64 s[18:19], s[20:21], exec
.LBB1025_74:
	s_or_b64 exec, exec, s[16:17]
	s_and_b64 s[16:17], s[8:9], exec
	s_and_b64 s[18:19], s[18:19], exec
.LBB1025_75:
	s_or_b64 exec, exec, s[4:5]
	s_and_b64 vcc, exec, s[2:3]
	v_lshlrev_b32_e32 v48, 3, v0
	s_cbranch_vccnz .LBB1025_77
	s_branch .LBB1025_82
.LBB1025_76:
	s_mov_b64 s[18:19], 0
                                        ; implicit-def: $sgpr16_sgpr17
                                        ; implicit-def: $vgpr2_vgpr3_vgpr4_vgpr5_vgpr6_vgpr7_vgpr8_vgpr9
                                        ; implicit-def: $vgpr10_vgpr11_vgpr12_vgpr13_vgpr14_vgpr15_vgpr16_vgpr17
                                        ; implicit-def: $vgpr18_vgpr19_vgpr20_vgpr21_vgpr22_vgpr23_vgpr24_vgpr25
                                        ; implicit-def: $vgpr58
                                        ; implicit-def: $vgpr54_vgpr55
	s_and_b64 vcc, exec, s[2:3]
	v_lshlrev_b32_e32 v48, 3, v0
	s_cbranch_vccz .LBB1025_82
.LBB1025_77:
	v_mov_b32_e32 v1, s39
	v_add_co_u32_e32 v2, vcc, s38, v48
	v_addc_co_u32_e32 v3, vcc, 0, v1, vcc
	v_add_co_u32_e32 v4, vcc, 0x1000, v2
	v_addc_co_u32_e32 v5, vcc, 0, v3, vcc
	flat_load_dwordx2 v[6:7], v[2:3]
	flat_load_dwordx2 v[8:9], v[2:3] offset:2048
	flat_load_dwordx2 v[10:11], v[4:5]
	flat_load_dwordx2 v[12:13], v[4:5] offset:2048
	v_add_co_u32_e32 v4, vcc, 0x2000, v2
	v_addc_co_u32_e32 v5, vcc, 0, v3, vcc
	v_add_co_u32_e32 v14, vcc, 0x3000, v2
	v_addc_co_u32_e32 v15, vcc, 0, v3, vcc
	flat_load_dwordx2 v[16:17], v[4:5]
	flat_load_dwordx2 v[18:19], v[4:5] offset:2048
	flat_load_dwordx2 v[20:21], v[14:15]
	flat_load_dwordx2 v[22:23], v[14:15] offset:2048
	v_add_co_u32_e32 v4, vcc, 0x4000, v2
	v_addc_co_u32_e32 v5, vcc, 0, v3, vcc
	v_add_co_u32_e32 v14, vcc, 0x5000, v2
	v_addc_co_u32_e32 v15, vcc, 0, v3, vcc
	;; [unrolled: 2-line block ×3, first 2 shown]
	flat_load_dwordx2 v[24:25], v[4:5]
	flat_load_dwordx2 v[26:27], v[4:5] offset:2048
	flat_load_dwordx2 v[28:29], v[14:15]
	flat_load_dwordx2 v[30:31], v[14:15] offset:2048
	s_nop 0
	flat_load_dwordx2 v[4:5], v[2:3]
	flat_load_dwordx2 v[14:15], v[2:3] offset:2048
	v_mov_b32_e32 v1, s38
	v_mov_b32_e32 v3, s39
	v_add_co_u32_e32 v2, vcc, 0x7000, v1
	v_addc_co_u32_e32 v3, vcc, 0, v3, vcc
	s_movk_i32 s4, 0x68
	v_mad_u32_u24 v1, v0, s4, v48
	s_movk_i32 s4, 0xff98
	s_movk_i32 s12, 0x1000
	s_mov_b32 s2, 0
	s_movk_i32 s11, 0x2000
	s_movk_i32 s10, 0x3000
	;; [unrolled: 1-line block ×5, first 2 shown]
	s_waitcnt vmcnt(0) lgkmcnt(0)
	ds_write2st64_b64 v48, v[6:7], v[8:9] offset1:4
	ds_write2st64_b64 v48, v[10:11], v[12:13] offset0:8 offset1:12
	ds_write2st64_b64 v48, v[16:17], v[18:19] offset0:16 offset1:20
	;; [unrolled: 1-line block ×6, first 2 shown]
	s_waitcnt lgkmcnt(0)
	s_barrier
	flat_load_dwordx2 v[40:41], v[2:3]
	ds_read2_b64 v[24:27], v1 offset1:13
	ds_read2_b64 v[10:13], v1 offset0:3 offset1:4
	ds_read2_b64 v[14:17], v1 offset0:1 offset1:2
	;; [unrolled: 1-line block ×6, first 2 shown]
	v_mad_i32_i24 v1, v0, s4, v1
	s_movk_i32 s4, 0xff
	v_cmp_ne_u32_e32 vcc, s4, v0
	s_waitcnt lgkmcnt(0)
	ds_write_b64 v1, v[24:25] offset:30720
	s_waitcnt lgkmcnt(0)
	s_barrier
	s_and_saveexec_b64 s[4:5], vcc
	s_cbranch_execz .LBB1025_79
; %bb.78:
	s_waitcnt vmcnt(0)
	ds_read_b64 v[40:41], v48 offset:30728
.LBB1025_79:
	s_or_b64 exec, exec, s[4:5]
	v_mov_b32_e32 v3, s47
	v_add_co_u32_e32 v2, vcc, s7, v48
	v_addc_co_u32_e32 v3, vcc, 0, v3, vcc
	v_add_co_u32_e32 v4, vcc, s12, v2
	v_addc_co_u32_e32 v5, vcc, 0, v3, vcc
	;; [unrolled: 2-line block ×4, first 2 shown]
	s_waitcnt lgkmcnt(0)
	s_barrier
	flat_load_dword v22, v[2:3]
	flat_load_dword v23, v[2:3] offset:2048
	flat_load_dword v42, v[4:5]
	flat_load_dword v43, v[4:5] offset:2048
	;; [unrolled: 2-line block ×4, first 2 shown]
	v_add_co_u32_e32 v4, vcc, s9, v2
	v_addc_co_u32_e32 v5, vcc, 0, v3, vcc
	v_add_co_u32_e32 v6, vcc, s8, v2
	v_addc_co_u32_e32 v7, vcc, 0, v3, vcc
	;; [unrolled: 2-line block ×3, first 2 shown]
	flat_load_dword v8, v[4:5]
	flat_load_dword v9, v[4:5] offset:2048
	flat_load_dword v49, v[6:7]
	flat_load_dword v50, v[6:7] offset:2048
	;; [unrolled: 2-line block ×3, first 2 shown]
	v_lshlrev_b32_e32 v2, 2, v0
	v_sub_u32_e32 v7, v1, v2
	v_mad_u32_u24 v6, v0, 52, v7
	s_mov_b32 s3, 1
	v_cmp_eq_u64_e32 vcc, v[24:25], v[14:15]
	v_pk_mov_b32 v[54:55], s[2:3], s[2:3] op_sel:[0,1]
	s_waitcnt vmcnt(0) lgkmcnt(0)
	ds_write2st64_b32 v7, v22, v23 offset1:4
	ds_write2st64_b32 v7, v42, v43 offset0:8 offset1:12
	ds_write2st64_b32 v7, v44, v45 offset0:16 offset1:20
	;; [unrolled: 1-line block ×6, first 2 shown]
	s_waitcnt lgkmcnt(0)
	s_barrier
	ds_read2_b32 v[44:45], v6 offset0:7 offset1:8
	ds_read2_b32 v[46:47], v6 offset0:5 offset1:6
	;; [unrolled: 1-line block ×4, first 2 shown]
	ds_read_b32 v1, v6 offset:52
	ds_read2_b32 v[22:23], v6 offset0:11 offset1:12
	ds_read2_b32 v[42:43], v6 offset0:9 offset1:10
	v_mov_b32_e32 v6, s56
	s_and_saveexec_b64 s[2:3], vcc
	s_cbranch_execz .LBB1025_81
; %bb.80:
	v_mul_u32_u24_e32 v6, 52, v0
	v_add_u32_e32 v6, v7, v6
	ds_read_b32 v6, v6
	v_pk_mov_b32 v[54:55], 0, 0
.LBB1025_81:
	s_or_b64 exec, exec, s[2:3]
	v_mov_b32_e32 v49, s56
	v_cmp_eq_u64_e32 vcc, v[14:15], v[16:17]
	s_waitcnt lgkmcnt(3)
	v_cndmask_b32_e32 v8, v49, v4, vcc
	v_cmp_eq_u64_e32 vcc, v[16:17], v[10:11]
	s_waitcnt lgkmcnt(0)
	v_or_b32_e32 v54, v54, v6
	v_cndmask_b32_e32 v6, v49, v5, vcc
	v_cmp_eq_u64_e32 vcc, v[10:11], v[12:13]
	v_cndmask_b32_e32 v4, v49, v2, vcc
	v_cmp_eq_u64_e32 vcc, v[12:13], v[36:37]
	v_cndmask_b32_e32 v2, v49, v3, vcc
	v_cmp_ne_u64_e32 vcc, v[14:15], v[16:17]
	v_cndmask_b32_e64 v9, 0, 1, vcc
	v_cmp_ne_u64_e32 vcc, v[16:17], v[10:11]
	v_cndmask_b32_e64 v7, 0, 1, vcc
	;; [unrolled: 2-line block ×4, first 2 shown]
	v_cmp_eq_u64_e32 vcc, v[36:37], v[38:39]
	v_cndmask_b32_e32 v16, v49, v46, vcc
	v_cmp_eq_u64_e32 vcc, v[38:39], v[18:19]
	v_cndmask_b32_e32 v14, v49, v47, vcc
	v_cmp_eq_u64_e32 vcc, v[18:19], v[20:21]
	v_cndmask_b32_e32 v12, v49, v44, vcc
	v_cmp_eq_u64_e32 vcc, v[20:21], v[28:29]
	v_cndmask_b32_e32 v10, v49, v45, vcc
	v_cmp_ne_u64_e32 vcc, v[36:37], v[38:39]
	v_cndmask_b32_e64 v17, 0, 1, vcc
	v_cmp_ne_u64_e32 vcc, v[38:39], v[18:19]
	v_cndmask_b32_e64 v15, 0, 1, vcc
	;; [unrolled: 2-line block ×4, first 2 shown]
	v_cmp_eq_u64_e32 vcc, v[34:35], v[26:27]
	v_cndmask_b32_e32 v24, v49, v23, vcc
	v_cmp_eq_u64_e32 vcc, v[32:33], v[34:35]
	v_cndmask_b32_e32 v22, v49, v22, vcc
	;; [unrolled: 2-line block ×4, first 2 shown]
	v_cmp_ne_u64_e32 vcc, v[34:35], v[26:27]
	v_cndmask_b32_e64 v25, 0, 1, vcc
	v_cmp_ne_u64_e32 vcc, v[32:33], v[34:35]
	v_cndmask_b32_e64 v23, 0, 1, vcc
	;; [unrolled: 2-line block ×3, first 2 shown]
	v_cmp_ne_u64_e32 vcc, v[28:29], v[30:31]
	v_cmp_ne_u64_e64 s[16:17], v[26:27], v[40:41]
	v_cndmask_b32_e64 v19, 0, 1, vcc
	v_cndmask_b32_e64 v58, v1, v49, s[16:17]
	s_mov_b64 s[18:19], -1
                                        ; implicit-def: $sgpr2_sgpr3
.LBB1025_82:
	v_pk_mov_b32 v[38:39], s[2:3], s[2:3] op_sel:[0,1]
	s_and_saveexec_b64 s[2:3], s[18:19]
; %bb.83:
	v_cndmask_b32_e64 v59, 0, 1, s[16:17]
	v_pk_mov_b32 v[38:39], v[58:59], v[58:59] op_sel:[0,1]
; %bb.84:
	s_or_b64 exec, exec, s[2:3]
	s_mov_b32 s26, 0
	s_cmp_lg_u32 s6, 0
	v_mbcnt_lo_u32_b32 v50, -1, 0
	v_lshrrev_b32_e32 v1, 6, v0
	v_or_b32_e32 v49, 63, v0
	s_barrier
	s_cbranch_scc0 .LBB1025_129
; %bb.85:
	s_mov_b32 s27, 1
	v_cmp_gt_u64_e64 s[2:3], s[26:27], v[8:9]
	v_cndmask_b32_e64 v27, 0, v54, s[2:3]
	v_add_u32_e32 v27, v27, v8
	v_cmp_gt_u64_e64 s[4:5], s[26:27], v[6:7]
	v_cndmask_b32_e64 v27, 0, v27, s[4:5]
	v_add_u32_e32 v27, v27, v6
	;; [unrolled: 3-line block ×12, first 2 shown]
	v_cmp_gt_u64_e32 vcc, s[26:27], v[38:39]
	v_cndmask_b32_e32 v27, 0, v27, vcc
	v_add_u32_e32 v28, v27, v38
	v_or3_b32 v27, v39, v25, v23
	v_or3_b32 v27, v27, v21, v19
	;; [unrolled: 1-line block ×6, first 2 shown]
	v_mov_b32_e32 v26, 0
	v_and_b32_e32 v27, 1, v27
	v_cmp_eq_u64_e32 vcc, 0, v[26:27]
	v_cndmask_b32_e32 v27, 1, v55, vcc
	v_and_b32_e32 v29, 0xff, v27
	v_mov_b32_dpp v31, v28 row_shr:1 row_mask:0xf bank_mask:0xf
	v_cmp_eq_u16_e32 vcc, 0, v29
	v_mov_b32_dpp v32, v29 row_shr:1 row_mask:0xf bank_mask:0xf
	v_and_b32_e32 v33, 1, v27
	v_mbcnt_hi_u32_b32 v44, -1, v50
	v_cndmask_b32_e32 v31, 0, v31, vcc
	v_and_b32_e32 v32, 1, v32
	v_cmp_eq_u32_e32 vcc, 1, v33
	v_and_b32_e32 v30, 15, v44
	v_cndmask_b32_e64 v32, v32, 1, vcc
	v_and_b32_e32 v33, 0xffff, v32
	v_cmp_eq_u32_e32 vcc, 0, v30
	v_cndmask_b32_e32 v27, v32, v27, vcc
	v_cndmask_b32_e32 v29, v33, v29, vcc
	v_and_b32_e32 v33, 1, v27
	v_cndmask_b32_e64 v31, v31, 0, vcc
	v_mov_b32_dpp v32, v29 row_shr:2 row_mask:0xf bank_mask:0xf
	v_and_b32_e32 v32, 1, v32
	v_cmp_eq_u32_e32 vcc, 1, v33
	v_cndmask_b32_e64 v32, v32, 1, vcc
	v_and_b32_e32 v33, 0xffff, v32
	v_cmp_lt_u32_e32 vcc, 1, v30
	v_add_u32_e32 v28, v31, v28
	v_cmp_eq_u16_sdwa s[26:27], v27, v26 src0_sel:BYTE_0 src1_sel:DWORD
	v_cndmask_b32_e32 v27, v27, v32, vcc
	v_cndmask_b32_e32 v29, v29, v33, vcc
	v_mov_b32_dpp v31, v28 row_shr:2 row_mask:0xf bank_mask:0xf
	s_and_b64 vcc, vcc, s[26:27]
	v_mov_b32_dpp v32, v29 row_shr:4 row_mask:0xf bank_mask:0xf
	v_and_b32_e32 v33, 1, v27
	v_cndmask_b32_e32 v31, 0, v31, vcc
	v_and_b32_e32 v32, 1, v32
	v_cmp_eq_u32_e32 vcc, 1, v33
	v_cndmask_b32_e64 v32, v32, 1, vcc
	v_and_b32_e32 v33, 0xffff, v32
	v_cmp_lt_u32_e32 vcc, 3, v30
	v_add_u32_e32 v28, v31, v28
	v_cmp_eq_u16_sdwa s[26:27], v27, v26 src0_sel:BYTE_0 src1_sel:DWORD
	v_cndmask_b32_e32 v27, v27, v32, vcc
	v_cndmask_b32_e32 v29, v29, v33, vcc
	v_mov_b32_dpp v31, v28 row_shr:4 row_mask:0xf bank_mask:0xf
	s_and_b64 vcc, vcc, s[26:27]
	v_mov_b32_dpp v32, v29 row_shr:8 row_mask:0xf bank_mask:0xf
	v_and_b32_e32 v33, 1, v27
	v_cndmask_b32_e32 v31, 0, v31, vcc
	v_and_b32_e32 v32, 1, v32
	v_cmp_eq_u32_e32 vcc, 1, v33
	v_cndmask_b32_e64 v32, v32, 1, vcc
	v_add_u32_e32 v28, v31, v28
	v_cmp_eq_u16_sdwa s[26:27], v27, v26 src0_sel:BYTE_0 src1_sel:DWORD
	v_and_b32_e32 v33, 0xffff, v32
	v_cmp_lt_u32_e32 vcc, 7, v30
	v_mov_b32_dpp v31, v28 row_shr:8 row_mask:0xf bank_mask:0xf
	v_cndmask_b32_e32 v27, v27, v32, vcc
	v_cndmask_b32_e32 v29, v29, v33, vcc
	s_and_b64 vcc, vcc, s[26:27]
	v_cndmask_b32_e32 v30, 0, v31, vcc
	v_add_u32_e32 v28, v30, v28
	v_mov_b32_dpp v31, v29 row_bcast:15 row_mask:0xf bank_mask:0xf
	v_cmp_eq_u16_sdwa vcc, v27, v26 src0_sel:BYTE_0 src1_sel:DWORD
	v_mov_b32_dpp v30, v28 row_bcast:15 row_mask:0xf bank_mask:0xf
	v_and_b32_e32 v34, 1, v27
	v_cndmask_b32_e32 v30, 0, v30, vcc
	v_and_b32_e32 v31, 1, v31
	v_cmp_eq_u32_e32 vcc, 1, v34
	v_and_b32_e32 v33, 16, v44
	v_cndmask_b32_e64 v31, v31, 1, vcc
	v_and_b32_e32 v34, 0xffff, v31
	v_cmp_eq_u32_e32 vcc, 0, v33
	v_cndmask_b32_e32 v27, v31, v27, vcc
	v_cndmask_b32_e32 v29, v34, v29, vcc
	v_bfe_i32 v32, v44, 4, 1
	v_cmp_eq_u16_sdwa s[26:27], v27, v26 src0_sel:BYTE_0 src1_sel:DWORD
	v_mov_b32_dpp v29, v29 row_bcast:31 row_mask:0xf bank_mask:0xf
	v_and_b32_e32 v26, 1, v27
	v_and_b32_e32 v30, v32, v30
	v_and_b32_e32 v29, 1, v29
	v_cmp_eq_u32_e32 vcc, 1, v26
	v_add_u32_e32 v28, v30, v28
	v_cndmask_b32_e64 v26, v29, 1, vcc
	v_cmp_lt_u32_e32 vcc, 31, v44
	v_mov_b32_dpp v30, v28 row_bcast:31 row_mask:0xf bank_mask:0xf
	v_cndmask_b32_e32 v29, v27, v26, vcc
	s_and_b64 vcc, vcc, s[26:27]
	v_cndmask_b32_e32 v26, 0, v30, vcc
	v_add_u32_e32 v28, v26, v28
	v_cmp_eq_u32_e32 vcc, v49, v0
	s_and_saveexec_b64 s[26:27], vcc
	s_cbranch_execz .LBB1025_87
; %bb.86:
	v_lshlrev_b32_e32 v26, 3, v1
	ds_write_b32 v26, v28
	ds_write_b8 v26, v29 offset:4
.LBB1025_87:
	s_or_b64 exec, exec, s[26:27]
	v_cmp_gt_u32_e32 vcc, 4, v0
	s_waitcnt lgkmcnt(0)
	s_barrier
	s_and_saveexec_b64 s[26:27], vcc
	s_cbranch_execz .LBB1025_91
; %bb.88:
	ds_read_b64 v[26:27], v48
	v_and_b32_e32 v30, 3, v44
	v_cmp_ne_u32_e32 vcc, 0, v30
	s_waitcnt lgkmcnt(0)
	v_mov_b32_dpp v31, v26 row_shr:1 row_mask:0xf bank_mask:0xf
	v_mov_b32_dpp v33, v27 row_shr:1 row_mask:0xf bank_mask:0xf
	v_mov_b32_e32 v32, v27
	s_and_saveexec_b64 s[30:31], vcc
	s_cbranch_execz .LBB1025_90
; %bb.89:
	v_and_b32_e32 v32, 1, v27
	v_and_b32_e32 v33, 1, v33
	v_cmp_eq_u32_e32 vcc, 1, v32
	v_mov_b32_e32 v32, 0
	v_cndmask_b32_e64 v33, v33, 1, vcc
	v_cmp_eq_u16_sdwa vcc, v27, v32 src0_sel:BYTE_0 src1_sel:DWORD
	v_cndmask_b32_e32 v31, 0, v31, vcc
	v_add_u32_e32 v26, v31, v26
	v_and_b32_e32 v31, 0xffff, v33
	s_movk_i32 s7, 0xff00
	v_and_or_b32 v32, v27, s7, v31
	v_mov_b32_e32 v27, v33
.LBB1025_90:
	s_or_b64 exec, exec, s[30:31]
	v_mov_b32_dpp v32, v32 row_shr:2 row_mask:0xf bank_mask:0xf
	v_and_b32_e32 v33, 1, v27
	v_and_b32_e32 v32, 1, v32
	v_cmp_eq_u32_e32 vcc, 1, v33
	v_mov_b32_e32 v33, 0
	v_cndmask_b32_e64 v32, v32, 1, vcc
	v_cmp_eq_u16_sdwa s[30:31], v27, v33 src0_sel:BYTE_0 src1_sel:DWORD
	v_cmp_lt_u32_e32 vcc, 1, v30
	v_mov_b32_dpp v31, v26 row_shr:2 row_mask:0xf bank_mask:0xf
	v_cndmask_b32_e32 v27, v27, v32, vcc
	s_and_b64 vcc, vcc, s[30:31]
	v_cndmask_b32_e32 v30, 0, v31, vcc
	v_add_u32_e32 v26, v30, v26
	ds_write_b32 v48, v26
	ds_write_b8 v48, v27 offset:4
.LBB1025_91:
	s_or_b64 exec, exec, s[26:27]
	v_cmp_gt_u32_e32 vcc, 64, v0
	v_cmp_lt_u32_e64 s[26:27], 63, v0
	v_mov_b32_e32 v40, 0
	v_mov_b32_e32 v41, 0
	s_waitcnt lgkmcnt(0)
	s_barrier
	s_and_saveexec_b64 s[30:31], s[26:27]
	s_cbranch_execz .LBB1025_93
; %bb.92:
	v_lshl_add_u32 v26, v1, 3, -8
	ds_read_b32 v40, v26
	ds_read_u8 v41, v26 offset:4
	v_mov_b32_e32 v27, 0
	v_and_b32_e32 v30, 1, v29
	v_cmp_eq_u16_sdwa s[26:27], v29, v27 src0_sel:BYTE_0 src1_sel:DWORD
	s_waitcnt lgkmcnt(1)
	v_cndmask_b32_e64 v26, 0, v40, s[26:27]
	v_cmp_eq_u32_e64 s[26:27], 1, v30
	v_add_u32_e32 v28, v26, v28
	s_waitcnt lgkmcnt(0)
	v_cndmask_b32_e64 v29, v41, 1, s[26:27]
.LBB1025_93:
	s_or_b64 exec, exec, s[30:31]
	v_and_b32_e32 v26, 0xff, v29
	v_add_u32_e32 v27, -1, v44
	v_and_b32_e32 v29, 64, v44
	v_cmp_lt_i32_e64 s[26:27], v27, v29
	v_cndmask_b32_e64 v27, v27, v44, s[26:27]
	v_lshlrev_b32_e32 v27, 2, v27
	ds_bpermute_b32 v42, v27, v28
	ds_bpermute_b32 v43, v27, v26
	v_cmp_eq_u32_e64 s[26:27], 0, v44
	s_and_saveexec_b64 s[38:39], vcc
	s_cbranch_execz .LBB1025_116
; %bb.94:
	v_mov_b32_e32 v29, 0
	ds_read_b64 v[26:27], v29 offset:24
	s_waitcnt lgkmcnt(0)
	v_readfirstlane_b32 s7, v27
	s_and_saveexec_b64 s[30:31], s[26:27]
	s_cbranch_execz .LBB1025_96
; %bb.95:
	s_add_i32 s40, s6, 64
	s_mov_b32 s41, 0
	s_lshl_b64 s[48:49], s[40:41], 4
	s_add_u32 s48, s44, s48
	s_addc_u32 s49, s45, s49
	s_and_b32 s55, s7, 0xff000000
	s_mov_b32 s54, s41
	s_and_b32 s59, s7, 0xff0000
	s_mov_b32 s58, s41
	s_or_b64 s[54:55], s[58:59], s[54:55]
	s_and_b32 s59, s7, 0xff00
	s_or_b64 s[54:55], s[54:55], s[58:59]
	s_and_b32 s59, s7, 0xff
	s_or_b64 s[40:41], s[54:55], s[58:59]
	v_mov_b32_e32 v27, s41
	v_mov_b32_e32 v28, 1
	v_pk_mov_b32 v[30:31], s[48:49], s[48:49] op_sel:[0,1]
	;;#ASMSTART
	global_store_dwordx4 v[30:31], v[26:29] off	
s_waitcnt vmcnt(0)
	;;#ASMEND
.LBB1025_96:
	s_or_b64 exec, exec, s[30:31]
	v_xad_u32 v34, v44, -1, s6
	v_add_u32_e32 v28, 64, v34
	v_lshlrev_b64 v[30:31], 4, v[28:29]
	v_mov_b32_e32 v27, s45
	v_add_co_u32_e32 v36, vcc, s44, v30
	v_addc_co_u32_e32 v37, vcc, v27, v31, vcc
	;;#ASMSTART
	global_load_dwordx4 v[30:33], v[36:37] off glc	
s_waitcnt vmcnt(0)
	;;#ASMEND
	v_and_b32_e32 v27, 0xff0000, v30
	v_or_b32_sdwa v27, v30, v27 dst_sel:DWORD dst_unused:UNUSED_PAD src0_sel:WORD_0 src1_sel:DWORD
	v_and_b32_e32 v28, 0xff000000, v30
	v_and_b32_e32 v30, 0xff, v31
	v_or3_b32 v31, 0, 0, v30
	v_or3_b32 v30, v27, v28, 0
	v_cmp_eq_u16_sdwa s[40:41], v32, v29 src0_sel:BYTE_0 src1_sel:DWORD
	s_and_saveexec_b64 s[30:31], s[40:41]
	s_cbranch_execz .LBB1025_102
; %bb.97:
	s_mov_b32 s47, 1
	s_mov_b64 s[40:41], 0
	v_mov_b32_e32 v27, 0
.LBB1025_98:                            ; =>This Loop Header: Depth=1
                                        ;     Child Loop BB1025_99 Depth 2
	s_max_u32 s48, s47, 1
.LBB1025_99:                            ;   Parent Loop BB1025_98 Depth=1
                                        ; =>  This Inner Loop Header: Depth=2
	s_add_i32 s48, s48, -1
	s_cmp_eq_u32 s48, 0
	s_sleep 1
	s_cbranch_scc0 .LBB1025_99
; %bb.100:                              ;   in Loop: Header=BB1025_98 Depth=1
	s_cmp_lt_u32 s47, 32
	s_cselect_b64 s[48:49], -1, 0
	s_cmp_lg_u64 s[48:49], 0
	s_addc_u32 s47, s47, 0
	;;#ASMSTART
	global_load_dwordx4 v[30:33], v[36:37] off glc	
s_waitcnt vmcnt(0)
	;;#ASMEND
	v_cmp_ne_u16_sdwa s[48:49], v32, v27 src0_sel:BYTE_0 src1_sel:DWORD
	s_or_b64 s[40:41], s[48:49], s[40:41]
	s_andn2_b64 exec, exec, s[40:41]
	s_cbranch_execnz .LBB1025_98
; %bb.101:
	s_or_b64 exec, exec, s[40:41]
	v_and_b32_e32 v31, 0xff, v31
.LBB1025_102:
	s_or_b64 exec, exec, s[30:31]
	v_mov_b32_e32 v27, 2
	v_cmp_eq_u16_sdwa s[30:31], v32, v27 src0_sel:BYTE_0 src1_sel:DWORD
	v_lshlrev_b64 v[28:29], v44, -1
	v_and_b32_e32 v33, s31, v29
	v_or_b32_e32 v33, 0x80000000, v33
	v_and_b32_e32 v35, s30, v28
	v_ffbl_b32_e32 v33, v33
	v_and_b32_e32 v45, 63, v44
	v_add_u32_e32 v33, 32, v33
	v_ffbl_b32_e32 v35, v35
	v_cmp_ne_u32_e32 vcc, 63, v45
	v_min_u32_e32 v33, v35, v33
	v_addc_co_u32_e32 v35, vcc, 0, v44, vcc
	v_lshlrev_b32_e32 v46, 2, v35
	ds_bpermute_b32 v35, v46, v31
	ds_bpermute_b32 v36, v46, v30
	s_mov_b32 s40, 0
	v_and_b32_e32 v37, 1, v31
	s_mov_b32 s41, 1
	s_waitcnt lgkmcnt(1)
	v_and_b32_e32 v35, 1, v35
	v_cmp_eq_u32_e32 vcc, 1, v37
	v_cndmask_b32_e64 v35, v35, 1, vcc
	v_cmp_gt_u64_e32 vcc, s[40:41], v[30:31]
	v_cmp_lt_u32_e64 s[30:31], v45, v33
	s_and_b64 vcc, s[30:31], vcc
	v_and_b32_e32 v37, 0xffff, v35
	v_cndmask_b32_e64 v52, v31, v35, s[30:31]
	s_waitcnt lgkmcnt(0)
	v_cndmask_b32_e32 v35, 0, v36, vcc
	v_cmp_gt_u32_e32 vcc, 62, v45
	v_cndmask_b32_e64 v36, 0, 1, vcc
	v_lshlrev_b32_e32 v36, 1, v36
	v_cndmask_b32_e64 v31, v31, v37, s[30:31]
	v_add_lshl_u32 v47, v36, v44, 2
	ds_bpermute_b32 v36, v47, v31
	v_add_u32_e32 v30, v35, v30
	ds_bpermute_b32 v37, v47, v30
	v_and_b32_e32 v35, 1, v52
	v_cmp_eq_u32_e32 vcc, 1, v35
	s_waitcnt lgkmcnt(1)
	v_and_b32_e32 v36, 1, v36
	v_mov_b32_e32 v35, 0
	v_add_u32_e32 v51, 2, v45
	v_cndmask_b32_e64 v36, v36, 1, vcc
	v_cmp_eq_u16_sdwa vcc, v52, v35 src0_sel:BYTE_0 src1_sel:DWORD
	v_and_b32_e32 v53, 0xffff, v36
	s_waitcnt lgkmcnt(0)
	v_cndmask_b32_e32 v37, 0, v37, vcc
	v_cmp_gt_u32_e32 vcc, v51, v33
	v_cndmask_b32_e32 v36, v36, v52, vcc
	v_cndmask_b32_e64 v37, v37, 0, vcc
	v_cndmask_b32_e32 v31, v53, v31, vcc
	v_cmp_gt_u32_e32 vcc, 60, v45
	v_cndmask_b32_e64 v52, 0, 1, vcc
	v_lshlrev_b32_e32 v52, 2, v52
	v_add_lshl_u32 v52, v52, v44, 2
	ds_bpermute_b32 v56, v52, v31
	v_add_u32_e32 v30, v37, v30
	ds_bpermute_b32 v37, v52, v30
	v_and_b32_e32 v57, 1, v36
	v_cmp_eq_u32_e32 vcc, 1, v57
	s_waitcnt lgkmcnt(1)
	v_and_b32_e32 v56, 1, v56
	v_add_u32_e32 v53, 4, v45
	v_cndmask_b32_e64 v56, v56, 1, vcc
	v_cmp_eq_u16_sdwa vcc, v36, v35 src0_sel:BYTE_0 src1_sel:DWORD
	v_and_b32_e32 v57, 0xffff, v56
	s_waitcnt lgkmcnt(0)
	v_cndmask_b32_e32 v37, 0, v37, vcc
	v_cmp_gt_u32_e32 vcc, v53, v33
	v_cndmask_b32_e32 v36, v56, v36, vcc
	v_cndmask_b32_e64 v37, v37, 0, vcc
	v_cndmask_b32_e32 v31, v57, v31, vcc
	v_cmp_gt_u32_e32 vcc, 56, v45
	v_cndmask_b32_e64 v56, 0, 1, vcc
	v_lshlrev_b32_e32 v56, 3, v56
	v_add_lshl_u32 v56, v56, v44, 2
	ds_bpermute_b32 v58, v56, v31
	v_add_u32_e32 v30, v37, v30
	ds_bpermute_b32 v37, v56, v30
	v_and_b32_e32 v59, 1, v36
	v_cmp_eq_u32_e32 vcc, 1, v59
	s_waitcnt lgkmcnt(1)
	v_and_b32_e32 v58, 1, v58
	;; [unrolled: 21-line block ×4, first 2 shown]
	v_add_u32_e32 v62, 32, v45
	v_cndmask_b32_e64 v31, v31, 1, vcc
	v_cmp_eq_u16_sdwa vcc, v36, v35 src0_sel:BYTE_0 src1_sel:DWORD
	s_waitcnt lgkmcnt(0)
	v_cndmask_b32_e32 v37, 0, v37, vcc
	v_cmp_gt_u32_e32 vcc, v62, v33
	v_cndmask_b32_e64 v33, v37, 0, vcc
	v_cndmask_b32_e32 v31, v31, v36, vcc
	v_add_u32_e32 v30, v33, v30
	s_branch .LBB1025_104
.LBB1025_103:                           ;   in Loop: Header=BB1025_104 Depth=1
	s_or_b64 exec, exec, s[30:31]
	v_cmp_eq_u16_sdwa s[30:31], v32, v27 src0_sel:BYTE_0 src1_sel:DWORD
	v_and_b32_e32 v33, s31, v29
	ds_bpermute_b32 v37, v46, v31
	v_or_b32_e32 v33, 0x80000000, v33
	v_and_b32_e32 v36, s30, v28
	v_ffbl_b32_e32 v33, v33
	v_add_u32_e32 v33, 32, v33
	v_ffbl_b32_e32 v36, v36
	v_min_u32_e32 v33, v36, v33
	ds_bpermute_b32 v36, v46, v30
	v_and_b32_e32 v63, 1, v31
	s_waitcnt lgkmcnt(1)
	v_and_b32_e32 v37, 1, v37
	v_cmp_eq_u32_e32 vcc, 1, v63
	v_cndmask_b32_e64 v37, v37, 1, vcc
	v_cmp_gt_u64_e32 vcc, s[40:41], v[30:31]
	v_and_b32_e32 v63, 0xffff, v37
	v_cmp_lt_u32_e64 s[30:31], v45, v33
	v_cndmask_b32_e64 v37, v31, v37, s[30:31]
	v_cndmask_b32_e64 v31, v31, v63, s[30:31]
	s_and_b64 vcc, s[30:31], vcc
	ds_bpermute_b32 v63, v47, v31
	s_waitcnt lgkmcnt(1)
	v_cndmask_b32_e32 v36, 0, v36, vcc
	v_add_u32_e32 v30, v36, v30
	ds_bpermute_b32 v36, v47, v30
	v_and_b32_e32 v64, 1, v37
	s_waitcnt lgkmcnt(1)
	v_and_b32_e32 v63, 1, v63
	v_cmp_eq_u32_e32 vcc, 1, v64
	v_cndmask_b32_e64 v63, v63, 1, vcc
	v_cmp_eq_u16_sdwa vcc, v37, v35 src0_sel:BYTE_0 src1_sel:DWORD
	v_and_b32_e32 v64, 0xffff, v63
	s_waitcnt lgkmcnt(0)
	v_cndmask_b32_e32 v36, 0, v36, vcc
	v_cmp_gt_u32_e32 vcc, v51, v33
	v_cndmask_b32_e32 v31, v64, v31, vcc
	v_cndmask_b32_e32 v37, v63, v37, vcc
	ds_bpermute_b32 v63, v52, v31
	v_cndmask_b32_e64 v36, v36, 0, vcc
	v_add_u32_e32 v30, v36, v30
	ds_bpermute_b32 v36, v52, v30
	v_and_b32_e32 v64, 1, v37
	s_waitcnt lgkmcnt(1)
	v_and_b32_e32 v63, 1, v63
	v_cmp_eq_u32_e32 vcc, 1, v64
	v_cndmask_b32_e64 v63, v63, 1, vcc
	v_cmp_eq_u16_sdwa vcc, v37, v35 src0_sel:BYTE_0 src1_sel:DWORD
	v_and_b32_e32 v64, 0xffff, v63
	s_waitcnt lgkmcnt(0)
	v_cndmask_b32_e32 v36, 0, v36, vcc
	v_cmp_gt_u32_e32 vcc, v53, v33
	v_cndmask_b32_e32 v31, v64, v31, vcc
	v_cndmask_b32_e32 v37, v63, v37, vcc
	ds_bpermute_b32 v63, v56, v31
	v_cndmask_b32_e64 v36, v36, 0, vcc
	;; [unrolled: 16-line block ×3, first 2 shown]
	v_add_u32_e32 v30, v36, v30
	ds_bpermute_b32 v36, v58, v30
	v_and_b32_e32 v64, 1, v37
	s_waitcnt lgkmcnt(1)
	v_and_b32_e32 v63, 1, v63
	v_cmp_eq_u32_e32 vcc, 1, v64
	v_cndmask_b32_e64 v63, v63, 1, vcc
	v_cmp_eq_u16_sdwa vcc, v37, v35 src0_sel:BYTE_0 src1_sel:DWORD
	v_and_b32_e32 v64, 0xffff, v63
	s_waitcnt lgkmcnt(0)
	v_cndmask_b32_e32 v36, 0, v36, vcc
	v_cmp_gt_u32_e32 vcc, v59, v33
	v_cndmask_b32_e64 v36, v36, 0, vcc
	v_cndmask_b32_e32 v31, v64, v31, vcc
	ds_bpermute_b32 v31, v61, v31
	v_add_u32_e32 v30, v36, v30
	ds_bpermute_b32 v36, v61, v30
	v_cndmask_b32_e32 v37, v63, v37, vcc
	v_and_b32_e32 v63, 1, v37
	v_cmp_eq_u32_e32 vcc, 1, v63
	s_waitcnt lgkmcnt(1)
	v_cndmask_b32_e64 v31, v31, 1, vcc
	v_cmp_eq_u16_sdwa vcc, v37, v35 src0_sel:BYTE_0 src1_sel:DWORD
	s_waitcnt lgkmcnt(0)
	v_cndmask_b32_e32 v36, 0, v36, vcc
	v_cmp_gt_u32_e32 vcc, v62, v33
	v_cndmask_b32_e64 v33, v36, 0, vcc
	v_cndmask_b32_e32 v31, v31, v37, vcc
	v_add_u32_e32 v30, v33, v30
	v_cmp_eq_u16_sdwa vcc, v44, v35 src0_sel:BYTE_0 src1_sel:DWORD
	v_and_b32_e32 v33, 1, v44
	v_cndmask_b32_e32 v30, 0, v30, vcc
	v_and_b32_e32 v31, 1, v31
	v_cmp_eq_u32_e32 vcc, 1, v33
	v_subrev_u32_e32 v34, 64, v34
	v_add_u32_e32 v30, v30, v60
	v_cndmask_b32_e64 v31, v31, 1, vcc
.LBB1025_104:                           ; =>This Loop Header: Depth=1
                                        ;     Child Loop BB1025_107 Depth 2
                                        ;       Child Loop BB1025_108 Depth 3
	v_cmp_ne_u16_sdwa s[30:31], v32, v27 src0_sel:BYTE_0 src1_sel:DWORD
	v_mov_b32_e32 v44, v31
	v_cndmask_b32_e64 v31, 0, 1, s[30:31]
	;;#ASMSTART
	;;#ASMEND
	v_cmp_ne_u32_e32 vcc, 0, v31
	s_cmp_lg_u64 vcc, exec
	v_mov_b32_e32 v60, v30
	s_cbranch_scc1 .LBB1025_111
; %bb.105:                              ;   in Loop: Header=BB1025_104 Depth=1
	v_lshlrev_b64 v[30:31], 4, v[34:35]
	v_mov_b32_e32 v32, s45
	v_add_co_u32_e32 v36, vcc, s44, v30
	v_addc_co_u32_e32 v37, vcc, v32, v31, vcc
	;;#ASMSTART
	global_load_dwordx4 v[30:33], v[36:37] off glc	
s_waitcnt vmcnt(0)
	;;#ASMEND
	v_and_b32_e32 v33, 0xff0000, v30
	v_or_b32_sdwa v33, v30, v33 dst_sel:DWORD dst_unused:UNUSED_PAD src0_sel:WORD_0 src1_sel:DWORD
	v_and_b32_e32 v30, 0xff000000, v30
	v_and_b32_e32 v31, 0xff, v31
	v_or3_b32 v31, 0, 0, v31
	v_or3_b32 v30, v33, v30, 0
	v_cmp_eq_u16_sdwa s[48:49], v32, v35 src0_sel:BYTE_0 src1_sel:DWORD
	s_and_saveexec_b64 s[30:31], s[48:49]
	s_cbranch_execz .LBB1025_103
; %bb.106:                              ;   in Loop: Header=BB1025_104 Depth=1
	s_mov_b32 s47, 1
	s_mov_b64 s[48:49], 0
.LBB1025_107:                           ;   Parent Loop BB1025_104 Depth=1
                                        ; =>  This Loop Header: Depth=2
                                        ;       Child Loop BB1025_108 Depth 3
	s_max_u32 s54, s47, 1
.LBB1025_108:                           ;   Parent Loop BB1025_104 Depth=1
                                        ;     Parent Loop BB1025_107 Depth=2
                                        ; =>    This Inner Loop Header: Depth=3
	s_add_i32 s54, s54, -1
	s_cmp_eq_u32 s54, 0
	s_sleep 1
	s_cbranch_scc0 .LBB1025_108
; %bb.109:                              ;   in Loop: Header=BB1025_107 Depth=2
	s_cmp_lt_u32 s47, 32
	s_cselect_b64 s[54:55], -1, 0
	s_cmp_lg_u64 s[54:55], 0
	s_addc_u32 s47, s47, 0
	;;#ASMSTART
	global_load_dwordx4 v[30:33], v[36:37] off glc	
s_waitcnt vmcnt(0)
	;;#ASMEND
	v_cmp_ne_u16_sdwa s[54:55], v32, v35 src0_sel:BYTE_0 src1_sel:DWORD
	s_or_b64 s[48:49], s[54:55], s[48:49]
	s_andn2_b64 exec, exec, s[48:49]
	s_cbranch_execnz .LBB1025_107
; %bb.110:                              ;   in Loop: Header=BB1025_104 Depth=1
	s_or_b64 exec, exec, s[48:49]
	v_and_b32_e32 v31, 0xff, v31
	s_branch .LBB1025_103
.LBB1025_111:                           ;   in Loop: Header=BB1025_104 Depth=1
                                        ; implicit-def: $vgpr31
                                        ; implicit-def: $vgpr30
                                        ; implicit-def: $vgpr32
	s_cbranch_execz .LBB1025_104
; %bb.112:
	s_and_saveexec_b64 s[30:31], s[26:27]
	s_cbranch_execz .LBB1025_114
; %bb.113:
	s_and_b32 s40, s7, 0xff
	s_cmp_eq_u32 s40, 0
	s_cselect_b64 vcc, -1, 0
	s_bitcmp1_b32 s7, 0
	s_mov_b32 s41, 0
	s_cselect_b64 s[48:49], -1, 0
	s_add_i32 s40, s6, 64
	s_lshl_b64 s[6:7], s[40:41], 4
	v_cndmask_b32_e32 v27, 0, v60, vcc
	s_add_u32 s6, s44, s6
	v_add_u32_e32 v26, v27, v26
	v_and_b32_e32 v27, 1, v44
	s_addc_u32 s7, s45, s7
	v_mov_b32_e32 v29, 0
	v_cndmask_b32_e64 v27, v27, 1, s[48:49]
	v_mov_b32_e32 v28, 2
	v_pk_mov_b32 v[30:31], s[6:7], s[6:7] op_sel:[0,1]
	;;#ASMSTART
	global_store_dwordx4 v[30:31], v[26:29] off	
s_waitcnt vmcnt(0)
	;;#ASMEND
.LBB1025_114:
	s_or_b64 exec, exec, s[30:31]
	v_cmp_eq_u32_e32 vcc, 0, v0
	s_and_b64 exec, exec, vcc
	s_cbranch_execz .LBB1025_116
; %bb.115:
	v_mov_b32_e32 v26, 0
	ds_write_b32 v26, v60 offset:24
	ds_write_b8 v26, v44 offset:28
.LBB1025_116:
	s_or_b64 exec, exec, s[38:39]
	v_mov_b32_e32 v28, 0
	s_waitcnt lgkmcnt(0)
	s_barrier
	ds_read_b32 v26, v28 offset:24
	v_cndmask_b32_e64 v27, v43, v41, s[26:27]
	v_cmp_eq_u16_sdwa vcc, v27, v28 src0_sel:BYTE_0 src1_sel:DWORD
	v_cndmask_b32_e64 v29, v42, v40, s[26:27]
	s_waitcnt lgkmcnt(0)
	v_cndmask_b32_e32 v27, 0, v26, vcc
	v_add_u32_e32 v27, v27, v29
	v_cmp_eq_u32_e32 vcc, 0, v0
	v_and_b32_e32 v29, 0xff, v55
	v_cndmask_b32_e32 v26, v27, v26, vcc
	v_cmp_eq_u64_e32 vcc, 0, v[28:29]
	v_cndmask_b32_e32 v27, 0, v26, vcc
	v_add_u32_e32 v27, v27, v54
	v_cndmask_b32_e64 v28, 0, v27, s[2:3]
	v_add_u32_e32 v40, v28, v8
	v_cndmask_b32_e64 v28, 0, v40, s[4:5]
	;; [unrolled: 2-line block ×12, first 2 shown]
	v_add_u32_e32 v47, v28, v24
	s_branch .LBB1025_143
.LBB1025_117:
	s_or_b64 exec, exec, s[30:31]
                                        ; implicit-def: $vgpr4
	s_and_saveexec_b64 s[30:31], s[2:3]
	s_cbranch_execz .LBB1025_33
.LBB1025_118:
	v_mov_b32_e32 v5, s47
	v_add_co_u32_e32 v4, vcc, s7, v67
	v_addc_co_u32_e32 v5, vcc, 0, v5, vcc
	flat_load_dword v4, v[4:5] offset:2048
	s_or_b64 exec, exec, s[30:31]
                                        ; implicit-def: $vgpr5
	s_and_saveexec_b64 s[2:3], s[4:5]
	s_cbranch_execnz .LBB1025_34
.LBB1025_119:
	s_or_b64 exec, exec, s[2:3]
                                        ; implicit-def: $vgpr6
	s_and_saveexec_b64 s[2:3], s[28:29]
	s_cbranch_execz .LBB1025_35
.LBB1025_120:
	v_lshlrev_b32_e32 v1, 3, v54
	v_mov_b32_e32 v7, s47
	v_add_co_u32_e32 v6, vcc, s7, v1
	v_addc_co_u32_e32 v7, vcc, 0, v7, vcc
	flat_load_dword v6, v[6:7]
	s_or_b64 exec, exec, s[2:3]
                                        ; implicit-def: $vgpr7
	s_and_saveexec_b64 s[2:3], s[8:9]
	s_cbranch_execnz .LBB1025_36
.LBB1025_121:
	s_or_b64 exec, exec, s[2:3]
                                        ; implicit-def: $vgpr8
	s_and_saveexec_b64 s[2:3], s[10:11]
	s_cbranch_execz .LBB1025_37
.LBB1025_122:
	v_lshlrev_b32_e32 v1, 3, v58
	v_mov_b32_e32 v9, s47
	v_add_co_u32_e32 v8, vcc, s7, v1
	v_addc_co_u32_e32 v9, vcc, 0, v9, vcc
	flat_load_dword v8, v[8:9]
	s_or_b64 exec, exec, s[2:3]
                                        ; implicit-def: $vgpr9
	s_and_saveexec_b64 s[2:3], s[12:13]
	s_cbranch_execnz .LBB1025_38
.LBB1025_123:
	s_or_b64 exec, exec, s[2:3]
                                        ; implicit-def: $vgpr10
	s_and_saveexec_b64 s[2:3], s[14:15]
	s_cbranch_execz .LBB1025_39
.LBB1025_124:
	v_lshlrev_b32_e32 v1, 3, v60
	v_mov_b32_e32 v11, s47
	v_add_co_u32_e32 v10, vcc, s7, v1
	v_addc_co_u32_e32 v11, vcc, 0, v11, vcc
	flat_load_dword v10, v[10:11]
	s_or_b64 exec, exec, s[2:3]
                                        ; implicit-def: $vgpr11
	s_and_saveexec_b64 s[2:3], s[16:17]
	s_cbranch_execnz .LBB1025_40
.LBB1025_125:
	s_or_b64 exec, exec, s[2:3]
                                        ; implicit-def: $vgpr12
	s_and_saveexec_b64 s[2:3], s[18:19]
	s_cbranch_execz .LBB1025_41
.LBB1025_126:
	v_lshlrev_b32_e32 v1, 3, v62
	v_mov_b32_e32 v13, s47
	v_add_co_u32_e32 v12, vcc, s7, v1
	v_addc_co_u32_e32 v13, vcc, 0, v13, vcc
	flat_load_dword v12, v[12:13]
	s_or_b64 exec, exec, s[2:3]
                                        ; implicit-def: $vgpr13
	s_and_saveexec_b64 s[2:3], s[20:21]
	s_cbranch_execnz .LBB1025_42
.LBB1025_127:
	s_or_b64 exec, exec, s[2:3]
                                        ; implicit-def: $vgpr14
	s_and_saveexec_b64 s[2:3], s[22:23]
	s_cbranch_execz .LBB1025_43
.LBB1025_128:
	v_lshlrev_b32_e32 v1, 3, v64
	v_mov_b32_e32 v15, s47
	v_add_co_u32_e32 v14, vcc, s7, v1
	v_addc_co_u32_e32 v15, vcc, 0, v15, vcc
	flat_load_dword v14, v[14:15]
	s_or_b64 exec, exec, s[2:3]
                                        ; implicit-def: $vgpr15
	s_and_saveexec_b64 s[2:3], s[24:25]
	s_cbranch_execz .LBB1025_45
	s_branch .LBB1025_44
.LBB1025_129:
                                        ; implicit-def: $vgpr47
                                        ; implicit-def: $vgpr45
                                        ; implicit-def: $vgpr43
                                        ; implicit-def: $vgpr41
                                        ; implicit-def: $vgpr34_vgpr35_vgpr36_vgpr37
                                        ; implicit-def: $vgpr30_vgpr31_vgpr32_vgpr33
                                        ; implicit-def: $vgpr26_vgpr27_vgpr28_vgpr29
	s_cbranch_execz .LBB1025_143
; %bb.130:
	s_cmp_lg_u64 s[52:53], 0
	s_cselect_b32 s3, s51, 0
	s_cselect_b32 s2, s50, 0
	s_mov_b32 s24, 0
	s_cmp_eq_u64 s[2:3], 0
	v_mov_b32_e32 v32, s56
	s_cbranch_scc1 .LBB1025_132
; %bb.131:
	v_mov_b32_e32 v26, 0
	global_load_dword v32, v26, s[2:3]
.LBB1025_132:
	s_mov_b32 s25, 1
	v_cmp_gt_u64_e32 vcc, s[24:25], v[8:9]
	v_cndmask_b32_e32 v27, 0, v54, vcc
	v_add_u32_e32 v27, v27, v8
	v_cmp_gt_u64_e64 s[2:3], s[24:25], v[6:7]
	v_cndmask_b32_e64 v27, 0, v27, s[2:3]
	v_add_u32_e32 v27, v27, v6
	v_cmp_gt_u64_e64 s[4:5], s[24:25], v[4:5]
	v_cndmask_b32_e64 v27, 0, v27, s[4:5]
	;; [unrolled: 3-line block ×11, first 2 shown]
	v_mov_b32_e32 v26, 0
	v_add_u32_e32 v27, v27, v24
	v_cmp_gt_u64_e64 s[24:25], s[24:25], v[38:39]
	v_or3_b32 v7, v23, v15, v7
	v_cndmask_b32_e64 v27, 0, v27, s[24:25]
	v_or3_b32 v9, v25, v17, v9
	v_and_b32_e32 v35, 1, v7
	v_mov_b32_e32 v34, v26
	v_add_u32_e32 v33, v27, v38
	v_and_b32_e32 v27, 1, v39
	v_or3_b32 v3, v19, v11, v3
	v_and_b32_e32 v31, 1, v9
	v_mov_b32_e32 v30, v26
	v_cmp_ne_u64_e64 s[26:27], 0, v[34:35]
	v_cmp_eq_u32_e64 s[24:25], 1, v27
	v_or3_b32 v5, v21, v13, v5
	v_and_b32_e32 v27, 1, v3
	v_cndmask_b32_e64 v3, 0, 1, s[26:27]
	v_cmp_ne_u64_e64 s[26:27], 0, v[30:31]
	v_and_b32_e32 v29, 1, v5
	v_mov_b32_e32 v28, v26
	v_cndmask_b32_e64 v5, 0, 1, s[26:27]
	v_lshlrev_b16_e32 v3, 2, v3
	v_lshlrev_b16_e32 v5, 3, v5
	v_cmp_ne_u64_e64 s[26:27], 0, v[28:29]
	v_or_b32_e32 v3, v5, v3
	v_cndmask_b32_e64 v5, 0, 1, s[26:27]
	v_cmp_ne_u64_e64 s[26:27], 0, v[26:27]
	v_lshlrev_b16_e32 v5, 1, v5
	v_cndmask_b32_e64 v7, 0, 1, s[26:27]
	v_or_b32_e32 v5, v7, v5
	v_and_b32_e32 v5, 3, v5
	v_or_b32_e32 v3, v5, v3
	v_and_b32_e32 v3, 15, v3
	v_cmp_ne_u16_e64 s[26:27], 0, v3
	s_or_b64 s[24:25], s[24:25], s[26:27]
	v_cndmask_b32_e64 v5, v55, 1, s[24:25]
	v_and_b32_e32 v7, 0xff, v5
	v_mov_b32_dpp v11, v33 row_shr:1 row_mask:0xf bank_mask:0xf
	v_cmp_eq_u16_e64 s[24:25], 0, v7
	v_mov_b32_dpp v13, v7 row_shr:1 row_mask:0xf bank_mask:0xf
	v_and_b32_e32 v15, 1, v5
	v_mbcnt_hi_u32_b32 v3, -1, v50
	v_cndmask_b32_e64 v11, 0, v11, s[24:25]
	v_and_b32_e32 v13, 1, v13
	v_cmp_eq_u32_e64 s[24:25], 1, v15
	v_and_b32_e32 v9, 15, v3
	v_cndmask_b32_e64 v13, v13, 1, s[24:25]
	v_and_b32_e32 v15, 0xffff, v13
	v_cmp_eq_u32_e64 s[24:25], 0, v9
	v_cndmask_b32_e64 v5, v13, v5, s[24:25]
	v_cndmask_b32_e64 v7, v15, v7, s[24:25]
	v_and_b32_e32 v17, 1, v5
	v_cndmask_b32_e64 v11, v11, 0, s[24:25]
	v_mov_b32_dpp v15, v7 row_shr:2 row_mask:0xf bank_mask:0xf
	v_and_b32_e32 v15, 1, v15
	v_cmp_eq_u32_e64 s[24:25], 1, v17
	v_cndmask_b32_e64 v15, v15, 1, s[24:25]
	v_and_b32_e32 v17, 0xffff, v15
	v_cmp_lt_u32_e64 s[24:25], 1, v9
	v_add_u32_e32 v11, v11, v33
	v_cmp_eq_u16_sdwa s[26:27], v5, v26 src0_sel:BYTE_0 src1_sel:DWORD
	v_cndmask_b32_e64 v5, v5, v15, s[24:25]
	v_cndmask_b32_e64 v7, v7, v17, s[24:25]
	v_mov_b32_dpp v13, v11 row_shr:2 row_mask:0xf bank_mask:0xf
	s_and_b64 s[24:25], s[24:25], s[26:27]
	v_mov_b32_dpp v15, v7 row_shr:4 row_mask:0xf bank_mask:0xf
	v_and_b32_e32 v17, 1, v5
	v_cndmask_b32_e64 v13, 0, v13, s[24:25]
	v_and_b32_e32 v15, 1, v15
	v_cmp_eq_u32_e64 s[24:25], 1, v17
	v_cndmask_b32_e64 v15, v15, 1, s[24:25]
	v_and_b32_e32 v17, 0xffff, v15
	v_cmp_lt_u32_e64 s[24:25], 3, v9
	v_add_u32_e32 v11, v13, v11
	v_cmp_eq_u16_sdwa s[26:27], v5, v26 src0_sel:BYTE_0 src1_sel:DWORD
	v_cndmask_b32_e64 v5, v5, v15, s[24:25]
	v_cndmask_b32_e64 v7, v7, v17, s[24:25]
	v_mov_b32_dpp v13, v11 row_shr:4 row_mask:0xf bank_mask:0xf
	s_and_b64 s[24:25], s[24:25], s[26:27]
	v_mov_b32_dpp v15, v7 row_shr:8 row_mask:0xf bank_mask:0xf
	v_and_b32_e32 v17, 1, v5
	v_cndmask_b32_e64 v13, 0, v13, s[24:25]
	v_and_b32_e32 v15, 1, v15
	v_cmp_eq_u32_e64 s[24:25], 1, v17
	v_cndmask_b32_e64 v15, v15, 1, s[24:25]
	v_add_u32_e32 v11, v13, v11
	v_cmp_eq_u16_sdwa s[26:27], v5, v26 src0_sel:BYTE_0 src1_sel:DWORD
	v_and_b32_e32 v17, 0xffff, v15
	v_cmp_lt_u32_e64 s[24:25], 7, v9
	v_mov_b32_dpp v13, v11 row_shr:8 row_mask:0xf bank_mask:0xf
	v_cndmask_b32_e64 v5, v5, v15, s[24:25]
	v_cndmask_b32_e64 v7, v7, v17, s[24:25]
	s_and_b64 s[24:25], s[24:25], s[26:27]
	v_cndmask_b32_e64 v9, 0, v13, s[24:25]
	v_add_u32_e32 v9, v9, v11
	v_mov_b32_dpp v13, v7 row_bcast:15 row_mask:0xf bank_mask:0xf
	v_cmp_eq_u16_sdwa s[24:25], v5, v26 src0_sel:BYTE_0 src1_sel:DWORD
	v_mov_b32_dpp v11, v9 row_bcast:15 row_mask:0xf bank_mask:0xf
	v_and_b32_e32 v19, 1, v5
	v_cndmask_b32_e64 v11, 0, v11, s[24:25]
	v_and_b32_e32 v13, 1, v13
	v_cmp_eq_u32_e64 s[24:25], 1, v19
	v_and_b32_e32 v17, 16, v3
	v_cndmask_b32_e64 v13, v13, 1, s[24:25]
	v_and_b32_e32 v19, 0xffff, v13
	v_cmp_eq_u32_e64 s[24:25], 0, v17
	v_cndmask_b32_e64 v5, v13, v5, s[24:25]
	v_cndmask_b32_e64 v7, v19, v7, s[24:25]
	v_bfe_i32 v15, v3, 4, 1
	v_and_b32_e32 v13, 1, v5
	v_mov_b32_dpp v7, v7 row_bcast:31 row_mask:0xf bank_mask:0xf
	v_and_b32_e32 v11, v15, v11
	v_and_b32_e32 v7, 1, v7
	v_cmp_eq_u32_e64 s[24:25], 1, v13
	v_add_u32_e32 v9, v11, v9
	v_cmp_eq_u16_sdwa s[26:27], v5, v26 src0_sel:BYTE_0 src1_sel:DWORD
	v_cndmask_b32_e64 v7, v7, 1, s[24:25]
	v_cmp_lt_u32_e64 s[24:25], 31, v3
	v_mov_b32_dpp v11, v9 row_bcast:31 row_mask:0xf bank_mask:0xf
	v_cndmask_b32_e64 v5, v5, v7, s[24:25]
	s_and_b64 s[24:25], s[24:25], s[26:27]
	v_cndmask_b32_e64 v7, 0, v11, s[24:25]
	v_add_u32_e32 v7, v7, v9
	v_cmp_eq_u32_e64 s[24:25], v49, v0
	s_and_saveexec_b64 s[26:27], s[24:25]
	s_cbranch_execz .LBB1025_134
; %bb.133:
	v_lshlrev_b32_e32 v9, 3, v1
	ds_write_b32 v9, v7
	ds_write_b8 v9, v5 offset:4
.LBB1025_134:
	s_or_b64 exec, exec, s[26:27]
	v_cmp_gt_u32_e64 s[24:25], 4, v0
	s_waitcnt lgkmcnt(0)
	s_barrier
	s_and_saveexec_b64 s[26:27], s[24:25]
	s_cbranch_execz .LBB1025_138
; %bb.135:
	ds_read_b64 v[26:27], v48
	v_and_b32_e32 v9, 3, v3
	v_cmp_ne_u32_e64 s[24:25], 0, v9
	s_waitcnt lgkmcnt(0)
	v_mov_b32_dpp v11, v26 row_shr:1 row_mask:0xf bank_mask:0xf
	v_mov_b32_dpp v15, v27 row_shr:1 row_mask:0xf bank_mask:0xf
	v_mov_b32_e32 v13, v27
	s_and_saveexec_b64 s[28:29], s[24:25]
	s_cbranch_execz .LBB1025_137
; %bb.136:
	v_and_b32_e32 v13, 1, v27
	v_and_b32_e32 v15, 1, v15
	v_cmp_eq_u32_e64 s[24:25], 1, v13
	v_mov_b32_e32 v13, 0
	v_cndmask_b32_e64 v15, v15, 1, s[24:25]
	v_cmp_eq_u16_sdwa s[24:25], v27, v13 src0_sel:BYTE_0 src1_sel:DWORD
	v_cndmask_b32_e64 v11, 0, v11, s[24:25]
	v_add_u32_e32 v26, v11, v26
	v_and_b32_e32 v11, 0xffff, v15
	s_movk_i32 s24, 0xff00
	v_and_or_b32 v13, v27, s24, v11
	v_mov_b32_e32 v27, v15
.LBB1025_137:
	s_or_b64 exec, exec, s[28:29]
	v_mov_b32_dpp v13, v13 row_shr:2 row_mask:0xf bank_mask:0xf
	v_and_b32_e32 v15, 1, v27
	v_and_b32_e32 v13, 1, v13
	v_cmp_eq_u32_e64 s[24:25], 1, v15
	v_mov_b32_e32 v15, 0
	v_cndmask_b32_e64 v13, v13, 1, s[24:25]
	v_cmp_eq_u16_sdwa s[28:29], v27, v15 src0_sel:BYTE_0 src1_sel:DWORD
	v_cmp_lt_u32_e64 s[24:25], 1, v9
	v_mov_b32_dpp v11, v26 row_shr:2 row_mask:0xf bank_mask:0xf
	v_cndmask_b32_e64 v9, v27, v13, s[24:25]
	s_and_b64 s[24:25], s[24:25], s[28:29]
	v_cndmask_b32_e64 v11, 0, v11, s[24:25]
	v_add_u32_e32 v11, v11, v26
	ds_write_b32 v48, v11
	ds_write_b8 v48, v9 offset:4
.LBB1025_138:
	s_or_b64 exec, exec, s[26:27]
	v_cmp_lt_u32_e64 s[24:25], 63, v0
	s_waitcnt vmcnt(0)
	v_mov_b32_e32 v9, v32
	s_waitcnt lgkmcnt(0)
	s_barrier
	s_and_saveexec_b64 s[26:27], s[24:25]
	s_cbranch_execz .LBB1025_140
; %bb.139:
	v_lshl_add_u32 v1, v1, 3, -8
	ds_read_u8 v9, v1 offset:4
	ds_read_b32 v1, v1
	s_waitcnt lgkmcnt(1)
	v_cmp_eq_u16_e64 s[24:25], 0, v9
	v_cndmask_b32_e64 v9, 0, v32, s[24:25]
	s_waitcnt lgkmcnt(0)
	v_add_u32_e32 v9, v9, v1
.LBB1025_140:
	s_or_b64 exec, exec, s[26:27]
	v_mov_b32_e32 v28, 0
	v_cmp_eq_u16_sdwa s[24:25], v5, v28 src0_sel:BYTE_0 src1_sel:DWORD
	v_cndmask_b32_e64 v1, 0, v9, s[24:25]
	v_add_u32_e32 v1, v1, v7
	v_add_u32_e32 v5, -1, v3
	v_and_b32_e32 v7, 64, v3
	v_cmp_lt_i32_e64 s[24:25], v5, v7
	v_cndmask_b32_e64 v5, v5, v3, s[24:25]
	v_lshlrev_b32_e32 v5, 2, v5
	ds_bpermute_b32 v1, v5, v1
	v_cmp_eq_u32_e64 s[24:25], 0, v3
	v_and_b32_e32 v29, 0xff, v55
	v_cmp_eq_u64_e64 s[26:27], 0, v[28:29]
	s_waitcnt lgkmcnt(0)
	v_cndmask_b32_e64 v26, v1, v9, s[24:25]
	v_cmp_eq_u32_e64 s[24:25], 0, v0
	v_cndmask_b32_e64 v1, v26, v32, s[24:25]
	v_cndmask_b32_e64 v1, 0, v1, s[26:27]
	v_add_u32_e32 v27, v1, v54
	v_cndmask_b32_e32 v1, 0, v27, vcc
	v_add_u32_e32 v40, v1, v8
	v_cndmask_b32_e64 v1, 0, v40, s[2:3]
	v_add_u32_e32 v41, v1, v6
	v_cndmask_b32_e64 v1, 0, v41, s[4:5]
	;; [unrolled: 2-line block ×11, first 2 shown]
	s_and_saveexec_b64 s[2:3], s[24:25]
	s_cbranch_execz .LBB1025_142
; %bb.141:
	ds_read_u8 v3, v28 offset:28
	ds_read_b32 v2, v28 offset:24
	s_add_u32 s4, s44, 0x400
	s_addc_u32 s5, s45, 0
	v_mov_b32_e32 v5, v28
	s_waitcnt lgkmcnt(1)
	v_cmp_eq_u16_e32 vcc, 0, v3
	v_cndmask_b32_e32 v4, 0, v32, vcc
	s_waitcnt lgkmcnt(0)
	v_add_u32_e32 v2, v4, v2
	v_and_b32_e32 v3, 0xffff, v3
	v_mov_b32_e32 v4, 2
	v_pk_mov_b32 v[6:7], s[4:5], s[4:5] op_sel:[0,1]
	;;#ASMSTART
	global_store_dwordx4 v[6:7], v[2:5] off	
s_waitcnt vmcnt(0)
	;;#ASMEND
	v_mov_b32_e32 v26, v32
.LBB1025_142:
	s_or_b64 exec, exec, s[2:3]
	v_add_u32_e32 v47, v1, v24
.LBB1025_143:
	s_add_u32 s2, s42, s34
	s_addc_u32 s3, s43, s35
	s_add_u32 s4, s2, s36
	v_mul_u32_u24_e32 v1, 14, v0
	s_addc_u32 s5, s3, s37
	s_and_b64 vcc, exec, s[0:1]
	v_lshlrev_b32_e32 v2, 2, v1
	s_cbranch_vccz .LBB1025_171
; %bb.144:
	s_movk_i32 s0, 0xffcc
	v_mad_i32_i24 v3, v0, s0, v2
	s_barrier
	ds_write2_b64 v2, v[26:27], v[40:41] offset1:1
	ds_write2_b64 v2, v[30:31], v[42:43] offset0:2 offset1:3
	ds_write2_b64 v2, v[34:35], v[44:45] offset0:4 offset1:5
	ds_write_b64 v2, v[46:47] offset:48
	s_waitcnt lgkmcnt(0)
	s_barrier
	ds_read2st64_b32 v[16:17], v3 offset0:4 offset1:8
	ds_read2st64_b32 v[14:15], v3 offset0:12 offset1:16
	;; [unrolled: 1-line block ×6, first 2 shown]
	ds_read_b32 v3, v3 offset:13312
	v_mov_b32_e32 v7, s5
	v_add_co_u32_e32 v6, vcc, s4, v48
	s_add_i32 s33, s33, s46
	v_addc_co_u32_e32 v7, vcc, 0, v7, vcc
	v_mov_b32_e32 v1, 0
	v_cmp_gt_u32_e32 vcc, s33, v0
	s_and_saveexec_b64 s[0:1], vcc
	s_cbranch_execz .LBB1025_146
; %bb.145:
	v_mul_i32_i24_e32 v18, 0xffffffcc, v0
	v_add_u32_e32 v18, v2, v18
	ds_read_b32 v18, v18
	s_waitcnt lgkmcnt(0)
	v_ashrrev_i32_e32 v19, 31, v18
	flat_store_dwordx2 v[6:7], v[18:19]
.LBB1025_146:
	s_or_b64 exec, exec, s[0:1]
	v_or_b32_e32 v18, 0x100, v0
	v_cmp_gt_u32_e32 vcc, s33, v18
	s_and_saveexec_b64 s[0:1], vcc
	s_cbranch_execz .LBB1025_148
; %bb.147:
	s_waitcnt lgkmcnt(0)
	v_ashrrev_i32_e32 v19, 31, v16
	v_mov_b32_e32 v18, v16
	flat_store_dwordx2 v[6:7], v[18:19] offset:2048
.LBB1025_148:
	s_or_b64 exec, exec, s[0:1]
	s_waitcnt lgkmcnt(0)
	v_or_b32_e32 v16, 0x200, v0
	v_cmp_gt_u32_e32 vcc, s33, v16
	s_and_saveexec_b64 s[0:1], vcc
	s_cbranch_execz .LBB1025_150
; %bb.149:
	v_add_co_u32_e32 v16, vcc, 0x1000, v6
	v_ashrrev_i32_e32 v19, 31, v17
	v_mov_b32_e32 v18, v17
	v_addc_co_u32_e32 v17, vcc, 0, v7, vcc
	flat_store_dwordx2 v[16:17], v[18:19]
.LBB1025_150:
	s_or_b64 exec, exec, s[0:1]
	v_or_b32_e32 v16, 0x300, v0
	v_cmp_gt_u32_e32 vcc, s33, v16
	s_and_saveexec_b64 s[0:1], vcc
	s_cbranch_execz .LBB1025_152
; %bb.151:
	v_add_co_u32_e32 v18, vcc, 0x1000, v6
	v_ashrrev_i32_e32 v17, 31, v14
	v_mov_b32_e32 v16, v14
	v_addc_co_u32_e32 v19, vcc, 0, v7, vcc
	flat_store_dwordx2 v[18:19], v[16:17] offset:2048
.LBB1025_152:
	s_or_b64 exec, exec, s[0:1]
	v_or_b32_e32 v14, 0x400, v0
	v_cmp_gt_u32_e32 vcc, s33, v14
	s_and_saveexec_b64 s[0:1], vcc
	s_cbranch_execz .LBB1025_154
; %bb.153:
	v_add_co_u32_e32 v14, vcc, 0x2000, v6
	v_ashrrev_i32_e32 v17, 31, v15
	v_mov_b32_e32 v16, v15
	v_addc_co_u32_e32 v15, vcc, 0, v7, vcc
	flat_store_dwordx2 v[14:15], v[16:17]
.LBB1025_154:
	s_or_b64 exec, exec, s[0:1]
	v_or_b32_e32 v14, 0x500, v0
	v_cmp_gt_u32_e32 vcc, s33, v14
	s_and_saveexec_b64 s[0:1], vcc
	s_cbranch_execz .LBB1025_156
; %bb.155:
	v_add_co_u32_e32 v16, vcc, 0x2000, v6
	v_ashrrev_i32_e32 v15, 31, v12
	v_mov_b32_e32 v14, v12
	v_addc_co_u32_e32 v17, vcc, 0, v7, vcc
	flat_store_dwordx2 v[16:17], v[14:15] offset:2048
.LBB1025_156:
	s_or_b64 exec, exec, s[0:1]
	;; [unrolled: 24-line block ×5, first 2 shown]
	v_or_b32_e32 v4, 0xc00, v0
	v_cmp_gt_u32_e32 vcc, s33, v4
	s_and_saveexec_b64 s[0:1], vcc
	s_cbranch_execz .LBB1025_170
; %bb.169:
	v_add_co_u32_e32 v4, vcc, 0x6000, v6
	v_ashrrev_i32_e32 v9, 31, v5
	v_mov_b32_e32 v8, v5
	v_addc_co_u32_e32 v5, vcc, 0, v7, vcc
	flat_store_dwordx2 v[4:5], v[8:9]
.LBB1025_170:
	s_or_b64 exec, exec, s[0:1]
	v_or_b32_e32 v4, 0xd00, v0
	v_cmp_gt_u32_e64 s[0:1], s33, v4
	s_branch .LBB1025_173
.LBB1025_171:
	s_mov_b64 s[0:1], 0
                                        ; implicit-def: $vgpr3
	s_cbranch_execz .LBB1025_173
; %bb.172:
	s_movk_i32 s2, 0xffcc
	s_waitcnt lgkmcnt(0)
	s_barrier
	ds_write2_b64 v2, v[26:27], v[40:41] offset1:1
	ds_write2_b64 v2, v[30:31], v[42:43] offset0:2 offset1:3
	ds_write2_b64 v2, v[34:35], v[44:45] offset0:4 offset1:5
	ds_write_b64 v2, v[46:47] offset:48
	v_mad_i32_i24 v26, v0, s2, v2
	s_waitcnt lgkmcnt(0)
	s_barrier
	ds_read2st64_b32 v[2:3], v26 offset1:4
	ds_read2st64_b32 v[6:7], v26 offset0:8 offset1:12
	ds_read2st64_b32 v[14:15], v26 offset0:24 offset1:28
	;; [unrolled: 1-line block ×3, first 2 shown]
	v_add_co_u32_e32 v30, vcc, s4, v48
	s_waitcnt lgkmcnt(0)
	v_ashrrev_i32_e32 v5, 31, v2
	v_mov_b32_e32 v4, v2
	v_ashrrev_i32_e32 v9, 31, v3
	v_mov_b32_e32 v8, v3
	ds_read2st64_b32 v[2:3], v26 offset0:16 offset1:20
	v_ashrrev_i32_e32 v11, 31, v6
	v_mov_b32_e32 v10, v6
	v_ashrrev_i32_e32 v13, 31, v7
	v_mov_b32_e32 v12, v7
	s_waitcnt lgkmcnt(0)
	v_ashrrev_i32_e32 v7, 31, v2
	v_mov_b32_e32 v6, v2
	v_ashrrev_i32_e32 v17, 31, v3
	v_mov_b32_e32 v16, v3
	ds_read2st64_b32 v[2:3], v26 offset0:32 offset1:36
	v_ashrrev_i32_e32 v19, 31, v14
	v_mov_b32_e32 v18, v14
	v_ashrrev_i32_e32 v21, 31, v15
	v_mov_b32_e32 v20, v15
	;; [unrolled: 10-line block ×3, first 2 shown]
	s_waitcnt lgkmcnt(0)
	v_ashrrev_i32_e32 v23, 31, v2
	v_mov_b32_e32 v22, v2
	v_mov_b32_e32 v2, s5
	v_addc_co_u32_e32 v31, vcc, 0, v2, vcc
	s_movk_i32 s2, 0x1000
	flat_store_dwordx2 v[30:31], v[4:5]
	flat_store_dwordx2 v[30:31], v[8:9] offset:2048
	v_add_co_u32_e32 v4, vcc, s2, v30
	v_addc_co_u32_e32 v5, vcc, 0, v31, vcc
	s_movk_i32 s2, 0x2000
	flat_store_dwordx2 v[4:5], v[10:11]
	flat_store_dwordx2 v[4:5], v[12:13] offset:2048
	v_add_co_u32_e32 v4, vcc, s2, v30
	;; [unrolled: 5-line block ×4, first 2 shown]
	v_addc_co_u32_e32 v5, vcc, 0, v31, vcc
	flat_store_dwordx2 v[4:5], v[14:15]
	flat_store_dwordx2 v[4:5], v[24:25] offset:2048
	v_add_co_u32_e32 v4, vcc, 0x5000, v30
	v_addc_co_u32_e32 v5, vcc, 0, v31, vcc
	flat_store_dwordx2 v[4:5], v[26:27]
	flat_store_dwordx2 v[4:5], v[28:29] offset:2048
	v_add_co_u32_e32 v4, vcc, 0x6000, v30
	v_mov_b32_e32 v1, 0
	v_addc_co_u32_e32 v5, vcc, 0, v31, vcc
	s_or_b64 s[0:1], s[0:1], exec
	flat_store_dwordx2 v[4:5], v[22:23]
.LBB1025_173:
	s_and_saveexec_b64 s[2:3], s[0:1]
	s_cbranch_execz .LBB1025_175
; %bb.174:
	v_lshlrev_b64 v[0:1], 3, v[0:1]
	v_mov_b32_e32 v2, s5
	v_add_co_u32_e32 v4, vcc, s4, v0
	v_addc_co_u32_e32 v5, vcc, v2, v1, vcc
	v_add_co_u32_e32 v2, vcc, 0x6000, v4
	v_ashrrev_i32_e32 v1, 31, v3
	v_mov_b32_e32 v0, v3
	v_addc_co_u32_e32 v3, vcc, 0, v5, vcc
	flat_store_dwordx2 v[2:3], v[0:1] offset:2048
	s_endpgm
.LBB1025_175:
	s_endpgm
	.section	.rodata,"a",@progbits
	.p2align	6, 0x0
	.amdhsa_kernel _ZN7rocprim17ROCPRIM_400000_NS6detail17trampoline_kernelINS0_14default_configENS1_27scan_by_key_config_selectorIxiEEZZNS1_16scan_by_key_implILNS1_25lookback_scan_determinismE0ELb1ES3_N6thrust23THRUST_200600_302600_NS6detail15normal_iteratorINS9_10device_ptrIxEEEESE_SE_iNS9_4plusIvEENS9_8equal_toIvEEiEE10hipError_tPvRmT2_T3_T4_T5_mT6_T7_P12ihipStream_tbENKUlT_T0_E_clISt17integral_constantIbLb1EESY_IbLb0EEEEDaSU_SV_EUlSU_E_NS1_11comp_targetILNS1_3genE4ELNS1_11target_archE910ELNS1_3gpuE8ELNS1_3repE0EEENS1_30default_config_static_selectorELNS0_4arch9wavefront6targetE1EEEvT1_
		.amdhsa_group_segment_fixed_size 32768
		.amdhsa_private_segment_fixed_size 0
		.amdhsa_kernarg_size 112
		.amdhsa_user_sgpr_count 6
		.amdhsa_user_sgpr_private_segment_buffer 1
		.amdhsa_user_sgpr_dispatch_ptr 0
		.amdhsa_user_sgpr_queue_ptr 0
		.amdhsa_user_sgpr_kernarg_segment_ptr 1
		.amdhsa_user_sgpr_dispatch_id 0
		.amdhsa_user_sgpr_flat_scratch_init 0
		.amdhsa_user_sgpr_kernarg_preload_length 0
		.amdhsa_user_sgpr_kernarg_preload_offset 0
		.amdhsa_user_sgpr_private_segment_size 0
		.amdhsa_uses_dynamic_stack 0
		.amdhsa_system_sgpr_private_segment_wavefront_offset 0
		.amdhsa_system_sgpr_workgroup_id_x 1
		.amdhsa_system_sgpr_workgroup_id_y 0
		.amdhsa_system_sgpr_workgroup_id_z 0
		.amdhsa_system_sgpr_workgroup_info 0
		.amdhsa_system_vgpr_workitem_id 0
		.amdhsa_next_free_vgpr 68
		.amdhsa_next_free_sgpr 60
		.amdhsa_accum_offset 68
		.amdhsa_reserve_vcc 1
		.amdhsa_reserve_flat_scratch 0
		.amdhsa_float_round_mode_32 0
		.amdhsa_float_round_mode_16_64 0
		.amdhsa_float_denorm_mode_32 3
		.amdhsa_float_denorm_mode_16_64 3
		.amdhsa_dx10_clamp 1
		.amdhsa_ieee_mode 1
		.amdhsa_fp16_overflow 0
		.amdhsa_tg_split 0
		.amdhsa_exception_fp_ieee_invalid_op 0
		.amdhsa_exception_fp_denorm_src 0
		.amdhsa_exception_fp_ieee_div_zero 0
		.amdhsa_exception_fp_ieee_overflow 0
		.amdhsa_exception_fp_ieee_underflow 0
		.amdhsa_exception_fp_ieee_inexact 0
		.amdhsa_exception_int_div_zero 0
	.end_amdhsa_kernel
	.section	.text._ZN7rocprim17ROCPRIM_400000_NS6detail17trampoline_kernelINS0_14default_configENS1_27scan_by_key_config_selectorIxiEEZZNS1_16scan_by_key_implILNS1_25lookback_scan_determinismE0ELb1ES3_N6thrust23THRUST_200600_302600_NS6detail15normal_iteratorINS9_10device_ptrIxEEEESE_SE_iNS9_4plusIvEENS9_8equal_toIvEEiEE10hipError_tPvRmT2_T3_T4_T5_mT6_T7_P12ihipStream_tbENKUlT_T0_E_clISt17integral_constantIbLb1EESY_IbLb0EEEEDaSU_SV_EUlSU_E_NS1_11comp_targetILNS1_3genE4ELNS1_11target_archE910ELNS1_3gpuE8ELNS1_3repE0EEENS1_30default_config_static_selectorELNS0_4arch9wavefront6targetE1EEEvT1_,"axG",@progbits,_ZN7rocprim17ROCPRIM_400000_NS6detail17trampoline_kernelINS0_14default_configENS1_27scan_by_key_config_selectorIxiEEZZNS1_16scan_by_key_implILNS1_25lookback_scan_determinismE0ELb1ES3_N6thrust23THRUST_200600_302600_NS6detail15normal_iteratorINS9_10device_ptrIxEEEESE_SE_iNS9_4plusIvEENS9_8equal_toIvEEiEE10hipError_tPvRmT2_T3_T4_T5_mT6_T7_P12ihipStream_tbENKUlT_T0_E_clISt17integral_constantIbLb1EESY_IbLb0EEEEDaSU_SV_EUlSU_E_NS1_11comp_targetILNS1_3genE4ELNS1_11target_archE910ELNS1_3gpuE8ELNS1_3repE0EEENS1_30default_config_static_selectorELNS0_4arch9wavefront6targetE1EEEvT1_,comdat
.Lfunc_end1025:
	.size	_ZN7rocprim17ROCPRIM_400000_NS6detail17trampoline_kernelINS0_14default_configENS1_27scan_by_key_config_selectorIxiEEZZNS1_16scan_by_key_implILNS1_25lookback_scan_determinismE0ELb1ES3_N6thrust23THRUST_200600_302600_NS6detail15normal_iteratorINS9_10device_ptrIxEEEESE_SE_iNS9_4plusIvEENS9_8equal_toIvEEiEE10hipError_tPvRmT2_T3_T4_T5_mT6_T7_P12ihipStream_tbENKUlT_T0_E_clISt17integral_constantIbLb1EESY_IbLb0EEEEDaSU_SV_EUlSU_E_NS1_11comp_targetILNS1_3genE4ELNS1_11target_archE910ELNS1_3gpuE8ELNS1_3repE0EEENS1_30default_config_static_selectorELNS0_4arch9wavefront6targetE1EEEvT1_, .Lfunc_end1025-_ZN7rocprim17ROCPRIM_400000_NS6detail17trampoline_kernelINS0_14default_configENS1_27scan_by_key_config_selectorIxiEEZZNS1_16scan_by_key_implILNS1_25lookback_scan_determinismE0ELb1ES3_N6thrust23THRUST_200600_302600_NS6detail15normal_iteratorINS9_10device_ptrIxEEEESE_SE_iNS9_4plusIvEENS9_8equal_toIvEEiEE10hipError_tPvRmT2_T3_T4_T5_mT6_T7_P12ihipStream_tbENKUlT_T0_E_clISt17integral_constantIbLb1EESY_IbLb0EEEEDaSU_SV_EUlSU_E_NS1_11comp_targetILNS1_3genE4ELNS1_11target_archE910ELNS1_3gpuE8ELNS1_3repE0EEENS1_30default_config_static_selectorELNS0_4arch9wavefront6targetE1EEEvT1_
                                        ; -- End function
	.section	.AMDGPU.csdata,"",@progbits
; Kernel info:
; codeLenInByte = 11796
; NumSgprs: 64
; NumVgprs: 68
; NumAgprs: 0
; TotalNumVgprs: 68
; ScratchSize: 0
; MemoryBound: 0
; FloatMode: 240
; IeeeMode: 1
; LDSByteSize: 32768 bytes/workgroup (compile time only)
; SGPRBlocks: 7
; VGPRBlocks: 8
; NumSGPRsForWavesPerEU: 64
; NumVGPRsForWavesPerEU: 68
; AccumOffset: 68
; Occupancy: 2
; WaveLimiterHint : 1
; COMPUTE_PGM_RSRC2:SCRATCH_EN: 0
; COMPUTE_PGM_RSRC2:USER_SGPR: 6
; COMPUTE_PGM_RSRC2:TRAP_HANDLER: 0
; COMPUTE_PGM_RSRC2:TGID_X_EN: 1
; COMPUTE_PGM_RSRC2:TGID_Y_EN: 0
; COMPUTE_PGM_RSRC2:TGID_Z_EN: 0
; COMPUTE_PGM_RSRC2:TIDIG_COMP_CNT: 0
; COMPUTE_PGM_RSRC3_GFX90A:ACCUM_OFFSET: 16
; COMPUTE_PGM_RSRC3_GFX90A:TG_SPLIT: 0
	.section	.text._ZN7rocprim17ROCPRIM_400000_NS6detail17trampoline_kernelINS0_14default_configENS1_27scan_by_key_config_selectorIxiEEZZNS1_16scan_by_key_implILNS1_25lookback_scan_determinismE0ELb1ES3_N6thrust23THRUST_200600_302600_NS6detail15normal_iteratorINS9_10device_ptrIxEEEESE_SE_iNS9_4plusIvEENS9_8equal_toIvEEiEE10hipError_tPvRmT2_T3_T4_T5_mT6_T7_P12ihipStream_tbENKUlT_T0_E_clISt17integral_constantIbLb1EESY_IbLb0EEEEDaSU_SV_EUlSU_E_NS1_11comp_targetILNS1_3genE3ELNS1_11target_archE908ELNS1_3gpuE7ELNS1_3repE0EEENS1_30default_config_static_selectorELNS0_4arch9wavefront6targetE1EEEvT1_,"axG",@progbits,_ZN7rocprim17ROCPRIM_400000_NS6detail17trampoline_kernelINS0_14default_configENS1_27scan_by_key_config_selectorIxiEEZZNS1_16scan_by_key_implILNS1_25lookback_scan_determinismE0ELb1ES3_N6thrust23THRUST_200600_302600_NS6detail15normal_iteratorINS9_10device_ptrIxEEEESE_SE_iNS9_4plusIvEENS9_8equal_toIvEEiEE10hipError_tPvRmT2_T3_T4_T5_mT6_T7_P12ihipStream_tbENKUlT_T0_E_clISt17integral_constantIbLb1EESY_IbLb0EEEEDaSU_SV_EUlSU_E_NS1_11comp_targetILNS1_3genE3ELNS1_11target_archE908ELNS1_3gpuE7ELNS1_3repE0EEENS1_30default_config_static_selectorELNS0_4arch9wavefront6targetE1EEEvT1_,comdat
	.protected	_ZN7rocprim17ROCPRIM_400000_NS6detail17trampoline_kernelINS0_14default_configENS1_27scan_by_key_config_selectorIxiEEZZNS1_16scan_by_key_implILNS1_25lookback_scan_determinismE0ELb1ES3_N6thrust23THRUST_200600_302600_NS6detail15normal_iteratorINS9_10device_ptrIxEEEESE_SE_iNS9_4plusIvEENS9_8equal_toIvEEiEE10hipError_tPvRmT2_T3_T4_T5_mT6_T7_P12ihipStream_tbENKUlT_T0_E_clISt17integral_constantIbLb1EESY_IbLb0EEEEDaSU_SV_EUlSU_E_NS1_11comp_targetILNS1_3genE3ELNS1_11target_archE908ELNS1_3gpuE7ELNS1_3repE0EEENS1_30default_config_static_selectorELNS0_4arch9wavefront6targetE1EEEvT1_ ; -- Begin function _ZN7rocprim17ROCPRIM_400000_NS6detail17trampoline_kernelINS0_14default_configENS1_27scan_by_key_config_selectorIxiEEZZNS1_16scan_by_key_implILNS1_25lookback_scan_determinismE0ELb1ES3_N6thrust23THRUST_200600_302600_NS6detail15normal_iteratorINS9_10device_ptrIxEEEESE_SE_iNS9_4plusIvEENS9_8equal_toIvEEiEE10hipError_tPvRmT2_T3_T4_T5_mT6_T7_P12ihipStream_tbENKUlT_T0_E_clISt17integral_constantIbLb1EESY_IbLb0EEEEDaSU_SV_EUlSU_E_NS1_11comp_targetILNS1_3genE3ELNS1_11target_archE908ELNS1_3gpuE7ELNS1_3repE0EEENS1_30default_config_static_selectorELNS0_4arch9wavefront6targetE1EEEvT1_
	.globl	_ZN7rocprim17ROCPRIM_400000_NS6detail17trampoline_kernelINS0_14default_configENS1_27scan_by_key_config_selectorIxiEEZZNS1_16scan_by_key_implILNS1_25lookback_scan_determinismE0ELb1ES3_N6thrust23THRUST_200600_302600_NS6detail15normal_iteratorINS9_10device_ptrIxEEEESE_SE_iNS9_4plusIvEENS9_8equal_toIvEEiEE10hipError_tPvRmT2_T3_T4_T5_mT6_T7_P12ihipStream_tbENKUlT_T0_E_clISt17integral_constantIbLb1EESY_IbLb0EEEEDaSU_SV_EUlSU_E_NS1_11comp_targetILNS1_3genE3ELNS1_11target_archE908ELNS1_3gpuE7ELNS1_3repE0EEENS1_30default_config_static_selectorELNS0_4arch9wavefront6targetE1EEEvT1_
	.p2align	8
	.type	_ZN7rocprim17ROCPRIM_400000_NS6detail17trampoline_kernelINS0_14default_configENS1_27scan_by_key_config_selectorIxiEEZZNS1_16scan_by_key_implILNS1_25lookback_scan_determinismE0ELb1ES3_N6thrust23THRUST_200600_302600_NS6detail15normal_iteratorINS9_10device_ptrIxEEEESE_SE_iNS9_4plusIvEENS9_8equal_toIvEEiEE10hipError_tPvRmT2_T3_T4_T5_mT6_T7_P12ihipStream_tbENKUlT_T0_E_clISt17integral_constantIbLb1EESY_IbLb0EEEEDaSU_SV_EUlSU_E_NS1_11comp_targetILNS1_3genE3ELNS1_11target_archE908ELNS1_3gpuE7ELNS1_3repE0EEENS1_30default_config_static_selectorELNS0_4arch9wavefront6targetE1EEEvT1_,@function
_ZN7rocprim17ROCPRIM_400000_NS6detail17trampoline_kernelINS0_14default_configENS1_27scan_by_key_config_selectorIxiEEZZNS1_16scan_by_key_implILNS1_25lookback_scan_determinismE0ELb1ES3_N6thrust23THRUST_200600_302600_NS6detail15normal_iteratorINS9_10device_ptrIxEEEESE_SE_iNS9_4plusIvEENS9_8equal_toIvEEiEE10hipError_tPvRmT2_T3_T4_T5_mT6_T7_P12ihipStream_tbENKUlT_T0_E_clISt17integral_constantIbLb1EESY_IbLb0EEEEDaSU_SV_EUlSU_E_NS1_11comp_targetILNS1_3genE3ELNS1_11target_archE908ELNS1_3gpuE7ELNS1_3repE0EEENS1_30default_config_static_selectorELNS0_4arch9wavefront6targetE1EEEvT1_: ; @_ZN7rocprim17ROCPRIM_400000_NS6detail17trampoline_kernelINS0_14default_configENS1_27scan_by_key_config_selectorIxiEEZZNS1_16scan_by_key_implILNS1_25lookback_scan_determinismE0ELb1ES3_N6thrust23THRUST_200600_302600_NS6detail15normal_iteratorINS9_10device_ptrIxEEEESE_SE_iNS9_4plusIvEENS9_8equal_toIvEEiEE10hipError_tPvRmT2_T3_T4_T5_mT6_T7_P12ihipStream_tbENKUlT_T0_E_clISt17integral_constantIbLb1EESY_IbLb0EEEEDaSU_SV_EUlSU_E_NS1_11comp_targetILNS1_3genE3ELNS1_11target_archE908ELNS1_3gpuE7ELNS1_3repE0EEENS1_30default_config_static_selectorELNS0_4arch9wavefront6targetE1EEEvT1_
; %bb.0:
	.section	.rodata,"a",@progbits
	.p2align	6, 0x0
	.amdhsa_kernel _ZN7rocprim17ROCPRIM_400000_NS6detail17trampoline_kernelINS0_14default_configENS1_27scan_by_key_config_selectorIxiEEZZNS1_16scan_by_key_implILNS1_25lookback_scan_determinismE0ELb1ES3_N6thrust23THRUST_200600_302600_NS6detail15normal_iteratorINS9_10device_ptrIxEEEESE_SE_iNS9_4plusIvEENS9_8equal_toIvEEiEE10hipError_tPvRmT2_T3_T4_T5_mT6_T7_P12ihipStream_tbENKUlT_T0_E_clISt17integral_constantIbLb1EESY_IbLb0EEEEDaSU_SV_EUlSU_E_NS1_11comp_targetILNS1_3genE3ELNS1_11target_archE908ELNS1_3gpuE7ELNS1_3repE0EEENS1_30default_config_static_selectorELNS0_4arch9wavefront6targetE1EEEvT1_
		.amdhsa_group_segment_fixed_size 0
		.amdhsa_private_segment_fixed_size 0
		.amdhsa_kernarg_size 112
		.amdhsa_user_sgpr_count 6
		.amdhsa_user_sgpr_private_segment_buffer 1
		.amdhsa_user_sgpr_dispatch_ptr 0
		.amdhsa_user_sgpr_queue_ptr 0
		.amdhsa_user_sgpr_kernarg_segment_ptr 1
		.amdhsa_user_sgpr_dispatch_id 0
		.amdhsa_user_sgpr_flat_scratch_init 0
		.amdhsa_user_sgpr_kernarg_preload_length 0
		.amdhsa_user_sgpr_kernarg_preload_offset 0
		.amdhsa_user_sgpr_private_segment_size 0
		.amdhsa_uses_dynamic_stack 0
		.amdhsa_system_sgpr_private_segment_wavefront_offset 0
		.amdhsa_system_sgpr_workgroup_id_x 1
		.amdhsa_system_sgpr_workgroup_id_y 0
		.amdhsa_system_sgpr_workgroup_id_z 0
		.amdhsa_system_sgpr_workgroup_info 0
		.amdhsa_system_vgpr_workitem_id 0
		.amdhsa_next_free_vgpr 1
		.amdhsa_next_free_sgpr 0
		.amdhsa_accum_offset 4
		.amdhsa_reserve_vcc 0
		.amdhsa_reserve_flat_scratch 0
		.amdhsa_float_round_mode_32 0
		.amdhsa_float_round_mode_16_64 0
		.amdhsa_float_denorm_mode_32 3
		.amdhsa_float_denorm_mode_16_64 3
		.amdhsa_dx10_clamp 1
		.amdhsa_ieee_mode 1
		.amdhsa_fp16_overflow 0
		.amdhsa_tg_split 0
		.amdhsa_exception_fp_ieee_invalid_op 0
		.amdhsa_exception_fp_denorm_src 0
		.amdhsa_exception_fp_ieee_div_zero 0
		.amdhsa_exception_fp_ieee_overflow 0
		.amdhsa_exception_fp_ieee_underflow 0
		.amdhsa_exception_fp_ieee_inexact 0
		.amdhsa_exception_int_div_zero 0
	.end_amdhsa_kernel
	.section	.text._ZN7rocprim17ROCPRIM_400000_NS6detail17trampoline_kernelINS0_14default_configENS1_27scan_by_key_config_selectorIxiEEZZNS1_16scan_by_key_implILNS1_25lookback_scan_determinismE0ELb1ES3_N6thrust23THRUST_200600_302600_NS6detail15normal_iteratorINS9_10device_ptrIxEEEESE_SE_iNS9_4plusIvEENS9_8equal_toIvEEiEE10hipError_tPvRmT2_T3_T4_T5_mT6_T7_P12ihipStream_tbENKUlT_T0_E_clISt17integral_constantIbLb1EESY_IbLb0EEEEDaSU_SV_EUlSU_E_NS1_11comp_targetILNS1_3genE3ELNS1_11target_archE908ELNS1_3gpuE7ELNS1_3repE0EEENS1_30default_config_static_selectorELNS0_4arch9wavefront6targetE1EEEvT1_,"axG",@progbits,_ZN7rocprim17ROCPRIM_400000_NS6detail17trampoline_kernelINS0_14default_configENS1_27scan_by_key_config_selectorIxiEEZZNS1_16scan_by_key_implILNS1_25lookback_scan_determinismE0ELb1ES3_N6thrust23THRUST_200600_302600_NS6detail15normal_iteratorINS9_10device_ptrIxEEEESE_SE_iNS9_4plusIvEENS9_8equal_toIvEEiEE10hipError_tPvRmT2_T3_T4_T5_mT6_T7_P12ihipStream_tbENKUlT_T0_E_clISt17integral_constantIbLb1EESY_IbLb0EEEEDaSU_SV_EUlSU_E_NS1_11comp_targetILNS1_3genE3ELNS1_11target_archE908ELNS1_3gpuE7ELNS1_3repE0EEENS1_30default_config_static_selectorELNS0_4arch9wavefront6targetE1EEEvT1_,comdat
.Lfunc_end1026:
	.size	_ZN7rocprim17ROCPRIM_400000_NS6detail17trampoline_kernelINS0_14default_configENS1_27scan_by_key_config_selectorIxiEEZZNS1_16scan_by_key_implILNS1_25lookback_scan_determinismE0ELb1ES3_N6thrust23THRUST_200600_302600_NS6detail15normal_iteratorINS9_10device_ptrIxEEEESE_SE_iNS9_4plusIvEENS9_8equal_toIvEEiEE10hipError_tPvRmT2_T3_T4_T5_mT6_T7_P12ihipStream_tbENKUlT_T0_E_clISt17integral_constantIbLb1EESY_IbLb0EEEEDaSU_SV_EUlSU_E_NS1_11comp_targetILNS1_3genE3ELNS1_11target_archE908ELNS1_3gpuE7ELNS1_3repE0EEENS1_30default_config_static_selectorELNS0_4arch9wavefront6targetE1EEEvT1_, .Lfunc_end1026-_ZN7rocprim17ROCPRIM_400000_NS6detail17trampoline_kernelINS0_14default_configENS1_27scan_by_key_config_selectorIxiEEZZNS1_16scan_by_key_implILNS1_25lookback_scan_determinismE0ELb1ES3_N6thrust23THRUST_200600_302600_NS6detail15normal_iteratorINS9_10device_ptrIxEEEESE_SE_iNS9_4plusIvEENS9_8equal_toIvEEiEE10hipError_tPvRmT2_T3_T4_T5_mT6_T7_P12ihipStream_tbENKUlT_T0_E_clISt17integral_constantIbLb1EESY_IbLb0EEEEDaSU_SV_EUlSU_E_NS1_11comp_targetILNS1_3genE3ELNS1_11target_archE908ELNS1_3gpuE7ELNS1_3repE0EEENS1_30default_config_static_selectorELNS0_4arch9wavefront6targetE1EEEvT1_
                                        ; -- End function
	.section	.AMDGPU.csdata,"",@progbits
; Kernel info:
; codeLenInByte = 0
; NumSgprs: 4
; NumVgprs: 0
; NumAgprs: 0
; TotalNumVgprs: 0
; ScratchSize: 0
; MemoryBound: 0
; FloatMode: 240
; IeeeMode: 1
; LDSByteSize: 0 bytes/workgroup (compile time only)
; SGPRBlocks: 0
; VGPRBlocks: 0
; NumSGPRsForWavesPerEU: 4
; NumVGPRsForWavesPerEU: 1
; AccumOffset: 4
; Occupancy: 8
; WaveLimiterHint : 0
; COMPUTE_PGM_RSRC2:SCRATCH_EN: 0
; COMPUTE_PGM_RSRC2:USER_SGPR: 6
; COMPUTE_PGM_RSRC2:TRAP_HANDLER: 0
; COMPUTE_PGM_RSRC2:TGID_X_EN: 1
; COMPUTE_PGM_RSRC2:TGID_Y_EN: 0
; COMPUTE_PGM_RSRC2:TGID_Z_EN: 0
; COMPUTE_PGM_RSRC2:TIDIG_COMP_CNT: 0
; COMPUTE_PGM_RSRC3_GFX90A:ACCUM_OFFSET: 0
; COMPUTE_PGM_RSRC3_GFX90A:TG_SPLIT: 0
	.section	.text._ZN7rocprim17ROCPRIM_400000_NS6detail17trampoline_kernelINS0_14default_configENS1_27scan_by_key_config_selectorIxiEEZZNS1_16scan_by_key_implILNS1_25lookback_scan_determinismE0ELb1ES3_N6thrust23THRUST_200600_302600_NS6detail15normal_iteratorINS9_10device_ptrIxEEEESE_SE_iNS9_4plusIvEENS9_8equal_toIvEEiEE10hipError_tPvRmT2_T3_T4_T5_mT6_T7_P12ihipStream_tbENKUlT_T0_E_clISt17integral_constantIbLb1EESY_IbLb0EEEEDaSU_SV_EUlSU_E_NS1_11comp_targetILNS1_3genE2ELNS1_11target_archE906ELNS1_3gpuE6ELNS1_3repE0EEENS1_30default_config_static_selectorELNS0_4arch9wavefront6targetE1EEEvT1_,"axG",@progbits,_ZN7rocprim17ROCPRIM_400000_NS6detail17trampoline_kernelINS0_14default_configENS1_27scan_by_key_config_selectorIxiEEZZNS1_16scan_by_key_implILNS1_25lookback_scan_determinismE0ELb1ES3_N6thrust23THRUST_200600_302600_NS6detail15normal_iteratorINS9_10device_ptrIxEEEESE_SE_iNS9_4plusIvEENS9_8equal_toIvEEiEE10hipError_tPvRmT2_T3_T4_T5_mT6_T7_P12ihipStream_tbENKUlT_T0_E_clISt17integral_constantIbLb1EESY_IbLb0EEEEDaSU_SV_EUlSU_E_NS1_11comp_targetILNS1_3genE2ELNS1_11target_archE906ELNS1_3gpuE6ELNS1_3repE0EEENS1_30default_config_static_selectorELNS0_4arch9wavefront6targetE1EEEvT1_,comdat
	.protected	_ZN7rocprim17ROCPRIM_400000_NS6detail17trampoline_kernelINS0_14default_configENS1_27scan_by_key_config_selectorIxiEEZZNS1_16scan_by_key_implILNS1_25lookback_scan_determinismE0ELb1ES3_N6thrust23THRUST_200600_302600_NS6detail15normal_iteratorINS9_10device_ptrIxEEEESE_SE_iNS9_4plusIvEENS9_8equal_toIvEEiEE10hipError_tPvRmT2_T3_T4_T5_mT6_T7_P12ihipStream_tbENKUlT_T0_E_clISt17integral_constantIbLb1EESY_IbLb0EEEEDaSU_SV_EUlSU_E_NS1_11comp_targetILNS1_3genE2ELNS1_11target_archE906ELNS1_3gpuE6ELNS1_3repE0EEENS1_30default_config_static_selectorELNS0_4arch9wavefront6targetE1EEEvT1_ ; -- Begin function _ZN7rocprim17ROCPRIM_400000_NS6detail17trampoline_kernelINS0_14default_configENS1_27scan_by_key_config_selectorIxiEEZZNS1_16scan_by_key_implILNS1_25lookback_scan_determinismE0ELb1ES3_N6thrust23THRUST_200600_302600_NS6detail15normal_iteratorINS9_10device_ptrIxEEEESE_SE_iNS9_4plusIvEENS9_8equal_toIvEEiEE10hipError_tPvRmT2_T3_T4_T5_mT6_T7_P12ihipStream_tbENKUlT_T0_E_clISt17integral_constantIbLb1EESY_IbLb0EEEEDaSU_SV_EUlSU_E_NS1_11comp_targetILNS1_3genE2ELNS1_11target_archE906ELNS1_3gpuE6ELNS1_3repE0EEENS1_30default_config_static_selectorELNS0_4arch9wavefront6targetE1EEEvT1_
	.globl	_ZN7rocprim17ROCPRIM_400000_NS6detail17trampoline_kernelINS0_14default_configENS1_27scan_by_key_config_selectorIxiEEZZNS1_16scan_by_key_implILNS1_25lookback_scan_determinismE0ELb1ES3_N6thrust23THRUST_200600_302600_NS6detail15normal_iteratorINS9_10device_ptrIxEEEESE_SE_iNS9_4plusIvEENS9_8equal_toIvEEiEE10hipError_tPvRmT2_T3_T4_T5_mT6_T7_P12ihipStream_tbENKUlT_T0_E_clISt17integral_constantIbLb1EESY_IbLb0EEEEDaSU_SV_EUlSU_E_NS1_11comp_targetILNS1_3genE2ELNS1_11target_archE906ELNS1_3gpuE6ELNS1_3repE0EEENS1_30default_config_static_selectorELNS0_4arch9wavefront6targetE1EEEvT1_
	.p2align	8
	.type	_ZN7rocprim17ROCPRIM_400000_NS6detail17trampoline_kernelINS0_14default_configENS1_27scan_by_key_config_selectorIxiEEZZNS1_16scan_by_key_implILNS1_25lookback_scan_determinismE0ELb1ES3_N6thrust23THRUST_200600_302600_NS6detail15normal_iteratorINS9_10device_ptrIxEEEESE_SE_iNS9_4plusIvEENS9_8equal_toIvEEiEE10hipError_tPvRmT2_T3_T4_T5_mT6_T7_P12ihipStream_tbENKUlT_T0_E_clISt17integral_constantIbLb1EESY_IbLb0EEEEDaSU_SV_EUlSU_E_NS1_11comp_targetILNS1_3genE2ELNS1_11target_archE906ELNS1_3gpuE6ELNS1_3repE0EEENS1_30default_config_static_selectorELNS0_4arch9wavefront6targetE1EEEvT1_,@function
_ZN7rocprim17ROCPRIM_400000_NS6detail17trampoline_kernelINS0_14default_configENS1_27scan_by_key_config_selectorIxiEEZZNS1_16scan_by_key_implILNS1_25lookback_scan_determinismE0ELb1ES3_N6thrust23THRUST_200600_302600_NS6detail15normal_iteratorINS9_10device_ptrIxEEEESE_SE_iNS9_4plusIvEENS9_8equal_toIvEEiEE10hipError_tPvRmT2_T3_T4_T5_mT6_T7_P12ihipStream_tbENKUlT_T0_E_clISt17integral_constantIbLb1EESY_IbLb0EEEEDaSU_SV_EUlSU_E_NS1_11comp_targetILNS1_3genE2ELNS1_11target_archE906ELNS1_3gpuE6ELNS1_3repE0EEENS1_30default_config_static_selectorELNS0_4arch9wavefront6targetE1EEEvT1_: ; @_ZN7rocprim17ROCPRIM_400000_NS6detail17trampoline_kernelINS0_14default_configENS1_27scan_by_key_config_selectorIxiEEZZNS1_16scan_by_key_implILNS1_25lookback_scan_determinismE0ELb1ES3_N6thrust23THRUST_200600_302600_NS6detail15normal_iteratorINS9_10device_ptrIxEEEESE_SE_iNS9_4plusIvEENS9_8equal_toIvEEiEE10hipError_tPvRmT2_T3_T4_T5_mT6_T7_P12ihipStream_tbENKUlT_T0_E_clISt17integral_constantIbLb1EESY_IbLb0EEEEDaSU_SV_EUlSU_E_NS1_11comp_targetILNS1_3genE2ELNS1_11target_archE906ELNS1_3gpuE6ELNS1_3repE0EEENS1_30default_config_static_selectorELNS0_4arch9wavefront6targetE1EEEvT1_
; %bb.0:
	.section	.rodata,"a",@progbits
	.p2align	6, 0x0
	.amdhsa_kernel _ZN7rocprim17ROCPRIM_400000_NS6detail17trampoline_kernelINS0_14default_configENS1_27scan_by_key_config_selectorIxiEEZZNS1_16scan_by_key_implILNS1_25lookback_scan_determinismE0ELb1ES3_N6thrust23THRUST_200600_302600_NS6detail15normal_iteratorINS9_10device_ptrIxEEEESE_SE_iNS9_4plusIvEENS9_8equal_toIvEEiEE10hipError_tPvRmT2_T3_T4_T5_mT6_T7_P12ihipStream_tbENKUlT_T0_E_clISt17integral_constantIbLb1EESY_IbLb0EEEEDaSU_SV_EUlSU_E_NS1_11comp_targetILNS1_3genE2ELNS1_11target_archE906ELNS1_3gpuE6ELNS1_3repE0EEENS1_30default_config_static_selectorELNS0_4arch9wavefront6targetE1EEEvT1_
		.amdhsa_group_segment_fixed_size 0
		.amdhsa_private_segment_fixed_size 0
		.amdhsa_kernarg_size 112
		.amdhsa_user_sgpr_count 6
		.amdhsa_user_sgpr_private_segment_buffer 1
		.amdhsa_user_sgpr_dispatch_ptr 0
		.amdhsa_user_sgpr_queue_ptr 0
		.amdhsa_user_sgpr_kernarg_segment_ptr 1
		.amdhsa_user_sgpr_dispatch_id 0
		.amdhsa_user_sgpr_flat_scratch_init 0
		.amdhsa_user_sgpr_kernarg_preload_length 0
		.amdhsa_user_sgpr_kernarg_preload_offset 0
		.amdhsa_user_sgpr_private_segment_size 0
		.amdhsa_uses_dynamic_stack 0
		.amdhsa_system_sgpr_private_segment_wavefront_offset 0
		.amdhsa_system_sgpr_workgroup_id_x 1
		.amdhsa_system_sgpr_workgroup_id_y 0
		.amdhsa_system_sgpr_workgroup_id_z 0
		.amdhsa_system_sgpr_workgroup_info 0
		.amdhsa_system_vgpr_workitem_id 0
		.amdhsa_next_free_vgpr 1
		.amdhsa_next_free_sgpr 0
		.amdhsa_accum_offset 4
		.amdhsa_reserve_vcc 0
		.amdhsa_reserve_flat_scratch 0
		.amdhsa_float_round_mode_32 0
		.amdhsa_float_round_mode_16_64 0
		.amdhsa_float_denorm_mode_32 3
		.amdhsa_float_denorm_mode_16_64 3
		.amdhsa_dx10_clamp 1
		.amdhsa_ieee_mode 1
		.amdhsa_fp16_overflow 0
		.amdhsa_tg_split 0
		.amdhsa_exception_fp_ieee_invalid_op 0
		.amdhsa_exception_fp_denorm_src 0
		.amdhsa_exception_fp_ieee_div_zero 0
		.amdhsa_exception_fp_ieee_overflow 0
		.amdhsa_exception_fp_ieee_underflow 0
		.amdhsa_exception_fp_ieee_inexact 0
		.amdhsa_exception_int_div_zero 0
	.end_amdhsa_kernel
	.section	.text._ZN7rocprim17ROCPRIM_400000_NS6detail17trampoline_kernelINS0_14default_configENS1_27scan_by_key_config_selectorIxiEEZZNS1_16scan_by_key_implILNS1_25lookback_scan_determinismE0ELb1ES3_N6thrust23THRUST_200600_302600_NS6detail15normal_iteratorINS9_10device_ptrIxEEEESE_SE_iNS9_4plusIvEENS9_8equal_toIvEEiEE10hipError_tPvRmT2_T3_T4_T5_mT6_T7_P12ihipStream_tbENKUlT_T0_E_clISt17integral_constantIbLb1EESY_IbLb0EEEEDaSU_SV_EUlSU_E_NS1_11comp_targetILNS1_3genE2ELNS1_11target_archE906ELNS1_3gpuE6ELNS1_3repE0EEENS1_30default_config_static_selectorELNS0_4arch9wavefront6targetE1EEEvT1_,"axG",@progbits,_ZN7rocprim17ROCPRIM_400000_NS6detail17trampoline_kernelINS0_14default_configENS1_27scan_by_key_config_selectorIxiEEZZNS1_16scan_by_key_implILNS1_25lookback_scan_determinismE0ELb1ES3_N6thrust23THRUST_200600_302600_NS6detail15normal_iteratorINS9_10device_ptrIxEEEESE_SE_iNS9_4plusIvEENS9_8equal_toIvEEiEE10hipError_tPvRmT2_T3_T4_T5_mT6_T7_P12ihipStream_tbENKUlT_T0_E_clISt17integral_constantIbLb1EESY_IbLb0EEEEDaSU_SV_EUlSU_E_NS1_11comp_targetILNS1_3genE2ELNS1_11target_archE906ELNS1_3gpuE6ELNS1_3repE0EEENS1_30default_config_static_selectorELNS0_4arch9wavefront6targetE1EEEvT1_,comdat
.Lfunc_end1027:
	.size	_ZN7rocprim17ROCPRIM_400000_NS6detail17trampoline_kernelINS0_14default_configENS1_27scan_by_key_config_selectorIxiEEZZNS1_16scan_by_key_implILNS1_25lookback_scan_determinismE0ELb1ES3_N6thrust23THRUST_200600_302600_NS6detail15normal_iteratorINS9_10device_ptrIxEEEESE_SE_iNS9_4plusIvEENS9_8equal_toIvEEiEE10hipError_tPvRmT2_T3_T4_T5_mT6_T7_P12ihipStream_tbENKUlT_T0_E_clISt17integral_constantIbLb1EESY_IbLb0EEEEDaSU_SV_EUlSU_E_NS1_11comp_targetILNS1_3genE2ELNS1_11target_archE906ELNS1_3gpuE6ELNS1_3repE0EEENS1_30default_config_static_selectorELNS0_4arch9wavefront6targetE1EEEvT1_, .Lfunc_end1027-_ZN7rocprim17ROCPRIM_400000_NS6detail17trampoline_kernelINS0_14default_configENS1_27scan_by_key_config_selectorIxiEEZZNS1_16scan_by_key_implILNS1_25lookback_scan_determinismE0ELb1ES3_N6thrust23THRUST_200600_302600_NS6detail15normal_iteratorINS9_10device_ptrIxEEEESE_SE_iNS9_4plusIvEENS9_8equal_toIvEEiEE10hipError_tPvRmT2_T3_T4_T5_mT6_T7_P12ihipStream_tbENKUlT_T0_E_clISt17integral_constantIbLb1EESY_IbLb0EEEEDaSU_SV_EUlSU_E_NS1_11comp_targetILNS1_3genE2ELNS1_11target_archE906ELNS1_3gpuE6ELNS1_3repE0EEENS1_30default_config_static_selectorELNS0_4arch9wavefront6targetE1EEEvT1_
                                        ; -- End function
	.section	.AMDGPU.csdata,"",@progbits
; Kernel info:
; codeLenInByte = 0
; NumSgprs: 4
; NumVgprs: 0
; NumAgprs: 0
; TotalNumVgprs: 0
; ScratchSize: 0
; MemoryBound: 0
; FloatMode: 240
; IeeeMode: 1
; LDSByteSize: 0 bytes/workgroup (compile time only)
; SGPRBlocks: 0
; VGPRBlocks: 0
; NumSGPRsForWavesPerEU: 4
; NumVGPRsForWavesPerEU: 1
; AccumOffset: 4
; Occupancy: 8
; WaveLimiterHint : 0
; COMPUTE_PGM_RSRC2:SCRATCH_EN: 0
; COMPUTE_PGM_RSRC2:USER_SGPR: 6
; COMPUTE_PGM_RSRC2:TRAP_HANDLER: 0
; COMPUTE_PGM_RSRC2:TGID_X_EN: 1
; COMPUTE_PGM_RSRC2:TGID_Y_EN: 0
; COMPUTE_PGM_RSRC2:TGID_Z_EN: 0
; COMPUTE_PGM_RSRC2:TIDIG_COMP_CNT: 0
; COMPUTE_PGM_RSRC3_GFX90A:ACCUM_OFFSET: 0
; COMPUTE_PGM_RSRC3_GFX90A:TG_SPLIT: 0
	.section	.text._ZN7rocprim17ROCPRIM_400000_NS6detail17trampoline_kernelINS0_14default_configENS1_27scan_by_key_config_selectorIxiEEZZNS1_16scan_by_key_implILNS1_25lookback_scan_determinismE0ELb1ES3_N6thrust23THRUST_200600_302600_NS6detail15normal_iteratorINS9_10device_ptrIxEEEESE_SE_iNS9_4plusIvEENS9_8equal_toIvEEiEE10hipError_tPvRmT2_T3_T4_T5_mT6_T7_P12ihipStream_tbENKUlT_T0_E_clISt17integral_constantIbLb1EESY_IbLb0EEEEDaSU_SV_EUlSU_E_NS1_11comp_targetILNS1_3genE10ELNS1_11target_archE1200ELNS1_3gpuE4ELNS1_3repE0EEENS1_30default_config_static_selectorELNS0_4arch9wavefront6targetE1EEEvT1_,"axG",@progbits,_ZN7rocprim17ROCPRIM_400000_NS6detail17trampoline_kernelINS0_14default_configENS1_27scan_by_key_config_selectorIxiEEZZNS1_16scan_by_key_implILNS1_25lookback_scan_determinismE0ELb1ES3_N6thrust23THRUST_200600_302600_NS6detail15normal_iteratorINS9_10device_ptrIxEEEESE_SE_iNS9_4plusIvEENS9_8equal_toIvEEiEE10hipError_tPvRmT2_T3_T4_T5_mT6_T7_P12ihipStream_tbENKUlT_T0_E_clISt17integral_constantIbLb1EESY_IbLb0EEEEDaSU_SV_EUlSU_E_NS1_11comp_targetILNS1_3genE10ELNS1_11target_archE1200ELNS1_3gpuE4ELNS1_3repE0EEENS1_30default_config_static_selectorELNS0_4arch9wavefront6targetE1EEEvT1_,comdat
	.protected	_ZN7rocprim17ROCPRIM_400000_NS6detail17trampoline_kernelINS0_14default_configENS1_27scan_by_key_config_selectorIxiEEZZNS1_16scan_by_key_implILNS1_25lookback_scan_determinismE0ELb1ES3_N6thrust23THRUST_200600_302600_NS6detail15normal_iteratorINS9_10device_ptrIxEEEESE_SE_iNS9_4plusIvEENS9_8equal_toIvEEiEE10hipError_tPvRmT2_T3_T4_T5_mT6_T7_P12ihipStream_tbENKUlT_T0_E_clISt17integral_constantIbLb1EESY_IbLb0EEEEDaSU_SV_EUlSU_E_NS1_11comp_targetILNS1_3genE10ELNS1_11target_archE1200ELNS1_3gpuE4ELNS1_3repE0EEENS1_30default_config_static_selectorELNS0_4arch9wavefront6targetE1EEEvT1_ ; -- Begin function _ZN7rocprim17ROCPRIM_400000_NS6detail17trampoline_kernelINS0_14default_configENS1_27scan_by_key_config_selectorIxiEEZZNS1_16scan_by_key_implILNS1_25lookback_scan_determinismE0ELb1ES3_N6thrust23THRUST_200600_302600_NS6detail15normal_iteratorINS9_10device_ptrIxEEEESE_SE_iNS9_4plusIvEENS9_8equal_toIvEEiEE10hipError_tPvRmT2_T3_T4_T5_mT6_T7_P12ihipStream_tbENKUlT_T0_E_clISt17integral_constantIbLb1EESY_IbLb0EEEEDaSU_SV_EUlSU_E_NS1_11comp_targetILNS1_3genE10ELNS1_11target_archE1200ELNS1_3gpuE4ELNS1_3repE0EEENS1_30default_config_static_selectorELNS0_4arch9wavefront6targetE1EEEvT1_
	.globl	_ZN7rocprim17ROCPRIM_400000_NS6detail17trampoline_kernelINS0_14default_configENS1_27scan_by_key_config_selectorIxiEEZZNS1_16scan_by_key_implILNS1_25lookback_scan_determinismE0ELb1ES3_N6thrust23THRUST_200600_302600_NS6detail15normal_iteratorINS9_10device_ptrIxEEEESE_SE_iNS9_4plusIvEENS9_8equal_toIvEEiEE10hipError_tPvRmT2_T3_T4_T5_mT6_T7_P12ihipStream_tbENKUlT_T0_E_clISt17integral_constantIbLb1EESY_IbLb0EEEEDaSU_SV_EUlSU_E_NS1_11comp_targetILNS1_3genE10ELNS1_11target_archE1200ELNS1_3gpuE4ELNS1_3repE0EEENS1_30default_config_static_selectorELNS0_4arch9wavefront6targetE1EEEvT1_
	.p2align	8
	.type	_ZN7rocprim17ROCPRIM_400000_NS6detail17trampoline_kernelINS0_14default_configENS1_27scan_by_key_config_selectorIxiEEZZNS1_16scan_by_key_implILNS1_25lookback_scan_determinismE0ELb1ES3_N6thrust23THRUST_200600_302600_NS6detail15normal_iteratorINS9_10device_ptrIxEEEESE_SE_iNS9_4plusIvEENS9_8equal_toIvEEiEE10hipError_tPvRmT2_T3_T4_T5_mT6_T7_P12ihipStream_tbENKUlT_T0_E_clISt17integral_constantIbLb1EESY_IbLb0EEEEDaSU_SV_EUlSU_E_NS1_11comp_targetILNS1_3genE10ELNS1_11target_archE1200ELNS1_3gpuE4ELNS1_3repE0EEENS1_30default_config_static_selectorELNS0_4arch9wavefront6targetE1EEEvT1_,@function
_ZN7rocprim17ROCPRIM_400000_NS6detail17trampoline_kernelINS0_14default_configENS1_27scan_by_key_config_selectorIxiEEZZNS1_16scan_by_key_implILNS1_25lookback_scan_determinismE0ELb1ES3_N6thrust23THRUST_200600_302600_NS6detail15normal_iteratorINS9_10device_ptrIxEEEESE_SE_iNS9_4plusIvEENS9_8equal_toIvEEiEE10hipError_tPvRmT2_T3_T4_T5_mT6_T7_P12ihipStream_tbENKUlT_T0_E_clISt17integral_constantIbLb1EESY_IbLb0EEEEDaSU_SV_EUlSU_E_NS1_11comp_targetILNS1_3genE10ELNS1_11target_archE1200ELNS1_3gpuE4ELNS1_3repE0EEENS1_30default_config_static_selectorELNS0_4arch9wavefront6targetE1EEEvT1_: ; @_ZN7rocprim17ROCPRIM_400000_NS6detail17trampoline_kernelINS0_14default_configENS1_27scan_by_key_config_selectorIxiEEZZNS1_16scan_by_key_implILNS1_25lookback_scan_determinismE0ELb1ES3_N6thrust23THRUST_200600_302600_NS6detail15normal_iteratorINS9_10device_ptrIxEEEESE_SE_iNS9_4plusIvEENS9_8equal_toIvEEiEE10hipError_tPvRmT2_T3_T4_T5_mT6_T7_P12ihipStream_tbENKUlT_T0_E_clISt17integral_constantIbLb1EESY_IbLb0EEEEDaSU_SV_EUlSU_E_NS1_11comp_targetILNS1_3genE10ELNS1_11target_archE1200ELNS1_3gpuE4ELNS1_3repE0EEENS1_30default_config_static_selectorELNS0_4arch9wavefront6targetE1EEEvT1_
; %bb.0:
	.section	.rodata,"a",@progbits
	.p2align	6, 0x0
	.amdhsa_kernel _ZN7rocprim17ROCPRIM_400000_NS6detail17trampoline_kernelINS0_14default_configENS1_27scan_by_key_config_selectorIxiEEZZNS1_16scan_by_key_implILNS1_25lookback_scan_determinismE0ELb1ES3_N6thrust23THRUST_200600_302600_NS6detail15normal_iteratorINS9_10device_ptrIxEEEESE_SE_iNS9_4plusIvEENS9_8equal_toIvEEiEE10hipError_tPvRmT2_T3_T4_T5_mT6_T7_P12ihipStream_tbENKUlT_T0_E_clISt17integral_constantIbLb1EESY_IbLb0EEEEDaSU_SV_EUlSU_E_NS1_11comp_targetILNS1_3genE10ELNS1_11target_archE1200ELNS1_3gpuE4ELNS1_3repE0EEENS1_30default_config_static_selectorELNS0_4arch9wavefront6targetE1EEEvT1_
		.amdhsa_group_segment_fixed_size 0
		.amdhsa_private_segment_fixed_size 0
		.amdhsa_kernarg_size 112
		.amdhsa_user_sgpr_count 6
		.amdhsa_user_sgpr_private_segment_buffer 1
		.amdhsa_user_sgpr_dispatch_ptr 0
		.amdhsa_user_sgpr_queue_ptr 0
		.amdhsa_user_sgpr_kernarg_segment_ptr 1
		.amdhsa_user_sgpr_dispatch_id 0
		.amdhsa_user_sgpr_flat_scratch_init 0
		.amdhsa_user_sgpr_kernarg_preload_length 0
		.amdhsa_user_sgpr_kernarg_preload_offset 0
		.amdhsa_user_sgpr_private_segment_size 0
		.amdhsa_uses_dynamic_stack 0
		.amdhsa_system_sgpr_private_segment_wavefront_offset 0
		.amdhsa_system_sgpr_workgroup_id_x 1
		.amdhsa_system_sgpr_workgroup_id_y 0
		.amdhsa_system_sgpr_workgroup_id_z 0
		.amdhsa_system_sgpr_workgroup_info 0
		.amdhsa_system_vgpr_workitem_id 0
		.amdhsa_next_free_vgpr 1
		.amdhsa_next_free_sgpr 0
		.amdhsa_accum_offset 4
		.amdhsa_reserve_vcc 0
		.amdhsa_reserve_flat_scratch 0
		.amdhsa_float_round_mode_32 0
		.amdhsa_float_round_mode_16_64 0
		.amdhsa_float_denorm_mode_32 3
		.amdhsa_float_denorm_mode_16_64 3
		.amdhsa_dx10_clamp 1
		.amdhsa_ieee_mode 1
		.amdhsa_fp16_overflow 0
		.amdhsa_tg_split 0
		.amdhsa_exception_fp_ieee_invalid_op 0
		.amdhsa_exception_fp_denorm_src 0
		.amdhsa_exception_fp_ieee_div_zero 0
		.amdhsa_exception_fp_ieee_overflow 0
		.amdhsa_exception_fp_ieee_underflow 0
		.amdhsa_exception_fp_ieee_inexact 0
		.amdhsa_exception_int_div_zero 0
	.end_amdhsa_kernel
	.section	.text._ZN7rocprim17ROCPRIM_400000_NS6detail17trampoline_kernelINS0_14default_configENS1_27scan_by_key_config_selectorIxiEEZZNS1_16scan_by_key_implILNS1_25lookback_scan_determinismE0ELb1ES3_N6thrust23THRUST_200600_302600_NS6detail15normal_iteratorINS9_10device_ptrIxEEEESE_SE_iNS9_4plusIvEENS9_8equal_toIvEEiEE10hipError_tPvRmT2_T3_T4_T5_mT6_T7_P12ihipStream_tbENKUlT_T0_E_clISt17integral_constantIbLb1EESY_IbLb0EEEEDaSU_SV_EUlSU_E_NS1_11comp_targetILNS1_3genE10ELNS1_11target_archE1200ELNS1_3gpuE4ELNS1_3repE0EEENS1_30default_config_static_selectorELNS0_4arch9wavefront6targetE1EEEvT1_,"axG",@progbits,_ZN7rocprim17ROCPRIM_400000_NS6detail17trampoline_kernelINS0_14default_configENS1_27scan_by_key_config_selectorIxiEEZZNS1_16scan_by_key_implILNS1_25lookback_scan_determinismE0ELb1ES3_N6thrust23THRUST_200600_302600_NS6detail15normal_iteratorINS9_10device_ptrIxEEEESE_SE_iNS9_4plusIvEENS9_8equal_toIvEEiEE10hipError_tPvRmT2_T3_T4_T5_mT6_T7_P12ihipStream_tbENKUlT_T0_E_clISt17integral_constantIbLb1EESY_IbLb0EEEEDaSU_SV_EUlSU_E_NS1_11comp_targetILNS1_3genE10ELNS1_11target_archE1200ELNS1_3gpuE4ELNS1_3repE0EEENS1_30default_config_static_selectorELNS0_4arch9wavefront6targetE1EEEvT1_,comdat
.Lfunc_end1028:
	.size	_ZN7rocprim17ROCPRIM_400000_NS6detail17trampoline_kernelINS0_14default_configENS1_27scan_by_key_config_selectorIxiEEZZNS1_16scan_by_key_implILNS1_25lookback_scan_determinismE0ELb1ES3_N6thrust23THRUST_200600_302600_NS6detail15normal_iteratorINS9_10device_ptrIxEEEESE_SE_iNS9_4plusIvEENS9_8equal_toIvEEiEE10hipError_tPvRmT2_T3_T4_T5_mT6_T7_P12ihipStream_tbENKUlT_T0_E_clISt17integral_constantIbLb1EESY_IbLb0EEEEDaSU_SV_EUlSU_E_NS1_11comp_targetILNS1_3genE10ELNS1_11target_archE1200ELNS1_3gpuE4ELNS1_3repE0EEENS1_30default_config_static_selectorELNS0_4arch9wavefront6targetE1EEEvT1_, .Lfunc_end1028-_ZN7rocprim17ROCPRIM_400000_NS6detail17trampoline_kernelINS0_14default_configENS1_27scan_by_key_config_selectorIxiEEZZNS1_16scan_by_key_implILNS1_25lookback_scan_determinismE0ELb1ES3_N6thrust23THRUST_200600_302600_NS6detail15normal_iteratorINS9_10device_ptrIxEEEESE_SE_iNS9_4plusIvEENS9_8equal_toIvEEiEE10hipError_tPvRmT2_T3_T4_T5_mT6_T7_P12ihipStream_tbENKUlT_T0_E_clISt17integral_constantIbLb1EESY_IbLb0EEEEDaSU_SV_EUlSU_E_NS1_11comp_targetILNS1_3genE10ELNS1_11target_archE1200ELNS1_3gpuE4ELNS1_3repE0EEENS1_30default_config_static_selectorELNS0_4arch9wavefront6targetE1EEEvT1_
                                        ; -- End function
	.section	.AMDGPU.csdata,"",@progbits
; Kernel info:
; codeLenInByte = 0
; NumSgprs: 4
; NumVgprs: 0
; NumAgprs: 0
; TotalNumVgprs: 0
; ScratchSize: 0
; MemoryBound: 0
; FloatMode: 240
; IeeeMode: 1
; LDSByteSize: 0 bytes/workgroup (compile time only)
; SGPRBlocks: 0
; VGPRBlocks: 0
; NumSGPRsForWavesPerEU: 4
; NumVGPRsForWavesPerEU: 1
; AccumOffset: 4
; Occupancy: 8
; WaveLimiterHint : 0
; COMPUTE_PGM_RSRC2:SCRATCH_EN: 0
; COMPUTE_PGM_RSRC2:USER_SGPR: 6
; COMPUTE_PGM_RSRC2:TRAP_HANDLER: 0
; COMPUTE_PGM_RSRC2:TGID_X_EN: 1
; COMPUTE_PGM_RSRC2:TGID_Y_EN: 0
; COMPUTE_PGM_RSRC2:TGID_Z_EN: 0
; COMPUTE_PGM_RSRC2:TIDIG_COMP_CNT: 0
; COMPUTE_PGM_RSRC3_GFX90A:ACCUM_OFFSET: 0
; COMPUTE_PGM_RSRC3_GFX90A:TG_SPLIT: 0
	.section	.text._ZN7rocprim17ROCPRIM_400000_NS6detail17trampoline_kernelINS0_14default_configENS1_27scan_by_key_config_selectorIxiEEZZNS1_16scan_by_key_implILNS1_25lookback_scan_determinismE0ELb1ES3_N6thrust23THRUST_200600_302600_NS6detail15normal_iteratorINS9_10device_ptrIxEEEESE_SE_iNS9_4plusIvEENS9_8equal_toIvEEiEE10hipError_tPvRmT2_T3_T4_T5_mT6_T7_P12ihipStream_tbENKUlT_T0_E_clISt17integral_constantIbLb1EESY_IbLb0EEEEDaSU_SV_EUlSU_E_NS1_11comp_targetILNS1_3genE9ELNS1_11target_archE1100ELNS1_3gpuE3ELNS1_3repE0EEENS1_30default_config_static_selectorELNS0_4arch9wavefront6targetE1EEEvT1_,"axG",@progbits,_ZN7rocprim17ROCPRIM_400000_NS6detail17trampoline_kernelINS0_14default_configENS1_27scan_by_key_config_selectorIxiEEZZNS1_16scan_by_key_implILNS1_25lookback_scan_determinismE0ELb1ES3_N6thrust23THRUST_200600_302600_NS6detail15normal_iteratorINS9_10device_ptrIxEEEESE_SE_iNS9_4plusIvEENS9_8equal_toIvEEiEE10hipError_tPvRmT2_T3_T4_T5_mT6_T7_P12ihipStream_tbENKUlT_T0_E_clISt17integral_constantIbLb1EESY_IbLb0EEEEDaSU_SV_EUlSU_E_NS1_11comp_targetILNS1_3genE9ELNS1_11target_archE1100ELNS1_3gpuE3ELNS1_3repE0EEENS1_30default_config_static_selectorELNS0_4arch9wavefront6targetE1EEEvT1_,comdat
	.protected	_ZN7rocprim17ROCPRIM_400000_NS6detail17trampoline_kernelINS0_14default_configENS1_27scan_by_key_config_selectorIxiEEZZNS1_16scan_by_key_implILNS1_25lookback_scan_determinismE0ELb1ES3_N6thrust23THRUST_200600_302600_NS6detail15normal_iteratorINS9_10device_ptrIxEEEESE_SE_iNS9_4plusIvEENS9_8equal_toIvEEiEE10hipError_tPvRmT2_T3_T4_T5_mT6_T7_P12ihipStream_tbENKUlT_T0_E_clISt17integral_constantIbLb1EESY_IbLb0EEEEDaSU_SV_EUlSU_E_NS1_11comp_targetILNS1_3genE9ELNS1_11target_archE1100ELNS1_3gpuE3ELNS1_3repE0EEENS1_30default_config_static_selectorELNS0_4arch9wavefront6targetE1EEEvT1_ ; -- Begin function _ZN7rocprim17ROCPRIM_400000_NS6detail17trampoline_kernelINS0_14default_configENS1_27scan_by_key_config_selectorIxiEEZZNS1_16scan_by_key_implILNS1_25lookback_scan_determinismE0ELb1ES3_N6thrust23THRUST_200600_302600_NS6detail15normal_iteratorINS9_10device_ptrIxEEEESE_SE_iNS9_4plusIvEENS9_8equal_toIvEEiEE10hipError_tPvRmT2_T3_T4_T5_mT6_T7_P12ihipStream_tbENKUlT_T0_E_clISt17integral_constantIbLb1EESY_IbLb0EEEEDaSU_SV_EUlSU_E_NS1_11comp_targetILNS1_3genE9ELNS1_11target_archE1100ELNS1_3gpuE3ELNS1_3repE0EEENS1_30default_config_static_selectorELNS0_4arch9wavefront6targetE1EEEvT1_
	.globl	_ZN7rocprim17ROCPRIM_400000_NS6detail17trampoline_kernelINS0_14default_configENS1_27scan_by_key_config_selectorIxiEEZZNS1_16scan_by_key_implILNS1_25lookback_scan_determinismE0ELb1ES3_N6thrust23THRUST_200600_302600_NS6detail15normal_iteratorINS9_10device_ptrIxEEEESE_SE_iNS9_4plusIvEENS9_8equal_toIvEEiEE10hipError_tPvRmT2_T3_T4_T5_mT6_T7_P12ihipStream_tbENKUlT_T0_E_clISt17integral_constantIbLb1EESY_IbLb0EEEEDaSU_SV_EUlSU_E_NS1_11comp_targetILNS1_3genE9ELNS1_11target_archE1100ELNS1_3gpuE3ELNS1_3repE0EEENS1_30default_config_static_selectorELNS0_4arch9wavefront6targetE1EEEvT1_
	.p2align	8
	.type	_ZN7rocprim17ROCPRIM_400000_NS6detail17trampoline_kernelINS0_14default_configENS1_27scan_by_key_config_selectorIxiEEZZNS1_16scan_by_key_implILNS1_25lookback_scan_determinismE0ELb1ES3_N6thrust23THRUST_200600_302600_NS6detail15normal_iteratorINS9_10device_ptrIxEEEESE_SE_iNS9_4plusIvEENS9_8equal_toIvEEiEE10hipError_tPvRmT2_T3_T4_T5_mT6_T7_P12ihipStream_tbENKUlT_T0_E_clISt17integral_constantIbLb1EESY_IbLb0EEEEDaSU_SV_EUlSU_E_NS1_11comp_targetILNS1_3genE9ELNS1_11target_archE1100ELNS1_3gpuE3ELNS1_3repE0EEENS1_30default_config_static_selectorELNS0_4arch9wavefront6targetE1EEEvT1_,@function
_ZN7rocprim17ROCPRIM_400000_NS6detail17trampoline_kernelINS0_14default_configENS1_27scan_by_key_config_selectorIxiEEZZNS1_16scan_by_key_implILNS1_25lookback_scan_determinismE0ELb1ES3_N6thrust23THRUST_200600_302600_NS6detail15normal_iteratorINS9_10device_ptrIxEEEESE_SE_iNS9_4plusIvEENS9_8equal_toIvEEiEE10hipError_tPvRmT2_T3_T4_T5_mT6_T7_P12ihipStream_tbENKUlT_T0_E_clISt17integral_constantIbLb1EESY_IbLb0EEEEDaSU_SV_EUlSU_E_NS1_11comp_targetILNS1_3genE9ELNS1_11target_archE1100ELNS1_3gpuE3ELNS1_3repE0EEENS1_30default_config_static_selectorELNS0_4arch9wavefront6targetE1EEEvT1_: ; @_ZN7rocprim17ROCPRIM_400000_NS6detail17trampoline_kernelINS0_14default_configENS1_27scan_by_key_config_selectorIxiEEZZNS1_16scan_by_key_implILNS1_25lookback_scan_determinismE0ELb1ES3_N6thrust23THRUST_200600_302600_NS6detail15normal_iteratorINS9_10device_ptrIxEEEESE_SE_iNS9_4plusIvEENS9_8equal_toIvEEiEE10hipError_tPvRmT2_T3_T4_T5_mT6_T7_P12ihipStream_tbENKUlT_T0_E_clISt17integral_constantIbLb1EESY_IbLb0EEEEDaSU_SV_EUlSU_E_NS1_11comp_targetILNS1_3genE9ELNS1_11target_archE1100ELNS1_3gpuE3ELNS1_3repE0EEENS1_30default_config_static_selectorELNS0_4arch9wavefront6targetE1EEEvT1_
; %bb.0:
	.section	.rodata,"a",@progbits
	.p2align	6, 0x0
	.amdhsa_kernel _ZN7rocprim17ROCPRIM_400000_NS6detail17trampoline_kernelINS0_14default_configENS1_27scan_by_key_config_selectorIxiEEZZNS1_16scan_by_key_implILNS1_25lookback_scan_determinismE0ELb1ES3_N6thrust23THRUST_200600_302600_NS6detail15normal_iteratorINS9_10device_ptrIxEEEESE_SE_iNS9_4plusIvEENS9_8equal_toIvEEiEE10hipError_tPvRmT2_T3_T4_T5_mT6_T7_P12ihipStream_tbENKUlT_T0_E_clISt17integral_constantIbLb1EESY_IbLb0EEEEDaSU_SV_EUlSU_E_NS1_11comp_targetILNS1_3genE9ELNS1_11target_archE1100ELNS1_3gpuE3ELNS1_3repE0EEENS1_30default_config_static_selectorELNS0_4arch9wavefront6targetE1EEEvT1_
		.amdhsa_group_segment_fixed_size 0
		.amdhsa_private_segment_fixed_size 0
		.amdhsa_kernarg_size 112
		.amdhsa_user_sgpr_count 6
		.amdhsa_user_sgpr_private_segment_buffer 1
		.amdhsa_user_sgpr_dispatch_ptr 0
		.amdhsa_user_sgpr_queue_ptr 0
		.amdhsa_user_sgpr_kernarg_segment_ptr 1
		.amdhsa_user_sgpr_dispatch_id 0
		.amdhsa_user_sgpr_flat_scratch_init 0
		.amdhsa_user_sgpr_kernarg_preload_length 0
		.amdhsa_user_sgpr_kernarg_preload_offset 0
		.amdhsa_user_sgpr_private_segment_size 0
		.amdhsa_uses_dynamic_stack 0
		.amdhsa_system_sgpr_private_segment_wavefront_offset 0
		.amdhsa_system_sgpr_workgroup_id_x 1
		.amdhsa_system_sgpr_workgroup_id_y 0
		.amdhsa_system_sgpr_workgroup_id_z 0
		.amdhsa_system_sgpr_workgroup_info 0
		.amdhsa_system_vgpr_workitem_id 0
		.amdhsa_next_free_vgpr 1
		.amdhsa_next_free_sgpr 0
		.amdhsa_accum_offset 4
		.amdhsa_reserve_vcc 0
		.amdhsa_reserve_flat_scratch 0
		.amdhsa_float_round_mode_32 0
		.amdhsa_float_round_mode_16_64 0
		.amdhsa_float_denorm_mode_32 3
		.amdhsa_float_denorm_mode_16_64 3
		.amdhsa_dx10_clamp 1
		.amdhsa_ieee_mode 1
		.amdhsa_fp16_overflow 0
		.amdhsa_tg_split 0
		.amdhsa_exception_fp_ieee_invalid_op 0
		.amdhsa_exception_fp_denorm_src 0
		.amdhsa_exception_fp_ieee_div_zero 0
		.amdhsa_exception_fp_ieee_overflow 0
		.amdhsa_exception_fp_ieee_underflow 0
		.amdhsa_exception_fp_ieee_inexact 0
		.amdhsa_exception_int_div_zero 0
	.end_amdhsa_kernel
	.section	.text._ZN7rocprim17ROCPRIM_400000_NS6detail17trampoline_kernelINS0_14default_configENS1_27scan_by_key_config_selectorIxiEEZZNS1_16scan_by_key_implILNS1_25lookback_scan_determinismE0ELb1ES3_N6thrust23THRUST_200600_302600_NS6detail15normal_iteratorINS9_10device_ptrIxEEEESE_SE_iNS9_4plusIvEENS9_8equal_toIvEEiEE10hipError_tPvRmT2_T3_T4_T5_mT6_T7_P12ihipStream_tbENKUlT_T0_E_clISt17integral_constantIbLb1EESY_IbLb0EEEEDaSU_SV_EUlSU_E_NS1_11comp_targetILNS1_3genE9ELNS1_11target_archE1100ELNS1_3gpuE3ELNS1_3repE0EEENS1_30default_config_static_selectorELNS0_4arch9wavefront6targetE1EEEvT1_,"axG",@progbits,_ZN7rocprim17ROCPRIM_400000_NS6detail17trampoline_kernelINS0_14default_configENS1_27scan_by_key_config_selectorIxiEEZZNS1_16scan_by_key_implILNS1_25lookback_scan_determinismE0ELb1ES3_N6thrust23THRUST_200600_302600_NS6detail15normal_iteratorINS9_10device_ptrIxEEEESE_SE_iNS9_4plusIvEENS9_8equal_toIvEEiEE10hipError_tPvRmT2_T3_T4_T5_mT6_T7_P12ihipStream_tbENKUlT_T0_E_clISt17integral_constantIbLb1EESY_IbLb0EEEEDaSU_SV_EUlSU_E_NS1_11comp_targetILNS1_3genE9ELNS1_11target_archE1100ELNS1_3gpuE3ELNS1_3repE0EEENS1_30default_config_static_selectorELNS0_4arch9wavefront6targetE1EEEvT1_,comdat
.Lfunc_end1029:
	.size	_ZN7rocprim17ROCPRIM_400000_NS6detail17trampoline_kernelINS0_14default_configENS1_27scan_by_key_config_selectorIxiEEZZNS1_16scan_by_key_implILNS1_25lookback_scan_determinismE0ELb1ES3_N6thrust23THRUST_200600_302600_NS6detail15normal_iteratorINS9_10device_ptrIxEEEESE_SE_iNS9_4plusIvEENS9_8equal_toIvEEiEE10hipError_tPvRmT2_T3_T4_T5_mT6_T7_P12ihipStream_tbENKUlT_T0_E_clISt17integral_constantIbLb1EESY_IbLb0EEEEDaSU_SV_EUlSU_E_NS1_11comp_targetILNS1_3genE9ELNS1_11target_archE1100ELNS1_3gpuE3ELNS1_3repE0EEENS1_30default_config_static_selectorELNS0_4arch9wavefront6targetE1EEEvT1_, .Lfunc_end1029-_ZN7rocprim17ROCPRIM_400000_NS6detail17trampoline_kernelINS0_14default_configENS1_27scan_by_key_config_selectorIxiEEZZNS1_16scan_by_key_implILNS1_25lookback_scan_determinismE0ELb1ES3_N6thrust23THRUST_200600_302600_NS6detail15normal_iteratorINS9_10device_ptrIxEEEESE_SE_iNS9_4plusIvEENS9_8equal_toIvEEiEE10hipError_tPvRmT2_T3_T4_T5_mT6_T7_P12ihipStream_tbENKUlT_T0_E_clISt17integral_constantIbLb1EESY_IbLb0EEEEDaSU_SV_EUlSU_E_NS1_11comp_targetILNS1_3genE9ELNS1_11target_archE1100ELNS1_3gpuE3ELNS1_3repE0EEENS1_30default_config_static_selectorELNS0_4arch9wavefront6targetE1EEEvT1_
                                        ; -- End function
	.section	.AMDGPU.csdata,"",@progbits
; Kernel info:
; codeLenInByte = 0
; NumSgprs: 4
; NumVgprs: 0
; NumAgprs: 0
; TotalNumVgprs: 0
; ScratchSize: 0
; MemoryBound: 0
; FloatMode: 240
; IeeeMode: 1
; LDSByteSize: 0 bytes/workgroup (compile time only)
; SGPRBlocks: 0
; VGPRBlocks: 0
; NumSGPRsForWavesPerEU: 4
; NumVGPRsForWavesPerEU: 1
; AccumOffset: 4
; Occupancy: 8
; WaveLimiterHint : 0
; COMPUTE_PGM_RSRC2:SCRATCH_EN: 0
; COMPUTE_PGM_RSRC2:USER_SGPR: 6
; COMPUTE_PGM_RSRC2:TRAP_HANDLER: 0
; COMPUTE_PGM_RSRC2:TGID_X_EN: 1
; COMPUTE_PGM_RSRC2:TGID_Y_EN: 0
; COMPUTE_PGM_RSRC2:TGID_Z_EN: 0
; COMPUTE_PGM_RSRC2:TIDIG_COMP_CNT: 0
; COMPUTE_PGM_RSRC3_GFX90A:ACCUM_OFFSET: 0
; COMPUTE_PGM_RSRC3_GFX90A:TG_SPLIT: 0
	.section	.text._ZN7rocprim17ROCPRIM_400000_NS6detail17trampoline_kernelINS0_14default_configENS1_27scan_by_key_config_selectorIxiEEZZNS1_16scan_by_key_implILNS1_25lookback_scan_determinismE0ELb1ES3_N6thrust23THRUST_200600_302600_NS6detail15normal_iteratorINS9_10device_ptrIxEEEESE_SE_iNS9_4plusIvEENS9_8equal_toIvEEiEE10hipError_tPvRmT2_T3_T4_T5_mT6_T7_P12ihipStream_tbENKUlT_T0_E_clISt17integral_constantIbLb1EESY_IbLb0EEEEDaSU_SV_EUlSU_E_NS1_11comp_targetILNS1_3genE8ELNS1_11target_archE1030ELNS1_3gpuE2ELNS1_3repE0EEENS1_30default_config_static_selectorELNS0_4arch9wavefront6targetE1EEEvT1_,"axG",@progbits,_ZN7rocprim17ROCPRIM_400000_NS6detail17trampoline_kernelINS0_14default_configENS1_27scan_by_key_config_selectorIxiEEZZNS1_16scan_by_key_implILNS1_25lookback_scan_determinismE0ELb1ES3_N6thrust23THRUST_200600_302600_NS6detail15normal_iteratorINS9_10device_ptrIxEEEESE_SE_iNS9_4plusIvEENS9_8equal_toIvEEiEE10hipError_tPvRmT2_T3_T4_T5_mT6_T7_P12ihipStream_tbENKUlT_T0_E_clISt17integral_constantIbLb1EESY_IbLb0EEEEDaSU_SV_EUlSU_E_NS1_11comp_targetILNS1_3genE8ELNS1_11target_archE1030ELNS1_3gpuE2ELNS1_3repE0EEENS1_30default_config_static_selectorELNS0_4arch9wavefront6targetE1EEEvT1_,comdat
	.protected	_ZN7rocprim17ROCPRIM_400000_NS6detail17trampoline_kernelINS0_14default_configENS1_27scan_by_key_config_selectorIxiEEZZNS1_16scan_by_key_implILNS1_25lookback_scan_determinismE0ELb1ES3_N6thrust23THRUST_200600_302600_NS6detail15normal_iteratorINS9_10device_ptrIxEEEESE_SE_iNS9_4plusIvEENS9_8equal_toIvEEiEE10hipError_tPvRmT2_T3_T4_T5_mT6_T7_P12ihipStream_tbENKUlT_T0_E_clISt17integral_constantIbLb1EESY_IbLb0EEEEDaSU_SV_EUlSU_E_NS1_11comp_targetILNS1_3genE8ELNS1_11target_archE1030ELNS1_3gpuE2ELNS1_3repE0EEENS1_30default_config_static_selectorELNS0_4arch9wavefront6targetE1EEEvT1_ ; -- Begin function _ZN7rocprim17ROCPRIM_400000_NS6detail17trampoline_kernelINS0_14default_configENS1_27scan_by_key_config_selectorIxiEEZZNS1_16scan_by_key_implILNS1_25lookback_scan_determinismE0ELb1ES3_N6thrust23THRUST_200600_302600_NS6detail15normal_iteratorINS9_10device_ptrIxEEEESE_SE_iNS9_4plusIvEENS9_8equal_toIvEEiEE10hipError_tPvRmT2_T3_T4_T5_mT6_T7_P12ihipStream_tbENKUlT_T0_E_clISt17integral_constantIbLb1EESY_IbLb0EEEEDaSU_SV_EUlSU_E_NS1_11comp_targetILNS1_3genE8ELNS1_11target_archE1030ELNS1_3gpuE2ELNS1_3repE0EEENS1_30default_config_static_selectorELNS0_4arch9wavefront6targetE1EEEvT1_
	.globl	_ZN7rocprim17ROCPRIM_400000_NS6detail17trampoline_kernelINS0_14default_configENS1_27scan_by_key_config_selectorIxiEEZZNS1_16scan_by_key_implILNS1_25lookback_scan_determinismE0ELb1ES3_N6thrust23THRUST_200600_302600_NS6detail15normal_iteratorINS9_10device_ptrIxEEEESE_SE_iNS9_4plusIvEENS9_8equal_toIvEEiEE10hipError_tPvRmT2_T3_T4_T5_mT6_T7_P12ihipStream_tbENKUlT_T0_E_clISt17integral_constantIbLb1EESY_IbLb0EEEEDaSU_SV_EUlSU_E_NS1_11comp_targetILNS1_3genE8ELNS1_11target_archE1030ELNS1_3gpuE2ELNS1_3repE0EEENS1_30default_config_static_selectorELNS0_4arch9wavefront6targetE1EEEvT1_
	.p2align	8
	.type	_ZN7rocprim17ROCPRIM_400000_NS6detail17trampoline_kernelINS0_14default_configENS1_27scan_by_key_config_selectorIxiEEZZNS1_16scan_by_key_implILNS1_25lookback_scan_determinismE0ELb1ES3_N6thrust23THRUST_200600_302600_NS6detail15normal_iteratorINS9_10device_ptrIxEEEESE_SE_iNS9_4plusIvEENS9_8equal_toIvEEiEE10hipError_tPvRmT2_T3_T4_T5_mT6_T7_P12ihipStream_tbENKUlT_T0_E_clISt17integral_constantIbLb1EESY_IbLb0EEEEDaSU_SV_EUlSU_E_NS1_11comp_targetILNS1_3genE8ELNS1_11target_archE1030ELNS1_3gpuE2ELNS1_3repE0EEENS1_30default_config_static_selectorELNS0_4arch9wavefront6targetE1EEEvT1_,@function
_ZN7rocprim17ROCPRIM_400000_NS6detail17trampoline_kernelINS0_14default_configENS1_27scan_by_key_config_selectorIxiEEZZNS1_16scan_by_key_implILNS1_25lookback_scan_determinismE0ELb1ES3_N6thrust23THRUST_200600_302600_NS6detail15normal_iteratorINS9_10device_ptrIxEEEESE_SE_iNS9_4plusIvEENS9_8equal_toIvEEiEE10hipError_tPvRmT2_T3_T4_T5_mT6_T7_P12ihipStream_tbENKUlT_T0_E_clISt17integral_constantIbLb1EESY_IbLb0EEEEDaSU_SV_EUlSU_E_NS1_11comp_targetILNS1_3genE8ELNS1_11target_archE1030ELNS1_3gpuE2ELNS1_3repE0EEENS1_30default_config_static_selectorELNS0_4arch9wavefront6targetE1EEEvT1_: ; @_ZN7rocprim17ROCPRIM_400000_NS6detail17trampoline_kernelINS0_14default_configENS1_27scan_by_key_config_selectorIxiEEZZNS1_16scan_by_key_implILNS1_25lookback_scan_determinismE0ELb1ES3_N6thrust23THRUST_200600_302600_NS6detail15normal_iteratorINS9_10device_ptrIxEEEESE_SE_iNS9_4plusIvEENS9_8equal_toIvEEiEE10hipError_tPvRmT2_T3_T4_T5_mT6_T7_P12ihipStream_tbENKUlT_T0_E_clISt17integral_constantIbLb1EESY_IbLb0EEEEDaSU_SV_EUlSU_E_NS1_11comp_targetILNS1_3genE8ELNS1_11target_archE1030ELNS1_3gpuE2ELNS1_3repE0EEENS1_30default_config_static_selectorELNS0_4arch9wavefront6targetE1EEEvT1_
; %bb.0:
	.section	.rodata,"a",@progbits
	.p2align	6, 0x0
	.amdhsa_kernel _ZN7rocprim17ROCPRIM_400000_NS6detail17trampoline_kernelINS0_14default_configENS1_27scan_by_key_config_selectorIxiEEZZNS1_16scan_by_key_implILNS1_25lookback_scan_determinismE0ELb1ES3_N6thrust23THRUST_200600_302600_NS6detail15normal_iteratorINS9_10device_ptrIxEEEESE_SE_iNS9_4plusIvEENS9_8equal_toIvEEiEE10hipError_tPvRmT2_T3_T4_T5_mT6_T7_P12ihipStream_tbENKUlT_T0_E_clISt17integral_constantIbLb1EESY_IbLb0EEEEDaSU_SV_EUlSU_E_NS1_11comp_targetILNS1_3genE8ELNS1_11target_archE1030ELNS1_3gpuE2ELNS1_3repE0EEENS1_30default_config_static_selectorELNS0_4arch9wavefront6targetE1EEEvT1_
		.amdhsa_group_segment_fixed_size 0
		.amdhsa_private_segment_fixed_size 0
		.amdhsa_kernarg_size 112
		.amdhsa_user_sgpr_count 6
		.amdhsa_user_sgpr_private_segment_buffer 1
		.amdhsa_user_sgpr_dispatch_ptr 0
		.amdhsa_user_sgpr_queue_ptr 0
		.amdhsa_user_sgpr_kernarg_segment_ptr 1
		.amdhsa_user_sgpr_dispatch_id 0
		.amdhsa_user_sgpr_flat_scratch_init 0
		.amdhsa_user_sgpr_kernarg_preload_length 0
		.amdhsa_user_sgpr_kernarg_preload_offset 0
		.amdhsa_user_sgpr_private_segment_size 0
		.amdhsa_uses_dynamic_stack 0
		.amdhsa_system_sgpr_private_segment_wavefront_offset 0
		.amdhsa_system_sgpr_workgroup_id_x 1
		.amdhsa_system_sgpr_workgroup_id_y 0
		.amdhsa_system_sgpr_workgroup_id_z 0
		.amdhsa_system_sgpr_workgroup_info 0
		.amdhsa_system_vgpr_workitem_id 0
		.amdhsa_next_free_vgpr 1
		.amdhsa_next_free_sgpr 0
		.amdhsa_accum_offset 4
		.amdhsa_reserve_vcc 0
		.amdhsa_reserve_flat_scratch 0
		.amdhsa_float_round_mode_32 0
		.amdhsa_float_round_mode_16_64 0
		.amdhsa_float_denorm_mode_32 3
		.amdhsa_float_denorm_mode_16_64 3
		.amdhsa_dx10_clamp 1
		.amdhsa_ieee_mode 1
		.amdhsa_fp16_overflow 0
		.amdhsa_tg_split 0
		.amdhsa_exception_fp_ieee_invalid_op 0
		.amdhsa_exception_fp_denorm_src 0
		.amdhsa_exception_fp_ieee_div_zero 0
		.amdhsa_exception_fp_ieee_overflow 0
		.amdhsa_exception_fp_ieee_underflow 0
		.amdhsa_exception_fp_ieee_inexact 0
		.amdhsa_exception_int_div_zero 0
	.end_amdhsa_kernel
	.section	.text._ZN7rocprim17ROCPRIM_400000_NS6detail17trampoline_kernelINS0_14default_configENS1_27scan_by_key_config_selectorIxiEEZZNS1_16scan_by_key_implILNS1_25lookback_scan_determinismE0ELb1ES3_N6thrust23THRUST_200600_302600_NS6detail15normal_iteratorINS9_10device_ptrIxEEEESE_SE_iNS9_4plusIvEENS9_8equal_toIvEEiEE10hipError_tPvRmT2_T3_T4_T5_mT6_T7_P12ihipStream_tbENKUlT_T0_E_clISt17integral_constantIbLb1EESY_IbLb0EEEEDaSU_SV_EUlSU_E_NS1_11comp_targetILNS1_3genE8ELNS1_11target_archE1030ELNS1_3gpuE2ELNS1_3repE0EEENS1_30default_config_static_selectorELNS0_4arch9wavefront6targetE1EEEvT1_,"axG",@progbits,_ZN7rocprim17ROCPRIM_400000_NS6detail17trampoline_kernelINS0_14default_configENS1_27scan_by_key_config_selectorIxiEEZZNS1_16scan_by_key_implILNS1_25lookback_scan_determinismE0ELb1ES3_N6thrust23THRUST_200600_302600_NS6detail15normal_iteratorINS9_10device_ptrIxEEEESE_SE_iNS9_4plusIvEENS9_8equal_toIvEEiEE10hipError_tPvRmT2_T3_T4_T5_mT6_T7_P12ihipStream_tbENKUlT_T0_E_clISt17integral_constantIbLb1EESY_IbLb0EEEEDaSU_SV_EUlSU_E_NS1_11comp_targetILNS1_3genE8ELNS1_11target_archE1030ELNS1_3gpuE2ELNS1_3repE0EEENS1_30default_config_static_selectorELNS0_4arch9wavefront6targetE1EEEvT1_,comdat
.Lfunc_end1030:
	.size	_ZN7rocprim17ROCPRIM_400000_NS6detail17trampoline_kernelINS0_14default_configENS1_27scan_by_key_config_selectorIxiEEZZNS1_16scan_by_key_implILNS1_25lookback_scan_determinismE0ELb1ES3_N6thrust23THRUST_200600_302600_NS6detail15normal_iteratorINS9_10device_ptrIxEEEESE_SE_iNS9_4plusIvEENS9_8equal_toIvEEiEE10hipError_tPvRmT2_T3_T4_T5_mT6_T7_P12ihipStream_tbENKUlT_T0_E_clISt17integral_constantIbLb1EESY_IbLb0EEEEDaSU_SV_EUlSU_E_NS1_11comp_targetILNS1_3genE8ELNS1_11target_archE1030ELNS1_3gpuE2ELNS1_3repE0EEENS1_30default_config_static_selectorELNS0_4arch9wavefront6targetE1EEEvT1_, .Lfunc_end1030-_ZN7rocprim17ROCPRIM_400000_NS6detail17trampoline_kernelINS0_14default_configENS1_27scan_by_key_config_selectorIxiEEZZNS1_16scan_by_key_implILNS1_25lookback_scan_determinismE0ELb1ES3_N6thrust23THRUST_200600_302600_NS6detail15normal_iteratorINS9_10device_ptrIxEEEESE_SE_iNS9_4plusIvEENS9_8equal_toIvEEiEE10hipError_tPvRmT2_T3_T4_T5_mT6_T7_P12ihipStream_tbENKUlT_T0_E_clISt17integral_constantIbLb1EESY_IbLb0EEEEDaSU_SV_EUlSU_E_NS1_11comp_targetILNS1_3genE8ELNS1_11target_archE1030ELNS1_3gpuE2ELNS1_3repE0EEENS1_30default_config_static_selectorELNS0_4arch9wavefront6targetE1EEEvT1_
                                        ; -- End function
	.section	.AMDGPU.csdata,"",@progbits
; Kernel info:
; codeLenInByte = 0
; NumSgprs: 4
; NumVgprs: 0
; NumAgprs: 0
; TotalNumVgprs: 0
; ScratchSize: 0
; MemoryBound: 0
; FloatMode: 240
; IeeeMode: 1
; LDSByteSize: 0 bytes/workgroup (compile time only)
; SGPRBlocks: 0
; VGPRBlocks: 0
; NumSGPRsForWavesPerEU: 4
; NumVGPRsForWavesPerEU: 1
; AccumOffset: 4
; Occupancy: 8
; WaveLimiterHint : 0
; COMPUTE_PGM_RSRC2:SCRATCH_EN: 0
; COMPUTE_PGM_RSRC2:USER_SGPR: 6
; COMPUTE_PGM_RSRC2:TRAP_HANDLER: 0
; COMPUTE_PGM_RSRC2:TGID_X_EN: 1
; COMPUTE_PGM_RSRC2:TGID_Y_EN: 0
; COMPUTE_PGM_RSRC2:TGID_Z_EN: 0
; COMPUTE_PGM_RSRC2:TIDIG_COMP_CNT: 0
; COMPUTE_PGM_RSRC3_GFX90A:ACCUM_OFFSET: 0
; COMPUTE_PGM_RSRC3_GFX90A:TG_SPLIT: 0
	.section	.text._ZN7rocprim17ROCPRIM_400000_NS6detail30init_device_scan_by_key_kernelINS1_19lookback_scan_stateINS0_5tupleIJibEEELb0ELb1EEEN6thrust23THRUST_200600_302600_NS6detail15normal_iteratorINS8_10device_ptrIxEEEEjNS1_16block_id_wrapperIjLb1EEEEEvT_jjPNSG_10value_typeET0_PNSt15iterator_traitsISJ_E10value_typeEmT1_T2_,"axG",@progbits,_ZN7rocprim17ROCPRIM_400000_NS6detail30init_device_scan_by_key_kernelINS1_19lookback_scan_stateINS0_5tupleIJibEEELb0ELb1EEEN6thrust23THRUST_200600_302600_NS6detail15normal_iteratorINS8_10device_ptrIxEEEEjNS1_16block_id_wrapperIjLb1EEEEEvT_jjPNSG_10value_typeET0_PNSt15iterator_traitsISJ_E10value_typeEmT1_T2_,comdat
	.protected	_ZN7rocprim17ROCPRIM_400000_NS6detail30init_device_scan_by_key_kernelINS1_19lookback_scan_stateINS0_5tupleIJibEEELb0ELb1EEEN6thrust23THRUST_200600_302600_NS6detail15normal_iteratorINS8_10device_ptrIxEEEEjNS1_16block_id_wrapperIjLb1EEEEEvT_jjPNSG_10value_typeET0_PNSt15iterator_traitsISJ_E10value_typeEmT1_T2_ ; -- Begin function _ZN7rocprim17ROCPRIM_400000_NS6detail30init_device_scan_by_key_kernelINS1_19lookback_scan_stateINS0_5tupleIJibEEELb0ELb1EEEN6thrust23THRUST_200600_302600_NS6detail15normal_iteratorINS8_10device_ptrIxEEEEjNS1_16block_id_wrapperIjLb1EEEEEvT_jjPNSG_10value_typeET0_PNSt15iterator_traitsISJ_E10value_typeEmT1_T2_
	.globl	_ZN7rocprim17ROCPRIM_400000_NS6detail30init_device_scan_by_key_kernelINS1_19lookback_scan_stateINS0_5tupleIJibEEELb0ELb1EEEN6thrust23THRUST_200600_302600_NS6detail15normal_iteratorINS8_10device_ptrIxEEEEjNS1_16block_id_wrapperIjLb1EEEEEvT_jjPNSG_10value_typeET0_PNSt15iterator_traitsISJ_E10value_typeEmT1_T2_
	.p2align	8
	.type	_ZN7rocprim17ROCPRIM_400000_NS6detail30init_device_scan_by_key_kernelINS1_19lookback_scan_stateINS0_5tupleIJibEEELb0ELb1EEEN6thrust23THRUST_200600_302600_NS6detail15normal_iteratorINS8_10device_ptrIxEEEEjNS1_16block_id_wrapperIjLb1EEEEEvT_jjPNSG_10value_typeET0_PNSt15iterator_traitsISJ_E10value_typeEmT1_T2_,@function
_ZN7rocprim17ROCPRIM_400000_NS6detail30init_device_scan_by_key_kernelINS1_19lookback_scan_stateINS0_5tupleIJibEEELb0ELb1EEEN6thrust23THRUST_200600_302600_NS6detail15normal_iteratorINS8_10device_ptrIxEEEEjNS1_16block_id_wrapperIjLb1EEEEEvT_jjPNSG_10value_typeET0_PNSt15iterator_traitsISJ_E10value_typeEmT1_T2_: ; @_ZN7rocprim17ROCPRIM_400000_NS6detail30init_device_scan_by_key_kernelINS1_19lookback_scan_stateINS0_5tupleIJibEEELb0ELb1EEEN6thrust23THRUST_200600_302600_NS6detail15normal_iteratorINS8_10device_ptrIxEEEEjNS1_16block_id_wrapperIjLb1EEEEEvT_jjPNSG_10value_typeET0_PNSt15iterator_traitsISJ_E10value_typeEmT1_T2_
; %bb.0:
	s_load_dword s0, s[4:5], 0x4c
	s_load_dwordx8 s[8:15], s[4:5], 0x0
	s_load_dword s18, s[4:5], 0x40
	s_waitcnt lgkmcnt(0)
	s_and_b32 s19, s0, 0xffff
	s_mul_i32 s6, s6, s19
	s_cmp_eq_u64 s[12:13], 0
	v_add_u32_e32 v4, s6, v0
	s_cbranch_scc1 .LBB1031_8
; %bb.1:
	s_cmp_lt_u32 s11, s10
	s_cselect_b32 s0, s11, 0
	s_mov_b32 s3, 0
	v_cmp_eq_u32_e32 vcc, s0, v4
	s_and_saveexec_b64 s[0:1], vcc
	s_cbranch_execz .LBB1031_7
; %bb.2:
	s_add_i32 s2, s11, 64
	s_lshl_b64 s[2:3], s[2:3], 4
	s_add_u32 s16, s8, s2
	s_addc_u32 s17, s9, s3
	v_pk_mov_b32 v[0:1], s[16:17], s[16:17] op_sel:[0,1]
	;;#ASMSTART
	global_load_dwordx4 v[0:3], v[0:1] off glc	
s_waitcnt vmcnt(0)
	;;#ASMEND
	v_mov_b32_e32 v7, 0
	v_and_b32_e32 v6, 0xff, v2
	s_mov_b64 s[6:7], 0
	v_cmp_eq_u64_e32 vcc, 0, v[6:7]
	s_and_saveexec_b64 s[2:3], vcc
	s_cbranch_execz .LBB1031_6
; %bb.3:
	v_pk_mov_b32 v[8:9], s[16:17], s[16:17] op_sel:[0,1]
.LBB1031_4:                             ; =>This Inner Loop Header: Depth=1
	;;#ASMSTART
	global_load_dwordx4 v[0:3], v[8:9] off glc	
s_waitcnt vmcnt(0)
	;;#ASMEND
	v_and_b32_e32 v6, 0xff, v2
	v_cmp_ne_u64_e32 vcc, 0, v[6:7]
	s_or_b64 s[6:7], vcc, s[6:7]
	s_andn2_b64 exec, exec, s[6:7]
	s_cbranch_execnz .LBB1031_4
; %bb.5:
	s_or_b64 exec, exec, s[6:7]
.LBB1031_6:
	s_or_b64 exec, exec, s[2:3]
	v_mov_b32_e32 v2, 0
	global_store_dword v2, v0, s[12:13]
	global_store_byte v2, v1, s[12:13] offset:4
.LBB1031_7:
	s_or_b64 exec, exec, s[0:1]
.LBB1031_8:
	v_cmp_eq_u32_e32 vcc, 0, v4
	s_and_saveexec_b64 s[0:1], vcc
	s_cbranch_execz .LBB1031_10
; %bb.9:
	s_load_dwordx2 s[2:3], s[4:5], 0x38
	v_mov_b32_e32 v0, 0
	s_waitcnt lgkmcnt(0)
	global_store_dword v0, v0, s[2:3]
.LBB1031_10:
	s_or_b64 exec, exec, s[0:1]
	v_cmp_gt_u32_e32 vcc, s10, v4
	s_and_saveexec_b64 s[0:1], vcc
	s_cbranch_execz .LBB1031_12
; %bb.11:
	v_add_u32_e32 v0, 64, v4
	v_mov_b32_e32 v1, 0
	v_lshlrev_b64 v[2:3], 4, v[0:1]
	v_mov_b32_e32 v0, s9
	v_add_co_u32_e32 v6, vcc, s8, v2
	v_addc_co_u32_e32 v7, vcc, v0, v3, vcc
	v_mov_b32_e32 v0, v1
	v_mov_b32_e32 v2, v1
	;; [unrolled: 1-line block ×3, first 2 shown]
	global_store_dwordx4 v[6:7], v[0:3], off
.LBB1031_12:
	s_or_b64 exec, exec, s[0:1]
	v_cmp_gt_u32_e32 vcc, 64, v4
	v_mov_b32_e32 v5, 0
	s_and_saveexec_b64 s[0:1], vcc
	s_cbranch_execz .LBB1031_14
; %bb.13:
	v_lshlrev_b64 v[0:1], 4, v[4:5]
	v_mov_b32_e32 v2, s9
	v_add_co_u32_e32 v6, vcc, s8, v0
	v_addc_co_u32_e32 v7, vcc, v2, v1, vcc
	v_mov_b32_e32 v2, 0xff
	v_mov_b32_e32 v0, v5
	;; [unrolled: 1-line block ×4, first 2 shown]
	global_store_dwordx4 v[6:7], v[0:3], off
.LBB1031_14:
	s_or_b64 exec, exec, s[0:1]
	s_load_dwordx2 s[0:1], s[4:5], 0x28
	s_waitcnt lgkmcnt(0)
	v_cmp_gt_u64_e32 vcc, s[0:1], v[4:5]
	s_and_saveexec_b64 s[2:3], vcc
	s_cbranch_execz .LBB1031_17
; %bb.15:
	s_load_dword s10, s[4:5], 0x30
	s_load_dwordx2 s[6:7], s[4:5], 0x20
	s_mov_b32 s5, 0
	s_mov_b32 s3, s5
	s_mul_i32 s2, s18, s19
	s_waitcnt lgkmcnt(0)
	s_add_i32 s4, s10, -1
	s_lshl_b64 s[4:5], s[4:5], 3
	v_mad_u64_u32 v[0:1], s[8:9], s10, v4, 0
	s_add_u32 s4, s14, s4
	v_lshlrev_b64 v[0:1], 3, v[0:1]
	s_addc_u32 s5, s15, s5
	v_mov_b32_e32 v2, s5
	v_add_co_u32_e32 v0, vcc, s4, v0
	v_addc_co_u32_e32 v1, vcc, v2, v1, vcc
	s_mul_hi_u32 s5, s10, s2
	s_mul_i32 s4, s10, s2
	v_lshlrev_b64 v[2:3], 3, v[4:5]
	s_lshl_b64 s[4:5], s[4:5], 3
	v_mov_b32_e32 v6, s7
	v_add_co_u32_e32 v2, vcc, s6, v2
	s_lshl_b64 s[6:7], s[2:3], 3
	v_addc_co_u32_e32 v3, vcc, v6, v3, vcc
	s_mov_b64 s[8:9], 0
	v_mov_b32_e32 v6, s3
	v_mov_b32_e32 v7, s5
	;; [unrolled: 1-line block ×3, first 2 shown]
.LBB1031_16:                            ; =>This Inner Loop Header: Depth=1
	global_load_dwordx2 v[10:11], v[0:1], off
	v_add_co_u32_e32 v4, vcc, s2, v4
	v_addc_co_u32_e32 v5, vcc, v5, v6, vcc
	v_add_co_u32_e32 v0, vcc, s4, v0
	v_addc_co_u32_e32 v1, vcc, v1, v7, vcc
	v_cmp_le_u64_e32 vcc, s[0:1], v[4:5]
	s_or_b64 s[8:9], vcc, s[8:9]
	s_waitcnt vmcnt(0)
	global_store_dwordx2 v[2:3], v[10:11], off
	v_add_co_u32_e32 v2, vcc, s6, v2
	v_addc_co_u32_e32 v3, vcc, v3, v8, vcc
	s_andn2_b64 exec, exec, s[8:9]
	s_cbranch_execnz .LBB1031_16
.LBB1031_17:
	s_endpgm
	.section	.rodata,"a",@progbits
	.p2align	6, 0x0
	.amdhsa_kernel _ZN7rocprim17ROCPRIM_400000_NS6detail30init_device_scan_by_key_kernelINS1_19lookback_scan_stateINS0_5tupleIJibEEELb0ELb1EEEN6thrust23THRUST_200600_302600_NS6detail15normal_iteratorINS8_10device_ptrIxEEEEjNS1_16block_id_wrapperIjLb1EEEEEvT_jjPNSG_10value_typeET0_PNSt15iterator_traitsISJ_E10value_typeEmT1_T2_
		.amdhsa_group_segment_fixed_size 0
		.amdhsa_private_segment_fixed_size 0
		.amdhsa_kernarg_size 320
		.amdhsa_user_sgpr_count 6
		.amdhsa_user_sgpr_private_segment_buffer 1
		.amdhsa_user_sgpr_dispatch_ptr 0
		.amdhsa_user_sgpr_queue_ptr 0
		.amdhsa_user_sgpr_kernarg_segment_ptr 1
		.amdhsa_user_sgpr_dispatch_id 0
		.amdhsa_user_sgpr_flat_scratch_init 0
		.amdhsa_user_sgpr_kernarg_preload_length 0
		.amdhsa_user_sgpr_kernarg_preload_offset 0
		.amdhsa_user_sgpr_private_segment_size 0
		.amdhsa_uses_dynamic_stack 0
		.amdhsa_system_sgpr_private_segment_wavefront_offset 0
		.amdhsa_system_sgpr_workgroup_id_x 1
		.amdhsa_system_sgpr_workgroup_id_y 0
		.amdhsa_system_sgpr_workgroup_id_z 0
		.amdhsa_system_sgpr_workgroup_info 0
		.amdhsa_system_vgpr_workitem_id 0
		.amdhsa_next_free_vgpr 12
		.amdhsa_next_free_sgpr 20
		.amdhsa_accum_offset 12
		.amdhsa_reserve_vcc 1
		.amdhsa_reserve_flat_scratch 0
		.amdhsa_float_round_mode_32 0
		.amdhsa_float_round_mode_16_64 0
		.amdhsa_float_denorm_mode_32 3
		.amdhsa_float_denorm_mode_16_64 3
		.amdhsa_dx10_clamp 1
		.amdhsa_ieee_mode 1
		.amdhsa_fp16_overflow 0
		.amdhsa_tg_split 0
		.amdhsa_exception_fp_ieee_invalid_op 0
		.amdhsa_exception_fp_denorm_src 0
		.amdhsa_exception_fp_ieee_div_zero 0
		.amdhsa_exception_fp_ieee_overflow 0
		.amdhsa_exception_fp_ieee_underflow 0
		.amdhsa_exception_fp_ieee_inexact 0
		.amdhsa_exception_int_div_zero 0
	.end_amdhsa_kernel
	.section	.text._ZN7rocprim17ROCPRIM_400000_NS6detail30init_device_scan_by_key_kernelINS1_19lookback_scan_stateINS0_5tupleIJibEEELb0ELb1EEEN6thrust23THRUST_200600_302600_NS6detail15normal_iteratorINS8_10device_ptrIxEEEEjNS1_16block_id_wrapperIjLb1EEEEEvT_jjPNSG_10value_typeET0_PNSt15iterator_traitsISJ_E10value_typeEmT1_T2_,"axG",@progbits,_ZN7rocprim17ROCPRIM_400000_NS6detail30init_device_scan_by_key_kernelINS1_19lookback_scan_stateINS0_5tupleIJibEEELb0ELb1EEEN6thrust23THRUST_200600_302600_NS6detail15normal_iteratorINS8_10device_ptrIxEEEEjNS1_16block_id_wrapperIjLb1EEEEEvT_jjPNSG_10value_typeET0_PNSt15iterator_traitsISJ_E10value_typeEmT1_T2_,comdat
.Lfunc_end1031:
	.size	_ZN7rocprim17ROCPRIM_400000_NS6detail30init_device_scan_by_key_kernelINS1_19lookback_scan_stateINS0_5tupleIJibEEELb0ELb1EEEN6thrust23THRUST_200600_302600_NS6detail15normal_iteratorINS8_10device_ptrIxEEEEjNS1_16block_id_wrapperIjLb1EEEEEvT_jjPNSG_10value_typeET0_PNSt15iterator_traitsISJ_E10value_typeEmT1_T2_, .Lfunc_end1031-_ZN7rocprim17ROCPRIM_400000_NS6detail30init_device_scan_by_key_kernelINS1_19lookback_scan_stateINS0_5tupleIJibEEELb0ELb1EEEN6thrust23THRUST_200600_302600_NS6detail15normal_iteratorINS8_10device_ptrIxEEEEjNS1_16block_id_wrapperIjLb1EEEEEvT_jjPNSG_10value_typeET0_PNSt15iterator_traitsISJ_E10value_typeEmT1_T2_
                                        ; -- End function
	.section	.AMDGPU.csdata,"",@progbits
; Kernel info:
; codeLenInByte = 612
; NumSgprs: 24
; NumVgprs: 12
; NumAgprs: 0
; TotalNumVgprs: 12
; ScratchSize: 0
; MemoryBound: 0
; FloatMode: 240
; IeeeMode: 1
; LDSByteSize: 0 bytes/workgroup (compile time only)
; SGPRBlocks: 2
; VGPRBlocks: 1
; NumSGPRsForWavesPerEU: 24
; NumVGPRsForWavesPerEU: 12
; AccumOffset: 12
; Occupancy: 8
; WaveLimiterHint : 0
; COMPUTE_PGM_RSRC2:SCRATCH_EN: 0
; COMPUTE_PGM_RSRC2:USER_SGPR: 6
; COMPUTE_PGM_RSRC2:TRAP_HANDLER: 0
; COMPUTE_PGM_RSRC2:TGID_X_EN: 1
; COMPUTE_PGM_RSRC2:TGID_Y_EN: 0
; COMPUTE_PGM_RSRC2:TGID_Z_EN: 0
; COMPUTE_PGM_RSRC2:TIDIG_COMP_CNT: 0
; COMPUTE_PGM_RSRC3_GFX90A:ACCUM_OFFSET: 2
; COMPUTE_PGM_RSRC3_GFX90A:TG_SPLIT: 0
	.section	.text._ZN7rocprim17ROCPRIM_400000_NS6detail17trampoline_kernelINS0_14default_configENS1_27scan_by_key_config_selectorIxiEEZZNS1_16scan_by_key_implILNS1_25lookback_scan_determinismE0ELb1ES3_N6thrust23THRUST_200600_302600_NS6detail15normal_iteratorINS9_10device_ptrIxEEEESE_SE_iNS9_4plusIvEENS9_8equal_toIvEEiEE10hipError_tPvRmT2_T3_T4_T5_mT6_T7_P12ihipStream_tbENKUlT_T0_E_clISt17integral_constantIbLb0EESY_IbLb1EEEEDaSU_SV_EUlSU_E_NS1_11comp_targetILNS1_3genE0ELNS1_11target_archE4294967295ELNS1_3gpuE0ELNS1_3repE0EEENS1_30default_config_static_selectorELNS0_4arch9wavefront6targetE1EEEvT1_,"axG",@progbits,_ZN7rocprim17ROCPRIM_400000_NS6detail17trampoline_kernelINS0_14default_configENS1_27scan_by_key_config_selectorIxiEEZZNS1_16scan_by_key_implILNS1_25lookback_scan_determinismE0ELb1ES3_N6thrust23THRUST_200600_302600_NS6detail15normal_iteratorINS9_10device_ptrIxEEEESE_SE_iNS9_4plusIvEENS9_8equal_toIvEEiEE10hipError_tPvRmT2_T3_T4_T5_mT6_T7_P12ihipStream_tbENKUlT_T0_E_clISt17integral_constantIbLb0EESY_IbLb1EEEEDaSU_SV_EUlSU_E_NS1_11comp_targetILNS1_3genE0ELNS1_11target_archE4294967295ELNS1_3gpuE0ELNS1_3repE0EEENS1_30default_config_static_selectorELNS0_4arch9wavefront6targetE1EEEvT1_,comdat
	.protected	_ZN7rocprim17ROCPRIM_400000_NS6detail17trampoline_kernelINS0_14default_configENS1_27scan_by_key_config_selectorIxiEEZZNS1_16scan_by_key_implILNS1_25lookback_scan_determinismE0ELb1ES3_N6thrust23THRUST_200600_302600_NS6detail15normal_iteratorINS9_10device_ptrIxEEEESE_SE_iNS9_4plusIvEENS9_8equal_toIvEEiEE10hipError_tPvRmT2_T3_T4_T5_mT6_T7_P12ihipStream_tbENKUlT_T0_E_clISt17integral_constantIbLb0EESY_IbLb1EEEEDaSU_SV_EUlSU_E_NS1_11comp_targetILNS1_3genE0ELNS1_11target_archE4294967295ELNS1_3gpuE0ELNS1_3repE0EEENS1_30default_config_static_selectorELNS0_4arch9wavefront6targetE1EEEvT1_ ; -- Begin function _ZN7rocprim17ROCPRIM_400000_NS6detail17trampoline_kernelINS0_14default_configENS1_27scan_by_key_config_selectorIxiEEZZNS1_16scan_by_key_implILNS1_25lookback_scan_determinismE0ELb1ES3_N6thrust23THRUST_200600_302600_NS6detail15normal_iteratorINS9_10device_ptrIxEEEESE_SE_iNS9_4plusIvEENS9_8equal_toIvEEiEE10hipError_tPvRmT2_T3_T4_T5_mT6_T7_P12ihipStream_tbENKUlT_T0_E_clISt17integral_constantIbLb0EESY_IbLb1EEEEDaSU_SV_EUlSU_E_NS1_11comp_targetILNS1_3genE0ELNS1_11target_archE4294967295ELNS1_3gpuE0ELNS1_3repE0EEENS1_30default_config_static_selectorELNS0_4arch9wavefront6targetE1EEEvT1_
	.globl	_ZN7rocprim17ROCPRIM_400000_NS6detail17trampoline_kernelINS0_14default_configENS1_27scan_by_key_config_selectorIxiEEZZNS1_16scan_by_key_implILNS1_25lookback_scan_determinismE0ELb1ES3_N6thrust23THRUST_200600_302600_NS6detail15normal_iteratorINS9_10device_ptrIxEEEESE_SE_iNS9_4plusIvEENS9_8equal_toIvEEiEE10hipError_tPvRmT2_T3_T4_T5_mT6_T7_P12ihipStream_tbENKUlT_T0_E_clISt17integral_constantIbLb0EESY_IbLb1EEEEDaSU_SV_EUlSU_E_NS1_11comp_targetILNS1_3genE0ELNS1_11target_archE4294967295ELNS1_3gpuE0ELNS1_3repE0EEENS1_30default_config_static_selectorELNS0_4arch9wavefront6targetE1EEEvT1_
	.p2align	8
	.type	_ZN7rocprim17ROCPRIM_400000_NS6detail17trampoline_kernelINS0_14default_configENS1_27scan_by_key_config_selectorIxiEEZZNS1_16scan_by_key_implILNS1_25lookback_scan_determinismE0ELb1ES3_N6thrust23THRUST_200600_302600_NS6detail15normal_iteratorINS9_10device_ptrIxEEEESE_SE_iNS9_4plusIvEENS9_8equal_toIvEEiEE10hipError_tPvRmT2_T3_T4_T5_mT6_T7_P12ihipStream_tbENKUlT_T0_E_clISt17integral_constantIbLb0EESY_IbLb1EEEEDaSU_SV_EUlSU_E_NS1_11comp_targetILNS1_3genE0ELNS1_11target_archE4294967295ELNS1_3gpuE0ELNS1_3repE0EEENS1_30default_config_static_selectorELNS0_4arch9wavefront6targetE1EEEvT1_,@function
_ZN7rocprim17ROCPRIM_400000_NS6detail17trampoline_kernelINS0_14default_configENS1_27scan_by_key_config_selectorIxiEEZZNS1_16scan_by_key_implILNS1_25lookback_scan_determinismE0ELb1ES3_N6thrust23THRUST_200600_302600_NS6detail15normal_iteratorINS9_10device_ptrIxEEEESE_SE_iNS9_4plusIvEENS9_8equal_toIvEEiEE10hipError_tPvRmT2_T3_T4_T5_mT6_T7_P12ihipStream_tbENKUlT_T0_E_clISt17integral_constantIbLb0EESY_IbLb1EEEEDaSU_SV_EUlSU_E_NS1_11comp_targetILNS1_3genE0ELNS1_11target_archE4294967295ELNS1_3gpuE0ELNS1_3repE0EEENS1_30default_config_static_selectorELNS0_4arch9wavefront6targetE1EEEvT1_: ; @_ZN7rocprim17ROCPRIM_400000_NS6detail17trampoline_kernelINS0_14default_configENS1_27scan_by_key_config_selectorIxiEEZZNS1_16scan_by_key_implILNS1_25lookback_scan_determinismE0ELb1ES3_N6thrust23THRUST_200600_302600_NS6detail15normal_iteratorINS9_10device_ptrIxEEEESE_SE_iNS9_4plusIvEENS9_8equal_toIvEEiEE10hipError_tPvRmT2_T3_T4_T5_mT6_T7_P12ihipStream_tbENKUlT_T0_E_clISt17integral_constantIbLb0EESY_IbLb1EEEEDaSU_SV_EUlSU_E_NS1_11comp_targetILNS1_3genE0ELNS1_11target_archE4294967295ELNS1_3gpuE0ELNS1_3repE0EEENS1_30default_config_static_selectorELNS0_4arch9wavefront6targetE1EEEvT1_
; %bb.0:
	.section	.rodata,"a",@progbits
	.p2align	6, 0x0
	.amdhsa_kernel _ZN7rocprim17ROCPRIM_400000_NS6detail17trampoline_kernelINS0_14default_configENS1_27scan_by_key_config_selectorIxiEEZZNS1_16scan_by_key_implILNS1_25lookback_scan_determinismE0ELb1ES3_N6thrust23THRUST_200600_302600_NS6detail15normal_iteratorINS9_10device_ptrIxEEEESE_SE_iNS9_4plusIvEENS9_8equal_toIvEEiEE10hipError_tPvRmT2_T3_T4_T5_mT6_T7_P12ihipStream_tbENKUlT_T0_E_clISt17integral_constantIbLb0EESY_IbLb1EEEEDaSU_SV_EUlSU_E_NS1_11comp_targetILNS1_3genE0ELNS1_11target_archE4294967295ELNS1_3gpuE0ELNS1_3repE0EEENS1_30default_config_static_selectorELNS0_4arch9wavefront6targetE1EEEvT1_
		.amdhsa_group_segment_fixed_size 0
		.amdhsa_private_segment_fixed_size 0
		.amdhsa_kernarg_size 112
		.amdhsa_user_sgpr_count 6
		.amdhsa_user_sgpr_private_segment_buffer 1
		.amdhsa_user_sgpr_dispatch_ptr 0
		.amdhsa_user_sgpr_queue_ptr 0
		.amdhsa_user_sgpr_kernarg_segment_ptr 1
		.amdhsa_user_sgpr_dispatch_id 0
		.amdhsa_user_sgpr_flat_scratch_init 0
		.amdhsa_user_sgpr_kernarg_preload_length 0
		.amdhsa_user_sgpr_kernarg_preload_offset 0
		.amdhsa_user_sgpr_private_segment_size 0
		.amdhsa_uses_dynamic_stack 0
		.amdhsa_system_sgpr_private_segment_wavefront_offset 0
		.amdhsa_system_sgpr_workgroup_id_x 1
		.amdhsa_system_sgpr_workgroup_id_y 0
		.amdhsa_system_sgpr_workgroup_id_z 0
		.amdhsa_system_sgpr_workgroup_info 0
		.amdhsa_system_vgpr_workitem_id 0
		.amdhsa_next_free_vgpr 1
		.amdhsa_next_free_sgpr 0
		.amdhsa_accum_offset 4
		.amdhsa_reserve_vcc 0
		.amdhsa_reserve_flat_scratch 0
		.amdhsa_float_round_mode_32 0
		.amdhsa_float_round_mode_16_64 0
		.amdhsa_float_denorm_mode_32 3
		.amdhsa_float_denorm_mode_16_64 3
		.amdhsa_dx10_clamp 1
		.amdhsa_ieee_mode 1
		.amdhsa_fp16_overflow 0
		.amdhsa_tg_split 0
		.amdhsa_exception_fp_ieee_invalid_op 0
		.amdhsa_exception_fp_denorm_src 0
		.amdhsa_exception_fp_ieee_div_zero 0
		.amdhsa_exception_fp_ieee_overflow 0
		.amdhsa_exception_fp_ieee_underflow 0
		.amdhsa_exception_fp_ieee_inexact 0
		.amdhsa_exception_int_div_zero 0
	.end_amdhsa_kernel
	.section	.text._ZN7rocprim17ROCPRIM_400000_NS6detail17trampoline_kernelINS0_14default_configENS1_27scan_by_key_config_selectorIxiEEZZNS1_16scan_by_key_implILNS1_25lookback_scan_determinismE0ELb1ES3_N6thrust23THRUST_200600_302600_NS6detail15normal_iteratorINS9_10device_ptrIxEEEESE_SE_iNS9_4plusIvEENS9_8equal_toIvEEiEE10hipError_tPvRmT2_T3_T4_T5_mT6_T7_P12ihipStream_tbENKUlT_T0_E_clISt17integral_constantIbLb0EESY_IbLb1EEEEDaSU_SV_EUlSU_E_NS1_11comp_targetILNS1_3genE0ELNS1_11target_archE4294967295ELNS1_3gpuE0ELNS1_3repE0EEENS1_30default_config_static_selectorELNS0_4arch9wavefront6targetE1EEEvT1_,"axG",@progbits,_ZN7rocprim17ROCPRIM_400000_NS6detail17trampoline_kernelINS0_14default_configENS1_27scan_by_key_config_selectorIxiEEZZNS1_16scan_by_key_implILNS1_25lookback_scan_determinismE0ELb1ES3_N6thrust23THRUST_200600_302600_NS6detail15normal_iteratorINS9_10device_ptrIxEEEESE_SE_iNS9_4plusIvEENS9_8equal_toIvEEiEE10hipError_tPvRmT2_T3_T4_T5_mT6_T7_P12ihipStream_tbENKUlT_T0_E_clISt17integral_constantIbLb0EESY_IbLb1EEEEDaSU_SV_EUlSU_E_NS1_11comp_targetILNS1_3genE0ELNS1_11target_archE4294967295ELNS1_3gpuE0ELNS1_3repE0EEENS1_30default_config_static_selectorELNS0_4arch9wavefront6targetE1EEEvT1_,comdat
.Lfunc_end1032:
	.size	_ZN7rocprim17ROCPRIM_400000_NS6detail17trampoline_kernelINS0_14default_configENS1_27scan_by_key_config_selectorIxiEEZZNS1_16scan_by_key_implILNS1_25lookback_scan_determinismE0ELb1ES3_N6thrust23THRUST_200600_302600_NS6detail15normal_iteratorINS9_10device_ptrIxEEEESE_SE_iNS9_4plusIvEENS9_8equal_toIvEEiEE10hipError_tPvRmT2_T3_T4_T5_mT6_T7_P12ihipStream_tbENKUlT_T0_E_clISt17integral_constantIbLb0EESY_IbLb1EEEEDaSU_SV_EUlSU_E_NS1_11comp_targetILNS1_3genE0ELNS1_11target_archE4294967295ELNS1_3gpuE0ELNS1_3repE0EEENS1_30default_config_static_selectorELNS0_4arch9wavefront6targetE1EEEvT1_, .Lfunc_end1032-_ZN7rocprim17ROCPRIM_400000_NS6detail17trampoline_kernelINS0_14default_configENS1_27scan_by_key_config_selectorIxiEEZZNS1_16scan_by_key_implILNS1_25lookback_scan_determinismE0ELb1ES3_N6thrust23THRUST_200600_302600_NS6detail15normal_iteratorINS9_10device_ptrIxEEEESE_SE_iNS9_4plusIvEENS9_8equal_toIvEEiEE10hipError_tPvRmT2_T3_T4_T5_mT6_T7_P12ihipStream_tbENKUlT_T0_E_clISt17integral_constantIbLb0EESY_IbLb1EEEEDaSU_SV_EUlSU_E_NS1_11comp_targetILNS1_3genE0ELNS1_11target_archE4294967295ELNS1_3gpuE0ELNS1_3repE0EEENS1_30default_config_static_selectorELNS0_4arch9wavefront6targetE1EEEvT1_
                                        ; -- End function
	.section	.AMDGPU.csdata,"",@progbits
; Kernel info:
; codeLenInByte = 0
; NumSgprs: 4
; NumVgprs: 0
; NumAgprs: 0
; TotalNumVgprs: 0
; ScratchSize: 0
; MemoryBound: 0
; FloatMode: 240
; IeeeMode: 1
; LDSByteSize: 0 bytes/workgroup (compile time only)
; SGPRBlocks: 0
; VGPRBlocks: 0
; NumSGPRsForWavesPerEU: 4
; NumVGPRsForWavesPerEU: 1
; AccumOffset: 4
; Occupancy: 8
; WaveLimiterHint : 0
; COMPUTE_PGM_RSRC2:SCRATCH_EN: 0
; COMPUTE_PGM_RSRC2:USER_SGPR: 6
; COMPUTE_PGM_RSRC2:TRAP_HANDLER: 0
; COMPUTE_PGM_RSRC2:TGID_X_EN: 1
; COMPUTE_PGM_RSRC2:TGID_Y_EN: 0
; COMPUTE_PGM_RSRC2:TGID_Z_EN: 0
; COMPUTE_PGM_RSRC2:TIDIG_COMP_CNT: 0
; COMPUTE_PGM_RSRC3_GFX90A:ACCUM_OFFSET: 0
; COMPUTE_PGM_RSRC3_GFX90A:TG_SPLIT: 0
	.section	.text._ZN7rocprim17ROCPRIM_400000_NS6detail17trampoline_kernelINS0_14default_configENS1_27scan_by_key_config_selectorIxiEEZZNS1_16scan_by_key_implILNS1_25lookback_scan_determinismE0ELb1ES3_N6thrust23THRUST_200600_302600_NS6detail15normal_iteratorINS9_10device_ptrIxEEEESE_SE_iNS9_4plusIvEENS9_8equal_toIvEEiEE10hipError_tPvRmT2_T3_T4_T5_mT6_T7_P12ihipStream_tbENKUlT_T0_E_clISt17integral_constantIbLb0EESY_IbLb1EEEEDaSU_SV_EUlSU_E_NS1_11comp_targetILNS1_3genE10ELNS1_11target_archE1201ELNS1_3gpuE5ELNS1_3repE0EEENS1_30default_config_static_selectorELNS0_4arch9wavefront6targetE1EEEvT1_,"axG",@progbits,_ZN7rocprim17ROCPRIM_400000_NS6detail17trampoline_kernelINS0_14default_configENS1_27scan_by_key_config_selectorIxiEEZZNS1_16scan_by_key_implILNS1_25lookback_scan_determinismE0ELb1ES3_N6thrust23THRUST_200600_302600_NS6detail15normal_iteratorINS9_10device_ptrIxEEEESE_SE_iNS9_4plusIvEENS9_8equal_toIvEEiEE10hipError_tPvRmT2_T3_T4_T5_mT6_T7_P12ihipStream_tbENKUlT_T0_E_clISt17integral_constantIbLb0EESY_IbLb1EEEEDaSU_SV_EUlSU_E_NS1_11comp_targetILNS1_3genE10ELNS1_11target_archE1201ELNS1_3gpuE5ELNS1_3repE0EEENS1_30default_config_static_selectorELNS0_4arch9wavefront6targetE1EEEvT1_,comdat
	.protected	_ZN7rocprim17ROCPRIM_400000_NS6detail17trampoline_kernelINS0_14default_configENS1_27scan_by_key_config_selectorIxiEEZZNS1_16scan_by_key_implILNS1_25lookback_scan_determinismE0ELb1ES3_N6thrust23THRUST_200600_302600_NS6detail15normal_iteratorINS9_10device_ptrIxEEEESE_SE_iNS9_4plusIvEENS9_8equal_toIvEEiEE10hipError_tPvRmT2_T3_T4_T5_mT6_T7_P12ihipStream_tbENKUlT_T0_E_clISt17integral_constantIbLb0EESY_IbLb1EEEEDaSU_SV_EUlSU_E_NS1_11comp_targetILNS1_3genE10ELNS1_11target_archE1201ELNS1_3gpuE5ELNS1_3repE0EEENS1_30default_config_static_selectorELNS0_4arch9wavefront6targetE1EEEvT1_ ; -- Begin function _ZN7rocprim17ROCPRIM_400000_NS6detail17trampoline_kernelINS0_14default_configENS1_27scan_by_key_config_selectorIxiEEZZNS1_16scan_by_key_implILNS1_25lookback_scan_determinismE0ELb1ES3_N6thrust23THRUST_200600_302600_NS6detail15normal_iteratorINS9_10device_ptrIxEEEESE_SE_iNS9_4plusIvEENS9_8equal_toIvEEiEE10hipError_tPvRmT2_T3_T4_T5_mT6_T7_P12ihipStream_tbENKUlT_T0_E_clISt17integral_constantIbLb0EESY_IbLb1EEEEDaSU_SV_EUlSU_E_NS1_11comp_targetILNS1_3genE10ELNS1_11target_archE1201ELNS1_3gpuE5ELNS1_3repE0EEENS1_30default_config_static_selectorELNS0_4arch9wavefront6targetE1EEEvT1_
	.globl	_ZN7rocprim17ROCPRIM_400000_NS6detail17trampoline_kernelINS0_14default_configENS1_27scan_by_key_config_selectorIxiEEZZNS1_16scan_by_key_implILNS1_25lookback_scan_determinismE0ELb1ES3_N6thrust23THRUST_200600_302600_NS6detail15normal_iteratorINS9_10device_ptrIxEEEESE_SE_iNS9_4plusIvEENS9_8equal_toIvEEiEE10hipError_tPvRmT2_T3_T4_T5_mT6_T7_P12ihipStream_tbENKUlT_T0_E_clISt17integral_constantIbLb0EESY_IbLb1EEEEDaSU_SV_EUlSU_E_NS1_11comp_targetILNS1_3genE10ELNS1_11target_archE1201ELNS1_3gpuE5ELNS1_3repE0EEENS1_30default_config_static_selectorELNS0_4arch9wavefront6targetE1EEEvT1_
	.p2align	8
	.type	_ZN7rocprim17ROCPRIM_400000_NS6detail17trampoline_kernelINS0_14default_configENS1_27scan_by_key_config_selectorIxiEEZZNS1_16scan_by_key_implILNS1_25lookback_scan_determinismE0ELb1ES3_N6thrust23THRUST_200600_302600_NS6detail15normal_iteratorINS9_10device_ptrIxEEEESE_SE_iNS9_4plusIvEENS9_8equal_toIvEEiEE10hipError_tPvRmT2_T3_T4_T5_mT6_T7_P12ihipStream_tbENKUlT_T0_E_clISt17integral_constantIbLb0EESY_IbLb1EEEEDaSU_SV_EUlSU_E_NS1_11comp_targetILNS1_3genE10ELNS1_11target_archE1201ELNS1_3gpuE5ELNS1_3repE0EEENS1_30default_config_static_selectorELNS0_4arch9wavefront6targetE1EEEvT1_,@function
_ZN7rocprim17ROCPRIM_400000_NS6detail17trampoline_kernelINS0_14default_configENS1_27scan_by_key_config_selectorIxiEEZZNS1_16scan_by_key_implILNS1_25lookback_scan_determinismE0ELb1ES3_N6thrust23THRUST_200600_302600_NS6detail15normal_iteratorINS9_10device_ptrIxEEEESE_SE_iNS9_4plusIvEENS9_8equal_toIvEEiEE10hipError_tPvRmT2_T3_T4_T5_mT6_T7_P12ihipStream_tbENKUlT_T0_E_clISt17integral_constantIbLb0EESY_IbLb1EEEEDaSU_SV_EUlSU_E_NS1_11comp_targetILNS1_3genE10ELNS1_11target_archE1201ELNS1_3gpuE5ELNS1_3repE0EEENS1_30default_config_static_selectorELNS0_4arch9wavefront6targetE1EEEvT1_: ; @_ZN7rocprim17ROCPRIM_400000_NS6detail17trampoline_kernelINS0_14default_configENS1_27scan_by_key_config_selectorIxiEEZZNS1_16scan_by_key_implILNS1_25lookback_scan_determinismE0ELb1ES3_N6thrust23THRUST_200600_302600_NS6detail15normal_iteratorINS9_10device_ptrIxEEEESE_SE_iNS9_4plusIvEENS9_8equal_toIvEEiEE10hipError_tPvRmT2_T3_T4_T5_mT6_T7_P12ihipStream_tbENKUlT_T0_E_clISt17integral_constantIbLb0EESY_IbLb1EEEEDaSU_SV_EUlSU_E_NS1_11comp_targetILNS1_3genE10ELNS1_11target_archE1201ELNS1_3gpuE5ELNS1_3repE0EEENS1_30default_config_static_selectorELNS0_4arch9wavefront6targetE1EEEvT1_
; %bb.0:
	.section	.rodata,"a",@progbits
	.p2align	6, 0x0
	.amdhsa_kernel _ZN7rocprim17ROCPRIM_400000_NS6detail17trampoline_kernelINS0_14default_configENS1_27scan_by_key_config_selectorIxiEEZZNS1_16scan_by_key_implILNS1_25lookback_scan_determinismE0ELb1ES3_N6thrust23THRUST_200600_302600_NS6detail15normal_iteratorINS9_10device_ptrIxEEEESE_SE_iNS9_4plusIvEENS9_8equal_toIvEEiEE10hipError_tPvRmT2_T3_T4_T5_mT6_T7_P12ihipStream_tbENKUlT_T0_E_clISt17integral_constantIbLb0EESY_IbLb1EEEEDaSU_SV_EUlSU_E_NS1_11comp_targetILNS1_3genE10ELNS1_11target_archE1201ELNS1_3gpuE5ELNS1_3repE0EEENS1_30default_config_static_selectorELNS0_4arch9wavefront6targetE1EEEvT1_
		.amdhsa_group_segment_fixed_size 0
		.amdhsa_private_segment_fixed_size 0
		.amdhsa_kernarg_size 112
		.amdhsa_user_sgpr_count 6
		.amdhsa_user_sgpr_private_segment_buffer 1
		.amdhsa_user_sgpr_dispatch_ptr 0
		.amdhsa_user_sgpr_queue_ptr 0
		.amdhsa_user_sgpr_kernarg_segment_ptr 1
		.amdhsa_user_sgpr_dispatch_id 0
		.amdhsa_user_sgpr_flat_scratch_init 0
		.amdhsa_user_sgpr_kernarg_preload_length 0
		.amdhsa_user_sgpr_kernarg_preload_offset 0
		.amdhsa_user_sgpr_private_segment_size 0
		.amdhsa_uses_dynamic_stack 0
		.amdhsa_system_sgpr_private_segment_wavefront_offset 0
		.amdhsa_system_sgpr_workgroup_id_x 1
		.amdhsa_system_sgpr_workgroup_id_y 0
		.amdhsa_system_sgpr_workgroup_id_z 0
		.amdhsa_system_sgpr_workgroup_info 0
		.amdhsa_system_vgpr_workitem_id 0
		.amdhsa_next_free_vgpr 1
		.amdhsa_next_free_sgpr 0
		.amdhsa_accum_offset 4
		.amdhsa_reserve_vcc 0
		.amdhsa_reserve_flat_scratch 0
		.amdhsa_float_round_mode_32 0
		.amdhsa_float_round_mode_16_64 0
		.amdhsa_float_denorm_mode_32 3
		.amdhsa_float_denorm_mode_16_64 3
		.amdhsa_dx10_clamp 1
		.amdhsa_ieee_mode 1
		.amdhsa_fp16_overflow 0
		.amdhsa_tg_split 0
		.amdhsa_exception_fp_ieee_invalid_op 0
		.amdhsa_exception_fp_denorm_src 0
		.amdhsa_exception_fp_ieee_div_zero 0
		.amdhsa_exception_fp_ieee_overflow 0
		.amdhsa_exception_fp_ieee_underflow 0
		.amdhsa_exception_fp_ieee_inexact 0
		.amdhsa_exception_int_div_zero 0
	.end_amdhsa_kernel
	.section	.text._ZN7rocprim17ROCPRIM_400000_NS6detail17trampoline_kernelINS0_14default_configENS1_27scan_by_key_config_selectorIxiEEZZNS1_16scan_by_key_implILNS1_25lookback_scan_determinismE0ELb1ES3_N6thrust23THRUST_200600_302600_NS6detail15normal_iteratorINS9_10device_ptrIxEEEESE_SE_iNS9_4plusIvEENS9_8equal_toIvEEiEE10hipError_tPvRmT2_T3_T4_T5_mT6_T7_P12ihipStream_tbENKUlT_T0_E_clISt17integral_constantIbLb0EESY_IbLb1EEEEDaSU_SV_EUlSU_E_NS1_11comp_targetILNS1_3genE10ELNS1_11target_archE1201ELNS1_3gpuE5ELNS1_3repE0EEENS1_30default_config_static_selectorELNS0_4arch9wavefront6targetE1EEEvT1_,"axG",@progbits,_ZN7rocprim17ROCPRIM_400000_NS6detail17trampoline_kernelINS0_14default_configENS1_27scan_by_key_config_selectorIxiEEZZNS1_16scan_by_key_implILNS1_25lookback_scan_determinismE0ELb1ES3_N6thrust23THRUST_200600_302600_NS6detail15normal_iteratorINS9_10device_ptrIxEEEESE_SE_iNS9_4plusIvEENS9_8equal_toIvEEiEE10hipError_tPvRmT2_T3_T4_T5_mT6_T7_P12ihipStream_tbENKUlT_T0_E_clISt17integral_constantIbLb0EESY_IbLb1EEEEDaSU_SV_EUlSU_E_NS1_11comp_targetILNS1_3genE10ELNS1_11target_archE1201ELNS1_3gpuE5ELNS1_3repE0EEENS1_30default_config_static_selectorELNS0_4arch9wavefront6targetE1EEEvT1_,comdat
.Lfunc_end1033:
	.size	_ZN7rocprim17ROCPRIM_400000_NS6detail17trampoline_kernelINS0_14default_configENS1_27scan_by_key_config_selectorIxiEEZZNS1_16scan_by_key_implILNS1_25lookback_scan_determinismE0ELb1ES3_N6thrust23THRUST_200600_302600_NS6detail15normal_iteratorINS9_10device_ptrIxEEEESE_SE_iNS9_4plusIvEENS9_8equal_toIvEEiEE10hipError_tPvRmT2_T3_T4_T5_mT6_T7_P12ihipStream_tbENKUlT_T0_E_clISt17integral_constantIbLb0EESY_IbLb1EEEEDaSU_SV_EUlSU_E_NS1_11comp_targetILNS1_3genE10ELNS1_11target_archE1201ELNS1_3gpuE5ELNS1_3repE0EEENS1_30default_config_static_selectorELNS0_4arch9wavefront6targetE1EEEvT1_, .Lfunc_end1033-_ZN7rocprim17ROCPRIM_400000_NS6detail17trampoline_kernelINS0_14default_configENS1_27scan_by_key_config_selectorIxiEEZZNS1_16scan_by_key_implILNS1_25lookback_scan_determinismE0ELb1ES3_N6thrust23THRUST_200600_302600_NS6detail15normal_iteratorINS9_10device_ptrIxEEEESE_SE_iNS9_4plusIvEENS9_8equal_toIvEEiEE10hipError_tPvRmT2_T3_T4_T5_mT6_T7_P12ihipStream_tbENKUlT_T0_E_clISt17integral_constantIbLb0EESY_IbLb1EEEEDaSU_SV_EUlSU_E_NS1_11comp_targetILNS1_3genE10ELNS1_11target_archE1201ELNS1_3gpuE5ELNS1_3repE0EEENS1_30default_config_static_selectorELNS0_4arch9wavefront6targetE1EEEvT1_
                                        ; -- End function
	.section	.AMDGPU.csdata,"",@progbits
; Kernel info:
; codeLenInByte = 0
; NumSgprs: 4
; NumVgprs: 0
; NumAgprs: 0
; TotalNumVgprs: 0
; ScratchSize: 0
; MemoryBound: 0
; FloatMode: 240
; IeeeMode: 1
; LDSByteSize: 0 bytes/workgroup (compile time only)
; SGPRBlocks: 0
; VGPRBlocks: 0
; NumSGPRsForWavesPerEU: 4
; NumVGPRsForWavesPerEU: 1
; AccumOffset: 4
; Occupancy: 8
; WaveLimiterHint : 0
; COMPUTE_PGM_RSRC2:SCRATCH_EN: 0
; COMPUTE_PGM_RSRC2:USER_SGPR: 6
; COMPUTE_PGM_RSRC2:TRAP_HANDLER: 0
; COMPUTE_PGM_RSRC2:TGID_X_EN: 1
; COMPUTE_PGM_RSRC2:TGID_Y_EN: 0
; COMPUTE_PGM_RSRC2:TGID_Z_EN: 0
; COMPUTE_PGM_RSRC2:TIDIG_COMP_CNT: 0
; COMPUTE_PGM_RSRC3_GFX90A:ACCUM_OFFSET: 0
; COMPUTE_PGM_RSRC3_GFX90A:TG_SPLIT: 0
	.section	.text._ZN7rocprim17ROCPRIM_400000_NS6detail17trampoline_kernelINS0_14default_configENS1_27scan_by_key_config_selectorIxiEEZZNS1_16scan_by_key_implILNS1_25lookback_scan_determinismE0ELb1ES3_N6thrust23THRUST_200600_302600_NS6detail15normal_iteratorINS9_10device_ptrIxEEEESE_SE_iNS9_4plusIvEENS9_8equal_toIvEEiEE10hipError_tPvRmT2_T3_T4_T5_mT6_T7_P12ihipStream_tbENKUlT_T0_E_clISt17integral_constantIbLb0EESY_IbLb1EEEEDaSU_SV_EUlSU_E_NS1_11comp_targetILNS1_3genE5ELNS1_11target_archE942ELNS1_3gpuE9ELNS1_3repE0EEENS1_30default_config_static_selectorELNS0_4arch9wavefront6targetE1EEEvT1_,"axG",@progbits,_ZN7rocprim17ROCPRIM_400000_NS6detail17trampoline_kernelINS0_14default_configENS1_27scan_by_key_config_selectorIxiEEZZNS1_16scan_by_key_implILNS1_25lookback_scan_determinismE0ELb1ES3_N6thrust23THRUST_200600_302600_NS6detail15normal_iteratorINS9_10device_ptrIxEEEESE_SE_iNS9_4plusIvEENS9_8equal_toIvEEiEE10hipError_tPvRmT2_T3_T4_T5_mT6_T7_P12ihipStream_tbENKUlT_T0_E_clISt17integral_constantIbLb0EESY_IbLb1EEEEDaSU_SV_EUlSU_E_NS1_11comp_targetILNS1_3genE5ELNS1_11target_archE942ELNS1_3gpuE9ELNS1_3repE0EEENS1_30default_config_static_selectorELNS0_4arch9wavefront6targetE1EEEvT1_,comdat
	.protected	_ZN7rocprim17ROCPRIM_400000_NS6detail17trampoline_kernelINS0_14default_configENS1_27scan_by_key_config_selectorIxiEEZZNS1_16scan_by_key_implILNS1_25lookback_scan_determinismE0ELb1ES3_N6thrust23THRUST_200600_302600_NS6detail15normal_iteratorINS9_10device_ptrIxEEEESE_SE_iNS9_4plusIvEENS9_8equal_toIvEEiEE10hipError_tPvRmT2_T3_T4_T5_mT6_T7_P12ihipStream_tbENKUlT_T0_E_clISt17integral_constantIbLb0EESY_IbLb1EEEEDaSU_SV_EUlSU_E_NS1_11comp_targetILNS1_3genE5ELNS1_11target_archE942ELNS1_3gpuE9ELNS1_3repE0EEENS1_30default_config_static_selectorELNS0_4arch9wavefront6targetE1EEEvT1_ ; -- Begin function _ZN7rocprim17ROCPRIM_400000_NS6detail17trampoline_kernelINS0_14default_configENS1_27scan_by_key_config_selectorIxiEEZZNS1_16scan_by_key_implILNS1_25lookback_scan_determinismE0ELb1ES3_N6thrust23THRUST_200600_302600_NS6detail15normal_iteratorINS9_10device_ptrIxEEEESE_SE_iNS9_4plusIvEENS9_8equal_toIvEEiEE10hipError_tPvRmT2_T3_T4_T5_mT6_T7_P12ihipStream_tbENKUlT_T0_E_clISt17integral_constantIbLb0EESY_IbLb1EEEEDaSU_SV_EUlSU_E_NS1_11comp_targetILNS1_3genE5ELNS1_11target_archE942ELNS1_3gpuE9ELNS1_3repE0EEENS1_30default_config_static_selectorELNS0_4arch9wavefront6targetE1EEEvT1_
	.globl	_ZN7rocprim17ROCPRIM_400000_NS6detail17trampoline_kernelINS0_14default_configENS1_27scan_by_key_config_selectorIxiEEZZNS1_16scan_by_key_implILNS1_25lookback_scan_determinismE0ELb1ES3_N6thrust23THRUST_200600_302600_NS6detail15normal_iteratorINS9_10device_ptrIxEEEESE_SE_iNS9_4plusIvEENS9_8equal_toIvEEiEE10hipError_tPvRmT2_T3_T4_T5_mT6_T7_P12ihipStream_tbENKUlT_T0_E_clISt17integral_constantIbLb0EESY_IbLb1EEEEDaSU_SV_EUlSU_E_NS1_11comp_targetILNS1_3genE5ELNS1_11target_archE942ELNS1_3gpuE9ELNS1_3repE0EEENS1_30default_config_static_selectorELNS0_4arch9wavefront6targetE1EEEvT1_
	.p2align	8
	.type	_ZN7rocprim17ROCPRIM_400000_NS6detail17trampoline_kernelINS0_14default_configENS1_27scan_by_key_config_selectorIxiEEZZNS1_16scan_by_key_implILNS1_25lookback_scan_determinismE0ELb1ES3_N6thrust23THRUST_200600_302600_NS6detail15normal_iteratorINS9_10device_ptrIxEEEESE_SE_iNS9_4plusIvEENS9_8equal_toIvEEiEE10hipError_tPvRmT2_T3_T4_T5_mT6_T7_P12ihipStream_tbENKUlT_T0_E_clISt17integral_constantIbLb0EESY_IbLb1EEEEDaSU_SV_EUlSU_E_NS1_11comp_targetILNS1_3genE5ELNS1_11target_archE942ELNS1_3gpuE9ELNS1_3repE0EEENS1_30default_config_static_selectorELNS0_4arch9wavefront6targetE1EEEvT1_,@function
_ZN7rocprim17ROCPRIM_400000_NS6detail17trampoline_kernelINS0_14default_configENS1_27scan_by_key_config_selectorIxiEEZZNS1_16scan_by_key_implILNS1_25lookback_scan_determinismE0ELb1ES3_N6thrust23THRUST_200600_302600_NS6detail15normal_iteratorINS9_10device_ptrIxEEEESE_SE_iNS9_4plusIvEENS9_8equal_toIvEEiEE10hipError_tPvRmT2_T3_T4_T5_mT6_T7_P12ihipStream_tbENKUlT_T0_E_clISt17integral_constantIbLb0EESY_IbLb1EEEEDaSU_SV_EUlSU_E_NS1_11comp_targetILNS1_3genE5ELNS1_11target_archE942ELNS1_3gpuE9ELNS1_3repE0EEENS1_30default_config_static_selectorELNS0_4arch9wavefront6targetE1EEEvT1_: ; @_ZN7rocprim17ROCPRIM_400000_NS6detail17trampoline_kernelINS0_14default_configENS1_27scan_by_key_config_selectorIxiEEZZNS1_16scan_by_key_implILNS1_25lookback_scan_determinismE0ELb1ES3_N6thrust23THRUST_200600_302600_NS6detail15normal_iteratorINS9_10device_ptrIxEEEESE_SE_iNS9_4plusIvEENS9_8equal_toIvEEiEE10hipError_tPvRmT2_T3_T4_T5_mT6_T7_P12ihipStream_tbENKUlT_T0_E_clISt17integral_constantIbLb0EESY_IbLb1EEEEDaSU_SV_EUlSU_E_NS1_11comp_targetILNS1_3genE5ELNS1_11target_archE942ELNS1_3gpuE9ELNS1_3repE0EEENS1_30default_config_static_selectorELNS0_4arch9wavefront6targetE1EEEvT1_
; %bb.0:
	.section	.rodata,"a",@progbits
	.p2align	6, 0x0
	.amdhsa_kernel _ZN7rocprim17ROCPRIM_400000_NS6detail17trampoline_kernelINS0_14default_configENS1_27scan_by_key_config_selectorIxiEEZZNS1_16scan_by_key_implILNS1_25lookback_scan_determinismE0ELb1ES3_N6thrust23THRUST_200600_302600_NS6detail15normal_iteratorINS9_10device_ptrIxEEEESE_SE_iNS9_4plusIvEENS9_8equal_toIvEEiEE10hipError_tPvRmT2_T3_T4_T5_mT6_T7_P12ihipStream_tbENKUlT_T0_E_clISt17integral_constantIbLb0EESY_IbLb1EEEEDaSU_SV_EUlSU_E_NS1_11comp_targetILNS1_3genE5ELNS1_11target_archE942ELNS1_3gpuE9ELNS1_3repE0EEENS1_30default_config_static_selectorELNS0_4arch9wavefront6targetE1EEEvT1_
		.amdhsa_group_segment_fixed_size 0
		.amdhsa_private_segment_fixed_size 0
		.amdhsa_kernarg_size 112
		.amdhsa_user_sgpr_count 6
		.amdhsa_user_sgpr_private_segment_buffer 1
		.amdhsa_user_sgpr_dispatch_ptr 0
		.amdhsa_user_sgpr_queue_ptr 0
		.amdhsa_user_sgpr_kernarg_segment_ptr 1
		.amdhsa_user_sgpr_dispatch_id 0
		.amdhsa_user_sgpr_flat_scratch_init 0
		.amdhsa_user_sgpr_kernarg_preload_length 0
		.amdhsa_user_sgpr_kernarg_preload_offset 0
		.amdhsa_user_sgpr_private_segment_size 0
		.amdhsa_uses_dynamic_stack 0
		.amdhsa_system_sgpr_private_segment_wavefront_offset 0
		.amdhsa_system_sgpr_workgroup_id_x 1
		.amdhsa_system_sgpr_workgroup_id_y 0
		.amdhsa_system_sgpr_workgroup_id_z 0
		.amdhsa_system_sgpr_workgroup_info 0
		.amdhsa_system_vgpr_workitem_id 0
		.amdhsa_next_free_vgpr 1
		.amdhsa_next_free_sgpr 0
		.amdhsa_accum_offset 4
		.amdhsa_reserve_vcc 0
		.amdhsa_reserve_flat_scratch 0
		.amdhsa_float_round_mode_32 0
		.amdhsa_float_round_mode_16_64 0
		.amdhsa_float_denorm_mode_32 3
		.amdhsa_float_denorm_mode_16_64 3
		.amdhsa_dx10_clamp 1
		.amdhsa_ieee_mode 1
		.amdhsa_fp16_overflow 0
		.amdhsa_tg_split 0
		.amdhsa_exception_fp_ieee_invalid_op 0
		.amdhsa_exception_fp_denorm_src 0
		.amdhsa_exception_fp_ieee_div_zero 0
		.amdhsa_exception_fp_ieee_overflow 0
		.amdhsa_exception_fp_ieee_underflow 0
		.amdhsa_exception_fp_ieee_inexact 0
		.amdhsa_exception_int_div_zero 0
	.end_amdhsa_kernel
	.section	.text._ZN7rocprim17ROCPRIM_400000_NS6detail17trampoline_kernelINS0_14default_configENS1_27scan_by_key_config_selectorIxiEEZZNS1_16scan_by_key_implILNS1_25lookback_scan_determinismE0ELb1ES3_N6thrust23THRUST_200600_302600_NS6detail15normal_iteratorINS9_10device_ptrIxEEEESE_SE_iNS9_4plusIvEENS9_8equal_toIvEEiEE10hipError_tPvRmT2_T3_T4_T5_mT6_T7_P12ihipStream_tbENKUlT_T0_E_clISt17integral_constantIbLb0EESY_IbLb1EEEEDaSU_SV_EUlSU_E_NS1_11comp_targetILNS1_3genE5ELNS1_11target_archE942ELNS1_3gpuE9ELNS1_3repE0EEENS1_30default_config_static_selectorELNS0_4arch9wavefront6targetE1EEEvT1_,"axG",@progbits,_ZN7rocprim17ROCPRIM_400000_NS6detail17trampoline_kernelINS0_14default_configENS1_27scan_by_key_config_selectorIxiEEZZNS1_16scan_by_key_implILNS1_25lookback_scan_determinismE0ELb1ES3_N6thrust23THRUST_200600_302600_NS6detail15normal_iteratorINS9_10device_ptrIxEEEESE_SE_iNS9_4plusIvEENS9_8equal_toIvEEiEE10hipError_tPvRmT2_T3_T4_T5_mT6_T7_P12ihipStream_tbENKUlT_T0_E_clISt17integral_constantIbLb0EESY_IbLb1EEEEDaSU_SV_EUlSU_E_NS1_11comp_targetILNS1_3genE5ELNS1_11target_archE942ELNS1_3gpuE9ELNS1_3repE0EEENS1_30default_config_static_selectorELNS0_4arch9wavefront6targetE1EEEvT1_,comdat
.Lfunc_end1034:
	.size	_ZN7rocprim17ROCPRIM_400000_NS6detail17trampoline_kernelINS0_14default_configENS1_27scan_by_key_config_selectorIxiEEZZNS1_16scan_by_key_implILNS1_25lookback_scan_determinismE0ELb1ES3_N6thrust23THRUST_200600_302600_NS6detail15normal_iteratorINS9_10device_ptrIxEEEESE_SE_iNS9_4plusIvEENS9_8equal_toIvEEiEE10hipError_tPvRmT2_T3_T4_T5_mT6_T7_P12ihipStream_tbENKUlT_T0_E_clISt17integral_constantIbLb0EESY_IbLb1EEEEDaSU_SV_EUlSU_E_NS1_11comp_targetILNS1_3genE5ELNS1_11target_archE942ELNS1_3gpuE9ELNS1_3repE0EEENS1_30default_config_static_selectorELNS0_4arch9wavefront6targetE1EEEvT1_, .Lfunc_end1034-_ZN7rocprim17ROCPRIM_400000_NS6detail17trampoline_kernelINS0_14default_configENS1_27scan_by_key_config_selectorIxiEEZZNS1_16scan_by_key_implILNS1_25lookback_scan_determinismE0ELb1ES3_N6thrust23THRUST_200600_302600_NS6detail15normal_iteratorINS9_10device_ptrIxEEEESE_SE_iNS9_4plusIvEENS9_8equal_toIvEEiEE10hipError_tPvRmT2_T3_T4_T5_mT6_T7_P12ihipStream_tbENKUlT_T0_E_clISt17integral_constantIbLb0EESY_IbLb1EEEEDaSU_SV_EUlSU_E_NS1_11comp_targetILNS1_3genE5ELNS1_11target_archE942ELNS1_3gpuE9ELNS1_3repE0EEENS1_30default_config_static_selectorELNS0_4arch9wavefront6targetE1EEEvT1_
                                        ; -- End function
	.section	.AMDGPU.csdata,"",@progbits
; Kernel info:
; codeLenInByte = 0
; NumSgprs: 4
; NumVgprs: 0
; NumAgprs: 0
; TotalNumVgprs: 0
; ScratchSize: 0
; MemoryBound: 0
; FloatMode: 240
; IeeeMode: 1
; LDSByteSize: 0 bytes/workgroup (compile time only)
; SGPRBlocks: 0
; VGPRBlocks: 0
; NumSGPRsForWavesPerEU: 4
; NumVGPRsForWavesPerEU: 1
; AccumOffset: 4
; Occupancy: 8
; WaveLimiterHint : 0
; COMPUTE_PGM_RSRC2:SCRATCH_EN: 0
; COMPUTE_PGM_RSRC2:USER_SGPR: 6
; COMPUTE_PGM_RSRC2:TRAP_HANDLER: 0
; COMPUTE_PGM_RSRC2:TGID_X_EN: 1
; COMPUTE_PGM_RSRC2:TGID_Y_EN: 0
; COMPUTE_PGM_RSRC2:TGID_Z_EN: 0
; COMPUTE_PGM_RSRC2:TIDIG_COMP_CNT: 0
; COMPUTE_PGM_RSRC3_GFX90A:ACCUM_OFFSET: 0
; COMPUTE_PGM_RSRC3_GFX90A:TG_SPLIT: 0
	.section	.text._ZN7rocprim17ROCPRIM_400000_NS6detail17trampoline_kernelINS0_14default_configENS1_27scan_by_key_config_selectorIxiEEZZNS1_16scan_by_key_implILNS1_25lookback_scan_determinismE0ELb1ES3_N6thrust23THRUST_200600_302600_NS6detail15normal_iteratorINS9_10device_ptrIxEEEESE_SE_iNS9_4plusIvEENS9_8equal_toIvEEiEE10hipError_tPvRmT2_T3_T4_T5_mT6_T7_P12ihipStream_tbENKUlT_T0_E_clISt17integral_constantIbLb0EESY_IbLb1EEEEDaSU_SV_EUlSU_E_NS1_11comp_targetILNS1_3genE4ELNS1_11target_archE910ELNS1_3gpuE8ELNS1_3repE0EEENS1_30default_config_static_selectorELNS0_4arch9wavefront6targetE1EEEvT1_,"axG",@progbits,_ZN7rocprim17ROCPRIM_400000_NS6detail17trampoline_kernelINS0_14default_configENS1_27scan_by_key_config_selectorIxiEEZZNS1_16scan_by_key_implILNS1_25lookback_scan_determinismE0ELb1ES3_N6thrust23THRUST_200600_302600_NS6detail15normal_iteratorINS9_10device_ptrIxEEEESE_SE_iNS9_4plusIvEENS9_8equal_toIvEEiEE10hipError_tPvRmT2_T3_T4_T5_mT6_T7_P12ihipStream_tbENKUlT_T0_E_clISt17integral_constantIbLb0EESY_IbLb1EEEEDaSU_SV_EUlSU_E_NS1_11comp_targetILNS1_3genE4ELNS1_11target_archE910ELNS1_3gpuE8ELNS1_3repE0EEENS1_30default_config_static_selectorELNS0_4arch9wavefront6targetE1EEEvT1_,comdat
	.protected	_ZN7rocprim17ROCPRIM_400000_NS6detail17trampoline_kernelINS0_14default_configENS1_27scan_by_key_config_selectorIxiEEZZNS1_16scan_by_key_implILNS1_25lookback_scan_determinismE0ELb1ES3_N6thrust23THRUST_200600_302600_NS6detail15normal_iteratorINS9_10device_ptrIxEEEESE_SE_iNS9_4plusIvEENS9_8equal_toIvEEiEE10hipError_tPvRmT2_T3_T4_T5_mT6_T7_P12ihipStream_tbENKUlT_T0_E_clISt17integral_constantIbLb0EESY_IbLb1EEEEDaSU_SV_EUlSU_E_NS1_11comp_targetILNS1_3genE4ELNS1_11target_archE910ELNS1_3gpuE8ELNS1_3repE0EEENS1_30default_config_static_selectorELNS0_4arch9wavefront6targetE1EEEvT1_ ; -- Begin function _ZN7rocprim17ROCPRIM_400000_NS6detail17trampoline_kernelINS0_14default_configENS1_27scan_by_key_config_selectorIxiEEZZNS1_16scan_by_key_implILNS1_25lookback_scan_determinismE0ELb1ES3_N6thrust23THRUST_200600_302600_NS6detail15normal_iteratorINS9_10device_ptrIxEEEESE_SE_iNS9_4plusIvEENS9_8equal_toIvEEiEE10hipError_tPvRmT2_T3_T4_T5_mT6_T7_P12ihipStream_tbENKUlT_T0_E_clISt17integral_constantIbLb0EESY_IbLb1EEEEDaSU_SV_EUlSU_E_NS1_11comp_targetILNS1_3genE4ELNS1_11target_archE910ELNS1_3gpuE8ELNS1_3repE0EEENS1_30default_config_static_selectorELNS0_4arch9wavefront6targetE1EEEvT1_
	.globl	_ZN7rocprim17ROCPRIM_400000_NS6detail17trampoline_kernelINS0_14default_configENS1_27scan_by_key_config_selectorIxiEEZZNS1_16scan_by_key_implILNS1_25lookback_scan_determinismE0ELb1ES3_N6thrust23THRUST_200600_302600_NS6detail15normal_iteratorINS9_10device_ptrIxEEEESE_SE_iNS9_4plusIvEENS9_8equal_toIvEEiEE10hipError_tPvRmT2_T3_T4_T5_mT6_T7_P12ihipStream_tbENKUlT_T0_E_clISt17integral_constantIbLb0EESY_IbLb1EEEEDaSU_SV_EUlSU_E_NS1_11comp_targetILNS1_3genE4ELNS1_11target_archE910ELNS1_3gpuE8ELNS1_3repE0EEENS1_30default_config_static_selectorELNS0_4arch9wavefront6targetE1EEEvT1_
	.p2align	8
	.type	_ZN7rocprim17ROCPRIM_400000_NS6detail17trampoline_kernelINS0_14default_configENS1_27scan_by_key_config_selectorIxiEEZZNS1_16scan_by_key_implILNS1_25lookback_scan_determinismE0ELb1ES3_N6thrust23THRUST_200600_302600_NS6detail15normal_iteratorINS9_10device_ptrIxEEEESE_SE_iNS9_4plusIvEENS9_8equal_toIvEEiEE10hipError_tPvRmT2_T3_T4_T5_mT6_T7_P12ihipStream_tbENKUlT_T0_E_clISt17integral_constantIbLb0EESY_IbLb1EEEEDaSU_SV_EUlSU_E_NS1_11comp_targetILNS1_3genE4ELNS1_11target_archE910ELNS1_3gpuE8ELNS1_3repE0EEENS1_30default_config_static_selectorELNS0_4arch9wavefront6targetE1EEEvT1_,@function
_ZN7rocprim17ROCPRIM_400000_NS6detail17trampoline_kernelINS0_14default_configENS1_27scan_by_key_config_selectorIxiEEZZNS1_16scan_by_key_implILNS1_25lookback_scan_determinismE0ELb1ES3_N6thrust23THRUST_200600_302600_NS6detail15normal_iteratorINS9_10device_ptrIxEEEESE_SE_iNS9_4plusIvEENS9_8equal_toIvEEiEE10hipError_tPvRmT2_T3_T4_T5_mT6_T7_P12ihipStream_tbENKUlT_T0_E_clISt17integral_constantIbLb0EESY_IbLb1EEEEDaSU_SV_EUlSU_E_NS1_11comp_targetILNS1_3genE4ELNS1_11target_archE910ELNS1_3gpuE8ELNS1_3repE0EEENS1_30default_config_static_selectorELNS0_4arch9wavefront6targetE1EEEvT1_: ; @_ZN7rocprim17ROCPRIM_400000_NS6detail17trampoline_kernelINS0_14default_configENS1_27scan_by_key_config_selectorIxiEEZZNS1_16scan_by_key_implILNS1_25lookback_scan_determinismE0ELb1ES3_N6thrust23THRUST_200600_302600_NS6detail15normal_iteratorINS9_10device_ptrIxEEEESE_SE_iNS9_4plusIvEENS9_8equal_toIvEEiEE10hipError_tPvRmT2_T3_T4_T5_mT6_T7_P12ihipStream_tbENKUlT_T0_E_clISt17integral_constantIbLb0EESY_IbLb1EEEEDaSU_SV_EUlSU_E_NS1_11comp_targetILNS1_3genE4ELNS1_11target_archE910ELNS1_3gpuE8ELNS1_3repE0EEENS1_30default_config_static_selectorELNS0_4arch9wavefront6targetE1EEEvT1_
; %bb.0:
	s_load_dword s54, s[4:5], 0x20
	s_load_dwordx4 s[44:47], s[4:5], 0x28
	s_load_dwordx2 s[52:53], s[4:5], 0x38
	v_cmp_eq_u32_e64 s[0:1], 0, v0
	s_and_saveexec_b64 s[2:3], s[0:1]
	s_cbranch_execz .LBB1035_4
; %bb.1:
	s_mov_b64 s[8:9], exec
	v_mbcnt_lo_u32_b32 v1, s8, 0
	v_mbcnt_hi_u32_b32 v1, s9, v1
	v_cmp_eq_u32_e32 vcc, 0, v1
                                        ; implicit-def: $vgpr2
	s_and_saveexec_b64 s[6:7], vcc
	s_cbranch_execz .LBB1035_3
; %bb.2:
	s_load_dwordx2 s[10:11], s[4:5], 0x68
	s_bcnt1_i32_b64 s8, s[8:9]
	v_mov_b32_e32 v2, 0
	v_mov_b32_e32 v3, s8
	s_waitcnt lgkmcnt(0)
	global_atomic_add v2, v2, v3, s[10:11] glc
.LBB1035_3:
	s_or_b64 exec, exec, s[6:7]
	s_waitcnt vmcnt(0)
	v_readfirstlane_b32 s6, v2
	v_add_u32_e32 v1, s6, v1
	v_mov_b32_e32 v2, 0
	ds_write_b32 v2, v1
.LBB1035_4:
	s_or_b64 exec, exec, s[2:3]
	s_load_dwordx8 s[36:43], s[4:5], 0x0
	s_load_dword s2, s[4:5], 0x40
	s_load_dwordx4 s[48:51], s[4:5], 0x48
	v_mov_b32_e32 v3, 0
	s_waitcnt lgkmcnt(0)
	s_lshl_b64 s[34:35], s[38:39], 3
	s_barrier
	ds_read_b32 v4, v3
	s_add_u32 s3, s36, s34
	s_addc_u32 s4, s37, s35
	s_add_u32 s5, s40, s34
	s_mul_i32 s7, s53, s2
	s_mul_hi_u32 s8, s52, s2
	s_addc_u32 s6, s41, s35
	s_add_i32 s7, s8, s7
	s_movk_i32 s8, 0xe00
	s_waitcnt lgkmcnt(0)
	v_mul_lo_u32 v2, v4, s8
	v_lshlrev_b64 v[54:55], 3, v[2:3]
	v_mov_b32_e32 v1, s4
	v_add_co_u32_e32 v58, vcc, s3, v54
	v_addc_co_u32_e32 v59, vcc, v1, v55, vcc
	v_mov_b32_e32 v2, s6
	v_add_co_u32_e32 v1, vcc, s5, v54
	s_mul_i32 s2, s52, s2
	v_addc_co_u32_e32 v63, vcc, v2, v55, vcc
	v_mov_b32_e32 v3, s7
	v_add_co_u32_e32 v2, vcc, s2, v4
	s_add_u32 s4, s48, -1
	v_addc_co_u32_e32 v3, vcc, 0, v3, vcc
	s_addc_u32 s5, s49, -1
	v_cmp_le_u64_e64 s[2:3], s[4:5], v[2:3]
	v_readfirstlane_b32 s47, v4
	s_mov_b64 s[12:13], -1
	s_and_b64 vcc, exec, s[2:3]
	s_mul_i32 s33, s4, 0xfffff200
	s_barrier
	s_barrier
	s_cbranch_vccz .LBB1035_80
; %bb.5:
	flat_load_dwordx2 v[2:3], v[58:59]
	s_add_i32 s40, s33, s46
	v_cmp_gt_u32_e32 vcc, s40, v0
	s_waitcnt vmcnt(0) lgkmcnt(0)
	v_pk_mov_b32 v[4:5], v[2:3], v[2:3] op_sel:[0,1]
	s_and_saveexec_b64 s[6:7], vcc
	s_cbranch_execz .LBB1035_7
; %bb.6:
	v_lshlrev_b32_e32 v4, 3, v0
	v_add_co_u32_e64 v4, s[4:5], v58, v4
	v_addc_co_u32_e64 v5, s[4:5], 0, v59, s[4:5]
	flat_load_dwordx2 v[4:5], v[4:5]
.LBB1035_7:
	s_or_b64 exec, exec, s[6:7]
	v_or_b32_e32 v6, 0x100, v0
	v_cmp_gt_u32_e64 s[4:5], s40, v6
	v_pk_mov_b32 v[6:7], v[2:3], v[2:3] op_sel:[0,1]
	s_and_saveexec_b64 s[8:9], s[4:5]
	s_cbranch_execz .LBB1035_9
; %bb.8:
	v_lshlrev_b32_e32 v6, 3, v0
	v_add_co_u32_e64 v6, s[6:7], v58, v6
	v_addc_co_u32_e64 v7, s[6:7], 0, v59, s[6:7]
	flat_load_dwordx2 v[6:7], v[6:7] offset:2048
.LBB1035_9:
	s_or_b64 exec, exec, s[8:9]
	v_or_b32_e32 v8, 0x200, v0
	v_cmp_gt_u32_e64 s[6:7], s40, v8
	v_lshlrev_b32_e32 v56, 3, v8
	v_pk_mov_b32 v[8:9], v[2:3], v[2:3] op_sel:[0,1]
	s_and_saveexec_b64 s[10:11], s[6:7]
	s_cbranch_execz .LBB1035_11
; %bb.10:
	v_add_co_u32_e64 v8, s[8:9], v58, v56
	v_addc_co_u32_e64 v9, s[8:9], 0, v59, s[8:9]
	flat_load_dwordx2 v[8:9], v[8:9]
.LBB1035_11:
	s_or_b64 exec, exec, s[10:11]
	v_or_b32_e32 v10, 0x300, v0
	v_cmp_gt_u32_e64 s[8:9], s40, v10
	v_lshlrev_b32_e32 v57, 3, v10
	v_pk_mov_b32 v[10:11], v[2:3], v[2:3] op_sel:[0,1]
	s_and_saveexec_b64 s[12:13], s[8:9]
	s_cbranch_execz .LBB1035_13
; %bb.12:
	v_add_co_u32_e64 v10, s[10:11], v58, v57
	v_addc_co_u32_e64 v11, s[10:11], 0, v59, s[10:11]
	flat_load_dwordx2 v[10:11], v[10:11]
.LBB1035_13:
	;; [unrolled: 12-line block ×11, first 2 shown]
	s_or_b64 exec, exec, s[30:31]
	v_or_b32_e32 v30, 0xd00, v0
	v_cmp_gt_u32_e64 s[28:29], s40, v30
	v_lshlrev_b32_e32 v72, 3, v30
	s_and_saveexec_b64 s[36:37], s[28:29]
	s_cbranch_execz .LBB1035_33
; %bb.32:
	v_add_co_u32_e64 v2, s[30:31], v58, v72
	v_addc_co_u32_e64 v3, s[30:31], 0, v59, s[30:31]
	flat_load_dwordx2 v[2:3], v[2:3]
.LBB1035_33:
	s_or_b64 exec, exec, s[36:37]
	v_lshlrev_b32_e32 v73, 3, v0
	s_waitcnt vmcnt(0) lgkmcnt(0)
	ds_write2st64_b64 v73, v[4:5], v[6:7] offset1:4
	ds_write2st64_b64 v73, v[8:9], v[10:11] offset0:8 offset1:12
	ds_write2st64_b64 v73, v[12:13], v[14:15] offset0:16 offset1:20
	;; [unrolled: 1-line block ×6, first 2 shown]
	s_waitcnt lgkmcnt(0)
	s_barrier
	flat_load_dwordx2 v[60:61], v[58:59]
	s_movk_i32 s30, 0x68
	v_mad_u32_u24 v2, v0, s30, v73
	s_movk_i32 s30, 0xff98
	ds_read_b128 v[50:53], v2
	ds_read_b128 v[46:49], v2 offset:16
	ds_read_b128 v[42:45], v2 offset:32
	;; [unrolled: 1-line block ×6, first 2 shown]
	v_mad_i32_i24 v2, v0, s30, v2
	s_movk_i32 s30, 0xff
	v_cmp_ne_u32_e64 s[30:31], s30, v0
	s_waitcnt lgkmcnt(0)
	ds_write_b64 v2, v[50:51] offset:30720
	s_waitcnt lgkmcnt(0)
	s_barrier
	s_and_saveexec_b64 s[36:37], s[30:31]
	s_cbranch_execz .LBB1035_35
; %bb.34:
	s_waitcnt vmcnt(0)
	ds_read_b64 v[60:61], v73 offset:30728
.LBB1035_35:
	s_or_b64 exec, exec, s[36:37]
	s_waitcnt lgkmcnt(0)
	s_barrier
	s_waitcnt lgkmcnt(0)
                                        ; implicit-def: $vgpr3
	s_and_saveexec_b64 s[30:31], vcc
	s_cbranch_execz .LBB1035_117
; %bb.36:
	v_add_co_u32_e32 v4, vcc, v1, v73
	v_addc_co_u32_e32 v5, vcc, 0, v63, vcc
	flat_load_dword v3, v[4:5]
	s_or_b64 exec, exec, s[30:31]
                                        ; implicit-def: $vgpr4
	s_and_saveexec_b64 s[30:31], s[4:5]
	s_cbranch_execnz .LBB1035_118
.LBB1035_37:
	s_or_b64 exec, exec, s[30:31]
                                        ; implicit-def: $vgpr5
	s_and_saveexec_b64 s[4:5], s[6:7]
	s_cbranch_execz .LBB1035_119
.LBB1035_38:
	v_add_co_u32_e32 v6, vcc, v1, v56
	v_addc_co_u32_e32 v7, vcc, 0, v63, vcc
	flat_load_dword v5, v[6:7]
	s_or_b64 exec, exec, s[4:5]
                                        ; implicit-def: $vgpr6
	s_and_saveexec_b64 s[4:5], s[8:9]
	s_cbranch_execnz .LBB1035_120
.LBB1035_39:
	s_or_b64 exec, exec, s[4:5]
                                        ; implicit-def: $vgpr7
	s_and_saveexec_b64 s[4:5], s[10:11]
	s_cbranch_execz .LBB1035_121
.LBB1035_40:
	v_add_co_u32_e32 v8, vcc, v1, v62
	v_addc_co_u32_e32 v9, vcc, 0, v63, vcc
	flat_load_dword v7, v[8:9]
	s_or_b64 exec, exec, s[4:5]
                                        ; implicit-def: $vgpr8
	s_and_saveexec_b64 s[4:5], s[12:13]
	s_cbranch_execnz .LBB1035_122
.LBB1035_41:
	s_or_b64 exec, exec, s[4:5]
                                        ; implicit-def: $vgpr9
	s_and_saveexec_b64 s[4:5], s[14:15]
	s_cbranch_execz .LBB1035_123
.LBB1035_42:
	v_add_co_u32_e32 v10, vcc, v1, v65
	v_addc_co_u32_e32 v11, vcc, 0, v63, vcc
	flat_load_dword v9, v[10:11]
	s_or_b64 exec, exec, s[4:5]
                                        ; implicit-def: $vgpr10
	s_and_saveexec_b64 s[4:5], s[16:17]
	s_cbranch_execnz .LBB1035_124
.LBB1035_43:
	s_or_b64 exec, exec, s[4:5]
                                        ; implicit-def: $vgpr11
	s_and_saveexec_b64 s[4:5], s[18:19]
	s_cbranch_execz .LBB1035_125
.LBB1035_44:
	v_add_co_u32_e32 v12, vcc, v1, v67
	v_addc_co_u32_e32 v13, vcc, 0, v63, vcc
	flat_load_dword v11, v[12:13]
	s_or_b64 exec, exec, s[4:5]
                                        ; implicit-def: $vgpr12
	s_and_saveexec_b64 s[4:5], s[20:21]
	s_cbranch_execnz .LBB1035_126
.LBB1035_45:
	s_or_b64 exec, exec, s[4:5]
                                        ; implicit-def: $vgpr13
	s_and_saveexec_b64 s[4:5], s[22:23]
	s_cbranch_execz .LBB1035_127
.LBB1035_46:
	v_add_co_u32_e32 v14, vcc, v1, v69
	v_addc_co_u32_e32 v15, vcc, 0, v63, vcc
	flat_load_dword v13, v[14:15]
	s_or_b64 exec, exec, s[4:5]
                                        ; implicit-def: $vgpr14
	s_and_saveexec_b64 s[4:5], s[24:25]
	s_cbranch_execnz .LBB1035_128
.LBB1035_47:
	s_or_b64 exec, exec, s[4:5]
                                        ; implicit-def: $vgpr15
	s_and_saveexec_b64 s[4:5], s[26:27]
	s_cbranch_execz .LBB1035_49
.LBB1035_48:
	v_add_co_u32_e32 v16, vcc, v1, v71
	v_addc_co_u32_e32 v17, vcc, 0, v63, vcc
	flat_load_dword v15, v[16:17]
.LBB1035_49:
	s_or_b64 exec, exec, s[4:5]
	v_mul_u32_u24_e32 v64, 14, v0
                                        ; implicit-def: $vgpr16
	s_and_saveexec_b64 s[4:5], s[28:29]
	s_cbranch_execz .LBB1035_51
; %bb.50:
	v_add_co_u32_e32 v16, vcc, v1, v72
	v_addc_co_u32_e32 v17, vcc, 0, v63, vcc
	flat_load_dword v16, v[16:17]
.LBB1035_51:
	s_or_b64 exec, exec, s[4:5]
	v_lshlrev_b32_e32 v17, 2, v0
	s_mov_b32 s4, 0
	v_sub_u32_e32 v65, v2, v17
	s_mov_b32 s5, s4
	s_waitcnt vmcnt(0) lgkmcnt(0)
	ds_write2st64_b32 v65, v3, v4 offset1:4
	ds_write2st64_b32 v65, v5, v6 offset0:8 offset1:12
	ds_write2st64_b32 v65, v7, v8 offset0:16 offset1:20
	;; [unrolled: 1-line block ×6, first 2 shown]
	s_mov_b32 s6, s4
	s_mov_b32 s7, s4
	;; [unrolled: 1-line block ×6, first 2 shown]
	v_pk_mov_b32 v[2:3], s[4:5], s[4:5] op_sel:[0,1]
	v_pk_mov_b32 v[8:9], s[10:11], s[10:11] op_sel:[0,1]
	;; [unrolled: 1-line block ×6, first 2 shown]
	v_cmp_gt_u32_e32 vcc, s40, v64
	s_mov_b64 s[12:13], 0
	v_pk_mov_b32 v[56:57], 0, 0
	s_mov_b64 s[18:19], 0
	v_pk_mov_b32 v[14:15], v[6:7], v[6:7] op_sel:[0,1]
	v_pk_mov_b32 v[12:13], v[4:5], v[4:5] op_sel:[0,1]
	;; [unrolled: 1-line block ×6, first 2 shown]
	s_waitcnt lgkmcnt(0)
	s_barrier
	s_waitcnt lgkmcnt(0)
                                        ; implicit-def: $sgpr16_sgpr17
                                        ; implicit-def: $vgpr62
	s_and_saveexec_b64 s[14:15], vcc
	s_cbranch_execz .LBB1035_79
; %bb.52:
	v_mad_u32_u24 v2, v0, 52, v65
	ds_read_b32 v2, v2
	v_mov_b32_e32 v4, s54
	v_cmp_eq_u64_e32 vcc, v[50:51], v[52:53]
	v_or_b32_e32 v3, 1, v64
                                        ; implicit-def: $vgpr62
	s_waitcnt lgkmcnt(0)
	v_cndmask_b32_e32 v56, v4, v2, vcc
	v_cmp_ne_u64_e32 vcc, v[50:51], v[52:53]
	v_cndmask_b32_e64 v57, 0, 1, vcc
	v_cmp_gt_u32_e32 vcc, s40, v3
	v_pk_mov_b32 v[2:3], s[4:5], s[4:5] op_sel:[0,1]
	v_pk_mov_b32 v[8:9], s[10:11], s[10:11] op_sel:[0,1]
	;; [unrolled: 1-line block ×12, first 2 shown]
                                        ; implicit-def: $sgpr4_sgpr5
	s_and_saveexec_b64 s[16:17], vcc
	s_cbranch_execz .LBB1035_78
; %bb.53:
	v_mul_u32_u24_e32 v2, 52, v0
	v_add_u32_e32 v65, v65, v2
	ds_read2_b32 v[50:51], v65 offset0:1 offset1:2
	s_mov_b32 s4, 0
	v_mov_b32_e32 v3, s54
	v_cmp_eq_u64_e32 vcc, v[52:53], v[46:47]
	s_mov_b32 s10, s4
	s_mov_b32 s11, s4
	v_add_u32_e32 v2, 2, v64
	s_waitcnt lgkmcnt(0)
	v_cndmask_b32_e32 v8, v3, v50, vcc
	v_cmp_ne_u64_e32 vcc, v[52:53], v[46:47]
	s_mov_b32 s5, s4
	s_mov_b32 s6, s4
	;; [unrolled: 1-line block ×5, first 2 shown]
	v_pk_mov_b32 v[16:17], s[10:11], s[10:11] op_sel:[0,1]
	v_cndmask_b32_e64 v9, 0, 1, vcc
	v_cmp_gt_u32_e32 vcc, s40, v2
	v_mov_b32_e32 v2, 0
	v_pk_mov_b32 v[14:15], s[8:9], s[8:9] op_sel:[0,1]
	v_pk_mov_b32 v[12:13], s[6:7], s[6:7] op_sel:[0,1]
	;; [unrolled: 1-line block ×4, first 2 shown]
	v_mov_b32_e32 v3, v2
	v_mov_b32_e32 v4, v2
	;; [unrolled: 1-line block ×5, first 2 shown]
	s_mov_b64 s[20:21], 0
	v_pk_mov_b32 v[22:23], v[14:15], v[14:15] op_sel:[0,1]
	v_pk_mov_b32 v[20:21], v[12:13], v[12:13] op_sel:[0,1]
	;; [unrolled: 1-line block ×3, first 2 shown]
                                        ; implicit-def: $sgpr24_sgpr25
                                        ; implicit-def: $vgpr62
	s_and_saveexec_b64 s[18:19], vcc
	s_cbranch_execz .LBB1035_77
; %bb.54:
	v_mov_b32_e32 v4, s54
	v_cmp_eq_u64_e32 vcc, v[46:47], v[48:49]
	v_pk_mov_b32 v[16:17], s[10:11], s[10:11] op_sel:[0,1]
	v_add_u32_e32 v3, 3, v64
	v_cndmask_b32_e32 v6, v4, v51, vcc
	v_cmp_ne_u64_e32 vcc, v[46:47], v[48:49]
	v_pk_mov_b32 v[14:15], s[8:9], s[8:9] op_sel:[0,1]
	v_pk_mov_b32 v[12:13], s[6:7], s[6:7] op_sel:[0,1]
	;; [unrolled: 1-line block ×4, first 2 shown]
	v_cndmask_b32_e64 v7, 0, 1, vcc
	v_cmp_gt_u32_e32 vcc, s40, v3
	v_mov_b32_e32 v3, v2
	v_mov_b32_e32 v4, v2
	;; [unrolled: 1-line block ×3, first 2 shown]
	s_mov_b64 s[22:23], 0
	v_pk_mov_b32 v[22:23], v[14:15], v[14:15] op_sel:[0,1]
	v_pk_mov_b32 v[20:21], v[12:13], v[12:13] op_sel:[0,1]
	;; [unrolled: 1-line block ×3, first 2 shown]
                                        ; implicit-def: $sgpr4_sgpr5
                                        ; implicit-def: $vgpr62
	s_and_saveexec_b64 s[20:21], vcc
	s_cbranch_execz .LBB1035_76
; %bb.55:
	ds_read2_b32 v[46:47], v65 offset0:3 offset1:4
	s_mov_b32 s4, 0
	s_mov_b32 s10, s4
	;; [unrolled: 1-line block ×3, first 2 shown]
	v_mov_b32_e32 v3, s54
	v_cmp_eq_u64_e32 vcc, v[48:49], v[42:43]
	s_mov_b32 s5, s4
	s_mov_b32 s6, s4
	;; [unrolled: 1-line block ×5, first 2 shown]
	v_pk_mov_b32 v[16:17], s[10:11], s[10:11] op_sel:[0,1]
	v_add_u32_e32 v2, 4, v64
	s_waitcnt lgkmcnt(0)
	v_cndmask_b32_e32 v4, v3, v46, vcc
	v_cmp_ne_u64_e32 vcc, v[48:49], v[42:43]
	v_pk_mov_b32 v[14:15], s[8:9], s[8:9] op_sel:[0,1]
	v_pk_mov_b32 v[12:13], s[6:7], s[6:7] op_sel:[0,1]
	;; [unrolled: 1-line block ×4, first 2 shown]
	v_cndmask_b32_e64 v5, 0, 1, vcc
	v_cmp_gt_u32_e32 vcc, s40, v2
	v_mov_b32_e32 v2, s4
	v_mov_b32_e32 v3, s4
	s_mov_b64 s[24:25], 0
	v_pk_mov_b32 v[22:23], v[14:15], v[14:15] op_sel:[0,1]
	v_pk_mov_b32 v[20:21], v[12:13], v[12:13] op_sel:[0,1]
	;; [unrolled: 1-line block ×3, first 2 shown]
                                        ; implicit-def: $sgpr26_sgpr27
                                        ; implicit-def: $vgpr62
	s_and_saveexec_b64 s[22:23], vcc
	s_cbranch_execz .LBB1035_75
; %bb.56:
	v_mov_b32_e32 v2, s54
	v_cmp_eq_u64_e32 vcc, v[42:43], v[44:45]
	v_add_u32_e32 v10, 5, v64
	v_cndmask_b32_e32 v2, v2, v47, vcc
	v_cmp_ne_u64_e32 vcc, v[42:43], v[44:45]
	v_cndmask_b32_e64 v3, 0, 1, vcc
	v_cmp_gt_u32_e32 vcc, s40, v10
	v_pk_mov_b32 v[16:17], s[10:11], s[10:11] op_sel:[0,1]
	v_pk_mov_b32 v[14:15], s[8:9], s[8:9] op_sel:[0,1]
	;; [unrolled: 1-line block ×5, first 2 shown]
	s_mov_b64 s[28:29], 0
	v_pk_mov_b32 v[22:23], v[14:15], v[14:15] op_sel:[0,1]
	v_pk_mov_b32 v[20:21], v[12:13], v[12:13] op_sel:[0,1]
	;; [unrolled: 1-line block ×3, first 2 shown]
                                        ; implicit-def: $sgpr4_sgpr5
                                        ; implicit-def: $vgpr62
	s_and_saveexec_b64 s[24:25], vcc
	s_cbranch_execz .LBB1035_74
; %bb.57:
	ds_read2_b32 v[42:43], v65 offset0:5 offset1:6
	v_mov_b32_e32 v11, s54
	v_cmp_eq_u64_e32 vcc, v[44:45], v[38:39]
	s_mov_b32 s4, 0
	v_add_u32_e32 v10, 6, v64
	s_waitcnt lgkmcnt(0)
	v_cndmask_b32_e32 v16, v11, v42, vcc
	v_cmp_ne_u64_e32 vcc, v[44:45], v[38:39]
	s_mov_b32 s10, s4
	s_mov_b32 s11, s4
	v_cndmask_b32_e64 v17, 0, 1, vcc
	v_cmp_gt_u32_e32 vcc, s40, v10
	v_mov_b32_e32 v10, 0
	s_mov_b32 s5, s4
	s_mov_b32 s6, s4
	;; [unrolled: 1-line block ×5, first 2 shown]
	v_pk_mov_b32 v[24:25], s[10:11], s[10:11] op_sel:[0,1]
	v_mov_b32_e32 v11, v10
	v_mov_b32_e32 v12, v10
	v_mov_b32_e32 v13, v10
	v_mov_b32_e32 v14, v10
	v_mov_b32_e32 v15, v10
	v_pk_mov_b32 v[22:23], s[8:9], s[8:9] op_sel:[0,1]
	v_pk_mov_b32 v[20:21], s[6:7], s[6:7] op_sel:[0,1]
	v_pk_mov_b32 v[18:19], s[4:5], s[4:5] op_sel:[0,1]
                                        ; implicit-def: $sgpr36_sgpr37
                                        ; implicit-def: $vgpr62
	s_and_saveexec_b64 s[26:27], vcc
	s_cbranch_execz .LBB1035_73
; %bb.58:
	v_mov_b32_e32 v12, s54
	v_cmp_eq_u64_e32 vcc, v[38:39], v[40:41]
	v_add_u32_e32 v11, 7, v64
	v_cndmask_b32_e32 v14, v12, v43, vcc
	v_cmp_ne_u64_e32 vcc, v[38:39], v[40:41]
	v_pk_mov_b32 v[24:25], s[10:11], s[10:11] op_sel:[0,1]
	v_cndmask_b32_e64 v15, 0, 1, vcc
	v_cmp_gt_u32_e32 vcc, s40, v11
	v_mov_b32_e32 v11, v10
	v_mov_b32_e32 v12, v10
	;; [unrolled: 1-line block ×3, first 2 shown]
	s_mov_b64 s[30:31], 0
	v_pk_mov_b32 v[22:23], s[8:9], s[8:9] op_sel:[0,1]
	v_pk_mov_b32 v[20:21], s[6:7], s[6:7] op_sel:[0,1]
	;; [unrolled: 1-line block ×3, first 2 shown]
                                        ; implicit-def: $sgpr4_sgpr5
                                        ; implicit-def: $vgpr62
	s_and_saveexec_b64 s[28:29], vcc
	s_cbranch_execz .LBB1035_72
; %bb.59:
	ds_read2_b32 v[38:39], v65 offset0:7 offset1:8
	s_mov_b32 s4, 0
	v_mov_b32_e32 v11, s54
	v_cmp_eq_u64_e32 vcc, v[40:41], v[34:35]
	s_mov_b32 s10, s4
	s_mov_b32 s11, s4
	v_add_u32_e32 v10, 8, v64
	s_waitcnt lgkmcnt(0)
	v_cndmask_b32_e32 v12, v11, v38, vcc
	v_cmp_ne_u64_e32 vcc, v[40:41], v[34:35]
	s_mov_b32 s5, s4
	s_mov_b32 s6, s4
	;; [unrolled: 1-line block ×5, first 2 shown]
	v_pk_mov_b32 v[24:25], s[10:11], s[10:11] op_sel:[0,1]
	v_cndmask_b32_e64 v13, 0, 1, vcc
	v_cmp_gt_u32_e32 vcc, s40, v10
	v_mov_b32_e32 v10, s4
	v_mov_b32_e32 v11, s4
	s_mov_b64 s[36:37], 0
	v_pk_mov_b32 v[22:23], s[8:9], s[8:9] op_sel:[0,1]
	v_pk_mov_b32 v[20:21], s[6:7], s[6:7] op_sel:[0,1]
	;; [unrolled: 1-line block ×3, first 2 shown]
                                        ; implicit-def: $sgpr38_sgpr39
                                        ; implicit-def: $vgpr62
	s_and_saveexec_b64 s[30:31], vcc
	s_cbranch_execz .LBB1035_71
; %bb.60:
	v_mov_b32_e32 v10, s54
	v_cmp_eq_u64_e32 vcc, v[34:35], v[36:37]
	v_add_u32_e32 v18, 9, v64
	v_cndmask_b32_e32 v10, v10, v39, vcc
	v_cmp_ne_u64_e32 vcc, v[34:35], v[36:37]
	v_cndmask_b32_e64 v11, 0, 1, vcc
	v_cmp_gt_u32_e32 vcc, s40, v18
	v_pk_mov_b32 v[24:25], s[10:11], s[10:11] op_sel:[0,1]
	v_pk_mov_b32 v[22:23], s[8:9], s[8:9] op_sel:[0,1]
	v_pk_mov_b32 v[20:21], s[6:7], s[6:7] op_sel:[0,1]
	v_pk_mov_b32 v[18:19], s[4:5], s[4:5] op_sel:[0,1]
                                        ; implicit-def: $sgpr6_sgpr7
                                        ; implicit-def: $vgpr62
	s_and_saveexec_b64 s[4:5], vcc
	s_cbranch_execz .LBB1035_70
; %bb.61:
	ds_read2_b32 v[34:35], v65 offset0:9 offset1:10
	v_mov_b32_e32 v18, s54
	v_cmp_eq_u64_e32 vcc, v[36:37], v[30:31]
	v_add_u32_e32 v20, 10, v64
	v_mov_b32_e32 v22, 0
	s_waitcnt lgkmcnt(0)
	v_cndmask_b32_e32 v18, v18, v34, vcc
	v_cmp_ne_u64_e32 vcc, v[36:37], v[30:31]
	v_cndmask_b32_e64 v19, 0, 1, vcc
	v_cmp_gt_u32_e32 vcc, s40, v20
	v_mov_b32_e32 v20, v22
	v_mov_b32_e32 v21, v22
	;; [unrolled: 1-line block ×5, first 2 shown]
	s_mov_b64 s[8:9], 0
                                        ; implicit-def: $sgpr36_sgpr37
                                        ; implicit-def: $vgpr62
	s_and_saveexec_b64 s[6:7], vcc
	s_cbranch_execz .LBB1035_69
; %bb.62:
	v_mov_b32_e32 v20, s54
	v_cmp_eq_u64_e32 vcc, v[30:31], v[32:33]
	v_add_u32_e32 v23, 11, v64
	v_cndmask_b32_e32 v20, v20, v35, vcc
	v_cmp_ne_u64_e32 vcc, v[30:31], v[32:33]
	v_cndmask_b32_e64 v21, 0, 1, vcc
	v_cmp_gt_u32_e32 vcc, s40, v23
	s_mov_b32 s36, 0
	v_mov_b32_e32 v23, v22
	v_mov_b32_e32 v24, v22
	v_mov_b32_e32 v25, v22
	s_mov_b64 s[10:11], 0
                                        ; implicit-def: $sgpr38_sgpr39
                                        ; implicit-def: $vgpr62
	s_and_saveexec_b64 s[8:9], vcc
	s_cbranch_execz .LBB1035_68
; %bb.63:
	ds_read2_b32 v[30:31], v65 offset0:11 offset1:12
	v_mov_b32_e32 v22, s54
	v_cmp_eq_u64_e32 vcc, v[32:33], v[26:27]
	v_add_u32_e32 v24, 12, v64
	v_mov_b32_e32 v25, s36
	s_waitcnt lgkmcnt(0)
	v_cndmask_b32_e32 v22, v22, v30, vcc
	v_cmp_ne_u64_e32 vcc, v[32:33], v[26:27]
	v_cndmask_b32_e64 v23, 0, 1, vcc
	v_cmp_gt_u32_e32 vcc, s40, v24
	v_mov_b32_e32 v24, s36
	s_mov_b64 s[36:37], 0
                                        ; implicit-def: $sgpr38_sgpr39
                                        ; implicit-def: $vgpr62
	s_and_saveexec_b64 s[10:11], vcc
	s_cbranch_execz .LBB1035_67
; %bb.64:
	v_mov_b32_e32 v24, s54
	v_cmp_eq_u64_e32 vcc, v[26:27], v[28:29]
	v_add_u32_e32 v30, 13, v64
	v_cndmask_b32_e32 v24, v24, v31, vcc
	v_cmp_ne_u64_e32 vcc, v[26:27], v[28:29]
	v_cndmask_b32_e64 v25, 0, 1, vcc
	v_cmp_gt_u32_e32 vcc, s40, v30
                                        ; implicit-def: $sgpr38_sgpr39
                                        ; implicit-def: $vgpr62
	s_and_saveexec_b64 s[40:41], vcc
	s_xor_b64 s[40:41], exec, s[40:41]
	s_cbranch_execz .LBB1035_66
; %bb.65:
	ds_read_b32 v26, v65 offset:52
	v_mov_b32_e32 v27, s54
	v_cmp_ne_u64_e32 vcc, v[28:29], v[60:61]
	s_mov_b64 s[36:37], exec
	s_and_b64 s[38:39], vcc, exec
	s_waitcnt lgkmcnt(0)
	v_cndmask_b32_e32 v62, v26, v27, vcc
.LBB1035_66:
	s_or_b64 exec, exec, s[40:41]
	s_and_b64 s[38:39], s[38:39], exec
	s_and_b64 s[36:37], s[36:37], exec
.LBB1035_67:
	s_or_b64 exec, exec, s[10:11]
	s_and_b64 s[38:39], s[38:39], exec
	s_and_b64 s[10:11], s[36:37], exec
.LBB1035_68:
	s_or_b64 exec, exec, s[8:9]
	s_and_b64 s[36:37], s[38:39], exec
	s_and_b64 s[8:9], s[10:11], exec
.LBB1035_69:
	s_or_b64 exec, exec, s[6:7]
	s_and_b64 s[6:7], s[36:37], exec
	s_and_b64 s[36:37], s[8:9], exec
.LBB1035_70:
	s_or_b64 exec, exec, s[4:5]
	s_and_b64 s[38:39], s[6:7], exec
	s_and_b64 s[36:37], s[36:37], exec
.LBB1035_71:
	s_or_b64 exec, exec, s[30:31]
	s_and_b64 s[4:5], s[38:39], exec
	s_and_b64 s[30:31], s[36:37], exec
.LBB1035_72:
	s_or_b64 exec, exec, s[28:29]
	s_and_b64 s[36:37], s[4:5], exec
	s_and_b64 s[28:29], s[30:31], exec
.LBB1035_73:
	s_or_b64 exec, exec, s[26:27]
	s_and_b64 s[4:5], s[36:37], exec
	s_and_b64 s[28:29], s[28:29], exec
.LBB1035_74:
	s_or_b64 exec, exec, s[24:25]
	s_and_b64 s[26:27], s[4:5], exec
	s_and_b64 s[24:25], s[28:29], exec
.LBB1035_75:
	s_or_b64 exec, exec, s[22:23]
	s_and_b64 s[4:5], s[26:27], exec
	s_and_b64 s[22:23], s[24:25], exec
.LBB1035_76:
	s_or_b64 exec, exec, s[20:21]
	s_and_b64 s[24:25], s[4:5], exec
	s_and_b64 s[20:21], s[22:23], exec
.LBB1035_77:
	s_or_b64 exec, exec, s[18:19]
	s_and_b64 s[4:5], s[24:25], exec
	s_and_b64 s[18:19], s[20:21], exec
.LBB1035_78:
	s_or_b64 exec, exec, s[16:17]
	s_and_b64 s[16:17], s[4:5], exec
	s_and_b64 s[18:19], s[18:19], exec
.LBB1035_79:
	s_or_b64 exec, exec, s[14:15]
	s_and_b64 vcc, exec, s[12:13]
	v_lshlrev_b32_e32 v48, 3, v0
	s_cbranch_vccnz .LBB1035_81
	s_branch .LBB1035_86
.LBB1035_80:
	s_mov_b64 s[18:19], 0
                                        ; implicit-def: $sgpr16_sgpr17
                                        ; implicit-def: $vgpr2_vgpr3_vgpr4_vgpr5_vgpr6_vgpr7_vgpr8_vgpr9
                                        ; implicit-def: $vgpr10_vgpr11_vgpr12_vgpr13_vgpr14_vgpr15_vgpr16_vgpr17
                                        ; implicit-def: $vgpr18_vgpr19_vgpr20_vgpr21_vgpr22_vgpr23_vgpr24_vgpr25
                                        ; implicit-def: $vgpr62
                                        ; implicit-def: $vgpr56_vgpr57
	s_and_b64 vcc, exec, s[12:13]
	v_lshlrev_b32_e32 v48, 3, v0
	s_cbranch_vccz .LBB1035_86
.LBB1035_81:
	v_add_co_u32_e32 v2, vcc, v58, v48
	v_addc_co_u32_e32 v3, vcc, 0, v59, vcc
	v_add_co_u32_e32 v4, vcc, 0x1000, v2
	v_addc_co_u32_e32 v5, vcc, 0, v3, vcc
	flat_load_dwordx2 v[6:7], v[2:3]
	flat_load_dwordx2 v[8:9], v[2:3] offset:2048
	flat_load_dwordx2 v[10:11], v[4:5]
	flat_load_dwordx2 v[12:13], v[4:5] offset:2048
	v_add_co_u32_e32 v4, vcc, 0x2000, v2
	v_addc_co_u32_e32 v5, vcc, 0, v3, vcc
	v_add_co_u32_e32 v14, vcc, 0x3000, v2
	v_addc_co_u32_e32 v15, vcc, 0, v3, vcc
	flat_load_dwordx2 v[16:17], v[4:5]
	flat_load_dwordx2 v[18:19], v[4:5] offset:2048
	flat_load_dwordx2 v[20:21], v[14:15]
	flat_load_dwordx2 v[22:23], v[14:15] offset:2048
	v_add_co_u32_e32 v4, vcc, 0x4000, v2
	v_addc_co_u32_e32 v5, vcc, 0, v3, vcc
	v_add_co_u32_e32 v14, vcc, 0x5000, v2
	v_addc_co_u32_e32 v15, vcc, 0, v3, vcc
	;; [unrolled: 2-line block ×3, first 2 shown]
	flat_load_dwordx2 v[24:25], v[4:5]
	flat_load_dwordx2 v[26:27], v[4:5] offset:2048
	flat_load_dwordx2 v[28:29], v[14:15]
	flat_load_dwordx2 v[30:31], v[14:15] offset:2048
	s_nop 0
	flat_load_dwordx2 v[4:5], v[2:3]
	flat_load_dwordx2 v[14:15], v[2:3] offset:2048
	v_add_co_u32_e32 v2, vcc, 0x7000, v58
	v_addc_co_u32_e32 v3, vcc, 0, v59, vcc
	s_movk_i32 s6, 0x68
	s_movk_i32 s12, 0x1000
	s_mov_b32 s4, 0
	s_movk_i32 s11, 0x2000
	s_movk_i32 s10, 0x3000
	;; [unrolled: 1-line block ×5, first 2 shown]
	s_waitcnt vmcnt(0) lgkmcnt(0)
	ds_write2st64_b64 v48, v[6:7], v[8:9] offset1:4
	ds_write2st64_b64 v48, v[10:11], v[12:13] offset0:8 offset1:12
	ds_write2st64_b64 v48, v[16:17], v[18:19] offset0:16 offset1:20
	;; [unrolled: 1-line block ×6, first 2 shown]
	s_waitcnt lgkmcnt(0)
	s_barrier
	flat_load_dwordx2 v[40:41], v[2:3]
	v_mad_u32_u24 v2, v0, s6, v48
	s_movk_i32 s6, 0xff98
	ds_read2_b64 v[24:27], v2 offset1:13
	ds_read2_b64 v[10:13], v2 offset0:3 offset1:4
	ds_read2_b64 v[14:17], v2 offset0:1 offset1:2
	;; [unrolled: 1-line block ×6, first 2 shown]
	v_mad_i32_i24 v2, v0, s6, v2
	s_movk_i32 s6, 0xff
	v_cmp_ne_u32_e32 vcc, s6, v0
	s_waitcnt lgkmcnt(0)
	ds_write_b64 v2, v[24:25] offset:30720
	s_waitcnt lgkmcnt(0)
	s_barrier
	s_and_saveexec_b64 s[6:7], vcc
	s_cbranch_execz .LBB1035_83
; %bb.82:
	s_waitcnt vmcnt(0)
	ds_read_b64 v[40:41], v48 offset:30728
.LBB1035_83:
	s_or_b64 exec, exec, s[6:7]
	v_add_co_u32_e32 v4, vcc, v1, v48
	v_addc_co_u32_e32 v5, vcc, 0, v63, vcc
	v_add_co_u32_e32 v6, vcc, s12, v4
	v_addc_co_u32_e32 v7, vcc, 0, v5, vcc
	;; [unrolled: 2-line block ×4, first 2 shown]
	s_waitcnt lgkmcnt(0)
	s_barrier
	flat_load_dword v1, v[4:5]
	flat_load_dword v3, v[4:5] offset:2048
	flat_load_dword v42, v[6:7]
	flat_load_dword v43, v[6:7] offset:2048
	;; [unrolled: 2-line block ×4, first 2 shown]
	v_add_co_u32_e32 v6, vcc, s9, v4
	v_addc_co_u32_e32 v7, vcc, 0, v5, vcc
	v_add_co_u32_e32 v8, vcc, s8, v4
	v_addc_co_u32_e32 v9, vcc, 0, v5, vcc
	;; [unrolled: 2-line block ×3, first 2 shown]
	flat_load_dword v22, v[6:7]
	flat_load_dword v23, v[6:7] offset:2048
	flat_load_dword v49, v[8:9]
	flat_load_dword v50, v[8:9] offset:2048
	;; [unrolled: 2-line block ×3, first 2 shown]
	v_lshlrev_b32_e32 v4, 2, v0
	v_sub_u32_e32 v7, v2, v4
	v_mad_u32_u24 v6, v0, 52, v7
	s_mov_b32 s5, 1
	v_cmp_eq_u64_e32 vcc, v[24:25], v[14:15]
	v_pk_mov_b32 v[56:57], s[4:5], s[4:5] op_sel:[0,1]
	s_waitcnt vmcnt(0) lgkmcnt(0)
	ds_write2st64_b32 v7, v1, v3 offset1:4
	ds_write2st64_b32 v7, v42, v43 offset0:8 offset1:12
	ds_write2st64_b32 v7, v44, v45 offset0:16 offset1:20
	;; [unrolled: 1-line block ×6, first 2 shown]
	s_waitcnt lgkmcnt(0)
	s_barrier
	ds_read2_b32 v[44:45], v6 offset0:7 offset1:8
	ds_read2_b32 v[46:47], v6 offset0:5 offset1:6
	;; [unrolled: 1-line block ×4, first 2 shown]
	ds_read_b32 v1, v6 offset:52
	ds_read2_b32 v[22:23], v6 offset0:11 offset1:12
	ds_read2_b32 v[42:43], v6 offset0:9 offset1:10
	v_mov_b32_e32 v6, s54
	s_and_saveexec_b64 s[4:5], vcc
	s_cbranch_execz .LBB1035_85
; %bb.84:
	v_mul_u32_u24_e32 v6, 52, v0
	v_add_u32_e32 v6, v7, v6
	ds_read_b32 v6, v6
	v_pk_mov_b32 v[56:57], 0, 0
.LBB1035_85:
	s_or_b64 exec, exec, s[4:5]
	v_mov_b32_e32 v49, s54
	v_cmp_eq_u64_e32 vcc, v[14:15], v[16:17]
	s_waitcnt lgkmcnt(3)
	v_cndmask_b32_e32 v8, v49, v4, vcc
	v_cmp_eq_u64_e32 vcc, v[16:17], v[10:11]
	s_waitcnt lgkmcnt(0)
	v_or_b32_e32 v56, v56, v6
	v_cndmask_b32_e32 v6, v49, v5, vcc
	v_cmp_eq_u64_e32 vcc, v[10:11], v[12:13]
	v_cndmask_b32_e32 v4, v49, v2, vcc
	v_cmp_eq_u64_e32 vcc, v[12:13], v[36:37]
	v_cndmask_b32_e32 v2, v49, v3, vcc
	v_cmp_ne_u64_e32 vcc, v[14:15], v[16:17]
	v_cndmask_b32_e64 v9, 0, 1, vcc
	v_cmp_ne_u64_e32 vcc, v[16:17], v[10:11]
	v_cndmask_b32_e64 v7, 0, 1, vcc
	;; [unrolled: 2-line block ×4, first 2 shown]
	v_cmp_eq_u64_e32 vcc, v[36:37], v[38:39]
	v_cndmask_b32_e32 v16, v49, v46, vcc
	v_cmp_eq_u64_e32 vcc, v[38:39], v[18:19]
	v_cndmask_b32_e32 v14, v49, v47, vcc
	;; [unrolled: 2-line block ×4, first 2 shown]
	v_cmp_ne_u64_e32 vcc, v[36:37], v[38:39]
	v_cndmask_b32_e64 v17, 0, 1, vcc
	v_cmp_ne_u64_e32 vcc, v[38:39], v[18:19]
	v_cndmask_b32_e64 v15, 0, 1, vcc
	;; [unrolled: 2-line block ×4, first 2 shown]
	v_cmp_eq_u64_e32 vcc, v[34:35], v[26:27]
	v_cndmask_b32_e32 v24, v49, v23, vcc
	v_cmp_eq_u64_e32 vcc, v[32:33], v[34:35]
	v_cndmask_b32_e32 v22, v49, v22, vcc
	;; [unrolled: 2-line block ×4, first 2 shown]
	v_cmp_ne_u64_e32 vcc, v[34:35], v[26:27]
	v_cndmask_b32_e64 v25, 0, 1, vcc
	v_cmp_ne_u64_e32 vcc, v[32:33], v[34:35]
	v_cndmask_b32_e64 v23, 0, 1, vcc
	;; [unrolled: 2-line block ×3, first 2 shown]
	v_cmp_ne_u64_e32 vcc, v[28:29], v[30:31]
	v_cmp_ne_u64_e64 s[16:17], v[26:27], v[40:41]
	v_cndmask_b32_e64 v19, 0, 1, vcc
	v_cndmask_b32_e64 v62, v1, v49, s[16:17]
	s_mov_b64 s[18:19], -1
                                        ; implicit-def: $sgpr12_sgpr13
.LBB1035_86:
	v_pk_mov_b32 v[38:39], s[12:13], s[12:13] op_sel:[0,1]
	s_and_saveexec_b64 s[4:5], s[18:19]
; %bb.87:
	v_cndmask_b32_e64 v63, 0, 1, s[16:17]
	v_pk_mov_b32 v[38:39], v[62:63], v[62:63] op_sel:[0,1]
; %bb.88:
	s_or_b64 exec, exec, s[4:5]
	s_mov_b32 s28, 0
	s_cmp_lg_u32 s47, 0
	v_mbcnt_lo_u32_b32 v50, -1, 0
	v_lshrrev_b32_e32 v1, 6, v0
	v_or_b32_e32 v49, 63, v0
	s_barrier
	s_cbranch_scc0 .LBB1035_129
; %bb.89:
	s_mov_b32 s29, 1
	v_cmp_gt_u64_e64 s[4:5], s[28:29], v[8:9]
	v_cndmask_b32_e64 v27, 0, v56, s[4:5]
	v_add_u32_e32 v27, v27, v8
	v_cmp_gt_u64_e64 s[6:7], s[28:29], v[6:7]
	v_cndmask_b32_e64 v27, 0, v27, s[6:7]
	v_add_u32_e32 v27, v27, v6
	;; [unrolled: 3-line block ×12, first 2 shown]
	v_cmp_gt_u64_e32 vcc, s[28:29], v[38:39]
	v_cndmask_b32_e32 v27, 0, v27, vcc
	v_add_u32_e32 v28, v27, v38
	v_or3_b32 v27, v39, v25, v23
	v_or3_b32 v27, v27, v21, v19
	;; [unrolled: 1-line block ×6, first 2 shown]
	v_mov_b32_e32 v26, 0
	v_and_b32_e32 v27, 1, v27
	v_cmp_eq_u64_e32 vcc, 0, v[26:27]
	v_cndmask_b32_e32 v27, 1, v57, vcc
	v_and_b32_e32 v29, 0xff, v27
	v_mov_b32_dpp v31, v28 row_shr:1 row_mask:0xf bank_mask:0xf
	v_cmp_eq_u16_e32 vcc, 0, v29
	v_mov_b32_dpp v32, v29 row_shr:1 row_mask:0xf bank_mask:0xf
	v_and_b32_e32 v33, 1, v27
	v_mbcnt_hi_u32_b32 v44, -1, v50
	v_cndmask_b32_e32 v31, 0, v31, vcc
	v_and_b32_e32 v32, 1, v32
	v_cmp_eq_u32_e32 vcc, 1, v33
	v_and_b32_e32 v30, 15, v44
	v_cndmask_b32_e64 v32, v32, 1, vcc
	v_and_b32_e32 v33, 0xffff, v32
	v_cmp_eq_u32_e32 vcc, 0, v30
	v_cndmask_b32_e32 v27, v32, v27, vcc
	v_cndmask_b32_e32 v29, v33, v29, vcc
	v_and_b32_e32 v33, 1, v27
	v_cndmask_b32_e64 v31, v31, 0, vcc
	v_mov_b32_dpp v32, v29 row_shr:2 row_mask:0xf bank_mask:0xf
	v_and_b32_e32 v32, 1, v32
	v_cmp_eq_u32_e32 vcc, 1, v33
	v_cndmask_b32_e64 v32, v32, 1, vcc
	v_and_b32_e32 v33, 0xffff, v32
	v_cmp_lt_u32_e32 vcc, 1, v30
	v_add_u32_e32 v28, v31, v28
	v_cmp_eq_u16_sdwa s[28:29], v27, v26 src0_sel:BYTE_0 src1_sel:DWORD
	v_cndmask_b32_e32 v27, v27, v32, vcc
	v_cndmask_b32_e32 v29, v29, v33, vcc
	v_mov_b32_dpp v31, v28 row_shr:2 row_mask:0xf bank_mask:0xf
	s_and_b64 vcc, vcc, s[28:29]
	v_mov_b32_dpp v32, v29 row_shr:4 row_mask:0xf bank_mask:0xf
	v_and_b32_e32 v33, 1, v27
	v_cndmask_b32_e32 v31, 0, v31, vcc
	v_and_b32_e32 v32, 1, v32
	v_cmp_eq_u32_e32 vcc, 1, v33
	v_cndmask_b32_e64 v32, v32, 1, vcc
	v_and_b32_e32 v33, 0xffff, v32
	v_cmp_lt_u32_e32 vcc, 3, v30
	v_add_u32_e32 v28, v31, v28
	v_cmp_eq_u16_sdwa s[28:29], v27, v26 src0_sel:BYTE_0 src1_sel:DWORD
	v_cndmask_b32_e32 v27, v27, v32, vcc
	v_cndmask_b32_e32 v29, v29, v33, vcc
	v_mov_b32_dpp v31, v28 row_shr:4 row_mask:0xf bank_mask:0xf
	s_and_b64 vcc, vcc, s[28:29]
	v_mov_b32_dpp v32, v29 row_shr:8 row_mask:0xf bank_mask:0xf
	v_and_b32_e32 v33, 1, v27
	v_cndmask_b32_e32 v31, 0, v31, vcc
	v_and_b32_e32 v32, 1, v32
	v_cmp_eq_u32_e32 vcc, 1, v33
	v_cndmask_b32_e64 v32, v32, 1, vcc
	v_add_u32_e32 v28, v31, v28
	v_cmp_eq_u16_sdwa s[28:29], v27, v26 src0_sel:BYTE_0 src1_sel:DWORD
	v_and_b32_e32 v33, 0xffff, v32
	v_cmp_lt_u32_e32 vcc, 7, v30
	v_mov_b32_dpp v31, v28 row_shr:8 row_mask:0xf bank_mask:0xf
	v_cndmask_b32_e32 v27, v27, v32, vcc
	v_cndmask_b32_e32 v29, v29, v33, vcc
	s_and_b64 vcc, vcc, s[28:29]
	v_cndmask_b32_e32 v30, 0, v31, vcc
	v_add_u32_e32 v28, v30, v28
	v_mov_b32_dpp v31, v29 row_bcast:15 row_mask:0xf bank_mask:0xf
	v_cmp_eq_u16_sdwa vcc, v27, v26 src0_sel:BYTE_0 src1_sel:DWORD
	v_mov_b32_dpp v30, v28 row_bcast:15 row_mask:0xf bank_mask:0xf
	v_and_b32_e32 v34, 1, v27
	v_cndmask_b32_e32 v30, 0, v30, vcc
	v_and_b32_e32 v31, 1, v31
	v_cmp_eq_u32_e32 vcc, 1, v34
	v_and_b32_e32 v33, 16, v44
	v_cndmask_b32_e64 v31, v31, 1, vcc
	v_and_b32_e32 v34, 0xffff, v31
	v_cmp_eq_u32_e32 vcc, 0, v33
	v_cndmask_b32_e32 v27, v31, v27, vcc
	v_cndmask_b32_e32 v29, v34, v29, vcc
	v_bfe_i32 v32, v44, 4, 1
	v_cmp_eq_u16_sdwa s[28:29], v27, v26 src0_sel:BYTE_0 src1_sel:DWORD
	v_mov_b32_dpp v29, v29 row_bcast:31 row_mask:0xf bank_mask:0xf
	v_and_b32_e32 v26, 1, v27
	v_and_b32_e32 v30, v32, v30
	;; [unrolled: 1-line block ×3, first 2 shown]
	v_cmp_eq_u32_e32 vcc, 1, v26
	v_add_u32_e32 v28, v30, v28
	v_cndmask_b32_e64 v26, v29, 1, vcc
	v_cmp_lt_u32_e32 vcc, 31, v44
	v_mov_b32_dpp v30, v28 row_bcast:31 row_mask:0xf bank_mask:0xf
	v_cndmask_b32_e32 v29, v27, v26, vcc
	s_and_b64 vcc, vcc, s[28:29]
	v_cndmask_b32_e32 v26, 0, v30, vcc
	v_add_u32_e32 v28, v26, v28
	v_cmp_eq_u32_e32 vcc, v49, v0
	s_and_saveexec_b64 s[28:29], vcc
	s_cbranch_execz .LBB1035_91
; %bb.90:
	v_lshlrev_b32_e32 v26, 3, v1
	ds_write_b32 v26, v28
	ds_write_b8 v26, v29 offset:4
.LBB1035_91:
	s_or_b64 exec, exec, s[28:29]
	v_cmp_gt_u32_e32 vcc, 4, v0
	s_waitcnt lgkmcnt(0)
	s_barrier
	s_and_saveexec_b64 s[28:29], vcc
	s_cbranch_execz .LBB1035_95
; %bb.92:
	ds_read_b64 v[26:27], v48
	v_and_b32_e32 v30, 3, v44
	v_cmp_ne_u32_e32 vcc, 0, v30
	s_waitcnt lgkmcnt(0)
	v_mov_b32_dpp v31, v26 row_shr:1 row_mask:0xf bank_mask:0xf
	v_mov_b32_dpp v33, v27 row_shr:1 row_mask:0xf bank_mask:0xf
	v_mov_b32_e32 v32, v27
	s_and_saveexec_b64 s[30:31], vcc
	s_cbranch_execz .LBB1035_94
; %bb.93:
	v_and_b32_e32 v32, 1, v27
	v_and_b32_e32 v33, 1, v33
	v_cmp_eq_u32_e32 vcc, 1, v32
	v_mov_b32_e32 v32, 0
	v_cndmask_b32_e64 v33, v33, 1, vcc
	v_cmp_eq_u16_sdwa vcc, v27, v32 src0_sel:BYTE_0 src1_sel:DWORD
	v_cndmask_b32_e32 v31, 0, v31, vcc
	v_add_u32_e32 v26, v31, v26
	v_and_b32_e32 v31, 0xffff, v33
	s_movk_i32 s36, 0xff00
	v_and_or_b32 v32, v27, s36, v31
	v_mov_b32_e32 v27, v33
.LBB1035_94:
	s_or_b64 exec, exec, s[30:31]
	v_mov_b32_dpp v32, v32 row_shr:2 row_mask:0xf bank_mask:0xf
	v_and_b32_e32 v33, 1, v27
	v_and_b32_e32 v32, 1, v32
	v_cmp_eq_u32_e32 vcc, 1, v33
	v_mov_b32_e32 v33, 0
	v_cndmask_b32_e64 v32, v32, 1, vcc
	v_cmp_eq_u16_sdwa s[30:31], v27, v33 src0_sel:BYTE_0 src1_sel:DWORD
	v_cmp_lt_u32_e32 vcc, 1, v30
	v_mov_b32_dpp v31, v26 row_shr:2 row_mask:0xf bank_mask:0xf
	v_cndmask_b32_e32 v27, v27, v32, vcc
	s_and_b64 vcc, vcc, s[30:31]
	v_cndmask_b32_e32 v30, 0, v31, vcc
	v_add_u32_e32 v26, v30, v26
	ds_write_b32 v48, v26
	ds_write_b8 v48, v27 offset:4
.LBB1035_95:
	s_or_b64 exec, exec, s[28:29]
	v_cmp_gt_u32_e32 vcc, 64, v0
	v_cmp_lt_u32_e64 s[28:29], 63, v0
	v_mov_b32_e32 v40, 0
	v_mov_b32_e32 v41, 0
	s_waitcnt lgkmcnt(0)
	s_barrier
	s_and_saveexec_b64 s[30:31], s[28:29]
	s_cbranch_execz .LBB1035_97
; %bb.96:
	v_lshl_add_u32 v26, v1, 3, -8
	ds_read_b32 v40, v26
	ds_read_u8 v41, v26 offset:4
	v_mov_b32_e32 v27, 0
	v_and_b32_e32 v30, 1, v29
	v_cmp_eq_u16_sdwa s[28:29], v29, v27 src0_sel:BYTE_0 src1_sel:DWORD
	s_waitcnt lgkmcnt(1)
	v_cndmask_b32_e64 v26, 0, v40, s[28:29]
	v_cmp_eq_u32_e64 s[28:29], 1, v30
	v_add_u32_e32 v28, v26, v28
	s_waitcnt lgkmcnt(0)
	v_cndmask_b32_e64 v29, v41, 1, s[28:29]
.LBB1035_97:
	s_or_b64 exec, exec, s[30:31]
	v_and_b32_e32 v26, 0xff, v29
	v_add_u32_e32 v27, -1, v44
	v_and_b32_e32 v29, 64, v44
	v_cmp_lt_i32_e64 s[28:29], v27, v29
	v_cndmask_b32_e64 v27, v27, v44, s[28:29]
	v_lshlrev_b32_e32 v27, 2, v27
	ds_bpermute_b32 v42, v27, v28
	ds_bpermute_b32 v43, v27, v26
	v_cmp_eq_u32_e64 s[28:29], 0, v44
	s_and_saveexec_b64 s[36:37], vcc
	s_cbranch_execz .LBB1035_116
; %bb.98:
	v_mov_b32_e32 v29, 0
	ds_read_b64 v[26:27], v29 offset:24
	s_waitcnt lgkmcnt(0)
	v_readfirstlane_b32 s48, v27
	s_and_saveexec_b64 s[30:31], s[28:29]
	s_cbranch_execz .LBB1035_100
; %bb.99:
	s_add_i32 s38, s47, 64
	s_mov_b32 s39, 0
	s_lshl_b64 s[40:41], s[38:39], 4
	s_add_u32 s40, s44, s40
	s_addc_u32 s41, s45, s41
	s_and_b32 s57, s48, 0xff000000
	s_mov_b32 s56, s39
	s_and_b32 s59, s48, 0xff0000
	s_mov_b32 s58, s39
	s_or_b64 s[56:57], s[58:59], s[56:57]
	s_and_b32 s59, s48, 0xff00
	s_or_b64 s[56:57], s[56:57], s[58:59]
	s_and_b32 s59, s48, 0xff
	s_or_b64 s[38:39], s[56:57], s[58:59]
	v_mov_b32_e32 v27, s39
	v_mov_b32_e32 v28, 1
	v_pk_mov_b32 v[30:31], s[40:41], s[40:41] op_sel:[0,1]
	;;#ASMSTART
	global_store_dwordx4 v[30:31], v[26:29] off	
s_waitcnt vmcnt(0)
	;;#ASMEND
.LBB1035_100:
	s_or_b64 exec, exec, s[30:31]
	v_xad_u32 v34, v44, -1, s47
	v_add_u32_e32 v28, 64, v34
	v_lshlrev_b64 v[30:31], 4, v[28:29]
	v_mov_b32_e32 v27, s45
	v_add_co_u32_e32 v36, vcc, s44, v30
	v_addc_co_u32_e32 v37, vcc, v27, v31, vcc
	;;#ASMSTART
	global_load_dwordx4 v[30:33], v[36:37] off glc	
s_waitcnt vmcnt(0)
	;;#ASMEND
	v_and_b32_e32 v27, 0xff0000, v30
	v_or_b32_sdwa v27, v30, v27 dst_sel:DWORD dst_unused:UNUSED_PAD src0_sel:WORD_0 src1_sel:DWORD
	v_and_b32_e32 v28, 0xff000000, v30
	v_and_b32_e32 v30, 0xff, v31
	v_or3_b32 v31, 0, 0, v30
	v_or3_b32 v30, v27, v28, 0
	v_cmp_eq_u16_sdwa s[38:39], v32, v29 src0_sel:BYTE_0 src1_sel:DWORD
	s_and_saveexec_b64 s[30:31], s[38:39]
	s_cbranch_execz .LBB1035_104
; %bb.101:
	s_mov_b64 s[38:39], 0
	v_mov_b32_e32 v27, 0
.LBB1035_102:                           ; =>This Inner Loop Header: Depth=1
	;;#ASMSTART
	global_load_dwordx4 v[30:33], v[36:37] off glc	
s_waitcnt vmcnt(0)
	;;#ASMEND
	v_cmp_ne_u16_sdwa s[40:41], v32, v27 src0_sel:BYTE_0 src1_sel:DWORD
	s_or_b64 s[38:39], s[40:41], s[38:39]
	s_andn2_b64 exec, exec, s[38:39]
	s_cbranch_execnz .LBB1035_102
; %bb.103:
	s_or_b64 exec, exec, s[38:39]
	v_and_b32_e32 v31, 0xff, v31
.LBB1035_104:
	s_or_b64 exec, exec, s[30:31]
	v_mov_b32_e32 v27, 2
	v_cmp_eq_u16_sdwa s[30:31], v32, v27 src0_sel:BYTE_0 src1_sel:DWORD
	v_lshlrev_b64 v[28:29], v44, -1
	v_and_b32_e32 v33, s31, v29
	v_or_b32_e32 v33, 0x80000000, v33
	v_and_b32_e32 v35, s30, v28
	v_ffbl_b32_e32 v33, v33
	v_and_b32_e32 v45, 63, v44
	v_add_u32_e32 v33, 32, v33
	v_ffbl_b32_e32 v35, v35
	v_cmp_ne_u32_e32 vcc, 63, v45
	v_min_u32_e32 v33, v35, v33
	v_addc_co_u32_e32 v35, vcc, 0, v44, vcc
	v_lshlrev_b32_e32 v46, 2, v35
	ds_bpermute_b32 v35, v46, v31
	ds_bpermute_b32 v36, v46, v30
	s_mov_b32 s38, 0
	v_and_b32_e32 v37, 1, v31
	s_mov_b32 s39, 1
	s_waitcnt lgkmcnt(1)
	v_and_b32_e32 v35, 1, v35
	v_cmp_eq_u32_e32 vcc, 1, v37
	v_cndmask_b32_e64 v35, v35, 1, vcc
	v_cmp_gt_u64_e32 vcc, s[38:39], v[30:31]
	v_cmp_lt_u32_e64 s[30:31], v45, v33
	s_and_b64 vcc, s[30:31], vcc
	v_and_b32_e32 v37, 0xffff, v35
	v_cndmask_b32_e64 v52, v31, v35, s[30:31]
	s_waitcnt lgkmcnt(0)
	v_cndmask_b32_e32 v35, 0, v36, vcc
	v_cmp_gt_u32_e32 vcc, 62, v45
	v_cndmask_b32_e64 v36, 0, 1, vcc
	v_lshlrev_b32_e32 v36, 1, v36
	v_cndmask_b32_e64 v31, v31, v37, s[30:31]
	v_add_lshl_u32 v47, v36, v44, 2
	ds_bpermute_b32 v36, v47, v31
	v_add_u32_e32 v30, v35, v30
	ds_bpermute_b32 v37, v47, v30
	v_and_b32_e32 v35, 1, v52
	v_cmp_eq_u32_e32 vcc, 1, v35
	s_waitcnt lgkmcnt(1)
	v_and_b32_e32 v36, 1, v36
	v_mov_b32_e32 v35, 0
	v_add_u32_e32 v51, 2, v45
	v_cndmask_b32_e64 v36, v36, 1, vcc
	v_cmp_eq_u16_sdwa vcc, v52, v35 src0_sel:BYTE_0 src1_sel:DWORD
	v_and_b32_e32 v53, 0xffff, v36
	s_waitcnt lgkmcnt(0)
	v_cndmask_b32_e32 v37, 0, v37, vcc
	v_cmp_gt_u32_e32 vcc, v51, v33
	v_cndmask_b32_e32 v36, v36, v52, vcc
	v_cndmask_b32_e64 v37, v37, 0, vcc
	v_cndmask_b32_e32 v31, v53, v31, vcc
	v_cmp_gt_u32_e32 vcc, 60, v45
	v_cndmask_b32_e64 v52, 0, 1, vcc
	v_lshlrev_b32_e32 v52, 2, v52
	v_add_lshl_u32 v52, v52, v44, 2
	ds_bpermute_b32 v58, v52, v31
	v_add_u32_e32 v30, v37, v30
	ds_bpermute_b32 v37, v52, v30
	v_and_b32_e32 v59, 1, v36
	v_cmp_eq_u32_e32 vcc, 1, v59
	s_waitcnt lgkmcnt(1)
	v_and_b32_e32 v58, 1, v58
	v_add_u32_e32 v53, 4, v45
	v_cndmask_b32_e64 v58, v58, 1, vcc
	v_cmp_eq_u16_sdwa vcc, v36, v35 src0_sel:BYTE_0 src1_sel:DWORD
	v_and_b32_e32 v59, 0xffff, v58
	s_waitcnt lgkmcnt(0)
	v_cndmask_b32_e32 v37, 0, v37, vcc
	v_cmp_gt_u32_e32 vcc, v53, v33
	v_cndmask_b32_e32 v36, v58, v36, vcc
	v_cndmask_b32_e64 v37, v37, 0, vcc
	v_cndmask_b32_e32 v31, v59, v31, vcc
	v_cmp_gt_u32_e32 vcc, 56, v45
	v_cndmask_b32_e64 v58, 0, 1, vcc
	v_lshlrev_b32_e32 v58, 3, v58
	v_add_lshl_u32 v58, v58, v44, 2
	ds_bpermute_b32 v60, v58, v31
	v_add_u32_e32 v30, v37, v30
	ds_bpermute_b32 v37, v58, v30
	v_and_b32_e32 v61, 1, v36
	v_cmp_eq_u32_e32 vcc, 1, v61
	s_waitcnt lgkmcnt(1)
	v_and_b32_e32 v60, 1, v60
	;; [unrolled: 21-line block ×4, first 2 shown]
	v_add_u32_e32 v64, 32, v45
	v_cndmask_b32_e64 v31, v31, 1, vcc
	v_cmp_eq_u16_sdwa vcc, v36, v35 src0_sel:BYTE_0 src1_sel:DWORD
	s_waitcnt lgkmcnt(0)
	v_cndmask_b32_e32 v37, 0, v37, vcc
	v_cmp_gt_u32_e32 vcc, v64, v33
	v_cndmask_b32_e64 v33, v37, 0, vcc
	v_cndmask_b32_e32 v31, v31, v36, vcc
	v_add_u32_e32 v30, v33, v30
	s_branch .LBB1035_106
.LBB1035_105:                           ;   in Loop: Header=BB1035_106 Depth=1
	s_or_b64 exec, exec, s[30:31]
	v_cmp_eq_u16_sdwa s[30:31], v32, v27 src0_sel:BYTE_0 src1_sel:DWORD
	v_and_b32_e32 v33, s31, v29
	ds_bpermute_b32 v37, v46, v31
	v_or_b32_e32 v33, 0x80000000, v33
	v_and_b32_e32 v36, s30, v28
	v_ffbl_b32_e32 v33, v33
	v_add_u32_e32 v33, 32, v33
	v_ffbl_b32_e32 v36, v36
	v_min_u32_e32 v33, v36, v33
	ds_bpermute_b32 v36, v46, v30
	v_and_b32_e32 v65, 1, v31
	s_waitcnt lgkmcnt(1)
	v_and_b32_e32 v37, 1, v37
	v_cmp_eq_u32_e32 vcc, 1, v65
	v_cndmask_b32_e64 v37, v37, 1, vcc
	v_cmp_gt_u64_e32 vcc, s[38:39], v[30:31]
	v_and_b32_e32 v65, 0xffff, v37
	v_cmp_lt_u32_e64 s[30:31], v45, v33
	v_cndmask_b32_e64 v37, v31, v37, s[30:31]
	v_cndmask_b32_e64 v31, v31, v65, s[30:31]
	s_and_b64 vcc, s[30:31], vcc
	ds_bpermute_b32 v65, v47, v31
	s_waitcnt lgkmcnt(1)
	v_cndmask_b32_e32 v36, 0, v36, vcc
	v_add_u32_e32 v30, v36, v30
	ds_bpermute_b32 v36, v47, v30
	v_and_b32_e32 v66, 1, v37
	s_waitcnt lgkmcnt(1)
	v_and_b32_e32 v65, 1, v65
	v_cmp_eq_u32_e32 vcc, 1, v66
	v_cndmask_b32_e64 v65, v65, 1, vcc
	v_cmp_eq_u16_sdwa vcc, v37, v35 src0_sel:BYTE_0 src1_sel:DWORD
	v_and_b32_e32 v66, 0xffff, v65
	s_waitcnt lgkmcnt(0)
	v_cndmask_b32_e32 v36, 0, v36, vcc
	v_cmp_gt_u32_e32 vcc, v51, v33
	v_cndmask_b32_e32 v31, v66, v31, vcc
	v_cndmask_b32_e32 v37, v65, v37, vcc
	ds_bpermute_b32 v65, v52, v31
	v_cndmask_b32_e64 v36, v36, 0, vcc
	v_add_u32_e32 v30, v36, v30
	ds_bpermute_b32 v36, v52, v30
	v_and_b32_e32 v66, 1, v37
	s_waitcnt lgkmcnt(1)
	v_and_b32_e32 v65, 1, v65
	v_cmp_eq_u32_e32 vcc, 1, v66
	v_cndmask_b32_e64 v65, v65, 1, vcc
	v_cmp_eq_u16_sdwa vcc, v37, v35 src0_sel:BYTE_0 src1_sel:DWORD
	v_and_b32_e32 v66, 0xffff, v65
	s_waitcnt lgkmcnt(0)
	v_cndmask_b32_e32 v36, 0, v36, vcc
	v_cmp_gt_u32_e32 vcc, v53, v33
	v_cndmask_b32_e32 v31, v66, v31, vcc
	v_cndmask_b32_e32 v37, v65, v37, vcc
	ds_bpermute_b32 v65, v58, v31
	v_cndmask_b32_e64 v36, v36, 0, vcc
	;; [unrolled: 16-line block ×3, first 2 shown]
	v_add_u32_e32 v30, v36, v30
	ds_bpermute_b32 v36, v60, v30
	v_and_b32_e32 v66, 1, v37
	s_waitcnt lgkmcnt(1)
	v_and_b32_e32 v65, 1, v65
	v_cmp_eq_u32_e32 vcc, 1, v66
	v_cndmask_b32_e64 v65, v65, 1, vcc
	v_cmp_eq_u16_sdwa vcc, v37, v35 src0_sel:BYTE_0 src1_sel:DWORD
	v_and_b32_e32 v66, 0xffff, v65
	s_waitcnt lgkmcnt(0)
	v_cndmask_b32_e32 v36, 0, v36, vcc
	v_cmp_gt_u32_e32 vcc, v61, v33
	v_cndmask_b32_e64 v36, v36, 0, vcc
	v_cndmask_b32_e32 v31, v66, v31, vcc
	ds_bpermute_b32 v31, v63, v31
	v_add_u32_e32 v30, v36, v30
	ds_bpermute_b32 v36, v63, v30
	v_cndmask_b32_e32 v37, v65, v37, vcc
	v_and_b32_e32 v65, 1, v37
	v_cmp_eq_u32_e32 vcc, 1, v65
	s_waitcnt lgkmcnt(1)
	v_cndmask_b32_e64 v31, v31, 1, vcc
	v_cmp_eq_u16_sdwa vcc, v37, v35 src0_sel:BYTE_0 src1_sel:DWORD
	s_waitcnt lgkmcnt(0)
	v_cndmask_b32_e32 v36, 0, v36, vcc
	v_cmp_gt_u32_e32 vcc, v64, v33
	v_cndmask_b32_e64 v33, v36, 0, vcc
	v_cndmask_b32_e32 v31, v31, v37, vcc
	v_add_u32_e32 v30, v33, v30
	v_cmp_eq_u16_sdwa vcc, v44, v35 src0_sel:BYTE_0 src1_sel:DWORD
	v_and_b32_e32 v33, 1, v44
	v_cndmask_b32_e32 v30, 0, v30, vcc
	v_and_b32_e32 v31, 1, v31
	v_cmp_eq_u32_e32 vcc, 1, v33
	v_subrev_u32_e32 v34, 64, v34
	v_add_u32_e32 v30, v30, v62
	v_cndmask_b32_e64 v31, v31, 1, vcc
.LBB1035_106:                           ; =>This Loop Header: Depth=1
                                        ;     Child Loop BB1035_109 Depth 2
	v_cmp_ne_u16_sdwa s[30:31], v32, v27 src0_sel:BYTE_0 src1_sel:DWORD
	v_mov_b32_e32 v44, v31
	v_cndmask_b32_e64 v31, 0, 1, s[30:31]
	;;#ASMSTART
	;;#ASMEND
	v_cmp_ne_u32_e32 vcc, 0, v31
	s_cmp_lg_u64 vcc, exec
	v_mov_b32_e32 v62, v30
	s_cbranch_scc1 .LBB1035_111
; %bb.107:                              ;   in Loop: Header=BB1035_106 Depth=1
	v_lshlrev_b64 v[30:31], 4, v[34:35]
	v_mov_b32_e32 v32, s45
	v_add_co_u32_e32 v36, vcc, s44, v30
	v_addc_co_u32_e32 v37, vcc, v32, v31, vcc
	;;#ASMSTART
	global_load_dwordx4 v[30:33], v[36:37] off glc	
s_waitcnt vmcnt(0)
	;;#ASMEND
	v_and_b32_e32 v33, 0xff0000, v30
	v_or_b32_sdwa v33, v30, v33 dst_sel:DWORD dst_unused:UNUSED_PAD src0_sel:WORD_0 src1_sel:DWORD
	v_and_b32_e32 v30, 0xff000000, v30
	v_and_b32_e32 v31, 0xff, v31
	v_or3_b32 v31, 0, 0, v31
	v_or3_b32 v30, v33, v30, 0
	v_cmp_eq_u16_sdwa s[40:41], v32, v35 src0_sel:BYTE_0 src1_sel:DWORD
	s_and_saveexec_b64 s[30:31], s[40:41]
	s_cbranch_execz .LBB1035_105
; %bb.108:                              ;   in Loop: Header=BB1035_106 Depth=1
	s_mov_b64 s[40:41], 0
.LBB1035_109:                           ;   Parent Loop BB1035_106 Depth=1
                                        ; =>  This Inner Loop Header: Depth=2
	;;#ASMSTART
	global_load_dwordx4 v[30:33], v[36:37] off glc	
s_waitcnt vmcnt(0)
	;;#ASMEND
	v_cmp_ne_u16_sdwa s[56:57], v32, v35 src0_sel:BYTE_0 src1_sel:DWORD
	s_or_b64 s[40:41], s[56:57], s[40:41]
	s_andn2_b64 exec, exec, s[40:41]
	s_cbranch_execnz .LBB1035_109
; %bb.110:                              ;   in Loop: Header=BB1035_106 Depth=1
	s_or_b64 exec, exec, s[40:41]
	v_and_b32_e32 v31, 0xff, v31
	s_branch .LBB1035_105
.LBB1035_111:                           ;   in Loop: Header=BB1035_106 Depth=1
                                        ; implicit-def: $vgpr31
                                        ; implicit-def: $vgpr30
                                        ; implicit-def: $vgpr32
	s_cbranch_execz .LBB1035_106
; %bb.112:
	s_and_saveexec_b64 s[30:31], s[28:29]
	s_cbranch_execz .LBB1035_114
; %bb.113:
	s_and_b32 s38, s48, 0xff
	s_cmp_eq_u32 s38, 0
	s_cselect_b64 vcc, -1, 0
	s_bitcmp1_b32 s48, 0
	s_mov_b32 s39, 0
	s_cselect_b64 s[40:41], -1, 0
	s_add_i32 s38, s47, 64
	s_lshl_b64 s[38:39], s[38:39], 4
	v_cndmask_b32_e32 v27, 0, v62, vcc
	s_add_u32 s38, s44, s38
	v_add_u32_e32 v26, v27, v26
	v_and_b32_e32 v27, 1, v44
	s_addc_u32 s39, s45, s39
	v_mov_b32_e32 v29, 0
	v_cndmask_b32_e64 v27, v27, 1, s[40:41]
	v_mov_b32_e32 v28, 2
	v_pk_mov_b32 v[30:31], s[38:39], s[38:39] op_sel:[0,1]
	;;#ASMSTART
	global_store_dwordx4 v[30:31], v[26:29] off	
s_waitcnt vmcnt(0)
	;;#ASMEND
.LBB1035_114:
	s_or_b64 exec, exec, s[30:31]
	s_and_b64 exec, exec, s[0:1]
	s_cbranch_execz .LBB1035_116
; %bb.115:
	v_mov_b32_e32 v26, 0
	ds_write_b32 v26, v62 offset:24
	ds_write_b8 v26, v44 offset:28
.LBB1035_116:
	s_or_b64 exec, exec, s[36:37]
	v_mov_b32_e32 v28, 0
	s_waitcnt lgkmcnt(0)
	s_barrier
	ds_read_b32 v26, v28 offset:24
	v_cndmask_b32_e64 v27, v43, v41, s[28:29]
	v_cmp_eq_u16_sdwa vcc, v27, v28 src0_sel:BYTE_0 src1_sel:DWORD
	v_cndmask_b32_e64 v29, v42, v40, s[28:29]
	s_waitcnt lgkmcnt(0)
	v_cndmask_b32_e32 v27, 0, v26, vcc
	v_add_u32_e32 v27, v27, v29
	v_and_b32_e32 v29, 0xff, v57
	v_cndmask_b32_e64 v26, v27, v26, s[0:1]
	v_cmp_eq_u64_e32 vcc, 0, v[28:29]
	v_cndmask_b32_e32 v27, 0, v26, vcc
	v_add_u32_e32 v27, v27, v56
	v_cndmask_b32_e64 v28, 0, v27, s[4:5]
	v_add_u32_e32 v40, v28, v8
	v_cndmask_b32_e64 v28, 0, v40, s[6:7]
	;; [unrolled: 2-line block ×12, first 2 shown]
	v_add_u32_e32 v47, v28, v24
	s_branch .LBB1035_143
.LBB1035_117:
	s_or_b64 exec, exec, s[30:31]
                                        ; implicit-def: $vgpr4
	s_and_saveexec_b64 s[30:31], s[4:5]
	s_cbranch_execz .LBB1035_37
.LBB1035_118:
	v_add_co_u32_e32 v4, vcc, v1, v73
	v_addc_co_u32_e32 v5, vcc, 0, v63, vcc
	flat_load_dword v4, v[4:5] offset:2048
	s_or_b64 exec, exec, s[30:31]
                                        ; implicit-def: $vgpr5
	s_and_saveexec_b64 s[4:5], s[6:7]
	s_cbranch_execnz .LBB1035_38
.LBB1035_119:
	s_or_b64 exec, exec, s[4:5]
                                        ; implicit-def: $vgpr6
	s_and_saveexec_b64 s[4:5], s[8:9]
	s_cbranch_execz .LBB1035_39
.LBB1035_120:
	v_add_co_u32_e32 v6, vcc, v1, v57
	v_addc_co_u32_e32 v7, vcc, 0, v63, vcc
	flat_load_dword v6, v[6:7]
	s_or_b64 exec, exec, s[4:5]
                                        ; implicit-def: $vgpr7
	s_and_saveexec_b64 s[4:5], s[10:11]
	s_cbranch_execnz .LBB1035_40
.LBB1035_121:
	s_or_b64 exec, exec, s[4:5]
                                        ; implicit-def: $vgpr8
	s_and_saveexec_b64 s[4:5], s[12:13]
	s_cbranch_execz .LBB1035_41
.LBB1035_122:
	v_add_co_u32_e32 v8, vcc, v1, v64
	v_addc_co_u32_e32 v9, vcc, 0, v63, vcc
	flat_load_dword v8, v[8:9]
	s_or_b64 exec, exec, s[4:5]
                                        ; implicit-def: $vgpr9
	s_and_saveexec_b64 s[4:5], s[14:15]
	s_cbranch_execnz .LBB1035_42
.LBB1035_123:
	s_or_b64 exec, exec, s[4:5]
                                        ; implicit-def: $vgpr10
	s_and_saveexec_b64 s[4:5], s[16:17]
	s_cbranch_execz .LBB1035_43
.LBB1035_124:
	v_add_co_u32_e32 v10, vcc, v1, v66
	v_addc_co_u32_e32 v11, vcc, 0, v63, vcc
	flat_load_dword v10, v[10:11]
	s_or_b64 exec, exec, s[4:5]
                                        ; implicit-def: $vgpr11
	s_and_saveexec_b64 s[4:5], s[18:19]
	s_cbranch_execnz .LBB1035_44
.LBB1035_125:
	s_or_b64 exec, exec, s[4:5]
                                        ; implicit-def: $vgpr12
	s_and_saveexec_b64 s[4:5], s[20:21]
	s_cbranch_execz .LBB1035_45
.LBB1035_126:
	v_add_co_u32_e32 v12, vcc, v1, v68
	v_addc_co_u32_e32 v13, vcc, 0, v63, vcc
	flat_load_dword v12, v[12:13]
	s_or_b64 exec, exec, s[4:5]
                                        ; implicit-def: $vgpr13
	s_and_saveexec_b64 s[4:5], s[22:23]
	s_cbranch_execnz .LBB1035_46
.LBB1035_127:
	s_or_b64 exec, exec, s[4:5]
                                        ; implicit-def: $vgpr14
	s_and_saveexec_b64 s[4:5], s[24:25]
	s_cbranch_execz .LBB1035_47
.LBB1035_128:
	v_add_co_u32_e32 v14, vcc, v1, v70
	v_addc_co_u32_e32 v15, vcc, 0, v63, vcc
	flat_load_dword v14, v[14:15]
	s_or_b64 exec, exec, s[4:5]
                                        ; implicit-def: $vgpr15
	s_and_saveexec_b64 s[4:5], s[26:27]
	s_cbranch_execz .LBB1035_49
	s_branch .LBB1035_48
.LBB1035_129:
                                        ; implicit-def: $vgpr47
                                        ; implicit-def: $vgpr45
                                        ; implicit-def: $vgpr43
                                        ; implicit-def: $vgpr41
                                        ; implicit-def: $vgpr34_vgpr35_vgpr36_vgpr37
                                        ; implicit-def: $vgpr30_vgpr31_vgpr32_vgpr33
                                        ; implicit-def: $vgpr26_vgpr27_vgpr28_vgpr29
	s_cbranch_execz .LBB1035_143
; %bb.130:
	s_cmp_lg_u64 s[52:53], 0
	s_cselect_b32 s5, s51, 0
	s_cselect_b32 s4, s50, 0
	s_mov_b32 s26, 0
	s_cmp_eq_u64 s[4:5], 0
	v_mov_b32_e32 v32, s54
	s_cbranch_scc1 .LBB1035_132
; %bb.131:
	v_mov_b32_e32 v26, 0
	global_load_dword v32, v26, s[4:5]
.LBB1035_132:
	s_mov_b32 s27, 1
	v_cmp_gt_u64_e32 vcc, s[26:27], v[8:9]
	v_cndmask_b32_e32 v27, 0, v56, vcc
	v_add_u32_e32 v27, v27, v8
	v_cmp_gt_u64_e64 s[4:5], s[26:27], v[6:7]
	v_cndmask_b32_e64 v27, 0, v27, s[4:5]
	v_add_u32_e32 v27, v27, v6
	v_cmp_gt_u64_e64 s[6:7], s[26:27], v[4:5]
	v_cndmask_b32_e64 v27, 0, v27, s[6:7]
	;; [unrolled: 3-line block ×11, first 2 shown]
	v_mov_b32_e32 v26, 0
	v_add_u32_e32 v27, v27, v24
	v_cmp_gt_u64_e64 s[26:27], s[26:27], v[38:39]
	v_or3_b32 v7, v23, v15, v7
	v_cndmask_b32_e64 v27, 0, v27, s[26:27]
	v_or3_b32 v9, v25, v17, v9
	v_and_b32_e32 v35, 1, v7
	v_mov_b32_e32 v34, v26
	v_add_u32_e32 v33, v27, v38
	v_and_b32_e32 v27, 1, v39
	v_or3_b32 v3, v19, v11, v3
	v_and_b32_e32 v31, 1, v9
	v_mov_b32_e32 v30, v26
	v_cmp_ne_u64_e64 s[28:29], 0, v[34:35]
	v_cmp_eq_u32_e64 s[26:27], 1, v27
	v_or3_b32 v5, v21, v13, v5
	v_and_b32_e32 v27, 1, v3
	v_cndmask_b32_e64 v3, 0, 1, s[28:29]
	v_cmp_ne_u64_e64 s[28:29], 0, v[30:31]
	v_and_b32_e32 v29, 1, v5
	v_mov_b32_e32 v28, v26
	v_cndmask_b32_e64 v5, 0, 1, s[28:29]
	v_lshlrev_b16_e32 v3, 2, v3
	v_lshlrev_b16_e32 v5, 3, v5
	v_cmp_ne_u64_e64 s[28:29], 0, v[28:29]
	v_or_b32_e32 v3, v5, v3
	v_cndmask_b32_e64 v5, 0, 1, s[28:29]
	v_cmp_ne_u64_e64 s[28:29], 0, v[26:27]
	v_lshlrev_b16_e32 v5, 1, v5
	v_cndmask_b32_e64 v7, 0, 1, s[28:29]
	v_or_b32_e32 v5, v7, v5
	v_and_b32_e32 v5, 3, v5
	v_or_b32_e32 v3, v5, v3
	v_and_b32_e32 v3, 15, v3
	v_cmp_ne_u16_e64 s[28:29], 0, v3
	s_or_b64 s[26:27], s[26:27], s[28:29]
	v_cndmask_b32_e64 v5, v57, 1, s[26:27]
	v_and_b32_e32 v7, 0xff, v5
	v_mov_b32_dpp v11, v33 row_shr:1 row_mask:0xf bank_mask:0xf
	v_cmp_eq_u16_e64 s[26:27], 0, v7
	v_mov_b32_dpp v13, v7 row_shr:1 row_mask:0xf bank_mask:0xf
	v_and_b32_e32 v15, 1, v5
	v_mbcnt_hi_u32_b32 v3, -1, v50
	v_cndmask_b32_e64 v11, 0, v11, s[26:27]
	v_and_b32_e32 v13, 1, v13
	v_cmp_eq_u32_e64 s[26:27], 1, v15
	v_and_b32_e32 v9, 15, v3
	v_cndmask_b32_e64 v13, v13, 1, s[26:27]
	v_and_b32_e32 v15, 0xffff, v13
	v_cmp_eq_u32_e64 s[26:27], 0, v9
	v_cndmask_b32_e64 v5, v13, v5, s[26:27]
	v_cndmask_b32_e64 v7, v15, v7, s[26:27]
	v_and_b32_e32 v17, 1, v5
	v_cndmask_b32_e64 v11, v11, 0, s[26:27]
	v_mov_b32_dpp v15, v7 row_shr:2 row_mask:0xf bank_mask:0xf
	v_and_b32_e32 v15, 1, v15
	v_cmp_eq_u32_e64 s[26:27], 1, v17
	v_cndmask_b32_e64 v15, v15, 1, s[26:27]
	v_and_b32_e32 v17, 0xffff, v15
	v_cmp_lt_u32_e64 s[26:27], 1, v9
	v_add_u32_e32 v11, v11, v33
	v_cmp_eq_u16_sdwa s[28:29], v5, v26 src0_sel:BYTE_0 src1_sel:DWORD
	v_cndmask_b32_e64 v5, v5, v15, s[26:27]
	v_cndmask_b32_e64 v7, v7, v17, s[26:27]
	v_mov_b32_dpp v13, v11 row_shr:2 row_mask:0xf bank_mask:0xf
	s_and_b64 s[26:27], s[26:27], s[28:29]
	v_mov_b32_dpp v15, v7 row_shr:4 row_mask:0xf bank_mask:0xf
	v_and_b32_e32 v17, 1, v5
	v_cndmask_b32_e64 v13, 0, v13, s[26:27]
	v_and_b32_e32 v15, 1, v15
	v_cmp_eq_u32_e64 s[26:27], 1, v17
	v_cndmask_b32_e64 v15, v15, 1, s[26:27]
	v_and_b32_e32 v17, 0xffff, v15
	v_cmp_lt_u32_e64 s[26:27], 3, v9
	v_add_u32_e32 v11, v13, v11
	v_cmp_eq_u16_sdwa s[28:29], v5, v26 src0_sel:BYTE_0 src1_sel:DWORD
	v_cndmask_b32_e64 v5, v5, v15, s[26:27]
	v_cndmask_b32_e64 v7, v7, v17, s[26:27]
	v_mov_b32_dpp v13, v11 row_shr:4 row_mask:0xf bank_mask:0xf
	s_and_b64 s[26:27], s[26:27], s[28:29]
	v_mov_b32_dpp v15, v7 row_shr:8 row_mask:0xf bank_mask:0xf
	v_and_b32_e32 v17, 1, v5
	v_cndmask_b32_e64 v13, 0, v13, s[26:27]
	v_and_b32_e32 v15, 1, v15
	v_cmp_eq_u32_e64 s[26:27], 1, v17
	v_cndmask_b32_e64 v15, v15, 1, s[26:27]
	v_add_u32_e32 v11, v13, v11
	v_cmp_eq_u16_sdwa s[28:29], v5, v26 src0_sel:BYTE_0 src1_sel:DWORD
	v_and_b32_e32 v17, 0xffff, v15
	v_cmp_lt_u32_e64 s[26:27], 7, v9
	v_mov_b32_dpp v13, v11 row_shr:8 row_mask:0xf bank_mask:0xf
	v_cndmask_b32_e64 v5, v5, v15, s[26:27]
	v_cndmask_b32_e64 v7, v7, v17, s[26:27]
	s_and_b64 s[26:27], s[26:27], s[28:29]
	v_cndmask_b32_e64 v9, 0, v13, s[26:27]
	v_add_u32_e32 v9, v9, v11
	v_mov_b32_dpp v13, v7 row_bcast:15 row_mask:0xf bank_mask:0xf
	v_cmp_eq_u16_sdwa s[26:27], v5, v26 src0_sel:BYTE_0 src1_sel:DWORD
	v_mov_b32_dpp v11, v9 row_bcast:15 row_mask:0xf bank_mask:0xf
	v_and_b32_e32 v19, 1, v5
	v_cndmask_b32_e64 v11, 0, v11, s[26:27]
	v_and_b32_e32 v13, 1, v13
	v_cmp_eq_u32_e64 s[26:27], 1, v19
	v_and_b32_e32 v17, 16, v3
	v_cndmask_b32_e64 v13, v13, 1, s[26:27]
	v_and_b32_e32 v19, 0xffff, v13
	v_cmp_eq_u32_e64 s[26:27], 0, v17
	v_cndmask_b32_e64 v5, v13, v5, s[26:27]
	v_cndmask_b32_e64 v7, v19, v7, s[26:27]
	v_bfe_i32 v15, v3, 4, 1
	v_and_b32_e32 v13, 1, v5
	v_mov_b32_dpp v7, v7 row_bcast:31 row_mask:0xf bank_mask:0xf
	v_and_b32_e32 v11, v15, v11
	v_and_b32_e32 v7, 1, v7
	v_cmp_eq_u32_e64 s[26:27], 1, v13
	v_add_u32_e32 v9, v11, v9
	v_cmp_eq_u16_sdwa s[28:29], v5, v26 src0_sel:BYTE_0 src1_sel:DWORD
	v_cndmask_b32_e64 v7, v7, 1, s[26:27]
	v_cmp_lt_u32_e64 s[26:27], 31, v3
	v_mov_b32_dpp v11, v9 row_bcast:31 row_mask:0xf bank_mask:0xf
	v_cndmask_b32_e64 v5, v5, v7, s[26:27]
	s_and_b64 s[26:27], s[26:27], s[28:29]
	v_cndmask_b32_e64 v7, 0, v11, s[26:27]
	v_add_u32_e32 v7, v7, v9
	v_cmp_eq_u32_e64 s[26:27], v49, v0
	s_and_saveexec_b64 s[28:29], s[26:27]
	s_cbranch_execz .LBB1035_134
; %bb.133:
	v_lshlrev_b32_e32 v9, 3, v1
	ds_write_b32 v9, v7
	ds_write_b8 v9, v5 offset:4
.LBB1035_134:
	s_or_b64 exec, exec, s[28:29]
	v_cmp_gt_u32_e64 s[26:27], 4, v0
	s_waitcnt lgkmcnt(0)
	s_barrier
	s_and_saveexec_b64 s[28:29], s[26:27]
	s_cbranch_execz .LBB1035_138
; %bb.135:
	ds_read_b64 v[26:27], v48
	v_and_b32_e32 v9, 3, v3
	v_cmp_ne_u32_e64 s[26:27], 0, v9
	s_waitcnt lgkmcnt(0)
	v_mov_b32_dpp v11, v26 row_shr:1 row_mask:0xf bank_mask:0xf
	v_mov_b32_dpp v15, v27 row_shr:1 row_mask:0xf bank_mask:0xf
	v_mov_b32_e32 v13, v27
	s_and_saveexec_b64 s[30:31], s[26:27]
	s_cbranch_execz .LBB1035_137
; %bb.136:
	v_and_b32_e32 v13, 1, v27
	v_and_b32_e32 v15, 1, v15
	v_cmp_eq_u32_e64 s[26:27], 1, v13
	v_mov_b32_e32 v13, 0
	v_cndmask_b32_e64 v15, v15, 1, s[26:27]
	v_cmp_eq_u16_sdwa s[26:27], v27, v13 src0_sel:BYTE_0 src1_sel:DWORD
	v_cndmask_b32_e64 v11, 0, v11, s[26:27]
	v_add_u32_e32 v26, v11, v26
	v_and_b32_e32 v11, 0xffff, v15
	s_movk_i32 s26, 0xff00
	v_and_or_b32 v13, v27, s26, v11
	v_mov_b32_e32 v27, v15
.LBB1035_137:
	s_or_b64 exec, exec, s[30:31]
	v_mov_b32_dpp v13, v13 row_shr:2 row_mask:0xf bank_mask:0xf
	v_and_b32_e32 v15, 1, v27
	v_and_b32_e32 v13, 1, v13
	v_cmp_eq_u32_e64 s[26:27], 1, v15
	v_mov_b32_e32 v15, 0
	v_cndmask_b32_e64 v13, v13, 1, s[26:27]
	v_cmp_eq_u16_sdwa s[30:31], v27, v15 src0_sel:BYTE_0 src1_sel:DWORD
	v_cmp_lt_u32_e64 s[26:27], 1, v9
	v_mov_b32_dpp v11, v26 row_shr:2 row_mask:0xf bank_mask:0xf
	v_cndmask_b32_e64 v9, v27, v13, s[26:27]
	s_and_b64 s[26:27], s[26:27], s[30:31]
	v_cndmask_b32_e64 v11, 0, v11, s[26:27]
	v_add_u32_e32 v11, v11, v26
	ds_write_b32 v48, v11
	ds_write_b8 v48, v9 offset:4
.LBB1035_138:
	s_or_b64 exec, exec, s[28:29]
	v_cmp_lt_u32_e64 s[26:27], 63, v0
	s_waitcnt vmcnt(0)
	v_mov_b32_e32 v9, v32
	s_waitcnt lgkmcnt(0)
	s_barrier
	s_and_saveexec_b64 s[28:29], s[26:27]
	s_cbranch_execz .LBB1035_140
; %bb.139:
	v_lshl_add_u32 v1, v1, 3, -8
	ds_read_u8 v9, v1 offset:4
	ds_read_b32 v1, v1
	s_waitcnt lgkmcnt(1)
	v_cmp_eq_u16_e64 s[26:27], 0, v9
	v_cndmask_b32_e64 v9, 0, v32, s[26:27]
	s_waitcnt lgkmcnt(0)
	v_add_u32_e32 v9, v9, v1
.LBB1035_140:
	s_or_b64 exec, exec, s[28:29]
	v_mov_b32_e32 v28, 0
	v_cmp_eq_u16_sdwa s[26:27], v5, v28 src0_sel:BYTE_0 src1_sel:DWORD
	v_cndmask_b32_e64 v1, 0, v9, s[26:27]
	v_add_u32_e32 v1, v1, v7
	v_add_u32_e32 v5, -1, v3
	v_and_b32_e32 v7, 64, v3
	v_cmp_lt_i32_e64 s[26:27], v5, v7
	v_cndmask_b32_e64 v5, v5, v3, s[26:27]
	v_lshlrev_b32_e32 v5, 2, v5
	ds_bpermute_b32 v1, v5, v1
	v_cmp_eq_u32_e64 s[26:27], 0, v3
	v_and_b32_e32 v29, 0xff, v57
	s_waitcnt lgkmcnt(0)
	v_cndmask_b32_e64 v26, v1, v9, s[26:27]
	v_cndmask_b32_e64 v1, v26, v32, s[0:1]
	v_cmp_eq_u64_e64 s[26:27], 0, v[28:29]
	v_cndmask_b32_e64 v1, 0, v1, s[26:27]
	v_add_u32_e32 v27, v1, v56
	v_cndmask_b32_e32 v1, 0, v27, vcc
	v_add_u32_e32 v40, v1, v8
	v_cndmask_b32_e64 v1, 0, v40, s[4:5]
	v_add_u32_e32 v41, v1, v6
	v_cndmask_b32_e64 v1, 0, v41, s[6:7]
	;; [unrolled: 2-line block ×11, first 2 shown]
	s_and_saveexec_b64 s[4:5], s[0:1]
	s_cbranch_execz .LBB1035_142
; %bb.141:
	ds_read_u8 v3, v28 offset:28
	ds_read_b32 v2, v28 offset:24
	s_add_u32 s0, s44, 0x400
	s_addc_u32 s1, s45, 0
	v_mov_b32_e32 v5, v28
	s_waitcnt lgkmcnt(1)
	v_cmp_eq_u16_e32 vcc, 0, v3
	v_cndmask_b32_e32 v4, 0, v32, vcc
	s_waitcnt lgkmcnt(0)
	v_add_u32_e32 v2, v4, v2
	v_and_b32_e32 v3, 0xffff, v3
	v_mov_b32_e32 v4, 2
	v_pk_mov_b32 v[6:7], s[0:1], s[0:1] op_sel:[0,1]
	;;#ASMSTART
	global_store_dwordx4 v[6:7], v[2:5] off	
s_waitcnt vmcnt(0)
	;;#ASMEND
	v_mov_b32_e32 v26, v32
.LBB1035_142:
	s_or_b64 exec, exec, s[4:5]
	v_add_u32_e32 v47, v1, v24
.LBB1035_143:
	s_add_u32 s0, s42, s34
	s_addc_u32 s1, s43, s35
	v_mov_b32_e32 v1, s1
	v_add_co_u32_e32 v18, vcc, s0, v54
	v_addc_co_u32_e32 v19, vcc, v1, v55, vcc
	v_mul_u32_u24_e32 v1, 14, v0
	s_and_b64 vcc, exec, s[2:3]
	v_lshlrev_b32_e32 v2, 2, v1
	s_cbranch_vccz .LBB1035_171
; %bb.144:
	s_movk_i32 s0, 0xffcc
	v_mad_i32_i24 v3, v0, s0, v2
	s_barrier
	ds_write2_b64 v2, v[26:27], v[40:41] offset1:1
	ds_write2_b64 v2, v[30:31], v[42:43] offset0:2 offset1:3
	ds_write2_b64 v2, v[34:35], v[44:45] offset0:4 offset1:5
	ds_write_b64 v2, v[46:47] offset:48
	s_waitcnt lgkmcnt(0)
	s_barrier
	ds_read2st64_b32 v[16:17], v3 offset0:4 offset1:8
	ds_read2st64_b32 v[14:15], v3 offset0:12 offset1:16
	;; [unrolled: 1-line block ×6, first 2 shown]
	ds_read_b32 v3, v3 offset:13312
	v_add_co_u32_e32 v4, vcc, v18, v48
	s_add_i32 s33, s33, s46
	v_addc_co_u32_e32 v5, vcc, 0, v19, vcc
	v_mov_b32_e32 v1, 0
	v_cmp_gt_u32_e32 vcc, s33, v0
	s_and_saveexec_b64 s[0:1], vcc
	s_cbranch_execz .LBB1035_146
; %bb.145:
	v_mul_i32_i24_e32 v20, 0xffffffcc, v0
	v_add_u32_e32 v20, v2, v20
	ds_read_b32 v20, v20
	s_waitcnt lgkmcnt(0)
	v_ashrrev_i32_e32 v21, 31, v20
	flat_store_dwordx2 v[4:5], v[20:21]
.LBB1035_146:
	s_or_b64 exec, exec, s[0:1]
	v_or_b32_e32 v20, 0x100, v0
	v_cmp_gt_u32_e32 vcc, s33, v20
	s_and_saveexec_b64 s[0:1], vcc
	s_cbranch_execz .LBB1035_148
; %bb.147:
	s_waitcnt lgkmcnt(0)
	v_ashrrev_i32_e32 v21, 31, v16
	v_mov_b32_e32 v20, v16
	flat_store_dwordx2 v[4:5], v[20:21] offset:2048
.LBB1035_148:
	s_or_b64 exec, exec, s[0:1]
	s_waitcnt lgkmcnt(0)
	v_or_b32_e32 v16, 0x200, v0
	v_cmp_gt_u32_e32 vcc, s33, v16
	s_and_saveexec_b64 s[0:1], vcc
	s_cbranch_execz .LBB1035_150
; %bb.149:
	v_add_co_u32_e32 v16, vcc, 0x1000, v4
	v_ashrrev_i32_e32 v21, 31, v17
	v_mov_b32_e32 v20, v17
	v_addc_co_u32_e32 v17, vcc, 0, v5, vcc
	flat_store_dwordx2 v[16:17], v[20:21]
.LBB1035_150:
	s_or_b64 exec, exec, s[0:1]
	v_or_b32_e32 v16, 0x300, v0
	v_cmp_gt_u32_e32 vcc, s33, v16
	s_and_saveexec_b64 s[0:1], vcc
	s_cbranch_execz .LBB1035_152
; %bb.151:
	v_add_co_u32_e32 v20, vcc, 0x1000, v4
	v_ashrrev_i32_e32 v17, 31, v14
	v_mov_b32_e32 v16, v14
	v_addc_co_u32_e32 v21, vcc, 0, v5, vcc
	flat_store_dwordx2 v[20:21], v[16:17] offset:2048
.LBB1035_152:
	s_or_b64 exec, exec, s[0:1]
	v_or_b32_e32 v14, 0x400, v0
	v_cmp_gt_u32_e32 vcc, s33, v14
	s_and_saveexec_b64 s[0:1], vcc
	s_cbranch_execz .LBB1035_154
; %bb.153:
	v_add_co_u32_e32 v14, vcc, 0x2000, v4
	v_ashrrev_i32_e32 v17, 31, v15
	v_mov_b32_e32 v16, v15
	v_addc_co_u32_e32 v15, vcc, 0, v5, vcc
	flat_store_dwordx2 v[14:15], v[16:17]
.LBB1035_154:
	s_or_b64 exec, exec, s[0:1]
	v_or_b32_e32 v14, 0x500, v0
	v_cmp_gt_u32_e32 vcc, s33, v14
	s_and_saveexec_b64 s[0:1], vcc
	s_cbranch_execz .LBB1035_156
; %bb.155:
	v_add_co_u32_e32 v16, vcc, 0x2000, v4
	v_ashrrev_i32_e32 v15, 31, v12
	v_mov_b32_e32 v14, v12
	v_addc_co_u32_e32 v17, vcc, 0, v5, vcc
	flat_store_dwordx2 v[16:17], v[14:15] offset:2048
.LBB1035_156:
	s_or_b64 exec, exec, s[0:1]
	;; [unrolled: 24-line block ×5, first 2 shown]
	v_or_b32_e32 v6, 0xc00, v0
	v_cmp_gt_u32_e32 vcc, s33, v6
	s_and_saveexec_b64 s[0:1], vcc
	s_cbranch_execz .LBB1035_170
; %bb.169:
	v_add_co_u32_e32 v4, vcc, 0x6000, v4
	v_ashrrev_i32_e32 v9, 31, v7
	v_mov_b32_e32 v8, v7
	v_addc_co_u32_e32 v5, vcc, 0, v5, vcc
	flat_store_dwordx2 v[4:5], v[8:9]
.LBB1035_170:
	s_or_b64 exec, exec, s[0:1]
	v_or_b32_e32 v4, 0xd00, v0
	v_cmp_gt_u32_e64 s[0:1], s33, v4
	s_branch .LBB1035_173
.LBB1035_171:
	s_mov_b64 s[0:1], 0
                                        ; implicit-def: $vgpr3
	s_cbranch_execz .LBB1035_173
; %bb.172:
	s_movk_i32 s2, 0xffcc
	v_mad_i32_i24 v28, v0, s2, v2
	s_waitcnt lgkmcnt(0)
	s_barrier
	ds_write2_b64 v2, v[26:27], v[40:41] offset1:1
	ds_write2_b64 v2, v[30:31], v[42:43] offset0:2 offset1:3
	ds_write2_b64 v2, v[34:35], v[44:45] offset0:4 offset1:5
	ds_write_b64 v2, v[46:47] offset:48
	s_waitcnt lgkmcnt(0)
	s_barrier
	ds_read2st64_b32 v[2:3], v28 offset1:4
	ds_read2st64_b32 v[6:7], v28 offset0:8 offset1:12
	ds_read2st64_b32 v[14:15], v28 offset0:24 offset1:28
	v_add_co_u32_e32 v32, vcc, v18, v48
	s_waitcnt lgkmcnt(0)
	v_ashrrev_i32_e32 v5, 31, v2
	v_mov_b32_e32 v4, v2
	v_ashrrev_i32_e32 v9, 31, v3
	v_mov_b32_e32 v8, v3
	ds_read2st64_b32 v[2:3], v28 offset0:16 offset1:20
	v_ashrrev_i32_e32 v11, 31, v6
	v_mov_b32_e32 v10, v6
	v_ashrrev_i32_e32 v13, 31, v7
	v_mov_b32_e32 v12, v7
	s_waitcnt lgkmcnt(0)
	v_ashrrev_i32_e32 v7, 31, v2
	v_mov_b32_e32 v6, v2
	v_ashrrev_i32_e32 v17, 31, v3
	v_mov_b32_e32 v16, v3
	ds_read2st64_b32 v[2:3], v28 offset0:32 offset1:36
	v_addc_co_u32_e32 v33, vcc, 0, v19, vcc
	s_movk_i32 s2, 0x1000
	v_ashrrev_i32_e32 v21, 31, v14
	v_mov_b32_e32 v20, v14
	v_ashrrev_i32_e32 v23, 31, v15
	v_mov_b32_e32 v22, v15
	s_waitcnt lgkmcnt(0)
	v_ashrrev_i32_e32 v15, 31, v2
	ds_read2st64_b32 v[24:25], v28 offset0:40 offset1:44
	v_mov_b32_e32 v14, v2
	v_ashrrev_i32_e32 v27, 31, v3
	v_mov_b32_e32 v26, v3
	ds_read2st64_b32 v[2:3], v28 offset0:48 offset1:52
	flat_store_dwordx2 v[32:33], v[4:5]
	flat_store_dwordx2 v[32:33], v[8:9] offset:2048
	v_add_co_u32_e32 v4, vcc, s2, v32
	v_addc_co_u32_e32 v5, vcc, 0, v33, vcc
	s_movk_i32 s2, 0x2000
	flat_store_dwordx2 v[4:5], v[10:11]
	flat_store_dwordx2 v[4:5], v[12:13] offset:2048
	v_add_co_u32_e32 v4, vcc, s2, v32
	v_addc_co_u32_e32 v5, vcc, 0, v33, vcc
	s_movk_i32 s2, 0x3000
	;; [unrolled: 5-line block ×3, first 2 shown]
	flat_store_dwordx2 v[4:5], v[20:21]
	flat_store_dwordx2 v[4:5], v[22:23] offset:2048
	v_add_co_u32_e32 v4, vcc, s2, v32
	v_addc_co_u32_e32 v5, vcc, 0, v33, vcc
	flat_store_dwordx2 v[4:5], v[14:15]
	flat_store_dwordx2 v[4:5], v[26:27] offset:2048
	v_add_co_u32_e32 v4, vcc, 0x5000, v32
	s_waitcnt lgkmcnt(0)
	v_ashrrev_i32_e32 v29, 31, v24
	v_mov_b32_e32 v28, v24
	v_addc_co_u32_e32 v5, vcc, 0, v33, vcc
	v_ashrrev_i32_e32 v31, 31, v25
	v_mov_b32_e32 v30, v25
	flat_store_dwordx2 v[4:5], v[28:29]
	flat_store_dwordx2 v[4:5], v[30:31] offset:2048
	v_add_co_u32_e32 v4, vcc, 0x6000, v32
	v_mov_b32_e32 v1, 0
	v_ashrrev_i32_e32 v25, 31, v2
	v_mov_b32_e32 v24, v2
	v_addc_co_u32_e32 v5, vcc, 0, v33, vcc
	s_or_b64 s[0:1], s[0:1], exec
	flat_store_dwordx2 v[4:5], v[24:25]
.LBB1035_173:
	s_and_saveexec_b64 s[2:3], s[0:1]
	s_cbranch_execz .LBB1035_175
; %bb.174:
	v_lshlrev_b64 v[0:1], 3, v[0:1]
	v_add_co_u32_e32 v2, vcc, v18, v0
	v_addc_co_u32_e32 v4, vcc, v19, v1, vcc
	v_add_co_u32_e32 v2, vcc, 0x6000, v2
	v_ashrrev_i32_e32 v1, 31, v3
	v_mov_b32_e32 v0, v3
	v_addc_co_u32_e32 v3, vcc, 0, v4, vcc
	flat_store_dwordx2 v[2:3], v[0:1] offset:2048
	s_endpgm
.LBB1035_175:
	s_endpgm
	.section	.rodata,"a",@progbits
	.p2align	6, 0x0
	.amdhsa_kernel _ZN7rocprim17ROCPRIM_400000_NS6detail17trampoline_kernelINS0_14default_configENS1_27scan_by_key_config_selectorIxiEEZZNS1_16scan_by_key_implILNS1_25lookback_scan_determinismE0ELb1ES3_N6thrust23THRUST_200600_302600_NS6detail15normal_iteratorINS9_10device_ptrIxEEEESE_SE_iNS9_4plusIvEENS9_8equal_toIvEEiEE10hipError_tPvRmT2_T3_T4_T5_mT6_T7_P12ihipStream_tbENKUlT_T0_E_clISt17integral_constantIbLb0EESY_IbLb1EEEEDaSU_SV_EUlSU_E_NS1_11comp_targetILNS1_3genE4ELNS1_11target_archE910ELNS1_3gpuE8ELNS1_3repE0EEENS1_30default_config_static_selectorELNS0_4arch9wavefront6targetE1EEEvT1_
		.amdhsa_group_segment_fixed_size 32768
		.amdhsa_private_segment_fixed_size 0
		.amdhsa_kernarg_size 112
		.amdhsa_user_sgpr_count 6
		.amdhsa_user_sgpr_private_segment_buffer 1
		.amdhsa_user_sgpr_dispatch_ptr 0
		.amdhsa_user_sgpr_queue_ptr 0
		.amdhsa_user_sgpr_kernarg_segment_ptr 1
		.amdhsa_user_sgpr_dispatch_id 0
		.amdhsa_user_sgpr_flat_scratch_init 0
		.amdhsa_user_sgpr_kernarg_preload_length 0
		.amdhsa_user_sgpr_kernarg_preload_offset 0
		.amdhsa_user_sgpr_private_segment_size 0
		.amdhsa_uses_dynamic_stack 0
		.amdhsa_system_sgpr_private_segment_wavefront_offset 0
		.amdhsa_system_sgpr_workgroup_id_x 1
		.amdhsa_system_sgpr_workgroup_id_y 0
		.amdhsa_system_sgpr_workgroup_id_z 0
		.amdhsa_system_sgpr_workgroup_info 0
		.amdhsa_system_vgpr_workitem_id 0
		.amdhsa_next_free_vgpr 74
		.amdhsa_next_free_sgpr 60
		.amdhsa_accum_offset 76
		.amdhsa_reserve_vcc 1
		.amdhsa_reserve_flat_scratch 0
		.amdhsa_float_round_mode_32 0
		.amdhsa_float_round_mode_16_64 0
		.amdhsa_float_denorm_mode_32 3
		.amdhsa_float_denorm_mode_16_64 3
		.amdhsa_dx10_clamp 1
		.amdhsa_ieee_mode 1
		.amdhsa_fp16_overflow 0
		.amdhsa_tg_split 0
		.amdhsa_exception_fp_ieee_invalid_op 0
		.amdhsa_exception_fp_denorm_src 0
		.amdhsa_exception_fp_ieee_div_zero 0
		.amdhsa_exception_fp_ieee_overflow 0
		.amdhsa_exception_fp_ieee_underflow 0
		.amdhsa_exception_fp_ieee_inexact 0
		.amdhsa_exception_int_div_zero 0
	.end_amdhsa_kernel
	.section	.text._ZN7rocprim17ROCPRIM_400000_NS6detail17trampoline_kernelINS0_14default_configENS1_27scan_by_key_config_selectorIxiEEZZNS1_16scan_by_key_implILNS1_25lookback_scan_determinismE0ELb1ES3_N6thrust23THRUST_200600_302600_NS6detail15normal_iteratorINS9_10device_ptrIxEEEESE_SE_iNS9_4plusIvEENS9_8equal_toIvEEiEE10hipError_tPvRmT2_T3_T4_T5_mT6_T7_P12ihipStream_tbENKUlT_T0_E_clISt17integral_constantIbLb0EESY_IbLb1EEEEDaSU_SV_EUlSU_E_NS1_11comp_targetILNS1_3genE4ELNS1_11target_archE910ELNS1_3gpuE8ELNS1_3repE0EEENS1_30default_config_static_selectorELNS0_4arch9wavefront6targetE1EEEvT1_,"axG",@progbits,_ZN7rocprim17ROCPRIM_400000_NS6detail17trampoline_kernelINS0_14default_configENS1_27scan_by_key_config_selectorIxiEEZZNS1_16scan_by_key_implILNS1_25lookback_scan_determinismE0ELb1ES3_N6thrust23THRUST_200600_302600_NS6detail15normal_iteratorINS9_10device_ptrIxEEEESE_SE_iNS9_4plusIvEENS9_8equal_toIvEEiEE10hipError_tPvRmT2_T3_T4_T5_mT6_T7_P12ihipStream_tbENKUlT_T0_E_clISt17integral_constantIbLb0EESY_IbLb1EEEEDaSU_SV_EUlSU_E_NS1_11comp_targetILNS1_3genE4ELNS1_11target_archE910ELNS1_3gpuE8ELNS1_3repE0EEENS1_30default_config_static_selectorELNS0_4arch9wavefront6targetE1EEEvT1_,comdat
.Lfunc_end1035:
	.size	_ZN7rocprim17ROCPRIM_400000_NS6detail17trampoline_kernelINS0_14default_configENS1_27scan_by_key_config_selectorIxiEEZZNS1_16scan_by_key_implILNS1_25lookback_scan_determinismE0ELb1ES3_N6thrust23THRUST_200600_302600_NS6detail15normal_iteratorINS9_10device_ptrIxEEEESE_SE_iNS9_4plusIvEENS9_8equal_toIvEEiEE10hipError_tPvRmT2_T3_T4_T5_mT6_T7_P12ihipStream_tbENKUlT_T0_E_clISt17integral_constantIbLb0EESY_IbLb1EEEEDaSU_SV_EUlSU_E_NS1_11comp_targetILNS1_3genE4ELNS1_11target_archE910ELNS1_3gpuE8ELNS1_3repE0EEENS1_30default_config_static_selectorELNS0_4arch9wavefront6targetE1EEEvT1_, .Lfunc_end1035-_ZN7rocprim17ROCPRIM_400000_NS6detail17trampoline_kernelINS0_14default_configENS1_27scan_by_key_config_selectorIxiEEZZNS1_16scan_by_key_implILNS1_25lookback_scan_determinismE0ELb1ES3_N6thrust23THRUST_200600_302600_NS6detail15normal_iteratorINS9_10device_ptrIxEEEESE_SE_iNS9_4plusIvEENS9_8equal_toIvEEiEE10hipError_tPvRmT2_T3_T4_T5_mT6_T7_P12ihipStream_tbENKUlT_T0_E_clISt17integral_constantIbLb0EESY_IbLb1EEEEDaSU_SV_EUlSU_E_NS1_11comp_targetILNS1_3genE4ELNS1_11target_archE910ELNS1_3gpuE8ELNS1_3repE0EEENS1_30default_config_static_selectorELNS0_4arch9wavefront6targetE1EEEvT1_
                                        ; -- End function
	.section	.AMDGPU.csdata,"",@progbits
; Kernel info:
; codeLenInByte = 11652
; NumSgprs: 64
; NumVgprs: 74
; NumAgprs: 0
; TotalNumVgprs: 74
; ScratchSize: 0
; MemoryBound: 0
; FloatMode: 240
; IeeeMode: 1
; LDSByteSize: 32768 bytes/workgroup (compile time only)
; SGPRBlocks: 7
; VGPRBlocks: 9
; NumSGPRsForWavesPerEU: 64
; NumVGPRsForWavesPerEU: 74
; AccumOffset: 76
; Occupancy: 2
; WaveLimiterHint : 1
; COMPUTE_PGM_RSRC2:SCRATCH_EN: 0
; COMPUTE_PGM_RSRC2:USER_SGPR: 6
; COMPUTE_PGM_RSRC2:TRAP_HANDLER: 0
; COMPUTE_PGM_RSRC2:TGID_X_EN: 1
; COMPUTE_PGM_RSRC2:TGID_Y_EN: 0
; COMPUTE_PGM_RSRC2:TGID_Z_EN: 0
; COMPUTE_PGM_RSRC2:TIDIG_COMP_CNT: 0
; COMPUTE_PGM_RSRC3_GFX90A:ACCUM_OFFSET: 18
; COMPUTE_PGM_RSRC3_GFX90A:TG_SPLIT: 0
	.section	.text._ZN7rocprim17ROCPRIM_400000_NS6detail17trampoline_kernelINS0_14default_configENS1_27scan_by_key_config_selectorIxiEEZZNS1_16scan_by_key_implILNS1_25lookback_scan_determinismE0ELb1ES3_N6thrust23THRUST_200600_302600_NS6detail15normal_iteratorINS9_10device_ptrIxEEEESE_SE_iNS9_4plusIvEENS9_8equal_toIvEEiEE10hipError_tPvRmT2_T3_T4_T5_mT6_T7_P12ihipStream_tbENKUlT_T0_E_clISt17integral_constantIbLb0EESY_IbLb1EEEEDaSU_SV_EUlSU_E_NS1_11comp_targetILNS1_3genE3ELNS1_11target_archE908ELNS1_3gpuE7ELNS1_3repE0EEENS1_30default_config_static_selectorELNS0_4arch9wavefront6targetE1EEEvT1_,"axG",@progbits,_ZN7rocprim17ROCPRIM_400000_NS6detail17trampoline_kernelINS0_14default_configENS1_27scan_by_key_config_selectorIxiEEZZNS1_16scan_by_key_implILNS1_25lookback_scan_determinismE0ELb1ES3_N6thrust23THRUST_200600_302600_NS6detail15normal_iteratorINS9_10device_ptrIxEEEESE_SE_iNS9_4plusIvEENS9_8equal_toIvEEiEE10hipError_tPvRmT2_T3_T4_T5_mT6_T7_P12ihipStream_tbENKUlT_T0_E_clISt17integral_constantIbLb0EESY_IbLb1EEEEDaSU_SV_EUlSU_E_NS1_11comp_targetILNS1_3genE3ELNS1_11target_archE908ELNS1_3gpuE7ELNS1_3repE0EEENS1_30default_config_static_selectorELNS0_4arch9wavefront6targetE1EEEvT1_,comdat
	.protected	_ZN7rocprim17ROCPRIM_400000_NS6detail17trampoline_kernelINS0_14default_configENS1_27scan_by_key_config_selectorIxiEEZZNS1_16scan_by_key_implILNS1_25lookback_scan_determinismE0ELb1ES3_N6thrust23THRUST_200600_302600_NS6detail15normal_iteratorINS9_10device_ptrIxEEEESE_SE_iNS9_4plusIvEENS9_8equal_toIvEEiEE10hipError_tPvRmT2_T3_T4_T5_mT6_T7_P12ihipStream_tbENKUlT_T0_E_clISt17integral_constantIbLb0EESY_IbLb1EEEEDaSU_SV_EUlSU_E_NS1_11comp_targetILNS1_3genE3ELNS1_11target_archE908ELNS1_3gpuE7ELNS1_3repE0EEENS1_30default_config_static_selectorELNS0_4arch9wavefront6targetE1EEEvT1_ ; -- Begin function _ZN7rocprim17ROCPRIM_400000_NS6detail17trampoline_kernelINS0_14default_configENS1_27scan_by_key_config_selectorIxiEEZZNS1_16scan_by_key_implILNS1_25lookback_scan_determinismE0ELb1ES3_N6thrust23THRUST_200600_302600_NS6detail15normal_iteratorINS9_10device_ptrIxEEEESE_SE_iNS9_4plusIvEENS9_8equal_toIvEEiEE10hipError_tPvRmT2_T3_T4_T5_mT6_T7_P12ihipStream_tbENKUlT_T0_E_clISt17integral_constantIbLb0EESY_IbLb1EEEEDaSU_SV_EUlSU_E_NS1_11comp_targetILNS1_3genE3ELNS1_11target_archE908ELNS1_3gpuE7ELNS1_3repE0EEENS1_30default_config_static_selectorELNS0_4arch9wavefront6targetE1EEEvT1_
	.globl	_ZN7rocprim17ROCPRIM_400000_NS6detail17trampoline_kernelINS0_14default_configENS1_27scan_by_key_config_selectorIxiEEZZNS1_16scan_by_key_implILNS1_25lookback_scan_determinismE0ELb1ES3_N6thrust23THRUST_200600_302600_NS6detail15normal_iteratorINS9_10device_ptrIxEEEESE_SE_iNS9_4plusIvEENS9_8equal_toIvEEiEE10hipError_tPvRmT2_T3_T4_T5_mT6_T7_P12ihipStream_tbENKUlT_T0_E_clISt17integral_constantIbLb0EESY_IbLb1EEEEDaSU_SV_EUlSU_E_NS1_11comp_targetILNS1_3genE3ELNS1_11target_archE908ELNS1_3gpuE7ELNS1_3repE0EEENS1_30default_config_static_selectorELNS0_4arch9wavefront6targetE1EEEvT1_
	.p2align	8
	.type	_ZN7rocprim17ROCPRIM_400000_NS6detail17trampoline_kernelINS0_14default_configENS1_27scan_by_key_config_selectorIxiEEZZNS1_16scan_by_key_implILNS1_25lookback_scan_determinismE0ELb1ES3_N6thrust23THRUST_200600_302600_NS6detail15normal_iteratorINS9_10device_ptrIxEEEESE_SE_iNS9_4plusIvEENS9_8equal_toIvEEiEE10hipError_tPvRmT2_T3_T4_T5_mT6_T7_P12ihipStream_tbENKUlT_T0_E_clISt17integral_constantIbLb0EESY_IbLb1EEEEDaSU_SV_EUlSU_E_NS1_11comp_targetILNS1_3genE3ELNS1_11target_archE908ELNS1_3gpuE7ELNS1_3repE0EEENS1_30default_config_static_selectorELNS0_4arch9wavefront6targetE1EEEvT1_,@function
_ZN7rocprim17ROCPRIM_400000_NS6detail17trampoline_kernelINS0_14default_configENS1_27scan_by_key_config_selectorIxiEEZZNS1_16scan_by_key_implILNS1_25lookback_scan_determinismE0ELb1ES3_N6thrust23THRUST_200600_302600_NS6detail15normal_iteratorINS9_10device_ptrIxEEEESE_SE_iNS9_4plusIvEENS9_8equal_toIvEEiEE10hipError_tPvRmT2_T3_T4_T5_mT6_T7_P12ihipStream_tbENKUlT_T0_E_clISt17integral_constantIbLb0EESY_IbLb1EEEEDaSU_SV_EUlSU_E_NS1_11comp_targetILNS1_3genE3ELNS1_11target_archE908ELNS1_3gpuE7ELNS1_3repE0EEENS1_30default_config_static_selectorELNS0_4arch9wavefront6targetE1EEEvT1_: ; @_ZN7rocprim17ROCPRIM_400000_NS6detail17trampoline_kernelINS0_14default_configENS1_27scan_by_key_config_selectorIxiEEZZNS1_16scan_by_key_implILNS1_25lookback_scan_determinismE0ELb1ES3_N6thrust23THRUST_200600_302600_NS6detail15normal_iteratorINS9_10device_ptrIxEEEESE_SE_iNS9_4plusIvEENS9_8equal_toIvEEiEE10hipError_tPvRmT2_T3_T4_T5_mT6_T7_P12ihipStream_tbENKUlT_T0_E_clISt17integral_constantIbLb0EESY_IbLb1EEEEDaSU_SV_EUlSU_E_NS1_11comp_targetILNS1_3genE3ELNS1_11target_archE908ELNS1_3gpuE7ELNS1_3repE0EEENS1_30default_config_static_selectorELNS0_4arch9wavefront6targetE1EEEvT1_
; %bb.0:
	.section	.rodata,"a",@progbits
	.p2align	6, 0x0
	.amdhsa_kernel _ZN7rocprim17ROCPRIM_400000_NS6detail17trampoline_kernelINS0_14default_configENS1_27scan_by_key_config_selectorIxiEEZZNS1_16scan_by_key_implILNS1_25lookback_scan_determinismE0ELb1ES3_N6thrust23THRUST_200600_302600_NS6detail15normal_iteratorINS9_10device_ptrIxEEEESE_SE_iNS9_4plusIvEENS9_8equal_toIvEEiEE10hipError_tPvRmT2_T3_T4_T5_mT6_T7_P12ihipStream_tbENKUlT_T0_E_clISt17integral_constantIbLb0EESY_IbLb1EEEEDaSU_SV_EUlSU_E_NS1_11comp_targetILNS1_3genE3ELNS1_11target_archE908ELNS1_3gpuE7ELNS1_3repE0EEENS1_30default_config_static_selectorELNS0_4arch9wavefront6targetE1EEEvT1_
		.amdhsa_group_segment_fixed_size 0
		.amdhsa_private_segment_fixed_size 0
		.amdhsa_kernarg_size 112
		.amdhsa_user_sgpr_count 6
		.amdhsa_user_sgpr_private_segment_buffer 1
		.amdhsa_user_sgpr_dispatch_ptr 0
		.amdhsa_user_sgpr_queue_ptr 0
		.amdhsa_user_sgpr_kernarg_segment_ptr 1
		.amdhsa_user_sgpr_dispatch_id 0
		.amdhsa_user_sgpr_flat_scratch_init 0
		.amdhsa_user_sgpr_kernarg_preload_length 0
		.amdhsa_user_sgpr_kernarg_preload_offset 0
		.amdhsa_user_sgpr_private_segment_size 0
		.amdhsa_uses_dynamic_stack 0
		.amdhsa_system_sgpr_private_segment_wavefront_offset 0
		.amdhsa_system_sgpr_workgroup_id_x 1
		.amdhsa_system_sgpr_workgroup_id_y 0
		.amdhsa_system_sgpr_workgroup_id_z 0
		.amdhsa_system_sgpr_workgroup_info 0
		.amdhsa_system_vgpr_workitem_id 0
		.amdhsa_next_free_vgpr 1
		.amdhsa_next_free_sgpr 0
		.amdhsa_accum_offset 4
		.amdhsa_reserve_vcc 0
		.amdhsa_reserve_flat_scratch 0
		.amdhsa_float_round_mode_32 0
		.amdhsa_float_round_mode_16_64 0
		.amdhsa_float_denorm_mode_32 3
		.amdhsa_float_denorm_mode_16_64 3
		.amdhsa_dx10_clamp 1
		.amdhsa_ieee_mode 1
		.amdhsa_fp16_overflow 0
		.amdhsa_tg_split 0
		.amdhsa_exception_fp_ieee_invalid_op 0
		.amdhsa_exception_fp_denorm_src 0
		.amdhsa_exception_fp_ieee_div_zero 0
		.amdhsa_exception_fp_ieee_overflow 0
		.amdhsa_exception_fp_ieee_underflow 0
		.amdhsa_exception_fp_ieee_inexact 0
		.amdhsa_exception_int_div_zero 0
	.end_amdhsa_kernel
	.section	.text._ZN7rocprim17ROCPRIM_400000_NS6detail17trampoline_kernelINS0_14default_configENS1_27scan_by_key_config_selectorIxiEEZZNS1_16scan_by_key_implILNS1_25lookback_scan_determinismE0ELb1ES3_N6thrust23THRUST_200600_302600_NS6detail15normal_iteratorINS9_10device_ptrIxEEEESE_SE_iNS9_4plusIvEENS9_8equal_toIvEEiEE10hipError_tPvRmT2_T3_T4_T5_mT6_T7_P12ihipStream_tbENKUlT_T0_E_clISt17integral_constantIbLb0EESY_IbLb1EEEEDaSU_SV_EUlSU_E_NS1_11comp_targetILNS1_3genE3ELNS1_11target_archE908ELNS1_3gpuE7ELNS1_3repE0EEENS1_30default_config_static_selectorELNS0_4arch9wavefront6targetE1EEEvT1_,"axG",@progbits,_ZN7rocprim17ROCPRIM_400000_NS6detail17trampoline_kernelINS0_14default_configENS1_27scan_by_key_config_selectorIxiEEZZNS1_16scan_by_key_implILNS1_25lookback_scan_determinismE0ELb1ES3_N6thrust23THRUST_200600_302600_NS6detail15normal_iteratorINS9_10device_ptrIxEEEESE_SE_iNS9_4plusIvEENS9_8equal_toIvEEiEE10hipError_tPvRmT2_T3_T4_T5_mT6_T7_P12ihipStream_tbENKUlT_T0_E_clISt17integral_constantIbLb0EESY_IbLb1EEEEDaSU_SV_EUlSU_E_NS1_11comp_targetILNS1_3genE3ELNS1_11target_archE908ELNS1_3gpuE7ELNS1_3repE0EEENS1_30default_config_static_selectorELNS0_4arch9wavefront6targetE1EEEvT1_,comdat
.Lfunc_end1036:
	.size	_ZN7rocprim17ROCPRIM_400000_NS6detail17trampoline_kernelINS0_14default_configENS1_27scan_by_key_config_selectorIxiEEZZNS1_16scan_by_key_implILNS1_25lookback_scan_determinismE0ELb1ES3_N6thrust23THRUST_200600_302600_NS6detail15normal_iteratorINS9_10device_ptrIxEEEESE_SE_iNS9_4plusIvEENS9_8equal_toIvEEiEE10hipError_tPvRmT2_T3_T4_T5_mT6_T7_P12ihipStream_tbENKUlT_T0_E_clISt17integral_constantIbLb0EESY_IbLb1EEEEDaSU_SV_EUlSU_E_NS1_11comp_targetILNS1_3genE3ELNS1_11target_archE908ELNS1_3gpuE7ELNS1_3repE0EEENS1_30default_config_static_selectorELNS0_4arch9wavefront6targetE1EEEvT1_, .Lfunc_end1036-_ZN7rocprim17ROCPRIM_400000_NS6detail17trampoline_kernelINS0_14default_configENS1_27scan_by_key_config_selectorIxiEEZZNS1_16scan_by_key_implILNS1_25lookback_scan_determinismE0ELb1ES3_N6thrust23THRUST_200600_302600_NS6detail15normal_iteratorINS9_10device_ptrIxEEEESE_SE_iNS9_4plusIvEENS9_8equal_toIvEEiEE10hipError_tPvRmT2_T3_T4_T5_mT6_T7_P12ihipStream_tbENKUlT_T0_E_clISt17integral_constantIbLb0EESY_IbLb1EEEEDaSU_SV_EUlSU_E_NS1_11comp_targetILNS1_3genE3ELNS1_11target_archE908ELNS1_3gpuE7ELNS1_3repE0EEENS1_30default_config_static_selectorELNS0_4arch9wavefront6targetE1EEEvT1_
                                        ; -- End function
	.section	.AMDGPU.csdata,"",@progbits
; Kernel info:
; codeLenInByte = 0
; NumSgprs: 4
; NumVgprs: 0
; NumAgprs: 0
; TotalNumVgprs: 0
; ScratchSize: 0
; MemoryBound: 0
; FloatMode: 240
; IeeeMode: 1
; LDSByteSize: 0 bytes/workgroup (compile time only)
; SGPRBlocks: 0
; VGPRBlocks: 0
; NumSGPRsForWavesPerEU: 4
; NumVGPRsForWavesPerEU: 1
; AccumOffset: 4
; Occupancy: 8
; WaveLimiterHint : 0
; COMPUTE_PGM_RSRC2:SCRATCH_EN: 0
; COMPUTE_PGM_RSRC2:USER_SGPR: 6
; COMPUTE_PGM_RSRC2:TRAP_HANDLER: 0
; COMPUTE_PGM_RSRC2:TGID_X_EN: 1
; COMPUTE_PGM_RSRC2:TGID_Y_EN: 0
; COMPUTE_PGM_RSRC2:TGID_Z_EN: 0
; COMPUTE_PGM_RSRC2:TIDIG_COMP_CNT: 0
; COMPUTE_PGM_RSRC3_GFX90A:ACCUM_OFFSET: 0
; COMPUTE_PGM_RSRC3_GFX90A:TG_SPLIT: 0
	.section	.text._ZN7rocprim17ROCPRIM_400000_NS6detail17trampoline_kernelINS0_14default_configENS1_27scan_by_key_config_selectorIxiEEZZNS1_16scan_by_key_implILNS1_25lookback_scan_determinismE0ELb1ES3_N6thrust23THRUST_200600_302600_NS6detail15normal_iteratorINS9_10device_ptrIxEEEESE_SE_iNS9_4plusIvEENS9_8equal_toIvEEiEE10hipError_tPvRmT2_T3_T4_T5_mT6_T7_P12ihipStream_tbENKUlT_T0_E_clISt17integral_constantIbLb0EESY_IbLb1EEEEDaSU_SV_EUlSU_E_NS1_11comp_targetILNS1_3genE2ELNS1_11target_archE906ELNS1_3gpuE6ELNS1_3repE0EEENS1_30default_config_static_selectorELNS0_4arch9wavefront6targetE1EEEvT1_,"axG",@progbits,_ZN7rocprim17ROCPRIM_400000_NS6detail17trampoline_kernelINS0_14default_configENS1_27scan_by_key_config_selectorIxiEEZZNS1_16scan_by_key_implILNS1_25lookback_scan_determinismE0ELb1ES3_N6thrust23THRUST_200600_302600_NS6detail15normal_iteratorINS9_10device_ptrIxEEEESE_SE_iNS9_4plusIvEENS9_8equal_toIvEEiEE10hipError_tPvRmT2_T3_T4_T5_mT6_T7_P12ihipStream_tbENKUlT_T0_E_clISt17integral_constantIbLb0EESY_IbLb1EEEEDaSU_SV_EUlSU_E_NS1_11comp_targetILNS1_3genE2ELNS1_11target_archE906ELNS1_3gpuE6ELNS1_3repE0EEENS1_30default_config_static_selectorELNS0_4arch9wavefront6targetE1EEEvT1_,comdat
	.protected	_ZN7rocprim17ROCPRIM_400000_NS6detail17trampoline_kernelINS0_14default_configENS1_27scan_by_key_config_selectorIxiEEZZNS1_16scan_by_key_implILNS1_25lookback_scan_determinismE0ELb1ES3_N6thrust23THRUST_200600_302600_NS6detail15normal_iteratorINS9_10device_ptrIxEEEESE_SE_iNS9_4plusIvEENS9_8equal_toIvEEiEE10hipError_tPvRmT2_T3_T4_T5_mT6_T7_P12ihipStream_tbENKUlT_T0_E_clISt17integral_constantIbLb0EESY_IbLb1EEEEDaSU_SV_EUlSU_E_NS1_11comp_targetILNS1_3genE2ELNS1_11target_archE906ELNS1_3gpuE6ELNS1_3repE0EEENS1_30default_config_static_selectorELNS0_4arch9wavefront6targetE1EEEvT1_ ; -- Begin function _ZN7rocprim17ROCPRIM_400000_NS6detail17trampoline_kernelINS0_14default_configENS1_27scan_by_key_config_selectorIxiEEZZNS1_16scan_by_key_implILNS1_25lookback_scan_determinismE0ELb1ES3_N6thrust23THRUST_200600_302600_NS6detail15normal_iteratorINS9_10device_ptrIxEEEESE_SE_iNS9_4plusIvEENS9_8equal_toIvEEiEE10hipError_tPvRmT2_T3_T4_T5_mT6_T7_P12ihipStream_tbENKUlT_T0_E_clISt17integral_constantIbLb0EESY_IbLb1EEEEDaSU_SV_EUlSU_E_NS1_11comp_targetILNS1_3genE2ELNS1_11target_archE906ELNS1_3gpuE6ELNS1_3repE0EEENS1_30default_config_static_selectorELNS0_4arch9wavefront6targetE1EEEvT1_
	.globl	_ZN7rocprim17ROCPRIM_400000_NS6detail17trampoline_kernelINS0_14default_configENS1_27scan_by_key_config_selectorIxiEEZZNS1_16scan_by_key_implILNS1_25lookback_scan_determinismE0ELb1ES3_N6thrust23THRUST_200600_302600_NS6detail15normal_iteratorINS9_10device_ptrIxEEEESE_SE_iNS9_4plusIvEENS9_8equal_toIvEEiEE10hipError_tPvRmT2_T3_T4_T5_mT6_T7_P12ihipStream_tbENKUlT_T0_E_clISt17integral_constantIbLb0EESY_IbLb1EEEEDaSU_SV_EUlSU_E_NS1_11comp_targetILNS1_3genE2ELNS1_11target_archE906ELNS1_3gpuE6ELNS1_3repE0EEENS1_30default_config_static_selectorELNS0_4arch9wavefront6targetE1EEEvT1_
	.p2align	8
	.type	_ZN7rocprim17ROCPRIM_400000_NS6detail17trampoline_kernelINS0_14default_configENS1_27scan_by_key_config_selectorIxiEEZZNS1_16scan_by_key_implILNS1_25lookback_scan_determinismE0ELb1ES3_N6thrust23THRUST_200600_302600_NS6detail15normal_iteratorINS9_10device_ptrIxEEEESE_SE_iNS9_4plusIvEENS9_8equal_toIvEEiEE10hipError_tPvRmT2_T3_T4_T5_mT6_T7_P12ihipStream_tbENKUlT_T0_E_clISt17integral_constantIbLb0EESY_IbLb1EEEEDaSU_SV_EUlSU_E_NS1_11comp_targetILNS1_3genE2ELNS1_11target_archE906ELNS1_3gpuE6ELNS1_3repE0EEENS1_30default_config_static_selectorELNS0_4arch9wavefront6targetE1EEEvT1_,@function
_ZN7rocprim17ROCPRIM_400000_NS6detail17trampoline_kernelINS0_14default_configENS1_27scan_by_key_config_selectorIxiEEZZNS1_16scan_by_key_implILNS1_25lookback_scan_determinismE0ELb1ES3_N6thrust23THRUST_200600_302600_NS6detail15normal_iteratorINS9_10device_ptrIxEEEESE_SE_iNS9_4plusIvEENS9_8equal_toIvEEiEE10hipError_tPvRmT2_T3_T4_T5_mT6_T7_P12ihipStream_tbENKUlT_T0_E_clISt17integral_constantIbLb0EESY_IbLb1EEEEDaSU_SV_EUlSU_E_NS1_11comp_targetILNS1_3genE2ELNS1_11target_archE906ELNS1_3gpuE6ELNS1_3repE0EEENS1_30default_config_static_selectorELNS0_4arch9wavefront6targetE1EEEvT1_: ; @_ZN7rocprim17ROCPRIM_400000_NS6detail17trampoline_kernelINS0_14default_configENS1_27scan_by_key_config_selectorIxiEEZZNS1_16scan_by_key_implILNS1_25lookback_scan_determinismE0ELb1ES3_N6thrust23THRUST_200600_302600_NS6detail15normal_iteratorINS9_10device_ptrIxEEEESE_SE_iNS9_4plusIvEENS9_8equal_toIvEEiEE10hipError_tPvRmT2_T3_T4_T5_mT6_T7_P12ihipStream_tbENKUlT_T0_E_clISt17integral_constantIbLb0EESY_IbLb1EEEEDaSU_SV_EUlSU_E_NS1_11comp_targetILNS1_3genE2ELNS1_11target_archE906ELNS1_3gpuE6ELNS1_3repE0EEENS1_30default_config_static_selectorELNS0_4arch9wavefront6targetE1EEEvT1_
; %bb.0:
	.section	.rodata,"a",@progbits
	.p2align	6, 0x0
	.amdhsa_kernel _ZN7rocprim17ROCPRIM_400000_NS6detail17trampoline_kernelINS0_14default_configENS1_27scan_by_key_config_selectorIxiEEZZNS1_16scan_by_key_implILNS1_25lookback_scan_determinismE0ELb1ES3_N6thrust23THRUST_200600_302600_NS6detail15normal_iteratorINS9_10device_ptrIxEEEESE_SE_iNS9_4plusIvEENS9_8equal_toIvEEiEE10hipError_tPvRmT2_T3_T4_T5_mT6_T7_P12ihipStream_tbENKUlT_T0_E_clISt17integral_constantIbLb0EESY_IbLb1EEEEDaSU_SV_EUlSU_E_NS1_11comp_targetILNS1_3genE2ELNS1_11target_archE906ELNS1_3gpuE6ELNS1_3repE0EEENS1_30default_config_static_selectorELNS0_4arch9wavefront6targetE1EEEvT1_
		.amdhsa_group_segment_fixed_size 0
		.amdhsa_private_segment_fixed_size 0
		.amdhsa_kernarg_size 112
		.amdhsa_user_sgpr_count 6
		.amdhsa_user_sgpr_private_segment_buffer 1
		.amdhsa_user_sgpr_dispatch_ptr 0
		.amdhsa_user_sgpr_queue_ptr 0
		.amdhsa_user_sgpr_kernarg_segment_ptr 1
		.amdhsa_user_sgpr_dispatch_id 0
		.amdhsa_user_sgpr_flat_scratch_init 0
		.amdhsa_user_sgpr_kernarg_preload_length 0
		.amdhsa_user_sgpr_kernarg_preload_offset 0
		.amdhsa_user_sgpr_private_segment_size 0
		.amdhsa_uses_dynamic_stack 0
		.amdhsa_system_sgpr_private_segment_wavefront_offset 0
		.amdhsa_system_sgpr_workgroup_id_x 1
		.amdhsa_system_sgpr_workgroup_id_y 0
		.amdhsa_system_sgpr_workgroup_id_z 0
		.amdhsa_system_sgpr_workgroup_info 0
		.amdhsa_system_vgpr_workitem_id 0
		.amdhsa_next_free_vgpr 1
		.amdhsa_next_free_sgpr 0
		.amdhsa_accum_offset 4
		.amdhsa_reserve_vcc 0
		.amdhsa_reserve_flat_scratch 0
		.amdhsa_float_round_mode_32 0
		.amdhsa_float_round_mode_16_64 0
		.amdhsa_float_denorm_mode_32 3
		.amdhsa_float_denorm_mode_16_64 3
		.amdhsa_dx10_clamp 1
		.amdhsa_ieee_mode 1
		.amdhsa_fp16_overflow 0
		.amdhsa_tg_split 0
		.amdhsa_exception_fp_ieee_invalid_op 0
		.amdhsa_exception_fp_denorm_src 0
		.amdhsa_exception_fp_ieee_div_zero 0
		.amdhsa_exception_fp_ieee_overflow 0
		.amdhsa_exception_fp_ieee_underflow 0
		.amdhsa_exception_fp_ieee_inexact 0
		.amdhsa_exception_int_div_zero 0
	.end_amdhsa_kernel
	.section	.text._ZN7rocprim17ROCPRIM_400000_NS6detail17trampoline_kernelINS0_14default_configENS1_27scan_by_key_config_selectorIxiEEZZNS1_16scan_by_key_implILNS1_25lookback_scan_determinismE0ELb1ES3_N6thrust23THRUST_200600_302600_NS6detail15normal_iteratorINS9_10device_ptrIxEEEESE_SE_iNS9_4plusIvEENS9_8equal_toIvEEiEE10hipError_tPvRmT2_T3_T4_T5_mT6_T7_P12ihipStream_tbENKUlT_T0_E_clISt17integral_constantIbLb0EESY_IbLb1EEEEDaSU_SV_EUlSU_E_NS1_11comp_targetILNS1_3genE2ELNS1_11target_archE906ELNS1_3gpuE6ELNS1_3repE0EEENS1_30default_config_static_selectorELNS0_4arch9wavefront6targetE1EEEvT1_,"axG",@progbits,_ZN7rocprim17ROCPRIM_400000_NS6detail17trampoline_kernelINS0_14default_configENS1_27scan_by_key_config_selectorIxiEEZZNS1_16scan_by_key_implILNS1_25lookback_scan_determinismE0ELb1ES3_N6thrust23THRUST_200600_302600_NS6detail15normal_iteratorINS9_10device_ptrIxEEEESE_SE_iNS9_4plusIvEENS9_8equal_toIvEEiEE10hipError_tPvRmT2_T3_T4_T5_mT6_T7_P12ihipStream_tbENKUlT_T0_E_clISt17integral_constantIbLb0EESY_IbLb1EEEEDaSU_SV_EUlSU_E_NS1_11comp_targetILNS1_3genE2ELNS1_11target_archE906ELNS1_3gpuE6ELNS1_3repE0EEENS1_30default_config_static_selectorELNS0_4arch9wavefront6targetE1EEEvT1_,comdat
.Lfunc_end1037:
	.size	_ZN7rocprim17ROCPRIM_400000_NS6detail17trampoline_kernelINS0_14default_configENS1_27scan_by_key_config_selectorIxiEEZZNS1_16scan_by_key_implILNS1_25lookback_scan_determinismE0ELb1ES3_N6thrust23THRUST_200600_302600_NS6detail15normal_iteratorINS9_10device_ptrIxEEEESE_SE_iNS9_4plusIvEENS9_8equal_toIvEEiEE10hipError_tPvRmT2_T3_T4_T5_mT6_T7_P12ihipStream_tbENKUlT_T0_E_clISt17integral_constantIbLb0EESY_IbLb1EEEEDaSU_SV_EUlSU_E_NS1_11comp_targetILNS1_3genE2ELNS1_11target_archE906ELNS1_3gpuE6ELNS1_3repE0EEENS1_30default_config_static_selectorELNS0_4arch9wavefront6targetE1EEEvT1_, .Lfunc_end1037-_ZN7rocprim17ROCPRIM_400000_NS6detail17trampoline_kernelINS0_14default_configENS1_27scan_by_key_config_selectorIxiEEZZNS1_16scan_by_key_implILNS1_25lookback_scan_determinismE0ELb1ES3_N6thrust23THRUST_200600_302600_NS6detail15normal_iteratorINS9_10device_ptrIxEEEESE_SE_iNS9_4plusIvEENS9_8equal_toIvEEiEE10hipError_tPvRmT2_T3_T4_T5_mT6_T7_P12ihipStream_tbENKUlT_T0_E_clISt17integral_constantIbLb0EESY_IbLb1EEEEDaSU_SV_EUlSU_E_NS1_11comp_targetILNS1_3genE2ELNS1_11target_archE906ELNS1_3gpuE6ELNS1_3repE0EEENS1_30default_config_static_selectorELNS0_4arch9wavefront6targetE1EEEvT1_
                                        ; -- End function
	.section	.AMDGPU.csdata,"",@progbits
; Kernel info:
; codeLenInByte = 0
; NumSgprs: 4
; NumVgprs: 0
; NumAgprs: 0
; TotalNumVgprs: 0
; ScratchSize: 0
; MemoryBound: 0
; FloatMode: 240
; IeeeMode: 1
; LDSByteSize: 0 bytes/workgroup (compile time only)
; SGPRBlocks: 0
; VGPRBlocks: 0
; NumSGPRsForWavesPerEU: 4
; NumVGPRsForWavesPerEU: 1
; AccumOffset: 4
; Occupancy: 8
; WaveLimiterHint : 0
; COMPUTE_PGM_RSRC2:SCRATCH_EN: 0
; COMPUTE_PGM_RSRC2:USER_SGPR: 6
; COMPUTE_PGM_RSRC2:TRAP_HANDLER: 0
; COMPUTE_PGM_RSRC2:TGID_X_EN: 1
; COMPUTE_PGM_RSRC2:TGID_Y_EN: 0
; COMPUTE_PGM_RSRC2:TGID_Z_EN: 0
; COMPUTE_PGM_RSRC2:TIDIG_COMP_CNT: 0
; COMPUTE_PGM_RSRC3_GFX90A:ACCUM_OFFSET: 0
; COMPUTE_PGM_RSRC3_GFX90A:TG_SPLIT: 0
	.section	.text._ZN7rocprim17ROCPRIM_400000_NS6detail17trampoline_kernelINS0_14default_configENS1_27scan_by_key_config_selectorIxiEEZZNS1_16scan_by_key_implILNS1_25lookback_scan_determinismE0ELb1ES3_N6thrust23THRUST_200600_302600_NS6detail15normal_iteratorINS9_10device_ptrIxEEEESE_SE_iNS9_4plusIvEENS9_8equal_toIvEEiEE10hipError_tPvRmT2_T3_T4_T5_mT6_T7_P12ihipStream_tbENKUlT_T0_E_clISt17integral_constantIbLb0EESY_IbLb1EEEEDaSU_SV_EUlSU_E_NS1_11comp_targetILNS1_3genE10ELNS1_11target_archE1200ELNS1_3gpuE4ELNS1_3repE0EEENS1_30default_config_static_selectorELNS0_4arch9wavefront6targetE1EEEvT1_,"axG",@progbits,_ZN7rocprim17ROCPRIM_400000_NS6detail17trampoline_kernelINS0_14default_configENS1_27scan_by_key_config_selectorIxiEEZZNS1_16scan_by_key_implILNS1_25lookback_scan_determinismE0ELb1ES3_N6thrust23THRUST_200600_302600_NS6detail15normal_iteratorINS9_10device_ptrIxEEEESE_SE_iNS9_4plusIvEENS9_8equal_toIvEEiEE10hipError_tPvRmT2_T3_T4_T5_mT6_T7_P12ihipStream_tbENKUlT_T0_E_clISt17integral_constantIbLb0EESY_IbLb1EEEEDaSU_SV_EUlSU_E_NS1_11comp_targetILNS1_3genE10ELNS1_11target_archE1200ELNS1_3gpuE4ELNS1_3repE0EEENS1_30default_config_static_selectorELNS0_4arch9wavefront6targetE1EEEvT1_,comdat
	.protected	_ZN7rocprim17ROCPRIM_400000_NS6detail17trampoline_kernelINS0_14default_configENS1_27scan_by_key_config_selectorIxiEEZZNS1_16scan_by_key_implILNS1_25lookback_scan_determinismE0ELb1ES3_N6thrust23THRUST_200600_302600_NS6detail15normal_iteratorINS9_10device_ptrIxEEEESE_SE_iNS9_4plusIvEENS9_8equal_toIvEEiEE10hipError_tPvRmT2_T3_T4_T5_mT6_T7_P12ihipStream_tbENKUlT_T0_E_clISt17integral_constantIbLb0EESY_IbLb1EEEEDaSU_SV_EUlSU_E_NS1_11comp_targetILNS1_3genE10ELNS1_11target_archE1200ELNS1_3gpuE4ELNS1_3repE0EEENS1_30default_config_static_selectorELNS0_4arch9wavefront6targetE1EEEvT1_ ; -- Begin function _ZN7rocprim17ROCPRIM_400000_NS6detail17trampoline_kernelINS0_14default_configENS1_27scan_by_key_config_selectorIxiEEZZNS1_16scan_by_key_implILNS1_25lookback_scan_determinismE0ELb1ES3_N6thrust23THRUST_200600_302600_NS6detail15normal_iteratorINS9_10device_ptrIxEEEESE_SE_iNS9_4plusIvEENS9_8equal_toIvEEiEE10hipError_tPvRmT2_T3_T4_T5_mT6_T7_P12ihipStream_tbENKUlT_T0_E_clISt17integral_constantIbLb0EESY_IbLb1EEEEDaSU_SV_EUlSU_E_NS1_11comp_targetILNS1_3genE10ELNS1_11target_archE1200ELNS1_3gpuE4ELNS1_3repE0EEENS1_30default_config_static_selectorELNS0_4arch9wavefront6targetE1EEEvT1_
	.globl	_ZN7rocprim17ROCPRIM_400000_NS6detail17trampoline_kernelINS0_14default_configENS1_27scan_by_key_config_selectorIxiEEZZNS1_16scan_by_key_implILNS1_25lookback_scan_determinismE0ELb1ES3_N6thrust23THRUST_200600_302600_NS6detail15normal_iteratorINS9_10device_ptrIxEEEESE_SE_iNS9_4plusIvEENS9_8equal_toIvEEiEE10hipError_tPvRmT2_T3_T4_T5_mT6_T7_P12ihipStream_tbENKUlT_T0_E_clISt17integral_constantIbLb0EESY_IbLb1EEEEDaSU_SV_EUlSU_E_NS1_11comp_targetILNS1_3genE10ELNS1_11target_archE1200ELNS1_3gpuE4ELNS1_3repE0EEENS1_30default_config_static_selectorELNS0_4arch9wavefront6targetE1EEEvT1_
	.p2align	8
	.type	_ZN7rocprim17ROCPRIM_400000_NS6detail17trampoline_kernelINS0_14default_configENS1_27scan_by_key_config_selectorIxiEEZZNS1_16scan_by_key_implILNS1_25lookback_scan_determinismE0ELb1ES3_N6thrust23THRUST_200600_302600_NS6detail15normal_iteratorINS9_10device_ptrIxEEEESE_SE_iNS9_4plusIvEENS9_8equal_toIvEEiEE10hipError_tPvRmT2_T3_T4_T5_mT6_T7_P12ihipStream_tbENKUlT_T0_E_clISt17integral_constantIbLb0EESY_IbLb1EEEEDaSU_SV_EUlSU_E_NS1_11comp_targetILNS1_3genE10ELNS1_11target_archE1200ELNS1_3gpuE4ELNS1_3repE0EEENS1_30default_config_static_selectorELNS0_4arch9wavefront6targetE1EEEvT1_,@function
_ZN7rocprim17ROCPRIM_400000_NS6detail17trampoline_kernelINS0_14default_configENS1_27scan_by_key_config_selectorIxiEEZZNS1_16scan_by_key_implILNS1_25lookback_scan_determinismE0ELb1ES3_N6thrust23THRUST_200600_302600_NS6detail15normal_iteratorINS9_10device_ptrIxEEEESE_SE_iNS9_4plusIvEENS9_8equal_toIvEEiEE10hipError_tPvRmT2_T3_T4_T5_mT6_T7_P12ihipStream_tbENKUlT_T0_E_clISt17integral_constantIbLb0EESY_IbLb1EEEEDaSU_SV_EUlSU_E_NS1_11comp_targetILNS1_3genE10ELNS1_11target_archE1200ELNS1_3gpuE4ELNS1_3repE0EEENS1_30default_config_static_selectorELNS0_4arch9wavefront6targetE1EEEvT1_: ; @_ZN7rocprim17ROCPRIM_400000_NS6detail17trampoline_kernelINS0_14default_configENS1_27scan_by_key_config_selectorIxiEEZZNS1_16scan_by_key_implILNS1_25lookback_scan_determinismE0ELb1ES3_N6thrust23THRUST_200600_302600_NS6detail15normal_iteratorINS9_10device_ptrIxEEEESE_SE_iNS9_4plusIvEENS9_8equal_toIvEEiEE10hipError_tPvRmT2_T3_T4_T5_mT6_T7_P12ihipStream_tbENKUlT_T0_E_clISt17integral_constantIbLb0EESY_IbLb1EEEEDaSU_SV_EUlSU_E_NS1_11comp_targetILNS1_3genE10ELNS1_11target_archE1200ELNS1_3gpuE4ELNS1_3repE0EEENS1_30default_config_static_selectorELNS0_4arch9wavefront6targetE1EEEvT1_
; %bb.0:
	.section	.rodata,"a",@progbits
	.p2align	6, 0x0
	.amdhsa_kernel _ZN7rocprim17ROCPRIM_400000_NS6detail17trampoline_kernelINS0_14default_configENS1_27scan_by_key_config_selectorIxiEEZZNS1_16scan_by_key_implILNS1_25lookback_scan_determinismE0ELb1ES3_N6thrust23THRUST_200600_302600_NS6detail15normal_iteratorINS9_10device_ptrIxEEEESE_SE_iNS9_4plusIvEENS9_8equal_toIvEEiEE10hipError_tPvRmT2_T3_T4_T5_mT6_T7_P12ihipStream_tbENKUlT_T0_E_clISt17integral_constantIbLb0EESY_IbLb1EEEEDaSU_SV_EUlSU_E_NS1_11comp_targetILNS1_3genE10ELNS1_11target_archE1200ELNS1_3gpuE4ELNS1_3repE0EEENS1_30default_config_static_selectorELNS0_4arch9wavefront6targetE1EEEvT1_
		.amdhsa_group_segment_fixed_size 0
		.amdhsa_private_segment_fixed_size 0
		.amdhsa_kernarg_size 112
		.amdhsa_user_sgpr_count 6
		.amdhsa_user_sgpr_private_segment_buffer 1
		.amdhsa_user_sgpr_dispatch_ptr 0
		.amdhsa_user_sgpr_queue_ptr 0
		.amdhsa_user_sgpr_kernarg_segment_ptr 1
		.amdhsa_user_sgpr_dispatch_id 0
		.amdhsa_user_sgpr_flat_scratch_init 0
		.amdhsa_user_sgpr_kernarg_preload_length 0
		.amdhsa_user_sgpr_kernarg_preload_offset 0
		.amdhsa_user_sgpr_private_segment_size 0
		.amdhsa_uses_dynamic_stack 0
		.amdhsa_system_sgpr_private_segment_wavefront_offset 0
		.amdhsa_system_sgpr_workgroup_id_x 1
		.amdhsa_system_sgpr_workgroup_id_y 0
		.amdhsa_system_sgpr_workgroup_id_z 0
		.amdhsa_system_sgpr_workgroup_info 0
		.amdhsa_system_vgpr_workitem_id 0
		.amdhsa_next_free_vgpr 1
		.amdhsa_next_free_sgpr 0
		.amdhsa_accum_offset 4
		.amdhsa_reserve_vcc 0
		.amdhsa_reserve_flat_scratch 0
		.amdhsa_float_round_mode_32 0
		.amdhsa_float_round_mode_16_64 0
		.amdhsa_float_denorm_mode_32 3
		.amdhsa_float_denorm_mode_16_64 3
		.amdhsa_dx10_clamp 1
		.amdhsa_ieee_mode 1
		.amdhsa_fp16_overflow 0
		.amdhsa_tg_split 0
		.amdhsa_exception_fp_ieee_invalid_op 0
		.amdhsa_exception_fp_denorm_src 0
		.amdhsa_exception_fp_ieee_div_zero 0
		.amdhsa_exception_fp_ieee_overflow 0
		.amdhsa_exception_fp_ieee_underflow 0
		.amdhsa_exception_fp_ieee_inexact 0
		.amdhsa_exception_int_div_zero 0
	.end_amdhsa_kernel
	.section	.text._ZN7rocprim17ROCPRIM_400000_NS6detail17trampoline_kernelINS0_14default_configENS1_27scan_by_key_config_selectorIxiEEZZNS1_16scan_by_key_implILNS1_25lookback_scan_determinismE0ELb1ES3_N6thrust23THRUST_200600_302600_NS6detail15normal_iteratorINS9_10device_ptrIxEEEESE_SE_iNS9_4plusIvEENS9_8equal_toIvEEiEE10hipError_tPvRmT2_T3_T4_T5_mT6_T7_P12ihipStream_tbENKUlT_T0_E_clISt17integral_constantIbLb0EESY_IbLb1EEEEDaSU_SV_EUlSU_E_NS1_11comp_targetILNS1_3genE10ELNS1_11target_archE1200ELNS1_3gpuE4ELNS1_3repE0EEENS1_30default_config_static_selectorELNS0_4arch9wavefront6targetE1EEEvT1_,"axG",@progbits,_ZN7rocprim17ROCPRIM_400000_NS6detail17trampoline_kernelINS0_14default_configENS1_27scan_by_key_config_selectorIxiEEZZNS1_16scan_by_key_implILNS1_25lookback_scan_determinismE0ELb1ES3_N6thrust23THRUST_200600_302600_NS6detail15normal_iteratorINS9_10device_ptrIxEEEESE_SE_iNS9_4plusIvEENS9_8equal_toIvEEiEE10hipError_tPvRmT2_T3_T4_T5_mT6_T7_P12ihipStream_tbENKUlT_T0_E_clISt17integral_constantIbLb0EESY_IbLb1EEEEDaSU_SV_EUlSU_E_NS1_11comp_targetILNS1_3genE10ELNS1_11target_archE1200ELNS1_3gpuE4ELNS1_3repE0EEENS1_30default_config_static_selectorELNS0_4arch9wavefront6targetE1EEEvT1_,comdat
.Lfunc_end1038:
	.size	_ZN7rocprim17ROCPRIM_400000_NS6detail17trampoline_kernelINS0_14default_configENS1_27scan_by_key_config_selectorIxiEEZZNS1_16scan_by_key_implILNS1_25lookback_scan_determinismE0ELb1ES3_N6thrust23THRUST_200600_302600_NS6detail15normal_iteratorINS9_10device_ptrIxEEEESE_SE_iNS9_4plusIvEENS9_8equal_toIvEEiEE10hipError_tPvRmT2_T3_T4_T5_mT6_T7_P12ihipStream_tbENKUlT_T0_E_clISt17integral_constantIbLb0EESY_IbLb1EEEEDaSU_SV_EUlSU_E_NS1_11comp_targetILNS1_3genE10ELNS1_11target_archE1200ELNS1_3gpuE4ELNS1_3repE0EEENS1_30default_config_static_selectorELNS0_4arch9wavefront6targetE1EEEvT1_, .Lfunc_end1038-_ZN7rocprim17ROCPRIM_400000_NS6detail17trampoline_kernelINS0_14default_configENS1_27scan_by_key_config_selectorIxiEEZZNS1_16scan_by_key_implILNS1_25lookback_scan_determinismE0ELb1ES3_N6thrust23THRUST_200600_302600_NS6detail15normal_iteratorINS9_10device_ptrIxEEEESE_SE_iNS9_4plusIvEENS9_8equal_toIvEEiEE10hipError_tPvRmT2_T3_T4_T5_mT6_T7_P12ihipStream_tbENKUlT_T0_E_clISt17integral_constantIbLb0EESY_IbLb1EEEEDaSU_SV_EUlSU_E_NS1_11comp_targetILNS1_3genE10ELNS1_11target_archE1200ELNS1_3gpuE4ELNS1_3repE0EEENS1_30default_config_static_selectorELNS0_4arch9wavefront6targetE1EEEvT1_
                                        ; -- End function
	.section	.AMDGPU.csdata,"",@progbits
; Kernel info:
; codeLenInByte = 0
; NumSgprs: 4
; NumVgprs: 0
; NumAgprs: 0
; TotalNumVgprs: 0
; ScratchSize: 0
; MemoryBound: 0
; FloatMode: 240
; IeeeMode: 1
; LDSByteSize: 0 bytes/workgroup (compile time only)
; SGPRBlocks: 0
; VGPRBlocks: 0
; NumSGPRsForWavesPerEU: 4
; NumVGPRsForWavesPerEU: 1
; AccumOffset: 4
; Occupancy: 8
; WaveLimiterHint : 0
; COMPUTE_PGM_RSRC2:SCRATCH_EN: 0
; COMPUTE_PGM_RSRC2:USER_SGPR: 6
; COMPUTE_PGM_RSRC2:TRAP_HANDLER: 0
; COMPUTE_PGM_RSRC2:TGID_X_EN: 1
; COMPUTE_PGM_RSRC2:TGID_Y_EN: 0
; COMPUTE_PGM_RSRC2:TGID_Z_EN: 0
; COMPUTE_PGM_RSRC2:TIDIG_COMP_CNT: 0
; COMPUTE_PGM_RSRC3_GFX90A:ACCUM_OFFSET: 0
; COMPUTE_PGM_RSRC3_GFX90A:TG_SPLIT: 0
	.section	.text._ZN7rocprim17ROCPRIM_400000_NS6detail17trampoline_kernelINS0_14default_configENS1_27scan_by_key_config_selectorIxiEEZZNS1_16scan_by_key_implILNS1_25lookback_scan_determinismE0ELb1ES3_N6thrust23THRUST_200600_302600_NS6detail15normal_iteratorINS9_10device_ptrIxEEEESE_SE_iNS9_4plusIvEENS9_8equal_toIvEEiEE10hipError_tPvRmT2_T3_T4_T5_mT6_T7_P12ihipStream_tbENKUlT_T0_E_clISt17integral_constantIbLb0EESY_IbLb1EEEEDaSU_SV_EUlSU_E_NS1_11comp_targetILNS1_3genE9ELNS1_11target_archE1100ELNS1_3gpuE3ELNS1_3repE0EEENS1_30default_config_static_selectorELNS0_4arch9wavefront6targetE1EEEvT1_,"axG",@progbits,_ZN7rocprim17ROCPRIM_400000_NS6detail17trampoline_kernelINS0_14default_configENS1_27scan_by_key_config_selectorIxiEEZZNS1_16scan_by_key_implILNS1_25lookback_scan_determinismE0ELb1ES3_N6thrust23THRUST_200600_302600_NS6detail15normal_iteratorINS9_10device_ptrIxEEEESE_SE_iNS9_4plusIvEENS9_8equal_toIvEEiEE10hipError_tPvRmT2_T3_T4_T5_mT6_T7_P12ihipStream_tbENKUlT_T0_E_clISt17integral_constantIbLb0EESY_IbLb1EEEEDaSU_SV_EUlSU_E_NS1_11comp_targetILNS1_3genE9ELNS1_11target_archE1100ELNS1_3gpuE3ELNS1_3repE0EEENS1_30default_config_static_selectorELNS0_4arch9wavefront6targetE1EEEvT1_,comdat
	.protected	_ZN7rocprim17ROCPRIM_400000_NS6detail17trampoline_kernelINS0_14default_configENS1_27scan_by_key_config_selectorIxiEEZZNS1_16scan_by_key_implILNS1_25lookback_scan_determinismE0ELb1ES3_N6thrust23THRUST_200600_302600_NS6detail15normal_iteratorINS9_10device_ptrIxEEEESE_SE_iNS9_4plusIvEENS9_8equal_toIvEEiEE10hipError_tPvRmT2_T3_T4_T5_mT6_T7_P12ihipStream_tbENKUlT_T0_E_clISt17integral_constantIbLb0EESY_IbLb1EEEEDaSU_SV_EUlSU_E_NS1_11comp_targetILNS1_3genE9ELNS1_11target_archE1100ELNS1_3gpuE3ELNS1_3repE0EEENS1_30default_config_static_selectorELNS0_4arch9wavefront6targetE1EEEvT1_ ; -- Begin function _ZN7rocprim17ROCPRIM_400000_NS6detail17trampoline_kernelINS0_14default_configENS1_27scan_by_key_config_selectorIxiEEZZNS1_16scan_by_key_implILNS1_25lookback_scan_determinismE0ELb1ES3_N6thrust23THRUST_200600_302600_NS6detail15normal_iteratorINS9_10device_ptrIxEEEESE_SE_iNS9_4plusIvEENS9_8equal_toIvEEiEE10hipError_tPvRmT2_T3_T4_T5_mT6_T7_P12ihipStream_tbENKUlT_T0_E_clISt17integral_constantIbLb0EESY_IbLb1EEEEDaSU_SV_EUlSU_E_NS1_11comp_targetILNS1_3genE9ELNS1_11target_archE1100ELNS1_3gpuE3ELNS1_3repE0EEENS1_30default_config_static_selectorELNS0_4arch9wavefront6targetE1EEEvT1_
	.globl	_ZN7rocprim17ROCPRIM_400000_NS6detail17trampoline_kernelINS0_14default_configENS1_27scan_by_key_config_selectorIxiEEZZNS1_16scan_by_key_implILNS1_25lookback_scan_determinismE0ELb1ES3_N6thrust23THRUST_200600_302600_NS6detail15normal_iteratorINS9_10device_ptrIxEEEESE_SE_iNS9_4plusIvEENS9_8equal_toIvEEiEE10hipError_tPvRmT2_T3_T4_T5_mT6_T7_P12ihipStream_tbENKUlT_T0_E_clISt17integral_constantIbLb0EESY_IbLb1EEEEDaSU_SV_EUlSU_E_NS1_11comp_targetILNS1_3genE9ELNS1_11target_archE1100ELNS1_3gpuE3ELNS1_3repE0EEENS1_30default_config_static_selectorELNS0_4arch9wavefront6targetE1EEEvT1_
	.p2align	8
	.type	_ZN7rocprim17ROCPRIM_400000_NS6detail17trampoline_kernelINS0_14default_configENS1_27scan_by_key_config_selectorIxiEEZZNS1_16scan_by_key_implILNS1_25lookback_scan_determinismE0ELb1ES3_N6thrust23THRUST_200600_302600_NS6detail15normal_iteratorINS9_10device_ptrIxEEEESE_SE_iNS9_4plusIvEENS9_8equal_toIvEEiEE10hipError_tPvRmT2_T3_T4_T5_mT6_T7_P12ihipStream_tbENKUlT_T0_E_clISt17integral_constantIbLb0EESY_IbLb1EEEEDaSU_SV_EUlSU_E_NS1_11comp_targetILNS1_3genE9ELNS1_11target_archE1100ELNS1_3gpuE3ELNS1_3repE0EEENS1_30default_config_static_selectorELNS0_4arch9wavefront6targetE1EEEvT1_,@function
_ZN7rocprim17ROCPRIM_400000_NS6detail17trampoline_kernelINS0_14default_configENS1_27scan_by_key_config_selectorIxiEEZZNS1_16scan_by_key_implILNS1_25lookback_scan_determinismE0ELb1ES3_N6thrust23THRUST_200600_302600_NS6detail15normal_iteratorINS9_10device_ptrIxEEEESE_SE_iNS9_4plusIvEENS9_8equal_toIvEEiEE10hipError_tPvRmT2_T3_T4_T5_mT6_T7_P12ihipStream_tbENKUlT_T0_E_clISt17integral_constantIbLb0EESY_IbLb1EEEEDaSU_SV_EUlSU_E_NS1_11comp_targetILNS1_3genE9ELNS1_11target_archE1100ELNS1_3gpuE3ELNS1_3repE0EEENS1_30default_config_static_selectorELNS0_4arch9wavefront6targetE1EEEvT1_: ; @_ZN7rocprim17ROCPRIM_400000_NS6detail17trampoline_kernelINS0_14default_configENS1_27scan_by_key_config_selectorIxiEEZZNS1_16scan_by_key_implILNS1_25lookback_scan_determinismE0ELb1ES3_N6thrust23THRUST_200600_302600_NS6detail15normal_iteratorINS9_10device_ptrIxEEEESE_SE_iNS9_4plusIvEENS9_8equal_toIvEEiEE10hipError_tPvRmT2_T3_T4_T5_mT6_T7_P12ihipStream_tbENKUlT_T0_E_clISt17integral_constantIbLb0EESY_IbLb1EEEEDaSU_SV_EUlSU_E_NS1_11comp_targetILNS1_3genE9ELNS1_11target_archE1100ELNS1_3gpuE3ELNS1_3repE0EEENS1_30default_config_static_selectorELNS0_4arch9wavefront6targetE1EEEvT1_
; %bb.0:
	.section	.rodata,"a",@progbits
	.p2align	6, 0x0
	.amdhsa_kernel _ZN7rocprim17ROCPRIM_400000_NS6detail17trampoline_kernelINS0_14default_configENS1_27scan_by_key_config_selectorIxiEEZZNS1_16scan_by_key_implILNS1_25lookback_scan_determinismE0ELb1ES3_N6thrust23THRUST_200600_302600_NS6detail15normal_iteratorINS9_10device_ptrIxEEEESE_SE_iNS9_4plusIvEENS9_8equal_toIvEEiEE10hipError_tPvRmT2_T3_T4_T5_mT6_T7_P12ihipStream_tbENKUlT_T0_E_clISt17integral_constantIbLb0EESY_IbLb1EEEEDaSU_SV_EUlSU_E_NS1_11comp_targetILNS1_3genE9ELNS1_11target_archE1100ELNS1_3gpuE3ELNS1_3repE0EEENS1_30default_config_static_selectorELNS0_4arch9wavefront6targetE1EEEvT1_
		.amdhsa_group_segment_fixed_size 0
		.amdhsa_private_segment_fixed_size 0
		.amdhsa_kernarg_size 112
		.amdhsa_user_sgpr_count 6
		.amdhsa_user_sgpr_private_segment_buffer 1
		.amdhsa_user_sgpr_dispatch_ptr 0
		.amdhsa_user_sgpr_queue_ptr 0
		.amdhsa_user_sgpr_kernarg_segment_ptr 1
		.amdhsa_user_sgpr_dispatch_id 0
		.amdhsa_user_sgpr_flat_scratch_init 0
		.amdhsa_user_sgpr_kernarg_preload_length 0
		.amdhsa_user_sgpr_kernarg_preload_offset 0
		.amdhsa_user_sgpr_private_segment_size 0
		.amdhsa_uses_dynamic_stack 0
		.amdhsa_system_sgpr_private_segment_wavefront_offset 0
		.amdhsa_system_sgpr_workgroup_id_x 1
		.amdhsa_system_sgpr_workgroup_id_y 0
		.amdhsa_system_sgpr_workgroup_id_z 0
		.amdhsa_system_sgpr_workgroup_info 0
		.amdhsa_system_vgpr_workitem_id 0
		.amdhsa_next_free_vgpr 1
		.amdhsa_next_free_sgpr 0
		.amdhsa_accum_offset 4
		.amdhsa_reserve_vcc 0
		.amdhsa_reserve_flat_scratch 0
		.amdhsa_float_round_mode_32 0
		.amdhsa_float_round_mode_16_64 0
		.amdhsa_float_denorm_mode_32 3
		.amdhsa_float_denorm_mode_16_64 3
		.amdhsa_dx10_clamp 1
		.amdhsa_ieee_mode 1
		.amdhsa_fp16_overflow 0
		.amdhsa_tg_split 0
		.amdhsa_exception_fp_ieee_invalid_op 0
		.amdhsa_exception_fp_denorm_src 0
		.amdhsa_exception_fp_ieee_div_zero 0
		.amdhsa_exception_fp_ieee_overflow 0
		.amdhsa_exception_fp_ieee_underflow 0
		.amdhsa_exception_fp_ieee_inexact 0
		.amdhsa_exception_int_div_zero 0
	.end_amdhsa_kernel
	.section	.text._ZN7rocprim17ROCPRIM_400000_NS6detail17trampoline_kernelINS0_14default_configENS1_27scan_by_key_config_selectorIxiEEZZNS1_16scan_by_key_implILNS1_25lookback_scan_determinismE0ELb1ES3_N6thrust23THRUST_200600_302600_NS6detail15normal_iteratorINS9_10device_ptrIxEEEESE_SE_iNS9_4plusIvEENS9_8equal_toIvEEiEE10hipError_tPvRmT2_T3_T4_T5_mT6_T7_P12ihipStream_tbENKUlT_T0_E_clISt17integral_constantIbLb0EESY_IbLb1EEEEDaSU_SV_EUlSU_E_NS1_11comp_targetILNS1_3genE9ELNS1_11target_archE1100ELNS1_3gpuE3ELNS1_3repE0EEENS1_30default_config_static_selectorELNS0_4arch9wavefront6targetE1EEEvT1_,"axG",@progbits,_ZN7rocprim17ROCPRIM_400000_NS6detail17trampoline_kernelINS0_14default_configENS1_27scan_by_key_config_selectorIxiEEZZNS1_16scan_by_key_implILNS1_25lookback_scan_determinismE0ELb1ES3_N6thrust23THRUST_200600_302600_NS6detail15normal_iteratorINS9_10device_ptrIxEEEESE_SE_iNS9_4plusIvEENS9_8equal_toIvEEiEE10hipError_tPvRmT2_T3_T4_T5_mT6_T7_P12ihipStream_tbENKUlT_T0_E_clISt17integral_constantIbLb0EESY_IbLb1EEEEDaSU_SV_EUlSU_E_NS1_11comp_targetILNS1_3genE9ELNS1_11target_archE1100ELNS1_3gpuE3ELNS1_3repE0EEENS1_30default_config_static_selectorELNS0_4arch9wavefront6targetE1EEEvT1_,comdat
.Lfunc_end1039:
	.size	_ZN7rocprim17ROCPRIM_400000_NS6detail17trampoline_kernelINS0_14default_configENS1_27scan_by_key_config_selectorIxiEEZZNS1_16scan_by_key_implILNS1_25lookback_scan_determinismE0ELb1ES3_N6thrust23THRUST_200600_302600_NS6detail15normal_iteratorINS9_10device_ptrIxEEEESE_SE_iNS9_4plusIvEENS9_8equal_toIvEEiEE10hipError_tPvRmT2_T3_T4_T5_mT6_T7_P12ihipStream_tbENKUlT_T0_E_clISt17integral_constantIbLb0EESY_IbLb1EEEEDaSU_SV_EUlSU_E_NS1_11comp_targetILNS1_3genE9ELNS1_11target_archE1100ELNS1_3gpuE3ELNS1_3repE0EEENS1_30default_config_static_selectorELNS0_4arch9wavefront6targetE1EEEvT1_, .Lfunc_end1039-_ZN7rocprim17ROCPRIM_400000_NS6detail17trampoline_kernelINS0_14default_configENS1_27scan_by_key_config_selectorIxiEEZZNS1_16scan_by_key_implILNS1_25lookback_scan_determinismE0ELb1ES3_N6thrust23THRUST_200600_302600_NS6detail15normal_iteratorINS9_10device_ptrIxEEEESE_SE_iNS9_4plusIvEENS9_8equal_toIvEEiEE10hipError_tPvRmT2_T3_T4_T5_mT6_T7_P12ihipStream_tbENKUlT_T0_E_clISt17integral_constantIbLb0EESY_IbLb1EEEEDaSU_SV_EUlSU_E_NS1_11comp_targetILNS1_3genE9ELNS1_11target_archE1100ELNS1_3gpuE3ELNS1_3repE0EEENS1_30default_config_static_selectorELNS0_4arch9wavefront6targetE1EEEvT1_
                                        ; -- End function
	.section	.AMDGPU.csdata,"",@progbits
; Kernel info:
; codeLenInByte = 0
; NumSgprs: 4
; NumVgprs: 0
; NumAgprs: 0
; TotalNumVgprs: 0
; ScratchSize: 0
; MemoryBound: 0
; FloatMode: 240
; IeeeMode: 1
; LDSByteSize: 0 bytes/workgroup (compile time only)
; SGPRBlocks: 0
; VGPRBlocks: 0
; NumSGPRsForWavesPerEU: 4
; NumVGPRsForWavesPerEU: 1
; AccumOffset: 4
; Occupancy: 8
; WaveLimiterHint : 0
; COMPUTE_PGM_RSRC2:SCRATCH_EN: 0
; COMPUTE_PGM_RSRC2:USER_SGPR: 6
; COMPUTE_PGM_RSRC2:TRAP_HANDLER: 0
; COMPUTE_PGM_RSRC2:TGID_X_EN: 1
; COMPUTE_PGM_RSRC2:TGID_Y_EN: 0
; COMPUTE_PGM_RSRC2:TGID_Z_EN: 0
; COMPUTE_PGM_RSRC2:TIDIG_COMP_CNT: 0
; COMPUTE_PGM_RSRC3_GFX90A:ACCUM_OFFSET: 0
; COMPUTE_PGM_RSRC3_GFX90A:TG_SPLIT: 0
	.section	.text._ZN7rocprim17ROCPRIM_400000_NS6detail17trampoline_kernelINS0_14default_configENS1_27scan_by_key_config_selectorIxiEEZZNS1_16scan_by_key_implILNS1_25lookback_scan_determinismE0ELb1ES3_N6thrust23THRUST_200600_302600_NS6detail15normal_iteratorINS9_10device_ptrIxEEEESE_SE_iNS9_4plusIvEENS9_8equal_toIvEEiEE10hipError_tPvRmT2_T3_T4_T5_mT6_T7_P12ihipStream_tbENKUlT_T0_E_clISt17integral_constantIbLb0EESY_IbLb1EEEEDaSU_SV_EUlSU_E_NS1_11comp_targetILNS1_3genE8ELNS1_11target_archE1030ELNS1_3gpuE2ELNS1_3repE0EEENS1_30default_config_static_selectorELNS0_4arch9wavefront6targetE1EEEvT1_,"axG",@progbits,_ZN7rocprim17ROCPRIM_400000_NS6detail17trampoline_kernelINS0_14default_configENS1_27scan_by_key_config_selectorIxiEEZZNS1_16scan_by_key_implILNS1_25lookback_scan_determinismE0ELb1ES3_N6thrust23THRUST_200600_302600_NS6detail15normal_iteratorINS9_10device_ptrIxEEEESE_SE_iNS9_4plusIvEENS9_8equal_toIvEEiEE10hipError_tPvRmT2_T3_T4_T5_mT6_T7_P12ihipStream_tbENKUlT_T0_E_clISt17integral_constantIbLb0EESY_IbLb1EEEEDaSU_SV_EUlSU_E_NS1_11comp_targetILNS1_3genE8ELNS1_11target_archE1030ELNS1_3gpuE2ELNS1_3repE0EEENS1_30default_config_static_selectorELNS0_4arch9wavefront6targetE1EEEvT1_,comdat
	.protected	_ZN7rocprim17ROCPRIM_400000_NS6detail17trampoline_kernelINS0_14default_configENS1_27scan_by_key_config_selectorIxiEEZZNS1_16scan_by_key_implILNS1_25lookback_scan_determinismE0ELb1ES3_N6thrust23THRUST_200600_302600_NS6detail15normal_iteratorINS9_10device_ptrIxEEEESE_SE_iNS9_4plusIvEENS9_8equal_toIvEEiEE10hipError_tPvRmT2_T3_T4_T5_mT6_T7_P12ihipStream_tbENKUlT_T0_E_clISt17integral_constantIbLb0EESY_IbLb1EEEEDaSU_SV_EUlSU_E_NS1_11comp_targetILNS1_3genE8ELNS1_11target_archE1030ELNS1_3gpuE2ELNS1_3repE0EEENS1_30default_config_static_selectorELNS0_4arch9wavefront6targetE1EEEvT1_ ; -- Begin function _ZN7rocprim17ROCPRIM_400000_NS6detail17trampoline_kernelINS0_14default_configENS1_27scan_by_key_config_selectorIxiEEZZNS1_16scan_by_key_implILNS1_25lookback_scan_determinismE0ELb1ES3_N6thrust23THRUST_200600_302600_NS6detail15normal_iteratorINS9_10device_ptrIxEEEESE_SE_iNS9_4plusIvEENS9_8equal_toIvEEiEE10hipError_tPvRmT2_T3_T4_T5_mT6_T7_P12ihipStream_tbENKUlT_T0_E_clISt17integral_constantIbLb0EESY_IbLb1EEEEDaSU_SV_EUlSU_E_NS1_11comp_targetILNS1_3genE8ELNS1_11target_archE1030ELNS1_3gpuE2ELNS1_3repE0EEENS1_30default_config_static_selectorELNS0_4arch9wavefront6targetE1EEEvT1_
	.globl	_ZN7rocprim17ROCPRIM_400000_NS6detail17trampoline_kernelINS0_14default_configENS1_27scan_by_key_config_selectorIxiEEZZNS1_16scan_by_key_implILNS1_25lookback_scan_determinismE0ELb1ES3_N6thrust23THRUST_200600_302600_NS6detail15normal_iteratorINS9_10device_ptrIxEEEESE_SE_iNS9_4plusIvEENS9_8equal_toIvEEiEE10hipError_tPvRmT2_T3_T4_T5_mT6_T7_P12ihipStream_tbENKUlT_T0_E_clISt17integral_constantIbLb0EESY_IbLb1EEEEDaSU_SV_EUlSU_E_NS1_11comp_targetILNS1_3genE8ELNS1_11target_archE1030ELNS1_3gpuE2ELNS1_3repE0EEENS1_30default_config_static_selectorELNS0_4arch9wavefront6targetE1EEEvT1_
	.p2align	8
	.type	_ZN7rocprim17ROCPRIM_400000_NS6detail17trampoline_kernelINS0_14default_configENS1_27scan_by_key_config_selectorIxiEEZZNS1_16scan_by_key_implILNS1_25lookback_scan_determinismE0ELb1ES3_N6thrust23THRUST_200600_302600_NS6detail15normal_iteratorINS9_10device_ptrIxEEEESE_SE_iNS9_4plusIvEENS9_8equal_toIvEEiEE10hipError_tPvRmT2_T3_T4_T5_mT6_T7_P12ihipStream_tbENKUlT_T0_E_clISt17integral_constantIbLb0EESY_IbLb1EEEEDaSU_SV_EUlSU_E_NS1_11comp_targetILNS1_3genE8ELNS1_11target_archE1030ELNS1_3gpuE2ELNS1_3repE0EEENS1_30default_config_static_selectorELNS0_4arch9wavefront6targetE1EEEvT1_,@function
_ZN7rocprim17ROCPRIM_400000_NS6detail17trampoline_kernelINS0_14default_configENS1_27scan_by_key_config_selectorIxiEEZZNS1_16scan_by_key_implILNS1_25lookback_scan_determinismE0ELb1ES3_N6thrust23THRUST_200600_302600_NS6detail15normal_iteratorINS9_10device_ptrIxEEEESE_SE_iNS9_4plusIvEENS9_8equal_toIvEEiEE10hipError_tPvRmT2_T3_T4_T5_mT6_T7_P12ihipStream_tbENKUlT_T0_E_clISt17integral_constantIbLb0EESY_IbLb1EEEEDaSU_SV_EUlSU_E_NS1_11comp_targetILNS1_3genE8ELNS1_11target_archE1030ELNS1_3gpuE2ELNS1_3repE0EEENS1_30default_config_static_selectorELNS0_4arch9wavefront6targetE1EEEvT1_: ; @_ZN7rocprim17ROCPRIM_400000_NS6detail17trampoline_kernelINS0_14default_configENS1_27scan_by_key_config_selectorIxiEEZZNS1_16scan_by_key_implILNS1_25lookback_scan_determinismE0ELb1ES3_N6thrust23THRUST_200600_302600_NS6detail15normal_iteratorINS9_10device_ptrIxEEEESE_SE_iNS9_4plusIvEENS9_8equal_toIvEEiEE10hipError_tPvRmT2_T3_T4_T5_mT6_T7_P12ihipStream_tbENKUlT_T0_E_clISt17integral_constantIbLb0EESY_IbLb1EEEEDaSU_SV_EUlSU_E_NS1_11comp_targetILNS1_3genE8ELNS1_11target_archE1030ELNS1_3gpuE2ELNS1_3repE0EEENS1_30default_config_static_selectorELNS0_4arch9wavefront6targetE1EEEvT1_
; %bb.0:
	.section	.rodata,"a",@progbits
	.p2align	6, 0x0
	.amdhsa_kernel _ZN7rocprim17ROCPRIM_400000_NS6detail17trampoline_kernelINS0_14default_configENS1_27scan_by_key_config_selectorIxiEEZZNS1_16scan_by_key_implILNS1_25lookback_scan_determinismE0ELb1ES3_N6thrust23THRUST_200600_302600_NS6detail15normal_iteratorINS9_10device_ptrIxEEEESE_SE_iNS9_4plusIvEENS9_8equal_toIvEEiEE10hipError_tPvRmT2_T3_T4_T5_mT6_T7_P12ihipStream_tbENKUlT_T0_E_clISt17integral_constantIbLb0EESY_IbLb1EEEEDaSU_SV_EUlSU_E_NS1_11comp_targetILNS1_3genE8ELNS1_11target_archE1030ELNS1_3gpuE2ELNS1_3repE0EEENS1_30default_config_static_selectorELNS0_4arch9wavefront6targetE1EEEvT1_
		.amdhsa_group_segment_fixed_size 0
		.amdhsa_private_segment_fixed_size 0
		.amdhsa_kernarg_size 112
		.amdhsa_user_sgpr_count 6
		.amdhsa_user_sgpr_private_segment_buffer 1
		.amdhsa_user_sgpr_dispatch_ptr 0
		.amdhsa_user_sgpr_queue_ptr 0
		.amdhsa_user_sgpr_kernarg_segment_ptr 1
		.amdhsa_user_sgpr_dispatch_id 0
		.amdhsa_user_sgpr_flat_scratch_init 0
		.amdhsa_user_sgpr_kernarg_preload_length 0
		.amdhsa_user_sgpr_kernarg_preload_offset 0
		.amdhsa_user_sgpr_private_segment_size 0
		.amdhsa_uses_dynamic_stack 0
		.amdhsa_system_sgpr_private_segment_wavefront_offset 0
		.amdhsa_system_sgpr_workgroup_id_x 1
		.amdhsa_system_sgpr_workgroup_id_y 0
		.amdhsa_system_sgpr_workgroup_id_z 0
		.amdhsa_system_sgpr_workgroup_info 0
		.amdhsa_system_vgpr_workitem_id 0
		.amdhsa_next_free_vgpr 1
		.amdhsa_next_free_sgpr 0
		.amdhsa_accum_offset 4
		.amdhsa_reserve_vcc 0
		.amdhsa_reserve_flat_scratch 0
		.amdhsa_float_round_mode_32 0
		.amdhsa_float_round_mode_16_64 0
		.amdhsa_float_denorm_mode_32 3
		.amdhsa_float_denorm_mode_16_64 3
		.amdhsa_dx10_clamp 1
		.amdhsa_ieee_mode 1
		.amdhsa_fp16_overflow 0
		.amdhsa_tg_split 0
		.amdhsa_exception_fp_ieee_invalid_op 0
		.amdhsa_exception_fp_denorm_src 0
		.amdhsa_exception_fp_ieee_div_zero 0
		.amdhsa_exception_fp_ieee_overflow 0
		.amdhsa_exception_fp_ieee_underflow 0
		.amdhsa_exception_fp_ieee_inexact 0
		.amdhsa_exception_int_div_zero 0
	.end_amdhsa_kernel
	.section	.text._ZN7rocprim17ROCPRIM_400000_NS6detail17trampoline_kernelINS0_14default_configENS1_27scan_by_key_config_selectorIxiEEZZNS1_16scan_by_key_implILNS1_25lookback_scan_determinismE0ELb1ES3_N6thrust23THRUST_200600_302600_NS6detail15normal_iteratorINS9_10device_ptrIxEEEESE_SE_iNS9_4plusIvEENS9_8equal_toIvEEiEE10hipError_tPvRmT2_T3_T4_T5_mT6_T7_P12ihipStream_tbENKUlT_T0_E_clISt17integral_constantIbLb0EESY_IbLb1EEEEDaSU_SV_EUlSU_E_NS1_11comp_targetILNS1_3genE8ELNS1_11target_archE1030ELNS1_3gpuE2ELNS1_3repE0EEENS1_30default_config_static_selectorELNS0_4arch9wavefront6targetE1EEEvT1_,"axG",@progbits,_ZN7rocprim17ROCPRIM_400000_NS6detail17trampoline_kernelINS0_14default_configENS1_27scan_by_key_config_selectorIxiEEZZNS1_16scan_by_key_implILNS1_25lookback_scan_determinismE0ELb1ES3_N6thrust23THRUST_200600_302600_NS6detail15normal_iteratorINS9_10device_ptrIxEEEESE_SE_iNS9_4plusIvEENS9_8equal_toIvEEiEE10hipError_tPvRmT2_T3_T4_T5_mT6_T7_P12ihipStream_tbENKUlT_T0_E_clISt17integral_constantIbLb0EESY_IbLb1EEEEDaSU_SV_EUlSU_E_NS1_11comp_targetILNS1_3genE8ELNS1_11target_archE1030ELNS1_3gpuE2ELNS1_3repE0EEENS1_30default_config_static_selectorELNS0_4arch9wavefront6targetE1EEEvT1_,comdat
.Lfunc_end1040:
	.size	_ZN7rocprim17ROCPRIM_400000_NS6detail17trampoline_kernelINS0_14default_configENS1_27scan_by_key_config_selectorIxiEEZZNS1_16scan_by_key_implILNS1_25lookback_scan_determinismE0ELb1ES3_N6thrust23THRUST_200600_302600_NS6detail15normal_iteratorINS9_10device_ptrIxEEEESE_SE_iNS9_4plusIvEENS9_8equal_toIvEEiEE10hipError_tPvRmT2_T3_T4_T5_mT6_T7_P12ihipStream_tbENKUlT_T0_E_clISt17integral_constantIbLb0EESY_IbLb1EEEEDaSU_SV_EUlSU_E_NS1_11comp_targetILNS1_3genE8ELNS1_11target_archE1030ELNS1_3gpuE2ELNS1_3repE0EEENS1_30default_config_static_selectorELNS0_4arch9wavefront6targetE1EEEvT1_, .Lfunc_end1040-_ZN7rocprim17ROCPRIM_400000_NS6detail17trampoline_kernelINS0_14default_configENS1_27scan_by_key_config_selectorIxiEEZZNS1_16scan_by_key_implILNS1_25lookback_scan_determinismE0ELb1ES3_N6thrust23THRUST_200600_302600_NS6detail15normal_iteratorINS9_10device_ptrIxEEEESE_SE_iNS9_4plusIvEENS9_8equal_toIvEEiEE10hipError_tPvRmT2_T3_T4_T5_mT6_T7_P12ihipStream_tbENKUlT_T0_E_clISt17integral_constantIbLb0EESY_IbLb1EEEEDaSU_SV_EUlSU_E_NS1_11comp_targetILNS1_3genE8ELNS1_11target_archE1030ELNS1_3gpuE2ELNS1_3repE0EEENS1_30default_config_static_selectorELNS0_4arch9wavefront6targetE1EEEvT1_
                                        ; -- End function
	.section	.AMDGPU.csdata,"",@progbits
; Kernel info:
; codeLenInByte = 0
; NumSgprs: 4
; NumVgprs: 0
; NumAgprs: 0
; TotalNumVgprs: 0
; ScratchSize: 0
; MemoryBound: 0
; FloatMode: 240
; IeeeMode: 1
; LDSByteSize: 0 bytes/workgroup (compile time only)
; SGPRBlocks: 0
; VGPRBlocks: 0
; NumSGPRsForWavesPerEU: 4
; NumVGPRsForWavesPerEU: 1
; AccumOffset: 4
; Occupancy: 8
; WaveLimiterHint : 0
; COMPUTE_PGM_RSRC2:SCRATCH_EN: 0
; COMPUTE_PGM_RSRC2:USER_SGPR: 6
; COMPUTE_PGM_RSRC2:TRAP_HANDLER: 0
; COMPUTE_PGM_RSRC2:TGID_X_EN: 1
; COMPUTE_PGM_RSRC2:TGID_Y_EN: 0
; COMPUTE_PGM_RSRC2:TGID_Z_EN: 0
; COMPUTE_PGM_RSRC2:TIDIG_COMP_CNT: 0
; COMPUTE_PGM_RSRC3_GFX90A:ACCUM_OFFSET: 0
; COMPUTE_PGM_RSRC3_GFX90A:TG_SPLIT: 0
	.section	.text._ZN7rocprim17ROCPRIM_400000_NS6detail30init_device_scan_by_key_kernelINS1_19lookback_scan_stateINS0_5tupleIJibEEELb0ELb1EEEN6thrust23THRUST_200600_302600_NS6detail15normal_iteratorINS8_10device_ptrIsEEEEjNS1_16block_id_wrapperIjLb0EEEEEvT_jjPNSG_10value_typeET0_PNSt15iterator_traitsISJ_E10value_typeEmT1_T2_,"axG",@progbits,_ZN7rocprim17ROCPRIM_400000_NS6detail30init_device_scan_by_key_kernelINS1_19lookback_scan_stateINS0_5tupleIJibEEELb0ELb1EEEN6thrust23THRUST_200600_302600_NS6detail15normal_iteratorINS8_10device_ptrIsEEEEjNS1_16block_id_wrapperIjLb0EEEEEvT_jjPNSG_10value_typeET0_PNSt15iterator_traitsISJ_E10value_typeEmT1_T2_,comdat
	.protected	_ZN7rocprim17ROCPRIM_400000_NS6detail30init_device_scan_by_key_kernelINS1_19lookback_scan_stateINS0_5tupleIJibEEELb0ELb1EEEN6thrust23THRUST_200600_302600_NS6detail15normal_iteratorINS8_10device_ptrIsEEEEjNS1_16block_id_wrapperIjLb0EEEEEvT_jjPNSG_10value_typeET0_PNSt15iterator_traitsISJ_E10value_typeEmT1_T2_ ; -- Begin function _ZN7rocprim17ROCPRIM_400000_NS6detail30init_device_scan_by_key_kernelINS1_19lookback_scan_stateINS0_5tupleIJibEEELb0ELb1EEEN6thrust23THRUST_200600_302600_NS6detail15normal_iteratorINS8_10device_ptrIsEEEEjNS1_16block_id_wrapperIjLb0EEEEEvT_jjPNSG_10value_typeET0_PNSt15iterator_traitsISJ_E10value_typeEmT1_T2_
	.globl	_ZN7rocprim17ROCPRIM_400000_NS6detail30init_device_scan_by_key_kernelINS1_19lookback_scan_stateINS0_5tupleIJibEEELb0ELb1EEEN6thrust23THRUST_200600_302600_NS6detail15normal_iteratorINS8_10device_ptrIsEEEEjNS1_16block_id_wrapperIjLb0EEEEEvT_jjPNSG_10value_typeET0_PNSt15iterator_traitsISJ_E10value_typeEmT1_T2_
	.p2align	8
	.type	_ZN7rocprim17ROCPRIM_400000_NS6detail30init_device_scan_by_key_kernelINS1_19lookback_scan_stateINS0_5tupleIJibEEELb0ELb1EEEN6thrust23THRUST_200600_302600_NS6detail15normal_iteratorINS8_10device_ptrIsEEEEjNS1_16block_id_wrapperIjLb0EEEEEvT_jjPNSG_10value_typeET0_PNSt15iterator_traitsISJ_E10value_typeEmT1_T2_,@function
_ZN7rocprim17ROCPRIM_400000_NS6detail30init_device_scan_by_key_kernelINS1_19lookback_scan_stateINS0_5tupleIJibEEELb0ELb1EEEN6thrust23THRUST_200600_302600_NS6detail15normal_iteratorINS8_10device_ptrIsEEEEjNS1_16block_id_wrapperIjLb0EEEEEvT_jjPNSG_10value_typeET0_PNSt15iterator_traitsISJ_E10value_typeEmT1_T2_: ; @_ZN7rocprim17ROCPRIM_400000_NS6detail30init_device_scan_by_key_kernelINS1_19lookback_scan_stateINS0_5tupleIJibEEELb0ELb1EEEN6thrust23THRUST_200600_302600_NS6detail15normal_iteratorINS8_10device_ptrIsEEEEjNS1_16block_id_wrapperIjLb0EEEEEvT_jjPNSG_10value_typeET0_PNSt15iterator_traitsISJ_E10value_typeEmT1_T2_
; %bb.0:
	s_load_dword s0, s[4:5], 0x44
	s_load_dwordx8 s[8:15], s[4:5], 0x0
	s_load_dword s18, s[4:5], 0x38
	s_waitcnt lgkmcnt(0)
	s_and_b32 s19, s0, 0xffff
	s_mul_i32 s6, s6, s19
	s_cmp_eq_u64 s[12:13], 0
	v_add_u32_e32 v4, s6, v0
	s_cbranch_scc1 .LBB1041_8
; %bb.1:
	s_cmp_lt_u32 s11, s10
	s_cselect_b32 s0, s11, 0
	s_mov_b32 s3, 0
	v_cmp_eq_u32_e32 vcc, s0, v4
	s_and_saveexec_b64 s[0:1], vcc
	s_cbranch_execz .LBB1041_7
; %bb.2:
	s_add_i32 s2, s11, 64
	s_lshl_b64 s[2:3], s[2:3], 4
	s_add_u32 s16, s8, s2
	s_addc_u32 s17, s9, s3
	v_pk_mov_b32 v[0:1], s[16:17], s[16:17] op_sel:[0,1]
	;;#ASMSTART
	global_load_dwordx4 v[0:3], v[0:1] off glc	
s_waitcnt vmcnt(0)
	;;#ASMEND
	v_mov_b32_e32 v7, 0
	v_and_b32_e32 v6, 0xff, v2
	s_mov_b64 s[6:7], 0
	v_cmp_eq_u64_e32 vcc, 0, v[6:7]
	s_and_saveexec_b64 s[2:3], vcc
	s_cbranch_execz .LBB1041_6
; %bb.3:
	v_pk_mov_b32 v[8:9], s[16:17], s[16:17] op_sel:[0,1]
.LBB1041_4:                             ; =>This Inner Loop Header: Depth=1
	;;#ASMSTART
	global_load_dwordx4 v[0:3], v[8:9] off glc	
s_waitcnt vmcnt(0)
	;;#ASMEND
	v_and_b32_e32 v6, 0xff, v2
	v_cmp_ne_u64_e32 vcc, 0, v[6:7]
	s_or_b64 s[6:7], vcc, s[6:7]
	s_andn2_b64 exec, exec, s[6:7]
	s_cbranch_execnz .LBB1041_4
; %bb.5:
	s_or_b64 exec, exec, s[6:7]
.LBB1041_6:
	s_or_b64 exec, exec, s[2:3]
	v_mov_b32_e32 v2, 0
	global_store_dword v2, v0, s[12:13]
	global_store_byte v2, v1, s[12:13] offset:4
.LBB1041_7:
	s_or_b64 exec, exec, s[0:1]
.LBB1041_8:
	v_cmp_gt_u32_e32 vcc, s10, v4
	s_and_saveexec_b64 s[0:1], vcc
	s_cbranch_execz .LBB1041_10
; %bb.9:
	v_add_u32_e32 v0, 64, v4
	v_mov_b32_e32 v1, 0
	v_lshlrev_b64 v[2:3], 4, v[0:1]
	v_mov_b32_e32 v0, s9
	v_add_co_u32_e32 v6, vcc, s8, v2
	v_addc_co_u32_e32 v7, vcc, v0, v3, vcc
	v_mov_b32_e32 v0, v1
	v_mov_b32_e32 v2, v1
	;; [unrolled: 1-line block ×3, first 2 shown]
	global_store_dwordx4 v[6:7], v[0:3], off
.LBB1041_10:
	s_or_b64 exec, exec, s[0:1]
	v_cmp_gt_u32_e32 vcc, 64, v4
	v_mov_b32_e32 v5, 0
	s_and_saveexec_b64 s[0:1], vcc
	s_cbranch_execz .LBB1041_12
; %bb.11:
	v_lshlrev_b64 v[0:1], 4, v[4:5]
	v_mov_b32_e32 v2, s9
	v_add_co_u32_e32 v6, vcc, s8, v0
	v_addc_co_u32_e32 v7, vcc, v2, v1, vcc
	v_mov_b32_e32 v2, 0xff
	v_mov_b32_e32 v0, v5
	;; [unrolled: 1-line block ×4, first 2 shown]
	global_store_dwordx4 v[6:7], v[0:3], off
.LBB1041_12:
	s_or_b64 exec, exec, s[0:1]
	s_load_dwordx2 s[0:1], s[4:5], 0x28
	s_waitcnt lgkmcnt(0)
	v_cmp_gt_u64_e32 vcc, s[0:1], v[4:5]
	s_and_saveexec_b64 s[2:3], vcc
	s_cbranch_execz .LBB1041_15
; %bb.13:
	s_load_dword s10, s[4:5], 0x30
	s_load_dwordx2 s[6:7], s[4:5], 0x20
	s_mov_b32 s5, 0
	s_mov_b32 s3, s5
	s_mul_i32 s2, s18, s19
	s_waitcnt lgkmcnt(0)
	s_add_i32 s4, s10, -1
	s_lshl_b64 s[4:5], s[4:5], 1
	v_mad_u64_u32 v[0:1], s[8:9], s10, v4, 0
	s_add_u32 s4, s14, s4
	v_lshlrev_b64 v[0:1], 1, v[0:1]
	s_addc_u32 s5, s15, s5
	v_mov_b32_e32 v2, s5
	v_add_co_u32_e32 v0, vcc, s4, v0
	v_addc_co_u32_e32 v1, vcc, v2, v1, vcc
	s_mul_hi_u32 s5, s10, s2
	s_mul_i32 s4, s10, s2
	v_lshlrev_b64 v[2:3], 1, v[4:5]
	s_lshl_b64 s[4:5], s[4:5], 1
	v_mov_b32_e32 v6, s7
	v_add_co_u32_e32 v2, vcc, s6, v2
	s_lshl_b64 s[6:7], s[2:3], 1
	v_addc_co_u32_e32 v3, vcc, v6, v3, vcc
	s_mov_b64 s[8:9], 0
	v_mov_b32_e32 v6, s3
	v_mov_b32_e32 v7, s5
	;; [unrolled: 1-line block ×3, first 2 shown]
.LBB1041_14:                            ; =>This Inner Loop Header: Depth=1
	global_load_ushort v9, v[0:1], off
	v_add_co_u32_e32 v4, vcc, s2, v4
	v_addc_co_u32_e32 v5, vcc, v5, v6, vcc
	v_add_co_u32_e32 v0, vcc, s4, v0
	v_addc_co_u32_e32 v1, vcc, v1, v7, vcc
	v_cmp_le_u64_e32 vcc, s[0:1], v[4:5]
	s_or_b64 s[8:9], vcc, s[8:9]
	s_waitcnt vmcnt(0)
	global_store_short v[2:3], v9, off
	v_add_co_u32_e32 v2, vcc, s6, v2
	v_addc_co_u32_e32 v3, vcc, v3, v8, vcc
	s_andn2_b64 exec, exec, s[8:9]
	s_cbranch_execnz .LBB1041_14
.LBB1041_15:
	s_endpgm
	.section	.rodata,"a",@progbits
	.p2align	6, 0x0
	.amdhsa_kernel _ZN7rocprim17ROCPRIM_400000_NS6detail30init_device_scan_by_key_kernelINS1_19lookback_scan_stateINS0_5tupleIJibEEELb0ELb1EEEN6thrust23THRUST_200600_302600_NS6detail15normal_iteratorINS8_10device_ptrIsEEEEjNS1_16block_id_wrapperIjLb0EEEEEvT_jjPNSG_10value_typeET0_PNSt15iterator_traitsISJ_E10value_typeEmT1_T2_
		.amdhsa_group_segment_fixed_size 0
		.amdhsa_private_segment_fixed_size 0
		.amdhsa_kernarg_size 312
		.amdhsa_user_sgpr_count 6
		.amdhsa_user_sgpr_private_segment_buffer 1
		.amdhsa_user_sgpr_dispatch_ptr 0
		.amdhsa_user_sgpr_queue_ptr 0
		.amdhsa_user_sgpr_kernarg_segment_ptr 1
		.amdhsa_user_sgpr_dispatch_id 0
		.amdhsa_user_sgpr_flat_scratch_init 0
		.amdhsa_user_sgpr_kernarg_preload_length 0
		.amdhsa_user_sgpr_kernarg_preload_offset 0
		.amdhsa_user_sgpr_private_segment_size 0
		.amdhsa_uses_dynamic_stack 0
		.amdhsa_system_sgpr_private_segment_wavefront_offset 0
		.amdhsa_system_sgpr_workgroup_id_x 1
		.amdhsa_system_sgpr_workgroup_id_y 0
		.amdhsa_system_sgpr_workgroup_id_z 0
		.amdhsa_system_sgpr_workgroup_info 0
		.amdhsa_system_vgpr_workitem_id 0
		.amdhsa_next_free_vgpr 10
		.amdhsa_next_free_sgpr 20
		.amdhsa_accum_offset 12
		.amdhsa_reserve_vcc 1
		.amdhsa_reserve_flat_scratch 0
		.amdhsa_float_round_mode_32 0
		.amdhsa_float_round_mode_16_64 0
		.amdhsa_float_denorm_mode_32 3
		.amdhsa_float_denorm_mode_16_64 3
		.amdhsa_dx10_clamp 1
		.amdhsa_ieee_mode 1
		.amdhsa_fp16_overflow 0
		.amdhsa_tg_split 0
		.amdhsa_exception_fp_ieee_invalid_op 0
		.amdhsa_exception_fp_denorm_src 0
		.amdhsa_exception_fp_ieee_div_zero 0
		.amdhsa_exception_fp_ieee_overflow 0
		.amdhsa_exception_fp_ieee_underflow 0
		.amdhsa_exception_fp_ieee_inexact 0
		.amdhsa_exception_int_div_zero 0
	.end_amdhsa_kernel
	.section	.text._ZN7rocprim17ROCPRIM_400000_NS6detail30init_device_scan_by_key_kernelINS1_19lookback_scan_stateINS0_5tupleIJibEEELb0ELb1EEEN6thrust23THRUST_200600_302600_NS6detail15normal_iteratorINS8_10device_ptrIsEEEEjNS1_16block_id_wrapperIjLb0EEEEEvT_jjPNSG_10value_typeET0_PNSt15iterator_traitsISJ_E10value_typeEmT1_T2_,"axG",@progbits,_ZN7rocprim17ROCPRIM_400000_NS6detail30init_device_scan_by_key_kernelINS1_19lookback_scan_stateINS0_5tupleIJibEEELb0ELb1EEEN6thrust23THRUST_200600_302600_NS6detail15normal_iteratorINS8_10device_ptrIsEEEEjNS1_16block_id_wrapperIjLb0EEEEEvT_jjPNSG_10value_typeET0_PNSt15iterator_traitsISJ_E10value_typeEmT1_T2_,comdat
.Lfunc_end1041:
	.size	_ZN7rocprim17ROCPRIM_400000_NS6detail30init_device_scan_by_key_kernelINS1_19lookback_scan_stateINS0_5tupleIJibEEELb0ELb1EEEN6thrust23THRUST_200600_302600_NS6detail15normal_iteratorINS8_10device_ptrIsEEEEjNS1_16block_id_wrapperIjLb0EEEEEvT_jjPNSG_10value_typeET0_PNSt15iterator_traitsISJ_E10value_typeEmT1_T2_, .Lfunc_end1041-_ZN7rocprim17ROCPRIM_400000_NS6detail30init_device_scan_by_key_kernelINS1_19lookback_scan_stateINS0_5tupleIJibEEELb0ELb1EEEN6thrust23THRUST_200600_302600_NS6detail15normal_iteratorINS8_10device_ptrIsEEEEjNS1_16block_id_wrapperIjLb0EEEEEvT_jjPNSG_10value_typeET0_PNSt15iterator_traitsISJ_E10value_typeEmT1_T2_
                                        ; -- End function
	.section	.AMDGPU.csdata,"",@progbits
; Kernel info:
; codeLenInByte = 572
; NumSgprs: 24
; NumVgprs: 10
; NumAgprs: 0
; TotalNumVgprs: 10
; ScratchSize: 0
; MemoryBound: 0
; FloatMode: 240
; IeeeMode: 1
; LDSByteSize: 0 bytes/workgroup (compile time only)
; SGPRBlocks: 2
; VGPRBlocks: 1
; NumSGPRsForWavesPerEU: 24
; NumVGPRsForWavesPerEU: 10
; AccumOffset: 12
; Occupancy: 8
; WaveLimiterHint : 0
; COMPUTE_PGM_RSRC2:SCRATCH_EN: 0
; COMPUTE_PGM_RSRC2:USER_SGPR: 6
; COMPUTE_PGM_RSRC2:TRAP_HANDLER: 0
; COMPUTE_PGM_RSRC2:TGID_X_EN: 1
; COMPUTE_PGM_RSRC2:TGID_Y_EN: 0
; COMPUTE_PGM_RSRC2:TGID_Z_EN: 0
; COMPUTE_PGM_RSRC2:TIDIG_COMP_CNT: 0
; COMPUTE_PGM_RSRC3_GFX90A:ACCUM_OFFSET: 2
; COMPUTE_PGM_RSRC3_GFX90A:TG_SPLIT: 0
	.section	.text._ZN7rocprim17ROCPRIM_400000_NS6detail17trampoline_kernelINS0_14default_configENS1_27scan_by_key_config_selectorIsiEEZZNS1_16scan_by_key_implILNS1_25lookback_scan_determinismE0ELb1ES3_N6thrust23THRUST_200600_302600_NS6detail15normal_iteratorINS9_10device_ptrIsEEEESE_SE_iNS9_4plusIvEENS9_8equal_toIvEEiEE10hipError_tPvRmT2_T3_T4_T5_mT6_T7_P12ihipStream_tbENKUlT_T0_E_clISt17integral_constantIbLb0EESZ_EEDaSU_SV_EUlSU_E_NS1_11comp_targetILNS1_3genE0ELNS1_11target_archE4294967295ELNS1_3gpuE0ELNS1_3repE0EEENS1_30default_config_static_selectorELNS0_4arch9wavefront6targetE1EEEvT1_,"axG",@progbits,_ZN7rocprim17ROCPRIM_400000_NS6detail17trampoline_kernelINS0_14default_configENS1_27scan_by_key_config_selectorIsiEEZZNS1_16scan_by_key_implILNS1_25lookback_scan_determinismE0ELb1ES3_N6thrust23THRUST_200600_302600_NS6detail15normal_iteratorINS9_10device_ptrIsEEEESE_SE_iNS9_4plusIvEENS9_8equal_toIvEEiEE10hipError_tPvRmT2_T3_T4_T5_mT6_T7_P12ihipStream_tbENKUlT_T0_E_clISt17integral_constantIbLb0EESZ_EEDaSU_SV_EUlSU_E_NS1_11comp_targetILNS1_3genE0ELNS1_11target_archE4294967295ELNS1_3gpuE0ELNS1_3repE0EEENS1_30default_config_static_selectorELNS0_4arch9wavefront6targetE1EEEvT1_,comdat
	.protected	_ZN7rocprim17ROCPRIM_400000_NS6detail17trampoline_kernelINS0_14default_configENS1_27scan_by_key_config_selectorIsiEEZZNS1_16scan_by_key_implILNS1_25lookback_scan_determinismE0ELb1ES3_N6thrust23THRUST_200600_302600_NS6detail15normal_iteratorINS9_10device_ptrIsEEEESE_SE_iNS9_4plusIvEENS9_8equal_toIvEEiEE10hipError_tPvRmT2_T3_T4_T5_mT6_T7_P12ihipStream_tbENKUlT_T0_E_clISt17integral_constantIbLb0EESZ_EEDaSU_SV_EUlSU_E_NS1_11comp_targetILNS1_3genE0ELNS1_11target_archE4294967295ELNS1_3gpuE0ELNS1_3repE0EEENS1_30default_config_static_selectorELNS0_4arch9wavefront6targetE1EEEvT1_ ; -- Begin function _ZN7rocprim17ROCPRIM_400000_NS6detail17trampoline_kernelINS0_14default_configENS1_27scan_by_key_config_selectorIsiEEZZNS1_16scan_by_key_implILNS1_25lookback_scan_determinismE0ELb1ES3_N6thrust23THRUST_200600_302600_NS6detail15normal_iteratorINS9_10device_ptrIsEEEESE_SE_iNS9_4plusIvEENS9_8equal_toIvEEiEE10hipError_tPvRmT2_T3_T4_T5_mT6_T7_P12ihipStream_tbENKUlT_T0_E_clISt17integral_constantIbLb0EESZ_EEDaSU_SV_EUlSU_E_NS1_11comp_targetILNS1_3genE0ELNS1_11target_archE4294967295ELNS1_3gpuE0ELNS1_3repE0EEENS1_30default_config_static_selectorELNS0_4arch9wavefront6targetE1EEEvT1_
	.globl	_ZN7rocprim17ROCPRIM_400000_NS6detail17trampoline_kernelINS0_14default_configENS1_27scan_by_key_config_selectorIsiEEZZNS1_16scan_by_key_implILNS1_25lookback_scan_determinismE0ELb1ES3_N6thrust23THRUST_200600_302600_NS6detail15normal_iteratorINS9_10device_ptrIsEEEESE_SE_iNS9_4plusIvEENS9_8equal_toIvEEiEE10hipError_tPvRmT2_T3_T4_T5_mT6_T7_P12ihipStream_tbENKUlT_T0_E_clISt17integral_constantIbLb0EESZ_EEDaSU_SV_EUlSU_E_NS1_11comp_targetILNS1_3genE0ELNS1_11target_archE4294967295ELNS1_3gpuE0ELNS1_3repE0EEENS1_30default_config_static_selectorELNS0_4arch9wavefront6targetE1EEEvT1_
	.p2align	8
	.type	_ZN7rocprim17ROCPRIM_400000_NS6detail17trampoline_kernelINS0_14default_configENS1_27scan_by_key_config_selectorIsiEEZZNS1_16scan_by_key_implILNS1_25lookback_scan_determinismE0ELb1ES3_N6thrust23THRUST_200600_302600_NS6detail15normal_iteratorINS9_10device_ptrIsEEEESE_SE_iNS9_4plusIvEENS9_8equal_toIvEEiEE10hipError_tPvRmT2_T3_T4_T5_mT6_T7_P12ihipStream_tbENKUlT_T0_E_clISt17integral_constantIbLb0EESZ_EEDaSU_SV_EUlSU_E_NS1_11comp_targetILNS1_3genE0ELNS1_11target_archE4294967295ELNS1_3gpuE0ELNS1_3repE0EEENS1_30default_config_static_selectorELNS0_4arch9wavefront6targetE1EEEvT1_,@function
_ZN7rocprim17ROCPRIM_400000_NS6detail17trampoline_kernelINS0_14default_configENS1_27scan_by_key_config_selectorIsiEEZZNS1_16scan_by_key_implILNS1_25lookback_scan_determinismE0ELb1ES3_N6thrust23THRUST_200600_302600_NS6detail15normal_iteratorINS9_10device_ptrIsEEEESE_SE_iNS9_4plusIvEENS9_8equal_toIvEEiEE10hipError_tPvRmT2_T3_T4_T5_mT6_T7_P12ihipStream_tbENKUlT_T0_E_clISt17integral_constantIbLb0EESZ_EEDaSU_SV_EUlSU_E_NS1_11comp_targetILNS1_3genE0ELNS1_11target_archE4294967295ELNS1_3gpuE0ELNS1_3repE0EEENS1_30default_config_static_selectorELNS0_4arch9wavefront6targetE1EEEvT1_: ; @_ZN7rocprim17ROCPRIM_400000_NS6detail17trampoline_kernelINS0_14default_configENS1_27scan_by_key_config_selectorIsiEEZZNS1_16scan_by_key_implILNS1_25lookback_scan_determinismE0ELb1ES3_N6thrust23THRUST_200600_302600_NS6detail15normal_iteratorINS9_10device_ptrIsEEEESE_SE_iNS9_4plusIvEENS9_8equal_toIvEEiEE10hipError_tPvRmT2_T3_T4_T5_mT6_T7_P12ihipStream_tbENKUlT_T0_E_clISt17integral_constantIbLb0EESZ_EEDaSU_SV_EUlSU_E_NS1_11comp_targetILNS1_3genE0ELNS1_11target_archE4294967295ELNS1_3gpuE0ELNS1_3repE0EEENS1_30default_config_static_selectorELNS0_4arch9wavefront6targetE1EEEvT1_
; %bb.0:
	.section	.rodata,"a",@progbits
	.p2align	6, 0x0
	.amdhsa_kernel _ZN7rocprim17ROCPRIM_400000_NS6detail17trampoline_kernelINS0_14default_configENS1_27scan_by_key_config_selectorIsiEEZZNS1_16scan_by_key_implILNS1_25lookback_scan_determinismE0ELb1ES3_N6thrust23THRUST_200600_302600_NS6detail15normal_iteratorINS9_10device_ptrIsEEEESE_SE_iNS9_4plusIvEENS9_8equal_toIvEEiEE10hipError_tPvRmT2_T3_T4_T5_mT6_T7_P12ihipStream_tbENKUlT_T0_E_clISt17integral_constantIbLb0EESZ_EEDaSU_SV_EUlSU_E_NS1_11comp_targetILNS1_3genE0ELNS1_11target_archE4294967295ELNS1_3gpuE0ELNS1_3repE0EEENS1_30default_config_static_selectorELNS0_4arch9wavefront6targetE1EEEvT1_
		.amdhsa_group_segment_fixed_size 0
		.amdhsa_private_segment_fixed_size 0
		.amdhsa_kernarg_size 112
		.amdhsa_user_sgpr_count 6
		.amdhsa_user_sgpr_private_segment_buffer 1
		.amdhsa_user_sgpr_dispatch_ptr 0
		.amdhsa_user_sgpr_queue_ptr 0
		.amdhsa_user_sgpr_kernarg_segment_ptr 1
		.amdhsa_user_sgpr_dispatch_id 0
		.amdhsa_user_sgpr_flat_scratch_init 0
		.amdhsa_user_sgpr_kernarg_preload_length 0
		.amdhsa_user_sgpr_kernarg_preload_offset 0
		.amdhsa_user_sgpr_private_segment_size 0
		.amdhsa_uses_dynamic_stack 0
		.amdhsa_system_sgpr_private_segment_wavefront_offset 0
		.amdhsa_system_sgpr_workgroup_id_x 1
		.amdhsa_system_sgpr_workgroup_id_y 0
		.amdhsa_system_sgpr_workgroup_id_z 0
		.amdhsa_system_sgpr_workgroup_info 0
		.amdhsa_system_vgpr_workitem_id 0
		.amdhsa_next_free_vgpr 1
		.amdhsa_next_free_sgpr 0
		.amdhsa_accum_offset 4
		.amdhsa_reserve_vcc 0
		.amdhsa_reserve_flat_scratch 0
		.amdhsa_float_round_mode_32 0
		.amdhsa_float_round_mode_16_64 0
		.amdhsa_float_denorm_mode_32 3
		.amdhsa_float_denorm_mode_16_64 3
		.amdhsa_dx10_clamp 1
		.amdhsa_ieee_mode 1
		.amdhsa_fp16_overflow 0
		.amdhsa_tg_split 0
		.amdhsa_exception_fp_ieee_invalid_op 0
		.amdhsa_exception_fp_denorm_src 0
		.amdhsa_exception_fp_ieee_div_zero 0
		.amdhsa_exception_fp_ieee_overflow 0
		.amdhsa_exception_fp_ieee_underflow 0
		.amdhsa_exception_fp_ieee_inexact 0
		.amdhsa_exception_int_div_zero 0
	.end_amdhsa_kernel
	.section	.text._ZN7rocprim17ROCPRIM_400000_NS6detail17trampoline_kernelINS0_14default_configENS1_27scan_by_key_config_selectorIsiEEZZNS1_16scan_by_key_implILNS1_25lookback_scan_determinismE0ELb1ES3_N6thrust23THRUST_200600_302600_NS6detail15normal_iteratorINS9_10device_ptrIsEEEESE_SE_iNS9_4plusIvEENS9_8equal_toIvEEiEE10hipError_tPvRmT2_T3_T4_T5_mT6_T7_P12ihipStream_tbENKUlT_T0_E_clISt17integral_constantIbLb0EESZ_EEDaSU_SV_EUlSU_E_NS1_11comp_targetILNS1_3genE0ELNS1_11target_archE4294967295ELNS1_3gpuE0ELNS1_3repE0EEENS1_30default_config_static_selectorELNS0_4arch9wavefront6targetE1EEEvT1_,"axG",@progbits,_ZN7rocprim17ROCPRIM_400000_NS6detail17trampoline_kernelINS0_14default_configENS1_27scan_by_key_config_selectorIsiEEZZNS1_16scan_by_key_implILNS1_25lookback_scan_determinismE0ELb1ES3_N6thrust23THRUST_200600_302600_NS6detail15normal_iteratorINS9_10device_ptrIsEEEESE_SE_iNS9_4plusIvEENS9_8equal_toIvEEiEE10hipError_tPvRmT2_T3_T4_T5_mT6_T7_P12ihipStream_tbENKUlT_T0_E_clISt17integral_constantIbLb0EESZ_EEDaSU_SV_EUlSU_E_NS1_11comp_targetILNS1_3genE0ELNS1_11target_archE4294967295ELNS1_3gpuE0ELNS1_3repE0EEENS1_30default_config_static_selectorELNS0_4arch9wavefront6targetE1EEEvT1_,comdat
.Lfunc_end1042:
	.size	_ZN7rocprim17ROCPRIM_400000_NS6detail17trampoline_kernelINS0_14default_configENS1_27scan_by_key_config_selectorIsiEEZZNS1_16scan_by_key_implILNS1_25lookback_scan_determinismE0ELb1ES3_N6thrust23THRUST_200600_302600_NS6detail15normal_iteratorINS9_10device_ptrIsEEEESE_SE_iNS9_4plusIvEENS9_8equal_toIvEEiEE10hipError_tPvRmT2_T3_T4_T5_mT6_T7_P12ihipStream_tbENKUlT_T0_E_clISt17integral_constantIbLb0EESZ_EEDaSU_SV_EUlSU_E_NS1_11comp_targetILNS1_3genE0ELNS1_11target_archE4294967295ELNS1_3gpuE0ELNS1_3repE0EEENS1_30default_config_static_selectorELNS0_4arch9wavefront6targetE1EEEvT1_, .Lfunc_end1042-_ZN7rocprim17ROCPRIM_400000_NS6detail17trampoline_kernelINS0_14default_configENS1_27scan_by_key_config_selectorIsiEEZZNS1_16scan_by_key_implILNS1_25lookback_scan_determinismE0ELb1ES3_N6thrust23THRUST_200600_302600_NS6detail15normal_iteratorINS9_10device_ptrIsEEEESE_SE_iNS9_4plusIvEENS9_8equal_toIvEEiEE10hipError_tPvRmT2_T3_T4_T5_mT6_T7_P12ihipStream_tbENKUlT_T0_E_clISt17integral_constantIbLb0EESZ_EEDaSU_SV_EUlSU_E_NS1_11comp_targetILNS1_3genE0ELNS1_11target_archE4294967295ELNS1_3gpuE0ELNS1_3repE0EEENS1_30default_config_static_selectorELNS0_4arch9wavefront6targetE1EEEvT1_
                                        ; -- End function
	.section	.AMDGPU.csdata,"",@progbits
; Kernel info:
; codeLenInByte = 0
; NumSgprs: 4
; NumVgprs: 0
; NumAgprs: 0
; TotalNumVgprs: 0
; ScratchSize: 0
; MemoryBound: 0
; FloatMode: 240
; IeeeMode: 1
; LDSByteSize: 0 bytes/workgroup (compile time only)
; SGPRBlocks: 0
; VGPRBlocks: 0
; NumSGPRsForWavesPerEU: 4
; NumVGPRsForWavesPerEU: 1
; AccumOffset: 4
; Occupancy: 8
; WaveLimiterHint : 0
; COMPUTE_PGM_RSRC2:SCRATCH_EN: 0
; COMPUTE_PGM_RSRC2:USER_SGPR: 6
; COMPUTE_PGM_RSRC2:TRAP_HANDLER: 0
; COMPUTE_PGM_RSRC2:TGID_X_EN: 1
; COMPUTE_PGM_RSRC2:TGID_Y_EN: 0
; COMPUTE_PGM_RSRC2:TGID_Z_EN: 0
; COMPUTE_PGM_RSRC2:TIDIG_COMP_CNT: 0
; COMPUTE_PGM_RSRC3_GFX90A:ACCUM_OFFSET: 0
; COMPUTE_PGM_RSRC3_GFX90A:TG_SPLIT: 0
	.section	.text._ZN7rocprim17ROCPRIM_400000_NS6detail17trampoline_kernelINS0_14default_configENS1_27scan_by_key_config_selectorIsiEEZZNS1_16scan_by_key_implILNS1_25lookback_scan_determinismE0ELb1ES3_N6thrust23THRUST_200600_302600_NS6detail15normal_iteratorINS9_10device_ptrIsEEEESE_SE_iNS9_4plusIvEENS9_8equal_toIvEEiEE10hipError_tPvRmT2_T3_T4_T5_mT6_T7_P12ihipStream_tbENKUlT_T0_E_clISt17integral_constantIbLb0EESZ_EEDaSU_SV_EUlSU_E_NS1_11comp_targetILNS1_3genE10ELNS1_11target_archE1201ELNS1_3gpuE5ELNS1_3repE0EEENS1_30default_config_static_selectorELNS0_4arch9wavefront6targetE1EEEvT1_,"axG",@progbits,_ZN7rocprim17ROCPRIM_400000_NS6detail17trampoline_kernelINS0_14default_configENS1_27scan_by_key_config_selectorIsiEEZZNS1_16scan_by_key_implILNS1_25lookback_scan_determinismE0ELb1ES3_N6thrust23THRUST_200600_302600_NS6detail15normal_iteratorINS9_10device_ptrIsEEEESE_SE_iNS9_4plusIvEENS9_8equal_toIvEEiEE10hipError_tPvRmT2_T3_T4_T5_mT6_T7_P12ihipStream_tbENKUlT_T0_E_clISt17integral_constantIbLb0EESZ_EEDaSU_SV_EUlSU_E_NS1_11comp_targetILNS1_3genE10ELNS1_11target_archE1201ELNS1_3gpuE5ELNS1_3repE0EEENS1_30default_config_static_selectorELNS0_4arch9wavefront6targetE1EEEvT1_,comdat
	.protected	_ZN7rocprim17ROCPRIM_400000_NS6detail17trampoline_kernelINS0_14default_configENS1_27scan_by_key_config_selectorIsiEEZZNS1_16scan_by_key_implILNS1_25lookback_scan_determinismE0ELb1ES3_N6thrust23THRUST_200600_302600_NS6detail15normal_iteratorINS9_10device_ptrIsEEEESE_SE_iNS9_4plusIvEENS9_8equal_toIvEEiEE10hipError_tPvRmT2_T3_T4_T5_mT6_T7_P12ihipStream_tbENKUlT_T0_E_clISt17integral_constantIbLb0EESZ_EEDaSU_SV_EUlSU_E_NS1_11comp_targetILNS1_3genE10ELNS1_11target_archE1201ELNS1_3gpuE5ELNS1_3repE0EEENS1_30default_config_static_selectorELNS0_4arch9wavefront6targetE1EEEvT1_ ; -- Begin function _ZN7rocprim17ROCPRIM_400000_NS6detail17trampoline_kernelINS0_14default_configENS1_27scan_by_key_config_selectorIsiEEZZNS1_16scan_by_key_implILNS1_25lookback_scan_determinismE0ELb1ES3_N6thrust23THRUST_200600_302600_NS6detail15normal_iteratorINS9_10device_ptrIsEEEESE_SE_iNS9_4plusIvEENS9_8equal_toIvEEiEE10hipError_tPvRmT2_T3_T4_T5_mT6_T7_P12ihipStream_tbENKUlT_T0_E_clISt17integral_constantIbLb0EESZ_EEDaSU_SV_EUlSU_E_NS1_11comp_targetILNS1_3genE10ELNS1_11target_archE1201ELNS1_3gpuE5ELNS1_3repE0EEENS1_30default_config_static_selectorELNS0_4arch9wavefront6targetE1EEEvT1_
	.globl	_ZN7rocprim17ROCPRIM_400000_NS6detail17trampoline_kernelINS0_14default_configENS1_27scan_by_key_config_selectorIsiEEZZNS1_16scan_by_key_implILNS1_25lookback_scan_determinismE0ELb1ES3_N6thrust23THRUST_200600_302600_NS6detail15normal_iteratorINS9_10device_ptrIsEEEESE_SE_iNS9_4plusIvEENS9_8equal_toIvEEiEE10hipError_tPvRmT2_T3_T4_T5_mT6_T7_P12ihipStream_tbENKUlT_T0_E_clISt17integral_constantIbLb0EESZ_EEDaSU_SV_EUlSU_E_NS1_11comp_targetILNS1_3genE10ELNS1_11target_archE1201ELNS1_3gpuE5ELNS1_3repE0EEENS1_30default_config_static_selectorELNS0_4arch9wavefront6targetE1EEEvT1_
	.p2align	8
	.type	_ZN7rocprim17ROCPRIM_400000_NS6detail17trampoline_kernelINS0_14default_configENS1_27scan_by_key_config_selectorIsiEEZZNS1_16scan_by_key_implILNS1_25lookback_scan_determinismE0ELb1ES3_N6thrust23THRUST_200600_302600_NS6detail15normal_iteratorINS9_10device_ptrIsEEEESE_SE_iNS9_4plusIvEENS9_8equal_toIvEEiEE10hipError_tPvRmT2_T3_T4_T5_mT6_T7_P12ihipStream_tbENKUlT_T0_E_clISt17integral_constantIbLb0EESZ_EEDaSU_SV_EUlSU_E_NS1_11comp_targetILNS1_3genE10ELNS1_11target_archE1201ELNS1_3gpuE5ELNS1_3repE0EEENS1_30default_config_static_selectorELNS0_4arch9wavefront6targetE1EEEvT1_,@function
_ZN7rocprim17ROCPRIM_400000_NS6detail17trampoline_kernelINS0_14default_configENS1_27scan_by_key_config_selectorIsiEEZZNS1_16scan_by_key_implILNS1_25lookback_scan_determinismE0ELb1ES3_N6thrust23THRUST_200600_302600_NS6detail15normal_iteratorINS9_10device_ptrIsEEEESE_SE_iNS9_4plusIvEENS9_8equal_toIvEEiEE10hipError_tPvRmT2_T3_T4_T5_mT6_T7_P12ihipStream_tbENKUlT_T0_E_clISt17integral_constantIbLb0EESZ_EEDaSU_SV_EUlSU_E_NS1_11comp_targetILNS1_3genE10ELNS1_11target_archE1201ELNS1_3gpuE5ELNS1_3repE0EEENS1_30default_config_static_selectorELNS0_4arch9wavefront6targetE1EEEvT1_: ; @_ZN7rocprim17ROCPRIM_400000_NS6detail17trampoline_kernelINS0_14default_configENS1_27scan_by_key_config_selectorIsiEEZZNS1_16scan_by_key_implILNS1_25lookback_scan_determinismE0ELb1ES3_N6thrust23THRUST_200600_302600_NS6detail15normal_iteratorINS9_10device_ptrIsEEEESE_SE_iNS9_4plusIvEENS9_8equal_toIvEEiEE10hipError_tPvRmT2_T3_T4_T5_mT6_T7_P12ihipStream_tbENKUlT_T0_E_clISt17integral_constantIbLb0EESZ_EEDaSU_SV_EUlSU_E_NS1_11comp_targetILNS1_3genE10ELNS1_11target_archE1201ELNS1_3gpuE5ELNS1_3repE0EEENS1_30default_config_static_selectorELNS0_4arch9wavefront6targetE1EEEvT1_
; %bb.0:
	.section	.rodata,"a",@progbits
	.p2align	6, 0x0
	.amdhsa_kernel _ZN7rocprim17ROCPRIM_400000_NS6detail17trampoline_kernelINS0_14default_configENS1_27scan_by_key_config_selectorIsiEEZZNS1_16scan_by_key_implILNS1_25lookback_scan_determinismE0ELb1ES3_N6thrust23THRUST_200600_302600_NS6detail15normal_iteratorINS9_10device_ptrIsEEEESE_SE_iNS9_4plusIvEENS9_8equal_toIvEEiEE10hipError_tPvRmT2_T3_T4_T5_mT6_T7_P12ihipStream_tbENKUlT_T0_E_clISt17integral_constantIbLb0EESZ_EEDaSU_SV_EUlSU_E_NS1_11comp_targetILNS1_3genE10ELNS1_11target_archE1201ELNS1_3gpuE5ELNS1_3repE0EEENS1_30default_config_static_selectorELNS0_4arch9wavefront6targetE1EEEvT1_
		.amdhsa_group_segment_fixed_size 0
		.amdhsa_private_segment_fixed_size 0
		.amdhsa_kernarg_size 112
		.amdhsa_user_sgpr_count 6
		.amdhsa_user_sgpr_private_segment_buffer 1
		.amdhsa_user_sgpr_dispatch_ptr 0
		.amdhsa_user_sgpr_queue_ptr 0
		.amdhsa_user_sgpr_kernarg_segment_ptr 1
		.amdhsa_user_sgpr_dispatch_id 0
		.amdhsa_user_sgpr_flat_scratch_init 0
		.amdhsa_user_sgpr_kernarg_preload_length 0
		.amdhsa_user_sgpr_kernarg_preload_offset 0
		.amdhsa_user_sgpr_private_segment_size 0
		.amdhsa_uses_dynamic_stack 0
		.amdhsa_system_sgpr_private_segment_wavefront_offset 0
		.amdhsa_system_sgpr_workgroup_id_x 1
		.amdhsa_system_sgpr_workgroup_id_y 0
		.amdhsa_system_sgpr_workgroup_id_z 0
		.amdhsa_system_sgpr_workgroup_info 0
		.amdhsa_system_vgpr_workitem_id 0
		.amdhsa_next_free_vgpr 1
		.amdhsa_next_free_sgpr 0
		.amdhsa_accum_offset 4
		.amdhsa_reserve_vcc 0
		.amdhsa_reserve_flat_scratch 0
		.amdhsa_float_round_mode_32 0
		.amdhsa_float_round_mode_16_64 0
		.amdhsa_float_denorm_mode_32 3
		.amdhsa_float_denorm_mode_16_64 3
		.amdhsa_dx10_clamp 1
		.amdhsa_ieee_mode 1
		.amdhsa_fp16_overflow 0
		.amdhsa_tg_split 0
		.amdhsa_exception_fp_ieee_invalid_op 0
		.amdhsa_exception_fp_denorm_src 0
		.amdhsa_exception_fp_ieee_div_zero 0
		.amdhsa_exception_fp_ieee_overflow 0
		.amdhsa_exception_fp_ieee_underflow 0
		.amdhsa_exception_fp_ieee_inexact 0
		.amdhsa_exception_int_div_zero 0
	.end_amdhsa_kernel
	.section	.text._ZN7rocprim17ROCPRIM_400000_NS6detail17trampoline_kernelINS0_14default_configENS1_27scan_by_key_config_selectorIsiEEZZNS1_16scan_by_key_implILNS1_25lookback_scan_determinismE0ELb1ES3_N6thrust23THRUST_200600_302600_NS6detail15normal_iteratorINS9_10device_ptrIsEEEESE_SE_iNS9_4plusIvEENS9_8equal_toIvEEiEE10hipError_tPvRmT2_T3_T4_T5_mT6_T7_P12ihipStream_tbENKUlT_T0_E_clISt17integral_constantIbLb0EESZ_EEDaSU_SV_EUlSU_E_NS1_11comp_targetILNS1_3genE10ELNS1_11target_archE1201ELNS1_3gpuE5ELNS1_3repE0EEENS1_30default_config_static_selectorELNS0_4arch9wavefront6targetE1EEEvT1_,"axG",@progbits,_ZN7rocprim17ROCPRIM_400000_NS6detail17trampoline_kernelINS0_14default_configENS1_27scan_by_key_config_selectorIsiEEZZNS1_16scan_by_key_implILNS1_25lookback_scan_determinismE0ELb1ES3_N6thrust23THRUST_200600_302600_NS6detail15normal_iteratorINS9_10device_ptrIsEEEESE_SE_iNS9_4plusIvEENS9_8equal_toIvEEiEE10hipError_tPvRmT2_T3_T4_T5_mT6_T7_P12ihipStream_tbENKUlT_T0_E_clISt17integral_constantIbLb0EESZ_EEDaSU_SV_EUlSU_E_NS1_11comp_targetILNS1_3genE10ELNS1_11target_archE1201ELNS1_3gpuE5ELNS1_3repE0EEENS1_30default_config_static_selectorELNS0_4arch9wavefront6targetE1EEEvT1_,comdat
.Lfunc_end1043:
	.size	_ZN7rocprim17ROCPRIM_400000_NS6detail17trampoline_kernelINS0_14default_configENS1_27scan_by_key_config_selectorIsiEEZZNS1_16scan_by_key_implILNS1_25lookback_scan_determinismE0ELb1ES3_N6thrust23THRUST_200600_302600_NS6detail15normal_iteratorINS9_10device_ptrIsEEEESE_SE_iNS9_4plusIvEENS9_8equal_toIvEEiEE10hipError_tPvRmT2_T3_T4_T5_mT6_T7_P12ihipStream_tbENKUlT_T0_E_clISt17integral_constantIbLb0EESZ_EEDaSU_SV_EUlSU_E_NS1_11comp_targetILNS1_3genE10ELNS1_11target_archE1201ELNS1_3gpuE5ELNS1_3repE0EEENS1_30default_config_static_selectorELNS0_4arch9wavefront6targetE1EEEvT1_, .Lfunc_end1043-_ZN7rocprim17ROCPRIM_400000_NS6detail17trampoline_kernelINS0_14default_configENS1_27scan_by_key_config_selectorIsiEEZZNS1_16scan_by_key_implILNS1_25lookback_scan_determinismE0ELb1ES3_N6thrust23THRUST_200600_302600_NS6detail15normal_iteratorINS9_10device_ptrIsEEEESE_SE_iNS9_4plusIvEENS9_8equal_toIvEEiEE10hipError_tPvRmT2_T3_T4_T5_mT6_T7_P12ihipStream_tbENKUlT_T0_E_clISt17integral_constantIbLb0EESZ_EEDaSU_SV_EUlSU_E_NS1_11comp_targetILNS1_3genE10ELNS1_11target_archE1201ELNS1_3gpuE5ELNS1_3repE0EEENS1_30default_config_static_selectorELNS0_4arch9wavefront6targetE1EEEvT1_
                                        ; -- End function
	.section	.AMDGPU.csdata,"",@progbits
; Kernel info:
; codeLenInByte = 0
; NumSgprs: 4
; NumVgprs: 0
; NumAgprs: 0
; TotalNumVgprs: 0
; ScratchSize: 0
; MemoryBound: 0
; FloatMode: 240
; IeeeMode: 1
; LDSByteSize: 0 bytes/workgroup (compile time only)
; SGPRBlocks: 0
; VGPRBlocks: 0
; NumSGPRsForWavesPerEU: 4
; NumVGPRsForWavesPerEU: 1
; AccumOffset: 4
; Occupancy: 8
; WaveLimiterHint : 0
; COMPUTE_PGM_RSRC2:SCRATCH_EN: 0
; COMPUTE_PGM_RSRC2:USER_SGPR: 6
; COMPUTE_PGM_RSRC2:TRAP_HANDLER: 0
; COMPUTE_PGM_RSRC2:TGID_X_EN: 1
; COMPUTE_PGM_RSRC2:TGID_Y_EN: 0
; COMPUTE_PGM_RSRC2:TGID_Z_EN: 0
; COMPUTE_PGM_RSRC2:TIDIG_COMP_CNT: 0
; COMPUTE_PGM_RSRC3_GFX90A:ACCUM_OFFSET: 0
; COMPUTE_PGM_RSRC3_GFX90A:TG_SPLIT: 0
	.section	.text._ZN7rocprim17ROCPRIM_400000_NS6detail17trampoline_kernelINS0_14default_configENS1_27scan_by_key_config_selectorIsiEEZZNS1_16scan_by_key_implILNS1_25lookback_scan_determinismE0ELb1ES3_N6thrust23THRUST_200600_302600_NS6detail15normal_iteratorINS9_10device_ptrIsEEEESE_SE_iNS9_4plusIvEENS9_8equal_toIvEEiEE10hipError_tPvRmT2_T3_T4_T5_mT6_T7_P12ihipStream_tbENKUlT_T0_E_clISt17integral_constantIbLb0EESZ_EEDaSU_SV_EUlSU_E_NS1_11comp_targetILNS1_3genE5ELNS1_11target_archE942ELNS1_3gpuE9ELNS1_3repE0EEENS1_30default_config_static_selectorELNS0_4arch9wavefront6targetE1EEEvT1_,"axG",@progbits,_ZN7rocprim17ROCPRIM_400000_NS6detail17trampoline_kernelINS0_14default_configENS1_27scan_by_key_config_selectorIsiEEZZNS1_16scan_by_key_implILNS1_25lookback_scan_determinismE0ELb1ES3_N6thrust23THRUST_200600_302600_NS6detail15normal_iteratorINS9_10device_ptrIsEEEESE_SE_iNS9_4plusIvEENS9_8equal_toIvEEiEE10hipError_tPvRmT2_T3_T4_T5_mT6_T7_P12ihipStream_tbENKUlT_T0_E_clISt17integral_constantIbLb0EESZ_EEDaSU_SV_EUlSU_E_NS1_11comp_targetILNS1_3genE5ELNS1_11target_archE942ELNS1_3gpuE9ELNS1_3repE0EEENS1_30default_config_static_selectorELNS0_4arch9wavefront6targetE1EEEvT1_,comdat
	.protected	_ZN7rocprim17ROCPRIM_400000_NS6detail17trampoline_kernelINS0_14default_configENS1_27scan_by_key_config_selectorIsiEEZZNS1_16scan_by_key_implILNS1_25lookback_scan_determinismE0ELb1ES3_N6thrust23THRUST_200600_302600_NS6detail15normal_iteratorINS9_10device_ptrIsEEEESE_SE_iNS9_4plusIvEENS9_8equal_toIvEEiEE10hipError_tPvRmT2_T3_T4_T5_mT6_T7_P12ihipStream_tbENKUlT_T0_E_clISt17integral_constantIbLb0EESZ_EEDaSU_SV_EUlSU_E_NS1_11comp_targetILNS1_3genE5ELNS1_11target_archE942ELNS1_3gpuE9ELNS1_3repE0EEENS1_30default_config_static_selectorELNS0_4arch9wavefront6targetE1EEEvT1_ ; -- Begin function _ZN7rocprim17ROCPRIM_400000_NS6detail17trampoline_kernelINS0_14default_configENS1_27scan_by_key_config_selectorIsiEEZZNS1_16scan_by_key_implILNS1_25lookback_scan_determinismE0ELb1ES3_N6thrust23THRUST_200600_302600_NS6detail15normal_iteratorINS9_10device_ptrIsEEEESE_SE_iNS9_4plusIvEENS9_8equal_toIvEEiEE10hipError_tPvRmT2_T3_T4_T5_mT6_T7_P12ihipStream_tbENKUlT_T0_E_clISt17integral_constantIbLb0EESZ_EEDaSU_SV_EUlSU_E_NS1_11comp_targetILNS1_3genE5ELNS1_11target_archE942ELNS1_3gpuE9ELNS1_3repE0EEENS1_30default_config_static_selectorELNS0_4arch9wavefront6targetE1EEEvT1_
	.globl	_ZN7rocprim17ROCPRIM_400000_NS6detail17trampoline_kernelINS0_14default_configENS1_27scan_by_key_config_selectorIsiEEZZNS1_16scan_by_key_implILNS1_25lookback_scan_determinismE0ELb1ES3_N6thrust23THRUST_200600_302600_NS6detail15normal_iteratorINS9_10device_ptrIsEEEESE_SE_iNS9_4plusIvEENS9_8equal_toIvEEiEE10hipError_tPvRmT2_T3_T4_T5_mT6_T7_P12ihipStream_tbENKUlT_T0_E_clISt17integral_constantIbLb0EESZ_EEDaSU_SV_EUlSU_E_NS1_11comp_targetILNS1_3genE5ELNS1_11target_archE942ELNS1_3gpuE9ELNS1_3repE0EEENS1_30default_config_static_selectorELNS0_4arch9wavefront6targetE1EEEvT1_
	.p2align	8
	.type	_ZN7rocprim17ROCPRIM_400000_NS6detail17trampoline_kernelINS0_14default_configENS1_27scan_by_key_config_selectorIsiEEZZNS1_16scan_by_key_implILNS1_25lookback_scan_determinismE0ELb1ES3_N6thrust23THRUST_200600_302600_NS6detail15normal_iteratorINS9_10device_ptrIsEEEESE_SE_iNS9_4plusIvEENS9_8equal_toIvEEiEE10hipError_tPvRmT2_T3_T4_T5_mT6_T7_P12ihipStream_tbENKUlT_T0_E_clISt17integral_constantIbLb0EESZ_EEDaSU_SV_EUlSU_E_NS1_11comp_targetILNS1_3genE5ELNS1_11target_archE942ELNS1_3gpuE9ELNS1_3repE0EEENS1_30default_config_static_selectorELNS0_4arch9wavefront6targetE1EEEvT1_,@function
_ZN7rocprim17ROCPRIM_400000_NS6detail17trampoline_kernelINS0_14default_configENS1_27scan_by_key_config_selectorIsiEEZZNS1_16scan_by_key_implILNS1_25lookback_scan_determinismE0ELb1ES3_N6thrust23THRUST_200600_302600_NS6detail15normal_iteratorINS9_10device_ptrIsEEEESE_SE_iNS9_4plusIvEENS9_8equal_toIvEEiEE10hipError_tPvRmT2_T3_T4_T5_mT6_T7_P12ihipStream_tbENKUlT_T0_E_clISt17integral_constantIbLb0EESZ_EEDaSU_SV_EUlSU_E_NS1_11comp_targetILNS1_3genE5ELNS1_11target_archE942ELNS1_3gpuE9ELNS1_3repE0EEENS1_30default_config_static_selectorELNS0_4arch9wavefront6targetE1EEEvT1_: ; @_ZN7rocprim17ROCPRIM_400000_NS6detail17trampoline_kernelINS0_14default_configENS1_27scan_by_key_config_selectorIsiEEZZNS1_16scan_by_key_implILNS1_25lookback_scan_determinismE0ELb1ES3_N6thrust23THRUST_200600_302600_NS6detail15normal_iteratorINS9_10device_ptrIsEEEESE_SE_iNS9_4plusIvEENS9_8equal_toIvEEiEE10hipError_tPvRmT2_T3_T4_T5_mT6_T7_P12ihipStream_tbENKUlT_T0_E_clISt17integral_constantIbLb0EESZ_EEDaSU_SV_EUlSU_E_NS1_11comp_targetILNS1_3genE5ELNS1_11target_archE942ELNS1_3gpuE9ELNS1_3repE0EEENS1_30default_config_static_selectorELNS0_4arch9wavefront6targetE1EEEvT1_
; %bb.0:
	.section	.rodata,"a",@progbits
	.p2align	6, 0x0
	.amdhsa_kernel _ZN7rocprim17ROCPRIM_400000_NS6detail17trampoline_kernelINS0_14default_configENS1_27scan_by_key_config_selectorIsiEEZZNS1_16scan_by_key_implILNS1_25lookback_scan_determinismE0ELb1ES3_N6thrust23THRUST_200600_302600_NS6detail15normal_iteratorINS9_10device_ptrIsEEEESE_SE_iNS9_4plusIvEENS9_8equal_toIvEEiEE10hipError_tPvRmT2_T3_T4_T5_mT6_T7_P12ihipStream_tbENKUlT_T0_E_clISt17integral_constantIbLb0EESZ_EEDaSU_SV_EUlSU_E_NS1_11comp_targetILNS1_3genE5ELNS1_11target_archE942ELNS1_3gpuE9ELNS1_3repE0EEENS1_30default_config_static_selectorELNS0_4arch9wavefront6targetE1EEEvT1_
		.amdhsa_group_segment_fixed_size 0
		.amdhsa_private_segment_fixed_size 0
		.amdhsa_kernarg_size 112
		.amdhsa_user_sgpr_count 6
		.amdhsa_user_sgpr_private_segment_buffer 1
		.amdhsa_user_sgpr_dispatch_ptr 0
		.amdhsa_user_sgpr_queue_ptr 0
		.amdhsa_user_sgpr_kernarg_segment_ptr 1
		.amdhsa_user_sgpr_dispatch_id 0
		.amdhsa_user_sgpr_flat_scratch_init 0
		.amdhsa_user_sgpr_kernarg_preload_length 0
		.amdhsa_user_sgpr_kernarg_preload_offset 0
		.amdhsa_user_sgpr_private_segment_size 0
		.amdhsa_uses_dynamic_stack 0
		.amdhsa_system_sgpr_private_segment_wavefront_offset 0
		.amdhsa_system_sgpr_workgroup_id_x 1
		.amdhsa_system_sgpr_workgroup_id_y 0
		.amdhsa_system_sgpr_workgroup_id_z 0
		.amdhsa_system_sgpr_workgroup_info 0
		.amdhsa_system_vgpr_workitem_id 0
		.amdhsa_next_free_vgpr 1
		.amdhsa_next_free_sgpr 0
		.amdhsa_accum_offset 4
		.amdhsa_reserve_vcc 0
		.amdhsa_reserve_flat_scratch 0
		.amdhsa_float_round_mode_32 0
		.amdhsa_float_round_mode_16_64 0
		.amdhsa_float_denorm_mode_32 3
		.amdhsa_float_denorm_mode_16_64 3
		.amdhsa_dx10_clamp 1
		.amdhsa_ieee_mode 1
		.amdhsa_fp16_overflow 0
		.amdhsa_tg_split 0
		.amdhsa_exception_fp_ieee_invalid_op 0
		.amdhsa_exception_fp_denorm_src 0
		.amdhsa_exception_fp_ieee_div_zero 0
		.amdhsa_exception_fp_ieee_overflow 0
		.amdhsa_exception_fp_ieee_underflow 0
		.amdhsa_exception_fp_ieee_inexact 0
		.amdhsa_exception_int_div_zero 0
	.end_amdhsa_kernel
	.section	.text._ZN7rocprim17ROCPRIM_400000_NS6detail17trampoline_kernelINS0_14default_configENS1_27scan_by_key_config_selectorIsiEEZZNS1_16scan_by_key_implILNS1_25lookback_scan_determinismE0ELb1ES3_N6thrust23THRUST_200600_302600_NS6detail15normal_iteratorINS9_10device_ptrIsEEEESE_SE_iNS9_4plusIvEENS9_8equal_toIvEEiEE10hipError_tPvRmT2_T3_T4_T5_mT6_T7_P12ihipStream_tbENKUlT_T0_E_clISt17integral_constantIbLb0EESZ_EEDaSU_SV_EUlSU_E_NS1_11comp_targetILNS1_3genE5ELNS1_11target_archE942ELNS1_3gpuE9ELNS1_3repE0EEENS1_30default_config_static_selectorELNS0_4arch9wavefront6targetE1EEEvT1_,"axG",@progbits,_ZN7rocprim17ROCPRIM_400000_NS6detail17trampoline_kernelINS0_14default_configENS1_27scan_by_key_config_selectorIsiEEZZNS1_16scan_by_key_implILNS1_25lookback_scan_determinismE0ELb1ES3_N6thrust23THRUST_200600_302600_NS6detail15normal_iteratorINS9_10device_ptrIsEEEESE_SE_iNS9_4plusIvEENS9_8equal_toIvEEiEE10hipError_tPvRmT2_T3_T4_T5_mT6_T7_P12ihipStream_tbENKUlT_T0_E_clISt17integral_constantIbLb0EESZ_EEDaSU_SV_EUlSU_E_NS1_11comp_targetILNS1_3genE5ELNS1_11target_archE942ELNS1_3gpuE9ELNS1_3repE0EEENS1_30default_config_static_selectorELNS0_4arch9wavefront6targetE1EEEvT1_,comdat
.Lfunc_end1044:
	.size	_ZN7rocprim17ROCPRIM_400000_NS6detail17trampoline_kernelINS0_14default_configENS1_27scan_by_key_config_selectorIsiEEZZNS1_16scan_by_key_implILNS1_25lookback_scan_determinismE0ELb1ES3_N6thrust23THRUST_200600_302600_NS6detail15normal_iteratorINS9_10device_ptrIsEEEESE_SE_iNS9_4plusIvEENS9_8equal_toIvEEiEE10hipError_tPvRmT2_T3_T4_T5_mT6_T7_P12ihipStream_tbENKUlT_T0_E_clISt17integral_constantIbLb0EESZ_EEDaSU_SV_EUlSU_E_NS1_11comp_targetILNS1_3genE5ELNS1_11target_archE942ELNS1_3gpuE9ELNS1_3repE0EEENS1_30default_config_static_selectorELNS0_4arch9wavefront6targetE1EEEvT1_, .Lfunc_end1044-_ZN7rocprim17ROCPRIM_400000_NS6detail17trampoline_kernelINS0_14default_configENS1_27scan_by_key_config_selectorIsiEEZZNS1_16scan_by_key_implILNS1_25lookback_scan_determinismE0ELb1ES3_N6thrust23THRUST_200600_302600_NS6detail15normal_iteratorINS9_10device_ptrIsEEEESE_SE_iNS9_4plusIvEENS9_8equal_toIvEEiEE10hipError_tPvRmT2_T3_T4_T5_mT6_T7_P12ihipStream_tbENKUlT_T0_E_clISt17integral_constantIbLb0EESZ_EEDaSU_SV_EUlSU_E_NS1_11comp_targetILNS1_3genE5ELNS1_11target_archE942ELNS1_3gpuE9ELNS1_3repE0EEENS1_30default_config_static_selectorELNS0_4arch9wavefront6targetE1EEEvT1_
                                        ; -- End function
	.section	.AMDGPU.csdata,"",@progbits
; Kernel info:
; codeLenInByte = 0
; NumSgprs: 4
; NumVgprs: 0
; NumAgprs: 0
; TotalNumVgprs: 0
; ScratchSize: 0
; MemoryBound: 0
; FloatMode: 240
; IeeeMode: 1
; LDSByteSize: 0 bytes/workgroup (compile time only)
; SGPRBlocks: 0
; VGPRBlocks: 0
; NumSGPRsForWavesPerEU: 4
; NumVGPRsForWavesPerEU: 1
; AccumOffset: 4
; Occupancy: 8
; WaveLimiterHint : 0
; COMPUTE_PGM_RSRC2:SCRATCH_EN: 0
; COMPUTE_PGM_RSRC2:USER_SGPR: 6
; COMPUTE_PGM_RSRC2:TRAP_HANDLER: 0
; COMPUTE_PGM_RSRC2:TGID_X_EN: 1
; COMPUTE_PGM_RSRC2:TGID_Y_EN: 0
; COMPUTE_PGM_RSRC2:TGID_Z_EN: 0
; COMPUTE_PGM_RSRC2:TIDIG_COMP_CNT: 0
; COMPUTE_PGM_RSRC3_GFX90A:ACCUM_OFFSET: 0
; COMPUTE_PGM_RSRC3_GFX90A:TG_SPLIT: 0
	.section	.text._ZN7rocprim17ROCPRIM_400000_NS6detail17trampoline_kernelINS0_14default_configENS1_27scan_by_key_config_selectorIsiEEZZNS1_16scan_by_key_implILNS1_25lookback_scan_determinismE0ELb1ES3_N6thrust23THRUST_200600_302600_NS6detail15normal_iteratorINS9_10device_ptrIsEEEESE_SE_iNS9_4plusIvEENS9_8equal_toIvEEiEE10hipError_tPvRmT2_T3_T4_T5_mT6_T7_P12ihipStream_tbENKUlT_T0_E_clISt17integral_constantIbLb0EESZ_EEDaSU_SV_EUlSU_E_NS1_11comp_targetILNS1_3genE4ELNS1_11target_archE910ELNS1_3gpuE8ELNS1_3repE0EEENS1_30default_config_static_selectorELNS0_4arch9wavefront6targetE1EEEvT1_,"axG",@progbits,_ZN7rocprim17ROCPRIM_400000_NS6detail17trampoline_kernelINS0_14default_configENS1_27scan_by_key_config_selectorIsiEEZZNS1_16scan_by_key_implILNS1_25lookback_scan_determinismE0ELb1ES3_N6thrust23THRUST_200600_302600_NS6detail15normal_iteratorINS9_10device_ptrIsEEEESE_SE_iNS9_4plusIvEENS9_8equal_toIvEEiEE10hipError_tPvRmT2_T3_T4_T5_mT6_T7_P12ihipStream_tbENKUlT_T0_E_clISt17integral_constantIbLb0EESZ_EEDaSU_SV_EUlSU_E_NS1_11comp_targetILNS1_3genE4ELNS1_11target_archE910ELNS1_3gpuE8ELNS1_3repE0EEENS1_30default_config_static_selectorELNS0_4arch9wavefront6targetE1EEEvT1_,comdat
	.protected	_ZN7rocprim17ROCPRIM_400000_NS6detail17trampoline_kernelINS0_14default_configENS1_27scan_by_key_config_selectorIsiEEZZNS1_16scan_by_key_implILNS1_25lookback_scan_determinismE0ELb1ES3_N6thrust23THRUST_200600_302600_NS6detail15normal_iteratorINS9_10device_ptrIsEEEESE_SE_iNS9_4plusIvEENS9_8equal_toIvEEiEE10hipError_tPvRmT2_T3_T4_T5_mT6_T7_P12ihipStream_tbENKUlT_T0_E_clISt17integral_constantIbLb0EESZ_EEDaSU_SV_EUlSU_E_NS1_11comp_targetILNS1_3genE4ELNS1_11target_archE910ELNS1_3gpuE8ELNS1_3repE0EEENS1_30default_config_static_selectorELNS0_4arch9wavefront6targetE1EEEvT1_ ; -- Begin function _ZN7rocprim17ROCPRIM_400000_NS6detail17trampoline_kernelINS0_14default_configENS1_27scan_by_key_config_selectorIsiEEZZNS1_16scan_by_key_implILNS1_25lookback_scan_determinismE0ELb1ES3_N6thrust23THRUST_200600_302600_NS6detail15normal_iteratorINS9_10device_ptrIsEEEESE_SE_iNS9_4plusIvEENS9_8equal_toIvEEiEE10hipError_tPvRmT2_T3_T4_T5_mT6_T7_P12ihipStream_tbENKUlT_T0_E_clISt17integral_constantIbLb0EESZ_EEDaSU_SV_EUlSU_E_NS1_11comp_targetILNS1_3genE4ELNS1_11target_archE910ELNS1_3gpuE8ELNS1_3repE0EEENS1_30default_config_static_selectorELNS0_4arch9wavefront6targetE1EEEvT1_
	.globl	_ZN7rocprim17ROCPRIM_400000_NS6detail17trampoline_kernelINS0_14default_configENS1_27scan_by_key_config_selectorIsiEEZZNS1_16scan_by_key_implILNS1_25lookback_scan_determinismE0ELb1ES3_N6thrust23THRUST_200600_302600_NS6detail15normal_iteratorINS9_10device_ptrIsEEEESE_SE_iNS9_4plusIvEENS9_8equal_toIvEEiEE10hipError_tPvRmT2_T3_T4_T5_mT6_T7_P12ihipStream_tbENKUlT_T0_E_clISt17integral_constantIbLb0EESZ_EEDaSU_SV_EUlSU_E_NS1_11comp_targetILNS1_3genE4ELNS1_11target_archE910ELNS1_3gpuE8ELNS1_3repE0EEENS1_30default_config_static_selectorELNS0_4arch9wavefront6targetE1EEEvT1_
	.p2align	8
	.type	_ZN7rocprim17ROCPRIM_400000_NS6detail17trampoline_kernelINS0_14default_configENS1_27scan_by_key_config_selectorIsiEEZZNS1_16scan_by_key_implILNS1_25lookback_scan_determinismE0ELb1ES3_N6thrust23THRUST_200600_302600_NS6detail15normal_iteratorINS9_10device_ptrIsEEEESE_SE_iNS9_4plusIvEENS9_8equal_toIvEEiEE10hipError_tPvRmT2_T3_T4_T5_mT6_T7_P12ihipStream_tbENKUlT_T0_E_clISt17integral_constantIbLb0EESZ_EEDaSU_SV_EUlSU_E_NS1_11comp_targetILNS1_3genE4ELNS1_11target_archE910ELNS1_3gpuE8ELNS1_3repE0EEENS1_30default_config_static_selectorELNS0_4arch9wavefront6targetE1EEEvT1_,@function
_ZN7rocprim17ROCPRIM_400000_NS6detail17trampoline_kernelINS0_14default_configENS1_27scan_by_key_config_selectorIsiEEZZNS1_16scan_by_key_implILNS1_25lookback_scan_determinismE0ELb1ES3_N6thrust23THRUST_200600_302600_NS6detail15normal_iteratorINS9_10device_ptrIsEEEESE_SE_iNS9_4plusIvEENS9_8equal_toIvEEiEE10hipError_tPvRmT2_T3_T4_T5_mT6_T7_P12ihipStream_tbENKUlT_T0_E_clISt17integral_constantIbLb0EESZ_EEDaSU_SV_EUlSU_E_NS1_11comp_targetILNS1_3genE4ELNS1_11target_archE910ELNS1_3gpuE8ELNS1_3repE0EEENS1_30default_config_static_selectorELNS0_4arch9wavefront6targetE1EEEvT1_: ; @_ZN7rocprim17ROCPRIM_400000_NS6detail17trampoline_kernelINS0_14default_configENS1_27scan_by_key_config_selectorIsiEEZZNS1_16scan_by_key_implILNS1_25lookback_scan_determinismE0ELb1ES3_N6thrust23THRUST_200600_302600_NS6detail15normal_iteratorINS9_10device_ptrIsEEEESE_SE_iNS9_4plusIvEENS9_8equal_toIvEEiEE10hipError_tPvRmT2_T3_T4_T5_mT6_T7_P12ihipStream_tbENKUlT_T0_E_clISt17integral_constantIbLb0EESZ_EEDaSU_SV_EUlSU_E_NS1_11comp_targetILNS1_3genE4ELNS1_11target_archE910ELNS1_3gpuE8ELNS1_3repE0EEENS1_30default_config_static_selectorELNS0_4arch9wavefront6targetE1EEEvT1_
; %bb.0:
	s_load_dwordx8 s[20:27], s[4:5], 0x0
	s_load_dword s33, s[4:5], 0x20
	s_load_dwordx4 s[28:31], s[4:5], 0x28
	s_load_dwordx2 s[40:41], s[4:5], 0x38
	s_load_dword s0, s[4:5], 0x40
	s_load_dwordx4 s[36:39], s[4:5], 0x48
	s_waitcnt lgkmcnt(0)
	s_lshl_b64 s[34:35], s[22:23], 1
	s_add_u32 s2, s20, s34
	s_addc_u32 s3, s21, s35
	s_add_u32 s4, s24, s34
	s_mul_i32 s1, s41, s0
	s_mul_hi_u32 s7, s40, s0
	s_addc_u32 s5, s25, s35
	s_add_i32 s8, s7, s1
	s_mul_i32 s9, s40, s0
	s_mul_i32 s0, s6, 0x900
	s_mov_b32 s1, 0
	s_lshl_b64 s[24:25], s[0:1], 1
	s_add_u32 s22, s2, s24
	s_addc_u32 s23, s3, s25
	s_add_u32 s7, s4, s24
	s_addc_u32 s46, s5, s25
	;; [unrolled: 2-line block ×3, first 2 shown]
	s_add_u32 s4, s36, -1
	s_addc_u32 s5, s37, -1
	v_pk_mov_b32 v[2:3], s[4:5], s[4:5] op_sel:[0,1]
	v_cmp_ge_u64_e64 s[0:1], s[0:1], v[2:3]
	s_mov_b64 s[2:3], -1
	s_and_b64 vcc, exec, s[0:1]
	s_mul_i32 s31, s4, 0xfffff700
	s_barrier
	s_cbranch_vccz .LBB1045_29
; %bb.1:
	v_pk_mov_b32 v[2:3], s[22:23], s[22:23] op_sel:[0,1]
	flat_load_ushort v1, v[2:3]
	s_add_i32 s44, s31, s30
	v_cmp_gt_u32_e32 vcc, s44, v0
	s_waitcnt vmcnt(0) lgkmcnt(0)
	v_mov_b32_e32 v2, v1
	s_and_saveexec_b64 s[4:5], vcc
	s_cbranch_execz .LBB1045_3
; %bb.2:
	v_lshlrev_b32_e32 v2, 1, v0
	v_mov_b32_e32 v3, s23
	v_add_co_u32_e64 v2, s[2:3], s22, v2
	v_addc_co_u32_e64 v3, s[2:3], 0, v3, s[2:3]
	flat_load_ushort v2, v[2:3]
.LBB1045_3:
	s_or_b64 exec, exec, s[4:5]
	v_or_b32_e32 v3, 0x100, v0
	v_cmp_gt_u32_e64 s[2:3], s44, v3
	v_mov_b32_e32 v3, v1
	s_and_saveexec_b64 s[8:9], s[2:3]
	s_cbranch_execz .LBB1045_5
; %bb.4:
	v_lshlrev_b32_e32 v3, 1, v0
	v_mov_b32_e32 v5, s23
	v_add_co_u32_e64 v4, s[4:5], s22, v3
	v_addc_co_u32_e64 v5, s[4:5], 0, v5, s[4:5]
	flat_load_ushort v3, v[4:5] offset:512
.LBB1045_5:
	s_or_b64 exec, exec, s[8:9]
	v_or_b32_e32 v4, 0x200, v0
	v_cmp_gt_u32_e64 s[4:5], s44, v4
	v_mov_b32_e32 v4, v1
	s_and_saveexec_b64 s[10:11], s[4:5]
	s_cbranch_execz .LBB1045_7
; %bb.6:
	v_lshlrev_b32_e32 v4, 1, v0
	v_mov_b32_e32 v5, s23
	v_add_co_u32_e64 v4, s[8:9], s22, v4
	v_addc_co_u32_e64 v5, s[8:9], 0, v5, s[8:9]
	flat_load_ushort v4, v[4:5] offset:1024
.LBB1045_7:
	;; [unrolled: 13-line block ×7, first 2 shown]
	s_or_b64 exec, exec, s[20:21]
	v_or_b32_e32 v6, 0x800, v0
	v_cmp_gt_u32_e64 s[16:17], s44, v6
	v_lshlrev_b32_e32 v6, 1, v6
	s_and_saveexec_b64 s[36:37], s[16:17]
	s_cbranch_execz .LBB1045_19
; %bb.18:
	v_mov_b32_e32 v1, s23
	v_add_co_u32_e64 v12, s[20:21], s22, v6
	v_addc_co_u32_e64 v13, s[20:21], 0, v1, s[20:21]
	flat_load_ushort v1, v[12:13]
.LBB1045_19:
	s_or_b64 exec, exec, s[36:37]
	v_lshlrev_b32_e32 v9, 1, v0
	s_waitcnt vmcnt(0) lgkmcnt(0)
	ds_write_b16 v9, v2
	ds_write_b16 v9, v3 offset:512
	ds_write_b16 v9, v4 offset:1024
	;; [unrolled: 1-line block ×8, first 2 shown]
	v_pk_mov_b32 v[2:3], s[22:23], s[22:23] op_sel:[0,1]
	s_waitcnt lgkmcnt(0)
	s_barrier
	flat_load_ushort v1, v[2:3]
	v_lshl_add_u32 v2, v0, 4, v9
	ds_read_u16 v7, v2
	ds_read_b128 v[2:5], v2 offset:2
	s_movk_i32 s20, 0xff
	v_cmp_ne_u32_e64 s[20:21], s20, v0
	s_waitcnt lgkmcnt(0)
	ds_write_b16 v9, v7 offset:5120
	s_waitcnt lgkmcnt(0)
	s_barrier
	s_and_saveexec_b64 s[36:37], s[20:21]
	s_cbranch_execz .LBB1045_21
; %bb.20:
	s_waitcnt vmcnt(0)
	ds_read_u16 v1, v9 offset:5122
.LBB1045_21:
	s_or_b64 exec, exec, s[36:37]
	s_waitcnt lgkmcnt(0)
	s_barrier
	s_waitcnt lgkmcnt(0)
                                        ; implicit-def: $vgpr10
	s_and_saveexec_b64 s[20:21], vcc
	s_cbranch_execz .LBB1045_30
; %bb.22:
	v_mov_b32_e32 v8, s46
	v_add_co_u32_e32 v10, vcc, s7, v9
	v_addc_co_u32_e32 v11, vcc, 0, v8, vcc
	flat_load_sshort v10, v[10:11]
	s_or_b64 exec, exec, s[20:21]
                                        ; implicit-def: $vgpr11
	s_and_saveexec_b64 s[20:21], s[2:3]
	s_cbranch_execnz .LBB1045_31
.LBB1045_23:
	s_or_b64 exec, exec, s[20:21]
                                        ; implicit-def: $vgpr12
	s_and_saveexec_b64 s[2:3], s[4:5]
	s_cbranch_execz .LBB1045_32
.LBB1045_24:
	v_mov_b32_e32 v8, s46
	v_add_co_u32_e32 v12, vcc, s7, v9
	v_addc_co_u32_e32 v13, vcc, 0, v8, vcc
	flat_load_sshort v12, v[12:13] offset:1024
	s_or_b64 exec, exec, s[2:3]
                                        ; implicit-def: $vgpr13
	s_and_saveexec_b64 s[2:3], s[18:19]
	s_cbranch_execnz .LBB1045_33
.LBB1045_25:
	s_or_b64 exec, exec, s[2:3]
                                        ; implicit-def: $vgpr14
	s_and_saveexec_b64 s[2:3], s[8:9]
	s_cbranch_execz .LBB1045_34
.LBB1045_26:
	v_mov_b32_e32 v8, s46
	v_add_co_u32_e32 v14, vcc, s7, v9
	v_addc_co_u32_e32 v15, vcc, 0, v8, vcc
	flat_load_sshort v14, v[14:15] offset:2048
	s_or_b64 exec, exec, s[2:3]
                                        ; implicit-def: $vgpr15
	s_and_saveexec_b64 s[2:3], s[10:11]
	s_cbranch_execnz .LBB1045_35
.LBB1045_27:
	s_or_b64 exec, exec, s[2:3]
                                        ; implicit-def: $vgpr16
	s_and_saveexec_b64 s[2:3], s[12:13]
	s_cbranch_execz .LBB1045_36
.LBB1045_28:
	v_mov_b32_e32 v8, s46
	v_add_co_u32_e32 v16, vcc, s7, v9
	v_addc_co_u32_e32 v17, vcc, 0, v8, vcc
	flat_load_sshort v16, v[16:17] offset:3072
	s_or_b64 exec, exec, s[2:3]
                                        ; implicit-def: $vgpr17
	s_and_saveexec_b64 s[2:3], s[14:15]
	s_cbranch_execz .LBB1045_38
	s_branch .LBB1045_37
.LBB1045_29:
	s_mov_b64 s[10:11], 0
                                        ; implicit-def: $sgpr8_sgpr9
                                        ; implicit-def: $vgpr6
                                        ; implicit-def: $vgpr10_vgpr11
                                        ; implicit-def: $vgpr12_vgpr13
                                        ; implicit-def: $vgpr14_vgpr15
                                        ; implicit-def: $vgpr16_vgpr17
                                        ; implicit-def: $vgpr18_vgpr19
                                        ; implicit-def: $vgpr20_vgpr21
                                        ; implicit-def: $vgpr22_vgpr23
                                        ; implicit-def: $vgpr24_vgpr25
                                        ; implicit-def: $sgpr4_sgpr5
	s_and_b64 vcc, exec, s[2:3]
	v_lshlrev_b32_e32 v32, 1, v0
	s_cbranch_vccz .LBB1045_64
	s_branch .LBB1045_59
.LBB1045_30:
	s_or_b64 exec, exec, s[20:21]
                                        ; implicit-def: $vgpr11
	s_and_saveexec_b64 s[20:21], s[2:3]
	s_cbranch_execz .LBB1045_23
.LBB1045_31:
	v_mov_b32_e32 v8, s46
	v_add_co_u32_e32 v12, vcc, s7, v9
	v_addc_co_u32_e32 v13, vcc, 0, v8, vcc
	flat_load_sshort v11, v[12:13] offset:512
	s_or_b64 exec, exec, s[20:21]
                                        ; implicit-def: $vgpr12
	s_and_saveexec_b64 s[2:3], s[4:5]
	s_cbranch_execnz .LBB1045_24
.LBB1045_32:
	s_or_b64 exec, exec, s[2:3]
                                        ; implicit-def: $vgpr13
	s_and_saveexec_b64 s[2:3], s[18:19]
	s_cbranch_execz .LBB1045_25
.LBB1045_33:
	v_mov_b32_e32 v8, s46
	v_add_co_u32_e32 v14, vcc, s7, v9
	v_addc_co_u32_e32 v15, vcc, 0, v8, vcc
	flat_load_sshort v13, v[14:15] offset:1536
	s_or_b64 exec, exec, s[2:3]
                                        ; implicit-def: $vgpr14
	s_and_saveexec_b64 s[2:3], s[8:9]
	s_cbranch_execnz .LBB1045_26
.LBB1045_34:
	s_or_b64 exec, exec, s[2:3]
                                        ; implicit-def: $vgpr15
	s_and_saveexec_b64 s[2:3], s[10:11]
	s_cbranch_execz .LBB1045_27
.LBB1045_35:
	v_mov_b32_e32 v8, s46
	v_add_co_u32_e32 v16, vcc, s7, v9
	v_addc_co_u32_e32 v17, vcc, 0, v8, vcc
	flat_load_sshort v15, v[16:17] offset:2560
	s_or_b64 exec, exec, s[2:3]
                                        ; implicit-def: $vgpr16
	s_and_saveexec_b64 s[2:3], s[12:13]
	s_cbranch_execnz .LBB1045_28
.LBB1045_36:
	s_or_b64 exec, exec, s[2:3]
                                        ; implicit-def: $vgpr17
	s_and_saveexec_b64 s[2:3], s[14:15]
	s_cbranch_execz .LBB1045_38
.LBB1045_37:
	v_mov_b32_e32 v8, s46
	v_add_co_u32_e32 v18, vcc, s7, v9
	v_addc_co_u32_e32 v19, vcc, 0, v8, vcc
	flat_load_sshort v17, v[18:19] offset:3584
.LBB1045_38:
	s_or_b64 exec, exec, s[2:3]
	v_mul_u32_u24_e32 v8, 9, v0
                                        ; implicit-def: $vgpr18
	s_and_saveexec_b64 s[2:3], s[16:17]
	s_cbranch_execz .LBB1045_40
; %bb.39:
	v_mov_b32_e32 v19, s46
	v_add_co_u32_e32 v18, vcc, s7, v6
	v_addc_co_u32_e32 v19, vcc, 0, v19, vcc
	flat_load_sshort v18, v[18:19]
.LBB1045_40:
	s_or_b64 exec, exec, s[2:3]
	v_lshl_add_u32 v9, v0, 1, v9
	s_waitcnt vmcnt(0) lgkmcnt(0)
	ds_write2st64_b32 v9, v10, v11 offset1:4
	ds_write2st64_b32 v9, v12, v13 offset0:8 offset1:12
	ds_write2st64_b32 v9, v14, v15 offset0:16 offset1:20
	;; [unrolled: 1-line block ×3, first 2 shown]
	ds_write_b32 v9, v18 offset:8192
	v_pk_mov_b32 v[10:11], 0, 0
	v_cmp_gt_u32_e32 vcc, s44, v8
	s_mov_b64 s[10:11], 0
	s_mov_b64 s[2:3], 0
	v_pk_mov_b32 v[12:13], v[10:11], v[10:11] op_sel:[0,1]
	v_pk_mov_b32 v[14:15], v[10:11], v[10:11] op_sel:[0,1]
	;; [unrolled: 1-line block ×7, first 2 shown]
	s_waitcnt lgkmcnt(0)
	s_barrier
	s_waitcnt lgkmcnt(0)
                                        ; implicit-def: $sgpr8_sgpr9
                                        ; implicit-def: $vgpr6
	s_and_saveexec_b64 s[4:5], vcc
	s_cbranch_execz .LBB1045_58
; %bb.41:
	v_lshlrev_b32_e32 v6, 5, v0
	v_add_u32_e32 v9, v9, v6
	ds_read_b32 v6, v9
	v_mov_b32_e32 v10, s33
	v_cmp_eq_u16_e32 vcc, v7, v2
	v_add_u32_e32 v12, 1, v8
	s_mov_b64 s[12:13], 0
	s_waitcnt lgkmcnt(0)
	v_cndmask_b32_e32 v10, v10, v6, vcc
	v_cmp_ne_u16_e32 vcc, v7, v2
	v_cndmask_b32_e64 v11, 0, 1, vcc
	v_cmp_gt_u32_e32 vcc, s44, v12
	v_pk_mov_b32 v[12:13], 0, 0
	v_pk_mov_b32 v[14:15], v[12:13], v[12:13] op_sel:[0,1]
	v_pk_mov_b32 v[16:17], v[12:13], v[12:13] op_sel:[0,1]
	v_pk_mov_b32 v[18:19], v[12:13], v[12:13] op_sel:[0,1]
	v_pk_mov_b32 v[20:21], v[12:13], v[12:13] op_sel:[0,1]
	v_pk_mov_b32 v[22:23], v[12:13], v[12:13] op_sel:[0,1]
	v_pk_mov_b32 v[24:25], v[12:13], v[12:13] op_sel:[0,1]
                                        ; implicit-def: $sgpr14_sgpr15
                                        ; implicit-def: $vgpr6
	s_and_saveexec_b64 s[8:9], vcc
	s_cbranch_execz .LBB1045_57
; %bb.42:
	ds_read2_b32 v[6:7], v9 offset0:1 offset1:2
	v_add_u32_e32 v14, 2, v8
	v_mov_b32_e32 v12, s33
	v_cmp_eq_u16_sdwa vcc, v2, v2 src0_sel:DWORD src1_sel:WORD_1
	v_cmp_ne_u16_sdwa s[10:11], v2, v2 src0_sel:DWORD src1_sel:WORD_1
	s_waitcnt lgkmcnt(0)
	v_cndmask_b32_e32 v12, v12, v6, vcc
	v_cmp_gt_u32_e32 vcc, s44, v14
	v_pk_mov_b32 v[14:15], 0, 0
	v_cndmask_b32_e64 v13, 0, 1, s[10:11]
	s_mov_b64 s[14:15], 0
	v_pk_mov_b32 v[16:17], v[14:15], v[14:15] op_sel:[0,1]
	v_pk_mov_b32 v[18:19], v[14:15], v[14:15] op_sel:[0,1]
	;; [unrolled: 1-line block ×5, first 2 shown]
                                        ; implicit-def: $sgpr16_sgpr17
                                        ; implicit-def: $vgpr6
	s_and_saveexec_b64 s[10:11], vcc
	s_cbranch_execz .LBB1045_56
; %bb.43:
	v_add_u32_e32 v6, 3, v8
	v_mov_b32_e32 v14, s33
	v_cmp_eq_u16_sdwa vcc, v2, v3 src0_sel:WORD_1 src1_sel:DWORD
	v_cmp_ne_u16_sdwa s[12:13], v2, v3 src0_sel:WORD_1 src1_sel:DWORD
	v_pk_mov_b32 v[16:17], 0, 0
	v_cndmask_b32_e32 v14, v14, v7, vcc
	v_cndmask_b32_e64 v15, 0, 1, s[12:13]
	v_cmp_gt_u32_e32 vcc, s44, v6
	s_mov_b64 s[16:17], 0
	v_pk_mov_b32 v[18:19], v[16:17], v[16:17] op_sel:[0,1]
	v_pk_mov_b32 v[20:21], v[16:17], v[16:17] op_sel:[0,1]
	;; [unrolled: 1-line block ×4, first 2 shown]
                                        ; implicit-def: $sgpr18_sgpr19
                                        ; implicit-def: $vgpr6
	s_and_saveexec_b64 s[12:13], vcc
	s_cbranch_execz .LBB1045_55
; %bb.44:
	ds_read2_b32 v[6:7], v9 offset0:3 offset1:4
	v_add_u32_e32 v2, 4, v8
	v_mov_b32_e32 v16, s33
	v_cmp_eq_u16_sdwa vcc, v3, v3 src0_sel:DWORD src1_sel:WORD_1
	v_cmp_ne_u16_sdwa s[14:15], v3, v3 src0_sel:DWORD src1_sel:WORD_1
	v_pk_mov_b32 v[18:19], 0, 0
	s_waitcnt lgkmcnt(0)
	v_cndmask_b32_e32 v16, v16, v6, vcc
	v_cndmask_b32_e64 v17, 0, 1, s[14:15]
	v_cmp_gt_u32_e32 vcc, s44, v2
	s_mov_b64 s[18:19], 0
	v_pk_mov_b32 v[20:21], v[18:19], v[18:19] op_sel:[0,1]
	v_pk_mov_b32 v[22:23], v[18:19], v[18:19] op_sel:[0,1]
	;; [unrolled: 1-line block ×3, first 2 shown]
                                        ; implicit-def: $sgpr20_sgpr21
                                        ; implicit-def: $vgpr6
	s_and_saveexec_b64 s[14:15], vcc
	s_cbranch_execz .LBB1045_54
; %bb.45:
	v_add_u32_e32 v2, 5, v8
	v_mov_b32_e32 v6, s33
	v_cmp_eq_u16_sdwa vcc, v3, v4 src0_sel:WORD_1 src1_sel:DWORD
	v_cmp_ne_u16_sdwa s[16:17], v3, v4 src0_sel:WORD_1 src1_sel:DWORD
	v_pk_mov_b32 v[20:21], 0, 0
	v_cndmask_b32_e32 v18, v6, v7, vcc
	v_cndmask_b32_e64 v19, 0, 1, s[16:17]
	v_cmp_gt_u32_e32 vcc, s44, v2
	s_mov_b64 s[20:21], 0
	v_pk_mov_b32 v[22:23], v[20:21], v[20:21] op_sel:[0,1]
	v_pk_mov_b32 v[24:25], v[20:21], v[20:21] op_sel:[0,1]
                                        ; implicit-def: $sgpr36_sgpr37
                                        ; implicit-def: $vgpr6
	s_and_saveexec_b64 s[16:17], vcc
	s_cbranch_execz .LBB1045_53
; %bb.46:
	ds_read2_b32 v[2:3], v9 offset0:5 offset1:6
	v_add_u32_e32 v6, 6, v8
	v_mov_b32_e32 v7, s33
	v_cmp_eq_u16_sdwa vcc, v4, v4 src0_sel:DWORD src1_sel:WORD_1
	v_cmp_ne_u16_sdwa s[18:19], v4, v4 src0_sel:DWORD src1_sel:WORD_1
	v_pk_mov_b32 v[22:23], 0, 0
	s_waitcnt lgkmcnt(0)
	v_cndmask_b32_e32 v20, v7, v2, vcc
	v_cndmask_b32_e64 v21, 0, 1, s[18:19]
	v_cmp_gt_u32_e32 vcc, s44, v6
	s_mov_b64 s[36:37], 0
	v_pk_mov_b32 v[24:25], v[22:23], v[22:23] op_sel:[0,1]
                                        ; implicit-def: $sgpr42_sgpr43
                                        ; implicit-def: $vgpr6
	s_and_saveexec_b64 s[18:19], vcc
	s_cbranch_execz .LBB1045_52
; %bb.47:
	v_add_u32_e32 v2, 7, v8
	v_mov_b32_e32 v6, s33
	v_cmp_eq_u16_sdwa vcc, v4, v5 src0_sel:WORD_1 src1_sel:DWORD
	v_cmp_ne_u16_sdwa s[20:21], v4, v5 src0_sel:WORD_1 src1_sel:DWORD
	v_cndmask_b32_e32 v22, v6, v3, vcc
	v_cndmask_b32_e64 v23, 0, 1, s[20:21]
	v_cmp_gt_u32_e32 vcc, s44, v2
	v_pk_mov_b32 v[24:25], 0, 0
                                        ; implicit-def: $sgpr42_sgpr43
                                        ; implicit-def: $vgpr6
	s_and_saveexec_b64 s[20:21], vcc
	s_cbranch_execz .LBB1045_51
; %bb.48:
	ds_read2_b32 v[2:3], v9 offset0:7 offset1:8
	v_add_u32_e32 v4, 8, v8
	v_mov_b32_e32 v6, s33
	v_cmp_eq_u16_sdwa vcc, v5, v5 src0_sel:DWORD src1_sel:WORD_1
	v_cmp_ne_u16_sdwa s[36:37], v5, v5 src0_sel:DWORD src1_sel:WORD_1
	s_waitcnt lgkmcnt(0)
	v_cndmask_b32_e32 v24, v6, v2, vcc
	v_cndmask_b32_e64 v25, 0, 1, s[36:37]
	v_cmp_gt_u32_e32 vcc, s44, v4
	s_mov_b64 s[36:37], 0
                                        ; implicit-def: $sgpr42_sgpr43
                                        ; implicit-def: $vgpr6
	s_and_saveexec_b64 s[44:45], vcc
	s_xor_b64 s[44:45], exec, s[44:45]
; %bb.49:
	v_mov_b32_e32 v2, s33
	v_cmp_ne_u16_sdwa vcc, v5, v1 src0_sel:WORD_1 src1_sel:DWORD
	s_mov_b64 s[36:37], exec
	v_cndmask_b32_e32 v6, v3, v2, vcc
	s_and_b64 s[42:43], vcc, exec
; %bb.50:
	s_or_b64 exec, exec, s[44:45]
	s_and_b64 s[42:43], s[42:43], exec
	s_and_b64 s[36:37], s[36:37], exec
.LBB1045_51:
	s_or_b64 exec, exec, s[20:21]
	s_and_b64 s[42:43], s[42:43], exec
	s_and_b64 s[20:21], s[36:37], exec
.LBB1045_52:
	s_or_b64 exec, exec, s[18:19]
	s_and_b64 s[36:37], s[42:43], exec
	s_and_b64 s[18:19], s[20:21], exec
.LBB1045_53:
	s_or_b64 exec, exec, s[16:17]
	s_and_b64 s[20:21], s[36:37], exec
	s_and_b64 s[16:17], s[18:19], exec
.LBB1045_54:
	s_or_b64 exec, exec, s[14:15]
	s_and_b64 s[18:19], s[20:21], exec
	s_and_b64 s[14:15], s[16:17], exec
.LBB1045_55:
	s_or_b64 exec, exec, s[12:13]
	s_and_b64 s[16:17], s[18:19], exec
	s_and_b64 s[12:13], s[14:15], exec
.LBB1045_56:
	s_or_b64 exec, exec, s[10:11]
	s_and_b64 s[14:15], s[16:17], exec
	s_and_b64 s[10:11], s[12:13], exec
.LBB1045_57:
	s_or_b64 exec, exec, s[8:9]
	s_and_b64 s[8:9], s[14:15], exec
	s_and_b64 s[10:11], s[10:11], exec
.LBB1045_58:
	s_or_b64 exec, exec, s[4:5]
	s_mov_b64 s[4:5], 0
	s_and_b64 vcc, exec, s[2:3]
	v_lshlrev_b32_e32 v32, 1, v0
	s_cbranch_vccz .LBB1045_64
.LBB1045_59:
	v_mov_b32_e32 v1, s23
	v_add_co_u32_e32 v2, vcc, s22, v32
	v_addc_co_u32_e32 v3, vcc, 0, v1, vcc
	flat_load_ushort v1, v[2:3]
	flat_load_ushort v4, v[2:3] offset:512
	flat_load_ushort v5, v[2:3] offset:1024
	;; [unrolled: 1-line block ×7, first 2 shown]
	v_add_co_u32_e32 v2, vcc, 0x1000, v2
	v_addc_co_u32_e32 v3, vcc, 0, v3, vcc
	flat_load_ushort v11, v[2:3]
	v_mov_b32_e32 v2, s22
	v_mov_b32_e32 v3, s23
	v_add_co_u32_e32 v2, vcc, 0x1000, v2
	v_addc_co_u32_e32 v3, vcc, 0, v3, vcc
	s_mov_b32 s2, 0
	s_movk_i32 s4, 0xff
	s_mov_b32 s3, 1
	s_movk_i32 s8, 0x1000
	v_cmp_ne_u32_e32 vcc, s4, v0
	s_waitcnt vmcnt(0) lgkmcnt(0)
	ds_write_b16 v32, v1
	ds_write_b16 v32, v4 offset:512
	ds_write_b16 v32, v5 offset:1024
	;; [unrolled: 1-line block ×8, first 2 shown]
	s_waitcnt lgkmcnt(0)
	s_barrier
	flat_load_ushort v1, v[2:3] offset:512
	v_lshl_add_u32 v2, v0, 4, v32
	ds_read_u16 v10, v2
	ds_read_b128 v[2:5], v2 offset:2
	s_waitcnt lgkmcnt(0)
	ds_write_b16 v32, v10 offset:5120
	s_waitcnt lgkmcnt(0)
	s_barrier
	s_and_saveexec_b64 s[4:5], vcc
	s_cbranch_execz .LBB1045_61
; %bb.60:
	s_waitcnt vmcnt(0)
	ds_read_u16 v1, v32 offset:5122
.LBB1045_61:
	s_or_b64 exec, exec, s[4:5]
	v_mov_b32_e32 v7, s46
	v_add_co_u32_e32 v6, vcc, s7, v32
	v_addc_co_u32_e32 v7, vcc, 0, v7, vcc
	s_waitcnt lgkmcnt(0)
	s_barrier
	flat_load_sshort v8, v[6:7]
	flat_load_sshort v9, v[6:7] offset:512
	flat_load_sshort v11, v[6:7] offset:1024
	flat_load_sshort v12, v[6:7] offset:1536
	flat_load_sshort v14, v[6:7] offset:2048
	flat_load_sshort v15, v[6:7] offset:2560
	flat_load_sshort v16, v[6:7] offset:3072
	flat_load_sshort v17, v[6:7] offset:3584
	v_add_co_u32_e32 v6, vcc, s8, v6
	v_addc_co_u32_e32 v7, vcc, 0, v7, vcc
	flat_load_sshort v6, v[6:7]
	v_lshl_add_u32 v7, v0, 1, v32
	v_lshlrev_b32_e32 v13, 5, v0
	v_add_u32_e32 v13, v7, v13
	v_cmp_eq_u16_e32 vcc, v10, v2
	s_waitcnt vmcnt(0) lgkmcnt(0)
	ds_write2st64_b32 v7, v8, v9 offset1:4
	ds_write2st64_b32 v7, v11, v12 offset0:8 offset1:12
	ds_write2st64_b32 v7, v14, v15 offset0:16 offset1:20
	ds_write2st64_b32 v7, v16, v17 offset0:24 offset1:28
	ds_write_b32 v7, v6 offset:8192
	s_waitcnt lgkmcnt(0)
	s_barrier
	ds_read2_b32 v[14:15], v13 offset0:1 offset1:2
	ds_read2_b32 v[18:19], v13 offset0:3 offset1:4
	ds_read2_b32 v[8:9], v13 offset0:5 offset1:6
	ds_read2_b32 v[6:7], v13 offset0:7 offset1:8
	v_pk_mov_b32 v[10:11], s[2:3], s[2:3] op_sel:[0,1]
	v_mov_b32_e32 v12, s33
	s_and_saveexec_b64 s[2:3], vcc
	s_cbranch_execz .LBB1045_63
; %bb.62:
	ds_read_b32 v12, v13
	v_pk_mov_b32 v[10:11], 0, 0
.LBB1045_63:
	s_or_b64 exec, exec, s[2:3]
	v_mov_b32_e32 v26, s33
	v_cmp_eq_u16_sdwa vcc, v2, v2 src0_sel:DWORD src1_sel:WORD_1
	v_cmp_ne_u16_sdwa s[2:3], v2, v2 src0_sel:DWORD src1_sel:WORD_1
	s_waitcnt lgkmcnt(0)
	v_or_b32_e32 v10, v10, v12
	v_cndmask_b32_e32 v12, v26, v14, vcc
	v_cndmask_b32_e64 v13, 0, 1, s[2:3]
	v_cmp_eq_u16_sdwa vcc, v2, v3 src0_sel:WORD_1 src1_sel:DWORD
	v_cmp_ne_u16_sdwa s[2:3], v2, v3 src0_sel:WORD_1 src1_sel:DWORD
	v_cndmask_b32_e32 v14, v26, v15, vcc
	v_cndmask_b32_e64 v15, 0, 1, s[2:3]
	v_cmp_eq_u16_sdwa vcc, v3, v3 src0_sel:DWORD src1_sel:WORD_1
	v_cmp_ne_u16_sdwa s[2:3], v3, v3 src0_sel:DWORD src1_sel:WORD_1
	v_cndmask_b32_e32 v16, v26, v18, vcc
	v_cndmask_b32_e64 v17, 0, 1, s[2:3]
	v_cmp_eq_u16_sdwa vcc, v3, v4 src0_sel:WORD_1 src1_sel:DWORD
	v_cmp_ne_u16_sdwa s[2:3], v3, v4 src0_sel:WORD_1 src1_sel:DWORD
	v_cndmask_b32_e32 v18, v26, v19, vcc
	v_cndmask_b32_e64 v19, 0, 1, s[2:3]
	v_cmp_eq_u16_sdwa vcc, v4, v4 src0_sel:DWORD src1_sel:WORD_1
	v_cmp_ne_u16_sdwa s[2:3], v4, v4 src0_sel:DWORD src1_sel:WORD_1
	;; [unrolled: 8-line block ×3, first 2 shown]
	v_cmp_ne_u16_sdwa s[8:9], v5, v1 src0_sel:WORD_1 src1_sel:DWORD
	v_cndmask_b32_e32 v24, v26, v6, vcc
	v_cndmask_b32_e64 v25, 0, 1, s[2:3]
	v_cndmask_b32_e64 v6, v7, v26, s[8:9]
	s_mov_b64 s[10:11], -1
                                        ; implicit-def: $sgpr4_sgpr5
.LBB1045_64:
	v_pk_mov_b32 v[26:27], s[4:5], s[4:5] op_sel:[0,1]
	s_and_saveexec_b64 s[2:3], s[10:11]
; %bb.65:
	v_cndmask_b32_e64 v7, 0, 1, s[8:9]
	v_pk_mov_b32 v[26:27], v[6:7], v[6:7] op_sel:[0,1]
; %bb.66:
	s_or_b64 exec, exec, s[2:3]
	s_mov_b32 s16, 0
	s_cmp_lg_u32 s6, 0
	v_or_b32_e32 v33, v27, v25
	v_lshrrev_b32_e32 v1, 5, v0
	v_cmp_gt_u32_e32 vcc, 64, v0
	s_barrier
	s_cbranch_scc0 .LBB1045_101
; %bb.67:
	s_mov_b32 s17, 1
	v_cmp_gt_u64_e64 s[2:3], s[16:17], v[12:13]
	v_cndmask_b32_e64 v2, 0, v10, s[2:3]
	v_add_u32_e32 v2, v2, v12
	v_cmp_gt_u64_e64 s[4:5], s[16:17], v[14:15]
	v_cndmask_b32_e64 v2, 0, v2, s[4:5]
	v_add_u32_e32 v2, v2, v14
	;; [unrolled: 3-line block ×8, first 2 shown]
	v_or3_b32 v2, v33, v23, v21
	v_or3_b32 v2, v2, v19, v17
	;; [unrolled: 1-line block ×3, first 2 shown]
	v_and_b32_e32 v2, 1, v2
	v_cmp_eq_u32_e64 s[16:17], 1, v2
	v_cndmask_b32_e64 v35, v11, 1, s[16:17]
	v_add_lshl_u32 v2, v1, v0, 3
	ds_write_b32 v2, v34
	ds_write_b8 v2, v35 offset:4
	s_waitcnt lgkmcnt(0)
	s_barrier
	s_and_saveexec_b64 s[18:19], vcc
	s_cbranch_execz .LBB1045_79
; %bb.68:
	v_lshlrev_b32_e32 v2, 2, v0
	v_lshrrev_b32_e32 v3, 3, v0
	v_add_lshl_u32 v4, v3, v2, 3
	ds_read2_b32 v[6:7], v4 offset0:2 offset1:4
	ds_read_b64 v[2:3], v4
	ds_read_u8 v8, v4 offset:12
	ds_read_u8 v9, v4 offset:20
	ds_read_b32 v28, v4 offset:24
	ds_read_u8 v29, v4 offset:28
	v_mov_b32_e32 v30, 0
	s_waitcnt lgkmcnt(3)
	v_cmp_eq_u16_sdwa s[16:17], v8, v30 src0_sel:BYTE_0 src1_sel:DWORD
	v_cndmask_b32_e64 v31, 0, v2, s[16:17]
	v_add_u32_e32 v6, v31, v6
	s_waitcnt lgkmcnt(2)
	v_cmp_eq_u16_sdwa s[16:17], v9, v30 src0_sel:BYTE_0 src1_sel:DWORD
	v_cndmask_b32_e64 v6, 0, v6, s[16:17]
	v_add_u32_e32 v6, v6, v7
	s_waitcnt lgkmcnt(0)
	v_cmp_eq_u16_e64 s[16:17], 0, v29
	v_cndmask_b32_e64 v6, 0, v6, s[16:17]
	v_add_u32_e32 v7, v6, v28
	v_or_b32_e32 v6, v29, v9
	v_or_b32_e32 v6, v6, v8
	v_and_b32_e32 v6, 1, v6
	v_and_b32_e32 v5, 1, v3
	v_cmp_eq_u32_e64 s[16:17], 1, v6
	v_mbcnt_lo_u32_b32 v8, -1, 0
	v_cndmask_b32_e64 v9, v5, 1, s[16:17]
	v_and_b32_e32 v6, 0xffffff00, v3
	v_mbcnt_hi_u32_b32 v8, -1, v8
	v_and_b32_e32 v29, 15, v8
	v_or_b32_sdwa v28, v6, v9 dst_sel:DWORD dst_unused:UNUSED_PAD src0_sel:DWORD src1_sel:WORD_0
	v_mov_b32_dpp v30, v7 row_shr:1 row_mask:0xf bank_mask:0xf
	v_cmp_ne_u32_e64 s[16:17], 0, v29
	v_mov_b32_dpp v31, v28 row_shr:1 row_mask:0xf bank_mask:0xf
	s_and_saveexec_b64 s[22:23], s[16:17]
; %bb.69:
	v_and_b32_e32 v28, 1, v9
	v_and_b32_e32 v31, 1, v31
	v_cmp_eq_u32_e64 s[16:17], 1, v28
	v_cndmask_b32_e64 v31, v31, 1, s[16:17]
	v_cmp_eq_u16_e64 s[16:17], 0, v9
	v_cndmask_b32_e64 v9, 0, v30, s[16:17]
	v_add_u32_e32 v7, v9, v7
	v_or_b32_sdwa v28, v6, v31 dst_sel:DWORD dst_unused:UNUSED_PAD src0_sel:DWORD src1_sel:WORD_0
	v_mov_b32_e32 v9, v31
; %bb.70:
	s_or_b64 exec, exec, s[22:23]
	v_mov_b32_dpp v30, v7 row_shr:2 row_mask:0xf bank_mask:0xf
	v_mov_b32_dpp v31, v28 row_shr:2 row_mask:0xf bank_mask:0xf
	v_cmp_lt_u32_e64 s[16:17], 1, v29
	s_and_saveexec_b64 s[22:23], s[16:17]
; %bb.71:
	v_and_b32_e32 v28, 1, v9
	v_and_b32_e32 v31, 1, v31
	v_cmp_eq_u32_e64 s[16:17], 1, v28
	v_cndmask_b32_e64 v31, v31, 1, s[16:17]
	v_cmp_eq_u16_e64 s[16:17], 0, v9
	v_cndmask_b32_e64 v9, 0, v30, s[16:17]
	v_add_u32_e32 v7, v9, v7
	v_or_b32_sdwa v28, v6, v31 dst_sel:DWORD dst_unused:UNUSED_PAD src0_sel:DWORD src1_sel:WORD_0
	v_mov_b32_e32 v9, v31
; %bb.72:
	s_or_b64 exec, exec, s[22:23]
	v_mov_b32_dpp v30, v7 row_shr:4 row_mask:0xf bank_mask:0xf
	v_mov_b32_dpp v31, v28 row_shr:4 row_mask:0xf bank_mask:0xf
	v_cmp_lt_u32_e64 s[16:17], 3, v29
	;; [unrolled: 16-line block ×3, first 2 shown]
	s_and_saveexec_b64 s[22:23], s[16:17]
; %bb.75:
	v_and_b32_e32 v28, 1, v9
	v_and_b32_e32 v29, 1, v31
	v_cmp_eq_u32_e64 s[16:17], 1, v28
	v_cndmask_b32_e64 v29, v29, 1, s[16:17]
	v_cmp_eq_u16_e64 s[16:17], 0, v9
	v_cndmask_b32_e64 v9, 0, v30, s[16:17]
	v_add_u32_e32 v7, v9, v7
	v_or_b32_sdwa v28, v6, v29 dst_sel:DWORD dst_unused:UNUSED_PAD src0_sel:DWORD src1_sel:WORD_0
	v_mov_b32_e32 v9, v29
; %bb.76:
	s_or_b64 exec, exec, s[22:23]
	v_and_b32_e32 v31, 16, v8
	v_mov_b32_dpp v29, v7 row_bcast:15 row_mask:0xf bank_mask:0xf
	v_mov_b32_dpp v30, v28 row_bcast:15 row_mask:0xf bank_mask:0xf
	v_cmp_ne_u32_e64 s[16:17], 0, v31
	s_and_saveexec_b64 s[22:23], s[16:17]
; %bb.77:
	v_and_b32_e32 v28, 1, v9
	v_and_b32_e32 v30, 1, v30
	v_cmp_eq_u32_e64 s[16:17], 1, v28
	v_cndmask_b32_e64 v30, v30, 1, s[16:17]
	v_cmp_eq_u16_e64 s[16:17], 0, v9
	v_cndmask_b32_e64 v9, 0, v29, s[16:17]
	v_add_u32_e32 v7, v9, v7
	v_or_b32_sdwa v28, v6, v30 dst_sel:DWORD dst_unused:UNUSED_PAD src0_sel:DWORD src1_sel:WORD_0
	v_mov_b32_e32 v9, v30
; %bb.78:
	s_or_b64 exec, exec, s[22:23]
	v_mov_b32_dpp v28, v28 row_bcast:31 row_mask:0xf bank_mask:0xf
	v_and_b32_e32 v30, 1, v9
	v_and_b32_e32 v28, 1, v28
	v_cmp_eq_u32_e64 s[16:17], 1, v30
	v_mov_b32_e32 v30, 0
	v_cndmask_b32_e64 v28, v28, 1, s[16:17]
	v_cmp_eq_u16_sdwa s[22:23], v9, v30 src0_sel:BYTE_0 src1_sel:DWORD
	v_cmp_lt_u32_e64 s[16:17], 31, v8
	v_mov_b32_dpp v29, v7 row_bcast:31 row_mask:0xf bank_mask:0xf
	v_cndmask_b32_e64 v9, v9, v28, s[16:17]
	s_and_b64 s[16:17], s[16:17], s[22:23]
	v_cndmask_b32_e64 v28, 0, v29, s[16:17]
	v_add_u32_e32 v7, v28, v7
	v_add_u32_e32 v28, -1, v8
	v_and_b32_e32 v29, 64, v8
	v_cmp_lt_i32_e64 s[16:17], v28, v29
	v_cndmask_b32_e64 v8, v28, v8, s[16:17]
	s_movk_i32 s7, 0xff
	v_lshlrev_b32_e32 v8, 2, v8
	ds_bpermute_b32 v7, v8, v7
	v_and_or_b32 v6, v9, s7, v6
	ds_bpermute_b32 v6, v8, v6
	v_cmp_eq_u16_sdwa s[16:17], v3, v30 src0_sel:BYTE_0 src1_sel:DWORD
	s_waitcnt lgkmcnt(1)
	v_cndmask_b32_e64 v3, 0, v7, s[16:17]
	v_add_u32_e32 v2, v3, v2
	s_waitcnt lgkmcnt(0)
	v_and_b32_e32 v3, 1, v6
	v_cmp_eq_u32_e64 s[16:17], 1, v5
	v_cndmask_b32_e64 v3, v3, 1, s[16:17]
	v_cmp_eq_u32_e64 s[16:17], 0, v0
	v_cndmask_b32_e64 v5, v2, v34, s[16:17]
	v_cndmask_b32_e64 v6, v3, v35, s[16:17]
	; wave barrier
	ds_write_b32 v4, v5
	ds_write_b8 v4, v6 offset:4
	; wave barrier
	ds_read_u8 v7, v4 offset:12
	ds_read2_b32 v[2:3], v4 offset0:2 offset1:4
	ds_read_u8 v8, v4 offset:20
	ds_read_b32 v9, v4 offset:24
	ds_read_u8 v28, v4 offset:28
	s_waitcnt lgkmcnt(4)
	v_cmp_eq_u16_e64 s[16:17], 0, v7
	v_cndmask_b32_e64 v5, 0, v5, s[16:17]
	s_waitcnt lgkmcnt(3)
	v_add_u32_e32 v2, v5, v2
	v_and_b32_e32 v5, 1, v7
	v_cmp_eq_u32_e64 s[16:17], 1, v5
	v_cndmask_b32_e64 v5, v6, 1, s[16:17]
	s_waitcnt lgkmcnt(2)
	v_cmp_eq_u16_e64 s[16:17], 0, v8
	v_cndmask_b32_e64 v6, 0, v2, s[16:17]
	v_add_u32_e32 v3, v6, v3
	v_and_b32_e32 v6, 1, v8
	v_cmp_eq_u32_e64 s[16:17], 1, v6
	ds_write_b8 v4, v5 offset:12
	v_cndmask_b32_e64 v5, v5, 1, s[16:17]
	s_waitcnt lgkmcnt(1)
	v_cmp_eq_u16_e64 s[16:17], 0, v28
	ds_write2_b32 v4, v2, v3 offset0:2 offset1:4
	ds_write_b8 v4, v5 offset:20
	v_cndmask_b32_e64 v2, 0, v3, s[16:17]
	v_and_b32_e32 v3, 1, v28
	v_add_u32_e32 v2, v2, v9
	v_cmp_eq_u32_e64 s[16:17], 1, v3
	v_cndmask_b32_e64 v3, v5, 1, s[16:17]
	ds_write_b32 v4, v2 offset:24
	ds_write_b8 v4, v3 offset:28
.LBB1045_79:
	s_or_b64 exec, exec, s[18:19]
	v_cmp_eq_u32_e64 s[16:17], 0, v0
	v_cmp_ne_u32_e64 s[18:19], 0, v0
	s_waitcnt lgkmcnt(0)
	s_barrier
	s_and_saveexec_b64 s[22:23], s[18:19]
	s_cbranch_execz .LBB1045_81
; %bb.80:
	v_add_u32_e32 v2, -1, v0
	v_lshrrev_b32_e32 v3, 5, v2
	v_add_lshl_u32 v2, v3, v2, 3
	ds_read_b32 v34, v2
	ds_read_u8 v35, v2 offset:4
.LBB1045_81:
	s_or_b64 exec, exec, s[22:23]
	s_and_saveexec_b64 s[36:37], vcc
	s_cbranch_execz .LBB1045_100
; %bb.82:
	v_mov_b32_e32 v5, 0
	ds_read_b64 v[2:3], v5 offset:2096
	v_mbcnt_lo_u32_b32 v4, -1, 0
	v_mbcnt_hi_u32_b32 v45, -1, v4
	s_mov_b32 s43, 0
	v_cmp_eq_u32_e64 s[18:19], 0, v45
	s_waitcnt lgkmcnt(0)
	v_readfirstlane_b32 s7, v3
	s_and_saveexec_b64 s[22:23], s[18:19]
	s_cbranch_execz .LBB1045_84
; %bb.83:
	s_add_i32 s42, s6, 64
	s_lshl_b64 s[44:45], s[42:43], 4
	s_add_u32 s44, s28, s44
	s_addc_u32 s45, s29, s45
	s_and_b32 s47, s7, 0xff000000
	s_mov_b32 s46, s43
	s_and_b32 s49, s7, 0xff0000
	s_mov_b32 s48, s43
	s_or_b64 s[46:47], s[48:49], s[46:47]
	s_and_b32 s49, s7, 0xff00
	s_or_b64 s[46:47], s[46:47], s[48:49]
	s_and_b32 s49, s7, 0xff
	s_or_b64 s[42:43], s[46:47], s[48:49]
	v_mov_b32_e32 v3, s43
	v_mov_b32_e32 v4, 1
	v_pk_mov_b32 v[6:7], s[44:45], s[44:45] op_sel:[0,1]
	;;#ASMSTART
	global_store_dwordx4 v[6:7], v[2:5] off	
s_waitcnt vmcnt(0)
	;;#ASMEND
.LBB1045_84:
	s_or_b64 exec, exec, s[22:23]
	v_xad_u32 v28, v45, -1, s6
	v_add_u32_e32 v4, 64, v28
	v_lshlrev_b64 v[6:7], 4, v[4:5]
	v_mov_b32_e32 v3, s29
	v_add_co_u32_e32 v30, vcc, s28, v6
	v_addc_co_u32_e32 v31, vcc, v3, v7, vcc
	;;#ASMSTART
	global_load_dwordx4 v[6:9], v[30:31] off glc	
s_waitcnt vmcnt(0)
	;;#ASMEND
	v_and_b32_e32 v3, 0xff0000, v6
	v_or_b32_sdwa v3, v6, v3 dst_sel:DWORD dst_unused:UNUSED_PAD src0_sel:WORD_0 src1_sel:DWORD
	v_and_b32_e32 v4, 0xff000000, v6
	v_and_b32_e32 v6, 0xff, v7
	v_or3_b32 v7, 0, 0, v6
	v_or3_b32 v6, v3, v4, 0
	v_cmp_eq_u16_sdwa s[42:43], v8, v5 src0_sel:BYTE_0 src1_sel:DWORD
	s_and_saveexec_b64 s[22:23], s[42:43]
	s_cbranch_execz .LBB1045_88
; %bb.85:
	s_mov_b64 s[42:43], 0
	v_mov_b32_e32 v3, 0
.LBB1045_86:                            ; =>This Inner Loop Header: Depth=1
	;;#ASMSTART
	global_load_dwordx4 v[6:9], v[30:31] off glc	
s_waitcnt vmcnt(0)
	;;#ASMEND
	v_cmp_ne_u16_sdwa s[44:45], v8, v3 src0_sel:BYTE_0 src1_sel:DWORD
	s_or_b64 s[42:43], s[44:45], s[42:43]
	s_andn2_b64 exec, exec, s[42:43]
	s_cbranch_execnz .LBB1045_86
; %bb.87:
	s_or_b64 exec, exec, s[42:43]
	v_and_b32_e32 v7, 0xff, v7
.LBB1045_88:
	s_or_b64 exec, exec, s[22:23]
	v_mov_b32_e32 v3, 2
	v_cmp_eq_u16_sdwa s[22:23], v8, v3 src0_sel:BYTE_0 src1_sel:DWORD
	v_lshlrev_b64 v[4:5], v45, -1
	v_and_b32_e32 v9, s23, v5
	v_or_b32_e32 v9, 0x80000000, v9
	v_and_b32_e32 v29, s22, v4
	v_ffbl_b32_e32 v9, v9
	v_and_b32_e32 v36, 63, v45
	v_add_u32_e32 v9, 32, v9
	v_ffbl_b32_e32 v29, v29
	v_cmp_ne_u32_e32 vcc, 63, v36
	v_min_u32_e32 v9, v29, v9
	v_addc_co_u32_e32 v29, vcc, 0, v45, vcc
	v_lshlrev_b32_e32 v37, 2, v29
	ds_bpermute_b32 v29, v37, v7
	ds_bpermute_b32 v30, v37, v6
	s_mov_b32 s42, 0
	v_and_b32_e32 v31, 1, v7
	s_mov_b32 s43, 1
	s_waitcnt lgkmcnt(1)
	v_and_b32_e32 v29, 1, v29
	v_cmp_eq_u32_e32 vcc, 1, v31
	v_cndmask_b32_e64 v29, v29, 1, vcc
	v_cmp_gt_u64_e32 vcc, s[42:43], v[6:7]
	v_cmp_lt_u32_e64 s[22:23], v36, v9
	s_and_b64 vcc, s[22:23], vcc
	v_and_b32_e32 v31, 0xffff, v29
	v_cndmask_b32_e64 v40, v7, v29, s[22:23]
	s_waitcnt lgkmcnt(0)
	v_cndmask_b32_e32 v29, 0, v30, vcc
	v_cmp_gt_u32_e32 vcc, 62, v36
	v_cndmask_b32_e64 v30, 0, 1, vcc
	v_lshlrev_b32_e32 v30, 1, v30
	v_cndmask_b32_e64 v7, v7, v31, s[22:23]
	v_add_lshl_u32 v38, v30, v45, 2
	ds_bpermute_b32 v30, v38, v7
	v_add_u32_e32 v6, v29, v6
	ds_bpermute_b32 v31, v38, v6
	v_and_b32_e32 v29, 1, v40
	v_cmp_eq_u32_e32 vcc, 1, v29
	s_waitcnt lgkmcnt(1)
	v_and_b32_e32 v30, 1, v30
	v_mov_b32_e32 v29, 0
	v_add_u32_e32 v39, 2, v36
	v_cndmask_b32_e64 v30, v30, 1, vcc
	v_cmp_eq_u16_sdwa vcc, v40, v29 src0_sel:BYTE_0 src1_sel:DWORD
	v_and_b32_e32 v41, 0xffff, v30
	s_waitcnt lgkmcnt(0)
	v_cndmask_b32_e32 v31, 0, v31, vcc
	v_cmp_gt_u32_e32 vcc, v39, v9
	v_cndmask_b32_e32 v30, v30, v40, vcc
	v_cndmask_b32_e64 v31, v31, 0, vcc
	v_cndmask_b32_e32 v7, v41, v7, vcc
	v_cmp_gt_u32_e32 vcc, 60, v36
	v_cndmask_b32_e64 v40, 0, 1, vcc
	v_lshlrev_b32_e32 v40, 2, v40
	v_add_lshl_u32 v40, v40, v45, 2
	ds_bpermute_b32 v42, v40, v7
	v_add_u32_e32 v6, v31, v6
	ds_bpermute_b32 v31, v40, v6
	v_and_b32_e32 v43, 1, v30
	v_cmp_eq_u32_e32 vcc, 1, v43
	s_waitcnt lgkmcnt(1)
	v_and_b32_e32 v42, 1, v42
	v_add_u32_e32 v41, 4, v36
	v_cndmask_b32_e64 v42, v42, 1, vcc
	v_cmp_eq_u16_sdwa vcc, v30, v29 src0_sel:BYTE_0 src1_sel:DWORD
	v_and_b32_e32 v43, 0xffff, v42
	s_waitcnt lgkmcnt(0)
	v_cndmask_b32_e32 v31, 0, v31, vcc
	v_cmp_gt_u32_e32 vcc, v41, v9
	v_cndmask_b32_e32 v30, v42, v30, vcc
	v_cndmask_b32_e64 v31, v31, 0, vcc
	v_cndmask_b32_e32 v7, v43, v7, vcc
	v_cmp_gt_u32_e32 vcc, 56, v36
	v_cndmask_b32_e64 v42, 0, 1, vcc
	v_lshlrev_b32_e32 v42, 3, v42
	v_add_lshl_u32 v42, v42, v45, 2
	ds_bpermute_b32 v44, v42, v7
	v_add_u32_e32 v6, v31, v6
	ds_bpermute_b32 v31, v42, v6
	v_and_b32_e32 v46, 1, v30
	v_cmp_eq_u32_e32 vcc, 1, v46
	s_waitcnt lgkmcnt(1)
	v_and_b32_e32 v44, 1, v44
	;; [unrolled: 21-line block ×4, first 2 shown]
	v_add_u32_e32 v49, 32, v36
	v_cndmask_b32_e64 v7, v7, 1, vcc
	v_cmp_eq_u16_sdwa vcc, v30, v29 src0_sel:BYTE_0 src1_sel:DWORD
	s_waitcnt lgkmcnt(0)
	v_cndmask_b32_e32 v31, 0, v31, vcc
	v_cmp_gt_u32_e32 vcc, v49, v9
	v_cndmask_b32_e64 v9, v31, 0, vcc
	v_cndmask_b32_e32 v7, v7, v30, vcc
	v_add_u32_e32 v6, v9, v6
	s_branch .LBB1045_90
.LBB1045_89:                            ;   in Loop: Header=BB1045_90 Depth=1
	s_or_b64 exec, exec, s[22:23]
	v_cmp_eq_u16_sdwa s[22:23], v8, v3 src0_sel:BYTE_0 src1_sel:DWORD
	v_and_b32_e32 v9, s23, v5
	ds_bpermute_b32 v31, v37, v7
	v_or_b32_e32 v9, 0x80000000, v9
	v_and_b32_e32 v30, s22, v4
	v_ffbl_b32_e32 v9, v9
	v_add_u32_e32 v9, 32, v9
	v_ffbl_b32_e32 v30, v30
	v_min_u32_e32 v9, v30, v9
	ds_bpermute_b32 v30, v37, v6
	v_and_b32_e32 v50, 1, v7
	s_waitcnt lgkmcnt(1)
	v_and_b32_e32 v31, 1, v31
	v_cmp_eq_u32_e32 vcc, 1, v50
	v_cndmask_b32_e64 v31, v31, 1, vcc
	v_cmp_gt_u64_e32 vcc, s[42:43], v[6:7]
	v_and_b32_e32 v50, 0xffff, v31
	v_cmp_lt_u32_e64 s[22:23], v36, v9
	v_cndmask_b32_e64 v31, v7, v31, s[22:23]
	v_cndmask_b32_e64 v7, v7, v50, s[22:23]
	s_and_b64 vcc, s[22:23], vcc
	ds_bpermute_b32 v50, v38, v7
	s_waitcnt lgkmcnt(1)
	v_cndmask_b32_e32 v30, 0, v30, vcc
	v_add_u32_e32 v6, v30, v6
	ds_bpermute_b32 v30, v38, v6
	v_and_b32_e32 v51, 1, v31
	s_waitcnt lgkmcnt(1)
	v_and_b32_e32 v50, 1, v50
	v_cmp_eq_u32_e32 vcc, 1, v51
	v_cndmask_b32_e64 v50, v50, 1, vcc
	v_cmp_eq_u16_sdwa vcc, v31, v29 src0_sel:BYTE_0 src1_sel:DWORD
	v_and_b32_e32 v51, 0xffff, v50
	s_waitcnt lgkmcnt(0)
	v_cndmask_b32_e32 v30, 0, v30, vcc
	v_cmp_gt_u32_e32 vcc, v39, v9
	v_cndmask_b32_e32 v7, v51, v7, vcc
	v_cndmask_b32_e32 v31, v50, v31, vcc
	ds_bpermute_b32 v50, v40, v7
	v_cndmask_b32_e64 v30, v30, 0, vcc
	v_add_u32_e32 v6, v30, v6
	ds_bpermute_b32 v30, v40, v6
	v_and_b32_e32 v51, 1, v31
	s_waitcnt lgkmcnt(1)
	v_and_b32_e32 v50, 1, v50
	v_cmp_eq_u32_e32 vcc, 1, v51
	v_cndmask_b32_e64 v50, v50, 1, vcc
	v_cmp_eq_u16_sdwa vcc, v31, v29 src0_sel:BYTE_0 src1_sel:DWORD
	v_and_b32_e32 v51, 0xffff, v50
	s_waitcnt lgkmcnt(0)
	v_cndmask_b32_e32 v30, 0, v30, vcc
	v_cmp_gt_u32_e32 vcc, v41, v9
	v_cndmask_b32_e32 v7, v51, v7, vcc
	v_cndmask_b32_e32 v31, v50, v31, vcc
	ds_bpermute_b32 v50, v42, v7
	v_cndmask_b32_e64 v30, v30, 0, vcc
	;; [unrolled: 16-line block ×3, first 2 shown]
	v_add_u32_e32 v6, v30, v6
	ds_bpermute_b32 v30, v44, v6
	v_and_b32_e32 v51, 1, v31
	s_waitcnt lgkmcnt(1)
	v_and_b32_e32 v50, 1, v50
	v_cmp_eq_u32_e32 vcc, 1, v51
	v_cndmask_b32_e64 v50, v50, 1, vcc
	v_cmp_eq_u16_sdwa vcc, v31, v29 src0_sel:BYTE_0 src1_sel:DWORD
	v_and_b32_e32 v51, 0xffff, v50
	s_waitcnt lgkmcnt(0)
	v_cndmask_b32_e32 v30, 0, v30, vcc
	v_cmp_gt_u32_e32 vcc, v46, v9
	v_cndmask_b32_e64 v30, v30, 0, vcc
	v_cndmask_b32_e32 v7, v51, v7, vcc
	ds_bpermute_b32 v7, v48, v7
	v_add_u32_e32 v6, v30, v6
	ds_bpermute_b32 v30, v48, v6
	v_cndmask_b32_e32 v31, v50, v31, vcc
	v_and_b32_e32 v50, 1, v31
	v_cmp_eq_u32_e32 vcc, 1, v50
	s_waitcnt lgkmcnt(1)
	v_cndmask_b32_e64 v7, v7, 1, vcc
	v_cmp_eq_u16_sdwa vcc, v31, v29 src0_sel:BYTE_0 src1_sel:DWORD
	s_waitcnt lgkmcnt(0)
	v_cndmask_b32_e32 v30, 0, v30, vcc
	v_cmp_gt_u32_e32 vcc, v49, v9
	v_cndmask_b32_e64 v9, v30, 0, vcc
	v_cndmask_b32_e32 v7, v7, v31, vcc
	v_add_u32_e32 v6, v9, v6
	v_cmp_eq_u16_sdwa vcc, v45, v29 src0_sel:BYTE_0 src1_sel:DWORD
	v_and_b32_e32 v9, 1, v45
	v_cndmask_b32_e32 v6, 0, v6, vcc
	v_and_b32_e32 v7, 1, v7
	v_cmp_eq_u32_e32 vcc, 1, v9
	v_subrev_u32_e32 v28, 64, v28
	v_add_u32_e32 v6, v6, v47
	v_cndmask_b32_e64 v7, v7, 1, vcc
.LBB1045_90:                            ; =>This Loop Header: Depth=1
                                        ;     Child Loop BB1045_93 Depth 2
	v_cmp_ne_u16_sdwa s[22:23], v8, v3 src0_sel:BYTE_0 src1_sel:DWORD
	v_mov_b32_e32 v45, v7
	v_cndmask_b32_e64 v7, 0, 1, s[22:23]
	;;#ASMSTART
	;;#ASMEND
	v_cmp_ne_u32_e32 vcc, 0, v7
	s_cmp_lg_u64 vcc, exec
	v_mov_b32_e32 v47, v6
	s_cbranch_scc1 .LBB1045_95
; %bb.91:                               ;   in Loop: Header=BB1045_90 Depth=1
	v_lshlrev_b64 v[6:7], 4, v[28:29]
	v_mov_b32_e32 v8, s29
	v_add_co_u32_e32 v30, vcc, s28, v6
	v_addc_co_u32_e32 v31, vcc, v8, v7, vcc
	;;#ASMSTART
	global_load_dwordx4 v[6:9], v[30:31] off glc	
s_waitcnt vmcnt(0)
	;;#ASMEND
	v_and_b32_e32 v9, 0xff0000, v6
	v_or_b32_sdwa v9, v6, v9 dst_sel:DWORD dst_unused:UNUSED_PAD src0_sel:WORD_0 src1_sel:DWORD
	v_and_b32_e32 v6, 0xff000000, v6
	v_and_b32_e32 v7, 0xff, v7
	v_or3_b32 v7, 0, 0, v7
	v_or3_b32 v6, v9, v6, 0
	v_cmp_eq_u16_sdwa s[44:45], v8, v29 src0_sel:BYTE_0 src1_sel:DWORD
	s_and_saveexec_b64 s[22:23], s[44:45]
	s_cbranch_execz .LBB1045_89
; %bb.92:                               ;   in Loop: Header=BB1045_90 Depth=1
	s_mov_b64 s[44:45], 0
.LBB1045_93:                            ;   Parent Loop BB1045_90 Depth=1
                                        ; =>  This Inner Loop Header: Depth=2
	;;#ASMSTART
	global_load_dwordx4 v[6:9], v[30:31] off glc	
s_waitcnt vmcnt(0)
	;;#ASMEND
	v_cmp_ne_u16_sdwa s[46:47], v8, v29 src0_sel:BYTE_0 src1_sel:DWORD
	s_or_b64 s[44:45], s[46:47], s[44:45]
	s_andn2_b64 exec, exec, s[44:45]
	s_cbranch_execnz .LBB1045_93
; %bb.94:                               ;   in Loop: Header=BB1045_90 Depth=1
	s_or_b64 exec, exec, s[44:45]
	v_and_b32_e32 v7, 0xff, v7
	s_branch .LBB1045_89
.LBB1045_95:                            ;   in Loop: Header=BB1045_90 Depth=1
                                        ; implicit-def: $vgpr7
                                        ; implicit-def: $vgpr6
                                        ; implicit-def: $vgpr8
	s_cbranch_execz .LBB1045_90
; %bb.96:
	s_and_saveexec_b64 s[22:23], s[18:19]
	s_cbranch_execz .LBB1045_98
; %bb.97:
	s_and_b32 s18, s7, 0xff
	s_cmp_eq_u32 s18, 0
	s_cselect_b64 vcc, -1, 0
	s_bitcmp1_b32 s7, 0
	s_mov_b32 s19, 0
	s_cselect_b64 s[42:43], -1, 0
	s_add_i32 s18, s6, 64
	s_lshl_b64 s[6:7], s[18:19], 4
	v_cndmask_b32_e32 v3, 0, v47, vcc
	s_add_u32 s6, s28, s6
	v_add_u32_e32 v2, v3, v2
	v_and_b32_e32 v3, 1, v45
	s_addc_u32 s7, s29, s7
	v_mov_b32_e32 v5, 0
	v_cndmask_b32_e64 v3, v3, 1, s[42:43]
	v_mov_b32_e32 v4, 2
	v_pk_mov_b32 v[6:7], s[6:7], s[6:7] op_sel:[0,1]
	;;#ASMSTART
	global_store_dwordx4 v[6:7], v[2:5] off	
s_waitcnt vmcnt(0)
	;;#ASMEND
.LBB1045_98:
	s_or_b64 exec, exec, s[22:23]
	s_and_b64 exec, exec, s[16:17]
	s_cbranch_execz .LBB1045_100
; %bb.99:
	v_mov_b32_e32 v2, 0
	ds_write_b32 v2, v47
	ds_write_b8 v2, v45 offset:4
.LBB1045_100:
	s_or_b64 exec, exec, s[36:37]
	v_mov_b32_e32 v2, 0
	s_waitcnt lgkmcnt(0)
	s_barrier
	ds_read_b32 v3, v2
	v_cmp_eq_u16_sdwa vcc, v35, v2 src0_sel:BYTE_0 src1_sel:DWORD
	s_waitcnt lgkmcnt(0)
	v_cndmask_b32_e32 v4, 0, v3, vcc
	v_add_u32_e32 v4, v4, v34
	v_cndmask_b32_e64 v28, v4, v3, s[16:17]
	v_and_b32_e32 v3, 0xff, v11
	v_cmp_eq_u64_e32 vcc, 0, v[2:3]
	v_cndmask_b32_e32 v2, 0, v28, vcc
	v_add_u32_e32 v29, v2, v10
	v_cndmask_b32_e64 v2, 0, v29, s[2:3]
	v_add_u32_e32 v30, v2, v12
	v_cndmask_b32_e64 v2, 0, v30, s[4:5]
	;; [unrolled: 2-line block ×7, first 2 shown]
	v_add_u32_e32 v38, v2, v24
	s_branch .LBB1045_121
.LBB1045_101:
                                        ; implicit-def: $vgpr37
                                        ; implicit-def: $vgpr36
                                        ; implicit-def: $vgpr35
                                        ; implicit-def: $vgpr34
                                        ; implicit-def: $vgpr31
                                        ; implicit-def: $vgpr30
                                        ; implicit-def: $vgpr29
                                        ; implicit-def: $vgpr28
                                        ; implicit-def: $vgpr38
	s_cbranch_execz .LBB1045_121
; %bb.102:
	s_cmp_lg_u64 s[40:41], 0
	s_cselect_b32 s3, s39, 0
	s_cselect_b32 s2, s38, 0
	s_mov_b32 s14, 0
	s_cmp_eq_u64 s[2:3], 0
	v_mov_b32_e32 v4, s33
	s_cbranch_scc1 .LBB1045_104
; %bb.103:
	v_mov_b32_e32 v2, 0
	global_load_dword v4, v2, s[2:3]
.LBB1045_104:
	s_mov_b32 s15, 1
	v_cmp_gt_u64_e32 vcc, s[14:15], v[12:13]
	v_cndmask_b32_e32 v2, 0, v10, vcc
	v_add_u32_e32 v2, v2, v12
	v_cmp_gt_u64_e64 s[2:3], s[14:15], v[14:15]
	v_cndmask_b32_e64 v2, 0, v2, s[2:3]
	v_add_u32_e32 v2, v2, v14
	v_cmp_gt_u64_e64 s[4:5], s[14:15], v[16:17]
	v_cndmask_b32_e64 v2, 0, v2, s[4:5]
	;; [unrolled: 3-line block ×7, first 2 shown]
	v_add_u32_e32 v5, v2, v26
	v_or3_b32 v2, v33, v23, v21
	v_or3_b32 v2, v2, v19, v17
	;; [unrolled: 1-line block ×3, first 2 shown]
	v_and_b32_e32 v2, 1, v2
	v_cmp_eq_u32_e64 s[14:15], 1, v2
	v_cndmask_b32_e64 v6, v11, 1, s[14:15]
	v_add_lshl_u32 v1, v1, v0, 3
	v_cmp_gt_u32_e64 s[14:15], 64, v0
	ds_write_b32 v1, v5
	ds_write_b8 v1, v6 offset:4
	s_waitcnt lgkmcnt(0)
	s_barrier
	s_and_saveexec_b64 s[16:17], s[14:15]
	s_cbranch_execz .LBB1045_116
; %bb.105:
	v_lshlrev_b32_e32 v1, 2, v0
	v_lshrrev_b32_e32 v2, 3, v0
	v_add_lshl_u32 v1, v2, v1, 3
	ds_read2_b32 v[8:9], v1 offset0:2 offset1:4
	ds_read_b64 v[2:3], v1
	ds_read_u8 v13, v1 offset:12
	ds_read_u8 v15, v1 offset:20
	ds_read_b32 v17, v1 offset:24
	ds_read_u8 v19, v1 offset:28
	v_mov_b32_e32 v21, 0
	s_waitcnt lgkmcnt(3)
	v_cmp_eq_u16_sdwa s[14:15], v13, v21 src0_sel:BYTE_0 src1_sel:DWORD
	v_cndmask_b32_e64 v23, 0, v2, s[14:15]
	v_add_u32_e32 v8, v23, v8
	s_waitcnt lgkmcnt(2)
	v_cmp_eq_u16_sdwa s[14:15], v15, v21 src0_sel:BYTE_0 src1_sel:DWORD
	v_cndmask_b32_e64 v8, 0, v8, s[14:15]
	v_add_u32_e32 v8, v8, v9
	s_waitcnt lgkmcnt(0)
	v_cmp_eq_u16_e64 s[14:15], 0, v19
	v_cndmask_b32_e64 v8, 0, v8, s[14:15]
	v_add_u32_e32 v9, v8, v17
	v_or_b32_e32 v8, v19, v15
	v_or_b32_e32 v8, v8, v13
	v_and_b32_e32 v8, 1, v8
	v_and_b32_e32 v7, 1, v3
	v_cmp_eq_u32_e64 s[14:15], 1, v8
	v_mbcnt_lo_u32_b32 v13, -1, 0
	v_cndmask_b32_e64 v15, v7, 1, s[14:15]
	v_and_b32_e32 v8, 0xffffff00, v3
	v_mbcnt_hi_u32_b32 v13, -1, v13
	v_and_b32_e32 v19, 15, v13
	v_or_b32_sdwa v17, v8, v15 dst_sel:DWORD dst_unused:UNUSED_PAD src0_sel:DWORD src1_sel:WORD_0
	v_mov_b32_dpp v21, v9 row_shr:1 row_mask:0xf bank_mask:0xf
	v_cmp_ne_u32_e64 s[14:15], 0, v19
	v_mov_b32_dpp v23, v17 row_shr:1 row_mask:0xf bank_mask:0xf
	s_and_saveexec_b64 s[18:19], s[14:15]
; %bb.106:
	v_and_b32_e32 v17, 1, v15
	v_and_b32_e32 v23, 1, v23
	v_cmp_eq_u32_e64 s[14:15], 1, v17
	v_cndmask_b32_e64 v23, v23, 1, s[14:15]
	v_cmp_eq_u16_e64 s[14:15], 0, v15
	v_cndmask_b32_e64 v15, 0, v21, s[14:15]
	v_add_u32_e32 v9, v15, v9
	v_or_b32_sdwa v17, v8, v23 dst_sel:DWORD dst_unused:UNUSED_PAD src0_sel:DWORD src1_sel:WORD_0
	v_mov_b32_e32 v15, v23
; %bb.107:
	s_or_b64 exec, exec, s[18:19]
	v_mov_b32_dpp v21, v9 row_shr:2 row_mask:0xf bank_mask:0xf
	v_mov_b32_dpp v23, v17 row_shr:2 row_mask:0xf bank_mask:0xf
	v_cmp_lt_u32_e64 s[14:15], 1, v19
	s_and_saveexec_b64 s[18:19], s[14:15]
; %bb.108:
	v_and_b32_e32 v17, 1, v15
	v_and_b32_e32 v23, 1, v23
	v_cmp_eq_u32_e64 s[14:15], 1, v17
	v_cndmask_b32_e64 v23, v23, 1, s[14:15]
	v_cmp_eq_u16_e64 s[14:15], 0, v15
	v_cndmask_b32_e64 v15, 0, v21, s[14:15]
	v_add_u32_e32 v9, v15, v9
	v_or_b32_sdwa v17, v8, v23 dst_sel:DWORD dst_unused:UNUSED_PAD src0_sel:DWORD src1_sel:WORD_0
	v_mov_b32_e32 v15, v23
; %bb.109:
	s_or_b64 exec, exec, s[18:19]
	v_mov_b32_dpp v21, v9 row_shr:4 row_mask:0xf bank_mask:0xf
	v_mov_b32_dpp v23, v17 row_shr:4 row_mask:0xf bank_mask:0xf
	v_cmp_lt_u32_e64 s[14:15], 3, v19
	;; [unrolled: 16-line block ×3, first 2 shown]
	s_and_saveexec_b64 s[18:19], s[14:15]
; %bb.112:
	v_and_b32_e32 v17, 1, v15
	v_and_b32_e32 v19, 1, v23
	v_cmp_eq_u32_e64 s[14:15], 1, v17
	v_cndmask_b32_e64 v19, v19, 1, s[14:15]
	v_cmp_eq_u16_e64 s[14:15], 0, v15
	v_cndmask_b32_e64 v15, 0, v21, s[14:15]
	v_add_u32_e32 v9, v15, v9
	v_or_b32_sdwa v17, v8, v19 dst_sel:DWORD dst_unused:UNUSED_PAD src0_sel:DWORD src1_sel:WORD_0
	v_mov_b32_e32 v15, v19
; %bb.113:
	s_or_b64 exec, exec, s[18:19]
	v_and_b32_e32 v23, 16, v13
	v_mov_b32_dpp v19, v9 row_bcast:15 row_mask:0xf bank_mask:0xf
	v_mov_b32_dpp v21, v17 row_bcast:15 row_mask:0xf bank_mask:0xf
	v_cmp_ne_u32_e64 s[14:15], 0, v23
	s_and_saveexec_b64 s[18:19], s[14:15]
; %bb.114:
	v_and_b32_e32 v17, 1, v15
	v_and_b32_e32 v21, 1, v21
	v_cmp_eq_u32_e64 s[14:15], 1, v17
	v_cndmask_b32_e64 v21, v21, 1, s[14:15]
	v_cmp_eq_u16_e64 s[14:15], 0, v15
	v_cndmask_b32_e64 v15, 0, v19, s[14:15]
	v_add_u32_e32 v9, v15, v9
	v_or_b32_sdwa v17, v8, v21 dst_sel:DWORD dst_unused:UNUSED_PAD src0_sel:DWORD src1_sel:WORD_0
	v_mov_b32_e32 v15, v21
; %bb.115:
	s_or_b64 exec, exec, s[18:19]
	v_mov_b32_dpp v17, v17 row_bcast:31 row_mask:0xf bank_mask:0xf
	v_and_b32_e32 v21, 1, v15
	v_and_b32_e32 v17, 1, v17
	v_cmp_eq_u32_e64 s[14:15], 1, v21
	v_mov_b32_e32 v21, 0
	v_cndmask_b32_e64 v17, v17, 1, s[14:15]
	v_cmp_eq_u16_sdwa s[18:19], v15, v21 src0_sel:BYTE_0 src1_sel:DWORD
	v_cmp_lt_u32_e64 s[14:15], 31, v13
	v_mov_b32_dpp v19, v9 row_bcast:31 row_mask:0xf bank_mask:0xf
	v_cndmask_b32_e64 v15, v15, v17, s[14:15]
	s_and_b64 s[14:15], s[14:15], s[18:19]
	v_cndmask_b32_e64 v17, 0, v19, s[14:15]
	v_add_u32_e32 v9, v17, v9
	v_add_u32_e32 v17, -1, v13
	v_and_b32_e32 v19, 64, v13
	v_cmp_lt_i32_e64 s[14:15], v17, v19
	v_cndmask_b32_e64 v13, v17, v13, s[14:15]
	s_movk_i32 s20, 0xff
	v_lshlrev_b32_e32 v13, 2, v13
	ds_bpermute_b32 v9, v13, v9
	v_and_or_b32 v8, v15, s20, v8
	ds_bpermute_b32 v8, v13, v8
	v_cmp_eq_u16_sdwa s[14:15], v3, v21 src0_sel:BYTE_0 src1_sel:DWORD
	s_waitcnt lgkmcnt(1)
	v_cndmask_b32_e64 v3, 0, v9, s[14:15]
	v_add_u32_e32 v2, v3, v2
	s_waitcnt lgkmcnt(0)
	v_and_b32_e32 v3, 1, v8
	v_cmp_eq_u32_e64 s[14:15], 1, v7
	v_cndmask_b32_e64 v3, v3, 1, s[14:15]
	v_cmp_eq_u32_e64 s[14:15], 0, v0
	v_cndmask_b32_e64 v5, v2, v5, s[14:15]
	v_cndmask_b32_e64 v6, v3, v6, s[14:15]
	; wave barrier
	ds_write_b32 v1, v5
	ds_write_b8 v1, v6 offset:4
	; wave barrier
	ds_read_u8 v7, v1 offset:12
	ds_read2_b32 v[2:3], v1 offset0:2 offset1:4
	ds_read_u8 v8, v1 offset:20
	ds_read_b32 v9, v1 offset:24
	ds_read_u8 v13, v1 offset:28
	s_waitcnt lgkmcnt(4)
	v_cmp_eq_u16_e64 s[14:15], 0, v7
	v_cndmask_b32_e64 v5, 0, v5, s[14:15]
	s_waitcnt lgkmcnt(3)
	v_add_u32_e32 v2, v5, v2
	v_and_b32_e32 v5, 1, v7
	v_cmp_eq_u32_e64 s[14:15], 1, v5
	v_cndmask_b32_e64 v5, v6, 1, s[14:15]
	s_waitcnt lgkmcnt(2)
	v_cmp_eq_u16_e64 s[14:15], 0, v8
	v_cndmask_b32_e64 v6, 0, v2, s[14:15]
	v_add_u32_e32 v3, v6, v3
	v_and_b32_e32 v6, 1, v8
	v_cmp_eq_u32_e64 s[14:15], 1, v6
	ds_write_b8 v1, v5 offset:12
	v_cndmask_b32_e64 v5, v5, 1, s[14:15]
	s_waitcnt lgkmcnt(1)
	v_cmp_eq_u16_e64 s[14:15], 0, v13
	ds_write2_b32 v1, v2, v3 offset0:2 offset1:4
	ds_write_b8 v1, v5 offset:20
	v_cndmask_b32_e64 v2, 0, v3, s[14:15]
	v_and_b32_e32 v3, 1, v13
	v_add_u32_e32 v2, v2, v9
	v_cmp_eq_u32_e64 s[14:15], 1, v3
	v_cndmask_b32_e64 v3, v5, 1, s[14:15]
	ds_write_b32 v1, v2 offset:24
	ds_write_b8 v1, v3 offset:28
.LBB1045_116:
	s_or_b64 exec, exec, s[16:17]
	v_cmp_eq_u32_e64 s[14:15], 0, v0
	v_cmp_ne_u32_e64 s[16:17], 0, v0
	s_waitcnt vmcnt(0)
	v_mov_b32_e32 v28, v4
	s_waitcnt lgkmcnt(0)
	s_barrier
	s_and_saveexec_b64 s[18:19], s[16:17]
	s_cbranch_execz .LBB1045_118
; %bb.117:
	v_add_u32_e32 v1, -1, v0
	v_lshrrev_b32_e32 v2, 5, v1
	v_add_lshl_u32 v1, v2, v1, 3
	ds_read_u8 v2, v1 offset:4
	ds_read_b32 v1, v1
	s_waitcnt lgkmcnt(1)
	v_cmp_eq_u16_e64 s[16:17], 0, v2
	v_cndmask_b32_e64 v2, 0, v4, s[16:17]
	s_waitcnt lgkmcnt(0)
	v_add_u32_e32 v28, v2, v1
.LBB1045_118:
	s_or_b64 exec, exec, s[18:19]
	v_and_b32_e32 v3, 0xff, v11
	v_mov_b32_e32 v2, 0
	v_cmp_eq_u64_e64 s[16:17], 0, v[2:3]
	v_cndmask_b32_e64 v1, 0, v28, s[16:17]
	v_add_u32_e32 v29, v1, v10
	v_cndmask_b32_e32 v1, 0, v29, vcc
	v_add_u32_e32 v30, v1, v12
	v_cndmask_b32_e64 v1, 0, v30, s[2:3]
	v_add_u32_e32 v31, v1, v14
	v_cndmask_b32_e64 v1, 0, v31, s[4:5]
	;; [unrolled: 2-line block ×6, first 2 shown]
	s_and_saveexec_b64 s[2:3], s[14:15]
	s_cbranch_execz .LBB1045_120
; %bb.119:
	ds_read_u8 v3, v2 offset:2100
	ds_read_b32 v5, v2 offset:2096
	s_add_u32 s4, s28, 0x400
	s_addc_u32 s5, s29, 0
	v_mov_b32_e32 v6, 2
	s_waitcnt lgkmcnt(1)
	v_cmp_eq_u16_e32 vcc, 0, v3
	v_cndmask_b32_e32 v4, 0, v4, vcc
	s_waitcnt lgkmcnt(0)
	v_add_u32_e32 v4, v4, v5
	v_and_b32_e32 v5, 0xffff, v3
	v_mov_b32_e32 v7, v2
	v_pk_mov_b32 v[2:3], s[4:5], s[4:5] op_sel:[0,1]
	;;#ASMSTART
	global_store_dwordx4 v[2:3], v[4:7] off	
s_waitcnt vmcnt(0)
	;;#ASMEND
.LBB1045_120:
	s_or_b64 exec, exec, s[2:3]
	v_add_u32_e32 v38, v1, v24
.LBB1045_121:
	s_add_u32 s2, s26, s34
	s_addc_u32 s3, s27, s35
	s_add_u32 s4, s2, s24
	s_addc_u32 s5, s3, s25
	s_and_b64 vcc, exec, s[0:1]
	v_mul_u32_u24_e32 v12, 36, v0
	v_lshlrev_b32_e32 v13, 5, v0
	s_cbranch_vccz .LBB1045_139
; %bb.122:
	v_sub_u32_e32 v2, v12, v13
	s_barrier
	ds_write2_b32 v12, v28, v29 offset1:1
	ds_write2_b32 v12, v30, v31 offset0:2 offset1:3
	ds_write2_b32 v12, v34, v35 offset0:4 offset1:5
	;; [unrolled: 1-line block ×3, first 2 shown]
	ds_write_b32 v12, v38 offset:32
	s_waitcnt lgkmcnt(0)
	s_barrier
	ds_read2st64_b32 v[10:11], v2 offset0:4 offset1:8
	ds_read2st64_b32 v[8:9], v2 offset0:12 offset1:16
	;; [unrolled: 1-line block ×4, first 2 shown]
	v_mov_b32_e32 v5, s5
	v_add_co_u32_e32 v4, vcc, s4, v32
	s_add_i32 s31, s31, s30
	v_addc_co_u32_e32 v5, vcc, 0, v5, vcc
	v_mov_b32_e32 v1, 0
	v_cmp_gt_u32_e32 vcc, s31, v0
	s_and_saveexec_b64 s[0:1], vcc
	s_cbranch_execz .LBB1045_124
; %bb.123:
	v_sub_u32_e32 v14, 0, v13
	v_add_u32_e32 v14, v12, v14
	ds_read_b32 v14, v14
	s_waitcnt lgkmcnt(0)
	flat_store_short v[4:5], v14
.LBB1045_124:
	s_or_b64 exec, exec, s[0:1]
	v_or_b32_e32 v14, 0x100, v0
	v_cmp_gt_u32_e32 vcc, s31, v14
	s_and_saveexec_b64 s[0:1], vcc
	s_cbranch_execz .LBB1045_126
; %bb.125:
	s_waitcnt lgkmcnt(0)
	flat_store_short v[4:5], v10 offset:512
.LBB1045_126:
	s_or_b64 exec, exec, s[0:1]
	s_waitcnt lgkmcnt(0)
	v_or_b32_e32 v10, 0x200, v0
	v_cmp_gt_u32_e32 vcc, s31, v10
	s_and_saveexec_b64 s[0:1], vcc
	s_cbranch_execz .LBB1045_128
; %bb.127:
	flat_store_short v[4:5], v11 offset:1024
.LBB1045_128:
	s_or_b64 exec, exec, s[0:1]
	v_or_b32_e32 v10, 0x300, v0
	v_cmp_gt_u32_e32 vcc, s31, v10
	s_and_saveexec_b64 s[0:1], vcc
	s_cbranch_execz .LBB1045_130
; %bb.129:
	flat_store_short v[4:5], v8 offset:1536
.LBB1045_130:
	s_or_b64 exec, exec, s[0:1]
	;; [unrolled: 8-line block ×6, first 2 shown]
	v_or_b32_e32 v2, 0x800, v0
	v_cmp_gt_u32_e64 s[0:1], s31, v2
	s_branch .LBB1045_141
.LBB1045_139:
	s_mov_b64 s[0:1], 0
                                        ; implicit-def: $vgpr3
	s_cbranch_execz .LBB1045_141
; %bb.140:
	v_sub_u32_e32 v2, v12, v13
	s_waitcnt lgkmcnt(0)
	s_barrier
	ds_write2_b32 v12, v28, v29 offset1:1
	ds_write2_b32 v12, v30, v31 offset0:2 offset1:3
	ds_write2_b32 v12, v34, v35 offset0:4 offset1:5
	;; [unrolled: 1-line block ×3, first 2 shown]
	ds_write_b32 v12, v38 offset:32
	s_waitcnt lgkmcnt(0)
	s_barrier
	ds_read2st64_b32 v[4:5], v2 offset1:4
	ds_read2st64_b32 v[6:7], v2 offset0:8 offset1:12
	ds_read2st64_b32 v[8:9], v2 offset0:16 offset1:20
	;; [unrolled: 1-line block ×3, first 2 shown]
	ds_read_b32 v3, v2 offset:8192
	v_mov_b32_e32 v2, s5
	v_add_co_u32_e32 v12, vcc, s4, v32
	v_mov_b32_e32 v1, 0
	v_addc_co_u32_e32 v13, vcc, 0, v2, vcc
	s_or_b64 s[0:1], s[0:1], exec
	s_waitcnt lgkmcnt(0)
	flat_store_short v[12:13], v4
	flat_store_short v[12:13], v5 offset:512
	flat_store_short v[12:13], v6 offset:1024
	;; [unrolled: 1-line block ×7, first 2 shown]
.LBB1045_141:
	s_and_saveexec_b64 s[2:3], s[0:1]
	s_cbranch_execz .LBB1045_143
; %bb.142:
	v_lshlrev_b64 v[0:1], 1, v[0:1]
	v_mov_b32_e32 v2, s5
	v_add_co_u32_e32 v0, vcc, s4, v0
	v_addc_co_u32_e32 v1, vcc, v2, v1, vcc
	v_add_co_u32_e32 v0, vcc, 0x1000, v0
	v_addc_co_u32_e32 v1, vcc, 0, v1, vcc
	flat_store_short v[0:1], v3
	s_endpgm
.LBB1045_143:
	s_endpgm
	.section	.rodata,"a",@progbits
	.p2align	6, 0x0
	.amdhsa_kernel _ZN7rocprim17ROCPRIM_400000_NS6detail17trampoline_kernelINS0_14default_configENS1_27scan_by_key_config_selectorIsiEEZZNS1_16scan_by_key_implILNS1_25lookback_scan_determinismE0ELb1ES3_N6thrust23THRUST_200600_302600_NS6detail15normal_iteratorINS9_10device_ptrIsEEEESE_SE_iNS9_4plusIvEENS9_8equal_toIvEEiEE10hipError_tPvRmT2_T3_T4_T5_mT6_T7_P12ihipStream_tbENKUlT_T0_E_clISt17integral_constantIbLb0EESZ_EEDaSU_SV_EUlSU_E_NS1_11comp_targetILNS1_3genE4ELNS1_11target_archE910ELNS1_3gpuE8ELNS1_3repE0EEENS1_30default_config_static_selectorELNS0_4arch9wavefront6targetE1EEEvT1_
		.amdhsa_group_segment_fixed_size 9216
		.amdhsa_private_segment_fixed_size 0
		.amdhsa_kernarg_size 112
		.amdhsa_user_sgpr_count 6
		.amdhsa_user_sgpr_private_segment_buffer 1
		.amdhsa_user_sgpr_dispatch_ptr 0
		.amdhsa_user_sgpr_queue_ptr 0
		.amdhsa_user_sgpr_kernarg_segment_ptr 1
		.amdhsa_user_sgpr_dispatch_id 0
		.amdhsa_user_sgpr_flat_scratch_init 0
		.amdhsa_user_sgpr_kernarg_preload_length 0
		.amdhsa_user_sgpr_kernarg_preload_offset 0
		.amdhsa_user_sgpr_private_segment_size 0
		.amdhsa_uses_dynamic_stack 0
		.amdhsa_system_sgpr_private_segment_wavefront_offset 0
		.amdhsa_system_sgpr_workgroup_id_x 1
		.amdhsa_system_sgpr_workgroup_id_y 0
		.amdhsa_system_sgpr_workgroup_id_z 0
		.amdhsa_system_sgpr_workgroup_info 0
		.amdhsa_system_vgpr_workitem_id 0
		.amdhsa_next_free_vgpr 52
		.amdhsa_next_free_sgpr 50
		.amdhsa_accum_offset 52
		.amdhsa_reserve_vcc 1
		.amdhsa_reserve_flat_scratch 0
		.amdhsa_float_round_mode_32 0
		.amdhsa_float_round_mode_16_64 0
		.amdhsa_float_denorm_mode_32 3
		.amdhsa_float_denorm_mode_16_64 3
		.amdhsa_dx10_clamp 1
		.amdhsa_ieee_mode 1
		.amdhsa_fp16_overflow 0
		.amdhsa_tg_split 0
		.amdhsa_exception_fp_ieee_invalid_op 0
		.amdhsa_exception_fp_denorm_src 0
		.amdhsa_exception_fp_ieee_div_zero 0
		.amdhsa_exception_fp_ieee_overflow 0
		.amdhsa_exception_fp_ieee_underflow 0
		.amdhsa_exception_fp_ieee_inexact 0
		.amdhsa_exception_int_div_zero 0
	.end_amdhsa_kernel
	.section	.text._ZN7rocprim17ROCPRIM_400000_NS6detail17trampoline_kernelINS0_14default_configENS1_27scan_by_key_config_selectorIsiEEZZNS1_16scan_by_key_implILNS1_25lookback_scan_determinismE0ELb1ES3_N6thrust23THRUST_200600_302600_NS6detail15normal_iteratorINS9_10device_ptrIsEEEESE_SE_iNS9_4plusIvEENS9_8equal_toIvEEiEE10hipError_tPvRmT2_T3_T4_T5_mT6_T7_P12ihipStream_tbENKUlT_T0_E_clISt17integral_constantIbLb0EESZ_EEDaSU_SV_EUlSU_E_NS1_11comp_targetILNS1_3genE4ELNS1_11target_archE910ELNS1_3gpuE8ELNS1_3repE0EEENS1_30default_config_static_selectorELNS0_4arch9wavefront6targetE1EEEvT1_,"axG",@progbits,_ZN7rocprim17ROCPRIM_400000_NS6detail17trampoline_kernelINS0_14default_configENS1_27scan_by_key_config_selectorIsiEEZZNS1_16scan_by_key_implILNS1_25lookback_scan_determinismE0ELb1ES3_N6thrust23THRUST_200600_302600_NS6detail15normal_iteratorINS9_10device_ptrIsEEEESE_SE_iNS9_4plusIvEENS9_8equal_toIvEEiEE10hipError_tPvRmT2_T3_T4_T5_mT6_T7_P12ihipStream_tbENKUlT_T0_E_clISt17integral_constantIbLb0EESZ_EEDaSU_SV_EUlSU_E_NS1_11comp_targetILNS1_3genE4ELNS1_11target_archE910ELNS1_3gpuE8ELNS1_3repE0EEENS1_30default_config_static_selectorELNS0_4arch9wavefront6targetE1EEEvT1_,comdat
.Lfunc_end1045:
	.size	_ZN7rocprim17ROCPRIM_400000_NS6detail17trampoline_kernelINS0_14default_configENS1_27scan_by_key_config_selectorIsiEEZZNS1_16scan_by_key_implILNS1_25lookback_scan_determinismE0ELb1ES3_N6thrust23THRUST_200600_302600_NS6detail15normal_iteratorINS9_10device_ptrIsEEEESE_SE_iNS9_4plusIvEENS9_8equal_toIvEEiEE10hipError_tPvRmT2_T3_T4_T5_mT6_T7_P12ihipStream_tbENKUlT_T0_E_clISt17integral_constantIbLb0EESZ_EEDaSU_SV_EUlSU_E_NS1_11comp_targetILNS1_3genE4ELNS1_11target_archE910ELNS1_3gpuE8ELNS1_3repE0EEENS1_30default_config_static_selectorELNS0_4arch9wavefront6targetE1EEEvT1_, .Lfunc_end1045-_ZN7rocprim17ROCPRIM_400000_NS6detail17trampoline_kernelINS0_14default_configENS1_27scan_by_key_config_selectorIsiEEZZNS1_16scan_by_key_implILNS1_25lookback_scan_determinismE0ELb1ES3_N6thrust23THRUST_200600_302600_NS6detail15normal_iteratorINS9_10device_ptrIsEEEESE_SE_iNS9_4plusIvEENS9_8equal_toIvEEiEE10hipError_tPvRmT2_T3_T4_T5_mT6_T7_P12ihipStream_tbENKUlT_T0_E_clISt17integral_constantIbLb0EESZ_EEDaSU_SV_EUlSU_E_NS1_11comp_targetILNS1_3genE4ELNS1_11target_archE910ELNS1_3gpuE8ELNS1_3repE0EEENS1_30default_config_static_selectorELNS0_4arch9wavefront6targetE1EEEvT1_
                                        ; -- End function
	.section	.AMDGPU.csdata,"",@progbits
; Kernel info:
; codeLenInByte = 9156
; NumSgprs: 54
; NumVgprs: 52
; NumAgprs: 0
; TotalNumVgprs: 52
; ScratchSize: 0
; MemoryBound: 0
; FloatMode: 240
; IeeeMode: 1
; LDSByteSize: 9216 bytes/workgroup (compile time only)
; SGPRBlocks: 6
; VGPRBlocks: 6
; NumSGPRsForWavesPerEU: 54
; NumVGPRsForWavesPerEU: 52
; AccumOffset: 52
; Occupancy: 7
; WaveLimiterHint : 1
; COMPUTE_PGM_RSRC2:SCRATCH_EN: 0
; COMPUTE_PGM_RSRC2:USER_SGPR: 6
; COMPUTE_PGM_RSRC2:TRAP_HANDLER: 0
; COMPUTE_PGM_RSRC2:TGID_X_EN: 1
; COMPUTE_PGM_RSRC2:TGID_Y_EN: 0
; COMPUTE_PGM_RSRC2:TGID_Z_EN: 0
; COMPUTE_PGM_RSRC2:TIDIG_COMP_CNT: 0
; COMPUTE_PGM_RSRC3_GFX90A:ACCUM_OFFSET: 12
; COMPUTE_PGM_RSRC3_GFX90A:TG_SPLIT: 0
	.section	.text._ZN7rocprim17ROCPRIM_400000_NS6detail17trampoline_kernelINS0_14default_configENS1_27scan_by_key_config_selectorIsiEEZZNS1_16scan_by_key_implILNS1_25lookback_scan_determinismE0ELb1ES3_N6thrust23THRUST_200600_302600_NS6detail15normal_iteratorINS9_10device_ptrIsEEEESE_SE_iNS9_4plusIvEENS9_8equal_toIvEEiEE10hipError_tPvRmT2_T3_T4_T5_mT6_T7_P12ihipStream_tbENKUlT_T0_E_clISt17integral_constantIbLb0EESZ_EEDaSU_SV_EUlSU_E_NS1_11comp_targetILNS1_3genE3ELNS1_11target_archE908ELNS1_3gpuE7ELNS1_3repE0EEENS1_30default_config_static_selectorELNS0_4arch9wavefront6targetE1EEEvT1_,"axG",@progbits,_ZN7rocprim17ROCPRIM_400000_NS6detail17trampoline_kernelINS0_14default_configENS1_27scan_by_key_config_selectorIsiEEZZNS1_16scan_by_key_implILNS1_25lookback_scan_determinismE0ELb1ES3_N6thrust23THRUST_200600_302600_NS6detail15normal_iteratorINS9_10device_ptrIsEEEESE_SE_iNS9_4plusIvEENS9_8equal_toIvEEiEE10hipError_tPvRmT2_T3_T4_T5_mT6_T7_P12ihipStream_tbENKUlT_T0_E_clISt17integral_constantIbLb0EESZ_EEDaSU_SV_EUlSU_E_NS1_11comp_targetILNS1_3genE3ELNS1_11target_archE908ELNS1_3gpuE7ELNS1_3repE0EEENS1_30default_config_static_selectorELNS0_4arch9wavefront6targetE1EEEvT1_,comdat
	.protected	_ZN7rocprim17ROCPRIM_400000_NS6detail17trampoline_kernelINS0_14default_configENS1_27scan_by_key_config_selectorIsiEEZZNS1_16scan_by_key_implILNS1_25lookback_scan_determinismE0ELb1ES3_N6thrust23THRUST_200600_302600_NS6detail15normal_iteratorINS9_10device_ptrIsEEEESE_SE_iNS9_4plusIvEENS9_8equal_toIvEEiEE10hipError_tPvRmT2_T3_T4_T5_mT6_T7_P12ihipStream_tbENKUlT_T0_E_clISt17integral_constantIbLb0EESZ_EEDaSU_SV_EUlSU_E_NS1_11comp_targetILNS1_3genE3ELNS1_11target_archE908ELNS1_3gpuE7ELNS1_3repE0EEENS1_30default_config_static_selectorELNS0_4arch9wavefront6targetE1EEEvT1_ ; -- Begin function _ZN7rocprim17ROCPRIM_400000_NS6detail17trampoline_kernelINS0_14default_configENS1_27scan_by_key_config_selectorIsiEEZZNS1_16scan_by_key_implILNS1_25lookback_scan_determinismE0ELb1ES3_N6thrust23THRUST_200600_302600_NS6detail15normal_iteratorINS9_10device_ptrIsEEEESE_SE_iNS9_4plusIvEENS9_8equal_toIvEEiEE10hipError_tPvRmT2_T3_T4_T5_mT6_T7_P12ihipStream_tbENKUlT_T0_E_clISt17integral_constantIbLb0EESZ_EEDaSU_SV_EUlSU_E_NS1_11comp_targetILNS1_3genE3ELNS1_11target_archE908ELNS1_3gpuE7ELNS1_3repE0EEENS1_30default_config_static_selectorELNS0_4arch9wavefront6targetE1EEEvT1_
	.globl	_ZN7rocprim17ROCPRIM_400000_NS6detail17trampoline_kernelINS0_14default_configENS1_27scan_by_key_config_selectorIsiEEZZNS1_16scan_by_key_implILNS1_25lookback_scan_determinismE0ELb1ES3_N6thrust23THRUST_200600_302600_NS6detail15normal_iteratorINS9_10device_ptrIsEEEESE_SE_iNS9_4plusIvEENS9_8equal_toIvEEiEE10hipError_tPvRmT2_T3_T4_T5_mT6_T7_P12ihipStream_tbENKUlT_T0_E_clISt17integral_constantIbLb0EESZ_EEDaSU_SV_EUlSU_E_NS1_11comp_targetILNS1_3genE3ELNS1_11target_archE908ELNS1_3gpuE7ELNS1_3repE0EEENS1_30default_config_static_selectorELNS0_4arch9wavefront6targetE1EEEvT1_
	.p2align	8
	.type	_ZN7rocprim17ROCPRIM_400000_NS6detail17trampoline_kernelINS0_14default_configENS1_27scan_by_key_config_selectorIsiEEZZNS1_16scan_by_key_implILNS1_25lookback_scan_determinismE0ELb1ES3_N6thrust23THRUST_200600_302600_NS6detail15normal_iteratorINS9_10device_ptrIsEEEESE_SE_iNS9_4plusIvEENS9_8equal_toIvEEiEE10hipError_tPvRmT2_T3_T4_T5_mT6_T7_P12ihipStream_tbENKUlT_T0_E_clISt17integral_constantIbLb0EESZ_EEDaSU_SV_EUlSU_E_NS1_11comp_targetILNS1_3genE3ELNS1_11target_archE908ELNS1_3gpuE7ELNS1_3repE0EEENS1_30default_config_static_selectorELNS0_4arch9wavefront6targetE1EEEvT1_,@function
_ZN7rocprim17ROCPRIM_400000_NS6detail17trampoline_kernelINS0_14default_configENS1_27scan_by_key_config_selectorIsiEEZZNS1_16scan_by_key_implILNS1_25lookback_scan_determinismE0ELb1ES3_N6thrust23THRUST_200600_302600_NS6detail15normal_iteratorINS9_10device_ptrIsEEEESE_SE_iNS9_4plusIvEENS9_8equal_toIvEEiEE10hipError_tPvRmT2_T3_T4_T5_mT6_T7_P12ihipStream_tbENKUlT_T0_E_clISt17integral_constantIbLb0EESZ_EEDaSU_SV_EUlSU_E_NS1_11comp_targetILNS1_3genE3ELNS1_11target_archE908ELNS1_3gpuE7ELNS1_3repE0EEENS1_30default_config_static_selectorELNS0_4arch9wavefront6targetE1EEEvT1_: ; @_ZN7rocprim17ROCPRIM_400000_NS6detail17trampoline_kernelINS0_14default_configENS1_27scan_by_key_config_selectorIsiEEZZNS1_16scan_by_key_implILNS1_25lookback_scan_determinismE0ELb1ES3_N6thrust23THRUST_200600_302600_NS6detail15normal_iteratorINS9_10device_ptrIsEEEESE_SE_iNS9_4plusIvEENS9_8equal_toIvEEiEE10hipError_tPvRmT2_T3_T4_T5_mT6_T7_P12ihipStream_tbENKUlT_T0_E_clISt17integral_constantIbLb0EESZ_EEDaSU_SV_EUlSU_E_NS1_11comp_targetILNS1_3genE3ELNS1_11target_archE908ELNS1_3gpuE7ELNS1_3repE0EEENS1_30default_config_static_selectorELNS0_4arch9wavefront6targetE1EEEvT1_
; %bb.0:
	.section	.rodata,"a",@progbits
	.p2align	6, 0x0
	.amdhsa_kernel _ZN7rocprim17ROCPRIM_400000_NS6detail17trampoline_kernelINS0_14default_configENS1_27scan_by_key_config_selectorIsiEEZZNS1_16scan_by_key_implILNS1_25lookback_scan_determinismE0ELb1ES3_N6thrust23THRUST_200600_302600_NS6detail15normal_iteratorINS9_10device_ptrIsEEEESE_SE_iNS9_4plusIvEENS9_8equal_toIvEEiEE10hipError_tPvRmT2_T3_T4_T5_mT6_T7_P12ihipStream_tbENKUlT_T0_E_clISt17integral_constantIbLb0EESZ_EEDaSU_SV_EUlSU_E_NS1_11comp_targetILNS1_3genE3ELNS1_11target_archE908ELNS1_3gpuE7ELNS1_3repE0EEENS1_30default_config_static_selectorELNS0_4arch9wavefront6targetE1EEEvT1_
		.amdhsa_group_segment_fixed_size 0
		.amdhsa_private_segment_fixed_size 0
		.amdhsa_kernarg_size 112
		.amdhsa_user_sgpr_count 6
		.amdhsa_user_sgpr_private_segment_buffer 1
		.amdhsa_user_sgpr_dispatch_ptr 0
		.amdhsa_user_sgpr_queue_ptr 0
		.amdhsa_user_sgpr_kernarg_segment_ptr 1
		.amdhsa_user_sgpr_dispatch_id 0
		.amdhsa_user_sgpr_flat_scratch_init 0
		.amdhsa_user_sgpr_kernarg_preload_length 0
		.amdhsa_user_sgpr_kernarg_preload_offset 0
		.amdhsa_user_sgpr_private_segment_size 0
		.amdhsa_uses_dynamic_stack 0
		.amdhsa_system_sgpr_private_segment_wavefront_offset 0
		.amdhsa_system_sgpr_workgroup_id_x 1
		.amdhsa_system_sgpr_workgroup_id_y 0
		.amdhsa_system_sgpr_workgroup_id_z 0
		.amdhsa_system_sgpr_workgroup_info 0
		.amdhsa_system_vgpr_workitem_id 0
		.amdhsa_next_free_vgpr 1
		.amdhsa_next_free_sgpr 0
		.amdhsa_accum_offset 4
		.amdhsa_reserve_vcc 0
		.amdhsa_reserve_flat_scratch 0
		.amdhsa_float_round_mode_32 0
		.amdhsa_float_round_mode_16_64 0
		.amdhsa_float_denorm_mode_32 3
		.amdhsa_float_denorm_mode_16_64 3
		.amdhsa_dx10_clamp 1
		.amdhsa_ieee_mode 1
		.amdhsa_fp16_overflow 0
		.amdhsa_tg_split 0
		.amdhsa_exception_fp_ieee_invalid_op 0
		.amdhsa_exception_fp_denorm_src 0
		.amdhsa_exception_fp_ieee_div_zero 0
		.amdhsa_exception_fp_ieee_overflow 0
		.amdhsa_exception_fp_ieee_underflow 0
		.amdhsa_exception_fp_ieee_inexact 0
		.amdhsa_exception_int_div_zero 0
	.end_amdhsa_kernel
	.section	.text._ZN7rocprim17ROCPRIM_400000_NS6detail17trampoline_kernelINS0_14default_configENS1_27scan_by_key_config_selectorIsiEEZZNS1_16scan_by_key_implILNS1_25lookback_scan_determinismE0ELb1ES3_N6thrust23THRUST_200600_302600_NS6detail15normal_iteratorINS9_10device_ptrIsEEEESE_SE_iNS9_4plusIvEENS9_8equal_toIvEEiEE10hipError_tPvRmT2_T3_T4_T5_mT6_T7_P12ihipStream_tbENKUlT_T0_E_clISt17integral_constantIbLb0EESZ_EEDaSU_SV_EUlSU_E_NS1_11comp_targetILNS1_3genE3ELNS1_11target_archE908ELNS1_3gpuE7ELNS1_3repE0EEENS1_30default_config_static_selectorELNS0_4arch9wavefront6targetE1EEEvT1_,"axG",@progbits,_ZN7rocprim17ROCPRIM_400000_NS6detail17trampoline_kernelINS0_14default_configENS1_27scan_by_key_config_selectorIsiEEZZNS1_16scan_by_key_implILNS1_25lookback_scan_determinismE0ELb1ES3_N6thrust23THRUST_200600_302600_NS6detail15normal_iteratorINS9_10device_ptrIsEEEESE_SE_iNS9_4plusIvEENS9_8equal_toIvEEiEE10hipError_tPvRmT2_T3_T4_T5_mT6_T7_P12ihipStream_tbENKUlT_T0_E_clISt17integral_constantIbLb0EESZ_EEDaSU_SV_EUlSU_E_NS1_11comp_targetILNS1_3genE3ELNS1_11target_archE908ELNS1_3gpuE7ELNS1_3repE0EEENS1_30default_config_static_selectorELNS0_4arch9wavefront6targetE1EEEvT1_,comdat
.Lfunc_end1046:
	.size	_ZN7rocprim17ROCPRIM_400000_NS6detail17trampoline_kernelINS0_14default_configENS1_27scan_by_key_config_selectorIsiEEZZNS1_16scan_by_key_implILNS1_25lookback_scan_determinismE0ELb1ES3_N6thrust23THRUST_200600_302600_NS6detail15normal_iteratorINS9_10device_ptrIsEEEESE_SE_iNS9_4plusIvEENS9_8equal_toIvEEiEE10hipError_tPvRmT2_T3_T4_T5_mT6_T7_P12ihipStream_tbENKUlT_T0_E_clISt17integral_constantIbLb0EESZ_EEDaSU_SV_EUlSU_E_NS1_11comp_targetILNS1_3genE3ELNS1_11target_archE908ELNS1_3gpuE7ELNS1_3repE0EEENS1_30default_config_static_selectorELNS0_4arch9wavefront6targetE1EEEvT1_, .Lfunc_end1046-_ZN7rocprim17ROCPRIM_400000_NS6detail17trampoline_kernelINS0_14default_configENS1_27scan_by_key_config_selectorIsiEEZZNS1_16scan_by_key_implILNS1_25lookback_scan_determinismE0ELb1ES3_N6thrust23THRUST_200600_302600_NS6detail15normal_iteratorINS9_10device_ptrIsEEEESE_SE_iNS9_4plusIvEENS9_8equal_toIvEEiEE10hipError_tPvRmT2_T3_T4_T5_mT6_T7_P12ihipStream_tbENKUlT_T0_E_clISt17integral_constantIbLb0EESZ_EEDaSU_SV_EUlSU_E_NS1_11comp_targetILNS1_3genE3ELNS1_11target_archE908ELNS1_3gpuE7ELNS1_3repE0EEENS1_30default_config_static_selectorELNS0_4arch9wavefront6targetE1EEEvT1_
                                        ; -- End function
	.section	.AMDGPU.csdata,"",@progbits
; Kernel info:
; codeLenInByte = 0
; NumSgprs: 4
; NumVgprs: 0
; NumAgprs: 0
; TotalNumVgprs: 0
; ScratchSize: 0
; MemoryBound: 0
; FloatMode: 240
; IeeeMode: 1
; LDSByteSize: 0 bytes/workgroup (compile time only)
; SGPRBlocks: 0
; VGPRBlocks: 0
; NumSGPRsForWavesPerEU: 4
; NumVGPRsForWavesPerEU: 1
; AccumOffset: 4
; Occupancy: 8
; WaveLimiterHint : 0
; COMPUTE_PGM_RSRC2:SCRATCH_EN: 0
; COMPUTE_PGM_RSRC2:USER_SGPR: 6
; COMPUTE_PGM_RSRC2:TRAP_HANDLER: 0
; COMPUTE_PGM_RSRC2:TGID_X_EN: 1
; COMPUTE_PGM_RSRC2:TGID_Y_EN: 0
; COMPUTE_PGM_RSRC2:TGID_Z_EN: 0
; COMPUTE_PGM_RSRC2:TIDIG_COMP_CNT: 0
; COMPUTE_PGM_RSRC3_GFX90A:ACCUM_OFFSET: 0
; COMPUTE_PGM_RSRC3_GFX90A:TG_SPLIT: 0
	.section	.text._ZN7rocprim17ROCPRIM_400000_NS6detail17trampoline_kernelINS0_14default_configENS1_27scan_by_key_config_selectorIsiEEZZNS1_16scan_by_key_implILNS1_25lookback_scan_determinismE0ELb1ES3_N6thrust23THRUST_200600_302600_NS6detail15normal_iteratorINS9_10device_ptrIsEEEESE_SE_iNS9_4plusIvEENS9_8equal_toIvEEiEE10hipError_tPvRmT2_T3_T4_T5_mT6_T7_P12ihipStream_tbENKUlT_T0_E_clISt17integral_constantIbLb0EESZ_EEDaSU_SV_EUlSU_E_NS1_11comp_targetILNS1_3genE2ELNS1_11target_archE906ELNS1_3gpuE6ELNS1_3repE0EEENS1_30default_config_static_selectorELNS0_4arch9wavefront6targetE1EEEvT1_,"axG",@progbits,_ZN7rocprim17ROCPRIM_400000_NS6detail17trampoline_kernelINS0_14default_configENS1_27scan_by_key_config_selectorIsiEEZZNS1_16scan_by_key_implILNS1_25lookback_scan_determinismE0ELb1ES3_N6thrust23THRUST_200600_302600_NS6detail15normal_iteratorINS9_10device_ptrIsEEEESE_SE_iNS9_4plusIvEENS9_8equal_toIvEEiEE10hipError_tPvRmT2_T3_T4_T5_mT6_T7_P12ihipStream_tbENKUlT_T0_E_clISt17integral_constantIbLb0EESZ_EEDaSU_SV_EUlSU_E_NS1_11comp_targetILNS1_3genE2ELNS1_11target_archE906ELNS1_3gpuE6ELNS1_3repE0EEENS1_30default_config_static_selectorELNS0_4arch9wavefront6targetE1EEEvT1_,comdat
	.protected	_ZN7rocprim17ROCPRIM_400000_NS6detail17trampoline_kernelINS0_14default_configENS1_27scan_by_key_config_selectorIsiEEZZNS1_16scan_by_key_implILNS1_25lookback_scan_determinismE0ELb1ES3_N6thrust23THRUST_200600_302600_NS6detail15normal_iteratorINS9_10device_ptrIsEEEESE_SE_iNS9_4plusIvEENS9_8equal_toIvEEiEE10hipError_tPvRmT2_T3_T4_T5_mT6_T7_P12ihipStream_tbENKUlT_T0_E_clISt17integral_constantIbLb0EESZ_EEDaSU_SV_EUlSU_E_NS1_11comp_targetILNS1_3genE2ELNS1_11target_archE906ELNS1_3gpuE6ELNS1_3repE0EEENS1_30default_config_static_selectorELNS0_4arch9wavefront6targetE1EEEvT1_ ; -- Begin function _ZN7rocprim17ROCPRIM_400000_NS6detail17trampoline_kernelINS0_14default_configENS1_27scan_by_key_config_selectorIsiEEZZNS1_16scan_by_key_implILNS1_25lookback_scan_determinismE0ELb1ES3_N6thrust23THRUST_200600_302600_NS6detail15normal_iteratorINS9_10device_ptrIsEEEESE_SE_iNS9_4plusIvEENS9_8equal_toIvEEiEE10hipError_tPvRmT2_T3_T4_T5_mT6_T7_P12ihipStream_tbENKUlT_T0_E_clISt17integral_constantIbLb0EESZ_EEDaSU_SV_EUlSU_E_NS1_11comp_targetILNS1_3genE2ELNS1_11target_archE906ELNS1_3gpuE6ELNS1_3repE0EEENS1_30default_config_static_selectorELNS0_4arch9wavefront6targetE1EEEvT1_
	.globl	_ZN7rocprim17ROCPRIM_400000_NS6detail17trampoline_kernelINS0_14default_configENS1_27scan_by_key_config_selectorIsiEEZZNS1_16scan_by_key_implILNS1_25lookback_scan_determinismE0ELb1ES3_N6thrust23THRUST_200600_302600_NS6detail15normal_iteratorINS9_10device_ptrIsEEEESE_SE_iNS9_4plusIvEENS9_8equal_toIvEEiEE10hipError_tPvRmT2_T3_T4_T5_mT6_T7_P12ihipStream_tbENKUlT_T0_E_clISt17integral_constantIbLb0EESZ_EEDaSU_SV_EUlSU_E_NS1_11comp_targetILNS1_3genE2ELNS1_11target_archE906ELNS1_3gpuE6ELNS1_3repE0EEENS1_30default_config_static_selectorELNS0_4arch9wavefront6targetE1EEEvT1_
	.p2align	8
	.type	_ZN7rocprim17ROCPRIM_400000_NS6detail17trampoline_kernelINS0_14default_configENS1_27scan_by_key_config_selectorIsiEEZZNS1_16scan_by_key_implILNS1_25lookback_scan_determinismE0ELb1ES3_N6thrust23THRUST_200600_302600_NS6detail15normal_iteratorINS9_10device_ptrIsEEEESE_SE_iNS9_4plusIvEENS9_8equal_toIvEEiEE10hipError_tPvRmT2_T3_T4_T5_mT6_T7_P12ihipStream_tbENKUlT_T0_E_clISt17integral_constantIbLb0EESZ_EEDaSU_SV_EUlSU_E_NS1_11comp_targetILNS1_3genE2ELNS1_11target_archE906ELNS1_3gpuE6ELNS1_3repE0EEENS1_30default_config_static_selectorELNS0_4arch9wavefront6targetE1EEEvT1_,@function
_ZN7rocprim17ROCPRIM_400000_NS6detail17trampoline_kernelINS0_14default_configENS1_27scan_by_key_config_selectorIsiEEZZNS1_16scan_by_key_implILNS1_25lookback_scan_determinismE0ELb1ES3_N6thrust23THRUST_200600_302600_NS6detail15normal_iteratorINS9_10device_ptrIsEEEESE_SE_iNS9_4plusIvEENS9_8equal_toIvEEiEE10hipError_tPvRmT2_T3_T4_T5_mT6_T7_P12ihipStream_tbENKUlT_T0_E_clISt17integral_constantIbLb0EESZ_EEDaSU_SV_EUlSU_E_NS1_11comp_targetILNS1_3genE2ELNS1_11target_archE906ELNS1_3gpuE6ELNS1_3repE0EEENS1_30default_config_static_selectorELNS0_4arch9wavefront6targetE1EEEvT1_: ; @_ZN7rocprim17ROCPRIM_400000_NS6detail17trampoline_kernelINS0_14default_configENS1_27scan_by_key_config_selectorIsiEEZZNS1_16scan_by_key_implILNS1_25lookback_scan_determinismE0ELb1ES3_N6thrust23THRUST_200600_302600_NS6detail15normal_iteratorINS9_10device_ptrIsEEEESE_SE_iNS9_4plusIvEENS9_8equal_toIvEEiEE10hipError_tPvRmT2_T3_T4_T5_mT6_T7_P12ihipStream_tbENKUlT_T0_E_clISt17integral_constantIbLb0EESZ_EEDaSU_SV_EUlSU_E_NS1_11comp_targetILNS1_3genE2ELNS1_11target_archE906ELNS1_3gpuE6ELNS1_3repE0EEENS1_30default_config_static_selectorELNS0_4arch9wavefront6targetE1EEEvT1_
; %bb.0:
	.section	.rodata,"a",@progbits
	.p2align	6, 0x0
	.amdhsa_kernel _ZN7rocprim17ROCPRIM_400000_NS6detail17trampoline_kernelINS0_14default_configENS1_27scan_by_key_config_selectorIsiEEZZNS1_16scan_by_key_implILNS1_25lookback_scan_determinismE0ELb1ES3_N6thrust23THRUST_200600_302600_NS6detail15normal_iteratorINS9_10device_ptrIsEEEESE_SE_iNS9_4plusIvEENS9_8equal_toIvEEiEE10hipError_tPvRmT2_T3_T4_T5_mT6_T7_P12ihipStream_tbENKUlT_T0_E_clISt17integral_constantIbLb0EESZ_EEDaSU_SV_EUlSU_E_NS1_11comp_targetILNS1_3genE2ELNS1_11target_archE906ELNS1_3gpuE6ELNS1_3repE0EEENS1_30default_config_static_selectorELNS0_4arch9wavefront6targetE1EEEvT1_
		.amdhsa_group_segment_fixed_size 0
		.amdhsa_private_segment_fixed_size 0
		.amdhsa_kernarg_size 112
		.amdhsa_user_sgpr_count 6
		.amdhsa_user_sgpr_private_segment_buffer 1
		.amdhsa_user_sgpr_dispatch_ptr 0
		.amdhsa_user_sgpr_queue_ptr 0
		.amdhsa_user_sgpr_kernarg_segment_ptr 1
		.amdhsa_user_sgpr_dispatch_id 0
		.amdhsa_user_sgpr_flat_scratch_init 0
		.amdhsa_user_sgpr_kernarg_preload_length 0
		.amdhsa_user_sgpr_kernarg_preload_offset 0
		.amdhsa_user_sgpr_private_segment_size 0
		.amdhsa_uses_dynamic_stack 0
		.amdhsa_system_sgpr_private_segment_wavefront_offset 0
		.amdhsa_system_sgpr_workgroup_id_x 1
		.amdhsa_system_sgpr_workgroup_id_y 0
		.amdhsa_system_sgpr_workgroup_id_z 0
		.amdhsa_system_sgpr_workgroup_info 0
		.amdhsa_system_vgpr_workitem_id 0
		.amdhsa_next_free_vgpr 1
		.amdhsa_next_free_sgpr 0
		.amdhsa_accum_offset 4
		.amdhsa_reserve_vcc 0
		.amdhsa_reserve_flat_scratch 0
		.amdhsa_float_round_mode_32 0
		.amdhsa_float_round_mode_16_64 0
		.amdhsa_float_denorm_mode_32 3
		.amdhsa_float_denorm_mode_16_64 3
		.amdhsa_dx10_clamp 1
		.amdhsa_ieee_mode 1
		.amdhsa_fp16_overflow 0
		.amdhsa_tg_split 0
		.amdhsa_exception_fp_ieee_invalid_op 0
		.amdhsa_exception_fp_denorm_src 0
		.amdhsa_exception_fp_ieee_div_zero 0
		.amdhsa_exception_fp_ieee_overflow 0
		.amdhsa_exception_fp_ieee_underflow 0
		.amdhsa_exception_fp_ieee_inexact 0
		.amdhsa_exception_int_div_zero 0
	.end_amdhsa_kernel
	.section	.text._ZN7rocprim17ROCPRIM_400000_NS6detail17trampoline_kernelINS0_14default_configENS1_27scan_by_key_config_selectorIsiEEZZNS1_16scan_by_key_implILNS1_25lookback_scan_determinismE0ELb1ES3_N6thrust23THRUST_200600_302600_NS6detail15normal_iteratorINS9_10device_ptrIsEEEESE_SE_iNS9_4plusIvEENS9_8equal_toIvEEiEE10hipError_tPvRmT2_T3_T4_T5_mT6_T7_P12ihipStream_tbENKUlT_T0_E_clISt17integral_constantIbLb0EESZ_EEDaSU_SV_EUlSU_E_NS1_11comp_targetILNS1_3genE2ELNS1_11target_archE906ELNS1_3gpuE6ELNS1_3repE0EEENS1_30default_config_static_selectorELNS0_4arch9wavefront6targetE1EEEvT1_,"axG",@progbits,_ZN7rocprim17ROCPRIM_400000_NS6detail17trampoline_kernelINS0_14default_configENS1_27scan_by_key_config_selectorIsiEEZZNS1_16scan_by_key_implILNS1_25lookback_scan_determinismE0ELb1ES3_N6thrust23THRUST_200600_302600_NS6detail15normal_iteratorINS9_10device_ptrIsEEEESE_SE_iNS9_4plusIvEENS9_8equal_toIvEEiEE10hipError_tPvRmT2_T3_T4_T5_mT6_T7_P12ihipStream_tbENKUlT_T0_E_clISt17integral_constantIbLb0EESZ_EEDaSU_SV_EUlSU_E_NS1_11comp_targetILNS1_3genE2ELNS1_11target_archE906ELNS1_3gpuE6ELNS1_3repE0EEENS1_30default_config_static_selectorELNS0_4arch9wavefront6targetE1EEEvT1_,comdat
.Lfunc_end1047:
	.size	_ZN7rocprim17ROCPRIM_400000_NS6detail17trampoline_kernelINS0_14default_configENS1_27scan_by_key_config_selectorIsiEEZZNS1_16scan_by_key_implILNS1_25lookback_scan_determinismE0ELb1ES3_N6thrust23THRUST_200600_302600_NS6detail15normal_iteratorINS9_10device_ptrIsEEEESE_SE_iNS9_4plusIvEENS9_8equal_toIvEEiEE10hipError_tPvRmT2_T3_T4_T5_mT6_T7_P12ihipStream_tbENKUlT_T0_E_clISt17integral_constantIbLb0EESZ_EEDaSU_SV_EUlSU_E_NS1_11comp_targetILNS1_3genE2ELNS1_11target_archE906ELNS1_3gpuE6ELNS1_3repE0EEENS1_30default_config_static_selectorELNS0_4arch9wavefront6targetE1EEEvT1_, .Lfunc_end1047-_ZN7rocprim17ROCPRIM_400000_NS6detail17trampoline_kernelINS0_14default_configENS1_27scan_by_key_config_selectorIsiEEZZNS1_16scan_by_key_implILNS1_25lookback_scan_determinismE0ELb1ES3_N6thrust23THRUST_200600_302600_NS6detail15normal_iteratorINS9_10device_ptrIsEEEESE_SE_iNS9_4plusIvEENS9_8equal_toIvEEiEE10hipError_tPvRmT2_T3_T4_T5_mT6_T7_P12ihipStream_tbENKUlT_T0_E_clISt17integral_constantIbLb0EESZ_EEDaSU_SV_EUlSU_E_NS1_11comp_targetILNS1_3genE2ELNS1_11target_archE906ELNS1_3gpuE6ELNS1_3repE0EEENS1_30default_config_static_selectorELNS0_4arch9wavefront6targetE1EEEvT1_
                                        ; -- End function
	.section	.AMDGPU.csdata,"",@progbits
; Kernel info:
; codeLenInByte = 0
; NumSgprs: 4
; NumVgprs: 0
; NumAgprs: 0
; TotalNumVgprs: 0
; ScratchSize: 0
; MemoryBound: 0
; FloatMode: 240
; IeeeMode: 1
; LDSByteSize: 0 bytes/workgroup (compile time only)
; SGPRBlocks: 0
; VGPRBlocks: 0
; NumSGPRsForWavesPerEU: 4
; NumVGPRsForWavesPerEU: 1
; AccumOffset: 4
; Occupancy: 8
; WaveLimiterHint : 0
; COMPUTE_PGM_RSRC2:SCRATCH_EN: 0
; COMPUTE_PGM_RSRC2:USER_SGPR: 6
; COMPUTE_PGM_RSRC2:TRAP_HANDLER: 0
; COMPUTE_PGM_RSRC2:TGID_X_EN: 1
; COMPUTE_PGM_RSRC2:TGID_Y_EN: 0
; COMPUTE_PGM_RSRC2:TGID_Z_EN: 0
; COMPUTE_PGM_RSRC2:TIDIG_COMP_CNT: 0
; COMPUTE_PGM_RSRC3_GFX90A:ACCUM_OFFSET: 0
; COMPUTE_PGM_RSRC3_GFX90A:TG_SPLIT: 0
	.section	.text._ZN7rocprim17ROCPRIM_400000_NS6detail17trampoline_kernelINS0_14default_configENS1_27scan_by_key_config_selectorIsiEEZZNS1_16scan_by_key_implILNS1_25lookback_scan_determinismE0ELb1ES3_N6thrust23THRUST_200600_302600_NS6detail15normal_iteratorINS9_10device_ptrIsEEEESE_SE_iNS9_4plusIvEENS9_8equal_toIvEEiEE10hipError_tPvRmT2_T3_T4_T5_mT6_T7_P12ihipStream_tbENKUlT_T0_E_clISt17integral_constantIbLb0EESZ_EEDaSU_SV_EUlSU_E_NS1_11comp_targetILNS1_3genE10ELNS1_11target_archE1200ELNS1_3gpuE4ELNS1_3repE0EEENS1_30default_config_static_selectorELNS0_4arch9wavefront6targetE1EEEvT1_,"axG",@progbits,_ZN7rocprim17ROCPRIM_400000_NS6detail17trampoline_kernelINS0_14default_configENS1_27scan_by_key_config_selectorIsiEEZZNS1_16scan_by_key_implILNS1_25lookback_scan_determinismE0ELb1ES3_N6thrust23THRUST_200600_302600_NS6detail15normal_iteratorINS9_10device_ptrIsEEEESE_SE_iNS9_4plusIvEENS9_8equal_toIvEEiEE10hipError_tPvRmT2_T3_T4_T5_mT6_T7_P12ihipStream_tbENKUlT_T0_E_clISt17integral_constantIbLb0EESZ_EEDaSU_SV_EUlSU_E_NS1_11comp_targetILNS1_3genE10ELNS1_11target_archE1200ELNS1_3gpuE4ELNS1_3repE0EEENS1_30default_config_static_selectorELNS0_4arch9wavefront6targetE1EEEvT1_,comdat
	.protected	_ZN7rocprim17ROCPRIM_400000_NS6detail17trampoline_kernelINS0_14default_configENS1_27scan_by_key_config_selectorIsiEEZZNS1_16scan_by_key_implILNS1_25lookback_scan_determinismE0ELb1ES3_N6thrust23THRUST_200600_302600_NS6detail15normal_iteratorINS9_10device_ptrIsEEEESE_SE_iNS9_4plusIvEENS9_8equal_toIvEEiEE10hipError_tPvRmT2_T3_T4_T5_mT6_T7_P12ihipStream_tbENKUlT_T0_E_clISt17integral_constantIbLb0EESZ_EEDaSU_SV_EUlSU_E_NS1_11comp_targetILNS1_3genE10ELNS1_11target_archE1200ELNS1_3gpuE4ELNS1_3repE0EEENS1_30default_config_static_selectorELNS0_4arch9wavefront6targetE1EEEvT1_ ; -- Begin function _ZN7rocprim17ROCPRIM_400000_NS6detail17trampoline_kernelINS0_14default_configENS1_27scan_by_key_config_selectorIsiEEZZNS1_16scan_by_key_implILNS1_25lookback_scan_determinismE0ELb1ES3_N6thrust23THRUST_200600_302600_NS6detail15normal_iteratorINS9_10device_ptrIsEEEESE_SE_iNS9_4plusIvEENS9_8equal_toIvEEiEE10hipError_tPvRmT2_T3_T4_T5_mT6_T7_P12ihipStream_tbENKUlT_T0_E_clISt17integral_constantIbLb0EESZ_EEDaSU_SV_EUlSU_E_NS1_11comp_targetILNS1_3genE10ELNS1_11target_archE1200ELNS1_3gpuE4ELNS1_3repE0EEENS1_30default_config_static_selectorELNS0_4arch9wavefront6targetE1EEEvT1_
	.globl	_ZN7rocprim17ROCPRIM_400000_NS6detail17trampoline_kernelINS0_14default_configENS1_27scan_by_key_config_selectorIsiEEZZNS1_16scan_by_key_implILNS1_25lookback_scan_determinismE0ELb1ES3_N6thrust23THRUST_200600_302600_NS6detail15normal_iteratorINS9_10device_ptrIsEEEESE_SE_iNS9_4plusIvEENS9_8equal_toIvEEiEE10hipError_tPvRmT2_T3_T4_T5_mT6_T7_P12ihipStream_tbENKUlT_T0_E_clISt17integral_constantIbLb0EESZ_EEDaSU_SV_EUlSU_E_NS1_11comp_targetILNS1_3genE10ELNS1_11target_archE1200ELNS1_3gpuE4ELNS1_3repE0EEENS1_30default_config_static_selectorELNS0_4arch9wavefront6targetE1EEEvT1_
	.p2align	8
	.type	_ZN7rocprim17ROCPRIM_400000_NS6detail17trampoline_kernelINS0_14default_configENS1_27scan_by_key_config_selectorIsiEEZZNS1_16scan_by_key_implILNS1_25lookback_scan_determinismE0ELb1ES3_N6thrust23THRUST_200600_302600_NS6detail15normal_iteratorINS9_10device_ptrIsEEEESE_SE_iNS9_4plusIvEENS9_8equal_toIvEEiEE10hipError_tPvRmT2_T3_T4_T5_mT6_T7_P12ihipStream_tbENKUlT_T0_E_clISt17integral_constantIbLb0EESZ_EEDaSU_SV_EUlSU_E_NS1_11comp_targetILNS1_3genE10ELNS1_11target_archE1200ELNS1_3gpuE4ELNS1_3repE0EEENS1_30default_config_static_selectorELNS0_4arch9wavefront6targetE1EEEvT1_,@function
_ZN7rocprim17ROCPRIM_400000_NS6detail17trampoline_kernelINS0_14default_configENS1_27scan_by_key_config_selectorIsiEEZZNS1_16scan_by_key_implILNS1_25lookback_scan_determinismE0ELb1ES3_N6thrust23THRUST_200600_302600_NS6detail15normal_iteratorINS9_10device_ptrIsEEEESE_SE_iNS9_4plusIvEENS9_8equal_toIvEEiEE10hipError_tPvRmT2_T3_T4_T5_mT6_T7_P12ihipStream_tbENKUlT_T0_E_clISt17integral_constantIbLb0EESZ_EEDaSU_SV_EUlSU_E_NS1_11comp_targetILNS1_3genE10ELNS1_11target_archE1200ELNS1_3gpuE4ELNS1_3repE0EEENS1_30default_config_static_selectorELNS0_4arch9wavefront6targetE1EEEvT1_: ; @_ZN7rocprim17ROCPRIM_400000_NS6detail17trampoline_kernelINS0_14default_configENS1_27scan_by_key_config_selectorIsiEEZZNS1_16scan_by_key_implILNS1_25lookback_scan_determinismE0ELb1ES3_N6thrust23THRUST_200600_302600_NS6detail15normal_iteratorINS9_10device_ptrIsEEEESE_SE_iNS9_4plusIvEENS9_8equal_toIvEEiEE10hipError_tPvRmT2_T3_T4_T5_mT6_T7_P12ihipStream_tbENKUlT_T0_E_clISt17integral_constantIbLb0EESZ_EEDaSU_SV_EUlSU_E_NS1_11comp_targetILNS1_3genE10ELNS1_11target_archE1200ELNS1_3gpuE4ELNS1_3repE0EEENS1_30default_config_static_selectorELNS0_4arch9wavefront6targetE1EEEvT1_
; %bb.0:
	.section	.rodata,"a",@progbits
	.p2align	6, 0x0
	.amdhsa_kernel _ZN7rocprim17ROCPRIM_400000_NS6detail17trampoline_kernelINS0_14default_configENS1_27scan_by_key_config_selectorIsiEEZZNS1_16scan_by_key_implILNS1_25lookback_scan_determinismE0ELb1ES3_N6thrust23THRUST_200600_302600_NS6detail15normal_iteratorINS9_10device_ptrIsEEEESE_SE_iNS9_4plusIvEENS9_8equal_toIvEEiEE10hipError_tPvRmT2_T3_T4_T5_mT6_T7_P12ihipStream_tbENKUlT_T0_E_clISt17integral_constantIbLb0EESZ_EEDaSU_SV_EUlSU_E_NS1_11comp_targetILNS1_3genE10ELNS1_11target_archE1200ELNS1_3gpuE4ELNS1_3repE0EEENS1_30default_config_static_selectorELNS0_4arch9wavefront6targetE1EEEvT1_
		.amdhsa_group_segment_fixed_size 0
		.amdhsa_private_segment_fixed_size 0
		.amdhsa_kernarg_size 112
		.amdhsa_user_sgpr_count 6
		.amdhsa_user_sgpr_private_segment_buffer 1
		.amdhsa_user_sgpr_dispatch_ptr 0
		.amdhsa_user_sgpr_queue_ptr 0
		.amdhsa_user_sgpr_kernarg_segment_ptr 1
		.amdhsa_user_sgpr_dispatch_id 0
		.amdhsa_user_sgpr_flat_scratch_init 0
		.amdhsa_user_sgpr_kernarg_preload_length 0
		.amdhsa_user_sgpr_kernarg_preload_offset 0
		.amdhsa_user_sgpr_private_segment_size 0
		.amdhsa_uses_dynamic_stack 0
		.amdhsa_system_sgpr_private_segment_wavefront_offset 0
		.amdhsa_system_sgpr_workgroup_id_x 1
		.amdhsa_system_sgpr_workgroup_id_y 0
		.amdhsa_system_sgpr_workgroup_id_z 0
		.amdhsa_system_sgpr_workgroup_info 0
		.amdhsa_system_vgpr_workitem_id 0
		.amdhsa_next_free_vgpr 1
		.amdhsa_next_free_sgpr 0
		.amdhsa_accum_offset 4
		.amdhsa_reserve_vcc 0
		.amdhsa_reserve_flat_scratch 0
		.amdhsa_float_round_mode_32 0
		.amdhsa_float_round_mode_16_64 0
		.amdhsa_float_denorm_mode_32 3
		.amdhsa_float_denorm_mode_16_64 3
		.amdhsa_dx10_clamp 1
		.amdhsa_ieee_mode 1
		.amdhsa_fp16_overflow 0
		.amdhsa_tg_split 0
		.amdhsa_exception_fp_ieee_invalid_op 0
		.amdhsa_exception_fp_denorm_src 0
		.amdhsa_exception_fp_ieee_div_zero 0
		.amdhsa_exception_fp_ieee_overflow 0
		.amdhsa_exception_fp_ieee_underflow 0
		.amdhsa_exception_fp_ieee_inexact 0
		.amdhsa_exception_int_div_zero 0
	.end_amdhsa_kernel
	.section	.text._ZN7rocprim17ROCPRIM_400000_NS6detail17trampoline_kernelINS0_14default_configENS1_27scan_by_key_config_selectorIsiEEZZNS1_16scan_by_key_implILNS1_25lookback_scan_determinismE0ELb1ES3_N6thrust23THRUST_200600_302600_NS6detail15normal_iteratorINS9_10device_ptrIsEEEESE_SE_iNS9_4plusIvEENS9_8equal_toIvEEiEE10hipError_tPvRmT2_T3_T4_T5_mT6_T7_P12ihipStream_tbENKUlT_T0_E_clISt17integral_constantIbLb0EESZ_EEDaSU_SV_EUlSU_E_NS1_11comp_targetILNS1_3genE10ELNS1_11target_archE1200ELNS1_3gpuE4ELNS1_3repE0EEENS1_30default_config_static_selectorELNS0_4arch9wavefront6targetE1EEEvT1_,"axG",@progbits,_ZN7rocprim17ROCPRIM_400000_NS6detail17trampoline_kernelINS0_14default_configENS1_27scan_by_key_config_selectorIsiEEZZNS1_16scan_by_key_implILNS1_25lookback_scan_determinismE0ELb1ES3_N6thrust23THRUST_200600_302600_NS6detail15normal_iteratorINS9_10device_ptrIsEEEESE_SE_iNS9_4plusIvEENS9_8equal_toIvEEiEE10hipError_tPvRmT2_T3_T4_T5_mT6_T7_P12ihipStream_tbENKUlT_T0_E_clISt17integral_constantIbLb0EESZ_EEDaSU_SV_EUlSU_E_NS1_11comp_targetILNS1_3genE10ELNS1_11target_archE1200ELNS1_3gpuE4ELNS1_3repE0EEENS1_30default_config_static_selectorELNS0_4arch9wavefront6targetE1EEEvT1_,comdat
.Lfunc_end1048:
	.size	_ZN7rocprim17ROCPRIM_400000_NS6detail17trampoline_kernelINS0_14default_configENS1_27scan_by_key_config_selectorIsiEEZZNS1_16scan_by_key_implILNS1_25lookback_scan_determinismE0ELb1ES3_N6thrust23THRUST_200600_302600_NS6detail15normal_iteratorINS9_10device_ptrIsEEEESE_SE_iNS9_4plusIvEENS9_8equal_toIvEEiEE10hipError_tPvRmT2_T3_T4_T5_mT6_T7_P12ihipStream_tbENKUlT_T0_E_clISt17integral_constantIbLb0EESZ_EEDaSU_SV_EUlSU_E_NS1_11comp_targetILNS1_3genE10ELNS1_11target_archE1200ELNS1_3gpuE4ELNS1_3repE0EEENS1_30default_config_static_selectorELNS0_4arch9wavefront6targetE1EEEvT1_, .Lfunc_end1048-_ZN7rocprim17ROCPRIM_400000_NS6detail17trampoline_kernelINS0_14default_configENS1_27scan_by_key_config_selectorIsiEEZZNS1_16scan_by_key_implILNS1_25lookback_scan_determinismE0ELb1ES3_N6thrust23THRUST_200600_302600_NS6detail15normal_iteratorINS9_10device_ptrIsEEEESE_SE_iNS9_4plusIvEENS9_8equal_toIvEEiEE10hipError_tPvRmT2_T3_T4_T5_mT6_T7_P12ihipStream_tbENKUlT_T0_E_clISt17integral_constantIbLb0EESZ_EEDaSU_SV_EUlSU_E_NS1_11comp_targetILNS1_3genE10ELNS1_11target_archE1200ELNS1_3gpuE4ELNS1_3repE0EEENS1_30default_config_static_selectorELNS0_4arch9wavefront6targetE1EEEvT1_
                                        ; -- End function
	.section	.AMDGPU.csdata,"",@progbits
; Kernel info:
; codeLenInByte = 0
; NumSgprs: 4
; NumVgprs: 0
; NumAgprs: 0
; TotalNumVgprs: 0
; ScratchSize: 0
; MemoryBound: 0
; FloatMode: 240
; IeeeMode: 1
; LDSByteSize: 0 bytes/workgroup (compile time only)
; SGPRBlocks: 0
; VGPRBlocks: 0
; NumSGPRsForWavesPerEU: 4
; NumVGPRsForWavesPerEU: 1
; AccumOffset: 4
; Occupancy: 8
; WaveLimiterHint : 0
; COMPUTE_PGM_RSRC2:SCRATCH_EN: 0
; COMPUTE_PGM_RSRC2:USER_SGPR: 6
; COMPUTE_PGM_RSRC2:TRAP_HANDLER: 0
; COMPUTE_PGM_RSRC2:TGID_X_EN: 1
; COMPUTE_PGM_RSRC2:TGID_Y_EN: 0
; COMPUTE_PGM_RSRC2:TGID_Z_EN: 0
; COMPUTE_PGM_RSRC2:TIDIG_COMP_CNT: 0
; COMPUTE_PGM_RSRC3_GFX90A:ACCUM_OFFSET: 0
; COMPUTE_PGM_RSRC3_GFX90A:TG_SPLIT: 0
	.section	.text._ZN7rocprim17ROCPRIM_400000_NS6detail17trampoline_kernelINS0_14default_configENS1_27scan_by_key_config_selectorIsiEEZZNS1_16scan_by_key_implILNS1_25lookback_scan_determinismE0ELb1ES3_N6thrust23THRUST_200600_302600_NS6detail15normal_iteratorINS9_10device_ptrIsEEEESE_SE_iNS9_4plusIvEENS9_8equal_toIvEEiEE10hipError_tPvRmT2_T3_T4_T5_mT6_T7_P12ihipStream_tbENKUlT_T0_E_clISt17integral_constantIbLb0EESZ_EEDaSU_SV_EUlSU_E_NS1_11comp_targetILNS1_3genE9ELNS1_11target_archE1100ELNS1_3gpuE3ELNS1_3repE0EEENS1_30default_config_static_selectorELNS0_4arch9wavefront6targetE1EEEvT1_,"axG",@progbits,_ZN7rocprim17ROCPRIM_400000_NS6detail17trampoline_kernelINS0_14default_configENS1_27scan_by_key_config_selectorIsiEEZZNS1_16scan_by_key_implILNS1_25lookback_scan_determinismE0ELb1ES3_N6thrust23THRUST_200600_302600_NS6detail15normal_iteratorINS9_10device_ptrIsEEEESE_SE_iNS9_4plusIvEENS9_8equal_toIvEEiEE10hipError_tPvRmT2_T3_T4_T5_mT6_T7_P12ihipStream_tbENKUlT_T0_E_clISt17integral_constantIbLb0EESZ_EEDaSU_SV_EUlSU_E_NS1_11comp_targetILNS1_3genE9ELNS1_11target_archE1100ELNS1_3gpuE3ELNS1_3repE0EEENS1_30default_config_static_selectorELNS0_4arch9wavefront6targetE1EEEvT1_,comdat
	.protected	_ZN7rocprim17ROCPRIM_400000_NS6detail17trampoline_kernelINS0_14default_configENS1_27scan_by_key_config_selectorIsiEEZZNS1_16scan_by_key_implILNS1_25lookback_scan_determinismE0ELb1ES3_N6thrust23THRUST_200600_302600_NS6detail15normal_iteratorINS9_10device_ptrIsEEEESE_SE_iNS9_4plusIvEENS9_8equal_toIvEEiEE10hipError_tPvRmT2_T3_T4_T5_mT6_T7_P12ihipStream_tbENKUlT_T0_E_clISt17integral_constantIbLb0EESZ_EEDaSU_SV_EUlSU_E_NS1_11comp_targetILNS1_3genE9ELNS1_11target_archE1100ELNS1_3gpuE3ELNS1_3repE0EEENS1_30default_config_static_selectorELNS0_4arch9wavefront6targetE1EEEvT1_ ; -- Begin function _ZN7rocprim17ROCPRIM_400000_NS6detail17trampoline_kernelINS0_14default_configENS1_27scan_by_key_config_selectorIsiEEZZNS1_16scan_by_key_implILNS1_25lookback_scan_determinismE0ELb1ES3_N6thrust23THRUST_200600_302600_NS6detail15normal_iteratorINS9_10device_ptrIsEEEESE_SE_iNS9_4plusIvEENS9_8equal_toIvEEiEE10hipError_tPvRmT2_T3_T4_T5_mT6_T7_P12ihipStream_tbENKUlT_T0_E_clISt17integral_constantIbLb0EESZ_EEDaSU_SV_EUlSU_E_NS1_11comp_targetILNS1_3genE9ELNS1_11target_archE1100ELNS1_3gpuE3ELNS1_3repE0EEENS1_30default_config_static_selectorELNS0_4arch9wavefront6targetE1EEEvT1_
	.globl	_ZN7rocprim17ROCPRIM_400000_NS6detail17trampoline_kernelINS0_14default_configENS1_27scan_by_key_config_selectorIsiEEZZNS1_16scan_by_key_implILNS1_25lookback_scan_determinismE0ELb1ES3_N6thrust23THRUST_200600_302600_NS6detail15normal_iteratorINS9_10device_ptrIsEEEESE_SE_iNS9_4plusIvEENS9_8equal_toIvEEiEE10hipError_tPvRmT2_T3_T4_T5_mT6_T7_P12ihipStream_tbENKUlT_T0_E_clISt17integral_constantIbLb0EESZ_EEDaSU_SV_EUlSU_E_NS1_11comp_targetILNS1_3genE9ELNS1_11target_archE1100ELNS1_3gpuE3ELNS1_3repE0EEENS1_30default_config_static_selectorELNS0_4arch9wavefront6targetE1EEEvT1_
	.p2align	8
	.type	_ZN7rocprim17ROCPRIM_400000_NS6detail17trampoline_kernelINS0_14default_configENS1_27scan_by_key_config_selectorIsiEEZZNS1_16scan_by_key_implILNS1_25lookback_scan_determinismE0ELb1ES3_N6thrust23THRUST_200600_302600_NS6detail15normal_iteratorINS9_10device_ptrIsEEEESE_SE_iNS9_4plusIvEENS9_8equal_toIvEEiEE10hipError_tPvRmT2_T3_T4_T5_mT6_T7_P12ihipStream_tbENKUlT_T0_E_clISt17integral_constantIbLb0EESZ_EEDaSU_SV_EUlSU_E_NS1_11comp_targetILNS1_3genE9ELNS1_11target_archE1100ELNS1_3gpuE3ELNS1_3repE0EEENS1_30default_config_static_selectorELNS0_4arch9wavefront6targetE1EEEvT1_,@function
_ZN7rocprim17ROCPRIM_400000_NS6detail17trampoline_kernelINS0_14default_configENS1_27scan_by_key_config_selectorIsiEEZZNS1_16scan_by_key_implILNS1_25lookback_scan_determinismE0ELb1ES3_N6thrust23THRUST_200600_302600_NS6detail15normal_iteratorINS9_10device_ptrIsEEEESE_SE_iNS9_4plusIvEENS9_8equal_toIvEEiEE10hipError_tPvRmT2_T3_T4_T5_mT6_T7_P12ihipStream_tbENKUlT_T0_E_clISt17integral_constantIbLb0EESZ_EEDaSU_SV_EUlSU_E_NS1_11comp_targetILNS1_3genE9ELNS1_11target_archE1100ELNS1_3gpuE3ELNS1_3repE0EEENS1_30default_config_static_selectorELNS0_4arch9wavefront6targetE1EEEvT1_: ; @_ZN7rocprim17ROCPRIM_400000_NS6detail17trampoline_kernelINS0_14default_configENS1_27scan_by_key_config_selectorIsiEEZZNS1_16scan_by_key_implILNS1_25lookback_scan_determinismE0ELb1ES3_N6thrust23THRUST_200600_302600_NS6detail15normal_iteratorINS9_10device_ptrIsEEEESE_SE_iNS9_4plusIvEENS9_8equal_toIvEEiEE10hipError_tPvRmT2_T3_T4_T5_mT6_T7_P12ihipStream_tbENKUlT_T0_E_clISt17integral_constantIbLb0EESZ_EEDaSU_SV_EUlSU_E_NS1_11comp_targetILNS1_3genE9ELNS1_11target_archE1100ELNS1_3gpuE3ELNS1_3repE0EEENS1_30default_config_static_selectorELNS0_4arch9wavefront6targetE1EEEvT1_
; %bb.0:
	.section	.rodata,"a",@progbits
	.p2align	6, 0x0
	.amdhsa_kernel _ZN7rocprim17ROCPRIM_400000_NS6detail17trampoline_kernelINS0_14default_configENS1_27scan_by_key_config_selectorIsiEEZZNS1_16scan_by_key_implILNS1_25lookback_scan_determinismE0ELb1ES3_N6thrust23THRUST_200600_302600_NS6detail15normal_iteratorINS9_10device_ptrIsEEEESE_SE_iNS9_4plusIvEENS9_8equal_toIvEEiEE10hipError_tPvRmT2_T3_T4_T5_mT6_T7_P12ihipStream_tbENKUlT_T0_E_clISt17integral_constantIbLb0EESZ_EEDaSU_SV_EUlSU_E_NS1_11comp_targetILNS1_3genE9ELNS1_11target_archE1100ELNS1_3gpuE3ELNS1_3repE0EEENS1_30default_config_static_selectorELNS0_4arch9wavefront6targetE1EEEvT1_
		.amdhsa_group_segment_fixed_size 0
		.amdhsa_private_segment_fixed_size 0
		.amdhsa_kernarg_size 112
		.amdhsa_user_sgpr_count 6
		.amdhsa_user_sgpr_private_segment_buffer 1
		.amdhsa_user_sgpr_dispatch_ptr 0
		.amdhsa_user_sgpr_queue_ptr 0
		.amdhsa_user_sgpr_kernarg_segment_ptr 1
		.amdhsa_user_sgpr_dispatch_id 0
		.amdhsa_user_sgpr_flat_scratch_init 0
		.amdhsa_user_sgpr_kernarg_preload_length 0
		.amdhsa_user_sgpr_kernarg_preload_offset 0
		.amdhsa_user_sgpr_private_segment_size 0
		.amdhsa_uses_dynamic_stack 0
		.amdhsa_system_sgpr_private_segment_wavefront_offset 0
		.amdhsa_system_sgpr_workgroup_id_x 1
		.amdhsa_system_sgpr_workgroup_id_y 0
		.amdhsa_system_sgpr_workgroup_id_z 0
		.amdhsa_system_sgpr_workgroup_info 0
		.amdhsa_system_vgpr_workitem_id 0
		.amdhsa_next_free_vgpr 1
		.amdhsa_next_free_sgpr 0
		.amdhsa_accum_offset 4
		.amdhsa_reserve_vcc 0
		.amdhsa_reserve_flat_scratch 0
		.amdhsa_float_round_mode_32 0
		.amdhsa_float_round_mode_16_64 0
		.amdhsa_float_denorm_mode_32 3
		.amdhsa_float_denorm_mode_16_64 3
		.amdhsa_dx10_clamp 1
		.amdhsa_ieee_mode 1
		.amdhsa_fp16_overflow 0
		.amdhsa_tg_split 0
		.amdhsa_exception_fp_ieee_invalid_op 0
		.amdhsa_exception_fp_denorm_src 0
		.amdhsa_exception_fp_ieee_div_zero 0
		.amdhsa_exception_fp_ieee_overflow 0
		.amdhsa_exception_fp_ieee_underflow 0
		.amdhsa_exception_fp_ieee_inexact 0
		.amdhsa_exception_int_div_zero 0
	.end_amdhsa_kernel
	.section	.text._ZN7rocprim17ROCPRIM_400000_NS6detail17trampoline_kernelINS0_14default_configENS1_27scan_by_key_config_selectorIsiEEZZNS1_16scan_by_key_implILNS1_25lookback_scan_determinismE0ELb1ES3_N6thrust23THRUST_200600_302600_NS6detail15normal_iteratorINS9_10device_ptrIsEEEESE_SE_iNS9_4plusIvEENS9_8equal_toIvEEiEE10hipError_tPvRmT2_T3_T4_T5_mT6_T7_P12ihipStream_tbENKUlT_T0_E_clISt17integral_constantIbLb0EESZ_EEDaSU_SV_EUlSU_E_NS1_11comp_targetILNS1_3genE9ELNS1_11target_archE1100ELNS1_3gpuE3ELNS1_3repE0EEENS1_30default_config_static_selectorELNS0_4arch9wavefront6targetE1EEEvT1_,"axG",@progbits,_ZN7rocprim17ROCPRIM_400000_NS6detail17trampoline_kernelINS0_14default_configENS1_27scan_by_key_config_selectorIsiEEZZNS1_16scan_by_key_implILNS1_25lookback_scan_determinismE0ELb1ES3_N6thrust23THRUST_200600_302600_NS6detail15normal_iteratorINS9_10device_ptrIsEEEESE_SE_iNS9_4plusIvEENS9_8equal_toIvEEiEE10hipError_tPvRmT2_T3_T4_T5_mT6_T7_P12ihipStream_tbENKUlT_T0_E_clISt17integral_constantIbLb0EESZ_EEDaSU_SV_EUlSU_E_NS1_11comp_targetILNS1_3genE9ELNS1_11target_archE1100ELNS1_3gpuE3ELNS1_3repE0EEENS1_30default_config_static_selectorELNS0_4arch9wavefront6targetE1EEEvT1_,comdat
.Lfunc_end1049:
	.size	_ZN7rocprim17ROCPRIM_400000_NS6detail17trampoline_kernelINS0_14default_configENS1_27scan_by_key_config_selectorIsiEEZZNS1_16scan_by_key_implILNS1_25lookback_scan_determinismE0ELb1ES3_N6thrust23THRUST_200600_302600_NS6detail15normal_iteratorINS9_10device_ptrIsEEEESE_SE_iNS9_4plusIvEENS9_8equal_toIvEEiEE10hipError_tPvRmT2_T3_T4_T5_mT6_T7_P12ihipStream_tbENKUlT_T0_E_clISt17integral_constantIbLb0EESZ_EEDaSU_SV_EUlSU_E_NS1_11comp_targetILNS1_3genE9ELNS1_11target_archE1100ELNS1_3gpuE3ELNS1_3repE0EEENS1_30default_config_static_selectorELNS0_4arch9wavefront6targetE1EEEvT1_, .Lfunc_end1049-_ZN7rocprim17ROCPRIM_400000_NS6detail17trampoline_kernelINS0_14default_configENS1_27scan_by_key_config_selectorIsiEEZZNS1_16scan_by_key_implILNS1_25lookback_scan_determinismE0ELb1ES3_N6thrust23THRUST_200600_302600_NS6detail15normal_iteratorINS9_10device_ptrIsEEEESE_SE_iNS9_4plusIvEENS9_8equal_toIvEEiEE10hipError_tPvRmT2_T3_T4_T5_mT6_T7_P12ihipStream_tbENKUlT_T0_E_clISt17integral_constantIbLb0EESZ_EEDaSU_SV_EUlSU_E_NS1_11comp_targetILNS1_3genE9ELNS1_11target_archE1100ELNS1_3gpuE3ELNS1_3repE0EEENS1_30default_config_static_selectorELNS0_4arch9wavefront6targetE1EEEvT1_
                                        ; -- End function
	.section	.AMDGPU.csdata,"",@progbits
; Kernel info:
; codeLenInByte = 0
; NumSgprs: 4
; NumVgprs: 0
; NumAgprs: 0
; TotalNumVgprs: 0
; ScratchSize: 0
; MemoryBound: 0
; FloatMode: 240
; IeeeMode: 1
; LDSByteSize: 0 bytes/workgroup (compile time only)
; SGPRBlocks: 0
; VGPRBlocks: 0
; NumSGPRsForWavesPerEU: 4
; NumVGPRsForWavesPerEU: 1
; AccumOffset: 4
; Occupancy: 8
; WaveLimiterHint : 0
; COMPUTE_PGM_RSRC2:SCRATCH_EN: 0
; COMPUTE_PGM_RSRC2:USER_SGPR: 6
; COMPUTE_PGM_RSRC2:TRAP_HANDLER: 0
; COMPUTE_PGM_RSRC2:TGID_X_EN: 1
; COMPUTE_PGM_RSRC2:TGID_Y_EN: 0
; COMPUTE_PGM_RSRC2:TGID_Z_EN: 0
; COMPUTE_PGM_RSRC2:TIDIG_COMP_CNT: 0
; COMPUTE_PGM_RSRC3_GFX90A:ACCUM_OFFSET: 0
; COMPUTE_PGM_RSRC3_GFX90A:TG_SPLIT: 0
	.section	.text._ZN7rocprim17ROCPRIM_400000_NS6detail17trampoline_kernelINS0_14default_configENS1_27scan_by_key_config_selectorIsiEEZZNS1_16scan_by_key_implILNS1_25lookback_scan_determinismE0ELb1ES3_N6thrust23THRUST_200600_302600_NS6detail15normal_iteratorINS9_10device_ptrIsEEEESE_SE_iNS9_4plusIvEENS9_8equal_toIvEEiEE10hipError_tPvRmT2_T3_T4_T5_mT6_T7_P12ihipStream_tbENKUlT_T0_E_clISt17integral_constantIbLb0EESZ_EEDaSU_SV_EUlSU_E_NS1_11comp_targetILNS1_3genE8ELNS1_11target_archE1030ELNS1_3gpuE2ELNS1_3repE0EEENS1_30default_config_static_selectorELNS0_4arch9wavefront6targetE1EEEvT1_,"axG",@progbits,_ZN7rocprim17ROCPRIM_400000_NS6detail17trampoline_kernelINS0_14default_configENS1_27scan_by_key_config_selectorIsiEEZZNS1_16scan_by_key_implILNS1_25lookback_scan_determinismE0ELb1ES3_N6thrust23THRUST_200600_302600_NS6detail15normal_iteratorINS9_10device_ptrIsEEEESE_SE_iNS9_4plusIvEENS9_8equal_toIvEEiEE10hipError_tPvRmT2_T3_T4_T5_mT6_T7_P12ihipStream_tbENKUlT_T0_E_clISt17integral_constantIbLb0EESZ_EEDaSU_SV_EUlSU_E_NS1_11comp_targetILNS1_3genE8ELNS1_11target_archE1030ELNS1_3gpuE2ELNS1_3repE0EEENS1_30default_config_static_selectorELNS0_4arch9wavefront6targetE1EEEvT1_,comdat
	.protected	_ZN7rocprim17ROCPRIM_400000_NS6detail17trampoline_kernelINS0_14default_configENS1_27scan_by_key_config_selectorIsiEEZZNS1_16scan_by_key_implILNS1_25lookback_scan_determinismE0ELb1ES3_N6thrust23THRUST_200600_302600_NS6detail15normal_iteratorINS9_10device_ptrIsEEEESE_SE_iNS9_4plusIvEENS9_8equal_toIvEEiEE10hipError_tPvRmT2_T3_T4_T5_mT6_T7_P12ihipStream_tbENKUlT_T0_E_clISt17integral_constantIbLb0EESZ_EEDaSU_SV_EUlSU_E_NS1_11comp_targetILNS1_3genE8ELNS1_11target_archE1030ELNS1_3gpuE2ELNS1_3repE0EEENS1_30default_config_static_selectorELNS0_4arch9wavefront6targetE1EEEvT1_ ; -- Begin function _ZN7rocprim17ROCPRIM_400000_NS6detail17trampoline_kernelINS0_14default_configENS1_27scan_by_key_config_selectorIsiEEZZNS1_16scan_by_key_implILNS1_25lookback_scan_determinismE0ELb1ES3_N6thrust23THRUST_200600_302600_NS6detail15normal_iteratorINS9_10device_ptrIsEEEESE_SE_iNS9_4plusIvEENS9_8equal_toIvEEiEE10hipError_tPvRmT2_T3_T4_T5_mT6_T7_P12ihipStream_tbENKUlT_T0_E_clISt17integral_constantIbLb0EESZ_EEDaSU_SV_EUlSU_E_NS1_11comp_targetILNS1_3genE8ELNS1_11target_archE1030ELNS1_3gpuE2ELNS1_3repE0EEENS1_30default_config_static_selectorELNS0_4arch9wavefront6targetE1EEEvT1_
	.globl	_ZN7rocprim17ROCPRIM_400000_NS6detail17trampoline_kernelINS0_14default_configENS1_27scan_by_key_config_selectorIsiEEZZNS1_16scan_by_key_implILNS1_25lookback_scan_determinismE0ELb1ES3_N6thrust23THRUST_200600_302600_NS6detail15normal_iteratorINS9_10device_ptrIsEEEESE_SE_iNS9_4plusIvEENS9_8equal_toIvEEiEE10hipError_tPvRmT2_T3_T4_T5_mT6_T7_P12ihipStream_tbENKUlT_T0_E_clISt17integral_constantIbLb0EESZ_EEDaSU_SV_EUlSU_E_NS1_11comp_targetILNS1_3genE8ELNS1_11target_archE1030ELNS1_3gpuE2ELNS1_3repE0EEENS1_30default_config_static_selectorELNS0_4arch9wavefront6targetE1EEEvT1_
	.p2align	8
	.type	_ZN7rocprim17ROCPRIM_400000_NS6detail17trampoline_kernelINS0_14default_configENS1_27scan_by_key_config_selectorIsiEEZZNS1_16scan_by_key_implILNS1_25lookback_scan_determinismE0ELb1ES3_N6thrust23THRUST_200600_302600_NS6detail15normal_iteratorINS9_10device_ptrIsEEEESE_SE_iNS9_4plusIvEENS9_8equal_toIvEEiEE10hipError_tPvRmT2_T3_T4_T5_mT6_T7_P12ihipStream_tbENKUlT_T0_E_clISt17integral_constantIbLb0EESZ_EEDaSU_SV_EUlSU_E_NS1_11comp_targetILNS1_3genE8ELNS1_11target_archE1030ELNS1_3gpuE2ELNS1_3repE0EEENS1_30default_config_static_selectorELNS0_4arch9wavefront6targetE1EEEvT1_,@function
_ZN7rocprim17ROCPRIM_400000_NS6detail17trampoline_kernelINS0_14default_configENS1_27scan_by_key_config_selectorIsiEEZZNS1_16scan_by_key_implILNS1_25lookback_scan_determinismE0ELb1ES3_N6thrust23THRUST_200600_302600_NS6detail15normal_iteratorINS9_10device_ptrIsEEEESE_SE_iNS9_4plusIvEENS9_8equal_toIvEEiEE10hipError_tPvRmT2_T3_T4_T5_mT6_T7_P12ihipStream_tbENKUlT_T0_E_clISt17integral_constantIbLb0EESZ_EEDaSU_SV_EUlSU_E_NS1_11comp_targetILNS1_3genE8ELNS1_11target_archE1030ELNS1_3gpuE2ELNS1_3repE0EEENS1_30default_config_static_selectorELNS0_4arch9wavefront6targetE1EEEvT1_: ; @_ZN7rocprim17ROCPRIM_400000_NS6detail17trampoline_kernelINS0_14default_configENS1_27scan_by_key_config_selectorIsiEEZZNS1_16scan_by_key_implILNS1_25lookback_scan_determinismE0ELb1ES3_N6thrust23THRUST_200600_302600_NS6detail15normal_iteratorINS9_10device_ptrIsEEEESE_SE_iNS9_4plusIvEENS9_8equal_toIvEEiEE10hipError_tPvRmT2_T3_T4_T5_mT6_T7_P12ihipStream_tbENKUlT_T0_E_clISt17integral_constantIbLb0EESZ_EEDaSU_SV_EUlSU_E_NS1_11comp_targetILNS1_3genE8ELNS1_11target_archE1030ELNS1_3gpuE2ELNS1_3repE0EEENS1_30default_config_static_selectorELNS0_4arch9wavefront6targetE1EEEvT1_
; %bb.0:
	.section	.rodata,"a",@progbits
	.p2align	6, 0x0
	.amdhsa_kernel _ZN7rocprim17ROCPRIM_400000_NS6detail17trampoline_kernelINS0_14default_configENS1_27scan_by_key_config_selectorIsiEEZZNS1_16scan_by_key_implILNS1_25lookback_scan_determinismE0ELb1ES3_N6thrust23THRUST_200600_302600_NS6detail15normal_iteratorINS9_10device_ptrIsEEEESE_SE_iNS9_4plusIvEENS9_8equal_toIvEEiEE10hipError_tPvRmT2_T3_T4_T5_mT6_T7_P12ihipStream_tbENKUlT_T0_E_clISt17integral_constantIbLb0EESZ_EEDaSU_SV_EUlSU_E_NS1_11comp_targetILNS1_3genE8ELNS1_11target_archE1030ELNS1_3gpuE2ELNS1_3repE0EEENS1_30default_config_static_selectorELNS0_4arch9wavefront6targetE1EEEvT1_
		.amdhsa_group_segment_fixed_size 0
		.amdhsa_private_segment_fixed_size 0
		.amdhsa_kernarg_size 112
		.amdhsa_user_sgpr_count 6
		.amdhsa_user_sgpr_private_segment_buffer 1
		.amdhsa_user_sgpr_dispatch_ptr 0
		.amdhsa_user_sgpr_queue_ptr 0
		.amdhsa_user_sgpr_kernarg_segment_ptr 1
		.amdhsa_user_sgpr_dispatch_id 0
		.amdhsa_user_sgpr_flat_scratch_init 0
		.amdhsa_user_sgpr_kernarg_preload_length 0
		.amdhsa_user_sgpr_kernarg_preload_offset 0
		.amdhsa_user_sgpr_private_segment_size 0
		.amdhsa_uses_dynamic_stack 0
		.amdhsa_system_sgpr_private_segment_wavefront_offset 0
		.amdhsa_system_sgpr_workgroup_id_x 1
		.amdhsa_system_sgpr_workgroup_id_y 0
		.amdhsa_system_sgpr_workgroup_id_z 0
		.amdhsa_system_sgpr_workgroup_info 0
		.amdhsa_system_vgpr_workitem_id 0
		.amdhsa_next_free_vgpr 1
		.amdhsa_next_free_sgpr 0
		.amdhsa_accum_offset 4
		.amdhsa_reserve_vcc 0
		.amdhsa_reserve_flat_scratch 0
		.amdhsa_float_round_mode_32 0
		.amdhsa_float_round_mode_16_64 0
		.amdhsa_float_denorm_mode_32 3
		.amdhsa_float_denorm_mode_16_64 3
		.amdhsa_dx10_clamp 1
		.amdhsa_ieee_mode 1
		.amdhsa_fp16_overflow 0
		.amdhsa_tg_split 0
		.amdhsa_exception_fp_ieee_invalid_op 0
		.amdhsa_exception_fp_denorm_src 0
		.amdhsa_exception_fp_ieee_div_zero 0
		.amdhsa_exception_fp_ieee_overflow 0
		.amdhsa_exception_fp_ieee_underflow 0
		.amdhsa_exception_fp_ieee_inexact 0
		.amdhsa_exception_int_div_zero 0
	.end_amdhsa_kernel
	.section	.text._ZN7rocprim17ROCPRIM_400000_NS6detail17trampoline_kernelINS0_14default_configENS1_27scan_by_key_config_selectorIsiEEZZNS1_16scan_by_key_implILNS1_25lookback_scan_determinismE0ELb1ES3_N6thrust23THRUST_200600_302600_NS6detail15normal_iteratorINS9_10device_ptrIsEEEESE_SE_iNS9_4plusIvEENS9_8equal_toIvEEiEE10hipError_tPvRmT2_T3_T4_T5_mT6_T7_P12ihipStream_tbENKUlT_T0_E_clISt17integral_constantIbLb0EESZ_EEDaSU_SV_EUlSU_E_NS1_11comp_targetILNS1_3genE8ELNS1_11target_archE1030ELNS1_3gpuE2ELNS1_3repE0EEENS1_30default_config_static_selectorELNS0_4arch9wavefront6targetE1EEEvT1_,"axG",@progbits,_ZN7rocprim17ROCPRIM_400000_NS6detail17trampoline_kernelINS0_14default_configENS1_27scan_by_key_config_selectorIsiEEZZNS1_16scan_by_key_implILNS1_25lookback_scan_determinismE0ELb1ES3_N6thrust23THRUST_200600_302600_NS6detail15normal_iteratorINS9_10device_ptrIsEEEESE_SE_iNS9_4plusIvEENS9_8equal_toIvEEiEE10hipError_tPvRmT2_T3_T4_T5_mT6_T7_P12ihipStream_tbENKUlT_T0_E_clISt17integral_constantIbLb0EESZ_EEDaSU_SV_EUlSU_E_NS1_11comp_targetILNS1_3genE8ELNS1_11target_archE1030ELNS1_3gpuE2ELNS1_3repE0EEENS1_30default_config_static_selectorELNS0_4arch9wavefront6targetE1EEEvT1_,comdat
.Lfunc_end1050:
	.size	_ZN7rocprim17ROCPRIM_400000_NS6detail17trampoline_kernelINS0_14default_configENS1_27scan_by_key_config_selectorIsiEEZZNS1_16scan_by_key_implILNS1_25lookback_scan_determinismE0ELb1ES3_N6thrust23THRUST_200600_302600_NS6detail15normal_iteratorINS9_10device_ptrIsEEEESE_SE_iNS9_4plusIvEENS9_8equal_toIvEEiEE10hipError_tPvRmT2_T3_T4_T5_mT6_T7_P12ihipStream_tbENKUlT_T0_E_clISt17integral_constantIbLb0EESZ_EEDaSU_SV_EUlSU_E_NS1_11comp_targetILNS1_3genE8ELNS1_11target_archE1030ELNS1_3gpuE2ELNS1_3repE0EEENS1_30default_config_static_selectorELNS0_4arch9wavefront6targetE1EEEvT1_, .Lfunc_end1050-_ZN7rocprim17ROCPRIM_400000_NS6detail17trampoline_kernelINS0_14default_configENS1_27scan_by_key_config_selectorIsiEEZZNS1_16scan_by_key_implILNS1_25lookback_scan_determinismE0ELb1ES3_N6thrust23THRUST_200600_302600_NS6detail15normal_iteratorINS9_10device_ptrIsEEEESE_SE_iNS9_4plusIvEENS9_8equal_toIvEEiEE10hipError_tPvRmT2_T3_T4_T5_mT6_T7_P12ihipStream_tbENKUlT_T0_E_clISt17integral_constantIbLb0EESZ_EEDaSU_SV_EUlSU_E_NS1_11comp_targetILNS1_3genE8ELNS1_11target_archE1030ELNS1_3gpuE2ELNS1_3repE0EEENS1_30default_config_static_selectorELNS0_4arch9wavefront6targetE1EEEvT1_
                                        ; -- End function
	.section	.AMDGPU.csdata,"",@progbits
; Kernel info:
; codeLenInByte = 0
; NumSgprs: 4
; NumVgprs: 0
; NumAgprs: 0
; TotalNumVgprs: 0
; ScratchSize: 0
; MemoryBound: 0
; FloatMode: 240
; IeeeMode: 1
; LDSByteSize: 0 bytes/workgroup (compile time only)
; SGPRBlocks: 0
; VGPRBlocks: 0
; NumSGPRsForWavesPerEU: 4
; NumVGPRsForWavesPerEU: 1
; AccumOffset: 4
; Occupancy: 8
; WaveLimiterHint : 0
; COMPUTE_PGM_RSRC2:SCRATCH_EN: 0
; COMPUTE_PGM_RSRC2:USER_SGPR: 6
; COMPUTE_PGM_RSRC2:TRAP_HANDLER: 0
; COMPUTE_PGM_RSRC2:TGID_X_EN: 1
; COMPUTE_PGM_RSRC2:TGID_Y_EN: 0
; COMPUTE_PGM_RSRC2:TGID_Z_EN: 0
; COMPUTE_PGM_RSRC2:TIDIG_COMP_CNT: 0
; COMPUTE_PGM_RSRC3_GFX90A:ACCUM_OFFSET: 0
; COMPUTE_PGM_RSRC3_GFX90A:TG_SPLIT: 0
	.section	.text._ZN7rocprim17ROCPRIM_400000_NS6detail30init_device_scan_by_key_kernelINS1_19lookback_scan_stateINS0_5tupleIJibEEELb1ELb1EEEN6thrust23THRUST_200600_302600_NS6detail15normal_iteratorINS8_10device_ptrIsEEEEjNS1_16block_id_wrapperIjLb1EEEEEvT_jjPNSG_10value_typeET0_PNSt15iterator_traitsISJ_E10value_typeEmT1_T2_,"axG",@progbits,_ZN7rocprim17ROCPRIM_400000_NS6detail30init_device_scan_by_key_kernelINS1_19lookback_scan_stateINS0_5tupleIJibEEELb1ELb1EEEN6thrust23THRUST_200600_302600_NS6detail15normal_iteratorINS8_10device_ptrIsEEEEjNS1_16block_id_wrapperIjLb1EEEEEvT_jjPNSG_10value_typeET0_PNSt15iterator_traitsISJ_E10value_typeEmT1_T2_,comdat
	.protected	_ZN7rocprim17ROCPRIM_400000_NS6detail30init_device_scan_by_key_kernelINS1_19lookback_scan_stateINS0_5tupleIJibEEELb1ELb1EEEN6thrust23THRUST_200600_302600_NS6detail15normal_iteratorINS8_10device_ptrIsEEEEjNS1_16block_id_wrapperIjLb1EEEEEvT_jjPNSG_10value_typeET0_PNSt15iterator_traitsISJ_E10value_typeEmT1_T2_ ; -- Begin function _ZN7rocprim17ROCPRIM_400000_NS6detail30init_device_scan_by_key_kernelINS1_19lookback_scan_stateINS0_5tupleIJibEEELb1ELb1EEEN6thrust23THRUST_200600_302600_NS6detail15normal_iteratorINS8_10device_ptrIsEEEEjNS1_16block_id_wrapperIjLb1EEEEEvT_jjPNSG_10value_typeET0_PNSt15iterator_traitsISJ_E10value_typeEmT1_T2_
	.globl	_ZN7rocprim17ROCPRIM_400000_NS6detail30init_device_scan_by_key_kernelINS1_19lookback_scan_stateINS0_5tupleIJibEEELb1ELb1EEEN6thrust23THRUST_200600_302600_NS6detail15normal_iteratorINS8_10device_ptrIsEEEEjNS1_16block_id_wrapperIjLb1EEEEEvT_jjPNSG_10value_typeET0_PNSt15iterator_traitsISJ_E10value_typeEmT1_T2_
	.p2align	8
	.type	_ZN7rocprim17ROCPRIM_400000_NS6detail30init_device_scan_by_key_kernelINS1_19lookback_scan_stateINS0_5tupleIJibEEELb1ELb1EEEN6thrust23THRUST_200600_302600_NS6detail15normal_iteratorINS8_10device_ptrIsEEEEjNS1_16block_id_wrapperIjLb1EEEEEvT_jjPNSG_10value_typeET0_PNSt15iterator_traitsISJ_E10value_typeEmT1_T2_,@function
_ZN7rocprim17ROCPRIM_400000_NS6detail30init_device_scan_by_key_kernelINS1_19lookback_scan_stateINS0_5tupleIJibEEELb1ELb1EEEN6thrust23THRUST_200600_302600_NS6detail15normal_iteratorINS8_10device_ptrIsEEEEjNS1_16block_id_wrapperIjLb1EEEEEvT_jjPNSG_10value_typeET0_PNSt15iterator_traitsISJ_E10value_typeEmT1_T2_: ; @_ZN7rocprim17ROCPRIM_400000_NS6detail30init_device_scan_by_key_kernelINS1_19lookback_scan_stateINS0_5tupleIJibEEELb1ELb1EEEN6thrust23THRUST_200600_302600_NS6detail15normal_iteratorINS8_10device_ptrIsEEEEjNS1_16block_id_wrapperIjLb1EEEEEvT_jjPNSG_10value_typeET0_PNSt15iterator_traitsISJ_E10value_typeEmT1_T2_
; %bb.0:
	s_load_dword s0, s[4:5], 0x4c
	s_load_dwordx8 s[8:15], s[4:5], 0x0
	s_load_dword s18, s[4:5], 0x40
	s_waitcnt lgkmcnt(0)
	s_and_b32 s19, s0, 0xffff
	s_mul_i32 s6, s6, s19
	s_cmp_eq_u64 s[12:13], 0
	v_add_u32_e32 v4, s6, v0
	s_cbranch_scc1 .LBB1051_10
; %bb.1:
	s_cmp_lt_u32 s11, s10
	s_cselect_b32 s0, s11, 0
	s_mov_b32 s3, 0
	v_cmp_eq_u32_e32 vcc, s0, v4
	s_and_saveexec_b64 s[0:1], vcc
	s_cbranch_execz .LBB1051_9
; %bb.2:
	s_add_i32 s2, s11, 64
	s_lshl_b64 s[2:3], s[2:3], 4
	s_add_u32 s16, s8, s2
	s_addc_u32 s17, s9, s3
	v_pk_mov_b32 v[0:1], s[16:17], s[16:17] op_sel:[0,1]
	;;#ASMSTART
	global_load_dwordx4 v[0:3], v[0:1] off glc	
s_waitcnt vmcnt(0)
	;;#ASMEND
	v_mov_b32_e32 v7, 0
	v_and_b32_e32 v6, 0xff, v2
	s_mov_b64 s[6:7], 0
	v_cmp_eq_u64_e32 vcc, 0, v[6:7]
	s_and_saveexec_b64 s[2:3], vcc
	s_cbranch_execz .LBB1051_8
; %bb.3:
	s_mov_b32 s11, 1
	v_pk_mov_b32 v[8:9], s[16:17], s[16:17] op_sel:[0,1]
.LBB1051_4:                             ; =>This Loop Header: Depth=1
                                        ;     Child Loop BB1051_5 Depth 2
	s_max_u32 s16, s11, 1
.LBB1051_5:                             ;   Parent Loop BB1051_4 Depth=1
                                        ; =>  This Inner Loop Header: Depth=2
	s_add_i32 s16, s16, -1
	s_cmp_eq_u32 s16, 0
	s_sleep 1
	s_cbranch_scc0 .LBB1051_5
; %bb.6:                                ;   in Loop: Header=BB1051_4 Depth=1
	s_cmp_lt_u32 s11, 32
	s_cselect_b64 s[16:17], -1, 0
	s_cmp_lg_u64 s[16:17], 0
	;;#ASMSTART
	global_load_dwordx4 v[0:3], v[8:9] off glc	
s_waitcnt vmcnt(0)
	;;#ASMEND
	v_and_b32_e32 v6, 0xff, v2
	s_addc_u32 s11, s11, 0
	v_cmp_ne_u64_e32 vcc, 0, v[6:7]
	s_or_b64 s[6:7], vcc, s[6:7]
	s_andn2_b64 exec, exec, s[6:7]
	s_cbranch_execnz .LBB1051_4
; %bb.7:
	s_or_b64 exec, exec, s[6:7]
.LBB1051_8:
	s_or_b64 exec, exec, s[2:3]
	v_mov_b32_e32 v2, 0
	global_store_dword v2, v0, s[12:13]
	global_store_byte v2, v1, s[12:13] offset:4
.LBB1051_9:
	s_or_b64 exec, exec, s[0:1]
.LBB1051_10:
	v_cmp_eq_u32_e32 vcc, 0, v4
	s_and_saveexec_b64 s[0:1], vcc
	s_cbranch_execz .LBB1051_12
; %bb.11:
	s_load_dwordx2 s[2:3], s[4:5], 0x38
	v_mov_b32_e32 v0, 0
	s_waitcnt lgkmcnt(0)
	global_store_dword v0, v0, s[2:3]
.LBB1051_12:
	s_or_b64 exec, exec, s[0:1]
	v_cmp_gt_u32_e32 vcc, s10, v4
	s_and_saveexec_b64 s[0:1], vcc
	s_cbranch_execz .LBB1051_14
; %bb.13:
	v_add_u32_e32 v0, 64, v4
	v_mov_b32_e32 v1, 0
	v_lshlrev_b64 v[2:3], 4, v[0:1]
	v_mov_b32_e32 v0, s9
	v_add_co_u32_e32 v6, vcc, s8, v2
	v_addc_co_u32_e32 v7, vcc, v0, v3, vcc
	v_mov_b32_e32 v0, v1
	v_mov_b32_e32 v2, v1
	;; [unrolled: 1-line block ×3, first 2 shown]
	global_store_dwordx4 v[6:7], v[0:3], off
.LBB1051_14:
	s_or_b64 exec, exec, s[0:1]
	v_cmp_gt_u32_e32 vcc, 64, v4
	v_mov_b32_e32 v5, 0
	s_and_saveexec_b64 s[0:1], vcc
	s_cbranch_execz .LBB1051_16
; %bb.15:
	v_lshlrev_b64 v[0:1], 4, v[4:5]
	v_mov_b32_e32 v2, s9
	v_add_co_u32_e32 v6, vcc, s8, v0
	v_addc_co_u32_e32 v7, vcc, v2, v1, vcc
	v_mov_b32_e32 v2, 0xff
	v_mov_b32_e32 v0, v5
	v_mov_b32_e32 v1, v5
	v_mov_b32_e32 v3, v5
	global_store_dwordx4 v[6:7], v[0:3], off
.LBB1051_16:
	s_or_b64 exec, exec, s[0:1]
	s_load_dwordx2 s[0:1], s[4:5], 0x28
	s_waitcnt lgkmcnt(0)
	v_cmp_gt_u64_e32 vcc, s[0:1], v[4:5]
	s_and_saveexec_b64 s[2:3], vcc
	s_cbranch_execz .LBB1051_19
; %bb.17:
	s_load_dword s10, s[4:5], 0x30
	s_load_dwordx2 s[6:7], s[4:5], 0x20
	s_mov_b32 s5, 0
	s_mov_b32 s3, s5
	s_mul_i32 s2, s18, s19
	s_waitcnt lgkmcnt(0)
	s_add_i32 s4, s10, -1
	s_lshl_b64 s[4:5], s[4:5], 1
	v_mad_u64_u32 v[0:1], s[8:9], s10, v4, 0
	s_add_u32 s4, s14, s4
	v_lshlrev_b64 v[0:1], 1, v[0:1]
	s_addc_u32 s5, s15, s5
	v_mov_b32_e32 v2, s5
	v_add_co_u32_e32 v0, vcc, s4, v0
	v_addc_co_u32_e32 v1, vcc, v2, v1, vcc
	s_mul_hi_u32 s5, s10, s2
	s_mul_i32 s4, s10, s2
	v_lshlrev_b64 v[2:3], 1, v[4:5]
	s_lshl_b64 s[4:5], s[4:5], 1
	v_mov_b32_e32 v6, s7
	v_add_co_u32_e32 v2, vcc, s6, v2
	s_lshl_b64 s[6:7], s[2:3], 1
	v_addc_co_u32_e32 v3, vcc, v6, v3, vcc
	s_mov_b64 s[8:9], 0
	v_mov_b32_e32 v6, s3
	v_mov_b32_e32 v7, s5
	;; [unrolled: 1-line block ×3, first 2 shown]
.LBB1051_18:                            ; =>This Inner Loop Header: Depth=1
	global_load_ushort v9, v[0:1], off
	v_add_co_u32_e32 v4, vcc, s2, v4
	v_addc_co_u32_e32 v5, vcc, v5, v6, vcc
	v_add_co_u32_e32 v0, vcc, s4, v0
	v_addc_co_u32_e32 v1, vcc, v1, v7, vcc
	v_cmp_le_u64_e32 vcc, s[0:1], v[4:5]
	s_or_b64 s[8:9], vcc, s[8:9]
	s_waitcnt vmcnt(0)
	global_store_short v[2:3], v9, off
	v_add_co_u32_e32 v2, vcc, s6, v2
	v_addc_co_u32_e32 v3, vcc, v3, v8, vcc
	s_andn2_b64 exec, exec, s[8:9]
	s_cbranch_execnz .LBB1051_18
.LBB1051_19:
	s_endpgm
	.section	.rodata,"a",@progbits
	.p2align	6, 0x0
	.amdhsa_kernel _ZN7rocprim17ROCPRIM_400000_NS6detail30init_device_scan_by_key_kernelINS1_19lookback_scan_stateINS0_5tupleIJibEEELb1ELb1EEEN6thrust23THRUST_200600_302600_NS6detail15normal_iteratorINS8_10device_ptrIsEEEEjNS1_16block_id_wrapperIjLb1EEEEEvT_jjPNSG_10value_typeET0_PNSt15iterator_traitsISJ_E10value_typeEmT1_T2_
		.amdhsa_group_segment_fixed_size 0
		.amdhsa_private_segment_fixed_size 0
		.amdhsa_kernarg_size 320
		.amdhsa_user_sgpr_count 6
		.amdhsa_user_sgpr_private_segment_buffer 1
		.amdhsa_user_sgpr_dispatch_ptr 0
		.amdhsa_user_sgpr_queue_ptr 0
		.amdhsa_user_sgpr_kernarg_segment_ptr 1
		.amdhsa_user_sgpr_dispatch_id 0
		.amdhsa_user_sgpr_flat_scratch_init 0
		.amdhsa_user_sgpr_kernarg_preload_length 0
		.amdhsa_user_sgpr_kernarg_preload_offset 0
		.amdhsa_user_sgpr_private_segment_size 0
		.amdhsa_uses_dynamic_stack 0
		.amdhsa_system_sgpr_private_segment_wavefront_offset 0
		.amdhsa_system_sgpr_workgroup_id_x 1
		.amdhsa_system_sgpr_workgroup_id_y 0
		.amdhsa_system_sgpr_workgroup_id_z 0
		.amdhsa_system_sgpr_workgroup_info 0
		.amdhsa_system_vgpr_workitem_id 0
		.amdhsa_next_free_vgpr 10
		.amdhsa_next_free_sgpr 20
		.amdhsa_accum_offset 12
		.amdhsa_reserve_vcc 1
		.amdhsa_reserve_flat_scratch 0
		.amdhsa_float_round_mode_32 0
		.amdhsa_float_round_mode_16_64 0
		.amdhsa_float_denorm_mode_32 3
		.amdhsa_float_denorm_mode_16_64 3
		.amdhsa_dx10_clamp 1
		.amdhsa_ieee_mode 1
		.amdhsa_fp16_overflow 0
		.amdhsa_tg_split 0
		.amdhsa_exception_fp_ieee_invalid_op 0
		.amdhsa_exception_fp_denorm_src 0
		.amdhsa_exception_fp_ieee_div_zero 0
		.amdhsa_exception_fp_ieee_overflow 0
		.amdhsa_exception_fp_ieee_underflow 0
		.amdhsa_exception_fp_ieee_inexact 0
		.amdhsa_exception_int_div_zero 0
	.end_amdhsa_kernel
	.section	.text._ZN7rocprim17ROCPRIM_400000_NS6detail30init_device_scan_by_key_kernelINS1_19lookback_scan_stateINS0_5tupleIJibEEELb1ELb1EEEN6thrust23THRUST_200600_302600_NS6detail15normal_iteratorINS8_10device_ptrIsEEEEjNS1_16block_id_wrapperIjLb1EEEEEvT_jjPNSG_10value_typeET0_PNSt15iterator_traitsISJ_E10value_typeEmT1_T2_,"axG",@progbits,_ZN7rocprim17ROCPRIM_400000_NS6detail30init_device_scan_by_key_kernelINS1_19lookback_scan_stateINS0_5tupleIJibEEELb1ELb1EEEN6thrust23THRUST_200600_302600_NS6detail15normal_iteratorINS8_10device_ptrIsEEEEjNS1_16block_id_wrapperIjLb1EEEEEvT_jjPNSG_10value_typeET0_PNSt15iterator_traitsISJ_E10value_typeEmT1_T2_,comdat
.Lfunc_end1051:
	.size	_ZN7rocprim17ROCPRIM_400000_NS6detail30init_device_scan_by_key_kernelINS1_19lookback_scan_stateINS0_5tupleIJibEEELb1ELb1EEEN6thrust23THRUST_200600_302600_NS6detail15normal_iteratorINS8_10device_ptrIsEEEEjNS1_16block_id_wrapperIjLb1EEEEEvT_jjPNSG_10value_typeET0_PNSt15iterator_traitsISJ_E10value_typeEmT1_T2_, .Lfunc_end1051-_ZN7rocprim17ROCPRIM_400000_NS6detail30init_device_scan_by_key_kernelINS1_19lookback_scan_stateINS0_5tupleIJibEEELb1ELb1EEEN6thrust23THRUST_200600_302600_NS6detail15normal_iteratorINS8_10device_ptrIsEEEEjNS1_16block_id_wrapperIjLb1EEEEEvT_jjPNSG_10value_typeET0_PNSt15iterator_traitsISJ_E10value_typeEmT1_T2_
                                        ; -- End function
	.section	.AMDGPU.csdata,"",@progbits
; Kernel info:
; codeLenInByte = 652
; NumSgprs: 24
; NumVgprs: 10
; NumAgprs: 0
; TotalNumVgprs: 10
; ScratchSize: 0
; MemoryBound: 0
; FloatMode: 240
; IeeeMode: 1
; LDSByteSize: 0 bytes/workgroup (compile time only)
; SGPRBlocks: 2
; VGPRBlocks: 1
; NumSGPRsForWavesPerEU: 24
; NumVGPRsForWavesPerEU: 10
; AccumOffset: 12
; Occupancy: 8
; WaveLimiterHint : 0
; COMPUTE_PGM_RSRC2:SCRATCH_EN: 0
; COMPUTE_PGM_RSRC2:USER_SGPR: 6
; COMPUTE_PGM_RSRC2:TRAP_HANDLER: 0
; COMPUTE_PGM_RSRC2:TGID_X_EN: 1
; COMPUTE_PGM_RSRC2:TGID_Y_EN: 0
; COMPUTE_PGM_RSRC2:TGID_Z_EN: 0
; COMPUTE_PGM_RSRC2:TIDIG_COMP_CNT: 0
; COMPUTE_PGM_RSRC3_GFX90A:ACCUM_OFFSET: 2
; COMPUTE_PGM_RSRC3_GFX90A:TG_SPLIT: 0
	.section	.text._ZN7rocprim17ROCPRIM_400000_NS6detail17trampoline_kernelINS0_14default_configENS1_27scan_by_key_config_selectorIsiEEZZNS1_16scan_by_key_implILNS1_25lookback_scan_determinismE0ELb1ES3_N6thrust23THRUST_200600_302600_NS6detail15normal_iteratorINS9_10device_ptrIsEEEESE_SE_iNS9_4plusIvEENS9_8equal_toIvEEiEE10hipError_tPvRmT2_T3_T4_T5_mT6_T7_P12ihipStream_tbENKUlT_T0_E_clISt17integral_constantIbLb1EESZ_EEDaSU_SV_EUlSU_E_NS1_11comp_targetILNS1_3genE0ELNS1_11target_archE4294967295ELNS1_3gpuE0ELNS1_3repE0EEENS1_30default_config_static_selectorELNS0_4arch9wavefront6targetE1EEEvT1_,"axG",@progbits,_ZN7rocprim17ROCPRIM_400000_NS6detail17trampoline_kernelINS0_14default_configENS1_27scan_by_key_config_selectorIsiEEZZNS1_16scan_by_key_implILNS1_25lookback_scan_determinismE0ELb1ES3_N6thrust23THRUST_200600_302600_NS6detail15normal_iteratorINS9_10device_ptrIsEEEESE_SE_iNS9_4plusIvEENS9_8equal_toIvEEiEE10hipError_tPvRmT2_T3_T4_T5_mT6_T7_P12ihipStream_tbENKUlT_T0_E_clISt17integral_constantIbLb1EESZ_EEDaSU_SV_EUlSU_E_NS1_11comp_targetILNS1_3genE0ELNS1_11target_archE4294967295ELNS1_3gpuE0ELNS1_3repE0EEENS1_30default_config_static_selectorELNS0_4arch9wavefront6targetE1EEEvT1_,comdat
	.protected	_ZN7rocprim17ROCPRIM_400000_NS6detail17trampoline_kernelINS0_14default_configENS1_27scan_by_key_config_selectorIsiEEZZNS1_16scan_by_key_implILNS1_25lookback_scan_determinismE0ELb1ES3_N6thrust23THRUST_200600_302600_NS6detail15normal_iteratorINS9_10device_ptrIsEEEESE_SE_iNS9_4plusIvEENS9_8equal_toIvEEiEE10hipError_tPvRmT2_T3_T4_T5_mT6_T7_P12ihipStream_tbENKUlT_T0_E_clISt17integral_constantIbLb1EESZ_EEDaSU_SV_EUlSU_E_NS1_11comp_targetILNS1_3genE0ELNS1_11target_archE4294967295ELNS1_3gpuE0ELNS1_3repE0EEENS1_30default_config_static_selectorELNS0_4arch9wavefront6targetE1EEEvT1_ ; -- Begin function _ZN7rocprim17ROCPRIM_400000_NS6detail17trampoline_kernelINS0_14default_configENS1_27scan_by_key_config_selectorIsiEEZZNS1_16scan_by_key_implILNS1_25lookback_scan_determinismE0ELb1ES3_N6thrust23THRUST_200600_302600_NS6detail15normal_iteratorINS9_10device_ptrIsEEEESE_SE_iNS9_4plusIvEENS9_8equal_toIvEEiEE10hipError_tPvRmT2_T3_T4_T5_mT6_T7_P12ihipStream_tbENKUlT_T0_E_clISt17integral_constantIbLb1EESZ_EEDaSU_SV_EUlSU_E_NS1_11comp_targetILNS1_3genE0ELNS1_11target_archE4294967295ELNS1_3gpuE0ELNS1_3repE0EEENS1_30default_config_static_selectorELNS0_4arch9wavefront6targetE1EEEvT1_
	.globl	_ZN7rocprim17ROCPRIM_400000_NS6detail17trampoline_kernelINS0_14default_configENS1_27scan_by_key_config_selectorIsiEEZZNS1_16scan_by_key_implILNS1_25lookback_scan_determinismE0ELb1ES3_N6thrust23THRUST_200600_302600_NS6detail15normal_iteratorINS9_10device_ptrIsEEEESE_SE_iNS9_4plusIvEENS9_8equal_toIvEEiEE10hipError_tPvRmT2_T3_T4_T5_mT6_T7_P12ihipStream_tbENKUlT_T0_E_clISt17integral_constantIbLb1EESZ_EEDaSU_SV_EUlSU_E_NS1_11comp_targetILNS1_3genE0ELNS1_11target_archE4294967295ELNS1_3gpuE0ELNS1_3repE0EEENS1_30default_config_static_selectorELNS0_4arch9wavefront6targetE1EEEvT1_
	.p2align	8
	.type	_ZN7rocprim17ROCPRIM_400000_NS6detail17trampoline_kernelINS0_14default_configENS1_27scan_by_key_config_selectorIsiEEZZNS1_16scan_by_key_implILNS1_25lookback_scan_determinismE0ELb1ES3_N6thrust23THRUST_200600_302600_NS6detail15normal_iteratorINS9_10device_ptrIsEEEESE_SE_iNS9_4plusIvEENS9_8equal_toIvEEiEE10hipError_tPvRmT2_T3_T4_T5_mT6_T7_P12ihipStream_tbENKUlT_T0_E_clISt17integral_constantIbLb1EESZ_EEDaSU_SV_EUlSU_E_NS1_11comp_targetILNS1_3genE0ELNS1_11target_archE4294967295ELNS1_3gpuE0ELNS1_3repE0EEENS1_30default_config_static_selectorELNS0_4arch9wavefront6targetE1EEEvT1_,@function
_ZN7rocprim17ROCPRIM_400000_NS6detail17trampoline_kernelINS0_14default_configENS1_27scan_by_key_config_selectorIsiEEZZNS1_16scan_by_key_implILNS1_25lookback_scan_determinismE0ELb1ES3_N6thrust23THRUST_200600_302600_NS6detail15normal_iteratorINS9_10device_ptrIsEEEESE_SE_iNS9_4plusIvEENS9_8equal_toIvEEiEE10hipError_tPvRmT2_T3_T4_T5_mT6_T7_P12ihipStream_tbENKUlT_T0_E_clISt17integral_constantIbLb1EESZ_EEDaSU_SV_EUlSU_E_NS1_11comp_targetILNS1_3genE0ELNS1_11target_archE4294967295ELNS1_3gpuE0ELNS1_3repE0EEENS1_30default_config_static_selectorELNS0_4arch9wavefront6targetE1EEEvT1_: ; @_ZN7rocprim17ROCPRIM_400000_NS6detail17trampoline_kernelINS0_14default_configENS1_27scan_by_key_config_selectorIsiEEZZNS1_16scan_by_key_implILNS1_25lookback_scan_determinismE0ELb1ES3_N6thrust23THRUST_200600_302600_NS6detail15normal_iteratorINS9_10device_ptrIsEEEESE_SE_iNS9_4plusIvEENS9_8equal_toIvEEiEE10hipError_tPvRmT2_T3_T4_T5_mT6_T7_P12ihipStream_tbENKUlT_T0_E_clISt17integral_constantIbLb1EESZ_EEDaSU_SV_EUlSU_E_NS1_11comp_targetILNS1_3genE0ELNS1_11target_archE4294967295ELNS1_3gpuE0ELNS1_3repE0EEENS1_30default_config_static_selectorELNS0_4arch9wavefront6targetE1EEEvT1_
; %bb.0:
	.section	.rodata,"a",@progbits
	.p2align	6, 0x0
	.amdhsa_kernel _ZN7rocprim17ROCPRIM_400000_NS6detail17trampoline_kernelINS0_14default_configENS1_27scan_by_key_config_selectorIsiEEZZNS1_16scan_by_key_implILNS1_25lookback_scan_determinismE0ELb1ES3_N6thrust23THRUST_200600_302600_NS6detail15normal_iteratorINS9_10device_ptrIsEEEESE_SE_iNS9_4plusIvEENS9_8equal_toIvEEiEE10hipError_tPvRmT2_T3_T4_T5_mT6_T7_P12ihipStream_tbENKUlT_T0_E_clISt17integral_constantIbLb1EESZ_EEDaSU_SV_EUlSU_E_NS1_11comp_targetILNS1_3genE0ELNS1_11target_archE4294967295ELNS1_3gpuE0ELNS1_3repE0EEENS1_30default_config_static_selectorELNS0_4arch9wavefront6targetE1EEEvT1_
		.amdhsa_group_segment_fixed_size 0
		.amdhsa_private_segment_fixed_size 0
		.amdhsa_kernarg_size 112
		.amdhsa_user_sgpr_count 6
		.amdhsa_user_sgpr_private_segment_buffer 1
		.amdhsa_user_sgpr_dispatch_ptr 0
		.amdhsa_user_sgpr_queue_ptr 0
		.amdhsa_user_sgpr_kernarg_segment_ptr 1
		.amdhsa_user_sgpr_dispatch_id 0
		.amdhsa_user_sgpr_flat_scratch_init 0
		.amdhsa_user_sgpr_kernarg_preload_length 0
		.amdhsa_user_sgpr_kernarg_preload_offset 0
		.amdhsa_user_sgpr_private_segment_size 0
		.amdhsa_uses_dynamic_stack 0
		.amdhsa_system_sgpr_private_segment_wavefront_offset 0
		.amdhsa_system_sgpr_workgroup_id_x 1
		.amdhsa_system_sgpr_workgroup_id_y 0
		.amdhsa_system_sgpr_workgroup_id_z 0
		.amdhsa_system_sgpr_workgroup_info 0
		.amdhsa_system_vgpr_workitem_id 0
		.amdhsa_next_free_vgpr 1
		.amdhsa_next_free_sgpr 0
		.amdhsa_accum_offset 4
		.amdhsa_reserve_vcc 0
		.amdhsa_reserve_flat_scratch 0
		.amdhsa_float_round_mode_32 0
		.amdhsa_float_round_mode_16_64 0
		.amdhsa_float_denorm_mode_32 3
		.amdhsa_float_denorm_mode_16_64 3
		.amdhsa_dx10_clamp 1
		.amdhsa_ieee_mode 1
		.amdhsa_fp16_overflow 0
		.amdhsa_tg_split 0
		.amdhsa_exception_fp_ieee_invalid_op 0
		.amdhsa_exception_fp_denorm_src 0
		.amdhsa_exception_fp_ieee_div_zero 0
		.amdhsa_exception_fp_ieee_overflow 0
		.amdhsa_exception_fp_ieee_underflow 0
		.amdhsa_exception_fp_ieee_inexact 0
		.amdhsa_exception_int_div_zero 0
	.end_amdhsa_kernel
	.section	.text._ZN7rocprim17ROCPRIM_400000_NS6detail17trampoline_kernelINS0_14default_configENS1_27scan_by_key_config_selectorIsiEEZZNS1_16scan_by_key_implILNS1_25lookback_scan_determinismE0ELb1ES3_N6thrust23THRUST_200600_302600_NS6detail15normal_iteratorINS9_10device_ptrIsEEEESE_SE_iNS9_4plusIvEENS9_8equal_toIvEEiEE10hipError_tPvRmT2_T3_T4_T5_mT6_T7_P12ihipStream_tbENKUlT_T0_E_clISt17integral_constantIbLb1EESZ_EEDaSU_SV_EUlSU_E_NS1_11comp_targetILNS1_3genE0ELNS1_11target_archE4294967295ELNS1_3gpuE0ELNS1_3repE0EEENS1_30default_config_static_selectorELNS0_4arch9wavefront6targetE1EEEvT1_,"axG",@progbits,_ZN7rocprim17ROCPRIM_400000_NS6detail17trampoline_kernelINS0_14default_configENS1_27scan_by_key_config_selectorIsiEEZZNS1_16scan_by_key_implILNS1_25lookback_scan_determinismE0ELb1ES3_N6thrust23THRUST_200600_302600_NS6detail15normal_iteratorINS9_10device_ptrIsEEEESE_SE_iNS9_4plusIvEENS9_8equal_toIvEEiEE10hipError_tPvRmT2_T3_T4_T5_mT6_T7_P12ihipStream_tbENKUlT_T0_E_clISt17integral_constantIbLb1EESZ_EEDaSU_SV_EUlSU_E_NS1_11comp_targetILNS1_3genE0ELNS1_11target_archE4294967295ELNS1_3gpuE0ELNS1_3repE0EEENS1_30default_config_static_selectorELNS0_4arch9wavefront6targetE1EEEvT1_,comdat
.Lfunc_end1052:
	.size	_ZN7rocprim17ROCPRIM_400000_NS6detail17trampoline_kernelINS0_14default_configENS1_27scan_by_key_config_selectorIsiEEZZNS1_16scan_by_key_implILNS1_25lookback_scan_determinismE0ELb1ES3_N6thrust23THRUST_200600_302600_NS6detail15normal_iteratorINS9_10device_ptrIsEEEESE_SE_iNS9_4plusIvEENS9_8equal_toIvEEiEE10hipError_tPvRmT2_T3_T4_T5_mT6_T7_P12ihipStream_tbENKUlT_T0_E_clISt17integral_constantIbLb1EESZ_EEDaSU_SV_EUlSU_E_NS1_11comp_targetILNS1_3genE0ELNS1_11target_archE4294967295ELNS1_3gpuE0ELNS1_3repE0EEENS1_30default_config_static_selectorELNS0_4arch9wavefront6targetE1EEEvT1_, .Lfunc_end1052-_ZN7rocprim17ROCPRIM_400000_NS6detail17trampoline_kernelINS0_14default_configENS1_27scan_by_key_config_selectorIsiEEZZNS1_16scan_by_key_implILNS1_25lookback_scan_determinismE0ELb1ES3_N6thrust23THRUST_200600_302600_NS6detail15normal_iteratorINS9_10device_ptrIsEEEESE_SE_iNS9_4plusIvEENS9_8equal_toIvEEiEE10hipError_tPvRmT2_T3_T4_T5_mT6_T7_P12ihipStream_tbENKUlT_T0_E_clISt17integral_constantIbLb1EESZ_EEDaSU_SV_EUlSU_E_NS1_11comp_targetILNS1_3genE0ELNS1_11target_archE4294967295ELNS1_3gpuE0ELNS1_3repE0EEENS1_30default_config_static_selectorELNS0_4arch9wavefront6targetE1EEEvT1_
                                        ; -- End function
	.section	.AMDGPU.csdata,"",@progbits
; Kernel info:
; codeLenInByte = 0
; NumSgprs: 4
; NumVgprs: 0
; NumAgprs: 0
; TotalNumVgprs: 0
; ScratchSize: 0
; MemoryBound: 0
; FloatMode: 240
; IeeeMode: 1
; LDSByteSize: 0 bytes/workgroup (compile time only)
; SGPRBlocks: 0
; VGPRBlocks: 0
; NumSGPRsForWavesPerEU: 4
; NumVGPRsForWavesPerEU: 1
; AccumOffset: 4
; Occupancy: 8
; WaveLimiterHint : 0
; COMPUTE_PGM_RSRC2:SCRATCH_EN: 0
; COMPUTE_PGM_RSRC2:USER_SGPR: 6
; COMPUTE_PGM_RSRC2:TRAP_HANDLER: 0
; COMPUTE_PGM_RSRC2:TGID_X_EN: 1
; COMPUTE_PGM_RSRC2:TGID_Y_EN: 0
; COMPUTE_PGM_RSRC2:TGID_Z_EN: 0
; COMPUTE_PGM_RSRC2:TIDIG_COMP_CNT: 0
; COMPUTE_PGM_RSRC3_GFX90A:ACCUM_OFFSET: 0
; COMPUTE_PGM_RSRC3_GFX90A:TG_SPLIT: 0
	.section	.text._ZN7rocprim17ROCPRIM_400000_NS6detail17trampoline_kernelINS0_14default_configENS1_27scan_by_key_config_selectorIsiEEZZNS1_16scan_by_key_implILNS1_25lookback_scan_determinismE0ELb1ES3_N6thrust23THRUST_200600_302600_NS6detail15normal_iteratorINS9_10device_ptrIsEEEESE_SE_iNS9_4plusIvEENS9_8equal_toIvEEiEE10hipError_tPvRmT2_T3_T4_T5_mT6_T7_P12ihipStream_tbENKUlT_T0_E_clISt17integral_constantIbLb1EESZ_EEDaSU_SV_EUlSU_E_NS1_11comp_targetILNS1_3genE10ELNS1_11target_archE1201ELNS1_3gpuE5ELNS1_3repE0EEENS1_30default_config_static_selectorELNS0_4arch9wavefront6targetE1EEEvT1_,"axG",@progbits,_ZN7rocprim17ROCPRIM_400000_NS6detail17trampoline_kernelINS0_14default_configENS1_27scan_by_key_config_selectorIsiEEZZNS1_16scan_by_key_implILNS1_25lookback_scan_determinismE0ELb1ES3_N6thrust23THRUST_200600_302600_NS6detail15normal_iteratorINS9_10device_ptrIsEEEESE_SE_iNS9_4plusIvEENS9_8equal_toIvEEiEE10hipError_tPvRmT2_T3_T4_T5_mT6_T7_P12ihipStream_tbENKUlT_T0_E_clISt17integral_constantIbLb1EESZ_EEDaSU_SV_EUlSU_E_NS1_11comp_targetILNS1_3genE10ELNS1_11target_archE1201ELNS1_3gpuE5ELNS1_3repE0EEENS1_30default_config_static_selectorELNS0_4arch9wavefront6targetE1EEEvT1_,comdat
	.protected	_ZN7rocprim17ROCPRIM_400000_NS6detail17trampoline_kernelINS0_14default_configENS1_27scan_by_key_config_selectorIsiEEZZNS1_16scan_by_key_implILNS1_25lookback_scan_determinismE0ELb1ES3_N6thrust23THRUST_200600_302600_NS6detail15normal_iteratorINS9_10device_ptrIsEEEESE_SE_iNS9_4plusIvEENS9_8equal_toIvEEiEE10hipError_tPvRmT2_T3_T4_T5_mT6_T7_P12ihipStream_tbENKUlT_T0_E_clISt17integral_constantIbLb1EESZ_EEDaSU_SV_EUlSU_E_NS1_11comp_targetILNS1_3genE10ELNS1_11target_archE1201ELNS1_3gpuE5ELNS1_3repE0EEENS1_30default_config_static_selectorELNS0_4arch9wavefront6targetE1EEEvT1_ ; -- Begin function _ZN7rocprim17ROCPRIM_400000_NS6detail17trampoline_kernelINS0_14default_configENS1_27scan_by_key_config_selectorIsiEEZZNS1_16scan_by_key_implILNS1_25lookback_scan_determinismE0ELb1ES3_N6thrust23THRUST_200600_302600_NS6detail15normal_iteratorINS9_10device_ptrIsEEEESE_SE_iNS9_4plusIvEENS9_8equal_toIvEEiEE10hipError_tPvRmT2_T3_T4_T5_mT6_T7_P12ihipStream_tbENKUlT_T0_E_clISt17integral_constantIbLb1EESZ_EEDaSU_SV_EUlSU_E_NS1_11comp_targetILNS1_3genE10ELNS1_11target_archE1201ELNS1_3gpuE5ELNS1_3repE0EEENS1_30default_config_static_selectorELNS0_4arch9wavefront6targetE1EEEvT1_
	.globl	_ZN7rocprim17ROCPRIM_400000_NS6detail17trampoline_kernelINS0_14default_configENS1_27scan_by_key_config_selectorIsiEEZZNS1_16scan_by_key_implILNS1_25lookback_scan_determinismE0ELb1ES3_N6thrust23THRUST_200600_302600_NS6detail15normal_iteratorINS9_10device_ptrIsEEEESE_SE_iNS9_4plusIvEENS9_8equal_toIvEEiEE10hipError_tPvRmT2_T3_T4_T5_mT6_T7_P12ihipStream_tbENKUlT_T0_E_clISt17integral_constantIbLb1EESZ_EEDaSU_SV_EUlSU_E_NS1_11comp_targetILNS1_3genE10ELNS1_11target_archE1201ELNS1_3gpuE5ELNS1_3repE0EEENS1_30default_config_static_selectorELNS0_4arch9wavefront6targetE1EEEvT1_
	.p2align	8
	.type	_ZN7rocprim17ROCPRIM_400000_NS6detail17trampoline_kernelINS0_14default_configENS1_27scan_by_key_config_selectorIsiEEZZNS1_16scan_by_key_implILNS1_25lookback_scan_determinismE0ELb1ES3_N6thrust23THRUST_200600_302600_NS6detail15normal_iteratorINS9_10device_ptrIsEEEESE_SE_iNS9_4plusIvEENS9_8equal_toIvEEiEE10hipError_tPvRmT2_T3_T4_T5_mT6_T7_P12ihipStream_tbENKUlT_T0_E_clISt17integral_constantIbLb1EESZ_EEDaSU_SV_EUlSU_E_NS1_11comp_targetILNS1_3genE10ELNS1_11target_archE1201ELNS1_3gpuE5ELNS1_3repE0EEENS1_30default_config_static_selectorELNS0_4arch9wavefront6targetE1EEEvT1_,@function
_ZN7rocprim17ROCPRIM_400000_NS6detail17trampoline_kernelINS0_14default_configENS1_27scan_by_key_config_selectorIsiEEZZNS1_16scan_by_key_implILNS1_25lookback_scan_determinismE0ELb1ES3_N6thrust23THRUST_200600_302600_NS6detail15normal_iteratorINS9_10device_ptrIsEEEESE_SE_iNS9_4plusIvEENS9_8equal_toIvEEiEE10hipError_tPvRmT2_T3_T4_T5_mT6_T7_P12ihipStream_tbENKUlT_T0_E_clISt17integral_constantIbLb1EESZ_EEDaSU_SV_EUlSU_E_NS1_11comp_targetILNS1_3genE10ELNS1_11target_archE1201ELNS1_3gpuE5ELNS1_3repE0EEENS1_30default_config_static_selectorELNS0_4arch9wavefront6targetE1EEEvT1_: ; @_ZN7rocprim17ROCPRIM_400000_NS6detail17trampoline_kernelINS0_14default_configENS1_27scan_by_key_config_selectorIsiEEZZNS1_16scan_by_key_implILNS1_25lookback_scan_determinismE0ELb1ES3_N6thrust23THRUST_200600_302600_NS6detail15normal_iteratorINS9_10device_ptrIsEEEESE_SE_iNS9_4plusIvEENS9_8equal_toIvEEiEE10hipError_tPvRmT2_T3_T4_T5_mT6_T7_P12ihipStream_tbENKUlT_T0_E_clISt17integral_constantIbLb1EESZ_EEDaSU_SV_EUlSU_E_NS1_11comp_targetILNS1_3genE10ELNS1_11target_archE1201ELNS1_3gpuE5ELNS1_3repE0EEENS1_30default_config_static_selectorELNS0_4arch9wavefront6targetE1EEEvT1_
; %bb.0:
	.section	.rodata,"a",@progbits
	.p2align	6, 0x0
	.amdhsa_kernel _ZN7rocprim17ROCPRIM_400000_NS6detail17trampoline_kernelINS0_14default_configENS1_27scan_by_key_config_selectorIsiEEZZNS1_16scan_by_key_implILNS1_25lookback_scan_determinismE0ELb1ES3_N6thrust23THRUST_200600_302600_NS6detail15normal_iteratorINS9_10device_ptrIsEEEESE_SE_iNS9_4plusIvEENS9_8equal_toIvEEiEE10hipError_tPvRmT2_T3_T4_T5_mT6_T7_P12ihipStream_tbENKUlT_T0_E_clISt17integral_constantIbLb1EESZ_EEDaSU_SV_EUlSU_E_NS1_11comp_targetILNS1_3genE10ELNS1_11target_archE1201ELNS1_3gpuE5ELNS1_3repE0EEENS1_30default_config_static_selectorELNS0_4arch9wavefront6targetE1EEEvT1_
		.amdhsa_group_segment_fixed_size 0
		.amdhsa_private_segment_fixed_size 0
		.amdhsa_kernarg_size 112
		.amdhsa_user_sgpr_count 6
		.amdhsa_user_sgpr_private_segment_buffer 1
		.amdhsa_user_sgpr_dispatch_ptr 0
		.amdhsa_user_sgpr_queue_ptr 0
		.amdhsa_user_sgpr_kernarg_segment_ptr 1
		.amdhsa_user_sgpr_dispatch_id 0
		.amdhsa_user_sgpr_flat_scratch_init 0
		.amdhsa_user_sgpr_kernarg_preload_length 0
		.amdhsa_user_sgpr_kernarg_preload_offset 0
		.amdhsa_user_sgpr_private_segment_size 0
		.amdhsa_uses_dynamic_stack 0
		.amdhsa_system_sgpr_private_segment_wavefront_offset 0
		.amdhsa_system_sgpr_workgroup_id_x 1
		.amdhsa_system_sgpr_workgroup_id_y 0
		.amdhsa_system_sgpr_workgroup_id_z 0
		.amdhsa_system_sgpr_workgroup_info 0
		.amdhsa_system_vgpr_workitem_id 0
		.amdhsa_next_free_vgpr 1
		.amdhsa_next_free_sgpr 0
		.amdhsa_accum_offset 4
		.amdhsa_reserve_vcc 0
		.amdhsa_reserve_flat_scratch 0
		.amdhsa_float_round_mode_32 0
		.amdhsa_float_round_mode_16_64 0
		.amdhsa_float_denorm_mode_32 3
		.amdhsa_float_denorm_mode_16_64 3
		.amdhsa_dx10_clamp 1
		.amdhsa_ieee_mode 1
		.amdhsa_fp16_overflow 0
		.amdhsa_tg_split 0
		.amdhsa_exception_fp_ieee_invalid_op 0
		.amdhsa_exception_fp_denorm_src 0
		.amdhsa_exception_fp_ieee_div_zero 0
		.amdhsa_exception_fp_ieee_overflow 0
		.amdhsa_exception_fp_ieee_underflow 0
		.amdhsa_exception_fp_ieee_inexact 0
		.amdhsa_exception_int_div_zero 0
	.end_amdhsa_kernel
	.section	.text._ZN7rocprim17ROCPRIM_400000_NS6detail17trampoline_kernelINS0_14default_configENS1_27scan_by_key_config_selectorIsiEEZZNS1_16scan_by_key_implILNS1_25lookback_scan_determinismE0ELb1ES3_N6thrust23THRUST_200600_302600_NS6detail15normal_iteratorINS9_10device_ptrIsEEEESE_SE_iNS9_4plusIvEENS9_8equal_toIvEEiEE10hipError_tPvRmT2_T3_T4_T5_mT6_T7_P12ihipStream_tbENKUlT_T0_E_clISt17integral_constantIbLb1EESZ_EEDaSU_SV_EUlSU_E_NS1_11comp_targetILNS1_3genE10ELNS1_11target_archE1201ELNS1_3gpuE5ELNS1_3repE0EEENS1_30default_config_static_selectorELNS0_4arch9wavefront6targetE1EEEvT1_,"axG",@progbits,_ZN7rocprim17ROCPRIM_400000_NS6detail17trampoline_kernelINS0_14default_configENS1_27scan_by_key_config_selectorIsiEEZZNS1_16scan_by_key_implILNS1_25lookback_scan_determinismE0ELb1ES3_N6thrust23THRUST_200600_302600_NS6detail15normal_iteratorINS9_10device_ptrIsEEEESE_SE_iNS9_4plusIvEENS9_8equal_toIvEEiEE10hipError_tPvRmT2_T3_T4_T5_mT6_T7_P12ihipStream_tbENKUlT_T0_E_clISt17integral_constantIbLb1EESZ_EEDaSU_SV_EUlSU_E_NS1_11comp_targetILNS1_3genE10ELNS1_11target_archE1201ELNS1_3gpuE5ELNS1_3repE0EEENS1_30default_config_static_selectorELNS0_4arch9wavefront6targetE1EEEvT1_,comdat
.Lfunc_end1053:
	.size	_ZN7rocprim17ROCPRIM_400000_NS6detail17trampoline_kernelINS0_14default_configENS1_27scan_by_key_config_selectorIsiEEZZNS1_16scan_by_key_implILNS1_25lookback_scan_determinismE0ELb1ES3_N6thrust23THRUST_200600_302600_NS6detail15normal_iteratorINS9_10device_ptrIsEEEESE_SE_iNS9_4plusIvEENS9_8equal_toIvEEiEE10hipError_tPvRmT2_T3_T4_T5_mT6_T7_P12ihipStream_tbENKUlT_T0_E_clISt17integral_constantIbLb1EESZ_EEDaSU_SV_EUlSU_E_NS1_11comp_targetILNS1_3genE10ELNS1_11target_archE1201ELNS1_3gpuE5ELNS1_3repE0EEENS1_30default_config_static_selectorELNS0_4arch9wavefront6targetE1EEEvT1_, .Lfunc_end1053-_ZN7rocprim17ROCPRIM_400000_NS6detail17trampoline_kernelINS0_14default_configENS1_27scan_by_key_config_selectorIsiEEZZNS1_16scan_by_key_implILNS1_25lookback_scan_determinismE0ELb1ES3_N6thrust23THRUST_200600_302600_NS6detail15normal_iteratorINS9_10device_ptrIsEEEESE_SE_iNS9_4plusIvEENS9_8equal_toIvEEiEE10hipError_tPvRmT2_T3_T4_T5_mT6_T7_P12ihipStream_tbENKUlT_T0_E_clISt17integral_constantIbLb1EESZ_EEDaSU_SV_EUlSU_E_NS1_11comp_targetILNS1_3genE10ELNS1_11target_archE1201ELNS1_3gpuE5ELNS1_3repE0EEENS1_30default_config_static_selectorELNS0_4arch9wavefront6targetE1EEEvT1_
                                        ; -- End function
	.section	.AMDGPU.csdata,"",@progbits
; Kernel info:
; codeLenInByte = 0
; NumSgprs: 4
; NumVgprs: 0
; NumAgprs: 0
; TotalNumVgprs: 0
; ScratchSize: 0
; MemoryBound: 0
; FloatMode: 240
; IeeeMode: 1
; LDSByteSize: 0 bytes/workgroup (compile time only)
; SGPRBlocks: 0
; VGPRBlocks: 0
; NumSGPRsForWavesPerEU: 4
; NumVGPRsForWavesPerEU: 1
; AccumOffset: 4
; Occupancy: 8
; WaveLimiterHint : 0
; COMPUTE_PGM_RSRC2:SCRATCH_EN: 0
; COMPUTE_PGM_RSRC2:USER_SGPR: 6
; COMPUTE_PGM_RSRC2:TRAP_HANDLER: 0
; COMPUTE_PGM_RSRC2:TGID_X_EN: 1
; COMPUTE_PGM_RSRC2:TGID_Y_EN: 0
; COMPUTE_PGM_RSRC2:TGID_Z_EN: 0
; COMPUTE_PGM_RSRC2:TIDIG_COMP_CNT: 0
; COMPUTE_PGM_RSRC3_GFX90A:ACCUM_OFFSET: 0
; COMPUTE_PGM_RSRC3_GFX90A:TG_SPLIT: 0
	.section	.text._ZN7rocprim17ROCPRIM_400000_NS6detail17trampoline_kernelINS0_14default_configENS1_27scan_by_key_config_selectorIsiEEZZNS1_16scan_by_key_implILNS1_25lookback_scan_determinismE0ELb1ES3_N6thrust23THRUST_200600_302600_NS6detail15normal_iteratorINS9_10device_ptrIsEEEESE_SE_iNS9_4plusIvEENS9_8equal_toIvEEiEE10hipError_tPvRmT2_T3_T4_T5_mT6_T7_P12ihipStream_tbENKUlT_T0_E_clISt17integral_constantIbLb1EESZ_EEDaSU_SV_EUlSU_E_NS1_11comp_targetILNS1_3genE5ELNS1_11target_archE942ELNS1_3gpuE9ELNS1_3repE0EEENS1_30default_config_static_selectorELNS0_4arch9wavefront6targetE1EEEvT1_,"axG",@progbits,_ZN7rocprim17ROCPRIM_400000_NS6detail17trampoline_kernelINS0_14default_configENS1_27scan_by_key_config_selectorIsiEEZZNS1_16scan_by_key_implILNS1_25lookback_scan_determinismE0ELb1ES3_N6thrust23THRUST_200600_302600_NS6detail15normal_iteratorINS9_10device_ptrIsEEEESE_SE_iNS9_4plusIvEENS9_8equal_toIvEEiEE10hipError_tPvRmT2_T3_T4_T5_mT6_T7_P12ihipStream_tbENKUlT_T0_E_clISt17integral_constantIbLb1EESZ_EEDaSU_SV_EUlSU_E_NS1_11comp_targetILNS1_3genE5ELNS1_11target_archE942ELNS1_3gpuE9ELNS1_3repE0EEENS1_30default_config_static_selectorELNS0_4arch9wavefront6targetE1EEEvT1_,comdat
	.protected	_ZN7rocprim17ROCPRIM_400000_NS6detail17trampoline_kernelINS0_14default_configENS1_27scan_by_key_config_selectorIsiEEZZNS1_16scan_by_key_implILNS1_25lookback_scan_determinismE0ELb1ES3_N6thrust23THRUST_200600_302600_NS6detail15normal_iteratorINS9_10device_ptrIsEEEESE_SE_iNS9_4plusIvEENS9_8equal_toIvEEiEE10hipError_tPvRmT2_T3_T4_T5_mT6_T7_P12ihipStream_tbENKUlT_T0_E_clISt17integral_constantIbLb1EESZ_EEDaSU_SV_EUlSU_E_NS1_11comp_targetILNS1_3genE5ELNS1_11target_archE942ELNS1_3gpuE9ELNS1_3repE0EEENS1_30default_config_static_selectorELNS0_4arch9wavefront6targetE1EEEvT1_ ; -- Begin function _ZN7rocprim17ROCPRIM_400000_NS6detail17trampoline_kernelINS0_14default_configENS1_27scan_by_key_config_selectorIsiEEZZNS1_16scan_by_key_implILNS1_25lookback_scan_determinismE0ELb1ES3_N6thrust23THRUST_200600_302600_NS6detail15normal_iteratorINS9_10device_ptrIsEEEESE_SE_iNS9_4plusIvEENS9_8equal_toIvEEiEE10hipError_tPvRmT2_T3_T4_T5_mT6_T7_P12ihipStream_tbENKUlT_T0_E_clISt17integral_constantIbLb1EESZ_EEDaSU_SV_EUlSU_E_NS1_11comp_targetILNS1_3genE5ELNS1_11target_archE942ELNS1_3gpuE9ELNS1_3repE0EEENS1_30default_config_static_selectorELNS0_4arch9wavefront6targetE1EEEvT1_
	.globl	_ZN7rocprim17ROCPRIM_400000_NS6detail17trampoline_kernelINS0_14default_configENS1_27scan_by_key_config_selectorIsiEEZZNS1_16scan_by_key_implILNS1_25lookback_scan_determinismE0ELb1ES3_N6thrust23THRUST_200600_302600_NS6detail15normal_iteratorINS9_10device_ptrIsEEEESE_SE_iNS9_4plusIvEENS9_8equal_toIvEEiEE10hipError_tPvRmT2_T3_T4_T5_mT6_T7_P12ihipStream_tbENKUlT_T0_E_clISt17integral_constantIbLb1EESZ_EEDaSU_SV_EUlSU_E_NS1_11comp_targetILNS1_3genE5ELNS1_11target_archE942ELNS1_3gpuE9ELNS1_3repE0EEENS1_30default_config_static_selectorELNS0_4arch9wavefront6targetE1EEEvT1_
	.p2align	8
	.type	_ZN7rocprim17ROCPRIM_400000_NS6detail17trampoline_kernelINS0_14default_configENS1_27scan_by_key_config_selectorIsiEEZZNS1_16scan_by_key_implILNS1_25lookback_scan_determinismE0ELb1ES3_N6thrust23THRUST_200600_302600_NS6detail15normal_iteratorINS9_10device_ptrIsEEEESE_SE_iNS9_4plusIvEENS9_8equal_toIvEEiEE10hipError_tPvRmT2_T3_T4_T5_mT6_T7_P12ihipStream_tbENKUlT_T0_E_clISt17integral_constantIbLb1EESZ_EEDaSU_SV_EUlSU_E_NS1_11comp_targetILNS1_3genE5ELNS1_11target_archE942ELNS1_3gpuE9ELNS1_3repE0EEENS1_30default_config_static_selectorELNS0_4arch9wavefront6targetE1EEEvT1_,@function
_ZN7rocprim17ROCPRIM_400000_NS6detail17trampoline_kernelINS0_14default_configENS1_27scan_by_key_config_selectorIsiEEZZNS1_16scan_by_key_implILNS1_25lookback_scan_determinismE0ELb1ES3_N6thrust23THRUST_200600_302600_NS6detail15normal_iteratorINS9_10device_ptrIsEEEESE_SE_iNS9_4plusIvEENS9_8equal_toIvEEiEE10hipError_tPvRmT2_T3_T4_T5_mT6_T7_P12ihipStream_tbENKUlT_T0_E_clISt17integral_constantIbLb1EESZ_EEDaSU_SV_EUlSU_E_NS1_11comp_targetILNS1_3genE5ELNS1_11target_archE942ELNS1_3gpuE9ELNS1_3repE0EEENS1_30default_config_static_selectorELNS0_4arch9wavefront6targetE1EEEvT1_: ; @_ZN7rocprim17ROCPRIM_400000_NS6detail17trampoline_kernelINS0_14default_configENS1_27scan_by_key_config_selectorIsiEEZZNS1_16scan_by_key_implILNS1_25lookback_scan_determinismE0ELb1ES3_N6thrust23THRUST_200600_302600_NS6detail15normal_iteratorINS9_10device_ptrIsEEEESE_SE_iNS9_4plusIvEENS9_8equal_toIvEEiEE10hipError_tPvRmT2_T3_T4_T5_mT6_T7_P12ihipStream_tbENKUlT_T0_E_clISt17integral_constantIbLb1EESZ_EEDaSU_SV_EUlSU_E_NS1_11comp_targetILNS1_3genE5ELNS1_11target_archE942ELNS1_3gpuE9ELNS1_3repE0EEENS1_30default_config_static_selectorELNS0_4arch9wavefront6targetE1EEEvT1_
; %bb.0:
	.section	.rodata,"a",@progbits
	.p2align	6, 0x0
	.amdhsa_kernel _ZN7rocprim17ROCPRIM_400000_NS6detail17trampoline_kernelINS0_14default_configENS1_27scan_by_key_config_selectorIsiEEZZNS1_16scan_by_key_implILNS1_25lookback_scan_determinismE0ELb1ES3_N6thrust23THRUST_200600_302600_NS6detail15normal_iteratorINS9_10device_ptrIsEEEESE_SE_iNS9_4plusIvEENS9_8equal_toIvEEiEE10hipError_tPvRmT2_T3_T4_T5_mT6_T7_P12ihipStream_tbENKUlT_T0_E_clISt17integral_constantIbLb1EESZ_EEDaSU_SV_EUlSU_E_NS1_11comp_targetILNS1_3genE5ELNS1_11target_archE942ELNS1_3gpuE9ELNS1_3repE0EEENS1_30default_config_static_selectorELNS0_4arch9wavefront6targetE1EEEvT1_
		.amdhsa_group_segment_fixed_size 0
		.amdhsa_private_segment_fixed_size 0
		.amdhsa_kernarg_size 112
		.amdhsa_user_sgpr_count 6
		.amdhsa_user_sgpr_private_segment_buffer 1
		.amdhsa_user_sgpr_dispatch_ptr 0
		.amdhsa_user_sgpr_queue_ptr 0
		.amdhsa_user_sgpr_kernarg_segment_ptr 1
		.amdhsa_user_sgpr_dispatch_id 0
		.amdhsa_user_sgpr_flat_scratch_init 0
		.amdhsa_user_sgpr_kernarg_preload_length 0
		.amdhsa_user_sgpr_kernarg_preload_offset 0
		.amdhsa_user_sgpr_private_segment_size 0
		.amdhsa_uses_dynamic_stack 0
		.amdhsa_system_sgpr_private_segment_wavefront_offset 0
		.amdhsa_system_sgpr_workgroup_id_x 1
		.amdhsa_system_sgpr_workgroup_id_y 0
		.amdhsa_system_sgpr_workgroup_id_z 0
		.amdhsa_system_sgpr_workgroup_info 0
		.amdhsa_system_vgpr_workitem_id 0
		.amdhsa_next_free_vgpr 1
		.amdhsa_next_free_sgpr 0
		.amdhsa_accum_offset 4
		.amdhsa_reserve_vcc 0
		.amdhsa_reserve_flat_scratch 0
		.amdhsa_float_round_mode_32 0
		.amdhsa_float_round_mode_16_64 0
		.amdhsa_float_denorm_mode_32 3
		.amdhsa_float_denorm_mode_16_64 3
		.amdhsa_dx10_clamp 1
		.amdhsa_ieee_mode 1
		.amdhsa_fp16_overflow 0
		.amdhsa_tg_split 0
		.amdhsa_exception_fp_ieee_invalid_op 0
		.amdhsa_exception_fp_denorm_src 0
		.amdhsa_exception_fp_ieee_div_zero 0
		.amdhsa_exception_fp_ieee_overflow 0
		.amdhsa_exception_fp_ieee_underflow 0
		.amdhsa_exception_fp_ieee_inexact 0
		.amdhsa_exception_int_div_zero 0
	.end_amdhsa_kernel
	.section	.text._ZN7rocprim17ROCPRIM_400000_NS6detail17trampoline_kernelINS0_14default_configENS1_27scan_by_key_config_selectorIsiEEZZNS1_16scan_by_key_implILNS1_25lookback_scan_determinismE0ELb1ES3_N6thrust23THRUST_200600_302600_NS6detail15normal_iteratorINS9_10device_ptrIsEEEESE_SE_iNS9_4plusIvEENS9_8equal_toIvEEiEE10hipError_tPvRmT2_T3_T4_T5_mT6_T7_P12ihipStream_tbENKUlT_T0_E_clISt17integral_constantIbLb1EESZ_EEDaSU_SV_EUlSU_E_NS1_11comp_targetILNS1_3genE5ELNS1_11target_archE942ELNS1_3gpuE9ELNS1_3repE0EEENS1_30default_config_static_selectorELNS0_4arch9wavefront6targetE1EEEvT1_,"axG",@progbits,_ZN7rocprim17ROCPRIM_400000_NS6detail17trampoline_kernelINS0_14default_configENS1_27scan_by_key_config_selectorIsiEEZZNS1_16scan_by_key_implILNS1_25lookback_scan_determinismE0ELb1ES3_N6thrust23THRUST_200600_302600_NS6detail15normal_iteratorINS9_10device_ptrIsEEEESE_SE_iNS9_4plusIvEENS9_8equal_toIvEEiEE10hipError_tPvRmT2_T3_T4_T5_mT6_T7_P12ihipStream_tbENKUlT_T0_E_clISt17integral_constantIbLb1EESZ_EEDaSU_SV_EUlSU_E_NS1_11comp_targetILNS1_3genE5ELNS1_11target_archE942ELNS1_3gpuE9ELNS1_3repE0EEENS1_30default_config_static_selectorELNS0_4arch9wavefront6targetE1EEEvT1_,comdat
.Lfunc_end1054:
	.size	_ZN7rocprim17ROCPRIM_400000_NS6detail17trampoline_kernelINS0_14default_configENS1_27scan_by_key_config_selectorIsiEEZZNS1_16scan_by_key_implILNS1_25lookback_scan_determinismE0ELb1ES3_N6thrust23THRUST_200600_302600_NS6detail15normal_iteratorINS9_10device_ptrIsEEEESE_SE_iNS9_4plusIvEENS9_8equal_toIvEEiEE10hipError_tPvRmT2_T3_T4_T5_mT6_T7_P12ihipStream_tbENKUlT_T0_E_clISt17integral_constantIbLb1EESZ_EEDaSU_SV_EUlSU_E_NS1_11comp_targetILNS1_3genE5ELNS1_11target_archE942ELNS1_3gpuE9ELNS1_3repE0EEENS1_30default_config_static_selectorELNS0_4arch9wavefront6targetE1EEEvT1_, .Lfunc_end1054-_ZN7rocprim17ROCPRIM_400000_NS6detail17trampoline_kernelINS0_14default_configENS1_27scan_by_key_config_selectorIsiEEZZNS1_16scan_by_key_implILNS1_25lookback_scan_determinismE0ELb1ES3_N6thrust23THRUST_200600_302600_NS6detail15normal_iteratorINS9_10device_ptrIsEEEESE_SE_iNS9_4plusIvEENS9_8equal_toIvEEiEE10hipError_tPvRmT2_T3_T4_T5_mT6_T7_P12ihipStream_tbENKUlT_T0_E_clISt17integral_constantIbLb1EESZ_EEDaSU_SV_EUlSU_E_NS1_11comp_targetILNS1_3genE5ELNS1_11target_archE942ELNS1_3gpuE9ELNS1_3repE0EEENS1_30default_config_static_selectorELNS0_4arch9wavefront6targetE1EEEvT1_
                                        ; -- End function
	.section	.AMDGPU.csdata,"",@progbits
; Kernel info:
; codeLenInByte = 0
; NumSgprs: 4
; NumVgprs: 0
; NumAgprs: 0
; TotalNumVgprs: 0
; ScratchSize: 0
; MemoryBound: 0
; FloatMode: 240
; IeeeMode: 1
; LDSByteSize: 0 bytes/workgroup (compile time only)
; SGPRBlocks: 0
; VGPRBlocks: 0
; NumSGPRsForWavesPerEU: 4
; NumVGPRsForWavesPerEU: 1
; AccumOffset: 4
; Occupancy: 8
; WaveLimiterHint : 0
; COMPUTE_PGM_RSRC2:SCRATCH_EN: 0
; COMPUTE_PGM_RSRC2:USER_SGPR: 6
; COMPUTE_PGM_RSRC2:TRAP_HANDLER: 0
; COMPUTE_PGM_RSRC2:TGID_X_EN: 1
; COMPUTE_PGM_RSRC2:TGID_Y_EN: 0
; COMPUTE_PGM_RSRC2:TGID_Z_EN: 0
; COMPUTE_PGM_RSRC2:TIDIG_COMP_CNT: 0
; COMPUTE_PGM_RSRC3_GFX90A:ACCUM_OFFSET: 0
; COMPUTE_PGM_RSRC3_GFX90A:TG_SPLIT: 0
	.section	.text._ZN7rocprim17ROCPRIM_400000_NS6detail17trampoline_kernelINS0_14default_configENS1_27scan_by_key_config_selectorIsiEEZZNS1_16scan_by_key_implILNS1_25lookback_scan_determinismE0ELb1ES3_N6thrust23THRUST_200600_302600_NS6detail15normal_iteratorINS9_10device_ptrIsEEEESE_SE_iNS9_4plusIvEENS9_8equal_toIvEEiEE10hipError_tPvRmT2_T3_T4_T5_mT6_T7_P12ihipStream_tbENKUlT_T0_E_clISt17integral_constantIbLb1EESZ_EEDaSU_SV_EUlSU_E_NS1_11comp_targetILNS1_3genE4ELNS1_11target_archE910ELNS1_3gpuE8ELNS1_3repE0EEENS1_30default_config_static_selectorELNS0_4arch9wavefront6targetE1EEEvT1_,"axG",@progbits,_ZN7rocprim17ROCPRIM_400000_NS6detail17trampoline_kernelINS0_14default_configENS1_27scan_by_key_config_selectorIsiEEZZNS1_16scan_by_key_implILNS1_25lookback_scan_determinismE0ELb1ES3_N6thrust23THRUST_200600_302600_NS6detail15normal_iteratorINS9_10device_ptrIsEEEESE_SE_iNS9_4plusIvEENS9_8equal_toIvEEiEE10hipError_tPvRmT2_T3_T4_T5_mT6_T7_P12ihipStream_tbENKUlT_T0_E_clISt17integral_constantIbLb1EESZ_EEDaSU_SV_EUlSU_E_NS1_11comp_targetILNS1_3genE4ELNS1_11target_archE910ELNS1_3gpuE8ELNS1_3repE0EEENS1_30default_config_static_selectorELNS0_4arch9wavefront6targetE1EEEvT1_,comdat
	.protected	_ZN7rocprim17ROCPRIM_400000_NS6detail17trampoline_kernelINS0_14default_configENS1_27scan_by_key_config_selectorIsiEEZZNS1_16scan_by_key_implILNS1_25lookback_scan_determinismE0ELb1ES3_N6thrust23THRUST_200600_302600_NS6detail15normal_iteratorINS9_10device_ptrIsEEEESE_SE_iNS9_4plusIvEENS9_8equal_toIvEEiEE10hipError_tPvRmT2_T3_T4_T5_mT6_T7_P12ihipStream_tbENKUlT_T0_E_clISt17integral_constantIbLb1EESZ_EEDaSU_SV_EUlSU_E_NS1_11comp_targetILNS1_3genE4ELNS1_11target_archE910ELNS1_3gpuE8ELNS1_3repE0EEENS1_30default_config_static_selectorELNS0_4arch9wavefront6targetE1EEEvT1_ ; -- Begin function _ZN7rocprim17ROCPRIM_400000_NS6detail17trampoline_kernelINS0_14default_configENS1_27scan_by_key_config_selectorIsiEEZZNS1_16scan_by_key_implILNS1_25lookback_scan_determinismE0ELb1ES3_N6thrust23THRUST_200600_302600_NS6detail15normal_iteratorINS9_10device_ptrIsEEEESE_SE_iNS9_4plusIvEENS9_8equal_toIvEEiEE10hipError_tPvRmT2_T3_T4_T5_mT6_T7_P12ihipStream_tbENKUlT_T0_E_clISt17integral_constantIbLb1EESZ_EEDaSU_SV_EUlSU_E_NS1_11comp_targetILNS1_3genE4ELNS1_11target_archE910ELNS1_3gpuE8ELNS1_3repE0EEENS1_30default_config_static_selectorELNS0_4arch9wavefront6targetE1EEEvT1_
	.globl	_ZN7rocprim17ROCPRIM_400000_NS6detail17trampoline_kernelINS0_14default_configENS1_27scan_by_key_config_selectorIsiEEZZNS1_16scan_by_key_implILNS1_25lookback_scan_determinismE0ELb1ES3_N6thrust23THRUST_200600_302600_NS6detail15normal_iteratorINS9_10device_ptrIsEEEESE_SE_iNS9_4plusIvEENS9_8equal_toIvEEiEE10hipError_tPvRmT2_T3_T4_T5_mT6_T7_P12ihipStream_tbENKUlT_T0_E_clISt17integral_constantIbLb1EESZ_EEDaSU_SV_EUlSU_E_NS1_11comp_targetILNS1_3genE4ELNS1_11target_archE910ELNS1_3gpuE8ELNS1_3repE0EEENS1_30default_config_static_selectorELNS0_4arch9wavefront6targetE1EEEvT1_
	.p2align	8
	.type	_ZN7rocprim17ROCPRIM_400000_NS6detail17trampoline_kernelINS0_14default_configENS1_27scan_by_key_config_selectorIsiEEZZNS1_16scan_by_key_implILNS1_25lookback_scan_determinismE0ELb1ES3_N6thrust23THRUST_200600_302600_NS6detail15normal_iteratorINS9_10device_ptrIsEEEESE_SE_iNS9_4plusIvEENS9_8equal_toIvEEiEE10hipError_tPvRmT2_T3_T4_T5_mT6_T7_P12ihipStream_tbENKUlT_T0_E_clISt17integral_constantIbLb1EESZ_EEDaSU_SV_EUlSU_E_NS1_11comp_targetILNS1_3genE4ELNS1_11target_archE910ELNS1_3gpuE8ELNS1_3repE0EEENS1_30default_config_static_selectorELNS0_4arch9wavefront6targetE1EEEvT1_,@function
_ZN7rocprim17ROCPRIM_400000_NS6detail17trampoline_kernelINS0_14default_configENS1_27scan_by_key_config_selectorIsiEEZZNS1_16scan_by_key_implILNS1_25lookback_scan_determinismE0ELb1ES3_N6thrust23THRUST_200600_302600_NS6detail15normal_iteratorINS9_10device_ptrIsEEEESE_SE_iNS9_4plusIvEENS9_8equal_toIvEEiEE10hipError_tPvRmT2_T3_T4_T5_mT6_T7_P12ihipStream_tbENKUlT_T0_E_clISt17integral_constantIbLb1EESZ_EEDaSU_SV_EUlSU_E_NS1_11comp_targetILNS1_3genE4ELNS1_11target_archE910ELNS1_3gpuE8ELNS1_3repE0EEENS1_30default_config_static_selectorELNS0_4arch9wavefront6targetE1EEEvT1_: ; @_ZN7rocprim17ROCPRIM_400000_NS6detail17trampoline_kernelINS0_14default_configENS1_27scan_by_key_config_selectorIsiEEZZNS1_16scan_by_key_implILNS1_25lookback_scan_determinismE0ELb1ES3_N6thrust23THRUST_200600_302600_NS6detail15normal_iteratorINS9_10device_ptrIsEEEESE_SE_iNS9_4plusIvEENS9_8equal_toIvEEiEE10hipError_tPvRmT2_T3_T4_T5_mT6_T7_P12ihipStream_tbENKUlT_T0_E_clISt17integral_constantIbLb1EESZ_EEDaSU_SV_EUlSU_E_NS1_11comp_targetILNS1_3genE4ELNS1_11target_archE910ELNS1_3gpuE8ELNS1_3repE0EEENS1_30default_config_static_selectorELNS0_4arch9wavefront6targetE1EEEvT1_
; %bb.0:
	s_load_dword s44, s[4:5], 0x20
	s_load_dwordx4 s[36:39], s[4:5], 0x28
	s_load_dwordx2 s[34:35], s[4:5], 0x38
	v_cmp_ne_u32_e64 s[22:23], 0, v0
	v_cmp_eq_u32_e64 s[0:1], 0, v0
	s_and_saveexec_b64 s[2:3], s[0:1]
	s_cbranch_execz .LBB1055_4
; %bb.1:
	s_mov_b64 s[8:9], exec
	v_mbcnt_lo_u32_b32 v1, s8, 0
	v_mbcnt_hi_u32_b32 v1, s9, v1
	v_cmp_eq_u32_e32 vcc, 0, v1
                                        ; implicit-def: $vgpr2
	s_and_saveexec_b64 s[6:7], vcc
	s_cbranch_execz .LBB1055_3
; %bb.2:
	s_load_dwordx2 s[10:11], s[4:5], 0x68
	s_bcnt1_i32_b64 s8, s[8:9]
	v_mov_b32_e32 v2, 0
	v_mov_b32_e32 v3, s8
	s_waitcnt lgkmcnt(0)
	global_atomic_add v2, v2, v3, s[10:11] glc
.LBB1055_3:
	s_or_b64 exec, exec, s[6:7]
	s_waitcnt vmcnt(0)
	v_readfirstlane_b32 s6, v2
	v_add_u32_e32 v1, s6, v1
	v_mov_b32_e32 v2, 0
	ds_write_b32 v2, v1
.LBB1055_4:
	s_or_b64 exec, exec, s[2:3]
	s_load_dwordx8 s[24:31], s[4:5], 0x0
	s_load_dword s2, s[4:5], 0x40
	s_load_dwordx4 s[40:43], s[4:5], 0x48
	v_mov_b32_e32 v3, 0
	s_waitcnt lgkmcnt(0)
	s_lshl_b64 s[26:27], s[26:27], 1
	s_barrier
	ds_read_b32 v4, v3
	s_add_u32 s3, s24, s26
	s_addc_u32 s4, s25, s27
	s_add_u32 s5, s28, s26
	s_mul_i32 s7, s35, s2
	s_mul_hi_u32 s8, s34, s2
	s_addc_u32 s6, s29, s27
	s_add_i32 s7, s8, s7
	s_movk_i32 s8, 0x900
	s_waitcnt lgkmcnt(0)
	v_mul_lo_u32 v2, v4, s8
	v_lshlrev_b64 v[10:11], 1, v[2:3]
	v_mov_b32_e32 v1, s4
	v_add_co_u32_e32 v6, vcc, s3, v10
	v_addc_co_u32_e32 v7, vcc, v1, v11, vcc
	v_mov_b32_e32 v2, s6
	v_add_co_u32_e32 v1, vcc, s5, v10
	s_mul_i32 s2, s34, s2
	v_addc_co_u32_e32 v28, vcc, v2, v11, vcc
	v_mov_b32_e32 v3, s7
	v_add_co_u32_e32 v2, vcc, s2, v4
	s_add_u32 s6, s40, -1
	v_addc_co_u32_e32 v3, vcc, 0, v3, vcc
	s_addc_u32 s7, s41, -1
	v_cmp_le_u64_e64 s[2:3], s[6:7], v[2:3]
	v_readfirstlane_b32 s39, v4
	s_mov_b64 s[4:5], -1
	s_and_b64 vcc, exec, s[2:3]
	s_mul_i32 s33, s6, 0xfffff700
	s_barrier
	s_barrier
	s_cbranch_vccz .LBB1055_33
; %bb.5:
	flat_load_ushort v2, v[6:7]
	s_add_i32 s40, s33, s38
	v_cmp_gt_u32_e32 vcc, s40, v0
	s_waitcnt vmcnt(0) lgkmcnt(0)
	v_mov_b32_e32 v3, v2
	s_and_saveexec_b64 s[6:7], vcc
	s_cbranch_execz .LBB1055_7
; %bb.6:
	v_lshlrev_b32_e32 v3, 1, v0
	v_add_co_u32_e64 v4, s[4:5], v6, v3
	v_addc_co_u32_e64 v5, s[4:5], 0, v7, s[4:5]
	flat_load_ushort v3, v[4:5]
.LBB1055_7:
	s_or_b64 exec, exec, s[6:7]
	v_or_b32_e32 v4, 0x100, v0
	v_cmp_gt_u32_e64 s[6:7], s40, v4
	v_mov_b32_e32 v4, v2
	s_and_saveexec_b64 s[8:9], s[6:7]
	s_cbranch_execz .LBB1055_9
; %bb.8:
	v_lshlrev_b32_e32 v4, 1, v0
	v_add_co_u32_e64 v4, s[4:5], v6, v4
	v_addc_co_u32_e64 v5, s[4:5], 0, v7, s[4:5]
	flat_load_ushort v4, v[4:5] offset:512
.LBB1055_9:
	s_or_b64 exec, exec, s[8:9]
	v_or_b32_e32 v5, 0x200, v0
	v_cmp_gt_u32_e64 s[8:9], s40, v5
	v_mov_b32_e32 v5, v2
	s_and_saveexec_b64 s[10:11], s[8:9]
	s_cbranch_execz .LBB1055_11
; %bb.10:
	v_lshlrev_b32_e32 v5, 1, v0
	v_add_co_u32_e64 v8, s[4:5], v6, v5
	v_addc_co_u32_e64 v9, s[4:5], 0, v7, s[4:5]
	flat_load_ushort v5, v[8:9] offset:1024
.LBB1055_11:
	;; [unrolled: 12-line block ×7, first 2 shown]
	s_or_b64 exec, exec, s[20:21]
	v_or_b32_e32 v8, 0x800, v0
	v_cmp_gt_u32_e64 s[20:21], s40, v8
	s_and_saveexec_b64 s[24:25], s[20:21]
	s_cbranch_execz .LBB1055_23
; %bb.22:
	v_lshlrev_b32_e32 v2, 1, v8
	v_add_co_u32_e64 v18, s[4:5], v6, v2
	v_addc_co_u32_e64 v19, s[4:5], 0, v7, s[4:5]
	flat_load_ushort v2, v[18:19]
.LBB1055_23:
	s_or_b64 exec, exec, s[24:25]
	v_lshlrev_b32_e32 v12, 1, v0
	s_waitcnt vmcnt(0) lgkmcnt(0)
	ds_write_b16 v12, v3
	ds_write_b16 v12, v4 offset:512
	ds_write_b16 v12, v5 offset:1024
	;; [unrolled: 1-line block ×8, first 2 shown]
	s_waitcnt lgkmcnt(0)
	s_barrier
	flat_load_ushort v29, v[6:7]
	v_lshl_add_u32 v2, v0, 4, v12
	ds_read_u16 v9, v2
	ds_read_b128 v[2:5], v2 offset:2
	s_movk_i32 s4, 0xff
	v_cmp_ne_u32_e64 s[4:5], s4, v0
	s_waitcnt lgkmcnt(0)
	ds_write_b16 v12, v9 offset:5120
	s_waitcnt lgkmcnt(0)
	s_barrier
	s_and_saveexec_b64 s[24:25], s[4:5]
	s_cbranch_execz .LBB1055_25
; %bb.24:
	s_waitcnt vmcnt(0)
	ds_read_u16 v29, v12 offset:5122
.LBB1055_25:
	s_or_b64 exec, exec, s[24:25]
	s_waitcnt lgkmcnt(0)
	s_barrier
	s_waitcnt lgkmcnt(0)
                                        ; implicit-def: $vgpr13
	s_and_saveexec_b64 s[4:5], vcc
	s_cbranch_execz .LBB1055_34
; %bb.26:
	v_add_co_u32_e32 v14, vcc, v1, v12
	v_addc_co_u32_e32 v15, vcc, 0, v28, vcc
	flat_load_sshort v13, v[14:15]
	s_or_b64 exec, exec, s[4:5]
                                        ; implicit-def: $vgpr14
	s_and_saveexec_b64 s[4:5], s[6:7]
	s_cbranch_execnz .LBB1055_35
.LBB1055_27:
	s_or_b64 exec, exec, s[4:5]
                                        ; implicit-def: $vgpr15
	s_and_saveexec_b64 s[4:5], s[8:9]
	s_cbranch_execz .LBB1055_36
.LBB1055_28:
	v_add_co_u32_e32 v16, vcc, v1, v12
	v_addc_co_u32_e32 v17, vcc, 0, v28, vcc
	flat_load_sshort v15, v[16:17] offset:1024
	s_or_b64 exec, exec, s[4:5]
                                        ; implicit-def: $vgpr16
	s_and_saveexec_b64 s[4:5], s[10:11]
	s_cbranch_execnz .LBB1055_37
.LBB1055_29:
	s_or_b64 exec, exec, s[4:5]
                                        ; implicit-def: $vgpr17
	s_and_saveexec_b64 s[4:5], s[12:13]
	s_cbranch_execz .LBB1055_38
.LBB1055_30:
	v_add_co_u32_e32 v18, vcc, v1, v12
	v_addc_co_u32_e32 v19, vcc, 0, v28, vcc
	flat_load_sshort v17, v[18:19] offset:2048
	s_or_b64 exec, exec, s[4:5]
                                        ; implicit-def: $vgpr18
	s_and_saveexec_b64 s[4:5], s[14:15]
	s_cbranch_execnz .LBB1055_39
.LBB1055_31:
	s_or_b64 exec, exec, s[4:5]
                                        ; implicit-def: $vgpr19
	s_and_saveexec_b64 s[4:5], s[16:17]
	s_cbranch_execz .LBB1055_40
.LBB1055_32:
	v_add_co_u32_e32 v20, vcc, v1, v12
	v_addc_co_u32_e32 v21, vcc, 0, v28, vcc
	flat_load_sshort v19, v[20:21] offset:3072
	s_or_b64 exec, exec, s[4:5]
                                        ; implicit-def: $vgpr20
	s_and_saveexec_b64 s[4:5], s[18:19]
	s_cbranch_execz .LBB1055_42
	s_branch .LBB1055_41
.LBB1055_33:
	s_mov_b64 s[10:11], 0
                                        ; implicit-def: $sgpr8_sgpr9
                                        ; implicit-def: $vgpr8
                                        ; implicit-def: $vgpr12_vgpr13
                                        ; implicit-def: $vgpr14_vgpr15
                                        ; implicit-def: $vgpr16_vgpr17
                                        ; implicit-def: $vgpr18_vgpr19
                                        ; implicit-def: $vgpr20_vgpr21
                                        ; implicit-def: $vgpr22_vgpr23
                                        ; implicit-def: $vgpr24_vgpr25
                                        ; implicit-def: $vgpr26_vgpr27
                                        ; implicit-def: $sgpr6_sgpr7
	s_and_b64 vcc, exec, s[4:5]
	v_lshlrev_b32_e32 v34, 1, v0
	s_cbranch_vccz .LBB1055_68
	s_branch .LBB1055_63
.LBB1055_34:
	s_or_b64 exec, exec, s[4:5]
                                        ; implicit-def: $vgpr14
	s_and_saveexec_b64 s[4:5], s[6:7]
	s_cbranch_execz .LBB1055_27
.LBB1055_35:
	v_add_co_u32_e32 v14, vcc, v1, v12
	v_addc_co_u32_e32 v15, vcc, 0, v28, vcc
	flat_load_sshort v14, v[14:15] offset:512
	s_or_b64 exec, exec, s[4:5]
                                        ; implicit-def: $vgpr15
	s_and_saveexec_b64 s[4:5], s[8:9]
	s_cbranch_execnz .LBB1055_28
.LBB1055_36:
	s_or_b64 exec, exec, s[4:5]
                                        ; implicit-def: $vgpr16
	s_and_saveexec_b64 s[4:5], s[10:11]
	s_cbranch_execz .LBB1055_29
.LBB1055_37:
	v_add_co_u32_e32 v16, vcc, v1, v12
	v_addc_co_u32_e32 v17, vcc, 0, v28, vcc
	flat_load_sshort v16, v[16:17] offset:1536
	s_or_b64 exec, exec, s[4:5]
                                        ; implicit-def: $vgpr17
	s_and_saveexec_b64 s[4:5], s[12:13]
	s_cbranch_execnz .LBB1055_30
.LBB1055_38:
	s_or_b64 exec, exec, s[4:5]
                                        ; implicit-def: $vgpr18
	s_and_saveexec_b64 s[4:5], s[14:15]
	s_cbranch_execz .LBB1055_31
.LBB1055_39:
	v_add_co_u32_e32 v18, vcc, v1, v12
	v_addc_co_u32_e32 v19, vcc, 0, v28, vcc
	flat_load_sshort v18, v[18:19] offset:2560
	s_or_b64 exec, exec, s[4:5]
                                        ; implicit-def: $vgpr19
	s_and_saveexec_b64 s[4:5], s[16:17]
	s_cbranch_execnz .LBB1055_32
.LBB1055_40:
	s_or_b64 exec, exec, s[4:5]
                                        ; implicit-def: $vgpr20
	s_and_saveexec_b64 s[4:5], s[18:19]
	s_cbranch_execz .LBB1055_42
.LBB1055_41:
	v_add_co_u32_e32 v20, vcc, v1, v12
	v_addc_co_u32_e32 v21, vcc, 0, v28, vcc
	flat_load_sshort v20, v[20:21] offset:3584
.LBB1055_42:
	s_or_b64 exec, exec, s[4:5]
	v_mul_u32_u24_e32 v30, 9, v0
                                        ; implicit-def: $vgpr21
	s_and_saveexec_b64 s[4:5], s[20:21]
	s_cbranch_execz .LBB1055_44
; %bb.43:
	v_lshlrev_b32_e32 v8, 1, v8
	v_add_co_u32_e32 v22, vcc, v1, v8
	v_addc_co_u32_e32 v23, vcc, 0, v28, vcc
	flat_load_sshort v21, v[22:23]
.LBB1055_44:
	s_or_b64 exec, exec, s[4:5]
	v_lshl_add_u32 v31, v0, 1, v12
	s_waitcnt vmcnt(0) lgkmcnt(0)
	ds_write2st64_b32 v31, v13, v14 offset1:4
	ds_write2st64_b32 v31, v15, v16 offset0:8 offset1:12
	ds_write2st64_b32 v31, v17, v18 offset0:16 offset1:20
	;; [unrolled: 1-line block ×3, first 2 shown]
	ds_write_b32 v31, v21 offset:8192
	v_pk_mov_b32 v[12:13], 0, 0
	v_cmp_gt_u32_e32 vcc, s40, v30
	s_mov_b64 s[10:11], 0
	s_mov_b64 s[4:5], 0
	v_pk_mov_b32 v[14:15], v[12:13], v[12:13] op_sel:[0,1]
	v_pk_mov_b32 v[16:17], v[12:13], v[12:13] op_sel:[0,1]
	;; [unrolled: 1-line block ×7, first 2 shown]
	s_waitcnt lgkmcnt(0)
	s_barrier
	s_waitcnt lgkmcnt(0)
                                        ; implicit-def: $sgpr8_sgpr9
                                        ; implicit-def: $vgpr8
	s_and_saveexec_b64 s[6:7], vcc
	s_cbranch_execz .LBB1055_62
; %bb.45:
	v_lshlrev_b32_e32 v8, 5, v0
	v_add_u32_e32 v31, v31, v8
	ds_read_b32 v8, v31
	v_mov_b32_e32 v12, s44
	v_cmp_eq_u16_e32 vcc, v9, v2
	v_add_u32_e32 v14, 1, v30
	s_mov_b64 s[12:13], 0
	s_waitcnt lgkmcnt(0)
	v_cndmask_b32_e32 v12, v12, v8, vcc
	v_cmp_ne_u16_e32 vcc, v9, v2
	v_cndmask_b32_e64 v13, 0, 1, vcc
	v_cmp_gt_u32_e32 vcc, s40, v14
	v_pk_mov_b32 v[14:15], 0, 0
	v_pk_mov_b32 v[16:17], v[14:15], v[14:15] op_sel:[0,1]
	v_pk_mov_b32 v[18:19], v[14:15], v[14:15] op_sel:[0,1]
	;; [unrolled: 1-line block ×6, first 2 shown]
                                        ; implicit-def: $sgpr14_sgpr15
                                        ; implicit-def: $vgpr8
	s_and_saveexec_b64 s[8:9], vcc
	s_cbranch_execz .LBB1055_61
; %bb.46:
	ds_read2_b32 v[8:9], v31 offset0:1 offset1:2
	v_add_u32_e32 v16, 2, v30
	v_mov_b32_e32 v14, s44
	v_cmp_eq_u16_sdwa vcc, v2, v2 src0_sel:DWORD src1_sel:WORD_1
	v_cmp_ne_u16_sdwa s[10:11], v2, v2 src0_sel:DWORD src1_sel:WORD_1
	s_waitcnt lgkmcnt(0)
	v_cndmask_b32_e32 v14, v14, v8, vcc
	v_cmp_gt_u32_e32 vcc, s40, v16
	v_pk_mov_b32 v[16:17], 0, 0
	v_cndmask_b32_e64 v15, 0, 1, s[10:11]
	s_mov_b64 s[14:15], 0
	v_pk_mov_b32 v[18:19], v[16:17], v[16:17] op_sel:[0,1]
	v_pk_mov_b32 v[20:21], v[16:17], v[16:17] op_sel:[0,1]
	;; [unrolled: 1-line block ×5, first 2 shown]
                                        ; implicit-def: $sgpr16_sgpr17
                                        ; implicit-def: $vgpr8
	s_and_saveexec_b64 s[10:11], vcc
	s_cbranch_execz .LBB1055_60
; %bb.47:
	v_add_u32_e32 v8, 3, v30
	v_mov_b32_e32 v16, s44
	v_cmp_eq_u16_sdwa vcc, v2, v3 src0_sel:WORD_1 src1_sel:DWORD
	v_cmp_ne_u16_sdwa s[12:13], v2, v3 src0_sel:WORD_1 src1_sel:DWORD
	v_pk_mov_b32 v[18:19], 0, 0
	v_cndmask_b32_e32 v16, v16, v9, vcc
	v_cndmask_b32_e64 v17, 0, 1, s[12:13]
	v_cmp_gt_u32_e32 vcc, s40, v8
	s_mov_b64 s[16:17], 0
	v_pk_mov_b32 v[20:21], v[18:19], v[18:19] op_sel:[0,1]
	v_pk_mov_b32 v[22:23], v[18:19], v[18:19] op_sel:[0,1]
	;; [unrolled: 1-line block ×4, first 2 shown]
                                        ; implicit-def: $sgpr18_sgpr19
                                        ; implicit-def: $vgpr8
	s_and_saveexec_b64 s[12:13], vcc
	s_cbranch_execz .LBB1055_59
; %bb.48:
	ds_read2_b32 v[8:9], v31 offset0:3 offset1:4
	v_add_u32_e32 v2, 4, v30
	v_mov_b32_e32 v18, s44
	v_cmp_eq_u16_sdwa vcc, v3, v3 src0_sel:DWORD src1_sel:WORD_1
	v_cmp_ne_u16_sdwa s[14:15], v3, v3 src0_sel:DWORD src1_sel:WORD_1
	v_pk_mov_b32 v[20:21], 0, 0
	s_waitcnt lgkmcnt(0)
	v_cndmask_b32_e32 v18, v18, v8, vcc
	v_cndmask_b32_e64 v19, 0, 1, s[14:15]
	v_cmp_gt_u32_e32 vcc, s40, v2
	s_mov_b64 s[18:19], 0
	v_pk_mov_b32 v[22:23], v[20:21], v[20:21] op_sel:[0,1]
	v_pk_mov_b32 v[24:25], v[20:21], v[20:21] op_sel:[0,1]
	;; [unrolled: 1-line block ×3, first 2 shown]
                                        ; implicit-def: $sgpr20_sgpr21
                                        ; implicit-def: $vgpr8
	s_and_saveexec_b64 s[14:15], vcc
	s_cbranch_execz .LBB1055_58
; %bb.49:
	v_add_u32_e32 v2, 5, v30
	v_mov_b32_e32 v8, s44
	v_cmp_eq_u16_sdwa vcc, v3, v4 src0_sel:WORD_1 src1_sel:DWORD
	v_cmp_ne_u16_sdwa s[16:17], v3, v4 src0_sel:WORD_1 src1_sel:DWORD
	v_pk_mov_b32 v[22:23], 0, 0
	v_cndmask_b32_e32 v20, v8, v9, vcc
	v_cndmask_b32_e64 v21, 0, 1, s[16:17]
	v_cmp_gt_u32_e32 vcc, s40, v2
	s_mov_b64 s[20:21], 0
	v_pk_mov_b32 v[24:25], v[22:23], v[22:23] op_sel:[0,1]
	v_pk_mov_b32 v[26:27], v[22:23], v[22:23] op_sel:[0,1]
                                        ; implicit-def: $sgpr24_sgpr25
                                        ; implicit-def: $vgpr8
	s_and_saveexec_b64 s[16:17], vcc
	s_cbranch_execz .LBB1055_57
; %bb.50:
	ds_read2_b32 v[2:3], v31 offset0:5 offset1:6
	v_add_u32_e32 v8, 6, v30
	v_mov_b32_e32 v9, s44
	v_cmp_eq_u16_sdwa vcc, v4, v4 src0_sel:DWORD src1_sel:WORD_1
	v_cmp_ne_u16_sdwa s[18:19], v4, v4 src0_sel:DWORD src1_sel:WORD_1
	v_pk_mov_b32 v[24:25], 0, 0
	s_waitcnt lgkmcnt(0)
	v_cndmask_b32_e32 v22, v9, v2, vcc
	v_cndmask_b32_e64 v23, 0, 1, s[18:19]
	v_cmp_gt_u32_e32 vcc, s40, v8
	s_mov_b64 s[24:25], 0
	v_pk_mov_b32 v[26:27], v[24:25], v[24:25] op_sel:[0,1]
                                        ; implicit-def: $sgpr28_sgpr29
                                        ; implicit-def: $vgpr8
	s_and_saveexec_b64 s[18:19], vcc
	s_cbranch_execz .LBB1055_56
; %bb.51:
	v_add_u32_e32 v2, 7, v30
	v_mov_b32_e32 v8, s44
	v_cmp_eq_u16_sdwa vcc, v4, v5 src0_sel:WORD_1 src1_sel:DWORD
	v_cmp_ne_u16_sdwa s[20:21], v4, v5 src0_sel:WORD_1 src1_sel:DWORD
	v_cndmask_b32_e32 v24, v8, v3, vcc
	v_cndmask_b32_e64 v25, 0, 1, s[20:21]
	v_cmp_gt_u32_e32 vcc, s40, v2
	v_pk_mov_b32 v[26:27], 0, 0
                                        ; implicit-def: $sgpr28_sgpr29
                                        ; implicit-def: $vgpr8
	s_and_saveexec_b64 s[20:21], vcc
	s_cbranch_execz .LBB1055_55
; %bb.52:
	ds_read2_b32 v[2:3], v31 offset0:7 offset1:8
	v_add_u32_e32 v4, 8, v30
	v_mov_b32_e32 v8, s44
	v_cmp_eq_u16_sdwa vcc, v5, v5 src0_sel:DWORD src1_sel:WORD_1
	v_cmp_ne_u16_sdwa s[24:25], v5, v5 src0_sel:DWORD src1_sel:WORD_1
	s_waitcnt lgkmcnt(0)
	v_cndmask_b32_e32 v26, v8, v2, vcc
	v_cndmask_b32_e64 v27, 0, 1, s[24:25]
	v_cmp_gt_u32_e32 vcc, s40, v4
	s_mov_b64 s[24:25], 0
                                        ; implicit-def: $sgpr28_sgpr29
                                        ; implicit-def: $vgpr8
	s_and_saveexec_b64 s[40:41], vcc
	s_xor_b64 s[40:41], exec, s[40:41]
; %bb.53:
	v_mov_b32_e32 v2, s44
	v_cmp_ne_u16_sdwa vcc, v5, v29 src0_sel:WORD_1 src1_sel:DWORD
	s_mov_b64 s[24:25], exec
	v_cndmask_b32_e32 v8, v3, v2, vcc
	s_and_b64 s[28:29], vcc, exec
; %bb.54:
	s_or_b64 exec, exec, s[40:41]
	s_and_b64 s[28:29], s[28:29], exec
	s_and_b64 s[24:25], s[24:25], exec
.LBB1055_55:
	s_or_b64 exec, exec, s[20:21]
	s_and_b64 s[28:29], s[28:29], exec
	s_and_b64 s[20:21], s[24:25], exec
.LBB1055_56:
	s_or_b64 exec, exec, s[18:19]
	s_and_b64 s[24:25], s[28:29], exec
	s_and_b64 s[18:19], s[20:21], exec
.LBB1055_57:
	s_or_b64 exec, exec, s[16:17]
	s_and_b64 s[20:21], s[24:25], exec
	s_and_b64 s[16:17], s[18:19], exec
.LBB1055_58:
	s_or_b64 exec, exec, s[14:15]
	s_and_b64 s[18:19], s[20:21], exec
	s_and_b64 s[14:15], s[16:17], exec
.LBB1055_59:
	s_or_b64 exec, exec, s[12:13]
	s_and_b64 s[16:17], s[18:19], exec
	s_and_b64 s[12:13], s[14:15], exec
.LBB1055_60:
	s_or_b64 exec, exec, s[10:11]
	s_and_b64 s[14:15], s[16:17], exec
	s_and_b64 s[10:11], s[12:13], exec
.LBB1055_61:
	s_or_b64 exec, exec, s[8:9]
	s_and_b64 s[8:9], s[14:15], exec
	s_and_b64 s[10:11], s[10:11], exec
.LBB1055_62:
	s_or_b64 exec, exec, s[6:7]
	s_mov_b64 s[6:7], 0
	s_and_b64 vcc, exec, s[4:5]
	v_lshlrev_b32_e32 v34, 1, v0
	s_cbranch_vccz .LBB1055_68
.LBB1055_63:
	v_add_co_u32_e32 v2, vcc, v6, v34
	v_addc_co_u32_e32 v3, vcc, 0, v7, vcc
	flat_load_ushort v4, v[2:3]
	flat_load_ushort v5, v[2:3] offset:512
	flat_load_ushort v8, v[2:3] offset:1024
	;; [unrolled: 1-line block ×7, first 2 shown]
	v_add_co_u32_e32 v2, vcc, 0x1000, v2
	v_addc_co_u32_e32 v3, vcc, 0, v3, vcc
	flat_load_ushort v16, v[2:3]
	v_add_co_u32_e32 v2, vcc, 0x1000, v6
	v_addc_co_u32_e32 v3, vcc, 0, v7, vcc
	s_mov_b32 s4, 0
	s_movk_i32 s6, 0xff
	s_mov_b32 s5, 1
	s_movk_i32 s8, 0x1000
	v_cmp_ne_u32_e32 vcc, s6, v0
	s_waitcnt vmcnt(0) lgkmcnt(0)
	ds_write_b16 v34, v4
	ds_write_b16 v34, v5 offset:512
	ds_write_b16 v34, v8 offset:1024
	;; [unrolled: 1-line block ×8, first 2 shown]
	s_waitcnt lgkmcnt(0)
	s_barrier
	flat_load_ushort v29, v[2:3] offset:512
	v_lshl_add_u32 v2, v0, 4, v34
	ds_read_u16 v12, v2
	ds_read_b128 v[2:5], v2 offset:2
	s_waitcnt lgkmcnt(0)
	ds_write_b16 v34, v12 offset:5120
	s_waitcnt lgkmcnt(0)
	s_barrier
	s_and_saveexec_b64 s[6:7], vcc
	s_cbranch_execz .LBB1055_65
; %bb.64:
	s_waitcnt vmcnt(0)
	ds_read_u16 v29, v34 offset:5122
.LBB1055_65:
	s_or_b64 exec, exec, s[6:7]
	v_add_co_u32_e32 v6, vcc, v1, v34
	v_addc_co_u32_e32 v7, vcc, 0, v28, vcc
	s_waitcnt lgkmcnt(0)
	s_barrier
	flat_load_sshort v1, v[6:7]
	flat_load_sshort v8, v[6:7] offset:512
	flat_load_sshort v9, v[6:7] offset:1024
	;; [unrolled: 1-line block ×7, first 2 shown]
	v_add_co_u32_e32 v6, vcc, s8, v6
	v_addc_co_u32_e32 v7, vcc, 0, v7, vcc
	flat_load_sshort v6, v[6:7]
	v_lshl_add_u32 v7, v0, 1, v34
	v_lshlrev_b32_e32 v14, 5, v0
	v_add_u32_e32 v14, v7, v14
	v_cmp_eq_u16_e32 vcc, v12, v2
	s_waitcnt vmcnt(0) lgkmcnt(0)
	ds_write2st64_b32 v7, v1, v8 offset1:4
	ds_write2st64_b32 v7, v9, v13 offset0:8 offset1:12
	ds_write2st64_b32 v7, v15, v16 offset0:16 offset1:20
	;; [unrolled: 1-line block ×3, first 2 shown]
	ds_write_b32 v7, v6 offset:8192
	s_waitcnt lgkmcnt(0)
	s_barrier
	ds_read2_b32 v[16:17], v14 offset0:1 offset1:2
	ds_read2_b32 v[20:21], v14 offset0:3 offset1:4
	;; [unrolled: 1-line block ×4, first 2 shown]
	v_pk_mov_b32 v[12:13], s[4:5], s[4:5] op_sel:[0,1]
	v_mov_b32_e32 v1, s44
	s_and_saveexec_b64 s[4:5], vcc
	s_cbranch_execz .LBB1055_67
; %bb.66:
	ds_read_b32 v1, v14
	v_pk_mov_b32 v[12:13], 0, 0
.LBB1055_67:
	s_or_b64 exec, exec, s[4:5]
	s_waitcnt lgkmcnt(0)
	v_or_b32_e32 v12, v12, v1
	v_mov_b32_e32 v1, s44
	v_cmp_eq_u16_sdwa vcc, v2, v2 src0_sel:DWORD src1_sel:WORD_1
	v_cmp_ne_u16_sdwa s[4:5], v2, v2 src0_sel:DWORD src1_sel:WORD_1
	v_cndmask_b32_e32 v14, v1, v16, vcc
	v_cndmask_b32_e64 v15, 0, 1, s[4:5]
	v_cmp_eq_u16_sdwa vcc, v2, v3 src0_sel:WORD_1 src1_sel:DWORD
	v_cmp_ne_u16_sdwa s[4:5], v2, v3 src0_sel:WORD_1 src1_sel:DWORD
	v_cndmask_b32_e32 v16, v1, v17, vcc
	v_cndmask_b32_e64 v17, 0, 1, s[4:5]
	v_cmp_eq_u16_sdwa vcc, v3, v3 src0_sel:DWORD src1_sel:WORD_1
	v_cmp_ne_u16_sdwa s[4:5], v3, v3 src0_sel:DWORD src1_sel:WORD_1
	v_cndmask_b32_e32 v18, v1, v20, vcc
	v_cndmask_b32_e64 v19, 0, 1, s[4:5]
	v_cmp_eq_u16_sdwa vcc, v3, v4 src0_sel:WORD_1 src1_sel:DWORD
	v_cmp_ne_u16_sdwa s[4:5], v3, v4 src0_sel:WORD_1 src1_sel:DWORD
	v_cndmask_b32_e32 v20, v1, v21, vcc
	v_cndmask_b32_e64 v21, 0, 1, s[4:5]
	;; [unrolled: 8-line block ×3, first 2 shown]
	v_cmp_eq_u16_sdwa vcc, v5, v5 src0_sel:DWORD src1_sel:WORD_1
	v_cmp_ne_u16_sdwa s[4:5], v5, v5 src0_sel:DWORD src1_sel:WORD_1
	v_cmp_ne_u16_sdwa s[8:9], v5, v29 src0_sel:WORD_1 src1_sel:DWORD
	v_cndmask_b32_e32 v26, v1, v6, vcc
	v_cndmask_b32_e64 v27, 0, 1, s[4:5]
	v_cndmask_b32_e64 v8, v7, v1, s[8:9]
	s_mov_b64 s[10:11], -1
                                        ; implicit-def: $sgpr6_sgpr7
.LBB1055_68:
	v_pk_mov_b32 v[28:29], s[6:7], s[6:7] op_sel:[0,1]
	s_and_saveexec_b64 s[4:5], s[10:11]
; %bb.69:
	v_cndmask_b32_e64 v9, 0, 1, s[8:9]
	v_pk_mov_b32 v[28:29], v[8:9], v[8:9] op_sel:[0,1]
; %bb.70:
	s_or_b64 exec, exec, s[4:5]
	s_mov_b32 s4, 0
	s_cmp_lg_u32 s39, 0
	v_or_b32_e32 v35, v29, v27
	v_lshrrev_b32_e32 v1, 5, v0
	v_cmp_gt_u32_e32 vcc, 64, v0
	s_barrier
	s_cbranch_scc0 .LBB1055_109
; %bb.71:
	s_mov_b32 s5, 1
	v_cmp_gt_u64_e64 s[6:7], s[4:5], v[14:15]
	v_cndmask_b32_e64 v2, 0, v12, s[6:7]
	v_add_u32_e32 v2, v2, v14
	v_cmp_gt_u64_e64 s[8:9], s[4:5], v[16:17]
	v_cndmask_b32_e64 v2, 0, v2, s[8:9]
	v_add_u32_e32 v2, v2, v16
	;; [unrolled: 3-line block ×8, first 2 shown]
	v_or3_b32 v2, v35, v25, v23
	v_or3_b32 v2, v2, v21, v19
	;; [unrolled: 1-line block ×3, first 2 shown]
	v_and_b32_e32 v2, 1, v2
	v_cmp_eq_u32_e64 s[4:5], 1, v2
	v_cndmask_b32_e64 v37, v13, 1, s[4:5]
	v_add_lshl_u32 v2, v1, v0, 3
	ds_write_b32 v2, v36
	ds_write_b8 v2, v37 offset:4
	s_waitcnt lgkmcnt(0)
	s_barrier
	s_and_saveexec_b64 s[20:21], vcc
	s_cbranch_execz .LBB1055_83
; %bb.72:
	v_lshlrev_b32_e32 v2, 2, v0
	v_lshrrev_b32_e32 v3, 3, v0
	v_add_lshl_u32 v4, v3, v2, 3
	ds_read2_b32 v[6:7], v4 offset0:2 offset1:4
	ds_read_b64 v[2:3], v4
	ds_read_u8 v8, v4 offset:12
	ds_read_u8 v9, v4 offset:20
	ds_read_b32 v30, v4 offset:24
	ds_read_u8 v31, v4 offset:28
	v_mov_b32_e32 v32, 0
	s_waitcnt lgkmcnt(3)
	v_cmp_eq_u16_sdwa s[4:5], v8, v32 src0_sel:BYTE_0 src1_sel:DWORD
	v_cndmask_b32_e64 v33, 0, v2, s[4:5]
	v_add_u32_e32 v6, v33, v6
	s_waitcnt lgkmcnt(2)
	v_cmp_eq_u16_sdwa s[4:5], v9, v32 src0_sel:BYTE_0 src1_sel:DWORD
	v_cndmask_b32_e64 v6, 0, v6, s[4:5]
	v_add_u32_e32 v6, v6, v7
	s_waitcnt lgkmcnt(0)
	v_cmp_eq_u16_e64 s[4:5], 0, v31
	v_cndmask_b32_e64 v6, 0, v6, s[4:5]
	v_add_u32_e32 v7, v6, v30
	v_or_b32_e32 v6, v31, v9
	v_or_b32_e32 v6, v6, v8
	v_and_b32_e32 v6, 1, v6
	v_and_b32_e32 v5, 1, v3
	v_cmp_eq_u32_e64 s[4:5], 1, v6
	v_mbcnt_lo_u32_b32 v8, -1, 0
	v_cndmask_b32_e64 v9, v5, 1, s[4:5]
	v_and_b32_e32 v6, 0xffffff00, v3
	v_mbcnt_hi_u32_b32 v8, -1, v8
	v_and_b32_e32 v31, 15, v8
	v_or_b32_sdwa v30, v6, v9 dst_sel:DWORD dst_unused:UNUSED_PAD src0_sel:DWORD src1_sel:WORD_0
	v_mov_b32_dpp v32, v7 row_shr:1 row_mask:0xf bank_mask:0xf
	v_cmp_ne_u32_e64 s[4:5], 0, v31
	v_mov_b32_dpp v33, v30 row_shr:1 row_mask:0xf bank_mask:0xf
	s_and_saveexec_b64 s[24:25], s[4:5]
; %bb.73:
	v_and_b32_e32 v30, 1, v9
	v_and_b32_e32 v33, 1, v33
	v_cmp_eq_u32_e64 s[4:5], 1, v30
	v_cndmask_b32_e64 v33, v33, 1, s[4:5]
	v_cmp_eq_u16_e64 s[4:5], 0, v9
	v_cndmask_b32_e64 v9, 0, v32, s[4:5]
	v_add_u32_e32 v7, v9, v7
	v_or_b32_sdwa v30, v6, v33 dst_sel:DWORD dst_unused:UNUSED_PAD src0_sel:DWORD src1_sel:WORD_0
	v_mov_b32_e32 v9, v33
; %bb.74:
	s_or_b64 exec, exec, s[24:25]
	v_mov_b32_dpp v32, v7 row_shr:2 row_mask:0xf bank_mask:0xf
	v_mov_b32_dpp v33, v30 row_shr:2 row_mask:0xf bank_mask:0xf
	v_cmp_lt_u32_e64 s[4:5], 1, v31
	s_and_saveexec_b64 s[24:25], s[4:5]
; %bb.75:
	v_and_b32_e32 v30, 1, v9
	v_and_b32_e32 v33, 1, v33
	v_cmp_eq_u32_e64 s[4:5], 1, v30
	v_cndmask_b32_e64 v33, v33, 1, s[4:5]
	v_cmp_eq_u16_e64 s[4:5], 0, v9
	v_cndmask_b32_e64 v9, 0, v32, s[4:5]
	v_add_u32_e32 v7, v9, v7
	v_or_b32_sdwa v30, v6, v33 dst_sel:DWORD dst_unused:UNUSED_PAD src0_sel:DWORD src1_sel:WORD_0
	v_mov_b32_e32 v9, v33
; %bb.76:
	s_or_b64 exec, exec, s[24:25]
	v_mov_b32_dpp v32, v7 row_shr:4 row_mask:0xf bank_mask:0xf
	v_mov_b32_dpp v33, v30 row_shr:4 row_mask:0xf bank_mask:0xf
	v_cmp_lt_u32_e64 s[4:5], 3, v31
	;; [unrolled: 16-line block ×3, first 2 shown]
	s_and_saveexec_b64 s[24:25], s[4:5]
; %bb.79:
	v_and_b32_e32 v30, 1, v9
	v_and_b32_e32 v31, 1, v33
	v_cmp_eq_u32_e64 s[4:5], 1, v30
	v_cndmask_b32_e64 v31, v31, 1, s[4:5]
	v_cmp_eq_u16_e64 s[4:5], 0, v9
	v_cndmask_b32_e64 v9, 0, v32, s[4:5]
	v_add_u32_e32 v7, v9, v7
	v_or_b32_sdwa v30, v6, v31 dst_sel:DWORD dst_unused:UNUSED_PAD src0_sel:DWORD src1_sel:WORD_0
	v_mov_b32_e32 v9, v31
; %bb.80:
	s_or_b64 exec, exec, s[24:25]
	v_and_b32_e32 v33, 16, v8
	v_mov_b32_dpp v31, v7 row_bcast:15 row_mask:0xf bank_mask:0xf
	v_mov_b32_dpp v32, v30 row_bcast:15 row_mask:0xf bank_mask:0xf
	v_cmp_ne_u32_e64 s[4:5], 0, v33
	s_and_saveexec_b64 s[24:25], s[4:5]
; %bb.81:
	v_and_b32_e32 v30, 1, v9
	v_and_b32_e32 v32, 1, v32
	v_cmp_eq_u32_e64 s[4:5], 1, v30
	v_cndmask_b32_e64 v32, v32, 1, s[4:5]
	v_cmp_eq_u16_e64 s[4:5], 0, v9
	v_cndmask_b32_e64 v9, 0, v31, s[4:5]
	v_add_u32_e32 v7, v9, v7
	v_or_b32_sdwa v30, v6, v32 dst_sel:DWORD dst_unused:UNUSED_PAD src0_sel:DWORD src1_sel:WORD_0
	v_mov_b32_e32 v9, v32
; %bb.82:
	s_or_b64 exec, exec, s[24:25]
	v_mov_b32_dpp v30, v30 row_bcast:31 row_mask:0xf bank_mask:0xf
	v_and_b32_e32 v32, 1, v9
	v_and_b32_e32 v30, 1, v30
	v_cmp_eq_u32_e64 s[4:5], 1, v32
	v_mov_b32_e32 v32, 0
	v_cndmask_b32_e64 v30, v30, 1, s[4:5]
	v_cmp_eq_u16_sdwa s[24:25], v9, v32 src0_sel:BYTE_0 src1_sel:DWORD
	v_cmp_lt_u32_e64 s[4:5], 31, v8
	v_mov_b32_dpp v31, v7 row_bcast:31 row_mask:0xf bank_mask:0xf
	v_cndmask_b32_e64 v9, v9, v30, s[4:5]
	s_and_b64 s[4:5], s[4:5], s[24:25]
	v_cndmask_b32_e64 v30, 0, v31, s[4:5]
	v_add_u32_e32 v7, v30, v7
	v_add_u32_e32 v30, -1, v8
	v_and_b32_e32 v31, 64, v8
	v_cmp_lt_i32_e64 s[4:5], v30, v31
	v_cndmask_b32_e64 v8, v30, v8, s[4:5]
	s_movk_i32 s28, 0xff
	v_lshlrev_b32_e32 v8, 2, v8
	ds_bpermute_b32 v7, v8, v7
	v_and_or_b32 v6, v9, s28, v6
	ds_bpermute_b32 v6, v8, v6
	v_cmp_eq_u16_sdwa s[4:5], v3, v32 src0_sel:BYTE_0 src1_sel:DWORD
	s_waitcnt lgkmcnt(1)
	v_cndmask_b32_e64 v3, 0, v7, s[4:5]
	v_add_u32_e32 v2, v3, v2
	s_waitcnt lgkmcnt(0)
	v_and_b32_e32 v3, 1, v6
	v_cmp_eq_u32_e64 s[4:5], 1, v5
	v_cndmask_b32_e64 v3, v3, 1, s[4:5]
	v_cndmask_b32_e64 v5, v2, v36, s[0:1]
	;; [unrolled: 1-line block ×3, first 2 shown]
	; wave barrier
	ds_write_b32 v4, v5
	ds_write_b8 v4, v6 offset:4
	; wave barrier
	ds_read_u8 v7, v4 offset:12
	ds_read2_b32 v[2:3], v4 offset0:2 offset1:4
	ds_read_u8 v8, v4 offset:20
	ds_read_b32 v9, v4 offset:24
	ds_read_u8 v30, v4 offset:28
	s_waitcnt lgkmcnt(4)
	v_cmp_eq_u16_e64 s[4:5], 0, v7
	v_cndmask_b32_e64 v5, 0, v5, s[4:5]
	s_waitcnt lgkmcnt(3)
	v_add_u32_e32 v2, v5, v2
	v_and_b32_e32 v5, 1, v7
	v_cmp_eq_u32_e64 s[4:5], 1, v5
	v_cndmask_b32_e64 v5, v6, 1, s[4:5]
	s_waitcnt lgkmcnt(2)
	v_cmp_eq_u16_e64 s[4:5], 0, v8
	v_cndmask_b32_e64 v6, 0, v2, s[4:5]
	v_add_u32_e32 v3, v6, v3
	v_and_b32_e32 v6, 1, v8
	v_cmp_eq_u32_e64 s[4:5], 1, v6
	ds_write_b8 v4, v5 offset:12
	v_cndmask_b32_e64 v5, v5, 1, s[4:5]
	s_waitcnt lgkmcnt(1)
	v_cmp_eq_u16_e64 s[4:5], 0, v30
	ds_write2_b32 v4, v2, v3 offset0:2 offset1:4
	ds_write_b8 v4, v5 offset:20
	v_cndmask_b32_e64 v2, 0, v3, s[4:5]
	v_and_b32_e32 v3, 1, v30
	v_add_u32_e32 v2, v2, v9
	v_cmp_eq_u32_e64 s[4:5], 1, v3
	v_cndmask_b32_e64 v3, v5, 1, s[4:5]
	ds_write_b32 v4, v2 offset:24
	ds_write_b8 v4, v3 offset:28
.LBB1055_83:
	s_or_b64 exec, exec, s[20:21]
	s_waitcnt lgkmcnt(0)
	s_barrier
	s_and_saveexec_b64 s[4:5], s[22:23]
	s_cbranch_execz .LBB1055_85
; %bb.84:
	v_add_u32_e32 v2, -1, v0
	v_lshrrev_b32_e32 v3, 5, v2
	v_add_lshl_u32 v2, v3, v2, 3
	ds_read_b32 v36, v2
	ds_read_u8 v37, v2 offset:4
.LBB1055_85:
	s_or_b64 exec, exec, s[4:5]
	s_and_saveexec_b64 s[24:25], vcc
	s_cbranch_execz .LBB1055_108
; %bb.86:
	v_mov_b32_e32 v5, 0
	ds_read_b64 v[2:3], v5 offset:2096
	v_mbcnt_lo_u32_b32 v4, -1, 0
	v_mbcnt_hi_u32_b32 v47, -1, v4
	s_mov_b32 s29, 0
	v_cmp_eq_u32_e64 s[20:21], 0, v47
	s_waitcnt lgkmcnt(0)
	v_readfirstlane_b32 s45, v3
	s_and_saveexec_b64 s[4:5], s[20:21]
	s_cbranch_execz .LBB1055_88
; %bb.87:
	s_add_i32 s28, s39, 64
	s_lshl_b64 s[40:41], s[28:29], 4
	s_add_u32 s40, s36, s40
	s_addc_u32 s41, s37, s41
	s_and_b32 s47, s45, 0xff000000
	s_mov_b32 s46, s29
	s_and_b32 s49, s45, 0xff0000
	s_mov_b32 s48, s29
	s_or_b64 s[46:47], s[48:49], s[46:47]
	s_and_b32 s49, s45, 0xff00
	s_or_b64 s[46:47], s[46:47], s[48:49]
	s_and_b32 s49, s45, 0xff
	s_or_b64 s[28:29], s[46:47], s[48:49]
	v_mov_b32_e32 v3, s29
	v_mov_b32_e32 v4, 1
	v_pk_mov_b32 v[6:7], s[40:41], s[40:41] op_sel:[0,1]
	;;#ASMSTART
	global_store_dwordx4 v[6:7], v[2:5] off	
s_waitcnt vmcnt(0)
	;;#ASMEND
.LBB1055_88:
	s_or_b64 exec, exec, s[4:5]
	v_xad_u32 v30, v47, -1, s39
	v_add_u32_e32 v4, 64, v30
	v_lshlrev_b64 v[6:7], 4, v[4:5]
	v_mov_b32_e32 v3, s37
	v_add_co_u32_e32 v32, vcc, s36, v6
	v_addc_co_u32_e32 v33, vcc, v3, v7, vcc
	;;#ASMSTART
	global_load_dwordx4 v[6:9], v[32:33] off glc	
s_waitcnt vmcnt(0)
	;;#ASMEND
	v_and_b32_e32 v3, 0xff0000, v6
	v_or_b32_sdwa v3, v6, v3 dst_sel:DWORD dst_unused:UNUSED_PAD src0_sel:WORD_0 src1_sel:DWORD
	v_and_b32_e32 v4, 0xff000000, v6
	v_and_b32_e32 v6, 0xff, v7
	v_or3_b32 v7, 0, 0, v6
	v_or3_b32 v6, v3, v4, 0
	v_cmp_eq_u16_sdwa s[28:29], v8, v5 src0_sel:BYTE_0 src1_sel:DWORD
	s_and_saveexec_b64 s[4:5], s[28:29]
	s_cbranch_execz .LBB1055_94
; %bb.89:
	s_mov_b32 s40, 1
	s_mov_b64 s[28:29], 0
	v_mov_b32_e32 v3, 0
.LBB1055_90:                            ; =>This Loop Header: Depth=1
                                        ;     Child Loop BB1055_91 Depth 2
	s_max_u32 s41, s40, 1
.LBB1055_91:                            ;   Parent Loop BB1055_90 Depth=1
                                        ; =>  This Inner Loop Header: Depth=2
	s_add_i32 s41, s41, -1
	s_cmp_eq_u32 s41, 0
	s_sleep 1
	s_cbranch_scc0 .LBB1055_91
; %bb.92:                               ;   in Loop: Header=BB1055_90 Depth=1
	s_cmp_lt_u32 s40, 32
	s_cselect_b64 s[46:47], -1, 0
	s_cmp_lg_u64 s[46:47], 0
	s_addc_u32 s40, s40, 0
	;;#ASMSTART
	global_load_dwordx4 v[6:9], v[32:33] off glc	
s_waitcnt vmcnt(0)
	;;#ASMEND
	v_cmp_ne_u16_sdwa s[46:47], v8, v3 src0_sel:BYTE_0 src1_sel:DWORD
	s_or_b64 s[28:29], s[46:47], s[28:29]
	s_andn2_b64 exec, exec, s[28:29]
	s_cbranch_execnz .LBB1055_90
; %bb.93:
	s_or_b64 exec, exec, s[28:29]
	v_and_b32_e32 v7, 0xff, v7
.LBB1055_94:
	s_or_b64 exec, exec, s[4:5]
	v_mov_b32_e32 v3, 2
	v_cmp_eq_u16_sdwa s[4:5], v8, v3 src0_sel:BYTE_0 src1_sel:DWORD
	v_lshlrev_b64 v[4:5], v47, -1
	v_and_b32_e32 v9, s5, v5
	v_or_b32_e32 v9, 0x80000000, v9
	v_and_b32_e32 v31, s4, v4
	v_ffbl_b32_e32 v9, v9
	v_and_b32_e32 v38, 63, v47
	v_add_u32_e32 v9, 32, v9
	v_ffbl_b32_e32 v31, v31
	v_cmp_ne_u32_e32 vcc, 63, v38
	v_min_u32_e32 v9, v31, v9
	v_addc_co_u32_e32 v31, vcc, 0, v47, vcc
	v_lshlrev_b32_e32 v39, 2, v31
	ds_bpermute_b32 v31, v39, v7
	ds_bpermute_b32 v32, v39, v6
	s_mov_b32 s28, 0
	v_and_b32_e32 v33, 1, v7
	s_mov_b32 s29, 1
	s_waitcnt lgkmcnt(1)
	v_and_b32_e32 v31, 1, v31
	v_cmp_eq_u32_e32 vcc, 1, v33
	v_cndmask_b32_e64 v31, v31, 1, vcc
	v_cmp_gt_u64_e32 vcc, s[28:29], v[6:7]
	v_cmp_lt_u32_e64 s[4:5], v38, v9
	s_and_b64 vcc, s[4:5], vcc
	v_and_b32_e32 v33, 0xffff, v31
	v_cndmask_b32_e64 v42, v7, v31, s[4:5]
	s_waitcnt lgkmcnt(0)
	v_cndmask_b32_e32 v31, 0, v32, vcc
	v_cmp_gt_u32_e32 vcc, 62, v38
	v_cndmask_b32_e64 v32, 0, 1, vcc
	v_lshlrev_b32_e32 v32, 1, v32
	v_cndmask_b32_e64 v7, v7, v33, s[4:5]
	v_add_lshl_u32 v40, v32, v47, 2
	ds_bpermute_b32 v32, v40, v7
	v_add_u32_e32 v6, v31, v6
	ds_bpermute_b32 v33, v40, v6
	v_and_b32_e32 v31, 1, v42
	v_cmp_eq_u32_e32 vcc, 1, v31
	s_waitcnt lgkmcnt(1)
	v_and_b32_e32 v32, 1, v32
	v_mov_b32_e32 v31, 0
	v_add_u32_e32 v41, 2, v38
	v_cndmask_b32_e64 v32, v32, 1, vcc
	v_cmp_eq_u16_sdwa vcc, v42, v31 src0_sel:BYTE_0 src1_sel:DWORD
	v_and_b32_e32 v43, 0xffff, v32
	s_waitcnt lgkmcnt(0)
	v_cndmask_b32_e32 v33, 0, v33, vcc
	v_cmp_gt_u32_e32 vcc, v41, v9
	v_cndmask_b32_e32 v32, v32, v42, vcc
	v_cndmask_b32_e64 v33, v33, 0, vcc
	v_cndmask_b32_e32 v7, v43, v7, vcc
	v_cmp_gt_u32_e32 vcc, 60, v38
	v_cndmask_b32_e64 v42, 0, 1, vcc
	v_lshlrev_b32_e32 v42, 2, v42
	v_add_lshl_u32 v42, v42, v47, 2
	ds_bpermute_b32 v44, v42, v7
	v_add_u32_e32 v6, v33, v6
	ds_bpermute_b32 v33, v42, v6
	v_and_b32_e32 v45, 1, v32
	v_cmp_eq_u32_e32 vcc, 1, v45
	s_waitcnt lgkmcnt(1)
	v_and_b32_e32 v44, 1, v44
	v_add_u32_e32 v43, 4, v38
	v_cndmask_b32_e64 v44, v44, 1, vcc
	v_cmp_eq_u16_sdwa vcc, v32, v31 src0_sel:BYTE_0 src1_sel:DWORD
	v_and_b32_e32 v45, 0xffff, v44
	s_waitcnt lgkmcnt(0)
	v_cndmask_b32_e32 v33, 0, v33, vcc
	v_cmp_gt_u32_e32 vcc, v43, v9
	v_cndmask_b32_e32 v32, v44, v32, vcc
	v_cndmask_b32_e64 v33, v33, 0, vcc
	v_cndmask_b32_e32 v7, v45, v7, vcc
	v_cmp_gt_u32_e32 vcc, 56, v38
	v_cndmask_b32_e64 v44, 0, 1, vcc
	v_lshlrev_b32_e32 v44, 3, v44
	v_add_lshl_u32 v44, v44, v47, 2
	ds_bpermute_b32 v46, v44, v7
	v_add_u32_e32 v6, v33, v6
	ds_bpermute_b32 v33, v44, v6
	v_and_b32_e32 v48, 1, v32
	v_cmp_eq_u32_e32 vcc, 1, v48
	s_waitcnt lgkmcnt(1)
	v_and_b32_e32 v46, 1, v46
	;; [unrolled: 21-line block ×4, first 2 shown]
	v_add_u32_e32 v51, 32, v38
	v_cndmask_b32_e64 v7, v7, 1, vcc
	v_cmp_eq_u16_sdwa vcc, v32, v31 src0_sel:BYTE_0 src1_sel:DWORD
	s_waitcnt lgkmcnt(0)
	v_cndmask_b32_e32 v33, 0, v33, vcc
	v_cmp_gt_u32_e32 vcc, v51, v9
	v_cndmask_b32_e64 v9, v33, 0, vcc
	v_cndmask_b32_e32 v7, v7, v32, vcc
	v_add_u32_e32 v6, v9, v6
	s_branch .LBB1055_96
.LBB1055_95:                            ;   in Loop: Header=BB1055_96 Depth=1
	s_or_b64 exec, exec, s[4:5]
	v_cmp_eq_u16_sdwa s[4:5], v8, v3 src0_sel:BYTE_0 src1_sel:DWORD
	v_and_b32_e32 v9, s5, v5
	ds_bpermute_b32 v33, v39, v7
	v_or_b32_e32 v9, 0x80000000, v9
	v_and_b32_e32 v32, s4, v4
	v_ffbl_b32_e32 v9, v9
	v_add_u32_e32 v9, 32, v9
	v_ffbl_b32_e32 v32, v32
	v_min_u32_e32 v9, v32, v9
	ds_bpermute_b32 v32, v39, v6
	v_and_b32_e32 v52, 1, v7
	s_waitcnt lgkmcnt(1)
	v_and_b32_e32 v33, 1, v33
	v_cmp_eq_u32_e32 vcc, 1, v52
	v_cndmask_b32_e64 v33, v33, 1, vcc
	v_cmp_gt_u64_e32 vcc, s[28:29], v[6:7]
	v_and_b32_e32 v52, 0xffff, v33
	v_cmp_lt_u32_e64 s[4:5], v38, v9
	v_cndmask_b32_e64 v33, v7, v33, s[4:5]
	v_cndmask_b32_e64 v7, v7, v52, s[4:5]
	s_and_b64 vcc, s[4:5], vcc
	ds_bpermute_b32 v52, v40, v7
	s_waitcnt lgkmcnt(1)
	v_cndmask_b32_e32 v32, 0, v32, vcc
	v_add_u32_e32 v6, v32, v6
	ds_bpermute_b32 v32, v40, v6
	v_and_b32_e32 v53, 1, v33
	s_waitcnt lgkmcnt(1)
	v_and_b32_e32 v52, 1, v52
	v_cmp_eq_u32_e32 vcc, 1, v53
	v_cndmask_b32_e64 v52, v52, 1, vcc
	v_cmp_eq_u16_sdwa vcc, v33, v31 src0_sel:BYTE_0 src1_sel:DWORD
	v_and_b32_e32 v53, 0xffff, v52
	s_waitcnt lgkmcnt(0)
	v_cndmask_b32_e32 v32, 0, v32, vcc
	v_cmp_gt_u32_e32 vcc, v41, v9
	v_cndmask_b32_e32 v7, v53, v7, vcc
	v_cndmask_b32_e32 v33, v52, v33, vcc
	ds_bpermute_b32 v52, v42, v7
	v_cndmask_b32_e64 v32, v32, 0, vcc
	v_add_u32_e32 v6, v32, v6
	ds_bpermute_b32 v32, v42, v6
	v_and_b32_e32 v53, 1, v33
	s_waitcnt lgkmcnt(1)
	v_and_b32_e32 v52, 1, v52
	v_cmp_eq_u32_e32 vcc, 1, v53
	v_cndmask_b32_e64 v52, v52, 1, vcc
	v_cmp_eq_u16_sdwa vcc, v33, v31 src0_sel:BYTE_0 src1_sel:DWORD
	v_and_b32_e32 v53, 0xffff, v52
	s_waitcnt lgkmcnt(0)
	v_cndmask_b32_e32 v32, 0, v32, vcc
	v_cmp_gt_u32_e32 vcc, v43, v9
	v_cndmask_b32_e32 v7, v53, v7, vcc
	v_cndmask_b32_e32 v33, v52, v33, vcc
	ds_bpermute_b32 v52, v44, v7
	v_cndmask_b32_e64 v32, v32, 0, vcc
	;; [unrolled: 16-line block ×3, first 2 shown]
	v_add_u32_e32 v6, v32, v6
	ds_bpermute_b32 v32, v46, v6
	v_and_b32_e32 v53, 1, v33
	s_waitcnt lgkmcnt(1)
	v_and_b32_e32 v52, 1, v52
	v_cmp_eq_u32_e32 vcc, 1, v53
	v_cndmask_b32_e64 v52, v52, 1, vcc
	v_cmp_eq_u16_sdwa vcc, v33, v31 src0_sel:BYTE_0 src1_sel:DWORD
	v_and_b32_e32 v53, 0xffff, v52
	s_waitcnt lgkmcnt(0)
	v_cndmask_b32_e32 v32, 0, v32, vcc
	v_cmp_gt_u32_e32 vcc, v48, v9
	v_cndmask_b32_e64 v32, v32, 0, vcc
	v_cndmask_b32_e32 v7, v53, v7, vcc
	ds_bpermute_b32 v7, v50, v7
	v_add_u32_e32 v6, v32, v6
	ds_bpermute_b32 v32, v50, v6
	v_cndmask_b32_e32 v33, v52, v33, vcc
	v_and_b32_e32 v52, 1, v33
	v_cmp_eq_u32_e32 vcc, 1, v52
	s_waitcnt lgkmcnt(1)
	v_cndmask_b32_e64 v7, v7, 1, vcc
	v_cmp_eq_u16_sdwa vcc, v33, v31 src0_sel:BYTE_0 src1_sel:DWORD
	s_waitcnt lgkmcnt(0)
	v_cndmask_b32_e32 v32, 0, v32, vcc
	v_cmp_gt_u32_e32 vcc, v51, v9
	v_cndmask_b32_e64 v9, v32, 0, vcc
	v_cndmask_b32_e32 v7, v7, v33, vcc
	v_add_u32_e32 v6, v9, v6
	v_cmp_eq_u16_sdwa vcc, v47, v31 src0_sel:BYTE_0 src1_sel:DWORD
	v_and_b32_e32 v9, 1, v47
	v_cndmask_b32_e32 v6, 0, v6, vcc
	v_and_b32_e32 v7, 1, v7
	v_cmp_eq_u32_e32 vcc, 1, v9
	v_subrev_u32_e32 v30, 64, v30
	v_add_u32_e32 v6, v6, v49
	v_cndmask_b32_e64 v7, v7, 1, vcc
.LBB1055_96:                            ; =>This Loop Header: Depth=1
                                        ;     Child Loop BB1055_99 Depth 2
                                        ;       Child Loop BB1055_100 Depth 3
	v_cmp_ne_u16_sdwa s[4:5], v8, v3 src0_sel:BYTE_0 src1_sel:DWORD
	v_mov_b32_e32 v47, v7
	v_cndmask_b32_e64 v7, 0, 1, s[4:5]
	;;#ASMSTART
	;;#ASMEND
	v_cmp_ne_u32_e32 vcc, 0, v7
	s_cmp_lg_u64 vcc, exec
	v_mov_b32_e32 v49, v6
	s_cbranch_scc1 .LBB1055_103
; %bb.97:                               ;   in Loop: Header=BB1055_96 Depth=1
	v_lshlrev_b64 v[6:7], 4, v[30:31]
	v_mov_b32_e32 v8, s37
	v_add_co_u32_e32 v32, vcc, s36, v6
	v_addc_co_u32_e32 v33, vcc, v8, v7, vcc
	;;#ASMSTART
	global_load_dwordx4 v[6:9], v[32:33] off glc	
s_waitcnt vmcnt(0)
	;;#ASMEND
	v_and_b32_e32 v9, 0xff0000, v6
	v_or_b32_sdwa v9, v6, v9 dst_sel:DWORD dst_unused:UNUSED_PAD src0_sel:WORD_0 src1_sel:DWORD
	v_and_b32_e32 v6, 0xff000000, v6
	v_and_b32_e32 v7, 0xff, v7
	v_or3_b32 v7, 0, 0, v7
	v_or3_b32 v6, v9, v6, 0
	v_cmp_eq_u16_sdwa s[40:41], v8, v31 src0_sel:BYTE_0 src1_sel:DWORD
	s_and_saveexec_b64 s[4:5], s[40:41]
	s_cbranch_execz .LBB1055_95
; %bb.98:                               ;   in Loop: Header=BB1055_96 Depth=1
	s_mov_b32 s46, 1
	s_mov_b64 s[40:41], 0
.LBB1055_99:                            ;   Parent Loop BB1055_96 Depth=1
                                        ; =>  This Loop Header: Depth=2
                                        ;       Child Loop BB1055_100 Depth 3
	s_max_u32 s47, s46, 1
.LBB1055_100:                           ;   Parent Loop BB1055_96 Depth=1
                                        ;     Parent Loop BB1055_99 Depth=2
                                        ; =>    This Inner Loop Header: Depth=3
	s_add_i32 s47, s47, -1
	s_cmp_eq_u32 s47, 0
	s_sleep 1
	s_cbranch_scc0 .LBB1055_100
; %bb.101:                              ;   in Loop: Header=BB1055_99 Depth=2
	s_cmp_lt_u32 s46, 32
	s_cselect_b64 s[48:49], -1, 0
	s_cmp_lg_u64 s[48:49], 0
	s_addc_u32 s46, s46, 0
	;;#ASMSTART
	global_load_dwordx4 v[6:9], v[32:33] off glc	
s_waitcnt vmcnt(0)
	;;#ASMEND
	v_cmp_ne_u16_sdwa s[48:49], v8, v31 src0_sel:BYTE_0 src1_sel:DWORD
	s_or_b64 s[40:41], s[48:49], s[40:41]
	s_andn2_b64 exec, exec, s[40:41]
	s_cbranch_execnz .LBB1055_99
; %bb.102:                              ;   in Loop: Header=BB1055_96 Depth=1
	s_or_b64 exec, exec, s[40:41]
	v_and_b32_e32 v7, 0xff, v7
	s_branch .LBB1055_95
.LBB1055_103:                           ;   in Loop: Header=BB1055_96 Depth=1
                                        ; implicit-def: $vgpr7
                                        ; implicit-def: $vgpr6
                                        ; implicit-def: $vgpr8
	s_cbranch_execz .LBB1055_96
; %bb.104:
	s_and_saveexec_b64 s[4:5], s[20:21]
	s_cbranch_execz .LBB1055_106
; %bb.105:
	s_and_b32 s20, s45, 0xff
	s_cmp_eq_u32 s20, 0
	s_cselect_b64 vcc, -1, 0
	s_bitcmp1_b32 s45, 0
	s_mov_b32 s21, 0
	s_cselect_b64 s[28:29], -1, 0
	s_add_i32 s20, s39, 64
	s_lshl_b64 s[20:21], s[20:21], 4
	v_cndmask_b32_e32 v3, 0, v49, vcc
	s_add_u32 s20, s36, s20
	v_add_u32_e32 v2, v3, v2
	v_and_b32_e32 v3, 1, v47
	s_addc_u32 s21, s37, s21
	v_mov_b32_e32 v5, 0
	v_cndmask_b32_e64 v3, v3, 1, s[28:29]
	v_mov_b32_e32 v4, 2
	v_pk_mov_b32 v[6:7], s[20:21], s[20:21] op_sel:[0,1]
	;;#ASMSTART
	global_store_dwordx4 v[6:7], v[2:5] off	
s_waitcnt vmcnt(0)
	;;#ASMEND
.LBB1055_106:
	s_or_b64 exec, exec, s[4:5]
	s_and_b64 exec, exec, s[0:1]
	s_cbranch_execz .LBB1055_108
; %bb.107:
	v_mov_b32_e32 v2, 0
	ds_write_b32 v2, v49
	ds_write_b8 v2, v47 offset:4
.LBB1055_108:
	s_or_b64 exec, exec, s[24:25]
	v_mov_b32_e32 v2, 0
	s_waitcnt lgkmcnt(0)
	s_barrier
	ds_read_b32 v3, v2
	v_cmp_eq_u16_sdwa vcc, v37, v2 src0_sel:BYTE_0 src1_sel:DWORD
	s_waitcnt lgkmcnt(0)
	v_cndmask_b32_e32 v4, 0, v3, vcc
	v_add_u32_e32 v4, v4, v36
	v_cndmask_b32_e64 v30, v4, v3, s[0:1]
	v_and_b32_e32 v3, 0xff, v13
	v_cmp_eq_u64_e32 vcc, 0, v[2:3]
	v_cndmask_b32_e32 v2, 0, v30, vcc
	v_add_u32_e32 v31, v2, v12
	v_cndmask_b32_e64 v2, 0, v31, s[6:7]
	v_add_u32_e32 v32, v2, v14
	v_cndmask_b32_e64 v2, 0, v32, s[8:9]
	;; [unrolled: 2-line block ×7, first 2 shown]
	v_add_u32_e32 v40, v2, v26
	s_branch .LBB1055_129
.LBB1055_109:
                                        ; implicit-def: $vgpr39
                                        ; implicit-def: $vgpr38
                                        ; implicit-def: $vgpr37
                                        ; implicit-def: $vgpr36
                                        ; implicit-def: $vgpr33
                                        ; implicit-def: $vgpr32
                                        ; implicit-def: $vgpr31
                                        ; implicit-def: $vgpr30
                                        ; implicit-def: $vgpr40
	s_cbranch_execz .LBB1055_129
; %bb.110:
	s_cmp_lg_u64 s[34:35], 0
	s_cselect_b32 s7, s43, 0
	s_cselect_b32 s6, s42, 0
	s_mov_b32 s4, 0
	s_cmp_eq_u64 s[6:7], 0
	v_mov_b32_e32 v4, s44
	s_cbranch_scc1 .LBB1055_112
; %bb.111:
	v_mov_b32_e32 v2, 0
	global_load_dword v4, v2, s[6:7]
.LBB1055_112:
	s_mov_b32 s5, 1
	v_cmp_gt_u64_e32 vcc, s[4:5], v[14:15]
	v_cndmask_b32_e32 v2, 0, v12, vcc
	v_add_u32_e32 v2, v2, v14
	v_cmp_gt_u64_e64 s[6:7], s[4:5], v[16:17]
	v_cndmask_b32_e64 v2, 0, v2, s[6:7]
	v_add_u32_e32 v2, v2, v16
	v_cmp_gt_u64_e64 s[8:9], s[4:5], v[18:19]
	v_cndmask_b32_e64 v2, 0, v2, s[8:9]
	;; [unrolled: 3-line block ×7, first 2 shown]
	v_add_u32_e32 v5, v2, v28
	v_or3_b32 v2, v35, v25, v23
	v_or3_b32 v2, v2, v21, v19
	;; [unrolled: 1-line block ×3, first 2 shown]
	v_and_b32_e32 v2, 1, v2
	v_cmp_eq_u32_e64 s[4:5], 1, v2
	v_cndmask_b32_e64 v6, v13, 1, s[4:5]
	v_add_lshl_u32 v1, v1, v0, 3
	v_cmp_gt_u32_e64 s[4:5], 64, v0
	ds_write_b32 v1, v5
	ds_write_b8 v1, v6 offset:4
	s_waitcnt lgkmcnt(0)
	s_barrier
	s_and_saveexec_b64 s[18:19], s[4:5]
	s_cbranch_execz .LBB1055_124
; %bb.113:
	v_lshlrev_b32_e32 v1, 2, v0
	v_lshrrev_b32_e32 v2, 3, v0
	v_add_lshl_u32 v1, v2, v1, 3
	ds_read2_b32 v[8:9], v1 offset0:2 offset1:4
	ds_read_b64 v[2:3], v1
	ds_read_u8 v15, v1 offset:12
	ds_read_u8 v17, v1 offset:20
	ds_read_b32 v19, v1 offset:24
	ds_read_u8 v21, v1 offset:28
	v_mov_b32_e32 v23, 0
	s_waitcnt lgkmcnt(3)
	v_cmp_eq_u16_sdwa s[4:5], v15, v23 src0_sel:BYTE_0 src1_sel:DWORD
	v_cndmask_b32_e64 v25, 0, v2, s[4:5]
	v_add_u32_e32 v8, v25, v8
	s_waitcnt lgkmcnt(2)
	v_cmp_eq_u16_sdwa s[4:5], v17, v23 src0_sel:BYTE_0 src1_sel:DWORD
	v_cndmask_b32_e64 v8, 0, v8, s[4:5]
	v_add_u32_e32 v8, v8, v9
	s_waitcnt lgkmcnt(0)
	v_cmp_eq_u16_e64 s[4:5], 0, v21
	v_cndmask_b32_e64 v8, 0, v8, s[4:5]
	v_add_u32_e32 v9, v8, v19
	v_or_b32_e32 v8, v21, v17
	v_or_b32_e32 v8, v8, v15
	v_and_b32_e32 v8, 1, v8
	v_and_b32_e32 v7, 1, v3
	v_cmp_eq_u32_e64 s[4:5], 1, v8
	v_mbcnt_lo_u32_b32 v15, -1, 0
	v_cndmask_b32_e64 v17, v7, 1, s[4:5]
	v_and_b32_e32 v8, 0xffffff00, v3
	v_mbcnt_hi_u32_b32 v15, -1, v15
	v_and_b32_e32 v21, 15, v15
	v_or_b32_sdwa v19, v8, v17 dst_sel:DWORD dst_unused:UNUSED_PAD src0_sel:DWORD src1_sel:WORD_0
	v_mov_b32_dpp v23, v9 row_shr:1 row_mask:0xf bank_mask:0xf
	v_cmp_ne_u32_e64 s[4:5], 0, v21
	v_mov_b32_dpp v25, v19 row_shr:1 row_mask:0xf bank_mask:0xf
	s_and_saveexec_b64 s[20:21], s[4:5]
; %bb.114:
	v_and_b32_e32 v19, 1, v17
	v_and_b32_e32 v25, 1, v25
	v_cmp_eq_u32_e64 s[4:5], 1, v19
	v_cndmask_b32_e64 v25, v25, 1, s[4:5]
	v_cmp_eq_u16_e64 s[4:5], 0, v17
	v_cndmask_b32_e64 v17, 0, v23, s[4:5]
	v_add_u32_e32 v9, v17, v9
	v_or_b32_sdwa v19, v8, v25 dst_sel:DWORD dst_unused:UNUSED_PAD src0_sel:DWORD src1_sel:WORD_0
	v_mov_b32_e32 v17, v25
; %bb.115:
	s_or_b64 exec, exec, s[20:21]
	v_mov_b32_dpp v23, v9 row_shr:2 row_mask:0xf bank_mask:0xf
	v_mov_b32_dpp v25, v19 row_shr:2 row_mask:0xf bank_mask:0xf
	v_cmp_lt_u32_e64 s[4:5], 1, v21
	s_and_saveexec_b64 s[20:21], s[4:5]
; %bb.116:
	v_and_b32_e32 v19, 1, v17
	v_and_b32_e32 v25, 1, v25
	v_cmp_eq_u32_e64 s[4:5], 1, v19
	v_cndmask_b32_e64 v25, v25, 1, s[4:5]
	v_cmp_eq_u16_e64 s[4:5], 0, v17
	v_cndmask_b32_e64 v17, 0, v23, s[4:5]
	v_add_u32_e32 v9, v17, v9
	v_or_b32_sdwa v19, v8, v25 dst_sel:DWORD dst_unused:UNUSED_PAD src0_sel:DWORD src1_sel:WORD_0
	v_mov_b32_e32 v17, v25
; %bb.117:
	s_or_b64 exec, exec, s[20:21]
	v_mov_b32_dpp v23, v9 row_shr:4 row_mask:0xf bank_mask:0xf
	v_mov_b32_dpp v25, v19 row_shr:4 row_mask:0xf bank_mask:0xf
	v_cmp_lt_u32_e64 s[4:5], 3, v21
	;; [unrolled: 16-line block ×3, first 2 shown]
	s_and_saveexec_b64 s[20:21], s[4:5]
; %bb.120:
	v_and_b32_e32 v19, 1, v17
	v_and_b32_e32 v21, 1, v25
	v_cmp_eq_u32_e64 s[4:5], 1, v19
	v_cndmask_b32_e64 v21, v21, 1, s[4:5]
	v_cmp_eq_u16_e64 s[4:5], 0, v17
	v_cndmask_b32_e64 v17, 0, v23, s[4:5]
	v_add_u32_e32 v9, v17, v9
	v_or_b32_sdwa v19, v8, v21 dst_sel:DWORD dst_unused:UNUSED_PAD src0_sel:DWORD src1_sel:WORD_0
	v_mov_b32_e32 v17, v21
; %bb.121:
	s_or_b64 exec, exec, s[20:21]
	v_and_b32_e32 v25, 16, v15
	v_mov_b32_dpp v21, v9 row_bcast:15 row_mask:0xf bank_mask:0xf
	v_mov_b32_dpp v23, v19 row_bcast:15 row_mask:0xf bank_mask:0xf
	v_cmp_ne_u32_e64 s[4:5], 0, v25
	s_and_saveexec_b64 s[20:21], s[4:5]
; %bb.122:
	v_and_b32_e32 v19, 1, v17
	v_and_b32_e32 v23, 1, v23
	v_cmp_eq_u32_e64 s[4:5], 1, v19
	v_cndmask_b32_e64 v23, v23, 1, s[4:5]
	v_cmp_eq_u16_e64 s[4:5], 0, v17
	v_cndmask_b32_e64 v17, 0, v21, s[4:5]
	v_add_u32_e32 v9, v17, v9
	v_or_b32_sdwa v19, v8, v23 dst_sel:DWORD dst_unused:UNUSED_PAD src0_sel:DWORD src1_sel:WORD_0
	v_mov_b32_e32 v17, v23
; %bb.123:
	s_or_b64 exec, exec, s[20:21]
	v_mov_b32_dpp v19, v19 row_bcast:31 row_mask:0xf bank_mask:0xf
	v_and_b32_e32 v23, 1, v17
	v_and_b32_e32 v19, 1, v19
	v_cmp_eq_u32_e64 s[4:5], 1, v23
	v_mov_b32_e32 v23, 0
	v_cndmask_b32_e64 v19, v19, 1, s[4:5]
	v_cmp_eq_u16_sdwa s[20:21], v17, v23 src0_sel:BYTE_0 src1_sel:DWORD
	v_cmp_lt_u32_e64 s[4:5], 31, v15
	v_mov_b32_dpp v21, v9 row_bcast:31 row_mask:0xf bank_mask:0xf
	v_cndmask_b32_e64 v17, v17, v19, s[4:5]
	s_and_b64 s[4:5], s[4:5], s[20:21]
	v_cndmask_b32_e64 v19, 0, v21, s[4:5]
	v_add_u32_e32 v9, v19, v9
	v_add_u32_e32 v19, -1, v15
	v_and_b32_e32 v21, 64, v15
	v_cmp_lt_i32_e64 s[4:5], v19, v21
	v_cndmask_b32_e64 v15, v19, v15, s[4:5]
	s_movk_i32 s24, 0xff
	v_lshlrev_b32_e32 v15, 2, v15
	ds_bpermute_b32 v9, v15, v9
	v_and_or_b32 v8, v17, s24, v8
	ds_bpermute_b32 v8, v15, v8
	v_cmp_eq_u16_sdwa s[4:5], v3, v23 src0_sel:BYTE_0 src1_sel:DWORD
	s_waitcnt lgkmcnt(1)
	v_cndmask_b32_e64 v3, 0, v9, s[4:5]
	v_add_u32_e32 v2, v3, v2
	s_waitcnt lgkmcnt(0)
	v_and_b32_e32 v3, 1, v8
	v_cmp_eq_u32_e64 s[4:5], 1, v7
	v_cndmask_b32_e64 v3, v3, 1, s[4:5]
	v_cndmask_b32_e64 v5, v2, v5, s[0:1]
	;; [unrolled: 1-line block ×3, first 2 shown]
	; wave barrier
	ds_write_b32 v1, v5
	ds_write_b8 v1, v6 offset:4
	; wave barrier
	ds_read_u8 v7, v1 offset:12
	ds_read2_b32 v[2:3], v1 offset0:2 offset1:4
	ds_read_u8 v8, v1 offset:20
	ds_read_b32 v9, v1 offset:24
	ds_read_u8 v15, v1 offset:28
	s_waitcnt lgkmcnt(4)
	v_cmp_eq_u16_e64 s[4:5], 0, v7
	v_cndmask_b32_e64 v5, 0, v5, s[4:5]
	s_waitcnt lgkmcnt(3)
	v_add_u32_e32 v2, v5, v2
	v_and_b32_e32 v5, 1, v7
	v_cmp_eq_u32_e64 s[4:5], 1, v5
	v_cndmask_b32_e64 v5, v6, 1, s[4:5]
	s_waitcnt lgkmcnt(2)
	v_cmp_eq_u16_e64 s[4:5], 0, v8
	v_cndmask_b32_e64 v6, 0, v2, s[4:5]
	v_add_u32_e32 v3, v6, v3
	v_and_b32_e32 v6, 1, v8
	v_cmp_eq_u32_e64 s[4:5], 1, v6
	ds_write_b8 v1, v5 offset:12
	v_cndmask_b32_e64 v5, v5, 1, s[4:5]
	s_waitcnt lgkmcnt(1)
	v_cmp_eq_u16_e64 s[4:5], 0, v15
	ds_write2_b32 v1, v2, v3 offset0:2 offset1:4
	ds_write_b8 v1, v5 offset:20
	v_cndmask_b32_e64 v2, 0, v3, s[4:5]
	v_and_b32_e32 v3, 1, v15
	v_add_u32_e32 v2, v2, v9
	v_cmp_eq_u32_e64 s[4:5], 1, v3
	v_cndmask_b32_e64 v3, v5, 1, s[4:5]
	ds_write_b32 v1, v2 offset:24
	ds_write_b8 v1, v3 offset:28
.LBB1055_124:
	s_or_b64 exec, exec, s[18:19]
	s_waitcnt vmcnt(0)
	v_mov_b32_e32 v30, v4
	s_waitcnt lgkmcnt(0)
	s_barrier
	s_and_saveexec_b64 s[18:19], s[22:23]
	s_cbranch_execz .LBB1055_126
; %bb.125:
	v_add_u32_e32 v1, -1, v0
	v_lshrrev_b32_e32 v2, 5, v1
	v_add_lshl_u32 v1, v2, v1, 3
	ds_read_u8 v2, v1 offset:4
	ds_read_b32 v1, v1
	s_waitcnt lgkmcnt(1)
	v_cmp_eq_u16_e64 s[4:5], 0, v2
	v_cndmask_b32_e64 v2, 0, v4, s[4:5]
	s_waitcnt lgkmcnt(0)
	v_add_u32_e32 v30, v2, v1
.LBB1055_126:
	s_or_b64 exec, exec, s[18:19]
	v_and_b32_e32 v3, 0xff, v13
	v_mov_b32_e32 v2, 0
	v_cmp_eq_u64_e64 s[4:5], 0, v[2:3]
	v_cndmask_b32_e64 v1, 0, v30, s[4:5]
	v_add_u32_e32 v31, v1, v12
	v_cndmask_b32_e32 v1, 0, v31, vcc
	v_add_u32_e32 v32, v1, v14
	v_cndmask_b32_e64 v1, 0, v32, s[6:7]
	v_add_u32_e32 v33, v1, v16
	v_cndmask_b32_e64 v1, 0, v33, s[8:9]
	;; [unrolled: 2-line block ×6, first 2 shown]
	s_and_saveexec_b64 s[4:5], s[0:1]
	s_cbranch_execz .LBB1055_128
; %bb.127:
	ds_read_u8 v3, v2 offset:2100
	ds_read_b32 v5, v2 offset:2096
	s_add_u32 s0, s36, 0x400
	s_addc_u32 s1, s37, 0
	v_mov_b32_e32 v6, 2
	s_waitcnt lgkmcnt(1)
	v_cmp_eq_u16_e32 vcc, 0, v3
	v_cndmask_b32_e32 v4, 0, v4, vcc
	s_waitcnt lgkmcnt(0)
	v_add_u32_e32 v4, v4, v5
	v_and_b32_e32 v5, 0xffff, v3
	v_mov_b32_e32 v7, v2
	v_pk_mov_b32 v[2:3], s[0:1], s[0:1] op_sel:[0,1]
	;;#ASMSTART
	global_store_dwordx4 v[2:3], v[4:7] off	
s_waitcnt vmcnt(0)
	;;#ASMEND
.LBB1055_128:
	s_or_b64 exec, exec, s[4:5]
	v_add_u32_e32 v40, v1, v26
.LBB1055_129:
	s_add_u32 s0, s30, s26
	s_addc_u32 s1, s31, s27
	v_mov_b32_e32 v1, s1
	v_add_co_u32_e32 v12, vcc, s0, v10
	v_addc_co_u32_e32 v13, vcc, v1, v11, vcc
	s_and_b64 vcc, exec, s[2:3]
	v_mul_u32_u24_e32 v14, 36, v0
	v_lshlrev_b32_e32 v15, 5, v0
	s_cbranch_vccz .LBB1055_147
; %bb.130:
	v_sub_u32_e32 v2, v14, v15
	s_barrier
	ds_write2_b32 v14, v30, v31 offset1:1
	ds_write2_b32 v14, v32, v33 offset0:2 offset1:3
	ds_write2_b32 v14, v36, v37 offset0:4 offset1:5
	;; [unrolled: 1-line block ×3, first 2 shown]
	ds_write_b32 v14, v40 offset:32
	s_waitcnt lgkmcnt(0)
	s_barrier
	ds_read2st64_b32 v[10:11], v2 offset0:4 offset1:8
	ds_read2st64_b32 v[8:9], v2 offset0:12 offset1:16
	;; [unrolled: 1-line block ×4, first 2 shown]
	v_add_co_u32_e32 v4, vcc, v12, v34
	s_add_i32 s33, s33, s38
	v_addc_co_u32_e32 v5, vcc, 0, v13, vcc
	v_mov_b32_e32 v1, 0
	v_cmp_gt_u32_e32 vcc, s33, v0
	s_and_saveexec_b64 s[0:1], vcc
	s_cbranch_execz .LBB1055_132
; %bb.131:
	v_sub_u32_e32 v16, 0, v15
	v_add_u32_e32 v16, v14, v16
	ds_read_b32 v16, v16
	s_waitcnt lgkmcnt(0)
	flat_store_short v[4:5], v16
.LBB1055_132:
	s_or_b64 exec, exec, s[0:1]
	v_or_b32_e32 v16, 0x100, v0
	v_cmp_gt_u32_e32 vcc, s33, v16
	s_and_saveexec_b64 s[0:1], vcc
	s_cbranch_execz .LBB1055_134
; %bb.133:
	s_waitcnt lgkmcnt(0)
	flat_store_short v[4:5], v10 offset:512
.LBB1055_134:
	s_or_b64 exec, exec, s[0:1]
	s_waitcnt lgkmcnt(0)
	v_or_b32_e32 v10, 0x200, v0
	v_cmp_gt_u32_e32 vcc, s33, v10
	s_and_saveexec_b64 s[0:1], vcc
	s_cbranch_execz .LBB1055_136
; %bb.135:
	flat_store_short v[4:5], v11 offset:1024
.LBB1055_136:
	s_or_b64 exec, exec, s[0:1]
	v_or_b32_e32 v10, 0x300, v0
	v_cmp_gt_u32_e32 vcc, s33, v10
	s_and_saveexec_b64 s[0:1], vcc
	s_cbranch_execz .LBB1055_138
; %bb.137:
	flat_store_short v[4:5], v8 offset:1536
.LBB1055_138:
	s_or_b64 exec, exec, s[0:1]
	;; [unrolled: 8-line block ×6, first 2 shown]
	v_or_b32_e32 v2, 0x800, v0
	v_cmp_gt_u32_e64 s[0:1], s33, v2
	s_branch .LBB1055_149
.LBB1055_147:
	s_mov_b64 s[0:1], 0
                                        ; implicit-def: $vgpr3
	s_cbranch_execz .LBB1055_149
; %bb.148:
	v_sub_u32_e32 v2, v14, v15
	s_waitcnt lgkmcnt(0)
	s_barrier
	ds_write2_b32 v14, v30, v31 offset1:1
	ds_write2_b32 v14, v32, v33 offset0:2 offset1:3
	ds_write2_b32 v14, v36, v37 offset0:4 offset1:5
	;; [unrolled: 1-line block ×3, first 2 shown]
	ds_write_b32 v14, v40 offset:32
	s_waitcnt lgkmcnt(0)
	s_barrier
	ds_read2st64_b32 v[4:5], v2 offset1:4
	ds_read2st64_b32 v[6:7], v2 offset0:8 offset1:12
	ds_read2st64_b32 v[8:9], v2 offset0:16 offset1:20
	;; [unrolled: 1-line block ×3, first 2 shown]
	ds_read_b32 v3, v2 offset:8192
	v_add_co_u32_e32 v14, vcc, v12, v34
	v_mov_b32_e32 v1, 0
	v_addc_co_u32_e32 v15, vcc, 0, v13, vcc
	s_or_b64 s[0:1], s[0:1], exec
	s_waitcnt lgkmcnt(0)
	flat_store_short v[14:15], v4
	flat_store_short v[14:15], v5 offset:512
	flat_store_short v[14:15], v6 offset:1024
	;; [unrolled: 1-line block ×7, first 2 shown]
.LBB1055_149:
	s_and_saveexec_b64 s[2:3], s[0:1]
	s_cbranch_execz .LBB1055_151
; %bb.150:
	v_lshlrev_b64 v[0:1], 1, v[0:1]
	v_add_co_u32_e32 v0, vcc, v12, v0
	v_addc_co_u32_e32 v1, vcc, v13, v1, vcc
	v_add_co_u32_e32 v0, vcc, 0x1000, v0
	v_addc_co_u32_e32 v1, vcc, 0, v1, vcc
	flat_store_short v[0:1], v3
	s_endpgm
.LBB1055_151:
	s_endpgm
	.section	.rodata,"a",@progbits
	.p2align	6, 0x0
	.amdhsa_kernel _ZN7rocprim17ROCPRIM_400000_NS6detail17trampoline_kernelINS0_14default_configENS1_27scan_by_key_config_selectorIsiEEZZNS1_16scan_by_key_implILNS1_25lookback_scan_determinismE0ELb1ES3_N6thrust23THRUST_200600_302600_NS6detail15normal_iteratorINS9_10device_ptrIsEEEESE_SE_iNS9_4plusIvEENS9_8equal_toIvEEiEE10hipError_tPvRmT2_T3_T4_T5_mT6_T7_P12ihipStream_tbENKUlT_T0_E_clISt17integral_constantIbLb1EESZ_EEDaSU_SV_EUlSU_E_NS1_11comp_targetILNS1_3genE4ELNS1_11target_archE910ELNS1_3gpuE8ELNS1_3repE0EEENS1_30default_config_static_selectorELNS0_4arch9wavefront6targetE1EEEvT1_
		.amdhsa_group_segment_fixed_size 9216
		.amdhsa_private_segment_fixed_size 0
		.amdhsa_kernarg_size 112
		.amdhsa_user_sgpr_count 6
		.amdhsa_user_sgpr_private_segment_buffer 1
		.amdhsa_user_sgpr_dispatch_ptr 0
		.amdhsa_user_sgpr_queue_ptr 0
		.amdhsa_user_sgpr_kernarg_segment_ptr 1
		.amdhsa_user_sgpr_dispatch_id 0
		.amdhsa_user_sgpr_flat_scratch_init 0
		.amdhsa_user_sgpr_kernarg_preload_length 0
		.amdhsa_user_sgpr_kernarg_preload_offset 0
		.amdhsa_user_sgpr_private_segment_size 0
		.amdhsa_uses_dynamic_stack 0
		.amdhsa_system_sgpr_private_segment_wavefront_offset 0
		.amdhsa_system_sgpr_workgroup_id_x 1
		.amdhsa_system_sgpr_workgroup_id_y 0
		.amdhsa_system_sgpr_workgroup_id_z 0
		.amdhsa_system_sgpr_workgroup_info 0
		.amdhsa_system_vgpr_workitem_id 0
		.amdhsa_next_free_vgpr 54
		.amdhsa_next_free_sgpr 50
		.amdhsa_accum_offset 56
		.amdhsa_reserve_vcc 1
		.amdhsa_reserve_flat_scratch 0
		.amdhsa_float_round_mode_32 0
		.amdhsa_float_round_mode_16_64 0
		.amdhsa_float_denorm_mode_32 3
		.amdhsa_float_denorm_mode_16_64 3
		.amdhsa_dx10_clamp 1
		.amdhsa_ieee_mode 1
		.amdhsa_fp16_overflow 0
		.amdhsa_tg_split 0
		.amdhsa_exception_fp_ieee_invalid_op 0
		.amdhsa_exception_fp_denorm_src 0
		.amdhsa_exception_fp_ieee_div_zero 0
		.amdhsa_exception_fp_ieee_overflow 0
		.amdhsa_exception_fp_ieee_underflow 0
		.amdhsa_exception_fp_ieee_inexact 0
		.amdhsa_exception_int_div_zero 0
	.end_amdhsa_kernel
	.section	.text._ZN7rocprim17ROCPRIM_400000_NS6detail17trampoline_kernelINS0_14default_configENS1_27scan_by_key_config_selectorIsiEEZZNS1_16scan_by_key_implILNS1_25lookback_scan_determinismE0ELb1ES3_N6thrust23THRUST_200600_302600_NS6detail15normal_iteratorINS9_10device_ptrIsEEEESE_SE_iNS9_4plusIvEENS9_8equal_toIvEEiEE10hipError_tPvRmT2_T3_T4_T5_mT6_T7_P12ihipStream_tbENKUlT_T0_E_clISt17integral_constantIbLb1EESZ_EEDaSU_SV_EUlSU_E_NS1_11comp_targetILNS1_3genE4ELNS1_11target_archE910ELNS1_3gpuE8ELNS1_3repE0EEENS1_30default_config_static_selectorELNS0_4arch9wavefront6targetE1EEEvT1_,"axG",@progbits,_ZN7rocprim17ROCPRIM_400000_NS6detail17trampoline_kernelINS0_14default_configENS1_27scan_by_key_config_selectorIsiEEZZNS1_16scan_by_key_implILNS1_25lookback_scan_determinismE0ELb1ES3_N6thrust23THRUST_200600_302600_NS6detail15normal_iteratorINS9_10device_ptrIsEEEESE_SE_iNS9_4plusIvEENS9_8equal_toIvEEiEE10hipError_tPvRmT2_T3_T4_T5_mT6_T7_P12ihipStream_tbENKUlT_T0_E_clISt17integral_constantIbLb1EESZ_EEDaSU_SV_EUlSU_E_NS1_11comp_targetILNS1_3genE4ELNS1_11target_archE910ELNS1_3gpuE8ELNS1_3repE0EEENS1_30default_config_static_selectorELNS0_4arch9wavefront6targetE1EEEvT1_,comdat
.Lfunc_end1055:
	.size	_ZN7rocprim17ROCPRIM_400000_NS6detail17trampoline_kernelINS0_14default_configENS1_27scan_by_key_config_selectorIsiEEZZNS1_16scan_by_key_implILNS1_25lookback_scan_determinismE0ELb1ES3_N6thrust23THRUST_200600_302600_NS6detail15normal_iteratorINS9_10device_ptrIsEEEESE_SE_iNS9_4plusIvEENS9_8equal_toIvEEiEE10hipError_tPvRmT2_T3_T4_T5_mT6_T7_P12ihipStream_tbENKUlT_T0_E_clISt17integral_constantIbLb1EESZ_EEDaSU_SV_EUlSU_E_NS1_11comp_targetILNS1_3genE4ELNS1_11target_archE910ELNS1_3gpuE8ELNS1_3repE0EEENS1_30default_config_static_selectorELNS0_4arch9wavefront6targetE1EEEvT1_, .Lfunc_end1055-_ZN7rocprim17ROCPRIM_400000_NS6detail17trampoline_kernelINS0_14default_configENS1_27scan_by_key_config_selectorIsiEEZZNS1_16scan_by_key_implILNS1_25lookback_scan_determinismE0ELb1ES3_N6thrust23THRUST_200600_302600_NS6detail15normal_iteratorINS9_10device_ptrIsEEEESE_SE_iNS9_4plusIvEENS9_8equal_toIvEEiEE10hipError_tPvRmT2_T3_T4_T5_mT6_T7_P12ihipStream_tbENKUlT_T0_E_clISt17integral_constantIbLb1EESZ_EEDaSU_SV_EUlSU_E_NS1_11comp_targetILNS1_3genE4ELNS1_11target_archE910ELNS1_3gpuE8ELNS1_3repE0EEENS1_30default_config_static_selectorELNS0_4arch9wavefront6targetE1EEEvT1_
                                        ; -- End function
	.section	.AMDGPU.csdata,"",@progbits
; Kernel info:
; codeLenInByte = 9236
; NumSgprs: 54
; NumVgprs: 54
; NumAgprs: 0
; TotalNumVgprs: 54
; ScratchSize: 0
; MemoryBound: 0
; FloatMode: 240
; IeeeMode: 1
; LDSByteSize: 9216 bytes/workgroup (compile time only)
; SGPRBlocks: 6
; VGPRBlocks: 6
; NumSGPRsForWavesPerEU: 54
; NumVGPRsForWavesPerEU: 54
; AccumOffset: 56
; Occupancy: 7
; WaveLimiterHint : 1
; COMPUTE_PGM_RSRC2:SCRATCH_EN: 0
; COMPUTE_PGM_RSRC2:USER_SGPR: 6
; COMPUTE_PGM_RSRC2:TRAP_HANDLER: 0
; COMPUTE_PGM_RSRC2:TGID_X_EN: 1
; COMPUTE_PGM_RSRC2:TGID_Y_EN: 0
; COMPUTE_PGM_RSRC2:TGID_Z_EN: 0
; COMPUTE_PGM_RSRC2:TIDIG_COMP_CNT: 0
; COMPUTE_PGM_RSRC3_GFX90A:ACCUM_OFFSET: 13
; COMPUTE_PGM_RSRC3_GFX90A:TG_SPLIT: 0
	.section	.text._ZN7rocprim17ROCPRIM_400000_NS6detail17trampoline_kernelINS0_14default_configENS1_27scan_by_key_config_selectorIsiEEZZNS1_16scan_by_key_implILNS1_25lookback_scan_determinismE0ELb1ES3_N6thrust23THRUST_200600_302600_NS6detail15normal_iteratorINS9_10device_ptrIsEEEESE_SE_iNS9_4plusIvEENS9_8equal_toIvEEiEE10hipError_tPvRmT2_T3_T4_T5_mT6_T7_P12ihipStream_tbENKUlT_T0_E_clISt17integral_constantIbLb1EESZ_EEDaSU_SV_EUlSU_E_NS1_11comp_targetILNS1_3genE3ELNS1_11target_archE908ELNS1_3gpuE7ELNS1_3repE0EEENS1_30default_config_static_selectorELNS0_4arch9wavefront6targetE1EEEvT1_,"axG",@progbits,_ZN7rocprim17ROCPRIM_400000_NS6detail17trampoline_kernelINS0_14default_configENS1_27scan_by_key_config_selectorIsiEEZZNS1_16scan_by_key_implILNS1_25lookback_scan_determinismE0ELb1ES3_N6thrust23THRUST_200600_302600_NS6detail15normal_iteratorINS9_10device_ptrIsEEEESE_SE_iNS9_4plusIvEENS9_8equal_toIvEEiEE10hipError_tPvRmT2_T3_T4_T5_mT6_T7_P12ihipStream_tbENKUlT_T0_E_clISt17integral_constantIbLb1EESZ_EEDaSU_SV_EUlSU_E_NS1_11comp_targetILNS1_3genE3ELNS1_11target_archE908ELNS1_3gpuE7ELNS1_3repE0EEENS1_30default_config_static_selectorELNS0_4arch9wavefront6targetE1EEEvT1_,comdat
	.protected	_ZN7rocprim17ROCPRIM_400000_NS6detail17trampoline_kernelINS0_14default_configENS1_27scan_by_key_config_selectorIsiEEZZNS1_16scan_by_key_implILNS1_25lookback_scan_determinismE0ELb1ES3_N6thrust23THRUST_200600_302600_NS6detail15normal_iteratorINS9_10device_ptrIsEEEESE_SE_iNS9_4plusIvEENS9_8equal_toIvEEiEE10hipError_tPvRmT2_T3_T4_T5_mT6_T7_P12ihipStream_tbENKUlT_T0_E_clISt17integral_constantIbLb1EESZ_EEDaSU_SV_EUlSU_E_NS1_11comp_targetILNS1_3genE3ELNS1_11target_archE908ELNS1_3gpuE7ELNS1_3repE0EEENS1_30default_config_static_selectorELNS0_4arch9wavefront6targetE1EEEvT1_ ; -- Begin function _ZN7rocprim17ROCPRIM_400000_NS6detail17trampoline_kernelINS0_14default_configENS1_27scan_by_key_config_selectorIsiEEZZNS1_16scan_by_key_implILNS1_25lookback_scan_determinismE0ELb1ES3_N6thrust23THRUST_200600_302600_NS6detail15normal_iteratorINS9_10device_ptrIsEEEESE_SE_iNS9_4plusIvEENS9_8equal_toIvEEiEE10hipError_tPvRmT2_T3_T4_T5_mT6_T7_P12ihipStream_tbENKUlT_T0_E_clISt17integral_constantIbLb1EESZ_EEDaSU_SV_EUlSU_E_NS1_11comp_targetILNS1_3genE3ELNS1_11target_archE908ELNS1_3gpuE7ELNS1_3repE0EEENS1_30default_config_static_selectorELNS0_4arch9wavefront6targetE1EEEvT1_
	.globl	_ZN7rocprim17ROCPRIM_400000_NS6detail17trampoline_kernelINS0_14default_configENS1_27scan_by_key_config_selectorIsiEEZZNS1_16scan_by_key_implILNS1_25lookback_scan_determinismE0ELb1ES3_N6thrust23THRUST_200600_302600_NS6detail15normal_iteratorINS9_10device_ptrIsEEEESE_SE_iNS9_4plusIvEENS9_8equal_toIvEEiEE10hipError_tPvRmT2_T3_T4_T5_mT6_T7_P12ihipStream_tbENKUlT_T0_E_clISt17integral_constantIbLb1EESZ_EEDaSU_SV_EUlSU_E_NS1_11comp_targetILNS1_3genE3ELNS1_11target_archE908ELNS1_3gpuE7ELNS1_3repE0EEENS1_30default_config_static_selectorELNS0_4arch9wavefront6targetE1EEEvT1_
	.p2align	8
	.type	_ZN7rocprim17ROCPRIM_400000_NS6detail17trampoline_kernelINS0_14default_configENS1_27scan_by_key_config_selectorIsiEEZZNS1_16scan_by_key_implILNS1_25lookback_scan_determinismE0ELb1ES3_N6thrust23THRUST_200600_302600_NS6detail15normal_iteratorINS9_10device_ptrIsEEEESE_SE_iNS9_4plusIvEENS9_8equal_toIvEEiEE10hipError_tPvRmT2_T3_T4_T5_mT6_T7_P12ihipStream_tbENKUlT_T0_E_clISt17integral_constantIbLb1EESZ_EEDaSU_SV_EUlSU_E_NS1_11comp_targetILNS1_3genE3ELNS1_11target_archE908ELNS1_3gpuE7ELNS1_3repE0EEENS1_30default_config_static_selectorELNS0_4arch9wavefront6targetE1EEEvT1_,@function
_ZN7rocprim17ROCPRIM_400000_NS6detail17trampoline_kernelINS0_14default_configENS1_27scan_by_key_config_selectorIsiEEZZNS1_16scan_by_key_implILNS1_25lookback_scan_determinismE0ELb1ES3_N6thrust23THRUST_200600_302600_NS6detail15normal_iteratorINS9_10device_ptrIsEEEESE_SE_iNS9_4plusIvEENS9_8equal_toIvEEiEE10hipError_tPvRmT2_T3_T4_T5_mT6_T7_P12ihipStream_tbENKUlT_T0_E_clISt17integral_constantIbLb1EESZ_EEDaSU_SV_EUlSU_E_NS1_11comp_targetILNS1_3genE3ELNS1_11target_archE908ELNS1_3gpuE7ELNS1_3repE0EEENS1_30default_config_static_selectorELNS0_4arch9wavefront6targetE1EEEvT1_: ; @_ZN7rocprim17ROCPRIM_400000_NS6detail17trampoline_kernelINS0_14default_configENS1_27scan_by_key_config_selectorIsiEEZZNS1_16scan_by_key_implILNS1_25lookback_scan_determinismE0ELb1ES3_N6thrust23THRUST_200600_302600_NS6detail15normal_iteratorINS9_10device_ptrIsEEEESE_SE_iNS9_4plusIvEENS9_8equal_toIvEEiEE10hipError_tPvRmT2_T3_T4_T5_mT6_T7_P12ihipStream_tbENKUlT_T0_E_clISt17integral_constantIbLb1EESZ_EEDaSU_SV_EUlSU_E_NS1_11comp_targetILNS1_3genE3ELNS1_11target_archE908ELNS1_3gpuE7ELNS1_3repE0EEENS1_30default_config_static_selectorELNS0_4arch9wavefront6targetE1EEEvT1_
; %bb.0:
	.section	.rodata,"a",@progbits
	.p2align	6, 0x0
	.amdhsa_kernel _ZN7rocprim17ROCPRIM_400000_NS6detail17trampoline_kernelINS0_14default_configENS1_27scan_by_key_config_selectorIsiEEZZNS1_16scan_by_key_implILNS1_25lookback_scan_determinismE0ELb1ES3_N6thrust23THRUST_200600_302600_NS6detail15normal_iteratorINS9_10device_ptrIsEEEESE_SE_iNS9_4plusIvEENS9_8equal_toIvEEiEE10hipError_tPvRmT2_T3_T4_T5_mT6_T7_P12ihipStream_tbENKUlT_T0_E_clISt17integral_constantIbLb1EESZ_EEDaSU_SV_EUlSU_E_NS1_11comp_targetILNS1_3genE3ELNS1_11target_archE908ELNS1_3gpuE7ELNS1_3repE0EEENS1_30default_config_static_selectorELNS0_4arch9wavefront6targetE1EEEvT1_
		.amdhsa_group_segment_fixed_size 0
		.amdhsa_private_segment_fixed_size 0
		.amdhsa_kernarg_size 112
		.amdhsa_user_sgpr_count 6
		.amdhsa_user_sgpr_private_segment_buffer 1
		.amdhsa_user_sgpr_dispatch_ptr 0
		.amdhsa_user_sgpr_queue_ptr 0
		.amdhsa_user_sgpr_kernarg_segment_ptr 1
		.amdhsa_user_sgpr_dispatch_id 0
		.amdhsa_user_sgpr_flat_scratch_init 0
		.amdhsa_user_sgpr_kernarg_preload_length 0
		.amdhsa_user_sgpr_kernarg_preload_offset 0
		.amdhsa_user_sgpr_private_segment_size 0
		.amdhsa_uses_dynamic_stack 0
		.amdhsa_system_sgpr_private_segment_wavefront_offset 0
		.amdhsa_system_sgpr_workgroup_id_x 1
		.amdhsa_system_sgpr_workgroup_id_y 0
		.amdhsa_system_sgpr_workgroup_id_z 0
		.amdhsa_system_sgpr_workgroup_info 0
		.amdhsa_system_vgpr_workitem_id 0
		.amdhsa_next_free_vgpr 1
		.amdhsa_next_free_sgpr 0
		.amdhsa_accum_offset 4
		.amdhsa_reserve_vcc 0
		.amdhsa_reserve_flat_scratch 0
		.amdhsa_float_round_mode_32 0
		.amdhsa_float_round_mode_16_64 0
		.amdhsa_float_denorm_mode_32 3
		.amdhsa_float_denorm_mode_16_64 3
		.amdhsa_dx10_clamp 1
		.amdhsa_ieee_mode 1
		.amdhsa_fp16_overflow 0
		.amdhsa_tg_split 0
		.amdhsa_exception_fp_ieee_invalid_op 0
		.amdhsa_exception_fp_denorm_src 0
		.amdhsa_exception_fp_ieee_div_zero 0
		.amdhsa_exception_fp_ieee_overflow 0
		.amdhsa_exception_fp_ieee_underflow 0
		.amdhsa_exception_fp_ieee_inexact 0
		.amdhsa_exception_int_div_zero 0
	.end_amdhsa_kernel
	.section	.text._ZN7rocprim17ROCPRIM_400000_NS6detail17trampoline_kernelINS0_14default_configENS1_27scan_by_key_config_selectorIsiEEZZNS1_16scan_by_key_implILNS1_25lookback_scan_determinismE0ELb1ES3_N6thrust23THRUST_200600_302600_NS6detail15normal_iteratorINS9_10device_ptrIsEEEESE_SE_iNS9_4plusIvEENS9_8equal_toIvEEiEE10hipError_tPvRmT2_T3_T4_T5_mT6_T7_P12ihipStream_tbENKUlT_T0_E_clISt17integral_constantIbLb1EESZ_EEDaSU_SV_EUlSU_E_NS1_11comp_targetILNS1_3genE3ELNS1_11target_archE908ELNS1_3gpuE7ELNS1_3repE0EEENS1_30default_config_static_selectorELNS0_4arch9wavefront6targetE1EEEvT1_,"axG",@progbits,_ZN7rocprim17ROCPRIM_400000_NS6detail17trampoline_kernelINS0_14default_configENS1_27scan_by_key_config_selectorIsiEEZZNS1_16scan_by_key_implILNS1_25lookback_scan_determinismE0ELb1ES3_N6thrust23THRUST_200600_302600_NS6detail15normal_iteratorINS9_10device_ptrIsEEEESE_SE_iNS9_4plusIvEENS9_8equal_toIvEEiEE10hipError_tPvRmT2_T3_T4_T5_mT6_T7_P12ihipStream_tbENKUlT_T0_E_clISt17integral_constantIbLb1EESZ_EEDaSU_SV_EUlSU_E_NS1_11comp_targetILNS1_3genE3ELNS1_11target_archE908ELNS1_3gpuE7ELNS1_3repE0EEENS1_30default_config_static_selectorELNS0_4arch9wavefront6targetE1EEEvT1_,comdat
.Lfunc_end1056:
	.size	_ZN7rocprim17ROCPRIM_400000_NS6detail17trampoline_kernelINS0_14default_configENS1_27scan_by_key_config_selectorIsiEEZZNS1_16scan_by_key_implILNS1_25lookback_scan_determinismE0ELb1ES3_N6thrust23THRUST_200600_302600_NS6detail15normal_iteratorINS9_10device_ptrIsEEEESE_SE_iNS9_4plusIvEENS9_8equal_toIvEEiEE10hipError_tPvRmT2_T3_T4_T5_mT6_T7_P12ihipStream_tbENKUlT_T0_E_clISt17integral_constantIbLb1EESZ_EEDaSU_SV_EUlSU_E_NS1_11comp_targetILNS1_3genE3ELNS1_11target_archE908ELNS1_3gpuE7ELNS1_3repE0EEENS1_30default_config_static_selectorELNS0_4arch9wavefront6targetE1EEEvT1_, .Lfunc_end1056-_ZN7rocprim17ROCPRIM_400000_NS6detail17trampoline_kernelINS0_14default_configENS1_27scan_by_key_config_selectorIsiEEZZNS1_16scan_by_key_implILNS1_25lookback_scan_determinismE0ELb1ES3_N6thrust23THRUST_200600_302600_NS6detail15normal_iteratorINS9_10device_ptrIsEEEESE_SE_iNS9_4plusIvEENS9_8equal_toIvEEiEE10hipError_tPvRmT2_T3_T4_T5_mT6_T7_P12ihipStream_tbENKUlT_T0_E_clISt17integral_constantIbLb1EESZ_EEDaSU_SV_EUlSU_E_NS1_11comp_targetILNS1_3genE3ELNS1_11target_archE908ELNS1_3gpuE7ELNS1_3repE0EEENS1_30default_config_static_selectorELNS0_4arch9wavefront6targetE1EEEvT1_
                                        ; -- End function
	.section	.AMDGPU.csdata,"",@progbits
; Kernel info:
; codeLenInByte = 0
; NumSgprs: 4
; NumVgprs: 0
; NumAgprs: 0
; TotalNumVgprs: 0
; ScratchSize: 0
; MemoryBound: 0
; FloatMode: 240
; IeeeMode: 1
; LDSByteSize: 0 bytes/workgroup (compile time only)
; SGPRBlocks: 0
; VGPRBlocks: 0
; NumSGPRsForWavesPerEU: 4
; NumVGPRsForWavesPerEU: 1
; AccumOffset: 4
; Occupancy: 8
; WaveLimiterHint : 0
; COMPUTE_PGM_RSRC2:SCRATCH_EN: 0
; COMPUTE_PGM_RSRC2:USER_SGPR: 6
; COMPUTE_PGM_RSRC2:TRAP_HANDLER: 0
; COMPUTE_PGM_RSRC2:TGID_X_EN: 1
; COMPUTE_PGM_RSRC2:TGID_Y_EN: 0
; COMPUTE_PGM_RSRC2:TGID_Z_EN: 0
; COMPUTE_PGM_RSRC2:TIDIG_COMP_CNT: 0
; COMPUTE_PGM_RSRC3_GFX90A:ACCUM_OFFSET: 0
; COMPUTE_PGM_RSRC3_GFX90A:TG_SPLIT: 0
	.section	.text._ZN7rocprim17ROCPRIM_400000_NS6detail17trampoline_kernelINS0_14default_configENS1_27scan_by_key_config_selectorIsiEEZZNS1_16scan_by_key_implILNS1_25lookback_scan_determinismE0ELb1ES3_N6thrust23THRUST_200600_302600_NS6detail15normal_iteratorINS9_10device_ptrIsEEEESE_SE_iNS9_4plusIvEENS9_8equal_toIvEEiEE10hipError_tPvRmT2_T3_T4_T5_mT6_T7_P12ihipStream_tbENKUlT_T0_E_clISt17integral_constantIbLb1EESZ_EEDaSU_SV_EUlSU_E_NS1_11comp_targetILNS1_3genE2ELNS1_11target_archE906ELNS1_3gpuE6ELNS1_3repE0EEENS1_30default_config_static_selectorELNS0_4arch9wavefront6targetE1EEEvT1_,"axG",@progbits,_ZN7rocprim17ROCPRIM_400000_NS6detail17trampoline_kernelINS0_14default_configENS1_27scan_by_key_config_selectorIsiEEZZNS1_16scan_by_key_implILNS1_25lookback_scan_determinismE0ELb1ES3_N6thrust23THRUST_200600_302600_NS6detail15normal_iteratorINS9_10device_ptrIsEEEESE_SE_iNS9_4plusIvEENS9_8equal_toIvEEiEE10hipError_tPvRmT2_T3_T4_T5_mT6_T7_P12ihipStream_tbENKUlT_T0_E_clISt17integral_constantIbLb1EESZ_EEDaSU_SV_EUlSU_E_NS1_11comp_targetILNS1_3genE2ELNS1_11target_archE906ELNS1_3gpuE6ELNS1_3repE0EEENS1_30default_config_static_selectorELNS0_4arch9wavefront6targetE1EEEvT1_,comdat
	.protected	_ZN7rocprim17ROCPRIM_400000_NS6detail17trampoline_kernelINS0_14default_configENS1_27scan_by_key_config_selectorIsiEEZZNS1_16scan_by_key_implILNS1_25lookback_scan_determinismE0ELb1ES3_N6thrust23THRUST_200600_302600_NS6detail15normal_iteratorINS9_10device_ptrIsEEEESE_SE_iNS9_4plusIvEENS9_8equal_toIvEEiEE10hipError_tPvRmT2_T3_T4_T5_mT6_T7_P12ihipStream_tbENKUlT_T0_E_clISt17integral_constantIbLb1EESZ_EEDaSU_SV_EUlSU_E_NS1_11comp_targetILNS1_3genE2ELNS1_11target_archE906ELNS1_3gpuE6ELNS1_3repE0EEENS1_30default_config_static_selectorELNS0_4arch9wavefront6targetE1EEEvT1_ ; -- Begin function _ZN7rocprim17ROCPRIM_400000_NS6detail17trampoline_kernelINS0_14default_configENS1_27scan_by_key_config_selectorIsiEEZZNS1_16scan_by_key_implILNS1_25lookback_scan_determinismE0ELb1ES3_N6thrust23THRUST_200600_302600_NS6detail15normal_iteratorINS9_10device_ptrIsEEEESE_SE_iNS9_4plusIvEENS9_8equal_toIvEEiEE10hipError_tPvRmT2_T3_T4_T5_mT6_T7_P12ihipStream_tbENKUlT_T0_E_clISt17integral_constantIbLb1EESZ_EEDaSU_SV_EUlSU_E_NS1_11comp_targetILNS1_3genE2ELNS1_11target_archE906ELNS1_3gpuE6ELNS1_3repE0EEENS1_30default_config_static_selectorELNS0_4arch9wavefront6targetE1EEEvT1_
	.globl	_ZN7rocprim17ROCPRIM_400000_NS6detail17trampoline_kernelINS0_14default_configENS1_27scan_by_key_config_selectorIsiEEZZNS1_16scan_by_key_implILNS1_25lookback_scan_determinismE0ELb1ES3_N6thrust23THRUST_200600_302600_NS6detail15normal_iteratorINS9_10device_ptrIsEEEESE_SE_iNS9_4plusIvEENS9_8equal_toIvEEiEE10hipError_tPvRmT2_T3_T4_T5_mT6_T7_P12ihipStream_tbENKUlT_T0_E_clISt17integral_constantIbLb1EESZ_EEDaSU_SV_EUlSU_E_NS1_11comp_targetILNS1_3genE2ELNS1_11target_archE906ELNS1_3gpuE6ELNS1_3repE0EEENS1_30default_config_static_selectorELNS0_4arch9wavefront6targetE1EEEvT1_
	.p2align	8
	.type	_ZN7rocprim17ROCPRIM_400000_NS6detail17trampoline_kernelINS0_14default_configENS1_27scan_by_key_config_selectorIsiEEZZNS1_16scan_by_key_implILNS1_25lookback_scan_determinismE0ELb1ES3_N6thrust23THRUST_200600_302600_NS6detail15normal_iteratorINS9_10device_ptrIsEEEESE_SE_iNS9_4plusIvEENS9_8equal_toIvEEiEE10hipError_tPvRmT2_T3_T4_T5_mT6_T7_P12ihipStream_tbENKUlT_T0_E_clISt17integral_constantIbLb1EESZ_EEDaSU_SV_EUlSU_E_NS1_11comp_targetILNS1_3genE2ELNS1_11target_archE906ELNS1_3gpuE6ELNS1_3repE0EEENS1_30default_config_static_selectorELNS0_4arch9wavefront6targetE1EEEvT1_,@function
_ZN7rocprim17ROCPRIM_400000_NS6detail17trampoline_kernelINS0_14default_configENS1_27scan_by_key_config_selectorIsiEEZZNS1_16scan_by_key_implILNS1_25lookback_scan_determinismE0ELb1ES3_N6thrust23THRUST_200600_302600_NS6detail15normal_iteratorINS9_10device_ptrIsEEEESE_SE_iNS9_4plusIvEENS9_8equal_toIvEEiEE10hipError_tPvRmT2_T3_T4_T5_mT6_T7_P12ihipStream_tbENKUlT_T0_E_clISt17integral_constantIbLb1EESZ_EEDaSU_SV_EUlSU_E_NS1_11comp_targetILNS1_3genE2ELNS1_11target_archE906ELNS1_3gpuE6ELNS1_3repE0EEENS1_30default_config_static_selectorELNS0_4arch9wavefront6targetE1EEEvT1_: ; @_ZN7rocprim17ROCPRIM_400000_NS6detail17trampoline_kernelINS0_14default_configENS1_27scan_by_key_config_selectorIsiEEZZNS1_16scan_by_key_implILNS1_25lookback_scan_determinismE0ELb1ES3_N6thrust23THRUST_200600_302600_NS6detail15normal_iteratorINS9_10device_ptrIsEEEESE_SE_iNS9_4plusIvEENS9_8equal_toIvEEiEE10hipError_tPvRmT2_T3_T4_T5_mT6_T7_P12ihipStream_tbENKUlT_T0_E_clISt17integral_constantIbLb1EESZ_EEDaSU_SV_EUlSU_E_NS1_11comp_targetILNS1_3genE2ELNS1_11target_archE906ELNS1_3gpuE6ELNS1_3repE0EEENS1_30default_config_static_selectorELNS0_4arch9wavefront6targetE1EEEvT1_
; %bb.0:
	.section	.rodata,"a",@progbits
	.p2align	6, 0x0
	.amdhsa_kernel _ZN7rocprim17ROCPRIM_400000_NS6detail17trampoline_kernelINS0_14default_configENS1_27scan_by_key_config_selectorIsiEEZZNS1_16scan_by_key_implILNS1_25lookback_scan_determinismE0ELb1ES3_N6thrust23THRUST_200600_302600_NS6detail15normal_iteratorINS9_10device_ptrIsEEEESE_SE_iNS9_4plusIvEENS9_8equal_toIvEEiEE10hipError_tPvRmT2_T3_T4_T5_mT6_T7_P12ihipStream_tbENKUlT_T0_E_clISt17integral_constantIbLb1EESZ_EEDaSU_SV_EUlSU_E_NS1_11comp_targetILNS1_3genE2ELNS1_11target_archE906ELNS1_3gpuE6ELNS1_3repE0EEENS1_30default_config_static_selectorELNS0_4arch9wavefront6targetE1EEEvT1_
		.amdhsa_group_segment_fixed_size 0
		.amdhsa_private_segment_fixed_size 0
		.amdhsa_kernarg_size 112
		.amdhsa_user_sgpr_count 6
		.amdhsa_user_sgpr_private_segment_buffer 1
		.amdhsa_user_sgpr_dispatch_ptr 0
		.amdhsa_user_sgpr_queue_ptr 0
		.amdhsa_user_sgpr_kernarg_segment_ptr 1
		.amdhsa_user_sgpr_dispatch_id 0
		.amdhsa_user_sgpr_flat_scratch_init 0
		.amdhsa_user_sgpr_kernarg_preload_length 0
		.amdhsa_user_sgpr_kernarg_preload_offset 0
		.amdhsa_user_sgpr_private_segment_size 0
		.amdhsa_uses_dynamic_stack 0
		.amdhsa_system_sgpr_private_segment_wavefront_offset 0
		.amdhsa_system_sgpr_workgroup_id_x 1
		.amdhsa_system_sgpr_workgroup_id_y 0
		.amdhsa_system_sgpr_workgroup_id_z 0
		.amdhsa_system_sgpr_workgroup_info 0
		.amdhsa_system_vgpr_workitem_id 0
		.amdhsa_next_free_vgpr 1
		.amdhsa_next_free_sgpr 0
		.amdhsa_accum_offset 4
		.amdhsa_reserve_vcc 0
		.amdhsa_reserve_flat_scratch 0
		.amdhsa_float_round_mode_32 0
		.amdhsa_float_round_mode_16_64 0
		.amdhsa_float_denorm_mode_32 3
		.amdhsa_float_denorm_mode_16_64 3
		.amdhsa_dx10_clamp 1
		.amdhsa_ieee_mode 1
		.amdhsa_fp16_overflow 0
		.amdhsa_tg_split 0
		.amdhsa_exception_fp_ieee_invalid_op 0
		.amdhsa_exception_fp_denorm_src 0
		.amdhsa_exception_fp_ieee_div_zero 0
		.amdhsa_exception_fp_ieee_overflow 0
		.amdhsa_exception_fp_ieee_underflow 0
		.amdhsa_exception_fp_ieee_inexact 0
		.amdhsa_exception_int_div_zero 0
	.end_amdhsa_kernel
	.section	.text._ZN7rocprim17ROCPRIM_400000_NS6detail17trampoline_kernelINS0_14default_configENS1_27scan_by_key_config_selectorIsiEEZZNS1_16scan_by_key_implILNS1_25lookback_scan_determinismE0ELb1ES3_N6thrust23THRUST_200600_302600_NS6detail15normal_iteratorINS9_10device_ptrIsEEEESE_SE_iNS9_4plusIvEENS9_8equal_toIvEEiEE10hipError_tPvRmT2_T3_T4_T5_mT6_T7_P12ihipStream_tbENKUlT_T0_E_clISt17integral_constantIbLb1EESZ_EEDaSU_SV_EUlSU_E_NS1_11comp_targetILNS1_3genE2ELNS1_11target_archE906ELNS1_3gpuE6ELNS1_3repE0EEENS1_30default_config_static_selectorELNS0_4arch9wavefront6targetE1EEEvT1_,"axG",@progbits,_ZN7rocprim17ROCPRIM_400000_NS6detail17trampoline_kernelINS0_14default_configENS1_27scan_by_key_config_selectorIsiEEZZNS1_16scan_by_key_implILNS1_25lookback_scan_determinismE0ELb1ES3_N6thrust23THRUST_200600_302600_NS6detail15normal_iteratorINS9_10device_ptrIsEEEESE_SE_iNS9_4plusIvEENS9_8equal_toIvEEiEE10hipError_tPvRmT2_T3_T4_T5_mT6_T7_P12ihipStream_tbENKUlT_T0_E_clISt17integral_constantIbLb1EESZ_EEDaSU_SV_EUlSU_E_NS1_11comp_targetILNS1_3genE2ELNS1_11target_archE906ELNS1_3gpuE6ELNS1_3repE0EEENS1_30default_config_static_selectorELNS0_4arch9wavefront6targetE1EEEvT1_,comdat
.Lfunc_end1057:
	.size	_ZN7rocprim17ROCPRIM_400000_NS6detail17trampoline_kernelINS0_14default_configENS1_27scan_by_key_config_selectorIsiEEZZNS1_16scan_by_key_implILNS1_25lookback_scan_determinismE0ELb1ES3_N6thrust23THRUST_200600_302600_NS6detail15normal_iteratorINS9_10device_ptrIsEEEESE_SE_iNS9_4plusIvEENS9_8equal_toIvEEiEE10hipError_tPvRmT2_T3_T4_T5_mT6_T7_P12ihipStream_tbENKUlT_T0_E_clISt17integral_constantIbLb1EESZ_EEDaSU_SV_EUlSU_E_NS1_11comp_targetILNS1_3genE2ELNS1_11target_archE906ELNS1_3gpuE6ELNS1_3repE0EEENS1_30default_config_static_selectorELNS0_4arch9wavefront6targetE1EEEvT1_, .Lfunc_end1057-_ZN7rocprim17ROCPRIM_400000_NS6detail17trampoline_kernelINS0_14default_configENS1_27scan_by_key_config_selectorIsiEEZZNS1_16scan_by_key_implILNS1_25lookback_scan_determinismE0ELb1ES3_N6thrust23THRUST_200600_302600_NS6detail15normal_iteratorINS9_10device_ptrIsEEEESE_SE_iNS9_4plusIvEENS9_8equal_toIvEEiEE10hipError_tPvRmT2_T3_T4_T5_mT6_T7_P12ihipStream_tbENKUlT_T0_E_clISt17integral_constantIbLb1EESZ_EEDaSU_SV_EUlSU_E_NS1_11comp_targetILNS1_3genE2ELNS1_11target_archE906ELNS1_3gpuE6ELNS1_3repE0EEENS1_30default_config_static_selectorELNS0_4arch9wavefront6targetE1EEEvT1_
                                        ; -- End function
	.section	.AMDGPU.csdata,"",@progbits
; Kernel info:
; codeLenInByte = 0
; NumSgprs: 4
; NumVgprs: 0
; NumAgprs: 0
; TotalNumVgprs: 0
; ScratchSize: 0
; MemoryBound: 0
; FloatMode: 240
; IeeeMode: 1
; LDSByteSize: 0 bytes/workgroup (compile time only)
; SGPRBlocks: 0
; VGPRBlocks: 0
; NumSGPRsForWavesPerEU: 4
; NumVGPRsForWavesPerEU: 1
; AccumOffset: 4
; Occupancy: 8
; WaveLimiterHint : 0
; COMPUTE_PGM_RSRC2:SCRATCH_EN: 0
; COMPUTE_PGM_RSRC2:USER_SGPR: 6
; COMPUTE_PGM_RSRC2:TRAP_HANDLER: 0
; COMPUTE_PGM_RSRC2:TGID_X_EN: 1
; COMPUTE_PGM_RSRC2:TGID_Y_EN: 0
; COMPUTE_PGM_RSRC2:TGID_Z_EN: 0
; COMPUTE_PGM_RSRC2:TIDIG_COMP_CNT: 0
; COMPUTE_PGM_RSRC3_GFX90A:ACCUM_OFFSET: 0
; COMPUTE_PGM_RSRC3_GFX90A:TG_SPLIT: 0
	.section	.text._ZN7rocprim17ROCPRIM_400000_NS6detail17trampoline_kernelINS0_14default_configENS1_27scan_by_key_config_selectorIsiEEZZNS1_16scan_by_key_implILNS1_25lookback_scan_determinismE0ELb1ES3_N6thrust23THRUST_200600_302600_NS6detail15normal_iteratorINS9_10device_ptrIsEEEESE_SE_iNS9_4plusIvEENS9_8equal_toIvEEiEE10hipError_tPvRmT2_T3_T4_T5_mT6_T7_P12ihipStream_tbENKUlT_T0_E_clISt17integral_constantIbLb1EESZ_EEDaSU_SV_EUlSU_E_NS1_11comp_targetILNS1_3genE10ELNS1_11target_archE1200ELNS1_3gpuE4ELNS1_3repE0EEENS1_30default_config_static_selectorELNS0_4arch9wavefront6targetE1EEEvT1_,"axG",@progbits,_ZN7rocprim17ROCPRIM_400000_NS6detail17trampoline_kernelINS0_14default_configENS1_27scan_by_key_config_selectorIsiEEZZNS1_16scan_by_key_implILNS1_25lookback_scan_determinismE0ELb1ES3_N6thrust23THRUST_200600_302600_NS6detail15normal_iteratorINS9_10device_ptrIsEEEESE_SE_iNS9_4plusIvEENS9_8equal_toIvEEiEE10hipError_tPvRmT2_T3_T4_T5_mT6_T7_P12ihipStream_tbENKUlT_T0_E_clISt17integral_constantIbLb1EESZ_EEDaSU_SV_EUlSU_E_NS1_11comp_targetILNS1_3genE10ELNS1_11target_archE1200ELNS1_3gpuE4ELNS1_3repE0EEENS1_30default_config_static_selectorELNS0_4arch9wavefront6targetE1EEEvT1_,comdat
	.protected	_ZN7rocprim17ROCPRIM_400000_NS6detail17trampoline_kernelINS0_14default_configENS1_27scan_by_key_config_selectorIsiEEZZNS1_16scan_by_key_implILNS1_25lookback_scan_determinismE0ELb1ES3_N6thrust23THRUST_200600_302600_NS6detail15normal_iteratorINS9_10device_ptrIsEEEESE_SE_iNS9_4plusIvEENS9_8equal_toIvEEiEE10hipError_tPvRmT2_T3_T4_T5_mT6_T7_P12ihipStream_tbENKUlT_T0_E_clISt17integral_constantIbLb1EESZ_EEDaSU_SV_EUlSU_E_NS1_11comp_targetILNS1_3genE10ELNS1_11target_archE1200ELNS1_3gpuE4ELNS1_3repE0EEENS1_30default_config_static_selectorELNS0_4arch9wavefront6targetE1EEEvT1_ ; -- Begin function _ZN7rocprim17ROCPRIM_400000_NS6detail17trampoline_kernelINS0_14default_configENS1_27scan_by_key_config_selectorIsiEEZZNS1_16scan_by_key_implILNS1_25lookback_scan_determinismE0ELb1ES3_N6thrust23THRUST_200600_302600_NS6detail15normal_iteratorINS9_10device_ptrIsEEEESE_SE_iNS9_4plusIvEENS9_8equal_toIvEEiEE10hipError_tPvRmT2_T3_T4_T5_mT6_T7_P12ihipStream_tbENKUlT_T0_E_clISt17integral_constantIbLb1EESZ_EEDaSU_SV_EUlSU_E_NS1_11comp_targetILNS1_3genE10ELNS1_11target_archE1200ELNS1_3gpuE4ELNS1_3repE0EEENS1_30default_config_static_selectorELNS0_4arch9wavefront6targetE1EEEvT1_
	.globl	_ZN7rocprim17ROCPRIM_400000_NS6detail17trampoline_kernelINS0_14default_configENS1_27scan_by_key_config_selectorIsiEEZZNS1_16scan_by_key_implILNS1_25lookback_scan_determinismE0ELb1ES3_N6thrust23THRUST_200600_302600_NS6detail15normal_iteratorINS9_10device_ptrIsEEEESE_SE_iNS9_4plusIvEENS9_8equal_toIvEEiEE10hipError_tPvRmT2_T3_T4_T5_mT6_T7_P12ihipStream_tbENKUlT_T0_E_clISt17integral_constantIbLb1EESZ_EEDaSU_SV_EUlSU_E_NS1_11comp_targetILNS1_3genE10ELNS1_11target_archE1200ELNS1_3gpuE4ELNS1_3repE0EEENS1_30default_config_static_selectorELNS0_4arch9wavefront6targetE1EEEvT1_
	.p2align	8
	.type	_ZN7rocprim17ROCPRIM_400000_NS6detail17trampoline_kernelINS0_14default_configENS1_27scan_by_key_config_selectorIsiEEZZNS1_16scan_by_key_implILNS1_25lookback_scan_determinismE0ELb1ES3_N6thrust23THRUST_200600_302600_NS6detail15normal_iteratorINS9_10device_ptrIsEEEESE_SE_iNS9_4plusIvEENS9_8equal_toIvEEiEE10hipError_tPvRmT2_T3_T4_T5_mT6_T7_P12ihipStream_tbENKUlT_T0_E_clISt17integral_constantIbLb1EESZ_EEDaSU_SV_EUlSU_E_NS1_11comp_targetILNS1_3genE10ELNS1_11target_archE1200ELNS1_3gpuE4ELNS1_3repE0EEENS1_30default_config_static_selectorELNS0_4arch9wavefront6targetE1EEEvT1_,@function
_ZN7rocprim17ROCPRIM_400000_NS6detail17trampoline_kernelINS0_14default_configENS1_27scan_by_key_config_selectorIsiEEZZNS1_16scan_by_key_implILNS1_25lookback_scan_determinismE0ELb1ES3_N6thrust23THRUST_200600_302600_NS6detail15normal_iteratorINS9_10device_ptrIsEEEESE_SE_iNS9_4plusIvEENS9_8equal_toIvEEiEE10hipError_tPvRmT2_T3_T4_T5_mT6_T7_P12ihipStream_tbENKUlT_T0_E_clISt17integral_constantIbLb1EESZ_EEDaSU_SV_EUlSU_E_NS1_11comp_targetILNS1_3genE10ELNS1_11target_archE1200ELNS1_3gpuE4ELNS1_3repE0EEENS1_30default_config_static_selectorELNS0_4arch9wavefront6targetE1EEEvT1_: ; @_ZN7rocprim17ROCPRIM_400000_NS6detail17trampoline_kernelINS0_14default_configENS1_27scan_by_key_config_selectorIsiEEZZNS1_16scan_by_key_implILNS1_25lookback_scan_determinismE0ELb1ES3_N6thrust23THRUST_200600_302600_NS6detail15normal_iteratorINS9_10device_ptrIsEEEESE_SE_iNS9_4plusIvEENS9_8equal_toIvEEiEE10hipError_tPvRmT2_T3_T4_T5_mT6_T7_P12ihipStream_tbENKUlT_T0_E_clISt17integral_constantIbLb1EESZ_EEDaSU_SV_EUlSU_E_NS1_11comp_targetILNS1_3genE10ELNS1_11target_archE1200ELNS1_3gpuE4ELNS1_3repE0EEENS1_30default_config_static_selectorELNS0_4arch9wavefront6targetE1EEEvT1_
; %bb.0:
	.section	.rodata,"a",@progbits
	.p2align	6, 0x0
	.amdhsa_kernel _ZN7rocprim17ROCPRIM_400000_NS6detail17trampoline_kernelINS0_14default_configENS1_27scan_by_key_config_selectorIsiEEZZNS1_16scan_by_key_implILNS1_25lookback_scan_determinismE0ELb1ES3_N6thrust23THRUST_200600_302600_NS6detail15normal_iteratorINS9_10device_ptrIsEEEESE_SE_iNS9_4plusIvEENS9_8equal_toIvEEiEE10hipError_tPvRmT2_T3_T4_T5_mT6_T7_P12ihipStream_tbENKUlT_T0_E_clISt17integral_constantIbLb1EESZ_EEDaSU_SV_EUlSU_E_NS1_11comp_targetILNS1_3genE10ELNS1_11target_archE1200ELNS1_3gpuE4ELNS1_3repE0EEENS1_30default_config_static_selectorELNS0_4arch9wavefront6targetE1EEEvT1_
		.amdhsa_group_segment_fixed_size 0
		.amdhsa_private_segment_fixed_size 0
		.amdhsa_kernarg_size 112
		.amdhsa_user_sgpr_count 6
		.amdhsa_user_sgpr_private_segment_buffer 1
		.amdhsa_user_sgpr_dispatch_ptr 0
		.amdhsa_user_sgpr_queue_ptr 0
		.amdhsa_user_sgpr_kernarg_segment_ptr 1
		.amdhsa_user_sgpr_dispatch_id 0
		.amdhsa_user_sgpr_flat_scratch_init 0
		.amdhsa_user_sgpr_kernarg_preload_length 0
		.amdhsa_user_sgpr_kernarg_preload_offset 0
		.amdhsa_user_sgpr_private_segment_size 0
		.amdhsa_uses_dynamic_stack 0
		.amdhsa_system_sgpr_private_segment_wavefront_offset 0
		.amdhsa_system_sgpr_workgroup_id_x 1
		.amdhsa_system_sgpr_workgroup_id_y 0
		.amdhsa_system_sgpr_workgroup_id_z 0
		.amdhsa_system_sgpr_workgroup_info 0
		.amdhsa_system_vgpr_workitem_id 0
		.amdhsa_next_free_vgpr 1
		.amdhsa_next_free_sgpr 0
		.amdhsa_accum_offset 4
		.amdhsa_reserve_vcc 0
		.amdhsa_reserve_flat_scratch 0
		.amdhsa_float_round_mode_32 0
		.amdhsa_float_round_mode_16_64 0
		.amdhsa_float_denorm_mode_32 3
		.amdhsa_float_denorm_mode_16_64 3
		.amdhsa_dx10_clamp 1
		.amdhsa_ieee_mode 1
		.amdhsa_fp16_overflow 0
		.amdhsa_tg_split 0
		.amdhsa_exception_fp_ieee_invalid_op 0
		.amdhsa_exception_fp_denorm_src 0
		.amdhsa_exception_fp_ieee_div_zero 0
		.amdhsa_exception_fp_ieee_overflow 0
		.amdhsa_exception_fp_ieee_underflow 0
		.amdhsa_exception_fp_ieee_inexact 0
		.amdhsa_exception_int_div_zero 0
	.end_amdhsa_kernel
	.section	.text._ZN7rocprim17ROCPRIM_400000_NS6detail17trampoline_kernelINS0_14default_configENS1_27scan_by_key_config_selectorIsiEEZZNS1_16scan_by_key_implILNS1_25lookback_scan_determinismE0ELb1ES3_N6thrust23THRUST_200600_302600_NS6detail15normal_iteratorINS9_10device_ptrIsEEEESE_SE_iNS9_4plusIvEENS9_8equal_toIvEEiEE10hipError_tPvRmT2_T3_T4_T5_mT6_T7_P12ihipStream_tbENKUlT_T0_E_clISt17integral_constantIbLb1EESZ_EEDaSU_SV_EUlSU_E_NS1_11comp_targetILNS1_3genE10ELNS1_11target_archE1200ELNS1_3gpuE4ELNS1_3repE0EEENS1_30default_config_static_selectorELNS0_4arch9wavefront6targetE1EEEvT1_,"axG",@progbits,_ZN7rocprim17ROCPRIM_400000_NS6detail17trampoline_kernelINS0_14default_configENS1_27scan_by_key_config_selectorIsiEEZZNS1_16scan_by_key_implILNS1_25lookback_scan_determinismE0ELb1ES3_N6thrust23THRUST_200600_302600_NS6detail15normal_iteratorINS9_10device_ptrIsEEEESE_SE_iNS9_4plusIvEENS9_8equal_toIvEEiEE10hipError_tPvRmT2_T3_T4_T5_mT6_T7_P12ihipStream_tbENKUlT_T0_E_clISt17integral_constantIbLb1EESZ_EEDaSU_SV_EUlSU_E_NS1_11comp_targetILNS1_3genE10ELNS1_11target_archE1200ELNS1_3gpuE4ELNS1_3repE0EEENS1_30default_config_static_selectorELNS0_4arch9wavefront6targetE1EEEvT1_,comdat
.Lfunc_end1058:
	.size	_ZN7rocprim17ROCPRIM_400000_NS6detail17trampoline_kernelINS0_14default_configENS1_27scan_by_key_config_selectorIsiEEZZNS1_16scan_by_key_implILNS1_25lookback_scan_determinismE0ELb1ES3_N6thrust23THRUST_200600_302600_NS6detail15normal_iteratorINS9_10device_ptrIsEEEESE_SE_iNS9_4plusIvEENS9_8equal_toIvEEiEE10hipError_tPvRmT2_T3_T4_T5_mT6_T7_P12ihipStream_tbENKUlT_T0_E_clISt17integral_constantIbLb1EESZ_EEDaSU_SV_EUlSU_E_NS1_11comp_targetILNS1_3genE10ELNS1_11target_archE1200ELNS1_3gpuE4ELNS1_3repE0EEENS1_30default_config_static_selectorELNS0_4arch9wavefront6targetE1EEEvT1_, .Lfunc_end1058-_ZN7rocprim17ROCPRIM_400000_NS6detail17trampoline_kernelINS0_14default_configENS1_27scan_by_key_config_selectorIsiEEZZNS1_16scan_by_key_implILNS1_25lookback_scan_determinismE0ELb1ES3_N6thrust23THRUST_200600_302600_NS6detail15normal_iteratorINS9_10device_ptrIsEEEESE_SE_iNS9_4plusIvEENS9_8equal_toIvEEiEE10hipError_tPvRmT2_T3_T4_T5_mT6_T7_P12ihipStream_tbENKUlT_T0_E_clISt17integral_constantIbLb1EESZ_EEDaSU_SV_EUlSU_E_NS1_11comp_targetILNS1_3genE10ELNS1_11target_archE1200ELNS1_3gpuE4ELNS1_3repE0EEENS1_30default_config_static_selectorELNS0_4arch9wavefront6targetE1EEEvT1_
                                        ; -- End function
	.section	.AMDGPU.csdata,"",@progbits
; Kernel info:
; codeLenInByte = 0
; NumSgprs: 4
; NumVgprs: 0
; NumAgprs: 0
; TotalNumVgprs: 0
; ScratchSize: 0
; MemoryBound: 0
; FloatMode: 240
; IeeeMode: 1
; LDSByteSize: 0 bytes/workgroup (compile time only)
; SGPRBlocks: 0
; VGPRBlocks: 0
; NumSGPRsForWavesPerEU: 4
; NumVGPRsForWavesPerEU: 1
; AccumOffset: 4
; Occupancy: 8
; WaveLimiterHint : 0
; COMPUTE_PGM_RSRC2:SCRATCH_EN: 0
; COMPUTE_PGM_RSRC2:USER_SGPR: 6
; COMPUTE_PGM_RSRC2:TRAP_HANDLER: 0
; COMPUTE_PGM_RSRC2:TGID_X_EN: 1
; COMPUTE_PGM_RSRC2:TGID_Y_EN: 0
; COMPUTE_PGM_RSRC2:TGID_Z_EN: 0
; COMPUTE_PGM_RSRC2:TIDIG_COMP_CNT: 0
; COMPUTE_PGM_RSRC3_GFX90A:ACCUM_OFFSET: 0
; COMPUTE_PGM_RSRC3_GFX90A:TG_SPLIT: 0
	.section	.text._ZN7rocprim17ROCPRIM_400000_NS6detail17trampoline_kernelINS0_14default_configENS1_27scan_by_key_config_selectorIsiEEZZNS1_16scan_by_key_implILNS1_25lookback_scan_determinismE0ELb1ES3_N6thrust23THRUST_200600_302600_NS6detail15normal_iteratorINS9_10device_ptrIsEEEESE_SE_iNS9_4plusIvEENS9_8equal_toIvEEiEE10hipError_tPvRmT2_T3_T4_T5_mT6_T7_P12ihipStream_tbENKUlT_T0_E_clISt17integral_constantIbLb1EESZ_EEDaSU_SV_EUlSU_E_NS1_11comp_targetILNS1_3genE9ELNS1_11target_archE1100ELNS1_3gpuE3ELNS1_3repE0EEENS1_30default_config_static_selectorELNS0_4arch9wavefront6targetE1EEEvT1_,"axG",@progbits,_ZN7rocprim17ROCPRIM_400000_NS6detail17trampoline_kernelINS0_14default_configENS1_27scan_by_key_config_selectorIsiEEZZNS1_16scan_by_key_implILNS1_25lookback_scan_determinismE0ELb1ES3_N6thrust23THRUST_200600_302600_NS6detail15normal_iteratorINS9_10device_ptrIsEEEESE_SE_iNS9_4plusIvEENS9_8equal_toIvEEiEE10hipError_tPvRmT2_T3_T4_T5_mT6_T7_P12ihipStream_tbENKUlT_T0_E_clISt17integral_constantIbLb1EESZ_EEDaSU_SV_EUlSU_E_NS1_11comp_targetILNS1_3genE9ELNS1_11target_archE1100ELNS1_3gpuE3ELNS1_3repE0EEENS1_30default_config_static_selectorELNS0_4arch9wavefront6targetE1EEEvT1_,comdat
	.protected	_ZN7rocprim17ROCPRIM_400000_NS6detail17trampoline_kernelINS0_14default_configENS1_27scan_by_key_config_selectorIsiEEZZNS1_16scan_by_key_implILNS1_25lookback_scan_determinismE0ELb1ES3_N6thrust23THRUST_200600_302600_NS6detail15normal_iteratorINS9_10device_ptrIsEEEESE_SE_iNS9_4plusIvEENS9_8equal_toIvEEiEE10hipError_tPvRmT2_T3_T4_T5_mT6_T7_P12ihipStream_tbENKUlT_T0_E_clISt17integral_constantIbLb1EESZ_EEDaSU_SV_EUlSU_E_NS1_11comp_targetILNS1_3genE9ELNS1_11target_archE1100ELNS1_3gpuE3ELNS1_3repE0EEENS1_30default_config_static_selectorELNS0_4arch9wavefront6targetE1EEEvT1_ ; -- Begin function _ZN7rocprim17ROCPRIM_400000_NS6detail17trampoline_kernelINS0_14default_configENS1_27scan_by_key_config_selectorIsiEEZZNS1_16scan_by_key_implILNS1_25lookback_scan_determinismE0ELb1ES3_N6thrust23THRUST_200600_302600_NS6detail15normal_iteratorINS9_10device_ptrIsEEEESE_SE_iNS9_4plusIvEENS9_8equal_toIvEEiEE10hipError_tPvRmT2_T3_T4_T5_mT6_T7_P12ihipStream_tbENKUlT_T0_E_clISt17integral_constantIbLb1EESZ_EEDaSU_SV_EUlSU_E_NS1_11comp_targetILNS1_3genE9ELNS1_11target_archE1100ELNS1_3gpuE3ELNS1_3repE0EEENS1_30default_config_static_selectorELNS0_4arch9wavefront6targetE1EEEvT1_
	.globl	_ZN7rocprim17ROCPRIM_400000_NS6detail17trampoline_kernelINS0_14default_configENS1_27scan_by_key_config_selectorIsiEEZZNS1_16scan_by_key_implILNS1_25lookback_scan_determinismE0ELb1ES3_N6thrust23THRUST_200600_302600_NS6detail15normal_iteratorINS9_10device_ptrIsEEEESE_SE_iNS9_4plusIvEENS9_8equal_toIvEEiEE10hipError_tPvRmT2_T3_T4_T5_mT6_T7_P12ihipStream_tbENKUlT_T0_E_clISt17integral_constantIbLb1EESZ_EEDaSU_SV_EUlSU_E_NS1_11comp_targetILNS1_3genE9ELNS1_11target_archE1100ELNS1_3gpuE3ELNS1_3repE0EEENS1_30default_config_static_selectorELNS0_4arch9wavefront6targetE1EEEvT1_
	.p2align	8
	.type	_ZN7rocprim17ROCPRIM_400000_NS6detail17trampoline_kernelINS0_14default_configENS1_27scan_by_key_config_selectorIsiEEZZNS1_16scan_by_key_implILNS1_25lookback_scan_determinismE0ELb1ES3_N6thrust23THRUST_200600_302600_NS6detail15normal_iteratorINS9_10device_ptrIsEEEESE_SE_iNS9_4plusIvEENS9_8equal_toIvEEiEE10hipError_tPvRmT2_T3_T4_T5_mT6_T7_P12ihipStream_tbENKUlT_T0_E_clISt17integral_constantIbLb1EESZ_EEDaSU_SV_EUlSU_E_NS1_11comp_targetILNS1_3genE9ELNS1_11target_archE1100ELNS1_3gpuE3ELNS1_3repE0EEENS1_30default_config_static_selectorELNS0_4arch9wavefront6targetE1EEEvT1_,@function
_ZN7rocprim17ROCPRIM_400000_NS6detail17trampoline_kernelINS0_14default_configENS1_27scan_by_key_config_selectorIsiEEZZNS1_16scan_by_key_implILNS1_25lookback_scan_determinismE0ELb1ES3_N6thrust23THRUST_200600_302600_NS6detail15normal_iteratorINS9_10device_ptrIsEEEESE_SE_iNS9_4plusIvEENS9_8equal_toIvEEiEE10hipError_tPvRmT2_T3_T4_T5_mT6_T7_P12ihipStream_tbENKUlT_T0_E_clISt17integral_constantIbLb1EESZ_EEDaSU_SV_EUlSU_E_NS1_11comp_targetILNS1_3genE9ELNS1_11target_archE1100ELNS1_3gpuE3ELNS1_3repE0EEENS1_30default_config_static_selectorELNS0_4arch9wavefront6targetE1EEEvT1_: ; @_ZN7rocprim17ROCPRIM_400000_NS6detail17trampoline_kernelINS0_14default_configENS1_27scan_by_key_config_selectorIsiEEZZNS1_16scan_by_key_implILNS1_25lookback_scan_determinismE0ELb1ES3_N6thrust23THRUST_200600_302600_NS6detail15normal_iteratorINS9_10device_ptrIsEEEESE_SE_iNS9_4plusIvEENS9_8equal_toIvEEiEE10hipError_tPvRmT2_T3_T4_T5_mT6_T7_P12ihipStream_tbENKUlT_T0_E_clISt17integral_constantIbLb1EESZ_EEDaSU_SV_EUlSU_E_NS1_11comp_targetILNS1_3genE9ELNS1_11target_archE1100ELNS1_3gpuE3ELNS1_3repE0EEENS1_30default_config_static_selectorELNS0_4arch9wavefront6targetE1EEEvT1_
; %bb.0:
	.section	.rodata,"a",@progbits
	.p2align	6, 0x0
	.amdhsa_kernel _ZN7rocprim17ROCPRIM_400000_NS6detail17trampoline_kernelINS0_14default_configENS1_27scan_by_key_config_selectorIsiEEZZNS1_16scan_by_key_implILNS1_25lookback_scan_determinismE0ELb1ES3_N6thrust23THRUST_200600_302600_NS6detail15normal_iteratorINS9_10device_ptrIsEEEESE_SE_iNS9_4plusIvEENS9_8equal_toIvEEiEE10hipError_tPvRmT2_T3_T4_T5_mT6_T7_P12ihipStream_tbENKUlT_T0_E_clISt17integral_constantIbLb1EESZ_EEDaSU_SV_EUlSU_E_NS1_11comp_targetILNS1_3genE9ELNS1_11target_archE1100ELNS1_3gpuE3ELNS1_3repE0EEENS1_30default_config_static_selectorELNS0_4arch9wavefront6targetE1EEEvT1_
		.amdhsa_group_segment_fixed_size 0
		.amdhsa_private_segment_fixed_size 0
		.amdhsa_kernarg_size 112
		.amdhsa_user_sgpr_count 6
		.amdhsa_user_sgpr_private_segment_buffer 1
		.amdhsa_user_sgpr_dispatch_ptr 0
		.amdhsa_user_sgpr_queue_ptr 0
		.amdhsa_user_sgpr_kernarg_segment_ptr 1
		.amdhsa_user_sgpr_dispatch_id 0
		.amdhsa_user_sgpr_flat_scratch_init 0
		.amdhsa_user_sgpr_kernarg_preload_length 0
		.amdhsa_user_sgpr_kernarg_preload_offset 0
		.amdhsa_user_sgpr_private_segment_size 0
		.amdhsa_uses_dynamic_stack 0
		.amdhsa_system_sgpr_private_segment_wavefront_offset 0
		.amdhsa_system_sgpr_workgroup_id_x 1
		.amdhsa_system_sgpr_workgroup_id_y 0
		.amdhsa_system_sgpr_workgroup_id_z 0
		.amdhsa_system_sgpr_workgroup_info 0
		.amdhsa_system_vgpr_workitem_id 0
		.amdhsa_next_free_vgpr 1
		.amdhsa_next_free_sgpr 0
		.amdhsa_accum_offset 4
		.amdhsa_reserve_vcc 0
		.amdhsa_reserve_flat_scratch 0
		.amdhsa_float_round_mode_32 0
		.amdhsa_float_round_mode_16_64 0
		.amdhsa_float_denorm_mode_32 3
		.amdhsa_float_denorm_mode_16_64 3
		.amdhsa_dx10_clamp 1
		.amdhsa_ieee_mode 1
		.amdhsa_fp16_overflow 0
		.amdhsa_tg_split 0
		.amdhsa_exception_fp_ieee_invalid_op 0
		.amdhsa_exception_fp_denorm_src 0
		.amdhsa_exception_fp_ieee_div_zero 0
		.amdhsa_exception_fp_ieee_overflow 0
		.amdhsa_exception_fp_ieee_underflow 0
		.amdhsa_exception_fp_ieee_inexact 0
		.amdhsa_exception_int_div_zero 0
	.end_amdhsa_kernel
	.section	.text._ZN7rocprim17ROCPRIM_400000_NS6detail17trampoline_kernelINS0_14default_configENS1_27scan_by_key_config_selectorIsiEEZZNS1_16scan_by_key_implILNS1_25lookback_scan_determinismE0ELb1ES3_N6thrust23THRUST_200600_302600_NS6detail15normal_iteratorINS9_10device_ptrIsEEEESE_SE_iNS9_4plusIvEENS9_8equal_toIvEEiEE10hipError_tPvRmT2_T3_T4_T5_mT6_T7_P12ihipStream_tbENKUlT_T0_E_clISt17integral_constantIbLb1EESZ_EEDaSU_SV_EUlSU_E_NS1_11comp_targetILNS1_3genE9ELNS1_11target_archE1100ELNS1_3gpuE3ELNS1_3repE0EEENS1_30default_config_static_selectorELNS0_4arch9wavefront6targetE1EEEvT1_,"axG",@progbits,_ZN7rocprim17ROCPRIM_400000_NS6detail17trampoline_kernelINS0_14default_configENS1_27scan_by_key_config_selectorIsiEEZZNS1_16scan_by_key_implILNS1_25lookback_scan_determinismE0ELb1ES3_N6thrust23THRUST_200600_302600_NS6detail15normal_iteratorINS9_10device_ptrIsEEEESE_SE_iNS9_4plusIvEENS9_8equal_toIvEEiEE10hipError_tPvRmT2_T3_T4_T5_mT6_T7_P12ihipStream_tbENKUlT_T0_E_clISt17integral_constantIbLb1EESZ_EEDaSU_SV_EUlSU_E_NS1_11comp_targetILNS1_3genE9ELNS1_11target_archE1100ELNS1_3gpuE3ELNS1_3repE0EEENS1_30default_config_static_selectorELNS0_4arch9wavefront6targetE1EEEvT1_,comdat
.Lfunc_end1059:
	.size	_ZN7rocprim17ROCPRIM_400000_NS6detail17trampoline_kernelINS0_14default_configENS1_27scan_by_key_config_selectorIsiEEZZNS1_16scan_by_key_implILNS1_25lookback_scan_determinismE0ELb1ES3_N6thrust23THRUST_200600_302600_NS6detail15normal_iteratorINS9_10device_ptrIsEEEESE_SE_iNS9_4plusIvEENS9_8equal_toIvEEiEE10hipError_tPvRmT2_T3_T4_T5_mT6_T7_P12ihipStream_tbENKUlT_T0_E_clISt17integral_constantIbLb1EESZ_EEDaSU_SV_EUlSU_E_NS1_11comp_targetILNS1_3genE9ELNS1_11target_archE1100ELNS1_3gpuE3ELNS1_3repE0EEENS1_30default_config_static_selectorELNS0_4arch9wavefront6targetE1EEEvT1_, .Lfunc_end1059-_ZN7rocprim17ROCPRIM_400000_NS6detail17trampoline_kernelINS0_14default_configENS1_27scan_by_key_config_selectorIsiEEZZNS1_16scan_by_key_implILNS1_25lookback_scan_determinismE0ELb1ES3_N6thrust23THRUST_200600_302600_NS6detail15normal_iteratorINS9_10device_ptrIsEEEESE_SE_iNS9_4plusIvEENS9_8equal_toIvEEiEE10hipError_tPvRmT2_T3_T4_T5_mT6_T7_P12ihipStream_tbENKUlT_T0_E_clISt17integral_constantIbLb1EESZ_EEDaSU_SV_EUlSU_E_NS1_11comp_targetILNS1_3genE9ELNS1_11target_archE1100ELNS1_3gpuE3ELNS1_3repE0EEENS1_30default_config_static_selectorELNS0_4arch9wavefront6targetE1EEEvT1_
                                        ; -- End function
	.section	.AMDGPU.csdata,"",@progbits
; Kernel info:
; codeLenInByte = 0
; NumSgprs: 4
; NumVgprs: 0
; NumAgprs: 0
; TotalNumVgprs: 0
; ScratchSize: 0
; MemoryBound: 0
; FloatMode: 240
; IeeeMode: 1
; LDSByteSize: 0 bytes/workgroup (compile time only)
; SGPRBlocks: 0
; VGPRBlocks: 0
; NumSGPRsForWavesPerEU: 4
; NumVGPRsForWavesPerEU: 1
; AccumOffset: 4
; Occupancy: 8
; WaveLimiterHint : 0
; COMPUTE_PGM_RSRC2:SCRATCH_EN: 0
; COMPUTE_PGM_RSRC2:USER_SGPR: 6
; COMPUTE_PGM_RSRC2:TRAP_HANDLER: 0
; COMPUTE_PGM_RSRC2:TGID_X_EN: 1
; COMPUTE_PGM_RSRC2:TGID_Y_EN: 0
; COMPUTE_PGM_RSRC2:TGID_Z_EN: 0
; COMPUTE_PGM_RSRC2:TIDIG_COMP_CNT: 0
; COMPUTE_PGM_RSRC3_GFX90A:ACCUM_OFFSET: 0
; COMPUTE_PGM_RSRC3_GFX90A:TG_SPLIT: 0
	.section	.text._ZN7rocprim17ROCPRIM_400000_NS6detail17trampoline_kernelINS0_14default_configENS1_27scan_by_key_config_selectorIsiEEZZNS1_16scan_by_key_implILNS1_25lookback_scan_determinismE0ELb1ES3_N6thrust23THRUST_200600_302600_NS6detail15normal_iteratorINS9_10device_ptrIsEEEESE_SE_iNS9_4plusIvEENS9_8equal_toIvEEiEE10hipError_tPvRmT2_T3_T4_T5_mT6_T7_P12ihipStream_tbENKUlT_T0_E_clISt17integral_constantIbLb1EESZ_EEDaSU_SV_EUlSU_E_NS1_11comp_targetILNS1_3genE8ELNS1_11target_archE1030ELNS1_3gpuE2ELNS1_3repE0EEENS1_30default_config_static_selectorELNS0_4arch9wavefront6targetE1EEEvT1_,"axG",@progbits,_ZN7rocprim17ROCPRIM_400000_NS6detail17trampoline_kernelINS0_14default_configENS1_27scan_by_key_config_selectorIsiEEZZNS1_16scan_by_key_implILNS1_25lookback_scan_determinismE0ELb1ES3_N6thrust23THRUST_200600_302600_NS6detail15normal_iteratorINS9_10device_ptrIsEEEESE_SE_iNS9_4plusIvEENS9_8equal_toIvEEiEE10hipError_tPvRmT2_T3_T4_T5_mT6_T7_P12ihipStream_tbENKUlT_T0_E_clISt17integral_constantIbLb1EESZ_EEDaSU_SV_EUlSU_E_NS1_11comp_targetILNS1_3genE8ELNS1_11target_archE1030ELNS1_3gpuE2ELNS1_3repE0EEENS1_30default_config_static_selectorELNS0_4arch9wavefront6targetE1EEEvT1_,comdat
	.protected	_ZN7rocprim17ROCPRIM_400000_NS6detail17trampoline_kernelINS0_14default_configENS1_27scan_by_key_config_selectorIsiEEZZNS1_16scan_by_key_implILNS1_25lookback_scan_determinismE0ELb1ES3_N6thrust23THRUST_200600_302600_NS6detail15normal_iteratorINS9_10device_ptrIsEEEESE_SE_iNS9_4plusIvEENS9_8equal_toIvEEiEE10hipError_tPvRmT2_T3_T4_T5_mT6_T7_P12ihipStream_tbENKUlT_T0_E_clISt17integral_constantIbLb1EESZ_EEDaSU_SV_EUlSU_E_NS1_11comp_targetILNS1_3genE8ELNS1_11target_archE1030ELNS1_3gpuE2ELNS1_3repE0EEENS1_30default_config_static_selectorELNS0_4arch9wavefront6targetE1EEEvT1_ ; -- Begin function _ZN7rocprim17ROCPRIM_400000_NS6detail17trampoline_kernelINS0_14default_configENS1_27scan_by_key_config_selectorIsiEEZZNS1_16scan_by_key_implILNS1_25lookback_scan_determinismE0ELb1ES3_N6thrust23THRUST_200600_302600_NS6detail15normal_iteratorINS9_10device_ptrIsEEEESE_SE_iNS9_4plusIvEENS9_8equal_toIvEEiEE10hipError_tPvRmT2_T3_T4_T5_mT6_T7_P12ihipStream_tbENKUlT_T0_E_clISt17integral_constantIbLb1EESZ_EEDaSU_SV_EUlSU_E_NS1_11comp_targetILNS1_3genE8ELNS1_11target_archE1030ELNS1_3gpuE2ELNS1_3repE0EEENS1_30default_config_static_selectorELNS0_4arch9wavefront6targetE1EEEvT1_
	.globl	_ZN7rocprim17ROCPRIM_400000_NS6detail17trampoline_kernelINS0_14default_configENS1_27scan_by_key_config_selectorIsiEEZZNS1_16scan_by_key_implILNS1_25lookback_scan_determinismE0ELb1ES3_N6thrust23THRUST_200600_302600_NS6detail15normal_iteratorINS9_10device_ptrIsEEEESE_SE_iNS9_4plusIvEENS9_8equal_toIvEEiEE10hipError_tPvRmT2_T3_T4_T5_mT6_T7_P12ihipStream_tbENKUlT_T0_E_clISt17integral_constantIbLb1EESZ_EEDaSU_SV_EUlSU_E_NS1_11comp_targetILNS1_3genE8ELNS1_11target_archE1030ELNS1_3gpuE2ELNS1_3repE0EEENS1_30default_config_static_selectorELNS0_4arch9wavefront6targetE1EEEvT1_
	.p2align	8
	.type	_ZN7rocprim17ROCPRIM_400000_NS6detail17trampoline_kernelINS0_14default_configENS1_27scan_by_key_config_selectorIsiEEZZNS1_16scan_by_key_implILNS1_25lookback_scan_determinismE0ELb1ES3_N6thrust23THRUST_200600_302600_NS6detail15normal_iteratorINS9_10device_ptrIsEEEESE_SE_iNS9_4plusIvEENS9_8equal_toIvEEiEE10hipError_tPvRmT2_T3_T4_T5_mT6_T7_P12ihipStream_tbENKUlT_T0_E_clISt17integral_constantIbLb1EESZ_EEDaSU_SV_EUlSU_E_NS1_11comp_targetILNS1_3genE8ELNS1_11target_archE1030ELNS1_3gpuE2ELNS1_3repE0EEENS1_30default_config_static_selectorELNS0_4arch9wavefront6targetE1EEEvT1_,@function
_ZN7rocprim17ROCPRIM_400000_NS6detail17trampoline_kernelINS0_14default_configENS1_27scan_by_key_config_selectorIsiEEZZNS1_16scan_by_key_implILNS1_25lookback_scan_determinismE0ELb1ES3_N6thrust23THRUST_200600_302600_NS6detail15normal_iteratorINS9_10device_ptrIsEEEESE_SE_iNS9_4plusIvEENS9_8equal_toIvEEiEE10hipError_tPvRmT2_T3_T4_T5_mT6_T7_P12ihipStream_tbENKUlT_T0_E_clISt17integral_constantIbLb1EESZ_EEDaSU_SV_EUlSU_E_NS1_11comp_targetILNS1_3genE8ELNS1_11target_archE1030ELNS1_3gpuE2ELNS1_3repE0EEENS1_30default_config_static_selectorELNS0_4arch9wavefront6targetE1EEEvT1_: ; @_ZN7rocprim17ROCPRIM_400000_NS6detail17trampoline_kernelINS0_14default_configENS1_27scan_by_key_config_selectorIsiEEZZNS1_16scan_by_key_implILNS1_25lookback_scan_determinismE0ELb1ES3_N6thrust23THRUST_200600_302600_NS6detail15normal_iteratorINS9_10device_ptrIsEEEESE_SE_iNS9_4plusIvEENS9_8equal_toIvEEiEE10hipError_tPvRmT2_T3_T4_T5_mT6_T7_P12ihipStream_tbENKUlT_T0_E_clISt17integral_constantIbLb1EESZ_EEDaSU_SV_EUlSU_E_NS1_11comp_targetILNS1_3genE8ELNS1_11target_archE1030ELNS1_3gpuE2ELNS1_3repE0EEENS1_30default_config_static_selectorELNS0_4arch9wavefront6targetE1EEEvT1_
; %bb.0:
	.section	.rodata,"a",@progbits
	.p2align	6, 0x0
	.amdhsa_kernel _ZN7rocprim17ROCPRIM_400000_NS6detail17trampoline_kernelINS0_14default_configENS1_27scan_by_key_config_selectorIsiEEZZNS1_16scan_by_key_implILNS1_25lookback_scan_determinismE0ELb1ES3_N6thrust23THRUST_200600_302600_NS6detail15normal_iteratorINS9_10device_ptrIsEEEESE_SE_iNS9_4plusIvEENS9_8equal_toIvEEiEE10hipError_tPvRmT2_T3_T4_T5_mT6_T7_P12ihipStream_tbENKUlT_T0_E_clISt17integral_constantIbLb1EESZ_EEDaSU_SV_EUlSU_E_NS1_11comp_targetILNS1_3genE8ELNS1_11target_archE1030ELNS1_3gpuE2ELNS1_3repE0EEENS1_30default_config_static_selectorELNS0_4arch9wavefront6targetE1EEEvT1_
		.amdhsa_group_segment_fixed_size 0
		.amdhsa_private_segment_fixed_size 0
		.amdhsa_kernarg_size 112
		.amdhsa_user_sgpr_count 6
		.amdhsa_user_sgpr_private_segment_buffer 1
		.amdhsa_user_sgpr_dispatch_ptr 0
		.amdhsa_user_sgpr_queue_ptr 0
		.amdhsa_user_sgpr_kernarg_segment_ptr 1
		.amdhsa_user_sgpr_dispatch_id 0
		.amdhsa_user_sgpr_flat_scratch_init 0
		.amdhsa_user_sgpr_kernarg_preload_length 0
		.amdhsa_user_sgpr_kernarg_preload_offset 0
		.amdhsa_user_sgpr_private_segment_size 0
		.amdhsa_uses_dynamic_stack 0
		.amdhsa_system_sgpr_private_segment_wavefront_offset 0
		.amdhsa_system_sgpr_workgroup_id_x 1
		.amdhsa_system_sgpr_workgroup_id_y 0
		.amdhsa_system_sgpr_workgroup_id_z 0
		.amdhsa_system_sgpr_workgroup_info 0
		.amdhsa_system_vgpr_workitem_id 0
		.amdhsa_next_free_vgpr 1
		.amdhsa_next_free_sgpr 0
		.amdhsa_accum_offset 4
		.amdhsa_reserve_vcc 0
		.amdhsa_reserve_flat_scratch 0
		.amdhsa_float_round_mode_32 0
		.amdhsa_float_round_mode_16_64 0
		.amdhsa_float_denorm_mode_32 3
		.amdhsa_float_denorm_mode_16_64 3
		.amdhsa_dx10_clamp 1
		.amdhsa_ieee_mode 1
		.amdhsa_fp16_overflow 0
		.amdhsa_tg_split 0
		.amdhsa_exception_fp_ieee_invalid_op 0
		.amdhsa_exception_fp_denorm_src 0
		.amdhsa_exception_fp_ieee_div_zero 0
		.amdhsa_exception_fp_ieee_overflow 0
		.amdhsa_exception_fp_ieee_underflow 0
		.amdhsa_exception_fp_ieee_inexact 0
		.amdhsa_exception_int_div_zero 0
	.end_amdhsa_kernel
	.section	.text._ZN7rocprim17ROCPRIM_400000_NS6detail17trampoline_kernelINS0_14default_configENS1_27scan_by_key_config_selectorIsiEEZZNS1_16scan_by_key_implILNS1_25lookback_scan_determinismE0ELb1ES3_N6thrust23THRUST_200600_302600_NS6detail15normal_iteratorINS9_10device_ptrIsEEEESE_SE_iNS9_4plusIvEENS9_8equal_toIvEEiEE10hipError_tPvRmT2_T3_T4_T5_mT6_T7_P12ihipStream_tbENKUlT_T0_E_clISt17integral_constantIbLb1EESZ_EEDaSU_SV_EUlSU_E_NS1_11comp_targetILNS1_3genE8ELNS1_11target_archE1030ELNS1_3gpuE2ELNS1_3repE0EEENS1_30default_config_static_selectorELNS0_4arch9wavefront6targetE1EEEvT1_,"axG",@progbits,_ZN7rocprim17ROCPRIM_400000_NS6detail17trampoline_kernelINS0_14default_configENS1_27scan_by_key_config_selectorIsiEEZZNS1_16scan_by_key_implILNS1_25lookback_scan_determinismE0ELb1ES3_N6thrust23THRUST_200600_302600_NS6detail15normal_iteratorINS9_10device_ptrIsEEEESE_SE_iNS9_4plusIvEENS9_8equal_toIvEEiEE10hipError_tPvRmT2_T3_T4_T5_mT6_T7_P12ihipStream_tbENKUlT_T0_E_clISt17integral_constantIbLb1EESZ_EEDaSU_SV_EUlSU_E_NS1_11comp_targetILNS1_3genE8ELNS1_11target_archE1030ELNS1_3gpuE2ELNS1_3repE0EEENS1_30default_config_static_selectorELNS0_4arch9wavefront6targetE1EEEvT1_,comdat
.Lfunc_end1060:
	.size	_ZN7rocprim17ROCPRIM_400000_NS6detail17trampoline_kernelINS0_14default_configENS1_27scan_by_key_config_selectorIsiEEZZNS1_16scan_by_key_implILNS1_25lookback_scan_determinismE0ELb1ES3_N6thrust23THRUST_200600_302600_NS6detail15normal_iteratorINS9_10device_ptrIsEEEESE_SE_iNS9_4plusIvEENS9_8equal_toIvEEiEE10hipError_tPvRmT2_T3_T4_T5_mT6_T7_P12ihipStream_tbENKUlT_T0_E_clISt17integral_constantIbLb1EESZ_EEDaSU_SV_EUlSU_E_NS1_11comp_targetILNS1_3genE8ELNS1_11target_archE1030ELNS1_3gpuE2ELNS1_3repE0EEENS1_30default_config_static_selectorELNS0_4arch9wavefront6targetE1EEEvT1_, .Lfunc_end1060-_ZN7rocprim17ROCPRIM_400000_NS6detail17trampoline_kernelINS0_14default_configENS1_27scan_by_key_config_selectorIsiEEZZNS1_16scan_by_key_implILNS1_25lookback_scan_determinismE0ELb1ES3_N6thrust23THRUST_200600_302600_NS6detail15normal_iteratorINS9_10device_ptrIsEEEESE_SE_iNS9_4plusIvEENS9_8equal_toIvEEiEE10hipError_tPvRmT2_T3_T4_T5_mT6_T7_P12ihipStream_tbENKUlT_T0_E_clISt17integral_constantIbLb1EESZ_EEDaSU_SV_EUlSU_E_NS1_11comp_targetILNS1_3genE8ELNS1_11target_archE1030ELNS1_3gpuE2ELNS1_3repE0EEENS1_30default_config_static_selectorELNS0_4arch9wavefront6targetE1EEEvT1_
                                        ; -- End function
	.section	.AMDGPU.csdata,"",@progbits
; Kernel info:
; codeLenInByte = 0
; NumSgprs: 4
; NumVgprs: 0
; NumAgprs: 0
; TotalNumVgprs: 0
; ScratchSize: 0
; MemoryBound: 0
; FloatMode: 240
; IeeeMode: 1
; LDSByteSize: 0 bytes/workgroup (compile time only)
; SGPRBlocks: 0
; VGPRBlocks: 0
; NumSGPRsForWavesPerEU: 4
; NumVGPRsForWavesPerEU: 1
; AccumOffset: 4
; Occupancy: 8
; WaveLimiterHint : 0
; COMPUTE_PGM_RSRC2:SCRATCH_EN: 0
; COMPUTE_PGM_RSRC2:USER_SGPR: 6
; COMPUTE_PGM_RSRC2:TRAP_HANDLER: 0
; COMPUTE_PGM_RSRC2:TGID_X_EN: 1
; COMPUTE_PGM_RSRC2:TGID_Y_EN: 0
; COMPUTE_PGM_RSRC2:TGID_Z_EN: 0
; COMPUTE_PGM_RSRC2:TIDIG_COMP_CNT: 0
; COMPUTE_PGM_RSRC3_GFX90A:ACCUM_OFFSET: 0
; COMPUTE_PGM_RSRC3_GFX90A:TG_SPLIT: 0
	.section	.text._ZN7rocprim17ROCPRIM_400000_NS6detail30init_device_scan_by_key_kernelINS1_19lookback_scan_stateINS0_5tupleIJibEEELb1ELb1EEEN6thrust23THRUST_200600_302600_NS6detail15normal_iteratorINS8_10device_ptrIsEEEEjNS1_16block_id_wrapperIjLb0EEEEEvT_jjPNSG_10value_typeET0_PNSt15iterator_traitsISJ_E10value_typeEmT1_T2_,"axG",@progbits,_ZN7rocprim17ROCPRIM_400000_NS6detail30init_device_scan_by_key_kernelINS1_19lookback_scan_stateINS0_5tupleIJibEEELb1ELb1EEEN6thrust23THRUST_200600_302600_NS6detail15normal_iteratorINS8_10device_ptrIsEEEEjNS1_16block_id_wrapperIjLb0EEEEEvT_jjPNSG_10value_typeET0_PNSt15iterator_traitsISJ_E10value_typeEmT1_T2_,comdat
	.protected	_ZN7rocprim17ROCPRIM_400000_NS6detail30init_device_scan_by_key_kernelINS1_19lookback_scan_stateINS0_5tupleIJibEEELb1ELb1EEEN6thrust23THRUST_200600_302600_NS6detail15normal_iteratorINS8_10device_ptrIsEEEEjNS1_16block_id_wrapperIjLb0EEEEEvT_jjPNSG_10value_typeET0_PNSt15iterator_traitsISJ_E10value_typeEmT1_T2_ ; -- Begin function _ZN7rocprim17ROCPRIM_400000_NS6detail30init_device_scan_by_key_kernelINS1_19lookback_scan_stateINS0_5tupleIJibEEELb1ELb1EEEN6thrust23THRUST_200600_302600_NS6detail15normal_iteratorINS8_10device_ptrIsEEEEjNS1_16block_id_wrapperIjLb0EEEEEvT_jjPNSG_10value_typeET0_PNSt15iterator_traitsISJ_E10value_typeEmT1_T2_
	.globl	_ZN7rocprim17ROCPRIM_400000_NS6detail30init_device_scan_by_key_kernelINS1_19lookback_scan_stateINS0_5tupleIJibEEELb1ELb1EEEN6thrust23THRUST_200600_302600_NS6detail15normal_iteratorINS8_10device_ptrIsEEEEjNS1_16block_id_wrapperIjLb0EEEEEvT_jjPNSG_10value_typeET0_PNSt15iterator_traitsISJ_E10value_typeEmT1_T2_
	.p2align	8
	.type	_ZN7rocprim17ROCPRIM_400000_NS6detail30init_device_scan_by_key_kernelINS1_19lookback_scan_stateINS0_5tupleIJibEEELb1ELb1EEEN6thrust23THRUST_200600_302600_NS6detail15normal_iteratorINS8_10device_ptrIsEEEEjNS1_16block_id_wrapperIjLb0EEEEEvT_jjPNSG_10value_typeET0_PNSt15iterator_traitsISJ_E10value_typeEmT1_T2_,@function
_ZN7rocprim17ROCPRIM_400000_NS6detail30init_device_scan_by_key_kernelINS1_19lookback_scan_stateINS0_5tupleIJibEEELb1ELb1EEEN6thrust23THRUST_200600_302600_NS6detail15normal_iteratorINS8_10device_ptrIsEEEEjNS1_16block_id_wrapperIjLb0EEEEEvT_jjPNSG_10value_typeET0_PNSt15iterator_traitsISJ_E10value_typeEmT1_T2_: ; @_ZN7rocprim17ROCPRIM_400000_NS6detail30init_device_scan_by_key_kernelINS1_19lookback_scan_stateINS0_5tupleIJibEEELb1ELb1EEEN6thrust23THRUST_200600_302600_NS6detail15normal_iteratorINS8_10device_ptrIsEEEEjNS1_16block_id_wrapperIjLb0EEEEEvT_jjPNSG_10value_typeET0_PNSt15iterator_traitsISJ_E10value_typeEmT1_T2_
; %bb.0:
	s_load_dword s0, s[4:5], 0x44
	s_load_dwordx8 s[8:15], s[4:5], 0x0
	s_load_dword s18, s[4:5], 0x38
	s_waitcnt lgkmcnt(0)
	s_and_b32 s19, s0, 0xffff
	s_mul_i32 s6, s6, s19
	s_cmp_eq_u64 s[12:13], 0
	v_add_u32_e32 v4, s6, v0
	s_cbranch_scc1 .LBB1061_10
; %bb.1:
	s_cmp_lt_u32 s11, s10
	s_cselect_b32 s0, s11, 0
	s_mov_b32 s3, 0
	v_cmp_eq_u32_e32 vcc, s0, v4
	s_and_saveexec_b64 s[0:1], vcc
	s_cbranch_execz .LBB1061_9
; %bb.2:
	s_add_i32 s2, s11, 64
	s_lshl_b64 s[2:3], s[2:3], 4
	s_add_u32 s16, s8, s2
	s_addc_u32 s17, s9, s3
	v_pk_mov_b32 v[0:1], s[16:17], s[16:17] op_sel:[0,1]
	;;#ASMSTART
	global_load_dwordx4 v[0:3], v[0:1] off glc	
s_waitcnt vmcnt(0)
	;;#ASMEND
	v_mov_b32_e32 v7, 0
	v_and_b32_e32 v6, 0xff, v2
	s_mov_b64 s[6:7], 0
	v_cmp_eq_u64_e32 vcc, 0, v[6:7]
	s_and_saveexec_b64 s[2:3], vcc
	s_cbranch_execz .LBB1061_8
; %bb.3:
	s_mov_b32 s11, 1
	v_pk_mov_b32 v[8:9], s[16:17], s[16:17] op_sel:[0,1]
.LBB1061_4:                             ; =>This Loop Header: Depth=1
                                        ;     Child Loop BB1061_5 Depth 2
	s_max_u32 s16, s11, 1
.LBB1061_5:                             ;   Parent Loop BB1061_4 Depth=1
                                        ; =>  This Inner Loop Header: Depth=2
	s_add_i32 s16, s16, -1
	s_cmp_eq_u32 s16, 0
	s_sleep 1
	s_cbranch_scc0 .LBB1061_5
; %bb.6:                                ;   in Loop: Header=BB1061_4 Depth=1
	s_cmp_lt_u32 s11, 32
	s_cselect_b64 s[16:17], -1, 0
	s_cmp_lg_u64 s[16:17], 0
	;;#ASMSTART
	global_load_dwordx4 v[0:3], v[8:9] off glc	
s_waitcnt vmcnt(0)
	;;#ASMEND
	v_and_b32_e32 v6, 0xff, v2
	s_addc_u32 s11, s11, 0
	v_cmp_ne_u64_e32 vcc, 0, v[6:7]
	s_or_b64 s[6:7], vcc, s[6:7]
	s_andn2_b64 exec, exec, s[6:7]
	s_cbranch_execnz .LBB1061_4
; %bb.7:
	s_or_b64 exec, exec, s[6:7]
.LBB1061_8:
	s_or_b64 exec, exec, s[2:3]
	v_mov_b32_e32 v2, 0
	global_store_dword v2, v0, s[12:13]
	global_store_byte v2, v1, s[12:13] offset:4
.LBB1061_9:
	s_or_b64 exec, exec, s[0:1]
.LBB1061_10:
	v_cmp_gt_u32_e32 vcc, s10, v4
	s_and_saveexec_b64 s[0:1], vcc
	s_cbranch_execz .LBB1061_12
; %bb.11:
	v_add_u32_e32 v0, 64, v4
	v_mov_b32_e32 v1, 0
	v_lshlrev_b64 v[2:3], 4, v[0:1]
	v_mov_b32_e32 v0, s9
	v_add_co_u32_e32 v6, vcc, s8, v2
	v_addc_co_u32_e32 v7, vcc, v0, v3, vcc
	v_mov_b32_e32 v0, v1
	v_mov_b32_e32 v2, v1
	;; [unrolled: 1-line block ×3, first 2 shown]
	global_store_dwordx4 v[6:7], v[0:3], off
.LBB1061_12:
	s_or_b64 exec, exec, s[0:1]
	v_cmp_gt_u32_e32 vcc, 64, v4
	v_mov_b32_e32 v5, 0
	s_and_saveexec_b64 s[0:1], vcc
	s_cbranch_execz .LBB1061_14
; %bb.13:
	v_lshlrev_b64 v[0:1], 4, v[4:5]
	v_mov_b32_e32 v2, s9
	v_add_co_u32_e32 v6, vcc, s8, v0
	v_addc_co_u32_e32 v7, vcc, v2, v1, vcc
	v_mov_b32_e32 v2, 0xff
	v_mov_b32_e32 v0, v5
	;; [unrolled: 1-line block ×4, first 2 shown]
	global_store_dwordx4 v[6:7], v[0:3], off
.LBB1061_14:
	s_or_b64 exec, exec, s[0:1]
	s_load_dwordx2 s[0:1], s[4:5], 0x28
	s_waitcnt lgkmcnt(0)
	v_cmp_gt_u64_e32 vcc, s[0:1], v[4:5]
	s_and_saveexec_b64 s[2:3], vcc
	s_cbranch_execz .LBB1061_17
; %bb.15:
	s_load_dword s10, s[4:5], 0x30
	s_load_dwordx2 s[6:7], s[4:5], 0x20
	s_mov_b32 s5, 0
	s_mov_b32 s3, s5
	s_mul_i32 s2, s18, s19
	s_waitcnt lgkmcnt(0)
	s_add_i32 s4, s10, -1
	s_lshl_b64 s[4:5], s[4:5], 1
	v_mad_u64_u32 v[0:1], s[8:9], s10, v4, 0
	s_add_u32 s4, s14, s4
	v_lshlrev_b64 v[0:1], 1, v[0:1]
	s_addc_u32 s5, s15, s5
	v_mov_b32_e32 v2, s5
	v_add_co_u32_e32 v0, vcc, s4, v0
	v_addc_co_u32_e32 v1, vcc, v2, v1, vcc
	s_mul_hi_u32 s5, s10, s2
	s_mul_i32 s4, s10, s2
	v_lshlrev_b64 v[2:3], 1, v[4:5]
	s_lshl_b64 s[4:5], s[4:5], 1
	v_mov_b32_e32 v6, s7
	v_add_co_u32_e32 v2, vcc, s6, v2
	s_lshl_b64 s[6:7], s[2:3], 1
	v_addc_co_u32_e32 v3, vcc, v6, v3, vcc
	s_mov_b64 s[8:9], 0
	v_mov_b32_e32 v6, s3
	v_mov_b32_e32 v7, s5
	;; [unrolled: 1-line block ×3, first 2 shown]
.LBB1061_16:                            ; =>This Inner Loop Header: Depth=1
	global_load_ushort v9, v[0:1], off
	v_add_co_u32_e32 v4, vcc, s2, v4
	v_addc_co_u32_e32 v5, vcc, v5, v6, vcc
	v_add_co_u32_e32 v0, vcc, s4, v0
	v_addc_co_u32_e32 v1, vcc, v1, v7, vcc
	v_cmp_le_u64_e32 vcc, s[0:1], v[4:5]
	s_or_b64 s[8:9], vcc, s[8:9]
	s_waitcnt vmcnt(0)
	global_store_short v[2:3], v9, off
	v_add_co_u32_e32 v2, vcc, s6, v2
	v_addc_co_u32_e32 v3, vcc, v3, v8, vcc
	s_andn2_b64 exec, exec, s[8:9]
	s_cbranch_execnz .LBB1061_16
.LBB1061_17:
	s_endpgm
	.section	.rodata,"a",@progbits
	.p2align	6, 0x0
	.amdhsa_kernel _ZN7rocprim17ROCPRIM_400000_NS6detail30init_device_scan_by_key_kernelINS1_19lookback_scan_stateINS0_5tupleIJibEEELb1ELb1EEEN6thrust23THRUST_200600_302600_NS6detail15normal_iteratorINS8_10device_ptrIsEEEEjNS1_16block_id_wrapperIjLb0EEEEEvT_jjPNSG_10value_typeET0_PNSt15iterator_traitsISJ_E10value_typeEmT1_T2_
		.amdhsa_group_segment_fixed_size 0
		.amdhsa_private_segment_fixed_size 0
		.amdhsa_kernarg_size 312
		.amdhsa_user_sgpr_count 6
		.amdhsa_user_sgpr_private_segment_buffer 1
		.amdhsa_user_sgpr_dispatch_ptr 0
		.amdhsa_user_sgpr_queue_ptr 0
		.amdhsa_user_sgpr_kernarg_segment_ptr 1
		.amdhsa_user_sgpr_dispatch_id 0
		.amdhsa_user_sgpr_flat_scratch_init 0
		.amdhsa_user_sgpr_kernarg_preload_length 0
		.amdhsa_user_sgpr_kernarg_preload_offset 0
		.amdhsa_user_sgpr_private_segment_size 0
		.amdhsa_uses_dynamic_stack 0
		.amdhsa_system_sgpr_private_segment_wavefront_offset 0
		.amdhsa_system_sgpr_workgroup_id_x 1
		.amdhsa_system_sgpr_workgroup_id_y 0
		.amdhsa_system_sgpr_workgroup_id_z 0
		.amdhsa_system_sgpr_workgroup_info 0
		.amdhsa_system_vgpr_workitem_id 0
		.amdhsa_next_free_vgpr 10
		.amdhsa_next_free_sgpr 20
		.amdhsa_accum_offset 12
		.amdhsa_reserve_vcc 1
		.amdhsa_reserve_flat_scratch 0
		.amdhsa_float_round_mode_32 0
		.amdhsa_float_round_mode_16_64 0
		.amdhsa_float_denorm_mode_32 3
		.amdhsa_float_denorm_mode_16_64 3
		.amdhsa_dx10_clamp 1
		.amdhsa_ieee_mode 1
		.amdhsa_fp16_overflow 0
		.amdhsa_tg_split 0
		.amdhsa_exception_fp_ieee_invalid_op 0
		.amdhsa_exception_fp_denorm_src 0
		.amdhsa_exception_fp_ieee_div_zero 0
		.amdhsa_exception_fp_ieee_overflow 0
		.amdhsa_exception_fp_ieee_underflow 0
		.amdhsa_exception_fp_ieee_inexact 0
		.amdhsa_exception_int_div_zero 0
	.end_amdhsa_kernel
	.section	.text._ZN7rocprim17ROCPRIM_400000_NS6detail30init_device_scan_by_key_kernelINS1_19lookback_scan_stateINS0_5tupleIJibEEELb1ELb1EEEN6thrust23THRUST_200600_302600_NS6detail15normal_iteratorINS8_10device_ptrIsEEEEjNS1_16block_id_wrapperIjLb0EEEEEvT_jjPNSG_10value_typeET0_PNSt15iterator_traitsISJ_E10value_typeEmT1_T2_,"axG",@progbits,_ZN7rocprim17ROCPRIM_400000_NS6detail30init_device_scan_by_key_kernelINS1_19lookback_scan_stateINS0_5tupleIJibEEELb1ELb1EEEN6thrust23THRUST_200600_302600_NS6detail15normal_iteratorINS8_10device_ptrIsEEEEjNS1_16block_id_wrapperIjLb0EEEEEvT_jjPNSG_10value_typeET0_PNSt15iterator_traitsISJ_E10value_typeEmT1_T2_,comdat
.Lfunc_end1061:
	.size	_ZN7rocprim17ROCPRIM_400000_NS6detail30init_device_scan_by_key_kernelINS1_19lookback_scan_stateINS0_5tupleIJibEEELb1ELb1EEEN6thrust23THRUST_200600_302600_NS6detail15normal_iteratorINS8_10device_ptrIsEEEEjNS1_16block_id_wrapperIjLb0EEEEEvT_jjPNSG_10value_typeET0_PNSt15iterator_traitsISJ_E10value_typeEmT1_T2_, .Lfunc_end1061-_ZN7rocprim17ROCPRIM_400000_NS6detail30init_device_scan_by_key_kernelINS1_19lookback_scan_stateINS0_5tupleIJibEEELb1ELb1EEEN6thrust23THRUST_200600_302600_NS6detail15normal_iteratorINS8_10device_ptrIsEEEEjNS1_16block_id_wrapperIjLb0EEEEEvT_jjPNSG_10value_typeET0_PNSt15iterator_traitsISJ_E10value_typeEmT1_T2_
                                        ; -- End function
	.section	.AMDGPU.csdata,"",@progbits
; Kernel info:
; codeLenInByte = 612
; NumSgprs: 24
; NumVgprs: 10
; NumAgprs: 0
; TotalNumVgprs: 10
; ScratchSize: 0
; MemoryBound: 0
; FloatMode: 240
; IeeeMode: 1
; LDSByteSize: 0 bytes/workgroup (compile time only)
; SGPRBlocks: 2
; VGPRBlocks: 1
; NumSGPRsForWavesPerEU: 24
; NumVGPRsForWavesPerEU: 10
; AccumOffset: 12
; Occupancy: 8
; WaveLimiterHint : 0
; COMPUTE_PGM_RSRC2:SCRATCH_EN: 0
; COMPUTE_PGM_RSRC2:USER_SGPR: 6
; COMPUTE_PGM_RSRC2:TRAP_HANDLER: 0
; COMPUTE_PGM_RSRC2:TGID_X_EN: 1
; COMPUTE_PGM_RSRC2:TGID_Y_EN: 0
; COMPUTE_PGM_RSRC2:TGID_Z_EN: 0
; COMPUTE_PGM_RSRC2:TIDIG_COMP_CNT: 0
; COMPUTE_PGM_RSRC3_GFX90A:ACCUM_OFFSET: 2
; COMPUTE_PGM_RSRC3_GFX90A:TG_SPLIT: 0
	.section	.text._ZN7rocprim17ROCPRIM_400000_NS6detail17trampoline_kernelINS0_14default_configENS1_27scan_by_key_config_selectorIsiEEZZNS1_16scan_by_key_implILNS1_25lookback_scan_determinismE0ELb1ES3_N6thrust23THRUST_200600_302600_NS6detail15normal_iteratorINS9_10device_ptrIsEEEESE_SE_iNS9_4plusIvEENS9_8equal_toIvEEiEE10hipError_tPvRmT2_T3_T4_T5_mT6_T7_P12ihipStream_tbENKUlT_T0_E_clISt17integral_constantIbLb1EESY_IbLb0EEEEDaSU_SV_EUlSU_E_NS1_11comp_targetILNS1_3genE0ELNS1_11target_archE4294967295ELNS1_3gpuE0ELNS1_3repE0EEENS1_30default_config_static_selectorELNS0_4arch9wavefront6targetE1EEEvT1_,"axG",@progbits,_ZN7rocprim17ROCPRIM_400000_NS6detail17trampoline_kernelINS0_14default_configENS1_27scan_by_key_config_selectorIsiEEZZNS1_16scan_by_key_implILNS1_25lookback_scan_determinismE0ELb1ES3_N6thrust23THRUST_200600_302600_NS6detail15normal_iteratorINS9_10device_ptrIsEEEESE_SE_iNS9_4plusIvEENS9_8equal_toIvEEiEE10hipError_tPvRmT2_T3_T4_T5_mT6_T7_P12ihipStream_tbENKUlT_T0_E_clISt17integral_constantIbLb1EESY_IbLb0EEEEDaSU_SV_EUlSU_E_NS1_11comp_targetILNS1_3genE0ELNS1_11target_archE4294967295ELNS1_3gpuE0ELNS1_3repE0EEENS1_30default_config_static_selectorELNS0_4arch9wavefront6targetE1EEEvT1_,comdat
	.protected	_ZN7rocprim17ROCPRIM_400000_NS6detail17trampoline_kernelINS0_14default_configENS1_27scan_by_key_config_selectorIsiEEZZNS1_16scan_by_key_implILNS1_25lookback_scan_determinismE0ELb1ES3_N6thrust23THRUST_200600_302600_NS6detail15normal_iteratorINS9_10device_ptrIsEEEESE_SE_iNS9_4plusIvEENS9_8equal_toIvEEiEE10hipError_tPvRmT2_T3_T4_T5_mT6_T7_P12ihipStream_tbENKUlT_T0_E_clISt17integral_constantIbLb1EESY_IbLb0EEEEDaSU_SV_EUlSU_E_NS1_11comp_targetILNS1_3genE0ELNS1_11target_archE4294967295ELNS1_3gpuE0ELNS1_3repE0EEENS1_30default_config_static_selectorELNS0_4arch9wavefront6targetE1EEEvT1_ ; -- Begin function _ZN7rocprim17ROCPRIM_400000_NS6detail17trampoline_kernelINS0_14default_configENS1_27scan_by_key_config_selectorIsiEEZZNS1_16scan_by_key_implILNS1_25lookback_scan_determinismE0ELb1ES3_N6thrust23THRUST_200600_302600_NS6detail15normal_iteratorINS9_10device_ptrIsEEEESE_SE_iNS9_4plusIvEENS9_8equal_toIvEEiEE10hipError_tPvRmT2_T3_T4_T5_mT6_T7_P12ihipStream_tbENKUlT_T0_E_clISt17integral_constantIbLb1EESY_IbLb0EEEEDaSU_SV_EUlSU_E_NS1_11comp_targetILNS1_3genE0ELNS1_11target_archE4294967295ELNS1_3gpuE0ELNS1_3repE0EEENS1_30default_config_static_selectorELNS0_4arch9wavefront6targetE1EEEvT1_
	.globl	_ZN7rocprim17ROCPRIM_400000_NS6detail17trampoline_kernelINS0_14default_configENS1_27scan_by_key_config_selectorIsiEEZZNS1_16scan_by_key_implILNS1_25lookback_scan_determinismE0ELb1ES3_N6thrust23THRUST_200600_302600_NS6detail15normal_iteratorINS9_10device_ptrIsEEEESE_SE_iNS9_4plusIvEENS9_8equal_toIvEEiEE10hipError_tPvRmT2_T3_T4_T5_mT6_T7_P12ihipStream_tbENKUlT_T0_E_clISt17integral_constantIbLb1EESY_IbLb0EEEEDaSU_SV_EUlSU_E_NS1_11comp_targetILNS1_3genE0ELNS1_11target_archE4294967295ELNS1_3gpuE0ELNS1_3repE0EEENS1_30default_config_static_selectorELNS0_4arch9wavefront6targetE1EEEvT1_
	.p2align	8
	.type	_ZN7rocprim17ROCPRIM_400000_NS6detail17trampoline_kernelINS0_14default_configENS1_27scan_by_key_config_selectorIsiEEZZNS1_16scan_by_key_implILNS1_25lookback_scan_determinismE0ELb1ES3_N6thrust23THRUST_200600_302600_NS6detail15normal_iteratorINS9_10device_ptrIsEEEESE_SE_iNS9_4plusIvEENS9_8equal_toIvEEiEE10hipError_tPvRmT2_T3_T4_T5_mT6_T7_P12ihipStream_tbENKUlT_T0_E_clISt17integral_constantIbLb1EESY_IbLb0EEEEDaSU_SV_EUlSU_E_NS1_11comp_targetILNS1_3genE0ELNS1_11target_archE4294967295ELNS1_3gpuE0ELNS1_3repE0EEENS1_30default_config_static_selectorELNS0_4arch9wavefront6targetE1EEEvT1_,@function
_ZN7rocprim17ROCPRIM_400000_NS6detail17trampoline_kernelINS0_14default_configENS1_27scan_by_key_config_selectorIsiEEZZNS1_16scan_by_key_implILNS1_25lookback_scan_determinismE0ELb1ES3_N6thrust23THRUST_200600_302600_NS6detail15normal_iteratorINS9_10device_ptrIsEEEESE_SE_iNS9_4plusIvEENS9_8equal_toIvEEiEE10hipError_tPvRmT2_T3_T4_T5_mT6_T7_P12ihipStream_tbENKUlT_T0_E_clISt17integral_constantIbLb1EESY_IbLb0EEEEDaSU_SV_EUlSU_E_NS1_11comp_targetILNS1_3genE0ELNS1_11target_archE4294967295ELNS1_3gpuE0ELNS1_3repE0EEENS1_30default_config_static_selectorELNS0_4arch9wavefront6targetE1EEEvT1_: ; @_ZN7rocprim17ROCPRIM_400000_NS6detail17trampoline_kernelINS0_14default_configENS1_27scan_by_key_config_selectorIsiEEZZNS1_16scan_by_key_implILNS1_25lookback_scan_determinismE0ELb1ES3_N6thrust23THRUST_200600_302600_NS6detail15normal_iteratorINS9_10device_ptrIsEEEESE_SE_iNS9_4plusIvEENS9_8equal_toIvEEiEE10hipError_tPvRmT2_T3_T4_T5_mT6_T7_P12ihipStream_tbENKUlT_T0_E_clISt17integral_constantIbLb1EESY_IbLb0EEEEDaSU_SV_EUlSU_E_NS1_11comp_targetILNS1_3genE0ELNS1_11target_archE4294967295ELNS1_3gpuE0ELNS1_3repE0EEENS1_30default_config_static_selectorELNS0_4arch9wavefront6targetE1EEEvT1_
; %bb.0:
	.section	.rodata,"a",@progbits
	.p2align	6, 0x0
	.amdhsa_kernel _ZN7rocprim17ROCPRIM_400000_NS6detail17trampoline_kernelINS0_14default_configENS1_27scan_by_key_config_selectorIsiEEZZNS1_16scan_by_key_implILNS1_25lookback_scan_determinismE0ELb1ES3_N6thrust23THRUST_200600_302600_NS6detail15normal_iteratorINS9_10device_ptrIsEEEESE_SE_iNS9_4plusIvEENS9_8equal_toIvEEiEE10hipError_tPvRmT2_T3_T4_T5_mT6_T7_P12ihipStream_tbENKUlT_T0_E_clISt17integral_constantIbLb1EESY_IbLb0EEEEDaSU_SV_EUlSU_E_NS1_11comp_targetILNS1_3genE0ELNS1_11target_archE4294967295ELNS1_3gpuE0ELNS1_3repE0EEENS1_30default_config_static_selectorELNS0_4arch9wavefront6targetE1EEEvT1_
		.amdhsa_group_segment_fixed_size 0
		.amdhsa_private_segment_fixed_size 0
		.amdhsa_kernarg_size 112
		.amdhsa_user_sgpr_count 6
		.amdhsa_user_sgpr_private_segment_buffer 1
		.amdhsa_user_sgpr_dispatch_ptr 0
		.amdhsa_user_sgpr_queue_ptr 0
		.amdhsa_user_sgpr_kernarg_segment_ptr 1
		.amdhsa_user_sgpr_dispatch_id 0
		.amdhsa_user_sgpr_flat_scratch_init 0
		.amdhsa_user_sgpr_kernarg_preload_length 0
		.amdhsa_user_sgpr_kernarg_preload_offset 0
		.amdhsa_user_sgpr_private_segment_size 0
		.amdhsa_uses_dynamic_stack 0
		.amdhsa_system_sgpr_private_segment_wavefront_offset 0
		.amdhsa_system_sgpr_workgroup_id_x 1
		.amdhsa_system_sgpr_workgroup_id_y 0
		.amdhsa_system_sgpr_workgroup_id_z 0
		.amdhsa_system_sgpr_workgroup_info 0
		.amdhsa_system_vgpr_workitem_id 0
		.amdhsa_next_free_vgpr 1
		.amdhsa_next_free_sgpr 0
		.amdhsa_accum_offset 4
		.amdhsa_reserve_vcc 0
		.amdhsa_reserve_flat_scratch 0
		.amdhsa_float_round_mode_32 0
		.amdhsa_float_round_mode_16_64 0
		.amdhsa_float_denorm_mode_32 3
		.amdhsa_float_denorm_mode_16_64 3
		.amdhsa_dx10_clamp 1
		.amdhsa_ieee_mode 1
		.amdhsa_fp16_overflow 0
		.amdhsa_tg_split 0
		.amdhsa_exception_fp_ieee_invalid_op 0
		.amdhsa_exception_fp_denorm_src 0
		.amdhsa_exception_fp_ieee_div_zero 0
		.amdhsa_exception_fp_ieee_overflow 0
		.amdhsa_exception_fp_ieee_underflow 0
		.amdhsa_exception_fp_ieee_inexact 0
		.amdhsa_exception_int_div_zero 0
	.end_amdhsa_kernel
	.section	.text._ZN7rocprim17ROCPRIM_400000_NS6detail17trampoline_kernelINS0_14default_configENS1_27scan_by_key_config_selectorIsiEEZZNS1_16scan_by_key_implILNS1_25lookback_scan_determinismE0ELb1ES3_N6thrust23THRUST_200600_302600_NS6detail15normal_iteratorINS9_10device_ptrIsEEEESE_SE_iNS9_4plusIvEENS9_8equal_toIvEEiEE10hipError_tPvRmT2_T3_T4_T5_mT6_T7_P12ihipStream_tbENKUlT_T0_E_clISt17integral_constantIbLb1EESY_IbLb0EEEEDaSU_SV_EUlSU_E_NS1_11comp_targetILNS1_3genE0ELNS1_11target_archE4294967295ELNS1_3gpuE0ELNS1_3repE0EEENS1_30default_config_static_selectorELNS0_4arch9wavefront6targetE1EEEvT1_,"axG",@progbits,_ZN7rocprim17ROCPRIM_400000_NS6detail17trampoline_kernelINS0_14default_configENS1_27scan_by_key_config_selectorIsiEEZZNS1_16scan_by_key_implILNS1_25lookback_scan_determinismE0ELb1ES3_N6thrust23THRUST_200600_302600_NS6detail15normal_iteratorINS9_10device_ptrIsEEEESE_SE_iNS9_4plusIvEENS9_8equal_toIvEEiEE10hipError_tPvRmT2_T3_T4_T5_mT6_T7_P12ihipStream_tbENKUlT_T0_E_clISt17integral_constantIbLb1EESY_IbLb0EEEEDaSU_SV_EUlSU_E_NS1_11comp_targetILNS1_3genE0ELNS1_11target_archE4294967295ELNS1_3gpuE0ELNS1_3repE0EEENS1_30default_config_static_selectorELNS0_4arch9wavefront6targetE1EEEvT1_,comdat
.Lfunc_end1062:
	.size	_ZN7rocprim17ROCPRIM_400000_NS6detail17trampoline_kernelINS0_14default_configENS1_27scan_by_key_config_selectorIsiEEZZNS1_16scan_by_key_implILNS1_25lookback_scan_determinismE0ELb1ES3_N6thrust23THRUST_200600_302600_NS6detail15normal_iteratorINS9_10device_ptrIsEEEESE_SE_iNS9_4plusIvEENS9_8equal_toIvEEiEE10hipError_tPvRmT2_T3_T4_T5_mT6_T7_P12ihipStream_tbENKUlT_T0_E_clISt17integral_constantIbLb1EESY_IbLb0EEEEDaSU_SV_EUlSU_E_NS1_11comp_targetILNS1_3genE0ELNS1_11target_archE4294967295ELNS1_3gpuE0ELNS1_3repE0EEENS1_30default_config_static_selectorELNS0_4arch9wavefront6targetE1EEEvT1_, .Lfunc_end1062-_ZN7rocprim17ROCPRIM_400000_NS6detail17trampoline_kernelINS0_14default_configENS1_27scan_by_key_config_selectorIsiEEZZNS1_16scan_by_key_implILNS1_25lookback_scan_determinismE0ELb1ES3_N6thrust23THRUST_200600_302600_NS6detail15normal_iteratorINS9_10device_ptrIsEEEESE_SE_iNS9_4plusIvEENS9_8equal_toIvEEiEE10hipError_tPvRmT2_T3_T4_T5_mT6_T7_P12ihipStream_tbENKUlT_T0_E_clISt17integral_constantIbLb1EESY_IbLb0EEEEDaSU_SV_EUlSU_E_NS1_11comp_targetILNS1_3genE0ELNS1_11target_archE4294967295ELNS1_3gpuE0ELNS1_3repE0EEENS1_30default_config_static_selectorELNS0_4arch9wavefront6targetE1EEEvT1_
                                        ; -- End function
	.section	.AMDGPU.csdata,"",@progbits
; Kernel info:
; codeLenInByte = 0
; NumSgprs: 4
; NumVgprs: 0
; NumAgprs: 0
; TotalNumVgprs: 0
; ScratchSize: 0
; MemoryBound: 0
; FloatMode: 240
; IeeeMode: 1
; LDSByteSize: 0 bytes/workgroup (compile time only)
; SGPRBlocks: 0
; VGPRBlocks: 0
; NumSGPRsForWavesPerEU: 4
; NumVGPRsForWavesPerEU: 1
; AccumOffset: 4
; Occupancy: 8
; WaveLimiterHint : 0
; COMPUTE_PGM_RSRC2:SCRATCH_EN: 0
; COMPUTE_PGM_RSRC2:USER_SGPR: 6
; COMPUTE_PGM_RSRC2:TRAP_HANDLER: 0
; COMPUTE_PGM_RSRC2:TGID_X_EN: 1
; COMPUTE_PGM_RSRC2:TGID_Y_EN: 0
; COMPUTE_PGM_RSRC2:TGID_Z_EN: 0
; COMPUTE_PGM_RSRC2:TIDIG_COMP_CNT: 0
; COMPUTE_PGM_RSRC3_GFX90A:ACCUM_OFFSET: 0
; COMPUTE_PGM_RSRC3_GFX90A:TG_SPLIT: 0
	.section	.text._ZN7rocprim17ROCPRIM_400000_NS6detail17trampoline_kernelINS0_14default_configENS1_27scan_by_key_config_selectorIsiEEZZNS1_16scan_by_key_implILNS1_25lookback_scan_determinismE0ELb1ES3_N6thrust23THRUST_200600_302600_NS6detail15normal_iteratorINS9_10device_ptrIsEEEESE_SE_iNS9_4plusIvEENS9_8equal_toIvEEiEE10hipError_tPvRmT2_T3_T4_T5_mT6_T7_P12ihipStream_tbENKUlT_T0_E_clISt17integral_constantIbLb1EESY_IbLb0EEEEDaSU_SV_EUlSU_E_NS1_11comp_targetILNS1_3genE10ELNS1_11target_archE1201ELNS1_3gpuE5ELNS1_3repE0EEENS1_30default_config_static_selectorELNS0_4arch9wavefront6targetE1EEEvT1_,"axG",@progbits,_ZN7rocprim17ROCPRIM_400000_NS6detail17trampoline_kernelINS0_14default_configENS1_27scan_by_key_config_selectorIsiEEZZNS1_16scan_by_key_implILNS1_25lookback_scan_determinismE0ELb1ES3_N6thrust23THRUST_200600_302600_NS6detail15normal_iteratorINS9_10device_ptrIsEEEESE_SE_iNS9_4plusIvEENS9_8equal_toIvEEiEE10hipError_tPvRmT2_T3_T4_T5_mT6_T7_P12ihipStream_tbENKUlT_T0_E_clISt17integral_constantIbLb1EESY_IbLb0EEEEDaSU_SV_EUlSU_E_NS1_11comp_targetILNS1_3genE10ELNS1_11target_archE1201ELNS1_3gpuE5ELNS1_3repE0EEENS1_30default_config_static_selectorELNS0_4arch9wavefront6targetE1EEEvT1_,comdat
	.protected	_ZN7rocprim17ROCPRIM_400000_NS6detail17trampoline_kernelINS0_14default_configENS1_27scan_by_key_config_selectorIsiEEZZNS1_16scan_by_key_implILNS1_25lookback_scan_determinismE0ELb1ES3_N6thrust23THRUST_200600_302600_NS6detail15normal_iteratorINS9_10device_ptrIsEEEESE_SE_iNS9_4plusIvEENS9_8equal_toIvEEiEE10hipError_tPvRmT2_T3_T4_T5_mT6_T7_P12ihipStream_tbENKUlT_T0_E_clISt17integral_constantIbLb1EESY_IbLb0EEEEDaSU_SV_EUlSU_E_NS1_11comp_targetILNS1_3genE10ELNS1_11target_archE1201ELNS1_3gpuE5ELNS1_3repE0EEENS1_30default_config_static_selectorELNS0_4arch9wavefront6targetE1EEEvT1_ ; -- Begin function _ZN7rocprim17ROCPRIM_400000_NS6detail17trampoline_kernelINS0_14default_configENS1_27scan_by_key_config_selectorIsiEEZZNS1_16scan_by_key_implILNS1_25lookback_scan_determinismE0ELb1ES3_N6thrust23THRUST_200600_302600_NS6detail15normal_iteratorINS9_10device_ptrIsEEEESE_SE_iNS9_4plusIvEENS9_8equal_toIvEEiEE10hipError_tPvRmT2_T3_T4_T5_mT6_T7_P12ihipStream_tbENKUlT_T0_E_clISt17integral_constantIbLb1EESY_IbLb0EEEEDaSU_SV_EUlSU_E_NS1_11comp_targetILNS1_3genE10ELNS1_11target_archE1201ELNS1_3gpuE5ELNS1_3repE0EEENS1_30default_config_static_selectorELNS0_4arch9wavefront6targetE1EEEvT1_
	.globl	_ZN7rocprim17ROCPRIM_400000_NS6detail17trampoline_kernelINS0_14default_configENS1_27scan_by_key_config_selectorIsiEEZZNS1_16scan_by_key_implILNS1_25lookback_scan_determinismE0ELb1ES3_N6thrust23THRUST_200600_302600_NS6detail15normal_iteratorINS9_10device_ptrIsEEEESE_SE_iNS9_4plusIvEENS9_8equal_toIvEEiEE10hipError_tPvRmT2_T3_T4_T5_mT6_T7_P12ihipStream_tbENKUlT_T0_E_clISt17integral_constantIbLb1EESY_IbLb0EEEEDaSU_SV_EUlSU_E_NS1_11comp_targetILNS1_3genE10ELNS1_11target_archE1201ELNS1_3gpuE5ELNS1_3repE0EEENS1_30default_config_static_selectorELNS0_4arch9wavefront6targetE1EEEvT1_
	.p2align	8
	.type	_ZN7rocprim17ROCPRIM_400000_NS6detail17trampoline_kernelINS0_14default_configENS1_27scan_by_key_config_selectorIsiEEZZNS1_16scan_by_key_implILNS1_25lookback_scan_determinismE0ELb1ES3_N6thrust23THRUST_200600_302600_NS6detail15normal_iteratorINS9_10device_ptrIsEEEESE_SE_iNS9_4plusIvEENS9_8equal_toIvEEiEE10hipError_tPvRmT2_T3_T4_T5_mT6_T7_P12ihipStream_tbENKUlT_T0_E_clISt17integral_constantIbLb1EESY_IbLb0EEEEDaSU_SV_EUlSU_E_NS1_11comp_targetILNS1_3genE10ELNS1_11target_archE1201ELNS1_3gpuE5ELNS1_3repE0EEENS1_30default_config_static_selectorELNS0_4arch9wavefront6targetE1EEEvT1_,@function
_ZN7rocprim17ROCPRIM_400000_NS6detail17trampoline_kernelINS0_14default_configENS1_27scan_by_key_config_selectorIsiEEZZNS1_16scan_by_key_implILNS1_25lookback_scan_determinismE0ELb1ES3_N6thrust23THRUST_200600_302600_NS6detail15normal_iteratorINS9_10device_ptrIsEEEESE_SE_iNS9_4plusIvEENS9_8equal_toIvEEiEE10hipError_tPvRmT2_T3_T4_T5_mT6_T7_P12ihipStream_tbENKUlT_T0_E_clISt17integral_constantIbLb1EESY_IbLb0EEEEDaSU_SV_EUlSU_E_NS1_11comp_targetILNS1_3genE10ELNS1_11target_archE1201ELNS1_3gpuE5ELNS1_3repE0EEENS1_30default_config_static_selectorELNS0_4arch9wavefront6targetE1EEEvT1_: ; @_ZN7rocprim17ROCPRIM_400000_NS6detail17trampoline_kernelINS0_14default_configENS1_27scan_by_key_config_selectorIsiEEZZNS1_16scan_by_key_implILNS1_25lookback_scan_determinismE0ELb1ES3_N6thrust23THRUST_200600_302600_NS6detail15normal_iteratorINS9_10device_ptrIsEEEESE_SE_iNS9_4plusIvEENS9_8equal_toIvEEiEE10hipError_tPvRmT2_T3_T4_T5_mT6_T7_P12ihipStream_tbENKUlT_T0_E_clISt17integral_constantIbLb1EESY_IbLb0EEEEDaSU_SV_EUlSU_E_NS1_11comp_targetILNS1_3genE10ELNS1_11target_archE1201ELNS1_3gpuE5ELNS1_3repE0EEENS1_30default_config_static_selectorELNS0_4arch9wavefront6targetE1EEEvT1_
; %bb.0:
	.section	.rodata,"a",@progbits
	.p2align	6, 0x0
	.amdhsa_kernel _ZN7rocprim17ROCPRIM_400000_NS6detail17trampoline_kernelINS0_14default_configENS1_27scan_by_key_config_selectorIsiEEZZNS1_16scan_by_key_implILNS1_25lookback_scan_determinismE0ELb1ES3_N6thrust23THRUST_200600_302600_NS6detail15normal_iteratorINS9_10device_ptrIsEEEESE_SE_iNS9_4plusIvEENS9_8equal_toIvEEiEE10hipError_tPvRmT2_T3_T4_T5_mT6_T7_P12ihipStream_tbENKUlT_T0_E_clISt17integral_constantIbLb1EESY_IbLb0EEEEDaSU_SV_EUlSU_E_NS1_11comp_targetILNS1_3genE10ELNS1_11target_archE1201ELNS1_3gpuE5ELNS1_3repE0EEENS1_30default_config_static_selectorELNS0_4arch9wavefront6targetE1EEEvT1_
		.amdhsa_group_segment_fixed_size 0
		.amdhsa_private_segment_fixed_size 0
		.amdhsa_kernarg_size 112
		.amdhsa_user_sgpr_count 6
		.amdhsa_user_sgpr_private_segment_buffer 1
		.amdhsa_user_sgpr_dispatch_ptr 0
		.amdhsa_user_sgpr_queue_ptr 0
		.amdhsa_user_sgpr_kernarg_segment_ptr 1
		.amdhsa_user_sgpr_dispatch_id 0
		.amdhsa_user_sgpr_flat_scratch_init 0
		.amdhsa_user_sgpr_kernarg_preload_length 0
		.amdhsa_user_sgpr_kernarg_preload_offset 0
		.amdhsa_user_sgpr_private_segment_size 0
		.amdhsa_uses_dynamic_stack 0
		.amdhsa_system_sgpr_private_segment_wavefront_offset 0
		.amdhsa_system_sgpr_workgroup_id_x 1
		.amdhsa_system_sgpr_workgroup_id_y 0
		.amdhsa_system_sgpr_workgroup_id_z 0
		.amdhsa_system_sgpr_workgroup_info 0
		.amdhsa_system_vgpr_workitem_id 0
		.amdhsa_next_free_vgpr 1
		.amdhsa_next_free_sgpr 0
		.amdhsa_accum_offset 4
		.amdhsa_reserve_vcc 0
		.amdhsa_reserve_flat_scratch 0
		.amdhsa_float_round_mode_32 0
		.amdhsa_float_round_mode_16_64 0
		.amdhsa_float_denorm_mode_32 3
		.amdhsa_float_denorm_mode_16_64 3
		.amdhsa_dx10_clamp 1
		.amdhsa_ieee_mode 1
		.amdhsa_fp16_overflow 0
		.amdhsa_tg_split 0
		.amdhsa_exception_fp_ieee_invalid_op 0
		.amdhsa_exception_fp_denorm_src 0
		.amdhsa_exception_fp_ieee_div_zero 0
		.amdhsa_exception_fp_ieee_overflow 0
		.amdhsa_exception_fp_ieee_underflow 0
		.amdhsa_exception_fp_ieee_inexact 0
		.amdhsa_exception_int_div_zero 0
	.end_amdhsa_kernel
	.section	.text._ZN7rocprim17ROCPRIM_400000_NS6detail17trampoline_kernelINS0_14default_configENS1_27scan_by_key_config_selectorIsiEEZZNS1_16scan_by_key_implILNS1_25lookback_scan_determinismE0ELb1ES3_N6thrust23THRUST_200600_302600_NS6detail15normal_iteratorINS9_10device_ptrIsEEEESE_SE_iNS9_4plusIvEENS9_8equal_toIvEEiEE10hipError_tPvRmT2_T3_T4_T5_mT6_T7_P12ihipStream_tbENKUlT_T0_E_clISt17integral_constantIbLb1EESY_IbLb0EEEEDaSU_SV_EUlSU_E_NS1_11comp_targetILNS1_3genE10ELNS1_11target_archE1201ELNS1_3gpuE5ELNS1_3repE0EEENS1_30default_config_static_selectorELNS0_4arch9wavefront6targetE1EEEvT1_,"axG",@progbits,_ZN7rocprim17ROCPRIM_400000_NS6detail17trampoline_kernelINS0_14default_configENS1_27scan_by_key_config_selectorIsiEEZZNS1_16scan_by_key_implILNS1_25lookback_scan_determinismE0ELb1ES3_N6thrust23THRUST_200600_302600_NS6detail15normal_iteratorINS9_10device_ptrIsEEEESE_SE_iNS9_4plusIvEENS9_8equal_toIvEEiEE10hipError_tPvRmT2_T3_T4_T5_mT6_T7_P12ihipStream_tbENKUlT_T0_E_clISt17integral_constantIbLb1EESY_IbLb0EEEEDaSU_SV_EUlSU_E_NS1_11comp_targetILNS1_3genE10ELNS1_11target_archE1201ELNS1_3gpuE5ELNS1_3repE0EEENS1_30default_config_static_selectorELNS0_4arch9wavefront6targetE1EEEvT1_,comdat
.Lfunc_end1063:
	.size	_ZN7rocprim17ROCPRIM_400000_NS6detail17trampoline_kernelINS0_14default_configENS1_27scan_by_key_config_selectorIsiEEZZNS1_16scan_by_key_implILNS1_25lookback_scan_determinismE0ELb1ES3_N6thrust23THRUST_200600_302600_NS6detail15normal_iteratorINS9_10device_ptrIsEEEESE_SE_iNS9_4plusIvEENS9_8equal_toIvEEiEE10hipError_tPvRmT2_T3_T4_T5_mT6_T7_P12ihipStream_tbENKUlT_T0_E_clISt17integral_constantIbLb1EESY_IbLb0EEEEDaSU_SV_EUlSU_E_NS1_11comp_targetILNS1_3genE10ELNS1_11target_archE1201ELNS1_3gpuE5ELNS1_3repE0EEENS1_30default_config_static_selectorELNS0_4arch9wavefront6targetE1EEEvT1_, .Lfunc_end1063-_ZN7rocprim17ROCPRIM_400000_NS6detail17trampoline_kernelINS0_14default_configENS1_27scan_by_key_config_selectorIsiEEZZNS1_16scan_by_key_implILNS1_25lookback_scan_determinismE0ELb1ES3_N6thrust23THRUST_200600_302600_NS6detail15normal_iteratorINS9_10device_ptrIsEEEESE_SE_iNS9_4plusIvEENS9_8equal_toIvEEiEE10hipError_tPvRmT2_T3_T4_T5_mT6_T7_P12ihipStream_tbENKUlT_T0_E_clISt17integral_constantIbLb1EESY_IbLb0EEEEDaSU_SV_EUlSU_E_NS1_11comp_targetILNS1_3genE10ELNS1_11target_archE1201ELNS1_3gpuE5ELNS1_3repE0EEENS1_30default_config_static_selectorELNS0_4arch9wavefront6targetE1EEEvT1_
                                        ; -- End function
	.section	.AMDGPU.csdata,"",@progbits
; Kernel info:
; codeLenInByte = 0
; NumSgprs: 4
; NumVgprs: 0
; NumAgprs: 0
; TotalNumVgprs: 0
; ScratchSize: 0
; MemoryBound: 0
; FloatMode: 240
; IeeeMode: 1
; LDSByteSize: 0 bytes/workgroup (compile time only)
; SGPRBlocks: 0
; VGPRBlocks: 0
; NumSGPRsForWavesPerEU: 4
; NumVGPRsForWavesPerEU: 1
; AccumOffset: 4
; Occupancy: 8
; WaveLimiterHint : 0
; COMPUTE_PGM_RSRC2:SCRATCH_EN: 0
; COMPUTE_PGM_RSRC2:USER_SGPR: 6
; COMPUTE_PGM_RSRC2:TRAP_HANDLER: 0
; COMPUTE_PGM_RSRC2:TGID_X_EN: 1
; COMPUTE_PGM_RSRC2:TGID_Y_EN: 0
; COMPUTE_PGM_RSRC2:TGID_Z_EN: 0
; COMPUTE_PGM_RSRC2:TIDIG_COMP_CNT: 0
; COMPUTE_PGM_RSRC3_GFX90A:ACCUM_OFFSET: 0
; COMPUTE_PGM_RSRC3_GFX90A:TG_SPLIT: 0
	.section	.text._ZN7rocprim17ROCPRIM_400000_NS6detail17trampoline_kernelINS0_14default_configENS1_27scan_by_key_config_selectorIsiEEZZNS1_16scan_by_key_implILNS1_25lookback_scan_determinismE0ELb1ES3_N6thrust23THRUST_200600_302600_NS6detail15normal_iteratorINS9_10device_ptrIsEEEESE_SE_iNS9_4plusIvEENS9_8equal_toIvEEiEE10hipError_tPvRmT2_T3_T4_T5_mT6_T7_P12ihipStream_tbENKUlT_T0_E_clISt17integral_constantIbLb1EESY_IbLb0EEEEDaSU_SV_EUlSU_E_NS1_11comp_targetILNS1_3genE5ELNS1_11target_archE942ELNS1_3gpuE9ELNS1_3repE0EEENS1_30default_config_static_selectorELNS0_4arch9wavefront6targetE1EEEvT1_,"axG",@progbits,_ZN7rocprim17ROCPRIM_400000_NS6detail17trampoline_kernelINS0_14default_configENS1_27scan_by_key_config_selectorIsiEEZZNS1_16scan_by_key_implILNS1_25lookback_scan_determinismE0ELb1ES3_N6thrust23THRUST_200600_302600_NS6detail15normal_iteratorINS9_10device_ptrIsEEEESE_SE_iNS9_4plusIvEENS9_8equal_toIvEEiEE10hipError_tPvRmT2_T3_T4_T5_mT6_T7_P12ihipStream_tbENKUlT_T0_E_clISt17integral_constantIbLb1EESY_IbLb0EEEEDaSU_SV_EUlSU_E_NS1_11comp_targetILNS1_3genE5ELNS1_11target_archE942ELNS1_3gpuE9ELNS1_3repE0EEENS1_30default_config_static_selectorELNS0_4arch9wavefront6targetE1EEEvT1_,comdat
	.protected	_ZN7rocprim17ROCPRIM_400000_NS6detail17trampoline_kernelINS0_14default_configENS1_27scan_by_key_config_selectorIsiEEZZNS1_16scan_by_key_implILNS1_25lookback_scan_determinismE0ELb1ES3_N6thrust23THRUST_200600_302600_NS6detail15normal_iteratorINS9_10device_ptrIsEEEESE_SE_iNS9_4plusIvEENS9_8equal_toIvEEiEE10hipError_tPvRmT2_T3_T4_T5_mT6_T7_P12ihipStream_tbENKUlT_T0_E_clISt17integral_constantIbLb1EESY_IbLb0EEEEDaSU_SV_EUlSU_E_NS1_11comp_targetILNS1_3genE5ELNS1_11target_archE942ELNS1_3gpuE9ELNS1_3repE0EEENS1_30default_config_static_selectorELNS0_4arch9wavefront6targetE1EEEvT1_ ; -- Begin function _ZN7rocprim17ROCPRIM_400000_NS6detail17trampoline_kernelINS0_14default_configENS1_27scan_by_key_config_selectorIsiEEZZNS1_16scan_by_key_implILNS1_25lookback_scan_determinismE0ELb1ES3_N6thrust23THRUST_200600_302600_NS6detail15normal_iteratorINS9_10device_ptrIsEEEESE_SE_iNS9_4plusIvEENS9_8equal_toIvEEiEE10hipError_tPvRmT2_T3_T4_T5_mT6_T7_P12ihipStream_tbENKUlT_T0_E_clISt17integral_constantIbLb1EESY_IbLb0EEEEDaSU_SV_EUlSU_E_NS1_11comp_targetILNS1_3genE5ELNS1_11target_archE942ELNS1_3gpuE9ELNS1_3repE0EEENS1_30default_config_static_selectorELNS0_4arch9wavefront6targetE1EEEvT1_
	.globl	_ZN7rocprim17ROCPRIM_400000_NS6detail17trampoline_kernelINS0_14default_configENS1_27scan_by_key_config_selectorIsiEEZZNS1_16scan_by_key_implILNS1_25lookback_scan_determinismE0ELb1ES3_N6thrust23THRUST_200600_302600_NS6detail15normal_iteratorINS9_10device_ptrIsEEEESE_SE_iNS9_4plusIvEENS9_8equal_toIvEEiEE10hipError_tPvRmT2_T3_T4_T5_mT6_T7_P12ihipStream_tbENKUlT_T0_E_clISt17integral_constantIbLb1EESY_IbLb0EEEEDaSU_SV_EUlSU_E_NS1_11comp_targetILNS1_3genE5ELNS1_11target_archE942ELNS1_3gpuE9ELNS1_3repE0EEENS1_30default_config_static_selectorELNS0_4arch9wavefront6targetE1EEEvT1_
	.p2align	8
	.type	_ZN7rocprim17ROCPRIM_400000_NS6detail17trampoline_kernelINS0_14default_configENS1_27scan_by_key_config_selectorIsiEEZZNS1_16scan_by_key_implILNS1_25lookback_scan_determinismE0ELb1ES3_N6thrust23THRUST_200600_302600_NS6detail15normal_iteratorINS9_10device_ptrIsEEEESE_SE_iNS9_4plusIvEENS9_8equal_toIvEEiEE10hipError_tPvRmT2_T3_T4_T5_mT6_T7_P12ihipStream_tbENKUlT_T0_E_clISt17integral_constantIbLb1EESY_IbLb0EEEEDaSU_SV_EUlSU_E_NS1_11comp_targetILNS1_3genE5ELNS1_11target_archE942ELNS1_3gpuE9ELNS1_3repE0EEENS1_30default_config_static_selectorELNS0_4arch9wavefront6targetE1EEEvT1_,@function
_ZN7rocprim17ROCPRIM_400000_NS6detail17trampoline_kernelINS0_14default_configENS1_27scan_by_key_config_selectorIsiEEZZNS1_16scan_by_key_implILNS1_25lookback_scan_determinismE0ELb1ES3_N6thrust23THRUST_200600_302600_NS6detail15normal_iteratorINS9_10device_ptrIsEEEESE_SE_iNS9_4plusIvEENS9_8equal_toIvEEiEE10hipError_tPvRmT2_T3_T4_T5_mT6_T7_P12ihipStream_tbENKUlT_T0_E_clISt17integral_constantIbLb1EESY_IbLb0EEEEDaSU_SV_EUlSU_E_NS1_11comp_targetILNS1_3genE5ELNS1_11target_archE942ELNS1_3gpuE9ELNS1_3repE0EEENS1_30default_config_static_selectorELNS0_4arch9wavefront6targetE1EEEvT1_: ; @_ZN7rocprim17ROCPRIM_400000_NS6detail17trampoline_kernelINS0_14default_configENS1_27scan_by_key_config_selectorIsiEEZZNS1_16scan_by_key_implILNS1_25lookback_scan_determinismE0ELb1ES3_N6thrust23THRUST_200600_302600_NS6detail15normal_iteratorINS9_10device_ptrIsEEEESE_SE_iNS9_4plusIvEENS9_8equal_toIvEEiEE10hipError_tPvRmT2_T3_T4_T5_mT6_T7_P12ihipStream_tbENKUlT_T0_E_clISt17integral_constantIbLb1EESY_IbLb0EEEEDaSU_SV_EUlSU_E_NS1_11comp_targetILNS1_3genE5ELNS1_11target_archE942ELNS1_3gpuE9ELNS1_3repE0EEENS1_30default_config_static_selectorELNS0_4arch9wavefront6targetE1EEEvT1_
; %bb.0:
	.section	.rodata,"a",@progbits
	.p2align	6, 0x0
	.amdhsa_kernel _ZN7rocprim17ROCPRIM_400000_NS6detail17trampoline_kernelINS0_14default_configENS1_27scan_by_key_config_selectorIsiEEZZNS1_16scan_by_key_implILNS1_25lookback_scan_determinismE0ELb1ES3_N6thrust23THRUST_200600_302600_NS6detail15normal_iteratorINS9_10device_ptrIsEEEESE_SE_iNS9_4plusIvEENS9_8equal_toIvEEiEE10hipError_tPvRmT2_T3_T4_T5_mT6_T7_P12ihipStream_tbENKUlT_T0_E_clISt17integral_constantIbLb1EESY_IbLb0EEEEDaSU_SV_EUlSU_E_NS1_11comp_targetILNS1_3genE5ELNS1_11target_archE942ELNS1_3gpuE9ELNS1_3repE0EEENS1_30default_config_static_selectorELNS0_4arch9wavefront6targetE1EEEvT1_
		.amdhsa_group_segment_fixed_size 0
		.amdhsa_private_segment_fixed_size 0
		.amdhsa_kernarg_size 112
		.amdhsa_user_sgpr_count 6
		.amdhsa_user_sgpr_private_segment_buffer 1
		.amdhsa_user_sgpr_dispatch_ptr 0
		.amdhsa_user_sgpr_queue_ptr 0
		.amdhsa_user_sgpr_kernarg_segment_ptr 1
		.amdhsa_user_sgpr_dispatch_id 0
		.amdhsa_user_sgpr_flat_scratch_init 0
		.amdhsa_user_sgpr_kernarg_preload_length 0
		.amdhsa_user_sgpr_kernarg_preload_offset 0
		.amdhsa_user_sgpr_private_segment_size 0
		.amdhsa_uses_dynamic_stack 0
		.amdhsa_system_sgpr_private_segment_wavefront_offset 0
		.amdhsa_system_sgpr_workgroup_id_x 1
		.amdhsa_system_sgpr_workgroup_id_y 0
		.amdhsa_system_sgpr_workgroup_id_z 0
		.amdhsa_system_sgpr_workgroup_info 0
		.amdhsa_system_vgpr_workitem_id 0
		.amdhsa_next_free_vgpr 1
		.amdhsa_next_free_sgpr 0
		.amdhsa_accum_offset 4
		.amdhsa_reserve_vcc 0
		.amdhsa_reserve_flat_scratch 0
		.amdhsa_float_round_mode_32 0
		.amdhsa_float_round_mode_16_64 0
		.amdhsa_float_denorm_mode_32 3
		.amdhsa_float_denorm_mode_16_64 3
		.amdhsa_dx10_clamp 1
		.amdhsa_ieee_mode 1
		.amdhsa_fp16_overflow 0
		.amdhsa_tg_split 0
		.amdhsa_exception_fp_ieee_invalid_op 0
		.amdhsa_exception_fp_denorm_src 0
		.amdhsa_exception_fp_ieee_div_zero 0
		.amdhsa_exception_fp_ieee_overflow 0
		.amdhsa_exception_fp_ieee_underflow 0
		.amdhsa_exception_fp_ieee_inexact 0
		.amdhsa_exception_int_div_zero 0
	.end_amdhsa_kernel
	.section	.text._ZN7rocprim17ROCPRIM_400000_NS6detail17trampoline_kernelINS0_14default_configENS1_27scan_by_key_config_selectorIsiEEZZNS1_16scan_by_key_implILNS1_25lookback_scan_determinismE0ELb1ES3_N6thrust23THRUST_200600_302600_NS6detail15normal_iteratorINS9_10device_ptrIsEEEESE_SE_iNS9_4plusIvEENS9_8equal_toIvEEiEE10hipError_tPvRmT2_T3_T4_T5_mT6_T7_P12ihipStream_tbENKUlT_T0_E_clISt17integral_constantIbLb1EESY_IbLb0EEEEDaSU_SV_EUlSU_E_NS1_11comp_targetILNS1_3genE5ELNS1_11target_archE942ELNS1_3gpuE9ELNS1_3repE0EEENS1_30default_config_static_selectorELNS0_4arch9wavefront6targetE1EEEvT1_,"axG",@progbits,_ZN7rocprim17ROCPRIM_400000_NS6detail17trampoline_kernelINS0_14default_configENS1_27scan_by_key_config_selectorIsiEEZZNS1_16scan_by_key_implILNS1_25lookback_scan_determinismE0ELb1ES3_N6thrust23THRUST_200600_302600_NS6detail15normal_iteratorINS9_10device_ptrIsEEEESE_SE_iNS9_4plusIvEENS9_8equal_toIvEEiEE10hipError_tPvRmT2_T3_T4_T5_mT6_T7_P12ihipStream_tbENKUlT_T0_E_clISt17integral_constantIbLb1EESY_IbLb0EEEEDaSU_SV_EUlSU_E_NS1_11comp_targetILNS1_3genE5ELNS1_11target_archE942ELNS1_3gpuE9ELNS1_3repE0EEENS1_30default_config_static_selectorELNS0_4arch9wavefront6targetE1EEEvT1_,comdat
.Lfunc_end1064:
	.size	_ZN7rocprim17ROCPRIM_400000_NS6detail17trampoline_kernelINS0_14default_configENS1_27scan_by_key_config_selectorIsiEEZZNS1_16scan_by_key_implILNS1_25lookback_scan_determinismE0ELb1ES3_N6thrust23THRUST_200600_302600_NS6detail15normal_iteratorINS9_10device_ptrIsEEEESE_SE_iNS9_4plusIvEENS9_8equal_toIvEEiEE10hipError_tPvRmT2_T3_T4_T5_mT6_T7_P12ihipStream_tbENKUlT_T0_E_clISt17integral_constantIbLb1EESY_IbLb0EEEEDaSU_SV_EUlSU_E_NS1_11comp_targetILNS1_3genE5ELNS1_11target_archE942ELNS1_3gpuE9ELNS1_3repE0EEENS1_30default_config_static_selectorELNS0_4arch9wavefront6targetE1EEEvT1_, .Lfunc_end1064-_ZN7rocprim17ROCPRIM_400000_NS6detail17trampoline_kernelINS0_14default_configENS1_27scan_by_key_config_selectorIsiEEZZNS1_16scan_by_key_implILNS1_25lookback_scan_determinismE0ELb1ES3_N6thrust23THRUST_200600_302600_NS6detail15normal_iteratorINS9_10device_ptrIsEEEESE_SE_iNS9_4plusIvEENS9_8equal_toIvEEiEE10hipError_tPvRmT2_T3_T4_T5_mT6_T7_P12ihipStream_tbENKUlT_T0_E_clISt17integral_constantIbLb1EESY_IbLb0EEEEDaSU_SV_EUlSU_E_NS1_11comp_targetILNS1_3genE5ELNS1_11target_archE942ELNS1_3gpuE9ELNS1_3repE0EEENS1_30default_config_static_selectorELNS0_4arch9wavefront6targetE1EEEvT1_
                                        ; -- End function
	.section	.AMDGPU.csdata,"",@progbits
; Kernel info:
; codeLenInByte = 0
; NumSgprs: 4
; NumVgprs: 0
; NumAgprs: 0
; TotalNumVgprs: 0
; ScratchSize: 0
; MemoryBound: 0
; FloatMode: 240
; IeeeMode: 1
; LDSByteSize: 0 bytes/workgroup (compile time only)
; SGPRBlocks: 0
; VGPRBlocks: 0
; NumSGPRsForWavesPerEU: 4
; NumVGPRsForWavesPerEU: 1
; AccumOffset: 4
; Occupancy: 8
; WaveLimiterHint : 0
; COMPUTE_PGM_RSRC2:SCRATCH_EN: 0
; COMPUTE_PGM_RSRC2:USER_SGPR: 6
; COMPUTE_PGM_RSRC2:TRAP_HANDLER: 0
; COMPUTE_PGM_RSRC2:TGID_X_EN: 1
; COMPUTE_PGM_RSRC2:TGID_Y_EN: 0
; COMPUTE_PGM_RSRC2:TGID_Z_EN: 0
; COMPUTE_PGM_RSRC2:TIDIG_COMP_CNT: 0
; COMPUTE_PGM_RSRC3_GFX90A:ACCUM_OFFSET: 0
; COMPUTE_PGM_RSRC3_GFX90A:TG_SPLIT: 0
	.section	.text._ZN7rocprim17ROCPRIM_400000_NS6detail17trampoline_kernelINS0_14default_configENS1_27scan_by_key_config_selectorIsiEEZZNS1_16scan_by_key_implILNS1_25lookback_scan_determinismE0ELb1ES3_N6thrust23THRUST_200600_302600_NS6detail15normal_iteratorINS9_10device_ptrIsEEEESE_SE_iNS9_4plusIvEENS9_8equal_toIvEEiEE10hipError_tPvRmT2_T3_T4_T5_mT6_T7_P12ihipStream_tbENKUlT_T0_E_clISt17integral_constantIbLb1EESY_IbLb0EEEEDaSU_SV_EUlSU_E_NS1_11comp_targetILNS1_3genE4ELNS1_11target_archE910ELNS1_3gpuE8ELNS1_3repE0EEENS1_30default_config_static_selectorELNS0_4arch9wavefront6targetE1EEEvT1_,"axG",@progbits,_ZN7rocprim17ROCPRIM_400000_NS6detail17trampoline_kernelINS0_14default_configENS1_27scan_by_key_config_selectorIsiEEZZNS1_16scan_by_key_implILNS1_25lookback_scan_determinismE0ELb1ES3_N6thrust23THRUST_200600_302600_NS6detail15normal_iteratorINS9_10device_ptrIsEEEESE_SE_iNS9_4plusIvEENS9_8equal_toIvEEiEE10hipError_tPvRmT2_T3_T4_T5_mT6_T7_P12ihipStream_tbENKUlT_T0_E_clISt17integral_constantIbLb1EESY_IbLb0EEEEDaSU_SV_EUlSU_E_NS1_11comp_targetILNS1_3genE4ELNS1_11target_archE910ELNS1_3gpuE8ELNS1_3repE0EEENS1_30default_config_static_selectorELNS0_4arch9wavefront6targetE1EEEvT1_,comdat
	.protected	_ZN7rocprim17ROCPRIM_400000_NS6detail17trampoline_kernelINS0_14default_configENS1_27scan_by_key_config_selectorIsiEEZZNS1_16scan_by_key_implILNS1_25lookback_scan_determinismE0ELb1ES3_N6thrust23THRUST_200600_302600_NS6detail15normal_iteratorINS9_10device_ptrIsEEEESE_SE_iNS9_4plusIvEENS9_8equal_toIvEEiEE10hipError_tPvRmT2_T3_T4_T5_mT6_T7_P12ihipStream_tbENKUlT_T0_E_clISt17integral_constantIbLb1EESY_IbLb0EEEEDaSU_SV_EUlSU_E_NS1_11comp_targetILNS1_3genE4ELNS1_11target_archE910ELNS1_3gpuE8ELNS1_3repE0EEENS1_30default_config_static_selectorELNS0_4arch9wavefront6targetE1EEEvT1_ ; -- Begin function _ZN7rocprim17ROCPRIM_400000_NS6detail17trampoline_kernelINS0_14default_configENS1_27scan_by_key_config_selectorIsiEEZZNS1_16scan_by_key_implILNS1_25lookback_scan_determinismE0ELb1ES3_N6thrust23THRUST_200600_302600_NS6detail15normal_iteratorINS9_10device_ptrIsEEEESE_SE_iNS9_4plusIvEENS9_8equal_toIvEEiEE10hipError_tPvRmT2_T3_T4_T5_mT6_T7_P12ihipStream_tbENKUlT_T0_E_clISt17integral_constantIbLb1EESY_IbLb0EEEEDaSU_SV_EUlSU_E_NS1_11comp_targetILNS1_3genE4ELNS1_11target_archE910ELNS1_3gpuE8ELNS1_3repE0EEENS1_30default_config_static_selectorELNS0_4arch9wavefront6targetE1EEEvT1_
	.globl	_ZN7rocprim17ROCPRIM_400000_NS6detail17trampoline_kernelINS0_14default_configENS1_27scan_by_key_config_selectorIsiEEZZNS1_16scan_by_key_implILNS1_25lookback_scan_determinismE0ELb1ES3_N6thrust23THRUST_200600_302600_NS6detail15normal_iteratorINS9_10device_ptrIsEEEESE_SE_iNS9_4plusIvEENS9_8equal_toIvEEiEE10hipError_tPvRmT2_T3_T4_T5_mT6_T7_P12ihipStream_tbENKUlT_T0_E_clISt17integral_constantIbLb1EESY_IbLb0EEEEDaSU_SV_EUlSU_E_NS1_11comp_targetILNS1_3genE4ELNS1_11target_archE910ELNS1_3gpuE8ELNS1_3repE0EEENS1_30default_config_static_selectorELNS0_4arch9wavefront6targetE1EEEvT1_
	.p2align	8
	.type	_ZN7rocprim17ROCPRIM_400000_NS6detail17trampoline_kernelINS0_14default_configENS1_27scan_by_key_config_selectorIsiEEZZNS1_16scan_by_key_implILNS1_25lookback_scan_determinismE0ELb1ES3_N6thrust23THRUST_200600_302600_NS6detail15normal_iteratorINS9_10device_ptrIsEEEESE_SE_iNS9_4plusIvEENS9_8equal_toIvEEiEE10hipError_tPvRmT2_T3_T4_T5_mT6_T7_P12ihipStream_tbENKUlT_T0_E_clISt17integral_constantIbLb1EESY_IbLb0EEEEDaSU_SV_EUlSU_E_NS1_11comp_targetILNS1_3genE4ELNS1_11target_archE910ELNS1_3gpuE8ELNS1_3repE0EEENS1_30default_config_static_selectorELNS0_4arch9wavefront6targetE1EEEvT1_,@function
_ZN7rocprim17ROCPRIM_400000_NS6detail17trampoline_kernelINS0_14default_configENS1_27scan_by_key_config_selectorIsiEEZZNS1_16scan_by_key_implILNS1_25lookback_scan_determinismE0ELb1ES3_N6thrust23THRUST_200600_302600_NS6detail15normal_iteratorINS9_10device_ptrIsEEEESE_SE_iNS9_4plusIvEENS9_8equal_toIvEEiEE10hipError_tPvRmT2_T3_T4_T5_mT6_T7_P12ihipStream_tbENKUlT_T0_E_clISt17integral_constantIbLb1EESY_IbLb0EEEEDaSU_SV_EUlSU_E_NS1_11comp_targetILNS1_3genE4ELNS1_11target_archE910ELNS1_3gpuE8ELNS1_3repE0EEENS1_30default_config_static_selectorELNS0_4arch9wavefront6targetE1EEEvT1_: ; @_ZN7rocprim17ROCPRIM_400000_NS6detail17trampoline_kernelINS0_14default_configENS1_27scan_by_key_config_selectorIsiEEZZNS1_16scan_by_key_implILNS1_25lookback_scan_determinismE0ELb1ES3_N6thrust23THRUST_200600_302600_NS6detail15normal_iteratorINS9_10device_ptrIsEEEESE_SE_iNS9_4plusIvEENS9_8equal_toIvEEiEE10hipError_tPvRmT2_T3_T4_T5_mT6_T7_P12ihipStream_tbENKUlT_T0_E_clISt17integral_constantIbLb1EESY_IbLb0EEEEDaSU_SV_EUlSU_E_NS1_11comp_targetILNS1_3genE4ELNS1_11target_archE910ELNS1_3gpuE8ELNS1_3repE0EEENS1_30default_config_static_selectorELNS0_4arch9wavefront6targetE1EEEvT1_
; %bb.0:
	s_load_dwordx8 s[20:27], s[4:5], 0x0
	s_load_dword s33, s[4:5], 0x20
	s_load_dwordx4 s[28:31], s[4:5], 0x28
	s_load_dwordx2 s[40:41], s[4:5], 0x38
	s_load_dword s0, s[4:5], 0x40
	s_load_dwordx4 s[36:39], s[4:5], 0x48
	s_waitcnt lgkmcnt(0)
	s_lshl_b64 s[34:35], s[22:23], 1
	s_add_u32 s2, s20, s34
	s_addc_u32 s3, s21, s35
	s_add_u32 s4, s24, s34
	s_mul_i32 s1, s41, s0
	s_mul_hi_u32 s7, s40, s0
	s_addc_u32 s5, s25, s35
	s_add_i32 s8, s7, s1
	s_mul_i32 s9, s40, s0
	s_mul_i32 s0, s6, 0x900
	s_mov_b32 s1, 0
	s_lshl_b64 s[24:25], s[0:1], 1
	s_add_u32 s22, s2, s24
	s_addc_u32 s23, s3, s25
	s_add_u32 s7, s4, s24
	s_addc_u32 s46, s5, s25
	;; [unrolled: 2-line block ×3, first 2 shown]
	s_add_u32 s4, s36, -1
	s_addc_u32 s5, s37, -1
	v_pk_mov_b32 v[2:3], s[4:5], s[4:5] op_sel:[0,1]
	v_cmp_ge_u64_e64 s[0:1], s[0:1], v[2:3]
	s_mov_b64 s[2:3], -1
	s_and_b64 vcc, exec, s[0:1]
	s_mul_i32 s31, s4, 0xfffff700
	s_barrier
	s_cbranch_vccz .LBB1065_29
; %bb.1:
	v_pk_mov_b32 v[2:3], s[22:23], s[22:23] op_sel:[0,1]
	flat_load_ushort v1, v[2:3]
	s_add_i32 s44, s31, s30
	v_cmp_gt_u32_e32 vcc, s44, v0
	s_waitcnt vmcnt(0) lgkmcnt(0)
	v_mov_b32_e32 v2, v1
	s_and_saveexec_b64 s[4:5], vcc
	s_cbranch_execz .LBB1065_3
; %bb.2:
	v_lshlrev_b32_e32 v2, 1, v0
	v_mov_b32_e32 v3, s23
	v_add_co_u32_e64 v2, s[2:3], s22, v2
	v_addc_co_u32_e64 v3, s[2:3], 0, v3, s[2:3]
	flat_load_ushort v2, v[2:3]
.LBB1065_3:
	s_or_b64 exec, exec, s[4:5]
	v_or_b32_e32 v3, 0x100, v0
	v_cmp_gt_u32_e64 s[2:3], s44, v3
	v_mov_b32_e32 v3, v1
	s_and_saveexec_b64 s[8:9], s[2:3]
	s_cbranch_execz .LBB1065_5
; %bb.4:
	v_lshlrev_b32_e32 v3, 1, v0
	v_mov_b32_e32 v5, s23
	v_add_co_u32_e64 v4, s[4:5], s22, v3
	v_addc_co_u32_e64 v5, s[4:5], 0, v5, s[4:5]
	flat_load_ushort v3, v[4:5] offset:512
.LBB1065_5:
	s_or_b64 exec, exec, s[8:9]
	v_or_b32_e32 v4, 0x200, v0
	v_cmp_gt_u32_e64 s[4:5], s44, v4
	v_mov_b32_e32 v4, v1
	s_and_saveexec_b64 s[10:11], s[4:5]
	s_cbranch_execz .LBB1065_7
; %bb.6:
	v_lshlrev_b32_e32 v4, 1, v0
	v_mov_b32_e32 v5, s23
	v_add_co_u32_e64 v4, s[8:9], s22, v4
	v_addc_co_u32_e64 v5, s[8:9], 0, v5, s[8:9]
	flat_load_ushort v4, v[4:5] offset:1024
.LBB1065_7:
	;; [unrolled: 13-line block ×7, first 2 shown]
	s_or_b64 exec, exec, s[20:21]
	v_or_b32_e32 v6, 0x800, v0
	v_cmp_gt_u32_e64 s[16:17], s44, v6
	s_and_saveexec_b64 s[36:37], s[16:17]
	s_cbranch_execz .LBB1065_19
; %bb.18:
	v_lshlrev_b32_e32 v1, 1, v6
	v_mov_b32_e32 v9, s23
	v_add_co_u32_e64 v12, s[20:21], s22, v1
	v_addc_co_u32_e64 v13, s[20:21], 0, v9, s[20:21]
	flat_load_ushort v1, v[12:13]
.LBB1065_19:
	s_or_b64 exec, exec, s[36:37]
	v_lshlrev_b32_e32 v9, 1, v0
	s_waitcnt vmcnt(0) lgkmcnt(0)
	ds_write_b16 v9, v2
	ds_write_b16 v9, v3 offset:512
	ds_write_b16 v9, v4 offset:1024
	;; [unrolled: 1-line block ×8, first 2 shown]
	v_pk_mov_b32 v[2:3], s[22:23], s[22:23] op_sel:[0,1]
	s_waitcnt lgkmcnt(0)
	s_barrier
	flat_load_ushort v1, v[2:3]
	v_lshl_add_u32 v2, v0, 4, v9
	ds_read_u16 v7, v2
	ds_read_b128 v[2:5], v2 offset:2
	s_movk_i32 s20, 0xff
	v_cmp_ne_u32_e64 s[20:21], s20, v0
	s_waitcnt lgkmcnt(0)
	ds_write_b16 v9, v7 offset:5120
	s_waitcnt lgkmcnt(0)
	s_barrier
	s_and_saveexec_b64 s[36:37], s[20:21]
	s_cbranch_execz .LBB1065_21
; %bb.20:
	s_waitcnt vmcnt(0)
	ds_read_u16 v1, v9 offset:5122
.LBB1065_21:
	s_or_b64 exec, exec, s[36:37]
	s_waitcnt lgkmcnt(0)
	s_barrier
	s_waitcnt lgkmcnt(0)
                                        ; implicit-def: $vgpr10
	s_and_saveexec_b64 s[20:21], vcc
	s_cbranch_execz .LBB1065_30
; %bb.22:
	v_mov_b32_e32 v8, s46
	v_add_co_u32_e32 v10, vcc, s7, v9
	v_addc_co_u32_e32 v11, vcc, 0, v8, vcc
	flat_load_sshort v10, v[10:11]
	s_or_b64 exec, exec, s[20:21]
                                        ; implicit-def: $vgpr11
	s_and_saveexec_b64 s[20:21], s[2:3]
	s_cbranch_execnz .LBB1065_31
.LBB1065_23:
	s_or_b64 exec, exec, s[20:21]
                                        ; implicit-def: $vgpr12
	s_and_saveexec_b64 s[2:3], s[4:5]
	s_cbranch_execz .LBB1065_32
.LBB1065_24:
	v_mov_b32_e32 v8, s46
	v_add_co_u32_e32 v12, vcc, s7, v9
	v_addc_co_u32_e32 v13, vcc, 0, v8, vcc
	flat_load_sshort v12, v[12:13] offset:1024
	s_or_b64 exec, exec, s[2:3]
                                        ; implicit-def: $vgpr13
	s_and_saveexec_b64 s[2:3], s[18:19]
	s_cbranch_execnz .LBB1065_33
.LBB1065_25:
	s_or_b64 exec, exec, s[2:3]
                                        ; implicit-def: $vgpr14
	s_and_saveexec_b64 s[2:3], s[8:9]
	s_cbranch_execz .LBB1065_34
.LBB1065_26:
	v_mov_b32_e32 v8, s46
	v_add_co_u32_e32 v14, vcc, s7, v9
	v_addc_co_u32_e32 v15, vcc, 0, v8, vcc
	flat_load_sshort v14, v[14:15] offset:2048
	s_or_b64 exec, exec, s[2:3]
                                        ; implicit-def: $vgpr15
	s_and_saveexec_b64 s[2:3], s[10:11]
	s_cbranch_execnz .LBB1065_35
.LBB1065_27:
	s_or_b64 exec, exec, s[2:3]
                                        ; implicit-def: $vgpr16
	s_and_saveexec_b64 s[2:3], s[12:13]
	s_cbranch_execz .LBB1065_36
.LBB1065_28:
	v_mov_b32_e32 v8, s46
	v_add_co_u32_e32 v16, vcc, s7, v9
	v_addc_co_u32_e32 v17, vcc, 0, v8, vcc
	flat_load_sshort v16, v[16:17] offset:3072
	s_or_b64 exec, exec, s[2:3]
                                        ; implicit-def: $vgpr17
	s_and_saveexec_b64 s[2:3], s[14:15]
	s_cbranch_execz .LBB1065_38
	s_branch .LBB1065_37
.LBB1065_29:
	s_mov_b64 s[10:11], 0
                                        ; implicit-def: $sgpr8_sgpr9
                                        ; implicit-def: $vgpr6
                                        ; implicit-def: $vgpr10_vgpr11
                                        ; implicit-def: $vgpr12_vgpr13
                                        ; implicit-def: $vgpr14_vgpr15
                                        ; implicit-def: $vgpr16_vgpr17
                                        ; implicit-def: $vgpr18_vgpr19
                                        ; implicit-def: $vgpr20_vgpr21
                                        ; implicit-def: $vgpr22_vgpr23
                                        ; implicit-def: $vgpr24_vgpr25
                                        ; implicit-def: $sgpr4_sgpr5
	s_and_b64 vcc, exec, s[2:3]
	v_lshlrev_b32_e32 v32, 1, v0
	s_cbranch_vccz .LBB1065_64
	s_branch .LBB1065_59
.LBB1065_30:
	s_or_b64 exec, exec, s[20:21]
                                        ; implicit-def: $vgpr11
	s_and_saveexec_b64 s[20:21], s[2:3]
	s_cbranch_execz .LBB1065_23
.LBB1065_31:
	v_mov_b32_e32 v8, s46
	v_add_co_u32_e32 v12, vcc, s7, v9
	v_addc_co_u32_e32 v13, vcc, 0, v8, vcc
	flat_load_sshort v11, v[12:13] offset:512
	s_or_b64 exec, exec, s[20:21]
                                        ; implicit-def: $vgpr12
	s_and_saveexec_b64 s[2:3], s[4:5]
	s_cbranch_execnz .LBB1065_24
.LBB1065_32:
	s_or_b64 exec, exec, s[2:3]
                                        ; implicit-def: $vgpr13
	s_and_saveexec_b64 s[2:3], s[18:19]
	s_cbranch_execz .LBB1065_25
.LBB1065_33:
	v_mov_b32_e32 v8, s46
	v_add_co_u32_e32 v14, vcc, s7, v9
	v_addc_co_u32_e32 v15, vcc, 0, v8, vcc
	flat_load_sshort v13, v[14:15] offset:1536
	s_or_b64 exec, exec, s[2:3]
                                        ; implicit-def: $vgpr14
	s_and_saveexec_b64 s[2:3], s[8:9]
	s_cbranch_execnz .LBB1065_26
.LBB1065_34:
	s_or_b64 exec, exec, s[2:3]
                                        ; implicit-def: $vgpr15
	s_and_saveexec_b64 s[2:3], s[10:11]
	s_cbranch_execz .LBB1065_27
.LBB1065_35:
	v_mov_b32_e32 v8, s46
	v_add_co_u32_e32 v16, vcc, s7, v9
	v_addc_co_u32_e32 v17, vcc, 0, v8, vcc
	flat_load_sshort v15, v[16:17] offset:2560
	s_or_b64 exec, exec, s[2:3]
                                        ; implicit-def: $vgpr16
	s_and_saveexec_b64 s[2:3], s[12:13]
	s_cbranch_execnz .LBB1065_28
.LBB1065_36:
	s_or_b64 exec, exec, s[2:3]
                                        ; implicit-def: $vgpr17
	s_and_saveexec_b64 s[2:3], s[14:15]
	s_cbranch_execz .LBB1065_38
.LBB1065_37:
	v_mov_b32_e32 v8, s46
	v_add_co_u32_e32 v18, vcc, s7, v9
	v_addc_co_u32_e32 v19, vcc, 0, v8, vcc
	flat_load_sshort v17, v[18:19] offset:3584
.LBB1065_38:
	s_or_b64 exec, exec, s[2:3]
	v_mul_u32_u24_e32 v8, 9, v0
                                        ; implicit-def: $vgpr18
	s_and_saveexec_b64 s[2:3], s[16:17]
	s_cbranch_execz .LBB1065_40
; %bb.39:
	v_lshlrev_b32_e32 v6, 1, v6
	v_mov_b32_e32 v19, s46
	v_add_co_u32_e32 v18, vcc, s7, v6
	v_addc_co_u32_e32 v19, vcc, 0, v19, vcc
	flat_load_sshort v18, v[18:19]
.LBB1065_40:
	s_or_b64 exec, exec, s[2:3]
	v_lshl_add_u32 v9, v0, 1, v9
	s_waitcnt vmcnt(0) lgkmcnt(0)
	ds_write2st64_b32 v9, v10, v11 offset1:4
	ds_write2st64_b32 v9, v12, v13 offset0:8 offset1:12
	ds_write2st64_b32 v9, v14, v15 offset0:16 offset1:20
	;; [unrolled: 1-line block ×3, first 2 shown]
	ds_write_b32 v9, v18 offset:8192
	v_pk_mov_b32 v[10:11], 0, 0
	v_cmp_gt_u32_e32 vcc, s44, v8
	s_mov_b64 s[10:11], 0
	s_mov_b64 s[2:3], 0
	v_pk_mov_b32 v[12:13], v[10:11], v[10:11] op_sel:[0,1]
	v_pk_mov_b32 v[14:15], v[10:11], v[10:11] op_sel:[0,1]
	;; [unrolled: 1-line block ×7, first 2 shown]
	s_waitcnt lgkmcnt(0)
	s_barrier
	s_waitcnt lgkmcnt(0)
                                        ; implicit-def: $sgpr8_sgpr9
                                        ; implicit-def: $vgpr6
	s_and_saveexec_b64 s[4:5], vcc
	s_cbranch_execz .LBB1065_58
; %bb.41:
	v_lshlrev_b32_e32 v6, 5, v0
	v_add_u32_e32 v9, v9, v6
	ds_read_b32 v6, v9
	v_mov_b32_e32 v10, s33
	v_cmp_eq_u16_e32 vcc, v7, v2
	v_add_u32_e32 v12, 1, v8
	s_mov_b64 s[12:13], 0
	s_waitcnt lgkmcnt(0)
	v_cndmask_b32_e32 v10, v10, v6, vcc
	v_cmp_ne_u16_e32 vcc, v7, v2
	v_cndmask_b32_e64 v11, 0, 1, vcc
	v_cmp_gt_u32_e32 vcc, s44, v12
	v_pk_mov_b32 v[12:13], 0, 0
	v_pk_mov_b32 v[14:15], v[12:13], v[12:13] op_sel:[0,1]
	v_pk_mov_b32 v[16:17], v[12:13], v[12:13] op_sel:[0,1]
	;; [unrolled: 1-line block ×6, first 2 shown]
                                        ; implicit-def: $sgpr14_sgpr15
                                        ; implicit-def: $vgpr6
	s_and_saveexec_b64 s[8:9], vcc
	s_cbranch_execz .LBB1065_57
; %bb.42:
	ds_read2_b32 v[6:7], v9 offset0:1 offset1:2
	v_add_u32_e32 v14, 2, v8
	v_mov_b32_e32 v12, s33
	v_cmp_eq_u16_sdwa vcc, v2, v2 src0_sel:DWORD src1_sel:WORD_1
	v_cmp_ne_u16_sdwa s[10:11], v2, v2 src0_sel:DWORD src1_sel:WORD_1
	s_waitcnt lgkmcnt(0)
	v_cndmask_b32_e32 v12, v12, v6, vcc
	v_cmp_gt_u32_e32 vcc, s44, v14
	v_pk_mov_b32 v[14:15], 0, 0
	v_cndmask_b32_e64 v13, 0, 1, s[10:11]
	s_mov_b64 s[14:15], 0
	v_pk_mov_b32 v[16:17], v[14:15], v[14:15] op_sel:[0,1]
	v_pk_mov_b32 v[18:19], v[14:15], v[14:15] op_sel:[0,1]
	v_pk_mov_b32 v[20:21], v[14:15], v[14:15] op_sel:[0,1]
	v_pk_mov_b32 v[22:23], v[14:15], v[14:15] op_sel:[0,1]
	v_pk_mov_b32 v[24:25], v[14:15], v[14:15] op_sel:[0,1]
                                        ; implicit-def: $sgpr16_sgpr17
                                        ; implicit-def: $vgpr6
	s_and_saveexec_b64 s[10:11], vcc
	s_cbranch_execz .LBB1065_56
; %bb.43:
	v_add_u32_e32 v6, 3, v8
	v_mov_b32_e32 v14, s33
	v_cmp_eq_u16_sdwa vcc, v2, v3 src0_sel:WORD_1 src1_sel:DWORD
	v_cmp_ne_u16_sdwa s[12:13], v2, v3 src0_sel:WORD_1 src1_sel:DWORD
	v_pk_mov_b32 v[16:17], 0, 0
	v_cndmask_b32_e32 v14, v14, v7, vcc
	v_cndmask_b32_e64 v15, 0, 1, s[12:13]
	v_cmp_gt_u32_e32 vcc, s44, v6
	s_mov_b64 s[16:17], 0
	v_pk_mov_b32 v[18:19], v[16:17], v[16:17] op_sel:[0,1]
	v_pk_mov_b32 v[20:21], v[16:17], v[16:17] op_sel:[0,1]
	;; [unrolled: 1-line block ×4, first 2 shown]
                                        ; implicit-def: $sgpr18_sgpr19
                                        ; implicit-def: $vgpr6
	s_and_saveexec_b64 s[12:13], vcc
	s_cbranch_execz .LBB1065_55
; %bb.44:
	ds_read2_b32 v[6:7], v9 offset0:3 offset1:4
	v_add_u32_e32 v2, 4, v8
	v_mov_b32_e32 v16, s33
	v_cmp_eq_u16_sdwa vcc, v3, v3 src0_sel:DWORD src1_sel:WORD_1
	v_cmp_ne_u16_sdwa s[14:15], v3, v3 src0_sel:DWORD src1_sel:WORD_1
	v_pk_mov_b32 v[18:19], 0, 0
	s_waitcnt lgkmcnt(0)
	v_cndmask_b32_e32 v16, v16, v6, vcc
	v_cndmask_b32_e64 v17, 0, 1, s[14:15]
	v_cmp_gt_u32_e32 vcc, s44, v2
	s_mov_b64 s[18:19], 0
	v_pk_mov_b32 v[20:21], v[18:19], v[18:19] op_sel:[0,1]
	v_pk_mov_b32 v[22:23], v[18:19], v[18:19] op_sel:[0,1]
	;; [unrolled: 1-line block ×3, first 2 shown]
                                        ; implicit-def: $sgpr20_sgpr21
                                        ; implicit-def: $vgpr6
	s_and_saveexec_b64 s[14:15], vcc
	s_cbranch_execz .LBB1065_54
; %bb.45:
	v_add_u32_e32 v2, 5, v8
	v_mov_b32_e32 v6, s33
	v_cmp_eq_u16_sdwa vcc, v3, v4 src0_sel:WORD_1 src1_sel:DWORD
	v_cmp_ne_u16_sdwa s[16:17], v3, v4 src0_sel:WORD_1 src1_sel:DWORD
	v_pk_mov_b32 v[20:21], 0, 0
	v_cndmask_b32_e32 v18, v6, v7, vcc
	v_cndmask_b32_e64 v19, 0, 1, s[16:17]
	v_cmp_gt_u32_e32 vcc, s44, v2
	s_mov_b64 s[20:21], 0
	v_pk_mov_b32 v[22:23], v[20:21], v[20:21] op_sel:[0,1]
	v_pk_mov_b32 v[24:25], v[20:21], v[20:21] op_sel:[0,1]
                                        ; implicit-def: $sgpr36_sgpr37
                                        ; implicit-def: $vgpr6
	s_and_saveexec_b64 s[16:17], vcc
	s_cbranch_execz .LBB1065_53
; %bb.46:
	ds_read2_b32 v[2:3], v9 offset0:5 offset1:6
	v_add_u32_e32 v6, 6, v8
	v_mov_b32_e32 v7, s33
	v_cmp_eq_u16_sdwa vcc, v4, v4 src0_sel:DWORD src1_sel:WORD_1
	v_cmp_ne_u16_sdwa s[18:19], v4, v4 src0_sel:DWORD src1_sel:WORD_1
	v_pk_mov_b32 v[22:23], 0, 0
	s_waitcnt lgkmcnt(0)
	v_cndmask_b32_e32 v20, v7, v2, vcc
	v_cndmask_b32_e64 v21, 0, 1, s[18:19]
	v_cmp_gt_u32_e32 vcc, s44, v6
	s_mov_b64 s[36:37], 0
	v_pk_mov_b32 v[24:25], v[22:23], v[22:23] op_sel:[0,1]
                                        ; implicit-def: $sgpr42_sgpr43
                                        ; implicit-def: $vgpr6
	s_and_saveexec_b64 s[18:19], vcc
	s_cbranch_execz .LBB1065_52
; %bb.47:
	v_add_u32_e32 v2, 7, v8
	v_mov_b32_e32 v6, s33
	v_cmp_eq_u16_sdwa vcc, v4, v5 src0_sel:WORD_1 src1_sel:DWORD
	v_cmp_ne_u16_sdwa s[20:21], v4, v5 src0_sel:WORD_1 src1_sel:DWORD
	v_cndmask_b32_e32 v22, v6, v3, vcc
	v_cndmask_b32_e64 v23, 0, 1, s[20:21]
	v_cmp_gt_u32_e32 vcc, s44, v2
	v_pk_mov_b32 v[24:25], 0, 0
                                        ; implicit-def: $sgpr42_sgpr43
                                        ; implicit-def: $vgpr6
	s_and_saveexec_b64 s[20:21], vcc
	s_cbranch_execz .LBB1065_51
; %bb.48:
	ds_read2_b32 v[2:3], v9 offset0:7 offset1:8
	v_add_u32_e32 v4, 8, v8
	v_mov_b32_e32 v6, s33
	v_cmp_eq_u16_sdwa vcc, v5, v5 src0_sel:DWORD src1_sel:WORD_1
	v_cmp_ne_u16_sdwa s[36:37], v5, v5 src0_sel:DWORD src1_sel:WORD_1
	s_waitcnt lgkmcnt(0)
	v_cndmask_b32_e32 v24, v6, v2, vcc
	v_cndmask_b32_e64 v25, 0, 1, s[36:37]
	v_cmp_gt_u32_e32 vcc, s44, v4
	s_mov_b64 s[36:37], 0
                                        ; implicit-def: $sgpr42_sgpr43
                                        ; implicit-def: $vgpr6
	s_and_saveexec_b64 s[44:45], vcc
	s_xor_b64 s[44:45], exec, s[44:45]
; %bb.49:
	v_mov_b32_e32 v2, s33
	v_cmp_ne_u16_sdwa vcc, v5, v1 src0_sel:WORD_1 src1_sel:DWORD
	s_mov_b64 s[36:37], exec
	v_cndmask_b32_e32 v6, v3, v2, vcc
	s_and_b64 s[42:43], vcc, exec
; %bb.50:
	s_or_b64 exec, exec, s[44:45]
	s_and_b64 s[42:43], s[42:43], exec
	s_and_b64 s[36:37], s[36:37], exec
.LBB1065_51:
	s_or_b64 exec, exec, s[20:21]
	s_and_b64 s[42:43], s[42:43], exec
	s_and_b64 s[20:21], s[36:37], exec
.LBB1065_52:
	s_or_b64 exec, exec, s[18:19]
	s_and_b64 s[36:37], s[42:43], exec
	s_and_b64 s[18:19], s[20:21], exec
.LBB1065_53:
	s_or_b64 exec, exec, s[16:17]
	s_and_b64 s[20:21], s[36:37], exec
	s_and_b64 s[16:17], s[18:19], exec
.LBB1065_54:
	s_or_b64 exec, exec, s[14:15]
	s_and_b64 s[18:19], s[20:21], exec
	s_and_b64 s[14:15], s[16:17], exec
.LBB1065_55:
	s_or_b64 exec, exec, s[12:13]
	s_and_b64 s[16:17], s[18:19], exec
	s_and_b64 s[12:13], s[14:15], exec
.LBB1065_56:
	s_or_b64 exec, exec, s[10:11]
	s_and_b64 s[14:15], s[16:17], exec
	s_and_b64 s[10:11], s[12:13], exec
.LBB1065_57:
	s_or_b64 exec, exec, s[8:9]
	s_and_b64 s[8:9], s[14:15], exec
	s_and_b64 s[10:11], s[10:11], exec
.LBB1065_58:
	s_or_b64 exec, exec, s[4:5]
	s_mov_b64 s[4:5], 0
	s_and_b64 vcc, exec, s[2:3]
	v_lshlrev_b32_e32 v32, 1, v0
	s_cbranch_vccz .LBB1065_64
.LBB1065_59:
	v_mov_b32_e32 v1, s23
	v_add_co_u32_e32 v2, vcc, s22, v32
	v_addc_co_u32_e32 v3, vcc, 0, v1, vcc
	flat_load_ushort v1, v[2:3]
	flat_load_ushort v4, v[2:3] offset:512
	flat_load_ushort v5, v[2:3] offset:1024
	;; [unrolled: 1-line block ×7, first 2 shown]
	v_add_co_u32_e32 v2, vcc, 0x1000, v2
	v_addc_co_u32_e32 v3, vcc, 0, v3, vcc
	flat_load_ushort v11, v[2:3]
	v_mov_b32_e32 v2, s22
	v_mov_b32_e32 v3, s23
	v_add_co_u32_e32 v2, vcc, 0x1000, v2
	v_addc_co_u32_e32 v3, vcc, 0, v3, vcc
	s_mov_b32 s2, 0
	s_movk_i32 s4, 0xff
	s_mov_b32 s3, 1
	s_movk_i32 s8, 0x1000
	v_cmp_ne_u32_e32 vcc, s4, v0
	s_waitcnt vmcnt(0) lgkmcnt(0)
	ds_write_b16 v32, v1
	ds_write_b16 v32, v4 offset:512
	ds_write_b16 v32, v5 offset:1024
	;; [unrolled: 1-line block ×8, first 2 shown]
	s_waitcnt lgkmcnt(0)
	s_barrier
	flat_load_ushort v1, v[2:3] offset:512
	v_lshl_add_u32 v2, v0, 4, v32
	ds_read_u16 v10, v2
	ds_read_b128 v[2:5], v2 offset:2
	s_waitcnt lgkmcnt(0)
	ds_write_b16 v32, v10 offset:5120
	s_waitcnt lgkmcnt(0)
	s_barrier
	s_and_saveexec_b64 s[4:5], vcc
	s_cbranch_execz .LBB1065_61
; %bb.60:
	s_waitcnt vmcnt(0)
	ds_read_u16 v1, v32 offset:5122
.LBB1065_61:
	s_or_b64 exec, exec, s[4:5]
	v_mov_b32_e32 v7, s46
	v_add_co_u32_e32 v6, vcc, s7, v32
	v_addc_co_u32_e32 v7, vcc, 0, v7, vcc
	s_waitcnt lgkmcnt(0)
	s_barrier
	flat_load_sshort v8, v[6:7]
	flat_load_sshort v9, v[6:7] offset:512
	flat_load_sshort v11, v[6:7] offset:1024
	;; [unrolled: 1-line block ×7, first 2 shown]
	v_add_co_u32_e32 v6, vcc, s8, v6
	v_addc_co_u32_e32 v7, vcc, 0, v7, vcc
	flat_load_sshort v6, v[6:7]
	v_lshl_add_u32 v7, v0, 1, v32
	v_lshlrev_b32_e32 v13, 5, v0
	v_add_u32_e32 v13, v7, v13
	v_cmp_eq_u16_e32 vcc, v10, v2
	s_waitcnt vmcnt(0) lgkmcnt(0)
	ds_write2st64_b32 v7, v8, v9 offset1:4
	ds_write2st64_b32 v7, v11, v12 offset0:8 offset1:12
	ds_write2st64_b32 v7, v14, v15 offset0:16 offset1:20
	;; [unrolled: 1-line block ×3, first 2 shown]
	ds_write_b32 v7, v6 offset:8192
	s_waitcnt lgkmcnt(0)
	s_barrier
	ds_read2_b32 v[14:15], v13 offset0:1 offset1:2
	ds_read2_b32 v[18:19], v13 offset0:3 offset1:4
	;; [unrolled: 1-line block ×4, first 2 shown]
	v_pk_mov_b32 v[10:11], s[2:3], s[2:3] op_sel:[0,1]
	v_mov_b32_e32 v12, s33
	s_and_saveexec_b64 s[2:3], vcc
	s_cbranch_execz .LBB1065_63
; %bb.62:
	ds_read_b32 v12, v13
	v_pk_mov_b32 v[10:11], 0, 0
.LBB1065_63:
	s_or_b64 exec, exec, s[2:3]
	v_mov_b32_e32 v26, s33
	v_cmp_eq_u16_sdwa vcc, v2, v2 src0_sel:DWORD src1_sel:WORD_1
	v_cmp_ne_u16_sdwa s[2:3], v2, v2 src0_sel:DWORD src1_sel:WORD_1
	s_waitcnt lgkmcnt(0)
	v_or_b32_e32 v10, v10, v12
	v_cndmask_b32_e32 v12, v26, v14, vcc
	v_cndmask_b32_e64 v13, 0, 1, s[2:3]
	v_cmp_eq_u16_sdwa vcc, v2, v3 src0_sel:WORD_1 src1_sel:DWORD
	v_cmp_ne_u16_sdwa s[2:3], v2, v3 src0_sel:WORD_1 src1_sel:DWORD
	v_cndmask_b32_e32 v14, v26, v15, vcc
	v_cndmask_b32_e64 v15, 0, 1, s[2:3]
	v_cmp_eq_u16_sdwa vcc, v3, v3 src0_sel:DWORD src1_sel:WORD_1
	v_cmp_ne_u16_sdwa s[2:3], v3, v3 src0_sel:DWORD src1_sel:WORD_1
	v_cndmask_b32_e32 v16, v26, v18, vcc
	v_cndmask_b32_e64 v17, 0, 1, s[2:3]
	v_cmp_eq_u16_sdwa vcc, v3, v4 src0_sel:WORD_1 src1_sel:DWORD
	v_cmp_ne_u16_sdwa s[2:3], v3, v4 src0_sel:WORD_1 src1_sel:DWORD
	v_cndmask_b32_e32 v18, v26, v19, vcc
	v_cndmask_b32_e64 v19, 0, 1, s[2:3]
	v_cmp_eq_u16_sdwa vcc, v4, v4 src0_sel:DWORD src1_sel:WORD_1
	v_cmp_ne_u16_sdwa s[2:3], v4, v4 src0_sel:DWORD src1_sel:WORD_1
	;; [unrolled: 8-line block ×3, first 2 shown]
	v_cmp_ne_u16_sdwa s[8:9], v5, v1 src0_sel:WORD_1 src1_sel:DWORD
	v_cndmask_b32_e32 v24, v26, v6, vcc
	v_cndmask_b32_e64 v25, 0, 1, s[2:3]
	v_cndmask_b32_e64 v6, v7, v26, s[8:9]
	s_mov_b64 s[10:11], -1
                                        ; implicit-def: $sgpr4_sgpr5
.LBB1065_64:
	v_pk_mov_b32 v[26:27], s[4:5], s[4:5] op_sel:[0,1]
	s_and_saveexec_b64 s[2:3], s[10:11]
; %bb.65:
	v_cndmask_b32_e64 v7, 0, 1, s[8:9]
	v_pk_mov_b32 v[26:27], v[6:7], v[6:7] op_sel:[0,1]
; %bb.66:
	s_or_b64 exec, exec, s[2:3]
	s_mov_b32 s16, 0
	s_cmp_lg_u32 s6, 0
	v_or_b32_e32 v33, v27, v25
	v_lshrrev_b32_e32 v1, 5, v0
	v_cmp_gt_u32_e32 vcc, 64, v0
	s_barrier
	s_cbranch_scc0 .LBB1065_105
; %bb.67:
	s_mov_b32 s17, 1
	v_cmp_gt_u64_e64 s[2:3], s[16:17], v[12:13]
	v_cndmask_b32_e64 v2, 0, v10, s[2:3]
	v_add_u32_e32 v2, v2, v12
	v_cmp_gt_u64_e64 s[4:5], s[16:17], v[14:15]
	v_cndmask_b32_e64 v2, 0, v2, s[4:5]
	v_add_u32_e32 v2, v2, v14
	;; [unrolled: 3-line block ×8, first 2 shown]
	v_or3_b32 v2, v33, v23, v21
	v_or3_b32 v2, v2, v19, v17
	;; [unrolled: 1-line block ×3, first 2 shown]
	v_and_b32_e32 v2, 1, v2
	v_cmp_eq_u32_e64 s[16:17], 1, v2
	v_cndmask_b32_e64 v35, v11, 1, s[16:17]
	v_add_lshl_u32 v2, v1, v0, 3
	ds_write_b32 v2, v34
	ds_write_b8 v2, v35 offset:4
	s_waitcnt lgkmcnt(0)
	s_barrier
	s_and_saveexec_b64 s[18:19], vcc
	s_cbranch_execz .LBB1065_79
; %bb.68:
	v_lshlrev_b32_e32 v2, 2, v0
	v_lshrrev_b32_e32 v3, 3, v0
	v_add_lshl_u32 v4, v3, v2, 3
	ds_read2_b32 v[6:7], v4 offset0:2 offset1:4
	ds_read_b64 v[2:3], v4
	ds_read_u8 v8, v4 offset:12
	ds_read_u8 v9, v4 offset:20
	ds_read_b32 v28, v4 offset:24
	ds_read_u8 v29, v4 offset:28
	v_mov_b32_e32 v30, 0
	s_waitcnt lgkmcnt(3)
	v_cmp_eq_u16_sdwa s[16:17], v8, v30 src0_sel:BYTE_0 src1_sel:DWORD
	v_cndmask_b32_e64 v31, 0, v2, s[16:17]
	v_add_u32_e32 v6, v31, v6
	s_waitcnt lgkmcnt(2)
	v_cmp_eq_u16_sdwa s[16:17], v9, v30 src0_sel:BYTE_0 src1_sel:DWORD
	v_cndmask_b32_e64 v6, 0, v6, s[16:17]
	v_add_u32_e32 v6, v6, v7
	s_waitcnt lgkmcnt(0)
	v_cmp_eq_u16_e64 s[16:17], 0, v29
	v_cndmask_b32_e64 v6, 0, v6, s[16:17]
	v_add_u32_e32 v7, v6, v28
	v_or_b32_e32 v6, v29, v9
	v_or_b32_e32 v6, v6, v8
	v_and_b32_e32 v6, 1, v6
	v_and_b32_e32 v5, 1, v3
	v_cmp_eq_u32_e64 s[16:17], 1, v6
	v_mbcnt_lo_u32_b32 v8, -1, 0
	v_cndmask_b32_e64 v9, v5, 1, s[16:17]
	v_and_b32_e32 v6, 0xffffff00, v3
	v_mbcnt_hi_u32_b32 v8, -1, v8
	v_and_b32_e32 v29, 15, v8
	v_or_b32_sdwa v28, v6, v9 dst_sel:DWORD dst_unused:UNUSED_PAD src0_sel:DWORD src1_sel:WORD_0
	v_mov_b32_dpp v30, v7 row_shr:1 row_mask:0xf bank_mask:0xf
	v_cmp_ne_u32_e64 s[16:17], 0, v29
	v_mov_b32_dpp v31, v28 row_shr:1 row_mask:0xf bank_mask:0xf
	s_and_saveexec_b64 s[22:23], s[16:17]
; %bb.69:
	v_and_b32_e32 v28, 1, v9
	v_and_b32_e32 v31, 1, v31
	v_cmp_eq_u32_e64 s[16:17], 1, v28
	v_cndmask_b32_e64 v31, v31, 1, s[16:17]
	v_cmp_eq_u16_e64 s[16:17], 0, v9
	v_cndmask_b32_e64 v9, 0, v30, s[16:17]
	v_add_u32_e32 v7, v9, v7
	v_or_b32_sdwa v28, v6, v31 dst_sel:DWORD dst_unused:UNUSED_PAD src0_sel:DWORD src1_sel:WORD_0
	v_mov_b32_e32 v9, v31
; %bb.70:
	s_or_b64 exec, exec, s[22:23]
	v_mov_b32_dpp v30, v7 row_shr:2 row_mask:0xf bank_mask:0xf
	v_mov_b32_dpp v31, v28 row_shr:2 row_mask:0xf bank_mask:0xf
	v_cmp_lt_u32_e64 s[16:17], 1, v29
	s_and_saveexec_b64 s[22:23], s[16:17]
; %bb.71:
	v_and_b32_e32 v28, 1, v9
	v_and_b32_e32 v31, 1, v31
	v_cmp_eq_u32_e64 s[16:17], 1, v28
	v_cndmask_b32_e64 v31, v31, 1, s[16:17]
	v_cmp_eq_u16_e64 s[16:17], 0, v9
	v_cndmask_b32_e64 v9, 0, v30, s[16:17]
	v_add_u32_e32 v7, v9, v7
	v_or_b32_sdwa v28, v6, v31 dst_sel:DWORD dst_unused:UNUSED_PAD src0_sel:DWORD src1_sel:WORD_0
	v_mov_b32_e32 v9, v31
; %bb.72:
	s_or_b64 exec, exec, s[22:23]
	v_mov_b32_dpp v30, v7 row_shr:4 row_mask:0xf bank_mask:0xf
	v_mov_b32_dpp v31, v28 row_shr:4 row_mask:0xf bank_mask:0xf
	v_cmp_lt_u32_e64 s[16:17], 3, v29
	;; [unrolled: 16-line block ×3, first 2 shown]
	s_and_saveexec_b64 s[22:23], s[16:17]
; %bb.75:
	v_and_b32_e32 v28, 1, v9
	v_and_b32_e32 v29, 1, v31
	v_cmp_eq_u32_e64 s[16:17], 1, v28
	v_cndmask_b32_e64 v29, v29, 1, s[16:17]
	v_cmp_eq_u16_e64 s[16:17], 0, v9
	v_cndmask_b32_e64 v9, 0, v30, s[16:17]
	v_add_u32_e32 v7, v9, v7
	v_or_b32_sdwa v28, v6, v29 dst_sel:DWORD dst_unused:UNUSED_PAD src0_sel:DWORD src1_sel:WORD_0
	v_mov_b32_e32 v9, v29
; %bb.76:
	s_or_b64 exec, exec, s[22:23]
	v_and_b32_e32 v31, 16, v8
	v_mov_b32_dpp v29, v7 row_bcast:15 row_mask:0xf bank_mask:0xf
	v_mov_b32_dpp v30, v28 row_bcast:15 row_mask:0xf bank_mask:0xf
	v_cmp_ne_u32_e64 s[16:17], 0, v31
	s_and_saveexec_b64 s[22:23], s[16:17]
; %bb.77:
	v_and_b32_e32 v28, 1, v9
	v_and_b32_e32 v30, 1, v30
	v_cmp_eq_u32_e64 s[16:17], 1, v28
	v_cndmask_b32_e64 v30, v30, 1, s[16:17]
	v_cmp_eq_u16_e64 s[16:17], 0, v9
	v_cndmask_b32_e64 v9, 0, v29, s[16:17]
	v_add_u32_e32 v7, v9, v7
	v_or_b32_sdwa v28, v6, v30 dst_sel:DWORD dst_unused:UNUSED_PAD src0_sel:DWORD src1_sel:WORD_0
	v_mov_b32_e32 v9, v30
; %bb.78:
	s_or_b64 exec, exec, s[22:23]
	v_mov_b32_dpp v28, v28 row_bcast:31 row_mask:0xf bank_mask:0xf
	v_and_b32_e32 v30, 1, v9
	v_and_b32_e32 v28, 1, v28
	v_cmp_eq_u32_e64 s[16:17], 1, v30
	v_mov_b32_e32 v30, 0
	v_cndmask_b32_e64 v28, v28, 1, s[16:17]
	v_cmp_eq_u16_sdwa s[22:23], v9, v30 src0_sel:BYTE_0 src1_sel:DWORD
	v_cmp_lt_u32_e64 s[16:17], 31, v8
	v_mov_b32_dpp v29, v7 row_bcast:31 row_mask:0xf bank_mask:0xf
	v_cndmask_b32_e64 v9, v9, v28, s[16:17]
	s_and_b64 s[16:17], s[16:17], s[22:23]
	v_cndmask_b32_e64 v28, 0, v29, s[16:17]
	v_add_u32_e32 v7, v28, v7
	v_add_u32_e32 v28, -1, v8
	v_and_b32_e32 v29, 64, v8
	v_cmp_lt_i32_e64 s[16:17], v28, v29
	v_cndmask_b32_e64 v8, v28, v8, s[16:17]
	s_movk_i32 s7, 0xff
	v_lshlrev_b32_e32 v8, 2, v8
	ds_bpermute_b32 v7, v8, v7
	v_and_or_b32 v6, v9, s7, v6
	ds_bpermute_b32 v6, v8, v6
	v_cmp_eq_u16_sdwa s[16:17], v3, v30 src0_sel:BYTE_0 src1_sel:DWORD
	s_waitcnt lgkmcnt(1)
	v_cndmask_b32_e64 v3, 0, v7, s[16:17]
	v_add_u32_e32 v2, v3, v2
	s_waitcnt lgkmcnt(0)
	v_and_b32_e32 v3, 1, v6
	v_cmp_eq_u32_e64 s[16:17], 1, v5
	v_cndmask_b32_e64 v3, v3, 1, s[16:17]
	v_cmp_eq_u32_e64 s[16:17], 0, v0
	v_cndmask_b32_e64 v5, v2, v34, s[16:17]
	v_cndmask_b32_e64 v6, v3, v35, s[16:17]
	; wave barrier
	ds_write_b32 v4, v5
	ds_write_b8 v4, v6 offset:4
	; wave barrier
	ds_read_u8 v7, v4 offset:12
	ds_read2_b32 v[2:3], v4 offset0:2 offset1:4
	ds_read_u8 v8, v4 offset:20
	ds_read_b32 v9, v4 offset:24
	ds_read_u8 v28, v4 offset:28
	s_waitcnt lgkmcnt(4)
	v_cmp_eq_u16_e64 s[16:17], 0, v7
	v_cndmask_b32_e64 v5, 0, v5, s[16:17]
	s_waitcnt lgkmcnt(3)
	v_add_u32_e32 v2, v5, v2
	v_and_b32_e32 v5, 1, v7
	v_cmp_eq_u32_e64 s[16:17], 1, v5
	v_cndmask_b32_e64 v5, v6, 1, s[16:17]
	s_waitcnt lgkmcnt(2)
	v_cmp_eq_u16_e64 s[16:17], 0, v8
	v_cndmask_b32_e64 v6, 0, v2, s[16:17]
	v_add_u32_e32 v3, v6, v3
	v_and_b32_e32 v6, 1, v8
	v_cmp_eq_u32_e64 s[16:17], 1, v6
	ds_write_b8 v4, v5 offset:12
	v_cndmask_b32_e64 v5, v5, 1, s[16:17]
	s_waitcnt lgkmcnt(1)
	v_cmp_eq_u16_e64 s[16:17], 0, v28
	ds_write2_b32 v4, v2, v3 offset0:2 offset1:4
	ds_write_b8 v4, v5 offset:20
	v_cndmask_b32_e64 v2, 0, v3, s[16:17]
	v_and_b32_e32 v3, 1, v28
	v_add_u32_e32 v2, v2, v9
	v_cmp_eq_u32_e64 s[16:17], 1, v3
	v_cndmask_b32_e64 v3, v5, 1, s[16:17]
	ds_write_b32 v4, v2 offset:24
	ds_write_b8 v4, v3 offset:28
.LBB1065_79:
	s_or_b64 exec, exec, s[18:19]
	v_cmp_eq_u32_e64 s[16:17], 0, v0
	v_cmp_ne_u32_e64 s[18:19], 0, v0
	s_waitcnt lgkmcnt(0)
	s_barrier
	s_and_saveexec_b64 s[22:23], s[18:19]
	s_cbranch_execz .LBB1065_81
; %bb.80:
	v_add_u32_e32 v2, -1, v0
	v_lshrrev_b32_e32 v3, 5, v2
	v_add_lshl_u32 v2, v3, v2, 3
	ds_read_b32 v34, v2
	ds_read_u8 v35, v2 offset:4
.LBB1065_81:
	s_or_b64 exec, exec, s[22:23]
	s_and_saveexec_b64 s[36:37], vcc
	s_cbranch_execz .LBB1065_104
; %bb.82:
	v_mov_b32_e32 v5, 0
	ds_read_b64 v[2:3], v5 offset:2096
	v_mbcnt_lo_u32_b32 v4, -1, 0
	v_mbcnt_hi_u32_b32 v45, -1, v4
	s_mov_b32 s43, 0
	v_cmp_eq_u32_e64 s[18:19], 0, v45
	s_waitcnt lgkmcnt(0)
	v_readfirstlane_b32 s7, v3
	s_and_saveexec_b64 s[22:23], s[18:19]
	s_cbranch_execz .LBB1065_84
; %bb.83:
	s_add_i32 s42, s6, 64
	s_lshl_b64 s[44:45], s[42:43], 4
	s_add_u32 s44, s28, s44
	s_addc_u32 s45, s29, s45
	s_and_b32 s47, s7, 0xff000000
	s_mov_b32 s46, s43
	s_and_b32 s49, s7, 0xff0000
	s_mov_b32 s48, s43
	s_or_b64 s[46:47], s[48:49], s[46:47]
	s_and_b32 s49, s7, 0xff00
	s_or_b64 s[46:47], s[46:47], s[48:49]
	s_and_b32 s49, s7, 0xff
	s_or_b64 s[42:43], s[46:47], s[48:49]
	v_mov_b32_e32 v3, s43
	v_mov_b32_e32 v4, 1
	v_pk_mov_b32 v[6:7], s[44:45], s[44:45] op_sel:[0,1]
	;;#ASMSTART
	global_store_dwordx4 v[6:7], v[2:5] off	
s_waitcnt vmcnt(0)
	;;#ASMEND
.LBB1065_84:
	s_or_b64 exec, exec, s[22:23]
	v_xad_u32 v28, v45, -1, s6
	v_add_u32_e32 v4, 64, v28
	v_lshlrev_b64 v[6:7], 4, v[4:5]
	v_mov_b32_e32 v3, s29
	v_add_co_u32_e32 v30, vcc, s28, v6
	v_addc_co_u32_e32 v31, vcc, v3, v7, vcc
	;;#ASMSTART
	global_load_dwordx4 v[6:9], v[30:31] off glc	
s_waitcnt vmcnt(0)
	;;#ASMEND
	v_and_b32_e32 v3, 0xff0000, v6
	v_or_b32_sdwa v3, v6, v3 dst_sel:DWORD dst_unused:UNUSED_PAD src0_sel:WORD_0 src1_sel:DWORD
	v_and_b32_e32 v4, 0xff000000, v6
	v_and_b32_e32 v6, 0xff, v7
	v_or3_b32 v7, 0, 0, v6
	v_or3_b32 v6, v3, v4, 0
	v_cmp_eq_u16_sdwa s[42:43], v8, v5 src0_sel:BYTE_0 src1_sel:DWORD
	s_and_saveexec_b64 s[22:23], s[42:43]
	s_cbranch_execz .LBB1065_90
; %bb.85:
	s_mov_b32 s44, 1
	s_mov_b64 s[42:43], 0
	v_mov_b32_e32 v3, 0
.LBB1065_86:                            ; =>This Loop Header: Depth=1
                                        ;     Child Loop BB1065_87 Depth 2
	s_max_u32 s45, s44, 1
.LBB1065_87:                            ;   Parent Loop BB1065_86 Depth=1
                                        ; =>  This Inner Loop Header: Depth=2
	s_add_i32 s45, s45, -1
	s_cmp_eq_u32 s45, 0
	s_sleep 1
	s_cbranch_scc0 .LBB1065_87
; %bb.88:                               ;   in Loop: Header=BB1065_86 Depth=1
	s_cmp_lt_u32 s44, 32
	s_cselect_b64 s[46:47], -1, 0
	s_cmp_lg_u64 s[46:47], 0
	s_addc_u32 s44, s44, 0
	;;#ASMSTART
	global_load_dwordx4 v[6:9], v[30:31] off glc	
s_waitcnt vmcnt(0)
	;;#ASMEND
	v_cmp_ne_u16_sdwa s[46:47], v8, v3 src0_sel:BYTE_0 src1_sel:DWORD
	s_or_b64 s[42:43], s[46:47], s[42:43]
	s_andn2_b64 exec, exec, s[42:43]
	s_cbranch_execnz .LBB1065_86
; %bb.89:
	s_or_b64 exec, exec, s[42:43]
	v_and_b32_e32 v7, 0xff, v7
.LBB1065_90:
	s_or_b64 exec, exec, s[22:23]
	v_mov_b32_e32 v3, 2
	v_cmp_eq_u16_sdwa s[22:23], v8, v3 src0_sel:BYTE_0 src1_sel:DWORD
	v_lshlrev_b64 v[4:5], v45, -1
	v_and_b32_e32 v9, s23, v5
	v_or_b32_e32 v9, 0x80000000, v9
	v_and_b32_e32 v29, s22, v4
	v_ffbl_b32_e32 v9, v9
	v_and_b32_e32 v36, 63, v45
	v_add_u32_e32 v9, 32, v9
	v_ffbl_b32_e32 v29, v29
	v_cmp_ne_u32_e32 vcc, 63, v36
	v_min_u32_e32 v9, v29, v9
	v_addc_co_u32_e32 v29, vcc, 0, v45, vcc
	v_lshlrev_b32_e32 v37, 2, v29
	ds_bpermute_b32 v29, v37, v7
	ds_bpermute_b32 v30, v37, v6
	s_mov_b32 s42, 0
	v_and_b32_e32 v31, 1, v7
	s_mov_b32 s43, 1
	s_waitcnt lgkmcnt(1)
	v_and_b32_e32 v29, 1, v29
	v_cmp_eq_u32_e32 vcc, 1, v31
	v_cndmask_b32_e64 v29, v29, 1, vcc
	v_cmp_gt_u64_e32 vcc, s[42:43], v[6:7]
	v_cmp_lt_u32_e64 s[22:23], v36, v9
	s_and_b64 vcc, s[22:23], vcc
	v_and_b32_e32 v31, 0xffff, v29
	v_cndmask_b32_e64 v40, v7, v29, s[22:23]
	s_waitcnt lgkmcnt(0)
	v_cndmask_b32_e32 v29, 0, v30, vcc
	v_cmp_gt_u32_e32 vcc, 62, v36
	v_cndmask_b32_e64 v30, 0, 1, vcc
	v_lshlrev_b32_e32 v30, 1, v30
	v_cndmask_b32_e64 v7, v7, v31, s[22:23]
	v_add_lshl_u32 v38, v30, v45, 2
	ds_bpermute_b32 v30, v38, v7
	v_add_u32_e32 v6, v29, v6
	ds_bpermute_b32 v31, v38, v6
	v_and_b32_e32 v29, 1, v40
	v_cmp_eq_u32_e32 vcc, 1, v29
	s_waitcnt lgkmcnt(1)
	v_and_b32_e32 v30, 1, v30
	v_mov_b32_e32 v29, 0
	v_add_u32_e32 v39, 2, v36
	v_cndmask_b32_e64 v30, v30, 1, vcc
	v_cmp_eq_u16_sdwa vcc, v40, v29 src0_sel:BYTE_0 src1_sel:DWORD
	v_and_b32_e32 v41, 0xffff, v30
	s_waitcnt lgkmcnt(0)
	v_cndmask_b32_e32 v31, 0, v31, vcc
	v_cmp_gt_u32_e32 vcc, v39, v9
	v_cndmask_b32_e32 v30, v30, v40, vcc
	v_cndmask_b32_e64 v31, v31, 0, vcc
	v_cndmask_b32_e32 v7, v41, v7, vcc
	v_cmp_gt_u32_e32 vcc, 60, v36
	v_cndmask_b32_e64 v40, 0, 1, vcc
	v_lshlrev_b32_e32 v40, 2, v40
	v_add_lshl_u32 v40, v40, v45, 2
	ds_bpermute_b32 v42, v40, v7
	v_add_u32_e32 v6, v31, v6
	ds_bpermute_b32 v31, v40, v6
	v_and_b32_e32 v43, 1, v30
	v_cmp_eq_u32_e32 vcc, 1, v43
	s_waitcnt lgkmcnt(1)
	v_and_b32_e32 v42, 1, v42
	v_add_u32_e32 v41, 4, v36
	v_cndmask_b32_e64 v42, v42, 1, vcc
	v_cmp_eq_u16_sdwa vcc, v30, v29 src0_sel:BYTE_0 src1_sel:DWORD
	v_and_b32_e32 v43, 0xffff, v42
	s_waitcnt lgkmcnt(0)
	v_cndmask_b32_e32 v31, 0, v31, vcc
	v_cmp_gt_u32_e32 vcc, v41, v9
	v_cndmask_b32_e32 v30, v42, v30, vcc
	v_cndmask_b32_e64 v31, v31, 0, vcc
	v_cndmask_b32_e32 v7, v43, v7, vcc
	v_cmp_gt_u32_e32 vcc, 56, v36
	v_cndmask_b32_e64 v42, 0, 1, vcc
	v_lshlrev_b32_e32 v42, 3, v42
	v_add_lshl_u32 v42, v42, v45, 2
	ds_bpermute_b32 v44, v42, v7
	v_add_u32_e32 v6, v31, v6
	ds_bpermute_b32 v31, v42, v6
	v_and_b32_e32 v46, 1, v30
	v_cmp_eq_u32_e32 vcc, 1, v46
	s_waitcnt lgkmcnt(1)
	v_and_b32_e32 v44, 1, v44
	;; [unrolled: 21-line block ×4, first 2 shown]
	v_add_u32_e32 v49, 32, v36
	v_cndmask_b32_e64 v7, v7, 1, vcc
	v_cmp_eq_u16_sdwa vcc, v30, v29 src0_sel:BYTE_0 src1_sel:DWORD
	s_waitcnt lgkmcnt(0)
	v_cndmask_b32_e32 v31, 0, v31, vcc
	v_cmp_gt_u32_e32 vcc, v49, v9
	v_cndmask_b32_e64 v9, v31, 0, vcc
	v_cndmask_b32_e32 v7, v7, v30, vcc
	v_add_u32_e32 v6, v9, v6
	s_branch .LBB1065_92
.LBB1065_91:                            ;   in Loop: Header=BB1065_92 Depth=1
	s_or_b64 exec, exec, s[22:23]
	v_cmp_eq_u16_sdwa s[22:23], v8, v3 src0_sel:BYTE_0 src1_sel:DWORD
	v_and_b32_e32 v9, s23, v5
	ds_bpermute_b32 v31, v37, v7
	v_or_b32_e32 v9, 0x80000000, v9
	v_and_b32_e32 v30, s22, v4
	v_ffbl_b32_e32 v9, v9
	v_add_u32_e32 v9, 32, v9
	v_ffbl_b32_e32 v30, v30
	v_min_u32_e32 v9, v30, v9
	ds_bpermute_b32 v30, v37, v6
	v_and_b32_e32 v50, 1, v7
	s_waitcnt lgkmcnt(1)
	v_and_b32_e32 v31, 1, v31
	v_cmp_eq_u32_e32 vcc, 1, v50
	v_cndmask_b32_e64 v31, v31, 1, vcc
	v_cmp_gt_u64_e32 vcc, s[42:43], v[6:7]
	v_and_b32_e32 v50, 0xffff, v31
	v_cmp_lt_u32_e64 s[22:23], v36, v9
	v_cndmask_b32_e64 v31, v7, v31, s[22:23]
	v_cndmask_b32_e64 v7, v7, v50, s[22:23]
	s_and_b64 vcc, s[22:23], vcc
	ds_bpermute_b32 v50, v38, v7
	s_waitcnt lgkmcnt(1)
	v_cndmask_b32_e32 v30, 0, v30, vcc
	v_add_u32_e32 v6, v30, v6
	ds_bpermute_b32 v30, v38, v6
	v_and_b32_e32 v51, 1, v31
	s_waitcnt lgkmcnt(1)
	v_and_b32_e32 v50, 1, v50
	v_cmp_eq_u32_e32 vcc, 1, v51
	v_cndmask_b32_e64 v50, v50, 1, vcc
	v_cmp_eq_u16_sdwa vcc, v31, v29 src0_sel:BYTE_0 src1_sel:DWORD
	v_and_b32_e32 v51, 0xffff, v50
	s_waitcnt lgkmcnt(0)
	v_cndmask_b32_e32 v30, 0, v30, vcc
	v_cmp_gt_u32_e32 vcc, v39, v9
	v_cndmask_b32_e32 v7, v51, v7, vcc
	v_cndmask_b32_e32 v31, v50, v31, vcc
	ds_bpermute_b32 v50, v40, v7
	v_cndmask_b32_e64 v30, v30, 0, vcc
	v_add_u32_e32 v6, v30, v6
	ds_bpermute_b32 v30, v40, v6
	v_and_b32_e32 v51, 1, v31
	s_waitcnt lgkmcnt(1)
	v_and_b32_e32 v50, 1, v50
	v_cmp_eq_u32_e32 vcc, 1, v51
	v_cndmask_b32_e64 v50, v50, 1, vcc
	v_cmp_eq_u16_sdwa vcc, v31, v29 src0_sel:BYTE_0 src1_sel:DWORD
	v_and_b32_e32 v51, 0xffff, v50
	s_waitcnt lgkmcnt(0)
	v_cndmask_b32_e32 v30, 0, v30, vcc
	v_cmp_gt_u32_e32 vcc, v41, v9
	v_cndmask_b32_e32 v7, v51, v7, vcc
	v_cndmask_b32_e32 v31, v50, v31, vcc
	ds_bpermute_b32 v50, v42, v7
	v_cndmask_b32_e64 v30, v30, 0, vcc
	;; [unrolled: 16-line block ×3, first 2 shown]
	v_add_u32_e32 v6, v30, v6
	ds_bpermute_b32 v30, v44, v6
	v_and_b32_e32 v51, 1, v31
	s_waitcnt lgkmcnt(1)
	v_and_b32_e32 v50, 1, v50
	v_cmp_eq_u32_e32 vcc, 1, v51
	v_cndmask_b32_e64 v50, v50, 1, vcc
	v_cmp_eq_u16_sdwa vcc, v31, v29 src0_sel:BYTE_0 src1_sel:DWORD
	v_and_b32_e32 v51, 0xffff, v50
	s_waitcnt lgkmcnt(0)
	v_cndmask_b32_e32 v30, 0, v30, vcc
	v_cmp_gt_u32_e32 vcc, v46, v9
	v_cndmask_b32_e64 v30, v30, 0, vcc
	v_cndmask_b32_e32 v7, v51, v7, vcc
	ds_bpermute_b32 v7, v48, v7
	v_add_u32_e32 v6, v30, v6
	ds_bpermute_b32 v30, v48, v6
	v_cndmask_b32_e32 v31, v50, v31, vcc
	v_and_b32_e32 v50, 1, v31
	v_cmp_eq_u32_e32 vcc, 1, v50
	s_waitcnt lgkmcnt(1)
	v_cndmask_b32_e64 v7, v7, 1, vcc
	v_cmp_eq_u16_sdwa vcc, v31, v29 src0_sel:BYTE_0 src1_sel:DWORD
	s_waitcnt lgkmcnt(0)
	v_cndmask_b32_e32 v30, 0, v30, vcc
	v_cmp_gt_u32_e32 vcc, v49, v9
	v_cndmask_b32_e64 v9, v30, 0, vcc
	v_cndmask_b32_e32 v7, v7, v31, vcc
	v_add_u32_e32 v6, v9, v6
	v_cmp_eq_u16_sdwa vcc, v45, v29 src0_sel:BYTE_0 src1_sel:DWORD
	v_and_b32_e32 v9, 1, v45
	v_cndmask_b32_e32 v6, 0, v6, vcc
	v_and_b32_e32 v7, 1, v7
	v_cmp_eq_u32_e32 vcc, 1, v9
	v_subrev_u32_e32 v28, 64, v28
	v_add_u32_e32 v6, v6, v47
	v_cndmask_b32_e64 v7, v7, 1, vcc
.LBB1065_92:                            ; =>This Loop Header: Depth=1
                                        ;     Child Loop BB1065_95 Depth 2
                                        ;       Child Loop BB1065_96 Depth 3
	v_cmp_ne_u16_sdwa s[22:23], v8, v3 src0_sel:BYTE_0 src1_sel:DWORD
	v_mov_b32_e32 v45, v7
	v_cndmask_b32_e64 v7, 0, 1, s[22:23]
	;;#ASMSTART
	;;#ASMEND
	v_cmp_ne_u32_e32 vcc, 0, v7
	s_cmp_lg_u64 vcc, exec
	v_mov_b32_e32 v47, v6
	s_cbranch_scc1 .LBB1065_99
; %bb.93:                               ;   in Loop: Header=BB1065_92 Depth=1
	v_lshlrev_b64 v[6:7], 4, v[28:29]
	v_mov_b32_e32 v8, s29
	v_add_co_u32_e32 v30, vcc, s28, v6
	v_addc_co_u32_e32 v31, vcc, v8, v7, vcc
	;;#ASMSTART
	global_load_dwordx4 v[6:9], v[30:31] off glc	
s_waitcnt vmcnt(0)
	;;#ASMEND
	v_and_b32_e32 v9, 0xff0000, v6
	v_or_b32_sdwa v9, v6, v9 dst_sel:DWORD dst_unused:UNUSED_PAD src0_sel:WORD_0 src1_sel:DWORD
	v_and_b32_e32 v6, 0xff000000, v6
	v_and_b32_e32 v7, 0xff, v7
	v_or3_b32 v7, 0, 0, v7
	v_or3_b32 v6, v9, v6, 0
	v_cmp_eq_u16_sdwa s[44:45], v8, v29 src0_sel:BYTE_0 src1_sel:DWORD
	s_and_saveexec_b64 s[22:23], s[44:45]
	s_cbranch_execz .LBB1065_91
; %bb.94:                               ;   in Loop: Header=BB1065_92 Depth=1
	s_mov_b32 s46, 1
	s_mov_b64 s[44:45], 0
.LBB1065_95:                            ;   Parent Loop BB1065_92 Depth=1
                                        ; =>  This Loop Header: Depth=2
                                        ;       Child Loop BB1065_96 Depth 3
	s_max_u32 s47, s46, 1
.LBB1065_96:                            ;   Parent Loop BB1065_92 Depth=1
                                        ;     Parent Loop BB1065_95 Depth=2
                                        ; =>    This Inner Loop Header: Depth=3
	s_add_i32 s47, s47, -1
	s_cmp_eq_u32 s47, 0
	s_sleep 1
	s_cbranch_scc0 .LBB1065_96
; %bb.97:                               ;   in Loop: Header=BB1065_95 Depth=2
	s_cmp_lt_u32 s46, 32
	s_cselect_b64 s[48:49], -1, 0
	s_cmp_lg_u64 s[48:49], 0
	s_addc_u32 s46, s46, 0
	;;#ASMSTART
	global_load_dwordx4 v[6:9], v[30:31] off glc	
s_waitcnt vmcnt(0)
	;;#ASMEND
	v_cmp_ne_u16_sdwa s[48:49], v8, v29 src0_sel:BYTE_0 src1_sel:DWORD
	s_or_b64 s[44:45], s[48:49], s[44:45]
	s_andn2_b64 exec, exec, s[44:45]
	s_cbranch_execnz .LBB1065_95
; %bb.98:                               ;   in Loop: Header=BB1065_92 Depth=1
	s_or_b64 exec, exec, s[44:45]
	v_and_b32_e32 v7, 0xff, v7
	s_branch .LBB1065_91
.LBB1065_99:                            ;   in Loop: Header=BB1065_92 Depth=1
                                        ; implicit-def: $vgpr7
                                        ; implicit-def: $vgpr6
                                        ; implicit-def: $vgpr8
	s_cbranch_execz .LBB1065_92
; %bb.100:
	s_and_saveexec_b64 s[22:23], s[18:19]
	s_cbranch_execz .LBB1065_102
; %bb.101:
	s_and_b32 s18, s7, 0xff
	s_cmp_eq_u32 s18, 0
	s_cselect_b64 vcc, -1, 0
	s_bitcmp1_b32 s7, 0
	s_mov_b32 s19, 0
	s_cselect_b64 s[42:43], -1, 0
	s_add_i32 s18, s6, 64
	s_lshl_b64 s[6:7], s[18:19], 4
	v_cndmask_b32_e32 v3, 0, v47, vcc
	s_add_u32 s6, s28, s6
	v_add_u32_e32 v2, v3, v2
	v_and_b32_e32 v3, 1, v45
	s_addc_u32 s7, s29, s7
	v_mov_b32_e32 v5, 0
	v_cndmask_b32_e64 v3, v3, 1, s[42:43]
	v_mov_b32_e32 v4, 2
	v_pk_mov_b32 v[6:7], s[6:7], s[6:7] op_sel:[0,1]
	;;#ASMSTART
	global_store_dwordx4 v[6:7], v[2:5] off	
s_waitcnt vmcnt(0)
	;;#ASMEND
.LBB1065_102:
	s_or_b64 exec, exec, s[22:23]
	s_and_b64 exec, exec, s[16:17]
	s_cbranch_execz .LBB1065_104
; %bb.103:
	v_mov_b32_e32 v2, 0
	ds_write_b32 v2, v47
	ds_write_b8 v2, v45 offset:4
.LBB1065_104:
	s_or_b64 exec, exec, s[36:37]
	v_mov_b32_e32 v2, 0
	s_waitcnt lgkmcnt(0)
	s_barrier
	ds_read_b32 v3, v2
	v_cmp_eq_u16_sdwa vcc, v35, v2 src0_sel:BYTE_0 src1_sel:DWORD
	s_waitcnt lgkmcnt(0)
	v_cndmask_b32_e32 v4, 0, v3, vcc
	v_add_u32_e32 v4, v4, v34
	v_cndmask_b32_e64 v28, v4, v3, s[16:17]
	v_and_b32_e32 v3, 0xff, v11
	v_cmp_eq_u64_e32 vcc, 0, v[2:3]
	v_cndmask_b32_e32 v2, 0, v28, vcc
	v_add_u32_e32 v29, v2, v10
	v_cndmask_b32_e64 v2, 0, v29, s[2:3]
	v_add_u32_e32 v30, v2, v12
	v_cndmask_b32_e64 v2, 0, v30, s[4:5]
	;; [unrolled: 2-line block ×7, first 2 shown]
	v_add_u32_e32 v38, v2, v24
	s_branch .LBB1065_125
.LBB1065_105:
                                        ; implicit-def: $vgpr37
                                        ; implicit-def: $vgpr36
                                        ; implicit-def: $vgpr35
                                        ; implicit-def: $vgpr34
                                        ; implicit-def: $vgpr31
                                        ; implicit-def: $vgpr30
                                        ; implicit-def: $vgpr29
                                        ; implicit-def: $vgpr28
                                        ; implicit-def: $vgpr38
	s_cbranch_execz .LBB1065_125
; %bb.106:
	s_cmp_lg_u64 s[40:41], 0
	s_cselect_b32 s3, s39, 0
	s_cselect_b32 s2, s38, 0
	s_mov_b32 s14, 0
	s_cmp_eq_u64 s[2:3], 0
	v_mov_b32_e32 v4, s33
	s_cbranch_scc1 .LBB1065_108
; %bb.107:
	v_mov_b32_e32 v2, 0
	global_load_dword v4, v2, s[2:3]
.LBB1065_108:
	s_mov_b32 s15, 1
	v_cmp_gt_u64_e32 vcc, s[14:15], v[12:13]
	v_cndmask_b32_e32 v2, 0, v10, vcc
	v_add_u32_e32 v2, v2, v12
	v_cmp_gt_u64_e64 s[2:3], s[14:15], v[14:15]
	v_cndmask_b32_e64 v2, 0, v2, s[2:3]
	v_add_u32_e32 v2, v2, v14
	v_cmp_gt_u64_e64 s[4:5], s[14:15], v[16:17]
	v_cndmask_b32_e64 v2, 0, v2, s[4:5]
	;; [unrolled: 3-line block ×7, first 2 shown]
	v_add_u32_e32 v5, v2, v26
	v_or3_b32 v2, v33, v23, v21
	v_or3_b32 v2, v2, v19, v17
	;; [unrolled: 1-line block ×3, first 2 shown]
	v_and_b32_e32 v2, 1, v2
	v_cmp_eq_u32_e64 s[14:15], 1, v2
	v_cndmask_b32_e64 v6, v11, 1, s[14:15]
	v_add_lshl_u32 v1, v1, v0, 3
	v_cmp_gt_u32_e64 s[14:15], 64, v0
	ds_write_b32 v1, v5
	ds_write_b8 v1, v6 offset:4
	s_waitcnt lgkmcnt(0)
	s_barrier
	s_and_saveexec_b64 s[16:17], s[14:15]
	s_cbranch_execz .LBB1065_120
; %bb.109:
	v_lshlrev_b32_e32 v1, 2, v0
	v_lshrrev_b32_e32 v2, 3, v0
	v_add_lshl_u32 v1, v2, v1, 3
	ds_read2_b32 v[8:9], v1 offset0:2 offset1:4
	ds_read_b64 v[2:3], v1
	ds_read_u8 v13, v1 offset:12
	ds_read_u8 v15, v1 offset:20
	ds_read_b32 v17, v1 offset:24
	ds_read_u8 v19, v1 offset:28
	v_mov_b32_e32 v21, 0
	s_waitcnt lgkmcnt(3)
	v_cmp_eq_u16_sdwa s[14:15], v13, v21 src0_sel:BYTE_0 src1_sel:DWORD
	v_cndmask_b32_e64 v23, 0, v2, s[14:15]
	v_add_u32_e32 v8, v23, v8
	s_waitcnt lgkmcnt(2)
	v_cmp_eq_u16_sdwa s[14:15], v15, v21 src0_sel:BYTE_0 src1_sel:DWORD
	v_cndmask_b32_e64 v8, 0, v8, s[14:15]
	v_add_u32_e32 v8, v8, v9
	s_waitcnt lgkmcnt(0)
	v_cmp_eq_u16_e64 s[14:15], 0, v19
	v_cndmask_b32_e64 v8, 0, v8, s[14:15]
	v_add_u32_e32 v9, v8, v17
	v_or_b32_e32 v8, v19, v15
	v_or_b32_e32 v8, v8, v13
	v_and_b32_e32 v8, 1, v8
	v_and_b32_e32 v7, 1, v3
	v_cmp_eq_u32_e64 s[14:15], 1, v8
	v_mbcnt_lo_u32_b32 v13, -1, 0
	v_cndmask_b32_e64 v15, v7, 1, s[14:15]
	v_and_b32_e32 v8, 0xffffff00, v3
	v_mbcnt_hi_u32_b32 v13, -1, v13
	v_and_b32_e32 v19, 15, v13
	v_or_b32_sdwa v17, v8, v15 dst_sel:DWORD dst_unused:UNUSED_PAD src0_sel:DWORD src1_sel:WORD_0
	v_mov_b32_dpp v21, v9 row_shr:1 row_mask:0xf bank_mask:0xf
	v_cmp_ne_u32_e64 s[14:15], 0, v19
	v_mov_b32_dpp v23, v17 row_shr:1 row_mask:0xf bank_mask:0xf
	s_and_saveexec_b64 s[18:19], s[14:15]
; %bb.110:
	v_and_b32_e32 v17, 1, v15
	v_and_b32_e32 v23, 1, v23
	v_cmp_eq_u32_e64 s[14:15], 1, v17
	v_cndmask_b32_e64 v23, v23, 1, s[14:15]
	v_cmp_eq_u16_e64 s[14:15], 0, v15
	v_cndmask_b32_e64 v15, 0, v21, s[14:15]
	v_add_u32_e32 v9, v15, v9
	v_or_b32_sdwa v17, v8, v23 dst_sel:DWORD dst_unused:UNUSED_PAD src0_sel:DWORD src1_sel:WORD_0
	v_mov_b32_e32 v15, v23
; %bb.111:
	s_or_b64 exec, exec, s[18:19]
	v_mov_b32_dpp v21, v9 row_shr:2 row_mask:0xf bank_mask:0xf
	v_mov_b32_dpp v23, v17 row_shr:2 row_mask:0xf bank_mask:0xf
	v_cmp_lt_u32_e64 s[14:15], 1, v19
	s_and_saveexec_b64 s[18:19], s[14:15]
; %bb.112:
	v_and_b32_e32 v17, 1, v15
	v_and_b32_e32 v23, 1, v23
	v_cmp_eq_u32_e64 s[14:15], 1, v17
	v_cndmask_b32_e64 v23, v23, 1, s[14:15]
	v_cmp_eq_u16_e64 s[14:15], 0, v15
	v_cndmask_b32_e64 v15, 0, v21, s[14:15]
	v_add_u32_e32 v9, v15, v9
	v_or_b32_sdwa v17, v8, v23 dst_sel:DWORD dst_unused:UNUSED_PAD src0_sel:DWORD src1_sel:WORD_0
	v_mov_b32_e32 v15, v23
; %bb.113:
	s_or_b64 exec, exec, s[18:19]
	v_mov_b32_dpp v21, v9 row_shr:4 row_mask:0xf bank_mask:0xf
	v_mov_b32_dpp v23, v17 row_shr:4 row_mask:0xf bank_mask:0xf
	v_cmp_lt_u32_e64 s[14:15], 3, v19
	;; [unrolled: 16-line block ×3, first 2 shown]
	s_and_saveexec_b64 s[18:19], s[14:15]
; %bb.116:
	v_and_b32_e32 v17, 1, v15
	v_and_b32_e32 v19, 1, v23
	v_cmp_eq_u32_e64 s[14:15], 1, v17
	v_cndmask_b32_e64 v19, v19, 1, s[14:15]
	v_cmp_eq_u16_e64 s[14:15], 0, v15
	v_cndmask_b32_e64 v15, 0, v21, s[14:15]
	v_add_u32_e32 v9, v15, v9
	v_or_b32_sdwa v17, v8, v19 dst_sel:DWORD dst_unused:UNUSED_PAD src0_sel:DWORD src1_sel:WORD_0
	v_mov_b32_e32 v15, v19
; %bb.117:
	s_or_b64 exec, exec, s[18:19]
	v_and_b32_e32 v23, 16, v13
	v_mov_b32_dpp v19, v9 row_bcast:15 row_mask:0xf bank_mask:0xf
	v_mov_b32_dpp v21, v17 row_bcast:15 row_mask:0xf bank_mask:0xf
	v_cmp_ne_u32_e64 s[14:15], 0, v23
	s_and_saveexec_b64 s[18:19], s[14:15]
; %bb.118:
	v_and_b32_e32 v17, 1, v15
	v_and_b32_e32 v21, 1, v21
	v_cmp_eq_u32_e64 s[14:15], 1, v17
	v_cndmask_b32_e64 v21, v21, 1, s[14:15]
	v_cmp_eq_u16_e64 s[14:15], 0, v15
	v_cndmask_b32_e64 v15, 0, v19, s[14:15]
	v_add_u32_e32 v9, v15, v9
	v_or_b32_sdwa v17, v8, v21 dst_sel:DWORD dst_unused:UNUSED_PAD src0_sel:DWORD src1_sel:WORD_0
	v_mov_b32_e32 v15, v21
; %bb.119:
	s_or_b64 exec, exec, s[18:19]
	v_mov_b32_dpp v17, v17 row_bcast:31 row_mask:0xf bank_mask:0xf
	v_and_b32_e32 v21, 1, v15
	v_and_b32_e32 v17, 1, v17
	v_cmp_eq_u32_e64 s[14:15], 1, v21
	v_mov_b32_e32 v21, 0
	v_cndmask_b32_e64 v17, v17, 1, s[14:15]
	v_cmp_eq_u16_sdwa s[18:19], v15, v21 src0_sel:BYTE_0 src1_sel:DWORD
	v_cmp_lt_u32_e64 s[14:15], 31, v13
	v_mov_b32_dpp v19, v9 row_bcast:31 row_mask:0xf bank_mask:0xf
	v_cndmask_b32_e64 v15, v15, v17, s[14:15]
	s_and_b64 s[14:15], s[14:15], s[18:19]
	v_cndmask_b32_e64 v17, 0, v19, s[14:15]
	v_add_u32_e32 v9, v17, v9
	v_add_u32_e32 v17, -1, v13
	v_and_b32_e32 v19, 64, v13
	v_cmp_lt_i32_e64 s[14:15], v17, v19
	v_cndmask_b32_e64 v13, v17, v13, s[14:15]
	s_movk_i32 s20, 0xff
	v_lshlrev_b32_e32 v13, 2, v13
	ds_bpermute_b32 v9, v13, v9
	v_and_or_b32 v8, v15, s20, v8
	ds_bpermute_b32 v8, v13, v8
	v_cmp_eq_u16_sdwa s[14:15], v3, v21 src0_sel:BYTE_0 src1_sel:DWORD
	s_waitcnt lgkmcnt(1)
	v_cndmask_b32_e64 v3, 0, v9, s[14:15]
	v_add_u32_e32 v2, v3, v2
	s_waitcnt lgkmcnt(0)
	v_and_b32_e32 v3, 1, v8
	v_cmp_eq_u32_e64 s[14:15], 1, v7
	v_cndmask_b32_e64 v3, v3, 1, s[14:15]
	v_cmp_eq_u32_e64 s[14:15], 0, v0
	v_cndmask_b32_e64 v5, v2, v5, s[14:15]
	v_cndmask_b32_e64 v6, v3, v6, s[14:15]
	; wave barrier
	ds_write_b32 v1, v5
	ds_write_b8 v1, v6 offset:4
	; wave barrier
	ds_read_u8 v7, v1 offset:12
	ds_read2_b32 v[2:3], v1 offset0:2 offset1:4
	ds_read_u8 v8, v1 offset:20
	ds_read_b32 v9, v1 offset:24
	ds_read_u8 v13, v1 offset:28
	s_waitcnt lgkmcnt(4)
	v_cmp_eq_u16_e64 s[14:15], 0, v7
	v_cndmask_b32_e64 v5, 0, v5, s[14:15]
	s_waitcnt lgkmcnt(3)
	v_add_u32_e32 v2, v5, v2
	v_and_b32_e32 v5, 1, v7
	v_cmp_eq_u32_e64 s[14:15], 1, v5
	v_cndmask_b32_e64 v5, v6, 1, s[14:15]
	s_waitcnt lgkmcnt(2)
	v_cmp_eq_u16_e64 s[14:15], 0, v8
	v_cndmask_b32_e64 v6, 0, v2, s[14:15]
	v_add_u32_e32 v3, v6, v3
	v_and_b32_e32 v6, 1, v8
	v_cmp_eq_u32_e64 s[14:15], 1, v6
	ds_write_b8 v1, v5 offset:12
	v_cndmask_b32_e64 v5, v5, 1, s[14:15]
	s_waitcnt lgkmcnt(1)
	v_cmp_eq_u16_e64 s[14:15], 0, v13
	ds_write2_b32 v1, v2, v3 offset0:2 offset1:4
	ds_write_b8 v1, v5 offset:20
	v_cndmask_b32_e64 v2, 0, v3, s[14:15]
	v_and_b32_e32 v3, 1, v13
	v_add_u32_e32 v2, v2, v9
	v_cmp_eq_u32_e64 s[14:15], 1, v3
	v_cndmask_b32_e64 v3, v5, 1, s[14:15]
	ds_write_b32 v1, v2 offset:24
	ds_write_b8 v1, v3 offset:28
.LBB1065_120:
	s_or_b64 exec, exec, s[16:17]
	v_cmp_eq_u32_e64 s[14:15], 0, v0
	v_cmp_ne_u32_e64 s[16:17], 0, v0
	s_waitcnt vmcnt(0)
	v_mov_b32_e32 v28, v4
	s_waitcnt lgkmcnt(0)
	s_barrier
	s_and_saveexec_b64 s[18:19], s[16:17]
	s_cbranch_execz .LBB1065_122
; %bb.121:
	v_add_u32_e32 v1, -1, v0
	v_lshrrev_b32_e32 v2, 5, v1
	v_add_lshl_u32 v1, v2, v1, 3
	ds_read_u8 v2, v1 offset:4
	ds_read_b32 v1, v1
	s_waitcnt lgkmcnt(1)
	v_cmp_eq_u16_e64 s[16:17], 0, v2
	v_cndmask_b32_e64 v2, 0, v4, s[16:17]
	s_waitcnt lgkmcnt(0)
	v_add_u32_e32 v28, v2, v1
.LBB1065_122:
	s_or_b64 exec, exec, s[18:19]
	v_and_b32_e32 v3, 0xff, v11
	v_mov_b32_e32 v2, 0
	v_cmp_eq_u64_e64 s[16:17], 0, v[2:3]
	v_cndmask_b32_e64 v1, 0, v28, s[16:17]
	v_add_u32_e32 v29, v1, v10
	v_cndmask_b32_e32 v1, 0, v29, vcc
	v_add_u32_e32 v30, v1, v12
	v_cndmask_b32_e64 v1, 0, v30, s[2:3]
	v_add_u32_e32 v31, v1, v14
	v_cndmask_b32_e64 v1, 0, v31, s[4:5]
	;; [unrolled: 2-line block ×6, first 2 shown]
	s_and_saveexec_b64 s[2:3], s[14:15]
	s_cbranch_execz .LBB1065_124
; %bb.123:
	ds_read_u8 v3, v2 offset:2100
	ds_read_b32 v5, v2 offset:2096
	s_add_u32 s4, s28, 0x400
	s_addc_u32 s5, s29, 0
	v_mov_b32_e32 v6, 2
	s_waitcnt lgkmcnt(1)
	v_cmp_eq_u16_e32 vcc, 0, v3
	v_cndmask_b32_e32 v4, 0, v4, vcc
	s_waitcnt lgkmcnt(0)
	v_add_u32_e32 v4, v4, v5
	v_and_b32_e32 v5, 0xffff, v3
	v_mov_b32_e32 v7, v2
	v_pk_mov_b32 v[2:3], s[4:5], s[4:5] op_sel:[0,1]
	;;#ASMSTART
	global_store_dwordx4 v[2:3], v[4:7] off	
s_waitcnt vmcnt(0)
	;;#ASMEND
.LBB1065_124:
	s_or_b64 exec, exec, s[2:3]
	v_add_u32_e32 v38, v1, v24
.LBB1065_125:
	s_add_u32 s2, s26, s34
	s_addc_u32 s3, s27, s35
	s_add_u32 s4, s2, s24
	s_addc_u32 s5, s3, s25
	s_and_b64 vcc, exec, s[0:1]
	v_mul_u32_u24_e32 v12, 36, v0
	v_lshlrev_b32_e32 v13, 5, v0
	s_cbranch_vccz .LBB1065_143
; %bb.126:
	v_sub_u32_e32 v2, v12, v13
	s_barrier
	ds_write2_b32 v12, v28, v29 offset1:1
	ds_write2_b32 v12, v30, v31 offset0:2 offset1:3
	ds_write2_b32 v12, v34, v35 offset0:4 offset1:5
	;; [unrolled: 1-line block ×3, first 2 shown]
	ds_write_b32 v12, v38 offset:32
	s_waitcnt lgkmcnt(0)
	s_barrier
	ds_read2st64_b32 v[10:11], v2 offset0:4 offset1:8
	ds_read2st64_b32 v[8:9], v2 offset0:12 offset1:16
	;; [unrolled: 1-line block ×4, first 2 shown]
	v_mov_b32_e32 v5, s5
	v_add_co_u32_e32 v4, vcc, s4, v32
	s_add_i32 s31, s31, s30
	v_addc_co_u32_e32 v5, vcc, 0, v5, vcc
	v_mov_b32_e32 v1, 0
	v_cmp_gt_u32_e32 vcc, s31, v0
	s_and_saveexec_b64 s[0:1], vcc
	s_cbranch_execz .LBB1065_128
; %bb.127:
	v_sub_u32_e32 v14, 0, v13
	v_add_u32_e32 v14, v12, v14
	ds_read_b32 v14, v14
	s_waitcnt lgkmcnt(0)
	flat_store_short v[4:5], v14
.LBB1065_128:
	s_or_b64 exec, exec, s[0:1]
	v_or_b32_e32 v14, 0x100, v0
	v_cmp_gt_u32_e32 vcc, s31, v14
	s_and_saveexec_b64 s[0:1], vcc
	s_cbranch_execz .LBB1065_130
; %bb.129:
	s_waitcnt lgkmcnt(0)
	flat_store_short v[4:5], v10 offset:512
.LBB1065_130:
	s_or_b64 exec, exec, s[0:1]
	s_waitcnt lgkmcnt(0)
	v_or_b32_e32 v10, 0x200, v0
	v_cmp_gt_u32_e32 vcc, s31, v10
	s_and_saveexec_b64 s[0:1], vcc
	s_cbranch_execz .LBB1065_132
; %bb.131:
	flat_store_short v[4:5], v11 offset:1024
.LBB1065_132:
	s_or_b64 exec, exec, s[0:1]
	v_or_b32_e32 v10, 0x300, v0
	v_cmp_gt_u32_e32 vcc, s31, v10
	s_and_saveexec_b64 s[0:1], vcc
	s_cbranch_execz .LBB1065_134
; %bb.133:
	flat_store_short v[4:5], v8 offset:1536
.LBB1065_134:
	s_or_b64 exec, exec, s[0:1]
	v_or_b32_e32 v8, 0x400, v0
	v_cmp_gt_u32_e32 vcc, s31, v8
	s_and_saveexec_b64 s[0:1], vcc
	s_cbranch_execz .LBB1065_136
; %bb.135:
	flat_store_short v[4:5], v9 offset:2048
.LBB1065_136:
	s_or_b64 exec, exec, s[0:1]
	v_or_b32_e32 v8, 0x500, v0
	v_cmp_gt_u32_e32 vcc, s31, v8
	s_and_saveexec_b64 s[0:1], vcc
	s_cbranch_execz .LBB1065_138
; %bb.137:
	flat_store_short v[4:5], v6 offset:2560
.LBB1065_138:
	s_or_b64 exec, exec, s[0:1]
	v_or_b32_e32 v6, 0x600, v0
	v_cmp_gt_u32_e32 vcc, s31, v6
	s_and_saveexec_b64 s[0:1], vcc
	s_cbranch_execz .LBB1065_140
; %bb.139:
	flat_store_short v[4:5], v7 offset:3072
.LBB1065_140:
	s_or_b64 exec, exec, s[0:1]
	v_or_b32_e32 v6, 0x700, v0
	v_cmp_gt_u32_e32 vcc, s31, v6
	s_and_saveexec_b64 s[0:1], vcc
	s_cbranch_execz .LBB1065_142
; %bb.141:
	flat_store_short v[4:5], v2 offset:3584
.LBB1065_142:
	s_or_b64 exec, exec, s[0:1]
	v_or_b32_e32 v2, 0x800, v0
	v_cmp_gt_u32_e64 s[0:1], s31, v2
	s_branch .LBB1065_145
.LBB1065_143:
	s_mov_b64 s[0:1], 0
                                        ; implicit-def: $vgpr3
	s_cbranch_execz .LBB1065_145
; %bb.144:
	v_sub_u32_e32 v2, v12, v13
	s_waitcnt lgkmcnt(0)
	s_barrier
	ds_write2_b32 v12, v28, v29 offset1:1
	ds_write2_b32 v12, v30, v31 offset0:2 offset1:3
	ds_write2_b32 v12, v34, v35 offset0:4 offset1:5
	;; [unrolled: 1-line block ×3, first 2 shown]
	ds_write_b32 v12, v38 offset:32
	s_waitcnt lgkmcnt(0)
	s_barrier
	ds_read2st64_b32 v[4:5], v2 offset1:4
	ds_read2st64_b32 v[6:7], v2 offset0:8 offset1:12
	ds_read2st64_b32 v[8:9], v2 offset0:16 offset1:20
	;; [unrolled: 1-line block ×3, first 2 shown]
	ds_read_b32 v3, v2 offset:8192
	v_mov_b32_e32 v2, s5
	v_add_co_u32_e32 v12, vcc, s4, v32
	v_mov_b32_e32 v1, 0
	v_addc_co_u32_e32 v13, vcc, 0, v2, vcc
	s_or_b64 s[0:1], s[0:1], exec
	s_waitcnt lgkmcnt(0)
	flat_store_short v[12:13], v4
	flat_store_short v[12:13], v5 offset:512
	flat_store_short v[12:13], v6 offset:1024
	;; [unrolled: 1-line block ×7, first 2 shown]
.LBB1065_145:
	s_and_saveexec_b64 s[2:3], s[0:1]
	s_cbranch_execz .LBB1065_147
; %bb.146:
	v_lshlrev_b64 v[0:1], 1, v[0:1]
	v_mov_b32_e32 v2, s5
	v_add_co_u32_e32 v0, vcc, s4, v0
	v_addc_co_u32_e32 v1, vcc, v2, v1, vcc
	v_add_co_u32_e32 v0, vcc, 0x1000, v0
	v_addc_co_u32_e32 v1, vcc, 0, v1, vcc
	flat_store_short v[0:1], v3
	s_endpgm
.LBB1065_147:
	s_endpgm
	.section	.rodata,"a",@progbits
	.p2align	6, 0x0
	.amdhsa_kernel _ZN7rocprim17ROCPRIM_400000_NS6detail17trampoline_kernelINS0_14default_configENS1_27scan_by_key_config_selectorIsiEEZZNS1_16scan_by_key_implILNS1_25lookback_scan_determinismE0ELb1ES3_N6thrust23THRUST_200600_302600_NS6detail15normal_iteratorINS9_10device_ptrIsEEEESE_SE_iNS9_4plusIvEENS9_8equal_toIvEEiEE10hipError_tPvRmT2_T3_T4_T5_mT6_T7_P12ihipStream_tbENKUlT_T0_E_clISt17integral_constantIbLb1EESY_IbLb0EEEEDaSU_SV_EUlSU_E_NS1_11comp_targetILNS1_3genE4ELNS1_11target_archE910ELNS1_3gpuE8ELNS1_3repE0EEENS1_30default_config_static_selectorELNS0_4arch9wavefront6targetE1EEEvT1_
		.amdhsa_group_segment_fixed_size 9216
		.amdhsa_private_segment_fixed_size 0
		.amdhsa_kernarg_size 112
		.amdhsa_user_sgpr_count 6
		.amdhsa_user_sgpr_private_segment_buffer 1
		.amdhsa_user_sgpr_dispatch_ptr 0
		.amdhsa_user_sgpr_queue_ptr 0
		.amdhsa_user_sgpr_kernarg_segment_ptr 1
		.amdhsa_user_sgpr_dispatch_id 0
		.amdhsa_user_sgpr_flat_scratch_init 0
		.amdhsa_user_sgpr_kernarg_preload_length 0
		.amdhsa_user_sgpr_kernarg_preload_offset 0
		.amdhsa_user_sgpr_private_segment_size 0
		.amdhsa_uses_dynamic_stack 0
		.amdhsa_system_sgpr_private_segment_wavefront_offset 0
		.amdhsa_system_sgpr_workgroup_id_x 1
		.amdhsa_system_sgpr_workgroup_id_y 0
		.amdhsa_system_sgpr_workgroup_id_z 0
		.amdhsa_system_sgpr_workgroup_info 0
		.amdhsa_system_vgpr_workitem_id 0
		.amdhsa_next_free_vgpr 52
		.amdhsa_next_free_sgpr 50
		.amdhsa_accum_offset 52
		.amdhsa_reserve_vcc 1
		.amdhsa_reserve_flat_scratch 0
		.amdhsa_float_round_mode_32 0
		.amdhsa_float_round_mode_16_64 0
		.amdhsa_float_denorm_mode_32 3
		.amdhsa_float_denorm_mode_16_64 3
		.amdhsa_dx10_clamp 1
		.amdhsa_ieee_mode 1
		.amdhsa_fp16_overflow 0
		.amdhsa_tg_split 0
		.amdhsa_exception_fp_ieee_invalid_op 0
		.amdhsa_exception_fp_denorm_src 0
		.amdhsa_exception_fp_ieee_div_zero 0
		.amdhsa_exception_fp_ieee_overflow 0
		.amdhsa_exception_fp_ieee_underflow 0
		.amdhsa_exception_fp_ieee_inexact 0
		.amdhsa_exception_int_div_zero 0
	.end_amdhsa_kernel
	.section	.text._ZN7rocprim17ROCPRIM_400000_NS6detail17trampoline_kernelINS0_14default_configENS1_27scan_by_key_config_selectorIsiEEZZNS1_16scan_by_key_implILNS1_25lookback_scan_determinismE0ELb1ES3_N6thrust23THRUST_200600_302600_NS6detail15normal_iteratorINS9_10device_ptrIsEEEESE_SE_iNS9_4plusIvEENS9_8equal_toIvEEiEE10hipError_tPvRmT2_T3_T4_T5_mT6_T7_P12ihipStream_tbENKUlT_T0_E_clISt17integral_constantIbLb1EESY_IbLb0EEEEDaSU_SV_EUlSU_E_NS1_11comp_targetILNS1_3genE4ELNS1_11target_archE910ELNS1_3gpuE8ELNS1_3repE0EEENS1_30default_config_static_selectorELNS0_4arch9wavefront6targetE1EEEvT1_,"axG",@progbits,_ZN7rocprim17ROCPRIM_400000_NS6detail17trampoline_kernelINS0_14default_configENS1_27scan_by_key_config_selectorIsiEEZZNS1_16scan_by_key_implILNS1_25lookback_scan_determinismE0ELb1ES3_N6thrust23THRUST_200600_302600_NS6detail15normal_iteratorINS9_10device_ptrIsEEEESE_SE_iNS9_4plusIvEENS9_8equal_toIvEEiEE10hipError_tPvRmT2_T3_T4_T5_mT6_T7_P12ihipStream_tbENKUlT_T0_E_clISt17integral_constantIbLb1EESY_IbLb0EEEEDaSU_SV_EUlSU_E_NS1_11comp_targetILNS1_3genE4ELNS1_11target_archE910ELNS1_3gpuE8ELNS1_3repE0EEENS1_30default_config_static_selectorELNS0_4arch9wavefront6targetE1EEEvT1_,comdat
.Lfunc_end1065:
	.size	_ZN7rocprim17ROCPRIM_400000_NS6detail17trampoline_kernelINS0_14default_configENS1_27scan_by_key_config_selectorIsiEEZZNS1_16scan_by_key_implILNS1_25lookback_scan_determinismE0ELb1ES3_N6thrust23THRUST_200600_302600_NS6detail15normal_iteratorINS9_10device_ptrIsEEEESE_SE_iNS9_4plusIvEENS9_8equal_toIvEEiEE10hipError_tPvRmT2_T3_T4_T5_mT6_T7_P12ihipStream_tbENKUlT_T0_E_clISt17integral_constantIbLb1EESY_IbLb0EEEEDaSU_SV_EUlSU_E_NS1_11comp_targetILNS1_3genE4ELNS1_11target_archE910ELNS1_3gpuE8ELNS1_3repE0EEENS1_30default_config_static_selectorELNS0_4arch9wavefront6targetE1EEEvT1_, .Lfunc_end1065-_ZN7rocprim17ROCPRIM_400000_NS6detail17trampoline_kernelINS0_14default_configENS1_27scan_by_key_config_selectorIsiEEZZNS1_16scan_by_key_implILNS1_25lookback_scan_determinismE0ELb1ES3_N6thrust23THRUST_200600_302600_NS6detail15normal_iteratorINS9_10device_ptrIsEEEESE_SE_iNS9_4plusIvEENS9_8equal_toIvEEiEE10hipError_tPvRmT2_T3_T4_T5_mT6_T7_P12ihipStream_tbENKUlT_T0_E_clISt17integral_constantIbLb1EESY_IbLb0EEEEDaSU_SV_EUlSU_E_NS1_11comp_targetILNS1_3genE4ELNS1_11target_archE910ELNS1_3gpuE8ELNS1_3repE0EEENS1_30default_config_static_selectorELNS0_4arch9wavefront6targetE1EEEvT1_
                                        ; -- End function
	.section	.AMDGPU.csdata,"",@progbits
; Kernel info:
; codeLenInByte = 9240
; NumSgprs: 54
; NumVgprs: 52
; NumAgprs: 0
; TotalNumVgprs: 52
; ScratchSize: 0
; MemoryBound: 0
; FloatMode: 240
; IeeeMode: 1
; LDSByteSize: 9216 bytes/workgroup (compile time only)
; SGPRBlocks: 6
; VGPRBlocks: 6
; NumSGPRsForWavesPerEU: 54
; NumVGPRsForWavesPerEU: 52
; AccumOffset: 52
; Occupancy: 7
; WaveLimiterHint : 1
; COMPUTE_PGM_RSRC2:SCRATCH_EN: 0
; COMPUTE_PGM_RSRC2:USER_SGPR: 6
; COMPUTE_PGM_RSRC2:TRAP_HANDLER: 0
; COMPUTE_PGM_RSRC2:TGID_X_EN: 1
; COMPUTE_PGM_RSRC2:TGID_Y_EN: 0
; COMPUTE_PGM_RSRC2:TGID_Z_EN: 0
; COMPUTE_PGM_RSRC2:TIDIG_COMP_CNT: 0
; COMPUTE_PGM_RSRC3_GFX90A:ACCUM_OFFSET: 12
; COMPUTE_PGM_RSRC3_GFX90A:TG_SPLIT: 0
	.section	.text._ZN7rocprim17ROCPRIM_400000_NS6detail17trampoline_kernelINS0_14default_configENS1_27scan_by_key_config_selectorIsiEEZZNS1_16scan_by_key_implILNS1_25lookback_scan_determinismE0ELb1ES3_N6thrust23THRUST_200600_302600_NS6detail15normal_iteratorINS9_10device_ptrIsEEEESE_SE_iNS9_4plusIvEENS9_8equal_toIvEEiEE10hipError_tPvRmT2_T3_T4_T5_mT6_T7_P12ihipStream_tbENKUlT_T0_E_clISt17integral_constantIbLb1EESY_IbLb0EEEEDaSU_SV_EUlSU_E_NS1_11comp_targetILNS1_3genE3ELNS1_11target_archE908ELNS1_3gpuE7ELNS1_3repE0EEENS1_30default_config_static_selectorELNS0_4arch9wavefront6targetE1EEEvT1_,"axG",@progbits,_ZN7rocprim17ROCPRIM_400000_NS6detail17trampoline_kernelINS0_14default_configENS1_27scan_by_key_config_selectorIsiEEZZNS1_16scan_by_key_implILNS1_25lookback_scan_determinismE0ELb1ES3_N6thrust23THRUST_200600_302600_NS6detail15normal_iteratorINS9_10device_ptrIsEEEESE_SE_iNS9_4plusIvEENS9_8equal_toIvEEiEE10hipError_tPvRmT2_T3_T4_T5_mT6_T7_P12ihipStream_tbENKUlT_T0_E_clISt17integral_constantIbLb1EESY_IbLb0EEEEDaSU_SV_EUlSU_E_NS1_11comp_targetILNS1_3genE3ELNS1_11target_archE908ELNS1_3gpuE7ELNS1_3repE0EEENS1_30default_config_static_selectorELNS0_4arch9wavefront6targetE1EEEvT1_,comdat
	.protected	_ZN7rocprim17ROCPRIM_400000_NS6detail17trampoline_kernelINS0_14default_configENS1_27scan_by_key_config_selectorIsiEEZZNS1_16scan_by_key_implILNS1_25lookback_scan_determinismE0ELb1ES3_N6thrust23THRUST_200600_302600_NS6detail15normal_iteratorINS9_10device_ptrIsEEEESE_SE_iNS9_4plusIvEENS9_8equal_toIvEEiEE10hipError_tPvRmT2_T3_T4_T5_mT6_T7_P12ihipStream_tbENKUlT_T0_E_clISt17integral_constantIbLb1EESY_IbLb0EEEEDaSU_SV_EUlSU_E_NS1_11comp_targetILNS1_3genE3ELNS1_11target_archE908ELNS1_3gpuE7ELNS1_3repE0EEENS1_30default_config_static_selectorELNS0_4arch9wavefront6targetE1EEEvT1_ ; -- Begin function _ZN7rocprim17ROCPRIM_400000_NS6detail17trampoline_kernelINS0_14default_configENS1_27scan_by_key_config_selectorIsiEEZZNS1_16scan_by_key_implILNS1_25lookback_scan_determinismE0ELb1ES3_N6thrust23THRUST_200600_302600_NS6detail15normal_iteratorINS9_10device_ptrIsEEEESE_SE_iNS9_4plusIvEENS9_8equal_toIvEEiEE10hipError_tPvRmT2_T3_T4_T5_mT6_T7_P12ihipStream_tbENKUlT_T0_E_clISt17integral_constantIbLb1EESY_IbLb0EEEEDaSU_SV_EUlSU_E_NS1_11comp_targetILNS1_3genE3ELNS1_11target_archE908ELNS1_3gpuE7ELNS1_3repE0EEENS1_30default_config_static_selectorELNS0_4arch9wavefront6targetE1EEEvT1_
	.globl	_ZN7rocprim17ROCPRIM_400000_NS6detail17trampoline_kernelINS0_14default_configENS1_27scan_by_key_config_selectorIsiEEZZNS1_16scan_by_key_implILNS1_25lookback_scan_determinismE0ELb1ES3_N6thrust23THRUST_200600_302600_NS6detail15normal_iteratorINS9_10device_ptrIsEEEESE_SE_iNS9_4plusIvEENS9_8equal_toIvEEiEE10hipError_tPvRmT2_T3_T4_T5_mT6_T7_P12ihipStream_tbENKUlT_T0_E_clISt17integral_constantIbLb1EESY_IbLb0EEEEDaSU_SV_EUlSU_E_NS1_11comp_targetILNS1_3genE3ELNS1_11target_archE908ELNS1_3gpuE7ELNS1_3repE0EEENS1_30default_config_static_selectorELNS0_4arch9wavefront6targetE1EEEvT1_
	.p2align	8
	.type	_ZN7rocprim17ROCPRIM_400000_NS6detail17trampoline_kernelINS0_14default_configENS1_27scan_by_key_config_selectorIsiEEZZNS1_16scan_by_key_implILNS1_25lookback_scan_determinismE0ELb1ES3_N6thrust23THRUST_200600_302600_NS6detail15normal_iteratorINS9_10device_ptrIsEEEESE_SE_iNS9_4plusIvEENS9_8equal_toIvEEiEE10hipError_tPvRmT2_T3_T4_T5_mT6_T7_P12ihipStream_tbENKUlT_T0_E_clISt17integral_constantIbLb1EESY_IbLb0EEEEDaSU_SV_EUlSU_E_NS1_11comp_targetILNS1_3genE3ELNS1_11target_archE908ELNS1_3gpuE7ELNS1_3repE0EEENS1_30default_config_static_selectorELNS0_4arch9wavefront6targetE1EEEvT1_,@function
_ZN7rocprim17ROCPRIM_400000_NS6detail17trampoline_kernelINS0_14default_configENS1_27scan_by_key_config_selectorIsiEEZZNS1_16scan_by_key_implILNS1_25lookback_scan_determinismE0ELb1ES3_N6thrust23THRUST_200600_302600_NS6detail15normal_iteratorINS9_10device_ptrIsEEEESE_SE_iNS9_4plusIvEENS9_8equal_toIvEEiEE10hipError_tPvRmT2_T3_T4_T5_mT6_T7_P12ihipStream_tbENKUlT_T0_E_clISt17integral_constantIbLb1EESY_IbLb0EEEEDaSU_SV_EUlSU_E_NS1_11comp_targetILNS1_3genE3ELNS1_11target_archE908ELNS1_3gpuE7ELNS1_3repE0EEENS1_30default_config_static_selectorELNS0_4arch9wavefront6targetE1EEEvT1_: ; @_ZN7rocprim17ROCPRIM_400000_NS6detail17trampoline_kernelINS0_14default_configENS1_27scan_by_key_config_selectorIsiEEZZNS1_16scan_by_key_implILNS1_25lookback_scan_determinismE0ELb1ES3_N6thrust23THRUST_200600_302600_NS6detail15normal_iteratorINS9_10device_ptrIsEEEESE_SE_iNS9_4plusIvEENS9_8equal_toIvEEiEE10hipError_tPvRmT2_T3_T4_T5_mT6_T7_P12ihipStream_tbENKUlT_T0_E_clISt17integral_constantIbLb1EESY_IbLb0EEEEDaSU_SV_EUlSU_E_NS1_11comp_targetILNS1_3genE3ELNS1_11target_archE908ELNS1_3gpuE7ELNS1_3repE0EEENS1_30default_config_static_selectorELNS0_4arch9wavefront6targetE1EEEvT1_
; %bb.0:
	.section	.rodata,"a",@progbits
	.p2align	6, 0x0
	.amdhsa_kernel _ZN7rocprim17ROCPRIM_400000_NS6detail17trampoline_kernelINS0_14default_configENS1_27scan_by_key_config_selectorIsiEEZZNS1_16scan_by_key_implILNS1_25lookback_scan_determinismE0ELb1ES3_N6thrust23THRUST_200600_302600_NS6detail15normal_iteratorINS9_10device_ptrIsEEEESE_SE_iNS9_4plusIvEENS9_8equal_toIvEEiEE10hipError_tPvRmT2_T3_T4_T5_mT6_T7_P12ihipStream_tbENKUlT_T0_E_clISt17integral_constantIbLb1EESY_IbLb0EEEEDaSU_SV_EUlSU_E_NS1_11comp_targetILNS1_3genE3ELNS1_11target_archE908ELNS1_3gpuE7ELNS1_3repE0EEENS1_30default_config_static_selectorELNS0_4arch9wavefront6targetE1EEEvT1_
		.amdhsa_group_segment_fixed_size 0
		.amdhsa_private_segment_fixed_size 0
		.amdhsa_kernarg_size 112
		.amdhsa_user_sgpr_count 6
		.amdhsa_user_sgpr_private_segment_buffer 1
		.amdhsa_user_sgpr_dispatch_ptr 0
		.amdhsa_user_sgpr_queue_ptr 0
		.amdhsa_user_sgpr_kernarg_segment_ptr 1
		.amdhsa_user_sgpr_dispatch_id 0
		.amdhsa_user_sgpr_flat_scratch_init 0
		.amdhsa_user_sgpr_kernarg_preload_length 0
		.amdhsa_user_sgpr_kernarg_preload_offset 0
		.amdhsa_user_sgpr_private_segment_size 0
		.amdhsa_uses_dynamic_stack 0
		.amdhsa_system_sgpr_private_segment_wavefront_offset 0
		.amdhsa_system_sgpr_workgroup_id_x 1
		.amdhsa_system_sgpr_workgroup_id_y 0
		.amdhsa_system_sgpr_workgroup_id_z 0
		.amdhsa_system_sgpr_workgroup_info 0
		.amdhsa_system_vgpr_workitem_id 0
		.amdhsa_next_free_vgpr 1
		.amdhsa_next_free_sgpr 0
		.amdhsa_accum_offset 4
		.amdhsa_reserve_vcc 0
		.amdhsa_reserve_flat_scratch 0
		.amdhsa_float_round_mode_32 0
		.amdhsa_float_round_mode_16_64 0
		.amdhsa_float_denorm_mode_32 3
		.amdhsa_float_denorm_mode_16_64 3
		.amdhsa_dx10_clamp 1
		.amdhsa_ieee_mode 1
		.amdhsa_fp16_overflow 0
		.amdhsa_tg_split 0
		.amdhsa_exception_fp_ieee_invalid_op 0
		.amdhsa_exception_fp_denorm_src 0
		.amdhsa_exception_fp_ieee_div_zero 0
		.amdhsa_exception_fp_ieee_overflow 0
		.amdhsa_exception_fp_ieee_underflow 0
		.amdhsa_exception_fp_ieee_inexact 0
		.amdhsa_exception_int_div_zero 0
	.end_amdhsa_kernel
	.section	.text._ZN7rocprim17ROCPRIM_400000_NS6detail17trampoline_kernelINS0_14default_configENS1_27scan_by_key_config_selectorIsiEEZZNS1_16scan_by_key_implILNS1_25lookback_scan_determinismE0ELb1ES3_N6thrust23THRUST_200600_302600_NS6detail15normal_iteratorINS9_10device_ptrIsEEEESE_SE_iNS9_4plusIvEENS9_8equal_toIvEEiEE10hipError_tPvRmT2_T3_T4_T5_mT6_T7_P12ihipStream_tbENKUlT_T0_E_clISt17integral_constantIbLb1EESY_IbLb0EEEEDaSU_SV_EUlSU_E_NS1_11comp_targetILNS1_3genE3ELNS1_11target_archE908ELNS1_3gpuE7ELNS1_3repE0EEENS1_30default_config_static_selectorELNS0_4arch9wavefront6targetE1EEEvT1_,"axG",@progbits,_ZN7rocprim17ROCPRIM_400000_NS6detail17trampoline_kernelINS0_14default_configENS1_27scan_by_key_config_selectorIsiEEZZNS1_16scan_by_key_implILNS1_25lookback_scan_determinismE0ELb1ES3_N6thrust23THRUST_200600_302600_NS6detail15normal_iteratorINS9_10device_ptrIsEEEESE_SE_iNS9_4plusIvEENS9_8equal_toIvEEiEE10hipError_tPvRmT2_T3_T4_T5_mT6_T7_P12ihipStream_tbENKUlT_T0_E_clISt17integral_constantIbLb1EESY_IbLb0EEEEDaSU_SV_EUlSU_E_NS1_11comp_targetILNS1_3genE3ELNS1_11target_archE908ELNS1_3gpuE7ELNS1_3repE0EEENS1_30default_config_static_selectorELNS0_4arch9wavefront6targetE1EEEvT1_,comdat
.Lfunc_end1066:
	.size	_ZN7rocprim17ROCPRIM_400000_NS6detail17trampoline_kernelINS0_14default_configENS1_27scan_by_key_config_selectorIsiEEZZNS1_16scan_by_key_implILNS1_25lookback_scan_determinismE0ELb1ES3_N6thrust23THRUST_200600_302600_NS6detail15normal_iteratorINS9_10device_ptrIsEEEESE_SE_iNS9_4plusIvEENS9_8equal_toIvEEiEE10hipError_tPvRmT2_T3_T4_T5_mT6_T7_P12ihipStream_tbENKUlT_T0_E_clISt17integral_constantIbLb1EESY_IbLb0EEEEDaSU_SV_EUlSU_E_NS1_11comp_targetILNS1_3genE3ELNS1_11target_archE908ELNS1_3gpuE7ELNS1_3repE0EEENS1_30default_config_static_selectorELNS0_4arch9wavefront6targetE1EEEvT1_, .Lfunc_end1066-_ZN7rocprim17ROCPRIM_400000_NS6detail17trampoline_kernelINS0_14default_configENS1_27scan_by_key_config_selectorIsiEEZZNS1_16scan_by_key_implILNS1_25lookback_scan_determinismE0ELb1ES3_N6thrust23THRUST_200600_302600_NS6detail15normal_iteratorINS9_10device_ptrIsEEEESE_SE_iNS9_4plusIvEENS9_8equal_toIvEEiEE10hipError_tPvRmT2_T3_T4_T5_mT6_T7_P12ihipStream_tbENKUlT_T0_E_clISt17integral_constantIbLb1EESY_IbLb0EEEEDaSU_SV_EUlSU_E_NS1_11comp_targetILNS1_3genE3ELNS1_11target_archE908ELNS1_3gpuE7ELNS1_3repE0EEENS1_30default_config_static_selectorELNS0_4arch9wavefront6targetE1EEEvT1_
                                        ; -- End function
	.section	.AMDGPU.csdata,"",@progbits
; Kernel info:
; codeLenInByte = 0
; NumSgprs: 4
; NumVgprs: 0
; NumAgprs: 0
; TotalNumVgprs: 0
; ScratchSize: 0
; MemoryBound: 0
; FloatMode: 240
; IeeeMode: 1
; LDSByteSize: 0 bytes/workgroup (compile time only)
; SGPRBlocks: 0
; VGPRBlocks: 0
; NumSGPRsForWavesPerEU: 4
; NumVGPRsForWavesPerEU: 1
; AccumOffset: 4
; Occupancy: 8
; WaveLimiterHint : 0
; COMPUTE_PGM_RSRC2:SCRATCH_EN: 0
; COMPUTE_PGM_RSRC2:USER_SGPR: 6
; COMPUTE_PGM_RSRC2:TRAP_HANDLER: 0
; COMPUTE_PGM_RSRC2:TGID_X_EN: 1
; COMPUTE_PGM_RSRC2:TGID_Y_EN: 0
; COMPUTE_PGM_RSRC2:TGID_Z_EN: 0
; COMPUTE_PGM_RSRC2:TIDIG_COMP_CNT: 0
; COMPUTE_PGM_RSRC3_GFX90A:ACCUM_OFFSET: 0
; COMPUTE_PGM_RSRC3_GFX90A:TG_SPLIT: 0
	.section	.text._ZN7rocprim17ROCPRIM_400000_NS6detail17trampoline_kernelINS0_14default_configENS1_27scan_by_key_config_selectorIsiEEZZNS1_16scan_by_key_implILNS1_25lookback_scan_determinismE0ELb1ES3_N6thrust23THRUST_200600_302600_NS6detail15normal_iteratorINS9_10device_ptrIsEEEESE_SE_iNS9_4plusIvEENS9_8equal_toIvEEiEE10hipError_tPvRmT2_T3_T4_T5_mT6_T7_P12ihipStream_tbENKUlT_T0_E_clISt17integral_constantIbLb1EESY_IbLb0EEEEDaSU_SV_EUlSU_E_NS1_11comp_targetILNS1_3genE2ELNS1_11target_archE906ELNS1_3gpuE6ELNS1_3repE0EEENS1_30default_config_static_selectorELNS0_4arch9wavefront6targetE1EEEvT1_,"axG",@progbits,_ZN7rocprim17ROCPRIM_400000_NS6detail17trampoline_kernelINS0_14default_configENS1_27scan_by_key_config_selectorIsiEEZZNS1_16scan_by_key_implILNS1_25lookback_scan_determinismE0ELb1ES3_N6thrust23THRUST_200600_302600_NS6detail15normal_iteratorINS9_10device_ptrIsEEEESE_SE_iNS9_4plusIvEENS9_8equal_toIvEEiEE10hipError_tPvRmT2_T3_T4_T5_mT6_T7_P12ihipStream_tbENKUlT_T0_E_clISt17integral_constantIbLb1EESY_IbLb0EEEEDaSU_SV_EUlSU_E_NS1_11comp_targetILNS1_3genE2ELNS1_11target_archE906ELNS1_3gpuE6ELNS1_3repE0EEENS1_30default_config_static_selectorELNS0_4arch9wavefront6targetE1EEEvT1_,comdat
	.protected	_ZN7rocprim17ROCPRIM_400000_NS6detail17trampoline_kernelINS0_14default_configENS1_27scan_by_key_config_selectorIsiEEZZNS1_16scan_by_key_implILNS1_25lookback_scan_determinismE0ELb1ES3_N6thrust23THRUST_200600_302600_NS6detail15normal_iteratorINS9_10device_ptrIsEEEESE_SE_iNS9_4plusIvEENS9_8equal_toIvEEiEE10hipError_tPvRmT2_T3_T4_T5_mT6_T7_P12ihipStream_tbENKUlT_T0_E_clISt17integral_constantIbLb1EESY_IbLb0EEEEDaSU_SV_EUlSU_E_NS1_11comp_targetILNS1_3genE2ELNS1_11target_archE906ELNS1_3gpuE6ELNS1_3repE0EEENS1_30default_config_static_selectorELNS0_4arch9wavefront6targetE1EEEvT1_ ; -- Begin function _ZN7rocprim17ROCPRIM_400000_NS6detail17trampoline_kernelINS0_14default_configENS1_27scan_by_key_config_selectorIsiEEZZNS1_16scan_by_key_implILNS1_25lookback_scan_determinismE0ELb1ES3_N6thrust23THRUST_200600_302600_NS6detail15normal_iteratorINS9_10device_ptrIsEEEESE_SE_iNS9_4plusIvEENS9_8equal_toIvEEiEE10hipError_tPvRmT2_T3_T4_T5_mT6_T7_P12ihipStream_tbENKUlT_T0_E_clISt17integral_constantIbLb1EESY_IbLb0EEEEDaSU_SV_EUlSU_E_NS1_11comp_targetILNS1_3genE2ELNS1_11target_archE906ELNS1_3gpuE6ELNS1_3repE0EEENS1_30default_config_static_selectorELNS0_4arch9wavefront6targetE1EEEvT1_
	.globl	_ZN7rocprim17ROCPRIM_400000_NS6detail17trampoline_kernelINS0_14default_configENS1_27scan_by_key_config_selectorIsiEEZZNS1_16scan_by_key_implILNS1_25lookback_scan_determinismE0ELb1ES3_N6thrust23THRUST_200600_302600_NS6detail15normal_iteratorINS9_10device_ptrIsEEEESE_SE_iNS9_4plusIvEENS9_8equal_toIvEEiEE10hipError_tPvRmT2_T3_T4_T5_mT6_T7_P12ihipStream_tbENKUlT_T0_E_clISt17integral_constantIbLb1EESY_IbLb0EEEEDaSU_SV_EUlSU_E_NS1_11comp_targetILNS1_3genE2ELNS1_11target_archE906ELNS1_3gpuE6ELNS1_3repE0EEENS1_30default_config_static_selectorELNS0_4arch9wavefront6targetE1EEEvT1_
	.p2align	8
	.type	_ZN7rocprim17ROCPRIM_400000_NS6detail17trampoline_kernelINS0_14default_configENS1_27scan_by_key_config_selectorIsiEEZZNS1_16scan_by_key_implILNS1_25lookback_scan_determinismE0ELb1ES3_N6thrust23THRUST_200600_302600_NS6detail15normal_iteratorINS9_10device_ptrIsEEEESE_SE_iNS9_4plusIvEENS9_8equal_toIvEEiEE10hipError_tPvRmT2_T3_T4_T5_mT6_T7_P12ihipStream_tbENKUlT_T0_E_clISt17integral_constantIbLb1EESY_IbLb0EEEEDaSU_SV_EUlSU_E_NS1_11comp_targetILNS1_3genE2ELNS1_11target_archE906ELNS1_3gpuE6ELNS1_3repE0EEENS1_30default_config_static_selectorELNS0_4arch9wavefront6targetE1EEEvT1_,@function
_ZN7rocprim17ROCPRIM_400000_NS6detail17trampoline_kernelINS0_14default_configENS1_27scan_by_key_config_selectorIsiEEZZNS1_16scan_by_key_implILNS1_25lookback_scan_determinismE0ELb1ES3_N6thrust23THRUST_200600_302600_NS6detail15normal_iteratorINS9_10device_ptrIsEEEESE_SE_iNS9_4plusIvEENS9_8equal_toIvEEiEE10hipError_tPvRmT2_T3_T4_T5_mT6_T7_P12ihipStream_tbENKUlT_T0_E_clISt17integral_constantIbLb1EESY_IbLb0EEEEDaSU_SV_EUlSU_E_NS1_11comp_targetILNS1_3genE2ELNS1_11target_archE906ELNS1_3gpuE6ELNS1_3repE0EEENS1_30default_config_static_selectorELNS0_4arch9wavefront6targetE1EEEvT1_: ; @_ZN7rocprim17ROCPRIM_400000_NS6detail17trampoline_kernelINS0_14default_configENS1_27scan_by_key_config_selectorIsiEEZZNS1_16scan_by_key_implILNS1_25lookback_scan_determinismE0ELb1ES3_N6thrust23THRUST_200600_302600_NS6detail15normal_iteratorINS9_10device_ptrIsEEEESE_SE_iNS9_4plusIvEENS9_8equal_toIvEEiEE10hipError_tPvRmT2_T3_T4_T5_mT6_T7_P12ihipStream_tbENKUlT_T0_E_clISt17integral_constantIbLb1EESY_IbLb0EEEEDaSU_SV_EUlSU_E_NS1_11comp_targetILNS1_3genE2ELNS1_11target_archE906ELNS1_3gpuE6ELNS1_3repE0EEENS1_30default_config_static_selectorELNS0_4arch9wavefront6targetE1EEEvT1_
; %bb.0:
	.section	.rodata,"a",@progbits
	.p2align	6, 0x0
	.amdhsa_kernel _ZN7rocprim17ROCPRIM_400000_NS6detail17trampoline_kernelINS0_14default_configENS1_27scan_by_key_config_selectorIsiEEZZNS1_16scan_by_key_implILNS1_25lookback_scan_determinismE0ELb1ES3_N6thrust23THRUST_200600_302600_NS6detail15normal_iteratorINS9_10device_ptrIsEEEESE_SE_iNS9_4plusIvEENS9_8equal_toIvEEiEE10hipError_tPvRmT2_T3_T4_T5_mT6_T7_P12ihipStream_tbENKUlT_T0_E_clISt17integral_constantIbLb1EESY_IbLb0EEEEDaSU_SV_EUlSU_E_NS1_11comp_targetILNS1_3genE2ELNS1_11target_archE906ELNS1_3gpuE6ELNS1_3repE0EEENS1_30default_config_static_selectorELNS0_4arch9wavefront6targetE1EEEvT1_
		.amdhsa_group_segment_fixed_size 0
		.amdhsa_private_segment_fixed_size 0
		.amdhsa_kernarg_size 112
		.amdhsa_user_sgpr_count 6
		.amdhsa_user_sgpr_private_segment_buffer 1
		.amdhsa_user_sgpr_dispatch_ptr 0
		.amdhsa_user_sgpr_queue_ptr 0
		.amdhsa_user_sgpr_kernarg_segment_ptr 1
		.amdhsa_user_sgpr_dispatch_id 0
		.amdhsa_user_sgpr_flat_scratch_init 0
		.amdhsa_user_sgpr_kernarg_preload_length 0
		.amdhsa_user_sgpr_kernarg_preload_offset 0
		.amdhsa_user_sgpr_private_segment_size 0
		.amdhsa_uses_dynamic_stack 0
		.amdhsa_system_sgpr_private_segment_wavefront_offset 0
		.amdhsa_system_sgpr_workgroup_id_x 1
		.amdhsa_system_sgpr_workgroup_id_y 0
		.amdhsa_system_sgpr_workgroup_id_z 0
		.amdhsa_system_sgpr_workgroup_info 0
		.amdhsa_system_vgpr_workitem_id 0
		.amdhsa_next_free_vgpr 1
		.amdhsa_next_free_sgpr 0
		.amdhsa_accum_offset 4
		.amdhsa_reserve_vcc 0
		.amdhsa_reserve_flat_scratch 0
		.amdhsa_float_round_mode_32 0
		.amdhsa_float_round_mode_16_64 0
		.amdhsa_float_denorm_mode_32 3
		.amdhsa_float_denorm_mode_16_64 3
		.amdhsa_dx10_clamp 1
		.amdhsa_ieee_mode 1
		.amdhsa_fp16_overflow 0
		.amdhsa_tg_split 0
		.amdhsa_exception_fp_ieee_invalid_op 0
		.amdhsa_exception_fp_denorm_src 0
		.amdhsa_exception_fp_ieee_div_zero 0
		.amdhsa_exception_fp_ieee_overflow 0
		.amdhsa_exception_fp_ieee_underflow 0
		.amdhsa_exception_fp_ieee_inexact 0
		.amdhsa_exception_int_div_zero 0
	.end_amdhsa_kernel
	.section	.text._ZN7rocprim17ROCPRIM_400000_NS6detail17trampoline_kernelINS0_14default_configENS1_27scan_by_key_config_selectorIsiEEZZNS1_16scan_by_key_implILNS1_25lookback_scan_determinismE0ELb1ES3_N6thrust23THRUST_200600_302600_NS6detail15normal_iteratorINS9_10device_ptrIsEEEESE_SE_iNS9_4plusIvEENS9_8equal_toIvEEiEE10hipError_tPvRmT2_T3_T4_T5_mT6_T7_P12ihipStream_tbENKUlT_T0_E_clISt17integral_constantIbLb1EESY_IbLb0EEEEDaSU_SV_EUlSU_E_NS1_11comp_targetILNS1_3genE2ELNS1_11target_archE906ELNS1_3gpuE6ELNS1_3repE0EEENS1_30default_config_static_selectorELNS0_4arch9wavefront6targetE1EEEvT1_,"axG",@progbits,_ZN7rocprim17ROCPRIM_400000_NS6detail17trampoline_kernelINS0_14default_configENS1_27scan_by_key_config_selectorIsiEEZZNS1_16scan_by_key_implILNS1_25lookback_scan_determinismE0ELb1ES3_N6thrust23THRUST_200600_302600_NS6detail15normal_iteratorINS9_10device_ptrIsEEEESE_SE_iNS9_4plusIvEENS9_8equal_toIvEEiEE10hipError_tPvRmT2_T3_T4_T5_mT6_T7_P12ihipStream_tbENKUlT_T0_E_clISt17integral_constantIbLb1EESY_IbLb0EEEEDaSU_SV_EUlSU_E_NS1_11comp_targetILNS1_3genE2ELNS1_11target_archE906ELNS1_3gpuE6ELNS1_3repE0EEENS1_30default_config_static_selectorELNS0_4arch9wavefront6targetE1EEEvT1_,comdat
.Lfunc_end1067:
	.size	_ZN7rocprim17ROCPRIM_400000_NS6detail17trampoline_kernelINS0_14default_configENS1_27scan_by_key_config_selectorIsiEEZZNS1_16scan_by_key_implILNS1_25lookback_scan_determinismE0ELb1ES3_N6thrust23THRUST_200600_302600_NS6detail15normal_iteratorINS9_10device_ptrIsEEEESE_SE_iNS9_4plusIvEENS9_8equal_toIvEEiEE10hipError_tPvRmT2_T3_T4_T5_mT6_T7_P12ihipStream_tbENKUlT_T0_E_clISt17integral_constantIbLb1EESY_IbLb0EEEEDaSU_SV_EUlSU_E_NS1_11comp_targetILNS1_3genE2ELNS1_11target_archE906ELNS1_3gpuE6ELNS1_3repE0EEENS1_30default_config_static_selectorELNS0_4arch9wavefront6targetE1EEEvT1_, .Lfunc_end1067-_ZN7rocprim17ROCPRIM_400000_NS6detail17trampoline_kernelINS0_14default_configENS1_27scan_by_key_config_selectorIsiEEZZNS1_16scan_by_key_implILNS1_25lookback_scan_determinismE0ELb1ES3_N6thrust23THRUST_200600_302600_NS6detail15normal_iteratorINS9_10device_ptrIsEEEESE_SE_iNS9_4plusIvEENS9_8equal_toIvEEiEE10hipError_tPvRmT2_T3_T4_T5_mT6_T7_P12ihipStream_tbENKUlT_T0_E_clISt17integral_constantIbLb1EESY_IbLb0EEEEDaSU_SV_EUlSU_E_NS1_11comp_targetILNS1_3genE2ELNS1_11target_archE906ELNS1_3gpuE6ELNS1_3repE0EEENS1_30default_config_static_selectorELNS0_4arch9wavefront6targetE1EEEvT1_
                                        ; -- End function
	.section	.AMDGPU.csdata,"",@progbits
; Kernel info:
; codeLenInByte = 0
; NumSgprs: 4
; NumVgprs: 0
; NumAgprs: 0
; TotalNumVgprs: 0
; ScratchSize: 0
; MemoryBound: 0
; FloatMode: 240
; IeeeMode: 1
; LDSByteSize: 0 bytes/workgroup (compile time only)
; SGPRBlocks: 0
; VGPRBlocks: 0
; NumSGPRsForWavesPerEU: 4
; NumVGPRsForWavesPerEU: 1
; AccumOffset: 4
; Occupancy: 8
; WaveLimiterHint : 0
; COMPUTE_PGM_RSRC2:SCRATCH_EN: 0
; COMPUTE_PGM_RSRC2:USER_SGPR: 6
; COMPUTE_PGM_RSRC2:TRAP_HANDLER: 0
; COMPUTE_PGM_RSRC2:TGID_X_EN: 1
; COMPUTE_PGM_RSRC2:TGID_Y_EN: 0
; COMPUTE_PGM_RSRC2:TGID_Z_EN: 0
; COMPUTE_PGM_RSRC2:TIDIG_COMP_CNT: 0
; COMPUTE_PGM_RSRC3_GFX90A:ACCUM_OFFSET: 0
; COMPUTE_PGM_RSRC3_GFX90A:TG_SPLIT: 0
	.section	.text._ZN7rocprim17ROCPRIM_400000_NS6detail17trampoline_kernelINS0_14default_configENS1_27scan_by_key_config_selectorIsiEEZZNS1_16scan_by_key_implILNS1_25lookback_scan_determinismE0ELb1ES3_N6thrust23THRUST_200600_302600_NS6detail15normal_iteratorINS9_10device_ptrIsEEEESE_SE_iNS9_4plusIvEENS9_8equal_toIvEEiEE10hipError_tPvRmT2_T3_T4_T5_mT6_T7_P12ihipStream_tbENKUlT_T0_E_clISt17integral_constantIbLb1EESY_IbLb0EEEEDaSU_SV_EUlSU_E_NS1_11comp_targetILNS1_3genE10ELNS1_11target_archE1200ELNS1_3gpuE4ELNS1_3repE0EEENS1_30default_config_static_selectorELNS0_4arch9wavefront6targetE1EEEvT1_,"axG",@progbits,_ZN7rocprim17ROCPRIM_400000_NS6detail17trampoline_kernelINS0_14default_configENS1_27scan_by_key_config_selectorIsiEEZZNS1_16scan_by_key_implILNS1_25lookback_scan_determinismE0ELb1ES3_N6thrust23THRUST_200600_302600_NS6detail15normal_iteratorINS9_10device_ptrIsEEEESE_SE_iNS9_4plusIvEENS9_8equal_toIvEEiEE10hipError_tPvRmT2_T3_T4_T5_mT6_T7_P12ihipStream_tbENKUlT_T0_E_clISt17integral_constantIbLb1EESY_IbLb0EEEEDaSU_SV_EUlSU_E_NS1_11comp_targetILNS1_3genE10ELNS1_11target_archE1200ELNS1_3gpuE4ELNS1_3repE0EEENS1_30default_config_static_selectorELNS0_4arch9wavefront6targetE1EEEvT1_,comdat
	.protected	_ZN7rocprim17ROCPRIM_400000_NS6detail17trampoline_kernelINS0_14default_configENS1_27scan_by_key_config_selectorIsiEEZZNS1_16scan_by_key_implILNS1_25lookback_scan_determinismE0ELb1ES3_N6thrust23THRUST_200600_302600_NS6detail15normal_iteratorINS9_10device_ptrIsEEEESE_SE_iNS9_4plusIvEENS9_8equal_toIvEEiEE10hipError_tPvRmT2_T3_T4_T5_mT6_T7_P12ihipStream_tbENKUlT_T0_E_clISt17integral_constantIbLb1EESY_IbLb0EEEEDaSU_SV_EUlSU_E_NS1_11comp_targetILNS1_3genE10ELNS1_11target_archE1200ELNS1_3gpuE4ELNS1_3repE0EEENS1_30default_config_static_selectorELNS0_4arch9wavefront6targetE1EEEvT1_ ; -- Begin function _ZN7rocprim17ROCPRIM_400000_NS6detail17trampoline_kernelINS0_14default_configENS1_27scan_by_key_config_selectorIsiEEZZNS1_16scan_by_key_implILNS1_25lookback_scan_determinismE0ELb1ES3_N6thrust23THRUST_200600_302600_NS6detail15normal_iteratorINS9_10device_ptrIsEEEESE_SE_iNS9_4plusIvEENS9_8equal_toIvEEiEE10hipError_tPvRmT2_T3_T4_T5_mT6_T7_P12ihipStream_tbENKUlT_T0_E_clISt17integral_constantIbLb1EESY_IbLb0EEEEDaSU_SV_EUlSU_E_NS1_11comp_targetILNS1_3genE10ELNS1_11target_archE1200ELNS1_3gpuE4ELNS1_3repE0EEENS1_30default_config_static_selectorELNS0_4arch9wavefront6targetE1EEEvT1_
	.globl	_ZN7rocprim17ROCPRIM_400000_NS6detail17trampoline_kernelINS0_14default_configENS1_27scan_by_key_config_selectorIsiEEZZNS1_16scan_by_key_implILNS1_25lookback_scan_determinismE0ELb1ES3_N6thrust23THRUST_200600_302600_NS6detail15normal_iteratorINS9_10device_ptrIsEEEESE_SE_iNS9_4plusIvEENS9_8equal_toIvEEiEE10hipError_tPvRmT2_T3_T4_T5_mT6_T7_P12ihipStream_tbENKUlT_T0_E_clISt17integral_constantIbLb1EESY_IbLb0EEEEDaSU_SV_EUlSU_E_NS1_11comp_targetILNS1_3genE10ELNS1_11target_archE1200ELNS1_3gpuE4ELNS1_3repE0EEENS1_30default_config_static_selectorELNS0_4arch9wavefront6targetE1EEEvT1_
	.p2align	8
	.type	_ZN7rocprim17ROCPRIM_400000_NS6detail17trampoline_kernelINS0_14default_configENS1_27scan_by_key_config_selectorIsiEEZZNS1_16scan_by_key_implILNS1_25lookback_scan_determinismE0ELb1ES3_N6thrust23THRUST_200600_302600_NS6detail15normal_iteratorINS9_10device_ptrIsEEEESE_SE_iNS9_4plusIvEENS9_8equal_toIvEEiEE10hipError_tPvRmT2_T3_T4_T5_mT6_T7_P12ihipStream_tbENKUlT_T0_E_clISt17integral_constantIbLb1EESY_IbLb0EEEEDaSU_SV_EUlSU_E_NS1_11comp_targetILNS1_3genE10ELNS1_11target_archE1200ELNS1_3gpuE4ELNS1_3repE0EEENS1_30default_config_static_selectorELNS0_4arch9wavefront6targetE1EEEvT1_,@function
_ZN7rocprim17ROCPRIM_400000_NS6detail17trampoline_kernelINS0_14default_configENS1_27scan_by_key_config_selectorIsiEEZZNS1_16scan_by_key_implILNS1_25lookback_scan_determinismE0ELb1ES3_N6thrust23THRUST_200600_302600_NS6detail15normal_iteratorINS9_10device_ptrIsEEEESE_SE_iNS9_4plusIvEENS9_8equal_toIvEEiEE10hipError_tPvRmT2_T3_T4_T5_mT6_T7_P12ihipStream_tbENKUlT_T0_E_clISt17integral_constantIbLb1EESY_IbLb0EEEEDaSU_SV_EUlSU_E_NS1_11comp_targetILNS1_3genE10ELNS1_11target_archE1200ELNS1_3gpuE4ELNS1_3repE0EEENS1_30default_config_static_selectorELNS0_4arch9wavefront6targetE1EEEvT1_: ; @_ZN7rocprim17ROCPRIM_400000_NS6detail17trampoline_kernelINS0_14default_configENS1_27scan_by_key_config_selectorIsiEEZZNS1_16scan_by_key_implILNS1_25lookback_scan_determinismE0ELb1ES3_N6thrust23THRUST_200600_302600_NS6detail15normal_iteratorINS9_10device_ptrIsEEEESE_SE_iNS9_4plusIvEENS9_8equal_toIvEEiEE10hipError_tPvRmT2_T3_T4_T5_mT6_T7_P12ihipStream_tbENKUlT_T0_E_clISt17integral_constantIbLb1EESY_IbLb0EEEEDaSU_SV_EUlSU_E_NS1_11comp_targetILNS1_3genE10ELNS1_11target_archE1200ELNS1_3gpuE4ELNS1_3repE0EEENS1_30default_config_static_selectorELNS0_4arch9wavefront6targetE1EEEvT1_
; %bb.0:
	.section	.rodata,"a",@progbits
	.p2align	6, 0x0
	.amdhsa_kernel _ZN7rocprim17ROCPRIM_400000_NS6detail17trampoline_kernelINS0_14default_configENS1_27scan_by_key_config_selectorIsiEEZZNS1_16scan_by_key_implILNS1_25lookback_scan_determinismE0ELb1ES3_N6thrust23THRUST_200600_302600_NS6detail15normal_iteratorINS9_10device_ptrIsEEEESE_SE_iNS9_4plusIvEENS9_8equal_toIvEEiEE10hipError_tPvRmT2_T3_T4_T5_mT6_T7_P12ihipStream_tbENKUlT_T0_E_clISt17integral_constantIbLb1EESY_IbLb0EEEEDaSU_SV_EUlSU_E_NS1_11comp_targetILNS1_3genE10ELNS1_11target_archE1200ELNS1_3gpuE4ELNS1_3repE0EEENS1_30default_config_static_selectorELNS0_4arch9wavefront6targetE1EEEvT1_
		.amdhsa_group_segment_fixed_size 0
		.amdhsa_private_segment_fixed_size 0
		.amdhsa_kernarg_size 112
		.amdhsa_user_sgpr_count 6
		.amdhsa_user_sgpr_private_segment_buffer 1
		.amdhsa_user_sgpr_dispatch_ptr 0
		.amdhsa_user_sgpr_queue_ptr 0
		.amdhsa_user_sgpr_kernarg_segment_ptr 1
		.amdhsa_user_sgpr_dispatch_id 0
		.amdhsa_user_sgpr_flat_scratch_init 0
		.amdhsa_user_sgpr_kernarg_preload_length 0
		.amdhsa_user_sgpr_kernarg_preload_offset 0
		.amdhsa_user_sgpr_private_segment_size 0
		.amdhsa_uses_dynamic_stack 0
		.amdhsa_system_sgpr_private_segment_wavefront_offset 0
		.amdhsa_system_sgpr_workgroup_id_x 1
		.amdhsa_system_sgpr_workgroup_id_y 0
		.amdhsa_system_sgpr_workgroup_id_z 0
		.amdhsa_system_sgpr_workgroup_info 0
		.amdhsa_system_vgpr_workitem_id 0
		.amdhsa_next_free_vgpr 1
		.amdhsa_next_free_sgpr 0
		.amdhsa_accum_offset 4
		.amdhsa_reserve_vcc 0
		.amdhsa_reserve_flat_scratch 0
		.amdhsa_float_round_mode_32 0
		.amdhsa_float_round_mode_16_64 0
		.amdhsa_float_denorm_mode_32 3
		.amdhsa_float_denorm_mode_16_64 3
		.amdhsa_dx10_clamp 1
		.amdhsa_ieee_mode 1
		.amdhsa_fp16_overflow 0
		.amdhsa_tg_split 0
		.amdhsa_exception_fp_ieee_invalid_op 0
		.amdhsa_exception_fp_denorm_src 0
		.amdhsa_exception_fp_ieee_div_zero 0
		.amdhsa_exception_fp_ieee_overflow 0
		.amdhsa_exception_fp_ieee_underflow 0
		.amdhsa_exception_fp_ieee_inexact 0
		.amdhsa_exception_int_div_zero 0
	.end_amdhsa_kernel
	.section	.text._ZN7rocprim17ROCPRIM_400000_NS6detail17trampoline_kernelINS0_14default_configENS1_27scan_by_key_config_selectorIsiEEZZNS1_16scan_by_key_implILNS1_25lookback_scan_determinismE0ELb1ES3_N6thrust23THRUST_200600_302600_NS6detail15normal_iteratorINS9_10device_ptrIsEEEESE_SE_iNS9_4plusIvEENS9_8equal_toIvEEiEE10hipError_tPvRmT2_T3_T4_T5_mT6_T7_P12ihipStream_tbENKUlT_T0_E_clISt17integral_constantIbLb1EESY_IbLb0EEEEDaSU_SV_EUlSU_E_NS1_11comp_targetILNS1_3genE10ELNS1_11target_archE1200ELNS1_3gpuE4ELNS1_3repE0EEENS1_30default_config_static_selectorELNS0_4arch9wavefront6targetE1EEEvT1_,"axG",@progbits,_ZN7rocprim17ROCPRIM_400000_NS6detail17trampoline_kernelINS0_14default_configENS1_27scan_by_key_config_selectorIsiEEZZNS1_16scan_by_key_implILNS1_25lookback_scan_determinismE0ELb1ES3_N6thrust23THRUST_200600_302600_NS6detail15normal_iteratorINS9_10device_ptrIsEEEESE_SE_iNS9_4plusIvEENS9_8equal_toIvEEiEE10hipError_tPvRmT2_T3_T4_T5_mT6_T7_P12ihipStream_tbENKUlT_T0_E_clISt17integral_constantIbLb1EESY_IbLb0EEEEDaSU_SV_EUlSU_E_NS1_11comp_targetILNS1_3genE10ELNS1_11target_archE1200ELNS1_3gpuE4ELNS1_3repE0EEENS1_30default_config_static_selectorELNS0_4arch9wavefront6targetE1EEEvT1_,comdat
.Lfunc_end1068:
	.size	_ZN7rocprim17ROCPRIM_400000_NS6detail17trampoline_kernelINS0_14default_configENS1_27scan_by_key_config_selectorIsiEEZZNS1_16scan_by_key_implILNS1_25lookback_scan_determinismE0ELb1ES3_N6thrust23THRUST_200600_302600_NS6detail15normal_iteratorINS9_10device_ptrIsEEEESE_SE_iNS9_4plusIvEENS9_8equal_toIvEEiEE10hipError_tPvRmT2_T3_T4_T5_mT6_T7_P12ihipStream_tbENKUlT_T0_E_clISt17integral_constantIbLb1EESY_IbLb0EEEEDaSU_SV_EUlSU_E_NS1_11comp_targetILNS1_3genE10ELNS1_11target_archE1200ELNS1_3gpuE4ELNS1_3repE0EEENS1_30default_config_static_selectorELNS0_4arch9wavefront6targetE1EEEvT1_, .Lfunc_end1068-_ZN7rocprim17ROCPRIM_400000_NS6detail17trampoline_kernelINS0_14default_configENS1_27scan_by_key_config_selectorIsiEEZZNS1_16scan_by_key_implILNS1_25lookback_scan_determinismE0ELb1ES3_N6thrust23THRUST_200600_302600_NS6detail15normal_iteratorINS9_10device_ptrIsEEEESE_SE_iNS9_4plusIvEENS9_8equal_toIvEEiEE10hipError_tPvRmT2_T3_T4_T5_mT6_T7_P12ihipStream_tbENKUlT_T0_E_clISt17integral_constantIbLb1EESY_IbLb0EEEEDaSU_SV_EUlSU_E_NS1_11comp_targetILNS1_3genE10ELNS1_11target_archE1200ELNS1_3gpuE4ELNS1_3repE0EEENS1_30default_config_static_selectorELNS0_4arch9wavefront6targetE1EEEvT1_
                                        ; -- End function
	.section	.AMDGPU.csdata,"",@progbits
; Kernel info:
; codeLenInByte = 0
; NumSgprs: 4
; NumVgprs: 0
; NumAgprs: 0
; TotalNumVgprs: 0
; ScratchSize: 0
; MemoryBound: 0
; FloatMode: 240
; IeeeMode: 1
; LDSByteSize: 0 bytes/workgroup (compile time only)
; SGPRBlocks: 0
; VGPRBlocks: 0
; NumSGPRsForWavesPerEU: 4
; NumVGPRsForWavesPerEU: 1
; AccumOffset: 4
; Occupancy: 8
; WaveLimiterHint : 0
; COMPUTE_PGM_RSRC2:SCRATCH_EN: 0
; COMPUTE_PGM_RSRC2:USER_SGPR: 6
; COMPUTE_PGM_RSRC2:TRAP_HANDLER: 0
; COMPUTE_PGM_RSRC2:TGID_X_EN: 1
; COMPUTE_PGM_RSRC2:TGID_Y_EN: 0
; COMPUTE_PGM_RSRC2:TGID_Z_EN: 0
; COMPUTE_PGM_RSRC2:TIDIG_COMP_CNT: 0
; COMPUTE_PGM_RSRC3_GFX90A:ACCUM_OFFSET: 0
; COMPUTE_PGM_RSRC3_GFX90A:TG_SPLIT: 0
	.section	.text._ZN7rocprim17ROCPRIM_400000_NS6detail17trampoline_kernelINS0_14default_configENS1_27scan_by_key_config_selectorIsiEEZZNS1_16scan_by_key_implILNS1_25lookback_scan_determinismE0ELb1ES3_N6thrust23THRUST_200600_302600_NS6detail15normal_iteratorINS9_10device_ptrIsEEEESE_SE_iNS9_4plusIvEENS9_8equal_toIvEEiEE10hipError_tPvRmT2_T3_T4_T5_mT6_T7_P12ihipStream_tbENKUlT_T0_E_clISt17integral_constantIbLb1EESY_IbLb0EEEEDaSU_SV_EUlSU_E_NS1_11comp_targetILNS1_3genE9ELNS1_11target_archE1100ELNS1_3gpuE3ELNS1_3repE0EEENS1_30default_config_static_selectorELNS0_4arch9wavefront6targetE1EEEvT1_,"axG",@progbits,_ZN7rocprim17ROCPRIM_400000_NS6detail17trampoline_kernelINS0_14default_configENS1_27scan_by_key_config_selectorIsiEEZZNS1_16scan_by_key_implILNS1_25lookback_scan_determinismE0ELb1ES3_N6thrust23THRUST_200600_302600_NS6detail15normal_iteratorINS9_10device_ptrIsEEEESE_SE_iNS9_4plusIvEENS9_8equal_toIvEEiEE10hipError_tPvRmT2_T3_T4_T5_mT6_T7_P12ihipStream_tbENKUlT_T0_E_clISt17integral_constantIbLb1EESY_IbLb0EEEEDaSU_SV_EUlSU_E_NS1_11comp_targetILNS1_3genE9ELNS1_11target_archE1100ELNS1_3gpuE3ELNS1_3repE0EEENS1_30default_config_static_selectorELNS0_4arch9wavefront6targetE1EEEvT1_,comdat
	.protected	_ZN7rocprim17ROCPRIM_400000_NS6detail17trampoline_kernelINS0_14default_configENS1_27scan_by_key_config_selectorIsiEEZZNS1_16scan_by_key_implILNS1_25lookback_scan_determinismE0ELb1ES3_N6thrust23THRUST_200600_302600_NS6detail15normal_iteratorINS9_10device_ptrIsEEEESE_SE_iNS9_4plusIvEENS9_8equal_toIvEEiEE10hipError_tPvRmT2_T3_T4_T5_mT6_T7_P12ihipStream_tbENKUlT_T0_E_clISt17integral_constantIbLb1EESY_IbLb0EEEEDaSU_SV_EUlSU_E_NS1_11comp_targetILNS1_3genE9ELNS1_11target_archE1100ELNS1_3gpuE3ELNS1_3repE0EEENS1_30default_config_static_selectorELNS0_4arch9wavefront6targetE1EEEvT1_ ; -- Begin function _ZN7rocprim17ROCPRIM_400000_NS6detail17trampoline_kernelINS0_14default_configENS1_27scan_by_key_config_selectorIsiEEZZNS1_16scan_by_key_implILNS1_25lookback_scan_determinismE0ELb1ES3_N6thrust23THRUST_200600_302600_NS6detail15normal_iteratorINS9_10device_ptrIsEEEESE_SE_iNS9_4plusIvEENS9_8equal_toIvEEiEE10hipError_tPvRmT2_T3_T4_T5_mT6_T7_P12ihipStream_tbENKUlT_T0_E_clISt17integral_constantIbLb1EESY_IbLb0EEEEDaSU_SV_EUlSU_E_NS1_11comp_targetILNS1_3genE9ELNS1_11target_archE1100ELNS1_3gpuE3ELNS1_3repE0EEENS1_30default_config_static_selectorELNS0_4arch9wavefront6targetE1EEEvT1_
	.globl	_ZN7rocprim17ROCPRIM_400000_NS6detail17trampoline_kernelINS0_14default_configENS1_27scan_by_key_config_selectorIsiEEZZNS1_16scan_by_key_implILNS1_25lookback_scan_determinismE0ELb1ES3_N6thrust23THRUST_200600_302600_NS6detail15normal_iteratorINS9_10device_ptrIsEEEESE_SE_iNS9_4plusIvEENS9_8equal_toIvEEiEE10hipError_tPvRmT2_T3_T4_T5_mT6_T7_P12ihipStream_tbENKUlT_T0_E_clISt17integral_constantIbLb1EESY_IbLb0EEEEDaSU_SV_EUlSU_E_NS1_11comp_targetILNS1_3genE9ELNS1_11target_archE1100ELNS1_3gpuE3ELNS1_3repE0EEENS1_30default_config_static_selectorELNS0_4arch9wavefront6targetE1EEEvT1_
	.p2align	8
	.type	_ZN7rocprim17ROCPRIM_400000_NS6detail17trampoline_kernelINS0_14default_configENS1_27scan_by_key_config_selectorIsiEEZZNS1_16scan_by_key_implILNS1_25lookback_scan_determinismE0ELb1ES3_N6thrust23THRUST_200600_302600_NS6detail15normal_iteratorINS9_10device_ptrIsEEEESE_SE_iNS9_4plusIvEENS9_8equal_toIvEEiEE10hipError_tPvRmT2_T3_T4_T5_mT6_T7_P12ihipStream_tbENKUlT_T0_E_clISt17integral_constantIbLb1EESY_IbLb0EEEEDaSU_SV_EUlSU_E_NS1_11comp_targetILNS1_3genE9ELNS1_11target_archE1100ELNS1_3gpuE3ELNS1_3repE0EEENS1_30default_config_static_selectorELNS0_4arch9wavefront6targetE1EEEvT1_,@function
_ZN7rocprim17ROCPRIM_400000_NS6detail17trampoline_kernelINS0_14default_configENS1_27scan_by_key_config_selectorIsiEEZZNS1_16scan_by_key_implILNS1_25lookback_scan_determinismE0ELb1ES3_N6thrust23THRUST_200600_302600_NS6detail15normal_iteratorINS9_10device_ptrIsEEEESE_SE_iNS9_4plusIvEENS9_8equal_toIvEEiEE10hipError_tPvRmT2_T3_T4_T5_mT6_T7_P12ihipStream_tbENKUlT_T0_E_clISt17integral_constantIbLb1EESY_IbLb0EEEEDaSU_SV_EUlSU_E_NS1_11comp_targetILNS1_3genE9ELNS1_11target_archE1100ELNS1_3gpuE3ELNS1_3repE0EEENS1_30default_config_static_selectorELNS0_4arch9wavefront6targetE1EEEvT1_: ; @_ZN7rocprim17ROCPRIM_400000_NS6detail17trampoline_kernelINS0_14default_configENS1_27scan_by_key_config_selectorIsiEEZZNS1_16scan_by_key_implILNS1_25lookback_scan_determinismE0ELb1ES3_N6thrust23THRUST_200600_302600_NS6detail15normal_iteratorINS9_10device_ptrIsEEEESE_SE_iNS9_4plusIvEENS9_8equal_toIvEEiEE10hipError_tPvRmT2_T3_T4_T5_mT6_T7_P12ihipStream_tbENKUlT_T0_E_clISt17integral_constantIbLb1EESY_IbLb0EEEEDaSU_SV_EUlSU_E_NS1_11comp_targetILNS1_3genE9ELNS1_11target_archE1100ELNS1_3gpuE3ELNS1_3repE0EEENS1_30default_config_static_selectorELNS0_4arch9wavefront6targetE1EEEvT1_
; %bb.0:
	.section	.rodata,"a",@progbits
	.p2align	6, 0x0
	.amdhsa_kernel _ZN7rocprim17ROCPRIM_400000_NS6detail17trampoline_kernelINS0_14default_configENS1_27scan_by_key_config_selectorIsiEEZZNS1_16scan_by_key_implILNS1_25lookback_scan_determinismE0ELb1ES3_N6thrust23THRUST_200600_302600_NS6detail15normal_iteratorINS9_10device_ptrIsEEEESE_SE_iNS9_4plusIvEENS9_8equal_toIvEEiEE10hipError_tPvRmT2_T3_T4_T5_mT6_T7_P12ihipStream_tbENKUlT_T0_E_clISt17integral_constantIbLb1EESY_IbLb0EEEEDaSU_SV_EUlSU_E_NS1_11comp_targetILNS1_3genE9ELNS1_11target_archE1100ELNS1_3gpuE3ELNS1_3repE0EEENS1_30default_config_static_selectorELNS0_4arch9wavefront6targetE1EEEvT1_
		.amdhsa_group_segment_fixed_size 0
		.amdhsa_private_segment_fixed_size 0
		.amdhsa_kernarg_size 112
		.amdhsa_user_sgpr_count 6
		.amdhsa_user_sgpr_private_segment_buffer 1
		.amdhsa_user_sgpr_dispatch_ptr 0
		.amdhsa_user_sgpr_queue_ptr 0
		.amdhsa_user_sgpr_kernarg_segment_ptr 1
		.amdhsa_user_sgpr_dispatch_id 0
		.amdhsa_user_sgpr_flat_scratch_init 0
		.amdhsa_user_sgpr_kernarg_preload_length 0
		.amdhsa_user_sgpr_kernarg_preload_offset 0
		.amdhsa_user_sgpr_private_segment_size 0
		.amdhsa_uses_dynamic_stack 0
		.amdhsa_system_sgpr_private_segment_wavefront_offset 0
		.amdhsa_system_sgpr_workgroup_id_x 1
		.amdhsa_system_sgpr_workgroup_id_y 0
		.amdhsa_system_sgpr_workgroup_id_z 0
		.amdhsa_system_sgpr_workgroup_info 0
		.amdhsa_system_vgpr_workitem_id 0
		.amdhsa_next_free_vgpr 1
		.amdhsa_next_free_sgpr 0
		.amdhsa_accum_offset 4
		.amdhsa_reserve_vcc 0
		.amdhsa_reserve_flat_scratch 0
		.amdhsa_float_round_mode_32 0
		.amdhsa_float_round_mode_16_64 0
		.amdhsa_float_denorm_mode_32 3
		.amdhsa_float_denorm_mode_16_64 3
		.amdhsa_dx10_clamp 1
		.amdhsa_ieee_mode 1
		.amdhsa_fp16_overflow 0
		.amdhsa_tg_split 0
		.amdhsa_exception_fp_ieee_invalid_op 0
		.amdhsa_exception_fp_denorm_src 0
		.amdhsa_exception_fp_ieee_div_zero 0
		.amdhsa_exception_fp_ieee_overflow 0
		.amdhsa_exception_fp_ieee_underflow 0
		.amdhsa_exception_fp_ieee_inexact 0
		.amdhsa_exception_int_div_zero 0
	.end_amdhsa_kernel
	.section	.text._ZN7rocprim17ROCPRIM_400000_NS6detail17trampoline_kernelINS0_14default_configENS1_27scan_by_key_config_selectorIsiEEZZNS1_16scan_by_key_implILNS1_25lookback_scan_determinismE0ELb1ES3_N6thrust23THRUST_200600_302600_NS6detail15normal_iteratorINS9_10device_ptrIsEEEESE_SE_iNS9_4plusIvEENS9_8equal_toIvEEiEE10hipError_tPvRmT2_T3_T4_T5_mT6_T7_P12ihipStream_tbENKUlT_T0_E_clISt17integral_constantIbLb1EESY_IbLb0EEEEDaSU_SV_EUlSU_E_NS1_11comp_targetILNS1_3genE9ELNS1_11target_archE1100ELNS1_3gpuE3ELNS1_3repE0EEENS1_30default_config_static_selectorELNS0_4arch9wavefront6targetE1EEEvT1_,"axG",@progbits,_ZN7rocprim17ROCPRIM_400000_NS6detail17trampoline_kernelINS0_14default_configENS1_27scan_by_key_config_selectorIsiEEZZNS1_16scan_by_key_implILNS1_25lookback_scan_determinismE0ELb1ES3_N6thrust23THRUST_200600_302600_NS6detail15normal_iteratorINS9_10device_ptrIsEEEESE_SE_iNS9_4plusIvEENS9_8equal_toIvEEiEE10hipError_tPvRmT2_T3_T4_T5_mT6_T7_P12ihipStream_tbENKUlT_T0_E_clISt17integral_constantIbLb1EESY_IbLb0EEEEDaSU_SV_EUlSU_E_NS1_11comp_targetILNS1_3genE9ELNS1_11target_archE1100ELNS1_3gpuE3ELNS1_3repE0EEENS1_30default_config_static_selectorELNS0_4arch9wavefront6targetE1EEEvT1_,comdat
.Lfunc_end1069:
	.size	_ZN7rocprim17ROCPRIM_400000_NS6detail17trampoline_kernelINS0_14default_configENS1_27scan_by_key_config_selectorIsiEEZZNS1_16scan_by_key_implILNS1_25lookback_scan_determinismE0ELb1ES3_N6thrust23THRUST_200600_302600_NS6detail15normal_iteratorINS9_10device_ptrIsEEEESE_SE_iNS9_4plusIvEENS9_8equal_toIvEEiEE10hipError_tPvRmT2_T3_T4_T5_mT6_T7_P12ihipStream_tbENKUlT_T0_E_clISt17integral_constantIbLb1EESY_IbLb0EEEEDaSU_SV_EUlSU_E_NS1_11comp_targetILNS1_3genE9ELNS1_11target_archE1100ELNS1_3gpuE3ELNS1_3repE0EEENS1_30default_config_static_selectorELNS0_4arch9wavefront6targetE1EEEvT1_, .Lfunc_end1069-_ZN7rocprim17ROCPRIM_400000_NS6detail17trampoline_kernelINS0_14default_configENS1_27scan_by_key_config_selectorIsiEEZZNS1_16scan_by_key_implILNS1_25lookback_scan_determinismE0ELb1ES3_N6thrust23THRUST_200600_302600_NS6detail15normal_iteratorINS9_10device_ptrIsEEEESE_SE_iNS9_4plusIvEENS9_8equal_toIvEEiEE10hipError_tPvRmT2_T3_T4_T5_mT6_T7_P12ihipStream_tbENKUlT_T0_E_clISt17integral_constantIbLb1EESY_IbLb0EEEEDaSU_SV_EUlSU_E_NS1_11comp_targetILNS1_3genE9ELNS1_11target_archE1100ELNS1_3gpuE3ELNS1_3repE0EEENS1_30default_config_static_selectorELNS0_4arch9wavefront6targetE1EEEvT1_
                                        ; -- End function
	.section	.AMDGPU.csdata,"",@progbits
; Kernel info:
; codeLenInByte = 0
; NumSgprs: 4
; NumVgprs: 0
; NumAgprs: 0
; TotalNumVgprs: 0
; ScratchSize: 0
; MemoryBound: 0
; FloatMode: 240
; IeeeMode: 1
; LDSByteSize: 0 bytes/workgroup (compile time only)
; SGPRBlocks: 0
; VGPRBlocks: 0
; NumSGPRsForWavesPerEU: 4
; NumVGPRsForWavesPerEU: 1
; AccumOffset: 4
; Occupancy: 8
; WaveLimiterHint : 0
; COMPUTE_PGM_RSRC2:SCRATCH_EN: 0
; COMPUTE_PGM_RSRC2:USER_SGPR: 6
; COMPUTE_PGM_RSRC2:TRAP_HANDLER: 0
; COMPUTE_PGM_RSRC2:TGID_X_EN: 1
; COMPUTE_PGM_RSRC2:TGID_Y_EN: 0
; COMPUTE_PGM_RSRC2:TGID_Z_EN: 0
; COMPUTE_PGM_RSRC2:TIDIG_COMP_CNT: 0
; COMPUTE_PGM_RSRC3_GFX90A:ACCUM_OFFSET: 0
; COMPUTE_PGM_RSRC3_GFX90A:TG_SPLIT: 0
	.section	.text._ZN7rocprim17ROCPRIM_400000_NS6detail17trampoline_kernelINS0_14default_configENS1_27scan_by_key_config_selectorIsiEEZZNS1_16scan_by_key_implILNS1_25lookback_scan_determinismE0ELb1ES3_N6thrust23THRUST_200600_302600_NS6detail15normal_iteratorINS9_10device_ptrIsEEEESE_SE_iNS9_4plusIvEENS9_8equal_toIvEEiEE10hipError_tPvRmT2_T3_T4_T5_mT6_T7_P12ihipStream_tbENKUlT_T0_E_clISt17integral_constantIbLb1EESY_IbLb0EEEEDaSU_SV_EUlSU_E_NS1_11comp_targetILNS1_3genE8ELNS1_11target_archE1030ELNS1_3gpuE2ELNS1_3repE0EEENS1_30default_config_static_selectorELNS0_4arch9wavefront6targetE1EEEvT1_,"axG",@progbits,_ZN7rocprim17ROCPRIM_400000_NS6detail17trampoline_kernelINS0_14default_configENS1_27scan_by_key_config_selectorIsiEEZZNS1_16scan_by_key_implILNS1_25lookback_scan_determinismE0ELb1ES3_N6thrust23THRUST_200600_302600_NS6detail15normal_iteratorINS9_10device_ptrIsEEEESE_SE_iNS9_4plusIvEENS9_8equal_toIvEEiEE10hipError_tPvRmT2_T3_T4_T5_mT6_T7_P12ihipStream_tbENKUlT_T0_E_clISt17integral_constantIbLb1EESY_IbLb0EEEEDaSU_SV_EUlSU_E_NS1_11comp_targetILNS1_3genE8ELNS1_11target_archE1030ELNS1_3gpuE2ELNS1_3repE0EEENS1_30default_config_static_selectorELNS0_4arch9wavefront6targetE1EEEvT1_,comdat
	.protected	_ZN7rocprim17ROCPRIM_400000_NS6detail17trampoline_kernelINS0_14default_configENS1_27scan_by_key_config_selectorIsiEEZZNS1_16scan_by_key_implILNS1_25lookback_scan_determinismE0ELb1ES3_N6thrust23THRUST_200600_302600_NS6detail15normal_iteratorINS9_10device_ptrIsEEEESE_SE_iNS9_4plusIvEENS9_8equal_toIvEEiEE10hipError_tPvRmT2_T3_T4_T5_mT6_T7_P12ihipStream_tbENKUlT_T0_E_clISt17integral_constantIbLb1EESY_IbLb0EEEEDaSU_SV_EUlSU_E_NS1_11comp_targetILNS1_3genE8ELNS1_11target_archE1030ELNS1_3gpuE2ELNS1_3repE0EEENS1_30default_config_static_selectorELNS0_4arch9wavefront6targetE1EEEvT1_ ; -- Begin function _ZN7rocprim17ROCPRIM_400000_NS6detail17trampoline_kernelINS0_14default_configENS1_27scan_by_key_config_selectorIsiEEZZNS1_16scan_by_key_implILNS1_25lookback_scan_determinismE0ELb1ES3_N6thrust23THRUST_200600_302600_NS6detail15normal_iteratorINS9_10device_ptrIsEEEESE_SE_iNS9_4plusIvEENS9_8equal_toIvEEiEE10hipError_tPvRmT2_T3_T4_T5_mT6_T7_P12ihipStream_tbENKUlT_T0_E_clISt17integral_constantIbLb1EESY_IbLb0EEEEDaSU_SV_EUlSU_E_NS1_11comp_targetILNS1_3genE8ELNS1_11target_archE1030ELNS1_3gpuE2ELNS1_3repE0EEENS1_30default_config_static_selectorELNS0_4arch9wavefront6targetE1EEEvT1_
	.globl	_ZN7rocprim17ROCPRIM_400000_NS6detail17trampoline_kernelINS0_14default_configENS1_27scan_by_key_config_selectorIsiEEZZNS1_16scan_by_key_implILNS1_25lookback_scan_determinismE0ELb1ES3_N6thrust23THRUST_200600_302600_NS6detail15normal_iteratorINS9_10device_ptrIsEEEESE_SE_iNS9_4plusIvEENS9_8equal_toIvEEiEE10hipError_tPvRmT2_T3_T4_T5_mT6_T7_P12ihipStream_tbENKUlT_T0_E_clISt17integral_constantIbLb1EESY_IbLb0EEEEDaSU_SV_EUlSU_E_NS1_11comp_targetILNS1_3genE8ELNS1_11target_archE1030ELNS1_3gpuE2ELNS1_3repE0EEENS1_30default_config_static_selectorELNS0_4arch9wavefront6targetE1EEEvT1_
	.p2align	8
	.type	_ZN7rocprim17ROCPRIM_400000_NS6detail17trampoline_kernelINS0_14default_configENS1_27scan_by_key_config_selectorIsiEEZZNS1_16scan_by_key_implILNS1_25lookback_scan_determinismE0ELb1ES3_N6thrust23THRUST_200600_302600_NS6detail15normal_iteratorINS9_10device_ptrIsEEEESE_SE_iNS9_4plusIvEENS9_8equal_toIvEEiEE10hipError_tPvRmT2_T3_T4_T5_mT6_T7_P12ihipStream_tbENKUlT_T0_E_clISt17integral_constantIbLb1EESY_IbLb0EEEEDaSU_SV_EUlSU_E_NS1_11comp_targetILNS1_3genE8ELNS1_11target_archE1030ELNS1_3gpuE2ELNS1_3repE0EEENS1_30default_config_static_selectorELNS0_4arch9wavefront6targetE1EEEvT1_,@function
_ZN7rocprim17ROCPRIM_400000_NS6detail17trampoline_kernelINS0_14default_configENS1_27scan_by_key_config_selectorIsiEEZZNS1_16scan_by_key_implILNS1_25lookback_scan_determinismE0ELb1ES3_N6thrust23THRUST_200600_302600_NS6detail15normal_iteratorINS9_10device_ptrIsEEEESE_SE_iNS9_4plusIvEENS9_8equal_toIvEEiEE10hipError_tPvRmT2_T3_T4_T5_mT6_T7_P12ihipStream_tbENKUlT_T0_E_clISt17integral_constantIbLb1EESY_IbLb0EEEEDaSU_SV_EUlSU_E_NS1_11comp_targetILNS1_3genE8ELNS1_11target_archE1030ELNS1_3gpuE2ELNS1_3repE0EEENS1_30default_config_static_selectorELNS0_4arch9wavefront6targetE1EEEvT1_: ; @_ZN7rocprim17ROCPRIM_400000_NS6detail17trampoline_kernelINS0_14default_configENS1_27scan_by_key_config_selectorIsiEEZZNS1_16scan_by_key_implILNS1_25lookback_scan_determinismE0ELb1ES3_N6thrust23THRUST_200600_302600_NS6detail15normal_iteratorINS9_10device_ptrIsEEEESE_SE_iNS9_4plusIvEENS9_8equal_toIvEEiEE10hipError_tPvRmT2_T3_T4_T5_mT6_T7_P12ihipStream_tbENKUlT_T0_E_clISt17integral_constantIbLb1EESY_IbLb0EEEEDaSU_SV_EUlSU_E_NS1_11comp_targetILNS1_3genE8ELNS1_11target_archE1030ELNS1_3gpuE2ELNS1_3repE0EEENS1_30default_config_static_selectorELNS0_4arch9wavefront6targetE1EEEvT1_
; %bb.0:
	.section	.rodata,"a",@progbits
	.p2align	6, 0x0
	.amdhsa_kernel _ZN7rocprim17ROCPRIM_400000_NS6detail17trampoline_kernelINS0_14default_configENS1_27scan_by_key_config_selectorIsiEEZZNS1_16scan_by_key_implILNS1_25lookback_scan_determinismE0ELb1ES3_N6thrust23THRUST_200600_302600_NS6detail15normal_iteratorINS9_10device_ptrIsEEEESE_SE_iNS9_4plusIvEENS9_8equal_toIvEEiEE10hipError_tPvRmT2_T3_T4_T5_mT6_T7_P12ihipStream_tbENKUlT_T0_E_clISt17integral_constantIbLb1EESY_IbLb0EEEEDaSU_SV_EUlSU_E_NS1_11comp_targetILNS1_3genE8ELNS1_11target_archE1030ELNS1_3gpuE2ELNS1_3repE0EEENS1_30default_config_static_selectorELNS0_4arch9wavefront6targetE1EEEvT1_
		.amdhsa_group_segment_fixed_size 0
		.amdhsa_private_segment_fixed_size 0
		.amdhsa_kernarg_size 112
		.amdhsa_user_sgpr_count 6
		.amdhsa_user_sgpr_private_segment_buffer 1
		.amdhsa_user_sgpr_dispatch_ptr 0
		.amdhsa_user_sgpr_queue_ptr 0
		.amdhsa_user_sgpr_kernarg_segment_ptr 1
		.amdhsa_user_sgpr_dispatch_id 0
		.amdhsa_user_sgpr_flat_scratch_init 0
		.amdhsa_user_sgpr_kernarg_preload_length 0
		.amdhsa_user_sgpr_kernarg_preload_offset 0
		.amdhsa_user_sgpr_private_segment_size 0
		.amdhsa_uses_dynamic_stack 0
		.amdhsa_system_sgpr_private_segment_wavefront_offset 0
		.amdhsa_system_sgpr_workgroup_id_x 1
		.amdhsa_system_sgpr_workgroup_id_y 0
		.amdhsa_system_sgpr_workgroup_id_z 0
		.amdhsa_system_sgpr_workgroup_info 0
		.amdhsa_system_vgpr_workitem_id 0
		.amdhsa_next_free_vgpr 1
		.amdhsa_next_free_sgpr 0
		.amdhsa_accum_offset 4
		.amdhsa_reserve_vcc 0
		.amdhsa_reserve_flat_scratch 0
		.amdhsa_float_round_mode_32 0
		.amdhsa_float_round_mode_16_64 0
		.amdhsa_float_denorm_mode_32 3
		.amdhsa_float_denorm_mode_16_64 3
		.amdhsa_dx10_clamp 1
		.amdhsa_ieee_mode 1
		.amdhsa_fp16_overflow 0
		.amdhsa_tg_split 0
		.amdhsa_exception_fp_ieee_invalid_op 0
		.amdhsa_exception_fp_denorm_src 0
		.amdhsa_exception_fp_ieee_div_zero 0
		.amdhsa_exception_fp_ieee_overflow 0
		.amdhsa_exception_fp_ieee_underflow 0
		.amdhsa_exception_fp_ieee_inexact 0
		.amdhsa_exception_int_div_zero 0
	.end_amdhsa_kernel
	.section	.text._ZN7rocprim17ROCPRIM_400000_NS6detail17trampoline_kernelINS0_14default_configENS1_27scan_by_key_config_selectorIsiEEZZNS1_16scan_by_key_implILNS1_25lookback_scan_determinismE0ELb1ES3_N6thrust23THRUST_200600_302600_NS6detail15normal_iteratorINS9_10device_ptrIsEEEESE_SE_iNS9_4plusIvEENS9_8equal_toIvEEiEE10hipError_tPvRmT2_T3_T4_T5_mT6_T7_P12ihipStream_tbENKUlT_T0_E_clISt17integral_constantIbLb1EESY_IbLb0EEEEDaSU_SV_EUlSU_E_NS1_11comp_targetILNS1_3genE8ELNS1_11target_archE1030ELNS1_3gpuE2ELNS1_3repE0EEENS1_30default_config_static_selectorELNS0_4arch9wavefront6targetE1EEEvT1_,"axG",@progbits,_ZN7rocprim17ROCPRIM_400000_NS6detail17trampoline_kernelINS0_14default_configENS1_27scan_by_key_config_selectorIsiEEZZNS1_16scan_by_key_implILNS1_25lookback_scan_determinismE0ELb1ES3_N6thrust23THRUST_200600_302600_NS6detail15normal_iteratorINS9_10device_ptrIsEEEESE_SE_iNS9_4plusIvEENS9_8equal_toIvEEiEE10hipError_tPvRmT2_T3_T4_T5_mT6_T7_P12ihipStream_tbENKUlT_T0_E_clISt17integral_constantIbLb1EESY_IbLb0EEEEDaSU_SV_EUlSU_E_NS1_11comp_targetILNS1_3genE8ELNS1_11target_archE1030ELNS1_3gpuE2ELNS1_3repE0EEENS1_30default_config_static_selectorELNS0_4arch9wavefront6targetE1EEEvT1_,comdat
.Lfunc_end1070:
	.size	_ZN7rocprim17ROCPRIM_400000_NS6detail17trampoline_kernelINS0_14default_configENS1_27scan_by_key_config_selectorIsiEEZZNS1_16scan_by_key_implILNS1_25lookback_scan_determinismE0ELb1ES3_N6thrust23THRUST_200600_302600_NS6detail15normal_iteratorINS9_10device_ptrIsEEEESE_SE_iNS9_4plusIvEENS9_8equal_toIvEEiEE10hipError_tPvRmT2_T3_T4_T5_mT6_T7_P12ihipStream_tbENKUlT_T0_E_clISt17integral_constantIbLb1EESY_IbLb0EEEEDaSU_SV_EUlSU_E_NS1_11comp_targetILNS1_3genE8ELNS1_11target_archE1030ELNS1_3gpuE2ELNS1_3repE0EEENS1_30default_config_static_selectorELNS0_4arch9wavefront6targetE1EEEvT1_, .Lfunc_end1070-_ZN7rocprim17ROCPRIM_400000_NS6detail17trampoline_kernelINS0_14default_configENS1_27scan_by_key_config_selectorIsiEEZZNS1_16scan_by_key_implILNS1_25lookback_scan_determinismE0ELb1ES3_N6thrust23THRUST_200600_302600_NS6detail15normal_iteratorINS9_10device_ptrIsEEEESE_SE_iNS9_4plusIvEENS9_8equal_toIvEEiEE10hipError_tPvRmT2_T3_T4_T5_mT6_T7_P12ihipStream_tbENKUlT_T0_E_clISt17integral_constantIbLb1EESY_IbLb0EEEEDaSU_SV_EUlSU_E_NS1_11comp_targetILNS1_3genE8ELNS1_11target_archE1030ELNS1_3gpuE2ELNS1_3repE0EEENS1_30default_config_static_selectorELNS0_4arch9wavefront6targetE1EEEvT1_
                                        ; -- End function
	.section	.AMDGPU.csdata,"",@progbits
; Kernel info:
; codeLenInByte = 0
; NumSgprs: 4
; NumVgprs: 0
; NumAgprs: 0
; TotalNumVgprs: 0
; ScratchSize: 0
; MemoryBound: 0
; FloatMode: 240
; IeeeMode: 1
; LDSByteSize: 0 bytes/workgroup (compile time only)
; SGPRBlocks: 0
; VGPRBlocks: 0
; NumSGPRsForWavesPerEU: 4
; NumVGPRsForWavesPerEU: 1
; AccumOffset: 4
; Occupancy: 8
; WaveLimiterHint : 0
; COMPUTE_PGM_RSRC2:SCRATCH_EN: 0
; COMPUTE_PGM_RSRC2:USER_SGPR: 6
; COMPUTE_PGM_RSRC2:TRAP_HANDLER: 0
; COMPUTE_PGM_RSRC2:TGID_X_EN: 1
; COMPUTE_PGM_RSRC2:TGID_Y_EN: 0
; COMPUTE_PGM_RSRC2:TGID_Z_EN: 0
; COMPUTE_PGM_RSRC2:TIDIG_COMP_CNT: 0
; COMPUTE_PGM_RSRC3_GFX90A:ACCUM_OFFSET: 0
; COMPUTE_PGM_RSRC3_GFX90A:TG_SPLIT: 0
	.section	.text._ZN7rocprim17ROCPRIM_400000_NS6detail30init_device_scan_by_key_kernelINS1_19lookback_scan_stateINS0_5tupleIJibEEELb0ELb1EEEN6thrust23THRUST_200600_302600_NS6detail15normal_iteratorINS8_10device_ptrIsEEEEjNS1_16block_id_wrapperIjLb1EEEEEvT_jjPNSG_10value_typeET0_PNSt15iterator_traitsISJ_E10value_typeEmT1_T2_,"axG",@progbits,_ZN7rocprim17ROCPRIM_400000_NS6detail30init_device_scan_by_key_kernelINS1_19lookback_scan_stateINS0_5tupleIJibEEELb0ELb1EEEN6thrust23THRUST_200600_302600_NS6detail15normal_iteratorINS8_10device_ptrIsEEEEjNS1_16block_id_wrapperIjLb1EEEEEvT_jjPNSG_10value_typeET0_PNSt15iterator_traitsISJ_E10value_typeEmT1_T2_,comdat
	.protected	_ZN7rocprim17ROCPRIM_400000_NS6detail30init_device_scan_by_key_kernelINS1_19lookback_scan_stateINS0_5tupleIJibEEELb0ELb1EEEN6thrust23THRUST_200600_302600_NS6detail15normal_iteratorINS8_10device_ptrIsEEEEjNS1_16block_id_wrapperIjLb1EEEEEvT_jjPNSG_10value_typeET0_PNSt15iterator_traitsISJ_E10value_typeEmT1_T2_ ; -- Begin function _ZN7rocprim17ROCPRIM_400000_NS6detail30init_device_scan_by_key_kernelINS1_19lookback_scan_stateINS0_5tupleIJibEEELb0ELb1EEEN6thrust23THRUST_200600_302600_NS6detail15normal_iteratorINS8_10device_ptrIsEEEEjNS1_16block_id_wrapperIjLb1EEEEEvT_jjPNSG_10value_typeET0_PNSt15iterator_traitsISJ_E10value_typeEmT1_T2_
	.globl	_ZN7rocprim17ROCPRIM_400000_NS6detail30init_device_scan_by_key_kernelINS1_19lookback_scan_stateINS0_5tupleIJibEEELb0ELb1EEEN6thrust23THRUST_200600_302600_NS6detail15normal_iteratorINS8_10device_ptrIsEEEEjNS1_16block_id_wrapperIjLb1EEEEEvT_jjPNSG_10value_typeET0_PNSt15iterator_traitsISJ_E10value_typeEmT1_T2_
	.p2align	8
	.type	_ZN7rocprim17ROCPRIM_400000_NS6detail30init_device_scan_by_key_kernelINS1_19lookback_scan_stateINS0_5tupleIJibEEELb0ELb1EEEN6thrust23THRUST_200600_302600_NS6detail15normal_iteratorINS8_10device_ptrIsEEEEjNS1_16block_id_wrapperIjLb1EEEEEvT_jjPNSG_10value_typeET0_PNSt15iterator_traitsISJ_E10value_typeEmT1_T2_,@function
_ZN7rocprim17ROCPRIM_400000_NS6detail30init_device_scan_by_key_kernelINS1_19lookback_scan_stateINS0_5tupleIJibEEELb0ELb1EEEN6thrust23THRUST_200600_302600_NS6detail15normal_iteratorINS8_10device_ptrIsEEEEjNS1_16block_id_wrapperIjLb1EEEEEvT_jjPNSG_10value_typeET0_PNSt15iterator_traitsISJ_E10value_typeEmT1_T2_: ; @_ZN7rocprim17ROCPRIM_400000_NS6detail30init_device_scan_by_key_kernelINS1_19lookback_scan_stateINS0_5tupleIJibEEELb0ELb1EEEN6thrust23THRUST_200600_302600_NS6detail15normal_iteratorINS8_10device_ptrIsEEEEjNS1_16block_id_wrapperIjLb1EEEEEvT_jjPNSG_10value_typeET0_PNSt15iterator_traitsISJ_E10value_typeEmT1_T2_
; %bb.0:
	s_load_dword s0, s[4:5], 0x4c
	s_load_dwordx8 s[8:15], s[4:5], 0x0
	s_load_dword s18, s[4:5], 0x40
	s_waitcnt lgkmcnt(0)
	s_and_b32 s19, s0, 0xffff
	s_mul_i32 s6, s6, s19
	s_cmp_eq_u64 s[12:13], 0
	v_add_u32_e32 v4, s6, v0
	s_cbranch_scc1 .LBB1071_8
; %bb.1:
	s_cmp_lt_u32 s11, s10
	s_cselect_b32 s0, s11, 0
	s_mov_b32 s3, 0
	v_cmp_eq_u32_e32 vcc, s0, v4
	s_and_saveexec_b64 s[0:1], vcc
	s_cbranch_execz .LBB1071_7
; %bb.2:
	s_add_i32 s2, s11, 64
	s_lshl_b64 s[2:3], s[2:3], 4
	s_add_u32 s16, s8, s2
	s_addc_u32 s17, s9, s3
	v_pk_mov_b32 v[0:1], s[16:17], s[16:17] op_sel:[0,1]
	;;#ASMSTART
	global_load_dwordx4 v[0:3], v[0:1] off glc	
s_waitcnt vmcnt(0)
	;;#ASMEND
	v_mov_b32_e32 v7, 0
	v_and_b32_e32 v6, 0xff, v2
	s_mov_b64 s[6:7], 0
	v_cmp_eq_u64_e32 vcc, 0, v[6:7]
	s_and_saveexec_b64 s[2:3], vcc
	s_cbranch_execz .LBB1071_6
; %bb.3:
	v_pk_mov_b32 v[8:9], s[16:17], s[16:17] op_sel:[0,1]
.LBB1071_4:                             ; =>This Inner Loop Header: Depth=1
	;;#ASMSTART
	global_load_dwordx4 v[0:3], v[8:9] off glc	
s_waitcnt vmcnt(0)
	;;#ASMEND
	v_and_b32_e32 v6, 0xff, v2
	v_cmp_ne_u64_e32 vcc, 0, v[6:7]
	s_or_b64 s[6:7], vcc, s[6:7]
	s_andn2_b64 exec, exec, s[6:7]
	s_cbranch_execnz .LBB1071_4
; %bb.5:
	s_or_b64 exec, exec, s[6:7]
.LBB1071_6:
	s_or_b64 exec, exec, s[2:3]
	v_mov_b32_e32 v2, 0
	global_store_dword v2, v0, s[12:13]
	global_store_byte v2, v1, s[12:13] offset:4
.LBB1071_7:
	s_or_b64 exec, exec, s[0:1]
.LBB1071_8:
	v_cmp_eq_u32_e32 vcc, 0, v4
	s_and_saveexec_b64 s[0:1], vcc
	s_cbranch_execz .LBB1071_10
; %bb.9:
	s_load_dwordx2 s[2:3], s[4:5], 0x38
	v_mov_b32_e32 v0, 0
	s_waitcnt lgkmcnt(0)
	global_store_dword v0, v0, s[2:3]
.LBB1071_10:
	s_or_b64 exec, exec, s[0:1]
	v_cmp_gt_u32_e32 vcc, s10, v4
	s_and_saveexec_b64 s[0:1], vcc
	s_cbranch_execz .LBB1071_12
; %bb.11:
	v_add_u32_e32 v0, 64, v4
	v_mov_b32_e32 v1, 0
	v_lshlrev_b64 v[2:3], 4, v[0:1]
	v_mov_b32_e32 v0, s9
	v_add_co_u32_e32 v6, vcc, s8, v2
	v_addc_co_u32_e32 v7, vcc, v0, v3, vcc
	v_mov_b32_e32 v0, v1
	v_mov_b32_e32 v2, v1
	;; [unrolled: 1-line block ×3, first 2 shown]
	global_store_dwordx4 v[6:7], v[0:3], off
.LBB1071_12:
	s_or_b64 exec, exec, s[0:1]
	v_cmp_gt_u32_e32 vcc, 64, v4
	v_mov_b32_e32 v5, 0
	s_and_saveexec_b64 s[0:1], vcc
	s_cbranch_execz .LBB1071_14
; %bb.13:
	v_lshlrev_b64 v[0:1], 4, v[4:5]
	v_mov_b32_e32 v2, s9
	v_add_co_u32_e32 v6, vcc, s8, v0
	v_addc_co_u32_e32 v7, vcc, v2, v1, vcc
	v_mov_b32_e32 v2, 0xff
	v_mov_b32_e32 v0, v5
	;; [unrolled: 1-line block ×4, first 2 shown]
	global_store_dwordx4 v[6:7], v[0:3], off
.LBB1071_14:
	s_or_b64 exec, exec, s[0:1]
	s_load_dwordx2 s[0:1], s[4:5], 0x28
	s_waitcnt lgkmcnt(0)
	v_cmp_gt_u64_e32 vcc, s[0:1], v[4:5]
	s_and_saveexec_b64 s[2:3], vcc
	s_cbranch_execz .LBB1071_17
; %bb.15:
	s_load_dword s10, s[4:5], 0x30
	s_load_dwordx2 s[6:7], s[4:5], 0x20
	s_mov_b32 s5, 0
	s_mov_b32 s3, s5
	s_mul_i32 s2, s18, s19
	s_waitcnt lgkmcnt(0)
	s_add_i32 s4, s10, -1
	s_lshl_b64 s[4:5], s[4:5], 1
	v_mad_u64_u32 v[0:1], s[8:9], s10, v4, 0
	s_add_u32 s4, s14, s4
	v_lshlrev_b64 v[0:1], 1, v[0:1]
	s_addc_u32 s5, s15, s5
	v_mov_b32_e32 v2, s5
	v_add_co_u32_e32 v0, vcc, s4, v0
	v_addc_co_u32_e32 v1, vcc, v2, v1, vcc
	s_mul_hi_u32 s5, s10, s2
	s_mul_i32 s4, s10, s2
	v_lshlrev_b64 v[2:3], 1, v[4:5]
	s_lshl_b64 s[4:5], s[4:5], 1
	v_mov_b32_e32 v6, s7
	v_add_co_u32_e32 v2, vcc, s6, v2
	s_lshl_b64 s[6:7], s[2:3], 1
	v_addc_co_u32_e32 v3, vcc, v6, v3, vcc
	s_mov_b64 s[8:9], 0
	v_mov_b32_e32 v6, s3
	v_mov_b32_e32 v7, s5
	;; [unrolled: 1-line block ×3, first 2 shown]
.LBB1071_16:                            ; =>This Inner Loop Header: Depth=1
	global_load_ushort v9, v[0:1], off
	v_add_co_u32_e32 v4, vcc, s2, v4
	v_addc_co_u32_e32 v5, vcc, v5, v6, vcc
	v_add_co_u32_e32 v0, vcc, s4, v0
	v_addc_co_u32_e32 v1, vcc, v1, v7, vcc
	v_cmp_le_u64_e32 vcc, s[0:1], v[4:5]
	s_or_b64 s[8:9], vcc, s[8:9]
	s_waitcnt vmcnt(0)
	global_store_short v[2:3], v9, off
	v_add_co_u32_e32 v2, vcc, s6, v2
	v_addc_co_u32_e32 v3, vcc, v3, v8, vcc
	s_andn2_b64 exec, exec, s[8:9]
	s_cbranch_execnz .LBB1071_16
.LBB1071_17:
	s_endpgm
	.section	.rodata,"a",@progbits
	.p2align	6, 0x0
	.amdhsa_kernel _ZN7rocprim17ROCPRIM_400000_NS6detail30init_device_scan_by_key_kernelINS1_19lookback_scan_stateINS0_5tupleIJibEEELb0ELb1EEEN6thrust23THRUST_200600_302600_NS6detail15normal_iteratorINS8_10device_ptrIsEEEEjNS1_16block_id_wrapperIjLb1EEEEEvT_jjPNSG_10value_typeET0_PNSt15iterator_traitsISJ_E10value_typeEmT1_T2_
		.amdhsa_group_segment_fixed_size 0
		.amdhsa_private_segment_fixed_size 0
		.amdhsa_kernarg_size 320
		.amdhsa_user_sgpr_count 6
		.amdhsa_user_sgpr_private_segment_buffer 1
		.amdhsa_user_sgpr_dispatch_ptr 0
		.amdhsa_user_sgpr_queue_ptr 0
		.amdhsa_user_sgpr_kernarg_segment_ptr 1
		.amdhsa_user_sgpr_dispatch_id 0
		.amdhsa_user_sgpr_flat_scratch_init 0
		.amdhsa_user_sgpr_kernarg_preload_length 0
		.amdhsa_user_sgpr_kernarg_preload_offset 0
		.amdhsa_user_sgpr_private_segment_size 0
		.amdhsa_uses_dynamic_stack 0
		.amdhsa_system_sgpr_private_segment_wavefront_offset 0
		.amdhsa_system_sgpr_workgroup_id_x 1
		.amdhsa_system_sgpr_workgroup_id_y 0
		.amdhsa_system_sgpr_workgroup_id_z 0
		.amdhsa_system_sgpr_workgroup_info 0
		.amdhsa_system_vgpr_workitem_id 0
		.amdhsa_next_free_vgpr 10
		.amdhsa_next_free_sgpr 20
		.amdhsa_accum_offset 12
		.amdhsa_reserve_vcc 1
		.amdhsa_reserve_flat_scratch 0
		.amdhsa_float_round_mode_32 0
		.amdhsa_float_round_mode_16_64 0
		.amdhsa_float_denorm_mode_32 3
		.amdhsa_float_denorm_mode_16_64 3
		.amdhsa_dx10_clamp 1
		.amdhsa_ieee_mode 1
		.amdhsa_fp16_overflow 0
		.amdhsa_tg_split 0
		.amdhsa_exception_fp_ieee_invalid_op 0
		.amdhsa_exception_fp_denorm_src 0
		.amdhsa_exception_fp_ieee_div_zero 0
		.amdhsa_exception_fp_ieee_overflow 0
		.amdhsa_exception_fp_ieee_underflow 0
		.amdhsa_exception_fp_ieee_inexact 0
		.amdhsa_exception_int_div_zero 0
	.end_amdhsa_kernel
	.section	.text._ZN7rocprim17ROCPRIM_400000_NS6detail30init_device_scan_by_key_kernelINS1_19lookback_scan_stateINS0_5tupleIJibEEELb0ELb1EEEN6thrust23THRUST_200600_302600_NS6detail15normal_iteratorINS8_10device_ptrIsEEEEjNS1_16block_id_wrapperIjLb1EEEEEvT_jjPNSG_10value_typeET0_PNSt15iterator_traitsISJ_E10value_typeEmT1_T2_,"axG",@progbits,_ZN7rocprim17ROCPRIM_400000_NS6detail30init_device_scan_by_key_kernelINS1_19lookback_scan_stateINS0_5tupleIJibEEELb0ELb1EEEN6thrust23THRUST_200600_302600_NS6detail15normal_iteratorINS8_10device_ptrIsEEEEjNS1_16block_id_wrapperIjLb1EEEEEvT_jjPNSG_10value_typeET0_PNSt15iterator_traitsISJ_E10value_typeEmT1_T2_,comdat
.Lfunc_end1071:
	.size	_ZN7rocprim17ROCPRIM_400000_NS6detail30init_device_scan_by_key_kernelINS1_19lookback_scan_stateINS0_5tupleIJibEEELb0ELb1EEEN6thrust23THRUST_200600_302600_NS6detail15normal_iteratorINS8_10device_ptrIsEEEEjNS1_16block_id_wrapperIjLb1EEEEEvT_jjPNSG_10value_typeET0_PNSt15iterator_traitsISJ_E10value_typeEmT1_T2_, .Lfunc_end1071-_ZN7rocprim17ROCPRIM_400000_NS6detail30init_device_scan_by_key_kernelINS1_19lookback_scan_stateINS0_5tupleIJibEEELb0ELb1EEEN6thrust23THRUST_200600_302600_NS6detail15normal_iteratorINS8_10device_ptrIsEEEEjNS1_16block_id_wrapperIjLb1EEEEEvT_jjPNSG_10value_typeET0_PNSt15iterator_traitsISJ_E10value_typeEmT1_T2_
                                        ; -- End function
	.section	.AMDGPU.csdata,"",@progbits
; Kernel info:
; codeLenInByte = 612
; NumSgprs: 24
; NumVgprs: 10
; NumAgprs: 0
; TotalNumVgprs: 10
; ScratchSize: 0
; MemoryBound: 0
; FloatMode: 240
; IeeeMode: 1
; LDSByteSize: 0 bytes/workgroup (compile time only)
; SGPRBlocks: 2
; VGPRBlocks: 1
; NumSGPRsForWavesPerEU: 24
; NumVGPRsForWavesPerEU: 10
; AccumOffset: 12
; Occupancy: 8
; WaveLimiterHint : 0
; COMPUTE_PGM_RSRC2:SCRATCH_EN: 0
; COMPUTE_PGM_RSRC2:USER_SGPR: 6
; COMPUTE_PGM_RSRC2:TRAP_HANDLER: 0
; COMPUTE_PGM_RSRC2:TGID_X_EN: 1
; COMPUTE_PGM_RSRC2:TGID_Y_EN: 0
; COMPUTE_PGM_RSRC2:TGID_Z_EN: 0
; COMPUTE_PGM_RSRC2:TIDIG_COMP_CNT: 0
; COMPUTE_PGM_RSRC3_GFX90A:ACCUM_OFFSET: 2
; COMPUTE_PGM_RSRC3_GFX90A:TG_SPLIT: 0
	.section	.text._ZN7rocprim17ROCPRIM_400000_NS6detail17trampoline_kernelINS0_14default_configENS1_27scan_by_key_config_selectorIsiEEZZNS1_16scan_by_key_implILNS1_25lookback_scan_determinismE0ELb1ES3_N6thrust23THRUST_200600_302600_NS6detail15normal_iteratorINS9_10device_ptrIsEEEESE_SE_iNS9_4plusIvEENS9_8equal_toIvEEiEE10hipError_tPvRmT2_T3_T4_T5_mT6_T7_P12ihipStream_tbENKUlT_T0_E_clISt17integral_constantIbLb0EESY_IbLb1EEEEDaSU_SV_EUlSU_E_NS1_11comp_targetILNS1_3genE0ELNS1_11target_archE4294967295ELNS1_3gpuE0ELNS1_3repE0EEENS1_30default_config_static_selectorELNS0_4arch9wavefront6targetE1EEEvT1_,"axG",@progbits,_ZN7rocprim17ROCPRIM_400000_NS6detail17trampoline_kernelINS0_14default_configENS1_27scan_by_key_config_selectorIsiEEZZNS1_16scan_by_key_implILNS1_25lookback_scan_determinismE0ELb1ES3_N6thrust23THRUST_200600_302600_NS6detail15normal_iteratorINS9_10device_ptrIsEEEESE_SE_iNS9_4plusIvEENS9_8equal_toIvEEiEE10hipError_tPvRmT2_T3_T4_T5_mT6_T7_P12ihipStream_tbENKUlT_T0_E_clISt17integral_constantIbLb0EESY_IbLb1EEEEDaSU_SV_EUlSU_E_NS1_11comp_targetILNS1_3genE0ELNS1_11target_archE4294967295ELNS1_3gpuE0ELNS1_3repE0EEENS1_30default_config_static_selectorELNS0_4arch9wavefront6targetE1EEEvT1_,comdat
	.protected	_ZN7rocprim17ROCPRIM_400000_NS6detail17trampoline_kernelINS0_14default_configENS1_27scan_by_key_config_selectorIsiEEZZNS1_16scan_by_key_implILNS1_25lookback_scan_determinismE0ELb1ES3_N6thrust23THRUST_200600_302600_NS6detail15normal_iteratorINS9_10device_ptrIsEEEESE_SE_iNS9_4plusIvEENS9_8equal_toIvEEiEE10hipError_tPvRmT2_T3_T4_T5_mT6_T7_P12ihipStream_tbENKUlT_T0_E_clISt17integral_constantIbLb0EESY_IbLb1EEEEDaSU_SV_EUlSU_E_NS1_11comp_targetILNS1_3genE0ELNS1_11target_archE4294967295ELNS1_3gpuE0ELNS1_3repE0EEENS1_30default_config_static_selectorELNS0_4arch9wavefront6targetE1EEEvT1_ ; -- Begin function _ZN7rocprim17ROCPRIM_400000_NS6detail17trampoline_kernelINS0_14default_configENS1_27scan_by_key_config_selectorIsiEEZZNS1_16scan_by_key_implILNS1_25lookback_scan_determinismE0ELb1ES3_N6thrust23THRUST_200600_302600_NS6detail15normal_iteratorINS9_10device_ptrIsEEEESE_SE_iNS9_4plusIvEENS9_8equal_toIvEEiEE10hipError_tPvRmT2_T3_T4_T5_mT6_T7_P12ihipStream_tbENKUlT_T0_E_clISt17integral_constantIbLb0EESY_IbLb1EEEEDaSU_SV_EUlSU_E_NS1_11comp_targetILNS1_3genE0ELNS1_11target_archE4294967295ELNS1_3gpuE0ELNS1_3repE0EEENS1_30default_config_static_selectorELNS0_4arch9wavefront6targetE1EEEvT1_
	.globl	_ZN7rocprim17ROCPRIM_400000_NS6detail17trampoline_kernelINS0_14default_configENS1_27scan_by_key_config_selectorIsiEEZZNS1_16scan_by_key_implILNS1_25lookback_scan_determinismE0ELb1ES3_N6thrust23THRUST_200600_302600_NS6detail15normal_iteratorINS9_10device_ptrIsEEEESE_SE_iNS9_4plusIvEENS9_8equal_toIvEEiEE10hipError_tPvRmT2_T3_T4_T5_mT6_T7_P12ihipStream_tbENKUlT_T0_E_clISt17integral_constantIbLb0EESY_IbLb1EEEEDaSU_SV_EUlSU_E_NS1_11comp_targetILNS1_3genE0ELNS1_11target_archE4294967295ELNS1_3gpuE0ELNS1_3repE0EEENS1_30default_config_static_selectorELNS0_4arch9wavefront6targetE1EEEvT1_
	.p2align	8
	.type	_ZN7rocprim17ROCPRIM_400000_NS6detail17trampoline_kernelINS0_14default_configENS1_27scan_by_key_config_selectorIsiEEZZNS1_16scan_by_key_implILNS1_25lookback_scan_determinismE0ELb1ES3_N6thrust23THRUST_200600_302600_NS6detail15normal_iteratorINS9_10device_ptrIsEEEESE_SE_iNS9_4plusIvEENS9_8equal_toIvEEiEE10hipError_tPvRmT2_T3_T4_T5_mT6_T7_P12ihipStream_tbENKUlT_T0_E_clISt17integral_constantIbLb0EESY_IbLb1EEEEDaSU_SV_EUlSU_E_NS1_11comp_targetILNS1_3genE0ELNS1_11target_archE4294967295ELNS1_3gpuE0ELNS1_3repE0EEENS1_30default_config_static_selectorELNS0_4arch9wavefront6targetE1EEEvT1_,@function
_ZN7rocprim17ROCPRIM_400000_NS6detail17trampoline_kernelINS0_14default_configENS1_27scan_by_key_config_selectorIsiEEZZNS1_16scan_by_key_implILNS1_25lookback_scan_determinismE0ELb1ES3_N6thrust23THRUST_200600_302600_NS6detail15normal_iteratorINS9_10device_ptrIsEEEESE_SE_iNS9_4plusIvEENS9_8equal_toIvEEiEE10hipError_tPvRmT2_T3_T4_T5_mT6_T7_P12ihipStream_tbENKUlT_T0_E_clISt17integral_constantIbLb0EESY_IbLb1EEEEDaSU_SV_EUlSU_E_NS1_11comp_targetILNS1_3genE0ELNS1_11target_archE4294967295ELNS1_3gpuE0ELNS1_3repE0EEENS1_30default_config_static_selectorELNS0_4arch9wavefront6targetE1EEEvT1_: ; @_ZN7rocprim17ROCPRIM_400000_NS6detail17trampoline_kernelINS0_14default_configENS1_27scan_by_key_config_selectorIsiEEZZNS1_16scan_by_key_implILNS1_25lookback_scan_determinismE0ELb1ES3_N6thrust23THRUST_200600_302600_NS6detail15normal_iteratorINS9_10device_ptrIsEEEESE_SE_iNS9_4plusIvEENS9_8equal_toIvEEiEE10hipError_tPvRmT2_T3_T4_T5_mT6_T7_P12ihipStream_tbENKUlT_T0_E_clISt17integral_constantIbLb0EESY_IbLb1EEEEDaSU_SV_EUlSU_E_NS1_11comp_targetILNS1_3genE0ELNS1_11target_archE4294967295ELNS1_3gpuE0ELNS1_3repE0EEENS1_30default_config_static_selectorELNS0_4arch9wavefront6targetE1EEEvT1_
; %bb.0:
	.section	.rodata,"a",@progbits
	.p2align	6, 0x0
	.amdhsa_kernel _ZN7rocprim17ROCPRIM_400000_NS6detail17trampoline_kernelINS0_14default_configENS1_27scan_by_key_config_selectorIsiEEZZNS1_16scan_by_key_implILNS1_25lookback_scan_determinismE0ELb1ES3_N6thrust23THRUST_200600_302600_NS6detail15normal_iteratorINS9_10device_ptrIsEEEESE_SE_iNS9_4plusIvEENS9_8equal_toIvEEiEE10hipError_tPvRmT2_T3_T4_T5_mT6_T7_P12ihipStream_tbENKUlT_T0_E_clISt17integral_constantIbLb0EESY_IbLb1EEEEDaSU_SV_EUlSU_E_NS1_11comp_targetILNS1_3genE0ELNS1_11target_archE4294967295ELNS1_3gpuE0ELNS1_3repE0EEENS1_30default_config_static_selectorELNS0_4arch9wavefront6targetE1EEEvT1_
		.amdhsa_group_segment_fixed_size 0
		.amdhsa_private_segment_fixed_size 0
		.amdhsa_kernarg_size 112
		.amdhsa_user_sgpr_count 6
		.amdhsa_user_sgpr_private_segment_buffer 1
		.amdhsa_user_sgpr_dispatch_ptr 0
		.amdhsa_user_sgpr_queue_ptr 0
		.amdhsa_user_sgpr_kernarg_segment_ptr 1
		.amdhsa_user_sgpr_dispatch_id 0
		.amdhsa_user_sgpr_flat_scratch_init 0
		.amdhsa_user_sgpr_kernarg_preload_length 0
		.amdhsa_user_sgpr_kernarg_preload_offset 0
		.amdhsa_user_sgpr_private_segment_size 0
		.amdhsa_uses_dynamic_stack 0
		.amdhsa_system_sgpr_private_segment_wavefront_offset 0
		.amdhsa_system_sgpr_workgroup_id_x 1
		.amdhsa_system_sgpr_workgroup_id_y 0
		.amdhsa_system_sgpr_workgroup_id_z 0
		.amdhsa_system_sgpr_workgroup_info 0
		.amdhsa_system_vgpr_workitem_id 0
		.amdhsa_next_free_vgpr 1
		.amdhsa_next_free_sgpr 0
		.amdhsa_accum_offset 4
		.amdhsa_reserve_vcc 0
		.amdhsa_reserve_flat_scratch 0
		.amdhsa_float_round_mode_32 0
		.amdhsa_float_round_mode_16_64 0
		.amdhsa_float_denorm_mode_32 3
		.amdhsa_float_denorm_mode_16_64 3
		.amdhsa_dx10_clamp 1
		.amdhsa_ieee_mode 1
		.amdhsa_fp16_overflow 0
		.amdhsa_tg_split 0
		.amdhsa_exception_fp_ieee_invalid_op 0
		.amdhsa_exception_fp_denorm_src 0
		.amdhsa_exception_fp_ieee_div_zero 0
		.amdhsa_exception_fp_ieee_overflow 0
		.amdhsa_exception_fp_ieee_underflow 0
		.amdhsa_exception_fp_ieee_inexact 0
		.amdhsa_exception_int_div_zero 0
	.end_amdhsa_kernel
	.section	.text._ZN7rocprim17ROCPRIM_400000_NS6detail17trampoline_kernelINS0_14default_configENS1_27scan_by_key_config_selectorIsiEEZZNS1_16scan_by_key_implILNS1_25lookback_scan_determinismE0ELb1ES3_N6thrust23THRUST_200600_302600_NS6detail15normal_iteratorINS9_10device_ptrIsEEEESE_SE_iNS9_4plusIvEENS9_8equal_toIvEEiEE10hipError_tPvRmT2_T3_T4_T5_mT6_T7_P12ihipStream_tbENKUlT_T0_E_clISt17integral_constantIbLb0EESY_IbLb1EEEEDaSU_SV_EUlSU_E_NS1_11comp_targetILNS1_3genE0ELNS1_11target_archE4294967295ELNS1_3gpuE0ELNS1_3repE0EEENS1_30default_config_static_selectorELNS0_4arch9wavefront6targetE1EEEvT1_,"axG",@progbits,_ZN7rocprim17ROCPRIM_400000_NS6detail17trampoline_kernelINS0_14default_configENS1_27scan_by_key_config_selectorIsiEEZZNS1_16scan_by_key_implILNS1_25lookback_scan_determinismE0ELb1ES3_N6thrust23THRUST_200600_302600_NS6detail15normal_iteratorINS9_10device_ptrIsEEEESE_SE_iNS9_4plusIvEENS9_8equal_toIvEEiEE10hipError_tPvRmT2_T3_T4_T5_mT6_T7_P12ihipStream_tbENKUlT_T0_E_clISt17integral_constantIbLb0EESY_IbLb1EEEEDaSU_SV_EUlSU_E_NS1_11comp_targetILNS1_3genE0ELNS1_11target_archE4294967295ELNS1_3gpuE0ELNS1_3repE0EEENS1_30default_config_static_selectorELNS0_4arch9wavefront6targetE1EEEvT1_,comdat
.Lfunc_end1072:
	.size	_ZN7rocprim17ROCPRIM_400000_NS6detail17trampoline_kernelINS0_14default_configENS1_27scan_by_key_config_selectorIsiEEZZNS1_16scan_by_key_implILNS1_25lookback_scan_determinismE0ELb1ES3_N6thrust23THRUST_200600_302600_NS6detail15normal_iteratorINS9_10device_ptrIsEEEESE_SE_iNS9_4plusIvEENS9_8equal_toIvEEiEE10hipError_tPvRmT2_T3_T4_T5_mT6_T7_P12ihipStream_tbENKUlT_T0_E_clISt17integral_constantIbLb0EESY_IbLb1EEEEDaSU_SV_EUlSU_E_NS1_11comp_targetILNS1_3genE0ELNS1_11target_archE4294967295ELNS1_3gpuE0ELNS1_3repE0EEENS1_30default_config_static_selectorELNS0_4arch9wavefront6targetE1EEEvT1_, .Lfunc_end1072-_ZN7rocprim17ROCPRIM_400000_NS6detail17trampoline_kernelINS0_14default_configENS1_27scan_by_key_config_selectorIsiEEZZNS1_16scan_by_key_implILNS1_25lookback_scan_determinismE0ELb1ES3_N6thrust23THRUST_200600_302600_NS6detail15normal_iteratorINS9_10device_ptrIsEEEESE_SE_iNS9_4plusIvEENS9_8equal_toIvEEiEE10hipError_tPvRmT2_T3_T4_T5_mT6_T7_P12ihipStream_tbENKUlT_T0_E_clISt17integral_constantIbLb0EESY_IbLb1EEEEDaSU_SV_EUlSU_E_NS1_11comp_targetILNS1_3genE0ELNS1_11target_archE4294967295ELNS1_3gpuE0ELNS1_3repE0EEENS1_30default_config_static_selectorELNS0_4arch9wavefront6targetE1EEEvT1_
                                        ; -- End function
	.section	.AMDGPU.csdata,"",@progbits
; Kernel info:
; codeLenInByte = 0
; NumSgprs: 4
; NumVgprs: 0
; NumAgprs: 0
; TotalNumVgprs: 0
; ScratchSize: 0
; MemoryBound: 0
; FloatMode: 240
; IeeeMode: 1
; LDSByteSize: 0 bytes/workgroup (compile time only)
; SGPRBlocks: 0
; VGPRBlocks: 0
; NumSGPRsForWavesPerEU: 4
; NumVGPRsForWavesPerEU: 1
; AccumOffset: 4
; Occupancy: 8
; WaveLimiterHint : 0
; COMPUTE_PGM_RSRC2:SCRATCH_EN: 0
; COMPUTE_PGM_RSRC2:USER_SGPR: 6
; COMPUTE_PGM_RSRC2:TRAP_HANDLER: 0
; COMPUTE_PGM_RSRC2:TGID_X_EN: 1
; COMPUTE_PGM_RSRC2:TGID_Y_EN: 0
; COMPUTE_PGM_RSRC2:TGID_Z_EN: 0
; COMPUTE_PGM_RSRC2:TIDIG_COMP_CNT: 0
; COMPUTE_PGM_RSRC3_GFX90A:ACCUM_OFFSET: 0
; COMPUTE_PGM_RSRC3_GFX90A:TG_SPLIT: 0
	.section	.text._ZN7rocprim17ROCPRIM_400000_NS6detail17trampoline_kernelINS0_14default_configENS1_27scan_by_key_config_selectorIsiEEZZNS1_16scan_by_key_implILNS1_25lookback_scan_determinismE0ELb1ES3_N6thrust23THRUST_200600_302600_NS6detail15normal_iteratorINS9_10device_ptrIsEEEESE_SE_iNS9_4plusIvEENS9_8equal_toIvEEiEE10hipError_tPvRmT2_T3_T4_T5_mT6_T7_P12ihipStream_tbENKUlT_T0_E_clISt17integral_constantIbLb0EESY_IbLb1EEEEDaSU_SV_EUlSU_E_NS1_11comp_targetILNS1_3genE10ELNS1_11target_archE1201ELNS1_3gpuE5ELNS1_3repE0EEENS1_30default_config_static_selectorELNS0_4arch9wavefront6targetE1EEEvT1_,"axG",@progbits,_ZN7rocprim17ROCPRIM_400000_NS6detail17trampoline_kernelINS0_14default_configENS1_27scan_by_key_config_selectorIsiEEZZNS1_16scan_by_key_implILNS1_25lookback_scan_determinismE0ELb1ES3_N6thrust23THRUST_200600_302600_NS6detail15normal_iteratorINS9_10device_ptrIsEEEESE_SE_iNS9_4plusIvEENS9_8equal_toIvEEiEE10hipError_tPvRmT2_T3_T4_T5_mT6_T7_P12ihipStream_tbENKUlT_T0_E_clISt17integral_constantIbLb0EESY_IbLb1EEEEDaSU_SV_EUlSU_E_NS1_11comp_targetILNS1_3genE10ELNS1_11target_archE1201ELNS1_3gpuE5ELNS1_3repE0EEENS1_30default_config_static_selectorELNS0_4arch9wavefront6targetE1EEEvT1_,comdat
	.protected	_ZN7rocprim17ROCPRIM_400000_NS6detail17trampoline_kernelINS0_14default_configENS1_27scan_by_key_config_selectorIsiEEZZNS1_16scan_by_key_implILNS1_25lookback_scan_determinismE0ELb1ES3_N6thrust23THRUST_200600_302600_NS6detail15normal_iteratorINS9_10device_ptrIsEEEESE_SE_iNS9_4plusIvEENS9_8equal_toIvEEiEE10hipError_tPvRmT2_T3_T4_T5_mT6_T7_P12ihipStream_tbENKUlT_T0_E_clISt17integral_constantIbLb0EESY_IbLb1EEEEDaSU_SV_EUlSU_E_NS1_11comp_targetILNS1_3genE10ELNS1_11target_archE1201ELNS1_3gpuE5ELNS1_3repE0EEENS1_30default_config_static_selectorELNS0_4arch9wavefront6targetE1EEEvT1_ ; -- Begin function _ZN7rocprim17ROCPRIM_400000_NS6detail17trampoline_kernelINS0_14default_configENS1_27scan_by_key_config_selectorIsiEEZZNS1_16scan_by_key_implILNS1_25lookback_scan_determinismE0ELb1ES3_N6thrust23THRUST_200600_302600_NS6detail15normal_iteratorINS9_10device_ptrIsEEEESE_SE_iNS9_4plusIvEENS9_8equal_toIvEEiEE10hipError_tPvRmT2_T3_T4_T5_mT6_T7_P12ihipStream_tbENKUlT_T0_E_clISt17integral_constantIbLb0EESY_IbLb1EEEEDaSU_SV_EUlSU_E_NS1_11comp_targetILNS1_3genE10ELNS1_11target_archE1201ELNS1_3gpuE5ELNS1_3repE0EEENS1_30default_config_static_selectorELNS0_4arch9wavefront6targetE1EEEvT1_
	.globl	_ZN7rocprim17ROCPRIM_400000_NS6detail17trampoline_kernelINS0_14default_configENS1_27scan_by_key_config_selectorIsiEEZZNS1_16scan_by_key_implILNS1_25lookback_scan_determinismE0ELb1ES3_N6thrust23THRUST_200600_302600_NS6detail15normal_iteratorINS9_10device_ptrIsEEEESE_SE_iNS9_4plusIvEENS9_8equal_toIvEEiEE10hipError_tPvRmT2_T3_T4_T5_mT6_T7_P12ihipStream_tbENKUlT_T0_E_clISt17integral_constantIbLb0EESY_IbLb1EEEEDaSU_SV_EUlSU_E_NS1_11comp_targetILNS1_3genE10ELNS1_11target_archE1201ELNS1_3gpuE5ELNS1_3repE0EEENS1_30default_config_static_selectorELNS0_4arch9wavefront6targetE1EEEvT1_
	.p2align	8
	.type	_ZN7rocprim17ROCPRIM_400000_NS6detail17trampoline_kernelINS0_14default_configENS1_27scan_by_key_config_selectorIsiEEZZNS1_16scan_by_key_implILNS1_25lookback_scan_determinismE0ELb1ES3_N6thrust23THRUST_200600_302600_NS6detail15normal_iteratorINS9_10device_ptrIsEEEESE_SE_iNS9_4plusIvEENS9_8equal_toIvEEiEE10hipError_tPvRmT2_T3_T4_T5_mT6_T7_P12ihipStream_tbENKUlT_T0_E_clISt17integral_constantIbLb0EESY_IbLb1EEEEDaSU_SV_EUlSU_E_NS1_11comp_targetILNS1_3genE10ELNS1_11target_archE1201ELNS1_3gpuE5ELNS1_3repE0EEENS1_30default_config_static_selectorELNS0_4arch9wavefront6targetE1EEEvT1_,@function
_ZN7rocprim17ROCPRIM_400000_NS6detail17trampoline_kernelINS0_14default_configENS1_27scan_by_key_config_selectorIsiEEZZNS1_16scan_by_key_implILNS1_25lookback_scan_determinismE0ELb1ES3_N6thrust23THRUST_200600_302600_NS6detail15normal_iteratorINS9_10device_ptrIsEEEESE_SE_iNS9_4plusIvEENS9_8equal_toIvEEiEE10hipError_tPvRmT2_T3_T4_T5_mT6_T7_P12ihipStream_tbENKUlT_T0_E_clISt17integral_constantIbLb0EESY_IbLb1EEEEDaSU_SV_EUlSU_E_NS1_11comp_targetILNS1_3genE10ELNS1_11target_archE1201ELNS1_3gpuE5ELNS1_3repE0EEENS1_30default_config_static_selectorELNS0_4arch9wavefront6targetE1EEEvT1_: ; @_ZN7rocprim17ROCPRIM_400000_NS6detail17trampoline_kernelINS0_14default_configENS1_27scan_by_key_config_selectorIsiEEZZNS1_16scan_by_key_implILNS1_25lookback_scan_determinismE0ELb1ES3_N6thrust23THRUST_200600_302600_NS6detail15normal_iteratorINS9_10device_ptrIsEEEESE_SE_iNS9_4plusIvEENS9_8equal_toIvEEiEE10hipError_tPvRmT2_T3_T4_T5_mT6_T7_P12ihipStream_tbENKUlT_T0_E_clISt17integral_constantIbLb0EESY_IbLb1EEEEDaSU_SV_EUlSU_E_NS1_11comp_targetILNS1_3genE10ELNS1_11target_archE1201ELNS1_3gpuE5ELNS1_3repE0EEENS1_30default_config_static_selectorELNS0_4arch9wavefront6targetE1EEEvT1_
; %bb.0:
	.section	.rodata,"a",@progbits
	.p2align	6, 0x0
	.amdhsa_kernel _ZN7rocprim17ROCPRIM_400000_NS6detail17trampoline_kernelINS0_14default_configENS1_27scan_by_key_config_selectorIsiEEZZNS1_16scan_by_key_implILNS1_25lookback_scan_determinismE0ELb1ES3_N6thrust23THRUST_200600_302600_NS6detail15normal_iteratorINS9_10device_ptrIsEEEESE_SE_iNS9_4plusIvEENS9_8equal_toIvEEiEE10hipError_tPvRmT2_T3_T4_T5_mT6_T7_P12ihipStream_tbENKUlT_T0_E_clISt17integral_constantIbLb0EESY_IbLb1EEEEDaSU_SV_EUlSU_E_NS1_11comp_targetILNS1_3genE10ELNS1_11target_archE1201ELNS1_3gpuE5ELNS1_3repE0EEENS1_30default_config_static_selectorELNS0_4arch9wavefront6targetE1EEEvT1_
		.amdhsa_group_segment_fixed_size 0
		.amdhsa_private_segment_fixed_size 0
		.amdhsa_kernarg_size 112
		.amdhsa_user_sgpr_count 6
		.amdhsa_user_sgpr_private_segment_buffer 1
		.amdhsa_user_sgpr_dispatch_ptr 0
		.amdhsa_user_sgpr_queue_ptr 0
		.amdhsa_user_sgpr_kernarg_segment_ptr 1
		.amdhsa_user_sgpr_dispatch_id 0
		.amdhsa_user_sgpr_flat_scratch_init 0
		.amdhsa_user_sgpr_kernarg_preload_length 0
		.amdhsa_user_sgpr_kernarg_preload_offset 0
		.amdhsa_user_sgpr_private_segment_size 0
		.amdhsa_uses_dynamic_stack 0
		.amdhsa_system_sgpr_private_segment_wavefront_offset 0
		.amdhsa_system_sgpr_workgroup_id_x 1
		.amdhsa_system_sgpr_workgroup_id_y 0
		.amdhsa_system_sgpr_workgroup_id_z 0
		.amdhsa_system_sgpr_workgroup_info 0
		.amdhsa_system_vgpr_workitem_id 0
		.amdhsa_next_free_vgpr 1
		.amdhsa_next_free_sgpr 0
		.amdhsa_accum_offset 4
		.amdhsa_reserve_vcc 0
		.amdhsa_reserve_flat_scratch 0
		.amdhsa_float_round_mode_32 0
		.amdhsa_float_round_mode_16_64 0
		.amdhsa_float_denorm_mode_32 3
		.amdhsa_float_denorm_mode_16_64 3
		.amdhsa_dx10_clamp 1
		.amdhsa_ieee_mode 1
		.amdhsa_fp16_overflow 0
		.amdhsa_tg_split 0
		.amdhsa_exception_fp_ieee_invalid_op 0
		.amdhsa_exception_fp_denorm_src 0
		.amdhsa_exception_fp_ieee_div_zero 0
		.amdhsa_exception_fp_ieee_overflow 0
		.amdhsa_exception_fp_ieee_underflow 0
		.amdhsa_exception_fp_ieee_inexact 0
		.amdhsa_exception_int_div_zero 0
	.end_amdhsa_kernel
	.section	.text._ZN7rocprim17ROCPRIM_400000_NS6detail17trampoline_kernelINS0_14default_configENS1_27scan_by_key_config_selectorIsiEEZZNS1_16scan_by_key_implILNS1_25lookback_scan_determinismE0ELb1ES3_N6thrust23THRUST_200600_302600_NS6detail15normal_iteratorINS9_10device_ptrIsEEEESE_SE_iNS9_4plusIvEENS9_8equal_toIvEEiEE10hipError_tPvRmT2_T3_T4_T5_mT6_T7_P12ihipStream_tbENKUlT_T0_E_clISt17integral_constantIbLb0EESY_IbLb1EEEEDaSU_SV_EUlSU_E_NS1_11comp_targetILNS1_3genE10ELNS1_11target_archE1201ELNS1_3gpuE5ELNS1_3repE0EEENS1_30default_config_static_selectorELNS0_4arch9wavefront6targetE1EEEvT1_,"axG",@progbits,_ZN7rocprim17ROCPRIM_400000_NS6detail17trampoline_kernelINS0_14default_configENS1_27scan_by_key_config_selectorIsiEEZZNS1_16scan_by_key_implILNS1_25lookback_scan_determinismE0ELb1ES3_N6thrust23THRUST_200600_302600_NS6detail15normal_iteratorINS9_10device_ptrIsEEEESE_SE_iNS9_4plusIvEENS9_8equal_toIvEEiEE10hipError_tPvRmT2_T3_T4_T5_mT6_T7_P12ihipStream_tbENKUlT_T0_E_clISt17integral_constantIbLb0EESY_IbLb1EEEEDaSU_SV_EUlSU_E_NS1_11comp_targetILNS1_3genE10ELNS1_11target_archE1201ELNS1_3gpuE5ELNS1_3repE0EEENS1_30default_config_static_selectorELNS0_4arch9wavefront6targetE1EEEvT1_,comdat
.Lfunc_end1073:
	.size	_ZN7rocprim17ROCPRIM_400000_NS6detail17trampoline_kernelINS0_14default_configENS1_27scan_by_key_config_selectorIsiEEZZNS1_16scan_by_key_implILNS1_25lookback_scan_determinismE0ELb1ES3_N6thrust23THRUST_200600_302600_NS6detail15normal_iteratorINS9_10device_ptrIsEEEESE_SE_iNS9_4plusIvEENS9_8equal_toIvEEiEE10hipError_tPvRmT2_T3_T4_T5_mT6_T7_P12ihipStream_tbENKUlT_T0_E_clISt17integral_constantIbLb0EESY_IbLb1EEEEDaSU_SV_EUlSU_E_NS1_11comp_targetILNS1_3genE10ELNS1_11target_archE1201ELNS1_3gpuE5ELNS1_3repE0EEENS1_30default_config_static_selectorELNS0_4arch9wavefront6targetE1EEEvT1_, .Lfunc_end1073-_ZN7rocprim17ROCPRIM_400000_NS6detail17trampoline_kernelINS0_14default_configENS1_27scan_by_key_config_selectorIsiEEZZNS1_16scan_by_key_implILNS1_25lookback_scan_determinismE0ELb1ES3_N6thrust23THRUST_200600_302600_NS6detail15normal_iteratorINS9_10device_ptrIsEEEESE_SE_iNS9_4plusIvEENS9_8equal_toIvEEiEE10hipError_tPvRmT2_T3_T4_T5_mT6_T7_P12ihipStream_tbENKUlT_T0_E_clISt17integral_constantIbLb0EESY_IbLb1EEEEDaSU_SV_EUlSU_E_NS1_11comp_targetILNS1_3genE10ELNS1_11target_archE1201ELNS1_3gpuE5ELNS1_3repE0EEENS1_30default_config_static_selectorELNS0_4arch9wavefront6targetE1EEEvT1_
                                        ; -- End function
	.section	.AMDGPU.csdata,"",@progbits
; Kernel info:
; codeLenInByte = 0
; NumSgprs: 4
; NumVgprs: 0
; NumAgprs: 0
; TotalNumVgprs: 0
; ScratchSize: 0
; MemoryBound: 0
; FloatMode: 240
; IeeeMode: 1
; LDSByteSize: 0 bytes/workgroup (compile time only)
; SGPRBlocks: 0
; VGPRBlocks: 0
; NumSGPRsForWavesPerEU: 4
; NumVGPRsForWavesPerEU: 1
; AccumOffset: 4
; Occupancy: 8
; WaveLimiterHint : 0
; COMPUTE_PGM_RSRC2:SCRATCH_EN: 0
; COMPUTE_PGM_RSRC2:USER_SGPR: 6
; COMPUTE_PGM_RSRC2:TRAP_HANDLER: 0
; COMPUTE_PGM_RSRC2:TGID_X_EN: 1
; COMPUTE_PGM_RSRC2:TGID_Y_EN: 0
; COMPUTE_PGM_RSRC2:TGID_Z_EN: 0
; COMPUTE_PGM_RSRC2:TIDIG_COMP_CNT: 0
; COMPUTE_PGM_RSRC3_GFX90A:ACCUM_OFFSET: 0
; COMPUTE_PGM_RSRC3_GFX90A:TG_SPLIT: 0
	.section	.text._ZN7rocprim17ROCPRIM_400000_NS6detail17trampoline_kernelINS0_14default_configENS1_27scan_by_key_config_selectorIsiEEZZNS1_16scan_by_key_implILNS1_25lookback_scan_determinismE0ELb1ES3_N6thrust23THRUST_200600_302600_NS6detail15normal_iteratorINS9_10device_ptrIsEEEESE_SE_iNS9_4plusIvEENS9_8equal_toIvEEiEE10hipError_tPvRmT2_T3_T4_T5_mT6_T7_P12ihipStream_tbENKUlT_T0_E_clISt17integral_constantIbLb0EESY_IbLb1EEEEDaSU_SV_EUlSU_E_NS1_11comp_targetILNS1_3genE5ELNS1_11target_archE942ELNS1_3gpuE9ELNS1_3repE0EEENS1_30default_config_static_selectorELNS0_4arch9wavefront6targetE1EEEvT1_,"axG",@progbits,_ZN7rocprim17ROCPRIM_400000_NS6detail17trampoline_kernelINS0_14default_configENS1_27scan_by_key_config_selectorIsiEEZZNS1_16scan_by_key_implILNS1_25lookback_scan_determinismE0ELb1ES3_N6thrust23THRUST_200600_302600_NS6detail15normal_iteratorINS9_10device_ptrIsEEEESE_SE_iNS9_4plusIvEENS9_8equal_toIvEEiEE10hipError_tPvRmT2_T3_T4_T5_mT6_T7_P12ihipStream_tbENKUlT_T0_E_clISt17integral_constantIbLb0EESY_IbLb1EEEEDaSU_SV_EUlSU_E_NS1_11comp_targetILNS1_3genE5ELNS1_11target_archE942ELNS1_3gpuE9ELNS1_3repE0EEENS1_30default_config_static_selectorELNS0_4arch9wavefront6targetE1EEEvT1_,comdat
	.protected	_ZN7rocprim17ROCPRIM_400000_NS6detail17trampoline_kernelINS0_14default_configENS1_27scan_by_key_config_selectorIsiEEZZNS1_16scan_by_key_implILNS1_25lookback_scan_determinismE0ELb1ES3_N6thrust23THRUST_200600_302600_NS6detail15normal_iteratorINS9_10device_ptrIsEEEESE_SE_iNS9_4plusIvEENS9_8equal_toIvEEiEE10hipError_tPvRmT2_T3_T4_T5_mT6_T7_P12ihipStream_tbENKUlT_T0_E_clISt17integral_constantIbLb0EESY_IbLb1EEEEDaSU_SV_EUlSU_E_NS1_11comp_targetILNS1_3genE5ELNS1_11target_archE942ELNS1_3gpuE9ELNS1_3repE0EEENS1_30default_config_static_selectorELNS0_4arch9wavefront6targetE1EEEvT1_ ; -- Begin function _ZN7rocprim17ROCPRIM_400000_NS6detail17trampoline_kernelINS0_14default_configENS1_27scan_by_key_config_selectorIsiEEZZNS1_16scan_by_key_implILNS1_25lookback_scan_determinismE0ELb1ES3_N6thrust23THRUST_200600_302600_NS6detail15normal_iteratorINS9_10device_ptrIsEEEESE_SE_iNS9_4plusIvEENS9_8equal_toIvEEiEE10hipError_tPvRmT2_T3_T4_T5_mT6_T7_P12ihipStream_tbENKUlT_T0_E_clISt17integral_constantIbLb0EESY_IbLb1EEEEDaSU_SV_EUlSU_E_NS1_11comp_targetILNS1_3genE5ELNS1_11target_archE942ELNS1_3gpuE9ELNS1_3repE0EEENS1_30default_config_static_selectorELNS0_4arch9wavefront6targetE1EEEvT1_
	.globl	_ZN7rocprim17ROCPRIM_400000_NS6detail17trampoline_kernelINS0_14default_configENS1_27scan_by_key_config_selectorIsiEEZZNS1_16scan_by_key_implILNS1_25lookback_scan_determinismE0ELb1ES3_N6thrust23THRUST_200600_302600_NS6detail15normal_iteratorINS9_10device_ptrIsEEEESE_SE_iNS9_4plusIvEENS9_8equal_toIvEEiEE10hipError_tPvRmT2_T3_T4_T5_mT6_T7_P12ihipStream_tbENKUlT_T0_E_clISt17integral_constantIbLb0EESY_IbLb1EEEEDaSU_SV_EUlSU_E_NS1_11comp_targetILNS1_3genE5ELNS1_11target_archE942ELNS1_3gpuE9ELNS1_3repE0EEENS1_30default_config_static_selectorELNS0_4arch9wavefront6targetE1EEEvT1_
	.p2align	8
	.type	_ZN7rocprim17ROCPRIM_400000_NS6detail17trampoline_kernelINS0_14default_configENS1_27scan_by_key_config_selectorIsiEEZZNS1_16scan_by_key_implILNS1_25lookback_scan_determinismE0ELb1ES3_N6thrust23THRUST_200600_302600_NS6detail15normal_iteratorINS9_10device_ptrIsEEEESE_SE_iNS9_4plusIvEENS9_8equal_toIvEEiEE10hipError_tPvRmT2_T3_T4_T5_mT6_T7_P12ihipStream_tbENKUlT_T0_E_clISt17integral_constantIbLb0EESY_IbLb1EEEEDaSU_SV_EUlSU_E_NS1_11comp_targetILNS1_3genE5ELNS1_11target_archE942ELNS1_3gpuE9ELNS1_3repE0EEENS1_30default_config_static_selectorELNS0_4arch9wavefront6targetE1EEEvT1_,@function
_ZN7rocprim17ROCPRIM_400000_NS6detail17trampoline_kernelINS0_14default_configENS1_27scan_by_key_config_selectorIsiEEZZNS1_16scan_by_key_implILNS1_25lookback_scan_determinismE0ELb1ES3_N6thrust23THRUST_200600_302600_NS6detail15normal_iteratorINS9_10device_ptrIsEEEESE_SE_iNS9_4plusIvEENS9_8equal_toIvEEiEE10hipError_tPvRmT2_T3_T4_T5_mT6_T7_P12ihipStream_tbENKUlT_T0_E_clISt17integral_constantIbLb0EESY_IbLb1EEEEDaSU_SV_EUlSU_E_NS1_11comp_targetILNS1_3genE5ELNS1_11target_archE942ELNS1_3gpuE9ELNS1_3repE0EEENS1_30default_config_static_selectorELNS0_4arch9wavefront6targetE1EEEvT1_: ; @_ZN7rocprim17ROCPRIM_400000_NS6detail17trampoline_kernelINS0_14default_configENS1_27scan_by_key_config_selectorIsiEEZZNS1_16scan_by_key_implILNS1_25lookback_scan_determinismE0ELb1ES3_N6thrust23THRUST_200600_302600_NS6detail15normal_iteratorINS9_10device_ptrIsEEEESE_SE_iNS9_4plusIvEENS9_8equal_toIvEEiEE10hipError_tPvRmT2_T3_T4_T5_mT6_T7_P12ihipStream_tbENKUlT_T0_E_clISt17integral_constantIbLb0EESY_IbLb1EEEEDaSU_SV_EUlSU_E_NS1_11comp_targetILNS1_3genE5ELNS1_11target_archE942ELNS1_3gpuE9ELNS1_3repE0EEENS1_30default_config_static_selectorELNS0_4arch9wavefront6targetE1EEEvT1_
; %bb.0:
	.section	.rodata,"a",@progbits
	.p2align	6, 0x0
	.amdhsa_kernel _ZN7rocprim17ROCPRIM_400000_NS6detail17trampoline_kernelINS0_14default_configENS1_27scan_by_key_config_selectorIsiEEZZNS1_16scan_by_key_implILNS1_25lookback_scan_determinismE0ELb1ES3_N6thrust23THRUST_200600_302600_NS6detail15normal_iteratorINS9_10device_ptrIsEEEESE_SE_iNS9_4plusIvEENS9_8equal_toIvEEiEE10hipError_tPvRmT2_T3_T4_T5_mT6_T7_P12ihipStream_tbENKUlT_T0_E_clISt17integral_constantIbLb0EESY_IbLb1EEEEDaSU_SV_EUlSU_E_NS1_11comp_targetILNS1_3genE5ELNS1_11target_archE942ELNS1_3gpuE9ELNS1_3repE0EEENS1_30default_config_static_selectorELNS0_4arch9wavefront6targetE1EEEvT1_
		.amdhsa_group_segment_fixed_size 0
		.amdhsa_private_segment_fixed_size 0
		.amdhsa_kernarg_size 112
		.amdhsa_user_sgpr_count 6
		.amdhsa_user_sgpr_private_segment_buffer 1
		.amdhsa_user_sgpr_dispatch_ptr 0
		.amdhsa_user_sgpr_queue_ptr 0
		.amdhsa_user_sgpr_kernarg_segment_ptr 1
		.amdhsa_user_sgpr_dispatch_id 0
		.amdhsa_user_sgpr_flat_scratch_init 0
		.amdhsa_user_sgpr_kernarg_preload_length 0
		.amdhsa_user_sgpr_kernarg_preload_offset 0
		.amdhsa_user_sgpr_private_segment_size 0
		.amdhsa_uses_dynamic_stack 0
		.amdhsa_system_sgpr_private_segment_wavefront_offset 0
		.amdhsa_system_sgpr_workgroup_id_x 1
		.amdhsa_system_sgpr_workgroup_id_y 0
		.amdhsa_system_sgpr_workgroup_id_z 0
		.amdhsa_system_sgpr_workgroup_info 0
		.amdhsa_system_vgpr_workitem_id 0
		.amdhsa_next_free_vgpr 1
		.amdhsa_next_free_sgpr 0
		.amdhsa_accum_offset 4
		.amdhsa_reserve_vcc 0
		.amdhsa_reserve_flat_scratch 0
		.amdhsa_float_round_mode_32 0
		.amdhsa_float_round_mode_16_64 0
		.amdhsa_float_denorm_mode_32 3
		.amdhsa_float_denorm_mode_16_64 3
		.amdhsa_dx10_clamp 1
		.amdhsa_ieee_mode 1
		.amdhsa_fp16_overflow 0
		.amdhsa_tg_split 0
		.amdhsa_exception_fp_ieee_invalid_op 0
		.amdhsa_exception_fp_denorm_src 0
		.amdhsa_exception_fp_ieee_div_zero 0
		.amdhsa_exception_fp_ieee_overflow 0
		.amdhsa_exception_fp_ieee_underflow 0
		.amdhsa_exception_fp_ieee_inexact 0
		.amdhsa_exception_int_div_zero 0
	.end_amdhsa_kernel
	.section	.text._ZN7rocprim17ROCPRIM_400000_NS6detail17trampoline_kernelINS0_14default_configENS1_27scan_by_key_config_selectorIsiEEZZNS1_16scan_by_key_implILNS1_25lookback_scan_determinismE0ELb1ES3_N6thrust23THRUST_200600_302600_NS6detail15normal_iteratorINS9_10device_ptrIsEEEESE_SE_iNS9_4plusIvEENS9_8equal_toIvEEiEE10hipError_tPvRmT2_T3_T4_T5_mT6_T7_P12ihipStream_tbENKUlT_T0_E_clISt17integral_constantIbLb0EESY_IbLb1EEEEDaSU_SV_EUlSU_E_NS1_11comp_targetILNS1_3genE5ELNS1_11target_archE942ELNS1_3gpuE9ELNS1_3repE0EEENS1_30default_config_static_selectorELNS0_4arch9wavefront6targetE1EEEvT1_,"axG",@progbits,_ZN7rocprim17ROCPRIM_400000_NS6detail17trampoline_kernelINS0_14default_configENS1_27scan_by_key_config_selectorIsiEEZZNS1_16scan_by_key_implILNS1_25lookback_scan_determinismE0ELb1ES3_N6thrust23THRUST_200600_302600_NS6detail15normal_iteratorINS9_10device_ptrIsEEEESE_SE_iNS9_4plusIvEENS9_8equal_toIvEEiEE10hipError_tPvRmT2_T3_T4_T5_mT6_T7_P12ihipStream_tbENKUlT_T0_E_clISt17integral_constantIbLb0EESY_IbLb1EEEEDaSU_SV_EUlSU_E_NS1_11comp_targetILNS1_3genE5ELNS1_11target_archE942ELNS1_3gpuE9ELNS1_3repE0EEENS1_30default_config_static_selectorELNS0_4arch9wavefront6targetE1EEEvT1_,comdat
.Lfunc_end1074:
	.size	_ZN7rocprim17ROCPRIM_400000_NS6detail17trampoline_kernelINS0_14default_configENS1_27scan_by_key_config_selectorIsiEEZZNS1_16scan_by_key_implILNS1_25lookback_scan_determinismE0ELb1ES3_N6thrust23THRUST_200600_302600_NS6detail15normal_iteratorINS9_10device_ptrIsEEEESE_SE_iNS9_4plusIvEENS9_8equal_toIvEEiEE10hipError_tPvRmT2_T3_T4_T5_mT6_T7_P12ihipStream_tbENKUlT_T0_E_clISt17integral_constantIbLb0EESY_IbLb1EEEEDaSU_SV_EUlSU_E_NS1_11comp_targetILNS1_3genE5ELNS1_11target_archE942ELNS1_3gpuE9ELNS1_3repE0EEENS1_30default_config_static_selectorELNS0_4arch9wavefront6targetE1EEEvT1_, .Lfunc_end1074-_ZN7rocprim17ROCPRIM_400000_NS6detail17trampoline_kernelINS0_14default_configENS1_27scan_by_key_config_selectorIsiEEZZNS1_16scan_by_key_implILNS1_25lookback_scan_determinismE0ELb1ES3_N6thrust23THRUST_200600_302600_NS6detail15normal_iteratorINS9_10device_ptrIsEEEESE_SE_iNS9_4plusIvEENS9_8equal_toIvEEiEE10hipError_tPvRmT2_T3_T4_T5_mT6_T7_P12ihipStream_tbENKUlT_T0_E_clISt17integral_constantIbLb0EESY_IbLb1EEEEDaSU_SV_EUlSU_E_NS1_11comp_targetILNS1_3genE5ELNS1_11target_archE942ELNS1_3gpuE9ELNS1_3repE0EEENS1_30default_config_static_selectorELNS0_4arch9wavefront6targetE1EEEvT1_
                                        ; -- End function
	.section	.AMDGPU.csdata,"",@progbits
; Kernel info:
; codeLenInByte = 0
; NumSgprs: 4
; NumVgprs: 0
; NumAgprs: 0
; TotalNumVgprs: 0
; ScratchSize: 0
; MemoryBound: 0
; FloatMode: 240
; IeeeMode: 1
; LDSByteSize: 0 bytes/workgroup (compile time only)
; SGPRBlocks: 0
; VGPRBlocks: 0
; NumSGPRsForWavesPerEU: 4
; NumVGPRsForWavesPerEU: 1
; AccumOffset: 4
; Occupancy: 8
; WaveLimiterHint : 0
; COMPUTE_PGM_RSRC2:SCRATCH_EN: 0
; COMPUTE_PGM_RSRC2:USER_SGPR: 6
; COMPUTE_PGM_RSRC2:TRAP_HANDLER: 0
; COMPUTE_PGM_RSRC2:TGID_X_EN: 1
; COMPUTE_PGM_RSRC2:TGID_Y_EN: 0
; COMPUTE_PGM_RSRC2:TGID_Z_EN: 0
; COMPUTE_PGM_RSRC2:TIDIG_COMP_CNT: 0
; COMPUTE_PGM_RSRC3_GFX90A:ACCUM_OFFSET: 0
; COMPUTE_PGM_RSRC3_GFX90A:TG_SPLIT: 0
	.section	.text._ZN7rocprim17ROCPRIM_400000_NS6detail17trampoline_kernelINS0_14default_configENS1_27scan_by_key_config_selectorIsiEEZZNS1_16scan_by_key_implILNS1_25lookback_scan_determinismE0ELb1ES3_N6thrust23THRUST_200600_302600_NS6detail15normal_iteratorINS9_10device_ptrIsEEEESE_SE_iNS9_4plusIvEENS9_8equal_toIvEEiEE10hipError_tPvRmT2_T3_T4_T5_mT6_T7_P12ihipStream_tbENKUlT_T0_E_clISt17integral_constantIbLb0EESY_IbLb1EEEEDaSU_SV_EUlSU_E_NS1_11comp_targetILNS1_3genE4ELNS1_11target_archE910ELNS1_3gpuE8ELNS1_3repE0EEENS1_30default_config_static_selectorELNS0_4arch9wavefront6targetE1EEEvT1_,"axG",@progbits,_ZN7rocprim17ROCPRIM_400000_NS6detail17trampoline_kernelINS0_14default_configENS1_27scan_by_key_config_selectorIsiEEZZNS1_16scan_by_key_implILNS1_25lookback_scan_determinismE0ELb1ES3_N6thrust23THRUST_200600_302600_NS6detail15normal_iteratorINS9_10device_ptrIsEEEESE_SE_iNS9_4plusIvEENS9_8equal_toIvEEiEE10hipError_tPvRmT2_T3_T4_T5_mT6_T7_P12ihipStream_tbENKUlT_T0_E_clISt17integral_constantIbLb0EESY_IbLb1EEEEDaSU_SV_EUlSU_E_NS1_11comp_targetILNS1_3genE4ELNS1_11target_archE910ELNS1_3gpuE8ELNS1_3repE0EEENS1_30default_config_static_selectorELNS0_4arch9wavefront6targetE1EEEvT1_,comdat
	.protected	_ZN7rocprim17ROCPRIM_400000_NS6detail17trampoline_kernelINS0_14default_configENS1_27scan_by_key_config_selectorIsiEEZZNS1_16scan_by_key_implILNS1_25lookback_scan_determinismE0ELb1ES3_N6thrust23THRUST_200600_302600_NS6detail15normal_iteratorINS9_10device_ptrIsEEEESE_SE_iNS9_4plusIvEENS9_8equal_toIvEEiEE10hipError_tPvRmT2_T3_T4_T5_mT6_T7_P12ihipStream_tbENKUlT_T0_E_clISt17integral_constantIbLb0EESY_IbLb1EEEEDaSU_SV_EUlSU_E_NS1_11comp_targetILNS1_3genE4ELNS1_11target_archE910ELNS1_3gpuE8ELNS1_3repE0EEENS1_30default_config_static_selectorELNS0_4arch9wavefront6targetE1EEEvT1_ ; -- Begin function _ZN7rocprim17ROCPRIM_400000_NS6detail17trampoline_kernelINS0_14default_configENS1_27scan_by_key_config_selectorIsiEEZZNS1_16scan_by_key_implILNS1_25lookback_scan_determinismE0ELb1ES3_N6thrust23THRUST_200600_302600_NS6detail15normal_iteratorINS9_10device_ptrIsEEEESE_SE_iNS9_4plusIvEENS9_8equal_toIvEEiEE10hipError_tPvRmT2_T3_T4_T5_mT6_T7_P12ihipStream_tbENKUlT_T0_E_clISt17integral_constantIbLb0EESY_IbLb1EEEEDaSU_SV_EUlSU_E_NS1_11comp_targetILNS1_3genE4ELNS1_11target_archE910ELNS1_3gpuE8ELNS1_3repE0EEENS1_30default_config_static_selectorELNS0_4arch9wavefront6targetE1EEEvT1_
	.globl	_ZN7rocprim17ROCPRIM_400000_NS6detail17trampoline_kernelINS0_14default_configENS1_27scan_by_key_config_selectorIsiEEZZNS1_16scan_by_key_implILNS1_25lookback_scan_determinismE0ELb1ES3_N6thrust23THRUST_200600_302600_NS6detail15normal_iteratorINS9_10device_ptrIsEEEESE_SE_iNS9_4plusIvEENS9_8equal_toIvEEiEE10hipError_tPvRmT2_T3_T4_T5_mT6_T7_P12ihipStream_tbENKUlT_T0_E_clISt17integral_constantIbLb0EESY_IbLb1EEEEDaSU_SV_EUlSU_E_NS1_11comp_targetILNS1_3genE4ELNS1_11target_archE910ELNS1_3gpuE8ELNS1_3repE0EEENS1_30default_config_static_selectorELNS0_4arch9wavefront6targetE1EEEvT1_
	.p2align	8
	.type	_ZN7rocprim17ROCPRIM_400000_NS6detail17trampoline_kernelINS0_14default_configENS1_27scan_by_key_config_selectorIsiEEZZNS1_16scan_by_key_implILNS1_25lookback_scan_determinismE0ELb1ES3_N6thrust23THRUST_200600_302600_NS6detail15normal_iteratorINS9_10device_ptrIsEEEESE_SE_iNS9_4plusIvEENS9_8equal_toIvEEiEE10hipError_tPvRmT2_T3_T4_T5_mT6_T7_P12ihipStream_tbENKUlT_T0_E_clISt17integral_constantIbLb0EESY_IbLb1EEEEDaSU_SV_EUlSU_E_NS1_11comp_targetILNS1_3genE4ELNS1_11target_archE910ELNS1_3gpuE8ELNS1_3repE0EEENS1_30default_config_static_selectorELNS0_4arch9wavefront6targetE1EEEvT1_,@function
_ZN7rocprim17ROCPRIM_400000_NS6detail17trampoline_kernelINS0_14default_configENS1_27scan_by_key_config_selectorIsiEEZZNS1_16scan_by_key_implILNS1_25lookback_scan_determinismE0ELb1ES3_N6thrust23THRUST_200600_302600_NS6detail15normal_iteratorINS9_10device_ptrIsEEEESE_SE_iNS9_4plusIvEENS9_8equal_toIvEEiEE10hipError_tPvRmT2_T3_T4_T5_mT6_T7_P12ihipStream_tbENKUlT_T0_E_clISt17integral_constantIbLb0EESY_IbLb1EEEEDaSU_SV_EUlSU_E_NS1_11comp_targetILNS1_3genE4ELNS1_11target_archE910ELNS1_3gpuE8ELNS1_3repE0EEENS1_30default_config_static_selectorELNS0_4arch9wavefront6targetE1EEEvT1_: ; @_ZN7rocprim17ROCPRIM_400000_NS6detail17trampoline_kernelINS0_14default_configENS1_27scan_by_key_config_selectorIsiEEZZNS1_16scan_by_key_implILNS1_25lookback_scan_determinismE0ELb1ES3_N6thrust23THRUST_200600_302600_NS6detail15normal_iteratorINS9_10device_ptrIsEEEESE_SE_iNS9_4plusIvEENS9_8equal_toIvEEiEE10hipError_tPvRmT2_T3_T4_T5_mT6_T7_P12ihipStream_tbENKUlT_T0_E_clISt17integral_constantIbLb0EESY_IbLb1EEEEDaSU_SV_EUlSU_E_NS1_11comp_targetILNS1_3genE4ELNS1_11target_archE910ELNS1_3gpuE8ELNS1_3repE0EEENS1_30default_config_static_selectorELNS0_4arch9wavefront6targetE1EEEvT1_
; %bb.0:
	s_load_dword s44, s[4:5], 0x20
	s_load_dwordx4 s[36:39], s[4:5], 0x28
	s_load_dwordx2 s[34:35], s[4:5], 0x38
	v_cmp_ne_u32_e64 s[22:23], 0, v0
	v_cmp_eq_u32_e64 s[0:1], 0, v0
	s_and_saveexec_b64 s[2:3], s[0:1]
	s_cbranch_execz .LBB1075_4
; %bb.1:
	s_mov_b64 s[8:9], exec
	v_mbcnt_lo_u32_b32 v1, s8, 0
	v_mbcnt_hi_u32_b32 v1, s9, v1
	v_cmp_eq_u32_e32 vcc, 0, v1
                                        ; implicit-def: $vgpr2
	s_and_saveexec_b64 s[6:7], vcc
	s_cbranch_execz .LBB1075_3
; %bb.2:
	s_load_dwordx2 s[10:11], s[4:5], 0x68
	s_bcnt1_i32_b64 s8, s[8:9]
	v_mov_b32_e32 v2, 0
	v_mov_b32_e32 v3, s8
	s_waitcnt lgkmcnt(0)
	global_atomic_add v2, v2, v3, s[10:11] glc
.LBB1075_3:
	s_or_b64 exec, exec, s[6:7]
	s_waitcnt vmcnt(0)
	v_readfirstlane_b32 s6, v2
	v_add_u32_e32 v1, s6, v1
	v_mov_b32_e32 v2, 0
	ds_write_b32 v2, v1
.LBB1075_4:
	s_or_b64 exec, exec, s[2:3]
	s_load_dwordx8 s[24:31], s[4:5], 0x0
	s_load_dword s2, s[4:5], 0x40
	s_load_dwordx4 s[40:43], s[4:5], 0x48
	v_mov_b32_e32 v3, 0
	s_waitcnt lgkmcnt(0)
	s_lshl_b64 s[26:27], s[26:27], 1
	s_barrier
	ds_read_b32 v4, v3
	s_add_u32 s3, s24, s26
	s_addc_u32 s4, s25, s27
	s_add_u32 s5, s28, s26
	s_mul_i32 s7, s35, s2
	s_mul_hi_u32 s8, s34, s2
	s_addc_u32 s6, s29, s27
	s_add_i32 s7, s8, s7
	s_movk_i32 s8, 0x900
	s_waitcnt lgkmcnt(0)
	v_mul_lo_u32 v2, v4, s8
	v_lshlrev_b64 v[10:11], 1, v[2:3]
	v_mov_b32_e32 v1, s4
	v_add_co_u32_e32 v6, vcc, s3, v10
	v_addc_co_u32_e32 v7, vcc, v1, v11, vcc
	v_mov_b32_e32 v2, s6
	v_add_co_u32_e32 v1, vcc, s5, v10
	s_mul_i32 s2, s34, s2
	v_addc_co_u32_e32 v28, vcc, v2, v11, vcc
	v_mov_b32_e32 v3, s7
	v_add_co_u32_e32 v2, vcc, s2, v4
	s_add_u32 s6, s40, -1
	v_addc_co_u32_e32 v3, vcc, 0, v3, vcc
	s_addc_u32 s7, s41, -1
	v_cmp_le_u64_e64 s[2:3], s[6:7], v[2:3]
	v_readfirstlane_b32 s39, v4
	s_mov_b64 s[4:5], -1
	s_and_b64 vcc, exec, s[2:3]
	s_mul_i32 s33, s6, 0xfffff700
	s_barrier
	s_barrier
	s_cbranch_vccz .LBB1075_33
; %bb.5:
	flat_load_ushort v2, v[6:7]
	s_add_i32 s40, s33, s38
	v_cmp_gt_u32_e32 vcc, s40, v0
	s_waitcnt vmcnt(0) lgkmcnt(0)
	v_mov_b32_e32 v3, v2
	s_and_saveexec_b64 s[6:7], vcc
	s_cbranch_execz .LBB1075_7
; %bb.6:
	v_lshlrev_b32_e32 v3, 1, v0
	v_add_co_u32_e64 v4, s[4:5], v6, v3
	v_addc_co_u32_e64 v5, s[4:5], 0, v7, s[4:5]
	flat_load_ushort v3, v[4:5]
.LBB1075_7:
	s_or_b64 exec, exec, s[6:7]
	v_or_b32_e32 v4, 0x100, v0
	v_cmp_gt_u32_e64 s[6:7], s40, v4
	v_mov_b32_e32 v4, v2
	s_and_saveexec_b64 s[8:9], s[6:7]
	s_cbranch_execz .LBB1075_9
; %bb.8:
	v_lshlrev_b32_e32 v4, 1, v0
	v_add_co_u32_e64 v4, s[4:5], v6, v4
	v_addc_co_u32_e64 v5, s[4:5], 0, v7, s[4:5]
	flat_load_ushort v4, v[4:5] offset:512
.LBB1075_9:
	s_or_b64 exec, exec, s[8:9]
	v_or_b32_e32 v5, 0x200, v0
	v_cmp_gt_u32_e64 s[8:9], s40, v5
	v_mov_b32_e32 v5, v2
	s_and_saveexec_b64 s[10:11], s[8:9]
	s_cbranch_execz .LBB1075_11
; %bb.10:
	v_lshlrev_b32_e32 v5, 1, v0
	v_add_co_u32_e64 v8, s[4:5], v6, v5
	v_addc_co_u32_e64 v9, s[4:5], 0, v7, s[4:5]
	flat_load_ushort v5, v[8:9] offset:1024
.LBB1075_11:
	;; [unrolled: 12-line block ×7, first 2 shown]
	s_or_b64 exec, exec, s[20:21]
	v_or_b32_e32 v8, 0x800, v0
	v_cmp_gt_u32_e64 s[20:21], s40, v8
	v_lshlrev_b32_e32 v8, 1, v8
	s_and_saveexec_b64 s[24:25], s[20:21]
	s_cbranch_execz .LBB1075_23
; %bb.22:
	v_add_co_u32_e64 v18, s[4:5], v6, v8
	v_addc_co_u32_e64 v19, s[4:5], 0, v7, s[4:5]
	flat_load_ushort v2, v[18:19]
.LBB1075_23:
	s_or_b64 exec, exec, s[24:25]
	v_lshlrev_b32_e32 v12, 1, v0
	s_waitcnt vmcnt(0) lgkmcnt(0)
	ds_write_b16 v12, v3
	ds_write_b16 v12, v4 offset:512
	ds_write_b16 v12, v5 offset:1024
	;; [unrolled: 1-line block ×8, first 2 shown]
	s_waitcnt lgkmcnt(0)
	s_barrier
	flat_load_ushort v29, v[6:7]
	v_lshl_add_u32 v2, v0, 4, v12
	ds_read_u16 v9, v2
	ds_read_b128 v[2:5], v2 offset:2
	s_movk_i32 s4, 0xff
	v_cmp_ne_u32_e64 s[4:5], s4, v0
	s_waitcnt lgkmcnt(0)
	ds_write_b16 v12, v9 offset:5120
	s_waitcnt lgkmcnt(0)
	s_barrier
	s_and_saveexec_b64 s[24:25], s[4:5]
	s_cbranch_execz .LBB1075_25
; %bb.24:
	s_waitcnt vmcnt(0)
	ds_read_u16 v29, v12 offset:5122
.LBB1075_25:
	s_or_b64 exec, exec, s[24:25]
	s_waitcnt lgkmcnt(0)
	s_barrier
	s_waitcnt lgkmcnt(0)
                                        ; implicit-def: $vgpr13
	s_and_saveexec_b64 s[4:5], vcc
	s_cbranch_execz .LBB1075_34
; %bb.26:
	v_add_co_u32_e32 v14, vcc, v1, v12
	v_addc_co_u32_e32 v15, vcc, 0, v28, vcc
	flat_load_sshort v13, v[14:15]
	s_or_b64 exec, exec, s[4:5]
                                        ; implicit-def: $vgpr14
	s_and_saveexec_b64 s[4:5], s[6:7]
	s_cbranch_execnz .LBB1075_35
.LBB1075_27:
	s_or_b64 exec, exec, s[4:5]
                                        ; implicit-def: $vgpr15
	s_and_saveexec_b64 s[4:5], s[8:9]
	s_cbranch_execz .LBB1075_36
.LBB1075_28:
	v_add_co_u32_e32 v16, vcc, v1, v12
	v_addc_co_u32_e32 v17, vcc, 0, v28, vcc
	flat_load_sshort v15, v[16:17] offset:1024
	s_or_b64 exec, exec, s[4:5]
                                        ; implicit-def: $vgpr16
	s_and_saveexec_b64 s[4:5], s[10:11]
	s_cbranch_execnz .LBB1075_37
.LBB1075_29:
	s_or_b64 exec, exec, s[4:5]
                                        ; implicit-def: $vgpr17
	s_and_saveexec_b64 s[4:5], s[12:13]
	s_cbranch_execz .LBB1075_38
.LBB1075_30:
	v_add_co_u32_e32 v18, vcc, v1, v12
	v_addc_co_u32_e32 v19, vcc, 0, v28, vcc
	flat_load_sshort v17, v[18:19] offset:2048
	s_or_b64 exec, exec, s[4:5]
                                        ; implicit-def: $vgpr18
	s_and_saveexec_b64 s[4:5], s[14:15]
	s_cbranch_execnz .LBB1075_39
.LBB1075_31:
	s_or_b64 exec, exec, s[4:5]
                                        ; implicit-def: $vgpr19
	s_and_saveexec_b64 s[4:5], s[16:17]
	s_cbranch_execz .LBB1075_40
.LBB1075_32:
	v_add_co_u32_e32 v20, vcc, v1, v12
	v_addc_co_u32_e32 v21, vcc, 0, v28, vcc
	flat_load_sshort v19, v[20:21] offset:3072
	s_or_b64 exec, exec, s[4:5]
                                        ; implicit-def: $vgpr20
	s_and_saveexec_b64 s[4:5], s[18:19]
	s_cbranch_execz .LBB1075_42
	s_branch .LBB1075_41
.LBB1075_33:
	s_mov_b64 s[10:11], 0
                                        ; implicit-def: $sgpr8_sgpr9
                                        ; implicit-def: $vgpr8
                                        ; implicit-def: $vgpr12_vgpr13
                                        ; implicit-def: $vgpr14_vgpr15
                                        ; implicit-def: $vgpr16_vgpr17
                                        ; implicit-def: $vgpr18_vgpr19
                                        ; implicit-def: $vgpr20_vgpr21
                                        ; implicit-def: $vgpr22_vgpr23
                                        ; implicit-def: $vgpr24_vgpr25
                                        ; implicit-def: $vgpr26_vgpr27
                                        ; implicit-def: $sgpr6_sgpr7
	s_and_b64 vcc, exec, s[4:5]
	v_lshlrev_b32_e32 v34, 1, v0
	s_cbranch_vccz .LBB1075_68
	s_branch .LBB1075_63
.LBB1075_34:
	s_or_b64 exec, exec, s[4:5]
                                        ; implicit-def: $vgpr14
	s_and_saveexec_b64 s[4:5], s[6:7]
	s_cbranch_execz .LBB1075_27
.LBB1075_35:
	v_add_co_u32_e32 v14, vcc, v1, v12
	v_addc_co_u32_e32 v15, vcc, 0, v28, vcc
	flat_load_sshort v14, v[14:15] offset:512
	s_or_b64 exec, exec, s[4:5]
                                        ; implicit-def: $vgpr15
	s_and_saveexec_b64 s[4:5], s[8:9]
	s_cbranch_execnz .LBB1075_28
.LBB1075_36:
	s_or_b64 exec, exec, s[4:5]
                                        ; implicit-def: $vgpr16
	s_and_saveexec_b64 s[4:5], s[10:11]
	s_cbranch_execz .LBB1075_29
.LBB1075_37:
	v_add_co_u32_e32 v16, vcc, v1, v12
	v_addc_co_u32_e32 v17, vcc, 0, v28, vcc
	flat_load_sshort v16, v[16:17] offset:1536
	s_or_b64 exec, exec, s[4:5]
                                        ; implicit-def: $vgpr17
	s_and_saveexec_b64 s[4:5], s[12:13]
	s_cbranch_execnz .LBB1075_30
.LBB1075_38:
	s_or_b64 exec, exec, s[4:5]
                                        ; implicit-def: $vgpr18
	s_and_saveexec_b64 s[4:5], s[14:15]
	s_cbranch_execz .LBB1075_31
.LBB1075_39:
	v_add_co_u32_e32 v18, vcc, v1, v12
	v_addc_co_u32_e32 v19, vcc, 0, v28, vcc
	flat_load_sshort v18, v[18:19] offset:2560
	s_or_b64 exec, exec, s[4:5]
                                        ; implicit-def: $vgpr19
	s_and_saveexec_b64 s[4:5], s[16:17]
	s_cbranch_execnz .LBB1075_32
.LBB1075_40:
	s_or_b64 exec, exec, s[4:5]
                                        ; implicit-def: $vgpr20
	s_and_saveexec_b64 s[4:5], s[18:19]
	s_cbranch_execz .LBB1075_42
.LBB1075_41:
	v_add_co_u32_e32 v20, vcc, v1, v12
	v_addc_co_u32_e32 v21, vcc, 0, v28, vcc
	flat_load_sshort v20, v[20:21] offset:3584
.LBB1075_42:
	s_or_b64 exec, exec, s[4:5]
	v_mul_u32_u24_e32 v30, 9, v0
                                        ; implicit-def: $vgpr21
	s_and_saveexec_b64 s[4:5], s[20:21]
	s_cbranch_execz .LBB1075_44
; %bb.43:
	v_add_co_u32_e32 v22, vcc, v1, v8
	v_addc_co_u32_e32 v23, vcc, 0, v28, vcc
	flat_load_sshort v21, v[22:23]
.LBB1075_44:
	s_or_b64 exec, exec, s[4:5]
	v_lshl_add_u32 v31, v0, 1, v12
	s_waitcnt vmcnt(0) lgkmcnt(0)
	ds_write2st64_b32 v31, v13, v14 offset1:4
	ds_write2st64_b32 v31, v15, v16 offset0:8 offset1:12
	ds_write2st64_b32 v31, v17, v18 offset0:16 offset1:20
	;; [unrolled: 1-line block ×3, first 2 shown]
	ds_write_b32 v31, v21 offset:8192
	v_pk_mov_b32 v[12:13], 0, 0
	v_cmp_gt_u32_e32 vcc, s40, v30
	s_mov_b64 s[10:11], 0
	s_mov_b64 s[4:5], 0
	v_pk_mov_b32 v[14:15], v[12:13], v[12:13] op_sel:[0,1]
	v_pk_mov_b32 v[16:17], v[12:13], v[12:13] op_sel:[0,1]
	;; [unrolled: 1-line block ×7, first 2 shown]
	s_waitcnt lgkmcnt(0)
	s_barrier
	s_waitcnt lgkmcnt(0)
                                        ; implicit-def: $sgpr8_sgpr9
                                        ; implicit-def: $vgpr8
	s_and_saveexec_b64 s[6:7], vcc
	s_cbranch_execz .LBB1075_62
; %bb.45:
	v_lshlrev_b32_e32 v8, 5, v0
	v_add_u32_e32 v31, v31, v8
	ds_read_b32 v8, v31
	v_mov_b32_e32 v12, s44
	v_cmp_eq_u16_e32 vcc, v9, v2
	v_add_u32_e32 v14, 1, v30
	s_mov_b64 s[12:13], 0
	s_waitcnt lgkmcnt(0)
	v_cndmask_b32_e32 v12, v12, v8, vcc
	v_cmp_ne_u16_e32 vcc, v9, v2
	v_cndmask_b32_e64 v13, 0, 1, vcc
	v_cmp_gt_u32_e32 vcc, s40, v14
	v_pk_mov_b32 v[14:15], 0, 0
	v_pk_mov_b32 v[16:17], v[14:15], v[14:15] op_sel:[0,1]
	v_pk_mov_b32 v[18:19], v[14:15], v[14:15] op_sel:[0,1]
	;; [unrolled: 1-line block ×6, first 2 shown]
                                        ; implicit-def: $sgpr14_sgpr15
                                        ; implicit-def: $vgpr8
	s_and_saveexec_b64 s[8:9], vcc
	s_cbranch_execz .LBB1075_61
; %bb.46:
	ds_read2_b32 v[8:9], v31 offset0:1 offset1:2
	v_add_u32_e32 v16, 2, v30
	v_mov_b32_e32 v14, s44
	v_cmp_eq_u16_sdwa vcc, v2, v2 src0_sel:DWORD src1_sel:WORD_1
	v_cmp_ne_u16_sdwa s[10:11], v2, v2 src0_sel:DWORD src1_sel:WORD_1
	s_waitcnt lgkmcnt(0)
	v_cndmask_b32_e32 v14, v14, v8, vcc
	v_cmp_gt_u32_e32 vcc, s40, v16
	v_pk_mov_b32 v[16:17], 0, 0
	v_cndmask_b32_e64 v15, 0, 1, s[10:11]
	s_mov_b64 s[14:15], 0
	v_pk_mov_b32 v[18:19], v[16:17], v[16:17] op_sel:[0,1]
	v_pk_mov_b32 v[20:21], v[16:17], v[16:17] op_sel:[0,1]
	;; [unrolled: 1-line block ×5, first 2 shown]
                                        ; implicit-def: $sgpr16_sgpr17
                                        ; implicit-def: $vgpr8
	s_and_saveexec_b64 s[10:11], vcc
	s_cbranch_execz .LBB1075_60
; %bb.47:
	v_add_u32_e32 v8, 3, v30
	v_mov_b32_e32 v16, s44
	v_cmp_eq_u16_sdwa vcc, v2, v3 src0_sel:WORD_1 src1_sel:DWORD
	v_cmp_ne_u16_sdwa s[12:13], v2, v3 src0_sel:WORD_1 src1_sel:DWORD
	v_pk_mov_b32 v[18:19], 0, 0
	v_cndmask_b32_e32 v16, v16, v9, vcc
	v_cndmask_b32_e64 v17, 0, 1, s[12:13]
	v_cmp_gt_u32_e32 vcc, s40, v8
	s_mov_b64 s[16:17], 0
	v_pk_mov_b32 v[20:21], v[18:19], v[18:19] op_sel:[0,1]
	v_pk_mov_b32 v[22:23], v[18:19], v[18:19] op_sel:[0,1]
	v_pk_mov_b32 v[24:25], v[18:19], v[18:19] op_sel:[0,1]
	v_pk_mov_b32 v[26:27], v[18:19], v[18:19] op_sel:[0,1]
                                        ; implicit-def: $sgpr18_sgpr19
                                        ; implicit-def: $vgpr8
	s_and_saveexec_b64 s[12:13], vcc
	s_cbranch_execz .LBB1075_59
; %bb.48:
	ds_read2_b32 v[8:9], v31 offset0:3 offset1:4
	v_add_u32_e32 v2, 4, v30
	v_mov_b32_e32 v18, s44
	v_cmp_eq_u16_sdwa vcc, v3, v3 src0_sel:DWORD src1_sel:WORD_1
	v_cmp_ne_u16_sdwa s[14:15], v3, v3 src0_sel:DWORD src1_sel:WORD_1
	v_pk_mov_b32 v[20:21], 0, 0
	s_waitcnt lgkmcnt(0)
	v_cndmask_b32_e32 v18, v18, v8, vcc
	v_cndmask_b32_e64 v19, 0, 1, s[14:15]
	v_cmp_gt_u32_e32 vcc, s40, v2
	s_mov_b64 s[18:19], 0
	v_pk_mov_b32 v[22:23], v[20:21], v[20:21] op_sel:[0,1]
	v_pk_mov_b32 v[24:25], v[20:21], v[20:21] op_sel:[0,1]
	;; [unrolled: 1-line block ×3, first 2 shown]
                                        ; implicit-def: $sgpr20_sgpr21
                                        ; implicit-def: $vgpr8
	s_and_saveexec_b64 s[14:15], vcc
	s_cbranch_execz .LBB1075_58
; %bb.49:
	v_add_u32_e32 v2, 5, v30
	v_mov_b32_e32 v8, s44
	v_cmp_eq_u16_sdwa vcc, v3, v4 src0_sel:WORD_1 src1_sel:DWORD
	v_cmp_ne_u16_sdwa s[16:17], v3, v4 src0_sel:WORD_1 src1_sel:DWORD
	v_pk_mov_b32 v[22:23], 0, 0
	v_cndmask_b32_e32 v20, v8, v9, vcc
	v_cndmask_b32_e64 v21, 0, 1, s[16:17]
	v_cmp_gt_u32_e32 vcc, s40, v2
	s_mov_b64 s[20:21], 0
	v_pk_mov_b32 v[24:25], v[22:23], v[22:23] op_sel:[0,1]
	v_pk_mov_b32 v[26:27], v[22:23], v[22:23] op_sel:[0,1]
                                        ; implicit-def: $sgpr24_sgpr25
                                        ; implicit-def: $vgpr8
	s_and_saveexec_b64 s[16:17], vcc
	s_cbranch_execz .LBB1075_57
; %bb.50:
	ds_read2_b32 v[2:3], v31 offset0:5 offset1:6
	v_add_u32_e32 v8, 6, v30
	v_mov_b32_e32 v9, s44
	v_cmp_eq_u16_sdwa vcc, v4, v4 src0_sel:DWORD src1_sel:WORD_1
	v_cmp_ne_u16_sdwa s[18:19], v4, v4 src0_sel:DWORD src1_sel:WORD_1
	v_pk_mov_b32 v[24:25], 0, 0
	s_waitcnt lgkmcnt(0)
	v_cndmask_b32_e32 v22, v9, v2, vcc
	v_cndmask_b32_e64 v23, 0, 1, s[18:19]
	v_cmp_gt_u32_e32 vcc, s40, v8
	s_mov_b64 s[24:25], 0
	v_pk_mov_b32 v[26:27], v[24:25], v[24:25] op_sel:[0,1]
                                        ; implicit-def: $sgpr28_sgpr29
                                        ; implicit-def: $vgpr8
	s_and_saveexec_b64 s[18:19], vcc
	s_cbranch_execz .LBB1075_56
; %bb.51:
	v_add_u32_e32 v2, 7, v30
	v_mov_b32_e32 v8, s44
	v_cmp_eq_u16_sdwa vcc, v4, v5 src0_sel:WORD_1 src1_sel:DWORD
	v_cmp_ne_u16_sdwa s[20:21], v4, v5 src0_sel:WORD_1 src1_sel:DWORD
	v_cndmask_b32_e32 v24, v8, v3, vcc
	v_cndmask_b32_e64 v25, 0, 1, s[20:21]
	v_cmp_gt_u32_e32 vcc, s40, v2
	v_pk_mov_b32 v[26:27], 0, 0
                                        ; implicit-def: $sgpr28_sgpr29
                                        ; implicit-def: $vgpr8
	s_and_saveexec_b64 s[20:21], vcc
	s_cbranch_execz .LBB1075_55
; %bb.52:
	ds_read2_b32 v[2:3], v31 offset0:7 offset1:8
	v_add_u32_e32 v4, 8, v30
	v_mov_b32_e32 v8, s44
	v_cmp_eq_u16_sdwa vcc, v5, v5 src0_sel:DWORD src1_sel:WORD_1
	v_cmp_ne_u16_sdwa s[24:25], v5, v5 src0_sel:DWORD src1_sel:WORD_1
	s_waitcnt lgkmcnt(0)
	v_cndmask_b32_e32 v26, v8, v2, vcc
	v_cndmask_b32_e64 v27, 0, 1, s[24:25]
	v_cmp_gt_u32_e32 vcc, s40, v4
	s_mov_b64 s[24:25], 0
                                        ; implicit-def: $sgpr28_sgpr29
                                        ; implicit-def: $vgpr8
	s_and_saveexec_b64 s[40:41], vcc
	s_xor_b64 s[40:41], exec, s[40:41]
; %bb.53:
	v_mov_b32_e32 v2, s44
	v_cmp_ne_u16_sdwa vcc, v5, v29 src0_sel:WORD_1 src1_sel:DWORD
	s_mov_b64 s[24:25], exec
	v_cndmask_b32_e32 v8, v3, v2, vcc
	s_and_b64 s[28:29], vcc, exec
; %bb.54:
	s_or_b64 exec, exec, s[40:41]
	s_and_b64 s[28:29], s[28:29], exec
	s_and_b64 s[24:25], s[24:25], exec
.LBB1075_55:
	s_or_b64 exec, exec, s[20:21]
	s_and_b64 s[28:29], s[28:29], exec
	s_and_b64 s[20:21], s[24:25], exec
.LBB1075_56:
	s_or_b64 exec, exec, s[18:19]
	s_and_b64 s[24:25], s[28:29], exec
	s_and_b64 s[18:19], s[20:21], exec
.LBB1075_57:
	s_or_b64 exec, exec, s[16:17]
	s_and_b64 s[20:21], s[24:25], exec
	s_and_b64 s[16:17], s[18:19], exec
.LBB1075_58:
	s_or_b64 exec, exec, s[14:15]
	s_and_b64 s[18:19], s[20:21], exec
	s_and_b64 s[14:15], s[16:17], exec
.LBB1075_59:
	s_or_b64 exec, exec, s[12:13]
	s_and_b64 s[16:17], s[18:19], exec
	s_and_b64 s[12:13], s[14:15], exec
.LBB1075_60:
	s_or_b64 exec, exec, s[10:11]
	s_and_b64 s[14:15], s[16:17], exec
	s_and_b64 s[10:11], s[12:13], exec
.LBB1075_61:
	s_or_b64 exec, exec, s[8:9]
	s_and_b64 s[8:9], s[14:15], exec
	s_and_b64 s[10:11], s[10:11], exec
.LBB1075_62:
	s_or_b64 exec, exec, s[6:7]
	s_mov_b64 s[6:7], 0
	s_and_b64 vcc, exec, s[4:5]
	v_lshlrev_b32_e32 v34, 1, v0
	s_cbranch_vccz .LBB1075_68
.LBB1075_63:
	v_add_co_u32_e32 v2, vcc, v6, v34
	v_addc_co_u32_e32 v3, vcc, 0, v7, vcc
	flat_load_ushort v4, v[2:3]
	flat_load_ushort v5, v[2:3] offset:512
	flat_load_ushort v8, v[2:3] offset:1024
	;; [unrolled: 1-line block ×7, first 2 shown]
	v_add_co_u32_e32 v2, vcc, 0x1000, v2
	v_addc_co_u32_e32 v3, vcc, 0, v3, vcc
	flat_load_ushort v16, v[2:3]
	v_add_co_u32_e32 v2, vcc, 0x1000, v6
	v_addc_co_u32_e32 v3, vcc, 0, v7, vcc
	s_mov_b32 s4, 0
	s_movk_i32 s6, 0xff
	s_mov_b32 s5, 1
	s_movk_i32 s8, 0x1000
	v_cmp_ne_u32_e32 vcc, s6, v0
	s_waitcnt vmcnt(0) lgkmcnt(0)
	ds_write_b16 v34, v4
	ds_write_b16 v34, v5 offset:512
	ds_write_b16 v34, v8 offset:1024
	;; [unrolled: 1-line block ×8, first 2 shown]
	s_waitcnt lgkmcnt(0)
	s_barrier
	flat_load_ushort v29, v[2:3] offset:512
	v_lshl_add_u32 v2, v0, 4, v34
	ds_read_u16 v12, v2
	ds_read_b128 v[2:5], v2 offset:2
	s_waitcnt lgkmcnt(0)
	ds_write_b16 v34, v12 offset:5120
	s_waitcnt lgkmcnt(0)
	s_barrier
	s_and_saveexec_b64 s[6:7], vcc
	s_cbranch_execz .LBB1075_65
; %bb.64:
	s_waitcnt vmcnt(0)
	ds_read_u16 v29, v34 offset:5122
.LBB1075_65:
	s_or_b64 exec, exec, s[6:7]
	v_add_co_u32_e32 v6, vcc, v1, v34
	v_addc_co_u32_e32 v7, vcc, 0, v28, vcc
	s_waitcnt lgkmcnt(0)
	s_barrier
	flat_load_sshort v1, v[6:7]
	flat_load_sshort v8, v[6:7] offset:512
	flat_load_sshort v9, v[6:7] offset:1024
	;; [unrolled: 1-line block ×7, first 2 shown]
	v_add_co_u32_e32 v6, vcc, s8, v6
	v_addc_co_u32_e32 v7, vcc, 0, v7, vcc
	flat_load_sshort v6, v[6:7]
	v_lshl_add_u32 v7, v0, 1, v34
	v_lshlrev_b32_e32 v14, 5, v0
	v_add_u32_e32 v14, v7, v14
	v_cmp_eq_u16_e32 vcc, v12, v2
	s_waitcnt vmcnt(0) lgkmcnt(0)
	ds_write2st64_b32 v7, v1, v8 offset1:4
	ds_write2st64_b32 v7, v9, v13 offset0:8 offset1:12
	ds_write2st64_b32 v7, v15, v16 offset0:16 offset1:20
	;; [unrolled: 1-line block ×3, first 2 shown]
	ds_write_b32 v7, v6 offset:8192
	s_waitcnt lgkmcnt(0)
	s_barrier
	ds_read2_b32 v[16:17], v14 offset0:1 offset1:2
	ds_read2_b32 v[20:21], v14 offset0:3 offset1:4
	;; [unrolled: 1-line block ×4, first 2 shown]
	v_pk_mov_b32 v[12:13], s[4:5], s[4:5] op_sel:[0,1]
	v_mov_b32_e32 v1, s44
	s_and_saveexec_b64 s[4:5], vcc
	s_cbranch_execz .LBB1075_67
; %bb.66:
	ds_read_b32 v1, v14
	v_pk_mov_b32 v[12:13], 0, 0
.LBB1075_67:
	s_or_b64 exec, exec, s[4:5]
	s_waitcnt lgkmcnt(0)
	v_or_b32_e32 v12, v12, v1
	v_mov_b32_e32 v1, s44
	v_cmp_eq_u16_sdwa vcc, v2, v2 src0_sel:DWORD src1_sel:WORD_1
	v_cmp_ne_u16_sdwa s[4:5], v2, v2 src0_sel:DWORD src1_sel:WORD_1
	v_cndmask_b32_e32 v14, v1, v16, vcc
	v_cndmask_b32_e64 v15, 0, 1, s[4:5]
	v_cmp_eq_u16_sdwa vcc, v2, v3 src0_sel:WORD_1 src1_sel:DWORD
	v_cmp_ne_u16_sdwa s[4:5], v2, v3 src0_sel:WORD_1 src1_sel:DWORD
	v_cndmask_b32_e32 v16, v1, v17, vcc
	v_cndmask_b32_e64 v17, 0, 1, s[4:5]
	v_cmp_eq_u16_sdwa vcc, v3, v3 src0_sel:DWORD src1_sel:WORD_1
	v_cmp_ne_u16_sdwa s[4:5], v3, v3 src0_sel:DWORD src1_sel:WORD_1
	v_cndmask_b32_e32 v18, v1, v20, vcc
	v_cndmask_b32_e64 v19, 0, 1, s[4:5]
	v_cmp_eq_u16_sdwa vcc, v3, v4 src0_sel:WORD_1 src1_sel:DWORD
	v_cmp_ne_u16_sdwa s[4:5], v3, v4 src0_sel:WORD_1 src1_sel:DWORD
	v_cndmask_b32_e32 v20, v1, v21, vcc
	v_cndmask_b32_e64 v21, 0, 1, s[4:5]
	;; [unrolled: 8-line block ×3, first 2 shown]
	v_cmp_eq_u16_sdwa vcc, v5, v5 src0_sel:DWORD src1_sel:WORD_1
	v_cmp_ne_u16_sdwa s[4:5], v5, v5 src0_sel:DWORD src1_sel:WORD_1
	v_cmp_ne_u16_sdwa s[8:9], v5, v29 src0_sel:WORD_1 src1_sel:DWORD
	v_cndmask_b32_e32 v26, v1, v6, vcc
	v_cndmask_b32_e64 v27, 0, 1, s[4:5]
	v_cndmask_b32_e64 v8, v7, v1, s[8:9]
	s_mov_b64 s[10:11], -1
                                        ; implicit-def: $sgpr6_sgpr7
.LBB1075_68:
	v_pk_mov_b32 v[28:29], s[6:7], s[6:7] op_sel:[0,1]
	s_and_saveexec_b64 s[4:5], s[10:11]
; %bb.69:
	v_cndmask_b32_e64 v9, 0, 1, s[8:9]
	v_pk_mov_b32 v[28:29], v[8:9], v[8:9] op_sel:[0,1]
; %bb.70:
	s_or_b64 exec, exec, s[4:5]
	s_mov_b32 s4, 0
	s_cmp_lg_u32 s39, 0
	v_or_b32_e32 v35, v29, v27
	v_lshrrev_b32_e32 v1, 5, v0
	v_cmp_gt_u32_e32 vcc, 64, v0
	s_barrier
	s_cbranch_scc0 .LBB1075_105
; %bb.71:
	s_mov_b32 s5, 1
	v_cmp_gt_u64_e64 s[6:7], s[4:5], v[14:15]
	v_cndmask_b32_e64 v2, 0, v12, s[6:7]
	v_add_u32_e32 v2, v2, v14
	v_cmp_gt_u64_e64 s[8:9], s[4:5], v[16:17]
	v_cndmask_b32_e64 v2, 0, v2, s[8:9]
	v_add_u32_e32 v2, v2, v16
	;; [unrolled: 3-line block ×8, first 2 shown]
	v_or3_b32 v2, v35, v25, v23
	v_or3_b32 v2, v2, v21, v19
	;; [unrolled: 1-line block ×3, first 2 shown]
	v_and_b32_e32 v2, 1, v2
	v_cmp_eq_u32_e64 s[4:5], 1, v2
	v_cndmask_b32_e64 v37, v13, 1, s[4:5]
	v_add_lshl_u32 v2, v1, v0, 3
	ds_write_b32 v2, v36
	ds_write_b8 v2, v37 offset:4
	s_waitcnt lgkmcnt(0)
	s_barrier
	s_and_saveexec_b64 s[20:21], vcc
	s_cbranch_execz .LBB1075_83
; %bb.72:
	v_lshlrev_b32_e32 v2, 2, v0
	v_lshrrev_b32_e32 v3, 3, v0
	v_add_lshl_u32 v4, v3, v2, 3
	ds_read2_b32 v[6:7], v4 offset0:2 offset1:4
	ds_read_b64 v[2:3], v4
	ds_read_u8 v8, v4 offset:12
	ds_read_u8 v9, v4 offset:20
	ds_read_b32 v30, v4 offset:24
	ds_read_u8 v31, v4 offset:28
	v_mov_b32_e32 v32, 0
	s_waitcnt lgkmcnt(3)
	v_cmp_eq_u16_sdwa s[4:5], v8, v32 src0_sel:BYTE_0 src1_sel:DWORD
	v_cndmask_b32_e64 v33, 0, v2, s[4:5]
	v_add_u32_e32 v6, v33, v6
	s_waitcnt lgkmcnt(2)
	v_cmp_eq_u16_sdwa s[4:5], v9, v32 src0_sel:BYTE_0 src1_sel:DWORD
	v_cndmask_b32_e64 v6, 0, v6, s[4:5]
	v_add_u32_e32 v6, v6, v7
	s_waitcnt lgkmcnt(0)
	v_cmp_eq_u16_e64 s[4:5], 0, v31
	v_cndmask_b32_e64 v6, 0, v6, s[4:5]
	v_add_u32_e32 v7, v6, v30
	v_or_b32_e32 v6, v31, v9
	v_or_b32_e32 v6, v6, v8
	v_and_b32_e32 v6, 1, v6
	v_and_b32_e32 v5, 1, v3
	v_cmp_eq_u32_e64 s[4:5], 1, v6
	v_mbcnt_lo_u32_b32 v8, -1, 0
	v_cndmask_b32_e64 v9, v5, 1, s[4:5]
	v_and_b32_e32 v6, 0xffffff00, v3
	v_mbcnt_hi_u32_b32 v8, -1, v8
	v_and_b32_e32 v31, 15, v8
	v_or_b32_sdwa v30, v6, v9 dst_sel:DWORD dst_unused:UNUSED_PAD src0_sel:DWORD src1_sel:WORD_0
	v_mov_b32_dpp v32, v7 row_shr:1 row_mask:0xf bank_mask:0xf
	v_cmp_ne_u32_e64 s[4:5], 0, v31
	v_mov_b32_dpp v33, v30 row_shr:1 row_mask:0xf bank_mask:0xf
	s_and_saveexec_b64 s[24:25], s[4:5]
; %bb.73:
	v_and_b32_e32 v30, 1, v9
	v_and_b32_e32 v33, 1, v33
	v_cmp_eq_u32_e64 s[4:5], 1, v30
	v_cndmask_b32_e64 v33, v33, 1, s[4:5]
	v_cmp_eq_u16_e64 s[4:5], 0, v9
	v_cndmask_b32_e64 v9, 0, v32, s[4:5]
	v_add_u32_e32 v7, v9, v7
	v_or_b32_sdwa v30, v6, v33 dst_sel:DWORD dst_unused:UNUSED_PAD src0_sel:DWORD src1_sel:WORD_0
	v_mov_b32_e32 v9, v33
; %bb.74:
	s_or_b64 exec, exec, s[24:25]
	v_mov_b32_dpp v32, v7 row_shr:2 row_mask:0xf bank_mask:0xf
	v_mov_b32_dpp v33, v30 row_shr:2 row_mask:0xf bank_mask:0xf
	v_cmp_lt_u32_e64 s[4:5], 1, v31
	s_and_saveexec_b64 s[24:25], s[4:5]
; %bb.75:
	v_and_b32_e32 v30, 1, v9
	v_and_b32_e32 v33, 1, v33
	v_cmp_eq_u32_e64 s[4:5], 1, v30
	v_cndmask_b32_e64 v33, v33, 1, s[4:5]
	v_cmp_eq_u16_e64 s[4:5], 0, v9
	v_cndmask_b32_e64 v9, 0, v32, s[4:5]
	v_add_u32_e32 v7, v9, v7
	v_or_b32_sdwa v30, v6, v33 dst_sel:DWORD dst_unused:UNUSED_PAD src0_sel:DWORD src1_sel:WORD_0
	v_mov_b32_e32 v9, v33
; %bb.76:
	s_or_b64 exec, exec, s[24:25]
	v_mov_b32_dpp v32, v7 row_shr:4 row_mask:0xf bank_mask:0xf
	v_mov_b32_dpp v33, v30 row_shr:4 row_mask:0xf bank_mask:0xf
	v_cmp_lt_u32_e64 s[4:5], 3, v31
	;; [unrolled: 16-line block ×3, first 2 shown]
	s_and_saveexec_b64 s[24:25], s[4:5]
; %bb.79:
	v_and_b32_e32 v30, 1, v9
	v_and_b32_e32 v31, 1, v33
	v_cmp_eq_u32_e64 s[4:5], 1, v30
	v_cndmask_b32_e64 v31, v31, 1, s[4:5]
	v_cmp_eq_u16_e64 s[4:5], 0, v9
	v_cndmask_b32_e64 v9, 0, v32, s[4:5]
	v_add_u32_e32 v7, v9, v7
	v_or_b32_sdwa v30, v6, v31 dst_sel:DWORD dst_unused:UNUSED_PAD src0_sel:DWORD src1_sel:WORD_0
	v_mov_b32_e32 v9, v31
; %bb.80:
	s_or_b64 exec, exec, s[24:25]
	v_and_b32_e32 v33, 16, v8
	v_mov_b32_dpp v31, v7 row_bcast:15 row_mask:0xf bank_mask:0xf
	v_mov_b32_dpp v32, v30 row_bcast:15 row_mask:0xf bank_mask:0xf
	v_cmp_ne_u32_e64 s[4:5], 0, v33
	s_and_saveexec_b64 s[24:25], s[4:5]
; %bb.81:
	v_and_b32_e32 v30, 1, v9
	v_and_b32_e32 v32, 1, v32
	v_cmp_eq_u32_e64 s[4:5], 1, v30
	v_cndmask_b32_e64 v32, v32, 1, s[4:5]
	v_cmp_eq_u16_e64 s[4:5], 0, v9
	v_cndmask_b32_e64 v9, 0, v31, s[4:5]
	v_add_u32_e32 v7, v9, v7
	v_or_b32_sdwa v30, v6, v32 dst_sel:DWORD dst_unused:UNUSED_PAD src0_sel:DWORD src1_sel:WORD_0
	v_mov_b32_e32 v9, v32
; %bb.82:
	s_or_b64 exec, exec, s[24:25]
	v_mov_b32_dpp v30, v30 row_bcast:31 row_mask:0xf bank_mask:0xf
	v_and_b32_e32 v32, 1, v9
	v_and_b32_e32 v30, 1, v30
	v_cmp_eq_u32_e64 s[4:5], 1, v32
	v_mov_b32_e32 v32, 0
	v_cndmask_b32_e64 v30, v30, 1, s[4:5]
	v_cmp_eq_u16_sdwa s[24:25], v9, v32 src0_sel:BYTE_0 src1_sel:DWORD
	v_cmp_lt_u32_e64 s[4:5], 31, v8
	v_mov_b32_dpp v31, v7 row_bcast:31 row_mask:0xf bank_mask:0xf
	v_cndmask_b32_e64 v9, v9, v30, s[4:5]
	s_and_b64 s[4:5], s[4:5], s[24:25]
	v_cndmask_b32_e64 v30, 0, v31, s[4:5]
	v_add_u32_e32 v7, v30, v7
	v_add_u32_e32 v30, -1, v8
	v_and_b32_e32 v31, 64, v8
	v_cmp_lt_i32_e64 s[4:5], v30, v31
	v_cndmask_b32_e64 v8, v30, v8, s[4:5]
	s_movk_i32 s28, 0xff
	v_lshlrev_b32_e32 v8, 2, v8
	ds_bpermute_b32 v7, v8, v7
	v_and_or_b32 v6, v9, s28, v6
	ds_bpermute_b32 v6, v8, v6
	v_cmp_eq_u16_sdwa s[4:5], v3, v32 src0_sel:BYTE_0 src1_sel:DWORD
	s_waitcnt lgkmcnt(1)
	v_cndmask_b32_e64 v3, 0, v7, s[4:5]
	v_add_u32_e32 v2, v3, v2
	s_waitcnt lgkmcnt(0)
	v_and_b32_e32 v3, 1, v6
	v_cmp_eq_u32_e64 s[4:5], 1, v5
	v_cndmask_b32_e64 v3, v3, 1, s[4:5]
	v_cndmask_b32_e64 v5, v2, v36, s[0:1]
	;; [unrolled: 1-line block ×3, first 2 shown]
	; wave barrier
	ds_write_b32 v4, v5
	ds_write_b8 v4, v6 offset:4
	; wave barrier
	ds_read_u8 v7, v4 offset:12
	ds_read2_b32 v[2:3], v4 offset0:2 offset1:4
	ds_read_u8 v8, v4 offset:20
	ds_read_b32 v9, v4 offset:24
	ds_read_u8 v30, v4 offset:28
	s_waitcnt lgkmcnt(4)
	v_cmp_eq_u16_e64 s[4:5], 0, v7
	v_cndmask_b32_e64 v5, 0, v5, s[4:5]
	s_waitcnt lgkmcnt(3)
	v_add_u32_e32 v2, v5, v2
	v_and_b32_e32 v5, 1, v7
	v_cmp_eq_u32_e64 s[4:5], 1, v5
	v_cndmask_b32_e64 v5, v6, 1, s[4:5]
	s_waitcnt lgkmcnt(2)
	v_cmp_eq_u16_e64 s[4:5], 0, v8
	v_cndmask_b32_e64 v6, 0, v2, s[4:5]
	v_add_u32_e32 v3, v6, v3
	v_and_b32_e32 v6, 1, v8
	v_cmp_eq_u32_e64 s[4:5], 1, v6
	ds_write_b8 v4, v5 offset:12
	v_cndmask_b32_e64 v5, v5, 1, s[4:5]
	s_waitcnt lgkmcnt(1)
	v_cmp_eq_u16_e64 s[4:5], 0, v30
	ds_write2_b32 v4, v2, v3 offset0:2 offset1:4
	ds_write_b8 v4, v5 offset:20
	v_cndmask_b32_e64 v2, 0, v3, s[4:5]
	v_and_b32_e32 v3, 1, v30
	v_add_u32_e32 v2, v2, v9
	v_cmp_eq_u32_e64 s[4:5], 1, v3
	v_cndmask_b32_e64 v3, v5, 1, s[4:5]
	ds_write_b32 v4, v2 offset:24
	ds_write_b8 v4, v3 offset:28
.LBB1075_83:
	s_or_b64 exec, exec, s[20:21]
	s_waitcnt lgkmcnt(0)
	s_barrier
	s_and_saveexec_b64 s[4:5], s[22:23]
	s_cbranch_execz .LBB1075_85
; %bb.84:
	v_add_u32_e32 v2, -1, v0
	v_lshrrev_b32_e32 v3, 5, v2
	v_add_lshl_u32 v2, v3, v2, 3
	ds_read_b32 v36, v2
	ds_read_u8 v37, v2 offset:4
.LBB1075_85:
	s_or_b64 exec, exec, s[4:5]
	s_and_saveexec_b64 s[24:25], vcc
	s_cbranch_execz .LBB1075_104
; %bb.86:
	v_mov_b32_e32 v5, 0
	ds_read_b64 v[2:3], v5 offset:2096
	v_mbcnt_lo_u32_b32 v4, -1, 0
	v_mbcnt_hi_u32_b32 v47, -1, v4
	s_mov_b32 s29, 0
	v_cmp_eq_u32_e64 s[20:21], 0, v47
	s_waitcnt lgkmcnt(0)
	v_readfirstlane_b32 s45, v3
	s_and_saveexec_b64 s[4:5], s[20:21]
	s_cbranch_execz .LBB1075_88
; %bb.87:
	s_add_i32 s28, s39, 64
	s_lshl_b64 s[40:41], s[28:29], 4
	s_add_u32 s40, s36, s40
	s_addc_u32 s41, s37, s41
	s_and_b32 s47, s45, 0xff000000
	s_mov_b32 s46, s29
	s_and_b32 s49, s45, 0xff0000
	s_mov_b32 s48, s29
	s_or_b64 s[46:47], s[48:49], s[46:47]
	s_and_b32 s49, s45, 0xff00
	s_or_b64 s[46:47], s[46:47], s[48:49]
	s_and_b32 s49, s45, 0xff
	s_or_b64 s[28:29], s[46:47], s[48:49]
	v_mov_b32_e32 v3, s29
	v_mov_b32_e32 v4, 1
	v_pk_mov_b32 v[6:7], s[40:41], s[40:41] op_sel:[0,1]
	;;#ASMSTART
	global_store_dwordx4 v[6:7], v[2:5] off	
s_waitcnt vmcnt(0)
	;;#ASMEND
.LBB1075_88:
	s_or_b64 exec, exec, s[4:5]
	v_xad_u32 v30, v47, -1, s39
	v_add_u32_e32 v4, 64, v30
	v_lshlrev_b64 v[6:7], 4, v[4:5]
	v_mov_b32_e32 v3, s37
	v_add_co_u32_e32 v32, vcc, s36, v6
	v_addc_co_u32_e32 v33, vcc, v3, v7, vcc
	;;#ASMSTART
	global_load_dwordx4 v[6:9], v[32:33] off glc	
s_waitcnt vmcnt(0)
	;;#ASMEND
	v_and_b32_e32 v3, 0xff0000, v6
	v_or_b32_sdwa v3, v6, v3 dst_sel:DWORD dst_unused:UNUSED_PAD src0_sel:WORD_0 src1_sel:DWORD
	v_and_b32_e32 v4, 0xff000000, v6
	v_and_b32_e32 v6, 0xff, v7
	v_or3_b32 v7, 0, 0, v6
	v_or3_b32 v6, v3, v4, 0
	v_cmp_eq_u16_sdwa s[28:29], v8, v5 src0_sel:BYTE_0 src1_sel:DWORD
	s_and_saveexec_b64 s[4:5], s[28:29]
	s_cbranch_execz .LBB1075_92
; %bb.89:
	s_mov_b64 s[28:29], 0
	v_mov_b32_e32 v3, 0
.LBB1075_90:                            ; =>This Inner Loop Header: Depth=1
	;;#ASMSTART
	global_load_dwordx4 v[6:9], v[32:33] off glc	
s_waitcnt vmcnt(0)
	;;#ASMEND
	v_cmp_ne_u16_sdwa s[40:41], v8, v3 src0_sel:BYTE_0 src1_sel:DWORD
	s_or_b64 s[28:29], s[40:41], s[28:29]
	s_andn2_b64 exec, exec, s[28:29]
	s_cbranch_execnz .LBB1075_90
; %bb.91:
	s_or_b64 exec, exec, s[28:29]
	v_and_b32_e32 v7, 0xff, v7
.LBB1075_92:
	s_or_b64 exec, exec, s[4:5]
	v_mov_b32_e32 v3, 2
	v_cmp_eq_u16_sdwa s[4:5], v8, v3 src0_sel:BYTE_0 src1_sel:DWORD
	v_lshlrev_b64 v[4:5], v47, -1
	v_and_b32_e32 v9, s5, v5
	v_or_b32_e32 v9, 0x80000000, v9
	v_and_b32_e32 v31, s4, v4
	v_ffbl_b32_e32 v9, v9
	v_and_b32_e32 v38, 63, v47
	v_add_u32_e32 v9, 32, v9
	v_ffbl_b32_e32 v31, v31
	v_cmp_ne_u32_e32 vcc, 63, v38
	v_min_u32_e32 v9, v31, v9
	v_addc_co_u32_e32 v31, vcc, 0, v47, vcc
	v_lshlrev_b32_e32 v39, 2, v31
	ds_bpermute_b32 v31, v39, v7
	ds_bpermute_b32 v32, v39, v6
	s_mov_b32 s28, 0
	v_and_b32_e32 v33, 1, v7
	s_mov_b32 s29, 1
	s_waitcnt lgkmcnt(1)
	v_and_b32_e32 v31, 1, v31
	v_cmp_eq_u32_e32 vcc, 1, v33
	v_cndmask_b32_e64 v31, v31, 1, vcc
	v_cmp_gt_u64_e32 vcc, s[28:29], v[6:7]
	v_cmp_lt_u32_e64 s[4:5], v38, v9
	s_and_b64 vcc, s[4:5], vcc
	v_and_b32_e32 v33, 0xffff, v31
	v_cndmask_b32_e64 v42, v7, v31, s[4:5]
	s_waitcnt lgkmcnt(0)
	v_cndmask_b32_e32 v31, 0, v32, vcc
	v_cmp_gt_u32_e32 vcc, 62, v38
	v_cndmask_b32_e64 v32, 0, 1, vcc
	v_lshlrev_b32_e32 v32, 1, v32
	v_cndmask_b32_e64 v7, v7, v33, s[4:5]
	v_add_lshl_u32 v40, v32, v47, 2
	ds_bpermute_b32 v32, v40, v7
	v_add_u32_e32 v6, v31, v6
	ds_bpermute_b32 v33, v40, v6
	v_and_b32_e32 v31, 1, v42
	v_cmp_eq_u32_e32 vcc, 1, v31
	s_waitcnt lgkmcnt(1)
	v_and_b32_e32 v32, 1, v32
	v_mov_b32_e32 v31, 0
	v_add_u32_e32 v41, 2, v38
	v_cndmask_b32_e64 v32, v32, 1, vcc
	v_cmp_eq_u16_sdwa vcc, v42, v31 src0_sel:BYTE_0 src1_sel:DWORD
	v_and_b32_e32 v43, 0xffff, v32
	s_waitcnt lgkmcnt(0)
	v_cndmask_b32_e32 v33, 0, v33, vcc
	v_cmp_gt_u32_e32 vcc, v41, v9
	v_cndmask_b32_e32 v32, v32, v42, vcc
	v_cndmask_b32_e64 v33, v33, 0, vcc
	v_cndmask_b32_e32 v7, v43, v7, vcc
	v_cmp_gt_u32_e32 vcc, 60, v38
	v_cndmask_b32_e64 v42, 0, 1, vcc
	v_lshlrev_b32_e32 v42, 2, v42
	v_add_lshl_u32 v42, v42, v47, 2
	ds_bpermute_b32 v44, v42, v7
	v_add_u32_e32 v6, v33, v6
	ds_bpermute_b32 v33, v42, v6
	v_and_b32_e32 v45, 1, v32
	v_cmp_eq_u32_e32 vcc, 1, v45
	s_waitcnt lgkmcnt(1)
	v_and_b32_e32 v44, 1, v44
	v_add_u32_e32 v43, 4, v38
	v_cndmask_b32_e64 v44, v44, 1, vcc
	v_cmp_eq_u16_sdwa vcc, v32, v31 src0_sel:BYTE_0 src1_sel:DWORD
	v_and_b32_e32 v45, 0xffff, v44
	s_waitcnt lgkmcnt(0)
	v_cndmask_b32_e32 v33, 0, v33, vcc
	v_cmp_gt_u32_e32 vcc, v43, v9
	v_cndmask_b32_e32 v32, v44, v32, vcc
	v_cndmask_b32_e64 v33, v33, 0, vcc
	v_cndmask_b32_e32 v7, v45, v7, vcc
	v_cmp_gt_u32_e32 vcc, 56, v38
	v_cndmask_b32_e64 v44, 0, 1, vcc
	v_lshlrev_b32_e32 v44, 3, v44
	v_add_lshl_u32 v44, v44, v47, 2
	ds_bpermute_b32 v46, v44, v7
	v_add_u32_e32 v6, v33, v6
	ds_bpermute_b32 v33, v44, v6
	v_and_b32_e32 v48, 1, v32
	v_cmp_eq_u32_e32 vcc, 1, v48
	s_waitcnt lgkmcnt(1)
	v_and_b32_e32 v46, 1, v46
	;; [unrolled: 21-line block ×4, first 2 shown]
	v_add_u32_e32 v51, 32, v38
	v_cndmask_b32_e64 v7, v7, 1, vcc
	v_cmp_eq_u16_sdwa vcc, v32, v31 src0_sel:BYTE_0 src1_sel:DWORD
	s_waitcnt lgkmcnt(0)
	v_cndmask_b32_e32 v33, 0, v33, vcc
	v_cmp_gt_u32_e32 vcc, v51, v9
	v_cndmask_b32_e64 v9, v33, 0, vcc
	v_cndmask_b32_e32 v7, v7, v32, vcc
	v_add_u32_e32 v6, v9, v6
	s_branch .LBB1075_94
.LBB1075_93:                            ;   in Loop: Header=BB1075_94 Depth=1
	s_or_b64 exec, exec, s[4:5]
	v_cmp_eq_u16_sdwa s[4:5], v8, v3 src0_sel:BYTE_0 src1_sel:DWORD
	v_and_b32_e32 v9, s5, v5
	ds_bpermute_b32 v33, v39, v7
	v_or_b32_e32 v9, 0x80000000, v9
	v_and_b32_e32 v32, s4, v4
	v_ffbl_b32_e32 v9, v9
	v_add_u32_e32 v9, 32, v9
	v_ffbl_b32_e32 v32, v32
	v_min_u32_e32 v9, v32, v9
	ds_bpermute_b32 v32, v39, v6
	v_and_b32_e32 v52, 1, v7
	s_waitcnt lgkmcnt(1)
	v_and_b32_e32 v33, 1, v33
	v_cmp_eq_u32_e32 vcc, 1, v52
	v_cndmask_b32_e64 v33, v33, 1, vcc
	v_cmp_gt_u64_e32 vcc, s[28:29], v[6:7]
	v_and_b32_e32 v52, 0xffff, v33
	v_cmp_lt_u32_e64 s[4:5], v38, v9
	v_cndmask_b32_e64 v33, v7, v33, s[4:5]
	v_cndmask_b32_e64 v7, v7, v52, s[4:5]
	s_and_b64 vcc, s[4:5], vcc
	ds_bpermute_b32 v52, v40, v7
	s_waitcnt lgkmcnt(1)
	v_cndmask_b32_e32 v32, 0, v32, vcc
	v_add_u32_e32 v6, v32, v6
	ds_bpermute_b32 v32, v40, v6
	v_and_b32_e32 v53, 1, v33
	s_waitcnt lgkmcnt(1)
	v_and_b32_e32 v52, 1, v52
	v_cmp_eq_u32_e32 vcc, 1, v53
	v_cndmask_b32_e64 v52, v52, 1, vcc
	v_cmp_eq_u16_sdwa vcc, v33, v31 src0_sel:BYTE_0 src1_sel:DWORD
	v_and_b32_e32 v53, 0xffff, v52
	s_waitcnt lgkmcnt(0)
	v_cndmask_b32_e32 v32, 0, v32, vcc
	v_cmp_gt_u32_e32 vcc, v41, v9
	v_cndmask_b32_e32 v7, v53, v7, vcc
	v_cndmask_b32_e32 v33, v52, v33, vcc
	ds_bpermute_b32 v52, v42, v7
	v_cndmask_b32_e64 v32, v32, 0, vcc
	v_add_u32_e32 v6, v32, v6
	ds_bpermute_b32 v32, v42, v6
	v_and_b32_e32 v53, 1, v33
	s_waitcnt lgkmcnt(1)
	v_and_b32_e32 v52, 1, v52
	v_cmp_eq_u32_e32 vcc, 1, v53
	v_cndmask_b32_e64 v52, v52, 1, vcc
	v_cmp_eq_u16_sdwa vcc, v33, v31 src0_sel:BYTE_0 src1_sel:DWORD
	v_and_b32_e32 v53, 0xffff, v52
	s_waitcnt lgkmcnt(0)
	v_cndmask_b32_e32 v32, 0, v32, vcc
	v_cmp_gt_u32_e32 vcc, v43, v9
	v_cndmask_b32_e32 v7, v53, v7, vcc
	v_cndmask_b32_e32 v33, v52, v33, vcc
	ds_bpermute_b32 v52, v44, v7
	v_cndmask_b32_e64 v32, v32, 0, vcc
	;; [unrolled: 16-line block ×3, first 2 shown]
	v_add_u32_e32 v6, v32, v6
	ds_bpermute_b32 v32, v46, v6
	v_and_b32_e32 v53, 1, v33
	s_waitcnt lgkmcnt(1)
	v_and_b32_e32 v52, 1, v52
	v_cmp_eq_u32_e32 vcc, 1, v53
	v_cndmask_b32_e64 v52, v52, 1, vcc
	v_cmp_eq_u16_sdwa vcc, v33, v31 src0_sel:BYTE_0 src1_sel:DWORD
	v_and_b32_e32 v53, 0xffff, v52
	s_waitcnt lgkmcnt(0)
	v_cndmask_b32_e32 v32, 0, v32, vcc
	v_cmp_gt_u32_e32 vcc, v48, v9
	v_cndmask_b32_e64 v32, v32, 0, vcc
	v_cndmask_b32_e32 v7, v53, v7, vcc
	ds_bpermute_b32 v7, v50, v7
	v_add_u32_e32 v6, v32, v6
	ds_bpermute_b32 v32, v50, v6
	v_cndmask_b32_e32 v33, v52, v33, vcc
	v_and_b32_e32 v52, 1, v33
	v_cmp_eq_u32_e32 vcc, 1, v52
	s_waitcnt lgkmcnt(1)
	v_cndmask_b32_e64 v7, v7, 1, vcc
	v_cmp_eq_u16_sdwa vcc, v33, v31 src0_sel:BYTE_0 src1_sel:DWORD
	s_waitcnt lgkmcnt(0)
	v_cndmask_b32_e32 v32, 0, v32, vcc
	v_cmp_gt_u32_e32 vcc, v51, v9
	v_cndmask_b32_e64 v9, v32, 0, vcc
	v_cndmask_b32_e32 v7, v7, v33, vcc
	v_add_u32_e32 v6, v9, v6
	v_cmp_eq_u16_sdwa vcc, v47, v31 src0_sel:BYTE_0 src1_sel:DWORD
	v_and_b32_e32 v9, 1, v47
	v_cndmask_b32_e32 v6, 0, v6, vcc
	v_and_b32_e32 v7, 1, v7
	v_cmp_eq_u32_e32 vcc, 1, v9
	v_subrev_u32_e32 v30, 64, v30
	v_add_u32_e32 v6, v6, v49
	v_cndmask_b32_e64 v7, v7, 1, vcc
.LBB1075_94:                            ; =>This Loop Header: Depth=1
                                        ;     Child Loop BB1075_97 Depth 2
	v_cmp_ne_u16_sdwa s[4:5], v8, v3 src0_sel:BYTE_0 src1_sel:DWORD
	v_mov_b32_e32 v47, v7
	v_cndmask_b32_e64 v7, 0, 1, s[4:5]
	;;#ASMSTART
	;;#ASMEND
	v_cmp_ne_u32_e32 vcc, 0, v7
	s_cmp_lg_u64 vcc, exec
	v_mov_b32_e32 v49, v6
	s_cbranch_scc1 .LBB1075_99
; %bb.95:                               ;   in Loop: Header=BB1075_94 Depth=1
	v_lshlrev_b64 v[6:7], 4, v[30:31]
	v_mov_b32_e32 v8, s37
	v_add_co_u32_e32 v32, vcc, s36, v6
	v_addc_co_u32_e32 v33, vcc, v8, v7, vcc
	;;#ASMSTART
	global_load_dwordx4 v[6:9], v[32:33] off glc	
s_waitcnt vmcnt(0)
	;;#ASMEND
	v_and_b32_e32 v9, 0xff0000, v6
	v_or_b32_sdwa v9, v6, v9 dst_sel:DWORD dst_unused:UNUSED_PAD src0_sel:WORD_0 src1_sel:DWORD
	v_and_b32_e32 v6, 0xff000000, v6
	v_and_b32_e32 v7, 0xff, v7
	v_or3_b32 v7, 0, 0, v7
	v_or3_b32 v6, v9, v6, 0
	v_cmp_eq_u16_sdwa s[40:41], v8, v31 src0_sel:BYTE_0 src1_sel:DWORD
	s_and_saveexec_b64 s[4:5], s[40:41]
	s_cbranch_execz .LBB1075_93
; %bb.96:                               ;   in Loop: Header=BB1075_94 Depth=1
	s_mov_b64 s[40:41], 0
.LBB1075_97:                            ;   Parent Loop BB1075_94 Depth=1
                                        ; =>  This Inner Loop Header: Depth=2
	;;#ASMSTART
	global_load_dwordx4 v[6:9], v[32:33] off glc	
s_waitcnt vmcnt(0)
	;;#ASMEND
	v_cmp_ne_u16_sdwa s[46:47], v8, v31 src0_sel:BYTE_0 src1_sel:DWORD
	s_or_b64 s[40:41], s[46:47], s[40:41]
	s_andn2_b64 exec, exec, s[40:41]
	s_cbranch_execnz .LBB1075_97
; %bb.98:                               ;   in Loop: Header=BB1075_94 Depth=1
	s_or_b64 exec, exec, s[40:41]
	v_and_b32_e32 v7, 0xff, v7
	s_branch .LBB1075_93
.LBB1075_99:                            ;   in Loop: Header=BB1075_94 Depth=1
                                        ; implicit-def: $vgpr7
                                        ; implicit-def: $vgpr6
                                        ; implicit-def: $vgpr8
	s_cbranch_execz .LBB1075_94
; %bb.100:
	s_and_saveexec_b64 s[4:5], s[20:21]
	s_cbranch_execz .LBB1075_102
; %bb.101:
	s_and_b32 s20, s45, 0xff
	s_cmp_eq_u32 s20, 0
	s_cselect_b64 vcc, -1, 0
	s_bitcmp1_b32 s45, 0
	s_mov_b32 s21, 0
	s_cselect_b64 s[28:29], -1, 0
	s_add_i32 s20, s39, 64
	s_lshl_b64 s[20:21], s[20:21], 4
	v_cndmask_b32_e32 v3, 0, v49, vcc
	s_add_u32 s20, s36, s20
	v_add_u32_e32 v2, v3, v2
	v_and_b32_e32 v3, 1, v47
	s_addc_u32 s21, s37, s21
	v_mov_b32_e32 v5, 0
	v_cndmask_b32_e64 v3, v3, 1, s[28:29]
	v_mov_b32_e32 v4, 2
	v_pk_mov_b32 v[6:7], s[20:21], s[20:21] op_sel:[0,1]
	;;#ASMSTART
	global_store_dwordx4 v[6:7], v[2:5] off	
s_waitcnt vmcnt(0)
	;;#ASMEND
.LBB1075_102:
	s_or_b64 exec, exec, s[4:5]
	s_and_b64 exec, exec, s[0:1]
	s_cbranch_execz .LBB1075_104
; %bb.103:
	v_mov_b32_e32 v2, 0
	ds_write_b32 v2, v49
	ds_write_b8 v2, v47 offset:4
.LBB1075_104:
	s_or_b64 exec, exec, s[24:25]
	v_mov_b32_e32 v2, 0
	s_waitcnt lgkmcnt(0)
	s_barrier
	ds_read_b32 v3, v2
	v_cmp_eq_u16_sdwa vcc, v37, v2 src0_sel:BYTE_0 src1_sel:DWORD
	s_waitcnt lgkmcnt(0)
	v_cndmask_b32_e32 v4, 0, v3, vcc
	v_add_u32_e32 v4, v4, v36
	v_cndmask_b32_e64 v30, v4, v3, s[0:1]
	v_and_b32_e32 v3, 0xff, v13
	v_cmp_eq_u64_e32 vcc, 0, v[2:3]
	v_cndmask_b32_e32 v2, 0, v30, vcc
	v_add_u32_e32 v31, v2, v12
	v_cndmask_b32_e64 v2, 0, v31, s[6:7]
	v_add_u32_e32 v32, v2, v14
	v_cndmask_b32_e64 v2, 0, v32, s[8:9]
	;; [unrolled: 2-line block ×7, first 2 shown]
	v_add_u32_e32 v40, v2, v26
	s_branch .LBB1075_125
.LBB1075_105:
                                        ; implicit-def: $vgpr39
                                        ; implicit-def: $vgpr38
                                        ; implicit-def: $vgpr37
                                        ; implicit-def: $vgpr36
                                        ; implicit-def: $vgpr33
                                        ; implicit-def: $vgpr32
                                        ; implicit-def: $vgpr31
                                        ; implicit-def: $vgpr30
                                        ; implicit-def: $vgpr40
	s_cbranch_execz .LBB1075_125
; %bb.106:
	s_cmp_lg_u64 s[34:35], 0
	s_cselect_b32 s7, s43, 0
	s_cselect_b32 s6, s42, 0
	s_mov_b32 s4, 0
	s_cmp_eq_u64 s[6:7], 0
	v_mov_b32_e32 v4, s44
	s_cbranch_scc1 .LBB1075_108
; %bb.107:
	v_mov_b32_e32 v2, 0
	global_load_dword v4, v2, s[6:7]
.LBB1075_108:
	s_mov_b32 s5, 1
	v_cmp_gt_u64_e32 vcc, s[4:5], v[14:15]
	v_cndmask_b32_e32 v2, 0, v12, vcc
	v_add_u32_e32 v2, v2, v14
	v_cmp_gt_u64_e64 s[6:7], s[4:5], v[16:17]
	v_cndmask_b32_e64 v2, 0, v2, s[6:7]
	v_add_u32_e32 v2, v2, v16
	v_cmp_gt_u64_e64 s[8:9], s[4:5], v[18:19]
	v_cndmask_b32_e64 v2, 0, v2, s[8:9]
	v_add_u32_e32 v2, v2, v18
	v_cmp_gt_u64_e64 s[10:11], s[4:5], v[20:21]
	v_cndmask_b32_e64 v2, 0, v2, s[10:11]
	v_add_u32_e32 v2, v2, v20
	v_cmp_gt_u64_e64 s[12:13], s[4:5], v[22:23]
	v_cndmask_b32_e64 v2, 0, v2, s[12:13]
	v_add_u32_e32 v2, v2, v22
	v_cmp_gt_u64_e64 s[14:15], s[4:5], v[24:25]
	v_cndmask_b32_e64 v2, 0, v2, s[14:15]
	v_add_u32_e32 v2, v2, v24
	v_cmp_gt_u64_e64 s[16:17], s[4:5], v[26:27]
	v_cndmask_b32_e64 v2, 0, v2, s[16:17]
	v_add_u32_e32 v2, v2, v26
	v_cmp_gt_u64_e64 s[4:5], s[4:5], v[28:29]
	v_cndmask_b32_e64 v2, 0, v2, s[4:5]
	v_add_u32_e32 v5, v2, v28
	v_or3_b32 v2, v35, v25, v23
	v_or3_b32 v2, v2, v21, v19
	;; [unrolled: 1-line block ×3, first 2 shown]
	v_and_b32_e32 v2, 1, v2
	v_cmp_eq_u32_e64 s[4:5], 1, v2
	v_cndmask_b32_e64 v6, v13, 1, s[4:5]
	v_add_lshl_u32 v1, v1, v0, 3
	v_cmp_gt_u32_e64 s[4:5], 64, v0
	ds_write_b32 v1, v5
	ds_write_b8 v1, v6 offset:4
	s_waitcnt lgkmcnt(0)
	s_barrier
	s_and_saveexec_b64 s[18:19], s[4:5]
	s_cbranch_execz .LBB1075_120
; %bb.109:
	v_lshlrev_b32_e32 v1, 2, v0
	v_lshrrev_b32_e32 v2, 3, v0
	v_add_lshl_u32 v1, v2, v1, 3
	ds_read2_b32 v[8:9], v1 offset0:2 offset1:4
	ds_read_b64 v[2:3], v1
	ds_read_u8 v15, v1 offset:12
	ds_read_u8 v17, v1 offset:20
	ds_read_b32 v19, v1 offset:24
	ds_read_u8 v21, v1 offset:28
	v_mov_b32_e32 v23, 0
	s_waitcnt lgkmcnt(3)
	v_cmp_eq_u16_sdwa s[4:5], v15, v23 src0_sel:BYTE_0 src1_sel:DWORD
	v_cndmask_b32_e64 v25, 0, v2, s[4:5]
	v_add_u32_e32 v8, v25, v8
	s_waitcnt lgkmcnt(2)
	v_cmp_eq_u16_sdwa s[4:5], v17, v23 src0_sel:BYTE_0 src1_sel:DWORD
	v_cndmask_b32_e64 v8, 0, v8, s[4:5]
	v_add_u32_e32 v8, v8, v9
	s_waitcnt lgkmcnt(0)
	v_cmp_eq_u16_e64 s[4:5], 0, v21
	v_cndmask_b32_e64 v8, 0, v8, s[4:5]
	v_add_u32_e32 v9, v8, v19
	v_or_b32_e32 v8, v21, v17
	v_or_b32_e32 v8, v8, v15
	v_and_b32_e32 v8, 1, v8
	v_and_b32_e32 v7, 1, v3
	v_cmp_eq_u32_e64 s[4:5], 1, v8
	v_mbcnt_lo_u32_b32 v15, -1, 0
	v_cndmask_b32_e64 v17, v7, 1, s[4:5]
	v_and_b32_e32 v8, 0xffffff00, v3
	v_mbcnt_hi_u32_b32 v15, -1, v15
	v_and_b32_e32 v21, 15, v15
	v_or_b32_sdwa v19, v8, v17 dst_sel:DWORD dst_unused:UNUSED_PAD src0_sel:DWORD src1_sel:WORD_0
	v_mov_b32_dpp v23, v9 row_shr:1 row_mask:0xf bank_mask:0xf
	v_cmp_ne_u32_e64 s[4:5], 0, v21
	v_mov_b32_dpp v25, v19 row_shr:1 row_mask:0xf bank_mask:0xf
	s_and_saveexec_b64 s[20:21], s[4:5]
; %bb.110:
	v_and_b32_e32 v19, 1, v17
	v_and_b32_e32 v25, 1, v25
	v_cmp_eq_u32_e64 s[4:5], 1, v19
	v_cndmask_b32_e64 v25, v25, 1, s[4:5]
	v_cmp_eq_u16_e64 s[4:5], 0, v17
	v_cndmask_b32_e64 v17, 0, v23, s[4:5]
	v_add_u32_e32 v9, v17, v9
	v_or_b32_sdwa v19, v8, v25 dst_sel:DWORD dst_unused:UNUSED_PAD src0_sel:DWORD src1_sel:WORD_0
	v_mov_b32_e32 v17, v25
; %bb.111:
	s_or_b64 exec, exec, s[20:21]
	v_mov_b32_dpp v23, v9 row_shr:2 row_mask:0xf bank_mask:0xf
	v_mov_b32_dpp v25, v19 row_shr:2 row_mask:0xf bank_mask:0xf
	v_cmp_lt_u32_e64 s[4:5], 1, v21
	s_and_saveexec_b64 s[20:21], s[4:5]
; %bb.112:
	v_and_b32_e32 v19, 1, v17
	v_and_b32_e32 v25, 1, v25
	v_cmp_eq_u32_e64 s[4:5], 1, v19
	v_cndmask_b32_e64 v25, v25, 1, s[4:5]
	v_cmp_eq_u16_e64 s[4:5], 0, v17
	v_cndmask_b32_e64 v17, 0, v23, s[4:5]
	v_add_u32_e32 v9, v17, v9
	v_or_b32_sdwa v19, v8, v25 dst_sel:DWORD dst_unused:UNUSED_PAD src0_sel:DWORD src1_sel:WORD_0
	v_mov_b32_e32 v17, v25
; %bb.113:
	s_or_b64 exec, exec, s[20:21]
	v_mov_b32_dpp v23, v9 row_shr:4 row_mask:0xf bank_mask:0xf
	v_mov_b32_dpp v25, v19 row_shr:4 row_mask:0xf bank_mask:0xf
	v_cmp_lt_u32_e64 s[4:5], 3, v21
	;; [unrolled: 16-line block ×3, first 2 shown]
	s_and_saveexec_b64 s[20:21], s[4:5]
; %bb.116:
	v_and_b32_e32 v19, 1, v17
	v_and_b32_e32 v21, 1, v25
	v_cmp_eq_u32_e64 s[4:5], 1, v19
	v_cndmask_b32_e64 v21, v21, 1, s[4:5]
	v_cmp_eq_u16_e64 s[4:5], 0, v17
	v_cndmask_b32_e64 v17, 0, v23, s[4:5]
	v_add_u32_e32 v9, v17, v9
	v_or_b32_sdwa v19, v8, v21 dst_sel:DWORD dst_unused:UNUSED_PAD src0_sel:DWORD src1_sel:WORD_0
	v_mov_b32_e32 v17, v21
; %bb.117:
	s_or_b64 exec, exec, s[20:21]
	v_and_b32_e32 v25, 16, v15
	v_mov_b32_dpp v21, v9 row_bcast:15 row_mask:0xf bank_mask:0xf
	v_mov_b32_dpp v23, v19 row_bcast:15 row_mask:0xf bank_mask:0xf
	v_cmp_ne_u32_e64 s[4:5], 0, v25
	s_and_saveexec_b64 s[20:21], s[4:5]
; %bb.118:
	v_and_b32_e32 v19, 1, v17
	v_and_b32_e32 v23, 1, v23
	v_cmp_eq_u32_e64 s[4:5], 1, v19
	v_cndmask_b32_e64 v23, v23, 1, s[4:5]
	v_cmp_eq_u16_e64 s[4:5], 0, v17
	v_cndmask_b32_e64 v17, 0, v21, s[4:5]
	v_add_u32_e32 v9, v17, v9
	v_or_b32_sdwa v19, v8, v23 dst_sel:DWORD dst_unused:UNUSED_PAD src0_sel:DWORD src1_sel:WORD_0
	v_mov_b32_e32 v17, v23
; %bb.119:
	s_or_b64 exec, exec, s[20:21]
	v_mov_b32_dpp v19, v19 row_bcast:31 row_mask:0xf bank_mask:0xf
	v_and_b32_e32 v23, 1, v17
	v_and_b32_e32 v19, 1, v19
	v_cmp_eq_u32_e64 s[4:5], 1, v23
	v_mov_b32_e32 v23, 0
	v_cndmask_b32_e64 v19, v19, 1, s[4:5]
	v_cmp_eq_u16_sdwa s[20:21], v17, v23 src0_sel:BYTE_0 src1_sel:DWORD
	v_cmp_lt_u32_e64 s[4:5], 31, v15
	v_mov_b32_dpp v21, v9 row_bcast:31 row_mask:0xf bank_mask:0xf
	v_cndmask_b32_e64 v17, v17, v19, s[4:5]
	s_and_b64 s[4:5], s[4:5], s[20:21]
	v_cndmask_b32_e64 v19, 0, v21, s[4:5]
	v_add_u32_e32 v9, v19, v9
	v_add_u32_e32 v19, -1, v15
	v_and_b32_e32 v21, 64, v15
	v_cmp_lt_i32_e64 s[4:5], v19, v21
	v_cndmask_b32_e64 v15, v19, v15, s[4:5]
	s_movk_i32 s24, 0xff
	v_lshlrev_b32_e32 v15, 2, v15
	ds_bpermute_b32 v9, v15, v9
	v_and_or_b32 v8, v17, s24, v8
	ds_bpermute_b32 v8, v15, v8
	v_cmp_eq_u16_sdwa s[4:5], v3, v23 src0_sel:BYTE_0 src1_sel:DWORD
	s_waitcnt lgkmcnt(1)
	v_cndmask_b32_e64 v3, 0, v9, s[4:5]
	v_add_u32_e32 v2, v3, v2
	s_waitcnt lgkmcnt(0)
	v_and_b32_e32 v3, 1, v8
	v_cmp_eq_u32_e64 s[4:5], 1, v7
	v_cndmask_b32_e64 v3, v3, 1, s[4:5]
	v_cndmask_b32_e64 v5, v2, v5, s[0:1]
	;; [unrolled: 1-line block ×3, first 2 shown]
	; wave barrier
	ds_write_b32 v1, v5
	ds_write_b8 v1, v6 offset:4
	; wave barrier
	ds_read_u8 v7, v1 offset:12
	ds_read2_b32 v[2:3], v1 offset0:2 offset1:4
	ds_read_u8 v8, v1 offset:20
	ds_read_b32 v9, v1 offset:24
	ds_read_u8 v15, v1 offset:28
	s_waitcnt lgkmcnt(4)
	v_cmp_eq_u16_e64 s[4:5], 0, v7
	v_cndmask_b32_e64 v5, 0, v5, s[4:5]
	s_waitcnt lgkmcnt(3)
	v_add_u32_e32 v2, v5, v2
	v_and_b32_e32 v5, 1, v7
	v_cmp_eq_u32_e64 s[4:5], 1, v5
	v_cndmask_b32_e64 v5, v6, 1, s[4:5]
	s_waitcnt lgkmcnt(2)
	v_cmp_eq_u16_e64 s[4:5], 0, v8
	v_cndmask_b32_e64 v6, 0, v2, s[4:5]
	v_add_u32_e32 v3, v6, v3
	v_and_b32_e32 v6, 1, v8
	v_cmp_eq_u32_e64 s[4:5], 1, v6
	ds_write_b8 v1, v5 offset:12
	v_cndmask_b32_e64 v5, v5, 1, s[4:5]
	s_waitcnt lgkmcnt(1)
	v_cmp_eq_u16_e64 s[4:5], 0, v15
	ds_write2_b32 v1, v2, v3 offset0:2 offset1:4
	ds_write_b8 v1, v5 offset:20
	v_cndmask_b32_e64 v2, 0, v3, s[4:5]
	v_and_b32_e32 v3, 1, v15
	v_add_u32_e32 v2, v2, v9
	v_cmp_eq_u32_e64 s[4:5], 1, v3
	v_cndmask_b32_e64 v3, v5, 1, s[4:5]
	ds_write_b32 v1, v2 offset:24
	ds_write_b8 v1, v3 offset:28
.LBB1075_120:
	s_or_b64 exec, exec, s[18:19]
	s_waitcnt vmcnt(0)
	v_mov_b32_e32 v30, v4
	s_waitcnt lgkmcnt(0)
	s_barrier
	s_and_saveexec_b64 s[18:19], s[22:23]
	s_cbranch_execz .LBB1075_122
; %bb.121:
	v_add_u32_e32 v1, -1, v0
	v_lshrrev_b32_e32 v2, 5, v1
	v_add_lshl_u32 v1, v2, v1, 3
	ds_read_u8 v2, v1 offset:4
	ds_read_b32 v1, v1
	s_waitcnt lgkmcnt(1)
	v_cmp_eq_u16_e64 s[4:5], 0, v2
	v_cndmask_b32_e64 v2, 0, v4, s[4:5]
	s_waitcnt lgkmcnt(0)
	v_add_u32_e32 v30, v2, v1
.LBB1075_122:
	s_or_b64 exec, exec, s[18:19]
	v_and_b32_e32 v3, 0xff, v13
	v_mov_b32_e32 v2, 0
	v_cmp_eq_u64_e64 s[4:5], 0, v[2:3]
	v_cndmask_b32_e64 v1, 0, v30, s[4:5]
	v_add_u32_e32 v31, v1, v12
	v_cndmask_b32_e32 v1, 0, v31, vcc
	v_add_u32_e32 v32, v1, v14
	v_cndmask_b32_e64 v1, 0, v32, s[6:7]
	v_add_u32_e32 v33, v1, v16
	v_cndmask_b32_e64 v1, 0, v33, s[8:9]
	;; [unrolled: 2-line block ×6, first 2 shown]
	s_and_saveexec_b64 s[4:5], s[0:1]
	s_cbranch_execz .LBB1075_124
; %bb.123:
	ds_read_u8 v3, v2 offset:2100
	ds_read_b32 v5, v2 offset:2096
	s_add_u32 s0, s36, 0x400
	s_addc_u32 s1, s37, 0
	v_mov_b32_e32 v6, 2
	s_waitcnt lgkmcnt(1)
	v_cmp_eq_u16_e32 vcc, 0, v3
	v_cndmask_b32_e32 v4, 0, v4, vcc
	s_waitcnt lgkmcnt(0)
	v_add_u32_e32 v4, v4, v5
	v_and_b32_e32 v5, 0xffff, v3
	v_mov_b32_e32 v7, v2
	v_pk_mov_b32 v[2:3], s[0:1], s[0:1] op_sel:[0,1]
	;;#ASMSTART
	global_store_dwordx4 v[2:3], v[4:7] off	
s_waitcnt vmcnt(0)
	;;#ASMEND
.LBB1075_124:
	s_or_b64 exec, exec, s[4:5]
	v_add_u32_e32 v40, v1, v26
.LBB1075_125:
	s_add_u32 s0, s30, s26
	s_addc_u32 s1, s31, s27
	v_mov_b32_e32 v1, s1
	v_add_co_u32_e32 v12, vcc, s0, v10
	v_addc_co_u32_e32 v13, vcc, v1, v11, vcc
	s_and_b64 vcc, exec, s[2:3]
	v_mul_u32_u24_e32 v14, 36, v0
	v_lshlrev_b32_e32 v15, 5, v0
	s_cbranch_vccz .LBB1075_143
; %bb.126:
	v_sub_u32_e32 v2, v14, v15
	s_barrier
	ds_write2_b32 v14, v30, v31 offset1:1
	ds_write2_b32 v14, v32, v33 offset0:2 offset1:3
	ds_write2_b32 v14, v36, v37 offset0:4 offset1:5
	;; [unrolled: 1-line block ×3, first 2 shown]
	ds_write_b32 v14, v40 offset:32
	s_waitcnt lgkmcnt(0)
	s_barrier
	ds_read2st64_b32 v[10:11], v2 offset0:4 offset1:8
	ds_read2st64_b32 v[8:9], v2 offset0:12 offset1:16
	;; [unrolled: 1-line block ×4, first 2 shown]
	v_add_co_u32_e32 v4, vcc, v12, v34
	s_add_i32 s33, s33, s38
	v_addc_co_u32_e32 v5, vcc, 0, v13, vcc
	v_mov_b32_e32 v1, 0
	v_cmp_gt_u32_e32 vcc, s33, v0
	s_and_saveexec_b64 s[0:1], vcc
	s_cbranch_execz .LBB1075_128
; %bb.127:
	v_sub_u32_e32 v16, 0, v15
	v_add_u32_e32 v16, v14, v16
	ds_read_b32 v16, v16
	s_waitcnt lgkmcnt(0)
	flat_store_short v[4:5], v16
.LBB1075_128:
	s_or_b64 exec, exec, s[0:1]
	v_or_b32_e32 v16, 0x100, v0
	v_cmp_gt_u32_e32 vcc, s33, v16
	s_and_saveexec_b64 s[0:1], vcc
	s_cbranch_execz .LBB1075_130
; %bb.129:
	s_waitcnt lgkmcnt(0)
	flat_store_short v[4:5], v10 offset:512
.LBB1075_130:
	s_or_b64 exec, exec, s[0:1]
	s_waitcnt lgkmcnt(0)
	v_or_b32_e32 v10, 0x200, v0
	v_cmp_gt_u32_e32 vcc, s33, v10
	s_and_saveexec_b64 s[0:1], vcc
	s_cbranch_execz .LBB1075_132
; %bb.131:
	flat_store_short v[4:5], v11 offset:1024
.LBB1075_132:
	s_or_b64 exec, exec, s[0:1]
	v_or_b32_e32 v10, 0x300, v0
	v_cmp_gt_u32_e32 vcc, s33, v10
	s_and_saveexec_b64 s[0:1], vcc
	s_cbranch_execz .LBB1075_134
; %bb.133:
	flat_store_short v[4:5], v8 offset:1536
.LBB1075_134:
	s_or_b64 exec, exec, s[0:1]
	;; [unrolled: 8-line block ×6, first 2 shown]
	v_or_b32_e32 v2, 0x800, v0
	v_cmp_gt_u32_e64 s[0:1], s33, v2
	s_branch .LBB1075_145
.LBB1075_143:
	s_mov_b64 s[0:1], 0
                                        ; implicit-def: $vgpr3
	s_cbranch_execz .LBB1075_145
; %bb.144:
	v_sub_u32_e32 v2, v14, v15
	s_waitcnt lgkmcnt(0)
	s_barrier
	ds_write2_b32 v14, v30, v31 offset1:1
	ds_write2_b32 v14, v32, v33 offset0:2 offset1:3
	ds_write2_b32 v14, v36, v37 offset0:4 offset1:5
	;; [unrolled: 1-line block ×3, first 2 shown]
	ds_write_b32 v14, v40 offset:32
	s_waitcnt lgkmcnt(0)
	s_barrier
	ds_read2st64_b32 v[4:5], v2 offset1:4
	ds_read2st64_b32 v[6:7], v2 offset0:8 offset1:12
	ds_read2st64_b32 v[8:9], v2 offset0:16 offset1:20
	;; [unrolled: 1-line block ×3, first 2 shown]
	ds_read_b32 v3, v2 offset:8192
	v_add_co_u32_e32 v14, vcc, v12, v34
	v_mov_b32_e32 v1, 0
	v_addc_co_u32_e32 v15, vcc, 0, v13, vcc
	s_or_b64 s[0:1], s[0:1], exec
	s_waitcnt lgkmcnt(0)
	flat_store_short v[14:15], v4
	flat_store_short v[14:15], v5 offset:512
	flat_store_short v[14:15], v6 offset:1024
	;; [unrolled: 1-line block ×7, first 2 shown]
.LBB1075_145:
	s_and_saveexec_b64 s[2:3], s[0:1]
	s_cbranch_execz .LBB1075_147
; %bb.146:
	v_lshlrev_b64 v[0:1], 1, v[0:1]
	v_add_co_u32_e32 v0, vcc, v12, v0
	v_addc_co_u32_e32 v1, vcc, v13, v1, vcc
	v_add_co_u32_e32 v0, vcc, 0x1000, v0
	v_addc_co_u32_e32 v1, vcc, 0, v1, vcc
	flat_store_short v[0:1], v3
	s_endpgm
.LBB1075_147:
	s_endpgm
	.section	.rodata,"a",@progbits
	.p2align	6, 0x0
	.amdhsa_kernel _ZN7rocprim17ROCPRIM_400000_NS6detail17trampoline_kernelINS0_14default_configENS1_27scan_by_key_config_selectorIsiEEZZNS1_16scan_by_key_implILNS1_25lookback_scan_determinismE0ELb1ES3_N6thrust23THRUST_200600_302600_NS6detail15normal_iteratorINS9_10device_ptrIsEEEESE_SE_iNS9_4plusIvEENS9_8equal_toIvEEiEE10hipError_tPvRmT2_T3_T4_T5_mT6_T7_P12ihipStream_tbENKUlT_T0_E_clISt17integral_constantIbLb0EESY_IbLb1EEEEDaSU_SV_EUlSU_E_NS1_11comp_targetILNS1_3genE4ELNS1_11target_archE910ELNS1_3gpuE8ELNS1_3repE0EEENS1_30default_config_static_selectorELNS0_4arch9wavefront6targetE1EEEvT1_
		.amdhsa_group_segment_fixed_size 9216
		.amdhsa_private_segment_fixed_size 0
		.amdhsa_kernarg_size 112
		.amdhsa_user_sgpr_count 6
		.amdhsa_user_sgpr_private_segment_buffer 1
		.amdhsa_user_sgpr_dispatch_ptr 0
		.amdhsa_user_sgpr_queue_ptr 0
		.amdhsa_user_sgpr_kernarg_segment_ptr 1
		.amdhsa_user_sgpr_dispatch_id 0
		.amdhsa_user_sgpr_flat_scratch_init 0
		.amdhsa_user_sgpr_kernarg_preload_length 0
		.amdhsa_user_sgpr_kernarg_preload_offset 0
		.amdhsa_user_sgpr_private_segment_size 0
		.amdhsa_uses_dynamic_stack 0
		.amdhsa_system_sgpr_private_segment_wavefront_offset 0
		.amdhsa_system_sgpr_workgroup_id_x 1
		.amdhsa_system_sgpr_workgroup_id_y 0
		.amdhsa_system_sgpr_workgroup_id_z 0
		.amdhsa_system_sgpr_workgroup_info 0
		.amdhsa_system_vgpr_workitem_id 0
		.amdhsa_next_free_vgpr 54
		.amdhsa_next_free_sgpr 50
		.amdhsa_accum_offset 56
		.amdhsa_reserve_vcc 1
		.amdhsa_reserve_flat_scratch 0
		.amdhsa_float_round_mode_32 0
		.amdhsa_float_round_mode_16_64 0
		.amdhsa_float_denorm_mode_32 3
		.amdhsa_float_denorm_mode_16_64 3
		.amdhsa_dx10_clamp 1
		.amdhsa_ieee_mode 1
		.amdhsa_fp16_overflow 0
		.amdhsa_tg_split 0
		.amdhsa_exception_fp_ieee_invalid_op 0
		.amdhsa_exception_fp_denorm_src 0
		.amdhsa_exception_fp_ieee_div_zero 0
		.amdhsa_exception_fp_ieee_overflow 0
		.amdhsa_exception_fp_ieee_underflow 0
		.amdhsa_exception_fp_ieee_inexact 0
		.amdhsa_exception_int_div_zero 0
	.end_amdhsa_kernel
	.section	.text._ZN7rocprim17ROCPRIM_400000_NS6detail17trampoline_kernelINS0_14default_configENS1_27scan_by_key_config_selectorIsiEEZZNS1_16scan_by_key_implILNS1_25lookback_scan_determinismE0ELb1ES3_N6thrust23THRUST_200600_302600_NS6detail15normal_iteratorINS9_10device_ptrIsEEEESE_SE_iNS9_4plusIvEENS9_8equal_toIvEEiEE10hipError_tPvRmT2_T3_T4_T5_mT6_T7_P12ihipStream_tbENKUlT_T0_E_clISt17integral_constantIbLb0EESY_IbLb1EEEEDaSU_SV_EUlSU_E_NS1_11comp_targetILNS1_3genE4ELNS1_11target_archE910ELNS1_3gpuE8ELNS1_3repE0EEENS1_30default_config_static_selectorELNS0_4arch9wavefront6targetE1EEEvT1_,"axG",@progbits,_ZN7rocprim17ROCPRIM_400000_NS6detail17trampoline_kernelINS0_14default_configENS1_27scan_by_key_config_selectorIsiEEZZNS1_16scan_by_key_implILNS1_25lookback_scan_determinismE0ELb1ES3_N6thrust23THRUST_200600_302600_NS6detail15normal_iteratorINS9_10device_ptrIsEEEESE_SE_iNS9_4plusIvEENS9_8equal_toIvEEiEE10hipError_tPvRmT2_T3_T4_T5_mT6_T7_P12ihipStream_tbENKUlT_T0_E_clISt17integral_constantIbLb0EESY_IbLb1EEEEDaSU_SV_EUlSU_E_NS1_11comp_targetILNS1_3genE4ELNS1_11target_archE910ELNS1_3gpuE8ELNS1_3repE0EEENS1_30default_config_static_selectorELNS0_4arch9wavefront6targetE1EEEvT1_,comdat
.Lfunc_end1075:
	.size	_ZN7rocprim17ROCPRIM_400000_NS6detail17trampoline_kernelINS0_14default_configENS1_27scan_by_key_config_selectorIsiEEZZNS1_16scan_by_key_implILNS1_25lookback_scan_determinismE0ELb1ES3_N6thrust23THRUST_200600_302600_NS6detail15normal_iteratorINS9_10device_ptrIsEEEESE_SE_iNS9_4plusIvEENS9_8equal_toIvEEiEE10hipError_tPvRmT2_T3_T4_T5_mT6_T7_P12ihipStream_tbENKUlT_T0_E_clISt17integral_constantIbLb0EESY_IbLb1EEEEDaSU_SV_EUlSU_E_NS1_11comp_targetILNS1_3genE4ELNS1_11target_archE910ELNS1_3gpuE8ELNS1_3repE0EEENS1_30default_config_static_selectorELNS0_4arch9wavefront6targetE1EEEvT1_, .Lfunc_end1075-_ZN7rocprim17ROCPRIM_400000_NS6detail17trampoline_kernelINS0_14default_configENS1_27scan_by_key_config_selectorIsiEEZZNS1_16scan_by_key_implILNS1_25lookback_scan_determinismE0ELb1ES3_N6thrust23THRUST_200600_302600_NS6detail15normal_iteratorINS9_10device_ptrIsEEEESE_SE_iNS9_4plusIvEENS9_8equal_toIvEEiEE10hipError_tPvRmT2_T3_T4_T5_mT6_T7_P12ihipStream_tbENKUlT_T0_E_clISt17integral_constantIbLb0EESY_IbLb1EEEEDaSU_SV_EUlSU_E_NS1_11comp_targetILNS1_3genE4ELNS1_11target_archE910ELNS1_3gpuE8ELNS1_3repE0EEENS1_30default_config_static_selectorELNS0_4arch9wavefront6targetE1EEEvT1_
                                        ; -- End function
	.section	.AMDGPU.csdata,"",@progbits
; Kernel info:
; codeLenInByte = 9152
; NumSgprs: 54
; NumVgprs: 54
; NumAgprs: 0
; TotalNumVgprs: 54
; ScratchSize: 0
; MemoryBound: 0
; FloatMode: 240
; IeeeMode: 1
; LDSByteSize: 9216 bytes/workgroup (compile time only)
; SGPRBlocks: 6
; VGPRBlocks: 6
; NumSGPRsForWavesPerEU: 54
; NumVGPRsForWavesPerEU: 54
; AccumOffset: 56
; Occupancy: 7
; WaveLimiterHint : 1
; COMPUTE_PGM_RSRC2:SCRATCH_EN: 0
; COMPUTE_PGM_RSRC2:USER_SGPR: 6
; COMPUTE_PGM_RSRC2:TRAP_HANDLER: 0
; COMPUTE_PGM_RSRC2:TGID_X_EN: 1
; COMPUTE_PGM_RSRC2:TGID_Y_EN: 0
; COMPUTE_PGM_RSRC2:TGID_Z_EN: 0
; COMPUTE_PGM_RSRC2:TIDIG_COMP_CNT: 0
; COMPUTE_PGM_RSRC3_GFX90A:ACCUM_OFFSET: 13
; COMPUTE_PGM_RSRC3_GFX90A:TG_SPLIT: 0
	.section	.text._ZN7rocprim17ROCPRIM_400000_NS6detail17trampoline_kernelINS0_14default_configENS1_27scan_by_key_config_selectorIsiEEZZNS1_16scan_by_key_implILNS1_25lookback_scan_determinismE0ELb1ES3_N6thrust23THRUST_200600_302600_NS6detail15normal_iteratorINS9_10device_ptrIsEEEESE_SE_iNS9_4plusIvEENS9_8equal_toIvEEiEE10hipError_tPvRmT2_T3_T4_T5_mT6_T7_P12ihipStream_tbENKUlT_T0_E_clISt17integral_constantIbLb0EESY_IbLb1EEEEDaSU_SV_EUlSU_E_NS1_11comp_targetILNS1_3genE3ELNS1_11target_archE908ELNS1_3gpuE7ELNS1_3repE0EEENS1_30default_config_static_selectorELNS0_4arch9wavefront6targetE1EEEvT1_,"axG",@progbits,_ZN7rocprim17ROCPRIM_400000_NS6detail17trampoline_kernelINS0_14default_configENS1_27scan_by_key_config_selectorIsiEEZZNS1_16scan_by_key_implILNS1_25lookback_scan_determinismE0ELb1ES3_N6thrust23THRUST_200600_302600_NS6detail15normal_iteratorINS9_10device_ptrIsEEEESE_SE_iNS9_4plusIvEENS9_8equal_toIvEEiEE10hipError_tPvRmT2_T3_T4_T5_mT6_T7_P12ihipStream_tbENKUlT_T0_E_clISt17integral_constantIbLb0EESY_IbLb1EEEEDaSU_SV_EUlSU_E_NS1_11comp_targetILNS1_3genE3ELNS1_11target_archE908ELNS1_3gpuE7ELNS1_3repE0EEENS1_30default_config_static_selectorELNS0_4arch9wavefront6targetE1EEEvT1_,comdat
	.protected	_ZN7rocprim17ROCPRIM_400000_NS6detail17trampoline_kernelINS0_14default_configENS1_27scan_by_key_config_selectorIsiEEZZNS1_16scan_by_key_implILNS1_25lookback_scan_determinismE0ELb1ES3_N6thrust23THRUST_200600_302600_NS6detail15normal_iteratorINS9_10device_ptrIsEEEESE_SE_iNS9_4plusIvEENS9_8equal_toIvEEiEE10hipError_tPvRmT2_T3_T4_T5_mT6_T7_P12ihipStream_tbENKUlT_T0_E_clISt17integral_constantIbLb0EESY_IbLb1EEEEDaSU_SV_EUlSU_E_NS1_11comp_targetILNS1_3genE3ELNS1_11target_archE908ELNS1_3gpuE7ELNS1_3repE0EEENS1_30default_config_static_selectorELNS0_4arch9wavefront6targetE1EEEvT1_ ; -- Begin function _ZN7rocprim17ROCPRIM_400000_NS6detail17trampoline_kernelINS0_14default_configENS1_27scan_by_key_config_selectorIsiEEZZNS1_16scan_by_key_implILNS1_25lookback_scan_determinismE0ELb1ES3_N6thrust23THRUST_200600_302600_NS6detail15normal_iteratorINS9_10device_ptrIsEEEESE_SE_iNS9_4plusIvEENS9_8equal_toIvEEiEE10hipError_tPvRmT2_T3_T4_T5_mT6_T7_P12ihipStream_tbENKUlT_T0_E_clISt17integral_constantIbLb0EESY_IbLb1EEEEDaSU_SV_EUlSU_E_NS1_11comp_targetILNS1_3genE3ELNS1_11target_archE908ELNS1_3gpuE7ELNS1_3repE0EEENS1_30default_config_static_selectorELNS0_4arch9wavefront6targetE1EEEvT1_
	.globl	_ZN7rocprim17ROCPRIM_400000_NS6detail17trampoline_kernelINS0_14default_configENS1_27scan_by_key_config_selectorIsiEEZZNS1_16scan_by_key_implILNS1_25lookback_scan_determinismE0ELb1ES3_N6thrust23THRUST_200600_302600_NS6detail15normal_iteratorINS9_10device_ptrIsEEEESE_SE_iNS9_4plusIvEENS9_8equal_toIvEEiEE10hipError_tPvRmT2_T3_T4_T5_mT6_T7_P12ihipStream_tbENKUlT_T0_E_clISt17integral_constantIbLb0EESY_IbLb1EEEEDaSU_SV_EUlSU_E_NS1_11comp_targetILNS1_3genE3ELNS1_11target_archE908ELNS1_3gpuE7ELNS1_3repE0EEENS1_30default_config_static_selectorELNS0_4arch9wavefront6targetE1EEEvT1_
	.p2align	8
	.type	_ZN7rocprim17ROCPRIM_400000_NS6detail17trampoline_kernelINS0_14default_configENS1_27scan_by_key_config_selectorIsiEEZZNS1_16scan_by_key_implILNS1_25lookback_scan_determinismE0ELb1ES3_N6thrust23THRUST_200600_302600_NS6detail15normal_iteratorINS9_10device_ptrIsEEEESE_SE_iNS9_4plusIvEENS9_8equal_toIvEEiEE10hipError_tPvRmT2_T3_T4_T5_mT6_T7_P12ihipStream_tbENKUlT_T0_E_clISt17integral_constantIbLb0EESY_IbLb1EEEEDaSU_SV_EUlSU_E_NS1_11comp_targetILNS1_3genE3ELNS1_11target_archE908ELNS1_3gpuE7ELNS1_3repE0EEENS1_30default_config_static_selectorELNS0_4arch9wavefront6targetE1EEEvT1_,@function
_ZN7rocprim17ROCPRIM_400000_NS6detail17trampoline_kernelINS0_14default_configENS1_27scan_by_key_config_selectorIsiEEZZNS1_16scan_by_key_implILNS1_25lookback_scan_determinismE0ELb1ES3_N6thrust23THRUST_200600_302600_NS6detail15normal_iteratorINS9_10device_ptrIsEEEESE_SE_iNS9_4plusIvEENS9_8equal_toIvEEiEE10hipError_tPvRmT2_T3_T4_T5_mT6_T7_P12ihipStream_tbENKUlT_T0_E_clISt17integral_constantIbLb0EESY_IbLb1EEEEDaSU_SV_EUlSU_E_NS1_11comp_targetILNS1_3genE3ELNS1_11target_archE908ELNS1_3gpuE7ELNS1_3repE0EEENS1_30default_config_static_selectorELNS0_4arch9wavefront6targetE1EEEvT1_: ; @_ZN7rocprim17ROCPRIM_400000_NS6detail17trampoline_kernelINS0_14default_configENS1_27scan_by_key_config_selectorIsiEEZZNS1_16scan_by_key_implILNS1_25lookback_scan_determinismE0ELb1ES3_N6thrust23THRUST_200600_302600_NS6detail15normal_iteratorINS9_10device_ptrIsEEEESE_SE_iNS9_4plusIvEENS9_8equal_toIvEEiEE10hipError_tPvRmT2_T3_T4_T5_mT6_T7_P12ihipStream_tbENKUlT_T0_E_clISt17integral_constantIbLb0EESY_IbLb1EEEEDaSU_SV_EUlSU_E_NS1_11comp_targetILNS1_3genE3ELNS1_11target_archE908ELNS1_3gpuE7ELNS1_3repE0EEENS1_30default_config_static_selectorELNS0_4arch9wavefront6targetE1EEEvT1_
; %bb.0:
	.section	.rodata,"a",@progbits
	.p2align	6, 0x0
	.amdhsa_kernel _ZN7rocprim17ROCPRIM_400000_NS6detail17trampoline_kernelINS0_14default_configENS1_27scan_by_key_config_selectorIsiEEZZNS1_16scan_by_key_implILNS1_25lookback_scan_determinismE0ELb1ES3_N6thrust23THRUST_200600_302600_NS6detail15normal_iteratorINS9_10device_ptrIsEEEESE_SE_iNS9_4plusIvEENS9_8equal_toIvEEiEE10hipError_tPvRmT2_T3_T4_T5_mT6_T7_P12ihipStream_tbENKUlT_T0_E_clISt17integral_constantIbLb0EESY_IbLb1EEEEDaSU_SV_EUlSU_E_NS1_11comp_targetILNS1_3genE3ELNS1_11target_archE908ELNS1_3gpuE7ELNS1_3repE0EEENS1_30default_config_static_selectorELNS0_4arch9wavefront6targetE1EEEvT1_
		.amdhsa_group_segment_fixed_size 0
		.amdhsa_private_segment_fixed_size 0
		.amdhsa_kernarg_size 112
		.amdhsa_user_sgpr_count 6
		.amdhsa_user_sgpr_private_segment_buffer 1
		.amdhsa_user_sgpr_dispatch_ptr 0
		.amdhsa_user_sgpr_queue_ptr 0
		.amdhsa_user_sgpr_kernarg_segment_ptr 1
		.amdhsa_user_sgpr_dispatch_id 0
		.amdhsa_user_sgpr_flat_scratch_init 0
		.amdhsa_user_sgpr_kernarg_preload_length 0
		.amdhsa_user_sgpr_kernarg_preload_offset 0
		.amdhsa_user_sgpr_private_segment_size 0
		.amdhsa_uses_dynamic_stack 0
		.amdhsa_system_sgpr_private_segment_wavefront_offset 0
		.amdhsa_system_sgpr_workgroup_id_x 1
		.amdhsa_system_sgpr_workgroup_id_y 0
		.amdhsa_system_sgpr_workgroup_id_z 0
		.amdhsa_system_sgpr_workgroup_info 0
		.amdhsa_system_vgpr_workitem_id 0
		.amdhsa_next_free_vgpr 1
		.amdhsa_next_free_sgpr 0
		.amdhsa_accum_offset 4
		.amdhsa_reserve_vcc 0
		.amdhsa_reserve_flat_scratch 0
		.amdhsa_float_round_mode_32 0
		.amdhsa_float_round_mode_16_64 0
		.amdhsa_float_denorm_mode_32 3
		.amdhsa_float_denorm_mode_16_64 3
		.amdhsa_dx10_clamp 1
		.amdhsa_ieee_mode 1
		.amdhsa_fp16_overflow 0
		.amdhsa_tg_split 0
		.amdhsa_exception_fp_ieee_invalid_op 0
		.amdhsa_exception_fp_denorm_src 0
		.amdhsa_exception_fp_ieee_div_zero 0
		.amdhsa_exception_fp_ieee_overflow 0
		.amdhsa_exception_fp_ieee_underflow 0
		.amdhsa_exception_fp_ieee_inexact 0
		.amdhsa_exception_int_div_zero 0
	.end_amdhsa_kernel
	.section	.text._ZN7rocprim17ROCPRIM_400000_NS6detail17trampoline_kernelINS0_14default_configENS1_27scan_by_key_config_selectorIsiEEZZNS1_16scan_by_key_implILNS1_25lookback_scan_determinismE0ELb1ES3_N6thrust23THRUST_200600_302600_NS6detail15normal_iteratorINS9_10device_ptrIsEEEESE_SE_iNS9_4plusIvEENS9_8equal_toIvEEiEE10hipError_tPvRmT2_T3_T4_T5_mT6_T7_P12ihipStream_tbENKUlT_T0_E_clISt17integral_constantIbLb0EESY_IbLb1EEEEDaSU_SV_EUlSU_E_NS1_11comp_targetILNS1_3genE3ELNS1_11target_archE908ELNS1_3gpuE7ELNS1_3repE0EEENS1_30default_config_static_selectorELNS0_4arch9wavefront6targetE1EEEvT1_,"axG",@progbits,_ZN7rocprim17ROCPRIM_400000_NS6detail17trampoline_kernelINS0_14default_configENS1_27scan_by_key_config_selectorIsiEEZZNS1_16scan_by_key_implILNS1_25lookback_scan_determinismE0ELb1ES3_N6thrust23THRUST_200600_302600_NS6detail15normal_iteratorINS9_10device_ptrIsEEEESE_SE_iNS9_4plusIvEENS9_8equal_toIvEEiEE10hipError_tPvRmT2_T3_T4_T5_mT6_T7_P12ihipStream_tbENKUlT_T0_E_clISt17integral_constantIbLb0EESY_IbLb1EEEEDaSU_SV_EUlSU_E_NS1_11comp_targetILNS1_3genE3ELNS1_11target_archE908ELNS1_3gpuE7ELNS1_3repE0EEENS1_30default_config_static_selectorELNS0_4arch9wavefront6targetE1EEEvT1_,comdat
.Lfunc_end1076:
	.size	_ZN7rocprim17ROCPRIM_400000_NS6detail17trampoline_kernelINS0_14default_configENS1_27scan_by_key_config_selectorIsiEEZZNS1_16scan_by_key_implILNS1_25lookback_scan_determinismE0ELb1ES3_N6thrust23THRUST_200600_302600_NS6detail15normal_iteratorINS9_10device_ptrIsEEEESE_SE_iNS9_4plusIvEENS9_8equal_toIvEEiEE10hipError_tPvRmT2_T3_T4_T5_mT6_T7_P12ihipStream_tbENKUlT_T0_E_clISt17integral_constantIbLb0EESY_IbLb1EEEEDaSU_SV_EUlSU_E_NS1_11comp_targetILNS1_3genE3ELNS1_11target_archE908ELNS1_3gpuE7ELNS1_3repE0EEENS1_30default_config_static_selectorELNS0_4arch9wavefront6targetE1EEEvT1_, .Lfunc_end1076-_ZN7rocprim17ROCPRIM_400000_NS6detail17trampoline_kernelINS0_14default_configENS1_27scan_by_key_config_selectorIsiEEZZNS1_16scan_by_key_implILNS1_25lookback_scan_determinismE0ELb1ES3_N6thrust23THRUST_200600_302600_NS6detail15normal_iteratorINS9_10device_ptrIsEEEESE_SE_iNS9_4plusIvEENS9_8equal_toIvEEiEE10hipError_tPvRmT2_T3_T4_T5_mT6_T7_P12ihipStream_tbENKUlT_T0_E_clISt17integral_constantIbLb0EESY_IbLb1EEEEDaSU_SV_EUlSU_E_NS1_11comp_targetILNS1_3genE3ELNS1_11target_archE908ELNS1_3gpuE7ELNS1_3repE0EEENS1_30default_config_static_selectorELNS0_4arch9wavefront6targetE1EEEvT1_
                                        ; -- End function
	.section	.AMDGPU.csdata,"",@progbits
; Kernel info:
; codeLenInByte = 0
; NumSgprs: 4
; NumVgprs: 0
; NumAgprs: 0
; TotalNumVgprs: 0
; ScratchSize: 0
; MemoryBound: 0
; FloatMode: 240
; IeeeMode: 1
; LDSByteSize: 0 bytes/workgroup (compile time only)
; SGPRBlocks: 0
; VGPRBlocks: 0
; NumSGPRsForWavesPerEU: 4
; NumVGPRsForWavesPerEU: 1
; AccumOffset: 4
; Occupancy: 8
; WaveLimiterHint : 0
; COMPUTE_PGM_RSRC2:SCRATCH_EN: 0
; COMPUTE_PGM_RSRC2:USER_SGPR: 6
; COMPUTE_PGM_RSRC2:TRAP_HANDLER: 0
; COMPUTE_PGM_RSRC2:TGID_X_EN: 1
; COMPUTE_PGM_RSRC2:TGID_Y_EN: 0
; COMPUTE_PGM_RSRC2:TGID_Z_EN: 0
; COMPUTE_PGM_RSRC2:TIDIG_COMP_CNT: 0
; COMPUTE_PGM_RSRC3_GFX90A:ACCUM_OFFSET: 0
; COMPUTE_PGM_RSRC3_GFX90A:TG_SPLIT: 0
	.section	.text._ZN7rocprim17ROCPRIM_400000_NS6detail17trampoline_kernelINS0_14default_configENS1_27scan_by_key_config_selectorIsiEEZZNS1_16scan_by_key_implILNS1_25lookback_scan_determinismE0ELb1ES3_N6thrust23THRUST_200600_302600_NS6detail15normal_iteratorINS9_10device_ptrIsEEEESE_SE_iNS9_4plusIvEENS9_8equal_toIvEEiEE10hipError_tPvRmT2_T3_T4_T5_mT6_T7_P12ihipStream_tbENKUlT_T0_E_clISt17integral_constantIbLb0EESY_IbLb1EEEEDaSU_SV_EUlSU_E_NS1_11comp_targetILNS1_3genE2ELNS1_11target_archE906ELNS1_3gpuE6ELNS1_3repE0EEENS1_30default_config_static_selectorELNS0_4arch9wavefront6targetE1EEEvT1_,"axG",@progbits,_ZN7rocprim17ROCPRIM_400000_NS6detail17trampoline_kernelINS0_14default_configENS1_27scan_by_key_config_selectorIsiEEZZNS1_16scan_by_key_implILNS1_25lookback_scan_determinismE0ELb1ES3_N6thrust23THRUST_200600_302600_NS6detail15normal_iteratorINS9_10device_ptrIsEEEESE_SE_iNS9_4plusIvEENS9_8equal_toIvEEiEE10hipError_tPvRmT2_T3_T4_T5_mT6_T7_P12ihipStream_tbENKUlT_T0_E_clISt17integral_constantIbLb0EESY_IbLb1EEEEDaSU_SV_EUlSU_E_NS1_11comp_targetILNS1_3genE2ELNS1_11target_archE906ELNS1_3gpuE6ELNS1_3repE0EEENS1_30default_config_static_selectorELNS0_4arch9wavefront6targetE1EEEvT1_,comdat
	.protected	_ZN7rocprim17ROCPRIM_400000_NS6detail17trampoline_kernelINS0_14default_configENS1_27scan_by_key_config_selectorIsiEEZZNS1_16scan_by_key_implILNS1_25lookback_scan_determinismE0ELb1ES3_N6thrust23THRUST_200600_302600_NS6detail15normal_iteratorINS9_10device_ptrIsEEEESE_SE_iNS9_4plusIvEENS9_8equal_toIvEEiEE10hipError_tPvRmT2_T3_T4_T5_mT6_T7_P12ihipStream_tbENKUlT_T0_E_clISt17integral_constantIbLb0EESY_IbLb1EEEEDaSU_SV_EUlSU_E_NS1_11comp_targetILNS1_3genE2ELNS1_11target_archE906ELNS1_3gpuE6ELNS1_3repE0EEENS1_30default_config_static_selectorELNS0_4arch9wavefront6targetE1EEEvT1_ ; -- Begin function _ZN7rocprim17ROCPRIM_400000_NS6detail17trampoline_kernelINS0_14default_configENS1_27scan_by_key_config_selectorIsiEEZZNS1_16scan_by_key_implILNS1_25lookback_scan_determinismE0ELb1ES3_N6thrust23THRUST_200600_302600_NS6detail15normal_iteratorINS9_10device_ptrIsEEEESE_SE_iNS9_4plusIvEENS9_8equal_toIvEEiEE10hipError_tPvRmT2_T3_T4_T5_mT6_T7_P12ihipStream_tbENKUlT_T0_E_clISt17integral_constantIbLb0EESY_IbLb1EEEEDaSU_SV_EUlSU_E_NS1_11comp_targetILNS1_3genE2ELNS1_11target_archE906ELNS1_3gpuE6ELNS1_3repE0EEENS1_30default_config_static_selectorELNS0_4arch9wavefront6targetE1EEEvT1_
	.globl	_ZN7rocprim17ROCPRIM_400000_NS6detail17trampoline_kernelINS0_14default_configENS1_27scan_by_key_config_selectorIsiEEZZNS1_16scan_by_key_implILNS1_25lookback_scan_determinismE0ELb1ES3_N6thrust23THRUST_200600_302600_NS6detail15normal_iteratorINS9_10device_ptrIsEEEESE_SE_iNS9_4plusIvEENS9_8equal_toIvEEiEE10hipError_tPvRmT2_T3_T4_T5_mT6_T7_P12ihipStream_tbENKUlT_T0_E_clISt17integral_constantIbLb0EESY_IbLb1EEEEDaSU_SV_EUlSU_E_NS1_11comp_targetILNS1_3genE2ELNS1_11target_archE906ELNS1_3gpuE6ELNS1_3repE0EEENS1_30default_config_static_selectorELNS0_4arch9wavefront6targetE1EEEvT1_
	.p2align	8
	.type	_ZN7rocprim17ROCPRIM_400000_NS6detail17trampoline_kernelINS0_14default_configENS1_27scan_by_key_config_selectorIsiEEZZNS1_16scan_by_key_implILNS1_25lookback_scan_determinismE0ELb1ES3_N6thrust23THRUST_200600_302600_NS6detail15normal_iteratorINS9_10device_ptrIsEEEESE_SE_iNS9_4plusIvEENS9_8equal_toIvEEiEE10hipError_tPvRmT2_T3_T4_T5_mT6_T7_P12ihipStream_tbENKUlT_T0_E_clISt17integral_constantIbLb0EESY_IbLb1EEEEDaSU_SV_EUlSU_E_NS1_11comp_targetILNS1_3genE2ELNS1_11target_archE906ELNS1_3gpuE6ELNS1_3repE0EEENS1_30default_config_static_selectorELNS0_4arch9wavefront6targetE1EEEvT1_,@function
_ZN7rocprim17ROCPRIM_400000_NS6detail17trampoline_kernelINS0_14default_configENS1_27scan_by_key_config_selectorIsiEEZZNS1_16scan_by_key_implILNS1_25lookback_scan_determinismE0ELb1ES3_N6thrust23THRUST_200600_302600_NS6detail15normal_iteratorINS9_10device_ptrIsEEEESE_SE_iNS9_4plusIvEENS9_8equal_toIvEEiEE10hipError_tPvRmT2_T3_T4_T5_mT6_T7_P12ihipStream_tbENKUlT_T0_E_clISt17integral_constantIbLb0EESY_IbLb1EEEEDaSU_SV_EUlSU_E_NS1_11comp_targetILNS1_3genE2ELNS1_11target_archE906ELNS1_3gpuE6ELNS1_3repE0EEENS1_30default_config_static_selectorELNS0_4arch9wavefront6targetE1EEEvT1_: ; @_ZN7rocprim17ROCPRIM_400000_NS6detail17trampoline_kernelINS0_14default_configENS1_27scan_by_key_config_selectorIsiEEZZNS1_16scan_by_key_implILNS1_25lookback_scan_determinismE0ELb1ES3_N6thrust23THRUST_200600_302600_NS6detail15normal_iteratorINS9_10device_ptrIsEEEESE_SE_iNS9_4plusIvEENS9_8equal_toIvEEiEE10hipError_tPvRmT2_T3_T4_T5_mT6_T7_P12ihipStream_tbENKUlT_T0_E_clISt17integral_constantIbLb0EESY_IbLb1EEEEDaSU_SV_EUlSU_E_NS1_11comp_targetILNS1_3genE2ELNS1_11target_archE906ELNS1_3gpuE6ELNS1_3repE0EEENS1_30default_config_static_selectorELNS0_4arch9wavefront6targetE1EEEvT1_
; %bb.0:
	.section	.rodata,"a",@progbits
	.p2align	6, 0x0
	.amdhsa_kernel _ZN7rocprim17ROCPRIM_400000_NS6detail17trampoline_kernelINS0_14default_configENS1_27scan_by_key_config_selectorIsiEEZZNS1_16scan_by_key_implILNS1_25lookback_scan_determinismE0ELb1ES3_N6thrust23THRUST_200600_302600_NS6detail15normal_iteratorINS9_10device_ptrIsEEEESE_SE_iNS9_4plusIvEENS9_8equal_toIvEEiEE10hipError_tPvRmT2_T3_T4_T5_mT6_T7_P12ihipStream_tbENKUlT_T0_E_clISt17integral_constantIbLb0EESY_IbLb1EEEEDaSU_SV_EUlSU_E_NS1_11comp_targetILNS1_3genE2ELNS1_11target_archE906ELNS1_3gpuE6ELNS1_3repE0EEENS1_30default_config_static_selectorELNS0_4arch9wavefront6targetE1EEEvT1_
		.amdhsa_group_segment_fixed_size 0
		.amdhsa_private_segment_fixed_size 0
		.amdhsa_kernarg_size 112
		.amdhsa_user_sgpr_count 6
		.amdhsa_user_sgpr_private_segment_buffer 1
		.amdhsa_user_sgpr_dispatch_ptr 0
		.amdhsa_user_sgpr_queue_ptr 0
		.amdhsa_user_sgpr_kernarg_segment_ptr 1
		.amdhsa_user_sgpr_dispatch_id 0
		.amdhsa_user_sgpr_flat_scratch_init 0
		.amdhsa_user_sgpr_kernarg_preload_length 0
		.amdhsa_user_sgpr_kernarg_preload_offset 0
		.amdhsa_user_sgpr_private_segment_size 0
		.amdhsa_uses_dynamic_stack 0
		.amdhsa_system_sgpr_private_segment_wavefront_offset 0
		.amdhsa_system_sgpr_workgroup_id_x 1
		.amdhsa_system_sgpr_workgroup_id_y 0
		.amdhsa_system_sgpr_workgroup_id_z 0
		.amdhsa_system_sgpr_workgroup_info 0
		.amdhsa_system_vgpr_workitem_id 0
		.amdhsa_next_free_vgpr 1
		.amdhsa_next_free_sgpr 0
		.amdhsa_accum_offset 4
		.amdhsa_reserve_vcc 0
		.amdhsa_reserve_flat_scratch 0
		.amdhsa_float_round_mode_32 0
		.amdhsa_float_round_mode_16_64 0
		.amdhsa_float_denorm_mode_32 3
		.amdhsa_float_denorm_mode_16_64 3
		.amdhsa_dx10_clamp 1
		.amdhsa_ieee_mode 1
		.amdhsa_fp16_overflow 0
		.amdhsa_tg_split 0
		.amdhsa_exception_fp_ieee_invalid_op 0
		.amdhsa_exception_fp_denorm_src 0
		.amdhsa_exception_fp_ieee_div_zero 0
		.amdhsa_exception_fp_ieee_overflow 0
		.amdhsa_exception_fp_ieee_underflow 0
		.amdhsa_exception_fp_ieee_inexact 0
		.amdhsa_exception_int_div_zero 0
	.end_amdhsa_kernel
	.section	.text._ZN7rocprim17ROCPRIM_400000_NS6detail17trampoline_kernelINS0_14default_configENS1_27scan_by_key_config_selectorIsiEEZZNS1_16scan_by_key_implILNS1_25lookback_scan_determinismE0ELb1ES3_N6thrust23THRUST_200600_302600_NS6detail15normal_iteratorINS9_10device_ptrIsEEEESE_SE_iNS9_4plusIvEENS9_8equal_toIvEEiEE10hipError_tPvRmT2_T3_T4_T5_mT6_T7_P12ihipStream_tbENKUlT_T0_E_clISt17integral_constantIbLb0EESY_IbLb1EEEEDaSU_SV_EUlSU_E_NS1_11comp_targetILNS1_3genE2ELNS1_11target_archE906ELNS1_3gpuE6ELNS1_3repE0EEENS1_30default_config_static_selectorELNS0_4arch9wavefront6targetE1EEEvT1_,"axG",@progbits,_ZN7rocprim17ROCPRIM_400000_NS6detail17trampoline_kernelINS0_14default_configENS1_27scan_by_key_config_selectorIsiEEZZNS1_16scan_by_key_implILNS1_25lookback_scan_determinismE0ELb1ES3_N6thrust23THRUST_200600_302600_NS6detail15normal_iteratorINS9_10device_ptrIsEEEESE_SE_iNS9_4plusIvEENS9_8equal_toIvEEiEE10hipError_tPvRmT2_T3_T4_T5_mT6_T7_P12ihipStream_tbENKUlT_T0_E_clISt17integral_constantIbLb0EESY_IbLb1EEEEDaSU_SV_EUlSU_E_NS1_11comp_targetILNS1_3genE2ELNS1_11target_archE906ELNS1_3gpuE6ELNS1_3repE0EEENS1_30default_config_static_selectorELNS0_4arch9wavefront6targetE1EEEvT1_,comdat
.Lfunc_end1077:
	.size	_ZN7rocprim17ROCPRIM_400000_NS6detail17trampoline_kernelINS0_14default_configENS1_27scan_by_key_config_selectorIsiEEZZNS1_16scan_by_key_implILNS1_25lookback_scan_determinismE0ELb1ES3_N6thrust23THRUST_200600_302600_NS6detail15normal_iteratorINS9_10device_ptrIsEEEESE_SE_iNS9_4plusIvEENS9_8equal_toIvEEiEE10hipError_tPvRmT2_T3_T4_T5_mT6_T7_P12ihipStream_tbENKUlT_T0_E_clISt17integral_constantIbLb0EESY_IbLb1EEEEDaSU_SV_EUlSU_E_NS1_11comp_targetILNS1_3genE2ELNS1_11target_archE906ELNS1_3gpuE6ELNS1_3repE0EEENS1_30default_config_static_selectorELNS0_4arch9wavefront6targetE1EEEvT1_, .Lfunc_end1077-_ZN7rocprim17ROCPRIM_400000_NS6detail17trampoline_kernelINS0_14default_configENS1_27scan_by_key_config_selectorIsiEEZZNS1_16scan_by_key_implILNS1_25lookback_scan_determinismE0ELb1ES3_N6thrust23THRUST_200600_302600_NS6detail15normal_iteratorINS9_10device_ptrIsEEEESE_SE_iNS9_4plusIvEENS9_8equal_toIvEEiEE10hipError_tPvRmT2_T3_T4_T5_mT6_T7_P12ihipStream_tbENKUlT_T0_E_clISt17integral_constantIbLb0EESY_IbLb1EEEEDaSU_SV_EUlSU_E_NS1_11comp_targetILNS1_3genE2ELNS1_11target_archE906ELNS1_3gpuE6ELNS1_3repE0EEENS1_30default_config_static_selectorELNS0_4arch9wavefront6targetE1EEEvT1_
                                        ; -- End function
	.section	.AMDGPU.csdata,"",@progbits
; Kernel info:
; codeLenInByte = 0
; NumSgprs: 4
; NumVgprs: 0
; NumAgprs: 0
; TotalNumVgprs: 0
; ScratchSize: 0
; MemoryBound: 0
; FloatMode: 240
; IeeeMode: 1
; LDSByteSize: 0 bytes/workgroup (compile time only)
; SGPRBlocks: 0
; VGPRBlocks: 0
; NumSGPRsForWavesPerEU: 4
; NumVGPRsForWavesPerEU: 1
; AccumOffset: 4
; Occupancy: 8
; WaveLimiterHint : 0
; COMPUTE_PGM_RSRC2:SCRATCH_EN: 0
; COMPUTE_PGM_RSRC2:USER_SGPR: 6
; COMPUTE_PGM_RSRC2:TRAP_HANDLER: 0
; COMPUTE_PGM_RSRC2:TGID_X_EN: 1
; COMPUTE_PGM_RSRC2:TGID_Y_EN: 0
; COMPUTE_PGM_RSRC2:TGID_Z_EN: 0
; COMPUTE_PGM_RSRC2:TIDIG_COMP_CNT: 0
; COMPUTE_PGM_RSRC3_GFX90A:ACCUM_OFFSET: 0
; COMPUTE_PGM_RSRC3_GFX90A:TG_SPLIT: 0
	.section	.text._ZN7rocprim17ROCPRIM_400000_NS6detail17trampoline_kernelINS0_14default_configENS1_27scan_by_key_config_selectorIsiEEZZNS1_16scan_by_key_implILNS1_25lookback_scan_determinismE0ELb1ES3_N6thrust23THRUST_200600_302600_NS6detail15normal_iteratorINS9_10device_ptrIsEEEESE_SE_iNS9_4plusIvEENS9_8equal_toIvEEiEE10hipError_tPvRmT2_T3_T4_T5_mT6_T7_P12ihipStream_tbENKUlT_T0_E_clISt17integral_constantIbLb0EESY_IbLb1EEEEDaSU_SV_EUlSU_E_NS1_11comp_targetILNS1_3genE10ELNS1_11target_archE1200ELNS1_3gpuE4ELNS1_3repE0EEENS1_30default_config_static_selectorELNS0_4arch9wavefront6targetE1EEEvT1_,"axG",@progbits,_ZN7rocprim17ROCPRIM_400000_NS6detail17trampoline_kernelINS0_14default_configENS1_27scan_by_key_config_selectorIsiEEZZNS1_16scan_by_key_implILNS1_25lookback_scan_determinismE0ELb1ES3_N6thrust23THRUST_200600_302600_NS6detail15normal_iteratorINS9_10device_ptrIsEEEESE_SE_iNS9_4plusIvEENS9_8equal_toIvEEiEE10hipError_tPvRmT2_T3_T4_T5_mT6_T7_P12ihipStream_tbENKUlT_T0_E_clISt17integral_constantIbLb0EESY_IbLb1EEEEDaSU_SV_EUlSU_E_NS1_11comp_targetILNS1_3genE10ELNS1_11target_archE1200ELNS1_3gpuE4ELNS1_3repE0EEENS1_30default_config_static_selectorELNS0_4arch9wavefront6targetE1EEEvT1_,comdat
	.protected	_ZN7rocprim17ROCPRIM_400000_NS6detail17trampoline_kernelINS0_14default_configENS1_27scan_by_key_config_selectorIsiEEZZNS1_16scan_by_key_implILNS1_25lookback_scan_determinismE0ELb1ES3_N6thrust23THRUST_200600_302600_NS6detail15normal_iteratorINS9_10device_ptrIsEEEESE_SE_iNS9_4plusIvEENS9_8equal_toIvEEiEE10hipError_tPvRmT2_T3_T4_T5_mT6_T7_P12ihipStream_tbENKUlT_T0_E_clISt17integral_constantIbLb0EESY_IbLb1EEEEDaSU_SV_EUlSU_E_NS1_11comp_targetILNS1_3genE10ELNS1_11target_archE1200ELNS1_3gpuE4ELNS1_3repE0EEENS1_30default_config_static_selectorELNS0_4arch9wavefront6targetE1EEEvT1_ ; -- Begin function _ZN7rocprim17ROCPRIM_400000_NS6detail17trampoline_kernelINS0_14default_configENS1_27scan_by_key_config_selectorIsiEEZZNS1_16scan_by_key_implILNS1_25lookback_scan_determinismE0ELb1ES3_N6thrust23THRUST_200600_302600_NS6detail15normal_iteratorINS9_10device_ptrIsEEEESE_SE_iNS9_4plusIvEENS9_8equal_toIvEEiEE10hipError_tPvRmT2_T3_T4_T5_mT6_T7_P12ihipStream_tbENKUlT_T0_E_clISt17integral_constantIbLb0EESY_IbLb1EEEEDaSU_SV_EUlSU_E_NS1_11comp_targetILNS1_3genE10ELNS1_11target_archE1200ELNS1_3gpuE4ELNS1_3repE0EEENS1_30default_config_static_selectorELNS0_4arch9wavefront6targetE1EEEvT1_
	.globl	_ZN7rocprim17ROCPRIM_400000_NS6detail17trampoline_kernelINS0_14default_configENS1_27scan_by_key_config_selectorIsiEEZZNS1_16scan_by_key_implILNS1_25lookback_scan_determinismE0ELb1ES3_N6thrust23THRUST_200600_302600_NS6detail15normal_iteratorINS9_10device_ptrIsEEEESE_SE_iNS9_4plusIvEENS9_8equal_toIvEEiEE10hipError_tPvRmT2_T3_T4_T5_mT6_T7_P12ihipStream_tbENKUlT_T0_E_clISt17integral_constantIbLb0EESY_IbLb1EEEEDaSU_SV_EUlSU_E_NS1_11comp_targetILNS1_3genE10ELNS1_11target_archE1200ELNS1_3gpuE4ELNS1_3repE0EEENS1_30default_config_static_selectorELNS0_4arch9wavefront6targetE1EEEvT1_
	.p2align	8
	.type	_ZN7rocprim17ROCPRIM_400000_NS6detail17trampoline_kernelINS0_14default_configENS1_27scan_by_key_config_selectorIsiEEZZNS1_16scan_by_key_implILNS1_25lookback_scan_determinismE0ELb1ES3_N6thrust23THRUST_200600_302600_NS6detail15normal_iteratorINS9_10device_ptrIsEEEESE_SE_iNS9_4plusIvEENS9_8equal_toIvEEiEE10hipError_tPvRmT2_T3_T4_T5_mT6_T7_P12ihipStream_tbENKUlT_T0_E_clISt17integral_constantIbLb0EESY_IbLb1EEEEDaSU_SV_EUlSU_E_NS1_11comp_targetILNS1_3genE10ELNS1_11target_archE1200ELNS1_3gpuE4ELNS1_3repE0EEENS1_30default_config_static_selectorELNS0_4arch9wavefront6targetE1EEEvT1_,@function
_ZN7rocprim17ROCPRIM_400000_NS6detail17trampoline_kernelINS0_14default_configENS1_27scan_by_key_config_selectorIsiEEZZNS1_16scan_by_key_implILNS1_25lookback_scan_determinismE0ELb1ES3_N6thrust23THRUST_200600_302600_NS6detail15normal_iteratorINS9_10device_ptrIsEEEESE_SE_iNS9_4plusIvEENS9_8equal_toIvEEiEE10hipError_tPvRmT2_T3_T4_T5_mT6_T7_P12ihipStream_tbENKUlT_T0_E_clISt17integral_constantIbLb0EESY_IbLb1EEEEDaSU_SV_EUlSU_E_NS1_11comp_targetILNS1_3genE10ELNS1_11target_archE1200ELNS1_3gpuE4ELNS1_3repE0EEENS1_30default_config_static_selectorELNS0_4arch9wavefront6targetE1EEEvT1_: ; @_ZN7rocprim17ROCPRIM_400000_NS6detail17trampoline_kernelINS0_14default_configENS1_27scan_by_key_config_selectorIsiEEZZNS1_16scan_by_key_implILNS1_25lookback_scan_determinismE0ELb1ES3_N6thrust23THRUST_200600_302600_NS6detail15normal_iteratorINS9_10device_ptrIsEEEESE_SE_iNS9_4plusIvEENS9_8equal_toIvEEiEE10hipError_tPvRmT2_T3_T4_T5_mT6_T7_P12ihipStream_tbENKUlT_T0_E_clISt17integral_constantIbLb0EESY_IbLb1EEEEDaSU_SV_EUlSU_E_NS1_11comp_targetILNS1_3genE10ELNS1_11target_archE1200ELNS1_3gpuE4ELNS1_3repE0EEENS1_30default_config_static_selectorELNS0_4arch9wavefront6targetE1EEEvT1_
; %bb.0:
	.section	.rodata,"a",@progbits
	.p2align	6, 0x0
	.amdhsa_kernel _ZN7rocprim17ROCPRIM_400000_NS6detail17trampoline_kernelINS0_14default_configENS1_27scan_by_key_config_selectorIsiEEZZNS1_16scan_by_key_implILNS1_25lookback_scan_determinismE0ELb1ES3_N6thrust23THRUST_200600_302600_NS6detail15normal_iteratorINS9_10device_ptrIsEEEESE_SE_iNS9_4plusIvEENS9_8equal_toIvEEiEE10hipError_tPvRmT2_T3_T4_T5_mT6_T7_P12ihipStream_tbENKUlT_T0_E_clISt17integral_constantIbLb0EESY_IbLb1EEEEDaSU_SV_EUlSU_E_NS1_11comp_targetILNS1_3genE10ELNS1_11target_archE1200ELNS1_3gpuE4ELNS1_3repE0EEENS1_30default_config_static_selectorELNS0_4arch9wavefront6targetE1EEEvT1_
		.amdhsa_group_segment_fixed_size 0
		.amdhsa_private_segment_fixed_size 0
		.amdhsa_kernarg_size 112
		.amdhsa_user_sgpr_count 6
		.amdhsa_user_sgpr_private_segment_buffer 1
		.amdhsa_user_sgpr_dispatch_ptr 0
		.amdhsa_user_sgpr_queue_ptr 0
		.amdhsa_user_sgpr_kernarg_segment_ptr 1
		.amdhsa_user_sgpr_dispatch_id 0
		.amdhsa_user_sgpr_flat_scratch_init 0
		.amdhsa_user_sgpr_kernarg_preload_length 0
		.amdhsa_user_sgpr_kernarg_preload_offset 0
		.amdhsa_user_sgpr_private_segment_size 0
		.amdhsa_uses_dynamic_stack 0
		.amdhsa_system_sgpr_private_segment_wavefront_offset 0
		.amdhsa_system_sgpr_workgroup_id_x 1
		.amdhsa_system_sgpr_workgroup_id_y 0
		.amdhsa_system_sgpr_workgroup_id_z 0
		.amdhsa_system_sgpr_workgroup_info 0
		.amdhsa_system_vgpr_workitem_id 0
		.amdhsa_next_free_vgpr 1
		.amdhsa_next_free_sgpr 0
		.amdhsa_accum_offset 4
		.amdhsa_reserve_vcc 0
		.amdhsa_reserve_flat_scratch 0
		.amdhsa_float_round_mode_32 0
		.amdhsa_float_round_mode_16_64 0
		.amdhsa_float_denorm_mode_32 3
		.amdhsa_float_denorm_mode_16_64 3
		.amdhsa_dx10_clamp 1
		.amdhsa_ieee_mode 1
		.amdhsa_fp16_overflow 0
		.amdhsa_tg_split 0
		.amdhsa_exception_fp_ieee_invalid_op 0
		.amdhsa_exception_fp_denorm_src 0
		.amdhsa_exception_fp_ieee_div_zero 0
		.amdhsa_exception_fp_ieee_overflow 0
		.amdhsa_exception_fp_ieee_underflow 0
		.amdhsa_exception_fp_ieee_inexact 0
		.amdhsa_exception_int_div_zero 0
	.end_amdhsa_kernel
	.section	.text._ZN7rocprim17ROCPRIM_400000_NS6detail17trampoline_kernelINS0_14default_configENS1_27scan_by_key_config_selectorIsiEEZZNS1_16scan_by_key_implILNS1_25lookback_scan_determinismE0ELb1ES3_N6thrust23THRUST_200600_302600_NS6detail15normal_iteratorINS9_10device_ptrIsEEEESE_SE_iNS9_4plusIvEENS9_8equal_toIvEEiEE10hipError_tPvRmT2_T3_T4_T5_mT6_T7_P12ihipStream_tbENKUlT_T0_E_clISt17integral_constantIbLb0EESY_IbLb1EEEEDaSU_SV_EUlSU_E_NS1_11comp_targetILNS1_3genE10ELNS1_11target_archE1200ELNS1_3gpuE4ELNS1_3repE0EEENS1_30default_config_static_selectorELNS0_4arch9wavefront6targetE1EEEvT1_,"axG",@progbits,_ZN7rocprim17ROCPRIM_400000_NS6detail17trampoline_kernelINS0_14default_configENS1_27scan_by_key_config_selectorIsiEEZZNS1_16scan_by_key_implILNS1_25lookback_scan_determinismE0ELb1ES3_N6thrust23THRUST_200600_302600_NS6detail15normal_iteratorINS9_10device_ptrIsEEEESE_SE_iNS9_4plusIvEENS9_8equal_toIvEEiEE10hipError_tPvRmT2_T3_T4_T5_mT6_T7_P12ihipStream_tbENKUlT_T0_E_clISt17integral_constantIbLb0EESY_IbLb1EEEEDaSU_SV_EUlSU_E_NS1_11comp_targetILNS1_3genE10ELNS1_11target_archE1200ELNS1_3gpuE4ELNS1_3repE0EEENS1_30default_config_static_selectorELNS0_4arch9wavefront6targetE1EEEvT1_,comdat
.Lfunc_end1078:
	.size	_ZN7rocprim17ROCPRIM_400000_NS6detail17trampoline_kernelINS0_14default_configENS1_27scan_by_key_config_selectorIsiEEZZNS1_16scan_by_key_implILNS1_25lookback_scan_determinismE0ELb1ES3_N6thrust23THRUST_200600_302600_NS6detail15normal_iteratorINS9_10device_ptrIsEEEESE_SE_iNS9_4plusIvEENS9_8equal_toIvEEiEE10hipError_tPvRmT2_T3_T4_T5_mT6_T7_P12ihipStream_tbENKUlT_T0_E_clISt17integral_constantIbLb0EESY_IbLb1EEEEDaSU_SV_EUlSU_E_NS1_11comp_targetILNS1_3genE10ELNS1_11target_archE1200ELNS1_3gpuE4ELNS1_3repE0EEENS1_30default_config_static_selectorELNS0_4arch9wavefront6targetE1EEEvT1_, .Lfunc_end1078-_ZN7rocprim17ROCPRIM_400000_NS6detail17trampoline_kernelINS0_14default_configENS1_27scan_by_key_config_selectorIsiEEZZNS1_16scan_by_key_implILNS1_25lookback_scan_determinismE0ELb1ES3_N6thrust23THRUST_200600_302600_NS6detail15normal_iteratorINS9_10device_ptrIsEEEESE_SE_iNS9_4plusIvEENS9_8equal_toIvEEiEE10hipError_tPvRmT2_T3_T4_T5_mT6_T7_P12ihipStream_tbENKUlT_T0_E_clISt17integral_constantIbLb0EESY_IbLb1EEEEDaSU_SV_EUlSU_E_NS1_11comp_targetILNS1_3genE10ELNS1_11target_archE1200ELNS1_3gpuE4ELNS1_3repE0EEENS1_30default_config_static_selectorELNS0_4arch9wavefront6targetE1EEEvT1_
                                        ; -- End function
	.section	.AMDGPU.csdata,"",@progbits
; Kernel info:
; codeLenInByte = 0
; NumSgprs: 4
; NumVgprs: 0
; NumAgprs: 0
; TotalNumVgprs: 0
; ScratchSize: 0
; MemoryBound: 0
; FloatMode: 240
; IeeeMode: 1
; LDSByteSize: 0 bytes/workgroup (compile time only)
; SGPRBlocks: 0
; VGPRBlocks: 0
; NumSGPRsForWavesPerEU: 4
; NumVGPRsForWavesPerEU: 1
; AccumOffset: 4
; Occupancy: 8
; WaveLimiterHint : 0
; COMPUTE_PGM_RSRC2:SCRATCH_EN: 0
; COMPUTE_PGM_RSRC2:USER_SGPR: 6
; COMPUTE_PGM_RSRC2:TRAP_HANDLER: 0
; COMPUTE_PGM_RSRC2:TGID_X_EN: 1
; COMPUTE_PGM_RSRC2:TGID_Y_EN: 0
; COMPUTE_PGM_RSRC2:TGID_Z_EN: 0
; COMPUTE_PGM_RSRC2:TIDIG_COMP_CNT: 0
; COMPUTE_PGM_RSRC3_GFX90A:ACCUM_OFFSET: 0
; COMPUTE_PGM_RSRC3_GFX90A:TG_SPLIT: 0
	.section	.text._ZN7rocprim17ROCPRIM_400000_NS6detail17trampoline_kernelINS0_14default_configENS1_27scan_by_key_config_selectorIsiEEZZNS1_16scan_by_key_implILNS1_25lookback_scan_determinismE0ELb1ES3_N6thrust23THRUST_200600_302600_NS6detail15normal_iteratorINS9_10device_ptrIsEEEESE_SE_iNS9_4plusIvEENS9_8equal_toIvEEiEE10hipError_tPvRmT2_T3_T4_T5_mT6_T7_P12ihipStream_tbENKUlT_T0_E_clISt17integral_constantIbLb0EESY_IbLb1EEEEDaSU_SV_EUlSU_E_NS1_11comp_targetILNS1_3genE9ELNS1_11target_archE1100ELNS1_3gpuE3ELNS1_3repE0EEENS1_30default_config_static_selectorELNS0_4arch9wavefront6targetE1EEEvT1_,"axG",@progbits,_ZN7rocprim17ROCPRIM_400000_NS6detail17trampoline_kernelINS0_14default_configENS1_27scan_by_key_config_selectorIsiEEZZNS1_16scan_by_key_implILNS1_25lookback_scan_determinismE0ELb1ES3_N6thrust23THRUST_200600_302600_NS6detail15normal_iteratorINS9_10device_ptrIsEEEESE_SE_iNS9_4plusIvEENS9_8equal_toIvEEiEE10hipError_tPvRmT2_T3_T4_T5_mT6_T7_P12ihipStream_tbENKUlT_T0_E_clISt17integral_constantIbLb0EESY_IbLb1EEEEDaSU_SV_EUlSU_E_NS1_11comp_targetILNS1_3genE9ELNS1_11target_archE1100ELNS1_3gpuE3ELNS1_3repE0EEENS1_30default_config_static_selectorELNS0_4arch9wavefront6targetE1EEEvT1_,comdat
	.protected	_ZN7rocprim17ROCPRIM_400000_NS6detail17trampoline_kernelINS0_14default_configENS1_27scan_by_key_config_selectorIsiEEZZNS1_16scan_by_key_implILNS1_25lookback_scan_determinismE0ELb1ES3_N6thrust23THRUST_200600_302600_NS6detail15normal_iteratorINS9_10device_ptrIsEEEESE_SE_iNS9_4plusIvEENS9_8equal_toIvEEiEE10hipError_tPvRmT2_T3_T4_T5_mT6_T7_P12ihipStream_tbENKUlT_T0_E_clISt17integral_constantIbLb0EESY_IbLb1EEEEDaSU_SV_EUlSU_E_NS1_11comp_targetILNS1_3genE9ELNS1_11target_archE1100ELNS1_3gpuE3ELNS1_3repE0EEENS1_30default_config_static_selectorELNS0_4arch9wavefront6targetE1EEEvT1_ ; -- Begin function _ZN7rocprim17ROCPRIM_400000_NS6detail17trampoline_kernelINS0_14default_configENS1_27scan_by_key_config_selectorIsiEEZZNS1_16scan_by_key_implILNS1_25lookback_scan_determinismE0ELb1ES3_N6thrust23THRUST_200600_302600_NS6detail15normal_iteratorINS9_10device_ptrIsEEEESE_SE_iNS9_4plusIvEENS9_8equal_toIvEEiEE10hipError_tPvRmT2_T3_T4_T5_mT6_T7_P12ihipStream_tbENKUlT_T0_E_clISt17integral_constantIbLb0EESY_IbLb1EEEEDaSU_SV_EUlSU_E_NS1_11comp_targetILNS1_3genE9ELNS1_11target_archE1100ELNS1_3gpuE3ELNS1_3repE0EEENS1_30default_config_static_selectorELNS0_4arch9wavefront6targetE1EEEvT1_
	.globl	_ZN7rocprim17ROCPRIM_400000_NS6detail17trampoline_kernelINS0_14default_configENS1_27scan_by_key_config_selectorIsiEEZZNS1_16scan_by_key_implILNS1_25lookback_scan_determinismE0ELb1ES3_N6thrust23THRUST_200600_302600_NS6detail15normal_iteratorINS9_10device_ptrIsEEEESE_SE_iNS9_4plusIvEENS9_8equal_toIvEEiEE10hipError_tPvRmT2_T3_T4_T5_mT6_T7_P12ihipStream_tbENKUlT_T0_E_clISt17integral_constantIbLb0EESY_IbLb1EEEEDaSU_SV_EUlSU_E_NS1_11comp_targetILNS1_3genE9ELNS1_11target_archE1100ELNS1_3gpuE3ELNS1_3repE0EEENS1_30default_config_static_selectorELNS0_4arch9wavefront6targetE1EEEvT1_
	.p2align	8
	.type	_ZN7rocprim17ROCPRIM_400000_NS6detail17trampoline_kernelINS0_14default_configENS1_27scan_by_key_config_selectorIsiEEZZNS1_16scan_by_key_implILNS1_25lookback_scan_determinismE0ELb1ES3_N6thrust23THRUST_200600_302600_NS6detail15normal_iteratorINS9_10device_ptrIsEEEESE_SE_iNS9_4plusIvEENS9_8equal_toIvEEiEE10hipError_tPvRmT2_T3_T4_T5_mT6_T7_P12ihipStream_tbENKUlT_T0_E_clISt17integral_constantIbLb0EESY_IbLb1EEEEDaSU_SV_EUlSU_E_NS1_11comp_targetILNS1_3genE9ELNS1_11target_archE1100ELNS1_3gpuE3ELNS1_3repE0EEENS1_30default_config_static_selectorELNS0_4arch9wavefront6targetE1EEEvT1_,@function
_ZN7rocprim17ROCPRIM_400000_NS6detail17trampoline_kernelINS0_14default_configENS1_27scan_by_key_config_selectorIsiEEZZNS1_16scan_by_key_implILNS1_25lookback_scan_determinismE0ELb1ES3_N6thrust23THRUST_200600_302600_NS6detail15normal_iteratorINS9_10device_ptrIsEEEESE_SE_iNS9_4plusIvEENS9_8equal_toIvEEiEE10hipError_tPvRmT2_T3_T4_T5_mT6_T7_P12ihipStream_tbENKUlT_T0_E_clISt17integral_constantIbLb0EESY_IbLb1EEEEDaSU_SV_EUlSU_E_NS1_11comp_targetILNS1_3genE9ELNS1_11target_archE1100ELNS1_3gpuE3ELNS1_3repE0EEENS1_30default_config_static_selectorELNS0_4arch9wavefront6targetE1EEEvT1_: ; @_ZN7rocprim17ROCPRIM_400000_NS6detail17trampoline_kernelINS0_14default_configENS1_27scan_by_key_config_selectorIsiEEZZNS1_16scan_by_key_implILNS1_25lookback_scan_determinismE0ELb1ES3_N6thrust23THRUST_200600_302600_NS6detail15normal_iteratorINS9_10device_ptrIsEEEESE_SE_iNS9_4plusIvEENS9_8equal_toIvEEiEE10hipError_tPvRmT2_T3_T4_T5_mT6_T7_P12ihipStream_tbENKUlT_T0_E_clISt17integral_constantIbLb0EESY_IbLb1EEEEDaSU_SV_EUlSU_E_NS1_11comp_targetILNS1_3genE9ELNS1_11target_archE1100ELNS1_3gpuE3ELNS1_3repE0EEENS1_30default_config_static_selectorELNS0_4arch9wavefront6targetE1EEEvT1_
; %bb.0:
	.section	.rodata,"a",@progbits
	.p2align	6, 0x0
	.amdhsa_kernel _ZN7rocprim17ROCPRIM_400000_NS6detail17trampoline_kernelINS0_14default_configENS1_27scan_by_key_config_selectorIsiEEZZNS1_16scan_by_key_implILNS1_25lookback_scan_determinismE0ELb1ES3_N6thrust23THRUST_200600_302600_NS6detail15normal_iteratorINS9_10device_ptrIsEEEESE_SE_iNS9_4plusIvEENS9_8equal_toIvEEiEE10hipError_tPvRmT2_T3_T4_T5_mT6_T7_P12ihipStream_tbENKUlT_T0_E_clISt17integral_constantIbLb0EESY_IbLb1EEEEDaSU_SV_EUlSU_E_NS1_11comp_targetILNS1_3genE9ELNS1_11target_archE1100ELNS1_3gpuE3ELNS1_3repE0EEENS1_30default_config_static_selectorELNS0_4arch9wavefront6targetE1EEEvT1_
		.amdhsa_group_segment_fixed_size 0
		.amdhsa_private_segment_fixed_size 0
		.amdhsa_kernarg_size 112
		.amdhsa_user_sgpr_count 6
		.amdhsa_user_sgpr_private_segment_buffer 1
		.amdhsa_user_sgpr_dispatch_ptr 0
		.amdhsa_user_sgpr_queue_ptr 0
		.amdhsa_user_sgpr_kernarg_segment_ptr 1
		.amdhsa_user_sgpr_dispatch_id 0
		.amdhsa_user_sgpr_flat_scratch_init 0
		.amdhsa_user_sgpr_kernarg_preload_length 0
		.amdhsa_user_sgpr_kernarg_preload_offset 0
		.amdhsa_user_sgpr_private_segment_size 0
		.amdhsa_uses_dynamic_stack 0
		.amdhsa_system_sgpr_private_segment_wavefront_offset 0
		.amdhsa_system_sgpr_workgroup_id_x 1
		.amdhsa_system_sgpr_workgroup_id_y 0
		.amdhsa_system_sgpr_workgroup_id_z 0
		.amdhsa_system_sgpr_workgroup_info 0
		.amdhsa_system_vgpr_workitem_id 0
		.amdhsa_next_free_vgpr 1
		.amdhsa_next_free_sgpr 0
		.amdhsa_accum_offset 4
		.amdhsa_reserve_vcc 0
		.amdhsa_reserve_flat_scratch 0
		.amdhsa_float_round_mode_32 0
		.amdhsa_float_round_mode_16_64 0
		.amdhsa_float_denorm_mode_32 3
		.amdhsa_float_denorm_mode_16_64 3
		.amdhsa_dx10_clamp 1
		.amdhsa_ieee_mode 1
		.amdhsa_fp16_overflow 0
		.amdhsa_tg_split 0
		.amdhsa_exception_fp_ieee_invalid_op 0
		.amdhsa_exception_fp_denorm_src 0
		.amdhsa_exception_fp_ieee_div_zero 0
		.amdhsa_exception_fp_ieee_overflow 0
		.amdhsa_exception_fp_ieee_underflow 0
		.amdhsa_exception_fp_ieee_inexact 0
		.amdhsa_exception_int_div_zero 0
	.end_amdhsa_kernel
	.section	.text._ZN7rocprim17ROCPRIM_400000_NS6detail17trampoline_kernelINS0_14default_configENS1_27scan_by_key_config_selectorIsiEEZZNS1_16scan_by_key_implILNS1_25lookback_scan_determinismE0ELb1ES3_N6thrust23THRUST_200600_302600_NS6detail15normal_iteratorINS9_10device_ptrIsEEEESE_SE_iNS9_4plusIvEENS9_8equal_toIvEEiEE10hipError_tPvRmT2_T3_T4_T5_mT6_T7_P12ihipStream_tbENKUlT_T0_E_clISt17integral_constantIbLb0EESY_IbLb1EEEEDaSU_SV_EUlSU_E_NS1_11comp_targetILNS1_3genE9ELNS1_11target_archE1100ELNS1_3gpuE3ELNS1_3repE0EEENS1_30default_config_static_selectorELNS0_4arch9wavefront6targetE1EEEvT1_,"axG",@progbits,_ZN7rocprim17ROCPRIM_400000_NS6detail17trampoline_kernelINS0_14default_configENS1_27scan_by_key_config_selectorIsiEEZZNS1_16scan_by_key_implILNS1_25lookback_scan_determinismE0ELb1ES3_N6thrust23THRUST_200600_302600_NS6detail15normal_iteratorINS9_10device_ptrIsEEEESE_SE_iNS9_4plusIvEENS9_8equal_toIvEEiEE10hipError_tPvRmT2_T3_T4_T5_mT6_T7_P12ihipStream_tbENKUlT_T0_E_clISt17integral_constantIbLb0EESY_IbLb1EEEEDaSU_SV_EUlSU_E_NS1_11comp_targetILNS1_3genE9ELNS1_11target_archE1100ELNS1_3gpuE3ELNS1_3repE0EEENS1_30default_config_static_selectorELNS0_4arch9wavefront6targetE1EEEvT1_,comdat
.Lfunc_end1079:
	.size	_ZN7rocprim17ROCPRIM_400000_NS6detail17trampoline_kernelINS0_14default_configENS1_27scan_by_key_config_selectorIsiEEZZNS1_16scan_by_key_implILNS1_25lookback_scan_determinismE0ELb1ES3_N6thrust23THRUST_200600_302600_NS6detail15normal_iteratorINS9_10device_ptrIsEEEESE_SE_iNS9_4plusIvEENS9_8equal_toIvEEiEE10hipError_tPvRmT2_T3_T4_T5_mT6_T7_P12ihipStream_tbENKUlT_T0_E_clISt17integral_constantIbLb0EESY_IbLb1EEEEDaSU_SV_EUlSU_E_NS1_11comp_targetILNS1_3genE9ELNS1_11target_archE1100ELNS1_3gpuE3ELNS1_3repE0EEENS1_30default_config_static_selectorELNS0_4arch9wavefront6targetE1EEEvT1_, .Lfunc_end1079-_ZN7rocprim17ROCPRIM_400000_NS6detail17trampoline_kernelINS0_14default_configENS1_27scan_by_key_config_selectorIsiEEZZNS1_16scan_by_key_implILNS1_25lookback_scan_determinismE0ELb1ES3_N6thrust23THRUST_200600_302600_NS6detail15normal_iteratorINS9_10device_ptrIsEEEESE_SE_iNS9_4plusIvEENS9_8equal_toIvEEiEE10hipError_tPvRmT2_T3_T4_T5_mT6_T7_P12ihipStream_tbENKUlT_T0_E_clISt17integral_constantIbLb0EESY_IbLb1EEEEDaSU_SV_EUlSU_E_NS1_11comp_targetILNS1_3genE9ELNS1_11target_archE1100ELNS1_3gpuE3ELNS1_3repE0EEENS1_30default_config_static_selectorELNS0_4arch9wavefront6targetE1EEEvT1_
                                        ; -- End function
	.section	.AMDGPU.csdata,"",@progbits
; Kernel info:
; codeLenInByte = 0
; NumSgprs: 4
; NumVgprs: 0
; NumAgprs: 0
; TotalNumVgprs: 0
; ScratchSize: 0
; MemoryBound: 0
; FloatMode: 240
; IeeeMode: 1
; LDSByteSize: 0 bytes/workgroup (compile time only)
; SGPRBlocks: 0
; VGPRBlocks: 0
; NumSGPRsForWavesPerEU: 4
; NumVGPRsForWavesPerEU: 1
; AccumOffset: 4
; Occupancy: 8
; WaveLimiterHint : 0
; COMPUTE_PGM_RSRC2:SCRATCH_EN: 0
; COMPUTE_PGM_RSRC2:USER_SGPR: 6
; COMPUTE_PGM_RSRC2:TRAP_HANDLER: 0
; COMPUTE_PGM_RSRC2:TGID_X_EN: 1
; COMPUTE_PGM_RSRC2:TGID_Y_EN: 0
; COMPUTE_PGM_RSRC2:TGID_Z_EN: 0
; COMPUTE_PGM_RSRC2:TIDIG_COMP_CNT: 0
; COMPUTE_PGM_RSRC3_GFX90A:ACCUM_OFFSET: 0
; COMPUTE_PGM_RSRC3_GFX90A:TG_SPLIT: 0
	.section	.text._ZN7rocprim17ROCPRIM_400000_NS6detail17trampoline_kernelINS0_14default_configENS1_27scan_by_key_config_selectorIsiEEZZNS1_16scan_by_key_implILNS1_25lookback_scan_determinismE0ELb1ES3_N6thrust23THRUST_200600_302600_NS6detail15normal_iteratorINS9_10device_ptrIsEEEESE_SE_iNS9_4plusIvEENS9_8equal_toIvEEiEE10hipError_tPvRmT2_T3_T4_T5_mT6_T7_P12ihipStream_tbENKUlT_T0_E_clISt17integral_constantIbLb0EESY_IbLb1EEEEDaSU_SV_EUlSU_E_NS1_11comp_targetILNS1_3genE8ELNS1_11target_archE1030ELNS1_3gpuE2ELNS1_3repE0EEENS1_30default_config_static_selectorELNS0_4arch9wavefront6targetE1EEEvT1_,"axG",@progbits,_ZN7rocprim17ROCPRIM_400000_NS6detail17trampoline_kernelINS0_14default_configENS1_27scan_by_key_config_selectorIsiEEZZNS1_16scan_by_key_implILNS1_25lookback_scan_determinismE0ELb1ES3_N6thrust23THRUST_200600_302600_NS6detail15normal_iteratorINS9_10device_ptrIsEEEESE_SE_iNS9_4plusIvEENS9_8equal_toIvEEiEE10hipError_tPvRmT2_T3_T4_T5_mT6_T7_P12ihipStream_tbENKUlT_T0_E_clISt17integral_constantIbLb0EESY_IbLb1EEEEDaSU_SV_EUlSU_E_NS1_11comp_targetILNS1_3genE8ELNS1_11target_archE1030ELNS1_3gpuE2ELNS1_3repE0EEENS1_30default_config_static_selectorELNS0_4arch9wavefront6targetE1EEEvT1_,comdat
	.protected	_ZN7rocprim17ROCPRIM_400000_NS6detail17trampoline_kernelINS0_14default_configENS1_27scan_by_key_config_selectorIsiEEZZNS1_16scan_by_key_implILNS1_25lookback_scan_determinismE0ELb1ES3_N6thrust23THRUST_200600_302600_NS6detail15normal_iteratorINS9_10device_ptrIsEEEESE_SE_iNS9_4plusIvEENS9_8equal_toIvEEiEE10hipError_tPvRmT2_T3_T4_T5_mT6_T7_P12ihipStream_tbENKUlT_T0_E_clISt17integral_constantIbLb0EESY_IbLb1EEEEDaSU_SV_EUlSU_E_NS1_11comp_targetILNS1_3genE8ELNS1_11target_archE1030ELNS1_3gpuE2ELNS1_3repE0EEENS1_30default_config_static_selectorELNS0_4arch9wavefront6targetE1EEEvT1_ ; -- Begin function _ZN7rocprim17ROCPRIM_400000_NS6detail17trampoline_kernelINS0_14default_configENS1_27scan_by_key_config_selectorIsiEEZZNS1_16scan_by_key_implILNS1_25lookback_scan_determinismE0ELb1ES3_N6thrust23THRUST_200600_302600_NS6detail15normal_iteratorINS9_10device_ptrIsEEEESE_SE_iNS9_4plusIvEENS9_8equal_toIvEEiEE10hipError_tPvRmT2_T3_T4_T5_mT6_T7_P12ihipStream_tbENKUlT_T0_E_clISt17integral_constantIbLb0EESY_IbLb1EEEEDaSU_SV_EUlSU_E_NS1_11comp_targetILNS1_3genE8ELNS1_11target_archE1030ELNS1_3gpuE2ELNS1_3repE0EEENS1_30default_config_static_selectorELNS0_4arch9wavefront6targetE1EEEvT1_
	.globl	_ZN7rocprim17ROCPRIM_400000_NS6detail17trampoline_kernelINS0_14default_configENS1_27scan_by_key_config_selectorIsiEEZZNS1_16scan_by_key_implILNS1_25lookback_scan_determinismE0ELb1ES3_N6thrust23THRUST_200600_302600_NS6detail15normal_iteratorINS9_10device_ptrIsEEEESE_SE_iNS9_4plusIvEENS9_8equal_toIvEEiEE10hipError_tPvRmT2_T3_T4_T5_mT6_T7_P12ihipStream_tbENKUlT_T0_E_clISt17integral_constantIbLb0EESY_IbLb1EEEEDaSU_SV_EUlSU_E_NS1_11comp_targetILNS1_3genE8ELNS1_11target_archE1030ELNS1_3gpuE2ELNS1_3repE0EEENS1_30default_config_static_selectorELNS0_4arch9wavefront6targetE1EEEvT1_
	.p2align	8
	.type	_ZN7rocprim17ROCPRIM_400000_NS6detail17trampoline_kernelINS0_14default_configENS1_27scan_by_key_config_selectorIsiEEZZNS1_16scan_by_key_implILNS1_25lookback_scan_determinismE0ELb1ES3_N6thrust23THRUST_200600_302600_NS6detail15normal_iteratorINS9_10device_ptrIsEEEESE_SE_iNS9_4plusIvEENS9_8equal_toIvEEiEE10hipError_tPvRmT2_T3_T4_T5_mT6_T7_P12ihipStream_tbENKUlT_T0_E_clISt17integral_constantIbLb0EESY_IbLb1EEEEDaSU_SV_EUlSU_E_NS1_11comp_targetILNS1_3genE8ELNS1_11target_archE1030ELNS1_3gpuE2ELNS1_3repE0EEENS1_30default_config_static_selectorELNS0_4arch9wavefront6targetE1EEEvT1_,@function
_ZN7rocprim17ROCPRIM_400000_NS6detail17trampoline_kernelINS0_14default_configENS1_27scan_by_key_config_selectorIsiEEZZNS1_16scan_by_key_implILNS1_25lookback_scan_determinismE0ELb1ES3_N6thrust23THRUST_200600_302600_NS6detail15normal_iteratorINS9_10device_ptrIsEEEESE_SE_iNS9_4plusIvEENS9_8equal_toIvEEiEE10hipError_tPvRmT2_T3_T4_T5_mT6_T7_P12ihipStream_tbENKUlT_T0_E_clISt17integral_constantIbLb0EESY_IbLb1EEEEDaSU_SV_EUlSU_E_NS1_11comp_targetILNS1_3genE8ELNS1_11target_archE1030ELNS1_3gpuE2ELNS1_3repE0EEENS1_30default_config_static_selectorELNS0_4arch9wavefront6targetE1EEEvT1_: ; @_ZN7rocprim17ROCPRIM_400000_NS6detail17trampoline_kernelINS0_14default_configENS1_27scan_by_key_config_selectorIsiEEZZNS1_16scan_by_key_implILNS1_25lookback_scan_determinismE0ELb1ES3_N6thrust23THRUST_200600_302600_NS6detail15normal_iteratorINS9_10device_ptrIsEEEESE_SE_iNS9_4plusIvEENS9_8equal_toIvEEiEE10hipError_tPvRmT2_T3_T4_T5_mT6_T7_P12ihipStream_tbENKUlT_T0_E_clISt17integral_constantIbLb0EESY_IbLb1EEEEDaSU_SV_EUlSU_E_NS1_11comp_targetILNS1_3genE8ELNS1_11target_archE1030ELNS1_3gpuE2ELNS1_3repE0EEENS1_30default_config_static_selectorELNS0_4arch9wavefront6targetE1EEEvT1_
; %bb.0:
	.section	.rodata,"a",@progbits
	.p2align	6, 0x0
	.amdhsa_kernel _ZN7rocprim17ROCPRIM_400000_NS6detail17trampoline_kernelINS0_14default_configENS1_27scan_by_key_config_selectorIsiEEZZNS1_16scan_by_key_implILNS1_25lookback_scan_determinismE0ELb1ES3_N6thrust23THRUST_200600_302600_NS6detail15normal_iteratorINS9_10device_ptrIsEEEESE_SE_iNS9_4plusIvEENS9_8equal_toIvEEiEE10hipError_tPvRmT2_T3_T4_T5_mT6_T7_P12ihipStream_tbENKUlT_T0_E_clISt17integral_constantIbLb0EESY_IbLb1EEEEDaSU_SV_EUlSU_E_NS1_11comp_targetILNS1_3genE8ELNS1_11target_archE1030ELNS1_3gpuE2ELNS1_3repE0EEENS1_30default_config_static_selectorELNS0_4arch9wavefront6targetE1EEEvT1_
		.amdhsa_group_segment_fixed_size 0
		.amdhsa_private_segment_fixed_size 0
		.amdhsa_kernarg_size 112
		.amdhsa_user_sgpr_count 6
		.amdhsa_user_sgpr_private_segment_buffer 1
		.amdhsa_user_sgpr_dispatch_ptr 0
		.amdhsa_user_sgpr_queue_ptr 0
		.amdhsa_user_sgpr_kernarg_segment_ptr 1
		.amdhsa_user_sgpr_dispatch_id 0
		.amdhsa_user_sgpr_flat_scratch_init 0
		.amdhsa_user_sgpr_kernarg_preload_length 0
		.amdhsa_user_sgpr_kernarg_preload_offset 0
		.amdhsa_user_sgpr_private_segment_size 0
		.amdhsa_uses_dynamic_stack 0
		.amdhsa_system_sgpr_private_segment_wavefront_offset 0
		.amdhsa_system_sgpr_workgroup_id_x 1
		.amdhsa_system_sgpr_workgroup_id_y 0
		.amdhsa_system_sgpr_workgroup_id_z 0
		.amdhsa_system_sgpr_workgroup_info 0
		.amdhsa_system_vgpr_workitem_id 0
		.amdhsa_next_free_vgpr 1
		.amdhsa_next_free_sgpr 0
		.amdhsa_accum_offset 4
		.amdhsa_reserve_vcc 0
		.amdhsa_reserve_flat_scratch 0
		.amdhsa_float_round_mode_32 0
		.amdhsa_float_round_mode_16_64 0
		.amdhsa_float_denorm_mode_32 3
		.amdhsa_float_denorm_mode_16_64 3
		.amdhsa_dx10_clamp 1
		.amdhsa_ieee_mode 1
		.amdhsa_fp16_overflow 0
		.amdhsa_tg_split 0
		.amdhsa_exception_fp_ieee_invalid_op 0
		.amdhsa_exception_fp_denorm_src 0
		.amdhsa_exception_fp_ieee_div_zero 0
		.amdhsa_exception_fp_ieee_overflow 0
		.amdhsa_exception_fp_ieee_underflow 0
		.amdhsa_exception_fp_ieee_inexact 0
		.amdhsa_exception_int_div_zero 0
	.end_amdhsa_kernel
	.section	.text._ZN7rocprim17ROCPRIM_400000_NS6detail17trampoline_kernelINS0_14default_configENS1_27scan_by_key_config_selectorIsiEEZZNS1_16scan_by_key_implILNS1_25lookback_scan_determinismE0ELb1ES3_N6thrust23THRUST_200600_302600_NS6detail15normal_iteratorINS9_10device_ptrIsEEEESE_SE_iNS9_4plusIvEENS9_8equal_toIvEEiEE10hipError_tPvRmT2_T3_T4_T5_mT6_T7_P12ihipStream_tbENKUlT_T0_E_clISt17integral_constantIbLb0EESY_IbLb1EEEEDaSU_SV_EUlSU_E_NS1_11comp_targetILNS1_3genE8ELNS1_11target_archE1030ELNS1_3gpuE2ELNS1_3repE0EEENS1_30default_config_static_selectorELNS0_4arch9wavefront6targetE1EEEvT1_,"axG",@progbits,_ZN7rocprim17ROCPRIM_400000_NS6detail17trampoline_kernelINS0_14default_configENS1_27scan_by_key_config_selectorIsiEEZZNS1_16scan_by_key_implILNS1_25lookback_scan_determinismE0ELb1ES3_N6thrust23THRUST_200600_302600_NS6detail15normal_iteratorINS9_10device_ptrIsEEEESE_SE_iNS9_4plusIvEENS9_8equal_toIvEEiEE10hipError_tPvRmT2_T3_T4_T5_mT6_T7_P12ihipStream_tbENKUlT_T0_E_clISt17integral_constantIbLb0EESY_IbLb1EEEEDaSU_SV_EUlSU_E_NS1_11comp_targetILNS1_3genE8ELNS1_11target_archE1030ELNS1_3gpuE2ELNS1_3repE0EEENS1_30default_config_static_selectorELNS0_4arch9wavefront6targetE1EEEvT1_,comdat
.Lfunc_end1080:
	.size	_ZN7rocprim17ROCPRIM_400000_NS6detail17trampoline_kernelINS0_14default_configENS1_27scan_by_key_config_selectorIsiEEZZNS1_16scan_by_key_implILNS1_25lookback_scan_determinismE0ELb1ES3_N6thrust23THRUST_200600_302600_NS6detail15normal_iteratorINS9_10device_ptrIsEEEESE_SE_iNS9_4plusIvEENS9_8equal_toIvEEiEE10hipError_tPvRmT2_T3_T4_T5_mT6_T7_P12ihipStream_tbENKUlT_T0_E_clISt17integral_constantIbLb0EESY_IbLb1EEEEDaSU_SV_EUlSU_E_NS1_11comp_targetILNS1_3genE8ELNS1_11target_archE1030ELNS1_3gpuE2ELNS1_3repE0EEENS1_30default_config_static_selectorELNS0_4arch9wavefront6targetE1EEEvT1_, .Lfunc_end1080-_ZN7rocprim17ROCPRIM_400000_NS6detail17trampoline_kernelINS0_14default_configENS1_27scan_by_key_config_selectorIsiEEZZNS1_16scan_by_key_implILNS1_25lookback_scan_determinismE0ELb1ES3_N6thrust23THRUST_200600_302600_NS6detail15normal_iteratorINS9_10device_ptrIsEEEESE_SE_iNS9_4plusIvEENS9_8equal_toIvEEiEE10hipError_tPvRmT2_T3_T4_T5_mT6_T7_P12ihipStream_tbENKUlT_T0_E_clISt17integral_constantIbLb0EESY_IbLb1EEEEDaSU_SV_EUlSU_E_NS1_11comp_targetILNS1_3genE8ELNS1_11target_archE1030ELNS1_3gpuE2ELNS1_3repE0EEENS1_30default_config_static_selectorELNS0_4arch9wavefront6targetE1EEEvT1_
                                        ; -- End function
	.section	.AMDGPU.csdata,"",@progbits
; Kernel info:
; codeLenInByte = 0
; NumSgprs: 4
; NumVgprs: 0
; NumAgprs: 0
; TotalNumVgprs: 0
; ScratchSize: 0
; MemoryBound: 0
; FloatMode: 240
; IeeeMode: 1
; LDSByteSize: 0 bytes/workgroup (compile time only)
; SGPRBlocks: 0
; VGPRBlocks: 0
; NumSGPRsForWavesPerEU: 4
; NumVGPRsForWavesPerEU: 1
; AccumOffset: 4
; Occupancy: 8
; WaveLimiterHint : 0
; COMPUTE_PGM_RSRC2:SCRATCH_EN: 0
; COMPUTE_PGM_RSRC2:USER_SGPR: 6
; COMPUTE_PGM_RSRC2:TRAP_HANDLER: 0
; COMPUTE_PGM_RSRC2:TGID_X_EN: 1
; COMPUTE_PGM_RSRC2:TGID_Y_EN: 0
; COMPUTE_PGM_RSRC2:TGID_Z_EN: 0
; COMPUTE_PGM_RSRC2:TIDIG_COMP_CNT: 0
; COMPUTE_PGM_RSRC3_GFX90A:ACCUM_OFFSET: 0
; COMPUTE_PGM_RSRC3_GFX90A:TG_SPLIT: 0
	.section	.text._ZN6thrust23THRUST_200600_302600_NS11hip_rocprim14__parallel_for6kernelILj256ENS1_11__transform17unary_transform_fINS0_7pointerIiNS1_3tagENS0_11use_defaultES8_EENS0_10device_ptrIdEENS4_14no_stencil_tagENS0_8identityIiEENS4_21always_true_predicateEEElLj1EEEvT0_T1_SI_,"axG",@progbits,_ZN6thrust23THRUST_200600_302600_NS11hip_rocprim14__parallel_for6kernelILj256ENS1_11__transform17unary_transform_fINS0_7pointerIiNS1_3tagENS0_11use_defaultES8_EENS0_10device_ptrIdEENS4_14no_stencil_tagENS0_8identityIiEENS4_21always_true_predicateEEElLj1EEEvT0_T1_SI_,comdat
	.protected	_ZN6thrust23THRUST_200600_302600_NS11hip_rocprim14__parallel_for6kernelILj256ENS1_11__transform17unary_transform_fINS0_7pointerIiNS1_3tagENS0_11use_defaultES8_EENS0_10device_ptrIdEENS4_14no_stencil_tagENS0_8identityIiEENS4_21always_true_predicateEEElLj1EEEvT0_T1_SI_ ; -- Begin function _ZN6thrust23THRUST_200600_302600_NS11hip_rocprim14__parallel_for6kernelILj256ENS1_11__transform17unary_transform_fINS0_7pointerIiNS1_3tagENS0_11use_defaultES8_EENS0_10device_ptrIdEENS4_14no_stencil_tagENS0_8identityIiEENS4_21always_true_predicateEEElLj1EEEvT0_T1_SI_
	.globl	_ZN6thrust23THRUST_200600_302600_NS11hip_rocprim14__parallel_for6kernelILj256ENS1_11__transform17unary_transform_fINS0_7pointerIiNS1_3tagENS0_11use_defaultES8_EENS0_10device_ptrIdEENS4_14no_stencil_tagENS0_8identityIiEENS4_21always_true_predicateEEElLj1EEEvT0_T1_SI_
	.p2align	8
	.type	_ZN6thrust23THRUST_200600_302600_NS11hip_rocprim14__parallel_for6kernelILj256ENS1_11__transform17unary_transform_fINS0_7pointerIiNS1_3tagENS0_11use_defaultES8_EENS0_10device_ptrIdEENS4_14no_stencil_tagENS0_8identityIiEENS4_21always_true_predicateEEElLj1EEEvT0_T1_SI_,@function
_ZN6thrust23THRUST_200600_302600_NS11hip_rocprim14__parallel_for6kernelILj256ENS1_11__transform17unary_transform_fINS0_7pointerIiNS1_3tagENS0_11use_defaultES8_EENS0_10device_ptrIdEENS4_14no_stencil_tagENS0_8identityIiEENS4_21always_true_predicateEEElLj1EEEvT0_T1_SI_: ; @_ZN6thrust23THRUST_200600_302600_NS11hip_rocprim14__parallel_for6kernelILj256ENS1_11__transform17unary_transform_fINS0_7pointerIiNS1_3tagENS0_11use_defaultES8_EENS0_10device_ptrIdEENS4_14no_stencil_tagENS0_8identityIiEENS4_21always_true_predicateEEElLj1EEEvT0_T1_SI_
; %bb.0:
	s_load_dwordx4 s[8:11], s[4:5], 0x18
	s_load_dwordx4 s[0:3], s[4:5], 0x0
	s_lshl_b32 s4, s6, 8
	v_mov_b32_e32 v2, 0x100
	v_mov_b32_e32 v3, 0
	s_waitcnt lgkmcnt(0)
	s_add_u32 s6, s4, s10
	s_addc_u32 s7, 0, s11
	s_sub_u32 s4, s8, s6
	s_subb_u32 s5, s9, s7
	v_cmp_lt_i64_e32 vcc, s[4:5], v[2:3]
	s_and_b64 s[8:9], vcc, exec
	s_cselect_b32 s8, s4, 0x100
	s_cmpk_lg_i32 s8, 0x100
	s_mov_b64 s[4:5], -1
	s_cbranch_scc1 .LBB1081_3
; %bb.1:
	s_andn2_b64 vcc, exec, s[4:5]
	s_cbranch_vccz .LBB1081_6
.LBB1081_2:
	s_endpgm
.LBB1081_3:
	v_cmp_gt_u32_e32 vcc, s8, v0
	s_and_saveexec_b64 s[4:5], vcc
	s_cbranch_execz .LBB1081_5
; %bb.4:
	v_mov_b32_e32 v1, s7
	v_add_co_u32_e32 v2, vcc, s6, v0
	v_addc_co_u32_e32 v3, vcc, 0, v1, vcc
	v_lshlrev_b64 v[4:5], 2, v[2:3]
	v_mov_b32_e32 v1, s1
	v_add_co_u32_e32 v4, vcc, s0, v4
	v_addc_co_u32_e32 v5, vcc, v1, v5, vcc
	flat_load_dword v1, v[4:5]
	v_lshlrev_b64 v[2:3], 3, v[2:3]
	v_mov_b32_e32 v4, s3
	v_add_co_u32_e32 v2, vcc, s2, v2
	v_addc_co_u32_e32 v3, vcc, v4, v3, vcc
	s_waitcnt vmcnt(0) lgkmcnt(0)
	v_cvt_f64_i32_e32 v[4:5], v1
	flat_store_dwordx2 v[2:3], v[4:5]
.LBB1081_5:
	s_or_b64 exec, exec, s[4:5]
	s_cbranch_execnz .LBB1081_2
.LBB1081_6:
	v_mov_b32_e32 v1, s7
	v_add_co_u32_e32 v0, vcc, s6, v0
	v_addc_co_u32_e32 v1, vcc, 0, v1, vcc
	v_lshlrev_b64 v[2:3], 2, v[0:1]
	v_mov_b32_e32 v4, s1
	v_add_co_u32_e32 v2, vcc, s0, v2
	v_addc_co_u32_e32 v3, vcc, v4, v3, vcc
	flat_load_dword v2, v[2:3]
	v_lshlrev_b64 v[0:1], 3, v[0:1]
	v_mov_b32_e32 v4, s3
	v_add_co_u32_e32 v0, vcc, s2, v0
	v_addc_co_u32_e32 v1, vcc, v4, v1, vcc
	s_waitcnt vmcnt(0) lgkmcnt(0)
	v_cvt_f64_i32_e32 v[2:3], v2
	flat_store_dwordx2 v[0:1], v[2:3]
	s_endpgm
	.section	.rodata,"a",@progbits
	.p2align	6, 0x0
	.amdhsa_kernel _ZN6thrust23THRUST_200600_302600_NS11hip_rocprim14__parallel_for6kernelILj256ENS1_11__transform17unary_transform_fINS0_7pointerIiNS1_3tagENS0_11use_defaultES8_EENS0_10device_ptrIdEENS4_14no_stencil_tagENS0_8identityIiEENS4_21always_true_predicateEEElLj1EEEvT0_T1_SI_
		.amdhsa_group_segment_fixed_size 0
		.amdhsa_private_segment_fixed_size 0
		.amdhsa_kernarg_size 40
		.amdhsa_user_sgpr_count 6
		.amdhsa_user_sgpr_private_segment_buffer 1
		.amdhsa_user_sgpr_dispatch_ptr 0
		.amdhsa_user_sgpr_queue_ptr 0
		.amdhsa_user_sgpr_kernarg_segment_ptr 1
		.amdhsa_user_sgpr_dispatch_id 0
		.amdhsa_user_sgpr_flat_scratch_init 0
		.amdhsa_user_sgpr_kernarg_preload_length 0
		.amdhsa_user_sgpr_kernarg_preload_offset 0
		.amdhsa_user_sgpr_private_segment_size 0
		.amdhsa_uses_dynamic_stack 0
		.amdhsa_system_sgpr_private_segment_wavefront_offset 0
		.amdhsa_system_sgpr_workgroup_id_x 1
		.amdhsa_system_sgpr_workgroup_id_y 0
		.amdhsa_system_sgpr_workgroup_id_z 0
		.amdhsa_system_sgpr_workgroup_info 0
		.amdhsa_system_vgpr_workitem_id 0
		.amdhsa_next_free_vgpr 6
		.amdhsa_next_free_sgpr 12
		.amdhsa_accum_offset 8
		.amdhsa_reserve_vcc 1
		.amdhsa_reserve_flat_scratch 0
		.amdhsa_float_round_mode_32 0
		.amdhsa_float_round_mode_16_64 0
		.amdhsa_float_denorm_mode_32 3
		.amdhsa_float_denorm_mode_16_64 3
		.amdhsa_dx10_clamp 1
		.amdhsa_ieee_mode 1
		.amdhsa_fp16_overflow 0
		.amdhsa_tg_split 0
		.amdhsa_exception_fp_ieee_invalid_op 0
		.amdhsa_exception_fp_denorm_src 0
		.amdhsa_exception_fp_ieee_div_zero 0
		.amdhsa_exception_fp_ieee_overflow 0
		.amdhsa_exception_fp_ieee_underflow 0
		.amdhsa_exception_fp_ieee_inexact 0
		.amdhsa_exception_int_div_zero 0
	.end_amdhsa_kernel
	.section	.text._ZN6thrust23THRUST_200600_302600_NS11hip_rocprim14__parallel_for6kernelILj256ENS1_11__transform17unary_transform_fINS0_7pointerIiNS1_3tagENS0_11use_defaultES8_EENS0_10device_ptrIdEENS4_14no_stencil_tagENS0_8identityIiEENS4_21always_true_predicateEEElLj1EEEvT0_T1_SI_,"axG",@progbits,_ZN6thrust23THRUST_200600_302600_NS11hip_rocprim14__parallel_for6kernelILj256ENS1_11__transform17unary_transform_fINS0_7pointerIiNS1_3tagENS0_11use_defaultES8_EENS0_10device_ptrIdEENS4_14no_stencil_tagENS0_8identityIiEENS4_21always_true_predicateEEElLj1EEEvT0_T1_SI_,comdat
.Lfunc_end1081:
	.size	_ZN6thrust23THRUST_200600_302600_NS11hip_rocprim14__parallel_for6kernelILj256ENS1_11__transform17unary_transform_fINS0_7pointerIiNS1_3tagENS0_11use_defaultES8_EENS0_10device_ptrIdEENS4_14no_stencil_tagENS0_8identityIiEENS4_21always_true_predicateEEElLj1EEEvT0_T1_SI_, .Lfunc_end1081-_ZN6thrust23THRUST_200600_302600_NS11hip_rocprim14__parallel_for6kernelILj256ENS1_11__transform17unary_transform_fINS0_7pointerIiNS1_3tagENS0_11use_defaultES8_EENS0_10device_ptrIdEENS4_14no_stencil_tagENS0_8identityIiEENS4_21always_true_predicateEEElLj1EEEvT0_T1_SI_
                                        ; -- End function
	.section	.AMDGPU.csdata,"",@progbits
; Kernel info:
; codeLenInByte = 268
; NumSgprs: 16
; NumVgprs: 6
; NumAgprs: 0
; TotalNumVgprs: 6
; ScratchSize: 0
; MemoryBound: 0
; FloatMode: 240
; IeeeMode: 1
; LDSByteSize: 0 bytes/workgroup (compile time only)
; SGPRBlocks: 1
; VGPRBlocks: 0
; NumSGPRsForWavesPerEU: 16
; NumVGPRsForWavesPerEU: 6
; AccumOffset: 8
; Occupancy: 8
; WaveLimiterHint : 0
; COMPUTE_PGM_RSRC2:SCRATCH_EN: 0
; COMPUTE_PGM_RSRC2:USER_SGPR: 6
; COMPUTE_PGM_RSRC2:TRAP_HANDLER: 0
; COMPUTE_PGM_RSRC2:TGID_X_EN: 1
; COMPUTE_PGM_RSRC2:TGID_Y_EN: 0
; COMPUTE_PGM_RSRC2:TGID_Z_EN: 0
; COMPUTE_PGM_RSRC2:TIDIG_COMP_CNT: 0
; COMPUTE_PGM_RSRC3_GFX90A:ACCUM_OFFSET: 1
; COMPUTE_PGM_RSRC3_GFX90A:TG_SPLIT: 0
	.section	.text._ZN6thrust23THRUST_200600_302600_NS11hip_rocprim14__parallel_for6kernelILj256ENS1_20__uninitialized_fill7functorINS0_10device_ptrIdEEdEEmLj1EEEvT0_T1_SA_,"axG",@progbits,_ZN6thrust23THRUST_200600_302600_NS11hip_rocprim14__parallel_for6kernelILj256ENS1_20__uninitialized_fill7functorINS0_10device_ptrIdEEdEEmLj1EEEvT0_T1_SA_,comdat
	.protected	_ZN6thrust23THRUST_200600_302600_NS11hip_rocprim14__parallel_for6kernelILj256ENS1_20__uninitialized_fill7functorINS0_10device_ptrIdEEdEEmLj1EEEvT0_T1_SA_ ; -- Begin function _ZN6thrust23THRUST_200600_302600_NS11hip_rocprim14__parallel_for6kernelILj256ENS1_20__uninitialized_fill7functorINS0_10device_ptrIdEEdEEmLj1EEEvT0_T1_SA_
	.globl	_ZN6thrust23THRUST_200600_302600_NS11hip_rocprim14__parallel_for6kernelILj256ENS1_20__uninitialized_fill7functorINS0_10device_ptrIdEEdEEmLj1EEEvT0_T1_SA_
	.p2align	8
	.type	_ZN6thrust23THRUST_200600_302600_NS11hip_rocprim14__parallel_for6kernelILj256ENS1_20__uninitialized_fill7functorINS0_10device_ptrIdEEdEEmLj1EEEvT0_T1_SA_,@function
_ZN6thrust23THRUST_200600_302600_NS11hip_rocprim14__parallel_for6kernelILj256ENS1_20__uninitialized_fill7functorINS0_10device_ptrIdEEdEEmLj1EEEvT0_T1_SA_: ; @_ZN6thrust23THRUST_200600_302600_NS11hip_rocprim14__parallel_for6kernelILj256ENS1_20__uninitialized_fill7functorINS0_10device_ptrIdEEdEEmLj1EEEvT0_T1_SA_
; %bb.0:
	s_load_dwordx8 s[8:15], s[4:5], 0x0
	s_lshl_b32 s0, s6, 8
	v_mov_b32_e32 v2, 0x100
	v_mov_b32_e32 v3, 0
	s_waitcnt lgkmcnt(0)
	s_add_u32 s0, s0, s14
	s_addc_u32 s1, 0, s15
	s_sub_u32 s2, s12, s0
	s_subb_u32 s3, s13, s1
	v_cmp_lt_u64_e32 vcc, s[2:3], v[2:3]
	s_cbranch_vccz .LBB1082_2
; %bb.1:
	v_cmp_gt_u32_e32 vcc, s2, v0
	s_and_b64 s[2:3], vcc, exec
	s_cbranch_execz .LBB1082_3
	s_branch .LBB1082_4
.LBB1082_2:
	s_mov_b64 s[2:3], 0
.LBB1082_3:
	s_or_b64 s[2:3], s[2:3], exec
.LBB1082_4:
	s_and_saveexec_b64 s[4:5], s[2:3]
	s_cbranch_execnz .LBB1082_6
; %bb.5:
	s_endpgm
.LBB1082_6:
	s_lshl_b64 s[0:1], s[0:1], 3
	v_mov_b32_e32 v1, 0
	s_add_u32 s0, s8, s0
	s_addc_u32 s1, s9, s1
	v_lshlrev_b64 v[0:1], 3, v[0:1]
	v_mov_b32_e32 v4, s1
	v_add_co_u32_e32 v0, vcc, s0, v0
	v_mov_b32_e32 v2, s10
	v_mov_b32_e32 v3, s11
	v_addc_co_u32_e32 v1, vcc, v4, v1, vcc
	flat_store_dwordx2 v[0:1], v[2:3]
	s_endpgm
	.section	.rodata,"a",@progbits
	.p2align	6, 0x0
	.amdhsa_kernel _ZN6thrust23THRUST_200600_302600_NS11hip_rocprim14__parallel_for6kernelILj256ENS1_20__uninitialized_fill7functorINS0_10device_ptrIdEEdEEmLj1EEEvT0_T1_SA_
		.amdhsa_group_segment_fixed_size 0
		.amdhsa_private_segment_fixed_size 0
		.amdhsa_kernarg_size 32
		.amdhsa_user_sgpr_count 6
		.amdhsa_user_sgpr_private_segment_buffer 1
		.amdhsa_user_sgpr_dispatch_ptr 0
		.amdhsa_user_sgpr_queue_ptr 0
		.amdhsa_user_sgpr_kernarg_segment_ptr 1
		.amdhsa_user_sgpr_dispatch_id 0
		.amdhsa_user_sgpr_flat_scratch_init 0
		.amdhsa_user_sgpr_kernarg_preload_length 0
		.amdhsa_user_sgpr_kernarg_preload_offset 0
		.amdhsa_user_sgpr_private_segment_size 0
		.amdhsa_uses_dynamic_stack 0
		.amdhsa_system_sgpr_private_segment_wavefront_offset 0
		.amdhsa_system_sgpr_workgroup_id_x 1
		.amdhsa_system_sgpr_workgroup_id_y 0
		.amdhsa_system_sgpr_workgroup_id_z 0
		.amdhsa_system_sgpr_workgroup_info 0
		.amdhsa_system_vgpr_workitem_id 0
		.amdhsa_next_free_vgpr 5
		.amdhsa_next_free_sgpr 16
		.amdhsa_accum_offset 8
		.amdhsa_reserve_vcc 1
		.amdhsa_reserve_flat_scratch 0
		.amdhsa_float_round_mode_32 0
		.amdhsa_float_round_mode_16_64 0
		.amdhsa_float_denorm_mode_32 3
		.amdhsa_float_denorm_mode_16_64 3
		.amdhsa_dx10_clamp 1
		.amdhsa_ieee_mode 1
		.amdhsa_fp16_overflow 0
		.amdhsa_tg_split 0
		.amdhsa_exception_fp_ieee_invalid_op 0
		.amdhsa_exception_fp_denorm_src 0
		.amdhsa_exception_fp_ieee_div_zero 0
		.amdhsa_exception_fp_ieee_overflow 0
		.amdhsa_exception_fp_ieee_underflow 0
		.amdhsa_exception_fp_ieee_inexact 0
		.amdhsa_exception_int_div_zero 0
	.end_amdhsa_kernel
	.section	.text._ZN6thrust23THRUST_200600_302600_NS11hip_rocprim14__parallel_for6kernelILj256ENS1_20__uninitialized_fill7functorINS0_10device_ptrIdEEdEEmLj1EEEvT0_T1_SA_,"axG",@progbits,_ZN6thrust23THRUST_200600_302600_NS11hip_rocprim14__parallel_for6kernelILj256ENS1_20__uninitialized_fill7functorINS0_10device_ptrIdEEdEEmLj1EEEvT0_T1_SA_,comdat
.Lfunc_end1082:
	.size	_ZN6thrust23THRUST_200600_302600_NS11hip_rocprim14__parallel_for6kernelILj256ENS1_20__uninitialized_fill7functorINS0_10device_ptrIdEEdEEmLj1EEEvT0_T1_SA_, .Lfunc_end1082-_ZN6thrust23THRUST_200600_302600_NS11hip_rocprim14__parallel_for6kernelILj256ENS1_20__uninitialized_fill7functorINS0_10device_ptrIdEEdEEmLj1EEEvT0_T1_SA_
                                        ; -- End function
	.section	.AMDGPU.csdata,"",@progbits
; Kernel info:
; codeLenInByte = 144
; NumSgprs: 20
; NumVgprs: 5
; NumAgprs: 0
; TotalNumVgprs: 5
; ScratchSize: 0
; MemoryBound: 0
; FloatMode: 240
; IeeeMode: 1
; LDSByteSize: 0 bytes/workgroup (compile time only)
; SGPRBlocks: 2
; VGPRBlocks: 0
; NumSGPRsForWavesPerEU: 20
; NumVGPRsForWavesPerEU: 5
; AccumOffset: 8
; Occupancy: 8
; WaveLimiterHint : 0
; COMPUTE_PGM_RSRC2:SCRATCH_EN: 0
; COMPUTE_PGM_RSRC2:USER_SGPR: 6
; COMPUTE_PGM_RSRC2:TRAP_HANDLER: 0
; COMPUTE_PGM_RSRC2:TGID_X_EN: 1
; COMPUTE_PGM_RSRC2:TGID_Y_EN: 0
; COMPUTE_PGM_RSRC2:TGID_Z_EN: 0
; COMPUTE_PGM_RSRC2:TIDIG_COMP_CNT: 0
; COMPUTE_PGM_RSRC3_GFX90A:ACCUM_OFFSET: 1
; COMPUTE_PGM_RSRC3_GFX90A:TG_SPLIT: 0
	.section	.text._ZN7rocprim17ROCPRIM_400000_NS6detail30init_device_scan_by_key_kernelINS1_19lookback_scan_stateINS0_5tupleIJdbEEELb0ELb0EEEN6thrust23THRUST_200600_302600_NS6detail15normal_iteratorINS8_10device_ptrIiEEEEjNS1_16block_id_wrapperIjLb0EEEEEvT_jjPNSG_10value_typeET0_PNSt15iterator_traitsISJ_E10value_typeEmT1_T2_,"axG",@progbits,_ZN7rocprim17ROCPRIM_400000_NS6detail30init_device_scan_by_key_kernelINS1_19lookback_scan_stateINS0_5tupleIJdbEEELb0ELb0EEEN6thrust23THRUST_200600_302600_NS6detail15normal_iteratorINS8_10device_ptrIiEEEEjNS1_16block_id_wrapperIjLb0EEEEEvT_jjPNSG_10value_typeET0_PNSt15iterator_traitsISJ_E10value_typeEmT1_T2_,comdat
	.protected	_ZN7rocprim17ROCPRIM_400000_NS6detail30init_device_scan_by_key_kernelINS1_19lookback_scan_stateINS0_5tupleIJdbEEELb0ELb0EEEN6thrust23THRUST_200600_302600_NS6detail15normal_iteratorINS8_10device_ptrIiEEEEjNS1_16block_id_wrapperIjLb0EEEEEvT_jjPNSG_10value_typeET0_PNSt15iterator_traitsISJ_E10value_typeEmT1_T2_ ; -- Begin function _ZN7rocprim17ROCPRIM_400000_NS6detail30init_device_scan_by_key_kernelINS1_19lookback_scan_stateINS0_5tupleIJdbEEELb0ELb0EEEN6thrust23THRUST_200600_302600_NS6detail15normal_iteratorINS8_10device_ptrIiEEEEjNS1_16block_id_wrapperIjLb0EEEEEvT_jjPNSG_10value_typeET0_PNSt15iterator_traitsISJ_E10value_typeEmT1_T2_
	.globl	_ZN7rocprim17ROCPRIM_400000_NS6detail30init_device_scan_by_key_kernelINS1_19lookback_scan_stateINS0_5tupleIJdbEEELb0ELb0EEEN6thrust23THRUST_200600_302600_NS6detail15normal_iteratorINS8_10device_ptrIiEEEEjNS1_16block_id_wrapperIjLb0EEEEEvT_jjPNSG_10value_typeET0_PNSt15iterator_traitsISJ_E10value_typeEmT1_T2_
	.p2align	8
	.type	_ZN7rocprim17ROCPRIM_400000_NS6detail30init_device_scan_by_key_kernelINS1_19lookback_scan_stateINS0_5tupleIJdbEEELb0ELb0EEEN6thrust23THRUST_200600_302600_NS6detail15normal_iteratorINS8_10device_ptrIiEEEEjNS1_16block_id_wrapperIjLb0EEEEEvT_jjPNSG_10value_typeET0_PNSt15iterator_traitsISJ_E10value_typeEmT1_T2_,@function
_ZN7rocprim17ROCPRIM_400000_NS6detail30init_device_scan_by_key_kernelINS1_19lookback_scan_stateINS0_5tupleIJdbEEELb0ELb0EEEN6thrust23THRUST_200600_302600_NS6detail15normal_iteratorINS8_10device_ptrIiEEEEjNS1_16block_id_wrapperIjLb0EEEEEvT_jjPNSG_10value_typeET0_PNSt15iterator_traitsISJ_E10value_typeEmT1_T2_: ; @_ZN7rocprim17ROCPRIM_400000_NS6detail30init_device_scan_by_key_kernelINS1_19lookback_scan_stateINS0_5tupleIJdbEEELb0ELb0EEEN6thrust23THRUST_200600_302600_NS6detail15normal_iteratorINS8_10device_ptrIiEEEEjNS1_16block_id_wrapperIjLb0EEEEEvT_jjPNSG_10value_typeET0_PNSt15iterator_traitsISJ_E10value_typeEmT1_T2_
; %bb.0:
	s_load_dword s0, s[4:5], 0x54
	s_load_dwordx8 s[8:15], s[4:5], 0x10
	s_load_dword s20, s[4:5], 0x48
	s_waitcnt lgkmcnt(0)
	s_and_b32 s21, s0, 0xffff
	s_mul_i32 s6, s6, s21
	s_cmp_eq_u64 s[12:13], 0
	v_add_u32_e32 v0, s6, v0
	s_cbranch_scc1 .LBB1083_7
; %bb.1:
	s_cmp_lt_u32 s11, s10
	s_cselect_b32 s0, s11, 0
	s_mov_b32 s17, 0
	v_cmp_eq_u32_e32 vcc, s0, v0
	s_and_saveexec_b64 s[6:7], vcc
	s_cbranch_execz .LBB1083_6
; %bb.2:
	s_add_i32 s16, s11, 64
	v_mov_b32_e32 v1, s16
	global_load_ubyte v1, v1, s[8:9] glc
	s_load_dwordx4 s[0:3], s[4:5], 0x0
	s_add_u32 s18, s8, s16
	s_addc_u32 s19, s9, 0
	s_waitcnt vmcnt(0)
	v_cmp_ne_u16_e32 vcc, 0, v1
	v_readfirstlane_b32 s11, v1
	s_cbranch_vccnz .LBB1083_5
; %bb.3:
	v_mov_b32_e32 v1, 0
.LBB1083_4:                             ; =>This Inner Loop Header: Depth=1
	global_load_ubyte v2, v1, s[18:19] glc
	s_waitcnt vmcnt(0)
	v_cmp_eq_u16_e32 vcc, 0, v2
	v_readfirstlane_b32 s11, v2
	s_cbranch_vccnz .LBB1083_4
.LBB1083_5:
	s_and_b32 s11, 0xffff, s11
	s_cmp_eq_u32 s11, 1
	s_waitcnt lgkmcnt(0)
	s_cselect_b32 s3, s1, s3
	s_cselect_b32 s2, s0, s2
	s_lshl_b64 s[0:1], s[16:17], 4
	s_add_u32 s0, s2, s0
	s_addc_u32 s1, s3, s1
	v_mov_b32_e32 v1, 0
	buffer_wbinvl1_vol
	global_load_dwordx2 v[2:3], v1, s[0:1]
	global_load_ubyte v4, v1, s[0:1] offset:8
	s_waitcnt vmcnt(1)
	global_store_dwordx2 v1, v[2:3], s[12:13]
	s_waitcnt vmcnt(1)
	global_store_byte v1, v4, s[12:13] offset:8
.LBB1083_6:
	s_or_b64 exec, exec, s[6:7]
.LBB1083_7:
	v_cmp_gt_u32_e32 vcc, s10, v0
	s_and_saveexec_b64 s[0:1], vcc
	s_cbranch_execz .LBB1083_9
; %bb.8:
	v_add_u32_e32 v1, 64, v0
	v_mov_b32_e32 v2, 0
	global_store_byte v1, v2, s[8:9]
.LBB1083_9:
	s_or_b64 exec, exec, s[0:1]
	v_cmp_gt_u32_e32 vcc, 64, v0
	v_mov_b32_e32 v1, 0
	s_and_saveexec_b64 s[0:1], vcc
	s_cbranch_execz .LBB1083_11
; %bb.10:
	v_mov_b32_e32 v3, s9
	v_add_co_u32_e32 v2, vcc, s8, v0
	v_addc_co_u32_e32 v3, vcc, 0, v3, vcc
	v_mov_b32_e32 v4, 0xff
	global_store_byte v[2:3], v4, off
.LBB1083_11:
	s_or_b64 exec, exec, s[0:1]
	s_load_dwordx2 s[0:1], s[4:5], 0x38
	s_waitcnt lgkmcnt(0)
	v_cmp_gt_u64_e32 vcc, s[0:1], v[0:1]
	s_and_saveexec_b64 s[2:3], vcc
	s_cbranch_execz .LBB1083_14
; %bb.12:
	s_load_dword s10, s[4:5], 0x40
	s_load_dwordx2 s[6:7], s[4:5], 0x30
	s_mov_b32 s5, 0
	s_mov_b32 s3, s5
	s_mul_i32 s2, s20, s21
	s_waitcnt lgkmcnt(0)
	s_add_i32 s4, s10, -1
	s_lshl_b64 s[4:5], s[4:5], 2
	v_mad_u64_u32 v[2:3], s[8:9], s10, v0, 0
	s_add_u32 s4, s14, s4
	v_lshlrev_b64 v[2:3], 2, v[2:3]
	s_addc_u32 s5, s15, s5
	v_mov_b32_e32 v4, s5
	v_add_co_u32_e32 v2, vcc, s4, v2
	v_addc_co_u32_e32 v3, vcc, v4, v3, vcc
	s_mul_hi_u32 s5, s10, s2
	s_mul_i32 s4, s10, s2
	v_lshlrev_b64 v[4:5], 2, v[0:1]
	s_lshl_b64 s[4:5], s[4:5], 2
	v_mov_b32_e32 v6, s7
	v_add_co_u32_e32 v4, vcc, s6, v4
	s_lshl_b64 s[6:7], s[2:3], 2
	v_addc_co_u32_e32 v5, vcc, v6, v5, vcc
	s_mov_b64 s[8:9], 0
	v_mov_b32_e32 v6, s3
	v_mov_b32_e32 v7, s5
	;; [unrolled: 1-line block ×3, first 2 shown]
.LBB1083_13:                            ; =>This Inner Loop Header: Depth=1
	global_load_dword v9, v[2:3], off
	v_add_co_u32_e32 v0, vcc, s2, v0
	v_addc_co_u32_e32 v1, vcc, v1, v6, vcc
	v_add_co_u32_e32 v2, vcc, s4, v2
	v_addc_co_u32_e32 v3, vcc, v3, v7, vcc
	v_cmp_le_u64_e32 vcc, s[0:1], v[0:1]
	s_or_b64 s[8:9], vcc, s[8:9]
	s_waitcnt vmcnt(0)
	global_store_dword v[4:5], v9, off
	v_add_co_u32_e32 v4, vcc, s6, v4
	v_addc_co_u32_e32 v5, vcc, v5, v8, vcc
	s_andn2_b64 exec, exec, s[8:9]
	s_cbranch_execnz .LBB1083_13
.LBB1083_14:
	s_endpgm
	.section	.rodata,"a",@progbits
	.p2align	6, 0x0
	.amdhsa_kernel _ZN7rocprim17ROCPRIM_400000_NS6detail30init_device_scan_by_key_kernelINS1_19lookback_scan_stateINS0_5tupleIJdbEEELb0ELb0EEEN6thrust23THRUST_200600_302600_NS6detail15normal_iteratorINS8_10device_ptrIiEEEEjNS1_16block_id_wrapperIjLb0EEEEEvT_jjPNSG_10value_typeET0_PNSt15iterator_traitsISJ_E10value_typeEmT1_T2_
		.amdhsa_group_segment_fixed_size 0
		.amdhsa_private_segment_fixed_size 0
		.amdhsa_kernarg_size 328
		.amdhsa_user_sgpr_count 6
		.amdhsa_user_sgpr_private_segment_buffer 1
		.amdhsa_user_sgpr_dispatch_ptr 0
		.amdhsa_user_sgpr_queue_ptr 0
		.amdhsa_user_sgpr_kernarg_segment_ptr 1
		.amdhsa_user_sgpr_dispatch_id 0
		.amdhsa_user_sgpr_flat_scratch_init 0
		.amdhsa_user_sgpr_kernarg_preload_length 0
		.amdhsa_user_sgpr_kernarg_preload_offset 0
		.amdhsa_user_sgpr_private_segment_size 0
		.amdhsa_uses_dynamic_stack 0
		.amdhsa_system_sgpr_private_segment_wavefront_offset 0
		.amdhsa_system_sgpr_workgroup_id_x 1
		.amdhsa_system_sgpr_workgroup_id_y 0
		.amdhsa_system_sgpr_workgroup_id_z 0
		.amdhsa_system_sgpr_workgroup_info 0
		.amdhsa_system_vgpr_workitem_id 0
		.amdhsa_next_free_vgpr 10
		.amdhsa_next_free_sgpr 22
		.amdhsa_accum_offset 12
		.amdhsa_reserve_vcc 1
		.amdhsa_reserve_flat_scratch 0
		.amdhsa_float_round_mode_32 0
		.amdhsa_float_round_mode_16_64 0
		.amdhsa_float_denorm_mode_32 3
		.amdhsa_float_denorm_mode_16_64 3
		.amdhsa_dx10_clamp 1
		.amdhsa_ieee_mode 1
		.amdhsa_fp16_overflow 0
		.amdhsa_tg_split 0
		.amdhsa_exception_fp_ieee_invalid_op 0
		.amdhsa_exception_fp_denorm_src 0
		.amdhsa_exception_fp_ieee_div_zero 0
		.amdhsa_exception_fp_ieee_overflow 0
		.amdhsa_exception_fp_ieee_underflow 0
		.amdhsa_exception_fp_ieee_inexact 0
		.amdhsa_exception_int_div_zero 0
	.end_amdhsa_kernel
	.section	.text._ZN7rocprim17ROCPRIM_400000_NS6detail30init_device_scan_by_key_kernelINS1_19lookback_scan_stateINS0_5tupleIJdbEEELb0ELb0EEEN6thrust23THRUST_200600_302600_NS6detail15normal_iteratorINS8_10device_ptrIiEEEEjNS1_16block_id_wrapperIjLb0EEEEEvT_jjPNSG_10value_typeET0_PNSt15iterator_traitsISJ_E10value_typeEmT1_T2_,"axG",@progbits,_ZN7rocprim17ROCPRIM_400000_NS6detail30init_device_scan_by_key_kernelINS1_19lookback_scan_stateINS0_5tupleIJdbEEELb0ELb0EEEN6thrust23THRUST_200600_302600_NS6detail15normal_iteratorINS8_10device_ptrIiEEEEjNS1_16block_id_wrapperIjLb0EEEEEvT_jjPNSG_10value_typeET0_PNSt15iterator_traitsISJ_E10value_typeEmT1_T2_,comdat
.Lfunc_end1083:
	.size	_ZN7rocprim17ROCPRIM_400000_NS6detail30init_device_scan_by_key_kernelINS1_19lookback_scan_stateINS0_5tupleIJdbEEELb0ELb0EEEN6thrust23THRUST_200600_302600_NS6detail15normal_iteratorINS8_10device_ptrIiEEEEjNS1_16block_id_wrapperIjLb0EEEEEvT_jjPNSG_10value_typeET0_PNSt15iterator_traitsISJ_E10value_typeEmT1_T2_, .Lfunc_end1083-_ZN7rocprim17ROCPRIM_400000_NS6detail30init_device_scan_by_key_kernelINS1_19lookback_scan_stateINS0_5tupleIJdbEEELb0ELb0EEEN6thrust23THRUST_200600_302600_NS6detail15normal_iteratorINS8_10device_ptrIiEEEEjNS1_16block_id_wrapperIjLb0EEEEEvT_jjPNSG_10value_typeET0_PNSt15iterator_traitsISJ_E10value_typeEmT1_T2_
                                        ; -- End function
	.section	.AMDGPU.csdata,"",@progbits
; Kernel info:
; codeLenInByte = 540
; NumSgprs: 26
; NumVgprs: 10
; NumAgprs: 0
; TotalNumVgprs: 10
; ScratchSize: 0
; MemoryBound: 0
; FloatMode: 240
; IeeeMode: 1
; LDSByteSize: 0 bytes/workgroup (compile time only)
; SGPRBlocks: 3
; VGPRBlocks: 1
; NumSGPRsForWavesPerEU: 26
; NumVGPRsForWavesPerEU: 10
; AccumOffset: 12
; Occupancy: 8
; WaveLimiterHint : 0
; COMPUTE_PGM_RSRC2:SCRATCH_EN: 0
; COMPUTE_PGM_RSRC2:USER_SGPR: 6
; COMPUTE_PGM_RSRC2:TRAP_HANDLER: 0
; COMPUTE_PGM_RSRC2:TGID_X_EN: 1
; COMPUTE_PGM_RSRC2:TGID_Y_EN: 0
; COMPUTE_PGM_RSRC2:TGID_Z_EN: 0
; COMPUTE_PGM_RSRC2:TIDIG_COMP_CNT: 0
; COMPUTE_PGM_RSRC3_GFX90A:ACCUM_OFFSET: 2
; COMPUTE_PGM_RSRC3_GFX90A:TG_SPLIT: 0
	.section	.text._ZN7rocprim17ROCPRIM_400000_NS6detail30init_device_scan_by_key_kernelINS1_19lookback_scan_stateINS0_5tupleIJdbEEELb0ELb0EEENS1_16block_id_wrapperIjLb0EEEEEvT_jjPNS9_10value_typeET0_,"axG",@progbits,_ZN7rocprim17ROCPRIM_400000_NS6detail30init_device_scan_by_key_kernelINS1_19lookback_scan_stateINS0_5tupleIJdbEEELb0ELb0EEENS1_16block_id_wrapperIjLb0EEEEEvT_jjPNS9_10value_typeET0_,comdat
	.protected	_ZN7rocprim17ROCPRIM_400000_NS6detail30init_device_scan_by_key_kernelINS1_19lookback_scan_stateINS0_5tupleIJdbEEELb0ELb0EEENS1_16block_id_wrapperIjLb0EEEEEvT_jjPNS9_10value_typeET0_ ; -- Begin function _ZN7rocprim17ROCPRIM_400000_NS6detail30init_device_scan_by_key_kernelINS1_19lookback_scan_stateINS0_5tupleIJdbEEELb0ELb0EEENS1_16block_id_wrapperIjLb0EEEEEvT_jjPNS9_10value_typeET0_
	.globl	_ZN7rocprim17ROCPRIM_400000_NS6detail30init_device_scan_by_key_kernelINS1_19lookback_scan_stateINS0_5tupleIJdbEEELb0ELb0EEENS1_16block_id_wrapperIjLb0EEEEEvT_jjPNS9_10value_typeET0_
	.p2align	8
	.type	_ZN7rocprim17ROCPRIM_400000_NS6detail30init_device_scan_by_key_kernelINS1_19lookback_scan_stateINS0_5tupleIJdbEEELb0ELb0EEENS1_16block_id_wrapperIjLb0EEEEEvT_jjPNS9_10value_typeET0_,@function
_ZN7rocprim17ROCPRIM_400000_NS6detail30init_device_scan_by_key_kernelINS1_19lookback_scan_stateINS0_5tupleIJdbEEELb0ELb0EEENS1_16block_id_wrapperIjLb0EEEEEvT_jjPNS9_10value_typeET0_: ; @_ZN7rocprim17ROCPRIM_400000_NS6detail30init_device_scan_by_key_kernelINS1_19lookback_scan_stateINS0_5tupleIJdbEEELb0ELb0EEENS1_16block_id_wrapperIjLb0EEEEEvT_jjPNS9_10value_typeET0_
; %bb.0:
	s_load_dword s7, s[4:5], 0x3c
	s_load_dwordx2 s[8:9], s[4:5], 0x20
	s_load_dwordx4 s[0:3], s[4:5], 0x10
	s_waitcnt lgkmcnt(0)
	s_and_b32 s7, s7, 0xffff
	s_mul_i32 s6, s6, s7
	s_cmp_eq_u64 s[8:9], 0
	v_add_u32_e32 v0, s6, v0
	s_cbranch_scc1 .LBB1084_7
; %bb.1:
	s_cmp_lt_u32 s3, s2
	s_cselect_b32 s6, s3, 0
	s_mov_b32 s13, 0
	v_cmp_eq_u32_e32 vcc, s6, v0
	s_and_saveexec_b64 s[10:11], vcc
	s_cbranch_execz .LBB1084_6
; %bb.2:
	s_add_i32 s12, s3, 64
	v_mov_b32_e32 v1, s12
	global_load_ubyte v1, v1, s[0:1] glc
	s_load_dwordx4 s[4:7], s[4:5], 0x0
	s_add_u32 s14, s0, s12
	s_addc_u32 s15, s1, 0
	s_waitcnt vmcnt(0)
	v_cmp_ne_u16_e32 vcc, 0, v1
	v_readfirstlane_b32 s3, v1
	s_cbranch_vccnz .LBB1084_5
; %bb.3:
	v_mov_b32_e32 v1, 0
.LBB1084_4:                             ; =>This Inner Loop Header: Depth=1
	global_load_ubyte v2, v1, s[14:15] glc
	s_waitcnt vmcnt(0)
	v_cmp_eq_u16_e32 vcc, 0, v2
	v_readfirstlane_b32 s3, v2
	s_cbranch_vccnz .LBB1084_4
.LBB1084_5:
	s_and_b32 s3, 0xffff, s3
	s_cmp_eq_u32 s3, 1
	s_waitcnt lgkmcnt(0)
	s_cselect_b32 s3, s5, s7
	s_cselect_b32 s6, s4, s6
	s_lshl_b64 s[4:5], s[12:13], 4
	s_add_u32 s4, s6, s4
	s_addc_u32 s5, s3, s5
	v_mov_b32_e32 v1, 0
	buffer_wbinvl1_vol
	global_load_dwordx2 v[2:3], v1, s[4:5]
	global_load_ubyte v4, v1, s[4:5] offset:8
	s_waitcnt vmcnt(1)
	global_store_dwordx2 v1, v[2:3], s[8:9]
	s_waitcnt vmcnt(1)
	global_store_byte v1, v4, s[8:9] offset:8
.LBB1084_6:
	s_or_b64 exec, exec, s[10:11]
.LBB1084_7:
	v_cmp_gt_u32_e32 vcc, s2, v0
	s_and_saveexec_b64 s[2:3], vcc
	s_cbranch_execnz .LBB1084_10
; %bb.8:
	s_or_b64 exec, exec, s[2:3]
	v_cmp_gt_u32_e32 vcc, 64, v0
	s_and_saveexec_b64 s[2:3], vcc
	s_cbranch_execnz .LBB1084_11
.LBB1084_9:
	s_endpgm
.LBB1084_10:
	v_add_u32_e32 v1, 64, v0
	v_mov_b32_e32 v2, 0
	global_store_byte v1, v2, s[0:1]
	s_or_b64 exec, exec, s[2:3]
	v_cmp_gt_u32_e32 vcc, 64, v0
	s_and_saveexec_b64 s[2:3], vcc
	s_cbranch_execz .LBB1084_9
.LBB1084_11:
	v_mov_b32_e32 v1, 0xff
	global_store_byte v0, v1, s[0:1]
	s_endpgm
	.section	.rodata,"a",@progbits
	.p2align	6, 0x0
	.amdhsa_kernel _ZN7rocprim17ROCPRIM_400000_NS6detail30init_device_scan_by_key_kernelINS1_19lookback_scan_stateINS0_5tupleIJdbEEELb0ELb0EEENS1_16block_id_wrapperIjLb0EEEEEvT_jjPNS9_10value_typeET0_
		.amdhsa_group_segment_fixed_size 0
		.amdhsa_private_segment_fixed_size 0
		.amdhsa_kernarg_size 304
		.amdhsa_user_sgpr_count 6
		.amdhsa_user_sgpr_private_segment_buffer 1
		.amdhsa_user_sgpr_dispatch_ptr 0
		.amdhsa_user_sgpr_queue_ptr 0
		.amdhsa_user_sgpr_kernarg_segment_ptr 1
		.amdhsa_user_sgpr_dispatch_id 0
		.amdhsa_user_sgpr_flat_scratch_init 0
		.amdhsa_user_sgpr_kernarg_preload_length 0
		.amdhsa_user_sgpr_kernarg_preload_offset 0
		.amdhsa_user_sgpr_private_segment_size 0
		.amdhsa_uses_dynamic_stack 0
		.amdhsa_system_sgpr_private_segment_wavefront_offset 0
		.amdhsa_system_sgpr_workgroup_id_x 1
		.amdhsa_system_sgpr_workgroup_id_y 0
		.amdhsa_system_sgpr_workgroup_id_z 0
		.amdhsa_system_sgpr_workgroup_info 0
		.amdhsa_system_vgpr_workitem_id 0
		.amdhsa_next_free_vgpr 5
		.amdhsa_next_free_sgpr 16
		.amdhsa_accum_offset 8
		.amdhsa_reserve_vcc 1
		.amdhsa_reserve_flat_scratch 0
		.amdhsa_float_round_mode_32 0
		.amdhsa_float_round_mode_16_64 0
		.amdhsa_float_denorm_mode_32 3
		.amdhsa_float_denorm_mode_16_64 3
		.amdhsa_dx10_clamp 1
		.amdhsa_ieee_mode 1
		.amdhsa_fp16_overflow 0
		.amdhsa_tg_split 0
		.amdhsa_exception_fp_ieee_invalid_op 0
		.amdhsa_exception_fp_denorm_src 0
		.amdhsa_exception_fp_ieee_div_zero 0
		.amdhsa_exception_fp_ieee_overflow 0
		.amdhsa_exception_fp_ieee_underflow 0
		.amdhsa_exception_fp_ieee_inexact 0
		.amdhsa_exception_int_div_zero 0
	.end_amdhsa_kernel
	.section	.text._ZN7rocprim17ROCPRIM_400000_NS6detail30init_device_scan_by_key_kernelINS1_19lookback_scan_stateINS0_5tupleIJdbEEELb0ELb0EEENS1_16block_id_wrapperIjLb0EEEEEvT_jjPNS9_10value_typeET0_,"axG",@progbits,_ZN7rocprim17ROCPRIM_400000_NS6detail30init_device_scan_by_key_kernelINS1_19lookback_scan_stateINS0_5tupleIJdbEEELb0ELb0EEENS1_16block_id_wrapperIjLb0EEEEEvT_jjPNS9_10value_typeET0_,comdat
.Lfunc_end1084:
	.size	_ZN7rocprim17ROCPRIM_400000_NS6detail30init_device_scan_by_key_kernelINS1_19lookback_scan_stateINS0_5tupleIJdbEEELb0ELb0EEENS1_16block_id_wrapperIjLb0EEEEEvT_jjPNS9_10value_typeET0_, .Lfunc_end1084-_ZN7rocprim17ROCPRIM_400000_NS6detail30init_device_scan_by_key_kernelINS1_19lookback_scan_stateINS0_5tupleIJdbEEELb0ELb0EEENS1_16block_id_wrapperIjLb0EEEEEvT_jjPNS9_10value_typeET0_
                                        ; -- End function
	.section	.AMDGPU.csdata,"",@progbits
; Kernel info:
; codeLenInByte = 328
; NumSgprs: 20
; NumVgprs: 5
; NumAgprs: 0
; TotalNumVgprs: 5
; ScratchSize: 0
; MemoryBound: 0
; FloatMode: 240
; IeeeMode: 1
; LDSByteSize: 0 bytes/workgroup (compile time only)
; SGPRBlocks: 2
; VGPRBlocks: 0
; NumSGPRsForWavesPerEU: 20
; NumVGPRsForWavesPerEU: 5
; AccumOffset: 8
; Occupancy: 8
; WaveLimiterHint : 0
; COMPUTE_PGM_RSRC2:SCRATCH_EN: 0
; COMPUTE_PGM_RSRC2:USER_SGPR: 6
; COMPUTE_PGM_RSRC2:TRAP_HANDLER: 0
; COMPUTE_PGM_RSRC2:TGID_X_EN: 1
; COMPUTE_PGM_RSRC2:TGID_Y_EN: 0
; COMPUTE_PGM_RSRC2:TGID_Z_EN: 0
; COMPUTE_PGM_RSRC2:TIDIG_COMP_CNT: 0
; COMPUTE_PGM_RSRC3_GFX90A:ACCUM_OFFSET: 1
; COMPUTE_PGM_RSRC3_GFX90A:TG_SPLIT: 0
	.section	.text._ZN7rocprim17ROCPRIM_400000_NS6detail17trampoline_kernelINS0_14default_configENS1_27scan_by_key_config_selectorIidEEZZNS1_16scan_by_key_implILNS1_25lookback_scan_determinismE0ELb0ES3_N6thrust23THRUST_200600_302600_NS6detail15normal_iteratorINS9_10device_ptrIiEEEENSB_INSC_IdEEEESG_dNS9_4plusIvEENS9_8equal_toIvEEdEE10hipError_tPvRmT2_T3_T4_T5_mT6_T7_P12ihipStream_tbENKUlT_T0_E_clISt17integral_constantIbLb0EES11_EEDaSW_SX_EUlSW_E_NS1_11comp_targetILNS1_3genE0ELNS1_11target_archE4294967295ELNS1_3gpuE0ELNS1_3repE0EEENS1_30default_config_static_selectorELNS0_4arch9wavefront6targetE1EEEvT1_,"axG",@progbits,_ZN7rocprim17ROCPRIM_400000_NS6detail17trampoline_kernelINS0_14default_configENS1_27scan_by_key_config_selectorIidEEZZNS1_16scan_by_key_implILNS1_25lookback_scan_determinismE0ELb0ES3_N6thrust23THRUST_200600_302600_NS6detail15normal_iteratorINS9_10device_ptrIiEEEENSB_INSC_IdEEEESG_dNS9_4plusIvEENS9_8equal_toIvEEdEE10hipError_tPvRmT2_T3_T4_T5_mT6_T7_P12ihipStream_tbENKUlT_T0_E_clISt17integral_constantIbLb0EES11_EEDaSW_SX_EUlSW_E_NS1_11comp_targetILNS1_3genE0ELNS1_11target_archE4294967295ELNS1_3gpuE0ELNS1_3repE0EEENS1_30default_config_static_selectorELNS0_4arch9wavefront6targetE1EEEvT1_,comdat
	.protected	_ZN7rocprim17ROCPRIM_400000_NS6detail17trampoline_kernelINS0_14default_configENS1_27scan_by_key_config_selectorIidEEZZNS1_16scan_by_key_implILNS1_25lookback_scan_determinismE0ELb0ES3_N6thrust23THRUST_200600_302600_NS6detail15normal_iteratorINS9_10device_ptrIiEEEENSB_INSC_IdEEEESG_dNS9_4plusIvEENS9_8equal_toIvEEdEE10hipError_tPvRmT2_T3_T4_T5_mT6_T7_P12ihipStream_tbENKUlT_T0_E_clISt17integral_constantIbLb0EES11_EEDaSW_SX_EUlSW_E_NS1_11comp_targetILNS1_3genE0ELNS1_11target_archE4294967295ELNS1_3gpuE0ELNS1_3repE0EEENS1_30default_config_static_selectorELNS0_4arch9wavefront6targetE1EEEvT1_ ; -- Begin function _ZN7rocprim17ROCPRIM_400000_NS6detail17trampoline_kernelINS0_14default_configENS1_27scan_by_key_config_selectorIidEEZZNS1_16scan_by_key_implILNS1_25lookback_scan_determinismE0ELb0ES3_N6thrust23THRUST_200600_302600_NS6detail15normal_iteratorINS9_10device_ptrIiEEEENSB_INSC_IdEEEESG_dNS9_4plusIvEENS9_8equal_toIvEEdEE10hipError_tPvRmT2_T3_T4_T5_mT6_T7_P12ihipStream_tbENKUlT_T0_E_clISt17integral_constantIbLb0EES11_EEDaSW_SX_EUlSW_E_NS1_11comp_targetILNS1_3genE0ELNS1_11target_archE4294967295ELNS1_3gpuE0ELNS1_3repE0EEENS1_30default_config_static_selectorELNS0_4arch9wavefront6targetE1EEEvT1_
	.globl	_ZN7rocprim17ROCPRIM_400000_NS6detail17trampoline_kernelINS0_14default_configENS1_27scan_by_key_config_selectorIidEEZZNS1_16scan_by_key_implILNS1_25lookback_scan_determinismE0ELb0ES3_N6thrust23THRUST_200600_302600_NS6detail15normal_iteratorINS9_10device_ptrIiEEEENSB_INSC_IdEEEESG_dNS9_4plusIvEENS9_8equal_toIvEEdEE10hipError_tPvRmT2_T3_T4_T5_mT6_T7_P12ihipStream_tbENKUlT_T0_E_clISt17integral_constantIbLb0EES11_EEDaSW_SX_EUlSW_E_NS1_11comp_targetILNS1_3genE0ELNS1_11target_archE4294967295ELNS1_3gpuE0ELNS1_3repE0EEENS1_30default_config_static_selectorELNS0_4arch9wavefront6targetE1EEEvT1_
	.p2align	8
	.type	_ZN7rocprim17ROCPRIM_400000_NS6detail17trampoline_kernelINS0_14default_configENS1_27scan_by_key_config_selectorIidEEZZNS1_16scan_by_key_implILNS1_25lookback_scan_determinismE0ELb0ES3_N6thrust23THRUST_200600_302600_NS6detail15normal_iteratorINS9_10device_ptrIiEEEENSB_INSC_IdEEEESG_dNS9_4plusIvEENS9_8equal_toIvEEdEE10hipError_tPvRmT2_T3_T4_T5_mT6_T7_P12ihipStream_tbENKUlT_T0_E_clISt17integral_constantIbLb0EES11_EEDaSW_SX_EUlSW_E_NS1_11comp_targetILNS1_3genE0ELNS1_11target_archE4294967295ELNS1_3gpuE0ELNS1_3repE0EEENS1_30default_config_static_selectorELNS0_4arch9wavefront6targetE1EEEvT1_,@function
_ZN7rocprim17ROCPRIM_400000_NS6detail17trampoline_kernelINS0_14default_configENS1_27scan_by_key_config_selectorIidEEZZNS1_16scan_by_key_implILNS1_25lookback_scan_determinismE0ELb0ES3_N6thrust23THRUST_200600_302600_NS6detail15normal_iteratorINS9_10device_ptrIiEEEENSB_INSC_IdEEEESG_dNS9_4plusIvEENS9_8equal_toIvEEdEE10hipError_tPvRmT2_T3_T4_T5_mT6_T7_P12ihipStream_tbENKUlT_T0_E_clISt17integral_constantIbLb0EES11_EEDaSW_SX_EUlSW_E_NS1_11comp_targetILNS1_3genE0ELNS1_11target_archE4294967295ELNS1_3gpuE0ELNS1_3repE0EEENS1_30default_config_static_selectorELNS0_4arch9wavefront6targetE1EEEvT1_: ; @_ZN7rocprim17ROCPRIM_400000_NS6detail17trampoline_kernelINS0_14default_configENS1_27scan_by_key_config_selectorIidEEZZNS1_16scan_by_key_implILNS1_25lookback_scan_determinismE0ELb0ES3_N6thrust23THRUST_200600_302600_NS6detail15normal_iteratorINS9_10device_ptrIiEEEENSB_INSC_IdEEEESG_dNS9_4plusIvEENS9_8equal_toIvEEdEE10hipError_tPvRmT2_T3_T4_T5_mT6_T7_P12ihipStream_tbENKUlT_T0_E_clISt17integral_constantIbLb0EES11_EEDaSW_SX_EUlSW_E_NS1_11comp_targetILNS1_3genE0ELNS1_11target_archE4294967295ELNS1_3gpuE0ELNS1_3repE0EEENS1_30default_config_static_selectorELNS0_4arch9wavefront6targetE1EEEvT1_
; %bb.0:
	.section	.rodata,"a",@progbits
	.p2align	6, 0x0
	.amdhsa_kernel _ZN7rocprim17ROCPRIM_400000_NS6detail17trampoline_kernelINS0_14default_configENS1_27scan_by_key_config_selectorIidEEZZNS1_16scan_by_key_implILNS1_25lookback_scan_determinismE0ELb0ES3_N6thrust23THRUST_200600_302600_NS6detail15normal_iteratorINS9_10device_ptrIiEEEENSB_INSC_IdEEEESG_dNS9_4plusIvEENS9_8equal_toIvEEdEE10hipError_tPvRmT2_T3_T4_T5_mT6_T7_P12ihipStream_tbENKUlT_T0_E_clISt17integral_constantIbLb0EES11_EEDaSW_SX_EUlSW_E_NS1_11comp_targetILNS1_3genE0ELNS1_11target_archE4294967295ELNS1_3gpuE0ELNS1_3repE0EEENS1_30default_config_static_selectorELNS0_4arch9wavefront6targetE1EEEvT1_
		.amdhsa_group_segment_fixed_size 0
		.amdhsa_private_segment_fixed_size 0
		.amdhsa_kernarg_size 136
		.amdhsa_user_sgpr_count 6
		.amdhsa_user_sgpr_private_segment_buffer 1
		.amdhsa_user_sgpr_dispatch_ptr 0
		.amdhsa_user_sgpr_queue_ptr 0
		.amdhsa_user_sgpr_kernarg_segment_ptr 1
		.amdhsa_user_sgpr_dispatch_id 0
		.amdhsa_user_sgpr_flat_scratch_init 0
		.amdhsa_user_sgpr_kernarg_preload_length 0
		.amdhsa_user_sgpr_kernarg_preload_offset 0
		.amdhsa_user_sgpr_private_segment_size 0
		.amdhsa_uses_dynamic_stack 0
		.amdhsa_system_sgpr_private_segment_wavefront_offset 0
		.amdhsa_system_sgpr_workgroup_id_x 1
		.amdhsa_system_sgpr_workgroup_id_y 0
		.amdhsa_system_sgpr_workgroup_id_z 0
		.amdhsa_system_sgpr_workgroup_info 0
		.amdhsa_system_vgpr_workitem_id 0
		.amdhsa_next_free_vgpr 1
		.amdhsa_next_free_sgpr 0
		.amdhsa_accum_offset 4
		.amdhsa_reserve_vcc 0
		.amdhsa_reserve_flat_scratch 0
		.amdhsa_float_round_mode_32 0
		.amdhsa_float_round_mode_16_64 0
		.amdhsa_float_denorm_mode_32 3
		.amdhsa_float_denorm_mode_16_64 3
		.amdhsa_dx10_clamp 1
		.amdhsa_ieee_mode 1
		.amdhsa_fp16_overflow 0
		.amdhsa_tg_split 0
		.amdhsa_exception_fp_ieee_invalid_op 0
		.amdhsa_exception_fp_denorm_src 0
		.amdhsa_exception_fp_ieee_div_zero 0
		.amdhsa_exception_fp_ieee_overflow 0
		.amdhsa_exception_fp_ieee_underflow 0
		.amdhsa_exception_fp_ieee_inexact 0
		.amdhsa_exception_int_div_zero 0
	.end_amdhsa_kernel
	.section	.text._ZN7rocprim17ROCPRIM_400000_NS6detail17trampoline_kernelINS0_14default_configENS1_27scan_by_key_config_selectorIidEEZZNS1_16scan_by_key_implILNS1_25lookback_scan_determinismE0ELb0ES3_N6thrust23THRUST_200600_302600_NS6detail15normal_iteratorINS9_10device_ptrIiEEEENSB_INSC_IdEEEESG_dNS9_4plusIvEENS9_8equal_toIvEEdEE10hipError_tPvRmT2_T3_T4_T5_mT6_T7_P12ihipStream_tbENKUlT_T0_E_clISt17integral_constantIbLb0EES11_EEDaSW_SX_EUlSW_E_NS1_11comp_targetILNS1_3genE0ELNS1_11target_archE4294967295ELNS1_3gpuE0ELNS1_3repE0EEENS1_30default_config_static_selectorELNS0_4arch9wavefront6targetE1EEEvT1_,"axG",@progbits,_ZN7rocprim17ROCPRIM_400000_NS6detail17trampoline_kernelINS0_14default_configENS1_27scan_by_key_config_selectorIidEEZZNS1_16scan_by_key_implILNS1_25lookback_scan_determinismE0ELb0ES3_N6thrust23THRUST_200600_302600_NS6detail15normal_iteratorINS9_10device_ptrIiEEEENSB_INSC_IdEEEESG_dNS9_4plusIvEENS9_8equal_toIvEEdEE10hipError_tPvRmT2_T3_T4_T5_mT6_T7_P12ihipStream_tbENKUlT_T0_E_clISt17integral_constantIbLb0EES11_EEDaSW_SX_EUlSW_E_NS1_11comp_targetILNS1_3genE0ELNS1_11target_archE4294967295ELNS1_3gpuE0ELNS1_3repE0EEENS1_30default_config_static_selectorELNS0_4arch9wavefront6targetE1EEEvT1_,comdat
.Lfunc_end1085:
	.size	_ZN7rocprim17ROCPRIM_400000_NS6detail17trampoline_kernelINS0_14default_configENS1_27scan_by_key_config_selectorIidEEZZNS1_16scan_by_key_implILNS1_25lookback_scan_determinismE0ELb0ES3_N6thrust23THRUST_200600_302600_NS6detail15normal_iteratorINS9_10device_ptrIiEEEENSB_INSC_IdEEEESG_dNS9_4plusIvEENS9_8equal_toIvEEdEE10hipError_tPvRmT2_T3_T4_T5_mT6_T7_P12ihipStream_tbENKUlT_T0_E_clISt17integral_constantIbLb0EES11_EEDaSW_SX_EUlSW_E_NS1_11comp_targetILNS1_3genE0ELNS1_11target_archE4294967295ELNS1_3gpuE0ELNS1_3repE0EEENS1_30default_config_static_selectorELNS0_4arch9wavefront6targetE1EEEvT1_, .Lfunc_end1085-_ZN7rocprim17ROCPRIM_400000_NS6detail17trampoline_kernelINS0_14default_configENS1_27scan_by_key_config_selectorIidEEZZNS1_16scan_by_key_implILNS1_25lookback_scan_determinismE0ELb0ES3_N6thrust23THRUST_200600_302600_NS6detail15normal_iteratorINS9_10device_ptrIiEEEENSB_INSC_IdEEEESG_dNS9_4plusIvEENS9_8equal_toIvEEdEE10hipError_tPvRmT2_T3_T4_T5_mT6_T7_P12ihipStream_tbENKUlT_T0_E_clISt17integral_constantIbLb0EES11_EEDaSW_SX_EUlSW_E_NS1_11comp_targetILNS1_3genE0ELNS1_11target_archE4294967295ELNS1_3gpuE0ELNS1_3repE0EEENS1_30default_config_static_selectorELNS0_4arch9wavefront6targetE1EEEvT1_
                                        ; -- End function
	.section	.AMDGPU.csdata,"",@progbits
; Kernel info:
; codeLenInByte = 0
; NumSgprs: 4
; NumVgprs: 0
; NumAgprs: 0
; TotalNumVgprs: 0
; ScratchSize: 0
; MemoryBound: 0
; FloatMode: 240
; IeeeMode: 1
; LDSByteSize: 0 bytes/workgroup (compile time only)
; SGPRBlocks: 0
; VGPRBlocks: 0
; NumSGPRsForWavesPerEU: 4
; NumVGPRsForWavesPerEU: 1
; AccumOffset: 4
; Occupancy: 8
; WaveLimiterHint : 0
; COMPUTE_PGM_RSRC2:SCRATCH_EN: 0
; COMPUTE_PGM_RSRC2:USER_SGPR: 6
; COMPUTE_PGM_RSRC2:TRAP_HANDLER: 0
; COMPUTE_PGM_RSRC2:TGID_X_EN: 1
; COMPUTE_PGM_RSRC2:TGID_Y_EN: 0
; COMPUTE_PGM_RSRC2:TGID_Z_EN: 0
; COMPUTE_PGM_RSRC2:TIDIG_COMP_CNT: 0
; COMPUTE_PGM_RSRC3_GFX90A:ACCUM_OFFSET: 0
; COMPUTE_PGM_RSRC3_GFX90A:TG_SPLIT: 0
	.section	.text._ZN7rocprim17ROCPRIM_400000_NS6detail17trampoline_kernelINS0_14default_configENS1_27scan_by_key_config_selectorIidEEZZNS1_16scan_by_key_implILNS1_25lookback_scan_determinismE0ELb0ES3_N6thrust23THRUST_200600_302600_NS6detail15normal_iteratorINS9_10device_ptrIiEEEENSB_INSC_IdEEEESG_dNS9_4plusIvEENS9_8equal_toIvEEdEE10hipError_tPvRmT2_T3_T4_T5_mT6_T7_P12ihipStream_tbENKUlT_T0_E_clISt17integral_constantIbLb0EES11_EEDaSW_SX_EUlSW_E_NS1_11comp_targetILNS1_3genE10ELNS1_11target_archE1201ELNS1_3gpuE5ELNS1_3repE0EEENS1_30default_config_static_selectorELNS0_4arch9wavefront6targetE1EEEvT1_,"axG",@progbits,_ZN7rocprim17ROCPRIM_400000_NS6detail17trampoline_kernelINS0_14default_configENS1_27scan_by_key_config_selectorIidEEZZNS1_16scan_by_key_implILNS1_25lookback_scan_determinismE0ELb0ES3_N6thrust23THRUST_200600_302600_NS6detail15normal_iteratorINS9_10device_ptrIiEEEENSB_INSC_IdEEEESG_dNS9_4plusIvEENS9_8equal_toIvEEdEE10hipError_tPvRmT2_T3_T4_T5_mT6_T7_P12ihipStream_tbENKUlT_T0_E_clISt17integral_constantIbLb0EES11_EEDaSW_SX_EUlSW_E_NS1_11comp_targetILNS1_3genE10ELNS1_11target_archE1201ELNS1_3gpuE5ELNS1_3repE0EEENS1_30default_config_static_selectorELNS0_4arch9wavefront6targetE1EEEvT1_,comdat
	.protected	_ZN7rocprim17ROCPRIM_400000_NS6detail17trampoline_kernelINS0_14default_configENS1_27scan_by_key_config_selectorIidEEZZNS1_16scan_by_key_implILNS1_25lookback_scan_determinismE0ELb0ES3_N6thrust23THRUST_200600_302600_NS6detail15normal_iteratorINS9_10device_ptrIiEEEENSB_INSC_IdEEEESG_dNS9_4plusIvEENS9_8equal_toIvEEdEE10hipError_tPvRmT2_T3_T4_T5_mT6_T7_P12ihipStream_tbENKUlT_T0_E_clISt17integral_constantIbLb0EES11_EEDaSW_SX_EUlSW_E_NS1_11comp_targetILNS1_3genE10ELNS1_11target_archE1201ELNS1_3gpuE5ELNS1_3repE0EEENS1_30default_config_static_selectorELNS0_4arch9wavefront6targetE1EEEvT1_ ; -- Begin function _ZN7rocprim17ROCPRIM_400000_NS6detail17trampoline_kernelINS0_14default_configENS1_27scan_by_key_config_selectorIidEEZZNS1_16scan_by_key_implILNS1_25lookback_scan_determinismE0ELb0ES3_N6thrust23THRUST_200600_302600_NS6detail15normal_iteratorINS9_10device_ptrIiEEEENSB_INSC_IdEEEESG_dNS9_4plusIvEENS9_8equal_toIvEEdEE10hipError_tPvRmT2_T3_T4_T5_mT6_T7_P12ihipStream_tbENKUlT_T0_E_clISt17integral_constantIbLb0EES11_EEDaSW_SX_EUlSW_E_NS1_11comp_targetILNS1_3genE10ELNS1_11target_archE1201ELNS1_3gpuE5ELNS1_3repE0EEENS1_30default_config_static_selectorELNS0_4arch9wavefront6targetE1EEEvT1_
	.globl	_ZN7rocprim17ROCPRIM_400000_NS6detail17trampoline_kernelINS0_14default_configENS1_27scan_by_key_config_selectorIidEEZZNS1_16scan_by_key_implILNS1_25lookback_scan_determinismE0ELb0ES3_N6thrust23THRUST_200600_302600_NS6detail15normal_iteratorINS9_10device_ptrIiEEEENSB_INSC_IdEEEESG_dNS9_4plusIvEENS9_8equal_toIvEEdEE10hipError_tPvRmT2_T3_T4_T5_mT6_T7_P12ihipStream_tbENKUlT_T0_E_clISt17integral_constantIbLb0EES11_EEDaSW_SX_EUlSW_E_NS1_11comp_targetILNS1_3genE10ELNS1_11target_archE1201ELNS1_3gpuE5ELNS1_3repE0EEENS1_30default_config_static_selectorELNS0_4arch9wavefront6targetE1EEEvT1_
	.p2align	8
	.type	_ZN7rocprim17ROCPRIM_400000_NS6detail17trampoline_kernelINS0_14default_configENS1_27scan_by_key_config_selectorIidEEZZNS1_16scan_by_key_implILNS1_25lookback_scan_determinismE0ELb0ES3_N6thrust23THRUST_200600_302600_NS6detail15normal_iteratorINS9_10device_ptrIiEEEENSB_INSC_IdEEEESG_dNS9_4plusIvEENS9_8equal_toIvEEdEE10hipError_tPvRmT2_T3_T4_T5_mT6_T7_P12ihipStream_tbENKUlT_T0_E_clISt17integral_constantIbLb0EES11_EEDaSW_SX_EUlSW_E_NS1_11comp_targetILNS1_3genE10ELNS1_11target_archE1201ELNS1_3gpuE5ELNS1_3repE0EEENS1_30default_config_static_selectorELNS0_4arch9wavefront6targetE1EEEvT1_,@function
_ZN7rocprim17ROCPRIM_400000_NS6detail17trampoline_kernelINS0_14default_configENS1_27scan_by_key_config_selectorIidEEZZNS1_16scan_by_key_implILNS1_25lookback_scan_determinismE0ELb0ES3_N6thrust23THRUST_200600_302600_NS6detail15normal_iteratorINS9_10device_ptrIiEEEENSB_INSC_IdEEEESG_dNS9_4plusIvEENS9_8equal_toIvEEdEE10hipError_tPvRmT2_T3_T4_T5_mT6_T7_P12ihipStream_tbENKUlT_T0_E_clISt17integral_constantIbLb0EES11_EEDaSW_SX_EUlSW_E_NS1_11comp_targetILNS1_3genE10ELNS1_11target_archE1201ELNS1_3gpuE5ELNS1_3repE0EEENS1_30default_config_static_selectorELNS0_4arch9wavefront6targetE1EEEvT1_: ; @_ZN7rocprim17ROCPRIM_400000_NS6detail17trampoline_kernelINS0_14default_configENS1_27scan_by_key_config_selectorIidEEZZNS1_16scan_by_key_implILNS1_25lookback_scan_determinismE0ELb0ES3_N6thrust23THRUST_200600_302600_NS6detail15normal_iteratorINS9_10device_ptrIiEEEENSB_INSC_IdEEEESG_dNS9_4plusIvEENS9_8equal_toIvEEdEE10hipError_tPvRmT2_T3_T4_T5_mT6_T7_P12ihipStream_tbENKUlT_T0_E_clISt17integral_constantIbLb0EES11_EEDaSW_SX_EUlSW_E_NS1_11comp_targetILNS1_3genE10ELNS1_11target_archE1201ELNS1_3gpuE5ELNS1_3repE0EEENS1_30default_config_static_selectorELNS0_4arch9wavefront6targetE1EEEvT1_
; %bb.0:
	.section	.rodata,"a",@progbits
	.p2align	6, 0x0
	.amdhsa_kernel _ZN7rocprim17ROCPRIM_400000_NS6detail17trampoline_kernelINS0_14default_configENS1_27scan_by_key_config_selectorIidEEZZNS1_16scan_by_key_implILNS1_25lookback_scan_determinismE0ELb0ES3_N6thrust23THRUST_200600_302600_NS6detail15normal_iteratorINS9_10device_ptrIiEEEENSB_INSC_IdEEEESG_dNS9_4plusIvEENS9_8equal_toIvEEdEE10hipError_tPvRmT2_T3_T4_T5_mT6_T7_P12ihipStream_tbENKUlT_T0_E_clISt17integral_constantIbLb0EES11_EEDaSW_SX_EUlSW_E_NS1_11comp_targetILNS1_3genE10ELNS1_11target_archE1201ELNS1_3gpuE5ELNS1_3repE0EEENS1_30default_config_static_selectorELNS0_4arch9wavefront6targetE1EEEvT1_
		.amdhsa_group_segment_fixed_size 0
		.amdhsa_private_segment_fixed_size 0
		.amdhsa_kernarg_size 136
		.amdhsa_user_sgpr_count 6
		.amdhsa_user_sgpr_private_segment_buffer 1
		.amdhsa_user_sgpr_dispatch_ptr 0
		.amdhsa_user_sgpr_queue_ptr 0
		.amdhsa_user_sgpr_kernarg_segment_ptr 1
		.amdhsa_user_sgpr_dispatch_id 0
		.amdhsa_user_sgpr_flat_scratch_init 0
		.amdhsa_user_sgpr_kernarg_preload_length 0
		.amdhsa_user_sgpr_kernarg_preload_offset 0
		.amdhsa_user_sgpr_private_segment_size 0
		.amdhsa_uses_dynamic_stack 0
		.amdhsa_system_sgpr_private_segment_wavefront_offset 0
		.amdhsa_system_sgpr_workgroup_id_x 1
		.amdhsa_system_sgpr_workgroup_id_y 0
		.amdhsa_system_sgpr_workgroup_id_z 0
		.amdhsa_system_sgpr_workgroup_info 0
		.amdhsa_system_vgpr_workitem_id 0
		.amdhsa_next_free_vgpr 1
		.amdhsa_next_free_sgpr 0
		.amdhsa_accum_offset 4
		.amdhsa_reserve_vcc 0
		.amdhsa_reserve_flat_scratch 0
		.amdhsa_float_round_mode_32 0
		.amdhsa_float_round_mode_16_64 0
		.amdhsa_float_denorm_mode_32 3
		.amdhsa_float_denorm_mode_16_64 3
		.amdhsa_dx10_clamp 1
		.amdhsa_ieee_mode 1
		.amdhsa_fp16_overflow 0
		.amdhsa_tg_split 0
		.amdhsa_exception_fp_ieee_invalid_op 0
		.amdhsa_exception_fp_denorm_src 0
		.amdhsa_exception_fp_ieee_div_zero 0
		.amdhsa_exception_fp_ieee_overflow 0
		.amdhsa_exception_fp_ieee_underflow 0
		.amdhsa_exception_fp_ieee_inexact 0
		.amdhsa_exception_int_div_zero 0
	.end_amdhsa_kernel
	.section	.text._ZN7rocprim17ROCPRIM_400000_NS6detail17trampoline_kernelINS0_14default_configENS1_27scan_by_key_config_selectorIidEEZZNS1_16scan_by_key_implILNS1_25lookback_scan_determinismE0ELb0ES3_N6thrust23THRUST_200600_302600_NS6detail15normal_iteratorINS9_10device_ptrIiEEEENSB_INSC_IdEEEESG_dNS9_4plusIvEENS9_8equal_toIvEEdEE10hipError_tPvRmT2_T3_T4_T5_mT6_T7_P12ihipStream_tbENKUlT_T0_E_clISt17integral_constantIbLb0EES11_EEDaSW_SX_EUlSW_E_NS1_11comp_targetILNS1_3genE10ELNS1_11target_archE1201ELNS1_3gpuE5ELNS1_3repE0EEENS1_30default_config_static_selectorELNS0_4arch9wavefront6targetE1EEEvT1_,"axG",@progbits,_ZN7rocprim17ROCPRIM_400000_NS6detail17trampoline_kernelINS0_14default_configENS1_27scan_by_key_config_selectorIidEEZZNS1_16scan_by_key_implILNS1_25lookback_scan_determinismE0ELb0ES3_N6thrust23THRUST_200600_302600_NS6detail15normal_iteratorINS9_10device_ptrIiEEEENSB_INSC_IdEEEESG_dNS9_4plusIvEENS9_8equal_toIvEEdEE10hipError_tPvRmT2_T3_T4_T5_mT6_T7_P12ihipStream_tbENKUlT_T0_E_clISt17integral_constantIbLb0EES11_EEDaSW_SX_EUlSW_E_NS1_11comp_targetILNS1_3genE10ELNS1_11target_archE1201ELNS1_3gpuE5ELNS1_3repE0EEENS1_30default_config_static_selectorELNS0_4arch9wavefront6targetE1EEEvT1_,comdat
.Lfunc_end1086:
	.size	_ZN7rocprim17ROCPRIM_400000_NS6detail17trampoline_kernelINS0_14default_configENS1_27scan_by_key_config_selectorIidEEZZNS1_16scan_by_key_implILNS1_25lookback_scan_determinismE0ELb0ES3_N6thrust23THRUST_200600_302600_NS6detail15normal_iteratorINS9_10device_ptrIiEEEENSB_INSC_IdEEEESG_dNS9_4plusIvEENS9_8equal_toIvEEdEE10hipError_tPvRmT2_T3_T4_T5_mT6_T7_P12ihipStream_tbENKUlT_T0_E_clISt17integral_constantIbLb0EES11_EEDaSW_SX_EUlSW_E_NS1_11comp_targetILNS1_3genE10ELNS1_11target_archE1201ELNS1_3gpuE5ELNS1_3repE0EEENS1_30default_config_static_selectorELNS0_4arch9wavefront6targetE1EEEvT1_, .Lfunc_end1086-_ZN7rocprim17ROCPRIM_400000_NS6detail17trampoline_kernelINS0_14default_configENS1_27scan_by_key_config_selectorIidEEZZNS1_16scan_by_key_implILNS1_25lookback_scan_determinismE0ELb0ES3_N6thrust23THRUST_200600_302600_NS6detail15normal_iteratorINS9_10device_ptrIiEEEENSB_INSC_IdEEEESG_dNS9_4plusIvEENS9_8equal_toIvEEdEE10hipError_tPvRmT2_T3_T4_T5_mT6_T7_P12ihipStream_tbENKUlT_T0_E_clISt17integral_constantIbLb0EES11_EEDaSW_SX_EUlSW_E_NS1_11comp_targetILNS1_3genE10ELNS1_11target_archE1201ELNS1_3gpuE5ELNS1_3repE0EEENS1_30default_config_static_selectorELNS0_4arch9wavefront6targetE1EEEvT1_
                                        ; -- End function
	.section	.AMDGPU.csdata,"",@progbits
; Kernel info:
; codeLenInByte = 0
; NumSgprs: 4
; NumVgprs: 0
; NumAgprs: 0
; TotalNumVgprs: 0
; ScratchSize: 0
; MemoryBound: 0
; FloatMode: 240
; IeeeMode: 1
; LDSByteSize: 0 bytes/workgroup (compile time only)
; SGPRBlocks: 0
; VGPRBlocks: 0
; NumSGPRsForWavesPerEU: 4
; NumVGPRsForWavesPerEU: 1
; AccumOffset: 4
; Occupancy: 8
; WaveLimiterHint : 0
; COMPUTE_PGM_RSRC2:SCRATCH_EN: 0
; COMPUTE_PGM_RSRC2:USER_SGPR: 6
; COMPUTE_PGM_RSRC2:TRAP_HANDLER: 0
; COMPUTE_PGM_RSRC2:TGID_X_EN: 1
; COMPUTE_PGM_RSRC2:TGID_Y_EN: 0
; COMPUTE_PGM_RSRC2:TGID_Z_EN: 0
; COMPUTE_PGM_RSRC2:TIDIG_COMP_CNT: 0
; COMPUTE_PGM_RSRC3_GFX90A:ACCUM_OFFSET: 0
; COMPUTE_PGM_RSRC3_GFX90A:TG_SPLIT: 0
	.section	.text._ZN7rocprim17ROCPRIM_400000_NS6detail17trampoline_kernelINS0_14default_configENS1_27scan_by_key_config_selectorIidEEZZNS1_16scan_by_key_implILNS1_25lookback_scan_determinismE0ELb0ES3_N6thrust23THRUST_200600_302600_NS6detail15normal_iteratorINS9_10device_ptrIiEEEENSB_INSC_IdEEEESG_dNS9_4plusIvEENS9_8equal_toIvEEdEE10hipError_tPvRmT2_T3_T4_T5_mT6_T7_P12ihipStream_tbENKUlT_T0_E_clISt17integral_constantIbLb0EES11_EEDaSW_SX_EUlSW_E_NS1_11comp_targetILNS1_3genE5ELNS1_11target_archE942ELNS1_3gpuE9ELNS1_3repE0EEENS1_30default_config_static_selectorELNS0_4arch9wavefront6targetE1EEEvT1_,"axG",@progbits,_ZN7rocprim17ROCPRIM_400000_NS6detail17trampoline_kernelINS0_14default_configENS1_27scan_by_key_config_selectorIidEEZZNS1_16scan_by_key_implILNS1_25lookback_scan_determinismE0ELb0ES3_N6thrust23THRUST_200600_302600_NS6detail15normal_iteratorINS9_10device_ptrIiEEEENSB_INSC_IdEEEESG_dNS9_4plusIvEENS9_8equal_toIvEEdEE10hipError_tPvRmT2_T3_T4_T5_mT6_T7_P12ihipStream_tbENKUlT_T0_E_clISt17integral_constantIbLb0EES11_EEDaSW_SX_EUlSW_E_NS1_11comp_targetILNS1_3genE5ELNS1_11target_archE942ELNS1_3gpuE9ELNS1_3repE0EEENS1_30default_config_static_selectorELNS0_4arch9wavefront6targetE1EEEvT1_,comdat
	.protected	_ZN7rocprim17ROCPRIM_400000_NS6detail17trampoline_kernelINS0_14default_configENS1_27scan_by_key_config_selectorIidEEZZNS1_16scan_by_key_implILNS1_25lookback_scan_determinismE0ELb0ES3_N6thrust23THRUST_200600_302600_NS6detail15normal_iteratorINS9_10device_ptrIiEEEENSB_INSC_IdEEEESG_dNS9_4plusIvEENS9_8equal_toIvEEdEE10hipError_tPvRmT2_T3_T4_T5_mT6_T7_P12ihipStream_tbENKUlT_T0_E_clISt17integral_constantIbLb0EES11_EEDaSW_SX_EUlSW_E_NS1_11comp_targetILNS1_3genE5ELNS1_11target_archE942ELNS1_3gpuE9ELNS1_3repE0EEENS1_30default_config_static_selectorELNS0_4arch9wavefront6targetE1EEEvT1_ ; -- Begin function _ZN7rocprim17ROCPRIM_400000_NS6detail17trampoline_kernelINS0_14default_configENS1_27scan_by_key_config_selectorIidEEZZNS1_16scan_by_key_implILNS1_25lookback_scan_determinismE0ELb0ES3_N6thrust23THRUST_200600_302600_NS6detail15normal_iteratorINS9_10device_ptrIiEEEENSB_INSC_IdEEEESG_dNS9_4plusIvEENS9_8equal_toIvEEdEE10hipError_tPvRmT2_T3_T4_T5_mT6_T7_P12ihipStream_tbENKUlT_T0_E_clISt17integral_constantIbLb0EES11_EEDaSW_SX_EUlSW_E_NS1_11comp_targetILNS1_3genE5ELNS1_11target_archE942ELNS1_3gpuE9ELNS1_3repE0EEENS1_30default_config_static_selectorELNS0_4arch9wavefront6targetE1EEEvT1_
	.globl	_ZN7rocprim17ROCPRIM_400000_NS6detail17trampoline_kernelINS0_14default_configENS1_27scan_by_key_config_selectorIidEEZZNS1_16scan_by_key_implILNS1_25lookback_scan_determinismE0ELb0ES3_N6thrust23THRUST_200600_302600_NS6detail15normal_iteratorINS9_10device_ptrIiEEEENSB_INSC_IdEEEESG_dNS9_4plusIvEENS9_8equal_toIvEEdEE10hipError_tPvRmT2_T3_T4_T5_mT6_T7_P12ihipStream_tbENKUlT_T0_E_clISt17integral_constantIbLb0EES11_EEDaSW_SX_EUlSW_E_NS1_11comp_targetILNS1_3genE5ELNS1_11target_archE942ELNS1_3gpuE9ELNS1_3repE0EEENS1_30default_config_static_selectorELNS0_4arch9wavefront6targetE1EEEvT1_
	.p2align	8
	.type	_ZN7rocprim17ROCPRIM_400000_NS6detail17trampoline_kernelINS0_14default_configENS1_27scan_by_key_config_selectorIidEEZZNS1_16scan_by_key_implILNS1_25lookback_scan_determinismE0ELb0ES3_N6thrust23THRUST_200600_302600_NS6detail15normal_iteratorINS9_10device_ptrIiEEEENSB_INSC_IdEEEESG_dNS9_4plusIvEENS9_8equal_toIvEEdEE10hipError_tPvRmT2_T3_T4_T5_mT6_T7_P12ihipStream_tbENKUlT_T0_E_clISt17integral_constantIbLb0EES11_EEDaSW_SX_EUlSW_E_NS1_11comp_targetILNS1_3genE5ELNS1_11target_archE942ELNS1_3gpuE9ELNS1_3repE0EEENS1_30default_config_static_selectorELNS0_4arch9wavefront6targetE1EEEvT1_,@function
_ZN7rocprim17ROCPRIM_400000_NS6detail17trampoline_kernelINS0_14default_configENS1_27scan_by_key_config_selectorIidEEZZNS1_16scan_by_key_implILNS1_25lookback_scan_determinismE0ELb0ES3_N6thrust23THRUST_200600_302600_NS6detail15normal_iteratorINS9_10device_ptrIiEEEENSB_INSC_IdEEEESG_dNS9_4plusIvEENS9_8equal_toIvEEdEE10hipError_tPvRmT2_T3_T4_T5_mT6_T7_P12ihipStream_tbENKUlT_T0_E_clISt17integral_constantIbLb0EES11_EEDaSW_SX_EUlSW_E_NS1_11comp_targetILNS1_3genE5ELNS1_11target_archE942ELNS1_3gpuE9ELNS1_3repE0EEENS1_30default_config_static_selectorELNS0_4arch9wavefront6targetE1EEEvT1_: ; @_ZN7rocprim17ROCPRIM_400000_NS6detail17trampoline_kernelINS0_14default_configENS1_27scan_by_key_config_selectorIidEEZZNS1_16scan_by_key_implILNS1_25lookback_scan_determinismE0ELb0ES3_N6thrust23THRUST_200600_302600_NS6detail15normal_iteratorINS9_10device_ptrIiEEEENSB_INSC_IdEEEESG_dNS9_4plusIvEENS9_8equal_toIvEEdEE10hipError_tPvRmT2_T3_T4_T5_mT6_T7_P12ihipStream_tbENKUlT_T0_E_clISt17integral_constantIbLb0EES11_EEDaSW_SX_EUlSW_E_NS1_11comp_targetILNS1_3genE5ELNS1_11target_archE942ELNS1_3gpuE9ELNS1_3repE0EEENS1_30default_config_static_selectorELNS0_4arch9wavefront6targetE1EEEvT1_
; %bb.0:
	.section	.rodata,"a",@progbits
	.p2align	6, 0x0
	.amdhsa_kernel _ZN7rocprim17ROCPRIM_400000_NS6detail17trampoline_kernelINS0_14default_configENS1_27scan_by_key_config_selectorIidEEZZNS1_16scan_by_key_implILNS1_25lookback_scan_determinismE0ELb0ES3_N6thrust23THRUST_200600_302600_NS6detail15normal_iteratorINS9_10device_ptrIiEEEENSB_INSC_IdEEEESG_dNS9_4plusIvEENS9_8equal_toIvEEdEE10hipError_tPvRmT2_T3_T4_T5_mT6_T7_P12ihipStream_tbENKUlT_T0_E_clISt17integral_constantIbLb0EES11_EEDaSW_SX_EUlSW_E_NS1_11comp_targetILNS1_3genE5ELNS1_11target_archE942ELNS1_3gpuE9ELNS1_3repE0EEENS1_30default_config_static_selectorELNS0_4arch9wavefront6targetE1EEEvT1_
		.amdhsa_group_segment_fixed_size 0
		.amdhsa_private_segment_fixed_size 0
		.amdhsa_kernarg_size 136
		.amdhsa_user_sgpr_count 6
		.amdhsa_user_sgpr_private_segment_buffer 1
		.amdhsa_user_sgpr_dispatch_ptr 0
		.amdhsa_user_sgpr_queue_ptr 0
		.amdhsa_user_sgpr_kernarg_segment_ptr 1
		.amdhsa_user_sgpr_dispatch_id 0
		.amdhsa_user_sgpr_flat_scratch_init 0
		.amdhsa_user_sgpr_kernarg_preload_length 0
		.amdhsa_user_sgpr_kernarg_preload_offset 0
		.amdhsa_user_sgpr_private_segment_size 0
		.amdhsa_uses_dynamic_stack 0
		.amdhsa_system_sgpr_private_segment_wavefront_offset 0
		.amdhsa_system_sgpr_workgroup_id_x 1
		.amdhsa_system_sgpr_workgroup_id_y 0
		.amdhsa_system_sgpr_workgroup_id_z 0
		.amdhsa_system_sgpr_workgroup_info 0
		.amdhsa_system_vgpr_workitem_id 0
		.amdhsa_next_free_vgpr 1
		.amdhsa_next_free_sgpr 0
		.amdhsa_accum_offset 4
		.amdhsa_reserve_vcc 0
		.amdhsa_reserve_flat_scratch 0
		.amdhsa_float_round_mode_32 0
		.amdhsa_float_round_mode_16_64 0
		.amdhsa_float_denorm_mode_32 3
		.amdhsa_float_denorm_mode_16_64 3
		.amdhsa_dx10_clamp 1
		.amdhsa_ieee_mode 1
		.amdhsa_fp16_overflow 0
		.amdhsa_tg_split 0
		.amdhsa_exception_fp_ieee_invalid_op 0
		.amdhsa_exception_fp_denorm_src 0
		.amdhsa_exception_fp_ieee_div_zero 0
		.amdhsa_exception_fp_ieee_overflow 0
		.amdhsa_exception_fp_ieee_underflow 0
		.amdhsa_exception_fp_ieee_inexact 0
		.amdhsa_exception_int_div_zero 0
	.end_amdhsa_kernel
	.section	.text._ZN7rocprim17ROCPRIM_400000_NS6detail17trampoline_kernelINS0_14default_configENS1_27scan_by_key_config_selectorIidEEZZNS1_16scan_by_key_implILNS1_25lookback_scan_determinismE0ELb0ES3_N6thrust23THRUST_200600_302600_NS6detail15normal_iteratorINS9_10device_ptrIiEEEENSB_INSC_IdEEEESG_dNS9_4plusIvEENS9_8equal_toIvEEdEE10hipError_tPvRmT2_T3_T4_T5_mT6_T7_P12ihipStream_tbENKUlT_T0_E_clISt17integral_constantIbLb0EES11_EEDaSW_SX_EUlSW_E_NS1_11comp_targetILNS1_3genE5ELNS1_11target_archE942ELNS1_3gpuE9ELNS1_3repE0EEENS1_30default_config_static_selectorELNS0_4arch9wavefront6targetE1EEEvT1_,"axG",@progbits,_ZN7rocprim17ROCPRIM_400000_NS6detail17trampoline_kernelINS0_14default_configENS1_27scan_by_key_config_selectorIidEEZZNS1_16scan_by_key_implILNS1_25lookback_scan_determinismE0ELb0ES3_N6thrust23THRUST_200600_302600_NS6detail15normal_iteratorINS9_10device_ptrIiEEEENSB_INSC_IdEEEESG_dNS9_4plusIvEENS9_8equal_toIvEEdEE10hipError_tPvRmT2_T3_T4_T5_mT6_T7_P12ihipStream_tbENKUlT_T0_E_clISt17integral_constantIbLb0EES11_EEDaSW_SX_EUlSW_E_NS1_11comp_targetILNS1_3genE5ELNS1_11target_archE942ELNS1_3gpuE9ELNS1_3repE0EEENS1_30default_config_static_selectorELNS0_4arch9wavefront6targetE1EEEvT1_,comdat
.Lfunc_end1087:
	.size	_ZN7rocprim17ROCPRIM_400000_NS6detail17trampoline_kernelINS0_14default_configENS1_27scan_by_key_config_selectorIidEEZZNS1_16scan_by_key_implILNS1_25lookback_scan_determinismE0ELb0ES3_N6thrust23THRUST_200600_302600_NS6detail15normal_iteratorINS9_10device_ptrIiEEEENSB_INSC_IdEEEESG_dNS9_4plusIvEENS9_8equal_toIvEEdEE10hipError_tPvRmT2_T3_T4_T5_mT6_T7_P12ihipStream_tbENKUlT_T0_E_clISt17integral_constantIbLb0EES11_EEDaSW_SX_EUlSW_E_NS1_11comp_targetILNS1_3genE5ELNS1_11target_archE942ELNS1_3gpuE9ELNS1_3repE0EEENS1_30default_config_static_selectorELNS0_4arch9wavefront6targetE1EEEvT1_, .Lfunc_end1087-_ZN7rocprim17ROCPRIM_400000_NS6detail17trampoline_kernelINS0_14default_configENS1_27scan_by_key_config_selectorIidEEZZNS1_16scan_by_key_implILNS1_25lookback_scan_determinismE0ELb0ES3_N6thrust23THRUST_200600_302600_NS6detail15normal_iteratorINS9_10device_ptrIiEEEENSB_INSC_IdEEEESG_dNS9_4plusIvEENS9_8equal_toIvEEdEE10hipError_tPvRmT2_T3_T4_T5_mT6_T7_P12ihipStream_tbENKUlT_T0_E_clISt17integral_constantIbLb0EES11_EEDaSW_SX_EUlSW_E_NS1_11comp_targetILNS1_3genE5ELNS1_11target_archE942ELNS1_3gpuE9ELNS1_3repE0EEENS1_30default_config_static_selectorELNS0_4arch9wavefront6targetE1EEEvT1_
                                        ; -- End function
	.section	.AMDGPU.csdata,"",@progbits
; Kernel info:
; codeLenInByte = 0
; NumSgprs: 4
; NumVgprs: 0
; NumAgprs: 0
; TotalNumVgprs: 0
; ScratchSize: 0
; MemoryBound: 0
; FloatMode: 240
; IeeeMode: 1
; LDSByteSize: 0 bytes/workgroup (compile time only)
; SGPRBlocks: 0
; VGPRBlocks: 0
; NumSGPRsForWavesPerEU: 4
; NumVGPRsForWavesPerEU: 1
; AccumOffset: 4
; Occupancy: 8
; WaveLimiterHint : 0
; COMPUTE_PGM_RSRC2:SCRATCH_EN: 0
; COMPUTE_PGM_RSRC2:USER_SGPR: 6
; COMPUTE_PGM_RSRC2:TRAP_HANDLER: 0
; COMPUTE_PGM_RSRC2:TGID_X_EN: 1
; COMPUTE_PGM_RSRC2:TGID_Y_EN: 0
; COMPUTE_PGM_RSRC2:TGID_Z_EN: 0
; COMPUTE_PGM_RSRC2:TIDIG_COMP_CNT: 0
; COMPUTE_PGM_RSRC3_GFX90A:ACCUM_OFFSET: 0
; COMPUTE_PGM_RSRC3_GFX90A:TG_SPLIT: 0
	.section	.text._ZN7rocprim17ROCPRIM_400000_NS6detail17trampoline_kernelINS0_14default_configENS1_27scan_by_key_config_selectorIidEEZZNS1_16scan_by_key_implILNS1_25lookback_scan_determinismE0ELb0ES3_N6thrust23THRUST_200600_302600_NS6detail15normal_iteratorINS9_10device_ptrIiEEEENSB_INSC_IdEEEESG_dNS9_4plusIvEENS9_8equal_toIvEEdEE10hipError_tPvRmT2_T3_T4_T5_mT6_T7_P12ihipStream_tbENKUlT_T0_E_clISt17integral_constantIbLb0EES11_EEDaSW_SX_EUlSW_E_NS1_11comp_targetILNS1_3genE4ELNS1_11target_archE910ELNS1_3gpuE8ELNS1_3repE0EEENS1_30default_config_static_selectorELNS0_4arch9wavefront6targetE1EEEvT1_,"axG",@progbits,_ZN7rocprim17ROCPRIM_400000_NS6detail17trampoline_kernelINS0_14default_configENS1_27scan_by_key_config_selectorIidEEZZNS1_16scan_by_key_implILNS1_25lookback_scan_determinismE0ELb0ES3_N6thrust23THRUST_200600_302600_NS6detail15normal_iteratorINS9_10device_ptrIiEEEENSB_INSC_IdEEEESG_dNS9_4plusIvEENS9_8equal_toIvEEdEE10hipError_tPvRmT2_T3_T4_T5_mT6_T7_P12ihipStream_tbENKUlT_T0_E_clISt17integral_constantIbLb0EES11_EEDaSW_SX_EUlSW_E_NS1_11comp_targetILNS1_3genE4ELNS1_11target_archE910ELNS1_3gpuE8ELNS1_3repE0EEENS1_30default_config_static_selectorELNS0_4arch9wavefront6targetE1EEEvT1_,comdat
	.protected	_ZN7rocprim17ROCPRIM_400000_NS6detail17trampoline_kernelINS0_14default_configENS1_27scan_by_key_config_selectorIidEEZZNS1_16scan_by_key_implILNS1_25lookback_scan_determinismE0ELb0ES3_N6thrust23THRUST_200600_302600_NS6detail15normal_iteratorINS9_10device_ptrIiEEEENSB_INSC_IdEEEESG_dNS9_4plusIvEENS9_8equal_toIvEEdEE10hipError_tPvRmT2_T3_T4_T5_mT6_T7_P12ihipStream_tbENKUlT_T0_E_clISt17integral_constantIbLb0EES11_EEDaSW_SX_EUlSW_E_NS1_11comp_targetILNS1_3genE4ELNS1_11target_archE910ELNS1_3gpuE8ELNS1_3repE0EEENS1_30default_config_static_selectorELNS0_4arch9wavefront6targetE1EEEvT1_ ; -- Begin function _ZN7rocprim17ROCPRIM_400000_NS6detail17trampoline_kernelINS0_14default_configENS1_27scan_by_key_config_selectorIidEEZZNS1_16scan_by_key_implILNS1_25lookback_scan_determinismE0ELb0ES3_N6thrust23THRUST_200600_302600_NS6detail15normal_iteratorINS9_10device_ptrIiEEEENSB_INSC_IdEEEESG_dNS9_4plusIvEENS9_8equal_toIvEEdEE10hipError_tPvRmT2_T3_T4_T5_mT6_T7_P12ihipStream_tbENKUlT_T0_E_clISt17integral_constantIbLb0EES11_EEDaSW_SX_EUlSW_E_NS1_11comp_targetILNS1_3genE4ELNS1_11target_archE910ELNS1_3gpuE8ELNS1_3repE0EEENS1_30default_config_static_selectorELNS0_4arch9wavefront6targetE1EEEvT1_
	.globl	_ZN7rocprim17ROCPRIM_400000_NS6detail17trampoline_kernelINS0_14default_configENS1_27scan_by_key_config_selectorIidEEZZNS1_16scan_by_key_implILNS1_25lookback_scan_determinismE0ELb0ES3_N6thrust23THRUST_200600_302600_NS6detail15normal_iteratorINS9_10device_ptrIiEEEENSB_INSC_IdEEEESG_dNS9_4plusIvEENS9_8equal_toIvEEdEE10hipError_tPvRmT2_T3_T4_T5_mT6_T7_P12ihipStream_tbENKUlT_T0_E_clISt17integral_constantIbLb0EES11_EEDaSW_SX_EUlSW_E_NS1_11comp_targetILNS1_3genE4ELNS1_11target_archE910ELNS1_3gpuE8ELNS1_3repE0EEENS1_30default_config_static_selectorELNS0_4arch9wavefront6targetE1EEEvT1_
	.p2align	8
	.type	_ZN7rocprim17ROCPRIM_400000_NS6detail17trampoline_kernelINS0_14default_configENS1_27scan_by_key_config_selectorIidEEZZNS1_16scan_by_key_implILNS1_25lookback_scan_determinismE0ELb0ES3_N6thrust23THRUST_200600_302600_NS6detail15normal_iteratorINS9_10device_ptrIiEEEENSB_INSC_IdEEEESG_dNS9_4plusIvEENS9_8equal_toIvEEdEE10hipError_tPvRmT2_T3_T4_T5_mT6_T7_P12ihipStream_tbENKUlT_T0_E_clISt17integral_constantIbLb0EES11_EEDaSW_SX_EUlSW_E_NS1_11comp_targetILNS1_3genE4ELNS1_11target_archE910ELNS1_3gpuE8ELNS1_3repE0EEENS1_30default_config_static_selectorELNS0_4arch9wavefront6targetE1EEEvT1_,@function
_ZN7rocprim17ROCPRIM_400000_NS6detail17trampoline_kernelINS0_14default_configENS1_27scan_by_key_config_selectorIidEEZZNS1_16scan_by_key_implILNS1_25lookback_scan_determinismE0ELb0ES3_N6thrust23THRUST_200600_302600_NS6detail15normal_iteratorINS9_10device_ptrIiEEEENSB_INSC_IdEEEESG_dNS9_4plusIvEENS9_8equal_toIvEEdEE10hipError_tPvRmT2_T3_T4_T5_mT6_T7_P12ihipStream_tbENKUlT_T0_E_clISt17integral_constantIbLb0EES11_EEDaSW_SX_EUlSW_E_NS1_11comp_targetILNS1_3genE4ELNS1_11target_archE910ELNS1_3gpuE8ELNS1_3repE0EEENS1_30default_config_static_selectorELNS0_4arch9wavefront6targetE1EEEvT1_: ; @_ZN7rocprim17ROCPRIM_400000_NS6detail17trampoline_kernelINS0_14default_configENS1_27scan_by_key_config_selectorIidEEZZNS1_16scan_by_key_implILNS1_25lookback_scan_determinismE0ELb0ES3_N6thrust23THRUST_200600_302600_NS6detail15normal_iteratorINS9_10device_ptrIiEEEENSB_INSC_IdEEEESG_dNS9_4plusIvEENS9_8equal_toIvEEdEE10hipError_tPvRmT2_T3_T4_T5_mT6_T7_P12ihipStream_tbENKUlT_T0_E_clISt17integral_constantIbLb0EES11_EEDaSW_SX_EUlSW_E_NS1_11comp_targetILNS1_3genE4ELNS1_11target_archE910ELNS1_3gpuE8ELNS1_3repE0EEENS1_30default_config_static_selectorELNS0_4arch9wavefront6targetE1EEEvT1_
; %bb.0:
	s_load_dwordx8 s[52:59], s[4:5], 0x0
	s_load_dwordx8 s[84:91], s[4:5], 0x30
	s_load_dwordx2 s[12:13], s[4:5], 0x50
	s_load_dword s2, s[4:5], 0x58
	s_load_dwordx8 s[16:23], s[4:5], 0x60
	s_waitcnt lgkmcnt(0)
	s_lshl_b64 s[0:1], s[54:55], 2
	s_add_u32 s7, s52, s0
	s_addc_u32 s8, s53, s1
	s_lshl_b64 s[94:95], s[54:55], 3
	s_add_u32 s9, s56, s94
	s_mul_i32 s0, s13, s2
	s_mul_hi_u32 s1, s12, s2
	s_addc_u32 s10, s57, s95
	s_add_i32 s11, s1, s0
                                        ; implicit-def: $vgpr135 : SGPR spill to VGPR lane
	s_cmp_lg_u64 s[20:21], 0
	v_writelane_b32 v135, s12, 0
	s_mul_i32 s0, s6, 0x540
	s_mov_b32 s1, 0
	v_writelane_b32 v135, s13, 1
	s_mul_i32 s12, s12, s2
	s_cselect_b64 s[50:51], -1, 0
	s_lshl_b64 s[2:3], s[0:1], 2
	s_add_u32 s48, s7, s2
	s_addc_u32 s49, s8, s3
	s_lshl_b64 s[92:93], s[0:1], 3
	s_add_u32 s7, s9, s92
	s_addc_u32 s62, s10, s93
	s_add_u32 s52, s12, s6
	s_addc_u32 s53, s11, 0
	s_mov_b64 s[14:15], s[18:19]
	s_mov_b64 s[18:19], s[22:23]
	s_add_u32 s2, s16, -1
	v_writelane_b32 v135, s12, 2
	v_writelane_b32 v135, s13, 3
	;; [unrolled: 1-line block ×4, first 2 shown]
	s_addc_u32 s3, s17, -1
	v_writelane_b32 v135, s16, 6
	v_pk_mov_b32 v[2:3], s[2:3], s[2:3] op_sel:[0,1]
	v_writelane_b32 v135, s17, 7
	v_cmp_ge_u64_e64 s[0:1], s[52:53], v[2:3]
	s_mov_b64 s[4:5], 0
	s_mov_b64 s[10:11], -1
	v_writelane_b32 v135, s18, 8
	s_and_b64 vcc, exec, s[0:1]
	s_mul_i32 s33, s2, 0xfffffac0
	s_waitcnt lgkmcnt(0)
	; wave barrier
	v_writelane_b32 v135, s19, 9
	s_cbranch_vccz .LBB1088_112
; %bb.1:
	v_pk_mov_b32 v[2:3], s[48:49], s[48:49] op_sel:[0,1]
	flat_load_dword v2, v[2:3]
	s_add_i32 s64, s33, s90
	v_cmp_gt_u32_e64 s[2:3], s64, v0
	s_waitcnt vmcnt(0) lgkmcnt(0)
	v_mov_b32_e32 v3, v2
	s_and_saveexec_b64 s[4:5], s[2:3]
	s_cbranch_execz .LBB1088_3
; %bb.2:
	v_lshlrev_b32_e32 v1, 2, v0
	v_mov_b32_e32 v3, s49
	v_add_co_u32_e32 v4, vcc, s48, v1
	v_addc_co_u32_e32 v5, vcc, 0, v3, vcc
	flat_load_dword v3, v[4:5]
.LBB1088_3:
	s_or_b64 exec, exec, s[4:5]
	v_or_b32_e32 v1, 64, v0
	v_cmp_gt_u32_e64 s[4:5], s64, v1
	v_mov_b32_e32 v4, v2
	s_and_saveexec_b64 s[8:9], s[4:5]
	s_cbranch_execz .LBB1088_5
; %bb.4:
	v_lshlrev_b32_e32 v1, 2, v0
	v_mov_b32_e32 v5, s49
	v_add_co_u32_e32 v4, vcc, s48, v1
	v_addc_co_u32_e32 v5, vcc, 0, v5, vcc
	flat_load_dword v4, v[4:5] offset:256
.LBB1088_5:
	s_or_b64 exec, exec, s[8:9]
	v_or_b32_e32 v1, 0x80, v0
	v_cmp_gt_u32_e64 s[46:47], s64, v1
	v_mov_b32_e32 v5, v2
	s_and_saveexec_b64 s[8:9], s[46:47]
	s_cbranch_execz .LBB1088_7
; %bb.6:
	v_lshlrev_b32_e32 v1, 2, v0
	v_mov_b32_e32 v5, s49
	v_add_co_u32_e32 v6, vcc, s48, v1
	v_addc_co_u32_e32 v7, vcc, 0, v5, vcc
	flat_load_dword v5, v[6:7] offset:512
.LBB1088_7:
	;; [unrolled: 13-line block ×15, first 2 shown]
	s_or_b64 exec, exec, s[36:37]
	v_or_b32_e32 v56, 0x400, v0
	v_cmp_gt_u32_e64 s[36:37], s64, v56
	v_mov_b32_e32 v19, v2
	s_and_saveexec_b64 s[38:39], s[36:37]
	s_cbranch_execz .LBB1088_35
; %bb.34:
	v_lshlrev_b32_e32 v19, 2, v56
	v_mov_b32_e32 v21, s49
	v_add_co_u32_e32 v20, vcc, s48, v19
	v_addc_co_u32_e32 v21, vcc, 0, v21, vcc
	flat_load_dword v19, v[20:21]
.LBB1088_35:
	s_or_b64 exec, exec, s[38:39]
	v_or_b32_e32 v58, 0x440, v0
	v_cmp_gt_u32_e64 s[38:39], s64, v58
	v_mov_b32_e32 v20, v2
	s_and_saveexec_b64 s[40:41], s[38:39]
	s_cbranch_execz .LBB1088_37
; %bb.36:
	v_lshlrev_b32_e32 v20, 2, v58
	v_mov_b32_e32 v21, s49
	v_add_co_u32_e32 v20, vcc, s48, v20
	v_addc_co_u32_e32 v21, vcc, 0, v21, vcc
	flat_load_dword v20, v[20:21]
.LBB1088_37:
	;; [unrolled: 13-line block ×4, first 2 shown]
	s_or_b64 exec, exec, s[44:45]
	v_or_b32_e32 v65, 0x500, v0
	v_cmp_gt_u32_e64 s[44:45], s64, v65
	s_and_saveexec_b64 s[54:55], s[44:45]
	s_cbranch_execz .LBB1088_43
; %bb.42:
	v_lshlrev_b32_e32 v2, 2, v65
	v_mov_b32_e32 v23, s49
	v_add_co_u32_e32 v24, vcc, s48, v2
	v_addc_co_u32_e32 v25, vcc, 0, v23, vcc
	flat_load_dword v2, v[24:25]
.LBB1088_43:
	s_or_b64 exec, exec, s[54:55]
	v_lshlrev_b32_e32 v23, 2, v0
	s_movk_i32 s54, 0x50
	s_waitcnt vmcnt(0) lgkmcnt(0)
	ds_write2st64_b32 v23, v3, v4 offset1:1
	ds_write2st64_b32 v23, v5, v6 offset0:2 offset1:3
	ds_write2st64_b32 v23, v7, v8 offset0:4 offset1:5
	;; [unrolled: 1-line block ×9, first 2 shown]
	ds_write_b32 v23, v2 offset:5120
	v_mad_u32_u24 v2, v0, s54, v23
	s_waitcnt lgkmcnt(0)
	; wave barrier
	s_waitcnt lgkmcnt(0)
	ds_read2_b32 v[40:41], v2 offset0:7 offset1:8
	ds_read2_b32 v[44:45], v2 offset0:5 offset1:6
	;; [unrolled: 1-line block ×3, first 2 shown]
	ds_read2_b32 v[36:37], v2 offset1:1
	ds_read2_b32 v[32:33], v2 offset0:4 offset1:9
	ds_read2_b32 v[8:9], v2 offset0:15 offset1:16
	ds_read_b32 v64, v2 offset:56
	ds_read2_b32 v[16:17], v2 offset0:12 offset1:13
	ds_read2_b32 v[24:25], v2 offset0:10 offset1:11
	;; [unrolled: 1-line block ×4, first 2 shown]
	s_cmp_eq_u64 s[52:53], 0
	s_mov_b64 s[54:55], s[48:49]
	s_cbranch_scc1 .LBB1088_47
; %bb.44:
	s_andn2_b64 vcc, exec, s[50:51]
	s_cbranch_vccnz .LBB1088_271
; %bb.45:
	v_readlane_b32 s72, v135, 2
	v_readlane_b32 s78, v135, 8
	;; [unrolled: 1-line block ×3, first 2 shown]
	s_lshl_b64 s[54:55], s[52:53], 2
	s_mov_b64 s[70:71], s[78:79]
	s_add_u32 s54, s70, s54
	s_addc_u32 s55, s71, s55
	s_add_u32 s54, s54, -4
	s_addc_u32 s55, s55, -1
	v_readlane_b32 s73, v135, 3
	v_readlane_b32 s74, v135, 4
	;; [unrolled: 1-line block ×5, first 2 shown]
	s_cbranch_execnz .LBB1088_47
.LBB1088_46:
	s_add_u32 s54, s48, -4
	s_addc_u32 s55, s49, -1
.LBB1088_47:
	v_pk_mov_b32 v[6:7], s[54:55], s[54:55] op_sel:[0,1]
	flat_load_dword v68, v[6:7]
	s_movk_i32 s54, 0xffb0
	v_mad_i32_i24 v66, v0, s54, v2
	v_cmp_ne_u32_e32 vcc, 0, v0
	s_waitcnt lgkmcnt(0)
	ds_write_b32 v66, v5 offset:5376
	s_waitcnt lgkmcnt(0)
	; wave barrier
	s_waitcnt lgkmcnt(0)
	s_and_saveexec_b64 s[54:55], vcc
	s_cbranch_execz .LBB1088_49
; %bb.48:
	s_waitcnt vmcnt(0)
	ds_read_b32 v68, v66 offset:5372
.LBB1088_49:
	s_or_b64 exec, exec, s[54:55]
	s_waitcnt lgkmcnt(0)
	; wave barrier
	s_waitcnt lgkmcnt(0)
                                        ; implicit-def: $vgpr2_vgpr3
	s_and_saveexec_b64 s[54:55], s[2:3]
	s_cbranch_execnz .LBB1088_251
; %bb.50:
	s_or_b64 exec, exec, s[54:55]
                                        ; implicit-def: $vgpr6_vgpr7
	s_and_saveexec_b64 s[2:3], s[4:5]
	s_cbranch_execnz .LBB1088_252
.LBB1088_51:
	s_or_b64 exec, exec, s[2:3]
                                        ; implicit-def: $vgpr10_vgpr11
	s_and_saveexec_b64 s[2:3], s[46:47]
	s_cbranch_execnz .LBB1088_253
.LBB1088_52:
	s_or_b64 exec, exec, s[2:3]
                                        ; implicit-def: $vgpr14_vgpr15
	s_and_saveexec_b64 s[2:3], s[8:9]
	s_cbranch_execnz .LBB1088_254
.LBB1088_53:
	s_or_b64 exec, exec, s[2:3]
                                        ; implicit-def: $vgpr18_vgpr19
	s_and_saveexec_b64 s[2:3], s[10:11]
	s_cbranch_execnz .LBB1088_255
.LBB1088_54:
	s_or_b64 exec, exec, s[2:3]
                                        ; implicit-def: $vgpr20_vgpr21
	s_and_saveexec_b64 s[2:3], s[12:13]
	s_cbranch_execnz .LBB1088_256
.LBB1088_55:
	s_or_b64 exec, exec, s[2:3]
                                        ; implicit-def: $vgpr22_vgpr23
	s_and_saveexec_b64 s[2:3], s[14:15]
	s_cbranch_execnz .LBB1088_257
.LBB1088_56:
	s_or_b64 exec, exec, s[2:3]
                                        ; implicit-def: $vgpr26_vgpr27
	s_and_saveexec_b64 s[2:3], s[16:17]
	s_cbranch_execnz .LBB1088_258
.LBB1088_57:
	s_or_b64 exec, exec, s[2:3]
                                        ; implicit-def: $vgpr30_vgpr31
	s_and_saveexec_b64 s[2:3], s[18:19]
	s_cbranch_execnz .LBB1088_259
.LBB1088_58:
	s_or_b64 exec, exec, s[2:3]
                                        ; implicit-def: $vgpr34_vgpr35
	s_and_saveexec_b64 s[2:3], s[20:21]
	s_cbranch_execnz .LBB1088_260
.LBB1088_59:
	s_or_b64 exec, exec, s[2:3]
                                        ; implicit-def: $vgpr38_vgpr39
	s_and_saveexec_b64 s[2:3], s[22:23]
	s_cbranch_execnz .LBB1088_261
.LBB1088_60:
	s_or_b64 exec, exec, s[2:3]
                                        ; implicit-def: $vgpr42_vgpr43
	s_and_saveexec_b64 s[2:3], s[24:25]
	s_cbranch_execnz .LBB1088_262
.LBB1088_61:
	s_or_b64 exec, exec, s[2:3]
                                        ; implicit-def: $vgpr46_vgpr47
	s_and_saveexec_b64 s[2:3], s[26:27]
	s_cbranch_execnz .LBB1088_263
.LBB1088_62:
	s_or_b64 exec, exec, s[2:3]
                                        ; implicit-def: $vgpr48_vgpr49
	s_and_saveexec_b64 s[2:3], s[28:29]
	s_cbranch_execnz .LBB1088_264
.LBB1088_63:
	s_or_b64 exec, exec, s[2:3]
                                        ; implicit-def: $vgpr50_vgpr51
	s_and_saveexec_b64 s[2:3], s[30:31]
	s_cbranch_execnz .LBB1088_265
.LBB1088_64:
	s_or_b64 exec, exec, s[2:3]
                                        ; implicit-def: $vgpr52_vgpr53
	s_and_saveexec_b64 s[2:3], s[34:35]
	s_cbranch_execnz .LBB1088_266
.LBB1088_65:
	s_or_b64 exec, exec, s[2:3]
                                        ; implicit-def: $vgpr54_vgpr55
	s_and_saveexec_b64 s[2:3], s[36:37]
	s_cbranch_execnz .LBB1088_267
.LBB1088_66:
	s_or_b64 exec, exec, s[2:3]
                                        ; implicit-def: $vgpr56_vgpr57
	s_and_saveexec_b64 s[2:3], s[38:39]
	s_cbranch_execnz .LBB1088_268
.LBB1088_67:
	s_or_b64 exec, exec, s[2:3]
                                        ; implicit-def: $vgpr58_vgpr59
	s_and_saveexec_b64 s[2:3], s[40:41]
	s_cbranch_execnz .LBB1088_269
.LBB1088_68:
	s_or_b64 exec, exec, s[2:3]
                                        ; implicit-def: $vgpr60_vgpr61
	s_and_saveexec_b64 s[2:3], s[42:43]
	s_cbranch_execnz .LBB1088_270
.LBB1088_69:
	s_or_b64 exec, exec, s[2:3]
                                        ; implicit-def: $vgpr62_vgpr63
	s_and_saveexec_b64 s[2:3], s[44:45]
	s_cbranch_execz .LBB1088_71
.LBB1088_70:
	v_lshlrev_b32_e32 v1, 3, v65
	v_mov_b32_e32 v63, s62
	v_add_co_u32_e32 v62, vcc, s7, v1
	v_addc_co_u32_e32 v63, vcc, 0, v63, vcc
	flat_load_dwordx2 v[62:63], v[62:63]
.LBB1088_71:
	s_or_b64 exec, exec, s[2:3]
	v_lshl_add_u32 v69, v0, 2, v66
	v_mul_u32_u24_e32 v65, 21, v0
	s_waitcnt vmcnt(0) lgkmcnt(0)
	ds_write2st64_b64 v69, v[2:3], v[6:7] offset1:1
	ds_write2st64_b64 v69, v[10:11], v[14:15] offset0:2 offset1:3
	ds_write2st64_b64 v69, v[18:19], v[20:21] offset0:4 offset1:5
	;; [unrolled: 1-line block ×9, first 2 shown]
	ds_write_b64 v69, v[62:63] offset:10240
	v_pk_mov_b32 v[10:11], 0, 0
	v_cmp_gt_u32_e32 vcc, s64, v65
	s_mov_b64 s[4:5], 0
	s_mov_b64 s[10:11], 0
	s_mov_b32 s63, 0
	v_mov_b32_e32 v128, 0
	v_mov_b32_e32 v122, 0
	;; [unrolled: 1-line block ×5, first 2 shown]
	v_pk_mov_b32 v[70:71], v[10:11], v[10:11] op_sel:[0,1]
	v_pk_mov_b32 v[78:79], v[10:11], v[10:11] op_sel:[0,1]
	;; [unrolled: 1-line block ×8, first 2 shown]
	v_mov_b32_e32 v124, 0
	v_pk_mov_b32 v[38:39], v[10:11], v[10:11] op_sel:[0,1]
	v_pk_mov_b32 v[50:51], v[10:11], v[10:11] op_sel:[0,1]
	;; [unrolled: 1-line block ×5, first 2 shown]
	v_mov_b32_e32 v123, 0
	v_pk_mov_b32 v[34:35], v[10:11], v[10:11] op_sel:[0,1]
	v_pk_mov_b32 v[14:15], v[10:11], v[10:11] op_sel:[0,1]
	;; [unrolled: 1-line block ×5, first 2 shown]
	v_mov_b32_e32 v1, 0
	v_pk_mov_b32 v[2:3], v[10:11], v[10:11] op_sel:[0,1]
	s_waitcnt lgkmcnt(0)
	; wave barrier
	s_waitcnt lgkmcnt(0)
                                        ; implicit-def: $sgpr2_sgpr3
                                        ; implicit-def: $vgpr83
                                        ; implicit-def: $vgpr82
                                        ; implicit-def: $vgpr84
                                        ; implicit-def: $vgpr85
	s_and_saveexec_b64 s[12:13], vcc
	s_cbranch_execz .LBB1088_111
; %bb.72:
	s_movk_i32 s2, 0xa0
	v_mad_u32_u24 v2, v0, s2, v69
	ds_read_b64 v[2:3], v2
	v_cmp_ne_u32_e32 vcc, v68, v36
	v_add_u32_e32 v6, 1, v65
	v_pk_mov_b32 v[10:11], 0, 0
	v_cndmask_b32_e64 v1, 0, 1, vcc
	v_cmp_gt_u32_e32 vcc, s64, v6
	s_mov_b64 s[18:19], 0
	v_mov_b32_e32 v128, 0
	v_mov_b32_e32 v122, 0
	;; [unrolled: 1-line block ×5, first 2 shown]
	v_pk_mov_b32 v[70:71], v[10:11], v[10:11] op_sel:[0,1]
	v_pk_mov_b32 v[78:79], v[10:11], v[10:11] op_sel:[0,1]
	;; [unrolled: 1-line block ×8, first 2 shown]
	v_mov_b32_e32 v124, 0
	v_pk_mov_b32 v[38:39], v[10:11], v[10:11] op_sel:[0,1]
	v_pk_mov_b32 v[50:51], v[10:11], v[10:11] op_sel:[0,1]
	;; [unrolled: 1-line block ×5, first 2 shown]
	v_mov_b32_e32 v123, 0
	v_pk_mov_b32 v[34:35], v[10:11], v[10:11] op_sel:[0,1]
	v_pk_mov_b32 v[14:15], v[10:11], v[10:11] op_sel:[0,1]
	;; [unrolled: 1-line block ×5, first 2 shown]
                                        ; implicit-def: $sgpr2_sgpr3
                                        ; implicit-def: $vgpr83
                                        ; implicit-def: $vgpr82
                                        ; implicit-def: $vgpr84
                                        ; implicit-def: $vgpr85
	s_and_saveexec_b64 s[14:15], vcc
	s_cbranch_execz .LBB1088_110
; %bb.73:
	v_mul_u32_u24_e32 v6, 0xa0, v0
	v_add_u32_e32 v48, v69, v6
	ds_read2_b64 v[18:21], v48 offset0:1 offset1:2
	v_cmp_ne_u32_e64 s[8:9], v36, v37
	v_add_u32_e32 v6, 2, v65
	v_pk_mov_b32 v[10:11], 0, 0
	v_cmp_ne_u32_e32 vcc, v28, v29
	v_cmp_ne_u32_e64 s[2:3], v29, v32
	v_cmp_ne_u32_e64 s[4:5], v37, v28
	v_cndmask_b32_e64 v128, 0, 1, s[8:9]
	v_cmp_gt_u32_e64 s[8:9], s64, v6
	s_mov_b64 s[20:21], 0
	v_mov_b32_e32 v127, 0
	v_mov_b32_e32 v122, 0
	;; [unrolled: 1-line block ×4, first 2 shown]
	v_pk_mov_b32 v[70:71], v[10:11], v[10:11] op_sel:[0,1]
	v_pk_mov_b32 v[78:79], v[10:11], v[10:11] op_sel:[0,1]
	;; [unrolled: 1-line block ×8, first 2 shown]
	v_mov_b32_e32 v124, 0
	v_pk_mov_b32 v[38:39], v[10:11], v[10:11] op_sel:[0,1]
	v_pk_mov_b32 v[50:51], v[10:11], v[10:11] op_sel:[0,1]
	;; [unrolled: 1-line block ×5, first 2 shown]
	v_mov_b32_e32 v123, 0
	v_pk_mov_b32 v[34:35], v[10:11], v[10:11] op_sel:[0,1]
	v_pk_mov_b32 v[14:15], v[10:11], v[10:11] op_sel:[0,1]
	;; [unrolled: 1-line block ×4, first 2 shown]
                                        ; implicit-def: $sgpr22_sgpr23
                                        ; implicit-def: $vgpr83
                                        ; implicit-def: $vgpr82
                                        ; implicit-def: $vgpr84
                                        ; implicit-def: $vgpr85
	s_and_saveexec_b64 s[16:17], s[8:9]
	s_cbranch_execz .LBB1088_109
; %bb.74:
	v_cndmask_b32_e64 v6, 0, 1, s[4:5]
	v_cndmask_b32_e64 v7, 0, 1, s[2:3]
	v_lshlrev_b16_e32 v6, 8, v6
	v_lshlrev_b16_e32 v7, 8, v7
	v_cndmask_b32_e64 v10, 0, 1, vcc
	v_or_b32_e32 v6, v128, v6
	v_or_b32_sdwa v7, v10, v7 dst_sel:WORD_1 dst_unused:UNUSED_PAD src0_sel:DWORD src1_sel:DWORD
	v_add_u32_e32 v10, 3, v65
	v_or_b32_sdwa v83, v6, v7 dst_sel:DWORD dst_unused:UNUSED_PAD src0_sel:WORD_0 src1_sel:DWORD
	v_cmp_gt_u32_e32 vcc, s64, v10
	v_pk_mov_b32 v[10:11], 0, 0
	v_and_b32_e32 v128, 0xffff, v83
	s_waitcnt lgkmcnt(0)
	v_mov_b32_e32 v6, v20
	v_mov_b32_e32 v7, v21
	s_mov_b64 s[2:3], 0
	v_mov_b32_e32 v127, 0
	v_mov_b32_e32 v122, 0
	;; [unrolled: 1-line block ×4, first 2 shown]
	v_pk_mov_b32 v[70:71], v[10:11], v[10:11] op_sel:[0,1]
	v_pk_mov_b32 v[78:79], v[10:11], v[10:11] op_sel:[0,1]
	;; [unrolled: 1-line block ×8, first 2 shown]
	v_mov_b32_e32 v124, 0
	v_pk_mov_b32 v[38:39], v[10:11], v[10:11] op_sel:[0,1]
	v_pk_mov_b32 v[50:51], v[10:11], v[10:11] op_sel:[0,1]
	;; [unrolled: 1-line block ×5, first 2 shown]
	v_mov_b32_e32 v123, 0
	v_pk_mov_b32 v[34:35], v[10:11], v[10:11] op_sel:[0,1]
	v_pk_mov_b32 v[14:15], v[10:11], v[10:11] op_sel:[0,1]
	;; [unrolled: 1-line block ×3, first 2 shown]
                                        ; implicit-def: $sgpr4_sgpr5
                                        ; implicit-def: $vgpr82
                                        ; implicit-def: $vgpr84
                                        ; implicit-def: $vgpr85
	s_and_saveexec_b64 s[18:19], vcc
	s_cbranch_execz .LBB1088_108
; %bb.75:
	ds_read2_b64 v[26:29], v48 offset0:3 offset1:4
	v_add_u32_e32 v10, 4, v65
	v_cmp_gt_u32_e32 vcc, s64, v10
	v_pk_mov_b32 v[10:11], 0, 0
	v_and_b32_e32 v128, 0xffffff, v83
	s_mov_b64 s[4:5], 0
	v_mov_b32_e32 v127, 0
	v_mov_b32_e32 v122, 0
	;; [unrolled: 1-line block ×4, first 2 shown]
	v_pk_mov_b32 v[70:71], v[10:11], v[10:11] op_sel:[0,1]
	v_pk_mov_b32 v[78:79], v[10:11], v[10:11] op_sel:[0,1]
	;; [unrolled: 1-line block ×8, first 2 shown]
	v_mov_b32_e32 v124, 0
	v_pk_mov_b32 v[38:39], v[10:11], v[10:11] op_sel:[0,1]
	v_pk_mov_b32 v[50:51], v[10:11], v[10:11] op_sel:[0,1]
	;; [unrolled: 1-line block ×5, first 2 shown]
	v_mov_b32_e32 v123, 0
	v_pk_mov_b32 v[34:35], v[10:11], v[10:11] op_sel:[0,1]
	v_pk_mov_b32 v[14:15], v[10:11], v[10:11] op_sel:[0,1]
                                        ; implicit-def: $sgpr8_sgpr9
                                        ; implicit-def: $vgpr82
                                        ; implicit-def: $vgpr84
                                        ; implicit-def: $vgpr85
	s_and_saveexec_b64 s[20:21], vcc
	s_cbranch_execz .LBB1088_107
; %bb.76:
	v_add_u32_e32 v10, 5, v65
	v_cmp_gt_u32_e32 vcc, s64, v10
	v_pk_mov_b32 v[10:11], 0, 0
	s_waitcnt lgkmcnt(0)
	v_mov_b32_e32 v14, v28
	v_mov_b32_e32 v15, v29
	;; [unrolled: 1-line block ×6, first 2 shown]
	v_pk_mov_b32 v[70:71], v[10:11], v[10:11] op_sel:[0,1]
	v_pk_mov_b32 v[78:79], v[10:11], v[10:11] op_sel:[0,1]
	;; [unrolled: 1-line block ×8, first 2 shown]
	v_mov_b32_e32 v124, 0
	v_pk_mov_b32 v[38:39], v[10:11], v[10:11] op_sel:[0,1]
	v_pk_mov_b32 v[50:51], v[10:11], v[10:11] op_sel:[0,1]
	;; [unrolled: 1-line block ×5, first 2 shown]
	v_mov_b32_e32 v123, 0
	v_pk_mov_b32 v[34:35], v[10:11], v[10:11] op_sel:[0,1]
                                        ; implicit-def: $sgpr8_sgpr9
                                        ; implicit-def: $vgpr82
                                        ; implicit-def: $vgpr84
                                        ; implicit-def: $vgpr85
	s_and_saveexec_b64 s[22:23], vcc
	s_cbranch_execz .LBB1088_106
; %bb.77:
	ds_read2_b64 v[34:37], v48 offset0:5 offset1:6
	v_cmp_ne_u32_e32 vcc, v32, v44
	v_add_u32_e32 v10, 6, v65
	v_cndmask_b32_e64 v123, 0, 1, vcc
	v_cmp_gt_u32_e32 vcc, s64, v10
	v_pk_mov_b32 v[10:11], 0, 0
	s_mov_b64 s[28:29], 0
	v_mov_b32_e32 v127, 0
	v_mov_b32_e32 v122, 0
	;; [unrolled: 1-line block ×4, first 2 shown]
	v_pk_mov_b32 v[70:71], v[10:11], v[10:11] op_sel:[0,1]
	v_pk_mov_b32 v[78:79], v[10:11], v[10:11] op_sel:[0,1]
	;; [unrolled: 1-line block ×8, first 2 shown]
	v_mov_b32_e32 v124, 0
	v_pk_mov_b32 v[38:39], v[10:11], v[10:11] op_sel:[0,1]
	v_pk_mov_b32 v[50:51], v[10:11], v[10:11] op_sel:[0,1]
	;; [unrolled: 1-line block ×5, first 2 shown]
                                        ; implicit-def: $sgpr4_sgpr5
                                        ; implicit-def: $vgpr82
                                        ; implicit-def: $vgpr84
                                        ; implicit-def: $vgpr85
	s_and_saveexec_b64 s[24:25], vcc
	s_cbranch_execz .LBB1088_105
; %bb.78:
	v_cmp_ne_u32_e64 s[8:9], v44, v45
	v_add_u32_e32 v10, 7, v65
	v_cndmask_b32_e64 v127, 0, 1, s[8:9]
	v_cmp_gt_u32_e64 s[8:9], s64, v10
	v_pk_mov_b32 v[10:11], 0, 0
	s_waitcnt lgkmcnt(0)
	v_mov_b32_e32 v22, v36
	v_mov_b32_e32 v23, v37
	v_cmp_ne_u32_e32 vcc, v40, v41
	v_cmp_ne_u32_e64 s[2:3], v41, v33
	v_cmp_ne_u32_e64 s[4:5], v45, v40
	s_mov_b64 s[30:31], 0
	v_mov_b32_e32 v126, 0
	v_mov_b32_e32 v122, 0
	;; [unrolled: 1-line block ×3, first 2 shown]
	v_pk_mov_b32 v[70:71], v[10:11], v[10:11] op_sel:[0,1]
	v_pk_mov_b32 v[78:79], v[10:11], v[10:11] op_sel:[0,1]
	;; [unrolled: 1-line block ×8, first 2 shown]
	v_mov_b32_e32 v124, 0
	v_pk_mov_b32 v[38:39], v[10:11], v[10:11] op_sel:[0,1]
	v_pk_mov_b32 v[50:51], v[10:11], v[10:11] op_sel:[0,1]
	;; [unrolled: 1-line block ×4, first 2 shown]
                                        ; implicit-def: $sgpr34_sgpr35
                                        ; implicit-def: $vgpr82
                                        ; implicit-def: $vgpr84
                                        ; implicit-def: $vgpr85
	s_and_saveexec_b64 s[26:27], s[8:9]
	s_cbranch_execz .LBB1088_104
; %bb.79:
	v_cndmask_b32_e64 v10, 0, 1, s[4:5]
	v_cndmask_b32_e64 v11, 0, 1, s[2:3]
	v_lshlrev_b16_e32 v10, 8, v10
	v_lshlrev_b16_e32 v11, 8, v11
	v_cndmask_b32_e64 v20, 0, 1, vcc
	ds_read2_b64 v[42:45], v48 offset0:7 offset1:8
	v_or_b32_e32 v10, v127, v10
	v_or_b32_sdwa v11, v20, v11 dst_sel:WORD_1 dst_unused:UNUSED_PAD src0_sel:DWORD src1_sel:DWORD
	v_or_b32_sdwa v82, v10, v11 dst_sel:DWORD dst_unused:UNUSED_PAD src0_sel:WORD_0 src1_sel:DWORD
	v_add_u32_e32 v10, 8, v65
	v_cmp_gt_u32_e32 vcc, s64, v10
	v_pk_mov_b32 v[10:11], 0, 0
	v_and_b32_e32 v127, 0xffff, v82
	s_mov_b64 s[2:3], 0
	v_mov_b32_e32 v126, 0
	v_mov_b32_e32 v122, 0
	;; [unrolled: 1-line block ×3, first 2 shown]
	v_pk_mov_b32 v[70:71], v[10:11], v[10:11] op_sel:[0,1]
	v_pk_mov_b32 v[78:79], v[10:11], v[10:11] op_sel:[0,1]
	;; [unrolled: 1-line block ×8, first 2 shown]
	v_mov_b32_e32 v124, 0
	v_pk_mov_b32 v[38:39], v[10:11], v[10:11] op_sel:[0,1]
	v_pk_mov_b32 v[50:51], v[10:11], v[10:11] op_sel:[0,1]
	;; [unrolled: 1-line block ×3, first 2 shown]
                                        ; implicit-def: $sgpr4_sgpr5
                                        ; implicit-def: $vgpr84
                                        ; implicit-def: $vgpr85
	s_and_saveexec_b64 s[28:29], vcc
	s_cbranch_execz .LBB1088_103
; %bb.80:
	v_add_u32_e32 v10, 9, v65
	v_cmp_gt_u32_e32 vcc, s64, v10
	v_pk_mov_b32 v[10:11], 0, 0
	s_waitcnt lgkmcnt(0)
	v_mov_b32_e32 v30, v44
	v_mov_b32_e32 v31, v45
	v_and_b32_e32 v127, 0xffffff, v82
	s_mov_b64 s[4:5], 0
	v_mov_b32_e32 v126, 0
	v_mov_b32_e32 v122, 0
	;; [unrolled: 1-line block ×3, first 2 shown]
	v_pk_mov_b32 v[70:71], v[10:11], v[10:11] op_sel:[0,1]
	v_pk_mov_b32 v[78:79], v[10:11], v[10:11] op_sel:[0,1]
	;; [unrolled: 1-line block ×8, first 2 shown]
	v_mov_b32_e32 v124, 0
	v_pk_mov_b32 v[38:39], v[10:11], v[10:11] op_sel:[0,1]
	v_pk_mov_b32 v[50:51], v[10:11], v[10:11] op_sel:[0,1]
                                        ; implicit-def: $sgpr8_sgpr9
                                        ; implicit-def: $vgpr84
                                        ; implicit-def: $vgpr85
	s_and_saveexec_b64 s[30:31], vcc
	s_cbranch_execz .LBB1088_102
; %bb.81:
	ds_read2_b64 v[50:53], v48 offset0:9 offset1:10
	v_add_u32_e32 v10, 10, v65
	v_cmp_gt_u32_e32 vcc, s64, v10
	v_pk_mov_b32 v[10:11], 0, 0
	v_mov_b32_e32 v126, 0
	v_mov_b32_e32 v122, 0
	v_mov_b32_e32 v125, 0
	v_pk_mov_b32 v[70:71], v[10:11], v[10:11] op_sel:[0,1]
	v_pk_mov_b32 v[78:79], v[10:11], v[10:11] op_sel:[0,1]
	;; [unrolled: 1-line block ×8, first 2 shown]
	v_mov_b32_e32 v124, 0
	v_pk_mov_b32 v[38:39], v[10:11], v[10:11] op_sel:[0,1]
                                        ; implicit-def: $sgpr8_sgpr9
                                        ; implicit-def: $vgpr84
                                        ; implicit-def: $vgpr85
	s_and_saveexec_b64 s[34:35], vcc
	s_cbranch_execz .LBB1088_101
; %bb.82:
	v_cmp_ne_u32_e32 vcc, v33, v24
	v_add_u32_e32 v10, 11, v65
	v_cndmask_b32_e64 v124, 0, 1, vcc
	v_cmp_gt_u32_e32 vcc, s64, v10
	v_pk_mov_b32 v[10:11], 0, 0
	s_waitcnt lgkmcnt(0)
	v_mov_b32_e32 v38, v52
	v_mov_b32_e32 v39, v53
	s_mov_b64 s[40:41], 0
	v_mov_b32_e32 v126, 0
	v_mov_b32_e32 v122, 0
	;; [unrolled: 1-line block ×3, first 2 shown]
	v_pk_mov_b32 v[70:71], v[10:11], v[10:11] op_sel:[0,1]
	v_pk_mov_b32 v[78:79], v[10:11], v[10:11] op_sel:[0,1]
	;; [unrolled: 1-line block ×8, first 2 shown]
                                        ; implicit-def: $sgpr4_sgpr5
                                        ; implicit-def: $vgpr84
                                        ; implicit-def: $vgpr85
	s_and_saveexec_b64 s[36:37], vcc
	s_cbranch_execz .LBB1088_100
; %bb.83:
	ds_read2_b64 v[58:61], v48 offset0:11 offset1:12
	v_cmp_ne_u32_e64 s[8:9], v24, v25
	v_add_u32_e32 v10, 12, v65
	v_cndmask_b32_e64 v126, 0, 1, s[8:9]
	v_cmp_gt_u32_e64 s[8:9], s64, v10
	v_pk_mov_b32 v[10:11], 0, 0
	v_cmp_ne_u32_e32 vcc, v16, v17
	v_cmp_ne_u32_e64 s[2:3], v17, v64
	v_cmp_ne_u32_e64 s[4:5], v25, v16
	s_mov_b64 s[42:43], 0
	v_mov_b32_e32 v125, 0
	v_mov_b32_e32 v122, 0
	v_pk_mov_b32 v[70:71], v[10:11], v[10:11] op_sel:[0,1]
	v_pk_mov_b32 v[78:79], v[10:11], v[10:11] op_sel:[0,1]
	;; [unrolled: 1-line block ×7, first 2 shown]
                                        ; implicit-def: $sgpr44_sgpr45
                                        ; implicit-def: $vgpr84
                                        ; implicit-def: $vgpr85
	s_and_saveexec_b64 s[38:39], s[8:9]
	s_cbranch_execz .LBB1088_99
; %bb.84:
	v_cndmask_b32_e64 v10, 0, 1, s[4:5]
	v_cndmask_b32_e64 v11, 0, 1, s[2:3]
	v_lshlrev_b16_e32 v10, 8, v10
	v_lshlrev_b16_e32 v11, 8, v11
	v_cndmask_b32_e64 v16, 0, 1, vcc
	v_or_b32_e32 v10, v126, v10
	v_or_b32_sdwa v11, v16, v11 dst_sel:WORD_1 dst_unused:UNUSED_PAD src0_sel:DWORD src1_sel:DWORD
	v_or_b32_sdwa v84, v10, v11 dst_sel:DWORD dst_unused:UNUSED_PAD src0_sel:WORD_0 src1_sel:DWORD
	v_add_u32_e32 v10, 13, v65
	v_cmp_gt_u32_e32 vcc, s64, v10
	v_pk_mov_b32 v[10:11], 0, 0
	v_and_b32_e32 v126, 0xffff, v84
	s_waitcnt lgkmcnt(0)
	v_mov_b32_e32 v46, v60
	v_mov_b32_e32 v47, v61
	s_mov_b64 s[2:3], 0
	v_mov_b32_e32 v125, 0
	v_mov_b32_e32 v122, 0
	v_pk_mov_b32 v[70:71], v[10:11], v[10:11] op_sel:[0,1]
	v_pk_mov_b32 v[78:79], v[10:11], v[10:11] op_sel:[0,1]
	;; [unrolled: 1-line block ×6, first 2 shown]
                                        ; implicit-def: $sgpr4_sgpr5
                                        ; implicit-def: $vgpr85
	s_and_saveexec_b64 s[40:41], vcc
	s_cbranch_execz .LBB1088_98
; %bb.85:
	ds_read2_b64 v[66:69], v48 offset0:13 offset1:14
	v_add_u32_e32 v10, 14, v65
	v_cmp_gt_u32_e32 vcc, s64, v10
	v_pk_mov_b32 v[10:11], 0, 0
	s_mov_b64 s[66:67], s[58:59]
	v_and_b32_e32 v126, 0xffffff, v84
	s_mov_b64 s[4:5], 0
	v_mov_b32_e32 v125, 0
	v_mov_b32_e32 v122, 0
	v_pk_mov_b32 v[70:71], v[10:11], v[10:11] op_sel:[0,1]
	v_pk_mov_b32 v[78:79], v[10:11], v[10:11] op_sel:[0,1]
	;; [unrolled: 1-line block ×5, first 2 shown]
                                        ; implicit-def: $sgpr8_sgpr9
                                        ; implicit-def: $vgpr85
	s_and_saveexec_b64 s[42:43], vcc
	s_cbranch_execz .LBB1088_97
; %bb.86:
	v_add_u32_e32 v10, 15, v65
	v_cmp_gt_u32_e32 vcc, s64, v10
	v_pk_mov_b32 v[10:11], 0, 0
	s_waitcnt lgkmcnt(0)
	v_mov_b32_e32 v54, v68
	v_mov_b32_e32 v55, v69
	;; [unrolled: 1-line block ×4, first 2 shown]
	v_pk_mov_b32 v[70:71], v[10:11], v[10:11] op_sel:[0,1]
	v_pk_mov_b32 v[78:79], v[10:11], v[10:11] op_sel:[0,1]
	;; [unrolled: 1-line block ×4, first 2 shown]
                                        ; implicit-def: $sgpr8_sgpr9
                                        ; implicit-def: $vgpr85
	s_and_saveexec_b64 s[44:45], vcc
	s_cbranch_execz .LBB1088_96
; %bb.87:
	ds_read2_b64 v[74:77], v48 offset0:15 offset1:16
	v_cmp_ne_u32_e32 vcc, v64, v8
	v_add_u32_e32 v10, 16, v65
	v_cndmask_b32_e64 v122, 0, 1, vcc
	v_cmp_gt_u32_e32 vcc, s64, v10
	v_pk_mov_b32 v[10:11], 0, 0
	s_mov_b64 s[56:57], 0
	v_mov_b32_e32 v125, 0
	v_pk_mov_b32 v[70:71], v[10:11], v[10:11] op_sel:[0,1]
	v_pk_mov_b32 v[78:79], v[10:11], v[10:11] op_sel:[0,1]
	;; [unrolled: 1-line block ×3, first 2 shown]
                                        ; implicit-def: $sgpr4_sgpr5
                                        ; implicit-def: $vgpr85
	s_and_saveexec_b64 s[46:47], vcc
	s_cbranch_execz .LBB1088_95
; %bb.88:
	v_cmp_ne_u32_e64 s[8:9], v8, v9
	v_add_u32_e32 v8, 17, v65
	v_pk_mov_b32 v[10:11], 0, 0
	s_waitcnt lgkmcnt(0)
	v_mov_b32_e32 v62, v76
	v_mov_b32_e32 v63, v77
	v_cmp_ne_u32_e32 vcc, v12, v13
	v_cmp_ne_u32_e64 s[2:3], v13, v4
	v_cmp_ne_u32_e64 s[4:5], v9, v12
	v_cndmask_b32_e64 v125, 0, 1, s[8:9]
	v_cmp_gt_u32_e64 s[8:9], s64, v8
	s_mov_b64 s[58:59], 0
	v_pk_mov_b32 v[70:71], v[10:11], v[10:11] op_sel:[0,1]
	v_pk_mov_b32 v[78:79], v[10:11], v[10:11] op_sel:[0,1]
                                        ; implicit-def: $sgpr60_sgpr61
                                        ; implicit-def: $vgpr85
	s_and_saveexec_b64 s[54:55], s[8:9]
	s_cbranch_execz .LBB1088_94
; %bb.89:
	v_cndmask_b32_e64 v8, 0, 1, s[4:5]
	v_cndmask_b32_e64 v9, 0, 1, s[2:3]
	ds_read2_b64 v[78:81], v48 offset0:17 offset1:18
	v_lshlrev_b16_e32 v8, 8, v8
	v_lshlrev_b16_e32 v9, 8, v9
	v_cndmask_b32_e64 v10, 0, 1, vcc
	v_or_b32_e32 v8, v125, v8
	v_or_b32_sdwa v9, v10, v9 dst_sel:WORD_1 dst_unused:UNUSED_PAD src0_sel:DWORD src1_sel:DWORD
	v_or_b32_sdwa v85, v8, v9 dst_sel:DWORD dst_unused:UNUSED_PAD src0_sel:WORD_0 src1_sel:DWORD
	v_add_u32_e32 v8, 18, v65
	v_pk_mov_b32 v[10:11], 0, 0
	v_and_b32_e32 v125, 0xffff, v85
	v_cmp_gt_u32_e32 vcc, s64, v8
	s_mov_b64 s[2:3], 0
	v_pk_mov_b32 v[70:71], v[10:11], v[10:11] op_sel:[0,1]
                                        ; implicit-def: $sgpr8_sgpr9
	s_and_saveexec_b64 s[4:5], vcc
	s_cbranch_execz .LBB1088_93
; %bb.90:
	v_add_u32_e32 v8, 19, v65
	s_waitcnt lgkmcnt(0)
	v_mov_b32_e32 v70, v80
	v_mov_b32_e32 v71, v81
	v_cmp_gt_u32_e32 vcc, s64, v8
	v_and_b32_e32 v125, 0xffffff, v85
	v_pk_mov_b32 v[10:11], 0, 0
                                        ; implicit-def: $sgpr8_sgpr9
	s_and_saveexec_b64 s[56:57], vcc
	s_xor_b64 s[56:57], exec, s[56:57]
	s_cbranch_execz .LBB1088_92
; %bb.91:
	ds_read2_b64 v[10:13], v48 offset0:19 offset1:20
	v_cmp_ne_u32_e32 vcc, v4, v5
	v_add_u32_e32 v4, 20, v65
	v_cmp_gt_u32_e64 s[2:3], s64, v4
	s_and_b64 s[8:9], vcc, exec
	s_and_b64 s[2:3], s[2:3], exec
	s_waitcnt lgkmcnt(0)
	v_pk_mov_b32 v[72:73], v[10:11], v[10:11] op_sel:[0,1]
	v_mov_b32_e32 v125, v85
.LBB1088_92:
	s_or_b64 exec, exec, s[56:57]
	s_and_b64 s[8:9], s[8:9], exec
	s_and_b64 s[58:59], s[2:3], exec
.LBB1088_93:
	s_or_b64 exec, exec, s[4:5]
	s_and_b64 s[60:61], s[8:9], exec
	s_and_b64 s[56:57], s[58:59], exec
	s_waitcnt lgkmcnt(0)
	v_pk_mov_b32 v[64:65], v[78:79], v[78:79] op_sel:[0,1]
	v_pk_mov_b32 v[56:57], v[74:75], v[74:75] op_sel:[0,1]
	;; [unrolled: 1-line block ×9, first 2 shown]
.LBB1088_94:
	s_or_b64 exec, exec, s[54:55]
	s_and_b64 s[4:5], s[60:61], exec
	s_and_b64 s[2:3], s[56:57], exec
.LBB1088_95:
	s_or_b64 exec, exec, s[46:47]
	s_and_b64 s[8:9], s[4:5], exec
	s_and_b64 s[4:5], s[2:3], exec
.LBB1088_96:
	s_or_b64 exec, exec, s[44:45]
	s_and_b64 s[8:9], s[8:9], exec
	s_and_b64 s[2:3], s[4:5], exec
	v_mov_b32_e32 v126, v84
.LBB1088_97:
	s_or_b64 exec, exec, s[42:43]
	s_and_b64 s[4:5], s[8:9], exec
	s_and_b64 s[42:43], s[2:3], exec
	s_mov_b64 s[58:59], s[66:67]
.LBB1088_98:
	s_or_b64 exec, exec, s[40:41]
	s_and_b64 s[44:45], s[4:5], exec
	s_and_b64 s[40:41], s[42:43], exec
.LBB1088_99:
	s_or_b64 exec, exec, s[38:39]
	s_and_b64 s[4:5], s[44:45], exec
	s_and_b64 s[2:3], s[40:41], exec
.LBB1088_100:
	s_or_b64 exec, exec, s[36:37]
	s_and_b64 s[8:9], s[4:5], exec
	s_and_b64 s[4:5], s[2:3], exec
.LBB1088_101:
	s_or_b64 exec, exec, s[34:35]
	s_and_b64 s[8:9], s[8:9], exec
	s_and_b64 s[2:3], s[4:5], exec
	v_mov_b32_e32 v127, v82
.LBB1088_102:
	s_or_b64 exec, exec, s[30:31]
	s_and_b64 s[4:5], s[8:9], exec
	s_and_b64 s[30:31], s[2:3], exec
.LBB1088_103:
	s_or_b64 exec, exec, s[28:29]
	s_and_b64 s[34:35], s[4:5], exec
	s_and_b64 s[28:29], s[30:31], exec
.LBB1088_104:
	s_or_b64 exec, exec, s[26:27]
	s_and_b64 s[4:5], s[34:35], exec
	s_and_b64 s[2:3], s[28:29], exec
.LBB1088_105:
	s_or_b64 exec, exec, s[24:25]
	s_and_b64 s[8:9], s[4:5], exec
	s_and_b64 s[4:5], s[2:3], exec
.LBB1088_106:
	s_or_b64 exec, exec, s[22:23]
	s_and_b64 s[8:9], s[8:9], exec
	s_and_b64 s[2:3], s[4:5], exec
	v_mov_b32_e32 v128, v83
.LBB1088_107:
	s_or_b64 exec, exec, s[20:21]
	s_and_b64 s[4:5], s[8:9], exec
	s_and_b64 s[20:21], s[2:3], exec
.LBB1088_108:
	s_or_b64 exec, exec, s[18:19]
	s_and_b64 s[22:23], s[4:5], exec
	s_and_b64 s[18:19], s[20:21], exec
.LBB1088_109:
	s_or_b64 exec, exec, s[16:17]
	s_and_b64 s[2:3], s[22:23], exec
	s_and_b64 s[4:5], s[18:19], exec
.LBB1088_110:
	s_or_b64 exec, exec, s[14:15]
	s_and_b64 s[2:3], s[2:3], exec
	s_and_b64 s[4:5], s[4:5], exec
.LBB1088_111:
	s_or_b64 exec, exec, s[12:13]
	s_mov_b64 s[8:9], 0
	s_and_b64 vcc, exec, s[10:11]
	s_cbranch_vccnz .LBB1088_113
	s_branch .LBB1088_121
.LBB1088_112:
                                        ; implicit-def: $sgpr2_sgpr3
                                        ; implicit-def: $vgpr83
                                        ; implicit-def: $vgpr82
                                        ; implicit-def: $vgpr84
                                        ; implicit-def: $vgpr85
                                        ; implicit-def: $vgpr12_vgpr13
                                        ; implicit-def: $vgpr72_vgpr73
                                        ; implicit-def: $vgpr64_vgpr65
                                        ; implicit-def: $vgpr122
                                        ; implicit-def: $vgpr56_vgpr57
                                        ; implicit-def: $vgpr48_vgpr49
                                        ; implicit-def: $vgpr40_vgpr41
                                        ; implicit-def: $vgpr124
                                        ; implicit-def: $vgpr32_vgpr33
                                        ; implicit-def: $vgpr24_vgpr25
                                        ; implicit-def: $vgpr123
                                        ; implicit-def: $vgpr16_vgpr17
                                        ; implicit-def: $vgpr8_vgpr9
                                        ; implicit-def: $vgpr4_vgpr5
                                        ; implicit-def: $vgpr1
                                        ; implicit-def: $vgpr128
                                        ; implicit-def: $vgpr127
                                        ; implicit-def: $vgpr126
                                        ; implicit-def: $vgpr125
                                        ; implicit-def: $sgpr63
                                        ; implicit-def: $sgpr8_sgpr9
                                        ; implicit-def: $vgpr78_vgpr79
                                        ; implicit-def: $vgpr74_vgpr75
                                        ; implicit-def: $vgpr66_vgpr67
                                        ; implicit-def: $vgpr58_vgpr59
                                        ; implicit-def: $vgpr50_vgpr51
                                        ; implicit-def: $vgpr42_vgpr43
                                        ; implicit-def: $vgpr34_vgpr35
                                        ; implicit-def: $vgpr26_vgpr27
                                        ; implicit-def: $vgpr18_vgpr19
	s_and_b64 vcc, exec, s[10:11]
	s_cbranch_vccz .LBB1088_121
.LBB1088_113:
	v_lshlrev_b32_e32 v1, 2, v0
	s_waitcnt lgkmcnt(0)
	v_mov_b32_e32 v3, s49
	v_add_co_u32_e32 v2, vcc, s48, v1
	v_addc_co_u32_e32 v3, vcc, 0, v3, vcc
	s_movk_i32 s2, 0x1000
	flat_load_dword v4, v[2:3]
	flat_load_dword v5, v[2:3] offset:256
	flat_load_dword v6, v[2:3] offset:512
	;; [unrolled: 1-line block ×15, first 2 shown]
	v_add_co_u32_e32 v2, vcc, s2, v2
	v_addc_co_u32_e32 v3, vcc, 0, v3, vcc
	flat_load_dword v20, v[2:3]
	flat_load_dword v21, v[2:3] offset:256
	flat_load_dword v22, v[2:3] offset:512
	;; [unrolled: 1-line block ×4, first 2 shown]
	s_movk_i32 s2, 0x50
	v_mad_u32_u24 v23, v0, s2, v1
	s_cmp_eq_u64 s[52:53], 0
	s_waitcnt vmcnt(0) lgkmcnt(0)
	ds_write2st64_b32 v1, v4, v5 offset1:1
	ds_write2st64_b32 v1, v6, v7 offset0:2 offset1:3
	ds_write2st64_b32 v1, v8, v9 offset0:4 offset1:5
	;; [unrolled: 1-line block ×9, first 2 shown]
	ds_write_b32 v1, v25 offset:5120
	s_waitcnt lgkmcnt(0)
	; wave barrier
	s_waitcnt lgkmcnt(0)
	ds_read2_b32 v[8:9], v23 offset0:7 offset1:8
	ds_read2_b32 v[6:7], v23 offset0:5 offset1:6
	;; [unrolled: 1-line block ×3, first 2 shown]
	ds_read2_b32 v[10:11], v23 offset1:1
	ds_read2_b32 v[4:5], v23 offset0:4 offset1:9
	ds_read2_b32 v[16:17], v23 offset0:15 offset1:16
	ds_read_b32 v22, v23 offset:56
	ds_read2_b32 v[14:15], v23 offset0:12 offset1:13
	ds_read2_b32 v[12:13], v23 offset0:10 offset1:11
	;; [unrolled: 1-line block ×4, first 2 shown]
	s_cbranch_scc1 .LBB1088_118
; %bb.114:
	s_andn2_b64 vcc, exec, s[50:51]
	s_cbranch_vccnz .LBB1088_272
; %bb.115:
	v_readlane_b32 s8, v135, 2
	s_lshl_b64 s[2:3], s[52:53], 2
	v_readlane_b32 s14, v135, 8
	v_readlane_b32 s15, v135, 9
	s_add_u32 s2, s14, s2
	s_addc_u32 s3, s15, s3
	s_add_u32 s2, s2, -4
	s_addc_u32 s3, s3, -1
	v_readlane_b32 s9, v135, 3
	v_readlane_b32 s10, v135, 4
	;; [unrolled: 1-line block ×5, first 2 shown]
	s_cbranch_execnz .LBB1088_117
.LBB1088_116:
	s_add_u32 s2, s48, -4
	s_addc_u32 s3, s49, -1
.LBB1088_117:
	s_mov_b64 s[48:49], s[2:3]
.LBB1088_118:
	v_pk_mov_b32 v[24:25], s[48:49], s[48:49] op_sel:[0,1]
	flat_load_dword v1, v[24:25]
	s_movk_i32 s2, 0xffb0
	v_mad_i32_i24 v23, v0, s2, v23
	v_cmp_ne_u32_e32 vcc, 0, v0
	s_waitcnt lgkmcnt(0)
	ds_write_b32 v23, v21 offset:5376
	s_waitcnt lgkmcnt(0)
	; wave barrier
	s_waitcnt lgkmcnt(0)
	s_and_saveexec_b64 s[2:3], vcc
	s_cbranch_execz .LBB1088_120
; %bb.119:
	s_waitcnt vmcnt(0)
	ds_read_b32 v1, v23 offset:5372
.LBB1088_120:
	s_or_b64 exec, exec, s[2:3]
	v_lshlrev_b32_e32 v24, 3, v0
	v_mov_b32_e32 v25, s62
	v_add_co_u32_e32 v24, vcc, s7, v24
	v_addc_co_u32_e32 v25, vcc, 0, v25, vcc
	s_movk_i32 s2, 0x1000
	v_add_co_u32_e32 v42, vcc, s2, v24
	v_addc_co_u32_e32 v43, vcc, 0, v25, vcc
	s_movk_i32 s2, 0x2000
	s_waitcnt lgkmcnt(0)
	; wave barrier
	s_waitcnt lgkmcnt(0)
	flat_load_dwordx2 v[26:27], v[24:25]
	flat_load_dwordx2 v[28:29], v[24:25] offset:512
	flat_load_dwordx2 v[30:31], v[24:25] offset:1024
	;; [unrolled: 1-line block ×7, first 2 shown]
	v_add_co_u32_e32 v24, vcc, s2, v24
	v_addc_co_u32_e32 v25, vcc, 0, v25, vcc
	flat_load_dwordx2 v[44:45], v[42:43]
	flat_load_dwordx2 v[46:47], v[42:43] offset:512
	flat_load_dwordx2 v[48:49], v[42:43] offset:1024
	;; [unrolled: 1-line block ×7, first 2 shown]
	s_nop 0
	flat_load_dwordx2 v[42:43], v[24:25]
	flat_load_dwordx2 v[60:61], v[24:25] offset:512
	flat_load_dwordx2 v[62:63], v[24:25] offset:1024
	;; [unrolled: 1-line block ×4, first 2 shown]
	v_cmp_ne_u32_e32 vcc, v17, v18
	v_cmp_ne_u32_e64 s[2:3], v20, v21
	v_cndmask_b32_e64 v21, 0, 1, vcc
	v_cmp_ne_u32_e32 vcc, v16, v17
	v_cndmask_b32_e64 v17, 0, 1, vcc
	v_cmp_ne_u32_e32 vcc, v19, v20
	;; [unrolled: 2-line block ×6, first 2 shown]
	v_lshlrev_b16_e32 v16, 8, v16
	v_cndmask_b32_e64 v13, 0, 1, vcc
	v_cmp_ne_u32_e32 vcc, v15, v22
	v_or_b32_e32 v13, v13, v16
	v_cndmask_b32_e64 v16, 0, 1, vcc
	v_cmp_ne_u32_e32 vcc, v14, v15
	v_cndmask_b32_e64 v14, 0, 1, vcc
	v_cmp_ne_u32_e32 vcc, v5, v12
	;; [unrolled: 2-line block ×6, first 2 shown]
	v_lshlrev_b16_e32 v12, 8, v12
	v_lshlrev_b16_e32 v5, 8, v5
	v_cndmask_b32_e64 v8, 0, 1, vcc
	v_cmp_ne_u32_e32 vcc, v4, v6
	v_or_b32_e32 v7, v7, v12
	v_or_b32_sdwa v5, v8, v5 dst_sel:WORD_1 dst_unused:UNUSED_PAD src0_sel:DWORD src1_sel:DWORD
	v_cndmask_b32_e64 v123, 0, 1, vcc
	v_cmp_ne_u32_e32 vcc, v11, v2
	v_or_b32_sdwa v82, v7, v5 dst_sel:DWORD dst_unused:UNUSED_PAD src0_sel:WORD_0 src1_sel:DWORD
	v_cndmask_b32_e64 v5, 0, 1, vcc
	v_cmp_ne_u32_e32 vcc, v10, v11
	v_cndmask_b32_e64 v6, 0, 1, vcc
	v_cmp_ne_u32_e32 vcc, v3, v4
	v_lshlrev_b16_e32 v21, 8, v21
	v_lshlrev_b16_e32 v20, 8, v20
	v_cndmask_b32_e64 v4, 0, 1, vcc
	v_cmp_ne_u32_e32 vcc, v2, v3
	v_or_b32_e32 v17, v17, v21
	v_or_b32_sdwa v18, v18, v20 dst_sel:WORD_1 dst_unused:UNUSED_PAD src0_sel:DWORD src1_sel:DWORD
	v_lshlrev_b16_e32 v4, 8, v4
	v_cndmask_b32_e64 v2, 0, 1, vcc
	v_or_b32_sdwa v85, v17, v18 dst_sel:DWORD dst_unused:UNUSED_PAD src0_sel:WORD_0 src1_sel:DWORD
	v_lshlrev_b16_e32 v16, 8, v16
	v_or_b32_sdwa v18, v2, v4 dst_sel:WORD_1 dst_unused:UNUSED_PAD src0_sel:DWORD src1_sel:DWORD
	v_lshl_add_u32 v2, v0, 2, v23
	s_movk_i32 s4, 0xa0
	v_or_b32_sdwa v14, v14, v16 dst_sel:WORD_1 dst_unused:UNUSED_PAD src0_sel:DWORD src1_sel:DWORD
	v_lshlrev_b16_e32 v5, 8, v5
	v_mad_u32_u24 v12, v0, s4, v2
	v_or_b32_sdwa v84, v13, v14 dst_sel:DWORD dst_unused:UNUSED_PAD src0_sel:WORD_0 src1_sel:DWORD
	v_or_b32_e32 v11, v6, v5
	s_waitcnt vmcnt(0)
	v_cmp_ne_u32_e32 vcc, v1, v10
	v_or_b32_sdwa v83, v11, v18 dst_sel:DWORD dst_unused:UNUSED_PAD src0_sel:WORD_0 src1_sel:DWORD
	v_cndmask_b32_e64 v1, 0, 1, vcc
	s_mov_b64 s[4:5], -1
                                        ; implicit-def: $vgpr128
                                        ; implicit-def: $vgpr127
                                        ; implicit-def: $vgpr126
                                        ; implicit-def: $vgpr125
                                        ; implicit-def: $sgpr63
                                        ; implicit-def: $sgpr8_sgpr9
                                        ; implicit-def: $vgpr78_vgpr79
                                        ; implicit-def: $vgpr74_vgpr75
                                        ; implicit-def: $vgpr18_vgpr19
	s_waitcnt lgkmcnt(0)
	ds_write2st64_b64 v2, v[26:27], v[28:29] offset1:1
	ds_write2st64_b64 v2, v[30:31], v[32:33] offset0:2 offset1:3
	ds_write2st64_b64 v2, v[34:35], v[36:37] offset0:4 offset1:5
	ds_write2st64_b64 v2, v[38:39], v[40:41] offset0:6 offset1:7
	ds_write2st64_b64 v2, v[44:45], v[46:47] offset0:8 offset1:9
	ds_write2st64_b64 v2, v[48:49], v[50:51] offset0:10 offset1:11
	ds_write2st64_b64 v2, v[52:53], v[54:55] offset0:12 offset1:13
	ds_write2st64_b64 v2, v[56:57], v[58:59] offset0:14 offset1:15
	ds_write2st64_b64 v2, v[42:43], v[60:61] offset0:16 offset1:17
	ds_write2st64_b64 v2, v[62:63], v[64:65] offset0:18 offset1:19
	ds_write_b64 v2, v[66:67] offset:10240
	s_waitcnt lgkmcnt(0)
	; wave barrier
	s_waitcnt lgkmcnt(0)
	ds_read2_b64 v[2:5], v12 offset1:1
	ds_read2_b64 v[6:9], v12 offset0:2 offset1:3
	ds_read2_b64 v[14:17], v12 offset0:4 offset1:5
	;; [unrolled: 1-line block ×9, first 2 shown]
	ds_read_b64 v[12:13], v12 offset:160
                                        ; implicit-def: $vgpr66_vgpr67
                                        ; implicit-def: $vgpr58_vgpr59
                                        ; implicit-def: $vgpr50_vgpr51
                                        ; implicit-def: $vgpr42_vgpr43
                                        ; implicit-def: $vgpr34_vgpr35
                                        ; implicit-def: $vgpr26_vgpr27
.LBB1088_121:
	s_waitcnt lgkmcnt(0)
	v_pk_mov_b32 v[20:21], s[8:9], s[8:9] op_sel:[0,1]
	v_mov_b32_e32 v36, s63
	s_and_saveexec_b64 s[8:9], s[4:5]
	s_cbranch_execz .LBB1088_123
; %bb.122:
	v_cndmask_b32_e64 v36, 0, 1, s[2:3]
	v_pk_mov_b32 v[18:19], v[4:5], v[4:5] op_sel:[0,1]
	v_pk_mov_b32 v[26:27], v[8:9], v[8:9] op_sel:[0,1]
	;; [unrolled: 1-line block ×11, first 2 shown]
	v_mov_b32_e32 v125, v85
	v_mov_b32_e32 v126, v84
	;; [unrolled: 1-line block ×4, first 2 shown]
.LBB1088_123:
	s_or_b64 exec, exec, s[8:9]
	v_and_b32_e32 v133, 1, v123
	v_and_b32_e32 v131, 1, v124
	;; [unrolled: 1-line block ×4, first 2 shown]
	s_cmp_lg_u32 s6, 0
	v_lshrrev_b32_e32 v134, 8, v128
	v_cmp_eq_u32_e32 vcc, 1, v133
	v_lshrrev_b32_e32 v132, 8, v127
	v_cmp_eq_u32_e64 s[44:45], 1, v131
	v_lshrrev_b32_e32 v130, 8, v126
	v_cmp_eq_u32_e64 s[46:47], 1, v129
	;; [unrolled: 2-line block ×3, first 2 shown]
	v_mbcnt_lo_u32_b32 v37, -1, 0
	s_waitcnt lgkmcnt(0)
	; wave barrier
	s_cbranch_scc0 .LBB1088_182
; %bb.124:
	v_mov_b32_e32 v9, 0
	v_and_b32_e32 v12, 1, v128
	s_movk_i32 s7, 0xff
	v_add_f64 v[4:5], v[2:3], v[18:19]
	v_cmp_eq_u16_sdwa s[2:3], v128, v9 src0_sel:BYTE_0 src1_sel:DWORD
	v_cmp_eq_u32_e64 s[48:49], 1, v12
	v_and_b32_e32 v12, 0x100, v128
	v_cndmask_b32_e64 v5, v19, v5, s[2:3]
	v_cndmask_b32_e64 v4, v18, v4, s[2:3]
	v_cmp_ne_u32_e64 s[52:53], 0, v12
	v_and_b32_sdwa v12, v128, s7 dst_sel:DWORD dst_unused:UNUSED_PAD src0_sel:WORD_1 src1_sel:DWORD
	v_add_f64 v[4:5], v[6:7], v[4:5]
	v_cmp_eq_u16_sdwa s[4:5], v134, v9 src0_sel:BYTE_0 src1_sel:DWORD
	v_cmp_eq_u16_e64 s[66:67], 0, v12
	v_and_b32_e32 v12, 0x10000, v128
	v_cndmask_b32_e64 v5, v7, v5, s[4:5]
	v_cndmask_b32_e64 v4, v6, v4, s[4:5]
	v_cmp_ne_u32_e64 s[54:55], 0, v12
	v_and_b32_e32 v12, 0x1000000, v128
	v_add_f64 v[4:5], v[26:27], v[4:5]
	v_cmp_ne_u32_e64 s[56:57], 0, v12
	v_and_b32_e32 v12, 1, v127
	s_mov_b64 s[14:15], s[58:59]
	v_cndmask_b32_e64 v5, v27, v5, s[66:67]
	v_cndmask_b32_e64 v4, v26, v4, s[66:67]
	v_cmp_eq_u32_e64 s[58:59], 1, v12
	v_and_b32_e32 v12, 0x100, v127
	v_add_f64 v[4:5], v[14:15], v[4:5]
	v_cmp_eq_u16_sdwa s[8:9], v128, v9 src0_sel:BYTE_3 src1_sel:DWORD
	v_cmp_ne_u32_e64 s[60:61], 0, v12
	v_and_b32_sdwa v12, v127, s7 dst_sel:DWORD dst_unused:UNUSED_PAD src0_sel:WORD_1 src1_sel:DWORD
	v_cndmask_b32_e64 v5, v15, v5, s[8:9]
	v_cndmask_b32_e64 v4, v14, v4, s[8:9]
	v_cmp_eq_u16_e64 s[16:17], 0, v12
	v_and_b32_e32 v12, 0x10000, v127
	v_add_f64 v[4:5], v[34:35], v[4:5]
	v_cmp_eq_u16_sdwa s[10:11], v123, v9 src0_sel:BYTE_0 src1_sel:DWORD
	v_cmp_ne_u32_e64 s[62:63], 0, v12
	v_and_b32_e32 v12, 0x1000000, v127
	v_cndmask_b32_e64 v5, v35, v5, s[10:11]
	v_cndmask_b32_e64 v4, v34, v4, s[10:11]
	v_cmp_ne_u32_e64 s[64:65], 0, v12
	v_and_b32_e32 v12, 1, v126
	v_add_f64 v[4:5], v[22:23], v[4:5]
	v_cmp_eq_u16_sdwa s[12:13], v127, v9 src0_sel:BYTE_0 src1_sel:DWORD
	v_cmp_eq_u32_e64 s[68:69], 1, v12
	v_and_b32_e32 v12, 0x100, v126
	v_writelane_b32 v135, s0, 10
	v_cndmask_b32_e64 v5, v23, v5, s[12:13]
	v_cndmask_b32_e64 v4, v22, v4, s[12:13]
	v_cmp_ne_u32_e64 s[70:71], 0, v12
	v_and_b32_sdwa v12, v126, s7 dst_sel:DWORD dst_unused:UNUSED_PAD src0_sel:WORD_1 src1_sel:DWORD
	v_writelane_b32 v135, s1, 11
	v_add_f64 v[4:5], v[42:43], v[4:5]
	v_cmp_eq_u16_sdwa s[0:1], v132, v9 src0_sel:BYTE_0 src1_sel:DWORD
	v_cmp_eq_u16_e64 s[26:27], 0, v12
	v_and_b32_e32 v12, 0x10000, v126
	v_cndmask_b32_e64 v5, v43, v5, s[0:1]
	v_cndmask_b32_e64 v4, v42, v4, s[0:1]
	v_cmp_ne_u32_e64 s[72:73], 0, v12
	v_and_b32_e32 v12, 0x1000000, v126
	v_add_f64 v[4:5], v[30:31], v[4:5]
	v_cmp_ne_u32_e64 s[74:75], 0, v12
	v_and_b32_e32 v12, 1, v125
	v_cndmask_b32_e64 v5, v31, v5, s[16:17]
	v_cndmask_b32_e64 v4, v30, v4, s[16:17]
	v_cmp_eq_u32_e64 s[76:77], 1, v12
	v_and_b32_e32 v12, 0x100, v125
	v_add_f64 v[4:5], v[50:51], v[4:5]
	v_cmp_eq_u16_sdwa s[18:19], v127, v9 src0_sel:BYTE_3 src1_sel:DWORD
	v_cmp_ne_u32_e64 s[78:79], 0, v12
	v_and_b32_sdwa v12, v125, s7 dst_sel:DWORD dst_unused:UNUSED_PAD src0_sel:WORD_1 src1_sel:DWORD
	v_cndmask_b32_e64 v5, v51, v5, s[18:19]
	v_cndmask_b32_e64 v4, v50, v4, s[18:19]
	v_cmp_eq_u16_e64 s[38:39], 0, v12
	v_and_b32_e32 v12, 0x10000, v125
	v_add_f64 v[4:5], v[38:39], v[4:5]
	v_cmp_eq_u16_sdwa s[20:21], v124, v9 src0_sel:BYTE_0 src1_sel:DWORD
	v_cmp_ne_u32_e64 s[80:81], 0, v12
	v_and_b32_e32 v12, 0x1000000, v125
	v_cndmask_b32_e64 v5, v39, v5, s[20:21]
	v_cndmask_b32_e64 v4, v38, v4, s[20:21]
	v_cmp_ne_u32_e64 s[82:83], 0, v12
	v_add_f64 v[4:5], v[58:59], v[4:5]
	v_cmp_eq_u16_sdwa s[22:23], v126, v9 src0_sel:BYTE_0 src1_sel:DWORD
	s_or_b64 s[50:51], s[50:51], s[82:83]
	v_cndmask_b32_e64 v5, v59, v5, s[22:23]
	v_cndmask_b32_e64 v4, v58, v4, s[22:23]
	s_or_b64 s[50:51], s[50:51], s[80:81]
	v_add_f64 v[4:5], v[46:47], v[4:5]
	v_cmp_eq_u16_sdwa s[24:25], v130, v9 src0_sel:BYTE_0 src1_sel:DWORD
	s_or_b64 s[50:51], s[50:51], s[78:79]
	v_cndmask_b32_e64 v5, v47, v5, s[24:25]
	v_cndmask_b32_e64 v4, v46, v4, s[24:25]
	s_or_b64 s[50:51], s[50:51], s[76:77]
	v_add_f64 v[4:5], v[66:67], v[4:5]
	s_or_b64 s[46:47], s[50:51], s[46:47]
	v_cndmask_b32_e64 v5, v67, v5, s[26:27]
	v_cndmask_b32_e64 v4, v66, v4, s[26:27]
	s_or_b64 s[46:47], s[46:47], s[74:75]
	v_add_f64 v[4:5], v[54:55], v[4:5]
	v_cmp_eq_u16_sdwa s[28:29], v126, v9 src0_sel:BYTE_3 src1_sel:DWORD
	s_or_b64 s[46:47], s[46:47], s[72:73]
	v_cndmask_b32_e64 v5, v55, v5, s[28:29]
	v_cndmask_b32_e64 v4, v54, v4, s[28:29]
	s_or_b64 s[46:47], s[46:47], s[70:71]
	v_add_f64 v[4:5], v[74:75], v[4:5]
	v_cmp_eq_u16_sdwa s[30:31], v122, v9 src0_sel:BYTE_0 src1_sel:DWORD
	s_or_b64 s[46:47], s[46:47], s[68:69]
	v_cndmask_b32_e64 v5, v75, v5, s[30:31]
	v_cndmask_b32_e64 v4, v74, v4, s[30:31]
	s_or_b64 s[44:45], s[46:47], s[44:45]
	v_add_f64 v[4:5], v[62:63], v[4:5]
	v_cmp_eq_u16_sdwa s[34:35], v125, v9 src0_sel:BYTE_0 src1_sel:DWORD
	;; [unrolled: 6-line block ×3, first 2 shown]
	s_or_b64 s[44:45], s[44:45], s[60:61]
	v_cndmask_b32_e64 v5, v79, v5, s[36:37]
	v_cndmask_b32_e64 v4, v78, v4, s[36:37]
	s_or_b64 s[44:45], s[44:45], s[58:59]
	v_add_f64 v[4:5], v[70:71], v[4:5]
	s_or_b64 s[44:45], s[44:45], vcc
	v_cndmask_b32_e64 v5, v71, v5, s[38:39]
	v_cndmask_b32_e64 v4, v70, v4, s[38:39]
	s_or_b64 s[44:45], s[44:45], s[56:57]
	v_add_f64 v[4:5], v[10:11], v[4:5]
	v_cmp_eq_u16_sdwa s[40:41], v125, v9 src0_sel:BYTE_3 src1_sel:DWORD
	s_or_b64 s[44:45], s[44:45], s[54:55]
	v_cndmask_b32_e64 v5, v11, v5, s[40:41]
	v_cndmask_b32_e64 v4, v10, v4, s[40:41]
	s_or_b64 s[44:45], s[44:45], s[52:53]
	v_and_b32_e32 v8, 0xff, v1
	v_add_f64 v[4:5], v[20:21], v[4:5]
	v_cmp_eq_u16_sdwa s[42:43], v36, v9 src0_sel:BYTE_0 src1_sel:DWORD
	s_or_b64 s[44:45], s[44:45], s[48:49]
	v_mbcnt_hi_u32_b32 v13, -1, v37
	v_cndmask_b32_e64 v5, v21, v5, s[42:43]
	v_cndmask_b32_e64 v4, v20, v4, s[42:43]
	;; [unrolled: 1-line block ×3, first 2 shown]
	v_and_b32_e32 v16, 15, v13
	v_mov_b32_dpp v8, v4 row_shr:1 row_mask:0xf bank_mask:0xf
	v_mov_b32_dpp v9, v5 row_shr:1 row_mask:0xf bank_mask:0xf
	;; [unrolled: 1-line block ×3, first 2 shown]
	v_cmp_ne_u32_e32 vcc, 0, v16
	s_and_saveexec_b64 s[44:45], vcc
; %bb.125:
	v_add_f64 v[8:9], v[4:5], v[8:9]
	v_cmp_eq_u32_e32 vcc, 0, v12
	v_cndmask_b32_e32 v5, v5, v9, vcc
	v_cndmask_b32_e32 v4, v4, v8, vcc
	v_and_or_b32 v12, v17, 1, v12
; %bb.126:
	s_or_b64 exec, exec, s[44:45]
	v_mov_b32_dpp v8, v4 row_shr:2 row_mask:0xf bank_mask:0xf
	v_mov_b32_dpp v9, v5 row_shr:2 row_mask:0xf bank_mask:0xf
	;; [unrolled: 1-line block ×3, first 2 shown]
	v_cmp_lt_u32_e32 vcc, 1, v16
	s_and_saveexec_b64 s[44:45], vcc
; %bb.127:
	v_add_f64 v[8:9], v[4:5], v[8:9]
	v_cmp_eq_u32_e32 vcc, 0, v12
	v_cndmask_b32_e32 v4, v4, v8, vcc
	v_or_b32_e32 v8, v17, v12
	v_cndmask_b32_e32 v5, v5, v9, vcc
	v_and_b32_e32 v12, 1, v8
; %bb.128:
	s_or_b64 exec, exec, s[44:45]
	v_mov_b32_dpp v8, v4 row_shr:4 row_mask:0xf bank_mask:0xf
	v_mov_b32_dpp v9, v5 row_shr:4 row_mask:0xf bank_mask:0xf
	;; [unrolled: 1-line block ×3, first 2 shown]
	v_cmp_lt_u32_e32 vcc, 3, v16
	s_and_saveexec_b64 s[44:45], vcc
	s_mov_b64 s[58:59], s[14:15]
; %bb.129:
	v_add_f64 v[8:9], v[4:5], v[8:9]
	v_cmp_eq_u32_e32 vcc, 0, v12
	v_cndmask_b32_e32 v4, v4, v8, vcc
	v_or_b32_e32 v8, v17, v12
	v_cndmask_b32_e32 v5, v5, v9, vcc
	v_and_b32_e32 v12, 1, v8
; %bb.130:
	s_or_b64 exec, exec, s[44:45]
	v_mov_b32_dpp v8, v4 row_shr:8 row_mask:0xf bank_mask:0xf
	v_mov_b32_dpp v9, v5 row_shr:8 row_mask:0xf bank_mask:0xf
	;; [unrolled: 1-line block ×3, first 2 shown]
	v_cmp_lt_u32_e32 vcc, 7, v16
	s_and_saveexec_b64 s[44:45], vcc
; %bb.131:
	v_add_f64 v[8:9], v[4:5], v[8:9]
	v_cmp_eq_u32_e32 vcc, 0, v12
	v_cndmask_b32_e32 v4, v4, v8, vcc
	v_or_b32_e32 v8, v17, v12
	v_cndmask_b32_e32 v5, v5, v9, vcc
	v_and_b32_e32 v12, 1, v8
; %bb.132:
	s_or_b64 exec, exec, s[44:45]
	v_and_b32_e32 v17, 16, v13
	v_mov_b32_dpp v8, v4 row_bcast:15 row_mask:0xf bank_mask:0xf
	v_mov_b32_dpp v9, v5 row_bcast:15 row_mask:0xf bank_mask:0xf
	;; [unrolled: 1-line block ×3, first 2 shown]
	v_cmp_ne_u32_e32 vcc, 0, v17
	s_and_saveexec_b64 s[44:45], vcc
; %bb.133:
	v_add_f64 v[8:9], v[4:5], v[8:9]
	v_cmp_eq_u32_e32 vcc, 0, v12
	v_cndmask_b32_e32 v4, v4, v8, vcc
	v_or_b32_e32 v8, v16, v12
	v_cndmask_b32_e32 v5, v5, v9, vcc
	v_and_b32_e32 v12, 1, v8
; %bb.134:
	s_or_b64 exec, exec, s[44:45]
	v_mov_b32_dpp v8, v4 row_bcast:31 row_mask:0xf bank_mask:0xf
	v_mov_b32_dpp v9, v5 row_bcast:31 row_mask:0xf bank_mask:0xf
	;; [unrolled: 1-line block ×3, first 2 shown]
	v_cmp_lt_u32_e32 vcc, 31, v13
	v_mov_b32_e32 v16, v12
	s_and_saveexec_b64 s[44:45], vcc
; %bb.135:
	v_add_f64 v[8:9], v[4:5], v[8:9]
	v_cmp_eq_u32_e32 vcc, 0, v12
	v_cndmask_b32_e32 v4, v4, v8, vcc
	v_or_b32_e32 v8, v17, v12
	v_cndmask_b32_e32 v5, v5, v9, vcc
	v_and_b32_e32 v16, 1, v8
	v_and_b32_e32 v12, 1, v8
; %bb.136:
	s_or_b64 exec, exec, s[44:45]
	v_cmp_eq_u32_e32 vcc, 63, v0
	s_and_saveexec_b64 s[44:45], vcc
	s_cbranch_execz .LBB1088_138
; %bb.137:
	v_mov_b32_e32 v8, 0
	ds_write_b64 v8, v[4:5]
	ds_write_b8 v8, v16 offset:8
.LBB1088_138:
	s_or_b64 exec, exec, s[44:45]
	v_add_u32_e32 v8, -1, v13
	v_and_b32_e32 v9, 64, v13
	v_cmp_lt_i32_e32 vcc, v8, v9
	v_cndmask_b32_e32 v8, v8, v13, vcc
	v_lshlrev_b32_e32 v8, 2, v8
	ds_bpermute_b32 v4, v8, v4
	ds_bpermute_b32 v5, v8, v5
	;; [unrolled: 1-line block ×3, first 2 shown]
	v_cmp_gt_u32_e32 vcc, 64, v0
	s_waitcnt lgkmcnt(0)
	; wave barrier
	s_waitcnt lgkmcnt(0)
	s_and_saveexec_b64 s[48:49], vcc
	s_cbranch_execz .LBB1088_181
; %bb.139:
	v_mov_b32_e32 v17, 0
	ds_read_b64 v[8:9], v17
	ds_read_u8 v45, v17 offset:8
	s_mov_b32 s51, 0
	v_cmp_eq_u32_e64 s[44:45], 0, v13
	s_and_saveexec_b64 s[46:47], s[44:45]
	s_cbranch_execz .LBB1088_141
; %bb.140:
	s_add_i32 s50, s6, 64
	s_lshl_b64 s[52:53], s[50:51], 4
	s_add_u32 s52, s84, s52
	s_addc_u32 s53, s85, s53
	v_mov_b32_e32 v12, s50
	v_mov_b32_e32 v16, 1
	s_waitcnt lgkmcnt(1)
	global_store_dwordx2 v17, v[8:9], s[52:53]
	s_waitcnt lgkmcnt(0)
	global_store_byte v17, v45, s[52:53] offset:8
	s_waitcnt vmcnt(0)
	buffer_wbinvl1_vol
	global_store_byte v12, v16, s[88:89]
.LBB1088_141:
	s_or_b64 exec, exec, s[46:47]
	v_xad_u32 v12, v13, -1, s6
	v_add_u32_e32 v16, 64, v12
	global_load_ubyte v48, v16, s[88:89] glc
	s_waitcnt vmcnt(0)
	v_cmp_eq_u16_e32 vcc, 0, v48
	s_and_saveexec_b64 s[46:47], vcc
	s_cbranch_execz .LBB1088_145
; %bb.142:
	v_mov_b32_e32 v25, s89
	v_add_co_u32_e32 v24, vcc, s88, v16
	v_addc_co_u32_e32 v25, vcc, 0, v25, vcc
	s_mov_b64 s[50:51], 0
.LBB1088_143:                           ; =>This Inner Loop Header: Depth=1
	global_load_ubyte v48, v[24:25], off glc
	s_waitcnt vmcnt(0)
	v_cmp_ne_u16_e32 vcc, 0, v48
	s_or_b64 s[50:51], vcc, s[50:51]
	s_andn2_b64 exec, exec, s[50:51]
	s_cbranch_execnz .LBB1088_143
; %bb.144:
	s_or_b64 exec, exec, s[50:51]
.LBB1088_145:
	s_or_b64 exec, exec, s[46:47]
	v_mov_b32_e32 v24, s87
	v_mov_b32_e32 v25, s85
	v_cmp_eq_u16_e32 vcc, 1, v48
	v_cndmask_b32_e32 v24, v24, v25, vcc
	v_mov_b32_e32 v25, s86
	v_mov_b32_e32 v28, s84
	v_cndmask_b32_e32 v25, v25, v28, vcc
	v_lshlrev_b64 v[16:17], 4, v[16:17]
	v_add_co_u32_e32 v16, vcc, v25, v16
	v_addc_co_u32_e32 v17, vcc, v24, v17, vcc
	s_waitcnt lgkmcnt(0)
	buffer_wbinvl1_vol
	global_load_dwordx2 v[28:29], v[16:17], off
	global_load_ubyte v32, v[16:17], off offset:8
	v_cmp_eq_u16_e32 vcc, 2, v48
	v_lshlrev_b64 v[16:17], v13, -1
	v_and_b32_e32 v49, 63, v13
	v_and_b32_e32 v24, vcc_hi, v17
	v_and_b32_e32 v33, vcc_lo, v16
	v_cmp_ne_u32_e32 vcc, 63, v49
	v_addc_co_u32_e32 v25, vcc, 0, v13, vcc
	v_or_b32_e32 v24, 0x80000000, v24
	v_lshlrev_b32_e32 v52, 2, v25
	v_ffbl_b32_e32 v56, v24
	v_add_u32_e32 v56, 32, v56
	v_ffbl_b32_e32 v33, v33
	v_min_u32_e32 v33, v33, v56
	v_cmp_lt_u32_e32 vcc, v49, v33
	s_waitcnt vmcnt(1)
	ds_bpermute_b32 v24, v52, v28
	s_waitcnt vmcnt(0)
	v_and_b32_e32 v72, 1, v32
	ds_bpermute_b32 v25, v52, v29
	ds_bpermute_b32 v53, v52, v72
	s_and_saveexec_b64 s[46:47], vcc
	s_cbranch_execz .LBB1088_147
; %bb.146:
	v_mov_b32_e32 v56, 0
	s_waitcnt lgkmcnt(1)
	v_add_f64 v[24:25], v[28:29], v[24:25]
	v_cmp_eq_u16_sdwa vcc, v32, v56 src0_sel:BYTE_0 src1_sel:DWORD
	v_cndmask_b32_e32 v28, v28, v24, vcc
	s_waitcnt lgkmcnt(0)
	v_and_b32_e32 v24, 1, v53
	v_or_b32_e32 v32, v24, v32
	v_cndmask_b32_e32 v29, v29, v25, vcc
	v_and_b32_e32 v72, 0xff, v32
.LBB1088_147:
	s_or_b64 exec, exec, s[46:47]
	v_cmp_gt_u32_e32 vcc, 62, v49
	s_waitcnt lgkmcnt(2)
	v_cndmask_b32_e64 v24, 0, 1, vcc
	v_lshlrev_b32_e32 v24, 1, v24
	s_waitcnt lgkmcnt(0)
	v_add_lshl_u32 v53, v24, v13, 2
	ds_bpermute_b32 v24, v53, v28
	ds_bpermute_b32 v25, v53, v29
	ds_bpermute_b32 v57, v53, v72
	v_add_u32_e32 v56, 2, v49
	v_cmp_le_u32_e32 vcc, v56, v33
	s_and_saveexec_b64 s[50:51], vcc
	s_cbranch_execz .LBB1088_149
; %bb.148:
	v_mov_b32_e32 v60, 0
	s_waitcnt lgkmcnt(1)
	v_add_f64 v[24:25], v[28:29], v[24:25]
	v_cmp_eq_u16_sdwa vcc, v32, v60 src0_sel:BYTE_0 src1_sel:DWORD
	v_cndmask_b32_e32 v28, v28, v24, vcc
	v_and_b32_e32 v24, 1, v32
	v_cndmask_b32_e32 v29, v29, v25, vcc
	v_cmp_eq_u32_e32 vcc, 1, v24
	s_waitcnt lgkmcnt(0)
	v_and_b32_e32 v24, 1, v57
	v_cmp_eq_u32_e64 s[46:47], 1, v24
	s_or_b64 s[46:47], vcc, s[46:47]
	v_cndmask_b32_e64 v32, 0, 1, s[46:47]
	v_cndmask_b32_e64 v72, 0, 1, s[46:47]
.LBB1088_149:
	s_or_b64 exec, exec, s[50:51]
	v_cmp_gt_u32_e32 vcc, 60, v49
	s_waitcnt lgkmcnt(2)
	v_cndmask_b32_e64 v24, 0, 1, vcc
	v_lshlrev_b32_e32 v24, 2, v24
	s_waitcnt lgkmcnt(0)
	v_add_lshl_u32 v57, v24, v13, 2
	ds_bpermute_b32 v24, v57, v28
	ds_bpermute_b32 v25, v57, v29
	ds_bpermute_b32 v61, v57, v72
	v_add_u32_e32 v60, 4, v49
	v_cmp_le_u32_e32 vcc, v60, v33
	s_and_saveexec_b64 s[50:51], vcc
	s_cbranch_execz .LBB1088_151
; %bb.150:
	v_mov_b32_e32 v64, 0
	s_waitcnt lgkmcnt(1)
	v_add_f64 v[24:25], v[28:29], v[24:25]
	v_cmp_eq_u16_sdwa vcc, v32, v64 src0_sel:BYTE_0 src1_sel:DWORD
	v_cndmask_b32_e32 v28, v28, v24, vcc
	v_and_b32_e32 v24, 1, v32
	v_cndmask_b32_e32 v29, v29, v25, vcc
	v_cmp_eq_u32_e32 vcc, 1, v24
	s_waitcnt lgkmcnt(0)
	v_and_b32_e32 v24, 1, v61
	v_cmp_eq_u32_e64 s[46:47], 1, v24
	s_or_b64 s[46:47], vcc, s[46:47]
	v_cndmask_b32_e64 v32, 0, 1, s[46:47]
	v_cndmask_b32_e64 v72, 0, 1, s[46:47]
.LBB1088_151:
	;; [unrolled: 30-line block ×4, first 2 shown]
	s_or_b64 exec, exec, s[50:51]
	v_cmp_gt_u32_e32 vcc, 32, v49
	s_waitcnt lgkmcnt(2)
	v_cndmask_b32_e64 v24, 0, 1, vcc
	v_lshlrev_b32_e32 v24, 5, v24
	s_waitcnt lgkmcnt(0)
	v_add_lshl_u32 v69, v24, v13, 2
	ds_bpermute_b32 v24, v69, v28
	ds_bpermute_b32 v25, v69, v29
	;; [unrolled: 1-line block ×3, first 2 shown]
	v_add_u32_e32 v73, 32, v49
	v_cmp_le_u32_e32 vcc, v73, v33
	s_and_saveexec_b64 s[50:51], vcc
	s_cbranch_execz .LBB1088_157
; %bb.156:
	v_mov_b32_e32 v33, 0
	s_waitcnt lgkmcnt(1)
	v_add_f64 v[24:25], v[28:29], v[24:25]
	v_cmp_eq_u16_sdwa vcc, v32, v33 src0_sel:BYTE_0 src1_sel:DWORD
	v_cndmask_b32_e32 v28, v28, v24, vcc
	v_and_b32_e32 v24, 1, v32
	s_waitcnt lgkmcnt(0)
	v_and_b32_e32 v13, 1, v13
	v_cndmask_b32_e32 v29, v29, v25, vcc
	v_cmp_eq_u32_e32 vcc, 1, v24
	v_cmp_eq_u32_e64 s[46:47], 1, v13
	s_or_b64 s[46:47], vcc, s[46:47]
	v_cndmask_b32_e64 v32, 0, 1, s[46:47]
.LBB1088_157:
	s_or_b64 exec, exec, s[50:51]
	s_waitcnt lgkmcnt(0)
	v_mov_b32_e32 v13, 0
	v_mov_b32_e32 v76, 2
	s_branch .LBB1088_159
.LBB1088_158:                           ;   in Loop: Header=BB1088_159 Depth=1
	s_or_b64 exec, exec, s[52:53]
	v_add_f64 v[28:29], v[24:25], v[28:29]
	v_cmp_eq_u16_sdwa vcc, v72, v13 src0_sel:BYTE_0 src1_sel:DWORD
	s_waitcnt lgkmcnt(2)
	v_and_b32_e32 v32, 1, v72
	v_cndmask_b32_e32 v29, v25, v29, vcc
	v_cndmask_b32_e32 v28, v24, v28, vcc
	v_cmp_eq_u32_e32 vcc, 1, v32
	s_or_b64 s[46:47], vcc, s[50:51]
	v_subrev_u32_e32 v12, 64, v12
	v_cndmask_b32_e64 v32, 0, 1, s[46:47]
.LBB1088_159:                           ; =>This Loop Header: Depth=1
                                        ;     Child Loop BB1088_162 Depth 2
	v_cmp_ne_u16_sdwa s[46:47], v48, v76 src0_sel:BYTE_0 src1_sel:DWORD
	v_cndmask_b32_e64 v24, 0, 1, s[46:47]
	;;#ASMSTART
	;;#ASMEND
	v_cmp_ne_u32_e32 vcc, 0, v24
	v_mov_b32_e32 v72, v32
	s_cmp_lg_u64 vcc, exec
	v_pk_mov_b32 v[24:25], v[28:29], v[28:29] op_sel:[0,1]
	s_cbranch_scc1 .LBB1088_176
; %bb.160:                              ;   in Loop: Header=BB1088_159 Depth=1
	global_load_ubyte v48, v12, s[88:89] glc
	s_waitcnt vmcnt(0)
	v_cmp_eq_u16_e32 vcc, 0, v48
	s_and_saveexec_b64 s[46:47], vcc
	s_cbranch_execz .LBB1088_164
; %bb.161:                              ;   in Loop: Header=BB1088_159 Depth=1
	v_mov_b32_e32 v29, s89
	v_add_co_u32_e32 v28, vcc, s88, v12
	v_addc_co_u32_e32 v29, vcc, 0, v29, vcc
	s_mov_b64 s[50:51], 0
.LBB1088_162:                           ;   Parent Loop BB1088_159 Depth=1
                                        ; =>  This Inner Loop Header: Depth=2
	global_load_ubyte v48, v[28:29], off glc
	s_waitcnt vmcnt(0)
	v_cmp_ne_u16_e32 vcc, 0, v48
	s_or_b64 s[50:51], vcc, s[50:51]
	s_andn2_b64 exec, exec, s[50:51]
	s_cbranch_execnz .LBB1088_162
; %bb.163:                              ;   in Loop: Header=BB1088_159 Depth=1
	s_or_b64 exec, exec, s[50:51]
.LBB1088_164:                           ;   in Loop: Header=BB1088_159 Depth=1
	s_or_b64 exec, exec, s[46:47]
	v_mov_b32_e32 v28, s87
	v_mov_b32_e32 v29, s85
	v_cmp_eq_u16_e32 vcc, 1, v48
	s_waitcnt lgkmcnt(1)
	v_cndmask_b32_e32 v33, v28, v29, vcc
	v_mov_b32_e32 v28, s86
	v_mov_b32_e32 v29, s84
	v_cndmask_b32_e32 v32, v28, v29, vcc
	v_lshlrev_b64 v[28:29], 4, v[12:13]
	v_add_co_u32_e32 v32, vcc, v32, v28
	v_addc_co_u32_e32 v33, vcc, v33, v29, vcc
	buffer_wbinvl1_vol
	global_load_dwordx2 v[28:29], v[32:33], off
	global_load_ubyte v77, v[32:33], off offset:8
	v_cmp_eq_u16_e32 vcc, 2, v48
	v_and_b32_e32 v32, vcc_hi, v17
	v_or_b32_e32 v32, 0x80000000, v32
	v_ffbl_b32_e32 v83, v32
	v_and_b32_e32 v80, vcc_lo, v16
	v_add_u32_e32 v83, 32, v83
	v_ffbl_b32_e32 v80, v80
	v_min_u32_e32 v80, v80, v83
	v_cmp_lt_u32_e32 vcc, v49, v80
	s_waitcnt vmcnt(1)
	ds_bpermute_b32 v32, v52, v28
	s_waitcnt vmcnt(0) lgkmcnt(1)
	v_and_b32_e32 v81, 1, v77
	ds_bpermute_b32 v33, v52, v29
	ds_bpermute_b32 v82, v52, v81
	s_and_saveexec_b64 s[46:47], vcc
	s_cbranch_execz .LBB1088_166
; %bb.165:                              ;   in Loop: Header=BB1088_159 Depth=1
	s_waitcnt lgkmcnt(1)
	v_add_f64 v[32:33], v[28:29], v[32:33]
	v_cmp_eq_u16_sdwa vcc, v77, v13 src0_sel:BYTE_0 src1_sel:DWORD
	v_cndmask_b32_e32 v28, v28, v32, vcc
	s_waitcnt lgkmcnt(0)
	v_and_b32_e32 v32, 1, v82
	v_or_b32_e32 v77, v32, v77
	v_cndmask_b32_e32 v29, v29, v33, vcc
	v_and_b32_e32 v81, 0xff, v77
.LBB1088_166:                           ;   in Loop: Header=BB1088_159 Depth=1
	s_or_b64 exec, exec, s[46:47]
	s_waitcnt lgkmcnt(2)
	ds_bpermute_b32 v32, v53, v28
	s_waitcnt lgkmcnt(2)
	ds_bpermute_b32 v33, v53, v29
	;; [unrolled: 2-line block ×3, first 2 shown]
	v_and_b32_e32 v83, 1, v77
	v_cmp_le_u32_e32 vcc, v56, v80
	v_cmp_eq_u32_e64 s[50:51], 1, v83
	s_and_saveexec_b64 s[46:47], vcc
	s_cbranch_execz .LBB1088_168
; %bb.167:                              ;   in Loop: Header=BB1088_159 Depth=1
	s_waitcnt lgkmcnt(1)
	v_add_f64 v[32:33], v[28:29], v[32:33]
	v_cmp_eq_u16_sdwa vcc, v77, v13 src0_sel:BYTE_0 src1_sel:DWORD
	v_cndmask_b32_e32 v28, v28, v32, vcc
	s_waitcnt lgkmcnt(0)
	v_and_b32_e32 v32, 1, v82
	v_cndmask_b32_e32 v29, v29, v33, vcc
	v_cmp_eq_u32_e32 vcc, 1, v32
	s_or_b64 s[52:53], s[50:51], vcc
	v_cndmask_b32_e64 v77, 0, 1, s[52:53]
	v_cndmask_b32_e64 v81, 0, 1, s[52:53]
	s_andn2_b64 s[50:51], s[50:51], exec
	s_and_b64 s[52:53], s[52:53], exec
	s_or_b64 s[50:51], s[50:51], s[52:53]
.LBB1088_168:                           ;   in Loop: Header=BB1088_159 Depth=1
	s_or_b64 exec, exec, s[46:47]
	s_waitcnt lgkmcnt(2)
	ds_bpermute_b32 v32, v57, v28
	s_waitcnt lgkmcnt(2)
	ds_bpermute_b32 v33, v57, v29
	s_waitcnt lgkmcnt(2)
	ds_bpermute_b32 v82, v57, v81
	v_cmp_le_u32_e32 vcc, v60, v80
	s_and_saveexec_b64 s[52:53], vcc
	s_cbranch_execz .LBB1088_170
; %bb.169:                              ;   in Loop: Header=BB1088_159 Depth=1
	s_waitcnt lgkmcnt(1)
	v_add_f64 v[32:33], v[28:29], v[32:33]
	v_cmp_eq_u16_sdwa vcc, v77, v13 src0_sel:BYTE_0 src1_sel:DWORD
	v_cndmask_b32_e32 v28, v28, v32, vcc
	v_and_b32_e32 v32, 1, v77
	v_cndmask_b32_e32 v29, v29, v33, vcc
	v_cmp_eq_u32_e32 vcc, 1, v32
	s_waitcnt lgkmcnt(0)
	v_and_b32_e32 v32, 1, v82
	v_cmp_eq_u32_e64 s[46:47], 1, v32
	s_or_b64 s[46:47], vcc, s[46:47]
	v_cndmask_b32_e64 v77, 0, 1, s[46:47]
	v_cndmask_b32_e64 v81, 0, 1, s[46:47]
	s_andn2_b64 s[50:51], s[50:51], exec
	s_and_b64 s[46:47], s[46:47], exec
	s_or_b64 s[50:51], s[50:51], s[46:47]
.LBB1088_170:                           ;   in Loop: Header=BB1088_159 Depth=1
	s_or_b64 exec, exec, s[52:53]
	s_waitcnt lgkmcnt(2)
	ds_bpermute_b32 v32, v61, v28
	s_waitcnt lgkmcnt(2)
	ds_bpermute_b32 v33, v61, v29
	s_waitcnt lgkmcnt(2)
	ds_bpermute_b32 v82, v61, v81
	v_cmp_le_u32_e32 vcc, v64, v80
	s_and_saveexec_b64 s[52:53], vcc
	s_cbranch_execz .LBB1088_172
; %bb.171:                              ;   in Loop: Header=BB1088_159 Depth=1
	s_waitcnt lgkmcnt(1)
	v_add_f64 v[32:33], v[28:29], v[32:33]
	v_cmp_eq_u16_sdwa vcc, v77, v13 src0_sel:BYTE_0 src1_sel:DWORD
	v_cndmask_b32_e32 v28, v28, v32, vcc
	v_and_b32_e32 v32, 1, v77
	v_cndmask_b32_e32 v29, v29, v33, vcc
	v_cmp_eq_u32_e32 vcc, 1, v32
	s_waitcnt lgkmcnt(0)
	v_and_b32_e32 v32, 1, v82
	v_cmp_eq_u32_e64 s[46:47], 1, v32
	s_or_b64 s[46:47], vcc, s[46:47]
	v_cndmask_b32_e64 v77, 0, 1, s[46:47]
	v_cndmask_b32_e64 v81, 0, 1, s[46:47]
	s_andn2_b64 s[50:51], s[50:51], exec
	s_and_b64 s[46:47], s[46:47], exec
	s_or_b64 s[50:51], s[50:51], s[46:47]
.LBB1088_172:                           ;   in Loop: Header=BB1088_159 Depth=1
	;; [unrolled: 28-line block ×3, first 2 shown]
	s_or_b64 exec, exec, s[52:53]
	s_waitcnt lgkmcnt(2)
	ds_bpermute_b32 v32, v69, v28
	s_waitcnt lgkmcnt(2)
	ds_bpermute_b32 v33, v69, v29
	ds_bpermute_b32 v81, v69, v81
	v_cmp_le_u32_e32 vcc, v73, v80
	s_and_saveexec_b64 s[52:53], vcc
	s_cbranch_execz .LBB1088_158
; %bb.175:                              ;   in Loop: Header=BB1088_159 Depth=1
	s_waitcnt lgkmcnt(1)
	v_add_f64 v[32:33], v[28:29], v[32:33]
	v_cmp_eq_u16_sdwa vcc, v77, v13 src0_sel:BYTE_0 src1_sel:DWORD
	v_cndmask_b32_e32 v28, v28, v32, vcc
	v_and_b32_e32 v32, 1, v77
	v_cndmask_b32_e32 v29, v29, v33, vcc
	v_cmp_eq_u32_e32 vcc, 1, v32
	s_waitcnt lgkmcnt(0)
	v_and_b32_e32 v32, 1, v81
	v_cmp_eq_u32_e64 s[46:47], 1, v32
	s_or_b64 s[46:47], vcc, s[46:47]
	s_andn2_b64 s[50:51], s[50:51], exec
	s_and_b64 s[46:47], s[46:47], exec
	s_or_b64 s[50:51], s[50:51], s[46:47]
	s_branch .LBB1088_158
.LBB1088_176:                           ;   in Loop: Header=BB1088_159 Depth=1
                                        ; implicit-def: $vgpr32
                                        ; implicit-def: $vgpr28_vgpr29
                                        ; implicit-def: $vgpr48
	s_cbranch_execz .LBB1088_159
; %bb.177:
	s_and_saveexec_b64 s[46:47], s[44:45]
	s_cbranch_execz .LBB1088_179
; %bb.178:
	s_mov_b32 s7, 0
	s_add_i32 s6, s6, 64
	v_mov_b32_e32 v16, 0
	s_lshl_b64 s[44:45], s[6:7], 4
	v_add_f64 v[12:13], v[8:9], v[24:25]
	v_cmp_eq_u16_sdwa vcc, v45, v16 src0_sel:BYTE_0 src1_sel:DWORD
	s_add_u32 s44, s86, s44
	v_cndmask_b32_e32 v9, v9, v13, vcc
	v_cndmask_b32_e32 v8, v8, v12, vcc
	v_or_b32_e32 v12, v45, v72
	s_addc_u32 s45, s87, s45
	v_and_b32_e32 v12, 1, v12
	global_store_dwordx2 v16, v[8:9], s[44:45]
	global_store_byte v16, v12, s[44:45] offset:8
	v_mov_b32_e32 v8, s6
	v_mov_b32_e32 v9, 2
	s_waitcnt vmcnt(0) lgkmcnt(0)
	buffer_wbinvl1_vol
	global_store_byte v8, v9, s[88:89]
.LBB1088_179:
	s_or_b64 exec, exec, s[46:47]
	v_cmp_eq_u32_e32 vcc, 0, v0
	s_and_b64 exec, exec, vcc
	s_cbranch_execz .LBB1088_181
; %bb.180:
	v_mov_b32_e32 v8, 0
	ds_write_b64 v8, v[24:25]
	ds_write_b8 v8, v72 offset:8
.LBB1088_181:
	s_or_b64 exec, exec, s[48:49]
	v_mov_b32_e32 v12, 0
	v_and_b32_e32 v13, 1, v1
	s_waitcnt lgkmcnt(0)
	; wave barrier
	s_waitcnt lgkmcnt(0)
	ds_read_b64 v[8:9], v12
	v_cmp_eq_u32_e32 vcc, 1, v13
	v_and_b32_e32 v13, 1, v44
	v_cmp_eq_u32_e64 s[6:7], 1, v13
	s_or_b64 s[6:7], vcc, s[6:7]
	v_add_f64 v[4:5], v[2:3], v[4:5]
	v_cmp_eq_u16_sdwa vcc, v1, v12 src0_sel:BYTE_0 src1_sel:DWORD
	v_cndmask_b32_e64 v13, 0, 1, s[6:7]
	v_cndmask_b32_e32 v4, v2, v4, vcc
	v_cndmask_b32_e32 v5, v3, v5, vcc
	v_cmp_eq_u32_e32 vcc, 0, v0
	v_cndmask_b32_e32 v13, v13, v1, vcc
	v_cndmask_b32_e32 v5, v5, v3, vcc
	;; [unrolled: 1-line block ×3, first 2 shown]
	s_waitcnt lgkmcnt(0)
	v_add_f64 v[8:9], v[4:5], v[8:9]
	v_cmp_eq_u16_sdwa vcc, v13, v12 src0_sel:BYTE_0 src1_sel:DWORD
	v_cndmask_b32_e32 v115, v5, v9, vcc
	v_cndmask_b32_e32 v114, v4, v8, vcc
	v_add_f64 v[4:5], v[18:19], v[114:115]
	v_cndmask_b32_e64 v45, v19, v5, s[2:3]
	v_cndmask_b32_e64 v44, v18, v4, s[2:3]
	v_add_f64 v[4:5], v[6:7], v[44:45]
	v_cndmask_b32_e64 v81, v7, v5, s[4:5]
	v_cndmask_b32_e64 v80, v6, v4, s[4:5]
	;; [unrolled: 3-line block ×19, first 2 shown]
	v_add_f64 v[4:5], v[20:21], v[118:119]
	v_readlane_b32 s0, v135, 10
	v_cndmask_b32_e64 v121, v21, v5, s[42:43]
	v_cndmask_b32_e64 v120, v20, v4, s[42:43]
	v_readlane_b32 s1, v135, 11
	s_branch .LBB1088_204
.LBB1088_182:
                                        ; implicit-def: $vgpr112_vgpr113_vgpr114_vgpr115
                                        ; implicit-def: $vgpr120_vgpr121
                                        ; implicit-def: $vgpr118_vgpr119
                                        ; implicit-def: $vgpr76_vgpr77
                                        ; implicit-def: $vgpr72_vgpr73
                                        ; implicit-def: $vgpr68_vgpr69
                                        ; implicit-def: $vgpr64_vgpr65
                                        ; implicit-def: $vgpr60_vgpr61
                                        ; implicit-def: $vgpr56_vgpr57
                                        ; implicit-def: $vgpr52_vgpr53
                                        ; implicit-def: $vgpr48_vgpr49
                                        ; implicit-def: $vgpr44_vgpr45
                                        ; implicit-def: $vgpr108_vgpr109_vgpr110_vgpr111
                                        ; implicit-def: $vgpr104_vgpr105_vgpr106_vgpr107
                                        ; implicit-def: $vgpr100_vgpr101_vgpr102_vgpr103
                                        ; implicit-def: $vgpr96_vgpr97_vgpr98_vgpr99
                                        ; implicit-def: $vgpr92_vgpr93_vgpr94_vgpr95
                                        ; implicit-def: $vgpr88_vgpr89_vgpr90_vgpr91
                                        ; implicit-def: $vgpr84_vgpr85_vgpr86_vgpr87
                                        ; implicit-def: $vgpr80_vgpr81_vgpr82_vgpr83
                                        ; implicit-def: $vgpr114_vgpr115_vgpr116_vgpr117
	s_cbranch_execz .LBB1088_204
; %bb.183:
	v_readlane_b32 s2, v135, 0
	v_readlane_b32 s4, v135, 2
	;; [unrolled: 1-line block ×5, first 2 shown]
	s_cmp_lg_u64 s[2:3], 0
	v_readlane_b32 s5, v135, 3
	s_mov_b64 s[2:3], s[6:7]
	s_cselect_b32 s5, s3, 0
	s_cselect_b32 s4, s2, 0
	s_cmp_lg_u64 s[4:5], 0
	v_readlane_b32 s8, v135, 6
	v_readlane_b32 s9, v135, 7
	s_cselect_b64 s[6:7], -1, 0
	v_cmp_eq_u32_e32 vcc, 0, v0
	v_cmp_ne_u32_e64 s[2:3], 0, v0
	s_and_b64 s[8:9], vcc, s[6:7]
	v_readlane_b32 s10, v135, 8
	v_readlane_b32 s11, v135, 9
	s_and_saveexec_b64 s[6:7], s[8:9]
	s_cbranch_execz .LBB1088_185
; %bb.184:
	v_mov_b32_e32 v8, 0
	global_load_dwordx2 v[4:5], v8, s[4:5]
	global_load_ubyte v9, v8, s[4:5] offset:8
	v_cmp_eq_u16_sdwa s[4:5], v1, v8 src0_sel:BYTE_0 src1_sel:DWORD
	s_waitcnt vmcnt(1)
	v_add_f64 v[4:5], v[2:3], v[4:5]
	s_waitcnt vmcnt(0)
	v_or_b32_e32 v9, v1, v9
	v_cndmask_b32_e64 v3, v3, v5, s[4:5]
	v_cndmask_b32_e64 v2, v2, v4, s[4:5]
	v_and_b32_e32 v1, 1, v9
.LBB1088_185:
	s_or_b64 exec, exec, s[6:7]
	v_mov_b32_e32 v9, 0
	v_add_f64 v[4:5], v[18:19], v[2:3]
	v_cmp_eq_u16_sdwa s[4:5], v128, v9 src0_sel:BYTE_0 src1_sel:DWORD
	v_cndmask_b32_e64 v45, v19, v5, s[4:5]
	v_cndmask_b32_e64 v44, v18, v4, s[4:5]
	s_movk_i32 s40, 0xff
	v_add_f64 v[4:5], v[6:7], v[44:45]
	v_cmp_eq_u16_sdwa s[6:7], v134, v9 src0_sel:BYTE_0 src1_sel:DWORD
	v_cndmask_b32_e64 v81, v7, v5, s[6:7]
	v_cndmask_b32_e64 v80, v6, v4, s[6:7]
	v_and_b32_sdwa v12, v128, s40 dst_sel:DWORD dst_unused:UNUSED_PAD src0_sel:WORD_1 src1_sel:DWORD
	v_add_f64 v[4:5], v[26:27], v[80:81]
	v_cmp_eq_u16_e64 s[8:9], 0, v12
	v_cndmask_b32_e64 v49, v27, v5, s[8:9]
	v_cndmask_b32_e64 v48, v26, v4, s[8:9]
	v_add_f64 v[4:5], v[14:15], v[48:49]
	v_cmp_eq_u16_sdwa s[10:11], v128, v9 src0_sel:BYTE_3 src1_sel:DWORD
	v_cndmask_b32_e64 v85, v15, v5, s[10:11]
	v_cndmask_b32_e64 v84, v14, v4, s[10:11]
	v_add_f64 v[4:5], v[34:35], v[84:85]
	v_cmp_eq_u16_sdwa s[12:13], v123, v9 src0_sel:BYTE_0 src1_sel:DWORD
	v_cndmask_b32_e64 v53, v35, v5, s[12:13]
	v_cndmask_b32_e64 v52, v34, v4, s[12:13]
	v_add_f64 v[4:5], v[22:23], v[52:53]
	v_cmp_eq_u16_sdwa s[14:15], v127, v9 src0_sel:BYTE_0 src1_sel:DWORD
	v_cndmask_b32_e64 v89, v23, v5, s[14:15]
	v_cndmask_b32_e64 v88, v22, v4, s[14:15]
	v_add_f64 v[4:5], v[42:43], v[88:89]
	v_cmp_eq_u16_sdwa s[16:17], v132, v9 src0_sel:BYTE_0 src1_sel:DWORD
	v_cndmask_b32_e64 v57, v43, v5, s[16:17]
	v_cndmask_b32_e64 v56, v42, v4, s[16:17]
	v_and_b32_sdwa v12, v127, s40 dst_sel:DWORD dst_unused:UNUSED_PAD src0_sel:WORD_1 src1_sel:DWORD
	v_add_f64 v[4:5], v[30:31], v[56:57]
	v_cmp_eq_u16_e64 s[18:19], 0, v12
	v_cndmask_b32_e64 v93, v31, v5, s[18:19]
	v_cndmask_b32_e64 v92, v30, v4, s[18:19]
	v_add_f64 v[4:5], v[50:51], v[92:93]
	v_cmp_eq_u16_sdwa s[20:21], v127, v9 src0_sel:BYTE_3 src1_sel:DWORD
	v_cndmask_b32_e64 v61, v51, v5, s[20:21]
	v_cndmask_b32_e64 v60, v50, v4, s[20:21]
	v_add_f64 v[4:5], v[38:39], v[60:61]
	v_cmp_eq_u16_sdwa s[22:23], v124, v9 src0_sel:BYTE_0 src1_sel:DWORD
	v_cndmask_b32_e64 v97, v39, v5, s[22:23]
	v_cndmask_b32_e64 v96, v38, v4, s[22:23]
	v_add_f64 v[4:5], v[58:59], v[96:97]
	v_cmp_eq_u16_sdwa s[24:25], v126, v9 src0_sel:BYTE_0 src1_sel:DWORD
	v_cndmask_b32_e64 v65, v59, v5, s[24:25]
	v_cndmask_b32_e64 v64, v58, v4, s[24:25]
	;; [unrolled: 21-line block ×3, first 2 shown]
	v_add_f64 v[4:5], v[78:79], v[108:109]
	v_cmp_eq_u16_sdwa s[38:39], v41, v9 src0_sel:BYTE_0 src1_sel:DWORD
	v_cndmask_b32_e64 v77, v79, v5, s[38:39]
	v_cndmask_b32_e64 v76, v78, v4, s[38:39]
	v_and_b32_sdwa v12, v125, s40 dst_sel:DWORD dst_unused:UNUSED_PAD src0_sel:WORD_1 src1_sel:DWORD
	v_add_f64 v[4:5], v[70:71], v[76:77]
	v_cmp_eq_u16_e64 s[40:41], 0, v12
	v_cndmask_b32_e64 v113, v71, v5, s[40:41]
	v_cndmask_b32_e64 v112, v70, v4, s[40:41]
	v_add_f64 v[4:5], v[10:11], v[112:113]
	v_cmp_eq_u16_sdwa s[42:43], v125, v9 src0_sel:BYTE_3 src1_sel:DWORD
	v_cndmask_b32_e64 v119, v11, v5, s[42:43]
	v_cndmask_b32_e64 v118, v10, v4, s[42:43]
	v_add_f64 v[4:5], v[20:21], v[118:119]
	v_cmp_eq_u16_sdwa s[44:45], v36, v9 src0_sel:BYTE_0 src1_sel:DWORD
	v_cndmask_b32_e64 v120, v20, v4, s[44:45]
	v_or_b32_e32 v4, v125, v126
	v_or3_b32 v4, v4, v127, v128
	v_lshrrev_b16_e32 v9, 7, v4
	v_cndmask_b32_e64 v121, v21, v5, s[44:45]
	v_and_b32_e32 v5, 1, v4
	v_and_b32_e32 v9, 2, v9
	v_or_b32_e32 v5, v5, v9
	v_lshrrev_b32_e32 v9, 23, v4
	v_mov_b32_e32 v12, 1
	v_and_b32_e32 v9, 2, v9
	v_and_b32_sdwa v4, v4, v12 dst_sel:DWORD dst_unused:UNUSED_PAD src0_sel:WORD_1 src1_sel:DWORD
	v_or_b32_e32 v4, v4, v9
	v_lshlrev_b16_e32 v4, 2, v4
	v_or_b32_e32 v4, v5, v4
	v_cmp_eq_u32_e64 s[52:53], 1, v40
	v_cmp_ne_u16_e64 s[54:55], 0, v4
	v_cmp_eq_u32_e64 s[50:51], 1, v129
	s_or_b64 s[52:53], s[54:55], s[52:53]
	v_cmp_eq_u32_e64 s[48:49], 1, v131
	s_or_b64 s[50:51], s[52:53], s[50:51]
	;; [unrolled: 2-line block ×3, first 2 shown]
	v_and_b32_e32 v8, 0xff, v1
	s_or_b64 s[46:47], s[48:49], s[46:47]
	v_mbcnt_hi_u32_b32 v16, -1, v37
	v_cndmask_b32_e64 v17, v8, 1, s[46:47]
	v_and_b32_e32 v24, 15, v16
	v_mov_b32_dpp v12, v120 row_shr:1 row_mask:0xf bank_mask:0xf
	v_mov_b32_dpp v13, v121 row_shr:1 row_mask:0xf bank_mask:0xf
	v_mov_b32_dpp v25, v17 row_shr:1 row_mask:0xf bank_mask:0xf
	v_cmp_ne_u32_e64 s[46:47], 0, v24
	v_pk_mov_b32 v[4:5], v[120:121], v[120:121] op_sel:[0,1]
	v_mov_b32_e32 v9, v121
	v_mov_b32_e32 v8, v120
	s_and_saveexec_b64 s[48:49], s[46:47]
; %bb.186:
	v_add_f64 v[4:5], v[120:121], v[12:13]
	v_cmp_eq_u32_e64 s[46:47], 0, v17
	v_cndmask_b32_e64 v5, v121, v5, s[46:47]
	v_cndmask_b32_e64 v4, v120, v4, s[46:47]
	v_and_or_b32 v17, v25, 1, v17
	v_mov_b32_e32 v9, v5
	v_mov_b32_e32 v8, v4
; %bb.187:
	s_or_b64 exec, exec, s[48:49]
	s_nop 0
	v_mov_b32_dpp v12, v8 row_shr:2 row_mask:0xf bank_mask:0xf
	v_mov_b32_dpp v13, v9 row_shr:2 row_mask:0xf bank_mask:0xf
	v_mov_b32_dpp v25, v17 row_shr:2 row_mask:0xf bank_mask:0xf
	v_cmp_lt_u32_e64 s[46:47], 1, v24
	s_and_saveexec_b64 s[48:49], s[46:47]
; %bb.188:
	v_add_f64 v[8:9], v[4:5], v[12:13]
	v_cmp_eq_u32_e64 s[46:47], 0, v17
	v_cndmask_b32_e64 v9, v5, v9, s[46:47]
	v_cndmask_b32_e64 v8, v4, v8, s[46:47]
	v_or_b32_e32 v4, v25, v17
	v_and_b32_e32 v17, 1, v4
	v_pk_mov_b32 v[4:5], v[8:9], v[8:9] op_sel:[0,1]
; %bb.189:
	s_or_b64 exec, exec, s[48:49]
	v_mov_b32_dpp v12, v8 row_shr:4 row_mask:0xf bank_mask:0xf
	v_mov_b32_dpp v13, v9 row_shr:4 row_mask:0xf bank_mask:0xf
	v_mov_b32_dpp v25, v17 row_shr:4 row_mask:0xf bank_mask:0xf
	v_cmp_lt_u32_e64 s[46:47], 3, v24
	s_and_saveexec_b64 s[48:49], s[46:47]
; %bb.190:
	v_add_f64 v[8:9], v[4:5], v[12:13]
	v_cmp_eq_u32_e64 s[46:47], 0, v17
	v_cndmask_b32_e64 v9, v5, v9, s[46:47]
	v_cndmask_b32_e64 v8, v4, v8, s[46:47]
	v_or_b32_e32 v4, v25, v17
	v_and_b32_e32 v17, 1, v4
	v_pk_mov_b32 v[4:5], v[8:9], v[8:9] op_sel:[0,1]
; %bb.191:
	s_or_b64 exec, exec, s[48:49]
	;; [unrolled: 15-line block ×3, first 2 shown]
	v_and_b32_e32 v25, 16, v16
	v_mov_b32_dpp v12, v8 row_bcast:15 row_mask:0xf bank_mask:0xf
	v_mov_b32_dpp v13, v9 row_bcast:15 row_mask:0xf bank_mask:0xf
	;; [unrolled: 1-line block ×3, first 2 shown]
	v_cmp_ne_u32_e64 s[46:47], 0, v25
	s_and_saveexec_b64 s[48:49], s[46:47]
; %bb.194:
	v_add_f64 v[8:9], v[4:5], v[12:13]
	v_cmp_eq_u32_e64 s[46:47], 0, v17
	v_cndmask_b32_e64 v5, v5, v9, s[46:47]
	v_cndmask_b32_e64 v4, v4, v8, s[46:47]
	v_or_b32_e32 v8, v24, v17
	v_and_b32_e32 v17, 1, v8
	v_mov_b32_e32 v9, v5
	v_mov_b32_e32 v8, v4
; %bb.195:
	s_or_b64 exec, exec, s[48:49]
	s_nop 0
	v_mov_b32_dpp v8, v8 row_bcast:31 row_mask:0xf bank_mask:0xf
	v_mov_b32_dpp v9, v9 row_bcast:31 row_mask:0xf bank_mask:0xf
	;; [unrolled: 1-line block ×3, first 2 shown]
	v_cmp_lt_u32_e64 s[46:47], 31, v16
	s_and_saveexec_b64 s[48:49], s[46:47]
; %bb.196:
	v_add_f64 v[8:9], v[4:5], v[8:9]
	v_cmp_eq_u32_e64 s[46:47], 0, v17
	v_cndmask_b32_e64 v4, v4, v8, s[46:47]
	v_or_b32_e32 v8, v12, v17
	v_cndmask_b32_e64 v5, v5, v9, s[46:47]
	v_and_b32_e32 v17, 1, v8
; %bb.197:
	s_or_b64 exec, exec, s[48:49]
	v_cmp_eq_u32_e64 s[46:47], 63, v0
	s_and_saveexec_b64 s[48:49], s[46:47]
	s_cbranch_execz .LBB1088_199
; %bb.198:
	v_mov_b32_e32 v8, 0
	ds_write_b64 v8, v[4:5]
	ds_write_b8 v8, v17 offset:8
.LBB1088_199:
	s_or_b64 exec, exec, s[48:49]
	v_add_u32_e32 v8, -1, v16
	v_and_b32_e32 v9, 64, v16
	v_cmp_lt_i32_e64 s[46:47], v8, v9
	v_cndmask_b32_e64 v8, v8, v16, s[46:47]
	v_lshlrev_b32_e32 v8, 2, v8
	ds_bpermute_b32 v4, v8, v4
	ds_bpermute_b32 v5, v8, v5
	s_waitcnt lgkmcnt(0)
	; wave barrier
	s_waitcnt lgkmcnt(0)
	s_and_saveexec_b64 s[46:47], s[2:3]
	s_cbranch_execz .LBB1088_201
; %bb.200:
	v_mov_b32_e32 v8, 0
	v_add_f64 v[4:5], v[2:3], v[4:5]
	v_cmp_eq_u16_sdwa s[2:3], v1, v8 src0_sel:BYTE_0 src1_sel:DWORD
	v_cndmask_b32_e64 v3, v3, v5, s[2:3]
	v_cndmask_b32_e64 v2, v2, v4, s[2:3]
	v_add_f64 v[4:5], v[18:19], v[2:3]
	v_cndmask_b32_e64 v45, v19, v5, s[4:5]
	v_cndmask_b32_e64 v44, v18, v4, s[4:5]
	v_add_f64 v[4:5], v[6:7], v[44:45]
	v_cndmask_b32_e64 v81, v7, v5, s[6:7]
	v_cndmask_b32_e64 v80, v6, v4, s[6:7]
	v_add_f64 v[4:5], v[26:27], v[80:81]
	v_cndmask_b32_e64 v49, v27, v5, s[8:9]
	v_cndmask_b32_e64 v48, v26, v4, s[8:9]
	v_add_f64 v[4:5], v[14:15], v[48:49]
	v_cndmask_b32_e64 v85, v15, v5, s[10:11]
	v_cndmask_b32_e64 v84, v14, v4, s[10:11]
	v_add_f64 v[4:5], v[34:35], v[84:85]
	v_cndmask_b32_e64 v53, v35, v5, s[12:13]
	v_cndmask_b32_e64 v52, v34, v4, s[12:13]
	v_add_f64 v[4:5], v[22:23], v[52:53]
	v_cndmask_b32_e64 v89, v23, v5, s[14:15]
	v_cndmask_b32_e64 v88, v22, v4, s[14:15]
	v_add_f64 v[4:5], v[42:43], v[88:89]
	v_cndmask_b32_e64 v57, v43, v5, s[16:17]
	v_cndmask_b32_e64 v56, v42, v4, s[16:17]
	v_add_f64 v[4:5], v[30:31], v[56:57]
	v_cndmask_b32_e64 v93, v31, v5, s[18:19]
	v_cndmask_b32_e64 v92, v30, v4, s[18:19]
	v_add_f64 v[4:5], v[50:51], v[92:93]
	v_cndmask_b32_e64 v61, v51, v5, s[20:21]
	v_cndmask_b32_e64 v60, v50, v4, s[20:21]
	v_add_f64 v[4:5], v[38:39], v[60:61]
	v_cndmask_b32_e64 v97, v39, v5, s[22:23]
	v_cndmask_b32_e64 v96, v38, v4, s[22:23]
	v_add_f64 v[4:5], v[58:59], v[96:97]
	v_cndmask_b32_e64 v65, v59, v5, s[24:25]
	v_cndmask_b32_e64 v64, v58, v4, s[24:25]
	v_add_f64 v[4:5], v[46:47], v[64:65]
	v_cndmask_b32_e64 v101, v47, v5, s[26:27]
	v_cndmask_b32_e64 v100, v46, v4, s[26:27]
	v_add_f64 v[4:5], v[66:67], v[100:101]
	v_cndmask_b32_e64 v69, v67, v5, s[28:29]
	v_cndmask_b32_e64 v68, v66, v4, s[28:29]
	v_add_f64 v[4:5], v[54:55], v[68:69]
	v_cndmask_b32_e64 v105, v55, v5, s[30:31]
	v_cndmask_b32_e64 v104, v54, v4, s[30:31]
	v_add_f64 v[4:5], v[74:75], v[104:105]
	v_cndmask_b32_e64 v73, v75, v5, s[34:35]
	v_cndmask_b32_e64 v72, v74, v4, s[34:35]
	v_add_f64 v[4:5], v[62:63], v[72:73]
	v_cndmask_b32_e64 v109, v63, v5, s[36:37]
	v_cndmask_b32_e64 v108, v62, v4, s[36:37]
	v_add_f64 v[4:5], v[78:79], v[108:109]
	v_cndmask_b32_e64 v77, v79, v5, s[38:39]
	v_cndmask_b32_e64 v76, v78, v4, s[38:39]
	v_add_f64 v[4:5], v[70:71], v[76:77]
	v_cndmask_b32_e64 v113, v71, v5, s[40:41]
	v_cndmask_b32_e64 v112, v70, v4, s[40:41]
	v_add_f64 v[4:5], v[10:11], v[112:113]
	v_cndmask_b32_e64 v119, v11, v5, s[42:43]
	v_cndmask_b32_e64 v118, v10, v4, s[42:43]
	v_add_f64 v[4:5], v[20:21], v[118:119]
	v_cndmask_b32_e64 v121, v21, v5, s[44:45]
	v_cndmask_b32_e64 v120, v20, v4, s[44:45]
	;;#ASMSTART
	;;#ASMEND
.LBB1088_201:
	s_or_b64 exec, exec, s[46:47]
	s_and_saveexec_b64 s[2:3], vcc
	s_cbranch_execz .LBB1088_203
; %bb.202:
	v_mov_b32_e32 v1, 0
	ds_read_b64 v[4:5], v1
	ds_read_u8 v6, v1 offset:8
	v_mov_b32_e32 v7, 2
	s_waitcnt lgkmcnt(1)
	global_store_dwordx2 v1, v[4:5], s[86:87] offset:1024
	s_waitcnt lgkmcnt(0)
	global_store_byte v1, v6, s[86:87] offset:1032
	s_waitcnt vmcnt(0)
	buffer_wbinvl1_vol
	global_store_byte v1, v7, s[88:89] offset:64
.LBB1088_203:
	s_or_b64 exec, exec, s[2:3]
	v_pk_mov_b32 v[114:115], v[2:3], v[2:3] op_sel:[0,1]
.LBB1088_204:
	s_add_u32 s2, s58, s94
	s_addc_u32 s3, s59, s95
	s_add_u32 s4, s2, s92
	s_addc_u32 s5, s3, s93
	s_and_b64 vcc, exec, s[0:1]
	v_lshlrev_b32_e32 v46, 3, v0
	s_cbranch_vccz .LBB1088_246
; %bb.205:
	s_movk_i32 s0, 0xa8
	v_mul_i32_i24_e32 v50, 0xffffff60, v0
	v_mul_u32_u24_e32 v47, 0xa8, v0
	v_mad_u32_u24 v2, v0, s0, v50
	s_waitcnt lgkmcnt(0)
	; wave barrier
	ds_write2_b64 v47, v[114:115], v[44:45] offset1:1
	ds_write2_b64 v47, v[80:81], v[48:49] offset0:2 offset1:3
	ds_write2_b64 v47, v[84:85], v[52:53] offset0:4 offset1:5
	;; [unrolled: 1-line block ×9, first 2 shown]
	ds_write_b64 v47, v[120:121] offset:160
	s_waitcnt lgkmcnt(0)
	; wave barrier
	s_waitcnt lgkmcnt(0)
	ds_read2st64_b64 v[38:41], v2 offset0:1 offset1:2
	ds_read2st64_b64 v[34:37], v2 offset0:3 offset1:4
	ds_read2st64_b64 v[30:33], v2 offset0:5 offset1:6
	ds_read2st64_b64 v[26:29], v2 offset0:7 offset1:8
	ds_read2st64_b64 v[22:25], v2 offset0:9 offset1:10
	ds_read2st64_b64 v[18:21], v2 offset0:11 offset1:12
	ds_read2st64_b64 v[14:17], v2 offset0:13 offset1:14
	ds_read2st64_b64 v[10:13], v2 offset0:15 offset1:16
	ds_read2st64_b64 v[6:9], v2 offset0:17 offset1:18
	ds_read2st64_b64 v[2:5], v2 offset0:19 offset1:20
	v_mov_b32_e32 v43, s5
	v_add_co_u32_e32 v42, vcc, s4, v46
	s_add_i32 s33, s33, s90
	v_addc_co_u32_e32 v43, vcc, 0, v43, vcc
	v_mov_b32_e32 v1, 0
	v_cmp_gt_u32_e32 vcc, s33, v0
	s_and_saveexec_b64 s[0:1], vcc
	s_cbranch_execz .LBB1088_207
; %bb.206:
	v_add_u32_e32 v47, v47, v50
	ds_read_b64 v[50:51], v47
	s_waitcnt lgkmcnt(0)
	flat_store_dwordx2 v[42:43], v[50:51]
.LBB1088_207:
	s_or_b64 exec, exec, s[0:1]
	v_or_b32_e32 v47, 64, v0
	v_cmp_gt_u32_e32 vcc, s33, v47
	s_and_saveexec_b64 s[0:1], vcc
	s_cbranch_execz .LBB1088_209
; %bb.208:
	s_waitcnt lgkmcnt(0)
	flat_store_dwordx2 v[42:43], v[38:39] offset:512
.LBB1088_209:
	s_or_b64 exec, exec, s[0:1]
	s_waitcnt lgkmcnt(0)
	v_or_b32_e32 v38, 0x80, v0
	v_cmp_gt_u32_e32 vcc, s33, v38
	s_and_saveexec_b64 s[0:1], vcc
	s_cbranch_execz .LBB1088_211
; %bb.210:
	flat_store_dwordx2 v[42:43], v[40:41] offset:1024
.LBB1088_211:
	s_or_b64 exec, exec, s[0:1]
	v_or_b32_e32 v38, 0xc0, v0
	v_cmp_gt_u32_e32 vcc, s33, v38
	s_and_saveexec_b64 s[0:1], vcc
	s_cbranch_execz .LBB1088_213
; %bb.212:
	flat_store_dwordx2 v[42:43], v[34:35] offset:1536
.LBB1088_213:
	s_or_b64 exec, exec, s[0:1]
	;; [unrolled: 8-line block ×6, first 2 shown]
	v_or_b32_e32 v26, 0x200, v0
	v_cmp_gt_u32_e32 vcc, s33, v26
	s_and_saveexec_b64 s[0:1], vcc
	s_cbranch_execz .LBB1088_223
; %bb.222:
	v_add_co_u32_e32 v26, vcc, 0x1000, v42
	v_addc_co_u32_e32 v27, vcc, 0, v43, vcc
	flat_store_dwordx2 v[26:27], v[28:29]
.LBB1088_223:
	s_or_b64 exec, exec, s[0:1]
	v_or_b32_e32 v26, 0x240, v0
	v_cmp_gt_u32_e32 vcc, s33, v26
	s_and_saveexec_b64 s[0:1], vcc
	s_cbranch_execz .LBB1088_225
; %bb.224:
	v_add_co_u32_e32 v26, vcc, 0x1000, v42
	v_addc_co_u32_e32 v27, vcc, 0, v43, vcc
	flat_store_dwordx2 v[26:27], v[22:23] offset:512
.LBB1088_225:
	s_or_b64 exec, exec, s[0:1]
	v_or_b32_e32 v22, 0x280, v0
	v_cmp_gt_u32_e32 vcc, s33, v22
	s_and_saveexec_b64 s[0:1], vcc
	s_cbranch_execz .LBB1088_227
; %bb.226:
	v_add_co_u32_e32 v22, vcc, 0x1000, v42
	v_addc_co_u32_e32 v23, vcc, 0, v43, vcc
	flat_store_dwordx2 v[22:23], v[24:25] offset:1024
.LBB1088_227:
	s_or_b64 exec, exec, s[0:1]
	v_or_b32_e32 v22, 0x2c0, v0
	v_cmp_gt_u32_e32 vcc, s33, v22
	s_and_saveexec_b64 s[0:1], vcc
	s_cbranch_execz .LBB1088_229
; %bb.228:
	v_add_co_u32_e32 v22, vcc, 0x1000, v42
	v_addc_co_u32_e32 v23, vcc, 0, v43, vcc
	flat_store_dwordx2 v[22:23], v[18:19] offset:1536
.LBB1088_229:
	s_or_b64 exec, exec, s[0:1]
	v_or_b32_e32 v18, 0x300, v0
	v_cmp_gt_u32_e32 vcc, s33, v18
	s_and_saveexec_b64 s[0:1], vcc
	s_cbranch_execz .LBB1088_231
; %bb.230:
	v_add_co_u32_e32 v18, vcc, 0x1000, v42
	v_addc_co_u32_e32 v19, vcc, 0, v43, vcc
	flat_store_dwordx2 v[18:19], v[20:21] offset:2048
.LBB1088_231:
	s_or_b64 exec, exec, s[0:1]
	v_or_b32_e32 v18, 0x340, v0
	v_cmp_gt_u32_e32 vcc, s33, v18
	s_and_saveexec_b64 s[0:1], vcc
	s_cbranch_execz .LBB1088_233
; %bb.232:
	v_add_co_u32_e32 v18, vcc, 0x1000, v42
	v_addc_co_u32_e32 v19, vcc, 0, v43, vcc
	flat_store_dwordx2 v[18:19], v[14:15] offset:2560
.LBB1088_233:
	s_or_b64 exec, exec, s[0:1]
	v_or_b32_e32 v14, 0x380, v0
	v_cmp_gt_u32_e32 vcc, s33, v14
	s_and_saveexec_b64 s[0:1], vcc
	s_cbranch_execz .LBB1088_235
; %bb.234:
	v_add_co_u32_e32 v14, vcc, 0x1000, v42
	v_addc_co_u32_e32 v15, vcc, 0, v43, vcc
	flat_store_dwordx2 v[14:15], v[16:17] offset:3072
.LBB1088_235:
	s_or_b64 exec, exec, s[0:1]
	v_or_b32_e32 v14, 0x3c0, v0
	v_cmp_gt_u32_e32 vcc, s33, v14
	s_and_saveexec_b64 s[0:1], vcc
	s_cbranch_execz .LBB1088_237
; %bb.236:
	v_add_co_u32_e32 v14, vcc, 0x1000, v42
	v_addc_co_u32_e32 v15, vcc, 0, v43, vcc
	flat_store_dwordx2 v[14:15], v[10:11] offset:3584
.LBB1088_237:
	s_or_b64 exec, exec, s[0:1]
	v_or_b32_e32 v10, 0x400, v0
	v_cmp_gt_u32_e32 vcc, s33, v10
	s_and_saveexec_b64 s[0:1], vcc
	s_cbranch_execz .LBB1088_239
; %bb.238:
	v_add_co_u32_e32 v10, vcc, 0x2000, v42
	v_addc_co_u32_e32 v11, vcc, 0, v43, vcc
	flat_store_dwordx2 v[10:11], v[12:13]
.LBB1088_239:
	s_or_b64 exec, exec, s[0:1]
	v_or_b32_e32 v10, 0x440, v0
	v_cmp_gt_u32_e32 vcc, s33, v10
	s_and_saveexec_b64 s[0:1], vcc
	s_cbranch_execz .LBB1088_241
; %bb.240:
	v_add_co_u32_e32 v10, vcc, 0x2000, v42
	v_addc_co_u32_e32 v11, vcc, 0, v43, vcc
	flat_store_dwordx2 v[10:11], v[6:7] offset:512
.LBB1088_241:
	s_or_b64 exec, exec, s[0:1]
	v_or_b32_e32 v6, 0x480, v0
	v_cmp_gt_u32_e32 vcc, s33, v6
	s_and_saveexec_b64 s[0:1], vcc
	s_cbranch_execz .LBB1088_243
; %bb.242:
	v_add_co_u32_e32 v6, vcc, 0x2000, v42
	v_addc_co_u32_e32 v7, vcc, 0, v43, vcc
	flat_store_dwordx2 v[6:7], v[8:9] offset:1024
.LBB1088_243:
	;; [unrolled: 10-line block ×3, first 2 shown]
	s_or_b64 exec, exec, s[0:1]
	v_or_b32_e32 v2, 0x500, v0
	v_cmp_gt_u32_e64 s[0:1], s33, v2
	s_branch .LBB1088_248
.LBB1088_246:
	s_mov_b64 s[0:1], 0
                                        ; implicit-def: $vgpr4_vgpr5
	s_cbranch_execz .LBB1088_248
; %bb.247:
	s_movk_i32 s2, 0xa8
	v_mul_i32_i24_e32 v2, 0xffffff60, v0
	v_mul_u32_u24_e32 v1, 0xa8, v0
	v_mad_u32_u24 v2, v0, s2, v2
	s_waitcnt lgkmcnt(0)
	; wave barrier
	s_waitcnt lgkmcnt(0)
	ds_write2_b64 v1, v[114:115], v[44:45] offset1:1
	ds_write2_b64 v1, v[80:81], v[48:49] offset0:2 offset1:3
	ds_write2_b64 v1, v[84:85], v[52:53] offset0:4 offset1:5
	;; [unrolled: 1-line block ×9, first 2 shown]
	ds_write_b64 v1, v[120:121] offset:160
	s_waitcnt lgkmcnt(0)
	; wave barrier
	s_waitcnt lgkmcnt(0)
	ds_read2st64_b64 v[6:9], v2 offset1:1
	ds_read2st64_b64 v[10:13], v2 offset0:2 offset1:3
	ds_read2st64_b64 v[14:17], v2 offset0:4 offset1:5
	;; [unrolled: 1-line block ×9, first 2 shown]
	ds_read_b64 v[4:5], v2 offset:10240
	v_mov_b32_e32 v3, s5
	v_add_co_u32_e32 v2, vcc, s4, v46
	v_addc_co_u32_e32 v3, vcc, 0, v3, vcc
	s_movk_i32 s2, 0x1000
	s_waitcnt lgkmcnt(0)
	flat_store_dwordx2 v[2:3], v[6:7]
	flat_store_dwordx2 v[2:3], v[8:9] offset:512
	flat_store_dwordx2 v[2:3], v[10:11] offset:1024
	;; [unrolled: 1-line block ×7, first 2 shown]
	v_add_co_u32_e32 v6, vcc, s2, v2
	v_addc_co_u32_e32 v7, vcc, 0, v3, vcc
	v_add_co_u32_e32 v2, vcc, 0x2000, v2
	v_mov_b32_e32 v1, 0
	v_addc_co_u32_e32 v3, vcc, 0, v3, vcc
	s_or_b64 s[0:1], s[0:1], exec
	flat_store_dwordx2 v[6:7], v[22:23]
	flat_store_dwordx2 v[6:7], v[24:25] offset:512
	flat_store_dwordx2 v[6:7], v[26:27] offset:1024
	;; [unrolled: 1-line block ×7, first 2 shown]
	flat_store_dwordx2 v[2:3], v[38:39]
	flat_store_dwordx2 v[2:3], v[40:41] offset:512
	flat_store_dwordx2 v[2:3], v[42:43] offset:1024
	;; [unrolled: 1-line block ×3, first 2 shown]
.LBB1088_248:
	s_and_saveexec_b64 s[2:3], s[0:1]
	s_cbranch_execnz .LBB1088_250
; %bb.249:
	s_endpgm
.LBB1088_250:
	v_lshlrev_b64 v[0:1], 3, v[0:1]
	v_mov_b32_e32 v2, s5
	v_add_co_u32_e32 v0, vcc, s4, v0
	v_addc_co_u32_e32 v1, vcc, v2, v1, vcc
	v_add_co_u32_e32 v0, vcc, 0x2000, v0
	v_addc_co_u32_e32 v1, vcc, 0, v1, vcc
	flat_store_dwordx2 v[0:1], v[4:5] offset:2048
	s_endpgm
.LBB1088_251:
	v_lshlrev_b32_e32 v2, 3, v0
	v_mov_b32_e32 v3, s62
	v_add_co_u32_e32 v2, vcc, s7, v2
	v_addc_co_u32_e32 v3, vcc, 0, v3, vcc
	flat_load_dwordx2 v[2:3], v[2:3]
	s_or_b64 exec, exec, s[54:55]
                                        ; implicit-def: $vgpr6_vgpr7
	s_and_saveexec_b64 s[2:3], s[4:5]
	s_cbranch_execz .LBB1088_51
.LBB1088_252:
	v_lshlrev_b32_e32 v6, 3, v0
	v_mov_b32_e32 v7, s62
	v_add_co_u32_e32 v6, vcc, s7, v6
	v_addc_co_u32_e32 v7, vcc, 0, v7, vcc
	flat_load_dwordx2 v[6:7], v[6:7] offset:512
	s_or_b64 exec, exec, s[2:3]
                                        ; implicit-def: $vgpr10_vgpr11
	s_and_saveexec_b64 s[2:3], s[46:47]
	s_cbranch_execz .LBB1088_52
.LBB1088_253:
	v_lshlrev_b32_e32 v10, 3, v0
	v_mov_b32_e32 v11, s62
	v_add_co_u32_e32 v10, vcc, s7, v10
	v_addc_co_u32_e32 v11, vcc, 0, v11, vcc
	flat_load_dwordx2 v[10:11], v[10:11] offset:1024
	s_or_b64 exec, exec, s[2:3]
                                        ; implicit-def: $vgpr14_vgpr15
	s_and_saveexec_b64 s[2:3], s[8:9]
	s_cbranch_execz .LBB1088_53
.LBB1088_254:
	v_lshlrev_b32_e32 v14, 3, v0
	v_mov_b32_e32 v15, s62
	v_add_co_u32_e32 v14, vcc, s7, v14
	v_addc_co_u32_e32 v15, vcc, 0, v15, vcc
	flat_load_dwordx2 v[14:15], v[14:15] offset:1536
	s_or_b64 exec, exec, s[2:3]
                                        ; implicit-def: $vgpr18_vgpr19
	s_and_saveexec_b64 s[2:3], s[10:11]
	s_cbranch_execz .LBB1088_54
.LBB1088_255:
	v_lshlrev_b32_e32 v18, 3, v0
	v_mov_b32_e32 v19, s62
	v_add_co_u32_e32 v18, vcc, s7, v18
	v_addc_co_u32_e32 v19, vcc, 0, v19, vcc
	flat_load_dwordx2 v[18:19], v[18:19] offset:2048
	s_or_b64 exec, exec, s[2:3]
                                        ; implicit-def: $vgpr20_vgpr21
	s_and_saveexec_b64 s[2:3], s[12:13]
	s_cbranch_execz .LBB1088_55
.LBB1088_256:
	v_lshlrev_b32_e32 v20, 3, v0
	v_mov_b32_e32 v21, s62
	v_add_co_u32_e32 v20, vcc, s7, v20
	v_addc_co_u32_e32 v21, vcc, 0, v21, vcc
	flat_load_dwordx2 v[20:21], v[20:21] offset:2560
	s_or_b64 exec, exec, s[2:3]
                                        ; implicit-def: $vgpr22_vgpr23
	s_and_saveexec_b64 s[2:3], s[14:15]
	s_cbranch_execz .LBB1088_56
.LBB1088_257:
	v_lshlrev_b32_e32 v22, 3, v0
	v_mov_b32_e32 v23, s62
	v_add_co_u32_e32 v22, vcc, s7, v22
	v_addc_co_u32_e32 v23, vcc, 0, v23, vcc
	flat_load_dwordx2 v[22:23], v[22:23] offset:3072
	s_or_b64 exec, exec, s[2:3]
                                        ; implicit-def: $vgpr26_vgpr27
	s_and_saveexec_b64 s[2:3], s[16:17]
	s_cbranch_execz .LBB1088_57
.LBB1088_258:
	v_lshlrev_b32_e32 v26, 3, v0
	v_mov_b32_e32 v27, s62
	v_add_co_u32_e32 v26, vcc, s7, v26
	v_addc_co_u32_e32 v27, vcc, 0, v27, vcc
	flat_load_dwordx2 v[26:27], v[26:27] offset:3584
	s_or_b64 exec, exec, s[2:3]
                                        ; implicit-def: $vgpr30_vgpr31
	s_and_saveexec_b64 s[2:3], s[18:19]
	s_cbranch_execz .LBB1088_58
.LBB1088_259:
	v_lshlrev_b32_e32 v1, 3, v1
	v_mov_b32_e32 v31, s62
	v_add_co_u32_e32 v30, vcc, s7, v1
	v_addc_co_u32_e32 v31, vcc, 0, v31, vcc
	flat_load_dwordx2 v[30:31], v[30:31]
	s_or_b64 exec, exec, s[2:3]
                                        ; implicit-def: $vgpr34_vgpr35
	s_and_saveexec_b64 s[2:3], s[20:21]
	s_cbranch_execz .LBB1088_59
.LBB1088_260:
	v_lshlrev_b32_e32 v1, 3, v38
	v_mov_b32_e32 v35, s62
	v_add_co_u32_e32 v34, vcc, s7, v1
	v_addc_co_u32_e32 v35, vcc, 0, v35, vcc
	flat_load_dwordx2 v[34:35], v[34:35]
	s_or_b64 exec, exec, s[2:3]
                                        ; implicit-def: $vgpr38_vgpr39
	s_and_saveexec_b64 s[2:3], s[22:23]
	s_cbranch_execz .LBB1088_60
.LBB1088_261:
	v_lshlrev_b32_e32 v1, 3, v42
	v_mov_b32_e32 v39, s62
	v_add_co_u32_e32 v38, vcc, s7, v1
	v_addc_co_u32_e32 v39, vcc, 0, v39, vcc
	flat_load_dwordx2 v[38:39], v[38:39]
	s_or_b64 exec, exec, s[2:3]
                                        ; implicit-def: $vgpr42_vgpr43
	s_and_saveexec_b64 s[2:3], s[24:25]
	s_cbranch_execz .LBB1088_61
.LBB1088_262:
	v_lshlrev_b32_e32 v1, 3, v46
	v_mov_b32_e32 v43, s62
	v_add_co_u32_e32 v42, vcc, s7, v1
	v_addc_co_u32_e32 v43, vcc, 0, v43, vcc
	flat_load_dwordx2 v[42:43], v[42:43]
	s_or_b64 exec, exec, s[2:3]
                                        ; implicit-def: $vgpr46_vgpr47
	s_and_saveexec_b64 s[2:3], s[26:27]
	s_cbranch_execz .LBB1088_62
.LBB1088_263:
	v_lshlrev_b32_e32 v1, 3, v48
	v_mov_b32_e32 v47, s62
	v_add_co_u32_e32 v46, vcc, s7, v1
	v_addc_co_u32_e32 v47, vcc, 0, v47, vcc
	flat_load_dwordx2 v[46:47], v[46:47]
	s_or_b64 exec, exec, s[2:3]
                                        ; implicit-def: $vgpr48_vgpr49
	s_and_saveexec_b64 s[2:3], s[28:29]
	s_cbranch_execz .LBB1088_63
.LBB1088_264:
	v_lshlrev_b32_e32 v1, 3, v50
	v_mov_b32_e32 v49, s62
	v_add_co_u32_e32 v48, vcc, s7, v1
	v_addc_co_u32_e32 v49, vcc, 0, v49, vcc
	flat_load_dwordx2 v[48:49], v[48:49]
	s_or_b64 exec, exec, s[2:3]
                                        ; implicit-def: $vgpr50_vgpr51
	s_and_saveexec_b64 s[2:3], s[30:31]
	s_cbranch_execz .LBB1088_64
.LBB1088_265:
	v_lshlrev_b32_e32 v1, 3, v52
	v_mov_b32_e32 v51, s62
	v_add_co_u32_e32 v50, vcc, s7, v1
	v_addc_co_u32_e32 v51, vcc, 0, v51, vcc
	flat_load_dwordx2 v[50:51], v[50:51]
	s_or_b64 exec, exec, s[2:3]
                                        ; implicit-def: $vgpr52_vgpr53
	s_and_saveexec_b64 s[2:3], s[34:35]
	s_cbranch_execz .LBB1088_65
.LBB1088_266:
	v_lshlrev_b32_e32 v1, 3, v54
	v_mov_b32_e32 v53, s62
	v_add_co_u32_e32 v52, vcc, s7, v1
	v_addc_co_u32_e32 v53, vcc, 0, v53, vcc
	flat_load_dwordx2 v[52:53], v[52:53]
	s_or_b64 exec, exec, s[2:3]
                                        ; implicit-def: $vgpr54_vgpr55
	s_and_saveexec_b64 s[2:3], s[36:37]
	s_cbranch_execz .LBB1088_66
.LBB1088_267:
	v_lshlrev_b32_e32 v1, 3, v56
	v_mov_b32_e32 v55, s62
	v_add_co_u32_e32 v54, vcc, s7, v1
	v_addc_co_u32_e32 v55, vcc, 0, v55, vcc
	flat_load_dwordx2 v[54:55], v[54:55]
	s_or_b64 exec, exec, s[2:3]
                                        ; implicit-def: $vgpr56_vgpr57
	s_and_saveexec_b64 s[2:3], s[38:39]
	s_cbranch_execz .LBB1088_67
.LBB1088_268:
	v_lshlrev_b32_e32 v1, 3, v58
	v_mov_b32_e32 v57, s62
	v_add_co_u32_e32 v56, vcc, s7, v1
	v_addc_co_u32_e32 v57, vcc, 0, v57, vcc
	flat_load_dwordx2 v[56:57], v[56:57]
	s_or_b64 exec, exec, s[2:3]
                                        ; implicit-def: $vgpr58_vgpr59
	s_and_saveexec_b64 s[2:3], s[40:41]
	s_cbranch_execz .LBB1088_68
.LBB1088_269:
	v_lshlrev_b32_e32 v1, 3, v60
	v_mov_b32_e32 v59, s62
	v_add_co_u32_e32 v58, vcc, s7, v1
	v_addc_co_u32_e32 v59, vcc, 0, v59, vcc
	flat_load_dwordx2 v[58:59], v[58:59]
	s_or_b64 exec, exec, s[2:3]
                                        ; implicit-def: $vgpr60_vgpr61
	s_and_saveexec_b64 s[2:3], s[42:43]
	s_cbranch_execz .LBB1088_69
.LBB1088_270:
	v_lshlrev_b32_e32 v1, 3, v62
	v_mov_b32_e32 v61, s62
	v_add_co_u32_e32 v60, vcc, s7, v1
	v_addc_co_u32_e32 v61, vcc, 0, v61, vcc
	flat_load_dwordx2 v[60:61], v[60:61]
	s_or_b64 exec, exec, s[2:3]
                                        ; implicit-def: $vgpr62_vgpr63
	s_and_saveexec_b64 s[2:3], s[44:45]
	s_cbranch_execnz .LBB1088_70
	s_branch .LBB1088_71
.LBB1088_271:
                                        ; implicit-def: $sgpr54_sgpr55
	s_branch .LBB1088_46
.LBB1088_272:
                                        ; implicit-def: $sgpr2_sgpr3
	s_branch .LBB1088_116
	.section	.rodata,"a",@progbits
	.p2align	6, 0x0
	.amdhsa_kernel _ZN7rocprim17ROCPRIM_400000_NS6detail17trampoline_kernelINS0_14default_configENS1_27scan_by_key_config_selectorIidEEZZNS1_16scan_by_key_implILNS1_25lookback_scan_determinismE0ELb0ES3_N6thrust23THRUST_200600_302600_NS6detail15normal_iteratorINS9_10device_ptrIiEEEENSB_INSC_IdEEEESG_dNS9_4plusIvEENS9_8equal_toIvEEdEE10hipError_tPvRmT2_T3_T4_T5_mT6_T7_P12ihipStream_tbENKUlT_T0_E_clISt17integral_constantIbLb0EES11_EEDaSW_SX_EUlSW_E_NS1_11comp_targetILNS1_3genE4ELNS1_11target_archE910ELNS1_3gpuE8ELNS1_3repE0EEENS1_30default_config_static_selectorELNS0_4arch9wavefront6targetE1EEEvT1_
		.amdhsa_group_segment_fixed_size 10752
		.amdhsa_private_segment_fixed_size 0
		.amdhsa_kernarg_size 136
		.amdhsa_user_sgpr_count 6
		.amdhsa_user_sgpr_private_segment_buffer 1
		.amdhsa_user_sgpr_dispatch_ptr 0
		.amdhsa_user_sgpr_queue_ptr 0
		.amdhsa_user_sgpr_kernarg_segment_ptr 1
		.amdhsa_user_sgpr_dispatch_id 0
		.amdhsa_user_sgpr_flat_scratch_init 0
		.amdhsa_user_sgpr_kernarg_preload_length 0
		.amdhsa_user_sgpr_kernarg_preload_offset 0
		.amdhsa_user_sgpr_private_segment_size 0
		.amdhsa_uses_dynamic_stack 0
		.amdhsa_system_sgpr_private_segment_wavefront_offset 0
		.amdhsa_system_sgpr_workgroup_id_x 1
		.amdhsa_system_sgpr_workgroup_id_y 0
		.amdhsa_system_sgpr_workgroup_id_z 0
		.amdhsa_system_sgpr_workgroup_info 0
		.amdhsa_system_vgpr_workitem_id 0
		.amdhsa_next_free_vgpr 136
		.amdhsa_next_free_sgpr 96
		.amdhsa_accum_offset 136
		.amdhsa_reserve_vcc 1
		.amdhsa_reserve_flat_scratch 0
		.amdhsa_float_round_mode_32 0
		.amdhsa_float_round_mode_16_64 0
		.amdhsa_float_denorm_mode_32 3
		.amdhsa_float_denorm_mode_16_64 3
		.amdhsa_dx10_clamp 1
		.amdhsa_ieee_mode 1
		.amdhsa_fp16_overflow 0
		.amdhsa_tg_split 0
		.amdhsa_exception_fp_ieee_invalid_op 0
		.amdhsa_exception_fp_denorm_src 0
		.amdhsa_exception_fp_ieee_div_zero 0
		.amdhsa_exception_fp_ieee_overflow 0
		.amdhsa_exception_fp_ieee_underflow 0
		.amdhsa_exception_fp_ieee_inexact 0
		.amdhsa_exception_int_div_zero 0
	.end_amdhsa_kernel
	.section	.text._ZN7rocprim17ROCPRIM_400000_NS6detail17trampoline_kernelINS0_14default_configENS1_27scan_by_key_config_selectorIidEEZZNS1_16scan_by_key_implILNS1_25lookback_scan_determinismE0ELb0ES3_N6thrust23THRUST_200600_302600_NS6detail15normal_iteratorINS9_10device_ptrIiEEEENSB_INSC_IdEEEESG_dNS9_4plusIvEENS9_8equal_toIvEEdEE10hipError_tPvRmT2_T3_T4_T5_mT6_T7_P12ihipStream_tbENKUlT_T0_E_clISt17integral_constantIbLb0EES11_EEDaSW_SX_EUlSW_E_NS1_11comp_targetILNS1_3genE4ELNS1_11target_archE910ELNS1_3gpuE8ELNS1_3repE0EEENS1_30default_config_static_selectorELNS0_4arch9wavefront6targetE1EEEvT1_,"axG",@progbits,_ZN7rocprim17ROCPRIM_400000_NS6detail17trampoline_kernelINS0_14default_configENS1_27scan_by_key_config_selectorIidEEZZNS1_16scan_by_key_implILNS1_25lookback_scan_determinismE0ELb0ES3_N6thrust23THRUST_200600_302600_NS6detail15normal_iteratorINS9_10device_ptrIiEEEENSB_INSC_IdEEEESG_dNS9_4plusIvEENS9_8equal_toIvEEdEE10hipError_tPvRmT2_T3_T4_T5_mT6_T7_P12ihipStream_tbENKUlT_T0_E_clISt17integral_constantIbLb0EES11_EEDaSW_SX_EUlSW_E_NS1_11comp_targetILNS1_3genE4ELNS1_11target_archE910ELNS1_3gpuE8ELNS1_3repE0EEENS1_30default_config_static_selectorELNS0_4arch9wavefront6targetE1EEEvT1_,comdat
.Lfunc_end1088:
	.size	_ZN7rocprim17ROCPRIM_400000_NS6detail17trampoline_kernelINS0_14default_configENS1_27scan_by_key_config_selectorIidEEZZNS1_16scan_by_key_implILNS1_25lookback_scan_determinismE0ELb0ES3_N6thrust23THRUST_200600_302600_NS6detail15normal_iteratorINS9_10device_ptrIiEEEENSB_INSC_IdEEEESG_dNS9_4plusIvEENS9_8equal_toIvEEdEE10hipError_tPvRmT2_T3_T4_T5_mT6_T7_P12ihipStream_tbENKUlT_T0_E_clISt17integral_constantIbLb0EES11_EEDaSW_SX_EUlSW_E_NS1_11comp_targetILNS1_3genE4ELNS1_11target_archE910ELNS1_3gpuE8ELNS1_3repE0EEENS1_30default_config_static_selectorELNS0_4arch9wavefront6targetE1EEEvT1_, .Lfunc_end1088-_ZN7rocprim17ROCPRIM_400000_NS6detail17trampoline_kernelINS0_14default_configENS1_27scan_by_key_config_selectorIidEEZZNS1_16scan_by_key_implILNS1_25lookback_scan_determinismE0ELb0ES3_N6thrust23THRUST_200600_302600_NS6detail15normal_iteratorINS9_10device_ptrIiEEEENSB_INSC_IdEEEESG_dNS9_4plusIvEENS9_8equal_toIvEEdEE10hipError_tPvRmT2_T3_T4_T5_mT6_T7_P12ihipStream_tbENKUlT_T0_E_clISt17integral_constantIbLb0EES11_EEDaSW_SX_EUlSW_E_NS1_11comp_targetILNS1_3genE4ELNS1_11target_archE910ELNS1_3gpuE8ELNS1_3repE0EEENS1_30default_config_static_selectorELNS0_4arch9wavefront6targetE1EEEvT1_
                                        ; -- End function
	.section	.AMDGPU.csdata,"",@progbits
; Kernel info:
; codeLenInByte = 16456
; NumSgprs: 100
; NumVgprs: 136
; NumAgprs: 0
; TotalNumVgprs: 136
; ScratchSize: 0
; MemoryBound: 0
; FloatMode: 240
; IeeeMode: 1
; LDSByteSize: 10752 bytes/workgroup (compile time only)
; SGPRBlocks: 12
; VGPRBlocks: 16
; NumSGPRsForWavesPerEU: 100
; NumVGPRsForWavesPerEU: 136
; AccumOffset: 136
; Occupancy: 2
; WaveLimiterHint : 1
; COMPUTE_PGM_RSRC2:SCRATCH_EN: 0
; COMPUTE_PGM_RSRC2:USER_SGPR: 6
; COMPUTE_PGM_RSRC2:TRAP_HANDLER: 0
; COMPUTE_PGM_RSRC2:TGID_X_EN: 1
; COMPUTE_PGM_RSRC2:TGID_Y_EN: 0
; COMPUTE_PGM_RSRC2:TGID_Z_EN: 0
; COMPUTE_PGM_RSRC2:TIDIG_COMP_CNT: 0
; COMPUTE_PGM_RSRC3_GFX90A:ACCUM_OFFSET: 33
; COMPUTE_PGM_RSRC3_GFX90A:TG_SPLIT: 0
	.section	.text._ZN7rocprim17ROCPRIM_400000_NS6detail17trampoline_kernelINS0_14default_configENS1_27scan_by_key_config_selectorIidEEZZNS1_16scan_by_key_implILNS1_25lookback_scan_determinismE0ELb0ES3_N6thrust23THRUST_200600_302600_NS6detail15normal_iteratorINS9_10device_ptrIiEEEENSB_INSC_IdEEEESG_dNS9_4plusIvEENS9_8equal_toIvEEdEE10hipError_tPvRmT2_T3_T4_T5_mT6_T7_P12ihipStream_tbENKUlT_T0_E_clISt17integral_constantIbLb0EES11_EEDaSW_SX_EUlSW_E_NS1_11comp_targetILNS1_3genE3ELNS1_11target_archE908ELNS1_3gpuE7ELNS1_3repE0EEENS1_30default_config_static_selectorELNS0_4arch9wavefront6targetE1EEEvT1_,"axG",@progbits,_ZN7rocprim17ROCPRIM_400000_NS6detail17trampoline_kernelINS0_14default_configENS1_27scan_by_key_config_selectorIidEEZZNS1_16scan_by_key_implILNS1_25lookback_scan_determinismE0ELb0ES3_N6thrust23THRUST_200600_302600_NS6detail15normal_iteratorINS9_10device_ptrIiEEEENSB_INSC_IdEEEESG_dNS9_4plusIvEENS9_8equal_toIvEEdEE10hipError_tPvRmT2_T3_T4_T5_mT6_T7_P12ihipStream_tbENKUlT_T0_E_clISt17integral_constantIbLb0EES11_EEDaSW_SX_EUlSW_E_NS1_11comp_targetILNS1_3genE3ELNS1_11target_archE908ELNS1_3gpuE7ELNS1_3repE0EEENS1_30default_config_static_selectorELNS0_4arch9wavefront6targetE1EEEvT1_,comdat
	.protected	_ZN7rocprim17ROCPRIM_400000_NS6detail17trampoline_kernelINS0_14default_configENS1_27scan_by_key_config_selectorIidEEZZNS1_16scan_by_key_implILNS1_25lookback_scan_determinismE0ELb0ES3_N6thrust23THRUST_200600_302600_NS6detail15normal_iteratorINS9_10device_ptrIiEEEENSB_INSC_IdEEEESG_dNS9_4plusIvEENS9_8equal_toIvEEdEE10hipError_tPvRmT2_T3_T4_T5_mT6_T7_P12ihipStream_tbENKUlT_T0_E_clISt17integral_constantIbLb0EES11_EEDaSW_SX_EUlSW_E_NS1_11comp_targetILNS1_3genE3ELNS1_11target_archE908ELNS1_3gpuE7ELNS1_3repE0EEENS1_30default_config_static_selectorELNS0_4arch9wavefront6targetE1EEEvT1_ ; -- Begin function _ZN7rocprim17ROCPRIM_400000_NS6detail17trampoline_kernelINS0_14default_configENS1_27scan_by_key_config_selectorIidEEZZNS1_16scan_by_key_implILNS1_25lookback_scan_determinismE0ELb0ES3_N6thrust23THRUST_200600_302600_NS6detail15normal_iteratorINS9_10device_ptrIiEEEENSB_INSC_IdEEEESG_dNS9_4plusIvEENS9_8equal_toIvEEdEE10hipError_tPvRmT2_T3_T4_T5_mT6_T7_P12ihipStream_tbENKUlT_T0_E_clISt17integral_constantIbLb0EES11_EEDaSW_SX_EUlSW_E_NS1_11comp_targetILNS1_3genE3ELNS1_11target_archE908ELNS1_3gpuE7ELNS1_3repE0EEENS1_30default_config_static_selectorELNS0_4arch9wavefront6targetE1EEEvT1_
	.globl	_ZN7rocprim17ROCPRIM_400000_NS6detail17trampoline_kernelINS0_14default_configENS1_27scan_by_key_config_selectorIidEEZZNS1_16scan_by_key_implILNS1_25lookback_scan_determinismE0ELb0ES3_N6thrust23THRUST_200600_302600_NS6detail15normal_iteratorINS9_10device_ptrIiEEEENSB_INSC_IdEEEESG_dNS9_4plusIvEENS9_8equal_toIvEEdEE10hipError_tPvRmT2_T3_T4_T5_mT6_T7_P12ihipStream_tbENKUlT_T0_E_clISt17integral_constantIbLb0EES11_EEDaSW_SX_EUlSW_E_NS1_11comp_targetILNS1_3genE3ELNS1_11target_archE908ELNS1_3gpuE7ELNS1_3repE0EEENS1_30default_config_static_selectorELNS0_4arch9wavefront6targetE1EEEvT1_
	.p2align	8
	.type	_ZN7rocprim17ROCPRIM_400000_NS6detail17trampoline_kernelINS0_14default_configENS1_27scan_by_key_config_selectorIidEEZZNS1_16scan_by_key_implILNS1_25lookback_scan_determinismE0ELb0ES3_N6thrust23THRUST_200600_302600_NS6detail15normal_iteratorINS9_10device_ptrIiEEEENSB_INSC_IdEEEESG_dNS9_4plusIvEENS9_8equal_toIvEEdEE10hipError_tPvRmT2_T3_T4_T5_mT6_T7_P12ihipStream_tbENKUlT_T0_E_clISt17integral_constantIbLb0EES11_EEDaSW_SX_EUlSW_E_NS1_11comp_targetILNS1_3genE3ELNS1_11target_archE908ELNS1_3gpuE7ELNS1_3repE0EEENS1_30default_config_static_selectorELNS0_4arch9wavefront6targetE1EEEvT1_,@function
_ZN7rocprim17ROCPRIM_400000_NS6detail17trampoline_kernelINS0_14default_configENS1_27scan_by_key_config_selectorIidEEZZNS1_16scan_by_key_implILNS1_25lookback_scan_determinismE0ELb0ES3_N6thrust23THRUST_200600_302600_NS6detail15normal_iteratorINS9_10device_ptrIiEEEENSB_INSC_IdEEEESG_dNS9_4plusIvEENS9_8equal_toIvEEdEE10hipError_tPvRmT2_T3_T4_T5_mT6_T7_P12ihipStream_tbENKUlT_T0_E_clISt17integral_constantIbLb0EES11_EEDaSW_SX_EUlSW_E_NS1_11comp_targetILNS1_3genE3ELNS1_11target_archE908ELNS1_3gpuE7ELNS1_3repE0EEENS1_30default_config_static_selectorELNS0_4arch9wavefront6targetE1EEEvT1_: ; @_ZN7rocprim17ROCPRIM_400000_NS6detail17trampoline_kernelINS0_14default_configENS1_27scan_by_key_config_selectorIidEEZZNS1_16scan_by_key_implILNS1_25lookback_scan_determinismE0ELb0ES3_N6thrust23THRUST_200600_302600_NS6detail15normal_iteratorINS9_10device_ptrIiEEEENSB_INSC_IdEEEESG_dNS9_4plusIvEENS9_8equal_toIvEEdEE10hipError_tPvRmT2_T3_T4_T5_mT6_T7_P12ihipStream_tbENKUlT_T0_E_clISt17integral_constantIbLb0EES11_EEDaSW_SX_EUlSW_E_NS1_11comp_targetILNS1_3genE3ELNS1_11target_archE908ELNS1_3gpuE7ELNS1_3repE0EEENS1_30default_config_static_selectorELNS0_4arch9wavefront6targetE1EEEvT1_
; %bb.0:
	.section	.rodata,"a",@progbits
	.p2align	6, 0x0
	.amdhsa_kernel _ZN7rocprim17ROCPRIM_400000_NS6detail17trampoline_kernelINS0_14default_configENS1_27scan_by_key_config_selectorIidEEZZNS1_16scan_by_key_implILNS1_25lookback_scan_determinismE0ELb0ES3_N6thrust23THRUST_200600_302600_NS6detail15normal_iteratorINS9_10device_ptrIiEEEENSB_INSC_IdEEEESG_dNS9_4plusIvEENS9_8equal_toIvEEdEE10hipError_tPvRmT2_T3_T4_T5_mT6_T7_P12ihipStream_tbENKUlT_T0_E_clISt17integral_constantIbLb0EES11_EEDaSW_SX_EUlSW_E_NS1_11comp_targetILNS1_3genE3ELNS1_11target_archE908ELNS1_3gpuE7ELNS1_3repE0EEENS1_30default_config_static_selectorELNS0_4arch9wavefront6targetE1EEEvT1_
		.amdhsa_group_segment_fixed_size 0
		.amdhsa_private_segment_fixed_size 0
		.amdhsa_kernarg_size 136
		.amdhsa_user_sgpr_count 6
		.amdhsa_user_sgpr_private_segment_buffer 1
		.amdhsa_user_sgpr_dispatch_ptr 0
		.amdhsa_user_sgpr_queue_ptr 0
		.amdhsa_user_sgpr_kernarg_segment_ptr 1
		.amdhsa_user_sgpr_dispatch_id 0
		.amdhsa_user_sgpr_flat_scratch_init 0
		.amdhsa_user_sgpr_kernarg_preload_length 0
		.amdhsa_user_sgpr_kernarg_preload_offset 0
		.amdhsa_user_sgpr_private_segment_size 0
		.amdhsa_uses_dynamic_stack 0
		.amdhsa_system_sgpr_private_segment_wavefront_offset 0
		.amdhsa_system_sgpr_workgroup_id_x 1
		.amdhsa_system_sgpr_workgroup_id_y 0
		.amdhsa_system_sgpr_workgroup_id_z 0
		.amdhsa_system_sgpr_workgroup_info 0
		.amdhsa_system_vgpr_workitem_id 0
		.amdhsa_next_free_vgpr 1
		.amdhsa_next_free_sgpr 0
		.amdhsa_accum_offset 4
		.amdhsa_reserve_vcc 0
		.amdhsa_reserve_flat_scratch 0
		.amdhsa_float_round_mode_32 0
		.amdhsa_float_round_mode_16_64 0
		.amdhsa_float_denorm_mode_32 3
		.amdhsa_float_denorm_mode_16_64 3
		.amdhsa_dx10_clamp 1
		.amdhsa_ieee_mode 1
		.amdhsa_fp16_overflow 0
		.amdhsa_tg_split 0
		.amdhsa_exception_fp_ieee_invalid_op 0
		.amdhsa_exception_fp_denorm_src 0
		.amdhsa_exception_fp_ieee_div_zero 0
		.amdhsa_exception_fp_ieee_overflow 0
		.amdhsa_exception_fp_ieee_underflow 0
		.amdhsa_exception_fp_ieee_inexact 0
		.amdhsa_exception_int_div_zero 0
	.end_amdhsa_kernel
	.section	.text._ZN7rocprim17ROCPRIM_400000_NS6detail17trampoline_kernelINS0_14default_configENS1_27scan_by_key_config_selectorIidEEZZNS1_16scan_by_key_implILNS1_25lookback_scan_determinismE0ELb0ES3_N6thrust23THRUST_200600_302600_NS6detail15normal_iteratorINS9_10device_ptrIiEEEENSB_INSC_IdEEEESG_dNS9_4plusIvEENS9_8equal_toIvEEdEE10hipError_tPvRmT2_T3_T4_T5_mT6_T7_P12ihipStream_tbENKUlT_T0_E_clISt17integral_constantIbLb0EES11_EEDaSW_SX_EUlSW_E_NS1_11comp_targetILNS1_3genE3ELNS1_11target_archE908ELNS1_3gpuE7ELNS1_3repE0EEENS1_30default_config_static_selectorELNS0_4arch9wavefront6targetE1EEEvT1_,"axG",@progbits,_ZN7rocprim17ROCPRIM_400000_NS6detail17trampoline_kernelINS0_14default_configENS1_27scan_by_key_config_selectorIidEEZZNS1_16scan_by_key_implILNS1_25lookback_scan_determinismE0ELb0ES3_N6thrust23THRUST_200600_302600_NS6detail15normal_iteratorINS9_10device_ptrIiEEEENSB_INSC_IdEEEESG_dNS9_4plusIvEENS9_8equal_toIvEEdEE10hipError_tPvRmT2_T3_T4_T5_mT6_T7_P12ihipStream_tbENKUlT_T0_E_clISt17integral_constantIbLb0EES11_EEDaSW_SX_EUlSW_E_NS1_11comp_targetILNS1_3genE3ELNS1_11target_archE908ELNS1_3gpuE7ELNS1_3repE0EEENS1_30default_config_static_selectorELNS0_4arch9wavefront6targetE1EEEvT1_,comdat
.Lfunc_end1089:
	.size	_ZN7rocprim17ROCPRIM_400000_NS6detail17trampoline_kernelINS0_14default_configENS1_27scan_by_key_config_selectorIidEEZZNS1_16scan_by_key_implILNS1_25lookback_scan_determinismE0ELb0ES3_N6thrust23THRUST_200600_302600_NS6detail15normal_iteratorINS9_10device_ptrIiEEEENSB_INSC_IdEEEESG_dNS9_4plusIvEENS9_8equal_toIvEEdEE10hipError_tPvRmT2_T3_T4_T5_mT6_T7_P12ihipStream_tbENKUlT_T0_E_clISt17integral_constantIbLb0EES11_EEDaSW_SX_EUlSW_E_NS1_11comp_targetILNS1_3genE3ELNS1_11target_archE908ELNS1_3gpuE7ELNS1_3repE0EEENS1_30default_config_static_selectorELNS0_4arch9wavefront6targetE1EEEvT1_, .Lfunc_end1089-_ZN7rocprim17ROCPRIM_400000_NS6detail17trampoline_kernelINS0_14default_configENS1_27scan_by_key_config_selectorIidEEZZNS1_16scan_by_key_implILNS1_25lookback_scan_determinismE0ELb0ES3_N6thrust23THRUST_200600_302600_NS6detail15normal_iteratorINS9_10device_ptrIiEEEENSB_INSC_IdEEEESG_dNS9_4plusIvEENS9_8equal_toIvEEdEE10hipError_tPvRmT2_T3_T4_T5_mT6_T7_P12ihipStream_tbENKUlT_T0_E_clISt17integral_constantIbLb0EES11_EEDaSW_SX_EUlSW_E_NS1_11comp_targetILNS1_3genE3ELNS1_11target_archE908ELNS1_3gpuE7ELNS1_3repE0EEENS1_30default_config_static_selectorELNS0_4arch9wavefront6targetE1EEEvT1_
                                        ; -- End function
	.section	.AMDGPU.csdata,"",@progbits
; Kernel info:
; codeLenInByte = 0
; NumSgprs: 4
; NumVgprs: 0
; NumAgprs: 0
; TotalNumVgprs: 0
; ScratchSize: 0
; MemoryBound: 0
; FloatMode: 240
; IeeeMode: 1
; LDSByteSize: 0 bytes/workgroup (compile time only)
; SGPRBlocks: 0
; VGPRBlocks: 0
; NumSGPRsForWavesPerEU: 4
; NumVGPRsForWavesPerEU: 1
; AccumOffset: 4
; Occupancy: 8
; WaveLimiterHint : 0
; COMPUTE_PGM_RSRC2:SCRATCH_EN: 0
; COMPUTE_PGM_RSRC2:USER_SGPR: 6
; COMPUTE_PGM_RSRC2:TRAP_HANDLER: 0
; COMPUTE_PGM_RSRC2:TGID_X_EN: 1
; COMPUTE_PGM_RSRC2:TGID_Y_EN: 0
; COMPUTE_PGM_RSRC2:TGID_Z_EN: 0
; COMPUTE_PGM_RSRC2:TIDIG_COMP_CNT: 0
; COMPUTE_PGM_RSRC3_GFX90A:ACCUM_OFFSET: 0
; COMPUTE_PGM_RSRC3_GFX90A:TG_SPLIT: 0
	.section	.text._ZN7rocprim17ROCPRIM_400000_NS6detail17trampoline_kernelINS0_14default_configENS1_27scan_by_key_config_selectorIidEEZZNS1_16scan_by_key_implILNS1_25lookback_scan_determinismE0ELb0ES3_N6thrust23THRUST_200600_302600_NS6detail15normal_iteratorINS9_10device_ptrIiEEEENSB_INSC_IdEEEESG_dNS9_4plusIvEENS9_8equal_toIvEEdEE10hipError_tPvRmT2_T3_T4_T5_mT6_T7_P12ihipStream_tbENKUlT_T0_E_clISt17integral_constantIbLb0EES11_EEDaSW_SX_EUlSW_E_NS1_11comp_targetILNS1_3genE2ELNS1_11target_archE906ELNS1_3gpuE6ELNS1_3repE0EEENS1_30default_config_static_selectorELNS0_4arch9wavefront6targetE1EEEvT1_,"axG",@progbits,_ZN7rocprim17ROCPRIM_400000_NS6detail17trampoline_kernelINS0_14default_configENS1_27scan_by_key_config_selectorIidEEZZNS1_16scan_by_key_implILNS1_25lookback_scan_determinismE0ELb0ES3_N6thrust23THRUST_200600_302600_NS6detail15normal_iteratorINS9_10device_ptrIiEEEENSB_INSC_IdEEEESG_dNS9_4plusIvEENS9_8equal_toIvEEdEE10hipError_tPvRmT2_T3_T4_T5_mT6_T7_P12ihipStream_tbENKUlT_T0_E_clISt17integral_constantIbLb0EES11_EEDaSW_SX_EUlSW_E_NS1_11comp_targetILNS1_3genE2ELNS1_11target_archE906ELNS1_3gpuE6ELNS1_3repE0EEENS1_30default_config_static_selectorELNS0_4arch9wavefront6targetE1EEEvT1_,comdat
	.protected	_ZN7rocprim17ROCPRIM_400000_NS6detail17trampoline_kernelINS0_14default_configENS1_27scan_by_key_config_selectorIidEEZZNS1_16scan_by_key_implILNS1_25lookback_scan_determinismE0ELb0ES3_N6thrust23THRUST_200600_302600_NS6detail15normal_iteratorINS9_10device_ptrIiEEEENSB_INSC_IdEEEESG_dNS9_4plusIvEENS9_8equal_toIvEEdEE10hipError_tPvRmT2_T3_T4_T5_mT6_T7_P12ihipStream_tbENKUlT_T0_E_clISt17integral_constantIbLb0EES11_EEDaSW_SX_EUlSW_E_NS1_11comp_targetILNS1_3genE2ELNS1_11target_archE906ELNS1_3gpuE6ELNS1_3repE0EEENS1_30default_config_static_selectorELNS0_4arch9wavefront6targetE1EEEvT1_ ; -- Begin function _ZN7rocprim17ROCPRIM_400000_NS6detail17trampoline_kernelINS0_14default_configENS1_27scan_by_key_config_selectorIidEEZZNS1_16scan_by_key_implILNS1_25lookback_scan_determinismE0ELb0ES3_N6thrust23THRUST_200600_302600_NS6detail15normal_iteratorINS9_10device_ptrIiEEEENSB_INSC_IdEEEESG_dNS9_4plusIvEENS9_8equal_toIvEEdEE10hipError_tPvRmT2_T3_T4_T5_mT6_T7_P12ihipStream_tbENKUlT_T0_E_clISt17integral_constantIbLb0EES11_EEDaSW_SX_EUlSW_E_NS1_11comp_targetILNS1_3genE2ELNS1_11target_archE906ELNS1_3gpuE6ELNS1_3repE0EEENS1_30default_config_static_selectorELNS0_4arch9wavefront6targetE1EEEvT1_
	.globl	_ZN7rocprim17ROCPRIM_400000_NS6detail17trampoline_kernelINS0_14default_configENS1_27scan_by_key_config_selectorIidEEZZNS1_16scan_by_key_implILNS1_25lookback_scan_determinismE0ELb0ES3_N6thrust23THRUST_200600_302600_NS6detail15normal_iteratorINS9_10device_ptrIiEEEENSB_INSC_IdEEEESG_dNS9_4plusIvEENS9_8equal_toIvEEdEE10hipError_tPvRmT2_T3_T4_T5_mT6_T7_P12ihipStream_tbENKUlT_T0_E_clISt17integral_constantIbLb0EES11_EEDaSW_SX_EUlSW_E_NS1_11comp_targetILNS1_3genE2ELNS1_11target_archE906ELNS1_3gpuE6ELNS1_3repE0EEENS1_30default_config_static_selectorELNS0_4arch9wavefront6targetE1EEEvT1_
	.p2align	8
	.type	_ZN7rocprim17ROCPRIM_400000_NS6detail17trampoline_kernelINS0_14default_configENS1_27scan_by_key_config_selectorIidEEZZNS1_16scan_by_key_implILNS1_25lookback_scan_determinismE0ELb0ES3_N6thrust23THRUST_200600_302600_NS6detail15normal_iteratorINS9_10device_ptrIiEEEENSB_INSC_IdEEEESG_dNS9_4plusIvEENS9_8equal_toIvEEdEE10hipError_tPvRmT2_T3_T4_T5_mT6_T7_P12ihipStream_tbENKUlT_T0_E_clISt17integral_constantIbLb0EES11_EEDaSW_SX_EUlSW_E_NS1_11comp_targetILNS1_3genE2ELNS1_11target_archE906ELNS1_3gpuE6ELNS1_3repE0EEENS1_30default_config_static_selectorELNS0_4arch9wavefront6targetE1EEEvT1_,@function
_ZN7rocprim17ROCPRIM_400000_NS6detail17trampoline_kernelINS0_14default_configENS1_27scan_by_key_config_selectorIidEEZZNS1_16scan_by_key_implILNS1_25lookback_scan_determinismE0ELb0ES3_N6thrust23THRUST_200600_302600_NS6detail15normal_iteratorINS9_10device_ptrIiEEEENSB_INSC_IdEEEESG_dNS9_4plusIvEENS9_8equal_toIvEEdEE10hipError_tPvRmT2_T3_T4_T5_mT6_T7_P12ihipStream_tbENKUlT_T0_E_clISt17integral_constantIbLb0EES11_EEDaSW_SX_EUlSW_E_NS1_11comp_targetILNS1_3genE2ELNS1_11target_archE906ELNS1_3gpuE6ELNS1_3repE0EEENS1_30default_config_static_selectorELNS0_4arch9wavefront6targetE1EEEvT1_: ; @_ZN7rocprim17ROCPRIM_400000_NS6detail17trampoline_kernelINS0_14default_configENS1_27scan_by_key_config_selectorIidEEZZNS1_16scan_by_key_implILNS1_25lookback_scan_determinismE0ELb0ES3_N6thrust23THRUST_200600_302600_NS6detail15normal_iteratorINS9_10device_ptrIiEEEENSB_INSC_IdEEEESG_dNS9_4plusIvEENS9_8equal_toIvEEdEE10hipError_tPvRmT2_T3_T4_T5_mT6_T7_P12ihipStream_tbENKUlT_T0_E_clISt17integral_constantIbLb0EES11_EEDaSW_SX_EUlSW_E_NS1_11comp_targetILNS1_3genE2ELNS1_11target_archE906ELNS1_3gpuE6ELNS1_3repE0EEENS1_30default_config_static_selectorELNS0_4arch9wavefront6targetE1EEEvT1_
; %bb.0:
	.section	.rodata,"a",@progbits
	.p2align	6, 0x0
	.amdhsa_kernel _ZN7rocprim17ROCPRIM_400000_NS6detail17trampoline_kernelINS0_14default_configENS1_27scan_by_key_config_selectorIidEEZZNS1_16scan_by_key_implILNS1_25lookback_scan_determinismE0ELb0ES3_N6thrust23THRUST_200600_302600_NS6detail15normal_iteratorINS9_10device_ptrIiEEEENSB_INSC_IdEEEESG_dNS9_4plusIvEENS9_8equal_toIvEEdEE10hipError_tPvRmT2_T3_T4_T5_mT6_T7_P12ihipStream_tbENKUlT_T0_E_clISt17integral_constantIbLb0EES11_EEDaSW_SX_EUlSW_E_NS1_11comp_targetILNS1_3genE2ELNS1_11target_archE906ELNS1_3gpuE6ELNS1_3repE0EEENS1_30default_config_static_selectorELNS0_4arch9wavefront6targetE1EEEvT1_
		.amdhsa_group_segment_fixed_size 0
		.amdhsa_private_segment_fixed_size 0
		.amdhsa_kernarg_size 136
		.amdhsa_user_sgpr_count 6
		.amdhsa_user_sgpr_private_segment_buffer 1
		.amdhsa_user_sgpr_dispatch_ptr 0
		.amdhsa_user_sgpr_queue_ptr 0
		.amdhsa_user_sgpr_kernarg_segment_ptr 1
		.amdhsa_user_sgpr_dispatch_id 0
		.amdhsa_user_sgpr_flat_scratch_init 0
		.amdhsa_user_sgpr_kernarg_preload_length 0
		.amdhsa_user_sgpr_kernarg_preload_offset 0
		.amdhsa_user_sgpr_private_segment_size 0
		.amdhsa_uses_dynamic_stack 0
		.amdhsa_system_sgpr_private_segment_wavefront_offset 0
		.amdhsa_system_sgpr_workgroup_id_x 1
		.amdhsa_system_sgpr_workgroup_id_y 0
		.amdhsa_system_sgpr_workgroup_id_z 0
		.amdhsa_system_sgpr_workgroup_info 0
		.amdhsa_system_vgpr_workitem_id 0
		.amdhsa_next_free_vgpr 1
		.amdhsa_next_free_sgpr 0
		.amdhsa_accum_offset 4
		.amdhsa_reserve_vcc 0
		.amdhsa_reserve_flat_scratch 0
		.amdhsa_float_round_mode_32 0
		.amdhsa_float_round_mode_16_64 0
		.amdhsa_float_denorm_mode_32 3
		.amdhsa_float_denorm_mode_16_64 3
		.amdhsa_dx10_clamp 1
		.amdhsa_ieee_mode 1
		.amdhsa_fp16_overflow 0
		.amdhsa_tg_split 0
		.amdhsa_exception_fp_ieee_invalid_op 0
		.amdhsa_exception_fp_denorm_src 0
		.amdhsa_exception_fp_ieee_div_zero 0
		.amdhsa_exception_fp_ieee_overflow 0
		.amdhsa_exception_fp_ieee_underflow 0
		.amdhsa_exception_fp_ieee_inexact 0
		.amdhsa_exception_int_div_zero 0
	.end_amdhsa_kernel
	.section	.text._ZN7rocprim17ROCPRIM_400000_NS6detail17trampoline_kernelINS0_14default_configENS1_27scan_by_key_config_selectorIidEEZZNS1_16scan_by_key_implILNS1_25lookback_scan_determinismE0ELb0ES3_N6thrust23THRUST_200600_302600_NS6detail15normal_iteratorINS9_10device_ptrIiEEEENSB_INSC_IdEEEESG_dNS9_4plusIvEENS9_8equal_toIvEEdEE10hipError_tPvRmT2_T3_T4_T5_mT6_T7_P12ihipStream_tbENKUlT_T0_E_clISt17integral_constantIbLb0EES11_EEDaSW_SX_EUlSW_E_NS1_11comp_targetILNS1_3genE2ELNS1_11target_archE906ELNS1_3gpuE6ELNS1_3repE0EEENS1_30default_config_static_selectorELNS0_4arch9wavefront6targetE1EEEvT1_,"axG",@progbits,_ZN7rocprim17ROCPRIM_400000_NS6detail17trampoline_kernelINS0_14default_configENS1_27scan_by_key_config_selectorIidEEZZNS1_16scan_by_key_implILNS1_25lookback_scan_determinismE0ELb0ES3_N6thrust23THRUST_200600_302600_NS6detail15normal_iteratorINS9_10device_ptrIiEEEENSB_INSC_IdEEEESG_dNS9_4plusIvEENS9_8equal_toIvEEdEE10hipError_tPvRmT2_T3_T4_T5_mT6_T7_P12ihipStream_tbENKUlT_T0_E_clISt17integral_constantIbLb0EES11_EEDaSW_SX_EUlSW_E_NS1_11comp_targetILNS1_3genE2ELNS1_11target_archE906ELNS1_3gpuE6ELNS1_3repE0EEENS1_30default_config_static_selectorELNS0_4arch9wavefront6targetE1EEEvT1_,comdat
.Lfunc_end1090:
	.size	_ZN7rocprim17ROCPRIM_400000_NS6detail17trampoline_kernelINS0_14default_configENS1_27scan_by_key_config_selectorIidEEZZNS1_16scan_by_key_implILNS1_25lookback_scan_determinismE0ELb0ES3_N6thrust23THRUST_200600_302600_NS6detail15normal_iteratorINS9_10device_ptrIiEEEENSB_INSC_IdEEEESG_dNS9_4plusIvEENS9_8equal_toIvEEdEE10hipError_tPvRmT2_T3_T4_T5_mT6_T7_P12ihipStream_tbENKUlT_T0_E_clISt17integral_constantIbLb0EES11_EEDaSW_SX_EUlSW_E_NS1_11comp_targetILNS1_3genE2ELNS1_11target_archE906ELNS1_3gpuE6ELNS1_3repE0EEENS1_30default_config_static_selectorELNS0_4arch9wavefront6targetE1EEEvT1_, .Lfunc_end1090-_ZN7rocprim17ROCPRIM_400000_NS6detail17trampoline_kernelINS0_14default_configENS1_27scan_by_key_config_selectorIidEEZZNS1_16scan_by_key_implILNS1_25lookback_scan_determinismE0ELb0ES3_N6thrust23THRUST_200600_302600_NS6detail15normal_iteratorINS9_10device_ptrIiEEEENSB_INSC_IdEEEESG_dNS9_4plusIvEENS9_8equal_toIvEEdEE10hipError_tPvRmT2_T3_T4_T5_mT6_T7_P12ihipStream_tbENKUlT_T0_E_clISt17integral_constantIbLb0EES11_EEDaSW_SX_EUlSW_E_NS1_11comp_targetILNS1_3genE2ELNS1_11target_archE906ELNS1_3gpuE6ELNS1_3repE0EEENS1_30default_config_static_selectorELNS0_4arch9wavefront6targetE1EEEvT1_
                                        ; -- End function
	.section	.AMDGPU.csdata,"",@progbits
; Kernel info:
; codeLenInByte = 0
; NumSgprs: 4
; NumVgprs: 0
; NumAgprs: 0
; TotalNumVgprs: 0
; ScratchSize: 0
; MemoryBound: 0
; FloatMode: 240
; IeeeMode: 1
; LDSByteSize: 0 bytes/workgroup (compile time only)
; SGPRBlocks: 0
; VGPRBlocks: 0
; NumSGPRsForWavesPerEU: 4
; NumVGPRsForWavesPerEU: 1
; AccumOffset: 4
; Occupancy: 8
; WaveLimiterHint : 0
; COMPUTE_PGM_RSRC2:SCRATCH_EN: 0
; COMPUTE_PGM_RSRC2:USER_SGPR: 6
; COMPUTE_PGM_RSRC2:TRAP_HANDLER: 0
; COMPUTE_PGM_RSRC2:TGID_X_EN: 1
; COMPUTE_PGM_RSRC2:TGID_Y_EN: 0
; COMPUTE_PGM_RSRC2:TGID_Z_EN: 0
; COMPUTE_PGM_RSRC2:TIDIG_COMP_CNT: 0
; COMPUTE_PGM_RSRC3_GFX90A:ACCUM_OFFSET: 0
; COMPUTE_PGM_RSRC3_GFX90A:TG_SPLIT: 0
	.section	.text._ZN7rocprim17ROCPRIM_400000_NS6detail17trampoline_kernelINS0_14default_configENS1_27scan_by_key_config_selectorIidEEZZNS1_16scan_by_key_implILNS1_25lookback_scan_determinismE0ELb0ES3_N6thrust23THRUST_200600_302600_NS6detail15normal_iteratorINS9_10device_ptrIiEEEENSB_INSC_IdEEEESG_dNS9_4plusIvEENS9_8equal_toIvEEdEE10hipError_tPvRmT2_T3_T4_T5_mT6_T7_P12ihipStream_tbENKUlT_T0_E_clISt17integral_constantIbLb0EES11_EEDaSW_SX_EUlSW_E_NS1_11comp_targetILNS1_3genE10ELNS1_11target_archE1200ELNS1_3gpuE4ELNS1_3repE0EEENS1_30default_config_static_selectorELNS0_4arch9wavefront6targetE1EEEvT1_,"axG",@progbits,_ZN7rocprim17ROCPRIM_400000_NS6detail17trampoline_kernelINS0_14default_configENS1_27scan_by_key_config_selectorIidEEZZNS1_16scan_by_key_implILNS1_25lookback_scan_determinismE0ELb0ES3_N6thrust23THRUST_200600_302600_NS6detail15normal_iteratorINS9_10device_ptrIiEEEENSB_INSC_IdEEEESG_dNS9_4plusIvEENS9_8equal_toIvEEdEE10hipError_tPvRmT2_T3_T4_T5_mT6_T7_P12ihipStream_tbENKUlT_T0_E_clISt17integral_constantIbLb0EES11_EEDaSW_SX_EUlSW_E_NS1_11comp_targetILNS1_3genE10ELNS1_11target_archE1200ELNS1_3gpuE4ELNS1_3repE0EEENS1_30default_config_static_selectorELNS0_4arch9wavefront6targetE1EEEvT1_,comdat
	.protected	_ZN7rocprim17ROCPRIM_400000_NS6detail17trampoline_kernelINS0_14default_configENS1_27scan_by_key_config_selectorIidEEZZNS1_16scan_by_key_implILNS1_25lookback_scan_determinismE0ELb0ES3_N6thrust23THRUST_200600_302600_NS6detail15normal_iteratorINS9_10device_ptrIiEEEENSB_INSC_IdEEEESG_dNS9_4plusIvEENS9_8equal_toIvEEdEE10hipError_tPvRmT2_T3_T4_T5_mT6_T7_P12ihipStream_tbENKUlT_T0_E_clISt17integral_constantIbLb0EES11_EEDaSW_SX_EUlSW_E_NS1_11comp_targetILNS1_3genE10ELNS1_11target_archE1200ELNS1_3gpuE4ELNS1_3repE0EEENS1_30default_config_static_selectorELNS0_4arch9wavefront6targetE1EEEvT1_ ; -- Begin function _ZN7rocprim17ROCPRIM_400000_NS6detail17trampoline_kernelINS0_14default_configENS1_27scan_by_key_config_selectorIidEEZZNS1_16scan_by_key_implILNS1_25lookback_scan_determinismE0ELb0ES3_N6thrust23THRUST_200600_302600_NS6detail15normal_iteratorINS9_10device_ptrIiEEEENSB_INSC_IdEEEESG_dNS9_4plusIvEENS9_8equal_toIvEEdEE10hipError_tPvRmT2_T3_T4_T5_mT6_T7_P12ihipStream_tbENKUlT_T0_E_clISt17integral_constantIbLb0EES11_EEDaSW_SX_EUlSW_E_NS1_11comp_targetILNS1_3genE10ELNS1_11target_archE1200ELNS1_3gpuE4ELNS1_3repE0EEENS1_30default_config_static_selectorELNS0_4arch9wavefront6targetE1EEEvT1_
	.globl	_ZN7rocprim17ROCPRIM_400000_NS6detail17trampoline_kernelINS0_14default_configENS1_27scan_by_key_config_selectorIidEEZZNS1_16scan_by_key_implILNS1_25lookback_scan_determinismE0ELb0ES3_N6thrust23THRUST_200600_302600_NS6detail15normal_iteratorINS9_10device_ptrIiEEEENSB_INSC_IdEEEESG_dNS9_4plusIvEENS9_8equal_toIvEEdEE10hipError_tPvRmT2_T3_T4_T5_mT6_T7_P12ihipStream_tbENKUlT_T0_E_clISt17integral_constantIbLb0EES11_EEDaSW_SX_EUlSW_E_NS1_11comp_targetILNS1_3genE10ELNS1_11target_archE1200ELNS1_3gpuE4ELNS1_3repE0EEENS1_30default_config_static_selectorELNS0_4arch9wavefront6targetE1EEEvT1_
	.p2align	8
	.type	_ZN7rocprim17ROCPRIM_400000_NS6detail17trampoline_kernelINS0_14default_configENS1_27scan_by_key_config_selectorIidEEZZNS1_16scan_by_key_implILNS1_25lookback_scan_determinismE0ELb0ES3_N6thrust23THRUST_200600_302600_NS6detail15normal_iteratorINS9_10device_ptrIiEEEENSB_INSC_IdEEEESG_dNS9_4plusIvEENS9_8equal_toIvEEdEE10hipError_tPvRmT2_T3_T4_T5_mT6_T7_P12ihipStream_tbENKUlT_T0_E_clISt17integral_constantIbLb0EES11_EEDaSW_SX_EUlSW_E_NS1_11comp_targetILNS1_3genE10ELNS1_11target_archE1200ELNS1_3gpuE4ELNS1_3repE0EEENS1_30default_config_static_selectorELNS0_4arch9wavefront6targetE1EEEvT1_,@function
_ZN7rocprim17ROCPRIM_400000_NS6detail17trampoline_kernelINS0_14default_configENS1_27scan_by_key_config_selectorIidEEZZNS1_16scan_by_key_implILNS1_25lookback_scan_determinismE0ELb0ES3_N6thrust23THRUST_200600_302600_NS6detail15normal_iteratorINS9_10device_ptrIiEEEENSB_INSC_IdEEEESG_dNS9_4plusIvEENS9_8equal_toIvEEdEE10hipError_tPvRmT2_T3_T4_T5_mT6_T7_P12ihipStream_tbENKUlT_T0_E_clISt17integral_constantIbLb0EES11_EEDaSW_SX_EUlSW_E_NS1_11comp_targetILNS1_3genE10ELNS1_11target_archE1200ELNS1_3gpuE4ELNS1_3repE0EEENS1_30default_config_static_selectorELNS0_4arch9wavefront6targetE1EEEvT1_: ; @_ZN7rocprim17ROCPRIM_400000_NS6detail17trampoline_kernelINS0_14default_configENS1_27scan_by_key_config_selectorIidEEZZNS1_16scan_by_key_implILNS1_25lookback_scan_determinismE0ELb0ES3_N6thrust23THRUST_200600_302600_NS6detail15normal_iteratorINS9_10device_ptrIiEEEENSB_INSC_IdEEEESG_dNS9_4plusIvEENS9_8equal_toIvEEdEE10hipError_tPvRmT2_T3_T4_T5_mT6_T7_P12ihipStream_tbENKUlT_T0_E_clISt17integral_constantIbLb0EES11_EEDaSW_SX_EUlSW_E_NS1_11comp_targetILNS1_3genE10ELNS1_11target_archE1200ELNS1_3gpuE4ELNS1_3repE0EEENS1_30default_config_static_selectorELNS0_4arch9wavefront6targetE1EEEvT1_
; %bb.0:
	.section	.rodata,"a",@progbits
	.p2align	6, 0x0
	.amdhsa_kernel _ZN7rocprim17ROCPRIM_400000_NS6detail17trampoline_kernelINS0_14default_configENS1_27scan_by_key_config_selectorIidEEZZNS1_16scan_by_key_implILNS1_25lookback_scan_determinismE0ELb0ES3_N6thrust23THRUST_200600_302600_NS6detail15normal_iteratorINS9_10device_ptrIiEEEENSB_INSC_IdEEEESG_dNS9_4plusIvEENS9_8equal_toIvEEdEE10hipError_tPvRmT2_T3_T4_T5_mT6_T7_P12ihipStream_tbENKUlT_T0_E_clISt17integral_constantIbLb0EES11_EEDaSW_SX_EUlSW_E_NS1_11comp_targetILNS1_3genE10ELNS1_11target_archE1200ELNS1_3gpuE4ELNS1_3repE0EEENS1_30default_config_static_selectorELNS0_4arch9wavefront6targetE1EEEvT1_
		.amdhsa_group_segment_fixed_size 0
		.amdhsa_private_segment_fixed_size 0
		.amdhsa_kernarg_size 136
		.amdhsa_user_sgpr_count 6
		.amdhsa_user_sgpr_private_segment_buffer 1
		.amdhsa_user_sgpr_dispatch_ptr 0
		.amdhsa_user_sgpr_queue_ptr 0
		.amdhsa_user_sgpr_kernarg_segment_ptr 1
		.amdhsa_user_sgpr_dispatch_id 0
		.amdhsa_user_sgpr_flat_scratch_init 0
		.amdhsa_user_sgpr_kernarg_preload_length 0
		.amdhsa_user_sgpr_kernarg_preload_offset 0
		.amdhsa_user_sgpr_private_segment_size 0
		.amdhsa_uses_dynamic_stack 0
		.amdhsa_system_sgpr_private_segment_wavefront_offset 0
		.amdhsa_system_sgpr_workgroup_id_x 1
		.amdhsa_system_sgpr_workgroup_id_y 0
		.amdhsa_system_sgpr_workgroup_id_z 0
		.amdhsa_system_sgpr_workgroup_info 0
		.amdhsa_system_vgpr_workitem_id 0
		.amdhsa_next_free_vgpr 1
		.amdhsa_next_free_sgpr 0
		.amdhsa_accum_offset 4
		.amdhsa_reserve_vcc 0
		.amdhsa_reserve_flat_scratch 0
		.amdhsa_float_round_mode_32 0
		.amdhsa_float_round_mode_16_64 0
		.amdhsa_float_denorm_mode_32 3
		.amdhsa_float_denorm_mode_16_64 3
		.amdhsa_dx10_clamp 1
		.amdhsa_ieee_mode 1
		.amdhsa_fp16_overflow 0
		.amdhsa_tg_split 0
		.amdhsa_exception_fp_ieee_invalid_op 0
		.amdhsa_exception_fp_denorm_src 0
		.amdhsa_exception_fp_ieee_div_zero 0
		.amdhsa_exception_fp_ieee_overflow 0
		.amdhsa_exception_fp_ieee_underflow 0
		.amdhsa_exception_fp_ieee_inexact 0
		.amdhsa_exception_int_div_zero 0
	.end_amdhsa_kernel
	.section	.text._ZN7rocprim17ROCPRIM_400000_NS6detail17trampoline_kernelINS0_14default_configENS1_27scan_by_key_config_selectorIidEEZZNS1_16scan_by_key_implILNS1_25lookback_scan_determinismE0ELb0ES3_N6thrust23THRUST_200600_302600_NS6detail15normal_iteratorINS9_10device_ptrIiEEEENSB_INSC_IdEEEESG_dNS9_4plusIvEENS9_8equal_toIvEEdEE10hipError_tPvRmT2_T3_T4_T5_mT6_T7_P12ihipStream_tbENKUlT_T0_E_clISt17integral_constantIbLb0EES11_EEDaSW_SX_EUlSW_E_NS1_11comp_targetILNS1_3genE10ELNS1_11target_archE1200ELNS1_3gpuE4ELNS1_3repE0EEENS1_30default_config_static_selectorELNS0_4arch9wavefront6targetE1EEEvT1_,"axG",@progbits,_ZN7rocprim17ROCPRIM_400000_NS6detail17trampoline_kernelINS0_14default_configENS1_27scan_by_key_config_selectorIidEEZZNS1_16scan_by_key_implILNS1_25lookback_scan_determinismE0ELb0ES3_N6thrust23THRUST_200600_302600_NS6detail15normal_iteratorINS9_10device_ptrIiEEEENSB_INSC_IdEEEESG_dNS9_4plusIvEENS9_8equal_toIvEEdEE10hipError_tPvRmT2_T3_T4_T5_mT6_T7_P12ihipStream_tbENKUlT_T0_E_clISt17integral_constantIbLb0EES11_EEDaSW_SX_EUlSW_E_NS1_11comp_targetILNS1_3genE10ELNS1_11target_archE1200ELNS1_3gpuE4ELNS1_3repE0EEENS1_30default_config_static_selectorELNS0_4arch9wavefront6targetE1EEEvT1_,comdat
.Lfunc_end1091:
	.size	_ZN7rocprim17ROCPRIM_400000_NS6detail17trampoline_kernelINS0_14default_configENS1_27scan_by_key_config_selectorIidEEZZNS1_16scan_by_key_implILNS1_25lookback_scan_determinismE0ELb0ES3_N6thrust23THRUST_200600_302600_NS6detail15normal_iteratorINS9_10device_ptrIiEEEENSB_INSC_IdEEEESG_dNS9_4plusIvEENS9_8equal_toIvEEdEE10hipError_tPvRmT2_T3_T4_T5_mT6_T7_P12ihipStream_tbENKUlT_T0_E_clISt17integral_constantIbLb0EES11_EEDaSW_SX_EUlSW_E_NS1_11comp_targetILNS1_3genE10ELNS1_11target_archE1200ELNS1_3gpuE4ELNS1_3repE0EEENS1_30default_config_static_selectorELNS0_4arch9wavefront6targetE1EEEvT1_, .Lfunc_end1091-_ZN7rocprim17ROCPRIM_400000_NS6detail17trampoline_kernelINS0_14default_configENS1_27scan_by_key_config_selectorIidEEZZNS1_16scan_by_key_implILNS1_25lookback_scan_determinismE0ELb0ES3_N6thrust23THRUST_200600_302600_NS6detail15normal_iteratorINS9_10device_ptrIiEEEENSB_INSC_IdEEEESG_dNS9_4plusIvEENS9_8equal_toIvEEdEE10hipError_tPvRmT2_T3_T4_T5_mT6_T7_P12ihipStream_tbENKUlT_T0_E_clISt17integral_constantIbLb0EES11_EEDaSW_SX_EUlSW_E_NS1_11comp_targetILNS1_3genE10ELNS1_11target_archE1200ELNS1_3gpuE4ELNS1_3repE0EEENS1_30default_config_static_selectorELNS0_4arch9wavefront6targetE1EEEvT1_
                                        ; -- End function
	.section	.AMDGPU.csdata,"",@progbits
; Kernel info:
; codeLenInByte = 0
; NumSgprs: 4
; NumVgprs: 0
; NumAgprs: 0
; TotalNumVgprs: 0
; ScratchSize: 0
; MemoryBound: 0
; FloatMode: 240
; IeeeMode: 1
; LDSByteSize: 0 bytes/workgroup (compile time only)
; SGPRBlocks: 0
; VGPRBlocks: 0
; NumSGPRsForWavesPerEU: 4
; NumVGPRsForWavesPerEU: 1
; AccumOffset: 4
; Occupancy: 8
; WaveLimiterHint : 0
; COMPUTE_PGM_RSRC2:SCRATCH_EN: 0
; COMPUTE_PGM_RSRC2:USER_SGPR: 6
; COMPUTE_PGM_RSRC2:TRAP_HANDLER: 0
; COMPUTE_PGM_RSRC2:TGID_X_EN: 1
; COMPUTE_PGM_RSRC2:TGID_Y_EN: 0
; COMPUTE_PGM_RSRC2:TGID_Z_EN: 0
; COMPUTE_PGM_RSRC2:TIDIG_COMP_CNT: 0
; COMPUTE_PGM_RSRC3_GFX90A:ACCUM_OFFSET: 0
; COMPUTE_PGM_RSRC3_GFX90A:TG_SPLIT: 0
	.section	.text._ZN7rocprim17ROCPRIM_400000_NS6detail17trampoline_kernelINS0_14default_configENS1_27scan_by_key_config_selectorIidEEZZNS1_16scan_by_key_implILNS1_25lookback_scan_determinismE0ELb0ES3_N6thrust23THRUST_200600_302600_NS6detail15normal_iteratorINS9_10device_ptrIiEEEENSB_INSC_IdEEEESG_dNS9_4plusIvEENS9_8equal_toIvEEdEE10hipError_tPvRmT2_T3_T4_T5_mT6_T7_P12ihipStream_tbENKUlT_T0_E_clISt17integral_constantIbLb0EES11_EEDaSW_SX_EUlSW_E_NS1_11comp_targetILNS1_3genE9ELNS1_11target_archE1100ELNS1_3gpuE3ELNS1_3repE0EEENS1_30default_config_static_selectorELNS0_4arch9wavefront6targetE1EEEvT1_,"axG",@progbits,_ZN7rocprim17ROCPRIM_400000_NS6detail17trampoline_kernelINS0_14default_configENS1_27scan_by_key_config_selectorIidEEZZNS1_16scan_by_key_implILNS1_25lookback_scan_determinismE0ELb0ES3_N6thrust23THRUST_200600_302600_NS6detail15normal_iteratorINS9_10device_ptrIiEEEENSB_INSC_IdEEEESG_dNS9_4plusIvEENS9_8equal_toIvEEdEE10hipError_tPvRmT2_T3_T4_T5_mT6_T7_P12ihipStream_tbENKUlT_T0_E_clISt17integral_constantIbLb0EES11_EEDaSW_SX_EUlSW_E_NS1_11comp_targetILNS1_3genE9ELNS1_11target_archE1100ELNS1_3gpuE3ELNS1_3repE0EEENS1_30default_config_static_selectorELNS0_4arch9wavefront6targetE1EEEvT1_,comdat
	.protected	_ZN7rocprim17ROCPRIM_400000_NS6detail17trampoline_kernelINS0_14default_configENS1_27scan_by_key_config_selectorIidEEZZNS1_16scan_by_key_implILNS1_25lookback_scan_determinismE0ELb0ES3_N6thrust23THRUST_200600_302600_NS6detail15normal_iteratorINS9_10device_ptrIiEEEENSB_INSC_IdEEEESG_dNS9_4plusIvEENS9_8equal_toIvEEdEE10hipError_tPvRmT2_T3_T4_T5_mT6_T7_P12ihipStream_tbENKUlT_T0_E_clISt17integral_constantIbLb0EES11_EEDaSW_SX_EUlSW_E_NS1_11comp_targetILNS1_3genE9ELNS1_11target_archE1100ELNS1_3gpuE3ELNS1_3repE0EEENS1_30default_config_static_selectorELNS0_4arch9wavefront6targetE1EEEvT1_ ; -- Begin function _ZN7rocprim17ROCPRIM_400000_NS6detail17trampoline_kernelINS0_14default_configENS1_27scan_by_key_config_selectorIidEEZZNS1_16scan_by_key_implILNS1_25lookback_scan_determinismE0ELb0ES3_N6thrust23THRUST_200600_302600_NS6detail15normal_iteratorINS9_10device_ptrIiEEEENSB_INSC_IdEEEESG_dNS9_4plusIvEENS9_8equal_toIvEEdEE10hipError_tPvRmT2_T3_T4_T5_mT6_T7_P12ihipStream_tbENKUlT_T0_E_clISt17integral_constantIbLb0EES11_EEDaSW_SX_EUlSW_E_NS1_11comp_targetILNS1_3genE9ELNS1_11target_archE1100ELNS1_3gpuE3ELNS1_3repE0EEENS1_30default_config_static_selectorELNS0_4arch9wavefront6targetE1EEEvT1_
	.globl	_ZN7rocprim17ROCPRIM_400000_NS6detail17trampoline_kernelINS0_14default_configENS1_27scan_by_key_config_selectorIidEEZZNS1_16scan_by_key_implILNS1_25lookback_scan_determinismE0ELb0ES3_N6thrust23THRUST_200600_302600_NS6detail15normal_iteratorINS9_10device_ptrIiEEEENSB_INSC_IdEEEESG_dNS9_4plusIvEENS9_8equal_toIvEEdEE10hipError_tPvRmT2_T3_T4_T5_mT6_T7_P12ihipStream_tbENKUlT_T0_E_clISt17integral_constantIbLb0EES11_EEDaSW_SX_EUlSW_E_NS1_11comp_targetILNS1_3genE9ELNS1_11target_archE1100ELNS1_3gpuE3ELNS1_3repE0EEENS1_30default_config_static_selectorELNS0_4arch9wavefront6targetE1EEEvT1_
	.p2align	8
	.type	_ZN7rocprim17ROCPRIM_400000_NS6detail17trampoline_kernelINS0_14default_configENS1_27scan_by_key_config_selectorIidEEZZNS1_16scan_by_key_implILNS1_25lookback_scan_determinismE0ELb0ES3_N6thrust23THRUST_200600_302600_NS6detail15normal_iteratorINS9_10device_ptrIiEEEENSB_INSC_IdEEEESG_dNS9_4plusIvEENS9_8equal_toIvEEdEE10hipError_tPvRmT2_T3_T4_T5_mT6_T7_P12ihipStream_tbENKUlT_T0_E_clISt17integral_constantIbLb0EES11_EEDaSW_SX_EUlSW_E_NS1_11comp_targetILNS1_3genE9ELNS1_11target_archE1100ELNS1_3gpuE3ELNS1_3repE0EEENS1_30default_config_static_selectorELNS0_4arch9wavefront6targetE1EEEvT1_,@function
_ZN7rocprim17ROCPRIM_400000_NS6detail17trampoline_kernelINS0_14default_configENS1_27scan_by_key_config_selectorIidEEZZNS1_16scan_by_key_implILNS1_25lookback_scan_determinismE0ELb0ES3_N6thrust23THRUST_200600_302600_NS6detail15normal_iteratorINS9_10device_ptrIiEEEENSB_INSC_IdEEEESG_dNS9_4plusIvEENS9_8equal_toIvEEdEE10hipError_tPvRmT2_T3_T4_T5_mT6_T7_P12ihipStream_tbENKUlT_T0_E_clISt17integral_constantIbLb0EES11_EEDaSW_SX_EUlSW_E_NS1_11comp_targetILNS1_3genE9ELNS1_11target_archE1100ELNS1_3gpuE3ELNS1_3repE0EEENS1_30default_config_static_selectorELNS0_4arch9wavefront6targetE1EEEvT1_: ; @_ZN7rocprim17ROCPRIM_400000_NS6detail17trampoline_kernelINS0_14default_configENS1_27scan_by_key_config_selectorIidEEZZNS1_16scan_by_key_implILNS1_25lookback_scan_determinismE0ELb0ES3_N6thrust23THRUST_200600_302600_NS6detail15normal_iteratorINS9_10device_ptrIiEEEENSB_INSC_IdEEEESG_dNS9_4plusIvEENS9_8equal_toIvEEdEE10hipError_tPvRmT2_T3_T4_T5_mT6_T7_P12ihipStream_tbENKUlT_T0_E_clISt17integral_constantIbLb0EES11_EEDaSW_SX_EUlSW_E_NS1_11comp_targetILNS1_3genE9ELNS1_11target_archE1100ELNS1_3gpuE3ELNS1_3repE0EEENS1_30default_config_static_selectorELNS0_4arch9wavefront6targetE1EEEvT1_
; %bb.0:
	.section	.rodata,"a",@progbits
	.p2align	6, 0x0
	.amdhsa_kernel _ZN7rocprim17ROCPRIM_400000_NS6detail17trampoline_kernelINS0_14default_configENS1_27scan_by_key_config_selectorIidEEZZNS1_16scan_by_key_implILNS1_25lookback_scan_determinismE0ELb0ES3_N6thrust23THRUST_200600_302600_NS6detail15normal_iteratorINS9_10device_ptrIiEEEENSB_INSC_IdEEEESG_dNS9_4plusIvEENS9_8equal_toIvEEdEE10hipError_tPvRmT2_T3_T4_T5_mT6_T7_P12ihipStream_tbENKUlT_T0_E_clISt17integral_constantIbLb0EES11_EEDaSW_SX_EUlSW_E_NS1_11comp_targetILNS1_3genE9ELNS1_11target_archE1100ELNS1_3gpuE3ELNS1_3repE0EEENS1_30default_config_static_selectorELNS0_4arch9wavefront6targetE1EEEvT1_
		.amdhsa_group_segment_fixed_size 0
		.amdhsa_private_segment_fixed_size 0
		.amdhsa_kernarg_size 136
		.amdhsa_user_sgpr_count 6
		.amdhsa_user_sgpr_private_segment_buffer 1
		.amdhsa_user_sgpr_dispatch_ptr 0
		.amdhsa_user_sgpr_queue_ptr 0
		.amdhsa_user_sgpr_kernarg_segment_ptr 1
		.amdhsa_user_sgpr_dispatch_id 0
		.amdhsa_user_sgpr_flat_scratch_init 0
		.amdhsa_user_sgpr_kernarg_preload_length 0
		.amdhsa_user_sgpr_kernarg_preload_offset 0
		.amdhsa_user_sgpr_private_segment_size 0
		.amdhsa_uses_dynamic_stack 0
		.amdhsa_system_sgpr_private_segment_wavefront_offset 0
		.amdhsa_system_sgpr_workgroup_id_x 1
		.amdhsa_system_sgpr_workgroup_id_y 0
		.amdhsa_system_sgpr_workgroup_id_z 0
		.amdhsa_system_sgpr_workgroup_info 0
		.amdhsa_system_vgpr_workitem_id 0
		.amdhsa_next_free_vgpr 1
		.amdhsa_next_free_sgpr 0
		.amdhsa_accum_offset 4
		.amdhsa_reserve_vcc 0
		.amdhsa_reserve_flat_scratch 0
		.amdhsa_float_round_mode_32 0
		.amdhsa_float_round_mode_16_64 0
		.amdhsa_float_denorm_mode_32 3
		.amdhsa_float_denorm_mode_16_64 3
		.amdhsa_dx10_clamp 1
		.amdhsa_ieee_mode 1
		.amdhsa_fp16_overflow 0
		.amdhsa_tg_split 0
		.amdhsa_exception_fp_ieee_invalid_op 0
		.amdhsa_exception_fp_denorm_src 0
		.amdhsa_exception_fp_ieee_div_zero 0
		.amdhsa_exception_fp_ieee_overflow 0
		.amdhsa_exception_fp_ieee_underflow 0
		.amdhsa_exception_fp_ieee_inexact 0
		.amdhsa_exception_int_div_zero 0
	.end_amdhsa_kernel
	.section	.text._ZN7rocprim17ROCPRIM_400000_NS6detail17trampoline_kernelINS0_14default_configENS1_27scan_by_key_config_selectorIidEEZZNS1_16scan_by_key_implILNS1_25lookback_scan_determinismE0ELb0ES3_N6thrust23THRUST_200600_302600_NS6detail15normal_iteratorINS9_10device_ptrIiEEEENSB_INSC_IdEEEESG_dNS9_4plusIvEENS9_8equal_toIvEEdEE10hipError_tPvRmT2_T3_T4_T5_mT6_T7_P12ihipStream_tbENKUlT_T0_E_clISt17integral_constantIbLb0EES11_EEDaSW_SX_EUlSW_E_NS1_11comp_targetILNS1_3genE9ELNS1_11target_archE1100ELNS1_3gpuE3ELNS1_3repE0EEENS1_30default_config_static_selectorELNS0_4arch9wavefront6targetE1EEEvT1_,"axG",@progbits,_ZN7rocprim17ROCPRIM_400000_NS6detail17trampoline_kernelINS0_14default_configENS1_27scan_by_key_config_selectorIidEEZZNS1_16scan_by_key_implILNS1_25lookback_scan_determinismE0ELb0ES3_N6thrust23THRUST_200600_302600_NS6detail15normal_iteratorINS9_10device_ptrIiEEEENSB_INSC_IdEEEESG_dNS9_4plusIvEENS9_8equal_toIvEEdEE10hipError_tPvRmT2_T3_T4_T5_mT6_T7_P12ihipStream_tbENKUlT_T0_E_clISt17integral_constantIbLb0EES11_EEDaSW_SX_EUlSW_E_NS1_11comp_targetILNS1_3genE9ELNS1_11target_archE1100ELNS1_3gpuE3ELNS1_3repE0EEENS1_30default_config_static_selectorELNS0_4arch9wavefront6targetE1EEEvT1_,comdat
.Lfunc_end1092:
	.size	_ZN7rocprim17ROCPRIM_400000_NS6detail17trampoline_kernelINS0_14default_configENS1_27scan_by_key_config_selectorIidEEZZNS1_16scan_by_key_implILNS1_25lookback_scan_determinismE0ELb0ES3_N6thrust23THRUST_200600_302600_NS6detail15normal_iteratorINS9_10device_ptrIiEEEENSB_INSC_IdEEEESG_dNS9_4plusIvEENS9_8equal_toIvEEdEE10hipError_tPvRmT2_T3_T4_T5_mT6_T7_P12ihipStream_tbENKUlT_T0_E_clISt17integral_constantIbLb0EES11_EEDaSW_SX_EUlSW_E_NS1_11comp_targetILNS1_3genE9ELNS1_11target_archE1100ELNS1_3gpuE3ELNS1_3repE0EEENS1_30default_config_static_selectorELNS0_4arch9wavefront6targetE1EEEvT1_, .Lfunc_end1092-_ZN7rocprim17ROCPRIM_400000_NS6detail17trampoline_kernelINS0_14default_configENS1_27scan_by_key_config_selectorIidEEZZNS1_16scan_by_key_implILNS1_25lookback_scan_determinismE0ELb0ES3_N6thrust23THRUST_200600_302600_NS6detail15normal_iteratorINS9_10device_ptrIiEEEENSB_INSC_IdEEEESG_dNS9_4plusIvEENS9_8equal_toIvEEdEE10hipError_tPvRmT2_T3_T4_T5_mT6_T7_P12ihipStream_tbENKUlT_T0_E_clISt17integral_constantIbLb0EES11_EEDaSW_SX_EUlSW_E_NS1_11comp_targetILNS1_3genE9ELNS1_11target_archE1100ELNS1_3gpuE3ELNS1_3repE0EEENS1_30default_config_static_selectorELNS0_4arch9wavefront6targetE1EEEvT1_
                                        ; -- End function
	.section	.AMDGPU.csdata,"",@progbits
; Kernel info:
; codeLenInByte = 0
; NumSgprs: 4
; NumVgprs: 0
; NumAgprs: 0
; TotalNumVgprs: 0
; ScratchSize: 0
; MemoryBound: 0
; FloatMode: 240
; IeeeMode: 1
; LDSByteSize: 0 bytes/workgroup (compile time only)
; SGPRBlocks: 0
; VGPRBlocks: 0
; NumSGPRsForWavesPerEU: 4
; NumVGPRsForWavesPerEU: 1
; AccumOffset: 4
; Occupancy: 8
; WaveLimiterHint : 0
; COMPUTE_PGM_RSRC2:SCRATCH_EN: 0
; COMPUTE_PGM_RSRC2:USER_SGPR: 6
; COMPUTE_PGM_RSRC2:TRAP_HANDLER: 0
; COMPUTE_PGM_RSRC2:TGID_X_EN: 1
; COMPUTE_PGM_RSRC2:TGID_Y_EN: 0
; COMPUTE_PGM_RSRC2:TGID_Z_EN: 0
; COMPUTE_PGM_RSRC2:TIDIG_COMP_CNT: 0
; COMPUTE_PGM_RSRC3_GFX90A:ACCUM_OFFSET: 0
; COMPUTE_PGM_RSRC3_GFX90A:TG_SPLIT: 0
	.section	.text._ZN7rocprim17ROCPRIM_400000_NS6detail17trampoline_kernelINS0_14default_configENS1_27scan_by_key_config_selectorIidEEZZNS1_16scan_by_key_implILNS1_25lookback_scan_determinismE0ELb0ES3_N6thrust23THRUST_200600_302600_NS6detail15normal_iteratorINS9_10device_ptrIiEEEENSB_INSC_IdEEEESG_dNS9_4plusIvEENS9_8equal_toIvEEdEE10hipError_tPvRmT2_T3_T4_T5_mT6_T7_P12ihipStream_tbENKUlT_T0_E_clISt17integral_constantIbLb0EES11_EEDaSW_SX_EUlSW_E_NS1_11comp_targetILNS1_3genE8ELNS1_11target_archE1030ELNS1_3gpuE2ELNS1_3repE0EEENS1_30default_config_static_selectorELNS0_4arch9wavefront6targetE1EEEvT1_,"axG",@progbits,_ZN7rocprim17ROCPRIM_400000_NS6detail17trampoline_kernelINS0_14default_configENS1_27scan_by_key_config_selectorIidEEZZNS1_16scan_by_key_implILNS1_25lookback_scan_determinismE0ELb0ES3_N6thrust23THRUST_200600_302600_NS6detail15normal_iteratorINS9_10device_ptrIiEEEENSB_INSC_IdEEEESG_dNS9_4plusIvEENS9_8equal_toIvEEdEE10hipError_tPvRmT2_T3_T4_T5_mT6_T7_P12ihipStream_tbENKUlT_T0_E_clISt17integral_constantIbLb0EES11_EEDaSW_SX_EUlSW_E_NS1_11comp_targetILNS1_3genE8ELNS1_11target_archE1030ELNS1_3gpuE2ELNS1_3repE0EEENS1_30default_config_static_selectorELNS0_4arch9wavefront6targetE1EEEvT1_,comdat
	.protected	_ZN7rocprim17ROCPRIM_400000_NS6detail17trampoline_kernelINS0_14default_configENS1_27scan_by_key_config_selectorIidEEZZNS1_16scan_by_key_implILNS1_25lookback_scan_determinismE0ELb0ES3_N6thrust23THRUST_200600_302600_NS6detail15normal_iteratorINS9_10device_ptrIiEEEENSB_INSC_IdEEEESG_dNS9_4plusIvEENS9_8equal_toIvEEdEE10hipError_tPvRmT2_T3_T4_T5_mT6_T7_P12ihipStream_tbENKUlT_T0_E_clISt17integral_constantIbLb0EES11_EEDaSW_SX_EUlSW_E_NS1_11comp_targetILNS1_3genE8ELNS1_11target_archE1030ELNS1_3gpuE2ELNS1_3repE0EEENS1_30default_config_static_selectorELNS0_4arch9wavefront6targetE1EEEvT1_ ; -- Begin function _ZN7rocprim17ROCPRIM_400000_NS6detail17trampoline_kernelINS0_14default_configENS1_27scan_by_key_config_selectorIidEEZZNS1_16scan_by_key_implILNS1_25lookback_scan_determinismE0ELb0ES3_N6thrust23THRUST_200600_302600_NS6detail15normal_iteratorINS9_10device_ptrIiEEEENSB_INSC_IdEEEESG_dNS9_4plusIvEENS9_8equal_toIvEEdEE10hipError_tPvRmT2_T3_T4_T5_mT6_T7_P12ihipStream_tbENKUlT_T0_E_clISt17integral_constantIbLb0EES11_EEDaSW_SX_EUlSW_E_NS1_11comp_targetILNS1_3genE8ELNS1_11target_archE1030ELNS1_3gpuE2ELNS1_3repE0EEENS1_30default_config_static_selectorELNS0_4arch9wavefront6targetE1EEEvT1_
	.globl	_ZN7rocprim17ROCPRIM_400000_NS6detail17trampoline_kernelINS0_14default_configENS1_27scan_by_key_config_selectorIidEEZZNS1_16scan_by_key_implILNS1_25lookback_scan_determinismE0ELb0ES3_N6thrust23THRUST_200600_302600_NS6detail15normal_iteratorINS9_10device_ptrIiEEEENSB_INSC_IdEEEESG_dNS9_4plusIvEENS9_8equal_toIvEEdEE10hipError_tPvRmT2_T3_T4_T5_mT6_T7_P12ihipStream_tbENKUlT_T0_E_clISt17integral_constantIbLb0EES11_EEDaSW_SX_EUlSW_E_NS1_11comp_targetILNS1_3genE8ELNS1_11target_archE1030ELNS1_3gpuE2ELNS1_3repE0EEENS1_30default_config_static_selectorELNS0_4arch9wavefront6targetE1EEEvT1_
	.p2align	8
	.type	_ZN7rocprim17ROCPRIM_400000_NS6detail17trampoline_kernelINS0_14default_configENS1_27scan_by_key_config_selectorIidEEZZNS1_16scan_by_key_implILNS1_25lookback_scan_determinismE0ELb0ES3_N6thrust23THRUST_200600_302600_NS6detail15normal_iteratorINS9_10device_ptrIiEEEENSB_INSC_IdEEEESG_dNS9_4plusIvEENS9_8equal_toIvEEdEE10hipError_tPvRmT2_T3_T4_T5_mT6_T7_P12ihipStream_tbENKUlT_T0_E_clISt17integral_constantIbLb0EES11_EEDaSW_SX_EUlSW_E_NS1_11comp_targetILNS1_3genE8ELNS1_11target_archE1030ELNS1_3gpuE2ELNS1_3repE0EEENS1_30default_config_static_selectorELNS0_4arch9wavefront6targetE1EEEvT1_,@function
_ZN7rocprim17ROCPRIM_400000_NS6detail17trampoline_kernelINS0_14default_configENS1_27scan_by_key_config_selectorIidEEZZNS1_16scan_by_key_implILNS1_25lookback_scan_determinismE0ELb0ES3_N6thrust23THRUST_200600_302600_NS6detail15normal_iteratorINS9_10device_ptrIiEEEENSB_INSC_IdEEEESG_dNS9_4plusIvEENS9_8equal_toIvEEdEE10hipError_tPvRmT2_T3_T4_T5_mT6_T7_P12ihipStream_tbENKUlT_T0_E_clISt17integral_constantIbLb0EES11_EEDaSW_SX_EUlSW_E_NS1_11comp_targetILNS1_3genE8ELNS1_11target_archE1030ELNS1_3gpuE2ELNS1_3repE0EEENS1_30default_config_static_selectorELNS0_4arch9wavefront6targetE1EEEvT1_: ; @_ZN7rocprim17ROCPRIM_400000_NS6detail17trampoline_kernelINS0_14default_configENS1_27scan_by_key_config_selectorIidEEZZNS1_16scan_by_key_implILNS1_25lookback_scan_determinismE0ELb0ES3_N6thrust23THRUST_200600_302600_NS6detail15normal_iteratorINS9_10device_ptrIiEEEENSB_INSC_IdEEEESG_dNS9_4plusIvEENS9_8equal_toIvEEdEE10hipError_tPvRmT2_T3_T4_T5_mT6_T7_P12ihipStream_tbENKUlT_T0_E_clISt17integral_constantIbLb0EES11_EEDaSW_SX_EUlSW_E_NS1_11comp_targetILNS1_3genE8ELNS1_11target_archE1030ELNS1_3gpuE2ELNS1_3repE0EEENS1_30default_config_static_selectorELNS0_4arch9wavefront6targetE1EEEvT1_
; %bb.0:
	.section	.rodata,"a",@progbits
	.p2align	6, 0x0
	.amdhsa_kernel _ZN7rocprim17ROCPRIM_400000_NS6detail17trampoline_kernelINS0_14default_configENS1_27scan_by_key_config_selectorIidEEZZNS1_16scan_by_key_implILNS1_25lookback_scan_determinismE0ELb0ES3_N6thrust23THRUST_200600_302600_NS6detail15normal_iteratorINS9_10device_ptrIiEEEENSB_INSC_IdEEEESG_dNS9_4plusIvEENS9_8equal_toIvEEdEE10hipError_tPvRmT2_T3_T4_T5_mT6_T7_P12ihipStream_tbENKUlT_T0_E_clISt17integral_constantIbLb0EES11_EEDaSW_SX_EUlSW_E_NS1_11comp_targetILNS1_3genE8ELNS1_11target_archE1030ELNS1_3gpuE2ELNS1_3repE0EEENS1_30default_config_static_selectorELNS0_4arch9wavefront6targetE1EEEvT1_
		.amdhsa_group_segment_fixed_size 0
		.amdhsa_private_segment_fixed_size 0
		.amdhsa_kernarg_size 136
		.amdhsa_user_sgpr_count 6
		.amdhsa_user_sgpr_private_segment_buffer 1
		.amdhsa_user_sgpr_dispatch_ptr 0
		.amdhsa_user_sgpr_queue_ptr 0
		.amdhsa_user_sgpr_kernarg_segment_ptr 1
		.amdhsa_user_sgpr_dispatch_id 0
		.amdhsa_user_sgpr_flat_scratch_init 0
		.amdhsa_user_sgpr_kernarg_preload_length 0
		.amdhsa_user_sgpr_kernarg_preload_offset 0
		.amdhsa_user_sgpr_private_segment_size 0
		.amdhsa_uses_dynamic_stack 0
		.amdhsa_system_sgpr_private_segment_wavefront_offset 0
		.amdhsa_system_sgpr_workgroup_id_x 1
		.amdhsa_system_sgpr_workgroup_id_y 0
		.amdhsa_system_sgpr_workgroup_id_z 0
		.amdhsa_system_sgpr_workgroup_info 0
		.amdhsa_system_vgpr_workitem_id 0
		.amdhsa_next_free_vgpr 1
		.amdhsa_next_free_sgpr 0
		.amdhsa_accum_offset 4
		.amdhsa_reserve_vcc 0
		.amdhsa_reserve_flat_scratch 0
		.amdhsa_float_round_mode_32 0
		.amdhsa_float_round_mode_16_64 0
		.amdhsa_float_denorm_mode_32 3
		.amdhsa_float_denorm_mode_16_64 3
		.amdhsa_dx10_clamp 1
		.amdhsa_ieee_mode 1
		.amdhsa_fp16_overflow 0
		.amdhsa_tg_split 0
		.amdhsa_exception_fp_ieee_invalid_op 0
		.amdhsa_exception_fp_denorm_src 0
		.amdhsa_exception_fp_ieee_div_zero 0
		.amdhsa_exception_fp_ieee_overflow 0
		.amdhsa_exception_fp_ieee_underflow 0
		.amdhsa_exception_fp_ieee_inexact 0
		.amdhsa_exception_int_div_zero 0
	.end_amdhsa_kernel
	.section	.text._ZN7rocprim17ROCPRIM_400000_NS6detail17trampoline_kernelINS0_14default_configENS1_27scan_by_key_config_selectorIidEEZZNS1_16scan_by_key_implILNS1_25lookback_scan_determinismE0ELb0ES3_N6thrust23THRUST_200600_302600_NS6detail15normal_iteratorINS9_10device_ptrIiEEEENSB_INSC_IdEEEESG_dNS9_4plusIvEENS9_8equal_toIvEEdEE10hipError_tPvRmT2_T3_T4_T5_mT6_T7_P12ihipStream_tbENKUlT_T0_E_clISt17integral_constantIbLb0EES11_EEDaSW_SX_EUlSW_E_NS1_11comp_targetILNS1_3genE8ELNS1_11target_archE1030ELNS1_3gpuE2ELNS1_3repE0EEENS1_30default_config_static_selectorELNS0_4arch9wavefront6targetE1EEEvT1_,"axG",@progbits,_ZN7rocprim17ROCPRIM_400000_NS6detail17trampoline_kernelINS0_14default_configENS1_27scan_by_key_config_selectorIidEEZZNS1_16scan_by_key_implILNS1_25lookback_scan_determinismE0ELb0ES3_N6thrust23THRUST_200600_302600_NS6detail15normal_iteratorINS9_10device_ptrIiEEEENSB_INSC_IdEEEESG_dNS9_4plusIvEENS9_8equal_toIvEEdEE10hipError_tPvRmT2_T3_T4_T5_mT6_T7_P12ihipStream_tbENKUlT_T0_E_clISt17integral_constantIbLb0EES11_EEDaSW_SX_EUlSW_E_NS1_11comp_targetILNS1_3genE8ELNS1_11target_archE1030ELNS1_3gpuE2ELNS1_3repE0EEENS1_30default_config_static_selectorELNS0_4arch9wavefront6targetE1EEEvT1_,comdat
.Lfunc_end1093:
	.size	_ZN7rocprim17ROCPRIM_400000_NS6detail17trampoline_kernelINS0_14default_configENS1_27scan_by_key_config_selectorIidEEZZNS1_16scan_by_key_implILNS1_25lookback_scan_determinismE0ELb0ES3_N6thrust23THRUST_200600_302600_NS6detail15normal_iteratorINS9_10device_ptrIiEEEENSB_INSC_IdEEEESG_dNS9_4plusIvEENS9_8equal_toIvEEdEE10hipError_tPvRmT2_T3_T4_T5_mT6_T7_P12ihipStream_tbENKUlT_T0_E_clISt17integral_constantIbLb0EES11_EEDaSW_SX_EUlSW_E_NS1_11comp_targetILNS1_3genE8ELNS1_11target_archE1030ELNS1_3gpuE2ELNS1_3repE0EEENS1_30default_config_static_selectorELNS0_4arch9wavefront6targetE1EEEvT1_, .Lfunc_end1093-_ZN7rocprim17ROCPRIM_400000_NS6detail17trampoline_kernelINS0_14default_configENS1_27scan_by_key_config_selectorIidEEZZNS1_16scan_by_key_implILNS1_25lookback_scan_determinismE0ELb0ES3_N6thrust23THRUST_200600_302600_NS6detail15normal_iteratorINS9_10device_ptrIiEEEENSB_INSC_IdEEEESG_dNS9_4plusIvEENS9_8equal_toIvEEdEE10hipError_tPvRmT2_T3_T4_T5_mT6_T7_P12ihipStream_tbENKUlT_T0_E_clISt17integral_constantIbLb0EES11_EEDaSW_SX_EUlSW_E_NS1_11comp_targetILNS1_3genE8ELNS1_11target_archE1030ELNS1_3gpuE2ELNS1_3repE0EEENS1_30default_config_static_selectorELNS0_4arch9wavefront6targetE1EEEvT1_
                                        ; -- End function
	.section	.AMDGPU.csdata,"",@progbits
; Kernel info:
; codeLenInByte = 0
; NumSgprs: 4
; NumVgprs: 0
; NumAgprs: 0
; TotalNumVgprs: 0
; ScratchSize: 0
; MemoryBound: 0
; FloatMode: 240
; IeeeMode: 1
; LDSByteSize: 0 bytes/workgroup (compile time only)
; SGPRBlocks: 0
; VGPRBlocks: 0
; NumSGPRsForWavesPerEU: 4
; NumVGPRsForWavesPerEU: 1
; AccumOffset: 4
; Occupancy: 8
; WaveLimiterHint : 0
; COMPUTE_PGM_RSRC2:SCRATCH_EN: 0
; COMPUTE_PGM_RSRC2:USER_SGPR: 6
; COMPUTE_PGM_RSRC2:TRAP_HANDLER: 0
; COMPUTE_PGM_RSRC2:TGID_X_EN: 1
; COMPUTE_PGM_RSRC2:TGID_Y_EN: 0
; COMPUTE_PGM_RSRC2:TGID_Z_EN: 0
; COMPUTE_PGM_RSRC2:TIDIG_COMP_CNT: 0
; COMPUTE_PGM_RSRC3_GFX90A:ACCUM_OFFSET: 0
; COMPUTE_PGM_RSRC3_GFX90A:TG_SPLIT: 0
	.section	.text._ZN7rocprim17ROCPRIM_400000_NS6detail30init_device_scan_by_key_kernelINS1_19lookback_scan_stateINS0_5tupleIJdbEEELb1ELb0EEEN6thrust23THRUST_200600_302600_NS6detail15normal_iteratorINS8_10device_ptrIiEEEEjNS1_16block_id_wrapperIjLb1EEEEEvT_jjPNSG_10value_typeET0_PNSt15iterator_traitsISJ_E10value_typeEmT1_T2_,"axG",@progbits,_ZN7rocprim17ROCPRIM_400000_NS6detail30init_device_scan_by_key_kernelINS1_19lookback_scan_stateINS0_5tupleIJdbEEELb1ELb0EEEN6thrust23THRUST_200600_302600_NS6detail15normal_iteratorINS8_10device_ptrIiEEEEjNS1_16block_id_wrapperIjLb1EEEEEvT_jjPNSG_10value_typeET0_PNSt15iterator_traitsISJ_E10value_typeEmT1_T2_,comdat
	.protected	_ZN7rocprim17ROCPRIM_400000_NS6detail30init_device_scan_by_key_kernelINS1_19lookback_scan_stateINS0_5tupleIJdbEEELb1ELb0EEEN6thrust23THRUST_200600_302600_NS6detail15normal_iteratorINS8_10device_ptrIiEEEEjNS1_16block_id_wrapperIjLb1EEEEEvT_jjPNSG_10value_typeET0_PNSt15iterator_traitsISJ_E10value_typeEmT1_T2_ ; -- Begin function _ZN7rocprim17ROCPRIM_400000_NS6detail30init_device_scan_by_key_kernelINS1_19lookback_scan_stateINS0_5tupleIJdbEEELb1ELb0EEEN6thrust23THRUST_200600_302600_NS6detail15normal_iteratorINS8_10device_ptrIiEEEEjNS1_16block_id_wrapperIjLb1EEEEEvT_jjPNSG_10value_typeET0_PNSt15iterator_traitsISJ_E10value_typeEmT1_T2_
	.globl	_ZN7rocprim17ROCPRIM_400000_NS6detail30init_device_scan_by_key_kernelINS1_19lookback_scan_stateINS0_5tupleIJdbEEELb1ELb0EEEN6thrust23THRUST_200600_302600_NS6detail15normal_iteratorINS8_10device_ptrIiEEEEjNS1_16block_id_wrapperIjLb1EEEEEvT_jjPNSG_10value_typeET0_PNSt15iterator_traitsISJ_E10value_typeEmT1_T2_
	.p2align	8
	.type	_ZN7rocprim17ROCPRIM_400000_NS6detail30init_device_scan_by_key_kernelINS1_19lookback_scan_stateINS0_5tupleIJdbEEELb1ELb0EEEN6thrust23THRUST_200600_302600_NS6detail15normal_iteratorINS8_10device_ptrIiEEEEjNS1_16block_id_wrapperIjLb1EEEEEvT_jjPNSG_10value_typeET0_PNSt15iterator_traitsISJ_E10value_typeEmT1_T2_,@function
_ZN7rocprim17ROCPRIM_400000_NS6detail30init_device_scan_by_key_kernelINS1_19lookback_scan_stateINS0_5tupleIJdbEEELb1ELb0EEEN6thrust23THRUST_200600_302600_NS6detail15normal_iteratorINS8_10device_ptrIiEEEEjNS1_16block_id_wrapperIjLb1EEEEEvT_jjPNSG_10value_typeET0_PNSt15iterator_traitsISJ_E10value_typeEmT1_T2_: ; @_ZN7rocprim17ROCPRIM_400000_NS6detail30init_device_scan_by_key_kernelINS1_19lookback_scan_stateINS0_5tupleIJdbEEELb1ELb0EEEN6thrust23THRUST_200600_302600_NS6detail15normal_iteratorINS8_10device_ptrIiEEEEjNS1_16block_id_wrapperIjLb1EEEEEvT_jjPNSG_10value_typeET0_PNSt15iterator_traitsISJ_E10value_typeEmT1_T2_
; %bb.0:
	s_load_dword s0, s[4:5], 0x5c
	s_load_dwordx8 s[8:15], s[4:5], 0x10
	s_load_dword s20, s[4:5], 0x50
	s_waitcnt lgkmcnt(0)
	s_and_b32 s21, s0, 0xffff
	s_mul_i32 s6, s6, s21
	s_cmp_eq_u64 s[12:13], 0
	v_add_u32_e32 v0, s6, v0
	s_cbranch_scc1 .LBB1094_11
; %bb.1:
	s_cmp_lt_u32 s11, s10
	s_cselect_b32 s0, s11, 0
	s_mov_b32 s17, 0
	v_cmp_eq_u32_e32 vcc, s0, v0
	s_and_saveexec_b64 s[6:7], vcc
	s_cbranch_execz .LBB1094_10
; %bb.2:
	s_add_i32 s16, s11, 64
	v_mov_b32_e32 v1, s16
	global_load_ubyte v1, v1, s[8:9] glc
	s_load_dwordx4 s[0:3], s[4:5], 0x0
	s_add_u32 s18, s8, s16
	s_addc_u32 s19, s9, 0
	s_waitcnt vmcnt(0)
	v_cmp_ne_u16_e32 vcc, 0, v1
	v_readfirstlane_b32 s11, v1
	s_cbranch_vccz .LBB1094_4
; %bb.3:
	s_and_b32 s11, 0xffff, s11
	s_branch .LBB1094_9
.LBB1094_4:
	s_mov_b32 s11, 1
	v_mov_b32_e32 v1, 0
.LBB1094_5:                             ; =>This Loop Header: Depth=1
                                        ;     Child Loop BB1094_6 Depth 2
	s_max_u32 s22, s11, 1
.LBB1094_6:                             ;   Parent Loop BB1094_5 Depth=1
                                        ; =>  This Inner Loop Header: Depth=2
	s_add_i32 s22, s22, -1
	s_cmp_eq_u32 s22, 0
	s_sleep 1
	s_cbranch_scc0 .LBB1094_6
; %bb.7:                                ;   in Loop: Header=BB1094_5 Depth=1
	global_load_ubyte v2, v1, s[18:19] glc
	s_cmp_lt_u32 s11, 32
	s_cselect_b64 s[22:23], -1, 0
	s_cmp_lg_u64 s[22:23], 0
	s_addc_u32 s11, s11, 0
	s_waitcnt vmcnt(0)
	v_cmp_ne_u16_e32 vcc, 0, v2
	v_readfirstlane_b32 s22, v2
	s_cbranch_vccz .LBB1094_5
; %bb.8:
	s_and_b32 s11, 0xffff, s22
.LBB1094_9:
	s_cmp_eq_u32 s11, 1
	s_waitcnt lgkmcnt(0)
	s_cselect_b32 s3, s1, s3
	s_cselect_b32 s2, s0, s2
	s_lshl_b64 s[0:1], s[16:17], 4
	s_add_u32 s0, s2, s0
	s_addc_u32 s1, s3, s1
	v_mov_b32_e32 v1, 0
	buffer_wbinvl1_vol
	global_load_dwordx2 v[2:3], v1, s[0:1]
	global_load_ubyte v4, v1, s[0:1] offset:8
	s_waitcnt vmcnt(1)
	global_store_dwordx2 v1, v[2:3], s[12:13]
	s_waitcnt vmcnt(1)
	global_store_byte v1, v4, s[12:13] offset:8
.LBB1094_10:
	s_or_b64 exec, exec, s[6:7]
.LBB1094_11:
	v_cmp_eq_u32_e32 vcc, 0, v0
	s_and_saveexec_b64 s[0:1], vcc
	s_cbranch_execz .LBB1094_13
; %bb.12:
	s_load_dwordx2 s[2:3], s[4:5], 0x48
	v_mov_b32_e32 v1, 0
	s_waitcnt lgkmcnt(0)
	global_store_dword v1, v1, s[2:3]
.LBB1094_13:
	s_or_b64 exec, exec, s[0:1]
	v_cmp_gt_u32_e32 vcc, s10, v0
	s_and_saveexec_b64 s[0:1], vcc
	s_cbranch_execz .LBB1094_15
; %bb.14:
	v_add_u32_e32 v1, 64, v0
	v_mov_b32_e32 v2, 0
	global_store_byte v1, v2, s[8:9]
.LBB1094_15:
	s_or_b64 exec, exec, s[0:1]
	v_cmp_gt_u32_e32 vcc, 64, v0
	v_mov_b32_e32 v1, 0
	s_and_saveexec_b64 s[0:1], vcc
	s_cbranch_execz .LBB1094_17
; %bb.16:
	v_mov_b32_e32 v3, s9
	v_add_co_u32_e32 v2, vcc, s8, v0
	v_addc_co_u32_e32 v3, vcc, 0, v3, vcc
	v_mov_b32_e32 v4, 0xff
	global_store_byte v[2:3], v4, off
.LBB1094_17:
	s_or_b64 exec, exec, s[0:1]
	s_load_dwordx2 s[0:1], s[4:5], 0x38
	s_waitcnt lgkmcnt(0)
	v_cmp_gt_u64_e32 vcc, s[0:1], v[0:1]
	s_and_saveexec_b64 s[2:3], vcc
	s_cbranch_execz .LBB1094_20
; %bb.18:
	s_load_dword s10, s[4:5], 0x40
	s_load_dwordx2 s[6:7], s[4:5], 0x30
	s_mov_b32 s5, 0
	s_mov_b32 s3, s5
	s_mul_i32 s2, s20, s21
	s_waitcnt lgkmcnt(0)
	s_add_i32 s4, s10, -1
	s_lshl_b64 s[4:5], s[4:5], 2
	v_mad_u64_u32 v[2:3], s[8:9], s10, v0, 0
	s_add_u32 s4, s14, s4
	v_lshlrev_b64 v[2:3], 2, v[2:3]
	s_addc_u32 s5, s15, s5
	v_mov_b32_e32 v4, s5
	v_add_co_u32_e32 v2, vcc, s4, v2
	v_addc_co_u32_e32 v3, vcc, v4, v3, vcc
	s_mul_hi_u32 s5, s10, s2
	s_mul_i32 s4, s10, s2
	v_lshlrev_b64 v[4:5], 2, v[0:1]
	s_lshl_b64 s[4:5], s[4:5], 2
	v_mov_b32_e32 v6, s7
	v_add_co_u32_e32 v4, vcc, s6, v4
	s_lshl_b64 s[6:7], s[2:3], 2
	v_addc_co_u32_e32 v5, vcc, v6, v5, vcc
	s_mov_b64 s[8:9], 0
	v_mov_b32_e32 v6, s3
	v_mov_b32_e32 v7, s5
	;; [unrolled: 1-line block ×3, first 2 shown]
.LBB1094_19:                            ; =>This Inner Loop Header: Depth=1
	global_load_dword v9, v[2:3], off
	v_add_co_u32_e32 v0, vcc, s2, v0
	v_addc_co_u32_e32 v1, vcc, v1, v6, vcc
	v_add_co_u32_e32 v2, vcc, s4, v2
	v_addc_co_u32_e32 v3, vcc, v3, v7, vcc
	v_cmp_le_u64_e32 vcc, s[0:1], v[0:1]
	s_or_b64 s[8:9], vcc, s[8:9]
	s_waitcnt vmcnt(0)
	global_store_dword v[4:5], v9, off
	v_add_co_u32_e32 v4, vcc, s6, v4
	v_addc_co_u32_e32 v5, vcc, v5, v8, vcc
	s_andn2_b64 exec, exec, s[8:9]
	s_cbranch_execnz .LBB1094_19
.LBB1094_20:
	s_endpgm
	.section	.rodata,"a",@progbits
	.p2align	6, 0x0
	.amdhsa_kernel _ZN7rocprim17ROCPRIM_400000_NS6detail30init_device_scan_by_key_kernelINS1_19lookback_scan_stateINS0_5tupleIJdbEEELb1ELb0EEEN6thrust23THRUST_200600_302600_NS6detail15normal_iteratorINS8_10device_ptrIiEEEEjNS1_16block_id_wrapperIjLb1EEEEEvT_jjPNSG_10value_typeET0_PNSt15iterator_traitsISJ_E10value_typeEmT1_T2_
		.amdhsa_group_segment_fixed_size 0
		.amdhsa_private_segment_fixed_size 0
		.amdhsa_kernarg_size 336
		.amdhsa_user_sgpr_count 6
		.amdhsa_user_sgpr_private_segment_buffer 1
		.amdhsa_user_sgpr_dispatch_ptr 0
		.amdhsa_user_sgpr_queue_ptr 0
		.amdhsa_user_sgpr_kernarg_segment_ptr 1
		.amdhsa_user_sgpr_dispatch_id 0
		.amdhsa_user_sgpr_flat_scratch_init 0
		.amdhsa_user_sgpr_kernarg_preload_length 0
		.amdhsa_user_sgpr_kernarg_preload_offset 0
		.amdhsa_user_sgpr_private_segment_size 0
		.amdhsa_uses_dynamic_stack 0
		.amdhsa_system_sgpr_private_segment_wavefront_offset 0
		.amdhsa_system_sgpr_workgroup_id_x 1
		.amdhsa_system_sgpr_workgroup_id_y 0
		.amdhsa_system_sgpr_workgroup_id_z 0
		.amdhsa_system_sgpr_workgroup_info 0
		.amdhsa_system_vgpr_workitem_id 0
		.amdhsa_next_free_vgpr 10
		.amdhsa_next_free_sgpr 24
		.amdhsa_accum_offset 12
		.amdhsa_reserve_vcc 1
		.amdhsa_reserve_flat_scratch 0
		.amdhsa_float_round_mode_32 0
		.amdhsa_float_round_mode_16_64 0
		.amdhsa_float_denorm_mode_32 3
		.amdhsa_float_denorm_mode_16_64 3
		.amdhsa_dx10_clamp 1
		.amdhsa_ieee_mode 1
		.amdhsa_fp16_overflow 0
		.amdhsa_tg_split 0
		.amdhsa_exception_fp_ieee_invalid_op 0
		.amdhsa_exception_fp_denorm_src 0
		.amdhsa_exception_fp_ieee_div_zero 0
		.amdhsa_exception_fp_ieee_overflow 0
		.amdhsa_exception_fp_ieee_underflow 0
		.amdhsa_exception_fp_ieee_inexact 0
		.amdhsa_exception_int_div_zero 0
	.end_amdhsa_kernel
	.section	.text._ZN7rocprim17ROCPRIM_400000_NS6detail30init_device_scan_by_key_kernelINS1_19lookback_scan_stateINS0_5tupleIJdbEEELb1ELb0EEEN6thrust23THRUST_200600_302600_NS6detail15normal_iteratorINS8_10device_ptrIiEEEEjNS1_16block_id_wrapperIjLb1EEEEEvT_jjPNSG_10value_typeET0_PNSt15iterator_traitsISJ_E10value_typeEmT1_T2_,"axG",@progbits,_ZN7rocprim17ROCPRIM_400000_NS6detail30init_device_scan_by_key_kernelINS1_19lookback_scan_stateINS0_5tupleIJdbEEELb1ELb0EEEN6thrust23THRUST_200600_302600_NS6detail15normal_iteratorINS8_10device_ptrIiEEEEjNS1_16block_id_wrapperIjLb1EEEEEvT_jjPNSG_10value_typeET0_PNSt15iterator_traitsISJ_E10value_typeEmT1_T2_,comdat
.Lfunc_end1094:
	.size	_ZN7rocprim17ROCPRIM_400000_NS6detail30init_device_scan_by_key_kernelINS1_19lookback_scan_stateINS0_5tupleIJdbEEELb1ELb0EEEN6thrust23THRUST_200600_302600_NS6detail15normal_iteratorINS8_10device_ptrIiEEEEjNS1_16block_id_wrapperIjLb1EEEEEvT_jjPNSG_10value_typeET0_PNSt15iterator_traitsISJ_E10value_typeEmT1_T2_, .Lfunc_end1094-_ZN7rocprim17ROCPRIM_400000_NS6detail30init_device_scan_by_key_kernelINS1_19lookback_scan_stateINS0_5tupleIJdbEEELb1ELb0EEEN6thrust23THRUST_200600_302600_NS6detail15normal_iteratorINS8_10device_ptrIiEEEEjNS1_16block_id_wrapperIjLb1EEEEEvT_jjPNSG_10value_typeET0_PNSt15iterator_traitsISJ_E10value_typeEmT1_T2_
                                        ; -- End function
	.section	.AMDGPU.csdata,"",@progbits
; Kernel info:
; codeLenInByte = 632
; NumSgprs: 28
; NumVgprs: 10
; NumAgprs: 0
; TotalNumVgprs: 10
; ScratchSize: 0
; MemoryBound: 0
; FloatMode: 240
; IeeeMode: 1
; LDSByteSize: 0 bytes/workgroup (compile time only)
; SGPRBlocks: 3
; VGPRBlocks: 1
; NumSGPRsForWavesPerEU: 28
; NumVGPRsForWavesPerEU: 10
; AccumOffset: 12
; Occupancy: 8
; WaveLimiterHint : 0
; COMPUTE_PGM_RSRC2:SCRATCH_EN: 0
; COMPUTE_PGM_RSRC2:USER_SGPR: 6
; COMPUTE_PGM_RSRC2:TRAP_HANDLER: 0
; COMPUTE_PGM_RSRC2:TGID_X_EN: 1
; COMPUTE_PGM_RSRC2:TGID_Y_EN: 0
; COMPUTE_PGM_RSRC2:TGID_Z_EN: 0
; COMPUTE_PGM_RSRC2:TIDIG_COMP_CNT: 0
; COMPUTE_PGM_RSRC3_GFX90A:ACCUM_OFFSET: 2
; COMPUTE_PGM_RSRC3_GFX90A:TG_SPLIT: 0
	.section	.text._ZN7rocprim17ROCPRIM_400000_NS6detail30init_device_scan_by_key_kernelINS1_19lookback_scan_stateINS0_5tupleIJdbEEELb1ELb0EEENS1_16block_id_wrapperIjLb1EEEEEvT_jjPNS9_10value_typeET0_,"axG",@progbits,_ZN7rocprim17ROCPRIM_400000_NS6detail30init_device_scan_by_key_kernelINS1_19lookback_scan_stateINS0_5tupleIJdbEEELb1ELb0EEENS1_16block_id_wrapperIjLb1EEEEEvT_jjPNS9_10value_typeET0_,comdat
	.protected	_ZN7rocprim17ROCPRIM_400000_NS6detail30init_device_scan_by_key_kernelINS1_19lookback_scan_stateINS0_5tupleIJdbEEELb1ELb0EEENS1_16block_id_wrapperIjLb1EEEEEvT_jjPNS9_10value_typeET0_ ; -- Begin function _ZN7rocprim17ROCPRIM_400000_NS6detail30init_device_scan_by_key_kernelINS1_19lookback_scan_stateINS0_5tupleIJdbEEELb1ELb0EEENS1_16block_id_wrapperIjLb1EEEEEvT_jjPNS9_10value_typeET0_
	.globl	_ZN7rocprim17ROCPRIM_400000_NS6detail30init_device_scan_by_key_kernelINS1_19lookback_scan_stateINS0_5tupleIJdbEEELb1ELb0EEENS1_16block_id_wrapperIjLb1EEEEEvT_jjPNS9_10value_typeET0_
	.p2align	8
	.type	_ZN7rocprim17ROCPRIM_400000_NS6detail30init_device_scan_by_key_kernelINS1_19lookback_scan_stateINS0_5tupleIJdbEEELb1ELb0EEENS1_16block_id_wrapperIjLb1EEEEEvT_jjPNS9_10value_typeET0_,@function
_ZN7rocprim17ROCPRIM_400000_NS6detail30init_device_scan_by_key_kernelINS1_19lookback_scan_stateINS0_5tupleIJdbEEELb1ELb0EEENS1_16block_id_wrapperIjLb1EEEEEvT_jjPNS9_10value_typeET0_: ; @_ZN7rocprim17ROCPRIM_400000_NS6detail30init_device_scan_by_key_kernelINS1_19lookback_scan_stateINS0_5tupleIJdbEEELb1ELb0EEENS1_16block_id_wrapperIjLb1EEEEEvT_jjPNS9_10value_typeET0_
; %bb.0:
	s_load_dword s0, s[4:5], 0x3c
	s_load_dwordx8 s[8:15], s[4:5], 0x10
	s_waitcnt lgkmcnt(0)
	s_and_b32 s0, s0, 0xffff
	s_mul_i32 s6, s6, s0
	s_cmp_eq_u64 s[12:13], 0
	v_add_u32_e32 v0, s6, v0
	s_cbranch_scc1 .LBB1095_11
; %bb.1:
	s_cmp_lt_u32 s11, s10
	s_cselect_b32 s0, s11, 0
	s_mov_b32 s17, 0
	v_cmp_eq_u32_e32 vcc, s0, v0
	s_and_saveexec_b64 s[6:7], vcc
	s_cbranch_execz .LBB1095_10
; %bb.2:
	s_add_i32 s16, s11, 64
	v_mov_b32_e32 v1, s16
	global_load_ubyte v1, v1, s[8:9] glc
	s_load_dwordx4 s[0:3], s[4:5], 0x0
	s_add_u32 s4, s8, s16
	s_addc_u32 s5, s9, 0
	s_waitcnt vmcnt(0)
	v_cmp_ne_u16_e32 vcc, 0, v1
	v_readfirstlane_b32 s11, v1
	s_cbranch_vccz .LBB1095_4
; %bb.3:
	s_and_b32 s4, 0xffff, s11
	s_branch .LBB1095_9
.LBB1095_4:
	s_mov_b32 s11, 1
	v_mov_b32_e32 v1, 0
.LBB1095_5:                             ; =>This Loop Header: Depth=1
                                        ;     Child Loop BB1095_6 Depth 2
	s_max_u32 s18, s11, 1
.LBB1095_6:                             ;   Parent Loop BB1095_5 Depth=1
                                        ; =>  This Inner Loop Header: Depth=2
	s_add_i32 s18, s18, -1
	s_cmp_eq_u32 s18, 0
	s_sleep 1
	s_cbranch_scc0 .LBB1095_6
; %bb.7:                                ;   in Loop: Header=BB1095_5 Depth=1
	global_load_ubyte v2, v1, s[4:5] glc
	s_cmp_lt_u32 s11, 32
	s_cselect_b64 s[18:19], -1, 0
	s_cmp_lg_u64 s[18:19], 0
	s_addc_u32 s11, s11, 0
	s_waitcnt vmcnt(0)
	v_cmp_ne_u16_e32 vcc, 0, v2
	v_readfirstlane_b32 s18, v2
	s_cbranch_vccz .LBB1095_5
; %bb.8:
	s_and_b32 s4, 0xffff, s18
.LBB1095_9:
	s_cmp_eq_u32 s4, 1
	s_waitcnt lgkmcnt(0)
	s_cselect_b32 s3, s1, s3
	s_cselect_b32 s2, s0, s2
	s_lshl_b64 s[0:1], s[16:17], 4
	s_add_u32 s0, s2, s0
	s_addc_u32 s1, s3, s1
	v_mov_b32_e32 v1, 0
	buffer_wbinvl1_vol
	global_load_dwordx2 v[2:3], v1, s[0:1]
	global_load_ubyte v4, v1, s[0:1] offset:8
	s_waitcnt vmcnt(1)
	global_store_dwordx2 v1, v[2:3], s[12:13]
	s_waitcnt vmcnt(1)
	global_store_byte v1, v4, s[12:13] offset:8
.LBB1095_10:
	s_or_b64 exec, exec, s[6:7]
.LBB1095_11:
	v_cmp_eq_u32_e32 vcc, 0, v0
	s_and_saveexec_b64 s[0:1], vcc
	s_cbranch_execnz .LBB1095_15
; %bb.12:
	s_or_b64 exec, exec, s[0:1]
	v_cmp_gt_u32_e32 vcc, s10, v0
	s_and_saveexec_b64 s[0:1], vcc
	s_cbranch_execnz .LBB1095_16
.LBB1095_13:
	s_or_b64 exec, exec, s[0:1]
	v_cmp_gt_u32_e32 vcc, 64, v0
	s_and_saveexec_b64 s[0:1], vcc
	s_cbranch_execnz .LBB1095_17
.LBB1095_14:
	s_endpgm
.LBB1095_15:
	v_mov_b32_e32 v1, 0
	global_store_dword v1, v1, s[14:15]
	s_or_b64 exec, exec, s[0:1]
	v_cmp_gt_u32_e32 vcc, s10, v0
	s_and_saveexec_b64 s[0:1], vcc
	s_cbranch_execz .LBB1095_13
.LBB1095_16:
	v_add_u32_e32 v1, 64, v0
	v_mov_b32_e32 v2, 0
	global_store_byte v1, v2, s[8:9]
	s_or_b64 exec, exec, s[0:1]
	v_cmp_gt_u32_e32 vcc, 64, v0
	s_and_saveexec_b64 s[0:1], vcc
	s_cbranch_execz .LBB1095_14
.LBB1095_17:
	v_mov_b32_e32 v1, 0xff
	global_store_byte v0, v1, s[8:9]
	s_endpgm
	.section	.rodata,"a",@progbits
	.p2align	6, 0x0
	.amdhsa_kernel _ZN7rocprim17ROCPRIM_400000_NS6detail30init_device_scan_by_key_kernelINS1_19lookback_scan_stateINS0_5tupleIJdbEEELb1ELb0EEENS1_16block_id_wrapperIjLb1EEEEEvT_jjPNS9_10value_typeET0_
		.amdhsa_group_segment_fixed_size 0
		.amdhsa_private_segment_fixed_size 0
		.amdhsa_kernarg_size 304
		.amdhsa_user_sgpr_count 6
		.amdhsa_user_sgpr_private_segment_buffer 1
		.amdhsa_user_sgpr_dispatch_ptr 0
		.amdhsa_user_sgpr_queue_ptr 0
		.amdhsa_user_sgpr_kernarg_segment_ptr 1
		.amdhsa_user_sgpr_dispatch_id 0
		.amdhsa_user_sgpr_flat_scratch_init 0
		.amdhsa_user_sgpr_kernarg_preload_length 0
		.amdhsa_user_sgpr_kernarg_preload_offset 0
		.amdhsa_user_sgpr_private_segment_size 0
		.amdhsa_uses_dynamic_stack 0
		.amdhsa_system_sgpr_private_segment_wavefront_offset 0
		.amdhsa_system_sgpr_workgroup_id_x 1
		.amdhsa_system_sgpr_workgroup_id_y 0
		.amdhsa_system_sgpr_workgroup_id_z 0
		.amdhsa_system_sgpr_workgroup_info 0
		.amdhsa_system_vgpr_workitem_id 0
		.amdhsa_next_free_vgpr 5
		.amdhsa_next_free_sgpr 20
		.amdhsa_accum_offset 8
		.amdhsa_reserve_vcc 1
		.amdhsa_reserve_flat_scratch 0
		.amdhsa_float_round_mode_32 0
		.amdhsa_float_round_mode_16_64 0
		.amdhsa_float_denorm_mode_32 3
		.amdhsa_float_denorm_mode_16_64 3
		.amdhsa_dx10_clamp 1
		.amdhsa_ieee_mode 1
		.amdhsa_fp16_overflow 0
		.amdhsa_tg_split 0
		.amdhsa_exception_fp_ieee_invalid_op 0
		.amdhsa_exception_fp_denorm_src 0
		.amdhsa_exception_fp_ieee_div_zero 0
		.amdhsa_exception_fp_ieee_overflow 0
		.amdhsa_exception_fp_ieee_underflow 0
		.amdhsa_exception_fp_ieee_inexact 0
		.amdhsa_exception_int_div_zero 0
	.end_amdhsa_kernel
	.section	.text._ZN7rocprim17ROCPRIM_400000_NS6detail30init_device_scan_by_key_kernelINS1_19lookback_scan_stateINS0_5tupleIJdbEEELb1ELb0EEENS1_16block_id_wrapperIjLb1EEEEEvT_jjPNS9_10value_typeET0_,"axG",@progbits,_ZN7rocprim17ROCPRIM_400000_NS6detail30init_device_scan_by_key_kernelINS1_19lookback_scan_stateINS0_5tupleIJdbEEELb1ELb0EEENS1_16block_id_wrapperIjLb1EEEEEvT_jjPNS9_10value_typeET0_,comdat
.Lfunc_end1095:
	.size	_ZN7rocprim17ROCPRIM_400000_NS6detail30init_device_scan_by_key_kernelINS1_19lookback_scan_stateINS0_5tupleIJdbEEELb1ELb0EEENS1_16block_id_wrapperIjLb1EEEEEvT_jjPNS9_10value_typeET0_, .Lfunc_end1095-_ZN7rocprim17ROCPRIM_400000_NS6detail30init_device_scan_by_key_kernelINS1_19lookback_scan_stateINS0_5tupleIJdbEEELb1ELb0EEENS1_16block_id_wrapperIjLb1EEEEEvT_jjPNS9_10value_typeET0_
                                        ; -- End function
	.section	.AMDGPU.csdata,"",@progbits
; Kernel info:
; codeLenInByte = 416
; NumSgprs: 24
; NumVgprs: 5
; NumAgprs: 0
; TotalNumVgprs: 5
; ScratchSize: 0
; MemoryBound: 0
; FloatMode: 240
; IeeeMode: 1
; LDSByteSize: 0 bytes/workgroup (compile time only)
; SGPRBlocks: 2
; VGPRBlocks: 0
; NumSGPRsForWavesPerEU: 24
; NumVGPRsForWavesPerEU: 5
; AccumOffset: 8
; Occupancy: 8
; WaveLimiterHint : 0
; COMPUTE_PGM_RSRC2:SCRATCH_EN: 0
; COMPUTE_PGM_RSRC2:USER_SGPR: 6
; COMPUTE_PGM_RSRC2:TRAP_HANDLER: 0
; COMPUTE_PGM_RSRC2:TGID_X_EN: 1
; COMPUTE_PGM_RSRC2:TGID_Y_EN: 0
; COMPUTE_PGM_RSRC2:TGID_Z_EN: 0
; COMPUTE_PGM_RSRC2:TIDIG_COMP_CNT: 0
; COMPUTE_PGM_RSRC3_GFX90A:ACCUM_OFFSET: 1
; COMPUTE_PGM_RSRC3_GFX90A:TG_SPLIT: 0
	.section	.text._ZN7rocprim17ROCPRIM_400000_NS6detail17trampoline_kernelINS0_14default_configENS1_27scan_by_key_config_selectorIidEEZZNS1_16scan_by_key_implILNS1_25lookback_scan_determinismE0ELb0ES3_N6thrust23THRUST_200600_302600_NS6detail15normal_iteratorINS9_10device_ptrIiEEEENSB_INSC_IdEEEESG_dNS9_4plusIvEENS9_8equal_toIvEEdEE10hipError_tPvRmT2_T3_T4_T5_mT6_T7_P12ihipStream_tbENKUlT_T0_E_clISt17integral_constantIbLb1EES11_EEDaSW_SX_EUlSW_E_NS1_11comp_targetILNS1_3genE0ELNS1_11target_archE4294967295ELNS1_3gpuE0ELNS1_3repE0EEENS1_30default_config_static_selectorELNS0_4arch9wavefront6targetE1EEEvT1_,"axG",@progbits,_ZN7rocprim17ROCPRIM_400000_NS6detail17trampoline_kernelINS0_14default_configENS1_27scan_by_key_config_selectorIidEEZZNS1_16scan_by_key_implILNS1_25lookback_scan_determinismE0ELb0ES3_N6thrust23THRUST_200600_302600_NS6detail15normal_iteratorINS9_10device_ptrIiEEEENSB_INSC_IdEEEESG_dNS9_4plusIvEENS9_8equal_toIvEEdEE10hipError_tPvRmT2_T3_T4_T5_mT6_T7_P12ihipStream_tbENKUlT_T0_E_clISt17integral_constantIbLb1EES11_EEDaSW_SX_EUlSW_E_NS1_11comp_targetILNS1_3genE0ELNS1_11target_archE4294967295ELNS1_3gpuE0ELNS1_3repE0EEENS1_30default_config_static_selectorELNS0_4arch9wavefront6targetE1EEEvT1_,comdat
	.protected	_ZN7rocprim17ROCPRIM_400000_NS6detail17trampoline_kernelINS0_14default_configENS1_27scan_by_key_config_selectorIidEEZZNS1_16scan_by_key_implILNS1_25lookback_scan_determinismE0ELb0ES3_N6thrust23THRUST_200600_302600_NS6detail15normal_iteratorINS9_10device_ptrIiEEEENSB_INSC_IdEEEESG_dNS9_4plusIvEENS9_8equal_toIvEEdEE10hipError_tPvRmT2_T3_T4_T5_mT6_T7_P12ihipStream_tbENKUlT_T0_E_clISt17integral_constantIbLb1EES11_EEDaSW_SX_EUlSW_E_NS1_11comp_targetILNS1_3genE0ELNS1_11target_archE4294967295ELNS1_3gpuE0ELNS1_3repE0EEENS1_30default_config_static_selectorELNS0_4arch9wavefront6targetE1EEEvT1_ ; -- Begin function _ZN7rocprim17ROCPRIM_400000_NS6detail17trampoline_kernelINS0_14default_configENS1_27scan_by_key_config_selectorIidEEZZNS1_16scan_by_key_implILNS1_25lookback_scan_determinismE0ELb0ES3_N6thrust23THRUST_200600_302600_NS6detail15normal_iteratorINS9_10device_ptrIiEEEENSB_INSC_IdEEEESG_dNS9_4plusIvEENS9_8equal_toIvEEdEE10hipError_tPvRmT2_T3_T4_T5_mT6_T7_P12ihipStream_tbENKUlT_T0_E_clISt17integral_constantIbLb1EES11_EEDaSW_SX_EUlSW_E_NS1_11comp_targetILNS1_3genE0ELNS1_11target_archE4294967295ELNS1_3gpuE0ELNS1_3repE0EEENS1_30default_config_static_selectorELNS0_4arch9wavefront6targetE1EEEvT1_
	.globl	_ZN7rocprim17ROCPRIM_400000_NS6detail17trampoline_kernelINS0_14default_configENS1_27scan_by_key_config_selectorIidEEZZNS1_16scan_by_key_implILNS1_25lookback_scan_determinismE0ELb0ES3_N6thrust23THRUST_200600_302600_NS6detail15normal_iteratorINS9_10device_ptrIiEEEENSB_INSC_IdEEEESG_dNS9_4plusIvEENS9_8equal_toIvEEdEE10hipError_tPvRmT2_T3_T4_T5_mT6_T7_P12ihipStream_tbENKUlT_T0_E_clISt17integral_constantIbLb1EES11_EEDaSW_SX_EUlSW_E_NS1_11comp_targetILNS1_3genE0ELNS1_11target_archE4294967295ELNS1_3gpuE0ELNS1_3repE0EEENS1_30default_config_static_selectorELNS0_4arch9wavefront6targetE1EEEvT1_
	.p2align	8
	.type	_ZN7rocprim17ROCPRIM_400000_NS6detail17trampoline_kernelINS0_14default_configENS1_27scan_by_key_config_selectorIidEEZZNS1_16scan_by_key_implILNS1_25lookback_scan_determinismE0ELb0ES3_N6thrust23THRUST_200600_302600_NS6detail15normal_iteratorINS9_10device_ptrIiEEEENSB_INSC_IdEEEESG_dNS9_4plusIvEENS9_8equal_toIvEEdEE10hipError_tPvRmT2_T3_T4_T5_mT6_T7_P12ihipStream_tbENKUlT_T0_E_clISt17integral_constantIbLb1EES11_EEDaSW_SX_EUlSW_E_NS1_11comp_targetILNS1_3genE0ELNS1_11target_archE4294967295ELNS1_3gpuE0ELNS1_3repE0EEENS1_30default_config_static_selectorELNS0_4arch9wavefront6targetE1EEEvT1_,@function
_ZN7rocprim17ROCPRIM_400000_NS6detail17trampoline_kernelINS0_14default_configENS1_27scan_by_key_config_selectorIidEEZZNS1_16scan_by_key_implILNS1_25lookback_scan_determinismE0ELb0ES3_N6thrust23THRUST_200600_302600_NS6detail15normal_iteratorINS9_10device_ptrIiEEEENSB_INSC_IdEEEESG_dNS9_4plusIvEENS9_8equal_toIvEEdEE10hipError_tPvRmT2_T3_T4_T5_mT6_T7_P12ihipStream_tbENKUlT_T0_E_clISt17integral_constantIbLb1EES11_EEDaSW_SX_EUlSW_E_NS1_11comp_targetILNS1_3genE0ELNS1_11target_archE4294967295ELNS1_3gpuE0ELNS1_3repE0EEENS1_30default_config_static_selectorELNS0_4arch9wavefront6targetE1EEEvT1_: ; @_ZN7rocprim17ROCPRIM_400000_NS6detail17trampoline_kernelINS0_14default_configENS1_27scan_by_key_config_selectorIidEEZZNS1_16scan_by_key_implILNS1_25lookback_scan_determinismE0ELb0ES3_N6thrust23THRUST_200600_302600_NS6detail15normal_iteratorINS9_10device_ptrIiEEEENSB_INSC_IdEEEESG_dNS9_4plusIvEENS9_8equal_toIvEEdEE10hipError_tPvRmT2_T3_T4_T5_mT6_T7_P12ihipStream_tbENKUlT_T0_E_clISt17integral_constantIbLb1EES11_EEDaSW_SX_EUlSW_E_NS1_11comp_targetILNS1_3genE0ELNS1_11target_archE4294967295ELNS1_3gpuE0ELNS1_3repE0EEENS1_30default_config_static_selectorELNS0_4arch9wavefront6targetE1EEEvT1_
; %bb.0:
	.section	.rodata,"a",@progbits
	.p2align	6, 0x0
	.amdhsa_kernel _ZN7rocprim17ROCPRIM_400000_NS6detail17trampoline_kernelINS0_14default_configENS1_27scan_by_key_config_selectorIidEEZZNS1_16scan_by_key_implILNS1_25lookback_scan_determinismE0ELb0ES3_N6thrust23THRUST_200600_302600_NS6detail15normal_iteratorINS9_10device_ptrIiEEEENSB_INSC_IdEEEESG_dNS9_4plusIvEENS9_8equal_toIvEEdEE10hipError_tPvRmT2_T3_T4_T5_mT6_T7_P12ihipStream_tbENKUlT_T0_E_clISt17integral_constantIbLb1EES11_EEDaSW_SX_EUlSW_E_NS1_11comp_targetILNS1_3genE0ELNS1_11target_archE4294967295ELNS1_3gpuE0ELNS1_3repE0EEENS1_30default_config_static_selectorELNS0_4arch9wavefront6targetE1EEEvT1_
		.amdhsa_group_segment_fixed_size 0
		.amdhsa_private_segment_fixed_size 0
		.amdhsa_kernarg_size 136
		.amdhsa_user_sgpr_count 6
		.amdhsa_user_sgpr_private_segment_buffer 1
		.amdhsa_user_sgpr_dispatch_ptr 0
		.amdhsa_user_sgpr_queue_ptr 0
		.amdhsa_user_sgpr_kernarg_segment_ptr 1
		.amdhsa_user_sgpr_dispatch_id 0
		.amdhsa_user_sgpr_flat_scratch_init 0
		.amdhsa_user_sgpr_kernarg_preload_length 0
		.amdhsa_user_sgpr_kernarg_preload_offset 0
		.amdhsa_user_sgpr_private_segment_size 0
		.amdhsa_uses_dynamic_stack 0
		.amdhsa_system_sgpr_private_segment_wavefront_offset 0
		.amdhsa_system_sgpr_workgroup_id_x 1
		.amdhsa_system_sgpr_workgroup_id_y 0
		.amdhsa_system_sgpr_workgroup_id_z 0
		.amdhsa_system_sgpr_workgroup_info 0
		.amdhsa_system_vgpr_workitem_id 0
		.amdhsa_next_free_vgpr 1
		.amdhsa_next_free_sgpr 0
		.amdhsa_accum_offset 4
		.amdhsa_reserve_vcc 0
		.amdhsa_reserve_flat_scratch 0
		.amdhsa_float_round_mode_32 0
		.amdhsa_float_round_mode_16_64 0
		.amdhsa_float_denorm_mode_32 3
		.amdhsa_float_denorm_mode_16_64 3
		.amdhsa_dx10_clamp 1
		.amdhsa_ieee_mode 1
		.amdhsa_fp16_overflow 0
		.amdhsa_tg_split 0
		.amdhsa_exception_fp_ieee_invalid_op 0
		.amdhsa_exception_fp_denorm_src 0
		.amdhsa_exception_fp_ieee_div_zero 0
		.amdhsa_exception_fp_ieee_overflow 0
		.amdhsa_exception_fp_ieee_underflow 0
		.amdhsa_exception_fp_ieee_inexact 0
		.amdhsa_exception_int_div_zero 0
	.end_amdhsa_kernel
	.section	.text._ZN7rocprim17ROCPRIM_400000_NS6detail17trampoline_kernelINS0_14default_configENS1_27scan_by_key_config_selectorIidEEZZNS1_16scan_by_key_implILNS1_25lookback_scan_determinismE0ELb0ES3_N6thrust23THRUST_200600_302600_NS6detail15normal_iteratorINS9_10device_ptrIiEEEENSB_INSC_IdEEEESG_dNS9_4plusIvEENS9_8equal_toIvEEdEE10hipError_tPvRmT2_T3_T4_T5_mT6_T7_P12ihipStream_tbENKUlT_T0_E_clISt17integral_constantIbLb1EES11_EEDaSW_SX_EUlSW_E_NS1_11comp_targetILNS1_3genE0ELNS1_11target_archE4294967295ELNS1_3gpuE0ELNS1_3repE0EEENS1_30default_config_static_selectorELNS0_4arch9wavefront6targetE1EEEvT1_,"axG",@progbits,_ZN7rocprim17ROCPRIM_400000_NS6detail17trampoline_kernelINS0_14default_configENS1_27scan_by_key_config_selectorIidEEZZNS1_16scan_by_key_implILNS1_25lookback_scan_determinismE0ELb0ES3_N6thrust23THRUST_200600_302600_NS6detail15normal_iteratorINS9_10device_ptrIiEEEENSB_INSC_IdEEEESG_dNS9_4plusIvEENS9_8equal_toIvEEdEE10hipError_tPvRmT2_T3_T4_T5_mT6_T7_P12ihipStream_tbENKUlT_T0_E_clISt17integral_constantIbLb1EES11_EEDaSW_SX_EUlSW_E_NS1_11comp_targetILNS1_3genE0ELNS1_11target_archE4294967295ELNS1_3gpuE0ELNS1_3repE0EEENS1_30default_config_static_selectorELNS0_4arch9wavefront6targetE1EEEvT1_,comdat
.Lfunc_end1096:
	.size	_ZN7rocprim17ROCPRIM_400000_NS6detail17trampoline_kernelINS0_14default_configENS1_27scan_by_key_config_selectorIidEEZZNS1_16scan_by_key_implILNS1_25lookback_scan_determinismE0ELb0ES3_N6thrust23THRUST_200600_302600_NS6detail15normal_iteratorINS9_10device_ptrIiEEEENSB_INSC_IdEEEESG_dNS9_4plusIvEENS9_8equal_toIvEEdEE10hipError_tPvRmT2_T3_T4_T5_mT6_T7_P12ihipStream_tbENKUlT_T0_E_clISt17integral_constantIbLb1EES11_EEDaSW_SX_EUlSW_E_NS1_11comp_targetILNS1_3genE0ELNS1_11target_archE4294967295ELNS1_3gpuE0ELNS1_3repE0EEENS1_30default_config_static_selectorELNS0_4arch9wavefront6targetE1EEEvT1_, .Lfunc_end1096-_ZN7rocprim17ROCPRIM_400000_NS6detail17trampoline_kernelINS0_14default_configENS1_27scan_by_key_config_selectorIidEEZZNS1_16scan_by_key_implILNS1_25lookback_scan_determinismE0ELb0ES3_N6thrust23THRUST_200600_302600_NS6detail15normal_iteratorINS9_10device_ptrIiEEEENSB_INSC_IdEEEESG_dNS9_4plusIvEENS9_8equal_toIvEEdEE10hipError_tPvRmT2_T3_T4_T5_mT6_T7_P12ihipStream_tbENKUlT_T0_E_clISt17integral_constantIbLb1EES11_EEDaSW_SX_EUlSW_E_NS1_11comp_targetILNS1_3genE0ELNS1_11target_archE4294967295ELNS1_3gpuE0ELNS1_3repE0EEENS1_30default_config_static_selectorELNS0_4arch9wavefront6targetE1EEEvT1_
                                        ; -- End function
	.section	.AMDGPU.csdata,"",@progbits
; Kernel info:
; codeLenInByte = 0
; NumSgprs: 4
; NumVgprs: 0
; NumAgprs: 0
; TotalNumVgprs: 0
; ScratchSize: 0
; MemoryBound: 0
; FloatMode: 240
; IeeeMode: 1
; LDSByteSize: 0 bytes/workgroup (compile time only)
; SGPRBlocks: 0
; VGPRBlocks: 0
; NumSGPRsForWavesPerEU: 4
; NumVGPRsForWavesPerEU: 1
; AccumOffset: 4
; Occupancy: 8
; WaveLimiterHint : 0
; COMPUTE_PGM_RSRC2:SCRATCH_EN: 0
; COMPUTE_PGM_RSRC2:USER_SGPR: 6
; COMPUTE_PGM_RSRC2:TRAP_HANDLER: 0
; COMPUTE_PGM_RSRC2:TGID_X_EN: 1
; COMPUTE_PGM_RSRC2:TGID_Y_EN: 0
; COMPUTE_PGM_RSRC2:TGID_Z_EN: 0
; COMPUTE_PGM_RSRC2:TIDIG_COMP_CNT: 0
; COMPUTE_PGM_RSRC3_GFX90A:ACCUM_OFFSET: 0
; COMPUTE_PGM_RSRC3_GFX90A:TG_SPLIT: 0
	.section	.text._ZN7rocprim17ROCPRIM_400000_NS6detail17trampoline_kernelINS0_14default_configENS1_27scan_by_key_config_selectorIidEEZZNS1_16scan_by_key_implILNS1_25lookback_scan_determinismE0ELb0ES3_N6thrust23THRUST_200600_302600_NS6detail15normal_iteratorINS9_10device_ptrIiEEEENSB_INSC_IdEEEESG_dNS9_4plusIvEENS9_8equal_toIvEEdEE10hipError_tPvRmT2_T3_T4_T5_mT6_T7_P12ihipStream_tbENKUlT_T0_E_clISt17integral_constantIbLb1EES11_EEDaSW_SX_EUlSW_E_NS1_11comp_targetILNS1_3genE10ELNS1_11target_archE1201ELNS1_3gpuE5ELNS1_3repE0EEENS1_30default_config_static_selectorELNS0_4arch9wavefront6targetE1EEEvT1_,"axG",@progbits,_ZN7rocprim17ROCPRIM_400000_NS6detail17trampoline_kernelINS0_14default_configENS1_27scan_by_key_config_selectorIidEEZZNS1_16scan_by_key_implILNS1_25lookback_scan_determinismE0ELb0ES3_N6thrust23THRUST_200600_302600_NS6detail15normal_iteratorINS9_10device_ptrIiEEEENSB_INSC_IdEEEESG_dNS9_4plusIvEENS9_8equal_toIvEEdEE10hipError_tPvRmT2_T3_T4_T5_mT6_T7_P12ihipStream_tbENKUlT_T0_E_clISt17integral_constantIbLb1EES11_EEDaSW_SX_EUlSW_E_NS1_11comp_targetILNS1_3genE10ELNS1_11target_archE1201ELNS1_3gpuE5ELNS1_3repE0EEENS1_30default_config_static_selectorELNS0_4arch9wavefront6targetE1EEEvT1_,comdat
	.protected	_ZN7rocprim17ROCPRIM_400000_NS6detail17trampoline_kernelINS0_14default_configENS1_27scan_by_key_config_selectorIidEEZZNS1_16scan_by_key_implILNS1_25lookback_scan_determinismE0ELb0ES3_N6thrust23THRUST_200600_302600_NS6detail15normal_iteratorINS9_10device_ptrIiEEEENSB_INSC_IdEEEESG_dNS9_4plusIvEENS9_8equal_toIvEEdEE10hipError_tPvRmT2_T3_T4_T5_mT6_T7_P12ihipStream_tbENKUlT_T0_E_clISt17integral_constantIbLb1EES11_EEDaSW_SX_EUlSW_E_NS1_11comp_targetILNS1_3genE10ELNS1_11target_archE1201ELNS1_3gpuE5ELNS1_3repE0EEENS1_30default_config_static_selectorELNS0_4arch9wavefront6targetE1EEEvT1_ ; -- Begin function _ZN7rocprim17ROCPRIM_400000_NS6detail17trampoline_kernelINS0_14default_configENS1_27scan_by_key_config_selectorIidEEZZNS1_16scan_by_key_implILNS1_25lookback_scan_determinismE0ELb0ES3_N6thrust23THRUST_200600_302600_NS6detail15normal_iteratorINS9_10device_ptrIiEEEENSB_INSC_IdEEEESG_dNS9_4plusIvEENS9_8equal_toIvEEdEE10hipError_tPvRmT2_T3_T4_T5_mT6_T7_P12ihipStream_tbENKUlT_T0_E_clISt17integral_constantIbLb1EES11_EEDaSW_SX_EUlSW_E_NS1_11comp_targetILNS1_3genE10ELNS1_11target_archE1201ELNS1_3gpuE5ELNS1_3repE0EEENS1_30default_config_static_selectorELNS0_4arch9wavefront6targetE1EEEvT1_
	.globl	_ZN7rocprim17ROCPRIM_400000_NS6detail17trampoline_kernelINS0_14default_configENS1_27scan_by_key_config_selectorIidEEZZNS1_16scan_by_key_implILNS1_25lookback_scan_determinismE0ELb0ES3_N6thrust23THRUST_200600_302600_NS6detail15normal_iteratorINS9_10device_ptrIiEEEENSB_INSC_IdEEEESG_dNS9_4plusIvEENS9_8equal_toIvEEdEE10hipError_tPvRmT2_T3_T4_T5_mT6_T7_P12ihipStream_tbENKUlT_T0_E_clISt17integral_constantIbLb1EES11_EEDaSW_SX_EUlSW_E_NS1_11comp_targetILNS1_3genE10ELNS1_11target_archE1201ELNS1_3gpuE5ELNS1_3repE0EEENS1_30default_config_static_selectorELNS0_4arch9wavefront6targetE1EEEvT1_
	.p2align	8
	.type	_ZN7rocprim17ROCPRIM_400000_NS6detail17trampoline_kernelINS0_14default_configENS1_27scan_by_key_config_selectorIidEEZZNS1_16scan_by_key_implILNS1_25lookback_scan_determinismE0ELb0ES3_N6thrust23THRUST_200600_302600_NS6detail15normal_iteratorINS9_10device_ptrIiEEEENSB_INSC_IdEEEESG_dNS9_4plusIvEENS9_8equal_toIvEEdEE10hipError_tPvRmT2_T3_T4_T5_mT6_T7_P12ihipStream_tbENKUlT_T0_E_clISt17integral_constantIbLb1EES11_EEDaSW_SX_EUlSW_E_NS1_11comp_targetILNS1_3genE10ELNS1_11target_archE1201ELNS1_3gpuE5ELNS1_3repE0EEENS1_30default_config_static_selectorELNS0_4arch9wavefront6targetE1EEEvT1_,@function
_ZN7rocprim17ROCPRIM_400000_NS6detail17trampoline_kernelINS0_14default_configENS1_27scan_by_key_config_selectorIidEEZZNS1_16scan_by_key_implILNS1_25lookback_scan_determinismE0ELb0ES3_N6thrust23THRUST_200600_302600_NS6detail15normal_iteratorINS9_10device_ptrIiEEEENSB_INSC_IdEEEESG_dNS9_4plusIvEENS9_8equal_toIvEEdEE10hipError_tPvRmT2_T3_T4_T5_mT6_T7_P12ihipStream_tbENKUlT_T0_E_clISt17integral_constantIbLb1EES11_EEDaSW_SX_EUlSW_E_NS1_11comp_targetILNS1_3genE10ELNS1_11target_archE1201ELNS1_3gpuE5ELNS1_3repE0EEENS1_30default_config_static_selectorELNS0_4arch9wavefront6targetE1EEEvT1_: ; @_ZN7rocprim17ROCPRIM_400000_NS6detail17trampoline_kernelINS0_14default_configENS1_27scan_by_key_config_selectorIidEEZZNS1_16scan_by_key_implILNS1_25lookback_scan_determinismE0ELb0ES3_N6thrust23THRUST_200600_302600_NS6detail15normal_iteratorINS9_10device_ptrIiEEEENSB_INSC_IdEEEESG_dNS9_4plusIvEENS9_8equal_toIvEEdEE10hipError_tPvRmT2_T3_T4_T5_mT6_T7_P12ihipStream_tbENKUlT_T0_E_clISt17integral_constantIbLb1EES11_EEDaSW_SX_EUlSW_E_NS1_11comp_targetILNS1_3genE10ELNS1_11target_archE1201ELNS1_3gpuE5ELNS1_3repE0EEENS1_30default_config_static_selectorELNS0_4arch9wavefront6targetE1EEEvT1_
; %bb.0:
	.section	.rodata,"a",@progbits
	.p2align	6, 0x0
	.amdhsa_kernel _ZN7rocprim17ROCPRIM_400000_NS6detail17trampoline_kernelINS0_14default_configENS1_27scan_by_key_config_selectorIidEEZZNS1_16scan_by_key_implILNS1_25lookback_scan_determinismE0ELb0ES3_N6thrust23THRUST_200600_302600_NS6detail15normal_iteratorINS9_10device_ptrIiEEEENSB_INSC_IdEEEESG_dNS9_4plusIvEENS9_8equal_toIvEEdEE10hipError_tPvRmT2_T3_T4_T5_mT6_T7_P12ihipStream_tbENKUlT_T0_E_clISt17integral_constantIbLb1EES11_EEDaSW_SX_EUlSW_E_NS1_11comp_targetILNS1_3genE10ELNS1_11target_archE1201ELNS1_3gpuE5ELNS1_3repE0EEENS1_30default_config_static_selectorELNS0_4arch9wavefront6targetE1EEEvT1_
		.amdhsa_group_segment_fixed_size 0
		.amdhsa_private_segment_fixed_size 0
		.amdhsa_kernarg_size 136
		.amdhsa_user_sgpr_count 6
		.amdhsa_user_sgpr_private_segment_buffer 1
		.amdhsa_user_sgpr_dispatch_ptr 0
		.amdhsa_user_sgpr_queue_ptr 0
		.amdhsa_user_sgpr_kernarg_segment_ptr 1
		.amdhsa_user_sgpr_dispatch_id 0
		.amdhsa_user_sgpr_flat_scratch_init 0
		.amdhsa_user_sgpr_kernarg_preload_length 0
		.amdhsa_user_sgpr_kernarg_preload_offset 0
		.amdhsa_user_sgpr_private_segment_size 0
		.amdhsa_uses_dynamic_stack 0
		.amdhsa_system_sgpr_private_segment_wavefront_offset 0
		.amdhsa_system_sgpr_workgroup_id_x 1
		.amdhsa_system_sgpr_workgroup_id_y 0
		.amdhsa_system_sgpr_workgroup_id_z 0
		.amdhsa_system_sgpr_workgroup_info 0
		.amdhsa_system_vgpr_workitem_id 0
		.amdhsa_next_free_vgpr 1
		.amdhsa_next_free_sgpr 0
		.amdhsa_accum_offset 4
		.amdhsa_reserve_vcc 0
		.amdhsa_reserve_flat_scratch 0
		.amdhsa_float_round_mode_32 0
		.amdhsa_float_round_mode_16_64 0
		.amdhsa_float_denorm_mode_32 3
		.amdhsa_float_denorm_mode_16_64 3
		.amdhsa_dx10_clamp 1
		.amdhsa_ieee_mode 1
		.amdhsa_fp16_overflow 0
		.amdhsa_tg_split 0
		.amdhsa_exception_fp_ieee_invalid_op 0
		.amdhsa_exception_fp_denorm_src 0
		.amdhsa_exception_fp_ieee_div_zero 0
		.amdhsa_exception_fp_ieee_overflow 0
		.amdhsa_exception_fp_ieee_underflow 0
		.amdhsa_exception_fp_ieee_inexact 0
		.amdhsa_exception_int_div_zero 0
	.end_amdhsa_kernel
	.section	.text._ZN7rocprim17ROCPRIM_400000_NS6detail17trampoline_kernelINS0_14default_configENS1_27scan_by_key_config_selectorIidEEZZNS1_16scan_by_key_implILNS1_25lookback_scan_determinismE0ELb0ES3_N6thrust23THRUST_200600_302600_NS6detail15normal_iteratorINS9_10device_ptrIiEEEENSB_INSC_IdEEEESG_dNS9_4plusIvEENS9_8equal_toIvEEdEE10hipError_tPvRmT2_T3_T4_T5_mT6_T7_P12ihipStream_tbENKUlT_T0_E_clISt17integral_constantIbLb1EES11_EEDaSW_SX_EUlSW_E_NS1_11comp_targetILNS1_3genE10ELNS1_11target_archE1201ELNS1_3gpuE5ELNS1_3repE0EEENS1_30default_config_static_selectorELNS0_4arch9wavefront6targetE1EEEvT1_,"axG",@progbits,_ZN7rocprim17ROCPRIM_400000_NS6detail17trampoline_kernelINS0_14default_configENS1_27scan_by_key_config_selectorIidEEZZNS1_16scan_by_key_implILNS1_25lookback_scan_determinismE0ELb0ES3_N6thrust23THRUST_200600_302600_NS6detail15normal_iteratorINS9_10device_ptrIiEEEENSB_INSC_IdEEEESG_dNS9_4plusIvEENS9_8equal_toIvEEdEE10hipError_tPvRmT2_T3_T4_T5_mT6_T7_P12ihipStream_tbENKUlT_T0_E_clISt17integral_constantIbLb1EES11_EEDaSW_SX_EUlSW_E_NS1_11comp_targetILNS1_3genE10ELNS1_11target_archE1201ELNS1_3gpuE5ELNS1_3repE0EEENS1_30default_config_static_selectorELNS0_4arch9wavefront6targetE1EEEvT1_,comdat
.Lfunc_end1097:
	.size	_ZN7rocprim17ROCPRIM_400000_NS6detail17trampoline_kernelINS0_14default_configENS1_27scan_by_key_config_selectorIidEEZZNS1_16scan_by_key_implILNS1_25lookback_scan_determinismE0ELb0ES3_N6thrust23THRUST_200600_302600_NS6detail15normal_iteratorINS9_10device_ptrIiEEEENSB_INSC_IdEEEESG_dNS9_4plusIvEENS9_8equal_toIvEEdEE10hipError_tPvRmT2_T3_T4_T5_mT6_T7_P12ihipStream_tbENKUlT_T0_E_clISt17integral_constantIbLb1EES11_EEDaSW_SX_EUlSW_E_NS1_11comp_targetILNS1_3genE10ELNS1_11target_archE1201ELNS1_3gpuE5ELNS1_3repE0EEENS1_30default_config_static_selectorELNS0_4arch9wavefront6targetE1EEEvT1_, .Lfunc_end1097-_ZN7rocprim17ROCPRIM_400000_NS6detail17trampoline_kernelINS0_14default_configENS1_27scan_by_key_config_selectorIidEEZZNS1_16scan_by_key_implILNS1_25lookback_scan_determinismE0ELb0ES3_N6thrust23THRUST_200600_302600_NS6detail15normal_iteratorINS9_10device_ptrIiEEEENSB_INSC_IdEEEESG_dNS9_4plusIvEENS9_8equal_toIvEEdEE10hipError_tPvRmT2_T3_T4_T5_mT6_T7_P12ihipStream_tbENKUlT_T0_E_clISt17integral_constantIbLb1EES11_EEDaSW_SX_EUlSW_E_NS1_11comp_targetILNS1_3genE10ELNS1_11target_archE1201ELNS1_3gpuE5ELNS1_3repE0EEENS1_30default_config_static_selectorELNS0_4arch9wavefront6targetE1EEEvT1_
                                        ; -- End function
	.section	.AMDGPU.csdata,"",@progbits
; Kernel info:
; codeLenInByte = 0
; NumSgprs: 4
; NumVgprs: 0
; NumAgprs: 0
; TotalNumVgprs: 0
; ScratchSize: 0
; MemoryBound: 0
; FloatMode: 240
; IeeeMode: 1
; LDSByteSize: 0 bytes/workgroup (compile time only)
; SGPRBlocks: 0
; VGPRBlocks: 0
; NumSGPRsForWavesPerEU: 4
; NumVGPRsForWavesPerEU: 1
; AccumOffset: 4
; Occupancy: 8
; WaveLimiterHint : 0
; COMPUTE_PGM_RSRC2:SCRATCH_EN: 0
; COMPUTE_PGM_RSRC2:USER_SGPR: 6
; COMPUTE_PGM_RSRC2:TRAP_HANDLER: 0
; COMPUTE_PGM_RSRC2:TGID_X_EN: 1
; COMPUTE_PGM_RSRC2:TGID_Y_EN: 0
; COMPUTE_PGM_RSRC2:TGID_Z_EN: 0
; COMPUTE_PGM_RSRC2:TIDIG_COMP_CNT: 0
; COMPUTE_PGM_RSRC3_GFX90A:ACCUM_OFFSET: 0
; COMPUTE_PGM_RSRC3_GFX90A:TG_SPLIT: 0
	.section	.text._ZN7rocprim17ROCPRIM_400000_NS6detail17trampoline_kernelINS0_14default_configENS1_27scan_by_key_config_selectorIidEEZZNS1_16scan_by_key_implILNS1_25lookback_scan_determinismE0ELb0ES3_N6thrust23THRUST_200600_302600_NS6detail15normal_iteratorINS9_10device_ptrIiEEEENSB_INSC_IdEEEESG_dNS9_4plusIvEENS9_8equal_toIvEEdEE10hipError_tPvRmT2_T3_T4_T5_mT6_T7_P12ihipStream_tbENKUlT_T0_E_clISt17integral_constantIbLb1EES11_EEDaSW_SX_EUlSW_E_NS1_11comp_targetILNS1_3genE5ELNS1_11target_archE942ELNS1_3gpuE9ELNS1_3repE0EEENS1_30default_config_static_selectorELNS0_4arch9wavefront6targetE1EEEvT1_,"axG",@progbits,_ZN7rocprim17ROCPRIM_400000_NS6detail17trampoline_kernelINS0_14default_configENS1_27scan_by_key_config_selectorIidEEZZNS1_16scan_by_key_implILNS1_25lookback_scan_determinismE0ELb0ES3_N6thrust23THRUST_200600_302600_NS6detail15normal_iteratorINS9_10device_ptrIiEEEENSB_INSC_IdEEEESG_dNS9_4plusIvEENS9_8equal_toIvEEdEE10hipError_tPvRmT2_T3_T4_T5_mT6_T7_P12ihipStream_tbENKUlT_T0_E_clISt17integral_constantIbLb1EES11_EEDaSW_SX_EUlSW_E_NS1_11comp_targetILNS1_3genE5ELNS1_11target_archE942ELNS1_3gpuE9ELNS1_3repE0EEENS1_30default_config_static_selectorELNS0_4arch9wavefront6targetE1EEEvT1_,comdat
	.protected	_ZN7rocprim17ROCPRIM_400000_NS6detail17trampoline_kernelINS0_14default_configENS1_27scan_by_key_config_selectorIidEEZZNS1_16scan_by_key_implILNS1_25lookback_scan_determinismE0ELb0ES3_N6thrust23THRUST_200600_302600_NS6detail15normal_iteratorINS9_10device_ptrIiEEEENSB_INSC_IdEEEESG_dNS9_4plusIvEENS9_8equal_toIvEEdEE10hipError_tPvRmT2_T3_T4_T5_mT6_T7_P12ihipStream_tbENKUlT_T0_E_clISt17integral_constantIbLb1EES11_EEDaSW_SX_EUlSW_E_NS1_11comp_targetILNS1_3genE5ELNS1_11target_archE942ELNS1_3gpuE9ELNS1_3repE0EEENS1_30default_config_static_selectorELNS0_4arch9wavefront6targetE1EEEvT1_ ; -- Begin function _ZN7rocprim17ROCPRIM_400000_NS6detail17trampoline_kernelINS0_14default_configENS1_27scan_by_key_config_selectorIidEEZZNS1_16scan_by_key_implILNS1_25lookback_scan_determinismE0ELb0ES3_N6thrust23THRUST_200600_302600_NS6detail15normal_iteratorINS9_10device_ptrIiEEEENSB_INSC_IdEEEESG_dNS9_4plusIvEENS9_8equal_toIvEEdEE10hipError_tPvRmT2_T3_T4_T5_mT6_T7_P12ihipStream_tbENKUlT_T0_E_clISt17integral_constantIbLb1EES11_EEDaSW_SX_EUlSW_E_NS1_11comp_targetILNS1_3genE5ELNS1_11target_archE942ELNS1_3gpuE9ELNS1_3repE0EEENS1_30default_config_static_selectorELNS0_4arch9wavefront6targetE1EEEvT1_
	.globl	_ZN7rocprim17ROCPRIM_400000_NS6detail17trampoline_kernelINS0_14default_configENS1_27scan_by_key_config_selectorIidEEZZNS1_16scan_by_key_implILNS1_25lookback_scan_determinismE0ELb0ES3_N6thrust23THRUST_200600_302600_NS6detail15normal_iteratorINS9_10device_ptrIiEEEENSB_INSC_IdEEEESG_dNS9_4plusIvEENS9_8equal_toIvEEdEE10hipError_tPvRmT2_T3_T4_T5_mT6_T7_P12ihipStream_tbENKUlT_T0_E_clISt17integral_constantIbLb1EES11_EEDaSW_SX_EUlSW_E_NS1_11comp_targetILNS1_3genE5ELNS1_11target_archE942ELNS1_3gpuE9ELNS1_3repE0EEENS1_30default_config_static_selectorELNS0_4arch9wavefront6targetE1EEEvT1_
	.p2align	8
	.type	_ZN7rocprim17ROCPRIM_400000_NS6detail17trampoline_kernelINS0_14default_configENS1_27scan_by_key_config_selectorIidEEZZNS1_16scan_by_key_implILNS1_25lookback_scan_determinismE0ELb0ES3_N6thrust23THRUST_200600_302600_NS6detail15normal_iteratorINS9_10device_ptrIiEEEENSB_INSC_IdEEEESG_dNS9_4plusIvEENS9_8equal_toIvEEdEE10hipError_tPvRmT2_T3_T4_T5_mT6_T7_P12ihipStream_tbENKUlT_T0_E_clISt17integral_constantIbLb1EES11_EEDaSW_SX_EUlSW_E_NS1_11comp_targetILNS1_3genE5ELNS1_11target_archE942ELNS1_3gpuE9ELNS1_3repE0EEENS1_30default_config_static_selectorELNS0_4arch9wavefront6targetE1EEEvT1_,@function
_ZN7rocprim17ROCPRIM_400000_NS6detail17trampoline_kernelINS0_14default_configENS1_27scan_by_key_config_selectorIidEEZZNS1_16scan_by_key_implILNS1_25lookback_scan_determinismE0ELb0ES3_N6thrust23THRUST_200600_302600_NS6detail15normal_iteratorINS9_10device_ptrIiEEEENSB_INSC_IdEEEESG_dNS9_4plusIvEENS9_8equal_toIvEEdEE10hipError_tPvRmT2_T3_T4_T5_mT6_T7_P12ihipStream_tbENKUlT_T0_E_clISt17integral_constantIbLb1EES11_EEDaSW_SX_EUlSW_E_NS1_11comp_targetILNS1_3genE5ELNS1_11target_archE942ELNS1_3gpuE9ELNS1_3repE0EEENS1_30default_config_static_selectorELNS0_4arch9wavefront6targetE1EEEvT1_: ; @_ZN7rocprim17ROCPRIM_400000_NS6detail17trampoline_kernelINS0_14default_configENS1_27scan_by_key_config_selectorIidEEZZNS1_16scan_by_key_implILNS1_25lookback_scan_determinismE0ELb0ES3_N6thrust23THRUST_200600_302600_NS6detail15normal_iteratorINS9_10device_ptrIiEEEENSB_INSC_IdEEEESG_dNS9_4plusIvEENS9_8equal_toIvEEdEE10hipError_tPvRmT2_T3_T4_T5_mT6_T7_P12ihipStream_tbENKUlT_T0_E_clISt17integral_constantIbLb1EES11_EEDaSW_SX_EUlSW_E_NS1_11comp_targetILNS1_3genE5ELNS1_11target_archE942ELNS1_3gpuE9ELNS1_3repE0EEENS1_30default_config_static_selectorELNS0_4arch9wavefront6targetE1EEEvT1_
; %bb.0:
	.section	.rodata,"a",@progbits
	.p2align	6, 0x0
	.amdhsa_kernel _ZN7rocprim17ROCPRIM_400000_NS6detail17trampoline_kernelINS0_14default_configENS1_27scan_by_key_config_selectorIidEEZZNS1_16scan_by_key_implILNS1_25lookback_scan_determinismE0ELb0ES3_N6thrust23THRUST_200600_302600_NS6detail15normal_iteratorINS9_10device_ptrIiEEEENSB_INSC_IdEEEESG_dNS9_4plusIvEENS9_8equal_toIvEEdEE10hipError_tPvRmT2_T3_T4_T5_mT6_T7_P12ihipStream_tbENKUlT_T0_E_clISt17integral_constantIbLb1EES11_EEDaSW_SX_EUlSW_E_NS1_11comp_targetILNS1_3genE5ELNS1_11target_archE942ELNS1_3gpuE9ELNS1_3repE0EEENS1_30default_config_static_selectorELNS0_4arch9wavefront6targetE1EEEvT1_
		.amdhsa_group_segment_fixed_size 0
		.amdhsa_private_segment_fixed_size 0
		.amdhsa_kernarg_size 136
		.amdhsa_user_sgpr_count 6
		.amdhsa_user_sgpr_private_segment_buffer 1
		.amdhsa_user_sgpr_dispatch_ptr 0
		.amdhsa_user_sgpr_queue_ptr 0
		.amdhsa_user_sgpr_kernarg_segment_ptr 1
		.amdhsa_user_sgpr_dispatch_id 0
		.amdhsa_user_sgpr_flat_scratch_init 0
		.amdhsa_user_sgpr_kernarg_preload_length 0
		.amdhsa_user_sgpr_kernarg_preload_offset 0
		.amdhsa_user_sgpr_private_segment_size 0
		.amdhsa_uses_dynamic_stack 0
		.amdhsa_system_sgpr_private_segment_wavefront_offset 0
		.amdhsa_system_sgpr_workgroup_id_x 1
		.amdhsa_system_sgpr_workgroup_id_y 0
		.amdhsa_system_sgpr_workgroup_id_z 0
		.amdhsa_system_sgpr_workgroup_info 0
		.amdhsa_system_vgpr_workitem_id 0
		.amdhsa_next_free_vgpr 1
		.amdhsa_next_free_sgpr 0
		.amdhsa_accum_offset 4
		.amdhsa_reserve_vcc 0
		.amdhsa_reserve_flat_scratch 0
		.amdhsa_float_round_mode_32 0
		.amdhsa_float_round_mode_16_64 0
		.amdhsa_float_denorm_mode_32 3
		.amdhsa_float_denorm_mode_16_64 3
		.amdhsa_dx10_clamp 1
		.amdhsa_ieee_mode 1
		.amdhsa_fp16_overflow 0
		.amdhsa_tg_split 0
		.amdhsa_exception_fp_ieee_invalid_op 0
		.amdhsa_exception_fp_denorm_src 0
		.amdhsa_exception_fp_ieee_div_zero 0
		.amdhsa_exception_fp_ieee_overflow 0
		.amdhsa_exception_fp_ieee_underflow 0
		.amdhsa_exception_fp_ieee_inexact 0
		.amdhsa_exception_int_div_zero 0
	.end_amdhsa_kernel
	.section	.text._ZN7rocprim17ROCPRIM_400000_NS6detail17trampoline_kernelINS0_14default_configENS1_27scan_by_key_config_selectorIidEEZZNS1_16scan_by_key_implILNS1_25lookback_scan_determinismE0ELb0ES3_N6thrust23THRUST_200600_302600_NS6detail15normal_iteratorINS9_10device_ptrIiEEEENSB_INSC_IdEEEESG_dNS9_4plusIvEENS9_8equal_toIvEEdEE10hipError_tPvRmT2_T3_T4_T5_mT6_T7_P12ihipStream_tbENKUlT_T0_E_clISt17integral_constantIbLb1EES11_EEDaSW_SX_EUlSW_E_NS1_11comp_targetILNS1_3genE5ELNS1_11target_archE942ELNS1_3gpuE9ELNS1_3repE0EEENS1_30default_config_static_selectorELNS0_4arch9wavefront6targetE1EEEvT1_,"axG",@progbits,_ZN7rocprim17ROCPRIM_400000_NS6detail17trampoline_kernelINS0_14default_configENS1_27scan_by_key_config_selectorIidEEZZNS1_16scan_by_key_implILNS1_25lookback_scan_determinismE0ELb0ES3_N6thrust23THRUST_200600_302600_NS6detail15normal_iteratorINS9_10device_ptrIiEEEENSB_INSC_IdEEEESG_dNS9_4plusIvEENS9_8equal_toIvEEdEE10hipError_tPvRmT2_T3_T4_T5_mT6_T7_P12ihipStream_tbENKUlT_T0_E_clISt17integral_constantIbLb1EES11_EEDaSW_SX_EUlSW_E_NS1_11comp_targetILNS1_3genE5ELNS1_11target_archE942ELNS1_3gpuE9ELNS1_3repE0EEENS1_30default_config_static_selectorELNS0_4arch9wavefront6targetE1EEEvT1_,comdat
.Lfunc_end1098:
	.size	_ZN7rocprim17ROCPRIM_400000_NS6detail17trampoline_kernelINS0_14default_configENS1_27scan_by_key_config_selectorIidEEZZNS1_16scan_by_key_implILNS1_25lookback_scan_determinismE0ELb0ES3_N6thrust23THRUST_200600_302600_NS6detail15normal_iteratorINS9_10device_ptrIiEEEENSB_INSC_IdEEEESG_dNS9_4plusIvEENS9_8equal_toIvEEdEE10hipError_tPvRmT2_T3_T4_T5_mT6_T7_P12ihipStream_tbENKUlT_T0_E_clISt17integral_constantIbLb1EES11_EEDaSW_SX_EUlSW_E_NS1_11comp_targetILNS1_3genE5ELNS1_11target_archE942ELNS1_3gpuE9ELNS1_3repE0EEENS1_30default_config_static_selectorELNS0_4arch9wavefront6targetE1EEEvT1_, .Lfunc_end1098-_ZN7rocprim17ROCPRIM_400000_NS6detail17trampoline_kernelINS0_14default_configENS1_27scan_by_key_config_selectorIidEEZZNS1_16scan_by_key_implILNS1_25lookback_scan_determinismE0ELb0ES3_N6thrust23THRUST_200600_302600_NS6detail15normal_iteratorINS9_10device_ptrIiEEEENSB_INSC_IdEEEESG_dNS9_4plusIvEENS9_8equal_toIvEEdEE10hipError_tPvRmT2_T3_T4_T5_mT6_T7_P12ihipStream_tbENKUlT_T0_E_clISt17integral_constantIbLb1EES11_EEDaSW_SX_EUlSW_E_NS1_11comp_targetILNS1_3genE5ELNS1_11target_archE942ELNS1_3gpuE9ELNS1_3repE0EEENS1_30default_config_static_selectorELNS0_4arch9wavefront6targetE1EEEvT1_
                                        ; -- End function
	.section	.AMDGPU.csdata,"",@progbits
; Kernel info:
; codeLenInByte = 0
; NumSgprs: 4
; NumVgprs: 0
; NumAgprs: 0
; TotalNumVgprs: 0
; ScratchSize: 0
; MemoryBound: 0
; FloatMode: 240
; IeeeMode: 1
; LDSByteSize: 0 bytes/workgroup (compile time only)
; SGPRBlocks: 0
; VGPRBlocks: 0
; NumSGPRsForWavesPerEU: 4
; NumVGPRsForWavesPerEU: 1
; AccumOffset: 4
; Occupancy: 8
; WaveLimiterHint : 0
; COMPUTE_PGM_RSRC2:SCRATCH_EN: 0
; COMPUTE_PGM_RSRC2:USER_SGPR: 6
; COMPUTE_PGM_RSRC2:TRAP_HANDLER: 0
; COMPUTE_PGM_RSRC2:TGID_X_EN: 1
; COMPUTE_PGM_RSRC2:TGID_Y_EN: 0
; COMPUTE_PGM_RSRC2:TGID_Z_EN: 0
; COMPUTE_PGM_RSRC2:TIDIG_COMP_CNT: 0
; COMPUTE_PGM_RSRC3_GFX90A:ACCUM_OFFSET: 0
; COMPUTE_PGM_RSRC3_GFX90A:TG_SPLIT: 0
	.section	.text._ZN7rocprim17ROCPRIM_400000_NS6detail17trampoline_kernelINS0_14default_configENS1_27scan_by_key_config_selectorIidEEZZNS1_16scan_by_key_implILNS1_25lookback_scan_determinismE0ELb0ES3_N6thrust23THRUST_200600_302600_NS6detail15normal_iteratorINS9_10device_ptrIiEEEENSB_INSC_IdEEEESG_dNS9_4plusIvEENS9_8equal_toIvEEdEE10hipError_tPvRmT2_T3_T4_T5_mT6_T7_P12ihipStream_tbENKUlT_T0_E_clISt17integral_constantIbLb1EES11_EEDaSW_SX_EUlSW_E_NS1_11comp_targetILNS1_3genE4ELNS1_11target_archE910ELNS1_3gpuE8ELNS1_3repE0EEENS1_30default_config_static_selectorELNS0_4arch9wavefront6targetE1EEEvT1_,"axG",@progbits,_ZN7rocprim17ROCPRIM_400000_NS6detail17trampoline_kernelINS0_14default_configENS1_27scan_by_key_config_selectorIidEEZZNS1_16scan_by_key_implILNS1_25lookback_scan_determinismE0ELb0ES3_N6thrust23THRUST_200600_302600_NS6detail15normal_iteratorINS9_10device_ptrIiEEEENSB_INSC_IdEEEESG_dNS9_4plusIvEENS9_8equal_toIvEEdEE10hipError_tPvRmT2_T3_T4_T5_mT6_T7_P12ihipStream_tbENKUlT_T0_E_clISt17integral_constantIbLb1EES11_EEDaSW_SX_EUlSW_E_NS1_11comp_targetILNS1_3genE4ELNS1_11target_archE910ELNS1_3gpuE8ELNS1_3repE0EEENS1_30default_config_static_selectorELNS0_4arch9wavefront6targetE1EEEvT1_,comdat
	.protected	_ZN7rocprim17ROCPRIM_400000_NS6detail17trampoline_kernelINS0_14default_configENS1_27scan_by_key_config_selectorIidEEZZNS1_16scan_by_key_implILNS1_25lookback_scan_determinismE0ELb0ES3_N6thrust23THRUST_200600_302600_NS6detail15normal_iteratorINS9_10device_ptrIiEEEENSB_INSC_IdEEEESG_dNS9_4plusIvEENS9_8equal_toIvEEdEE10hipError_tPvRmT2_T3_T4_T5_mT6_T7_P12ihipStream_tbENKUlT_T0_E_clISt17integral_constantIbLb1EES11_EEDaSW_SX_EUlSW_E_NS1_11comp_targetILNS1_3genE4ELNS1_11target_archE910ELNS1_3gpuE8ELNS1_3repE0EEENS1_30default_config_static_selectorELNS0_4arch9wavefront6targetE1EEEvT1_ ; -- Begin function _ZN7rocprim17ROCPRIM_400000_NS6detail17trampoline_kernelINS0_14default_configENS1_27scan_by_key_config_selectorIidEEZZNS1_16scan_by_key_implILNS1_25lookback_scan_determinismE0ELb0ES3_N6thrust23THRUST_200600_302600_NS6detail15normal_iteratorINS9_10device_ptrIiEEEENSB_INSC_IdEEEESG_dNS9_4plusIvEENS9_8equal_toIvEEdEE10hipError_tPvRmT2_T3_T4_T5_mT6_T7_P12ihipStream_tbENKUlT_T0_E_clISt17integral_constantIbLb1EES11_EEDaSW_SX_EUlSW_E_NS1_11comp_targetILNS1_3genE4ELNS1_11target_archE910ELNS1_3gpuE8ELNS1_3repE0EEENS1_30default_config_static_selectorELNS0_4arch9wavefront6targetE1EEEvT1_
	.globl	_ZN7rocprim17ROCPRIM_400000_NS6detail17trampoline_kernelINS0_14default_configENS1_27scan_by_key_config_selectorIidEEZZNS1_16scan_by_key_implILNS1_25lookback_scan_determinismE0ELb0ES3_N6thrust23THRUST_200600_302600_NS6detail15normal_iteratorINS9_10device_ptrIiEEEENSB_INSC_IdEEEESG_dNS9_4plusIvEENS9_8equal_toIvEEdEE10hipError_tPvRmT2_T3_T4_T5_mT6_T7_P12ihipStream_tbENKUlT_T0_E_clISt17integral_constantIbLb1EES11_EEDaSW_SX_EUlSW_E_NS1_11comp_targetILNS1_3genE4ELNS1_11target_archE910ELNS1_3gpuE8ELNS1_3repE0EEENS1_30default_config_static_selectorELNS0_4arch9wavefront6targetE1EEEvT1_
	.p2align	8
	.type	_ZN7rocprim17ROCPRIM_400000_NS6detail17trampoline_kernelINS0_14default_configENS1_27scan_by_key_config_selectorIidEEZZNS1_16scan_by_key_implILNS1_25lookback_scan_determinismE0ELb0ES3_N6thrust23THRUST_200600_302600_NS6detail15normal_iteratorINS9_10device_ptrIiEEEENSB_INSC_IdEEEESG_dNS9_4plusIvEENS9_8equal_toIvEEdEE10hipError_tPvRmT2_T3_T4_T5_mT6_T7_P12ihipStream_tbENKUlT_T0_E_clISt17integral_constantIbLb1EES11_EEDaSW_SX_EUlSW_E_NS1_11comp_targetILNS1_3genE4ELNS1_11target_archE910ELNS1_3gpuE8ELNS1_3repE0EEENS1_30default_config_static_selectorELNS0_4arch9wavefront6targetE1EEEvT1_,@function
_ZN7rocprim17ROCPRIM_400000_NS6detail17trampoline_kernelINS0_14default_configENS1_27scan_by_key_config_selectorIidEEZZNS1_16scan_by_key_implILNS1_25lookback_scan_determinismE0ELb0ES3_N6thrust23THRUST_200600_302600_NS6detail15normal_iteratorINS9_10device_ptrIiEEEENSB_INSC_IdEEEESG_dNS9_4plusIvEENS9_8equal_toIvEEdEE10hipError_tPvRmT2_T3_T4_T5_mT6_T7_P12ihipStream_tbENKUlT_T0_E_clISt17integral_constantIbLb1EES11_EEDaSW_SX_EUlSW_E_NS1_11comp_targetILNS1_3genE4ELNS1_11target_archE910ELNS1_3gpuE8ELNS1_3repE0EEENS1_30default_config_static_selectorELNS0_4arch9wavefront6targetE1EEEvT1_: ; @_ZN7rocprim17ROCPRIM_400000_NS6detail17trampoline_kernelINS0_14default_configENS1_27scan_by_key_config_selectorIidEEZZNS1_16scan_by_key_implILNS1_25lookback_scan_determinismE0ELb0ES3_N6thrust23THRUST_200600_302600_NS6detail15normal_iteratorINS9_10device_ptrIiEEEENSB_INSC_IdEEEESG_dNS9_4plusIvEENS9_8equal_toIvEEdEE10hipError_tPvRmT2_T3_T4_T5_mT6_T7_P12ihipStream_tbENKUlT_T0_E_clISt17integral_constantIbLb1EES11_EEDaSW_SX_EUlSW_E_NS1_11comp_targetILNS1_3genE4ELNS1_11target_archE910ELNS1_3gpuE8ELNS1_3repE0EEENS1_30default_config_static_selectorELNS0_4arch9wavefront6targetE1EEEvT1_
; %bb.0:
	s_load_dwordx8 s[88:95], s[4:5], 0x30
	s_load_dwordx2 s[14:15], s[4:5], 0x50
	v_cmp_ne_u32_e64 s[0:1], 0, v0
	v_cmp_eq_u32_e64 s[68:69], 0, v0
	s_and_saveexec_b64 s[2:3], s[68:69]
	s_cbranch_execz .LBB1099_4
; %bb.1:
	s_mov_b64 s[8:9], exec
	v_mbcnt_lo_u32_b32 v1, s8, 0
	v_mbcnt_hi_u32_b32 v1, s9, v1
	v_cmp_eq_u32_e32 vcc, 0, v1
                                        ; implicit-def: $vgpr2
	s_and_saveexec_b64 s[6:7], vcc
	s_cbranch_execz .LBB1099_3
; %bb.2:
	s_load_dwordx2 s[10:11], s[4:5], 0x80
	s_bcnt1_i32_b64 s8, s[8:9]
	v_mov_b32_e32 v2, 0
	v_mov_b32_e32 v3, s8
	s_waitcnt lgkmcnt(0)
	global_atomic_add v2, v2, v3, s[10:11] glc
.LBB1099_3:
	s_or_b64 exec, exec, s[6:7]
	s_waitcnt vmcnt(0)
	v_readfirstlane_b32 s6, v2
	v_add_u32_e32 v1, s6, v1
	v_mov_b32_e32 v2, 0
	ds_write_b32 v2, v1
.LBB1099_4:
	s_or_b64 exec, exec, s[2:3]
	s_load_dwordx8 s[60:67], s[4:5], 0x0
	s_load_dword s2, s[4:5], 0x58
	s_load_dwordx8 s[16:23], s[4:5], 0x60
	v_mov_b32_e32 v1, 0
	s_waitcnt lgkmcnt(0)
	; wave barrier
	s_waitcnt lgkmcnt(0)
	ds_read_b32 v1, v1
	s_lshl_b64 s[4:5], s[62:63], 2
	s_add_u32 s8, s60, s4
	s_addc_u32 s9, s61, s5
	s_lshl_b64 s[60:61], s[62:63], 3
	s_add_u32 s10, s64, s60
	s_mul_i32 s3, s15, s2
	s_mul_hi_u32 s4, s14, s2
	s_addc_u32 s11, s65, s61
	s_add_i32 s12, s4, s3
                                        ; implicit-def: $vgpr135 : SGPR spill to VGPR lane
	s_waitcnt lgkmcnt(0)
	v_readfirstlane_b32 s95, v1
	v_writelane_b32 v135, s14, 0
	s_mul_i32 s13, s14, s2
	s_cmp_lg_u64 s[20:21], 0
	s_mov_b32 s3, 0
	s_mul_i32 s2, s95, 0x540
	s_cselect_b64 s[52:53], -1, 0
	s_lshl_b64 s[4:5], s[2:3], 2
	s_add_u32 s50, s8, s4
	s_addc_u32 s51, s9, s5
	s_lshl_b64 s[2:3], s[2:3], 3
	s_add_u32 s62, s10, s2
	s_addc_u32 s63, s11, s3
	s_add_u32 s54, s13, s95
	v_writelane_b32 v135, s15, 1
	s_addc_u32 s55, s12, 0
	s_mov_b64 s[14:15], s[18:19]
	s_mov_b64 s[18:19], s[22:23]
	s_add_u32 s4, s16, -1
	v_writelane_b32 v135, s12, 2
	v_writelane_b32 v135, s13, 3
	;; [unrolled: 1-line block ×4, first 2 shown]
	s_addc_u32 s5, s17, -1
	v_writelane_b32 v135, s16, 6
	v_pk_mov_b32 v[2:3], s[4:5], s[4:5] op_sel:[0,1]
	v_writelane_b32 v135, s17, 7
	v_cmp_ge_u64_e64 s[86:87], s[54:55], v[2:3]
	s_mov_b64 s[6:7], 0
	s_mov_b64 s[10:11], -1
	v_writelane_b32 v135, s18, 8
	s_and_b64 vcc, exec, s[86:87]
	s_mul_i32 s33, s4, 0xfffffac0
	s_waitcnt lgkmcnt(0)
	; wave barrier
	s_waitcnt lgkmcnt(0)
	s_waitcnt lgkmcnt(0)
	; wave barrier
	v_writelane_b32 v135, s19, 9
	s_cbranch_vccz .LBB1099_116
; %bb.5:
	v_pk_mov_b32 v[2:3], s[50:51], s[50:51] op_sel:[0,1]
	flat_load_dword v2, v[2:3]
	s_add_i32 s65, s33, s94
	v_cmp_gt_u32_e64 s[6:7], s65, v0
	s_waitcnt vmcnt(0) lgkmcnt(0)
	v_mov_b32_e32 v3, v2
	s_and_saveexec_b64 s[4:5], s[6:7]
	s_cbranch_execz .LBB1099_7
; %bb.6:
	v_lshlrev_b32_e32 v1, 2, v0
	v_mov_b32_e32 v3, s51
	v_add_co_u32_e32 v4, vcc, s50, v1
	v_addc_co_u32_e32 v5, vcc, 0, v3, vcc
	flat_load_dword v3, v[4:5]
.LBB1099_7:
	s_or_b64 exec, exec, s[4:5]
	v_or_b32_e32 v1, 64, v0
	v_cmp_gt_u32_e64 s[8:9], s65, v1
	v_mov_b32_e32 v4, v2
	s_and_saveexec_b64 s[4:5], s[8:9]
	s_cbranch_execz .LBB1099_9
; %bb.8:
	v_lshlrev_b32_e32 v1, 2, v0
	v_mov_b32_e32 v5, s51
	v_add_co_u32_e32 v4, vcc, s50, v1
	v_addc_co_u32_e32 v5, vcc, 0, v5, vcc
	flat_load_dword v4, v[4:5] offset:256
.LBB1099_9:
	s_or_b64 exec, exec, s[4:5]
	v_or_b32_e32 v1, 0x80, v0
	v_cmp_gt_u32_e64 s[10:11], s65, v1
	v_mov_b32_e32 v5, v2
	s_and_saveexec_b64 s[4:5], s[10:11]
	s_cbranch_execz .LBB1099_11
; %bb.10:
	v_lshlrev_b32_e32 v1, 2, v0
	v_mov_b32_e32 v5, s51
	v_add_co_u32_e32 v6, vcc, s50, v1
	v_addc_co_u32_e32 v7, vcc, 0, v5, vcc
	flat_load_dword v5, v[6:7] offset:512
.LBB1099_11:
	;; [unrolled: 13-line block ×15, first 2 shown]
	s_or_b64 exec, exec, s[4:5]
	v_or_b32_e32 v56, 0x400, v0
	v_cmp_gt_u32_e64 s[40:41], s65, v56
	v_mov_b32_e32 v19, v2
	s_and_saveexec_b64 s[4:5], s[40:41]
	s_cbranch_execz .LBB1099_39
; %bb.38:
	v_lshlrev_b32_e32 v19, 2, v56
	v_mov_b32_e32 v21, s51
	v_add_co_u32_e32 v20, vcc, s50, v19
	v_addc_co_u32_e32 v21, vcc, 0, v21, vcc
	flat_load_dword v19, v[20:21]
.LBB1099_39:
	s_or_b64 exec, exec, s[4:5]
	v_or_b32_e32 v58, 0x440, v0
	v_cmp_gt_u32_e64 s[42:43], s65, v58
	v_mov_b32_e32 v20, v2
	s_and_saveexec_b64 s[4:5], s[42:43]
	s_cbranch_execz .LBB1099_41
; %bb.40:
	v_lshlrev_b32_e32 v20, 2, v58
	v_mov_b32_e32 v21, s51
	v_add_co_u32_e32 v20, vcc, s50, v20
	v_addc_co_u32_e32 v21, vcc, 0, v21, vcc
	flat_load_dword v20, v[20:21]
.LBB1099_41:
	;; [unrolled: 13-line block ×4, first 2 shown]
	s_or_b64 exec, exec, s[4:5]
	v_or_b32_e32 v65, 0x500, v0
	v_cmp_gt_u32_e64 s[48:49], s65, v65
	s_and_saveexec_b64 s[4:5], s[48:49]
	s_cbranch_execz .LBB1099_47
; %bb.46:
	v_lshlrev_b32_e32 v2, 2, v65
	v_mov_b32_e32 v23, s51
	v_add_co_u32_e32 v24, vcc, s50, v2
	v_addc_co_u32_e32 v25, vcc, 0, v23, vcc
	flat_load_dword v2, v[24:25]
.LBB1099_47:
	s_or_b64 exec, exec, s[4:5]
	v_lshlrev_b32_e32 v23, 2, v0
	s_movk_i32 s4, 0x50
	s_waitcnt vmcnt(0) lgkmcnt(0)
	ds_write2st64_b32 v23, v3, v4 offset1:1
	ds_write2st64_b32 v23, v5, v6 offset0:2 offset1:3
	ds_write2st64_b32 v23, v7, v8 offset0:4 offset1:5
	;; [unrolled: 1-line block ×9, first 2 shown]
	ds_write_b32 v23, v2 offset:5120
	v_mad_u32_u24 v2, v0, s4, v23
	s_waitcnt lgkmcnt(0)
	; wave barrier
	s_waitcnt lgkmcnt(0)
	ds_read2_b32 v[40:41], v2 offset0:7 offset1:8
	ds_read2_b32 v[44:45], v2 offset0:5 offset1:6
	;; [unrolled: 1-line block ×3, first 2 shown]
	ds_read2_b32 v[36:37], v2 offset1:1
	ds_read2_b32 v[32:33], v2 offset0:4 offset1:9
	ds_read2_b32 v[8:9], v2 offset0:15 offset1:16
	ds_read_b32 v64, v2 offset:56
	ds_read2_b32 v[16:17], v2 offset0:12 offset1:13
	ds_read2_b32 v[24:25], v2 offset0:10 offset1:11
	;; [unrolled: 1-line block ×4, first 2 shown]
	s_cmp_eq_u64 s[54:55], 0
	s_mov_b64 s[4:5], s[50:51]
	s_cbranch_scc1 .LBB1099_51
; %bb.48:
	s_andn2_b64 vcc, exec, s[52:53]
	s_cbranch_vccnz .LBB1099_279
; %bb.49:
	v_readlane_b32 s72, v135, 2
	v_readlane_b32 s74, v135, 4
	;; [unrolled: 1-line block ×5, first 2 shown]
	s_lshl_b64 s[4:5], s[54:55], 2
	s_mov_b64 s[74:75], s[78:79]
	s_add_u32 s4, s74, s4
	s_addc_u32 s5, s75, s5
	s_add_u32 s4, s4, -4
	s_addc_u32 s5, s5, -1
	v_readlane_b32 s73, v135, 3
	v_readlane_b32 s76, v135, 6
	;; [unrolled: 1-line block ×3, first 2 shown]
	s_cbranch_execnz .LBB1099_51
.LBB1099_50:
	s_add_u32 s4, s50, -4
	s_addc_u32 s5, s51, -1
.LBB1099_51:
	v_pk_mov_b32 v[6:7], s[4:5], s[4:5] op_sel:[0,1]
	flat_load_dword v68, v[6:7]
	s_movk_i32 s4, 0xffb0
	v_mad_i32_i24 v66, v0, s4, v2
	s_waitcnt lgkmcnt(0)
	ds_write_b32 v66, v5 offset:5376
	s_waitcnt lgkmcnt(0)
	; wave barrier
	s_waitcnt lgkmcnt(0)
	s_and_saveexec_b64 s[4:5], s[0:1]
	s_cbranch_execz .LBB1099_53
; %bb.52:
	s_waitcnt vmcnt(0)
	ds_read_b32 v68, v66 offset:5372
.LBB1099_53:
	s_or_b64 exec, exec, s[4:5]
	s_waitcnt lgkmcnt(0)
	; wave barrier
	s_waitcnt lgkmcnt(0)
                                        ; implicit-def: $vgpr2_vgpr3
	s_and_saveexec_b64 s[4:5], s[6:7]
	s_cbranch_execnz .LBB1099_259
; %bb.54:
	s_or_b64 exec, exec, s[4:5]
                                        ; implicit-def: $vgpr6_vgpr7
	s_and_saveexec_b64 s[4:5], s[8:9]
	s_cbranch_execnz .LBB1099_260
.LBB1099_55:
	s_or_b64 exec, exec, s[4:5]
                                        ; implicit-def: $vgpr10_vgpr11
	s_and_saveexec_b64 s[4:5], s[10:11]
	s_cbranch_execnz .LBB1099_261
.LBB1099_56:
	s_or_b64 exec, exec, s[4:5]
                                        ; implicit-def: $vgpr14_vgpr15
	s_and_saveexec_b64 s[4:5], s[12:13]
	s_cbranch_execnz .LBB1099_262
.LBB1099_57:
	s_or_b64 exec, exec, s[4:5]
                                        ; implicit-def: $vgpr18_vgpr19
	s_and_saveexec_b64 s[4:5], s[14:15]
	s_cbranch_execnz .LBB1099_263
.LBB1099_58:
	s_or_b64 exec, exec, s[4:5]
                                        ; implicit-def: $vgpr20_vgpr21
	s_and_saveexec_b64 s[4:5], s[16:17]
	s_cbranch_execnz .LBB1099_264
.LBB1099_59:
	s_or_b64 exec, exec, s[4:5]
                                        ; implicit-def: $vgpr22_vgpr23
	s_and_saveexec_b64 s[4:5], s[18:19]
	s_cbranch_execnz .LBB1099_265
.LBB1099_60:
	s_or_b64 exec, exec, s[4:5]
                                        ; implicit-def: $vgpr26_vgpr27
	s_and_saveexec_b64 s[4:5], s[20:21]
	s_cbranch_execnz .LBB1099_266
.LBB1099_61:
	s_or_b64 exec, exec, s[4:5]
                                        ; implicit-def: $vgpr30_vgpr31
	s_and_saveexec_b64 s[4:5], s[22:23]
	s_cbranch_execnz .LBB1099_267
.LBB1099_62:
	s_or_b64 exec, exec, s[4:5]
                                        ; implicit-def: $vgpr34_vgpr35
	s_and_saveexec_b64 s[4:5], s[24:25]
	s_cbranch_execnz .LBB1099_268
.LBB1099_63:
	s_or_b64 exec, exec, s[4:5]
                                        ; implicit-def: $vgpr38_vgpr39
	s_and_saveexec_b64 s[4:5], s[26:27]
	s_cbranch_execnz .LBB1099_269
.LBB1099_64:
	s_or_b64 exec, exec, s[4:5]
                                        ; implicit-def: $vgpr42_vgpr43
	s_and_saveexec_b64 s[4:5], s[28:29]
	s_cbranch_execnz .LBB1099_270
.LBB1099_65:
	s_or_b64 exec, exec, s[4:5]
                                        ; implicit-def: $vgpr46_vgpr47
	s_and_saveexec_b64 s[4:5], s[30:31]
	s_cbranch_execnz .LBB1099_271
.LBB1099_66:
	s_or_b64 exec, exec, s[4:5]
                                        ; implicit-def: $vgpr48_vgpr49
	s_and_saveexec_b64 s[4:5], s[34:35]
	s_cbranch_execnz .LBB1099_272
.LBB1099_67:
	s_or_b64 exec, exec, s[4:5]
                                        ; implicit-def: $vgpr50_vgpr51
	s_and_saveexec_b64 s[4:5], s[36:37]
	s_cbranch_execnz .LBB1099_273
.LBB1099_68:
	s_or_b64 exec, exec, s[4:5]
                                        ; implicit-def: $vgpr52_vgpr53
	s_and_saveexec_b64 s[4:5], s[38:39]
	s_cbranch_execnz .LBB1099_274
.LBB1099_69:
	s_or_b64 exec, exec, s[4:5]
                                        ; implicit-def: $vgpr54_vgpr55
	s_and_saveexec_b64 s[4:5], s[40:41]
	s_cbranch_execnz .LBB1099_275
.LBB1099_70:
	s_or_b64 exec, exec, s[4:5]
                                        ; implicit-def: $vgpr56_vgpr57
	s_and_saveexec_b64 s[4:5], s[42:43]
	s_cbranch_execnz .LBB1099_276
.LBB1099_71:
	s_or_b64 exec, exec, s[4:5]
                                        ; implicit-def: $vgpr58_vgpr59
	s_and_saveexec_b64 s[4:5], s[44:45]
	s_cbranch_execnz .LBB1099_277
.LBB1099_72:
	s_or_b64 exec, exec, s[4:5]
                                        ; implicit-def: $vgpr60_vgpr61
	s_and_saveexec_b64 s[4:5], s[46:47]
	s_cbranch_execnz .LBB1099_278
.LBB1099_73:
	s_or_b64 exec, exec, s[4:5]
                                        ; implicit-def: $vgpr62_vgpr63
	s_and_saveexec_b64 s[4:5], s[48:49]
	s_cbranch_execz .LBB1099_75
.LBB1099_74:
	v_lshlrev_b32_e32 v1, 3, v65
	v_mov_b32_e32 v63, s63
	v_add_co_u32_e32 v62, vcc, s62, v1
	v_addc_co_u32_e32 v63, vcc, 0, v63, vcc
	flat_load_dwordx2 v[62:63], v[62:63]
.LBB1099_75:
	s_or_b64 exec, exec, s[4:5]
	v_lshl_add_u32 v69, v0, 2, v66
	v_mul_u32_u24_e32 v65, 21, v0
	s_waitcnt vmcnt(0) lgkmcnt(0)
	ds_write2st64_b64 v69, v[2:3], v[6:7] offset1:1
	ds_write2st64_b64 v69, v[10:11], v[14:15] offset0:2 offset1:3
	ds_write2st64_b64 v69, v[18:19], v[20:21] offset0:4 offset1:5
	;; [unrolled: 1-line block ×9, first 2 shown]
	ds_write_b64 v69, v[62:63] offset:10240
	v_pk_mov_b32 v[10:11], 0, 0
	v_cmp_gt_u32_e32 vcc, s65, v65
	s_mov_b64 s[6:7], 0
	s_mov_b64 s[10:11], 0
	s_mov_b32 s64, 0
	v_mov_b32_e32 v128, 0
	v_mov_b32_e32 v122, 0
	;; [unrolled: 1-line block ×5, first 2 shown]
	v_pk_mov_b32 v[70:71], v[10:11], v[10:11] op_sel:[0,1]
	v_pk_mov_b32 v[78:79], v[10:11], v[10:11] op_sel:[0,1]
	;; [unrolled: 1-line block ×8, first 2 shown]
	v_mov_b32_e32 v124, 0
	v_pk_mov_b32 v[38:39], v[10:11], v[10:11] op_sel:[0,1]
	v_pk_mov_b32 v[50:51], v[10:11], v[10:11] op_sel:[0,1]
	;; [unrolled: 1-line block ×5, first 2 shown]
	v_mov_b32_e32 v123, 0
	v_pk_mov_b32 v[34:35], v[10:11], v[10:11] op_sel:[0,1]
	v_pk_mov_b32 v[14:15], v[10:11], v[10:11] op_sel:[0,1]
	;; [unrolled: 1-line block ×5, first 2 shown]
	v_mov_b32_e32 v1, 0
	v_pk_mov_b32 v[2:3], v[10:11], v[10:11] op_sel:[0,1]
	s_waitcnt lgkmcnt(0)
	; wave barrier
	s_waitcnt lgkmcnt(0)
                                        ; implicit-def: $sgpr4_sgpr5
                                        ; implicit-def: $vgpr83
                                        ; implicit-def: $vgpr82
                                        ; implicit-def: $vgpr84
                                        ; implicit-def: $vgpr85
	s_and_saveexec_b64 s[12:13], vcc
	s_cbranch_execz .LBB1099_115
; %bb.76:
	s_movk_i32 s4, 0xa0
	v_mad_u32_u24 v2, v0, s4, v69
	ds_read_b64 v[2:3], v2
	v_cmp_ne_u32_e32 vcc, v68, v36
	v_add_u32_e32 v6, 1, v65
	v_pk_mov_b32 v[10:11], 0, 0
	v_cndmask_b32_e64 v1, 0, 1, vcc
	v_cmp_gt_u32_e32 vcc, s65, v6
	s_mov_b64 s[18:19], 0
	v_mov_b32_e32 v128, 0
	v_mov_b32_e32 v122, 0
	;; [unrolled: 1-line block ×5, first 2 shown]
	v_pk_mov_b32 v[70:71], v[10:11], v[10:11] op_sel:[0,1]
	v_pk_mov_b32 v[78:79], v[10:11], v[10:11] op_sel:[0,1]
	;; [unrolled: 1-line block ×8, first 2 shown]
	v_mov_b32_e32 v124, 0
	v_pk_mov_b32 v[38:39], v[10:11], v[10:11] op_sel:[0,1]
	v_pk_mov_b32 v[50:51], v[10:11], v[10:11] op_sel:[0,1]
	v_pk_mov_b32 v[30:31], v[10:11], v[10:11] op_sel:[0,1]
	v_pk_mov_b32 v[42:43], v[10:11], v[10:11] op_sel:[0,1]
	v_pk_mov_b32 v[22:23], v[10:11], v[10:11] op_sel:[0,1]
	v_mov_b32_e32 v123, 0
	v_pk_mov_b32 v[34:35], v[10:11], v[10:11] op_sel:[0,1]
	v_pk_mov_b32 v[14:15], v[10:11], v[10:11] op_sel:[0,1]
	;; [unrolled: 1-line block ×5, first 2 shown]
                                        ; implicit-def: $sgpr4_sgpr5
                                        ; implicit-def: $vgpr83
                                        ; implicit-def: $vgpr82
                                        ; implicit-def: $vgpr84
                                        ; implicit-def: $vgpr85
	s_and_saveexec_b64 s[14:15], vcc
	s_cbranch_execz .LBB1099_114
; %bb.77:
	v_mul_u32_u24_e32 v6, 0xa0, v0
	v_add_u32_e32 v48, v69, v6
	ds_read2_b64 v[18:21], v48 offset0:1 offset1:2
	v_cmp_ne_u32_e64 s[4:5], v36, v37
	v_add_u32_e32 v6, 2, v65
	v_pk_mov_b32 v[10:11], 0, 0
	v_cmp_ne_u32_e32 vcc, v28, v29
	v_cmp_ne_u32_e64 s[6:7], v29, v32
	v_cmp_ne_u32_e64 s[8:9], v37, v28
	v_cndmask_b32_e64 v128, 0, 1, s[4:5]
	v_cmp_gt_u32_e64 s[4:5], s65, v6
	s_mov_b64 s[20:21], 0
	v_mov_b32_e32 v127, 0
	v_mov_b32_e32 v122, 0
	;; [unrolled: 1-line block ×4, first 2 shown]
	v_pk_mov_b32 v[70:71], v[10:11], v[10:11] op_sel:[0,1]
	v_pk_mov_b32 v[78:79], v[10:11], v[10:11] op_sel:[0,1]
	;; [unrolled: 1-line block ×8, first 2 shown]
	v_mov_b32_e32 v124, 0
	v_pk_mov_b32 v[38:39], v[10:11], v[10:11] op_sel:[0,1]
	v_pk_mov_b32 v[50:51], v[10:11], v[10:11] op_sel:[0,1]
	;; [unrolled: 1-line block ×5, first 2 shown]
	v_mov_b32_e32 v123, 0
	v_pk_mov_b32 v[34:35], v[10:11], v[10:11] op_sel:[0,1]
	v_pk_mov_b32 v[14:15], v[10:11], v[10:11] op_sel:[0,1]
	;; [unrolled: 1-line block ×4, first 2 shown]
                                        ; implicit-def: $sgpr22_sgpr23
                                        ; implicit-def: $vgpr83
                                        ; implicit-def: $vgpr82
                                        ; implicit-def: $vgpr84
                                        ; implicit-def: $vgpr85
	s_and_saveexec_b64 s[16:17], s[4:5]
	s_cbranch_execz .LBB1099_113
; %bb.78:
	v_cndmask_b32_e64 v6, 0, 1, s[8:9]
	v_cndmask_b32_e64 v7, 0, 1, s[6:7]
	v_lshlrev_b16_e32 v6, 8, v6
	v_lshlrev_b16_e32 v7, 8, v7
	v_cndmask_b32_e64 v10, 0, 1, vcc
	v_or_b32_e32 v6, v128, v6
	v_or_b32_sdwa v7, v10, v7 dst_sel:WORD_1 dst_unused:UNUSED_PAD src0_sel:DWORD src1_sel:DWORD
	v_add_u32_e32 v10, 3, v65
	v_or_b32_sdwa v83, v6, v7 dst_sel:DWORD dst_unused:UNUSED_PAD src0_sel:WORD_0 src1_sel:DWORD
	v_cmp_gt_u32_e32 vcc, s65, v10
	v_pk_mov_b32 v[10:11], 0, 0
	v_and_b32_e32 v128, 0xffff, v83
	s_waitcnt lgkmcnt(0)
	v_mov_b32_e32 v6, v20
	v_mov_b32_e32 v7, v21
	s_mov_b64 s[4:5], 0
	v_mov_b32_e32 v127, 0
	v_mov_b32_e32 v122, 0
	;; [unrolled: 1-line block ×4, first 2 shown]
	v_pk_mov_b32 v[70:71], v[10:11], v[10:11] op_sel:[0,1]
	v_pk_mov_b32 v[78:79], v[10:11], v[10:11] op_sel:[0,1]
	;; [unrolled: 1-line block ×8, first 2 shown]
	v_mov_b32_e32 v124, 0
	v_pk_mov_b32 v[38:39], v[10:11], v[10:11] op_sel:[0,1]
	v_pk_mov_b32 v[50:51], v[10:11], v[10:11] op_sel:[0,1]
	;; [unrolled: 1-line block ×5, first 2 shown]
	v_mov_b32_e32 v123, 0
	v_pk_mov_b32 v[34:35], v[10:11], v[10:11] op_sel:[0,1]
	v_pk_mov_b32 v[14:15], v[10:11], v[10:11] op_sel:[0,1]
	;; [unrolled: 1-line block ×3, first 2 shown]
                                        ; implicit-def: $sgpr6_sgpr7
                                        ; implicit-def: $vgpr82
                                        ; implicit-def: $vgpr84
                                        ; implicit-def: $vgpr85
	s_and_saveexec_b64 s[18:19], vcc
	s_cbranch_execz .LBB1099_112
; %bb.79:
	ds_read2_b64 v[26:29], v48 offset0:3 offset1:4
	v_add_u32_e32 v10, 4, v65
	v_cmp_gt_u32_e32 vcc, s65, v10
	v_pk_mov_b32 v[10:11], 0, 0
	v_and_b32_e32 v128, 0xffffff, v83
	s_mov_b64 s[6:7], 0
	v_mov_b32_e32 v127, 0
	v_mov_b32_e32 v122, 0
	;; [unrolled: 1-line block ×4, first 2 shown]
	v_pk_mov_b32 v[70:71], v[10:11], v[10:11] op_sel:[0,1]
	v_pk_mov_b32 v[78:79], v[10:11], v[10:11] op_sel:[0,1]
	;; [unrolled: 1-line block ×8, first 2 shown]
	v_mov_b32_e32 v124, 0
	v_pk_mov_b32 v[38:39], v[10:11], v[10:11] op_sel:[0,1]
	v_pk_mov_b32 v[50:51], v[10:11], v[10:11] op_sel:[0,1]
	v_pk_mov_b32 v[30:31], v[10:11], v[10:11] op_sel:[0,1]
	v_pk_mov_b32 v[42:43], v[10:11], v[10:11] op_sel:[0,1]
	v_pk_mov_b32 v[22:23], v[10:11], v[10:11] op_sel:[0,1]
	v_mov_b32_e32 v123, 0
	v_pk_mov_b32 v[34:35], v[10:11], v[10:11] op_sel:[0,1]
	v_pk_mov_b32 v[14:15], v[10:11], v[10:11] op_sel:[0,1]
                                        ; implicit-def: $sgpr8_sgpr9
                                        ; implicit-def: $vgpr82
                                        ; implicit-def: $vgpr84
                                        ; implicit-def: $vgpr85
	s_and_saveexec_b64 s[20:21], vcc
	s_cbranch_execz .LBB1099_111
; %bb.80:
	v_add_u32_e32 v10, 5, v65
	v_cmp_gt_u32_e32 vcc, s65, v10
	v_pk_mov_b32 v[10:11], 0, 0
	s_waitcnt lgkmcnt(0)
	v_mov_b32_e32 v14, v28
	v_mov_b32_e32 v15, v29
	;; [unrolled: 1-line block ×6, first 2 shown]
	v_pk_mov_b32 v[70:71], v[10:11], v[10:11] op_sel:[0,1]
	v_pk_mov_b32 v[78:79], v[10:11], v[10:11] op_sel:[0,1]
	;; [unrolled: 1-line block ×8, first 2 shown]
	v_mov_b32_e32 v124, 0
	v_pk_mov_b32 v[38:39], v[10:11], v[10:11] op_sel:[0,1]
	v_pk_mov_b32 v[50:51], v[10:11], v[10:11] op_sel:[0,1]
	;; [unrolled: 1-line block ×5, first 2 shown]
	v_mov_b32_e32 v123, 0
	v_pk_mov_b32 v[34:35], v[10:11], v[10:11] op_sel:[0,1]
                                        ; implicit-def: $sgpr8_sgpr9
                                        ; implicit-def: $vgpr82
                                        ; implicit-def: $vgpr84
                                        ; implicit-def: $vgpr85
	s_and_saveexec_b64 s[22:23], vcc
	s_cbranch_execz .LBB1099_110
; %bb.81:
	ds_read2_b64 v[34:37], v48 offset0:5 offset1:6
	v_cmp_ne_u32_e32 vcc, v32, v44
	v_add_u32_e32 v10, 6, v65
	v_cndmask_b32_e64 v123, 0, 1, vcc
	v_cmp_gt_u32_e32 vcc, s65, v10
	v_pk_mov_b32 v[10:11], 0, 0
	s_mov_b64 s[28:29], 0
	v_mov_b32_e32 v127, 0
	v_mov_b32_e32 v122, 0
	;; [unrolled: 1-line block ×4, first 2 shown]
	v_pk_mov_b32 v[70:71], v[10:11], v[10:11] op_sel:[0,1]
	v_pk_mov_b32 v[78:79], v[10:11], v[10:11] op_sel:[0,1]
	;; [unrolled: 1-line block ×8, first 2 shown]
	v_mov_b32_e32 v124, 0
	v_pk_mov_b32 v[38:39], v[10:11], v[10:11] op_sel:[0,1]
	v_pk_mov_b32 v[50:51], v[10:11], v[10:11] op_sel:[0,1]
	;; [unrolled: 1-line block ×5, first 2 shown]
                                        ; implicit-def: $sgpr6_sgpr7
                                        ; implicit-def: $vgpr82
                                        ; implicit-def: $vgpr84
                                        ; implicit-def: $vgpr85
	s_and_saveexec_b64 s[24:25], vcc
	s_cbranch_execz .LBB1099_109
; %bb.82:
	v_cmp_ne_u32_e64 s[4:5], v44, v45
	v_add_u32_e32 v10, 7, v65
	v_cndmask_b32_e64 v127, 0, 1, s[4:5]
	v_cmp_gt_u32_e64 s[4:5], s65, v10
	v_pk_mov_b32 v[10:11], 0, 0
	s_waitcnt lgkmcnt(0)
	v_mov_b32_e32 v22, v36
	v_mov_b32_e32 v23, v37
	v_cmp_ne_u32_e32 vcc, v40, v41
	v_cmp_ne_u32_e64 s[6:7], v41, v33
	v_cmp_ne_u32_e64 s[8:9], v45, v40
	s_mov_b64 s[30:31], 0
	v_mov_b32_e32 v126, 0
	v_mov_b32_e32 v122, 0
	;; [unrolled: 1-line block ×3, first 2 shown]
	v_pk_mov_b32 v[70:71], v[10:11], v[10:11] op_sel:[0,1]
	v_pk_mov_b32 v[78:79], v[10:11], v[10:11] op_sel:[0,1]
	;; [unrolled: 1-line block ×8, first 2 shown]
	v_mov_b32_e32 v124, 0
	v_pk_mov_b32 v[38:39], v[10:11], v[10:11] op_sel:[0,1]
	v_pk_mov_b32 v[50:51], v[10:11], v[10:11] op_sel:[0,1]
	;; [unrolled: 1-line block ×4, first 2 shown]
                                        ; implicit-def: $sgpr34_sgpr35
                                        ; implicit-def: $vgpr82
                                        ; implicit-def: $vgpr84
                                        ; implicit-def: $vgpr85
	s_and_saveexec_b64 s[26:27], s[4:5]
	s_cbranch_execz .LBB1099_108
; %bb.83:
	v_cndmask_b32_e64 v10, 0, 1, s[8:9]
	v_cndmask_b32_e64 v11, 0, 1, s[6:7]
	v_lshlrev_b16_e32 v10, 8, v10
	v_lshlrev_b16_e32 v11, 8, v11
	v_cndmask_b32_e64 v20, 0, 1, vcc
	ds_read2_b64 v[42:45], v48 offset0:7 offset1:8
	v_or_b32_e32 v10, v127, v10
	v_or_b32_sdwa v11, v20, v11 dst_sel:WORD_1 dst_unused:UNUSED_PAD src0_sel:DWORD src1_sel:DWORD
	v_or_b32_sdwa v82, v10, v11 dst_sel:DWORD dst_unused:UNUSED_PAD src0_sel:WORD_0 src1_sel:DWORD
	v_add_u32_e32 v10, 8, v65
	v_cmp_gt_u32_e32 vcc, s65, v10
	v_pk_mov_b32 v[10:11], 0, 0
	v_and_b32_e32 v127, 0xffff, v82
	s_mov_b64 s[4:5], 0
	v_mov_b32_e32 v126, 0
	v_mov_b32_e32 v122, 0
	;; [unrolled: 1-line block ×3, first 2 shown]
	v_pk_mov_b32 v[70:71], v[10:11], v[10:11] op_sel:[0,1]
	v_pk_mov_b32 v[78:79], v[10:11], v[10:11] op_sel:[0,1]
	;; [unrolled: 1-line block ×8, first 2 shown]
	v_mov_b32_e32 v124, 0
	v_pk_mov_b32 v[38:39], v[10:11], v[10:11] op_sel:[0,1]
	v_pk_mov_b32 v[50:51], v[10:11], v[10:11] op_sel:[0,1]
	;; [unrolled: 1-line block ×3, first 2 shown]
                                        ; implicit-def: $sgpr6_sgpr7
                                        ; implicit-def: $vgpr84
                                        ; implicit-def: $vgpr85
	s_and_saveexec_b64 s[28:29], vcc
	s_cbranch_execz .LBB1099_107
; %bb.84:
	v_add_u32_e32 v10, 9, v65
	v_cmp_gt_u32_e32 vcc, s65, v10
	v_pk_mov_b32 v[10:11], 0, 0
	s_waitcnt lgkmcnt(0)
	v_mov_b32_e32 v30, v44
	v_mov_b32_e32 v31, v45
	v_and_b32_e32 v127, 0xffffff, v82
	s_mov_b64 s[6:7], 0
	v_mov_b32_e32 v126, 0
	v_mov_b32_e32 v122, 0
	;; [unrolled: 1-line block ×3, first 2 shown]
	v_pk_mov_b32 v[70:71], v[10:11], v[10:11] op_sel:[0,1]
	v_pk_mov_b32 v[78:79], v[10:11], v[10:11] op_sel:[0,1]
	;; [unrolled: 1-line block ×8, first 2 shown]
	v_mov_b32_e32 v124, 0
	v_pk_mov_b32 v[38:39], v[10:11], v[10:11] op_sel:[0,1]
	v_pk_mov_b32 v[50:51], v[10:11], v[10:11] op_sel:[0,1]
                                        ; implicit-def: $sgpr8_sgpr9
                                        ; implicit-def: $vgpr84
                                        ; implicit-def: $vgpr85
	s_and_saveexec_b64 s[30:31], vcc
	s_cbranch_execz .LBB1099_106
; %bb.85:
	ds_read2_b64 v[50:53], v48 offset0:9 offset1:10
	v_add_u32_e32 v10, 10, v65
	v_cmp_gt_u32_e32 vcc, s65, v10
	v_pk_mov_b32 v[10:11], 0, 0
	v_mov_b32_e32 v126, 0
	v_mov_b32_e32 v122, 0
	;; [unrolled: 1-line block ×3, first 2 shown]
	v_pk_mov_b32 v[70:71], v[10:11], v[10:11] op_sel:[0,1]
	v_pk_mov_b32 v[78:79], v[10:11], v[10:11] op_sel:[0,1]
	v_pk_mov_b32 v[62:63], v[10:11], v[10:11] op_sel:[0,1]
	v_pk_mov_b32 v[74:75], v[10:11], v[10:11] op_sel:[0,1]
	v_pk_mov_b32 v[54:55], v[10:11], v[10:11] op_sel:[0,1]
	v_pk_mov_b32 v[66:67], v[10:11], v[10:11] op_sel:[0,1]
	v_pk_mov_b32 v[46:47], v[10:11], v[10:11] op_sel:[0,1]
	v_pk_mov_b32 v[58:59], v[10:11], v[10:11] op_sel:[0,1]
	v_mov_b32_e32 v124, 0
	v_pk_mov_b32 v[38:39], v[10:11], v[10:11] op_sel:[0,1]
                                        ; implicit-def: $sgpr8_sgpr9
                                        ; implicit-def: $vgpr84
                                        ; implicit-def: $vgpr85
	s_and_saveexec_b64 s[34:35], vcc
	s_cbranch_execz .LBB1099_105
; %bb.86:
	v_cmp_ne_u32_e32 vcc, v33, v24
	v_add_u32_e32 v10, 11, v65
	v_cndmask_b32_e64 v124, 0, 1, vcc
	v_cmp_gt_u32_e32 vcc, s65, v10
	v_pk_mov_b32 v[10:11], 0, 0
	s_waitcnt lgkmcnt(0)
	v_mov_b32_e32 v38, v52
	v_mov_b32_e32 v39, v53
	s_mov_b64 s[40:41], 0
	v_mov_b32_e32 v126, 0
	v_mov_b32_e32 v122, 0
	;; [unrolled: 1-line block ×3, first 2 shown]
	v_pk_mov_b32 v[70:71], v[10:11], v[10:11] op_sel:[0,1]
	v_pk_mov_b32 v[78:79], v[10:11], v[10:11] op_sel:[0,1]
	v_pk_mov_b32 v[62:63], v[10:11], v[10:11] op_sel:[0,1]
	v_pk_mov_b32 v[74:75], v[10:11], v[10:11] op_sel:[0,1]
	v_pk_mov_b32 v[54:55], v[10:11], v[10:11] op_sel:[0,1]
	v_pk_mov_b32 v[66:67], v[10:11], v[10:11] op_sel:[0,1]
	v_pk_mov_b32 v[46:47], v[10:11], v[10:11] op_sel:[0,1]
	v_pk_mov_b32 v[58:59], v[10:11], v[10:11] op_sel:[0,1]
                                        ; implicit-def: $sgpr6_sgpr7
                                        ; implicit-def: $vgpr84
                                        ; implicit-def: $vgpr85
	s_and_saveexec_b64 s[36:37], vcc
	s_cbranch_execz .LBB1099_104
; %bb.87:
	ds_read2_b64 v[58:61], v48 offset0:11 offset1:12
	v_cmp_ne_u32_e64 s[4:5], v24, v25
	v_add_u32_e32 v10, 12, v65
	v_cndmask_b32_e64 v126, 0, 1, s[4:5]
	v_cmp_gt_u32_e64 s[4:5], s65, v10
	v_pk_mov_b32 v[10:11], 0, 0
	v_cmp_ne_u32_e32 vcc, v16, v17
	v_cmp_ne_u32_e64 s[6:7], v17, v64
	v_cmp_ne_u32_e64 s[8:9], v25, v16
	s_mov_b64 s[42:43], 0
	v_mov_b32_e32 v125, 0
	v_mov_b32_e32 v122, 0
	v_pk_mov_b32 v[70:71], v[10:11], v[10:11] op_sel:[0,1]
	v_pk_mov_b32 v[78:79], v[10:11], v[10:11] op_sel:[0,1]
	;; [unrolled: 1-line block ×7, first 2 shown]
                                        ; implicit-def: $sgpr44_sgpr45
                                        ; implicit-def: $vgpr84
                                        ; implicit-def: $vgpr85
	s_and_saveexec_b64 s[38:39], s[4:5]
	s_cbranch_execz .LBB1099_103
; %bb.88:
	v_cndmask_b32_e64 v10, 0, 1, s[8:9]
	v_cndmask_b32_e64 v11, 0, 1, s[6:7]
	v_lshlrev_b16_e32 v10, 8, v10
	v_lshlrev_b16_e32 v11, 8, v11
	v_cndmask_b32_e64 v16, 0, 1, vcc
	v_or_b32_e32 v10, v126, v10
	v_or_b32_sdwa v11, v16, v11 dst_sel:WORD_1 dst_unused:UNUSED_PAD src0_sel:DWORD src1_sel:DWORD
	v_or_b32_sdwa v84, v10, v11 dst_sel:DWORD dst_unused:UNUSED_PAD src0_sel:WORD_0 src1_sel:DWORD
	v_add_u32_e32 v10, 13, v65
	v_cmp_gt_u32_e32 vcc, s65, v10
	v_pk_mov_b32 v[10:11], 0, 0
	s_mov_b64 s[70:71], s[0:1]
	s_mov_b64 s[0:1], s[68:69]
	;; [unrolled: 1-line block ×4, first 2 shown]
	v_and_b32_e32 v126, 0xffff, v84
	s_waitcnt lgkmcnt(0)
	v_mov_b32_e32 v46, v60
	v_mov_b32_e32 v47, v61
	s_mov_b64 s[4:5], 0
	v_mov_b32_e32 v125, 0
	v_mov_b32_e32 v122, 0
	v_pk_mov_b32 v[70:71], v[10:11], v[10:11] op_sel:[0,1]
	v_pk_mov_b32 v[78:79], v[10:11], v[10:11] op_sel:[0,1]
	;; [unrolled: 1-line block ×6, first 2 shown]
                                        ; implicit-def: $sgpr6_sgpr7
                                        ; implicit-def: $vgpr85
	s_and_saveexec_b64 s[40:41], vcc
	s_cbranch_execz .LBB1099_102
; %bb.89:
	ds_read2_b64 v[66:69], v48 offset0:13 offset1:14
	v_add_u32_e32 v10, 14, v65
	v_cmp_gt_u32_e32 vcc, s65, v10
	v_pk_mov_b32 v[10:11], 0, 0
	v_and_b32_e32 v126, 0xffffff, v84
	s_mov_b64 s[6:7], 0
	v_mov_b32_e32 v125, 0
	v_mov_b32_e32 v122, 0
	v_pk_mov_b32 v[70:71], v[10:11], v[10:11] op_sel:[0,1]
	v_pk_mov_b32 v[78:79], v[10:11], v[10:11] op_sel:[0,1]
	;; [unrolled: 1-line block ×5, first 2 shown]
                                        ; implicit-def: $sgpr8_sgpr9
                                        ; implicit-def: $vgpr85
	s_and_saveexec_b64 s[42:43], vcc
	s_cbranch_execz .LBB1099_101
; %bb.90:
	v_add_u32_e32 v10, 15, v65
	v_cmp_gt_u32_e32 vcc, s65, v10
	v_pk_mov_b32 v[10:11], 0, 0
	s_waitcnt lgkmcnt(0)
	v_mov_b32_e32 v54, v68
	v_mov_b32_e32 v55, v69
	;; [unrolled: 1-line block ×4, first 2 shown]
	v_pk_mov_b32 v[70:71], v[10:11], v[10:11] op_sel:[0,1]
	v_pk_mov_b32 v[78:79], v[10:11], v[10:11] op_sel:[0,1]
	;; [unrolled: 1-line block ×4, first 2 shown]
                                        ; implicit-def: $sgpr8_sgpr9
                                        ; implicit-def: $vgpr85
	s_and_saveexec_b64 s[44:45], vcc
	s_cbranch_execz .LBB1099_100
; %bb.91:
	ds_read2_b64 v[74:77], v48 offset0:15 offset1:16
	v_cmp_ne_u32_e32 vcc, v64, v8
	v_add_u32_e32 v10, 16, v65
	v_cndmask_b32_e64 v122, 0, 1, vcc
	v_cmp_gt_u32_e32 vcc, s65, v10
	v_pk_mov_b32 v[10:11], 0, 0
	s_mov_b64 s[56:57], 0
	v_mov_b32_e32 v125, 0
	v_pk_mov_b32 v[70:71], v[10:11], v[10:11] op_sel:[0,1]
	v_pk_mov_b32 v[78:79], v[10:11], v[10:11] op_sel:[0,1]
	;; [unrolled: 1-line block ×3, first 2 shown]
                                        ; implicit-def: $sgpr6_sgpr7
                                        ; implicit-def: $vgpr85
	s_and_saveexec_b64 s[46:47], vcc
	s_cbranch_execz .LBB1099_99
; %bb.92:
	v_cmp_ne_u32_e64 s[4:5], v8, v9
	v_add_u32_e32 v8, 17, v65
	v_pk_mov_b32 v[10:11], 0, 0
	s_waitcnt lgkmcnt(0)
	v_mov_b32_e32 v62, v76
	v_mov_b32_e32 v63, v77
	v_cmp_ne_u32_e32 vcc, v12, v13
	v_cmp_ne_u32_e64 s[6:7], v13, v4
	v_cmp_ne_u32_e64 s[8:9], v9, v12
	v_cndmask_b32_e64 v125, 0, 1, s[4:5]
	v_cmp_gt_u32_e64 s[4:5], s65, v8
	s_mov_b64 s[58:59], 0
	v_pk_mov_b32 v[70:71], v[10:11], v[10:11] op_sel:[0,1]
	v_pk_mov_b32 v[78:79], v[10:11], v[10:11] op_sel:[0,1]
                                        ; implicit-def: $sgpr60_sgpr61
                                        ; implicit-def: $vgpr85
	s_and_saveexec_b64 s[48:49], s[4:5]
	s_cbranch_execz .LBB1099_98
; %bb.93:
	v_cndmask_b32_e64 v8, 0, 1, s[8:9]
	v_cndmask_b32_e64 v9, 0, 1, s[6:7]
	ds_read2_b64 v[78:81], v48 offset0:17 offset1:18
	v_lshlrev_b16_e32 v8, 8, v8
	v_lshlrev_b16_e32 v9, 8, v9
	v_cndmask_b32_e64 v10, 0, 1, vcc
	v_or_b32_e32 v8, v125, v8
	v_or_b32_sdwa v9, v10, v9 dst_sel:WORD_1 dst_unused:UNUSED_PAD src0_sel:DWORD src1_sel:DWORD
	v_or_b32_sdwa v85, v8, v9 dst_sel:DWORD dst_unused:UNUSED_PAD src0_sel:WORD_0 src1_sel:DWORD
	v_add_u32_e32 v8, 18, v65
	v_pk_mov_b32 v[10:11], 0, 0
	v_and_b32_e32 v125, 0xffff, v85
	v_cmp_gt_u32_e32 vcc, s65, v8
	s_mov_b64 s[4:5], 0
	v_pk_mov_b32 v[70:71], v[10:11], v[10:11] op_sel:[0,1]
                                        ; implicit-def: $sgpr8_sgpr9
	s_and_saveexec_b64 s[6:7], vcc
	s_cbranch_execz .LBB1099_97
; %bb.94:
	v_add_u32_e32 v8, 19, v65
	s_waitcnt lgkmcnt(0)
	v_mov_b32_e32 v70, v80
	v_mov_b32_e32 v71, v81
	v_cmp_gt_u32_e32 vcc, s65, v8
	v_and_b32_e32 v125, 0xffffff, v85
	v_pk_mov_b32 v[10:11], 0, 0
                                        ; implicit-def: $sgpr8_sgpr9
	s_and_saveexec_b64 s[56:57], vcc
	s_xor_b64 s[56:57], exec, s[56:57]
	s_cbranch_execz .LBB1099_96
; %bb.95:
	ds_read2_b64 v[10:13], v48 offset0:19 offset1:20
	v_cmp_ne_u32_e32 vcc, v4, v5
	v_add_u32_e32 v4, 20, v65
	v_cmp_gt_u32_e64 s[4:5], s65, v4
	s_and_b64 s[8:9], vcc, exec
	s_and_b64 s[4:5], s[4:5], exec
	s_waitcnt lgkmcnt(0)
	v_pk_mov_b32 v[72:73], v[10:11], v[10:11] op_sel:[0,1]
	v_mov_b32_e32 v125, v85
.LBB1099_96:
	s_or_b64 exec, exec, s[56:57]
	s_and_b64 s[8:9], s[8:9], exec
	s_and_b64 s[58:59], s[4:5], exec
.LBB1099_97:
	s_or_b64 exec, exec, s[6:7]
	s_and_b64 s[60:61], s[8:9], exec
	s_and_b64 s[56:57], s[58:59], exec
	s_waitcnt lgkmcnt(0)
	v_pk_mov_b32 v[64:65], v[78:79], v[78:79] op_sel:[0,1]
	v_pk_mov_b32 v[56:57], v[74:75], v[74:75] op_sel:[0,1]
	;; [unrolled: 1-line block ×9, first 2 shown]
.LBB1099_98:
	s_or_b64 exec, exec, s[48:49]
	s_and_b64 s[6:7], s[60:61], exec
	s_and_b64 s[4:5], s[56:57], exec
.LBB1099_99:
	s_or_b64 exec, exec, s[46:47]
	s_and_b64 s[8:9], s[6:7], exec
	s_and_b64 s[6:7], s[4:5], exec
.LBB1099_100:
	s_or_b64 exec, exec, s[44:45]
	s_and_b64 s[8:9], s[8:9], exec
	s_and_b64 s[4:5], s[6:7], exec
	v_mov_b32_e32 v126, v84
.LBB1099_101:
	s_or_b64 exec, exec, s[42:43]
	s_and_b64 s[6:7], s[8:9], exec
	s_and_b64 s[42:43], s[4:5], exec
.LBB1099_102:
	s_or_b64 exec, exec, s[40:41]
	s_and_b64 s[44:45], s[6:7], exec
	s_and_b64 s[40:41], s[42:43], exec
	s_mov_b64 s[66:67], s[74:75]
	s_mov_b64 s[60:61], s[68:69]
	;; [unrolled: 1-line block ×4, first 2 shown]
.LBB1099_103:
	s_or_b64 exec, exec, s[38:39]
	s_and_b64 s[6:7], s[44:45], exec
	s_and_b64 s[4:5], s[40:41], exec
.LBB1099_104:
	s_or_b64 exec, exec, s[36:37]
	s_and_b64 s[8:9], s[6:7], exec
	s_and_b64 s[6:7], s[4:5], exec
.LBB1099_105:
	s_or_b64 exec, exec, s[34:35]
	s_and_b64 s[8:9], s[8:9], exec
	s_and_b64 s[4:5], s[6:7], exec
	v_mov_b32_e32 v127, v82
.LBB1099_106:
	s_or_b64 exec, exec, s[30:31]
	s_and_b64 s[6:7], s[8:9], exec
	s_and_b64 s[30:31], s[4:5], exec
.LBB1099_107:
	s_or_b64 exec, exec, s[28:29]
	s_and_b64 s[34:35], s[6:7], exec
	s_and_b64 s[28:29], s[30:31], exec
.LBB1099_108:
	s_or_b64 exec, exec, s[26:27]
	s_and_b64 s[6:7], s[34:35], exec
	s_and_b64 s[4:5], s[28:29], exec
.LBB1099_109:
	s_or_b64 exec, exec, s[24:25]
	s_and_b64 s[8:9], s[6:7], exec
	s_and_b64 s[6:7], s[4:5], exec
.LBB1099_110:
	s_or_b64 exec, exec, s[22:23]
	s_and_b64 s[8:9], s[8:9], exec
	s_and_b64 s[4:5], s[6:7], exec
	v_mov_b32_e32 v128, v83
.LBB1099_111:
	s_or_b64 exec, exec, s[20:21]
	s_and_b64 s[6:7], s[8:9], exec
	s_and_b64 s[20:21], s[4:5], exec
.LBB1099_112:
	s_or_b64 exec, exec, s[18:19]
	s_and_b64 s[22:23], s[6:7], exec
	s_and_b64 s[18:19], s[20:21], exec
.LBB1099_113:
	s_or_b64 exec, exec, s[16:17]
	s_and_b64 s[4:5], s[22:23], exec
	s_and_b64 s[6:7], s[18:19], exec
.LBB1099_114:
	s_or_b64 exec, exec, s[14:15]
	s_and_b64 s[4:5], s[4:5], exec
	s_and_b64 s[6:7], s[6:7], exec
.LBB1099_115:
	s_or_b64 exec, exec, s[12:13]
	s_mov_b64 s[8:9], 0
	s_and_b64 vcc, exec, s[10:11]
	s_cbranch_vccnz .LBB1099_117
	s_branch .LBB1099_125
.LBB1099_116:
                                        ; implicit-def: $sgpr4_sgpr5
                                        ; implicit-def: $vgpr83
                                        ; implicit-def: $vgpr82
                                        ; implicit-def: $vgpr84
                                        ; implicit-def: $vgpr85
                                        ; implicit-def: $vgpr12_vgpr13
                                        ; implicit-def: $vgpr72_vgpr73
                                        ; implicit-def: $vgpr64_vgpr65
                                        ; implicit-def: $vgpr122
                                        ; implicit-def: $vgpr56_vgpr57
                                        ; implicit-def: $vgpr48_vgpr49
                                        ; implicit-def: $vgpr40_vgpr41
                                        ; implicit-def: $vgpr124
                                        ; implicit-def: $vgpr32_vgpr33
                                        ; implicit-def: $vgpr24_vgpr25
                                        ; implicit-def: $vgpr123
                                        ; implicit-def: $vgpr16_vgpr17
                                        ; implicit-def: $vgpr8_vgpr9
                                        ; implicit-def: $vgpr4_vgpr5
                                        ; implicit-def: $vgpr1
                                        ; implicit-def: $vgpr128
                                        ; implicit-def: $vgpr127
                                        ; implicit-def: $vgpr126
                                        ; implicit-def: $vgpr125
                                        ; implicit-def: $sgpr64
                                        ; implicit-def: $sgpr8_sgpr9
                                        ; implicit-def: $vgpr78_vgpr79
                                        ; implicit-def: $vgpr74_vgpr75
                                        ; implicit-def: $vgpr66_vgpr67
                                        ; implicit-def: $vgpr58_vgpr59
                                        ; implicit-def: $vgpr50_vgpr51
                                        ; implicit-def: $vgpr42_vgpr43
                                        ; implicit-def: $vgpr34_vgpr35
                                        ; implicit-def: $vgpr26_vgpr27
                                        ; implicit-def: $vgpr18_vgpr19
	s_and_b64 vcc, exec, s[10:11]
	s_cbranch_vccz .LBB1099_125
.LBB1099_117:
	v_lshlrev_b32_e32 v1, 2, v0
	s_waitcnt lgkmcnt(0)
	v_mov_b32_e32 v3, s51
	v_add_co_u32_e32 v2, vcc, s50, v1
	v_addc_co_u32_e32 v3, vcc, 0, v3, vcc
	s_movk_i32 s4, 0x1000
	flat_load_dword v4, v[2:3]
	flat_load_dword v5, v[2:3] offset:256
	flat_load_dword v6, v[2:3] offset:512
	;; [unrolled: 1-line block ×15, first 2 shown]
	v_add_co_u32_e32 v2, vcc, s4, v2
	v_addc_co_u32_e32 v3, vcc, 0, v3, vcc
	flat_load_dword v20, v[2:3]
	flat_load_dword v21, v[2:3] offset:256
	flat_load_dword v22, v[2:3] offset:512
	flat_load_dword v24, v[2:3] offset:768
	flat_load_dword v25, v[2:3] offset:1024
	s_movk_i32 s4, 0x50
	v_mad_u32_u24 v23, v0, s4, v1
	s_cmp_eq_u64 s[54:55], 0
	s_waitcnt vmcnt(0) lgkmcnt(0)
	ds_write2st64_b32 v1, v4, v5 offset1:1
	ds_write2st64_b32 v1, v6, v7 offset0:2 offset1:3
	ds_write2st64_b32 v1, v8, v9 offset0:4 offset1:5
	;; [unrolled: 1-line block ×9, first 2 shown]
	ds_write_b32 v1, v25 offset:5120
	s_waitcnt lgkmcnt(0)
	; wave barrier
	s_waitcnt lgkmcnt(0)
	ds_read2_b32 v[8:9], v23 offset0:7 offset1:8
	ds_read2_b32 v[6:7], v23 offset0:5 offset1:6
	;; [unrolled: 1-line block ×3, first 2 shown]
	ds_read2_b32 v[10:11], v23 offset1:1
	ds_read2_b32 v[4:5], v23 offset0:4 offset1:9
	ds_read2_b32 v[16:17], v23 offset0:15 offset1:16
	ds_read_b32 v22, v23 offset:56
	ds_read2_b32 v[14:15], v23 offset0:12 offset1:13
	ds_read2_b32 v[12:13], v23 offset0:10 offset1:11
	;; [unrolled: 1-line block ×4, first 2 shown]
	s_cbranch_scc1 .LBB1099_122
; %bb.118:
	s_andn2_b64 vcc, exec, s[52:53]
	s_cbranch_vccnz .LBB1099_280
; %bb.119:
	v_readlane_b32 s8, v135, 2
	v_readlane_b32 s10, v135, 4
	v_readlane_b32 s11, v135, 5
	v_readlane_b32 s14, v135, 8
	v_readlane_b32 s15, v135, 9
	s_lshl_b64 s[4:5], s[54:55], 2
	s_mov_b64 s[10:11], s[14:15]
	s_add_u32 s4, s10, s4
	s_addc_u32 s5, s11, s5
	s_add_u32 s4, s4, -4
	s_addc_u32 s5, s5, -1
	v_readlane_b32 s9, v135, 3
	v_readlane_b32 s12, v135, 6
	;; [unrolled: 1-line block ×3, first 2 shown]
	s_cbranch_execnz .LBB1099_121
.LBB1099_120:
	s_add_u32 s4, s50, -4
	s_addc_u32 s5, s51, -1
.LBB1099_121:
	s_mov_b64 s[50:51], s[4:5]
.LBB1099_122:
	v_pk_mov_b32 v[24:25], s[50:51], s[50:51] op_sel:[0,1]
	flat_load_dword v1, v[24:25]
	s_movk_i32 s4, 0xffb0
	v_mad_i32_i24 v23, v0, s4, v23
	s_waitcnt lgkmcnt(0)
	ds_write_b32 v23, v21 offset:5376
	s_waitcnt lgkmcnt(0)
	; wave barrier
	s_waitcnt lgkmcnt(0)
	s_and_saveexec_b64 s[4:5], s[0:1]
	s_cbranch_execz .LBB1099_124
; %bb.123:
	s_waitcnt vmcnt(0)
	ds_read_b32 v1, v23 offset:5372
.LBB1099_124:
	s_or_b64 exec, exec, s[4:5]
	v_lshlrev_b32_e32 v24, 3, v0
	v_mov_b32_e32 v25, s63
	v_add_co_u32_e32 v24, vcc, s62, v24
	v_addc_co_u32_e32 v25, vcc, 0, v25, vcc
	s_movk_i32 s4, 0x1000
	v_add_co_u32_e32 v42, vcc, s4, v24
	v_addc_co_u32_e32 v43, vcc, 0, v25, vcc
	s_movk_i32 s4, 0x2000
	s_waitcnt lgkmcnt(0)
	; wave barrier
	s_waitcnt lgkmcnt(0)
	flat_load_dwordx2 v[26:27], v[24:25]
	flat_load_dwordx2 v[28:29], v[24:25] offset:512
	flat_load_dwordx2 v[30:31], v[24:25] offset:1024
	;; [unrolled: 1-line block ×7, first 2 shown]
	v_add_co_u32_e32 v24, vcc, s4, v24
	v_addc_co_u32_e32 v25, vcc, 0, v25, vcc
	flat_load_dwordx2 v[44:45], v[42:43]
	flat_load_dwordx2 v[46:47], v[42:43] offset:512
	flat_load_dwordx2 v[48:49], v[42:43] offset:1024
	;; [unrolled: 1-line block ×7, first 2 shown]
	s_nop 0
	flat_load_dwordx2 v[42:43], v[24:25]
	flat_load_dwordx2 v[60:61], v[24:25] offset:512
	flat_load_dwordx2 v[62:63], v[24:25] offset:1024
	;; [unrolled: 1-line block ×4, first 2 shown]
	v_cmp_ne_u32_e32 vcc, v17, v18
	v_cmp_ne_u32_e64 s[4:5], v20, v21
	v_cndmask_b32_e64 v21, 0, 1, vcc
	v_cmp_ne_u32_e32 vcc, v16, v17
	v_cndmask_b32_e64 v17, 0, 1, vcc
	v_cmp_ne_u32_e32 vcc, v19, v20
	;; [unrolled: 2-line block ×6, first 2 shown]
	v_lshlrev_b16_e32 v16, 8, v16
	v_cndmask_b32_e64 v13, 0, 1, vcc
	v_cmp_ne_u32_e32 vcc, v15, v22
	v_or_b32_e32 v13, v13, v16
	v_cndmask_b32_e64 v16, 0, 1, vcc
	v_cmp_ne_u32_e32 vcc, v14, v15
	v_cndmask_b32_e64 v14, 0, 1, vcc
	v_cmp_ne_u32_e32 vcc, v5, v12
	;; [unrolled: 2-line block ×6, first 2 shown]
	v_lshlrev_b16_e32 v12, 8, v12
	v_lshlrev_b16_e32 v5, 8, v5
	v_cndmask_b32_e64 v8, 0, 1, vcc
	v_cmp_ne_u32_e32 vcc, v4, v6
	v_or_b32_e32 v7, v7, v12
	v_or_b32_sdwa v5, v8, v5 dst_sel:WORD_1 dst_unused:UNUSED_PAD src0_sel:DWORD src1_sel:DWORD
	v_cndmask_b32_e64 v123, 0, 1, vcc
	v_cmp_ne_u32_e32 vcc, v11, v2
	v_or_b32_sdwa v82, v7, v5 dst_sel:DWORD dst_unused:UNUSED_PAD src0_sel:WORD_0 src1_sel:DWORD
	v_cndmask_b32_e64 v5, 0, 1, vcc
	v_cmp_ne_u32_e32 vcc, v10, v11
	v_cndmask_b32_e64 v6, 0, 1, vcc
	v_cmp_ne_u32_e32 vcc, v3, v4
	v_lshlrev_b16_e32 v21, 8, v21
	v_lshlrev_b16_e32 v20, 8, v20
	v_cndmask_b32_e64 v4, 0, 1, vcc
	v_cmp_ne_u32_e32 vcc, v2, v3
	v_or_b32_e32 v17, v17, v21
	v_or_b32_sdwa v18, v18, v20 dst_sel:WORD_1 dst_unused:UNUSED_PAD src0_sel:DWORD src1_sel:DWORD
	v_lshlrev_b16_e32 v4, 8, v4
	v_cndmask_b32_e64 v2, 0, 1, vcc
	v_or_b32_sdwa v85, v17, v18 dst_sel:DWORD dst_unused:UNUSED_PAD src0_sel:WORD_0 src1_sel:DWORD
	v_lshlrev_b16_e32 v16, 8, v16
	v_or_b32_sdwa v18, v2, v4 dst_sel:WORD_1 dst_unused:UNUSED_PAD src0_sel:DWORD src1_sel:DWORD
	v_lshl_add_u32 v2, v0, 2, v23
	s_movk_i32 s6, 0xa0
	v_or_b32_sdwa v14, v14, v16 dst_sel:WORD_1 dst_unused:UNUSED_PAD src0_sel:DWORD src1_sel:DWORD
	v_lshlrev_b16_e32 v5, 8, v5
	v_mad_u32_u24 v12, v0, s6, v2
	v_or_b32_sdwa v84, v13, v14 dst_sel:DWORD dst_unused:UNUSED_PAD src0_sel:WORD_0 src1_sel:DWORD
	v_or_b32_e32 v11, v6, v5
	s_waitcnt vmcnt(0)
	v_cmp_ne_u32_e32 vcc, v1, v10
	v_or_b32_sdwa v83, v11, v18 dst_sel:DWORD dst_unused:UNUSED_PAD src0_sel:WORD_0 src1_sel:DWORD
	v_cndmask_b32_e64 v1, 0, 1, vcc
	s_mov_b64 s[6:7], -1
                                        ; implicit-def: $vgpr128
                                        ; implicit-def: $vgpr127
                                        ; implicit-def: $vgpr126
                                        ; implicit-def: $vgpr125
                                        ; implicit-def: $sgpr64
                                        ; implicit-def: $sgpr8_sgpr9
                                        ; implicit-def: $vgpr78_vgpr79
                                        ; implicit-def: $vgpr74_vgpr75
                                        ; implicit-def: $vgpr18_vgpr19
	s_waitcnt lgkmcnt(0)
	ds_write2st64_b64 v2, v[26:27], v[28:29] offset1:1
	ds_write2st64_b64 v2, v[30:31], v[32:33] offset0:2 offset1:3
	ds_write2st64_b64 v2, v[34:35], v[36:37] offset0:4 offset1:5
	;; [unrolled: 1-line block ×9, first 2 shown]
	ds_write_b64 v2, v[66:67] offset:10240
	s_waitcnt lgkmcnt(0)
	; wave barrier
	s_waitcnt lgkmcnt(0)
	ds_read2_b64 v[2:5], v12 offset1:1
	ds_read2_b64 v[6:9], v12 offset0:2 offset1:3
	ds_read2_b64 v[14:17], v12 offset0:4 offset1:5
	;; [unrolled: 1-line block ×9, first 2 shown]
	ds_read_b64 v[12:13], v12 offset:160
                                        ; implicit-def: $vgpr66_vgpr67
                                        ; implicit-def: $vgpr58_vgpr59
                                        ; implicit-def: $vgpr50_vgpr51
                                        ; implicit-def: $vgpr42_vgpr43
                                        ; implicit-def: $vgpr34_vgpr35
                                        ; implicit-def: $vgpr26_vgpr27
.LBB1099_125:
	s_waitcnt lgkmcnt(0)
	v_pk_mov_b32 v[20:21], s[8:9], s[8:9] op_sel:[0,1]
	v_mov_b32_e32 v36, s64
	s_and_saveexec_b64 s[8:9], s[6:7]
	s_cbranch_execz .LBB1099_127
; %bb.126:
	v_cndmask_b32_e64 v36, 0, 1, s[4:5]
	v_pk_mov_b32 v[18:19], v[4:5], v[4:5] op_sel:[0,1]
	v_pk_mov_b32 v[26:27], v[8:9], v[8:9] op_sel:[0,1]
	;; [unrolled: 1-line block ×11, first 2 shown]
	v_mov_b32_e32 v125, v85
	v_mov_b32_e32 v126, v84
	v_mov_b32_e32 v127, v82
	v_mov_b32_e32 v128, v83
.LBB1099_127:
	s_or_b64 exec, exec, s[8:9]
	v_and_b32_e32 v133, 1, v123
	v_and_b32_e32 v131, 1, v124
	;; [unrolled: 1-line block ×4, first 2 shown]
	s_cmp_lg_u32 s95, 0
	v_lshrrev_b32_e32 v134, 8, v128
	v_cmp_eq_u32_e32 vcc, 1, v133
	v_lshrrev_b32_e32 v132, 8, v127
	v_cmp_eq_u32_e64 s[48:49], 1, v131
	v_lshrrev_b32_e32 v130, 8, v126
	v_cmp_eq_u32_e64 s[50:51], 1, v129
	;; [unrolled: 2-line block ×3, first 2 shown]
	v_mbcnt_lo_u32_b32 v37, -1, 0
	s_waitcnt lgkmcnt(0)
	; wave barrier
	s_cbranch_scc0 .LBB1099_190
; %bb.128:
	v_mov_b32_e32 v9, 0
	v_and_b32_e32 v12, 1, v128
	s_movk_i32 s42, 0xff
	v_add_f64 v[4:5], v[2:3], v[18:19]
	v_cmp_eq_u16_sdwa s[6:7], v128, v9 src0_sel:BYTE_0 src1_sel:DWORD
	v_cmp_eq_u32_e64 s[52:53], 1, v12
	v_and_b32_e32 v12, 0x100, v128
	v_writelane_b32 v135, s0, 10
	v_cndmask_b32_e64 v5, v19, v5, s[6:7]
	v_cndmask_b32_e64 v4, v18, v4, s[6:7]
	v_cmp_ne_u32_e64 s[56:57], 0, v12
	v_and_b32_sdwa v12, v128, s42 dst_sel:DWORD dst_unused:UNUSED_PAD src0_sel:WORD_1 src1_sel:DWORD
	v_writelane_b32 v135, s1, 11
	v_add_f64 v[4:5], v[6:7], v[4:5]
	v_cmp_eq_u16_sdwa s[8:9], v134, v9 src0_sel:BYTE_0 src1_sel:DWORD
	v_cmp_eq_u16_e64 s[10:11], 0, v12
	v_and_b32_e32 v12, 0x10000, v128
	v_writelane_b32 v135, s2, 12
	v_cndmask_b32_e64 v5, v7, v5, s[8:9]
	v_cndmask_b32_e64 v4, v6, v4, s[8:9]
	v_cmp_ne_u32_e64 s[58:59], 0, v12
	v_and_b32_e32 v12, 0x1000000, v128
	v_writelane_b32 v135, s3, 13
	s_mov_b64 s[2:3], s[60:61]
	v_add_f64 v[4:5], v[26:27], v[4:5]
	v_cmp_ne_u32_e64 s[60:61], 0, v12
	v_and_b32_e32 v12, 1, v127
	v_cndmask_b32_e64 v5, v27, v5, s[10:11]
	v_cndmask_b32_e64 v4, v26, v4, s[10:11]
	v_cmp_eq_u32_e64 s[62:63], 1, v12
	v_and_b32_e32 v12, 0x100, v127
	v_add_f64 v[4:5], v[14:15], v[4:5]
	v_cmp_eq_u16_sdwa s[12:13], v128, v9 src0_sel:BYTE_3 src1_sel:DWORD
	v_cmp_ne_u32_e64 s[64:65], 0, v12
	v_and_b32_sdwa v12, v127, s42 dst_sel:DWORD dst_unused:UNUSED_PAD src0_sel:WORD_1 src1_sel:DWORD
	v_cndmask_b32_e64 v5, v15, v5, s[12:13]
	v_cndmask_b32_e64 v4, v14, v4, s[12:13]
	v_cmp_eq_u16_e64 s[20:21], 0, v12
	v_and_b32_e32 v12, 0x10000, v127
	s_mov_b64 s[14:15], s[66:67]
	v_add_f64 v[4:5], v[34:35], v[4:5]
	v_cmp_eq_u16_sdwa s[70:71], v123, v9 src0_sel:BYTE_0 src1_sel:DWORD
	v_cmp_ne_u32_e64 s[66:67], 0, v12
	v_and_b32_e32 v12, 0x1000000, v127
	s_mov_b64 s[0:1], s[68:69]
	v_cndmask_b32_e64 v5, v35, v5, s[70:71]
	v_cndmask_b32_e64 v4, v34, v4, s[70:71]
	v_cmp_ne_u32_e64 s[68:69], 0, v12
	v_and_b32_e32 v12, 1, v126
	v_add_f64 v[4:5], v[22:23], v[4:5]
	v_cmp_eq_u16_sdwa s[16:17], v127, v9 src0_sel:BYTE_0 src1_sel:DWORD
	v_cmp_eq_u32_e64 s[4:5], 1, v12
	v_and_b32_e32 v12, 0x100, v126
	v_cndmask_b32_e64 v5, v23, v5, s[16:17]
	v_cndmask_b32_e64 v4, v22, v4, s[16:17]
	v_cmp_ne_u32_e64 s[72:73], 0, v12
	v_and_b32_sdwa v12, v126, s42 dst_sel:DWORD dst_unused:UNUSED_PAD src0_sel:WORD_1 src1_sel:DWORD
	v_add_f64 v[4:5], v[42:43], v[4:5]
	v_cmp_eq_u16_sdwa s[18:19], v132, v9 src0_sel:BYTE_0 src1_sel:DWORD
	v_cmp_eq_u16_e64 s[30:31], 0, v12
	v_and_b32_e32 v12, 0x10000, v126
	v_cndmask_b32_e64 v5, v43, v5, s[18:19]
	v_cndmask_b32_e64 v4, v42, v4, s[18:19]
	v_cmp_ne_u32_e64 s[74:75], 0, v12
	v_and_b32_e32 v12, 0x1000000, v126
	v_add_f64 v[4:5], v[30:31], v[4:5]
	v_cmp_ne_u32_e64 s[76:77], 0, v12
	v_and_b32_e32 v12, 1, v125
	v_cndmask_b32_e64 v5, v31, v5, s[20:21]
	v_cndmask_b32_e64 v4, v30, v4, s[20:21]
	v_cmp_eq_u32_e64 s[78:79], 1, v12
	v_and_b32_e32 v12, 0x100, v125
	v_add_f64 v[4:5], v[50:51], v[4:5]
	v_cmp_eq_u16_sdwa s[22:23], v127, v9 src0_sel:BYTE_3 src1_sel:DWORD
	v_cmp_ne_u32_e64 s[80:81], 0, v12
	v_and_b32_sdwa v12, v125, s42 dst_sel:DWORD dst_unused:UNUSED_PAD src0_sel:WORD_1 src1_sel:DWORD
	v_cndmask_b32_e64 v5, v51, v5, s[22:23]
	v_cndmask_b32_e64 v4, v50, v4, s[22:23]
	v_cmp_eq_u16_e64 s[42:43], 0, v12
	v_and_b32_e32 v12, 0x10000, v125
	v_add_f64 v[4:5], v[38:39], v[4:5]
	v_cmp_eq_u16_sdwa s[24:25], v124, v9 src0_sel:BYTE_0 src1_sel:DWORD
	v_cmp_ne_u32_e64 s[82:83], 0, v12
	v_and_b32_e32 v12, 0x1000000, v125
	v_cndmask_b32_e64 v5, v39, v5, s[24:25]
	v_cndmask_b32_e64 v4, v38, v4, s[24:25]
	v_cmp_ne_u32_e64 s[84:85], 0, v12
	v_add_f64 v[4:5], v[58:59], v[4:5]
	v_cmp_eq_u16_sdwa s[26:27], v126, v9 src0_sel:BYTE_0 src1_sel:DWORD
	s_or_b64 s[54:55], s[54:55], s[84:85]
	v_cndmask_b32_e64 v5, v59, v5, s[26:27]
	v_cndmask_b32_e64 v4, v58, v4, s[26:27]
	s_or_b64 s[54:55], s[54:55], s[82:83]
	v_add_f64 v[4:5], v[46:47], v[4:5]
	v_cmp_eq_u16_sdwa s[28:29], v130, v9 src0_sel:BYTE_0 src1_sel:DWORD
	s_or_b64 s[54:55], s[54:55], s[80:81]
	v_cndmask_b32_e64 v5, v47, v5, s[28:29]
	v_cndmask_b32_e64 v4, v46, v4, s[28:29]
	s_or_b64 s[54:55], s[54:55], s[78:79]
	v_add_f64 v[4:5], v[66:67], v[4:5]
	s_or_b64 s[50:51], s[54:55], s[50:51]
	v_cndmask_b32_e64 v5, v67, v5, s[30:31]
	v_cndmask_b32_e64 v4, v66, v4, s[30:31]
	s_or_b64 s[50:51], s[50:51], s[76:77]
	v_add_f64 v[4:5], v[54:55], v[4:5]
	v_cmp_eq_u16_sdwa s[34:35], v126, v9 src0_sel:BYTE_3 src1_sel:DWORD
	s_or_b64 s[50:51], s[50:51], s[74:75]
	v_cndmask_b32_e64 v5, v55, v5, s[34:35]
	v_cndmask_b32_e64 v4, v54, v4, s[34:35]
	s_or_b64 s[50:51], s[50:51], s[72:73]
	v_add_f64 v[4:5], v[74:75], v[4:5]
	v_cmp_eq_u16_sdwa s[36:37], v122, v9 src0_sel:BYTE_0 src1_sel:DWORD
	s_or_b64 s[4:5], s[50:51], s[4:5]
	v_cndmask_b32_e64 v5, v75, v5, s[36:37]
	v_cndmask_b32_e64 v4, v74, v4, s[36:37]
	s_or_b64 s[4:5], s[4:5], s[48:49]
	v_add_f64 v[4:5], v[62:63], v[4:5]
	v_cmp_eq_u16_sdwa s[38:39], v125, v9 src0_sel:BYTE_0 src1_sel:DWORD
	;; [unrolled: 6-line block ×3, first 2 shown]
	s_or_b64 s[4:5], s[4:5], s[64:65]
	v_cndmask_b32_e64 v5, v79, v5, s[40:41]
	v_cndmask_b32_e64 v4, v78, v4, s[40:41]
	s_or_b64 s[4:5], s[4:5], s[62:63]
	v_add_f64 v[4:5], v[70:71], v[4:5]
	s_or_b64 s[4:5], s[4:5], vcc
	v_cndmask_b32_e64 v5, v71, v5, s[42:43]
	v_cndmask_b32_e64 v4, v70, v4, s[42:43]
	s_or_b64 s[4:5], s[4:5], s[60:61]
	v_add_f64 v[4:5], v[10:11], v[4:5]
	v_cmp_eq_u16_sdwa s[44:45], v125, v9 src0_sel:BYTE_3 src1_sel:DWORD
	s_or_b64 s[4:5], s[4:5], s[58:59]
	v_cndmask_b32_e64 v5, v11, v5, s[44:45]
	v_cndmask_b32_e64 v4, v10, v4, s[44:45]
	s_or_b64 s[4:5], s[4:5], s[56:57]
	v_and_b32_e32 v8, 0xff, v1
	v_add_f64 v[4:5], v[20:21], v[4:5]
	v_cmp_eq_u16_sdwa s[46:47], v36, v9 src0_sel:BYTE_0 src1_sel:DWORD
	s_or_b64 s[4:5], s[4:5], s[52:53]
	v_mbcnt_hi_u32_b32 v13, -1, v37
	v_cndmask_b32_e64 v5, v21, v5, s[46:47]
	v_cndmask_b32_e64 v4, v20, v4, s[46:47]
	;; [unrolled: 1-line block ×3, first 2 shown]
	v_and_b32_e32 v16, 15, v13
	v_mov_b32_dpp v8, v4 row_shr:1 row_mask:0xf bank_mask:0xf
	v_mov_b32_dpp v9, v5 row_shr:1 row_mask:0xf bank_mask:0xf
	v_mov_b32_dpp v17, v12 row_shr:1 row_mask:0xf bank_mask:0xf
	v_cmp_ne_u32_e32 vcc, 0, v16
	s_and_saveexec_b64 s[4:5], vcc
; %bb.129:
	v_add_f64 v[8:9], v[4:5], v[8:9]
	v_cmp_eq_u32_e32 vcc, 0, v12
	v_cndmask_b32_e32 v5, v5, v9, vcc
	v_cndmask_b32_e32 v4, v4, v8, vcc
	v_and_or_b32 v12, v17, 1, v12
; %bb.130:
	s_or_b64 exec, exec, s[4:5]
	v_mov_b32_dpp v8, v4 row_shr:2 row_mask:0xf bank_mask:0xf
	v_mov_b32_dpp v9, v5 row_shr:2 row_mask:0xf bank_mask:0xf
	;; [unrolled: 1-line block ×3, first 2 shown]
	v_cmp_lt_u32_e32 vcc, 1, v16
	s_and_saveexec_b64 s[4:5], vcc
; %bb.131:
	v_add_f64 v[8:9], v[4:5], v[8:9]
	v_cmp_eq_u32_e32 vcc, 0, v12
	v_cndmask_b32_e32 v4, v4, v8, vcc
	v_or_b32_e32 v8, v17, v12
	v_cndmask_b32_e32 v5, v5, v9, vcc
	v_and_b32_e32 v12, 1, v8
; %bb.132:
	s_or_b64 exec, exec, s[4:5]
	v_mov_b32_dpp v8, v4 row_shr:4 row_mask:0xf bank_mask:0xf
	v_mov_b32_dpp v9, v5 row_shr:4 row_mask:0xf bank_mask:0xf
	;; [unrolled: 1-line block ×3, first 2 shown]
	v_cmp_lt_u32_e32 vcc, 3, v16
	s_and_saveexec_b64 s[4:5], vcc
	s_mov_b64 s[66:67], s[14:15]
	s_mov_b64 s[60:61], s[2:3]
	;; [unrolled: 1-line block ×3, first 2 shown]
; %bb.133:
	v_add_f64 v[8:9], v[4:5], v[8:9]
	v_cmp_eq_u32_e32 vcc, 0, v12
	v_cndmask_b32_e32 v4, v4, v8, vcc
	v_or_b32_e32 v8, v17, v12
	v_cndmask_b32_e32 v5, v5, v9, vcc
	v_and_b32_e32 v12, 1, v8
; %bb.134:
	s_or_b64 exec, exec, s[4:5]
	v_mov_b32_dpp v8, v4 row_shr:8 row_mask:0xf bank_mask:0xf
	v_mov_b32_dpp v9, v5 row_shr:8 row_mask:0xf bank_mask:0xf
	;; [unrolled: 1-line block ×3, first 2 shown]
	v_cmp_lt_u32_e32 vcc, 7, v16
	s_and_saveexec_b64 s[4:5], vcc
; %bb.135:
	v_add_f64 v[8:9], v[4:5], v[8:9]
	v_cmp_eq_u32_e32 vcc, 0, v12
	v_cndmask_b32_e32 v4, v4, v8, vcc
	v_or_b32_e32 v8, v17, v12
	v_cndmask_b32_e32 v5, v5, v9, vcc
	v_and_b32_e32 v12, 1, v8
; %bb.136:
	s_or_b64 exec, exec, s[4:5]
	v_and_b32_e32 v17, 16, v13
	v_mov_b32_dpp v8, v4 row_bcast:15 row_mask:0xf bank_mask:0xf
	v_mov_b32_dpp v9, v5 row_bcast:15 row_mask:0xf bank_mask:0xf
	;; [unrolled: 1-line block ×3, first 2 shown]
	v_cmp_ne_u32_e32 vcc, 0, v17
	s_and_saveexec_b64 s[4:5], vcc
; %bb.137:
	v_add_f64 v[8:9], v[4:5], v[8:9]
	v_cmp_eq_u32_e32 vcc, 0, v12
	v_cndmask_b32_e32 v4, v4, v8, vcc
	v_or_b32_e32 v8, v16, v12
	v_cndmask_b32_e32 v5, v5, v9, vcc
	v_and_b32_e32 v12, 1, v8
; %bb.138:
	s_or_b64 exec, exec, s[4:5]
	v_mov_b32_dpp v8, v4 row_bcast:31 row_mask:0xf bank_mask:0xf
	v_mov_b32_dpp v9, v5 row_bcast:31 row_mask:0xf bank_mask:0xf
	;; [unrolled: 1-line block ×3, first 2 shown]
	v_cmp_lt_u32_e32 vcc, 31, v13
	v_mov_b32_e32 v16, v12
	s_and_saveexec_b64 s[4:5], vcc
; %bb.139:
	v_add_f64 v[8:9], v[4:5], v[8:9]
	v_cmp_eq_u32_e32 vcc, 0, v12
	v_cndmask_b32_e32 v4, v4, v8, vcc
	v_or_b32_e32 v8, v17, v12
	v_cndmask_b32_e32 v5, v5, v9, vcc
	v_and_b32_e32 v16, 1, v8
	v_and_b32_e32 v12, 1, v8
; %bb.140:
	s_or_b64 exec, exec, s[4:5]
	v_cmp_eq_u32_e32 vcc, 63, v0
	s_and_saveexec_b64 s[4:5], vcc
	s_cbranch_execz .LBB1099_142
; %bb.141:
	v_mov_b32_e32 v8, 0
	ds_write_b64 v8, v[4:5]
	ds_write_b8 v8, v16 offset:8
.LBB1099_142:
	s_or_b64 exec, exec, s[4:5]
	v_add_u32_e32 v8, -1, v13
	v_and_b32_e32 v9, 64, v13
	v_cmp_lt_i32_e32 vcc, v8, v9
	v_cndmask_b32_e32 v8, v8, v13, vcc
	v_lshlrev_b32_e32 v8, 2, v8
	ds_bpermute_b32 v4, v8, v4
	ds_bpermute_b32 v5, v8, v5
	;; [unrolled: 1-line block ×3, first 2 shown]
	v_cmp_gt_u32_e32 vcc, 64, v0
	s_waitcnt lgkmcnt(0)
	; wave barrier
	s_waitcnt lgkmcnt(0)
	s_and_saveexec_b64 s[50:51], vcc
	s_cbranch_execz .LBB1099_189
; %bb.143:
	v_mov_b32_e32 v17, 0
	ds_read_b64 v[8:9], v17
	ds_read_u8 v45, v17 offset:8
	s_mov_b32 s53, 0
	v_cmp_eq_u32_e64 s[48:49], 0, v13
	s_and_saveexec_b64 s[4:5], s[48:49]
	s_cbranch_execz .LBB1099_145
; %bb.144:
	s_add_i32 s52, s95, 64
	s_lshl_b64 s[54:55], s[52:53], 4
	s_add_u32 s54, s88, s54
	s_addc_u32 s55, s89, s55
	v_mov_b32_e32 v12, s52
	v_mov_b32_e32 v16, 1
	s_waitcnt lgkmcnt(1)
	global_store_dwordx2 v17, v[8:9], s[54:55]
	s_waitcnt lgkmcnt(0)
	global_store_byte v17, v45, s[54:55] offset:8
	s_waitcnt vmcnt(0)
	buffer_wbinvl1_vol
	global_store_byte v12, v16, s[92:93]
.LBB1099_145:
	s_or_b64 exec, exec, s[4:5]
	v_xad_u32 v12, v13, -1, s95
	v_add_u32_e32 v16, 64, v12
	global_load_ubyte v48, v16, s[92:93] glc
	s_waitcnt vmcnt(0)
	v_cmp_eq_u16_e32 vcc, 0, v48
	s_and_saveexec_b64 s[4:5], vcc
	s_cbranch_execz .LBB1099_151
; %bb.146:
	v_mov_b32_e32 v25, s93
	v_add_co_u32_e32 v24, vcc, s92, v16
	v_addc_co_u32_e32 v25, vcc, 0, v25, vcc
	s_mov_b32 s54, 1
	s_mov_b64 s[52:53], 0
.LBB1099_147:                           ; =>This Loop Header: Depth=1
                                        ;     Child Loop BB1099_148 Depth 2
	s_max_u32 s55, s54, 1
.LBB1099_148:                           ;   Parent Loop BB1099_147 Depth=1
                                        ; =>  This Inner Loop Header: Depth=2
	s_add_i32 s55, s55, -1
	s_cmp_eq_u32 s55, 0
	s_sleep 1
	s_cbranch_scc0 .LBB1099_148
; %bb.149:                              ;   in Loop: Header=BB1099_147 Depth=1
	global_load_ubyte v48, v[24:25], off glc
	s_cmp_lt_u32 s54, 32
	s_cselect_b64 s[56:57], -1, 0
	s_cmp_lg_u64 s[56:57], 0
	s_addc_u32 s54, s54, 0
	s_waitcnt vmcnt(0)
	v_cmp_ne_u16_e32 vcc, 0, v48
	s_or_b64 s[52:53], vcc, s[52:53]
	s_andn2_b64 exec, exec, s[52:53]
	s_cbranch_execnz .LBB1099_147
; %bb.150:
	s_or_b64 exec, exec, s[52:53]
.LBB1099_151:
	s_or_b64 exec, exec, s[4:5]
	v_mov_b32_e32 v24, s91
	v_mov_b32_e32 v25, s89
	v_cmp_eq_u16_e32 vcc, 1, v48
	v_cndmask_b32_e32 v24, v24, v25, vcc
	v_mov_b32_e32 v25, s90
	v_mov_b32_e32 v28, s88
	v_cndmask_b32_e32 v25, v25, v28, vcc
	v_lshlrev_b64 v[16:17], 4, v[16:17]
	v_add_co_u32_e32 v16, vcc, v25, v16
	v_addc_co_u32_e32 v17, vcc, v24, v17, vcc
	s_waitcnt lgkmcnt(0)
	buffer_wbinvl1_vol
	global_load_dwordx2 v[28:29], v[16:17], off
	global_load_ubyte v32, v[16:17], off offset:8
	v_cmp_eq_u16_e32 vcc, 2, v48
	v_lshlrev_b64 v[16:17], v13, -1
	v_and_b32_e32 v49, 63, v13
	v_and_b32_e32 v24, vcc_hi, v17
	v_and_b32_e32 v33, vcc_lo, v16
	v_cmp_ne_u32_e32 vcc, 63, v49
	v_addc_co_u32_e32 v25, vcc, 0, v13, vcc
	v_or_b32_e32 v24, 0x80000000, v24
	v_lshlrev_b32_e32 v52, 2, v25
	v_ffbl_b32_e32 v56, v24
	v_add_u32_e32 v56, 32, v56
	v_ffbl_b32_e32 v33, v33
	v_min_u32_e32 v33, v33, v56
	v_cmp_lt_u32_e32 vcc, v49, v33
	s_waitcnt vmcnt(1)
	ds_bpermute_b32 v24, v52, v28
	s_waitcnt vmcnt(0)
	v_and_b32_e32 v72, 1, v32
	ds_bpermute_b32 v25, v52, v29
	ds_bpermute_b32 v53, v52, v72
	s_and_saveexec_b64 s[4:5], vcc
	s_cbranch_execz .LBB1099_153
; %bb.152:
	v_mov_b32_e32 v56, 0
	s_waitcnt lgkmcnt(1)
	v_add_f64 v[24:25], v[28:29], v[24:25]
	v_cmp_eq_u16_sdwa vcc, v32, v56 src0_sel:BYTE_0 src1_sel:DWORD
	v_cndmask_b32_e32 v28, v28, v24, vcc
	s_waitcnt lgkmcnt(0)
	v_and_b32_e32 v24, 1, v53
	v_or_b32_e32 v32, v24, v32
	v_cndmask_b32_e32 v29, v29, v25, vcc
	v_and_b32_e32 v72, 0xff, v32
.LBB1099_153:
	s_or_b64 exec, exec, s[4:5]
	v_cmp_gt_u32_e32 vcc, 62, v49
	s_waitcnt lgkmcnt(2)
	v_cndmask_b32_e64 v24, 0, 1, vcc
	v_lshlrev_b32_e32 v24, 1, v24
	s_waitcnt lgkmcnt(0)
	v_add_lshl_u32 v53, v24, v13, 2
	ds_bpermute_b32 v24, v53, v28
	ds_bpermute_b32 v25, v53, v29
	ds_bpermute_b32 v57, v53, v72
	v_add_u32_e32 v56, 2, v49
	v_cmp_le_u32_e32 vcc, v56, v33
	s_and_saveexec_b64 s[52:53], vcc
	s_cbranch_execz .LBB1099_155
; %bb.154:
	v_mov_b32_e32 v60, 0
	s_waitcnt lgkmcnt(1)
	v_add_f64 v[24:25], v[28:29], v[24:25]
	v_cmp_eq_u16_sdwa vcc, v32, v60 src0_sel:BYTE_0 src1_sel:DWORD
	v_cndmask_b32_e32 v28, v28, v24, vcc
	v_and_b32_e32 v24, 1, v32
	v_cndmask_b32_e32 v29, v29, v25, vcc
	v_cmp_eq_u32_e32 vcc, 1, v24
	s_waitcnt lgkmcnt(0)
	v_and_b32_e32 v24, 1, v57
	v_cmp_eq_u32_e64 s[4:5], 1, v24
	s_or_b64 s[4:5], vcc, s[4:5]
	v_cndmask_b32_e64 v32, 0, 1, s[4:5]
	v_cndmask_b32_e64 v72, 0, 1, s[4:5]
.LBB1099_155:
	s_or_b64 exec, exec, s[52:53]
	v_cmp_gt_u32_e32 vcc, 60, v49
	s_waitcnt lgkmcnt(2)
	v_cndmask_b32_e64 v24, 0, 1, vcc
	v_lshlrev_b32_e32 v24, 2, v24
	s_waitcnt lgkmcnt(0)
	v_add_lshl_u32 v57, v24, v13, 2
	ds_bpermute_b32 v24, v57, v28
	ds_bpermute_b32 v25, v57, v29
	ds_bpermute_b32 v61, v57, v72
	v_add_u32_e32 v60, 4, v49
	v_cmp_le_u32_e32 vcc, v60, v33
	s_and_saveexec_b64 s[52:53], vcc
	s_cbranch_execz .LBB1099_157
; %bb.156:
	v_mov_b32_e32 v64, 0
	s_waitcnt lgkmcnt(1)
	v_add_f64 v[24:25], v[28:29], v[24:25]
	v_cmp_eq_u16_sdwa vcc, v32, v64 src0_sel:BYTE_0 src1_sel:DWORD
	v_cndmask_b32_e32 v28, v28, v24, vcc
	v_and_b32_e32 v24, 1, v32
	v_cndmask_b32_e32 v29, v29, v25, vcc
	v_cmp_eq_u32_e32 vcc, 1, v24
	s_waitcnt lgkmcnt(0)
	v_and_b32_e32 v24, 1, v61
	v_cmp_eq_u32_e64 s[4:5], 1, v24
	s_or_b64 s[4:5], vcc, s[4:5]
	v_cndmask_b32_e64 v32, 0, 1, s[4:5]
	v_cndmask_b32_e64 v72, 0, 1, s[4:5]
.LBB1099_157:
	;; [unrolled: 30-line block ×4, first 2 shown]
	s_or_b64 exec, exec, s[52:53]
	v_cmp_gt_u32_e32 vcc, 32, v49
	s_waitcnt lgkmcnt(2)
	v_cndmask_b32_e64 v24, 0, 1, vcc
	v_lshlrev_b32_e32 v24, 5, v24
	s_waitcnt lgkmcnt(0)
	v_add_lshl_u32 v69, v24, v13, 2
	ds_bpermute_b32 v24, v69, v28
	ds_bpermute_b32 v25, v69, v29
	;; [unrolled: 1-line block ×3, first 2 shown]
	v_add_u32_e32 v73, 32, v49
	v_cmp_le_u32_e32 vcc, v73, v33
	s_and_saveexec_b64 s[52:53], vcc
	s_cbranch_execz .LBB1099_163
; %bb.162:
	v_mov_b32_e32 v33, 0
	s_waitcnt lgkmcnt(1)
	v_add_f64 v[24:25], v[28:29], v[24:25]
	v_cmp_eq_u16_sdwa vcc, v32, v33 src0_sel:BYTE_0 src1_sel:DWORD
	v_cndmask_b32_e32 v28, v28, v24, vcc
	v_and_b32_e32 v24, 1, v32
	s_waitcnt lgkmcnt(0)
	v_and_b32_e32 v13, 1, v13
	v_cndmask_b32_e32 v29, v29, v25, vcc
	v_cmp_eq_u32_e32 vcc, 1, v24
	v_cmp_eq_u32_e64 s[4:5], 1, v13
	s_or_b64 s[4:5], vcc, s[4:5]
	v_cndmask_b32_e64 v32, 0, 1, s[4:5]
.LBB1099_163:
	s_or_b64 exec, exec, s[52:53]
	s_waitcnt lgkmcnt(0)
	v_mov_b32_e32 v13, 0
	v_mov_b32_e32 v76, 2
	s_branch .LBB1099_165
.LBB1099_164:                           ;   in Loop: Header=BB1099_165 Depth=1
	s_or_b64 exec, exec, s[54:55]
	v_add_f64 v[28:29], v[24:25], v[28:29]
	v_cmp_eq_u16_sdwa vcc, v72, v13 src0_sel:BYTE_0 src1_sel:DWORD
	s_waitcnt lgkmcnt(2)
	v_and_b32_e32 v32, 1, v72
	v_cndmask_b32_e32 v29, v25, v29, vcc
	v_cndmask_b32_e32 v28, v24, v28, vcc
	v_cmp_eq_u32_e32 vcc, 1, v32
	s_or_b64 s[4:5], vcc, s[52:53]
	v_subrev_u32_e32 v12, 64, v12
	v_cndmask_b32_e64 v32, 0, 1, s[4:5]
.LBB1099_165:                           ; =>This Loop Header: Depth=1
                                        ;     Child Loop BB1099_168 Depth 2
                                        ;       Child Loop BB1099_169 Depth 3
	v_cmp_ne_u16_sdwa s[4:5], v48, v76 src0_sel:BYTE_0 src1_sel:DWORD
	v_cndmask_b32_e64 v24, 0, 1, s[4:5]
	;;#ASMSTART
	;;#ASMEND
	v_cmp_ne_u32_e32 vcc, 0, v24
	v_mov_b32_e32 v72, v32
	s_cmp_lg_u64 vcc, exec
	v_pk_mov_b32 v[24:25], v[28:29], v[28:29] op_sel:[0,1]
	s_cbranch_scc1 .LBB1099_184
; %bb.166:                              ;   in Loop: Header=BB1099_165 Depth=1
	global_load_ubyte v48, v12, s[92:93] glc
	s_waitcnt vmcnt(0)
	v_cmp_eq_u16_e32 vcc, 0, v48
	s_and_saveexec_b64 s[4:5], vcc
	s_cbranch_execz .LBB1099_172
; %bb.167:                              ;   in Loop: Header=BB1099_165 Depth=1
	v_mov_b32_e32 v29, s93
	v_add_co_u32_e32 v28, vcc, s92, v12
	v_addc_co_u32_e32 v29, vcc, 0, v29, vcc
	s_mov_b32 s54, 1
	s_mov_b64 s[52:53], 0
.LBB1099_168:                           ;   Parent Loop BB1099_165 Depth=1
                                        ; =>  This Loop Header: Depth=2
                                        ;       Child Loop BB1099_169 Depth 3
	s_max_u32 s55, s54, 1
.LBB1099_169:                           ;   Parent Loop BB1099_165 Depth=1
                                        ;     Parent Loop BB1099_168 Depth=2
                                        ; =>    This Inner Loop Header: Depth=3
	s_add_i32 s55, s55, -1
	s_cmp_eq_u32 s55, 0
	s_sleep 1
	s_cbranch_scc0 .LBB1099_169
; %bb.170:                              ;   in Loop: Header=BB1099_168 Depth=2
	global_load_ubyte v48, v[28:29], off glc
	s_cmp_lt_u32 s54, 32
	s_cselect_b64 s[56:57], -1, 0
	s_cmp_lg_u64 s[56:57], 0
	s_addc_u32 s54, s54, 0
	s_waitcnt vmcnt(0)
	v_cmp_ne_u16_e32 vcc, 0, v48
	s_or_b64 s[52:53], vcc, s[52:53]
	s_andn2_b64 exec, exec, s[52:53]
	s_cbranch_execnz .LBB1099_168
; %bb.171:                              ;   in Loop: Header=BB1099_165 Depth=1
	s_or_b64 exec, exec, s[52:53]
.LBB1099_172:                           ;   in Loop: Header=BB1099_165 Depth=1
	s_or_b64 exec, exec, s[4:5]
	v_mov_b32_e32 v28, s91
	v_mov_b32_e32 v29, s89
	v_cmp_eq_u16_e32 vcc, 1, v48
	s_waitcnt lgkmcnt(1)
	v_cndmask_b32_e32 v33, v28, v29, vcc
	v_mov_b32_e32 v28, s90
	v_mov_b32_e32 v29, s88
	v_cndmask_b32_e32 v32, v28, v29, vcc
	v_lshlrev_b64 v[28:29], 4, v[12:13]
	v_add_co_u32_e32 v32, vcc, v32, v28
	v_addc_co_u32_e32 v33, vcc, v33, v29, vcc
	buffer_wbinvl1_vol
	global_load_dwordx2 v[28:29], v[32:33], off
	global_load_ubyte v77, v[32:33], off offset:8
	v_cmp_eq_u16_e32 vcc, 2, v48
	v_and_b32_e32 v32, vcc_hi, v17
	v_or_b32_e32 v32, 0x80000000, v32
	v_ffbl_b32_e32 v83, v32
	v_and_b32_e32 v80, vcc_lo, v16
	v_add_u32_e32 v83, 32, v83
	v_ffbl_b32_e32 v80, v80
	v_min_u32_e32 v80, v80, v83
	v_cmp_lt_u32_e32 vcc, v49, v80
	s_waitcnt vmcnt(1)
	ds_bpermute_b32 v32, v52, v28
	s_waitcnt vmcnt(0) lgkmcnt(1)
	v_and_b32_e32 v81, 1, v77
	ds_bpermute_b32 v33, v52, v29
	ds_bpermute_b32 v82, v52, v81
	s_and_saveexec_b64 s[4:5], vcc
	s_cbranch_execz .LBB1099_174
; %bb.173:                              ;   in Loop: Header=BB1099_165 Depth=1
	s_waitcnt lgkmcnt(1)
	v_add_f64 v[32:33], v[28:29], v[32:33]
	v_cmp_eq_u16_sdwa vcc, v77, v13 src0_sel:BYTE_0 src1_sel:DWORD
	v_cndmask_b32_e32 v28, v28, v32, vcc
	s_waitcnt lgkmcnt(0)
	v_and_b32_e32 v32, 1, v82
	v_or_b32_e32 v77, v32, v77
	v_cndmask_b32_e32 v29, v29, v33, vcc
	v_and_b32_e32 v81, 0xff, v77
.LBB1099_174:                           ;   in Loop: Header=BB1099_165 Depth=1
	s_or_b64 exec, exec, s[4:5]
	s_waitcnt lgkmcnt(2)
	ds_bpermute_b32 v32, v53, v28
	s_waitcnt lgkmcnt(2)
	ds_bpermute_b32 v33, v53, v29
	;; [unrolled: 2-line block ×3, first 2 shown]
	v_and_b32_e32 v83, 1, v77
	v_cmp_le_u32_e32 vcc, v56, v80
	v_cmp_eq_u32_e64 s[52:53], 1, v83
	s_and_saveexec_b64 s[4:5], vcc
	s_cbranch_execz .LBB1099_176
; %bb.175:                              ;   in Loop: Header=BB1099_165 Depth=1
	s_waitcnt lgkmcnt(1)
	v_add_f64 v[32:33], v[28:29], v[32:33]
	v_cmp_eq_u16_sdwa vcc, v77, v13 src0_sel:BYTE_0 src1_sel:DWORD
	v_cndmask_b32_e32 v28, v28, v32, vcc
	s_waitcnt lgkmcnt(0)
	v_and_b32_e32 v32, 1, v82
	v_cndmask_b32_e32 v29, v29, v33, vcc
	v_cmp_eq_u32_e32 vcc, 1, v32
	s_or_b64 s[54:55], s[52:53], vcc
	v_cndmask_b32_e64 v77, 0, 1, s[54:55]
	v_cndmask_b32_e64 v81, 0, 1, s[54:55]
	s_andn2_b64 s[52:53], s[52:53], exec
	s_and_b64 s[54:55], s[54:55], exec
	s_or_b64 s[52:53], s[52:53], s[54:55]
.LBB1099_176:                           ;   in Loop: Header=BB1099_165 Depth=1
	s_or_b64 exec, exec, s[4:5]
	s_waitcnt lgkmcnt(2)
	ds_bpermute_b32 v32, v57, v28
	s_waitcnt lgkmcnt(2)
	ds_bpermute_b32 v33, v57, v29
	s_waitcnt lgkmcnt(2)
	ds_bpermute_b32 v82, v57, v81
	v_cmp_le_u32_e32 vcc, v60, v80
	s_and_saveexec_b64 s[54:55], vcc
	s_cbranch_execz .LBB1099_178
; %bb.177:                              ;   in Loop: Header=BB1099_165 Depth=1
	s_waitcnt lgkmcnt(1)
	v_add_f64 v[32:33], v[28:29], v[32:33]
	v_cmp_eq_u16_sdwa vcc, v77, v13 src0_sel:BYTE_0 src1_sel:DWORD
	v_cndmask_b32_e32 v28, v28, v32, vcc
	v_and_b32_e32 v32, 1, v77
	v_cndmask_b32_e32 v29, v29, v33, vcc
	v_cmp_eq_u32_e32 vcc, 1, v32
	s_waitcnt lgkmcnt(0)
	v_and_b32_e32 v32, 1, v82
	v_cmp_eq_u32_e64 s[4:5], 1, v32
	s_or_b64 s[4:5], vcc, s[4:5]
	v_cndmask_b32_e64 v77, 0, 1, s[4:5]
	v_cndmask_b32_e64 v81, 0, 1, s[4:5]
	s_andn2_b64 s[52:53], s[52:53], exec
	s_and_b64 s[4:5], s[4:5], exec
	s_or_b64 s[52:53], s[52:53], s[4:5]
.LBB1099_178:                           ;   in Loop: Header=BB1099_165 Depth=1
	s_or_b64 exec, exec, s[54:55]
	s_waitcnt lgkmcnt(2)
	ds_bpermute_b32 v32, v61, v28
	s_waitcnt lgkmcnt(2)
	ds_bpermute_b32 v33, v61, v29
	s_waitcnt lgkmcnt(2)
	ds_bpermute_b32 v82, v61, v81
	v_cmp_le_u32_e32 vcc, v64, v80
	s_and_saveexec_b64 s[54:55], vcc
	s_cbranch_execz .LBB1099_180
; %bb.179:                              ;   in Loop: Header=BB1099_165 Depth=1
	s_waitcnt lgkmcnt(1)
	v_add_f64 v[32:33], v[28:29], v[32:33]
	v_cmp_eq_u16_sdwa vcc, v77, v13 src0_sel:BYTE_0 src1_sel:DWORD
	v_cndmask_b32_e32 v28, v28, v32, vcc
	v_and_b32_e32 v32, 1, v77
	v_cndmask_b32_e32 v29, v29, v33, vcc
	v_cmp_eq_u32_e32 vcc, 1, v32
	s_waitcnt lgkmcnt(0)
	v_and_b32_e32 v32, 1, v82
	v_cmp_eq_u32_e64 s[4:5], 1, v32
	s_or_b64 s[4:5], vcc, s[4:5]
	v_cndmask_b32_e64 v77, 0, 1, s[4:5]
	v_cndmask_b32_e64 v81, 0, 1, s[4:5]
	s_andn2_b64 s[52:53], s[52:53], exec
	s_and_b64 s[4:5], s[4:5], exec
	s_or_b64 s[52:53], s[52:53], s[4:5]
.LBB1099_180:                           ;   in Loop: Header=BB1099_165 Depth=1
	s_or_b64 exec, exec, s[54:55]
	s_waitcnt lgkmcnt(2)
	ds_bpermute_b32 v32, v65, v28
	s_waitcnt lgkmcnt(2)
	ds_bpermute_b32 v33, v65, v29
	s_waitcnt lgkmcnt(2)
	ds_bpermute_b32 v82, v65, v81
	v_cmp_le_u32_e32 vcc, v68, v80
	s_and_saveexec_b64 s[54:55], vcc
	s_cbranch_execz .LBB1099_182
; %bb.181:                              ;   in Loop: Header=BB1099_165 Depth=1
	s_waitcnt lgkmcnt(1)
	v_add_f64 v[32:33], v[28:29], v[32:33]
	v_cmp_eq_u16_sdwa vcc, v77, v13 src0_sel:BYTE_0 src1_sel:DWORD
	v_cndmask_b32_e32 v28, v28, v32, vcc
	v_and_b32_e32 v32, 1, v77
	v_cndmask_b32_e32 v29, v29, v33, vcc
	v_cmp_eq_u32_e32 vcc, 1, v32
	s_waitcnt lgkmcnt(0)
	v_and_b32_e32 v32, 1, v82
	v_cmp_eq_u32_e64 s[4:5], 1, v32
	s_or_b64 s[4:5], vcc, s[4:5]
	v_cndmask_b32_e64 v77, 0, 1, s[4:5]
	v_cndmask_b32_e64 v81, 0, 1, s[4:5]
	s_andn2_b64 s[52:53], s[52:53], exec
	s_and_b64 s[4:5], s[4:5], exec
	s_or_b64 s[52:53], s[52:53], s[4:5]
.LBB1099_182:                           ;   in Loop: Header=BB1099_165 Depth=1
	s_or_b64 exec, exec, s[54:55]
	s_waitcnt lgkmcnt(2)
	ds_bpermute_b32 v32, v69, v28
	s_waitcnt lgkmcnt(2)
	ds_bpermute_b32 v33, v69, v29
	ds_bpermute_b32 v81, v69, v81
	v_cmp_le_u32_e32 vcc, v73, v80
	s_and_saveexec_b64 s[54:55], vcc
	s_cbranch_execz .LBB1099_164
; %bb.183:                              ;   in Loop: Header=BB1099_165 Depth=1
	s_waitcnt lgkmcnt(1)
	v_add_f64 v[32:33], v[28:29], v[32:33]
	v_cmp_eq_u16_sdwa vcc, v77, v13 src0_sel:BYTE_0 src1_sel:DWORD
	v_cndmask_b32_e32 v28, v28, v32, vcc
	v_and_b32_e32 v32, 1, v77
	v_cndmask_b32_e32 v29, v29, v33, vcc
	v_cmp_eq_u32_e32 vcc, 1, v32
	s_waitcnt lgkmcnt(0)
	v_and_b32_e32 v32, 1, v81
	v_cmp_eq_u32_e64 s[4:5], 1, v32
	s_or_b64 s[4:5], vcc, s[4:5]
	s_andn2_b64 s[52:53], s[52:53], exec
	s_and_b64 s[4:5], s[4:5], exec
	s_or_b64 s[52:53], s[52:53], s[4:5]
	s_branch .LBB1099_164
.LBB1099_184:                           ;   in Loop: Header=BB1099_165 Depth=1
                                        ; implicit-def: $vgpr32
                                        ; implicit-def: $vgpr28_vgpr29
                                        ; implicit-def: $vgpr48
	s_cbranch_execz .LBB1099_165
; %bb.185:
	s_and_saveexec_b64 s[4:5], s[48:49]
	s_cbranch_execz .LBB1099_187
; %bb.186:
	s_mov_b32 s49, 0
	s_add_i32 s48, s95, 64
	v_mov_b32_e32 v16, 0
	s_lshl_b64 s[52:53], s[48:49], 4
	v_add_f64 v[12:13], v[8:9], v[24:25]
	v_cmp_eq_u16_sdwa vcc, v45, v16 src0_sel:BYTE_0 src1_sel:DWORD
	s_add_u32 s52, s90, s52
	v_cndmask_b32_e32 v9, v9, v13, vcc
	v_cndmask_b32_e32 v8, v8, v12, vcc
	v_or_b32_e32 v12, v45, v72
	s_addc_u32 s53, s91, s53
	v_and_b32_e32 v12, 1, v12
	global_store_dwordx2 v16, v[8:9], s[52:53]
	global_store_byte v16, v12, s[52:53] offset:8
	v_mov_b32_e32 v8, s48
	v_mov_b32_e32 v9, 2
	s_waitcnt vmcnt(0) lgkmcnt(0)
	buffer_wbinvl1_vol
	global_store_byte v8, v9, s[92:93]
.LBB1099_187:
	s_or_b64 exec, exec, s[4:5]
	s_and_b64 exec, exec, s[68:69]
	s_cbranch_execz .LBB1099_189
; %bb.188:
	v_mov_b32_e32 v8, 0
	ds_write_b64 v8, v[24:25]
	ds_write_b8 v8, v72 offset:8
.LBB1099_189:
	s_or_b64 exec, exec, s[50:51]
	v_mov_b32_e32 v12, 0
	v_and_b32_e32 v13, 1, v1
	s_waitcnt lgkmcnt(0)
	; wave barrier
	s_waitcnt lgkmcnt(0)
	ds_read_b64 v[8:9], v12
	v_cmp_eq_u32_e32 vcc, 1, v13
	v_and_b32_e32 v13, 1, v44
	v_cmp_eq_u32_e64 s[4:5], 1, v13
	s_or_b64 s[4:5], vcc, s[4:5]
	v_add_f64 v[4:5], v[2:3], v[4:5]
	v_cmp_eq_u16_sdwa vcc, v1, v12 src0_sel:BYTE_0 src1_sel:DWORD
	v_cndmask_b32_e64 v13, 0, 1, s[4:5]
	v_cndmask_b32_e32 v4, v2, v4, vcc
	v_cndmask_b32_e32 v5, v3, v5, vcc
	v_cndmask_b32_e64 v13, v13, v1, s[68:69]
	v_cndmask_b32_e64 v5, v5, v3, s[68:69]
	;; [unrolled: 1-line block ×3, first 2 shown]
	s_waitcnt lgkmcnt(0)
	v_add_f64 v[8:9], v[4:5], v[8:9]
	v_cmp_eq_u16_sdwa vcc, v13, v12 src0_sel:BYTE_0 src1_sel:DWORD
	v_cndmask_b32_e32 v115, v5, v9, vcc
	v_cndmask_b32_e32 v114, v4, v8, vcc
	v_add_f64 v[4:5], v[18:19], v[114:115]
	v_cndmask_b32_e64 v45, v19, v5, s[6:7]
	v_cndmask_b32_e64 v44, v18, v4, s[6:7]
	v_add_f64 v[4:5], v[6:7], v[44:45]
	v_cndmask_b32_e64 v81, v7, v5, s[8:9]
	v_cndmask_b32_e64 v80, v6, v4, s[8:9]
	;; [unrolled: 3-line block ×19, first 2 shown]
	v_add_f64 v[4:5], v[20:21], v[118:119]
	v_readlane_b32 s2, v135, 12
	v_readlane_b32 s0, v135, 10
	v_cndmask_b32_e64 v121, v21, v5, s[46:47]
	v_cndmask_b32_e64 v120, v20, v4, s[46:47]
	v_readlane_b32 s3, v135, 13
	v_readlane_b32 s1, v135, 11
	s_branch .LBB1099_212
.LBB1099_190:
                                        ; implicit-def: $vgpr112_vgpr113_vgpr114_vgpr115
                                        ; implicit-def: $vgpr120_vgpr121
                                        ; implicit-def: $vgpr118_vgpr119
                                        ; implicit-def: $vgpr76_vgpr77
                                        ; implicit-def: $vgpr72_vgpr73
                                        ; implicit-def: $vgpr68_vgpr69
                                        ; implicit-def: $vgpr64_vgpr65
                                        ; implicit-def: $vgpr60_vgpr61
                                        ; implicit-def: $vgpr56_vgpr57
                                        ; implicit-def: $vgpr52_vgpr53
                                        ; implicit-def: $vgpr48_vgpr49
                                        ; implicit-def: $vgpr44_vgpr45
                                        ; implicit-def: $vgpr108_vgpr109_vgpr110_vgpr111
                                        ; implicit-def: $vgpr104_vgpr105_vgpr106_vgpr107
                                        ; implicit-def: $vgpr100_vgpr101_vgpr102_vgpr103
                                        ; implicit-def: $vgpr96_vgpr97_vgpr98_vgpr99
                                        ; implicit-def: $vgpr92_vgpr93_vgpr94_vgpr95
                                        ; implicit-def: $vgpr88_vgpr89_vgpr90_vgpr91
                                        ; implicit-def: $vgpr84_vgpr85_vgpr86_vgpr87
                                        ; implicit-def: $vgpr80_vgpr81_vgpr82_vgpr83
                                        ; implicit-def: $vgpr114_vgpr115_vgpr116_vgpr117
	s_cbranch_execz .LBB1099_212
; %bb.191:
	v_readlane_b32 s4, v135, 0
	v_readlane_b32 s5, v135, 1
	s_cmp_lg_u64 s[4:5], 0
	v_readlane_b32 s4, v135, 2
	v_readlane_b32 s6, v135, 4
	;; [unrolled: 1-line block ×3, first 2 shown]
	s_cselect_b32 s7, s7, 0
	s_cselect_b32 s6, s6, 0
	v_readlane_b32 s5, v135, 3
	s_cmp_lg_u64 s[6:7], 0
	v_readlane_b32 s8, v135, 6
	v_readlane_b32 s9, v135, 7
	s_cselect_b64 s[4:5], -1, 0
	s_and_b64 s[8:9], s[68:69], s[4:5]
	v_readlane_b32 s10, v135, 8
	v_readlane_b32 s11, v135, 9
	s_and_saveexec_b64 s[4:5], s[8:9]
	s_cbranch_execz .LBB1099_193
; %bb.192:
	v_mov_b32_e32 v8, 0
	global_load_dwordx2 v[4:5], v8, s[6:7]
	global_load_ubyte v9, v8, s[6:7] offset:8
	v_cmp_eq_u16_sdwa vcc, v1, v8 src0_sel:BYTE_0 src1_sel:DWORD
	s_waitcnt vmcnt(1)
	v_add_f64 v[4:5], v[2:3], v[4:5]
	s_waitcnt vmcnt(0)
	v_or_b32_e32 v9, v1, v9
	v_cndmask_b32_e32 v3, v3, v5, vcc
	v_cndmask_b32_e32 v2, v2, v4, vcc
	v_and_b32_e32 v1, 1, v9
.LBB1099_193:
	s_or_b64 exec, exec, s[4:5]
	v_mov_b32_e32 v9, 0
	v_add_f64 v[4:5], v[18:19], v[2:3]
	v_cmp_eq_u16_sdwa vcc, v128, v9 src0_sel:BYTE_0 src1_sel:DWORD
	v_cndmask_b32_e32 v45, v19, v5, vcc
	v_cndmask_b32_e32 v44, v18, v4, vcc
	s_movk_i32 s40, 0xff
	v_add_f64 v[4:5], v[6:7], v[44:45]
	v_cmp_eq_u16_sdwa s[6:7], v134, v9 src0_sel:BYTE_0 src1_sel:DWORD
	v_cndmask_b32_e64 v81, v7, v5, s[6:7]
	v_cndmask_b32_e64 v80, v6, v4, s[6:7]
	v_and_b32_sdwa v12, v128, s40 dst_sel:DWORD dst_unused:UNUSED_PAD src0_sel:WORD_1 src1_sel:DWORD
	v_add_f64 v[4:5], v[26:27], v[80:81]
	v_cmp_eq_u16_e64 s[8:9], 0, v12
	v_cndmask_b32_e64 v49, v27, v5, s[8:9]
	v_cndmask_b32_e64 v48, v26, v4, s[8:9]
	v_add_f64 v[4:5], v[14:15], v[48:49]
	v_cmp_eq_u16_sdwa s[10:11], v128, v9 src0_sel:BYTE_3 src1_sel:DWORD
	v_cndmask_b32_e64 v85, v15, v5, s[10:11]
	v_cndmask_b32_e64 v84, v14, v4, s[10:11]
	v_add_f64 v[4:5], v[34:35], v[84:85]
	v_cmp_eq_u16_sdwa s[12:13], v123, v9 src0_sel:BYTE_0 src1_sel:DWORD
	v_cndmask_b32_e64 v53, v35, v5, s[12:13]
	v_cndmask_b32_e64 v52, v34, v4, s[12:13]
	v_add_f64 v[4:5], v[22:23], v[52:53]
	v_cmp_eq_u16_sdwa s[14:15], v127, v9 src0_sel:BYTE_0 src1_sel:DWORD
	v_cndmask_b32_e64 v89, v23, v5, s[14:15]
	v_cndmask_b32_e64 v88, v22, v4, s[14:15]
	v_add_f64 v[4:5], v[42:43], v[88:89]
	v_cmp_eq_u16_sdwa s[16:17], v132, v9 src0_sel:BYTE_0 src1_sel:DWORD
	v_cndmask_b32_e64 v57, v43, v5, s[16:17]
	v_cndmask_b32_e64 v56, v42, v4, s[16:17]
	v_and_b32_sdwa v12, v127, s40 dst_sel:DWORD dst_unused:UNUSED_PAD src0_sel:WORD_1 src1_sel:DWORD
	v_add_f64 v[4:5], v[30:31], v[56:57]
	v_cmp_eq_u16_e64 s[18:19], 0, v12
	v_cndmask_b32_e64 v93, v31, v5, s[18:19]
	v_cndmask_b32_e64 v92, v30, v4, s[18:19]
	v_add_f64 v[4:5], v[50:51], v[92:93]
	v_cmp_eq_u16_sdwa s[20:21], v127, v9 src0_sel:BYTE_3 src1_sel:DWORD
	v_cndmask_b32_e64 v61, v51, v5, s[20:21]
	v_cndmask_b32_e64 v60, v50, v4, s[20:21]
	v_add_f64 v[4:5], v[38:39], v[60:61]
	v_cmp_eq_u16_sdwa s[22:23], v124, v9 src0_sel:BYTE_0 src1_sel:DWORD
	v_cndmask_b32_e64 v97, v39, v5, s[22:23]
	v_cndmask_b32_e64 v96, v38, v4, s[22:23]
	v_add_f64 v[4:5], v[58:59], v[96:97]
	v_cmp_eq_u16_sdwa s[24:25], v126, v9 src0_sel:BYTE_0 src1_sel:DWORD
	v_cndmask_b32_e64 v65, v59, v5, s[24:25]
	v_cndmask_b32_e64 v64, v58, v4, s[24:25]
	;; [unrolled: 21-line block ×3, first 2 shown]
	v_add_f64 v[4:5], v[78:79], v[108:109]
	v_cmp_eq_u16_sdwa s[38:39], v41, v9 src0_sel:BYTE_0 src1_sel:DWORD
	v_cndmask_b32_e64 v77, v79, v5, s[38:39]
	v_cndmask_b32_e64 v76, v78, v4, s[38:39]
	v_and_b32_sdwa v12, v125, s40 dst_sel:DWORD dst_unused:UNUSED_PAD src0_sel:WORD_1 src1_sel:DWORD
	v_add_f64 v[4:5], v[70:71], v[76:77]
	v_cmp_eq_u16_e64 s[40:41], 0, v12
	v_cndmask_b32_e64 v113, v71, v5, s[40:41]
	v_cndmask_b32_e64 v112, v70, v4, s[40:41]
	v_add_f64 v[4:5], v[10:11], v[112:113]
	v_cmp_eq_u16_sdwa s[42:43], v125, v9 src0_sel:BYTE_3 src1_sel:DWORD
	v_cndmask_b32_e64 v119, v11, v5, s[42:43]
	v_cndmask_b32_e64 v118, v10, v4, s[42:43]
	v_add_f64 v[4:5], v[20:21], v[118:119]
	v_cmp_eq_u16_sdwa s[44:45], v36, v9 src0_sel:BYTE_0 src1_sel:DWORD
	v_cndmask_b32_e64 v120, v20, v4, s[44:45]
	v_or_b32_e32 v4, v125, v126
	v_or3_b32 v4, v4, v127, v128
	v_lshrrev_b16_e32 v9, 7, v4
	v_cndmask_b32_e64 v121, v21, v5, s[44:45]
	v_and_b32_e32 v5, 1, v4
	v_and_b32_e32 v9, 2, v9
	v_or_b32_e32 v5, v5, v9
	v_lshrrev_b32_e32 v9, 23, v4
	v_mov_b32_e32 v12, 1
	v_and_b32_e32 v9, 2, v9
	v_and_b32_sdwa v4, v4, v12 dst_sel:DWORD dst_unused:UNUSED_PAD src0_sel:WORD_1 src1_sel:DWORD
	v_or_b32_e32 v4, v4, v9
	v_lshlrev_b16_e32 v4, 2, v4
	v_or_b32_e32 v4, v5, v4
	v_cmp_eq_u32_e64 s[50:51], 1, v40
	v_cmp_ne_u16_e64 s[52:53], 0, v4
	v_cmp_eq_u32_e64 s[48:49], 1, v129
	s_or_b64 s[50:51], s[52:53], s[50:51]
	v_cmp_eq_u32_e64 s[4:5], 1, v131
	s_or_b64 s[48:49], s[50:51], s[48:49]
	;; [unrolled: 2-line block ×3, first 2 shown]
	v_and_b32_e32 v8, 0xff, v1
	s_or_b64 s[4:5], s[4:5], s[46:47]
	v_mbcnt_hi_u32_b32 v16, -1, v37
	v_cndmask_b32_e64 v17, v8, 1, s[4:5]
	v_and_b32_e32 v24, 15, v16
	v_mov_b32_dpp v12, v120 row_shr:1 row_mask:0xf bank_mask:0xf
	v_mov_b32_dpp v13, v121 row_shr:1 row_mask:0xf bank_mask:0xf
	;; [unrolled: 1-line block ×3, first 2 shown]
	v_cmp_ne_u32_e64 s[4:5], 0, v24
	v_pk_mov_b32 v[4:5], v[120:121], v[120:121] op_sel:[0,1]
	v_mov_b32_e32 v9, v121
	v_mov_b32_e32 v8, v120
	s_and_saveexec_b64 s[46:47], s[4:5]
; %bb.194:
	v_add_f64 v[4:5], v[120:121], v[12:13]
	v_cmp_eq_u32_e64 s[4:5], 0, v17
	v_cndmask_b32_e64 v5, v121, v5, s[4:5]
	v_cndmask_b32_e64 v4, v120, v4, s[4:5]
	v_and_or_b32 v17, v25, 1, v17
	v_mov_b32_e32 v9, v5
	v_mov_b32_e32 v8, v4
; %bb.195:
	s_or_b64 exec, exec, s[46:47]
	s_nop 0
	v_mov_b32_dpp v12, v8 row_shr:2 row_mask:0xf bank_mask:0xf
	v_mov_b32_dpp v13, v9 row_shr:2 row_mask:0xf bank_mask:0xf
	v_mov_b32_dpp v25, v17 row_shr:2 row_mask:0xf bank_mask:0xf
	v_cmp_lt_u32_e64 s[4:5], 1, v24
	s_and_saveexec_b64 s[46:47], s[4:5]
; %bb.196:
	v_add_f64 v[8:9], v[4:5], v[12:13]
	v_cmp_eq_u32_e64 s[4:5], 0, v17
	v_cndmask_b32_e64 v9, v5, v9, s[4:5]
	v_cndmask_b32_e64 v8, v4, v8, s[4:5]
	v_or_b32_e32 v4, v25, v17
	v_and_b32_e32 v17, 1, v4
	v_pk_mov_b32 v[4:5], v[8:9], v[8:9] op_sel:[0,1]
; %bb.197:
	s_or_b64 exec, exec, s[46:47]
	v_mov_b32_dpp v12, v8 row_shr:4 row_mask:0xf bank_mask:0xf
	v_mov_b32_dpp v13, v9 row_shr:4 row_mask:0xf bank_mask:0xf
	v_mov_b32_dpp v25, v17 row_shr:4 row_mask:0xf bank_mask:0xf
	v_cmp_lt_u32_e64 s[4:5], 3, v24
	s_and_saveexec_b64 s[46:47], s[4:5]
; %bb.198:
	v_add_f64 v[8:9], v[4:5], v[12:13]
	v_cmp_eq_u32_e64 s[4:5], 0, v17
	v_cndmask_b32_e64 v9, v5, v9, s[4:5]
	v_cndmask_b32_e64 v8, v4, v8, s[4:5]
	v_or_b32_e32 v4, v25, v17
	v_and_b32_e32 v17, 1, v4
	v_pk_mov_b32 v[4:5], v[8:9], v[8:9] op_sel:[0,1]
; %bb.199:
	s_or_b64 exec, exec, s[46:47]
	;; [unrolled: 15-line block ×3, first 2 shown]
	v_and_b32_e32 v25, 16, v16
	v_mov_b32_dpp v12, v8 row_bcast:15 row_mask:0xf bank_mask:0xf
	v_mov_b32_dpp v13, v9 row_bcast:15 row_mask:0xf bank_mask:0xf
	;; [unrolled: 1-line block ×3, first 2 shown]
	v_cmp_ne_u32_e64 s[4:5], 0, v25
	s_and_saveexec_b64 s[46:47], s[4:5]
; %bb.202:
	v_add_f64 v[8:9], v[4:5], v[12:13]
	v_cmp_eq_u32_e64 s[4:5], 0, v17
	v_cndmask_b32_e64 v5, v5, v9, s[4:5]
	v_cndmask_b32_e64 v4, v4, v8, s[4:5]
	v_or_b32_e32 v8, v24, v17
	v_and_b32_e32 v17, 1, v8
	v_mov_b32_e32 v9, v5
	v_mov_b32_e32 v8, v4
; %bb.203:
	s_or_b64 exec, exec, s[46:47]
	s_nop 0
	v_mov_b32_dpp v8, v8 row_bcast:31 row_mask:0xf bank_mask:0xf
	v_mov_b32_dpp v9, v9 row_bcast:31 row_mask:0xf bank_mask:0xf
	;; [unrolled: 1-line block ×3, first 2 shown]
	v_cmp_lt_u32_e64 s[4:5], 31, v16
	s_and_saveexec_b64 s[46:47], s[4:5]
; %bb.204:
	v_add_f64 v[8:9], v[4:5], v[8:9]
	v_cmp_eq_u32_e64 s[4:5], 0, v17
	v_cndmask_b32_e64 v4, v4, v8, s[4:5]
	v_or_b32_e32 v8, v12, v17
	v_cndmask_b32_e64 v5, v5, v9, s[4:5]
	v_and_b32_e32 v17, 1, v8
; %bb.205:
	s_or_b64 exec, exec, s[46:47]
	v_cmp_eq_u32_e64 s[4:5], 63, v0
	s_and_saveexec_b64 s[46:47], s[4:5]
	s_cbranch_execz .LBB1099_207
; %bb.206:
	v_mov_b32_e32 v8, 0
	ds_write_b64 v8, v[4:5]
	ds_write_b8 v8, v17 offset:8
.LBB1099_207:
	s_or_b64 exec, exec, s[46:47]
	v_add_u32_e32 v8, -1, v16
	v_and_b32_e32 v9, 64, v16
	v_cmp_lt_i32_e64 s[4:5], v8, v9
	v_cndmask_b32_e64 v8, v8, v16, s[4:5]
	v_lshlrev_b32_e32 v8, 2, v8
	ds_bpermute_b32 v4, v8, v4
	ds_bpermute_b32 v5, v8, v5
	s_waitcnt lgkmcnt(0)
	; wave barrier
	s_waitcnt lgkmcnt(0)
	s_and_saveexec_b64 s[46:47], s[0:1]
	s_cbranch_execz .LBB1099_209
; %bb.208:
	v_mov_b32_e32 v8, 0
	v_add_f64 v[4:5], v[2:3], v[4:5]
	v_cmp_eq_u16_sdwa s[4:5], v1, v8 src0_sel:BYTE_0 src1_sel:DWORD
	v_cndmask_b32_e64 v3, v3, v5, s[4:5]
	v_cndmask_b32_e64 v2, v2, v4, s[4:5]
	v_add_f64 v[4:5], v[18:19], v[2:3]
	v_cndmask_b32_e32 v45, v19, v5, vcc
	v_cndmask_b32_e32 v44, v18, v4, vcc
	v_add_f64 v[4:5], v[6:7], v[44:45]
	v_cndmask_b32_e64 v81, v7, v5, s[6:7]
	v_cndmask_b32_e64 v80, v6, v4, s[6:7]
	v_add_f64 v[4:5], v[26:27], v[80:81]
	v_cndmask_b32_e64 v49, v27, v5, s[8:9]
	v_cndmask_b32_e64 v48, v26, v4, s[8:9]
	;; [unrolled: 3-line block ×19, first 2 shown]
	;;#ASMSTART
	;;#ASMEND
.LBB1099_209:
	s_or_b64 exec, exec, s[46:47]
	s_and_saveexec_b64 s[4:5], s[68:69]
	s_cbranch_execz .LBB1099_211
; %bb.210:
	v_mov_b32_e32 v1, 0
	ds_read_b64 v[4:5], v1
	ds_read_u8 v6, v1 offset:8
	v_mov_b32_e32 v7, 2
	s_waitcnt lgkmcnt(1)
	global_store_dwordx2 v1, v[4:5], s[90:91] offset:1024
	s_waitcnt lgkmcnt(0)
	global_store_byte v1, v6, s[90:91] offset:1032
	s_waitcnt vmcnt(0)
	buffer_wbinvl1_vol
	global_store_byte v1, v7, s[92:93] offset:64
.LBB1099_211:
	s_or_b64 exec, exec, s[4:5]
	v_pk_mov_b32 v[114:115], v[2:3], v[2:3] op_sel:[0,1]
.LBB1099_212:
	s_add_u32 s0, s66, s60
	s_addc_u32 s1, s67, s61
	s_add_u32 s4, s0, s2
	s_addc_u32 s5, s1, s3
	s_and_b64 vcc, exec, s[86:87]
	v_lshlrev_b32_e32 v46, 3, v0
	s_cbranch_vccz .LBB1099_254
; %bb.213:
	s_movk_i32 s0, 0xa8
	v_mul_i32_i24_e32 v50, 0xffffff60, v0
	v_mul_u32_u24_e32 v47, 0xa8, v0
	v_mad_u32_u24 v2, v0, s0, v50
	s_waitcnt lgkmcnt(0)
	; wave barrier
	ds_write2_b64 v47, v[114:115], v[44:45] offset1:1
	ds_write2_b64 v47, v[80:81], v[48:49] offset0:2 offset1:3
	ds_write2_b64 v47, v[84:85], v[52:53] offset0:4 offset1:5
	;; [unrolled: 1-line block ×9, first 2 shown]
	ds_write_b64 v47, v[120:121] offset:160
	s_waitcnt lgkmcnt(0)
	; wave barrier
	s_waitcnt lgkmcnt(0)
	ds_read2st64_b64 v[38:41], v2 offset0:1 offset1:2
	ds_read2st64_b64 v[34:37], v2 offset0:3 offset1:4
	;; [unrolled: 1-line block ×10, first 2 shown]
	v_mov_b32_e32 v43, s5
	v_add_co_u32_e32 v42, vcc, s4, v46
	s_add_i32 s33, s33, s94
	v_addc_co_u32_e32 v43, vcc, 0, v43, vcc
	v_mov_b32_e32 v1, 0
	v_cmp_gt_u32_e32 vcc, s33, v0
	s_and_saveexec_b64 s[0:1], vcc
	s_cbranch_execz .LBB1099_215
; %bb.214:
	v_add_u32_e32 v47, v47, v50
	ds_read_b64 v[50:51], v47
	s_waitcnt lgkmcnt(0)
	flat_store_dwordx2 v[42:43], v[50:51]
.LBB1099_215:
	s_or_b64 exec, exec, s[0:1]
	v_or_b32_e32 v47, 64, v0
	v_cmp_gt_u32_e32 vcc, s33, v47
	s_and_saveexec_b64 s[0:1], vcc
	s_cbranch_execz .LBB1099_217
; %bb.216:
	s_waitcnt lgkmcnt(0)
	flat_store_dwordx2 v[42:43], v[38:39] offset:512
.LBB1099_217:
	s_or_b64 exec, exec, s[0:1]
	s_waitcnt lgkmcnt(0)
	v_or_b32_e32 v38, 0x80, v0
	v_cmp_gt_u32_e32 vcc, s33, v38
	s_and_saveexec_b64 s[0:1], vcc
	s_cbranch_execz .LBB1099_219
; %bb.218:
	flat_store_dwordx2 v[42:43], v[40:41] offset:1024
.LBB1099_219:
	s_or_b64 exec, exec, s[0:1]
	v_or_b32_e32 v38, 0xc0, v0
	v_cmp_gt_u32_e32 vcc, s33, v38
	s_and_saveexec_b64 s[0:1], vcc
	s_cbranch_execz .LBB1099_221
; %bb.220:
	flat_store_dwordx2 v[42:43], v[34:35] offset:1536
.LBB1099_221:
	s_or_b64 exec, exec, s[0:1]
	;; [unrolled: 8-line block ×6, first 2 shown]
	v_or_b32_e32 v26, 0x200, v0
	v_cmp_gt_u32_e32 vcc, s33, v26
	s_and_saveexec_b64 s[0:1], vcc
	s_cbranch_execz .LBB1099_231
; %bb.230:
	v_add_co_u32_e32 v26, vcc, 0x1000, v42
	v_addc_co_u32_e32 v27, vcc, 0, v43, vcc
	flat_store_dwordx2 v[26:27], v[28:29]
.LBB1099_231:
	s_or_b64 exec, exec, s[0:1]
	v_or_b32_e32 v26, 0x240, v0
	v_cmp_gt_u32_e32 vcc, s33, v26
	s_and_saveexec_b64 s[0:1], vcc
	s_cbranch_execz .LBB1099_233
; %bb.232:
	v_add_co_u32_e32 v26, vcc, 0x1000, v42
	v_addc_co_u32_e32 v27, vcc, 0, v43, vcc
	flat_store_dwordx2 v[26:27], v[22:23] offset:512
.LBB1099_233:
	s_or_b64 exec, exec, s[0:1]
	v_or_b32_e32 v22, 0x280, v0
	v_cmp_gt_u32_e32 vcc, s33, v22
	s_and_saveexec_b64 s[0:1], vcc
	s_cbranch_execz .LBB1099_235
; %bb.234:
	v_add_co_u32_e32 v22, vcc, 0x1000, v42
	v_addc_co_u32_e32 v23, vcc, 0, v43, vcc
	flat_store_dwordx2 v[22:23], v[24:25] offset:1024
.LBB1099_235:
	;; [unrolled: 10-line block ×7, first 2 shown]
	s_or_b64 exec, exec, s[0:1]
	v_or_b32_e32 v10, 0x400, v0
	v_cmp_gt_u32_e32 vcc, s33, v10
	s_and_saveexec_b64 s[0:1], vcc
	s_cbranch_execz .LBB1099_247
; %bb.246:
	v_add_co_u32_e32 v10, vcc, 0x2000, v42
	v_addc_co_u32_e32 v11, vcc, 0, v43, vcc
	flat_store_dwordx2 v[10:11], v[12:13]
.LBB1099_247:
	s_or_b64 exec, exec, s[0:1]
	v_or_b32_e32 v10, 0x440, v0
	v_cmp_gt_u32_e32 vcc, s33, v10
	s_and_saveexec_b64 s[0:1], vcc
	s_cbranch_execz .LBB1099_249
; %bb.248:
	v_add_co_u32_e32 v10, vcc, 0x2000, v42
	v_addc_co_u32_e32 v11, vcc, 0, v43, vcc
	flat_store_dwordx2 v[10:11], v[6:7] offset:512
.LBB1099_249:
	s_or_b64 exec, exec, s[0:1]
	v_or_b32_e32 v6, 0x480, v0
	v_cmp_gt_u32_e32 vcc, s33, v6
	s_and_saveexec_b64 s[0:1], vcc
	s_cbranch_execz .LBB1099_251
; %bb.250:
	v_add_co_u32_e32 v6, vcc, 0x2000, v42
	v_addc_co_u32_e32 v7, vcc, 0, v43, vcc
	flat_store_dwordx2 v[6:7], v[8:9] offset:1024
.LBB1099_251:
	;; [unrolled: 10-line block ×3, first 2 shown]
	s_or_b64 exec, exec, s[0:1]
	v_or_b32_e32 v2, 0x500, v0
	v_cmp_gt_u32_e64 s[0:1], s33, v2
	s_branch .LBB1099_256
.LBB1099_254:
	s_mov_b64 s[0:1], 0
                                        ; implicit-def: $vgpr4_vgpr5
	s_cbranch_execz .LBB1099_256
; %bb.255:
	s_movk_i32 s2, 0xa8
	v_mul_i32_i24_e32 v2, 0xffffff60, v0
	v_mul_u32_u24_e32 v1, 0xa8, v0
	v_mad_u32_u24 v2, v0, s2, v2
	s_waitcnt lgkmcnt(0)
	; wave barrier
	s_waitcnt lgkmcnt(0)
	ds_write2_b64 v1, v[114:115], v[44:45] offset1:1
	ds_write2_b64 v1, v[80:81], v[48:49] offset0:2 offset1:3
	ds_write2_b64 v1, v[84:85], v[52:53] offset0:4 offset1:5
	;; [unrolled: 1-line block ×9, first 2 shown]
	ds_write_b64 v1, v[120:121] offset:160
	s_waitcnt lgkmcnt(0)
	; wave barrier
	s_waitcnt lgkmcnt(0)
	ds_read2st64_b64 v[6:9], v2 offset1:1
	ds_read2st64_b64 v[10:13], v2 offset0:2 offset1:3
	ds_read2st64_b64 v[14:17], v2 offset0:4 offset1:5
	ds_read2st64_b64 v[18:21], v2 offset0:6 offset1:7
	ds_read2st64_b64 v[22:25], v2 offset0:8 offset1:9
	ds_read2st64_b64 v[26:29], v2 offset0:10 offset1:11
	ds_read2st64_b64 v[30:33], v2 offset0:12 offset1:13
	ds_read2st64_b64 v[34:37], v2 offset0:14 offset1:15
	ds_read2st64_b64 v[38:41], v2 offset0:16 offset1:17
	ds_read2st64_b64 v[42:45], v2 offset0:18 offset1:19
	ds_read_b64 v[4:5], v2 offset:10240
	v_mov_b32_e32 v3, s5
	v_add_co_u32_e32 v2, vcc, s4, v46
	v_addc_co_u32_e32 v3, vcc, 0, v3, vcc
	s_movk_i32 s2, 0x1000
	s_waitcnt lgkmcnt(0)
	flat_store_dwordx2 v[2:3], v[6:7]
	flat_store_dwordx2 v[2:3], v[8:9] offset:512
	flat_store_dwordx2 v[2:3], v[10:11] offset:1024
	;; [unrolled: 1-line block ×7, first 2 shown]
	v_add_co_u32_e32 v6, vcc, s2, v2
	v_addc_co_u32_e32 v7, vcc, 0, v3, vcc
	v_add_co_u32_e32 v2, vcc, 0x2000, v2
	v_mov_b32_e32 v1, 0
	v_addc_co_u32_e32 v3, vcc, 0, v3, vcc
	s_or_b64 s[0:1], s[0:1], exec
	flat_store_dwordx2 v[6:7], v[22:23]
	flat_store_dwordx2 v[6:7], v[24:25] offset:512
	flat_store_dwordx2 v[6:7], v[26:27] offset:1024
	;; [unrolled: 1-line block ×7, first 2 shown]
	flat_store_dwordx2 v[2:3], v[38:39]
	flat_store_dwordx2 v[2:3], v[40:41] offset:512
	flat_store_dwordx2 v[2:3], v[42:43] offset:1024
	;; [unrolled: 1-line block ×3, first 2 shown]
.LBB1099_256:
	s_and_saveexec_b64 s[2:3], s[0:1]
	s_cbranch_execnz .LBB1099_258
; %bb.257:
	s_endpgm
.LBB1099_258:
	v_lshlrev_b64 v[0:1], 3, v[0:1]
	v_mov_b32_e32 v2, s5
	v_add_co_u32_e32 v0, vcc, s4, v0
	v_addc_co_u32_e32 v1, vcc, v2, v1, vcc
	v_add_co_u32_e32 v0, vcc, 0x2000, v0
	v_addc_co_u32_e32 v1, vcc, 0, v1, vcc
	flat_store_dwordx2 v[0:1], v[4:5] offset:2048
	s_endpgm
.LBB1099_259:
	v_lshlrev_b32_e32 v2, 3, v0
	v_mov_b32_e32 v3, s63
	v_add_co_u32_e32 v2, vcc, s62, v2
	v_addc_co_u32_e32 v3, vcc, 0, v3, vcc
	flat_load_dwordx2 v[2:3], v[2:3]
	s_or_b64 exec, exec, s[4:5]
                                        ; implicit-def: $vgpr6_vgpr7
	s_and_saveexec_b64 s[4:5], s[8:9]
	s_cbranch_execz .LBB1099_55
.LBB1099_260:
	v_lshlrev_b32_e32 v6, 3, v0
	v_mov_b32_e32 v7, s63
	v_add_co_u32_e32 v6, vcc, s62, v6
	v_addc_co_u32_e32 v7, vcc, 0, v7, vcc
	flat_load_dwordx2 v[6:7], v[6:7] offset:512
	s_or_b64 exec, exec, s[4:5]
                                        ; implicit-def: $vgpr10_vgpr11
	s_and_saveexec_b64 s[4:5], s[10:11]
	s_cbranch_execz .LBB1099_56
.LBB1099_261:
	v_lshlrev_b32_e32 v10, 3, v0
	v_mov_b32_e32 v11, s63
	v_add_co_u32_e32 v10, vcc, s62, v10
	v_addc_co_u32_e32 v11, vcc, 0, v11, vcc
	flat_load_dwordx2 v[10:11], v[10:11] offset:1024
	s_or_b64 exec, exec, s[4:5]
                                        ; implicit-def: $vgpr14_vgpr15
	s_and_saveexec_b64 s[4:5], s[12:13]
	s_cbranch_execz .LBB1099_57
.LBB1099_262:
	v_lshlrev_b32_e32 v14, 3, v0
	v_mov_b32_e32 v15, s63
	v_add_co_u32_e32 v14, vcc, s62, v14
	v_addc_co_u32_e32 v15, vcc, 0, v15, vcc
	flat_load_dwordx2 v[14:15], v[14:15] offset:1536
	s_or_b64 exec, exec, s[4:5]
                                        ; implicit-def: $vgpr18_vgpr19
	s_and_saveexec_b64 s[4:5], s[14:15]
	s_cbranch_execz .LBB1099_58
.LBB1099_263:
	v_lshlrev_b32_e32 v18, 3, v0
	v_mov_b32_e32 v19, s63
	v_add_co_u32_e32 v18, vcc, s62, v18
	v_addc_co_u32_e32 v19, vcc, 0, v19, vcc
	flat_load_dwordx2 v[18:19], v[18:19] offset:2048
	s_or_b64 exec, exec, s[4:5]
                                        ; implicit-def: $vgpr20_vgpr21
	s_and_saveexec_b64 s[4:5], s[16:17]
	s_cbranch_execz .LBB1099_59
.LBB1099_264:
	v_lshlrev_b32_e32 v20, 3, v0
	v_mov_b32_e32 v21, s63
	v_add_co_u32_e32 v20, vcc, s62, v20
	v_addc_co_u32_e32 v21, vcc, 0, v21, vcc
	flat_load_dwordx2 v[20:21], v[20:21] offset:2560
	s_or_b64 exec, exec, s[4:5]
                                        ; implicit-def: $vgpr22_vgpr23
	s_and_saveexec_b64 s[4:5], s[18:19]
	s_cbranch_execz .LBB1099_60
.LBB1099_265:
	v_lshlrev_b32_e32 v22, 3, v0
	v_mov_b32_e32 v23, s63
	v_add_co_u32_e32 v22, vcc, s62, v22
	v_addc_co_u32_e32 v23, vcc, 0, v23, vcc
	flat_load_dwordx2 v[22:23], v[22:23] offset:3072
	s_or_b64 exec, exec, s[4:5]
                                        ; implicit-def: $vgpr26_vgpr27
	s_and_saveexec_b64 s[4:5], s[20:21]
	s_cbranch_execz .LBB1099_61
.LBB1099_266:
	v_lshlrev_b32_e32 v26, 3, v0
	v_mov_b32_e32 v27, s63
	v_add_co_u32_e32 v26, vcc, s62, v26
	v_addc_co_u32_e32 v27, vcc, 0, v27, vcc
	flat_load_dwordx2 v[26:27], v[26:27] offset:3584
	s_or_b64 exec, exec, s[4:5]
                                        ; implicit-def: $vgpr30_vgpr31
	s_and_saveexec_b64 s[4:5], s[22:23]
	s_cbranch_execz .LBB1099_62
.LBB1099_267:
	v_lshlrev_b32_e32 v1, 3, v1
	v_mov_b32_e32 v31, s63
	v_add_co_u32_e32 v30, vcc, s62, v1
	v_addc_co_u32_e32 v31, vcc, 0, v31, vcc
	flat_load_dwordx2 v[30:31], v[30:31]
	s_or_b64 exec, exec, s[4:5]
                                        ; implicit-def: $vgpr34_vgpr35
	s_and_saveexec_b64 s[4:5], s[24:25]
	s_cbranch_execz .LBB1099_63
.LBB1099_268:
	v_lshlrev_b32_e32 v1, 3, v38
	v_mov_b32_e32 v35, s63
	v_add_co_u32_e32 v34, vcc, s62, v1
	v_addc_co_u32_e32 v35, vcc, 0, v35, vcc
	flat_load_dwordx2 v[34:35], v[34:35]
	s_or_b64 exec, exec, s[4:5]
                                        ; implicit-def: $vgpr38_vgpr39
	s_and_saveexec_b64 s[4:5], s[26:27]
	s_cbranch_execz .LBB1099_64
.LBB1099_269:
	v_lshlrev_b32_e32 v1, 3, v42
	v_mov_b32_e32 v39, s63
	v_add_co_u32_e32 v38, vcc, s62, v1
	v_addc_co_u32_e32 v39, vcc, 0, v39, vcc
	flat_load_dwordx2 v[38:39], v[38:39]
	s_or_b64 exec, exec, s[4:5]
                                        ; implicit-def: $vgpr42_vgpr43
	s_and_saveexec_b64 s[4:5], s[28:29]
	s_cbranch_execz .LBB1099_65
.LBB1099_270:
	v_lshlrev_b32_e32 v1, 3, v46
	v_mov_b32_e32 v43, s63
	v_add_co_u32_e32 v42, vcc, s62, v1
	v_addc_co_u32_e32 v43, vcc, 0, v43, vcc
	flat_load_dwordx2 v[42:43], v[42:43]
	s_or_b64 exec, exec, s[4:5]
                                        ; implicit-def: $vgpr46_vgpr47
	s_and_saveexec_b64 s[4:5], s[30:31]
	s_cbranch_execz .LBB1099_66
.LBB1099_271:
	v_lshlrev_b32_e32 v1, 3, v48
	v_mov_b32_e32 v47, s63
	v_add_co_u32_e32 v46, vcc, s62, v1
	v_addc_co_u32_e32 v47, vcc, 0, v47, vcc
	flat_load_dwordx2 v[46:47], v[46:47]
	s_or_b64 exec, exec, s[4:5]
                                        ; implicit-def: $vgpr48_vgpr49
	s_and_saveexec_b64 s[4:5], s[34:35]
	s_cbranch_execz .LBB1099_67
.LBB1099_272:
	v_lshlrev_b32_e32 v1, 3, v50
	v_mov_b32_e32 v49, s63
	v_add_co_u32_e32 v48, vcc, s62, v1
	v_addc_co_u32_e32 v49, vcc, 0, v49, vcc
	flat_load_dwordx2 v[48:49], v[48:49]
	s_or_b64 exec, exec, s[4:5]
                                        ; implicit-def: $vgpr50_vgpr51
	s_and_saveexec_b64 s[4:5], s[36:37]
	s_cbranch_execz .LBB1099_68
.LBB1099_273:
	v_lshlrev_b32_e32 v1, 3, v52
	v_mov_b32_e32 v51, s63
	v_add_co_u32_e32 v50, vcc, s62, v1
	v_addc_co_u32_e32 v51, vcc, 0, v51, vcc
	flat_load_dwordx2 v[50:51], v[50:51]
	s_or_b64 exec, exec, s[4:5]
                                        ; implicit-def: $vgpr52_vgpr53
	s_and_saveexec_b64 s[4:5], s[38:39]
	s_cbranch_execz .LBB1099_69
.LBB1099_274:
	v_lshlrev_b32_e32 v1, 3, v54
	v_mov_b32_e32 v53, s63
	v_add_co_u32_e32 v52, vcc, s62, v1
	v_addc_co_u32_e32 v53, vcc, 0, v53, vcc
	flat_load_dwordx2 v[52:53], v[52:53]
	s_or_b64 exec, exec, s[4:5]
                                        ; implicit-def: $vgpr54_vgpr55
	s_and_saveexec_b64 s[4:5], s[40:41]
	s_cbranch_execz .LBB1099_70
.LBB1099_275:
	v_lshlrev_b32_e32 v1, 3, v56
	v_mov_b32_e32 v55, s63
	v_add_co_u32_e32 v54, vcc, s62, v1
	v_addc_co_u32_e32 v55, vcc, 0, v55, vcc
	flat_load_dwordx2 v[54:55], v[54:55]
	s_or_b64 exec, exec, s[4:5]
                                        ; implicit-def: $vgpr56_vgpr57
	s_and_saveexec_b64 s[4:5], s[42:43]
	s_cbranch_execz .LBB1099_71
.LBB1099_276:
	v_lshlrev_b32_e32 v1, 3, v58
	v_mov_b32_e32 v57, s63
	v_add_co_u32_e32 v56, vcc, s62, v1
	v_addc_co_u32_e32 v57, vcc, 0, v57, vcc
	flat_load_dwordx2 v[56:57], v[56:57]
	s_or_b64 exec, exec, s[4:5]
                                        ; implicit-def: $vgpr58_vgpr59
	s_and_saveexec_b64 s[4:5], s[44:45]
	s_cbranch_execz .LBB1099_72
.LBB1099_277:
	v_lshlrev_b32_e32 v1, 3, v60
	v_mov_b32_e32 v59, s63
	v_add_co_u32_e32 v58, vcc, s62, v1
	v_addc_co_u32_e32 v59, vcc, 0, v59, vcc
	flat_load_dwordx2 v[58:59], v[58:59]
	s_or_b64 exec, exec, s[4:5]
                                        ; implicit-def: $vgpr60_vgpr61
	s_and_saveexec_b64 s[4:5], s[46:47]
	s_cbranch_execz .LBB1099_73
.LBB1099_278:
	v_lshlrev_b32_e32 v1, 3, v62
	v_mov_b32_e32 v61, s63
	v_add_co_u32_e32 v60, vcc, s62, v1
	v_addc_co_u32_e32 v61, vcc, 0, v61, vcc
	flat_load_dwordx2 v[60:61], v[60:61]
	s_or_b64 exec, exec, s[4:5]
                                        ; implicit-def: $vgpr62_vgpr63
	s_and_saveexec_b64 s[4:5], s[48:49]
	s_cbranch_execnz .LBB1099_74
	s_branch .LBB1099_75
.LBB1099_279:
                                        ; implicit-def: $sgpr4_sgpr5
	s_branch .LBB1099_50
.LBB1099_280:
                                        ; implicit-def: $sgpr4_sgpr5
	s_branch .LBB1099_120
	.section	.rodata,"a",@progbits
	.p2align	6, 0x0
	.amdhsa_kernel _ZN7rocprim17ROCPRIM_400000_NS6detail17trampoline_kernelINS0_14default_configENS1_27scan_by_key_config_selectorIidEEZZNS1_16scan_by_key_implILNS1_25lookback_scan_determinismE0ELb0ES3_N6thrust23THRUST_200600_302600_NS6detail15normal_iteratorINS9_10device_ptrIiEEEENSB_INSC_IdEEEESG_dNS9_4plusIvEENS9_8equal_toIvEEdEE10hipError_tPvRmT2_T3_T4_T5_mT6_T7_P12ihipStream_tbENKUlT_T0_E_clISt17integral_constantIbLb1EES11_EEDaSW_SX_EUlSW_E_NS1_11comp_targetILNS1_3genE4ELNS1_11target_archE910ELNS1_3gpuE8ELNS1_3repE0EEENS1_30default_config_static_selectorELNS0_4arch9wavefront6targetE1EEEvT1_
		.amdhsa_group_segment_fixed_size 10752
		.amdhsa_private_segment_fixed_size 0
		.amdhsa_kernarg_size 136
		.amdhsa_user_sgpr_count 6
		.amdhsa_user_sgpr_private_segment_buffer 1
		.amdhsa_user_sgpr_dispatch_ptr 0
		.amdhsa_user_sgpr_queue_ptr 0
		.amdhsa_user_sgpr_kernarg_segment_ptr 1
		.amdhsa_user_sgpr_dispatch_id 0
		.amdhsa_user_sgpr_flat_scratch_init 0
		.amdhsa_user_sgpr_kernarg_preload_length 0
		.amdhsa_user_sgpr_kernarg_preload_offset 0
		.amdhsa_user_sgpr_private_segment_size 0
		.amdhsa_uses_dynamic_stack 0
		.amdhsa_system_sgpr_private_segment_wavefront_offset 0
		.amdhsa_system_sgpr_workgroup_id_x 1
		.amdhsa_system_sgpr_workgroup_id_y 0
		.amdhsa_system_sgpr_workgroup_id_z 0
		.amdhsa_system_sgpr_workgroup_info 0
		.amdhsa_system_vgpr_workitem_id 0
		.amdhsa_next_free_vgpr 136
		.amdhsa_next_free_sgpr 96
		.amdhsa_accum_offset 136
		.amdhsa_reserve_vcc 1
		.amdhsa_reserve_flat_scratch 0
		.amdhsa_float_round_mode_32 0
		.amdhsa_float_round_mode_16_64 0
		.amdhsa_float_denorm_mode_32 3
		.amdhsa_float_denorm_mode_16_64 3
		.amdhsa_dx10_clamp 1
		.amdhsa_ieee_mode 1
		.amdhsa_fp16_overflow 0
		.amdhsa_tg_split 0
		.amdhsa_exception_fp_ieee_invalid_op 0
		.amdhsa_exception_fp_denorm_src 0
		.amdhsa_exception_fp_ieee_div_zero 0
		.amdhsa_exception_fp_ieee_overflow 0
		.amdhsa_exception_fp_ieee_underflow 0
		.amdhsa_exception_fp_ieee_inexact 0
		.amdhsa_exception_int_div_zero 0
	.end_amdhsa_kernel
	.section	.text._ZN7rocprim17ROCPRIM_400000_NS6detail17trampoline_kernelINS0_14default_configENS1_27scan_by_key_config_selectorIidEEZZNS1_16scan_by_key_implILNS1_25lookback_scan_determinismE0ELb0ES3_N6thrust23THRUST_200600_302600_NS6detail15normal_iteratorINS9_10device_ptrIiEEEENSB_INSC_IdEEEESG_dNS9_4plusIvEENS9_8equal_toIvEEdEE10hipError_tPvRmT2_T3_T4_T5_mT6_T7_P12ihipStream_tbENKUlT_T0_E_clISt17integral_constantIbLb1EES11_EEDaSW_SX_EUlSW_E_NS1_11comp_targetILNS1_3genE4ELNS1_11target_archE910ELNS1_3gpuE8ELNS1_3repE0EEENS1_30default_config_static_selectorELNS0_4arch9wavefront6targetE1EEEvT1_,"axG",@progbits,_ZN7rocprim17ROCPRIM_400000_NS6detail17trampoline_kernelINS0_14default_configENS1_27scan_by_key_config_selectorIidEEZZNS1_16scan_by_key_implILNS1_25lookback_scan_determinismE0ELb0ES3_N6thrust23THRUST_200600_302600_NS6detail15normal_iteratorINS9_10device_ptrIiEEEENSB_INSC_IdEEEESG_dNS9_4plusIvEENS9_8equal_toIvEEdEE10hipError_tPvRmT2_T3_T4_T5_mT6_T7_P12ihipStream_tbENKUlT_T0_E_clISt17integral_constantIbLb1EES11_EEDaSW_SX_EUlSW_E_NS1_11comp_targetILNS1_3genE4ELNS1_11target_archE910ELNS1_3gpuE8ELNS1_3repE0EEENS1_30default_config_static_selectorELNS0_4arch9wavefront6targetE1EEEvT1_,comdat
.Lfunc_end1099:
	.size	_ZN7rocprim17ROCPRIM_400000_NS6detail17trampoline_kernelINS0_14default_configENS1_27scan_by_key_config_selectorIidEEZZNS1_16scan_by_key_implILNS1_25lookback_scan_determinismE0ELb0ES3_N6thrust23THRUST_200600_302600_NS6detail15normal_iteratorINS9_10device_ptrIiEEEENSB_INSC_IdEEEESG_dNS9_4plusIvEENS9_8equal_toIvEEdEE10hipError_tPvRmT2_T3_T4_T5_mT6_T7_P12ihipStream_tbENKUlT_T0_E_clISt17integral_constantIbLb1EES11_EEDaSW_SX_EUlSW_E_NS1_11comp_targetILNS1_3genE4ELNS1_11target_archE910ELNS1_3gpuE8ELNS1_3repE0EEENS1_30default_config_static_selectorELNS0_4arch9wavefront6targetE1EEEvT1_, .Lfunc_end1099-_ZN7rocprim17ROCPRIM_400000_NS6detail17trampoline_kernelINS0_14default_configENS1_27scan_by_key_config_selectorIidEEZZNS1_16scan_by_key_implILNS1_25lookback_scan_determinismE0ELb0ES3_N6thrust23THRUST_200600_302600_NS6detail15normal_iteratorINS9_10device_ptrIiEEEENSB_INSC_IdEEEESG_dNS9_4plusIvEENS9_8equal_toIvEEdEE10hipError_tPvRmT2_T3_T4_T5_mT6_T7_P12ihipStream_tbENKUlT_T0_E_clISt17integral_constantIbLb1EES11_EEDaSW_SX_EUlSW_E_NS1_11comp_targetILNS1_3genE4ELNS1_11target_archE910ELNS1_3gpuE8ELNS1_3repE0EEENS1_30default_config_static_selectorELNS0_4arch9wavefront6targetE1EEEvT1_
                                        ; -- End function
	.section	.AMDGPU.csdata,"",@progbits
; Kernel info:
; codeLenInByte = 16720
; NumSgprs: 100
; NumVgprs: 136
; NumAgprs: 0
; TotalNumVgprs: 136
; ScratchSize: 0
; MemoryBound: 0
; FloatMode: 240
; IeeeMode: 1
; LDSByteSize: 10752 bytes/workgroup (compile time only)
; SGPRBlocks: 12
; VGPRBlocks: 16
; NumSGPRsForWavesPerEU: 100
; NumVGPRsForWavesPerEU: 136
; AccumOffset: 136
; Occupancy: 2
; WaveLimiterHint : 1
; COMPUTE_PGM_RSRC2:SCRATCH_EN: 0
; COMPUTE_PGM_RSRC2:USER_SGPR: 6
; COMPUTE_PGM_RSRC2:TRAP_HANDLER: 0
; COMPUTE_PGM_RSRC2:TGID_X_EN: 1
; COMPUTE_PGM_RSRC2:TGID_Y_EN: 0
; COMPUTE_PGM_RSRC2:TGID_Z_EN: 0
; COMPUTE_PGM_RSRC2:TIDIG_COMP_CNT: 0
; COMPUTE_PGM_RSRC3_GFX90A:ACCUM_OFFSET: 33
; COMPUTE_PGM_RSRC3_GFX90A:TG_SPLIT: 0
	.section	.text._ZN7rocprim17ROCPRIM_400000_NS6detail17trampoline_kernelINS0_14default_configENS1_27scan_by_key_config_selectorIidEEZZNS1_16scan_by_key_implILNS1_25lookback_scan_determinismE0ELb0ES3_N6thrust23THRUST_200600_302600_NS6detail15normal_iteratorINS9_10device_ptrIiEEEENSB_INSC_IdEEEESG_dNS9_4plusIvEENS9_8equal_toIvEEdEE10hipError_tPvRmT2_T3_T4_T5_mT6_T7_P12ihipStream_tbENKUlT_T0_E_clISt17integral_constantIbLb1EES11_EEDaSW_SX_EUlSW_E_NS1_11comp_targetILNS1_3genE3ELNS1_11target_archE908ELNS1_3gpuE7ELNS1_3repE0EEENS1_30default_config_static_selectorELNS0_4arch9wavefront6targetE1EEEvT1_,"axG",@progbits,_ZN7rocprim17ROCPRIM_400000_NS6detail17trampoline_kernelINS0_14default_configENS1_27scan_by_key_config_selectorIidEEZZNS1_16scan_by_key_implILNS1_25lookback_scan_determinismE0ELb0ES3_N6thrust23THRUST_200600_302600_NS6detail15normal_iteratorINS9_10device_ptrIiEEEENSB_INSC_IdEEEESG_dNS9_4plusIvEENS9_8equal_toIvEEdEE10hipError_tPvRmT2_T3_T4_T5_mT6_T7_P12ihipStream_tbENKUlT_T0_E_clISt17integral_constantIbLb1EES11_EEDaSW_SX_EUlSW_E_NS1_11comp_targetILNS1_3genE3ELNS1_11target_archE908ELNS1_3gpuE7ELNS1_3repE0EEENS1_30default_config_static_selectorELNS0_4arch9wavefront6targetE1EEEvT1_,comdat
	.protected	_ZN7rocprim17ROCPRIM_400000_NS6detail17trampoline_kernelINS0_14default_configENS1_27scan_by_key_config_selectorIidEEZZNS1_16scan_by_key_implILNS1_25lookback_scan_determinismE0ELb0ES3_N6thrust23THRUST_200600_302600_NS6detail15normal_iteratorINS9_10device_ptrIiEEEENSB_INSC_IdEEEESG_dNS9_4plusIvEENS9_8equal_toIvEEdEE10hipError_tPvRmT2_T3_T4_T5_mT6_T7_P12ihipStream_tbENKUlT_T0_E_clISt17integral_constantIbLb1EES11_EEDaSW_SX_EUlSW_E_NS1_11comp_targetILNS1_3genE3ELNS1_11target_archE908ELNS1_3gpuE7ELNS1_3repE0EEENS1_30default_config_static_selectorELNS0_4arch9wavefront6targetE1EEEvT1_ ; -- Begin function _ZN7rocprim17ROCPRIM_400000_NS6detail17trampoline_kernelINS0_14default_configENS1_27scan_by_key_config_selectorIidEEZZNS1_16scan_by_key_implILNS1_25lookback_scan_determinismE0ELb0ES3_N6thrust23THRUST_200600_302600_NS6detail15normal_iteratorINS9_10device_ptrIiEEEENSB_INSC_IdEEEESG_dNS9_4plusIvEENS9_8equal_toIvEEdEE10hipError_tPvRmT2_T3_T4_T5_mT6_T7_P12ihipStream_tbENKUlT_T0_E_clISt17integral_constantIbLb1EES11_EEDaSW_SX_EUlSW_E_NS1_11comp_targetILNS1_3genE3ELNS1_11target_archE908ELNS1_3gpuE7ELNS1_3repE0EEENS1_30default_config_static_selectorELNS0_4arch9wavefront6targetE1EEEvT1_
	.globl	_ZN7rocprim17ROCPRIM_400000_NS6detail17trampoline_kernelINS0_14default_configENS1_27scan_by_key_config_selectorIidEEZZNS1_16scan_by_key_implILNS1_25lookback_scan_determinismE0ELb0ES3_N6thrust23THRUST_200600_302600_NS6detail15normal_iteratorINS9_10device_ptrIiEEEENSB_INSC_IdEEEESG_dNS9_4plusIvEENS9_8equal_toIvEEdEE10hipError_tPvRmT2_T3_T4_T5_mT6_T7_P12ihipStream_tbENKUlT_T0_E_clISt17integral_constantIbLb1EES11_EEDaSW_SX_EUlSW_E_NS1_11comp_targetILNS1_3genE3ELNS1_11target_archE908ELNS1_3gpuE7ELNS1_3repE0EEENS1_30default_config_static_selectorELNS0_4arch9wavefront6targetE1EEEvT1_
	.p2align	8
	.type	_ZN7rocprim17ROCPRIM_400000_NS6detail17trampoline_kernelINS0_14default_configENS1_27scan_by_key_config_selectorIidEEZZNS1_16scan_by_key_implILNS1_25lookback_scan_determinismE0ELb0ES3_N6thrust23THRUST_200600_302600_NS6detail15normal_iteratorINS9_10device_ptrIiEEEENSB_INSC_IdEEEESG_dNS9_4plusIvEENS9_8equal_toIvEEdEE10hipError_tPvRmT2_T3_T4_T5_mT6_T7_P12ihipStream_tbENKUlT_T0_E_clISt17integral_constantIbLb1EES11_EEDaSW_SX_EUlSW_E_NS1_11comp_targetILNS1_3genE3ELNS1_11target_archE908ELNS1_3gpuE7ELNS1_3repE0EEENS1_30default_config_static_selectorELNS0_4arch9wavefront6targetE1EEEvT1_,@function
_ZN7rocprim17ROCPRIM_400000_NS6detail17trampoline_kernelINS0_14default_configENS1_27scan_by_key_config_selectorIidEEZZNS1_16scan_by_key_implILNS1_25lookback_scan_determinismE0ELb0ES3_N6thrust23THRUST_200600_302600_NS6detail15normal_iteratorINS9_10device_ptrIiEEEENSB_INSC_IdEEEESG_dNS9_4plusIvEENS9_8equal_toIvEEdEE10hipError_tPvRmT2_T3_T4_T5_mT6_T7_P12ihipStream_tbENKUlT_T0_E_clISt17integral_constantIbLb1EES11_EEDaSW_SX_EUlSW_E_NS1_11comp_targetILNS1_3genE3ELNS1_11target_archE908ELNS1_3gpuE7ELNS1_3repE0EEENS1_30default_config_static_selectorELNS0_4arch9wavefront6targetE1EEEvT1_: ; @_ZN7rocprim17ROCPRIM_400000_NS6detail17trampoline_kernelINS0_14default_configENS1_27scan_by_key_config_selectorIidEEZZNS1_16scan_by_key_implILNS1_25lookback_scan_determinismE0ELb0ES3_N6thrust23THRUST_200600_302600_NS6detail15normal_iteratorINS9_10device_ptrIiEEEENSB_INSC_IdEEEESG_dNS9_4plusIvEENS9_8equal_toIvEEdEE10hipError_tPvRmT2_T3_T4_T5_mT6_T7_P12ihipStream_tbENKUlT_T0_E_clISt17integral_constantIbLb1EES11_EEDaSW_SX_EUlSW_E_NS1_11comp_targetILNS1_3genE3ELNS1_11target_archE908ELNS1_3gpuE7ELNS1_3repE0EEENS1_30default_config_static_selectorELNS0_4arch9wavefront6targetE1EEEvT1_
; %bb.0:
	.section	.rodata,"a",@progbits
	.p2align	6, 0x0
	.amdhsa_kernel _ZN7rocprim17ROCPRIM_400000_NS6detail17trampoline_kernelINS0_14default_configENS1_27scan_by_key_config_selectorIidEEZZNS1_16scan_by_key_implILNS1_25lookback_scan_determinismE0ELb0ES3_N6thrust23THRUST_200600_302600_NS6detail15normal_iteratorINS9_10device_ptrIiEEEENSB_INSC_IdEEEESG_dNS9_4plusIvEENS9_8equal_toIvEEdEE10hipError_tPvRmT2_T3_T4_T5_mT6_T7_P12ihipStream_tbENKUlT_T0_E_clISt17integral_constantIbLb1EES11_EEDaSW_SX_EUlSW_E_NS1_11comp_targetILNS1_3genE3ELNS1_11target_archE908ELNS1_3gpuE7ELNS1_3repE0EEENS1_30default_config_static_selectorELNS0_4arch9wavefront6targetE1EEEvT1_
		.amdhsa_group_segment_fixed_size 0
		.amdhsa_private_segment_fixed_size 0
		.amdhsa_kernarg_size 136
		.amdhsa_user_sgpr_count 6
		.amdhsa_user_sgpr_private_segment_buffer 1
		.amdhsa_user_sgpr_dispatch_ptr 0
		.amdhsa_user_sgpr_queue_ptr 0
		.amdhsa_user_sgpr_kernarg_segment_ptr 1
		.amdhsa_user_sgpr_dispatch_id 0
		.amdhsa_user_sgpr_flat_scratch_init 0
		.amdhsa_user_sgpr_kernarg_preload_length 0
		.amdhsa_user_sgpr_kernarg_preload_offset 0
		.amdhsa_user_sgpr_private_segment_size 0
		.amdhsa_uses_dynamic_stack 0
		.amdhsa_system_sgpr_private_segment_wavefront_offset 0
		.amdhsa_system_sgpr_workgroup_id_x 1
		.amdhsa_system_sgpr_workgroup_id_y 0
		.amdhsa_system_sgpr_workgroup_id_z 0
		.amdhsa_system_sgpr_workgroup_info 0
		.amdhsa_system_vgpr_workitem_id 0
		.amdhsa_next_free_vgpr 1
		.amdhsa_next_free_sgpr 0
		.amdhsa_accum_offset 4
		.amdhsa_reserve_vcc 0
		.amdhsa_reserve_flat_scratch 0
		.amdhsa_float_round_mode_32 0
		.amdhsa_float_round_mode_16_64 0
		.amdhsa_float_denorm_mode_32 3
		.amdhsa_float_denorm_mode_16_64 3
		.amdhsa_dx10_clamp 1
		.amdhsa_ieee_mode 1
		.amdhsa_fp16_overflow 0
		.amdhsa_tg_split 0
		.amdhsa_exception_fp_ieee_invalid_op 0
		.amdhsa_exception_fp_denorm_src 0
		.amdhsa_exception_fp_ieee_div_zero 0
		.amdhsa_exception_fp_ieee_overflow 0
		.amdhsa_exception_fp_ieee_underflow 0
		.amdhsa_exception_fp_ieee_inexact 0
		.amdhsa_exception_int_div_zero 0
	.end_amdhsa_kernel
	.section	.text._ZN7rocprim17ROCPRIM_400000_NS6detail17trampoline_kernelINS0_14default_configENS1_27scan_by_key_config_selectorIidEEZZNS1_16scan_by_key_implILNS1_25lookback_scan_determinismE0ELb0ES3_N6thrust23THRUST_200600_302600_NS6detail15normal_iteratorINS9_10device_ptrIiEEEENSB_INSC_IdEEEESG_dNS9_4plusIvEENS9_8equal_toIvEEdEE10hipError_tPvRmT2_T3_T4_T5_mT6_T7_P12ihipStream_tbENKUlT_T0_E_clISt17integral_constantIbLb1EES11_EEDaSW_SX_EUlSW_E_NS1_11comp_targetILNS1_3genE3ELNS1_11target_archE908ELNS1_3gpuE7ELNS1_3repE0EEENS1_30default_config_static_selectorELNS0_4arch9wavefront6targetE1EEEvT1_,"axG",@progbits,_ZN7rocprim17ROCPRIM_400000_NS6detail17trampoline_kernelINS0_14default_configENS1_27scan_by_key_config_selectorIidEEZZNS1_16scan_by_key_implILNS1_25lookback_scan_determinismE0ELb0ES3_N6thrust23THRUST_200600_302600_NS6detail15normal_iteratorINS9_10device_ptrIiEEEENSB_INSC_IdEEEESG_dNS9_4plusIvEENS9_8equal_toIvEEdEE10hipError_tPvRmT2_T3_T4_T5_mT6_T7_P12ihipStream_tbENKUlT_T0_E_clISt17integral_constantIbLb1EES11_EEDaSW_SX_EUlSW_E_NS1_11comp_targetILNS1_3genE3ELNS1_11target_archE908ELNS1_3gpuE7ELNS1_3repE0EEENS1_30default_config_static_selectorELNS0_4arch9wavefront6targetE1EEEvT1_,comdat
.Lfunc_end1100:
	.size	_ZN7rocprim17ROCPRIM_400000_NS6detail17trampoline_kernelINS0_14default_configENS1_27scan_by_key_config_selectorIidEEZZNS1_16scan_by_key_implILNS1_25lookback_scan_determinismE0ELb0ES3_N6thrust23THRUST_200600_302600_NS6detail15normal_iteratorINS9_10device_ptrIiEEEENSB_INSC_IdEEEESG_dNS9_4plusIvEENS9_8equal_toIvEEdEE10hipError_tPvRmT2_T3_T4_T5_mT6_T7_P12ihipStream_tbENKUlT_T0_E_clISt17integral_constantIbLb1EES11_EEDaSW_SX_EUlSW_E_NS1_11comp_targetILNS1_3genE3ELNS1_11target_archE908ELNS1_3gpuE7ELNS1_3repE0EEENS1_30default_config_static_selectorELNS0_4arch9wavefront6targetE1EEEvT1_, .Lfunc_end1100-_ZN7rocprim17ROCPRIM_400000_NS6detail17trampoline_kernelINS0_14default_configENS1_27scan_by_key_config_selectorIidEEZZNS1_16scan_by_key_implILNS1_25lookback_scan_determinismE0ELb0ES3_N6thrust23THRUST_200600_302600_NS6detail15normal_iteratorINS9_10device_ptrIiEEEENSB_INSC_IdEEEESG_dNS9_4plusIvEENS9_8equal_toIvEEdEE10hipError_tPvRmT2_T3_T4_T5_mT6_T7_P12ihipStream_tbENKUlT_T0_E_clISt17integral_constantIbLb1EES11_EEDaSW_SX_EUlSW_E_NS1_11comp_targetILNS1_3genE3ELNS1_11target_archE908ELNS1_3gpuE7ELNS1_3repE0EEENS1_30default_config_static_selectorELNS0_4arch9wavefront6targetE1EEEvT1_
                                        ; -- End function
	.section	.AMDGPU.csdata,"",@progbits
; Kernel info:
; codeLenInByte = 0
; NumSgprs: 4
; NumVgprs: 0
; NumAgprs: 0
; TotalNumVgprs: 0
; ScratchSize: 0
; MemoryBound: 0
; FloatMode: 240
; IeeeMode: 1
; LDSByteSize: 0 bytes/workgroup (compile time only)
; SGPRBlocks: 0
; VGPRBlocks: 0
; NumSGPRsForWavesPerEU: 4
; NumVGPRsForWavesPerEU: 1
; AccumOffset: 4
; Occupancy: 8
; WaveLimiterHint : 0
; COMPUTE_PGM_RSRC2:SCRATCH_EN: 0
; COMPUTE_PGM_RSRC2:USER_SGPR: 6
; COMPUTE_PGM_RSRC2:TRAP_HANDLER: 0
; COMPUTE_PGM_RSRC2:TGID_X_EN: 1
; COMPUTE_PGM_RSRC2:TGID_Y_EN: 0
; COMPUTE_PGM_RSRC2:TGID_Z_EN: 0
; COMPUTE_PGM_RSRC2:TIDIG_COMP_CNT: 0
; COMPUTE_PGM_RSRC3_GFX90A:ACCUM_OFFSET: 0
; COMPUTE_PGM_RSRC3_GFX90A:TG_SPLIT: 0
	.section	.text._ZN7rocprim17ROCPRIM_400000_NS6detail17trampoline_kernelINS0_14default_configENS1_27scan_by_key_config_selectorIidEEZZNS1_16scan_by_key_implILNS1_25lookback_scan_determinismE0ELb0ES3_N6thrust23THRUST_200600_302600_NS6detail15normal_iteratorINS9_10device_ptrIiEEEENSB_INSC_IdEEEESG_dNS9_4plusIvEENS9_8equal_toIvEEdEE10hipError_tPvRmT2_T3_T4_T5_mT6_T7_P12ihipStream_tbENKUlT_T0_E_clISt17integral_constantIbLb1EES11_EEDaSW_SX_EUlSW_E_NS1_11comp_targetILNS1_3genE2ELNS1_11target_archE906ELNS1_3gpuE6ELNS1_3repE0EEENS1_30default_config_static_selectorELNS0_4arch9wavefront6targetE1EEEvT1_,"axG",@progbits,_ZN7rocprim17ROCPRIM_400000_NS6detail17trampoline_kernelINS0_14default_configENS1_27scan_by_key_config_selectorIidEEZZNS1_16scan_by_key_implILNS1_25lookback_scan_determinismE0ELb0ES3_N6thrust23THRUST_200600_302600_NS6detail15normal_iteratorINS9_10device_ptrIiEEEENSB_INSC_IdEEEESG_dNS9_4plusIvEENS9_8equal_toIvEEdEE10hipError_tPvRmT2_T3_T4_T5_mT6_T7_P12ihipStream_tbENKUlT_T0_E_clISt17integral_constantIbLb1EES11_EEDaSW_SX_EUlSW_E_NS1_11comp_targetILNS1_3genE2ELNS1_11target_archE906ELNS1_3gpuE6ELNS1_3repE0EEENS1_30default_config_static_selectorELNS0_4arch9wavefront6targetE1EEEvT1_,comdat
	.protected	_ZN7rocprim17ROCPRIM_400000_NS6detail17trampoline_kernelINS0_14default_configENS1_27scan_by_key_config_selectorIidEEZZNS1_16scan_by_key_implILNS1_25lookback_scan_determinismE0ELb0ES3_N6thrust23THRUST_200600_302600_NS6detail15normal_iteratorINS9_10device_ptrIiEEEENSB_INSC_IdEEEESG_dNS9_4plusIvEENS9_8equal_toIvEEdEE10hipError_tPvRmT2_T3_T4_T5_mT6_T7_P12ihipStream_tbENKUlT_T0_E_clISt17integral_constantIbLb1EES11_EEDaSW_SX_EUlSW_E_NS1_11comp_targetILNS1_3genE2ELNS1_11target_archE906ELNS1_3gpuE6ELNS1_3repE0EEENS1_30default_config_static_selectorELNS0_4arch9wavefront6targetE1EEEvT1_ ; -- Begin function _ZN7rocprim17ROCPRIM_400000_NS6detail17trampoline_kernelINS0_14default_configENS1_27scan_by_key_config_selectorIidEEZZNS1_16scan_by_key_implILNS1_25lookback_scan_determinismE0ELb0ES3_N6thrust23THRUST_200600_302600_NS6detail15normal_iteratorINS9_10device_ptrIiEEEENSB_INSC_IdEEEESG_dNS9_4plusIvEENS9_8equal_toIvEEdEE10hipError_tPvRmT2_T3_T4_T5_mT6_T7_P12ihipStream_tbENKUlT_T0_E_clISt17integral_constantIbLb1EES11_EEDaSW_SX_EUlSW_E_NS1_11comp_targetILNS1_3genE2ELNS1_11target_archE906ELNS1_3gpuE6ELNS1_3repE0EEENS1_30default_config_static_selectorELNS0_4arch9wavefront6targetE1EEEvT1_
	.globl	_ZN7rocprim17ROCPRIM_400000_NS6detail17trampoline_kernelINS0_14default_configENS1_27scan_by_key_config_selectorIidEEZZNS1_16scan_by_key_implILNS1_25lookback_scan_determinismE0ELb0ES3_N6thrust23THRUST_200600_302600_NS6detail15normal_iteratorINS9_10device_ptrIiEEEENSB_INSC_IdEEEESG_dNS9_4plusIvEENS9_8equal_toIvEEdEE10hipError_tPvRmT2_T3_T4_T5_mT6_T7_P12ihipStream_tbENKUlT_T0_E_clISt17integral_constantIbLb1EES11_EEDaSW_SX_EUlSW_E_NS1_11comp_targetILNS1_3genE2ELNS1_11target_archE906ELNS1_3gpuE6ELNS1_3repE0EEENS1_30default_config_static_selectorELNS0_4arch9wavefront6targetE1EEEvT1_
	.p2align	8
	.type	_ZN7rocprim17ROCPRIM_400000_NS6detail17trampoline_kernelINS0_14default_configENS1_27scan_by_key_config_selectorIidEEZZNS1_16scan_by_key_implILNS1_25lookback_scan_determinismE0ELb0ES3_N6thrust23THRUST_200600_302600_NS6detail15normal_iteratorINS9_10device_ptrIiEEEENSB_INSC_IdEEEESG_dNS9_4plusIvEENS9_8equal_toIvEEdEE10hipError_tPvRmT2_T3_T4_T5_mT6_T7_P12ihipStream_tbENKUlT_T0_E_clISt17integral_constantIbLb1EES11_EEDaSW_SX_EUlSW_E_NS1_11comp_targetILNS1_3genE2ELNS1_11target_archE906ELNS1_3gpuE6ELNS1_3repE0EEENS1_30default_config_static_selectorELNS0_4arch9wavefront6targetE1EEEvT1_,@function
_ZN7rocprim17ROCPRIM_400000_NS6detail17trampoline_kernelINS0_14default_configENS1_27scan_by_key_config_selectorIidEEZZNS1_16scan_by_key_implILNS1_25lookback_scan_determinismE0ELb0ES3_N6thrust23THRUST_200600_302600_NS6detail15normal_iteratorINS9_10device_ptrIiEEEENSB_INSC_IdEEEESG_dNS9_4plusIvEENS9_8equal_toIvEEdEE10hipError_tPvRmT2_T3_T4_T5_mT6_T7_P12ihipStream_tbENKUlT_T0_E_clISt17integral_constantIbLb1EES11_EEDaSW_SX_EUlSW_E_NS1_11comp_targetILNS1_3genE2ELNS1_11target_archE906ELNS1_3gpuE6ELNS1_3repE0EEENS1_30default_config_static_selectorELNS0_4arch9wavefront6targetE1EEEvT1_: ; @_ZN7rocprim17ROCPRIM_400000_NS6detail17trampoline_kernelINS0_14default_configENS1_27scan_by_key_config_selectorIidEEZZNS1_16scan_by_key_implILNS1_25lookback_scan_determinismE0ELb0ES3_N6thrust23THRUST_200600_302600_NS6detail15normal_iteratorINS9_10device_ptrIiEEEENSB_INSC_IdEEEESG_dNS9_4plusIvEENS9_8equal_toIvEEdEE10hipError_tPvRmT2_T3_T4_T5_mT6_T7_P12ihipStream_tbENKUlT_T0_E_clISt17integral_constantIbLb1EES11_EEDaSW_SX_EUlSW_E_NS1_11comp_targetILNS1_3genE2ELNS1_11target_archE906ELNS1_3gpuE6ELNS1_3repE0EEENS1_30default_config_static_selectorELNS0_4arch9wavefront6targetE1EEEvT1_
; %bb.0:
	.section	.rodata,"a",@progbits
	.p2align	6, 0x0
	.amdhsa_kernel _ZN7rocprim17ROCPRIM_400000_NS6detail17trampoline_kernelINS0_14default_configENS1_27scan_by_key_config_selectorIidEEZZNS1_16scan_by_key_implILNS1_25lookback_scan_determinismE0ELb0ES3_N6thrust23THRUST_200600_302600_NS6detail15normal_iteratorINS9_10device_ptrIiEEEENSB_INSC_IdEEEESG_dNS9_4plusIvEENS9_8equal_toIvEEdEE10hipError_tPvRmT2_T3_T4_T5_mT6_T7_P12ihipStream_tbENKUlT_T0_E_clISt17integral_constantIbLb1EES11_EEDaSW_SX_EUlSW_E_NS1_11comp_targetILNS1_3genE2ELNS1_11target_archE906ELNS1_3gpuE6ELNS1_3repE0EEENS1_30default_config_static_selectorELNS0_4arch9wavefront6targetE1EEEvT1_
		.amdhsa_group_segment_fixed_size 0
		.amdhsa_private_segment_fixed_size 0
		.amdhsa_kernarg_size 136
		.amdhsa_user_sgpr_count 6
		.amdhsa_user_sgpr_private_segment_buffer 1
		.amdhsa_user_sgpr_dispatch_ptr 0
		.amdhsa_user_sgpr_queue_ptr 0
		.amdhsa_user_sgpr_kernarg_segment_ptr 1
		.amdhsa_user_sgpr_dispatch_id 0
		.amdhsa_user_sgpr_flat_scratch_init 0
		.amdhsa_user_sgpr_kernarg_preload_length 0
		.amdhsa_user_sgpr_kernarg_preload_offset 0
		.amdhsa_user_sgpr_private_segment_size 0
		.amdhsa_uses_dynamic_stack 0
		.amdhsa_system_sgpr_private_segment_wavefront_offset 0
		.amdhsa_system_sgpr_workgroup_id_x 1
		.amdhsa_system_sgpr_workgroup_id_y 0
		.amdhsa_system_sgpr_workgroup_id_z 0
		.amdhsa_system_sgpr_workgroup_info 0
		.amdhsa_system_vgpr_workitem_id 0
		.amdhsa_next_free_vgpr 1
		.amdhsa_next_free_sgpr 0
		.amdhsa_accum_offset 4
		.amdhsa_reserve_vcc 0
		.amdhsa_reserve_flat_scratch 0
		.amdhsa_float_round_mode_32 0
		.amdhsa_float_round_mode_16_64 0
		.amdhsa_float_denorm_mode_32 3
		.amdhsa_float_denorm_mode_16_64 3
		.amdhsa_dx10_clamp 1
		.amdhsa_ieee_mode 1
		.amdhsa_fp16_overflow 0
		.amdhsa_tg_split 0
		.amdhsa_exception_fp_ieee_invalid_op 0
		.amdhsa_exception_fp_denorm_src 0
		.amdhsa_exception_fp_ieee_div_zero 0
		.amdhsa_exception_fp_ieee_overflow 0
		.amdhsa_exception_fp_ieee_underflow 0
		.amdhsa_exception_fp_ieee_inexact 0
		.amdhsa_exception_int_div_zero 0
	.end_amdhsa_kernel
	.section	.text._ZN7rocprim17ROCPRIM_400000_NS6detail17trampoline_kernelINS0_14default_configENS1_27scan_by_key_config_selectorIidEEZZNS1_16scan_by_key_implILNS1_25lookback_scan_determinismE0ELb0ES3_N6thrust23THRUST_200600_302600_NS6detail15normal_iteratorINS9_10device_ptrIiEEEENSB_INSC_IdEEEESG_dNS9_4plusIvEENS9_8equal_toIvEEdEE10hipError_tPvRmT2_T3_T4_T5_mT6_T7_P12ihipStream_tbENKUlT_T0_E_clISt17integral_constantIbLb1EES11_EEDaSW_SX_EUlSW_E_NS1_11comp_targetILNS1_3genE2ELNS1_11target_archE906ELNS1_3gpuE6ELNS1_3repE0EEENS1_30default_config_static_selectorELNS0_4arch9wavefront6targetE1EEEvT1_,"axG",@progbits,_ZN7rocprim17ROCPRIM_400000_NS6detail17trampoline_kernelINS0_14default_configENS1_27scan_by_key_config_selectorIidEEZZNS1_16scan_by_key_implILNS1_25lookback_scan_determinismE0ELb0ES3_N6thrust23THRUST_200600_302600_NS6detail15normal_iteratorINS9_10device_ptrIiEEEENSB_INSC_IdEEEESG_dNS9_4plusIvEENS9_8equal_toIvEEdEE10hipError_tPvRmT2_T3_T4_T5_mT6_T7_P12ihipStream_tbENKUlT_T0_E_clISt17integral_constantIbLb1EES11_EEDaSW_SX_EUlSW_E_NS1_11comp_targetILNS1_3genE2ELNS1_11target_archE906ELNS1_3gpuE6ELNS1_3repE0EEENS1_30default_config_static_selectorELNS0_4arch9wavefront6targetE1EEEvT1_,comdat
.Lfunc_end1101:
	.size	_ZN7rocprim17ROCPRIM_400000_NS6detail17trampoline_kernelINS0_14default_configENS1_27scan_by_key_config_selectorIidEEZZNS1_16scan_by_key_implILNS1_25lookback_scan_determinismE0ELb0ES3_N6thrust23THRUST_200600_302600_NS6detail15normal_iteratorINS9_10device_ptrIiEEEENSB_INSC_IdEEEESG_dNS9_4plusIvEENS9_8equal_toIvEEdEE10hipError_tPvRmT2_T3_T4_T5_mT6_T7_P12ihipStream_tbENKUlT_T0_E_clISt17integral_constantIbLb1EES11_EEDaSW_SX_EUlSW_E_NS1_11comp_targetILNS1_3genE2ELNS1_11target_archE906ELNS1_3gpuE6ELNS1_3repE0EEENS1_30default_config_static_selectorELNS0_4arch9wavefront6targetE1EEEvT1_, .Lfunc_end1101-_ZN7rocprim17ROCPRIM_400000_NS6detail17trampoline_kernelINS0_14default_configENS1_27scan_by_key_config_selectorIidEEZZNS1_16scan_by_key_implILNS1_25lookback_scan_determinismE0ELb0ES3_N6thrust23THRUST_200600_302600_NS6detail15normal_iteratorINS9_10device_ptrIiEEEENSB_INSC_IdEEEESG_dNS9_4plusIvEENS9_8equal_toIvEEdEE10hipError_tPvRmT2_T3_T4_T5_mT6_T7_P12ihipStream_tbENKUlT_T0_E_clISt17integral_constantIbLb1EES11_EEDaSW_SX_EUlSW_E_NS1_11comp_targetILNS1_3genE2ELNS1_11target_archE906ELNS1_3gpuE6ELNS1_3repE0EEENS1_30default_config_static_selectorELNS0_4arch9wavefront6targetE1EEEvT1_
                                        ; -- End function
	.section	.AMDGPU.csdata,"",@progbits
; Kernel info:
; codeLenInByte = 0
; NumSgprs: 4
; NumVgprs: 0
; NumAgprs: 0
; TotalNumVgprs: 0
; ScratchSize: 0
; MemoryBound: 0
; FloatMode: 240
; IeeeMode: 1
; LDSByteSize: 0 bytes/workgroup (compile time only)
; SGPRBlocks: 0
; VGPRBlocks: 0
; NumSGPRsForWavesPerEU: 4
; NumVGPRsForWavesPerEU: 1
; AccumOffset: 4
; Occupancy: 8
; WaveLimiterHint : 0
; COMPUTE_PGM_RSRC2:SCRATCH_EN: 0
; COMPUTE_PGM_RSRC2:USER_SGPR: 6
; COMPUTE_PGM_RSRC2:TRAP_HANDLER: 0
; COMPUTE_PGM_RSRC2:TGID_X_EN: 1
; COMPUTE_PGM_RSRC2:TGID_Y_EN: 0
; COMPUTE_PGM_RSRC2:TGID_Z_EN: 0
; COMPUTE_PGM_RSRC2:TIDIG_COMP_CNT: 0
; COMPUTE_PGM_RSRC3_GFX90A:ACCUM_OFFSET: 0
; COMPUTE_PGM_RSRC3_GFX90A:TG_SPLIT: 0
	.section	.text._ZN7rocprim17ROCPRIM_400000_NS6detail17trampoline_kernelINS0_14default_configENS1_27scan_by_key_config_selectorIidEEZZNS1_16scan_by_key_implILNS1_25lookback_scan_determinismE0ELb0ES3_N6thrust23THRUST_200600_302600_NS6detail15normal_iteratorINS9_10device_ptrIiEEEENSB_INSC_IdEEEESG_dNS9_4plusIvEENS9_8equal_toIvEEdEE10hipError_tPvRmT2_T3_T4_T5_mT6_T7_P12ihipStream_tbENKUlT_T0_E_clISt17integral_constantIbLb1EES11_EEDaSW_SX_EUlSW_E_NS1_11comp_targetILNS1_3genE10ELNS1_11target_archE1200ELNS1_3gpuE4ELNS1_3repE0EEENS1_30default_config_static_selectorELNS0_4arch9wavefront6targetE1EEEvT1_,"axG",@progbits,_ZN7rocprim17ROCPRIM_400000_NS6detail17trampoline_kernelINS0_14default_configENS1_27scan_by_key_config_selectorIidEEZZNS1_16scan_by_key_implILNS1_25lookback_scan_determinismE0ELb0ES3_N6thrust23THRUST_200600_302600_NS6detail15normal_iteratorINS9_10device_ptrIiEEEENSB_INSC_IdEEEESG_dNS9_4plusIvEENS9_8equal_toIvEEdEE10hipError_tPvRmT2_T3_T4_T5_mT6_T7_P12ihipStream_tbENKUlT_T0_E_clISt17integral_constantIbLb1EES11_EEDaSW_SX_EUlSW_E_NS1_11comp_targetILNS1_3genE10ELNS1_11target_archE1200ELNS1_3gpuE4ELNS1_3repE0EEENS1_30default_config_static_selectorELNS0_4arch9wavefront6targetE1EEEvT1_,comdat
	.protected	_ZN7rocprim17ROCPRIM_400000_NS6detail17trampoline_kernelINS0_14default_configENS1_27scan_by_key_config_selectorIidEEZZNS1_16scan_by_key_implILNS1_25lookback_scan_determinismE0ELb0ES3_N6thrust23THRUST_200600_302600_NS6detail15normal_iteratorINS9_10device_ptrIiEEEENSB_INSC_IdEEEESG_dNS9_4plusIvEENS9_8equal_toIvEEdEE10hipError_tPvRmT2_T3_T4_T5_mT6_T7_P12ihipStream_tbENKUlT_T0_E_clISt17integral_constantIbLb1EES11_EEDaSW_SX_EUlSW_E_NS1_11comp_targetILNS1_3genE10ELNS1_11target_archE1200ELNS1_3gpuE4ELNS1_3repE0EEENS1_30default_config_static_selectorELNS0_4arch9wavefront6targetE1EEEvT1_ ; -- Begin function _ZN7rocprim17ROCPRIM_400000_NS6detail17trampoline_kernelINS0_14default_configENS1_27scan_by_key_config_selectorIidEEZZNS1_16scan_by_key_implILNS1_25lookback_scan_determinismE0ELb0ES3_N6thrust23THRUST_200600_302600_NS6detail15normal_iteratorINS9_10device_ptrIiEEEENSB_INSC_IdEEEESG_dNS9_4plusIvEENS9_8equal_toIvEEdEE10hipError_tPvRmT2_T3_T4_T5_mT6_T7_P12ihipStream_tbENKUlT_T0_E_clISt17integral_constantIbLb1EES11_EEDaSW_SX_EUlSW_E_NS1_11comp_targetILNS1_3genE10ELNS1_11target_archE1200ELNS1_3gpuE4ELNS1_3repE0EEENS1_30default_config_static_selectorELNS0_4arch9wavefront6targetE1EEEvT1_
	.globl	_ZN7rocprim17ROCPRIM_400000_NS6detail17trampoline_kernelINS0_14default_configENS1_27scan_by_key_config_selectorIidEEZZNS1_16scan_by_key_implILNS1_25lookback_scan_determinismE0ELb0ES3_N6thrust23THRUST_200600_302600_NS6detail15normal_iteratorINS9_10device_ptrIiEEEENSB_INSC_IdEEEESG_dNS9_4plusIvEENS9_8equal_toIvEEdEE10hipError_tPvRmT2_T3_T4_T5_mT6_T7_P12ihipStream_tbENKUlT_T0_E_clISt17integral_constantIbLb1EES11_EEDaSW_SX_EUlSW_E_NS1_11comp_targetILNS1_3genE10ELNS1_11target_archE1200ELNS1_3gpuE4ELNS1_3repE0EEENS1_30default_config_static_selectorELNS0_4arch9wavefront6targetE1EEEvT1_
	.p2align	8
	.type	_ZN7rocprim17ROCPRIM_400000_NS6detail17trampoline_kernelINS0_14default_configENS1_27scan_by_key_config_selectorIidEEZZNS1_16scan_by_key_implILNS1_25lookback_scan_determinismE0ELb0ES3_N6thrust23THRUST_200600_302600_NS6detail15normal_iteratorINS9_10device_ptrIiEEEENSB_INSC_IdEEEESG_dNS9_4plusIvEENS9_8equal_toIvEEdEE10hipError_tPvRmT2_T3_T4_T5_mT6_T7_P12ihipStream_tbENKUlT_T0_E_clISt17integral_constantIbLb1EES11_EEDaSW_SX_EUlSW_E_NS1_11comp_targetILNS1_3genE10ELNS1_11target_archE1200ELNS1_3gpuE4ELNS1_3repE0EEENS1_30default_config_static_selectorELNS0_4arch9wavefront6targetE1EEEvT1_,@function
_ZN7rocprim17ROCPRIM_400000_NS6detail17trampoline_kernelINS0_14default_configENS1_27scan_by_key_config_selectorIidEEZZNS1_16scan_by_key_implILNS1_25lookback_scan_determinismE0ELb0ES3_N6thrust23THRUST_200600_302600_NS6detail15normal_iteratorINS9_10device_ptrIiEEEENSB_INSC_IdEEEESG_dNS9_4plusIvEENS9_8equal_toIvEEdEE10hipError_tPvRmT2_T3_T4_T5_mT6_T7_P12ihipStream_tbENKUlT_T0_E_clISt17integral_constantIbLb1EES11_EEDaSW_SX_EUlSW_E_NS1_11comp_targetILNS1_3genE10ELNS1_11target_archE1200ELNS1_3gpuE4ELNS1_3repE0EEENS1_30default_config_static_selectorELNS0_4arch9wavefront6targetE1EEEvT1_: ; @_ZN7rocprim17ROCPRIM_400000_NS6detail17trampoline_kernelINS0_14default_configENS1_27scan_by_key_config_selectorIidEEZZNS1_16scan_by_key_implILNS1_25lookback_scan_determinismE0ELb0ES3_N6thrust23THRUST_200600_302600_NS6detail15normal_iteratorINS9_10device_ptrIiEEEENSB_INSC_IdEEEESG_dNS9_4plusIvEENS9_8equal_toIvEEdEE10hipError_tPvRmT2_T3_T4_T5_mT6_T7_P12ihipStream_tbENKUlT_T0_E_clISt17integral_constantIbLb1EES11_EEDaSW_SX_EUlSW_E_NS1_11comp_targetILNS1_3genE10ELNS1_11target_archE1200ELNS1_3gpuE4ELNS1_3repE0EEENS1_30default_config_static_selectorELNS0_4arch9wavefront6targetE1EEEvT1_
; %bb.0:
	.section	.rodata,"a",@progbits
	.p2align	6, 0x0
	.amdhsa_kernel _ZN7rocprim17ROCPRIM_400000_NS6detail17trampoline_kernelINS0_14default_configENS1_27scan_by_key_config_selectorIidEEZZNS1_16scan_by_key_implILNS1_25lookback_scan_determinismE0ELb0ES3_N6thrust23THRUST_200600_302600_NS6detail15normal_iteratorINS9_10device_ptrIiEEEENSB_INSC_IdEEEESG_dNS9_4plusIvEENS9_8equal_toIvEEdEE10hipError_tPvRmT2_T3_T4_T5_mT6_T7_P12ihipStream_tbENKUlT_T0_E_clISt17integral_constantIbLb1EES11_EEDaSW_SX_EUlSW_E_NS1_11comp_targetILNS1_3genE10ELNS1_11target_archE1200ELNS1_3gpuE4ELNS1_3repE0EEENS1_30default_config_static_selectorELNS0_4arch9wavefront6targetE1EEEvT1_
		.amdhsa_group_segment_fixed_size 0
		.amdhsa_private_segment_fixed_size 0
		.amdhsa_kernarg_size 136
		.amdhsa_user_sgpr_count 6
		.amdhsa_user_sgpr_private_segment_buffer 1
		.amdhsa_user_sgpr_dispatch_ptr 0
		.amdhsa_user_sgpr_queue_ptr 0
		.amdhsa_user_sgpr_kernarg_segment_ptr 1
		.amdhsa_user_sgpr_dispatch_id 0
		.amdhsa_user_sgpr_flat_scratch_init 0
		.amdhsa_user_sgpr_kernarg_preload_length 0
		.amdhsa_user_sgpr_kernarg_preload_offset 0
		.amdhsa_user_sgpr_private_segment_size 0
		.amdhsa_uses_dynamic_stack 0
		.amdhsa_system_sgpr_private_segment_wavefront_offset 0
		.amdhsa_system_sgpr_workgroup_id_x 1
		.amdhsa_system_sgpr_workgroup_id_y 0
		.amdhsa_system_sgpr_workgroup_id_z 0
		.amdhsa_system_sgpr_workgroup_info 0
		.amdhsa_system_vgpr_workitem_id 0
		.amdhsa_next_free_vgpr 1
		.amdhsa_next_free_sgpr 0
		.amdhsa_accum_offset 4
		.amdhsa_reserve_vcc 0
		.amdhsa_reserve_flat_scratch 0
		.amdhsa_float_round_mode_32 0
		.amdhsa_float_round_mode_16_64 0
		.amdhsa_float_denorm_mode_32 3
		.amdhsa_float_denorm_mode_16_64 3
		.amdhsa_dx10_clamp 1
		.amdhsa_ieee_mode 1
		.amdhsa_fp16_overflow 0
		.amdhsa_tg_split 0
		.amdhsa_exception_fp_ieee_invalid_op 0
		.amdhsa_exception_fp_denorm_src 0
		.amdhsa_exception_fp_ieee_div_zero 0
		.amdhsa_exception_fp_ieee_overflow 0
		.amdhsa_exception_fp_ieee_underflow 0
		.amdhsa_exception_fp_ieee_inexact 0
		.amdhsa_exception_int_div_zero 0
	.end_amdhsa_kernel
	.section	.text._ZN7rocprim17ROCPRIM_400000_NS6detail17trampoline_kernelINS0_14default_configENS1_27scan_by_key_config_selectorIidEEZZNS1_16scan_by_key_implILNS1_25lookback_scan_determinismE0ELb0ES3_N6thrust23THRUST_200600_302600_NS6detail15normal_iteratorINS9_10device_ptrIiEEEENSB_INSC_IdEEEESG_dNS9_4plusIvEENS9_8equal_toIvEEdEE10hipError_tPvRmT2_T3_T4_T5_mT6_T7_P12ihipStream_tbENKUlT_T0_E_clISt17integral_constantIbLb1EES11_EEDaSW_SX_EUlSW_E_NS1_11comp_targetILNS1_3genE10ELNS1_11target_archE1200ELNS1_3gpuE4ELNS1_3repE0EEENS1_30default_config_static_selectorELNS0_4arch9wavefront6targetE1EEEvT1_,"axG",@progbits,_ZN7rocprim17ROCPRIM_400000_NS6detail17trampoline_kernelINS0_14default_configENS1_27scan_by_key_config_selectorIidEEZZNS1_16scan_by_key_implILNS1_25lookback_scan_determinismE0ELb0ES3_N6thrust23THRUST_200600_302600_NS6detail15normal_iteratorINS9_10device_ptrIiEEEENSB_INSC_IdEEEESG_dNS9_4plusIvEENS9_8equal_toIvEEdEE10hipError_tPvRmT2_T3_T4_T5_mT6_T7_P12ihipStream_tbENKUlT_T0_E_clISt17integral_constantIbLb1EES11_EEDaSW_SX_EUlSW_E_NS1_11comp_targetILNS1_3genE10ELNS1_11target_archE1200ELNS1_3gpuE4ELNS1_3repE0EEENS1_30default_config_static_selectorELNS0_4arch9wavefront6targetE1EEEvT1_,comdat
.Lfunc_end1102:
	.size	_ZN7rocprim17ROCPRIM_400000_NS6detail17trampoline_kernelINS0_14default_configENS1_27scan_by_key_config_selectorIidEEZZNS1_16scan_by_key_implILNS1_25lookback_scan_determinismE0ELb0ES3_N6thrust23THRUST_200600_302600_NS6detail15normal_iteratorINS9_10device_ptrIiEEEENSB_INSC_IdEEEESG_dNS9_4plusIvEENS9_8equal_toIvEEdEE10hipError_tPvRmT2_T3_T4_T5_mT6_T7_P12ihipStream_tbENKUlT_T0_E_clISt17integral_constantIbLb1EES11_EEDaSW_SX_EUlSW_E_NS1_11comp_targetILNS1_3genE10ELNS1_11target_archE1200ELNS1_3gpuE4ELNS1_3repE0EEENS1_30default_config_static_selectorELNS0_4arch9wavefront6targetE1EEEvT1_, .Lfunc_end1102-_ZN7rocprim17ROCPRIM_400000_NS6detail17trampoline_kernelINS0_14default_configENS1_27scan_by_key_config_selectorIidEEZZNS1_16scan_by_key_implILNS1_25lookback_scan_determinismE0ELb0ES3_N6thrust23THRUST_200600_302600_NS6detail15normal_iteratorINS9_10device_ptrIiEEEENSB_INSC_IdEEEESG_dNS9_4plusIvEENS9_8equal_toIvEEdEE10hipError_tPvRmT2_T3_T4_T5_mT6_T7_P12ihipStream_tbENKUlT_T0_E_clISt17integral_constantIbLb1EES11_EEDaSW_SX_EUlSW_E_NS1_11comp_targetILNS1_3genE10ELNS1_11target_archE1200ELNS1_3gpuE4ELNS1_3repE0EEENS1_30default_config_static_selectorELNS0_4arch9wavefront6targetE1EEEvT1_
                                        ; -- End function
	.section	.AMDGPU.csdata,"",@progbits
; Kernel info:
; codeLenInByte = 0
; NumSgprs: 4
; NumVgprs: 0
; NumAgprs: 0
; TotalNumVgprs: 0
; ScratchSize: 0
; MemoryBound: 0
; FloatMode: 240
; IeeeMode: 1
; LDSByteSize: 0 bytes/workgroup (compile time only)
; SGPRBlocks: 0
; VGPRBlocks: 0
; NumSGPRsForWavesPerEU: 4
; NumVGPRsForWavesPerEU: 1
; AccumOffset: 4
; Occupancy: 8
; WaveLimiterHint : 0
; COMPUTE_PGM_RSRC2:SCRATCH_EN: 0
; COMPUTE_PGM_RSRC2:USER_SGPR: 6
; COMPUTE_PGM_RSRC2:TRAP_HANDLER: 0
; COMPUTE_PGM_RSRC2:TGID_X_EN: 1
; COMPUTE_PGM_RSRC2:TGID_Y_EN: 0
; COMPUTE_PGM_RSRC2:TGID_Z_EN: 0
; COMPUTE_PGM_RSRC2:TIDIG_COMP_CNT: 0
; COMPUTE_PGM_RSRC3_GFX90A:ACCUM_OFFSET: 0
; COMPUTE_PGM_RSRC3_GFX90A:TG_SPLIT: 0
	.section	.text._ZN7rocprim17ROCPRIM_400000_NS6detail17trampoline_kernelINS0_14default_configENS1_27scan_by_key_config_selectorIidEEZZNS1_16scan_by_key_implILNS1_25lookback_scan_determinismE0ELb0ES3_N6thrust23THRUST_200600_302600_NS6detail15normal_iteratorINS9_10device_ptrIiEEEENSB_INSC_IdEEEESG_dNS9_4plusIvEENS9_8equal_toIvEEdEE10hipError_tPvRmT2_T3_T4_T5_mT6_T7_P12ihipStream_tbENKUlT_T0_E_clISt17integral_constantIbLb1EES11_EEDaSW_SX_EUlSW_E_NS1_11comp_targetILNS1_3genE9ELNS1_11target_archE1100ELNS1_3gpuE3ELNS1_3repE0EEENS1_30default_config_static_selectorELNS0_4arch9wavefront6targetE1EEEvT1_,"axG",@progbits,_ZN7rocprim17ROCPRIM_400000_NS6detail17trampoline_kernelINS0_14default_configENS1_27scan_by_key_config_selectorIidEEZZNS1_16scan_by_key_implILNS1_25lookback_scan_determinismE0ELb0ES3_N6thrust23THRUST_200600_302600_NS6detail15normal_iteratorINS9_10device_ptrIiEEEENSB_INSC_IdEEEESG_dNS9_4plusIvEENS9_8equal_toIvEEdEE10hipError_tPvRmT2_T3_T4_T5_mT6_T7_P12ihipStream_tbENKUlT_T0_E_clISt17integral_constantIbLb1EES11_EEDaSW_SX_EUlSW_E_NS1_11comp_targetILNS1_3genE9ELNS1_11target_archE1100ELNS1_3gpuE3ELNS1_3repE0EEENS1_30default_config_static_selectorELNS0_4arch9wavefront6targetE1EEEvT1_,comdat
	.protected	_ZN7rocprim17ROCPRIM_400000_NS6detail17trampoline_kernelINS0_14default_configENS1_27scan_by_key_config_selectorIidEEZZNS1_16scan_by_key_implILNS1_25lookback_scan_determinismE0ELb0ES3_N6thrust23THRUST_200600_302600_NS6detail15normal_iteratorINS9_10device_ptrIiEEEENSB_INSC_IdEEEESG_dNS9_4plusIvEENS9_8equal_toIvEEdEE10hipError_tPvRmT2_T3_T4_T5_mT6_T7_P12ihipStream_tbENKUlT_T0_E_clISt17integral_constantIbLb1EES11_EEDaSW_SX_EUlSW_E_NS1_11comp_targetILNS1_3genE9ELNS1_11target_archE1100ELNS1_3gpuE3ELNS1_3repE0EEENS1_30default_config_static_selectorELNS0_4arch9wavefront6targetE1EEEvT1_ ; -- Begin function _ZN7rocprim17ROCPRIM_400000_NS6detail17trampoline_kernelINS0_14default_configENS1_27scan_by_key_config_selectorIidEEZZNS1_16scan_by_key_implILNS1_25lookback_scan_determinismE0ELb0ES3_N6thrust23THRUST_200600_302600_NS6detail15normal_iteratorINS9_10device_ptrIiEEEENSB_INSC_IdEEEESG_dNS9_4plusIvEENS9_8equal_toIvEEdEE10hipError_tPvRmT2_T3_T4_T5_mT6_T7_P12ihipStream_tbENKUlT_T0_E_clISt17integral_constantIbLb1EES11_EEDaSW_SX_EUlSW_E_NS1_11comp_targetILNS1_3genE9ELNS1_11target_archE1100ELNS1_3gpuE3ELNS1_3repE0EEENS1_30default_config_static_selectorELNS0_4arch9wavefront6targetE1EEEvT1_
	.globl	_ZN7rocprim17ROCPRIM_400000_NS6detail17trampoline_kernelINS0_14default_configENS1_27scan_by_key_config_selectorIidEEZZNS1_16scan_by_key_implILNS1_25lookback_scan_determinismE0ELb0ES3_N6thrust23THRUST_200600_302600_NS6detail15normal_iteratorINS9_10device_ptrIiEEEENSB_INSC_IdEEEESG_dNS9_4plusIvEENS9_8equal_toIvEEdEE10hipError_tPvRmT2_T3_T4_T5_mT6_T7_P12ihipStream_tbENKUlT_T0_E_clISt17integral_constantIbLb1EES11_EEDaSW_SX_EUlSW_E_NS1_11comp_targetILNS1_3genE9ELNS1_11target_archE1100ELNS1_3gpuE3ELNS1_3repE0EEENS1_30default_config_static_selectorELNS0_4arch9wavefront6targetE1EEEvT1_
	.p2align	8
	.type	_ZN7rocprim17ROCPRIM_400000_NS6detail17trampoline_kernelINS0_14default_configENS1_27scan_by_key_config_selectorIidEEZZNS1_16scan_by_key_implILNS1_25lookback_scan_determinismE0ELb0ES3_N6thrust23THRUST_200600_302600_NS6detail15normal_iteratorINS9_10device_ptrIiEEEENSB_INSC_IdEEEESG_dNS9_4plusIvEENS9_8equal_toIvEEdEE10hipError_tPvRmT2_T3_T4_T5_mT6_T7_P12ihipStream_tbENKUlT_T0_E_clISt17integral_constantIbLb1EES11_EEDaSW_SX_EUlSW_E_NS1_11comp_targetILNS1_3genE9ELNS1_11target_archE1100ELNS1_3gpuE3ELNS1_3repE0EEENS1_30default_config_static_selectorELNS0_4arch9wavefront6targetE1EEEvT1_,@function
_ZN7rocprim17ROCPRIM_400000_NS6detail17trampoline_kernelINS0_14default_configENS1_27scan_by_key_config_selectorIidEEZZNS1_16scan_by_key_implILNS1_25lookback_scan_determinismE0ELb0ES3_N6thrust23THRUST_200600_302600_NS6detail15normal_iteratorINS9_10device_ptrIiEEEENSB_INSC_IdEEEESG_dNS9_4plusIvEENS9_8equal_toIvEEdEE10hipError_tPvRmT2_T3_T4_T5_mT6_T7_P12ihipStream_tbENKUlT_T0_E_clISt17integral_constantIbLb1EES11_EEDaSW_SX_EUlSW_E_NS1_11comp_targetILNS1_3genE9ELNS1_11target_archE1100ELNS1_3gpuE3ELNS1_3repE0EEENS1_30default_config_static_selectorELNS0_4arch9wavefront6targetE1EEEvT1_: ; @_ZN7rocprim17ROCPRIM_400000_NS6detail17trampoline_kernelINS0_14default_configENS1_27scan_by_key_config_selectorIidEEZZNS1_16scan_by_key_implILNS1_25lookback_scan_determinismE0ELb0ES3_N6thrust23THRUST_200600_302600_NS6detail15normal_iteratorINS9_10device_ptrIiEEEENSB_INSC_IdEEEESG_dNS9_4plusIvEENS9_8equal_toIvEEdEE10hipError_tPvRmT2_T3_T4_T5_mT6_T7_P12ihipStream_tbENKUlT_T0_E_clISt17integral_constantIbLb1EES11_EEDaSW_SX_EUlSW_E_NS1_11comp_targetILNS1_3genE9ELNS1_11target_archE1100ELNS1_3gpuE3ELNS1_3repE0EEENS1_30default_config_static_selectorELNS0_4arch9wavefront6targetE1EEEvT1_
; %bb.0:
	.section	.rodata,"a",@progbits
	.p2align	6, 0x0
	.amdhsa_kernel _ZN7rocprim17ROCPRIM_400000_NS6detail17trampoline_kernelINS0_14default_configENS1_27scan_by_key_config_selectorIidEEZZNS1_16scan_by_key_implILNS1_25lookback_scan_determinismE0ELb0ES3_N6thrust23THRUST_200600_302600_NS6detail15normal_iteratorINS9_10device_ptrIiEEEENSB_INSC_IdEEEESG_dNS9_4plusIvEENS9_8equal_toIvEEdEE10hipError_tPvRmT2_T3_T4_T5_mT6_T7_P12ihipStream_tbENKUlT_T0_E_clISt17integral_constantIbLb1EES11_EEDaSW_SX_EUlSW_E_NS1_11comp_targetILNS1_3genE9ELNS1_11target_archE1100ELNS1_3gpuE3ELNS1_3repE0EEENS1_30default_config_static_selectorELNS0_4arch9wavefront6targetE1EEEvT1_
		.amdhsa_group_segment_fixed_size 0
		.amdhsa_private_segment_fixed_size 0
		.amdhsa_kernarg_size 136
		.amdhsa_user_sgpr_count 6
		.amdhsa_user_sgpr_private_segment_buffer 1
		.amdhsa_user_sgpr_dispatch_ptr 0
		.amdhsa_user_sgpr_queue_ptr 0
		.amdhsa_user_sgpr_kernarg_segment_ptr 1
		.amdhsa_user_sgpr_dispatch_id 0
		.amdhsa_user_sgpr_flat_scratch_init 0
		.amdhsa_user_sgpr_kernarg_preload_length 0
		.amdhsa_user_sgpr_kernarg_preload_offset 0
		.amdhsa_user_sgpr_private_segment_size 0
		.amdhsa_uses_dynamic_stack 0
		.amdhsa_system_sgpr_private_segment_wavefront_offset 0
		.amdhsa_system_sgpr_workgroup_id_x 1
		.amdhsa_system_sgpr_workgroup_id_y 0
		.amdhsa_system_sgpr_workgroup_id_z 0
		.amdhsa_system_sgpr_workgroup_info 0
		.amdhsa_system_vgpr_workitem_id 0
		.amdhsa_next_free_vgpr 1
		.amdhsa_next_free_sgpr 0
		.amdhsa_accum_offset 4
		.amdhsa_reserve_vcc 0
		.amdhsa_reserve_flat_scratch 0
		.amdhsa_float_round_mode_32 0
		.amdhsa_float_round_mode_16_64 0
		.amdhsa_float_denorm_mode_32 3
		.amdhsa_float_denorm_mode_16_64 3
		.amdhsa_dx10_clamp 1
		.amdhsa_ieee_mode 1
		.amdhsa_fp16_overflow 0
		.amdhsa_tg_split 0
		.amdhsa_exception_fp_ieee_invalid_op 0
		.amdhsa_exception_fp_denorm_src 0
		.amdhsa_exception_fp_ieee_div_zero 0
		.amdhsa_exception_fp_ieee_overflow 0
		.amdhsa_exception_fp_ieee_underflow 0
		.amdhsa_exception_fp_ieee_inexact 0
		.amdhsa_exception_int_div_zero 0
	.end_amdhsa_kernel
	.section	.text._ZN7rocprim17ROCPRIM_400000_NS6detail17trampoline_kernelINS0_14default_configENS1_27scan_by_key_config_selectorIidEEZZNS1_16scan_by_key_implILNS1_25lookback_scan_determinismE0ELb0ES3_N6thrust23THRUST_200600_302600_NS6detail15normal_iteratorINS9_10device_ptrIiEEEENSB_INSC_IdEEEESG_dNS9_4plusIvEENS9_8equal_toIvEEdEE10hipError_tPvRmT2_T3_T4_T5_mT6_T7_P12ihipStream_tbENKUlT_T0_E_clISt17integral_constantIbLb1EES11_EEDaSW_SX_EUlSW_E_NS1_11comp_targetILNS1_3genE9ELNS1_11target_archE1100ELNS1_3gpuE3ELNS1_3repE0EEENS1_30default_config_static_selectorELNS0_4arch9wavefront6targetE1EEEvT1_,"axG",@progbits,_ZN7rocprim17ROCPRIM_400000_NS6detail17trampoline_kernelINS0_14default_configENS1_27scan_by_key_config_selectorIidEEZZNS1_16scan_by_key_implILNS1_25lookback_scan_determinismE0ELb0ES3_N6thrust23THRUST_200600_302600_NS6detail15normal_iteratorINS9_10device_ptrIiEEEENSB_INSC_IdEEEESG_dNS9_4plusIvEENS9_8equal_toIvEEdEE10hipError_tPvRmT2_T3_T4_T5_mT6_T7_P12ihipStream_tbENKUlT_T0_E_clISt17integral_constantIbLb1EES11_EEDaSW_SX_EUlSW_E_NS1_11comp_targetILNS1_3genE9ELNS1_11target_archE1100ELNS1_3gpuE3ELNS1_3repE0EEENS1_30default_config_static_selectorELNS0_4arch9wavefront6targetE1EEEvT1_,comdat
.Lfunc_end1103:
	.size	_ZN7rocprim17ROCPRIM_400000_NS6detail17trampoline_kernelINS0_14default_configENS1_27scan_by_key_config_selectorIidEEZZNS1_16scan_by_key_implILNS1_25lookback_scan_determinismE0ELb0ES3_N6thrust23THRUST_200600_302600_NS6detail15normal_iteratorINS9_10device_ptrIiEEEENSB_INSC_IdEEEESG_dNS9_4plusIvEENS9_8equal_toIvEEdEE10hipError_tPvRmT2_T3_T4_T5_mT6_T7_P12ihipStream_tbENKUlT_T0_E_clISt17integral_constantIbLb1EES11_EEDaSW_SX_EUlSW_E_NS1_11comp_targetILNS1_3genE9ELNS1_11target_archE1100ELNS1_3gpuE3ELNS1_3repE0EEENS1_30default_config_static_selectorELNS0_4arch9wavefront6targetE1EEEvT1_, .Lfunc_end1103-_ZN7rocprim17ROCPRIM_400000_NS6detail17trampoline_kernelINS0_14default_configENS1_27scan_by_key_config_selectorIidEEZZNS1_16scan_by_key_implILNS1_25lookback_scan_determinismE0ELb0ES3_N6thrust23THRUST_200600_302600_NS6detail15normal_iteratorINS9_10device_ptrIiEEEENSB_INSC_IdEEEESG_dNS9_4plusIvEENS9_8equal_toIvEEdEE10hipError_tPvRmT2_T3_T4_T5_mT6_T7_P12ihipStream_tbENKUlT_T0_E_clISt17integral_constantIbLb1EES11_EEDaSW_SX_EUlSW_E_NS1_11comp_targetILNS1_3genE9ELNS1_11target_archE1100ELNS1_3gpuE3ELNS1_3repE0EEENS1_30default_config_static_selectorELNS0_4arch9wavefront6targetE1EEEvT1_
                                        ; -- End function
	.section	.AMDGPU.csdata,"",@progbits
; Kernel info:
; codeLenInByte = 0
; NumSgprs: 4
; NumVgprs: 0
; NumAgprs: 0
; TotalNumVgprs: 0
; ScratchSize: 0
; MemoryBound: 0
; FloatMode: 240
; IeeeMode: 1
; LDSByteSize: 0 bytes/workgroup (compile time only)
; SGPRBlocks: 0
; VGPRBlocks: 0
; NumSGPRsForWavesPerEU: 4
; NumVGPRsForWavesPerEU: 1
; AccumOffset: 4
; Occupancy: 8
; WaveLimiterHint : 0
; COMPUTE_PGM_RSRC2:SCRATCH_EN: 0
; COMPUTE_PGM_RSRC2:USER_SGPR: 6
; COMPUTE_PGM_RSRC2:TRAP_HANDLER: 0
; COMPUTE_PGM_RSRC2:TGID_X_EN: 1
; COMPUTE_PGM_RSRC2:TGID_Y_EN: 0
; COMPUTE_PGM_RSRC2:TGID_Z_EN: 0
; COMPUTE_PGM_RSRC2:TIDIG_COMP_CNT: 0
; COMPUTE_PGM_RSRC3_GFX90A:ACCUM_OFFSET: 0
; COMPUTE_PGM_RSRC3_GFX90A:TG_SPLIT: 0
	.section	.text._ZN7rocprim17ROCPRIM_400000_NS6detail17trampoline_kernelINS0_14default_configENS1_27scan_by_key_config_selectorIidEEZZNS1_16scan_by_key_implILNS1_25lookback_scan_determinismE0ELb0ES3_N6thrust23THRUST_200600_302600_NS6detail15normal_iteratorINS9_10device_ptrIiEEEENSB_INSC_IdEEEESG_dNS9_4plusIvEENS9_8equal_toIvEEdEE10hipError_tPvRmT2_T3_T4_T5_mT6_T7_P12ihipStream_tbENKUlT_T0_E_clISt17integral_constantIbLb1EES11_EEDaSW_SX_EUlSW_E_NS1_11comp_targetILNS1_3genE8ELNS1_11target_archE1030ELNS1_3gpuE2ELNS1_3repE0EEENS1_30default_config_static_selectorELNS0_4arch9wavefront6targetE1EEEvT1_,"axG",@progbits,_ZN7rocprim17ROCPRIM_400000_NS6detail17trampoline_kernelINS0_14default_configENS1_27scan_by_key_config_selectorIidEEZZNS1_16scan_by_key_implILNS1_25lookback_scan_determinismE0ELb0ES3_N6thrust23THRUST_200600_302600_NS6detail15normal_iteratorINS9_10device_ptrIiEEEENSB_INSC_IdEEEESG_dNS9_4plusIvEENS9_8equal_toIvEEdEE10hipError_tPvRmT2_T3_T4_T5_mT6_T7_P12ihipStream_tbENKUlT_T0_E_clISt17integral_constantIbLb1EES11_EEDaSW_SX_EUlSW_E_NS1_11comp_targetILNS1_3genE8ELNS1_11target_archE1030ELNS1_3gpuE2ELNS1_3repE0EEENS1_30default_config_static_selectorELNS0_4arch9wavefront6targetE1EEEvT1_,comdat
	.protected	_ZN7rocprim17ROCPRIM_400000_NS6detail17trampoline_kernelINS0_14default_configENS1_27scan_by_key_config_selectorIidEEZZNS1_16scan_by_key_implILNS1_25lookback_scan_determinismE0ELb0ES3_N6thrust23THRUST_200600_302600_NS6detail15normal_iteratorINS9_10device_ptrIiEEEENSB_INSC_IdEEEESG_dNS9_4plusIvEENS9_8equal_toIvEEdEE10hipError_tPvRmT2_T3_T4_T5_mT6_T7_P12ihipStream_tbENKUlT_T0_E_clISt17integral_constantIbLb1EES11_EEDaSW_SX_EUlSW_E_NS1_11comp_targetILNS1_3genE8ELNS1_11target_archE1030ELNS1_3gpuE2ELNS1_3repE0EEENS1_30default_config_static_selectorELNS0_4arch9wavefront6targetE1EEEvT1_ ; -- Begin function _ZN7rocprim17ROCPRIM_400000_NS6detail17trampoline_kernelINS0_14default_configENS1_27scan_by_key_config_selectorIidEEZZNS1_16scan_by_key_implILNS1_25lookback_scan_determinismE0ELb0ES3_N6thrust23THRUST_200600_302600_NS6detail15normal_iteratorINS9_10device_ptrIiEEEENSB_INSC_IdEEEESG_dNS9_4plusIvEENS9_8equal_toIvEEdEE10hipError_tPvRmT2_T3_T4_T5_mT6_T7_P12ihipStream_tbENKUlT_T0_E_clISt17integral_constantIbLb1EES11_EEDaSW_SX_EUlSW_E_NS1_11comp_targetILNS1_3genE8ELNS1_11target_archE1030ELNS1_3gpuE2ELNS1_3repE0EEENS1_30default_config_static_selectorELNS0_4arch9wavefront6targetE1EEEvT1_
	.globl	_ZN7rocprim17ROCPRIM_400000_NS6detail17trampoline_kernelINS0_14default_configENS1_27scan_by_key_config_selectorIidEEZZNS1_16scan_by_key_implILNS1_25lookback_scan_determinismE0ELb0ES3_N6thrust23THRUST_200600_302600_NS6detail15normal_iteratorINS9_10device_ptrIiEEEENSB_INSC_IdEEEESG_dNS9_4plusIvEENS9_8equal_toIvEEdEE10hipError_tPvRmT2_T3_T4_T5_mT6_T7_P12ihipStream_tbENKUlT_T0_E_clISt17integral_constantIbLb1EES11_EEDaSW_SX_EUlSW_E_NS1_11comp_targetILNS1_3genE8ELNS1_11target_archE1030ELNS1_3gpuE2ELNS1_3repE0EEENS1_30default_config_static_selectorELNS0_4arch9wavefront6targetE1EEEvT1_
	.p2align	8
	.type	_ZN7rocprim17ROCPRIM_400000_NS6detail17trampoline_kernelINS0_14default_configENS1_27scan_by_key_config_selectorIidEEZZNS1_16scan_by_key_implILNS1_25lookback_scan_determinismE0ELb0ES3_N6thrust23THRUST_200600_302600_NS6detail15normal_iteratorINS9_10device_ptrIiEEEENSB_INSC_IdEEEESG_dNS9_4plusIvEENS9_8equal_toIvEEdEE10hipError_tPvRmT2_T3_T4_T5_mT6_T7_P12ihipStream_tbENKUlT_T0_E_clISt17integral_constantIbLb1EES11_EEDaSW_SX_EUlSW_E_NS1_11comp_targetILNS1_3genE8ELNS1_11target_archE1030ELNS1_3gpuE2ELNS1_3repE0EEENS1_30default_config_static_selectorELNS0_4arch9wavefront6targetE1EEEvT1_,@function
_ZN7rocprim17ROCPRIM_400000_NS6detail17trampoline_kernelINS0_14default_configENS1_27scan_by_key_config_selectorIidEEZZNS1_16scan_by_key_implILNS1_25lookback_scan_determinismE0ELb0ES3_N6thrust23THRUST_200600_302600_NS6detail15normal_iteratorINS9_10device_ptrIiEEEENSB_INSC_IdEEEESG_dNS9_4plusIvEENS9_8equal_toIvEEdEE10hipError_tPvRmT2_T3_T4_T5_mT6_T7_P12ihipStream_tbENKUlT_T0_E_clISt17integral_constantIbLb1EES11_EEDaSW_SX_EUlSW_E_NS1_11comp_targetILNS1_3genE8ELNS1_11target_archE1030ELNS1_3gpuE2ELNS1_3repE0EEENS1_30default_config_static_selectorELNS0_4arch9wavefront6targetE1EEEvT1_: ; @_ZN7rocprim17ROCPRIM_400000_NS6detail17trampoline_kernelINS0_14default_configENS1_27scan_by_key_config_selectorIidEEZZNS1_16scan_by_key_implILNS1_25lookback_scan_determinismE0ELb0ES3_N6thrust23THRUST_200600_302600_NS6detail15normal_iteratorINS9_10device_ptrIiEEEENSB_INSC_IdEEEESG_dNS9_4plusIvEENS9_8equal_toIvEEdEE10hipError_tPvRmT2_T3_T4_T5_mT6_T7_P12ihipStream_tbENKUlT_T0_E_clISt17integral_constantIbLb1EES11_EEDaSW_SX_EUlSW_E_NS1_11comp_targetILNS1_3genE8ELNS1_11target_archE1030ELNS1_3gpuE2ELNS1_3repE0EEENS1_30default_config_static_selectorELNS0_4arch9wavefront6targetE1EEEvT1_
; %bb.0:
	.section	.rodata,"a",@progbits
	.p2align	6, 0x0
	.amdhsa_kernel _ZN7rocprim17ROCPRIM_400000_NS6detail17trampoline_kernelINS0_14default_configENS1_27scan_by_key_config_selectorIidEEZZNS1_16scan_by_key_implILNS1_25lookback_scan_determinismE0ELb0ES3_N6thrust23THRUST_200600_302600_NS6detail15normal_iteratorINS9_10device_ptrIiEEEENSB_INSC_IdEEEESG_dNS9_4plusIvEENS9_8equal_toIvEEdEE10hipError_tPvRmT2_T3_T4_T5_mT6_T7_P12ihipStream_tbENKUlT_T0_E_clISt17integral_constantIbLb1EES11_EEDaSW_SX_EUlSW_E_NS1_11comp_targetILNS1_3genE8ELNS1_11target_archE1030ELNS1_3gpuE2ELNS1_3repE0EEENS1_30default_config_static_selectorELNS0_4arch9wavefront6targetE1EEEvT1_
		.amdhsa_group_segment_fixed_size 0
		.amdhsa_private_segment_fixed_size 0
		.amdhsa_kernarg_size 136
		.amdhsa_user_sgpr_count 6
		.amdhsa_user_sgpr_private_segment_buffer 1
		.amdhsa_user_sgpr_dispatch_ptr 0
		.amdhsa_user_sgpr_queue_ptr 0
		.amdhsa_user_sgpr_kernarg_segment_ptr 1
		.amdhsa_user_sgpr_dispatch_id 0
		.amdhsa_user_sgpr_flat_scratch_init 0
		.amdhsa_user_sgpr_kernarg_preload_length 0
		.amdhsa_user_sgpr_kernarg_preload_offset 0
		.amdhsa_user_sgpr_private_segment_size 0
		.amdhsa_uses_dynamic_stack 0
		.amdhsa_system_sgpr_private_segment_wavefront_offset 0
		.amdhsa_system_sgpr_workgroup_id_x 1
		.amdhsa_system_sgpr_workgroup_id_y 0
		.amdhsa_system_sgpr_workgroup_id_z 0
		.amdhsa_system_sgpr_workgroup_info 0
		.amdhsa_system_vgpr_workitem_id 0
		.amdhsa_next_free_vgpr 1
		.amdhsa_next_free_sgpr 0
		.amdhsa_accum_offset 4
		.amdhsa_reserve_vcc 0
		.amdhsa_reserve_flat_scratch 0
		.amdhsa_float_round_mode_32 0
		.amdhsa_float_round_mode_16_64 0
		.amdhsa_float_denorm_mode_32 3
		.amdhsa_float_denorm_mode_16_64 3
		.amdhsa_dx10_clamp 1
		.amdhsa_ieee_mode 1
		.amdhsa_fp16_overflow 0
		.amdhsa_tg_split 0
		.amdhsa_exception_fp_ieee_invalid_op 0
		.amdhsa_exception_fp_denorm_src 0
		.amdhsa_exception_fp_ieee_div_zero 0
		.amdhsa_exception_fp_ieee_overflow 0
		.amdhsa_exception_fp_ieee_underflow 0
		.amdhsa_exception_fp_ieee_inexact 0
		.amdhsa_exception_int_div_zero 0
	.end_amdhsa_kernel
	.section	.text._ZN7rocprim17ROCPRIM_400000_NS6detail17trampoline_kernelINS0_14default_configENS1_27scan_by_key_config_selectorIidEEZZNS1_16scan_by_key_implILNS1_25lookback_scan_determinismE0ELb0ES3_N6thrust23THRUST_200600_302600_NS6detail15normal_iteratorINS9_10device_ptrIiEEEENSB_INSC_IdEEEESG_dNS9_4plusIvEENS9_8equal_toIvEEdEE10hipError_tPvRmT2_T3_T4_T5_mT6_T7_P12ihipStream_tbENKUlT_T0_E_clISt17integral_constantIbLb1EES11_EEDaSW_SX_EUlSW_E_NS1_11comp_targetILNS1_3genE8ELNS1_11target_archE1030ELNS1_3gpuE2ELNS1_3repE0EEENS1_30default_config_static_selectorELNS0_4arch9wavefront6targetE1EEEvT1_,"axG",@progbits,_ZN7rocprim17ROCPRIM_400000_NS6detail17trampoline_kernelINS0_14default_configENS1_27scan_by_key_config_selectorIidEEZZNS1_16scan_by_key_implILNS1_25lookback_scan_determinismE0ELb0ES3_N6thrust23THRUST_200600_302600_NS6detail15normal_iteratorINS9_10device_ptrIiEEEENSB_INSC_IdEEEESG_dNS9_4plusIvEENS9_8equal_toIvEEdEE10hipError_tPvRmT2_T3_T4_T5_mT6_T7_P12ihipStream_tbENKUlT_T0_E_clISt17integral_constantIbLb1EES11_EEDaSW_SX_EUlSW_E_NS1_11comp_targetILNS1_3genE8ELNS1_11target_archE1030ELNS1_3gpuE2ELNS1_3repE0EEENS1_30default_config_static_selectorELNS0_4arch9wavefront6targetE1EEEvT1_,comdat
.Lfunc_end1104:
	.size	_ZN7rocprim17ROCPRIM_400000_NS6detail17trampoline_kernelINS0_14default_configENS1_27scan_by_key_config_selectorIidEEZZNS1_16scan_by_key_implILNS1_25lookback_scan_determinismE0ELb0ES3_N6thrust23THRUST_200600_302600_NS6detail15normal_iteratorINS9_10device_ptrIiEEEENSB_INSC_IdEEEESG_dNS9_4plusIvEENS9_8equal_toIvEEdEE10hipError_tPvRmT2_T3_T4_T5_mT6_T7_P12ihipStream_tbENKUlT_T0_E_clISt17integral_constantIbLb1EES11_EEDaSW_SX_EUlSW_E_NS1_11comp_targetILNS1_3genE8ELNS1_11target_archE1030ELNS1_3gpuE2ELNS1_3repE0EEENS1_30default_config_static_selectorELNS0_4arch9wavefront6targetE1EEEvT1_, .Lfunc_end1104-_ZN7rocprim17ROCPRIM_400000_NS6detail17trampoline_kernelINS0_14default_configENS1_27scan_by_key_config_selectorIidEEZZNS1_16scan_by_key_implILNS1_25lookback_scan_determinismE0ELb0ES3_N6thrust23THRUST_200600_302600_NS6detail15normal_iteratorINS9_10device_ptrIiEEEENSB_INSC_IdEEEESG_dNS9_4plusIvEENS9_8equal_toIvEEdEE10hipError_tPvRmT2_T3_T4_T5_mT6_T7_P12ihipStream_tbENKUlT_T0_E_clISt17integral_constantIbLb1EES11_EEDaSW_SX_EUlSW_E_NS1_11comp_targetILNS1_3genE8ELNS1_11target_archE1030ELNS1_3gpuE2ELNS1_3repE0EEENS1_30default_config_static_selectorELNS0_4arch9wavefront6targetE1EEEvT1_
                                        ; -- End function
	.section	.AMDGPU.csdata,"",@progbits
; Kernel info:
; codeLenInByte = 0
; NumSgprs: 4
; NumVgprs: 0
; NumAgprs: 0
; TotalNumVgprs: 0
; ScratchSize: 0
; MemoryBound: 0
; FloatMode: 240
; IeeeMode: 1
; LDSByteSize: 0 bytes/workgroup (compile time only)
; SGPRBlocks: 0
; VGPRBlocks: 0
; NumSGPRsForWavesPerEU: 4
; NumVGPRsForWavesPerEU: 1
; AccumOffset: 4
; Occupancy: 8
; WaveLimiterHint : 0
; COMPUTE_PGM_RSRC2:SCRATCH_EN: 0
; COMPUTE_PGM_RSRC2:USER_SGPR: 6
; COMPUTE_PGM_RSRC2:TRAP_HANDLER: 0
; COMPUTE_PGM_RSRC2:TGID_X_EN: 1
; COMPUTE_PGM_RSRC2:TGID_Y_EN: 0
; COMPUTE_PGM_RSRC2:TGID_Z_EN: 0
; COMPUTE_PGM_RSRC2:TIDIG_COMP_CNT: 0
; COMPUTE_PGM_RSRC3_GFX90A:ACCUM_OFFSET: 0
; COMPUTE_PGM_RSRC3_GFX90A:TG_SPLIT: 0
	.section	.text._ZN7rocprim17ROCPRIM_400000_NS6detail30init_device_scan_by_key_kernelINS1_19lookback_scan_stateINS0_5tupleIJdbEEELb1ELb0EEEN6thrust23THRUST_200600_302600_NS6detail15normal_iteratorINS8_10device_ptrIiEEEEjNS1_16block_id_wrapperIjLb0EEEEEvT_jjPNSG_10value_typeET0_PNSt15iterator_traitsISJ_E10value_typeEmT1_T2_,"axG",@progbits,_ZN7rocprim17ROCPRIM_400000_NS6detail30init_device_scan_by_key_kernelINS1_19lookback_scan_stateINS0_5tupleIJdbEEELb1ELb0EEEN6thrust23THRUST_200600_302600_NS6detail15normal_iteratorINS8_10device_ptrIiEEEEjNS1_16block_id_wrapperIjLb0EEEEEvT_jjPNSG_10value_typeET0_PNSt15iterator_traitsISJ_E10value_typeEmT1_T2_,comdat
	.protected	_ZN7rocprim17ROCPRIM_400000_NS6detail30init_device_scan_by_key_kernelINS1_19lookback_scan_stateINS0_5tupleIJdbEEELb1ELb0EEEN6thrust23THRUST_200600_302600_NS6detail15normal_iteratorINS8_10device_ptrIiEEEEjNS1_16block_id_wrapperIjLb0EEEEEvT_jjPNSG_10value_typeET0_PNSt15iterator_traitsISJ_E10value_typeEmT1_T2_ ; -- Begin function _ZN7rocprim17ROCPRIM_400000_NS6detail30init_device_scan_by_key_kernelINS1_19lookback_scan_stateINS0_5tupleIJdbEEELb1ELb0EEEN6thrust23THRUST_200600_302600_NS6detail15normal_iteratorINS8_10device_ptrIiEEEEjNS1_16block_id_wrapperIjLb0EEEEEvT_jjPNSG_10value_typeET0_PNSt15iterator_traitsISJ_E10value_typeEmT1_T2_
	.globl	_ZN7rocprim17ROCPRIM_400000_NS6detail30init_device_scan_by_key_kernelINS1_19lookback_scan_stateINS0_5tupleIJdbEEELb1ELb0EEEN6thrust23THRUST_200600_302600_NS6detail15normal_iteratorINS8_10device_ptrIiEEEEjNS1_16block_id_wrapperIjLb0EEEEEvT_jjPNSG_10value_typeET0_PNSt15iterator_traitsISJ_E10value_typeEmT1_T2_
	.p2align	8
	.type	_ZN7rocprim17ROCPRIM_400000_NS6detail30init_device_scan_by_key_kernelINS1_19lookback_scan_stateINS0_5tupleIJdbEEELb1ELb0EEEN6thrust23THRUST_200600_302600_NS6detail15normal_iteratorINS8_10device_ptrIiEEEEjNS1_16block_id_wrapperIjLb0EEEEEvT_jjPNSG_10value_typeET0_PNSt15iterator_traitsISJ_E10value_typeEmT1_T2_,@function
_ZN7rocprim17ROCPRIM_400000_NS6detail30init_device_scan_by_key_kernelINS1_19lookback_scan_stateINS0_5tupleIJdbEEELb1ELb0EEEN6thrust23THRUST_200600_302600_NS6detail15normal_iteratorINS8_10device_ptrIiEEEEjNS1_16block_id_wrapperIjLb0EEEEEvT_jjPNSG_10value_typeET0_PNSt15iterator_traitsISJ_E10value_typeEmT1_T2_: ; @_ZN7rocprim17ROCPRIM_400000_NS6detail30init_device_scan_by_key_kernelINS1_19lookback_scan_stateINS0_5tupleIJdbEEELb1ELb0EEEN6thrust23THRUST_200600_302600_NS6detail15normal_iteratorINS8_10device_ptrIiEEEEjNS1_16block_id_wrapperIjLb0EEEEEvT_jjPNSG_10value_typeET0_PNSt15iterator_traitsISJ_E10value_typeEmT1_T2_
; %bb.0:
	s_load_dword s0, s[4:5], 0x54
	s_load_dwordx8 s[8:15], s[4:5], 0x10
	s_load_dword s20, s[4:5], 0x48
	s_waitcnt lgkmcnt(0)
	s_and_b32 s21, s0, 0xffff
	s_mul_i32 s6, s6, s21
	s_cmp_eq_u64 s[12:13], 0
	v_add_u32_e32 v0, s6, v0
	s_cbranch_scc1 .LBB1105_11
; %bb.1:
	s_cmp_lt_u32 s11, s10
	s_cselect_b32 s0, s11, 0
	s_mov_b32 s17, 0
	v_cmp_eq_u32_e32 vcc, s0, v0
	s_and_saveexec_b64 s[6:7], vcc
	s_cbranch_execz .LBB1105_10
; %bb.2:
	s_add_i32 s16, s11, 64
	v_mov_b32_e32 v1, s16
	global_load_ubyte v1, v1, s[8:9] glc
	s_load_dwordx4 s[0:3], s[4:5], 0x0
	s_add_u32 s18, s8, s16
	s_addc_u32 s19, s9, 0
	s_waitcnt vmcnt(0)
	v_cmp_ne_u16_e32 vcc, 0, v1
	v_readfirstlane_b32 s11, v1
	s_cbranch_vccz .LBB1105_4
; %bb.3:
	s_and_b32 s11, 0xffff, s11
	s_branch .LBB1105_9
.LBB1105_4:
	s_mov_b32 s11, 1
	v_mov_b32_e32 v1, 0
.LBB1105_5:                             ; =>This Loop Header: Depth=1
                                        ;     Child Loop BB1105_6 Depth 2
	s_max_u32 s22, s11, 1
.LBB1105_6:                             ;   Parent Loop BB1105_5 Depth=1
                                        ; =>  This Inner Loop Header: Depth=2
	s_add_i32 s22, s22, -1
	s_cmp_eq_u32 s22, 0
	s_sleep 1
	s_cbranch_scc0 .LBB1105_6
; %bb.7:                                ;   in Loop: Header=BB1105_5 Depth=1
	global_load_ubyte v2, v1, s[18:19] glc
	s_cmp_lt_u32 s11, 32
	s_cselect_b64 s[22:23], -1, 0
	s_cmp_lg_u64 s[22:23], 0
	s_addc_u32 s11, s11, 0
	s_waitcnt vmcnt(0)
	v_cmp_ne_u16_e32 vcc, 0, v2
	v_readfirstlane_b32 s22, v2
	s_cbranch_vccz .LBB1105_5
; %bb.8:
	s_and_b32 s11, 0xffff, s22
.LBB1105_9:
	s_cmp_eq_u32 s11, 1
	s_waitcnt lgkmcnt(0)
	s_cselect_b32 s3, s1, s3
	s_cselect_b32 s2, s0, s2
	s_lshl_b64 s[0:1], s[16:17], 4
	s_add_u32 s0, s2, s0
	s_addc_u32 s1, s3, s1
	v_mov_b32_e32 v1, 0
	buffer_wbinvl1_vol
	global_load_dwordx2 v[2:3], v1, s[0:1]
	global_load_ubyte v4, v1, s[0:1] offset:8
	s_waitcnt vmcnt(1)
	global_store_dwordx2 v1, v[2:3], s[12:13]
	s_waitcnt vmcnt(1)
	global_store_byte v1, v4, s[12:13] offset:8
.LBB1105_10:
	s_or_b64 exec, exec, s[6:7]
.LBB1105_11:
	v_cmp_gt_u32_e32 vcc, s10, v0
	s_and_saveexec_b64 s[0:1], vcc
	s_cbranch_execz .LBB1105_13
; %bb.12:
	v_add_u32_e32 v1, 64, v0
	v_mov_b32_e32 v2, 0
	global_store_byte v1, v2, s[8:9]
.LBB1105_13:
	s_or_b64 exec, exec, s[0:1]
	v_cmp_gt_u32_e32 vcc, 64, v0
	v_mov_b32_e32 v1, 0
	s_and_saveexec_b64 s[0:1], vcc
	s_cbranch_execz .LBB1105_15
; %bb.14:
	v_mov_b32_e32 v3, s9
	v_add_co_u32_e32 v2, vcc, s8, v0
	v_addc_co_u32_e32 v3, vcc, 0, v3, vcc
	v_mov_b32_e32 v4, 0xff
	global_store_byte v[2:3], v4, off
.LBB1105_15:
	s_or_b64 exec, exec, s[0:1]
	s_load_dwordx2 s[0:1], s[4:5], 0x38
	s_waitcnt lgkmcnt(0)
	v_cmp_gt_u64_e32 vcc, s[0:1], v[0:1]
	s_and_saveexec_b64 s[2:3], vcc
	s_cbranch_execz .LBB1105_18
; %bb.16:
	s_load_dword s10, s[4:5], 0x40
	s_load_dwordx2 s[6:7], s[4:5], 0x30
	s_mov_b32 s5, 0
	s_mov_b32 s3, s5
	s_mul_i32 s2, s20, s21
	s_waitcnt lgkmcnt(0)
	s_add_i32 s4, s10, -1
	s_lshl_b64 s[4:5], s[4:5], 2
	v_mad_u64_u32 v[2:3], s[8:9], s10, v0, 0
	s_add_u32 s4, s14, s4
	v_lshlrev_b64 v[2:3], 2, v[2:3]
	s_addc_u32 s5, s15, s5
	v_mov_b32_e32 v4, s5
	v_add_co_u32_e32 v2, vcc, s4, v2
	v_addc_co_u32_e32 v3, vcc, v4, v3, vcc
	s_mul_hi_u32 s5, s10, s2
	s_mul_i32 s4, s10, s2
	v_lshlrev_b64 v[4:5], 2, v[0:1]
	s_lshl_b64 s[4:5], s[4:5], 2
	v_mov_b32_e32 v6, s7
	v_add_co_u32_e32 v4, vcc, s6, v4
	s_lshl_b64 s[6:7], s[2:3], 2
	v_addc_co_u32_e32 v5, vcc, v6, v5, vcc
	s_mov_b64 s[8:9], 0
	v_mov_b32_e32 v6, s3
	v_mov_b32_e32 v7, s5
	v_mov_b32_e32 v8, s7
.LBB1105_17:                            ; =>This Inner Loop Header: Depth=1
	global_load_dword v9, v[2:3], off
	v_add_co_u32_e32 v0, vcc, s2, v0
	v_addc_co_u32_e32 v1, vcc, v1, v6, vcc
	v_add_co_u32_e32 v2, vcc, s4, v2
	v_addc_co_u32_e32 v3, vcc, v3, v7, vcc
	v_cmp_le_u64_e32 vcc, s[0:1], v[0:1]
	s_or_b64 s[8:9], vcc, s[8:9]
	s_waitcnt vmcnt(0)
	global_store_dword v[4:5], v9, off
	v_add_co_u32_e32 v4, vcc, s6, v4
	v_addc_co_u32_e32 v5, vcc, v5, v8, vcc
	s_andn2_b64 exec, exec, s[8:9]
	s_cbranch_execnz .LBB1105_17
.LBB1105_18:
	s_endpgm
	.section	.rodata,"a",@progbits
	.p2align	6, 0x0
	.amdhsa_kernel _ZN7rocprim17ROCPRIM_400000_NS6detail30init_device_scan_by_key_kernelINS1_19lookback_scan_stateINS0_5tupleIJdbEEELb1ELb0EEEN6thrust23THRUST_200600_302600_NS6detail15normal_iteratorINS8_10device_ptrIiEEEEjNS1_16block_id_wrapperIjLb0EEEEEvT_jjPNSG_10value_typeET0_PNSt15iterator_traitsISJ_E10value_typeEmT1_T2_
		.amdhsa_group_segment_fixed_size 0
		.amdhsa_private_segment_fixed_size 0
		.amdhsa_kernarg_size 328
		.amdhsa_user_sgpr_count 6
		.amdhsa_user_sgpr_private_segment_buffer 1
		.amdhsa_user_sgpr_dispatch_ptr 0
		.amdhsa_user_sgpr_queue_ptr 0
		.amdhsa_user_sgpr_kernarg_segment_ptr 1
		.amdhsa_user_sgpr_dispatch_id 0
		.amdhsa_user_sgpr_flat_scratch_init 0
		.amdhsa_user_sgpr_kernarg_preload_length 0
		.amdhsa_user_sgpr_kernarg_preload_offset 0
		.amdhsa_user_sgpr_private_segment_size 0
		.amdhsa_uses_dynamic_stack 0
		.amdhsa_system_sgpr_private_segment_wavefront_offset 0
		.amdhsa_system_sgpr_workgroup_id_x 1
		.amdhsa_system_sgpr_workgroup_id_y 0
		.amdhsa_system_sgpr_workgroup_id_z 0
		.amdhsa_system_sgpr_workgroup_info 0
		.amdhsa_system_vgpr_workitem_id 0
		.amdhsa_next_free_vgpr 10
		.amdhsa_next_free_sgpr 24
		.amdhsa_accum_offset 12
		.amdhsa_reserve_vcc 1
		.amdhsa_reserve_flat_scratch 0
		.amdhsa_float_round_mode_32 0
		.amdhsa_float_round_mode_16_64 0
		.amdhsa_float_denorm_mode_32 3
		.amdhsa_float_denorm_mode_16_64 3
		.amdhsa_dx10_clamp 1
		.amdhsa_ieee_mode 1
		.amdhsa_fp16_overflow 0
		.amdhsa_tg_split 0
		.amdhsa_exception_fp_ieee_invalid_op 0
		.amdhsa_exception_fp_denorm_src 0
		.amdhsa_exception_fp_ieee_div_zero 0
		.amdhsa_exception_fp_ieee_overflow 0
		.amdhsa_exception_fp_ieee_underflow 0
		.amdhsa_exception_fp_ieee_inexact 0
		.amdhsa_exception_int_div_zero 0
	.end_amdhsa_kernel
	.section	.text._ZN7rocprim17ROCPRIM_400000_NS6detail30init_device_scan_by_key_kernelINS1_19lookback_scan_stateINS0_5tupleIJdbEEELb1ELb0EEEN6thrust23THRUST_200600_302600_NS6detail15normal_iteratorINS8_10device_ptrIiEEEEjNS1_16block_id_wrapperIjLb0EEEEEvT_jjPNSG_10value_typeET0_PNSt15iterator_traitsISJ_E10value_typeEmT1_T2_,"axG",@progbits,_ZN7rocprim17ROCPRIM_400000_NS6detail30init_device_scan_by_key_kernelINS1_19lookback_scan_stateINS0_5tupleIJdbEEELb1ELb0EEEN6thrust23THRUST_200600_302600_NS6detail15normal_iteratorINS8_10device_ptrIiEEEEjNS1_16block_id_wrapperIjLb0EEEEEvT_jjPNSG_10value_typeET0_PNSt15iterator_traitsISJ_E10value_typeEmT1_T2_,comdat
.Lfunc_end1105:
	.size	_ZN7rocprim17ROCPRIM_400000_NS6detail30init_device_scan_by_key_kernelINS1_19lookback_scan_stateINS0_5tupleIJdbEEELb1ELb0EEEN6thrust23THRUST_200600_302600_NS6detail15normal_iteratorINS8_10device_ptrIiEEEEjNS1_16block_id_wrapperIjLb0EEEEEvT_jjPNSG_10value_typeET0_PNSt15iterator_traitsISJ_E10value_typeEmT1_T2_, .Lfunc_end1105-_ZN7rocprim17ROCPRIM_400000_NS6detail30init_device_scan_by_key_kernelINS1_19lookback_scan_stateINS0_5tupleIJdbEEELb1ELb0EEEN6thrust23THRUST_200600_302600_NS6detail15normal_iteratorINS8_10device_ptrIiEEEEjNS1_16block_id_wrapperIjLb0EEEEEvT_jjPNSG_10value_typeET0_PNSt15iterator_traitsISJ_E10value_typeEmT1_T2_
                                        ; -- End function
	.section	.AMDGPU.csdata,"",@progbits
; Kernel info:
; codeLenInByte = 592
; NumSgprs: 28
; NumVgprs: 10
; NumAgprs: 0
; TotalNumVgprs: 10
; ScratchSize: 0
; MemoryBound: 0
; FloatMode: 240
; IeeeMode: 1
; LDSByteSize: 0 bytes/workgroup (compile time only)
; SGPRBlocks: 3
; VGPRBlocks: 1
; NumSGPRsForWavesPerEU: 28
; NumVGPRsForWavesPerEU: 10
; AccumOffset: 12
; Occupancy: 8
; WaveLimiterHint : 0
; COMPUTE_PGM_RSRC2:SCRATCH_EN: 0
; COMPUTE_PGM_RSRC2:USER_SGPR: 6
; COMPUTE_PGM_RSRC2:TRAP_HANDLER: 0
; COMPUTE_PGM_RSRC2:TGID_X_EN: 1
; COMPUTE_PGM_RSRC2:TGID_Y_EN: 0
; COMPUTE_PGM_RSRC2:TGID_Z_EN: 0
; COMPUTE_PGM_RSRC2:TIDIG_COMP_CNT: 0
; COMPUTE_PGM_RSRC3_GFX90A:ACCUM_OFFSET: 2
; COMPUTE_PGM_RSRC3_GFX90A:TG_SPLIT: 0
	.section	.text._ZN7rocprim17ROCPRIM_400000_NS6detail30init_device_scan_by_key_kernelINS1_19lookback_scan_stateINS0_5tupleIJdbEEELb1ELb0EEENS1_16block_id_wrapperIjLb0EEEEEvT_jjPNS9_10value_typeET0_,"axG",@progbits,_ZN7rocprim17ROCPRIM_400000_NS6detail30init_device_scan_by_key_kernelINS1_19lookback_scan_stateINS0_5tupleIJdbEEELb1ELb0EEENS1_16block_id_wrapperIjLb0EEEEEvT_jjPNS9_10value_typeET0_,comdat
	.protected	_ZN7rocprim17ROCPRIM_400000_NS6detail30init_device_scan_by_key_kernelINS1_19lookback_scan_stateINS0_5tupleIJdbEEELb1ELb0EEENS1_16block_id_wrapperIjLb0EEEEEvT_jjPNS9_10value_typeET0_ ; -- Begin function _ZN7rocprim17ROCPRIM_400000_NS6detail30init_device_scan_by_key_kernelINS1_19lookback_scan_stateINS0_5tupleIJdbEEELb1ELb0EEENS1_16block_id_wrapperIjLb0EEEEEvT_jjPNS9_10value_typeET0_
	.globl	_ZN7rocprim17ROCPRIM_400000_NS6detail30init_device_scan_by_key_kernelINS1_19lookback_scan_stateINS0_5tupleIJdbEEELb1ELb0EEENS1_16block_id_wrapperIjLb0EEEEEvT_jjPNS9_10value_typeET0_
	.p2align	8
	.type	_ZN7rocprim17ROCPRIM_400000_NS6detail30init_device_scan_by_key_kernelINS1_19lookback_scan_stateINS0_5tupleIJdbEEELb1ELb0EEENS1_16block_id_wrapperIjLb0EEEEEvT_jjPNS9_10value_typeET0_,@function
_ZN7rocprim17ROCPRIM_400000_NS6detail30init_device_scan_by_key_kernelINS1_19lookback_scan_stateINS0_5tupleIJdbEEELb1ELb0EEENS1_16block_id_wrapperIjLb0EEEEEvT_jjPNS9_10value_typeET0_: ; @_ZN7rocprim17ROCPRIM_400000_NS6detail30init_device_scan_by_key_kernelINS1_19lookback_scan_stateINS0_5tupleIJdbEEELb1ELb0EEENS1_16block_id_wrapperIjLb0EEEEEvT_jjPNS9_10value_typeET0_
; %bb.0:
	s_load_dword s7, s[4:5], 0x3c
	s_load_dwordx2 s[8:9], s[4:5], 0x20
	s_load_dwordx4 s[0:3], s[4:5], 0x10
	s_waitcnt lgkmcnt(0)
	s_and_b32 s7, s7, 0xffff
	s_mul_i32 s6, s6, s7
	s_cmp_eq_u64 s[8:9], 0
	v_add_u32_e32 v0, s6, v0
	s_cbranch_scc1 .LBB1106_11
; %bb.1:
	s_cmp_lt_u32 s3, s2
	s_cselect_b32 s6, s3, 0
	s_mov_b32 s13, 0
	v_cmp_eq_u32_e32 vcc, s6, v0
	s_and_saveexec_b64 s[10:11], vcc
	s_cbranch_execz .LBB1106_10
; %bb.2:
	s_add_i32 s12, s3, 64
	v_mov_b32_e32 v1, s12
	global_load_ubyte v1, v1, s[0:1] glc
	s_load_dwordx4 s[4:7], s[4:5], 0x0
	s_add_u32 s14, s0, s12
	s_addc_u32 s15, s1, 0
	s_waitcnt vmcnt(0)
	v_cmp_ne_u16_e32 vcc, 0, v1
	v_readfirstlane_b32 s3, v1
	s_cbranch_vccz .LBB1106_4
; %bb.3:
	s_and_b32 s3, 0xffff, s3
	s_branch .LBB1106_9
.LBB1106_4:
	s_mov_b32 s3, 1
	v_mov_b32_e32 v1, 0
.LBB1106_5:                             ; =>This Loop Header: Depth=1
                                        ;     Child Loop BB1106_6 Depth 2
	s_max_u32 s16, s3, 1
.LBB1106_6:                             ;   Parent Loop BB1106_5 Depth=1
                                        ; =>  This Inner Loop Header: Depth=2
	s_add_i32 s16, s16, -1
	s_cmp_eq_u32 s16, 0
	s_sleep 1
	s_cbranch_scc0 .LBB1106_6
; %bb.7:                                ;   in Loop: Header=BB1106_5 Depth=1
	global_load_ubyte v2, v1, s[14:15] glc
	s_cmp_lt_u32 s3, 32
	s_cselect_b64 s[16:17], -1, 0
	s_cmp_lg_u64 s[16:17], 0
	s_addc_u32 s3, s3, 0
	s_waitcnt vmcnt(0)
	v_cmp_ne_u16_e32 vcc, 0, v2
	v_readfirstlane_b32 s16, v2
	s_cbranch_vccz .LBB1106_5
; %bb.8:
	s_and_b32 s3, 0xffff, s16
.LBB1106_9:
	s_cmp_eq_u32 s3, 1
	s_waitcnt lgkmcnt(0)
	s_cselect_b32 s3, s5, s7
	s_cselect_b32 s6, s4, s6
	s_lshl_b64 s[4:5], s[12:13], 4
	s_add_u32 s4, s6, s4
	s_addc_u32 s5, s3, s5
	v_mov_b32_e32 v1, 0
	buffer_wbinvl1_vol
	global_load_dwordx2 v[2:3], v1, s[4:5]
	global_load_ubyte v4, v1, s[4:5] offset:8
	s_waitcnt vmcnt(1)
	global_store_dwordx2 v1, v[2:3], s[8:9]
	s_waitcnt vmcnt(1)
	global_store_byte v1, v4, s[8:9] offset:8
.LBB1106_10:
	s_or_b64 exec, exec, s[10:11]
.LBB1106_11:
	v_cmp_gt_u32_e32 vcc, s2, v0
	s_and_saveexec_b64 s[2:3], vcc
	s_cbranch_execnz .LBB1106_14
; %bb.12:
	s_or_b64 exec, exec, s[2:3]
	v_cmp_gt_u32_e32 vcc, 64, v0
	s_and_saveexec_b64 s[2:3], vcc
	s_cbranch_execnz .LBB1106_15
.LBB1106_13:
	s_endpgm
.LBB1106_14:
	v_add_u32_e32 v1, 64, v0
	v_mov_b32_e32 v2, 0
	global_store_byte v1, v2, s[0:1]
	s_or_b64 exec, exec, s[2:3]
	v_cmp_gt_u32_e32 vcc, 64, v0
	s_and_saveexec_b64 s[2:3], vcc
	s_cbranch_execz .LBB1106_13
.LBB1106_15:
	v_mov_b32_e32 v1, 0xff
	global_store_byte v0, v1, s[0:1]
	s_endpgm
	.section	.rodata,"a",@progbits
	.p2align	6, 0x0
	.amdhsa_kernel _ZN7rocprim17ROCPRIM_400000_NS6detail30init_device_scan_by_key_kernelINS1_19lookback_scan_stateINS0_5tupleIJdbEEELb1ELb0EEENS1_16block_id_wrapperIjLb0EEEEEvT_jjPNS9_10value_typeET0_
		.amdhsa_group_segment_fixed_size 0
		.amdhsa_private_segment_fixed_size 0
		.amdhsa_kernarg_size 304
		.amdhsa_user_sgpr_count 6
		.amdhsa_user_sgpr_private_segment_buffer 1
		.amdhsa_user_sgpr_dispatch_ptr 0
		.amdhsa_user_sgpr_queue_ptr 0
		.amdhsa_user_sgpr_kernarg_segment_ptr 1
		.amdhsa_user_sgpr_dispatch_id 0
		.amdhsa_user_sgpr_flat_scratch_init 0
		.amdhsa_user_sgpr_kernarg_preload_length 0
		.amdhsa_user_sgpr_kernarg_preload_offset 0
		.amdhsa_user_sgpr_private_segment_size 0
		.amdhsa_uses_dynamic_stack 0
		.amdhsa_system_sgpr_private_segment_wavefront_offset 0
		.amdhsa_system_sgpr_workgroup_id_x 1
		.amdhsa_system_sgpr_workgroup_id_y 0
		.amdhsa_system_sgpr_workgroup_id_z 0
		.amdhsa_system_sgpr_workgroup_info 0
		.amdhsa_system_vgpr_workitem_id 0
		.amdhsa_next_free_vgpr 5
		.amdhsa_next_free_sgpr 18
		.amdhsa_accum_offset 8
		.amdhsa_reserve_vcc 1
		.amdhsa_reserve_flat_scratch 0
		.amdhsa_float_round_mode_32 0
		.amdhsa_float_round_mode_16_64 0
		.amdhsa_float_denorm_mode_32 3
		.amdhsa_float_denorm_mode_16_64 3
		.amdhsa_dx10_clamp 1
		.amdhsa_ieee_mode 1
		.amdhsa_fp16_overflow 0
		.amdhsa_tg_split 0
		.amdhsa_exception_fp_ieee_invalid_op 0
		.amdhsa_exception_fp_denorm_src 0
		.amdhsa_exception_fp_ieee_div_zero 0
		.amdhsa_exception_fp_ieee_overflow 0
		.amdhsa_exception_fp_ieee_underflow 0
		.amdhsa_exception_fp_ieee_inexact 0
		.amdhsa_exception_int_div_zero 0
	.end_amdhsa_kernel
	.section	.text._ZN7rocprim17ROCPRIM_400000_NS6detail30init_device_scan_by_key_kernelINS1_19lookback_scan_stateINS0_5tupleIJdbEEELb1ELb0EEENS1_16block_id_wrapperIjLb0EEEEEvT_jjPNS9_10value_typeET0_,"axG",@progbits,_ZN7rocprim17ROCPRIM_400000_NS6detail30init_device_scan_by_key_kernelINS1_19lookback_scan_stateINS0_5tupleIJdbEEELb1ELb0EEENS1_16block_id_wrapperIjLb0EEEEEvT_jjPNS9_10value_typeET0_,comdat
.Lfunc_end1106:
	.size	_ZN7rocprim17ROCPRIM_400000_NS6detail30init_device_scan_by_key_kernelINS1_19lookback_scan_stateINS0_5tupleIJdbEEELb1ELb0EEENS1_16block_id_wrapperIjLb0EEEEEvT_jjPNS9_10value_typeET0_, .Lfunc_end1106-_ZN7rocprim17ROCPRIM_400000_NS6detail30init_device_scan_by_key_kernelINS1_19lookback_scan_stateINS0_5tupleIJdbEEELb1ELb0EEENS1_16block_id_wrapperIjLb0EEEEEvT_jjPNS9_10value_typeET0_
                                        ; -- End function
	.section	.AMDGPU.csdata,"",@progbits
; Kernel info:
; codeLenInByte = 380
; NumSgprs: 22
; NumVgprs: 5
; NumAgprs: 0
; TotalNumVgprs: 5
; ScratchSize: 0
; MemoryBound: 0
; FloatMode: 240
; IeeeMode: 1
; LDSByteSize: 0 bytes/workgroup (compile time only)
; SGPRBlocks: 2
; VGPRBlocks: 0
; NumSGPRsForWavesPerEU: 22
; NumVGPRsForWavesPerEU: 5
; AccumOffset: 8
; Occupancy: 8
; WaveLimiterHint : 0
; COMPUTE_PGM_RSRC2:SCRATCH_EN: 0
; COMPUTE_PGM_RSRC2:USER_SGPR: 6
; COMPUTE_PGM_RSRC2:TRAP_HANDLER: 0
; COMPUTE_PGM_RSRC2:TGID_X_EN: 1
; COMPUTE_PGM_RSRC2:TGID_Y_EN: 0
; COMPUTE_PGM_RSRC2:TGID_Z_EN: 0
; COMPUTE_PGM_RSRC2:TIDIG_COMP_CNT: 0
; COMPUTE_PGM_RSRC3_GFX90A:ACCUM_OFFSET: 1
; COMPUTE_PGM_RSRC3_GFX90A:TG_SPLIT: 0
	.section	.text._ZN7rocprim17ROCPRIM_400000_NS6detail17trampoline_kernelINS0_14default_configENS1_27scan_by_key_config_selectorIidEEZZNS1_16scan_by_key_implILNS1_25lookback_scan_determinismE0ELb0ES3_N6thrust23THRUST_200600_302600_NS6detail15normal_iteratorINS9_10device_ptrIiEEEENSB_INSC_IdEEEESG_dNS9_4plusIvEENS9_8equal_toIvEEdEE10hipError_tPvRmT2_T3_T4_T5_mT6_T7_P12ihipStream_tbENKUlT_T0_E_clISt17integral_constantIbLb1EES10_IbLb0EEEEDaSW_SX_EUlSW_E_NS1_11comp_targetILNS1_3genE0ELNS1_11target_archE4294967295ELNS1_3gpuE0ELNS1_3repE0EEENS1_30default_config_static_selectorELNS0_4arch9wavefront6targetE1EEEvT1_,"axG",@progbits,_ZN7rocprim17ROCPRIM_400000_NS6detail17trampoline_kernelINS0_14default_configENS1_27scan_by_key_config_selectorIidEEZZNS1_16scan_by_key_implILNS1_25lookback_scan_determinismE0ELb0ES3_N6thrust23THRUST_200600_302600_NS6detail15normal_iteratorINS9_10device_ptrIiEEEENSB_INSC_IdEEEESG_dNS9_4plusIvEENS9_8equal_toIvEEdEE10hipError_tPvRmT2_T3_T4_T5_mT6_T7_P12ihipStream_tbENKUlT_T0_E_clISt17integral_constantIbLb1EES10_IbLb0EEEEDaSW_SX_EUlSW_E_NS1_11comp_targetILNS1_3genE0ELNS1_11target_archE4294967295ELNS1_3gpuE0ELNS1_3repE0EEENS1_30default_config_static_selectorELNS0_4arch9wavefront6targetE1EEEvT1_,comdat
	.protected	_ZN7rocprim17ROCPRIM_400000_NS6detail17trampoline_kernelINS0_14default_configENS1_27scan_by_key_config_selectorIidEEZZNS1_16scan_by_key_implILNS1_25lookback_scan_determinismE0ELb0ES3_N6thrust23THRUST_200600_302600_NS6detail15normal_iteratorINS9_10device_ptrIiEEEENSB_INSC_IdEEEESG_dNS9_4plusIvEENS9_8equal_toIvEEdEE10hipError_tPvRmT2_T3_T4_T5_mT6_T7_P12ihipStream_tbENKUlT_T0_E_clISt17integral_constantIbLb1EES10_IbLb0EEEEDaSW_SX_EUlSW_E_NS1_11comp_targetILNS1_3genE0ELNS1_11target_archE4294967295ELNS1_3gpuE0ELNS1_3repE0EEENS1_30default_config_static_selectorELNS0_4arch9wavefront6targetE1EEEvT1_ ; -- Begin function _ZN7rocprim17ROCPRIM_400000_NS6detail17trampoline_kernelINS0_14default_configENS1_27scan_by_key_config_selectorIidEEZZNS1_16scan_by_key_implILNS1_25lookback_scan_determinismE0ELb0ES3_N6thrust23THRUST_200600_302600_NS6detail15normal_iteratorINS9_10device_ptrIiEEEENSB_INSC_IdEEEESG_dNS9_4plusIvEENS9_8equal_toIvEEdEE10hipError_tPvRmT2_T3_T4_T5_mT6_T7_P12ihipStream_tbENKUlT_T0_E_clISt17integral_constantIbLb1EES10_IbLb0EEEEDaSW_SX_EUlSW_E_NS1_11comp_targetILNS1_3genE0ELNS1_11target_archE4294967295ELNS1_3gpuE0ELNS1_3repE0EEENS1_30default_config_static_selectorELNS0_4arch9wavefront6targetE1EEEvT1_
	.globl	_ZN7rocprim17ROCPRIM_400000_NS6detail17trampoline_kernelINS0_14default_configENS1_27scan_by_key_config_selectorIidEEZZNS1_16scan_by_key_implILNS1_25lookback_scan_determinismE0ELb0ES3_N6thrust23THRUST_200600_302600_NS6detail15normal_iteratorINS9_10device_ptrIiEEEENSB_INSC_IdEEEESG_dNS9_4plusIvEENS9_8equal_toIvEEdEE10hipError_tPvRmT2_T3_T4_T5_mT6_T7_P12ihipStream_tbENKUlT_T0_E_clISt17integral_constantIbLb1EES10_IbLb0EEEEDaSW_SX_EUlSW_E_NS1_11comp_targetILNS1_3genE0ELNS1_11target_archE4294967295ELNS1_3gpuE0ELNS1_3repE0EEENS1_30default_config_static_selectorELNS0_4arch9wavefront6targetE1EEEvT1_
	.p2align	8
	.type	_ZN7rocprim17ROCPRIM_400000_NS6detail17trampoline_kernelINS0_14default_configENS1_27scan_by_key_config_selectorIidEEZZNS1_16scan_by_key_implILNS1_25lookback_scan_determinismE0ELb0ES3_N6thrust23THRUST_200600_302600_NS6detail15normal_iteratorINS9_10device_ptrIiEEEENSB_INSC_IdEEEESG_dNS9_4plusIvEENS9_8equal_toIvEEdEE10hipError_tPvRmT2_T3_T4_T5_mT6_T7_P12ihipStream_tbENKUlT_T0_E_clISt17integral_constantIbLb1EES10_IbLb0EEEEDaSW_SX_EUlSW_E_NS1_11comp_targetILNS1_3genE0ELNS1_11target_archE4294967295ELNS1_3gpuE0ELNS1_3repE0EEENS1_30default_config_static_selectorELNS0_4arch9wavefront6targetE1EEEvT1_,@function
_ZN7rocprim17ROCPRIM_400000_NS6detail17trampoline_kernelINS0_14default_configENS1_27scan_by_key_config_selectorIidEEZZNS1_16scan_by_key_implILNS1_25lookback_scan_determinismE0ELb0ES3_N6thrust23THRUST_200600_302600_NS6detail15normal_iteratorINS9_10device_ptrIiEEEENSB_INSC_IdEEEESG_dNS9_4plusIvEENS9_8equal_toIvEEdEE10hipError_tPvRmT2_T3_T4_T5_mT6_T7_P12ihipStream_tbENKUlT_T0_E_clISt17integral_constantIbLb1EES10_IbLb0EEEEDaSW_SX_EUlSW_E_NS1_11comp_targetILNS1_3genE0ELNS1_11target_archE4294967295ELNS1_3gpuE0ELNS1_3repE0EEENS1_30default_config_static_selectorELNS0_4arch9wavefront6targetE1EEEvT1_: ; @_ZN7rocprim17ROCPRIM_400000_NS6detail17trampoline_kernelINS0_14default_configENS1_27scan_by_key_config_selectorIidEEZZNS1_16scan_by_key_implILNS1_25lookback_scan_determinismE0ELb0ES3_N6thrust23THRUST_200600_302600_NS6detail15normal_iteratorINS9_10device_ptrIiEEEENSB_INSC_IdEEEESG_dNS9_4plusIvEENS9_8equal_toIvEEdEE10hipError_tPvRmT2_T3_T4_T5_mT6_T7_P12ihipStream_tbENKUlT_T0_E_clISt17integral_constantIbLb1EES10_IbLb0EEEEDaSW_SX_EUlSW_E_NS1_11comp_targetILNS1_3genE0ELNS1_11target_archE4294967295ELNS1_3gpuE0ELNS1_3repE0EEENS1_30default_config_static_selectorELNS0_4arch9wavefront6targetE1EEEvT1_
; %bb.0:
	.section	.rodata,"a",@progbits
	.p2align	6, 0x0
	.amdhsa_kernel _ZN7rocprim17ROCPRIM_400000_NS6detail17trampoline_kernelINS0_14default_configENS1_27scan_by_key_config_selectorIidEEZZNS1_16scan_by_key_implILNS1_25lookback_scan_determinismE0ELb0ES3_N6thrust23THRUST_200600_302600_NS6detail15normal_iteratorINS9_10device_ptrIiEEEENSB_INSC_IdEEEESG_dNS9_4plusIvEENS9_8equal_toIvEEdEE10hipError_tPvRmT2_T3_T4_T5_mT6_T7_P12ihipStream_tbENKUlT_T0_E_clISt17integral_constantIbLb1EES10_IbLb0EEEEDaSW_SX_EUlSW_E_NS1_11comp_targetILNS1_3genE0ELNS1_11target_archE4294967295ELNS1_3gpuE0ELNS1_3repE0EEENS1_30default_config_static_selectorELNS0_4arch9wavefront6targetE1EEEvT1_
		.amdhsa_group_segment_fixed_size 0
		.amdhsa_private_segment_fixed_size 0
		.amdhsa_kernarg_size 136
		.amdhsa_user_sgpr_count 6
		.amdhsa_user_sgpr_private_segment_buffer 1
		.amdhsa_user_sgpr_dispatch_ptr 0
		.amdhsa_user_sgpr_queue_ptr 0
		.amdhsa_user_sgpr_kernarg_segment_ptr 1
		.amdhsa_user_sgpr_dispatch_id 0
		.amdhsa_user_sgpr_flat_scratch_init 0
		.amdhsa_user_sgpr_kernarg_preload_length 0
		.amdhsa_user_sgpr_kernarg_preload_offset 0
		.amdhsa_user_sgpr_private_segment_size 0
		.amdhsa_uses_dynamic_stack 0
		.amdhsa_system_sgpr_private_segment_wavefront_offset 0
		.amdhsa_system_sgpr_workgroup_id_x 1
		.amdhsa_system_sgpr_workgroup_id_y 0
		.amdhsa_system_sgpr_workgroup_id_z 0
		.amdhsa_system_sgpr_workgroup_info 0
		.amdhsa_system_vgpr_workitem_id 0
		.amdhsa_next_free_vgpr 1
		.amdhsa_next_free_sgpr 0
		.amdhsa_accum_offset 4
		.amdhsa_reserve_vcc 0
		.amdhsa_reserve_flat_scratch 0
		.amdhsa_float_round_mode_32 0
		.amdhsa_float_round_mode_16_64 0
		.amdhsa_float_denorm_mode_32 3
		.amdhsa_float_denorm_mode_16_64 3
		.amdhsa_dx10_clamp 1
		.amdhsa_ieee_mode 1
		.amdhsa_fp16_overflow 0
		.amdhsa_tg_split 0
		.amdhsa_exception_fp_ieee_invalid_op 0
		.amdhsa_exception_fp_denorm_src 0
		.amdhsa_exception_fp_ieee_div_zero 0
		.amdhsa_exception_fp_ieee_overflow 0
		.amdhsa_exception_fp_ieee_underflow 0
		.amdhsa_exception_fp_ieee_inexact 0
		.amdhsa_exception_int_div_zero 0
	.end_amdhsa_kernel
	.section	.text._ZN7rocprim17ROCPRIM_400000_NS6detail17trampoline_kernelINS0_14default_configENS1_27scan_by_key_config_selectorIidEEZZNS1_16scan_by_key_implILNS1_25lookback_scan_determinismE0ELb0ES3_N6thrust23THRUST_200600_302600_NS6detail15normal_iteratorINS9_10device_ptrIiEEEENSB_INSC_IdEEEESG_dNS9_4plusIvEENS9_8equal_toIvEEdEE10hipError_tPvRmT2_T3_T4_T5_mT6_T7_P12ihipStream_tbENKUlT_T0_E_clISt17integral_constantIbLb1EES10_IbLb0EEEEDaSW_SX_EUlSW_E_NS1_11comp_targetILNS1_3genE0ELNS1_11target_archE4294967295ELNS1_3gpuE0ELNS1_3repE0EEENS1_30default_config_static_selectorELNS0_4arch9wavefront6targetE1EEEvT1_,"axG",@progbits,_ZN7rocprim17ROCPRIM_400000_NS6detail17trampoline_kernelINS0_14default_configENS1_27scan_by_key_config_selectorIidEEZZNS1_16scan_by_key_implILNS1_25lookback_scan_determinismE0ELb0ES3_N6thrust23THRUST_200600_302600_NS6detail15normal_iteratorINS9_10device_ptrIiEEEENSB_INSC_IdEEEESG_dNS9_4plusIvEENS9_8equal_toIvEEdEE10hipError_tPvRmT2_T3_T4_T5_mT6_T7_P12ihipStream_tbENKUlT_T0_E_clISt17integral_constantIbLb1EES10_IbLb0EEEEDaSW_SX_EUlSW_E_NS1_11comp_targetILNS1_3genE0ELNS1_11target_archE4294967295ELNS1_3gpuE0ELNS1_3repE0EEENS1_30default_config_static_selectorELNS0_4arch9wavefront6targetE1EEEvT1_,comdat
.Lfunc_end1107:
	.size	_ZN7rocprim17ROCPRIM_400000_NS6detail17trampoline_kernelINS0_14default_configENS1_27scan_by_key_config_selectorIidEEZZNS1_16scan_by_key_implILNS1_25lookback_scan_determinismE0ELb0ES3_N6thrust23THRUST_200600_302600_NS6detail15normal_iteratorINS9_10device_ptrIiEEEENSB_INSC_IdEEEESG_dNS9_4plusIvEENS9_8equal_toIvEEdEE10hipError_tPvRmT2_T3_T4_T5_mT6_T7_P12ihipStream_tbENKUlT_T0_E_clISt17integral_constantIbLb1EES10_IbLb0EEEEDaSW_SX_EUlSW_E_NS1_11comp_targetILNS1_3genE0ELNS1_11target_archE4294967295ELNS1_3gpuE0ELNS1_3repE0EEENS1_30default_config_static_selectorELNS0_4arch9wavefront6targetE1EEEvT1_, .Lfunc_end1107-_ZN7rocprim17ROCPRIM_400000_NS6detail17trampoline_kernelINS0_14default_configENS1_27scan_by_key_config_selectorIidEEZZNS1_16scan_by_key_implILNS1_25lookback_scan_determinismE0ELb0ES3_N6thrust23THRUST_200600_302600_NS6detail15normal_iteratorINS9_10device_ptrIiEEEENSB_INSC_IdEEEESG_dNS9_4plusIvEENS9_8equal_toIvEEdEE10hipError_tPvRmT2_T3_T4_T5_mT6_T7_P12ihipStream_tbENKUlT_T0_E_clISt17integral_constantIbLb1EES10_IbLb0EEEEDaSW_SX_EUlSW_E_NS1_11comp_targetILNS1_3genE0ELNS1_11target_archE4294967295ELNS1_3gpuE0ELNS1_3repE0EEENS1_30default_config_static_selectorELNS0_4arch9wavefront6targetE1EEEvT1_
                                        ; -- End function
	.section	.AMDGPU.csdata,"",@progbits
; Kernel info:
; codeLenInByte = 0
; NumSgprs: 4
; NumVgprs: 0
; NumAgprs: 0
; TotalNumVgprs: 0
; ScratchSize: 0
; MemoryBound: 0
; FloatMode: 240
; IeeeMode: 1
; LDSByteSize: 0 bytes/workgroup (compile time only)
; SGPRBlocks: 0
; VGPRBlocks: 0
; NumSGPRsForWavesPerEU: 4
; NumVGPRsForWavesPerEU: 1
; AccumOffset: 4
; Occupancy: 8
; WaveLimiterHint : 0
; COMPUTE_PGM_RSRC2:SCRATCH_EN: 0
; COMPUTE_PGM_RSRC2:USER_SGPR: 6
; COMPUTE_PGM_RSRC2:TRAP_HANDLER: 0
; COMPUTE_PGM_RSRC2:TGID_X_EN: 1
; COMPUTE_PGM_RSRC2:TGID_Y_EN: 0
; COMPUTE_PGM_RSRC2:TGID_Z_EN: 0
; COMPUTE_PGM_RSRC2:TIDIG_COMP_CNT: 0
; COMPUTE_PGM_RSRC3_GFX90A:ACCUM_OFFSET: 0
; COMPUTE_PGM_RSRC3_GFX90A:TG_SPLIT: 0
	.section	.text._ZN7rocprim17ROCPRIM_400000_NS6detail17trampoline_kernelINS0_14default_configENS1_27scan_by_key_config_selectorIidEEZZNS1_16scan_by_key_implILNS1_25lookback_scan_determinismE0ELb0ES3_N6thrust23THRUST_200600_302600_NS6detail15normal_iteratorINS9_10device_ptrIiEEEENSB_INSC_IdEEEESG_dNS9_4plusIvEENS9_8equal_toIvEEdEE10hipError_tPvRmT2_T3_T4_T5_mT6_T7_P12ihipStream_tbENKUlT_T0_E_clISt17integral_constantIbLb1EES10_IbLb0EEEEDaSW_SX_EUlSW_E_NS1_11comp_targetILNS1_3genE10ELNS1_11target_archE1201ELNS1_3gpuE5ELNS1_3repE0EEENS1_30default_config_static_selectorELNS0_4arch9wavefront6targetE1EEEvT1_,"axG",@progbits,_ZN7rocprim17ROCPRIM_400000_NS6detail17trampoline_kernelINS0_14default_configENS1_27scan_by_key_config_selectorIidEEZZNS1_16scan_by_key_implILNS1_25lookback_scan_determinismE0ELb0ES3_N6thrust23THRUST_200600_302600_NS6detail15normal_iteratorINS9_10device_ptrIiEEEENSB_INSC_IdEEEESG_dNS9_4plusIvEENS9_8equal_toIvEEdEE10hipError_tPvRmT2_T3_T4_T5_mT6_T7_P12ihipStream_tbENKUlT_T0_E_clISt17integral_constantIbLb1EES10_IbLb0EEEEDaSW_SX_EUlSW_E_NS1_11comp_targetILNS1_3genE10ELNS1_11target_archE1201ELNS1_3gpuE5ELNS1_3repE0EEENS1_30default_config_static_selectorELNS0_4arch9wavefront6targetE1EEEvT1_,comdat
	.protected	_ZN7rocprim17ROCPRIM_400000_NS6detail17trampoline_kernelINS0_14default_configENS1_27scan_by_key_config_selectorIidEEZZNS1_16scan_by_key_implILNS1_25lookback_scan_determinismE0ELb0ES3_N6thrust23THRUST_200600_302600_NS6detail15normal_iteratorINS9_10device_ptrIiEEEENSB_INSC_IdEEEESG_dNS9_4plusIvEENS9_8equal_toIvEEdEE10hipError_tPvRmT2_T3_T4_T5_mT6_T7_P12ihipStream_tbENKUlT_T0_E_clISt17integral_constantIbLb1EES10_IbLb0EEEEDaSW_SX_EUlSW_E_NS1_11comp_targetILNS1_3genE10ELNS1_11target_archE1201ELNS1_3gpuE5ELNS1_3repE0EEENS1_30default_config_static_selectorELNS0_4arch9wavefront6targetE1EEEvT1_ ; -- Begin function _ZN7rocprim17ROCPRIM_400000_NS6detail17trampoline_kernelINS0_14default_configENS1_27scan_by_key_config_selectorIidEEZZNS1_16scan_by_key_implILNS1_25lookback_scan_determinismE0ELb0ES3_N6thrust23THRUST_200600_302600_NS6detail15normal_iteratorINS9_10device_ptrIiEEEENSB_INSC_IdEEEESG_dNS9_4plusIvEENS9_8equal_toIvEEdEE10hipError_tPvRmT2_T3_T4_T5_mT6_T7_P12ihipStream_tbENKUlT_T0_E_clISt17integral_constantIbLb1EES10_IbLb0EEEEDaSW_SX_EUlSW_E_NS1_11comp_targetILNS1_3genE10ELNS1_11target_archE1201ELNS1_3gpuE5ELNS1_3repE0EEENS1_30default_config_static_selectorELNS0_4arch9wavefront6targetE1EEEvT1_
	.globl	_ZN7rocprim17ROCPRIM_400000_NS6detail17trampoline_kernelINS0_14default_configENS1_27scan_by_key_config_selectorIidEEZZNS1_16scan_by_key_implILNS1_25lookback_scan_determinismE0ELb0ES3_N6thrust23THRUST_200600_302600_NS6detail15normal_iteratorINS9_10device_ptrIiEEEENSB_INSC_IdEEEESG_dNS9_4plusIvEENS9_8equal_toIvEEdEE10hipError_tPvRmT2_T3_T4_T5_mT6_T7_P12ihipStream_tbENKUlT_T0_E_clISt17integral_constantIbLb1EES10_IbLb0EEEEDaSW_SX_EUlSW_E_NS1_11comp_targetILNS1_3genE10ELNS1_11target_archE1201ELNS1_3gpuE5ELNS1_3repE0EEENS1_30default_config_static_selectorELNS0_4arch9wavefront6targetE1EEEvT1_
	.p2align	8
	.type	_ZN7rocprim17ROCPRIM_400000_NS6detail17trampoline_kernelINS0_14default_configENS1_27scan_by_key_config_selectorIidEEZZNS1_16scan_by_key_implILNS1_25lookback_scan_determinismE0ELb0ES3_N6thrust23THRUST_200600_302600_NS6detail15normal_iteratorINS9_10device_ptrIiEEEENSB_INSC_IdEEEESG_dNS9_4plusIvEENS9_8equal_toIvEEdEE10hipError_tPvRmT2_T3_T4_T5_mT6_T7_P12ihipStream_tbENKUlT_T0_E_clISt17integral_constantIbLb1EES10_IbLb0EEEEDaSW_SX_EUlSW_E_NS1_11comp_targetILNS1_3genE10ELNS1_11target_archE1201ELNS1_3gpuE5ELNS1_3repE0EEENS1_30default_config_static_selectorELNS0_4arch9wavefront6targetE1EEEvT1_,@function
_ZN7rocprim17ROCPRIM_400000_NS6detail17trampoline_kernelINS0_14default_configENS1_27scan_by_key_config_selectorIidEEZZNS1_16scan_by_key_implILNS1_25lookback_scan_determinismE0ELb0ES3_N6thrust23THRUST_200600_302600_NS6detail15normal_iteratorINS9_10device_ptrIiEEEENSB_INSC_IdEEEESG_dNS9_4plusIvEENS9_8equal_toIvEEdEE10hipError_tPvRmT2_T3_T4_T5_mT6_T7_P12ihipStream_tbENKUlT_T0_E_clISt17integral_constantIbLb1EES10_IbLb0EEEEDaSW_SX_EUlSW_E_NS1_11comp_targetILNS1_3genE10ELNS1_11target_archE1201ELNS1_3gpuE5ELNS1_3repE0EEENS1_30default_config_static_selectorELNS0_4arch9wavefront6targetE1EEEvT1_: ; @_ZN7rocprim17ROCPRIM_400000_NS6detail17trampoline_kernelINS0_14default_configENS1_27scan_by_key_config_selectorIidEEZZNS1_16scan_by_key_implILNS1_25lookback_scan_determinismE0ELb0ES3_N6thrust23THRUST_200600_302600_NS6detail15normal_iteratorINS9_10device_ptrIiEEEENSB_INSC_IdEEEESG_dNS9_4plusIvEENS9_8equal_toIvEEdEE10hipError_tPvRmT2_T3_T4_T5_mT6_T7_P12ihipStream_tbENKUlT_T0_E_clISt17integral_constantIbLb1EES10_IbLb0EEEEDaSW_SX_EUlSW_E_NS1_11comp_targetILNS1_3genE10ELNS1_11target_archE1201ELNS1_3gpuE5ELNS1_3repE0EEENS1_30default_config_static_selectorELNS0_4arch9wavefront6targetE1EEEvT1_
; %bb.0:
	.section	.rodata,"a",@progbits
	.p2align	6, 0x0
	.amdhsa_kernel _ZN7rocprim17ROCPRIM_400000_NS6detail17trampoline_kernelINS0_14default_configENS1_27scan_by_key_config_selectorIidEEZZNS1_16scan_by_key_implILNS1_25lookback_scan_determinismE0ELb0ES3_N6thrust23THRUST_200600_302600_NS6detail15normal_iteratorINS9_10device_ptrIiEEEENSB_INSC_IdEEEESG_dNS9_4plusIvEENS9_8equal_toIvEEdEE10hipError_tPvRmT2_T3_T4_T5_mT6_T7_P12ihipStream_tbENKUlT_T0_E_clISt17integral_constantIbLb1EES10_IbLb0EEEEDaSW_SX_EUlSW_E_NS1_11comp_targetILNS1_3genE10ELNS1_11target_archE1201ELNS1_3gpuE5ELNS1_3repE0EEENS1_30default_config_static_selectorELNS0_4arch9wavefront6targetE1EEEvT1_
		.amdhsa_group_segment_fixed_size 0
		.amdhsa_private_segment_fixed_size 0
		.amdhsa_kernarg_size 136
		.amdhsa_user_sgpr_count 6
		.amdhsa_user_sgpr_private_segment_buffer 1
		.amdhsa_user_sgpr_dispatch_ptr 0
		.amdhsa_user_sgpr_queue_ptr 0
		.amdhsa_user_sgpr_kernarg_segment_ptr 1
		.amdhsa_user_sgpr_dispatch_id 0
		.amdhsa_user_sgpr_flat_scratch_init 0
		.amdhsa_user_sgpr_kernarg_preload_length 0
		.amdhsa_user_sgpr_kernarg_preload_offset 0
		.amdhsa_user_sgpr_private_segment_size 0
		.amdhsa_uses_dynamic_stack 0
		.amdhsa_system_sgpr_private_segment_wavefront_offset 0
		.amdhsa_system_sgpr_workgroup_id_x 1
		.amdhsa_system_sgpr_workgroup_id_y 0
		.amdhsa_system_sgpr_workgroup_id_z 0
		.amdhsa_system_sgpr_workgroup_info 0
		.amdhsa_system_vgpr_workitem_id 0
		.amdhsa_next_free_vgpr 1
		.amdhsa_next_free_sgpr 0
		.amdhsa_accum_offset 4
		.amdhsa_reserve_vcc 0
		.amdhsa_reserve_flat_scratch 0
		.amdhsa_float_round_mode_32 0
		.amdhsa_float_round_mode_16_64 0
		.amdhsa_float_denorm_mode_32 3
		.amdhsa_float_denorm_mode_16_64 3
		.amdhsa_dx10_clamp 1
		.amdhsa_ieee_mode 1
		.amdhsa_fp16_overflow 0
		.amdhsa_tg_split 0
		.amdhsa_exception_fp_ieee_invalid_op 0
		.amdhsa_exception_fp_denorm_src 0
		.amdhsa_exception_fp_ieee_div_zero 0
		.amdhsa_exception_fp_ieee_overflow 0
		.amdhsa_exception_fp_ieee_underflow 0
		.amdhsa_exception_fp_ieee_inexact 0
		.amdhsa_exception_int_div_zero 0
	.end_amdhsa_kernel
	.section	.text._ZN7rocprim17ROCPRIM_400000_NS6detail17trampoline_kernelINS0_14default_configENS1_27scan_by_key_config_selectorIidEEZZNS1_16scan_by_key_implILNS1_25lookback_scan_determinismE0ELb0ES3_N6thrust23THRUST_200600_302600_NS6detail15normal_iteratorINS9_10device_ptrIiEEEENSB_INSC_IdEEEESG_dNS9_4plusIvEENS9_8equal_toIvEEdEE10hipError_tPvRmT2_T3_T4_T5_mT6_T7_P12ihipStream_tbENKUlT_T0_E_clISt17integral_constantIbLb1EES10_IbLb0EEEEDaSW_SX_EUlSW_E_NS1_11comp_targetILNS1_3genE10ELNS1_11target_archE1201ELNS1_3gpuE5ELNS1_3repE0EEENS1_30default_config_static_selectorELNS0_4arch9wavefront6targetE1EEEvT1_,"axG",@progbits,_ZN7rocprim17ROCPRIM_400000_NS6detail17trampoline_kernelINS0_14default_configENS1_27scan_by_key_config_selectorIidEEZZNS1_16scan_by_key_implILNS1_25lookback_scan_determinismE0ELb0ES3_N6thrust23THRUST_200600_302600_NS6detail15normal_iteratorINS9_10device_ptrIiEEEENSB_INSC_IdEEEESG_dNS9_4plusIvEENS9_8equal_toIvEEdEE10hipError_tPvRmT2_T3_T4_T5_mT6_T7_P12ihipStream_tbENKUlT_T0_E_clISt17integral_constantIbLb1EES10_IbLb0EEEEDaSW_SX_EUlSW_E_NS1_11comp_targetILNS1_3genE10ELNS1_11target_archE1201ELNS1_3gpuE5ELNS1_3repE0EEENS1_30default_config_static_selectorELNS0_4arch9wavefront6targetE1EEEvT1_,comdat
.Lfunc_end1108:
	.size	_ZN7rocprim17ROCPRIM_400000_NS6detail17trampoline_kernelINS0_14default_configENS1_27scan_by_key_config_selectorIidEEZZNS1_16scan_by_key_implILNS1_25lookback_scan_determinismE0ELb0ES3_N6thrust23THRUST_200600_302600_NS6detail15normal_iteratorINS9_10device_ptrIiEEEENSB_INSC_IdEEEESG_dNS9_4plusIvEENS9_8equal_toIvEEdEE10hipError_tPvRmT2_T3_T4_T5_mT6_T7_P12ihipStream_tbENKUlT_T0_E_clISt17integral_constantIbLb1EES10_IbLb0EEEEDaSW_SX_EUlSW_E_NS1_11comp_targetILNS1_3genE10ELNS1_11target_archE1201ELNS1_3gpuE5ELNS1_3repE0EEENS1_30default_config_static_selectorELNS0_4arch9wavefront6targetE1EEEvT1_, .Lfunc_end1108-_ZN7rocprim17ROCPRIM_400000_NS6detail17trampoline_kernelINS0_14default_configENS1_27scan_by_key_config_selectorIidEEZZNS1_16scan_by_key_implILNS1_25lookback_scan_determinismE0ELb0ES3_N6thrust23THRUST_200600_302600_NS6detail15normal_iteratorINS9_10device_ptrIiEEEENSB_INSC_IdEEEESG_dNS9_4plusIvEENS9_8equal_toIvEEdEE10hipError_tPvRmT2_T3_T4_T5_mT6_T7_P12ihipStream_tbENKUlT_T0_E_clISt17integral_constantIbLb1EES10_IbLb0EEEEDaSW_SX_EUlSW_E_NS1_11comp_targetILNS1_3genE10ELNS1_11target_archE1201ELNS1_3gpuE5ELNS1_3repE0EEENS1_30default_config_static_selectorELNS0_4arch9wavefront6targetE1EEEvT1_
                                        ; -- End function
	.section	.AMDGPU.csdata,"",@progbits
; Kernel info:
; codeLenInByte = 0
; NumSgprs: 4
; NumVgprs: 0
; NumAgprs: 0
; TotalNumVgprs: 0
; ScratchSize: 0
; MemoryBound: 0
; FloatMode: 240
; IeeeMode: 1
; LDSByteSize: 0 bytes/workgroup (compile time only)
; SGPRBlocks: 0
; VGPRBlocks: 0
; NumSGPRsForWavesPerEU: 4
; NumVGPRsForWavesPerEU: 1
; AccumOffset: 4
; Occupancy: 8
; WaveLimiterHint : 0
; COMPUTE_PGM_RSRC2:SCRATCH_EN: 0
; COMPUTE_PGM_RSRC2:USER_SGPR: 6
; COMPUTE_PGM_RSRC2:TRAP_HANDLER: 0
; COMPUTE_PGM_RSRC2:TGID_X_EN: 1
; COMPUTE_PGM_RSRC2:TGID_Y_EN: 0
; COMPUTE_PGM_RSRC2:TGID_Z_EN: 0
; COMPUTE_PGM_RSRC2:TIDIG_COMP_CNT: 0
; COMPUTE_PGM_RSRC3_GFX90A:ACCUM_OFFSET: 0
; COMPUTE_PGM_RSRC3_GFX90A:TG_SPLIT: 0
	.section	.text._ZN7rocprim17ROCPRIM_400000_NS6detail17trampoline_kernelINS0_14default_configENS1_27scan_by_key_config_selectorIidEEZZNS1_16scan_by_key_implILNS1_25lookback_scan_determinismE0ELb0ES3_N6thrust23THRUST_200600_302600_NS6detail15normal_iteratorINS9_10device_ptrIiEEEENSB_INSC_IdEEEESG_dNS9_4plusIvEENS9_8equal_toIvEEdEE10hipError_tPvRmT2_T3_T4_T5_mT6_T7_P12ihipStream_tbENKUlT_T0_E_clISt17integral_constantIbLb1EES10_IbLb0EEEEDaSW_SX_EUlSW_E_NS1_11comp_targetILNS1_3genE5ELNS1_11target_archE942ELNS1_3gpuE9ELNS1_3repE0EEENS1_30default_config_static_selectorELNS0_4arch9wavefront6targetE1EEEvT1_,"axG",@progbits,_ZN7rocprim17ROCPRIM_400000_NS6detail17trampoline_kernelINS0_14default_configENS1_27scan_by_key_config_selectorIidEEZZNS1_16scan_by_key_implILNS1_25lookback_scan_determinismE0ELb0ES3_N6thrust23THRUST_200600_302600_NS6detail15normal_iteratorINS9_10device_ptrIiEEEENSB_INSC_IdEEEESG_dNS9_4plusIvEENS9_8equal_toIvEEdEE10hipError_tPvRmT2_T3_T4_T5_mT6_T7_P12ihipStream_tbENKUlT_T0_E_clISt17integral_constantIbLb1EES10_IbLb0EEEEDaSW_SX_EUlSW_E_NS1_11comp_targetILNS1_3genE5ELNS1_11target_archE942ELNS1_3gpuE9ELNS1_3repE0EEENS1_30default_config_static_selectorELNS0_4arch9wavefront6targetE1EEEvT1_,comdat
	.protected	_ZN7rocprim17ROCPRIM_400000_NS6detail17trampoline_kernelINS0_14default_configENS1_27scan_by_key_config_selectorIidEEZZNS1_16scan_by_key_implILNS1_25lookback_scan_determinismE0ELb0ES3_N6thrust23THRUST_200600_302600_NS6detail15normal_iteratorINS9_10device_ptrIiEEEENSB_INSC_IdEEEESG_dNS9_4plusIvEENS9_8equal_toIvEEdEE10hipError_tPvRmT2_T3_T4_T5_mT6_T7_P12ihipStream_tbENKUlT_T0_E_clISt17integral_constantIbLb1EES10_IbLb0EEEEDaSW_SX_EUlSW_E_NS1_11comp_targetILNS1_3genE5ELNS1_11target_archE942ELNS1_3gpuE9ELNS1_3repE0EEENS1_30default_config_static_selectorELNS0_4arch9wavefront6targetE1EEEvT1_ ; -- Begin function _ZN7rocprim17ROCPRIM_400000_NS6detail17trampoline_kernelINS0_14default_configENS1_27scan_by_key_config_selectorIidEEZZNS1_16scan_by_key_implILNS1_25lookback_scan_determinismE0ELb0ES3_N6thrust23THRUST_200600_302600_NS6detail15normal_iteratorINS9_10device_ptrIiEEEENSB_INSC_IdEEEESG_dNS9_4plusIvEENS9_8equal_toIvEEdEE10hipError_tPvRmT2_T3_T4_T5_mT6_T7_P12ihipStream_tbENKUlT_T0_E_clISt17integral_constantIbLb1EES10_IbLb0EEEEDaSW_SX_EUlSW_E_NS1_11comp_targetILNS1_3genE5ELNS1_11target_archE942ELNS1_3gpuE9ELNS1_3repE0EEENS1_30default_config_static_selectorELNS0_4arch9wavefront6targetE1EEEvT1_
	.globl	_ZN7rocprim17ROCPRIM_400000_NS6detail17trampoline_kernelINS0_14default_configENS1_27scan_by_key_config_selectorIidEEZZNS1_16scan_by_key_implILNS1_25lookback_scan_determinismE0ELb0ES3_N6thrust23THRUST_200600_302600_NS6detail15normal_iteratorINS9_10device_ptrIiEEEENSB_INSC_IdEEEESG_dNS9_4plusIvEENS9_8equal_toIvEEdEE10hipError_tPvRmT2_T3_T4_T5_mT6_T7_P12ihipStream_tbENKUlT_T0_E_clISt17integral_constantIbLb1EES10_IbLb0EEEEDaSW_SX_EUlSW_E_NS1_11comp_targetILNS1_3genE5ELNS1_11target_archE942ELNS1_3gpuE9ELNS1_3repE0EEENS1_30default_config_static_selectorELNS0_4arch9wavefront6targetE1EEEvT1_
	.p2align	8
	.type	_ZN7rocprim17ROCPRIM_400000_NS6detail17trampoline_kernelINS0_14default_configENS1_27scan_by_key_config_selectorIidEEZZNS1_16scan_by_key_implILNS1_25lookback_scan_determinismE0ELb0ES3_N6thrust23THRUST_200600_302600_NS6detail15normal_iteratorINS9_10device_ptrIiEEEENSB_INSC_IdEEEESG_dNS9_4plusIvEENS9_8equal_toIvEEdEE10hipError_tPvRmT2_T3_T4_T5_mT6_T7_P12ihipStream_tbENKUlT_T0_E_clISt17integral_constantIbLb1EES10_IbLb0EEEEDaSW_SX_EUlSW_E_NS1_11comp_targetILNS1_3genE5ELNS1_11target_archE942ELNS1_3gpuE9ELNS1_3repE0EEENS1_30default_config_static_selectorELNS0_4arch9wavefront6targetE1EEEvT1_,@function
_ZN7rocprim17ROCPRIM_400000_NS6detail17trampoline_kernelINS0_14default_configENS1_27scan_by_key_config_selectorIidEEZZNS1_16scan_by_key_implILNS1_25lookback_scan_determinismE0ELb0ES3_N6thrust23THRUST_200600_302600_NS6detail15normal_iteratorINS9_10device_ptrIiEEEENSB_INSC_IdEEEESG_dNS9_4plusIvEENS9_8equal_toIvEEdEE10hipError_tPvRmT2_T3_T4_T5_mT6_T7_P12ihipStream_tbENKUlT_T0_E_clISt17integral_constantIbLb1EES10_IbLb0EEEEDaSW_SX_EUlSW_E_NS1_11comp_targetILNS1_3genE5ELNS1_11target_archE942ELNS1_3gpuE9ELNS1_3repE0EEENS1_30default_config_static_selectorELNS0_4arch9wavefront6targetE1EEEvT1_: ; @_ZN7rocprim17ROCPRIM_400000_NS6detail17trampoline_kernelINS0_14default_configENS1_27scan_by_key_config_selectorIidEEZZNS1_16scan_by_key_implILNS1_25lookback_scan_determinismE0ELb0ES3_N6thrust23THRUST_200600_302600_NS6detail15normal_iteratorINS9_10device_ptrIiEEEENSB_INSC_IdEEEESG_dNS9_4plusIvEENS9_8equal_toIvEEdEE10hipError_tPvRmT2_T3_T4_T5_mT6_T7_P12ihipStream_tbENKUlT_T0_E_clISt17integral_constantIbLb1EES10_IbLb0EEEEDaSW_SX_EUlSW_E_NS1_11comp_targetILNS1_3genE5ELNS1_11target_archE942ELNS1_3gpuE9ELNS1_3repE0EEENS1_30default_config_static_selectorELNS0_4arch9wavefront6targetE1EEEvT1_
; %bb.0:
	.section	.rodata,"a",@progbits
	.p2align	6, 0x0
	.amdhsa_kernel _ZN7rocprim17ROCPRIM_400000_NS6detail17trampoline_kernelINS0_14default_configENS1_27scan_by_key_config_selectorIidEEZZNS1_16scan_by_key_implILNS1_25lookback_scan_determinismE0ELb0ES3_N6thrust23THRUST_200600_302600_NS6detail15normal_iteratorINS9_10device_ptrIiEEEENSB_INSC_IdEEEESG_dNS9_4plusIvEENS9_8equal_toIvEEdEE10hipError_tPvRmT2_T3_T4_T5_mT6_T7_P12ihipStream_tbENKUlT_T0_E_clISt17integral_constantIbLb1EES10_IbLb0EEEEDaSW_SX_EUlSW_E_NS1_11comp_targetILNS1_3genE5ELNS1_11target_archE942ELNS1_3gpuE9ELNS1_3repE0EEENS1_30default_config_static_selectorELNS0_4arch9wavefront6targetE1EEEvT1_
		.amdhsa_group_segment_fixed_size 0
		.amdhsa_private_segment_fixed_size 0
		.amdhsa_kernarg_size 136
		.amdhsa_user_sgpr_count 6
		.amdhsa_user_sgpr_private_segment_buffer 1
		.amdhsa_user_sgpr_dispatch_ptr 0
		.amdhsa_user_sgpr_queue_ptr 0
		.amdhsa_user_sgpr_kernarg_segment_ptr 1
		.amdhsa_user_sgpr_dispatch_id 0
		.amdhsa_user_sgpr_flat_scratch_init 0
		.amdhsa_user_sgpr_kernarg_preload_length 0
		.amdhsa_user_sgpr_kernarg_preload_offset 0
		.amdhsa_user_sgpr_private_segment_size 0
		.amdhsa_uses_dynamic_stack 0
		.amdhsa_system_sgpr_private_segment_wavefront_offset 0
		.amdhsa_system_sgpr_workgroup_id_x 1
		.amdhsa_system_sgpr_workgroup_id_y 0
		.amdhsa_system_sgpr_workgroup_id_z 0
		.amdhsa_system_sgpr_workgroup_info 0
		.amdhsa_system_vgpr_workitem_id 0
		.amdhsa_next_free_vgpr 1
		.amdhsa_next_free_sgpr 0
		.amdhsa_accum_offset 4
		.amdhsa_reserve_vcc 0
		.amdhsa_reserve_flat_scratch 0
		.amdhsa_float_round_mode_32 0
		.amdhsa_float_round_mode_16_64 0
		.amdhsa_float_denorm_mode_32 3
		.amdhsa_float_denorm_mode_16_64 3
		.amdhsa_dx10_clamp 1
		.amdhsa_ieee_mode 1
		.amdhsa_fp16_overflow 0
		.amdhsa_tg_split 0
		.amdhsa_exception_fp_ieee_invalid_op 0
		.amdhsa_exception_fp_denorm_src 0
		.amdhsa_exception_fp_ieee_div_zero 0
		.amdhsa_exception_fp_ieee_overflow 0
		.amdhsa_exception_fp_ieee_underflow 0
		.amdhsa_exception_fp_ieee_inexact 0
		.amdhsa_exception_int_div_zero 0
	.end_amdhsa_kernel
	.section	.text._ZN7rocprim17ROCPRIM_400000_NS6detail17trampoline_kernelINS0_14default_configENS1_27scan_by_key_config_selectorIidEEZZNS1_16scan_by_key_implILNS1_25lookback_scan_determinismE0ELb0ES3_N6thrust23THRUST_200600_302600_NS6detail15normal_iteratorINS9_10device_ptrIiEEEENSB_INSC_IdEEEESG_dNS9_4plusIvEENS9_8equal_toIvEEdEE10hipError_tPvRmT2_T3_T4_T5_mT6_T7_P12ihipStream_tbENKUlT_T0_E_clISt17integral_constantIbLb1EES10_IbLb0EEEEDaSW_SX_EUlSW_E_NS1_11comp_targetILNS1_3genE5ELNS1_11target_archE942ELNS1_3gpuE9ELNS1_3repE0EEENS1_30default_config_static_selectorELNS0_4arch9wavefront6targetE1EEEvT1_,"axG",@progbits,_ZN7rocprim17ROCPRIM_400000_NS6detail17trampoline_kernelINS0_14default_configENS1_27scan_by_key_config_selectorIidEEZZNS1_16scan_by_key_implILNS1_25lookback_scan_determinismE0ELb0ES3_N6thrust23THRUST_200600_302600_NS6detail15normal_iteratorINS9_10device_ptrIiEEEENSB_INSC_IdEEEESG_dNS9_4plusIvEENS9_8equal_toIvEEdEE10hipError_tPvRmT2_T3_T4_T5_mT6_T7_P12ihipStream_tbENKUlT_T0_E_clISt17integral_constantIbLb1EES10_IbLb0EEEEDaSW_SX_EUlSW_E_NS1_11comp_targetILNS1_3genE5ELNS1_11target_archE942ELNS1_3gpuE9ELNS1_3repE0EEENS1_30default_config_static_selectorELNS0_4arch9wavefront6targetE1EEEvT1_,comdat
.Lfunc_end1109:
	.size	_ZN7rocprim17ROCPRIM_400000_NS6detail17trampoline_kernelINS0_14default_configENS1_27scan_by_key_config_selectorIidEEZZNS1_16scan_by_key_implILNS1_25lookback_scan_determinismE0ELb0ES3_N6thrust23THRUST_200600_302600_NS6detail15normal_iteratorINS9_10device_ptrIiEEEENSB_INSC_IdEEEESG_dNS9_4plusIvEENS9_8equal_toIvEEdEE10hipError_tPvRmT2_T3_T4_T5_mT6_T7_P12ihipStream_tbENKUlT_T0_E_clISt17integral_constantIbLb1EES10_IbLb0EEEEDaSW_SX_EUlSW_E_NS1_11comp_targetILNS1_3genE5ELNS1_11target_archE942ELNS1_3gpuE9ELNS1_3repE0EEENS1_30default_config_static_selectorELNS0_4arch9wavefront6targetE1EEEvT1_, .Lfunc_end1109-_ZN7rocprim17ROCPRIM_400000_NS6detail17trampoline_kernelINS0_14default_configENS1_27scan_by_key_config_selectorIidEEZZNS1_16scan_by_key_implILNS1_25lookback_scan_determinismE0ELb0ES3_N6thrust23THRUST_200600_302600_NS6detail15normal_iteratorINS9_10device_ptrIiEEEENSB_INSC_IdEEEESG_dNS9_4plusIvEENS9_8equal_toIvEEdEE10hipError_tPvRmT2_T3_T4_T5_mT6_T7_P12ihipStream_tbENKUlT_T0_E_clISt17integral_constantIbLb1EES10_IbLb0EEEEDaSW_SX_EUlSW_E_NS1_11comp_targetILNS1_3genE5ELNS1_11target_archE942ELNS1_3gpuE9ELNS1_3repE0EEENS1_30default_config_static_selectorELNS0_4arch9wavefront6targetE1EEEvT1_
                                        ; -- End function
	.section	.AMDGPU.csdata,"",@progbits
; Kernel info:
; codeLenInByte = 0
; NumSgprs: 4
; NumVgprs: 0
; NumAgprs: 0
; TotalNumVgprs: 0
; ScratchSize: 0
; MemoryBound: 0
; FloatMode: 240
; IeeeMode: 1
; LDSByteSize: 0 bytes/workgroup (compile time only)
; SGPRBlocks: 0
; VGPRBlocks: 0
; NumSGPRsForWavesPerEU: 4
; NumVGPRsForWavesPerEU: 1
; AccumOffset: 4
; Occupancy: 8
; WaveLimiterHint : 0
; COMPUTE_PGM_RSRC2:SCRATCH_EN: 0
; COMPUTE_PGM_RSRC2:USER_SGPR: 6
; COMPUTE_PGM_RSRC2:TRAP_HANDLER: 0
; COMPUTE_PGM_RSRC2:TGID_X_EN: 1
; COMPUTE_PGM_RSRC2:TGID_Y_EN: 0
; COMPUTE_PGM_RSRC2:TGID_Z_EN: 0
; COMPUTE_PGM_RSRC2:TIDIG_COMP_CNT: 0
; COMPUTE_PGM_RSRC3_GFX90A:ACCUM_OFFSET: 0
; COMPUTE_PGM_RSRC3_GFX90A:TG_SPLIT: 0
	.section	.text._ZN7rocprim17ROCPRIM_400000_NS6detail17trampoline_kernelINS0_14default_configENS1_27scan_by_key_config_selectorIidEEZZNS1_16scan_by_key_implILNS1_25lookback_scan_determinismE0ELb0ES3_N6thrust23THRUST_200600_302600_NS6detail15normal_iteratorINS9_10device_ptrIiEEEENSB_INSC_IdEEEESG_dNS9_4plusIvEENS9_8equal_toIvEEdEE10hipError_tPvRmT2_T3_T4_T5_mT6_T7_P12ihipStream_tbENKUlT_T0_E_clISt17integral_constantIbLb1EES10_IbLb0EEEEDaSW_SX_EUlSW_E_NS1_11comp_targetILNS1_3genE4ELNS1_11target_archE910ELNS1_3gpuE8ELNS1_3repE0EEENS1_30default_config_static_selectorELNS0_4arch9wavefront6targetE1EEEvT1_,"axG",@progbits,_ZN7rocprim17ROCPRIM_400000_NS6detail17trampoline_kernelINS0_14default_configENS1_27scan_by_key_config_selectorIidEEZZNS1_16scan_by_key_implILNS1_25lookback_scan_determinismE0ELb0ES3_N6thrust23THRUST_200600_302600_NS6detail15normal_iteratorINS9_10device_ptrIiEEEENSB_INSC_IdEEEESG_dNS9_4plusIvEENS9_8equal_toIvEEdEE10hipError_tPvRmT2_T3_T4_T5_mT6_T7_P12ihipStream_tbENKUlT_T0_E_clISt17integral_constantIbLb1EES10_IbLb0EEEEDaSW_SX_EUlSW_E_NS1_11comp_targetILNS1_3genE4ELNS1_11target_archE910ELNS1_3gpuE8ELNS1_3repE0EEENS1_30default_config_static_selectorELNS0_4arch9wavefront6targetE1EEEvT1_,comdat
	.protected	_ZN7rocprim17ROCPRIM_400000_NS6detail17trampoline_kernelINS0_14default_configENS1_27scan_by_key_config_selectorIidEEZZNS1_16scan_by_key_implILNS1_25lookback_scan_determinismE0ELb0ES3_N6thrust23THRUST_200600_302600_NS6detail15normal_iteratorINS9_10device_ptrIiEEEENSB_INSC_IdEEEESG_dNS9_4plusIvEENS9_8equal_toIvEEdEE10hipError_tPvRmT2_T3_T4_T5_mT6_T7_P12ihipStream_tbENKUlT_T0_E_clISt17integral_constantIbLb1EES10_IbLb0EEEEDaSW_SX_EUlSW_E_NS1_11comp_targetILNS1_3genE4ELNS1_11target_archE910ELNS1_3gpuE8ELNS1_3repE0EEENS1_30default_config_static_selectorELNS0_4arch9wavefront6targetE1EEEvT1_ ; -- Begin function _ZN7rocprim17ROCPRIM_400000_NS6detail17trampoline_kernelINS0_14default_configENS1_27scan_by_key_config_selectorIidEEZZNS1_16scan_by_key_implILNS1_25lookback_scan_determinismE0ELb0ES3_N6thrust23THRUST_200600_302600_NS6detail15normal_iteratorINS9_10device_ptrIiEEEENSB_INSC_IdEEEESG_dNS9_4plusIvEENS9_8equal_toIvEEdEE10hipError_tPvRmT2_T3_T4_T5_mT6_T7_P12ihipStream_tbENKUlT_T0_E_clISt17integral_constantIbLb1EES10_IbLb0EEEEDaSW_SX_EUlSW_E_NS1_11comp_targetILNS1_3genE4ELNS1_11target_archE910ELNS1_3gpuE8ELNS1_3repE0EEENS1_30default_config_static_selectorELNS0_4arch9wavefront6targetE1EEEvT1_
	.globl	_ZN7rocprim17ROCPRIM_400000_NS6detail17trampoline_kernelINS0_14default_configENS1_27scan_by_key_config_selectorIidEEZZNS1_16scan_by_key_implILNS1_25lookback_scan_determinismE0ELb0ES3_N6thrust23THRUST_200600_302600_NS6detail15normal_iteratorINS9_10device_ptrIiEEEENSB_INSC_IdEEEESG_dNS9_4plusIvEENS9_8equal_toIvEEdEE10hipError_tPvRmT2_T3_T4_T5_mT6_T7_P12ihipStream_tbENKUlT_T0_E_clISt17integral_constantIbLb1EES10_IbLb0EEEEDaSW_SX_EUlSW_E_NS1_11comp_targetILNS1_3genE4ELNS1_11target_archE910ELNS1_3gpuE8ELNS1_3repE0EEENS1_30default_config_static_selectorELNS0_4arch9wavefront6targetE1EEEvT1_
	.p2align	8
	.type	_ZN7rocprim17ROCPRIM_400000_NS6detail17trampoline_kernelINS0_14default_configENS1_27scan_by_key_config_selectorIidEEZZNS1_16scan_by_key_implILNS1_25lookback_scan_determinismE0ELb0ES3_N6thrust23THRUST_200600_302600_NS6detail15normal_iteratorINS9_10device_ptrIiEEEENSB_INSC_IdEEEESG_dNS9_4plusIvEENS9_8equal_toIvEEdEE10hipError_tPvRmT2_T3_T4_T5_mT6_T7_P12ihipStream_tbENKUlT_T0_E_clISt17integral_constantIbLb1EES10_IbLb0EEEEDaSW_SX_EUlSW_E_NS1_11comp_targetILNS1_3genE4ELNS1_11target_archE910ELNS1_3gpuE8ELNS1_3repE0EEENS1_30default_config_static_selectorELNS0_4arch9wavefront6targetE1EEEvT1_,@function
_ZN7rocprim17ROCPRIM_400000_NS6detail17trampoline_kernelINS0_14default_configENS1_27scan_by_key_config_selectorIidEEZZNS1_16scan_by_key_implILNS1_25lookback_scan_determinismE0ELb0ES3_N6thrust23THRUST_200600_302600_NS6detail15normal_iteratorINS9_10device_ptrIiEEEENSB_INSC_IdEEEESG_dNS9_4plusIvEENS9_8equal_toIvEEdEE10hipError_tPvRmT2_T3_T4_T5_mT6_T7_P12ihipStream_tbENKUlT_T0_E_clISt17integral_constantIbLb1EES10_IbLb0EEEEDaSW_SX_EUlSW_E_NS1_11comp_targetILNS1_3genE4ELNS1_11target_archE910ELNS1_3gpuE8ELNS1_3repE0EEENS1_30default_config_static_selectorELNS0_4arch9wavefront6targetE1EEEvT1_: ; @_ZN7rocprim17ROCPRIM_400000_NS6detail17trampoline_kernelINS0_14default_configENS1_27scan_by_key_config_selectorIidEEZZNS1_16scan_by_key_implILNS1_25lookback_scan_determinismE0ELb0ES3_N6thrust23THRUST_200600_302600_NS6detail15normal_iteratorINS9_10device_ptrIiEEEENSB_INSC_IdEEEESG_dNS9_4plusIvEENS9_8equal_toIvEEdEE10hipError_tPvRmT2_T3_T4_T5_mT6_T7_P12ihipStream_tbENKUlT_T0_E_clISt17integral_constantIbLb1EES10_IbLb0EEEEDaSW_SX_EUlSW_E_NS1_11comp_targetILNS1_3genE4ELNS1_11target_archE910ELNS1_3gpuE8ELNS1_3repE0EEENS1_30default_config_static_selectorELNS0_4arch9wavefront6targetE1EEEvT1_
; %bb.0:
	s_load_dwordx8 s[52:59], s[4:5], 0x0
	s_load_dwordx8 s[84:91], s[4:5], 0x30
	s_load_dwordx2 s[12:13], s[4:5], 0x50
	s_load_dword s2, s[4:5], 0x58
	s_load_dwordx8 s[16:23], s[4:5], 0x60
	s_waitcnt lgkmcnt(0)
	s_lshl_b64 s[0:1], s[54:55], 2
	s_add_u32 s7, s52, s0
	s_addc_u32 s8, s53, s1
	s_lshl_b64 s[94:95], s[54:55], 3
	s_add_u32 s9, s56, s94
	s_mul_i32 s0, s13, s2
	s_mul_hi_u32 s1, s12, s2
	s_addc_u32 s10, s57, s95
	s_add_i32 s11, s1, s0
                                        ; implicit-def: $vgpr135 : SGPR spill to VGPR lane
	s_cmp_lg_u64 s[20:21], 0
	v_writelane_b32 v135, s12, 0
	s_mul_i32 s0, s6, 0x540
	s_mov_b32 s1, 0
	v_writelane_b32 v135, s13, 1
	s_mul_i32 s12, s12, s2
	s_cselect_b64 s[50:51], -1, 0
	s_lshl_b64 s[2:3], s[0:1], 2
	s_add_u32 s48, s7, s2
	s_addc_u32 s49, s8, s3
	s_lshl_b64 s[92:93], s[0:1], 3
	s_add_u32 s7, s9, s92
	s_addc_u32 s62, s10, s93
	s_add_u32 s52, s12, s6
	s_addc_u32 s53, s11, 0
	s_mov_b64 s[14:15], s[18:19]
	s_mov_b64 s[18:19], s[22:23]
	s_add_u32 s2, s16, -1
	v_writelane_b32 v135, s12, 2
	v_writelane_b32 v135, s13, 3
	;; [unrolled: 1-line block ×4, first 2 shown]
	s_addc_u32 s3, s17, -1
	v_writelane_b32 v135, s16, 6
	v_pk_mov_b32 v[2:3], s[2:3], s[2:3] op_sel:[0,1]
	v_writelane_b32 v135, s17, 7
	v_cmp_ge_u64_e64 s[0:1], s[52:53], v[2:3]
	s_mov_b64 s[4:5], 0
	s_mov_b64 s[10:11], -1
	v_writelane_b32 v135, s18, 8
	s_and_b64 vcc, exec, s[0:1]
	s_mul_i32 s33, s2, 0xfffffac0
	s_waitcnt lgkmcnt(0)
	; wave barrier
	v_writelane_b32 v135, s19, 9
	s_cbranch_vccz .LBB1110_112
; %bb.1:
	v_pk_mov_b32 v[2:3], s[48:49], s[48:49] op_sel:[0,1]
	flat_load_dword v2, v[2:3]
	s_add_i32 s64, s33, s90
	v_cmp_gt_u32_e64 s[2:3], s64, v0
	s_waitcnt vmcnt(0) lgkmcnt(0)
	v_mov_b32_e32 v3, v2
	s_and_saveexec_b64 s[4:5], s[2:3]
	s_cbranch_execz .LBB1110_3
; %bb.2:
	v_lshlrev_b32_e32 v1, 2, v0
	v_mov_b32_e32 v3, s49
	v_add_co_u32_e32 v4, vcc, s48, v1
	v_addc_co_u32_e32 v5, vcc, 0, v3, vcc
	flat_load_dword v3, v[4:5]
.LBB1110_3:
	s_or_b64 exec, exec, s[4:5]
	v_or_b32_e32 v1, 64, v0
	v_cmp_gt_u32_e64 s[4:5], s64, v1
	v_mov_b32_e32 v4, v2
	s_and_saveexec_b64 s[8:9], s[4:5]
	s_cbranch_execz .LBB1110_5
; %bb.4:
	v_lshlrev_b32_e32 v1, 2, v0
	v_mov_b32_e32 v5, s49
	v_add_co_u32_e32 v4, vcc, s48, v1
	v_addc_co_u32_e32 v5, vcc, 0, v5, vcc
	flat_load_dword v4, v[4:5] offset:256
.LBB1110_5:
	s_or_b64 exec, exec, s[8:9]
	v_or_b32_e32 v1, 0x80, v0
	v_cmp_gt_u32_e64 s[46:47], s64, v1
	v_mov_b32_e32 v5, v2
	s_and_saveexec_b64 s[8:9], s[46:47]
	s_cbranch_execz .LBB1110_7
; %bb.6:
	v_lshlrev_b32_e32 v1, 2, v0
	v_mov_b32_e32 v5, s49
	v_add_co_u32_e32 v6, vcc, s48, v1
	v_addc_co_u32_e32 v7, vcc, 0, v5, vcc
	flat_load_dword v5, v[6:7] offset:512
.LBB1110_7:
	;; [unrolled: 13-line block ×15, first 2 shown]
	s_or_b64 exec, exec, s[36:37]
	v_or_b32_e32 v56, 0x400, v0
	v_cmp_gt_u32_e64 s[36:37], s64, v56
	v_mov_b32_e32 v19, v2
	s_and_saveexec_b64 s[38:39], s[36:37]
	s_cbranch_execz .LBB1110_35
; %bb.34:
	v_lshlrev_b32_e32 v19, 2, v56
	v_mov_b32_e32 v21, s49
	v_add_co_u32_e32 v20, vcc, s48, v19
	v_addc_co_u32_e32 v21, vcc, 0, v21, vcc
	flat_load_dword v19, v[20:21]
.LBB1110_35:
	s_or_b64 exec, exec, s[38:39]
	v_or_b32_e32 v58, 0x440, v0
	v_cmp_gt_u32_e64 s[38:39], s64, v58
	v_mov_b32_e32 v20, v2
	s_and_saveexec_b64 s[40:41], s[38:39]
	s_cbranch_execz .LBB1110_37
; %bb.36:
	v_lshlrev_b32_e32 v20, 2, v58
	v_mov_b32_e32 v21, s49
	v_add_co_u32_e32 v20, vcc, s48, v20
	v_addc_co_u32_e32 v21, vcc, 0, v21, vcc
	flat_load_dword v20, v[20:21]
.LBB1110_37:
	;; [unrolled: 13-line block ×4, first 2 shown]
	s_or_b64 exec, exec, s[44:45]
	v_or_b32_e32 v65, 0x500, v0
	v_cmp_gt_u32_e64 s[44:45], s64, v65
	s_and_saveexec_b64 s[54:55], s[44:45]
	s_cbranch_execz .LBB1110_43
; %bb.42:
	v_lshlrev_b32_e32 v2, 2, v65
	v_mov_b32_e32 v23, s49
	v_add_co_u32_e32 v24, vcc, s48, v2
	v_addc_co_u32_e32 v25, vcc, 0, v23, vcc
	flat_load_dword v2, v[24:25]
.LBB1110_43:
	s_or_b64 exec, exec, s[54:55]
	v_lshlrev_b32_e32 v23, 2, v0
	s_movk_i32 s54, 0x50
	s_waitcnt vmcnt(0) lgkmcnt(0)
	ds_write2st64_b32 v23, v3, v4 offset1:1
	ds_write2st64_b32 v23, v5, v6 offset0:2 offset1:3
	ds_write2st64_b32 v23, v7, v8 offset0:4 offset1:5
	;; [unrolled: 1-line block ×9, first 2 shown]
	ds_write_b32 v23, v2 offset:5120
	v_mad_u32_u24 v2, v0, s54, v23
	s_waitcnt lgkmcnt(0)
	; wave barrier
	s_waitcnt lgkmcnt(0)
	ds_read2_b32 v[40:41], v2 offset0:7 offset1:8
	ds_read2_b32 v[44:45], v2 offset0:5 offset1:6
	;; [unrolled: 1-line block ×3, first 2 shown]
	ds_read2_b32 v[36:37], v2 offset1:1
	ds_read2_b32 v[32:33], v2 offset0:4 offset1:9
	ds_read2_b32 v[8:9], v2 offset0:15 offset1:16
	ds_read_b32 v64, v2 offset:56
	ds_read2_b32 v[16:17], v2 offset0:12 offset1:13
	ds_read2_b32 v[24:25], v2 offset0:10 offset1:11
	;; [unrolled: 1-line block ×4, first 2 shown]
	s_cmp_eq_u64 s[52:53], 0
	s_mov_b64 s[54:55], s[48:49]
	s_cbranch_scc1 .LBB1110_47
; %bb.44:
	s_andn2_b64 vcc, exec, s[50:51]
	s_cbranch_vccnz .LBB1110_275
; %bb.45:
	v_readlane_b32 s72, v135, 2
	v_readlane_b32 s78, v135, 8
	;; [unrolled: 1-line block ×3, first 2 shown]
	s_lshl_b64 s[54:55], s[52:53], 2
	s_mov_b64 s[70:71], s[78:79]
	s_add_u32 s54, s70, s54
	s_addc_u32 s55, s71, s55
	s_add_u32 s54, s54, -4
	s_addc_u32 s55, s55, -1
	v_readlane_b32 s73, v135, 3
	v_readlane_b32 s74, v135, 4
	;; [unrolled: 1-line block ×5, first 2 shown]
	s_cbranch_execnz .LBB1110_47
.LBB1110_46:
	s_add_u32 s54, s48, -4
	s_addc_u32 s55, s49, -1
.LBB1110_47:
	v_pk_mov_b32 v[6:7], s[54:55], s[54:55] op_sel:[0,1]
	flat_load_dword v68, v[6:7]
	s_movk_i32 s54, 0xffb0
	v_mad_i32_i24 v66, v0, s54, v2
	v_cmp_ne_u32_e32 vcc, 0, v0
	s_waitcnt lgkmcnt(0)
	ds_write_b32 v66, v5 offset:5376
	s_waitcnt lgkmcnt(0)
	; wave barrier
	s_waitcnt lgkmcnt(0)
	s_and_saveexec_b64 s[54:55], vcc
	s_cbranch_execz .LBB1110_49
; %bb.48:
	s_waitcnt vmcnt(0)
	ds_read_b32 v68, v66 offset:5372
.LBB1110_49:
	s_or_b64 exec, exec, s[54:55]
	s_waitcnt lgkmcnt(0)
	; wave barrier
	s_waitcnt lgkmcnt(0)
                                        ; implicit-def: $vgpr2_vgpr3
	s_and_saveexec_b64 s[54:55], s[2:3]
	s_cbranch_execnz .LBB1110_255
; %bb.50:
	s_or_b64 exec, exec, s[54:55]
                                        ; implicit-def: $vgpr6_vgpr7
	s_and_saveexec_b64 s[2:3], s[4:5]
	s_cbranch_execnz .LBB1110_256
.LBB1110_51:
	s_or_b64 exec, exec, s[2:3]
                                        ; implicit-def: $vgpr10_vgpr11
	s_and_saveexec_b64 s[2:3], s[46:47]
	s_cbranch_execnz .LBB1110_257
.LBB1110_52:
	s_or_b64 exec, exec, s[2:3]
                                        ; implicit-def: $vgpr14_vgpr15
	s_and_saveexec_b64 s[2:3], s[8:9]
	s_cbranch_execnz .LBB1110_258
.LBB1110_53:
	s_or_b64 exec, exec, s[2:3]
                                        ; implicit-def: $vgpr18_vgpr19
	s_and_saveexec_b64 s[2:3], s[10:11]
	s_cbranch_execnz .LBB1110_259
.LBB1110_54:
	s_or_b64 exec, exec, s[2:3]
                                        ; implicit-def: $vgpr20_vgpr21
	s_and_saveexec_b64 s[2:3], s[12:13]
	s_cbranch_execnz .LBB1110_260
.LBB1110_55:
	s_or_b64 exec, exec, s[2:3]
                                        ; implicit-def: $vgpr22_vgpr23
	s_and_saveexec_b64 s[2:3], s[14:15]
	s_cbranch_execnz .LBB1110_261
.LBB1110_56:
	s_or_b64 exec, exec, s[2:3]
                                        ; implicit-def: $vgpr26_vgpr27
	s_and_saveexec_b64 s[2:3], s[16:17]
	s_cbranch_execnz .LBB1110_262
.LBB1110_57:
	s_or_b64 exec, exec, s[2:3]
                                        ; implicit-def: $vgpr30_vgpr31
	s_and_saveexec_b64 s[2:3], s[18:19]
	s_cbranch_execnz .LBB1110_263
.LBB1110_58:
	s_or_b64 exec, exec, s[2:3]
                                        ; implicit-def: $vgpr34_vgpr35
	s_and_saveexec_b64 s[2:3], s[20:21]
	s_cbranch_execnz .LBB1110_264
.LBB1110_59:
	s_or_b64 exec, exec, s[2:3]
                                        ; implicit-def: $vgpr38_vgpr39
	s_and_saveexec_b64 s[2:3], s[22:23]
	s_cbranch_execnz .LBB1110_265
.LBB1110_60:
	s_or_b64 exec, exec, s[2:3]
                                        ; implicit-def: $vgpr42_vgpr43
	s_and_saveexec_b64 s[2:3], s[24:25]
	s_cbranch_execnz .LBB1110_266
.LBB1110_61:
	s_or_b64 exec, exec, s[2:3]
                                        ; implicit-def: $vgpr46_vgpr47
	s_and_saveexec_b64 s[2:3], s[26:27]
	s_cbranch_execnz .LBB1110_267
.LBB1110_62:
	s_or_b64 exec, exec, s[2:3]
                                        ; implicit-def: $vgpr48_vgpr49
	s_and_saveexec_b64 s[2:3], s[28:29]
	s_cbranch_execnz .LBB1110_268
.LBB1110_63:
	s_or_b64 exec, exec, s[2:3]
                                        ; implicit-def: $vgpr50_vgpr51
	s_and_saveexec_b64 s[2:3], s[30:31]
	s_cbranch_execnz .LBB1110_269
.LBB1110_64:
	s_or_b64 exec, exec, s[2:3]
                                        ; implicit-def: $vgpr52_vgpr53
	s_and_saveexec_b64 s[2:3], s[34:35]
	s_cbranch_execnz .LBB1110_270
.LBB1110_65:
	s_or_b64 exec, exec, s[2:3]
                                        ; implicit-def: $vgpr54_vgpr55
	s_and_saveexec_b64 s[2:3], s[36:37]
	s_cbranch_execnz .LBB1110_271
.LBB1110_66:
	s_or_b64 exec, exec, s[2:3]
                                        ; implicit-def: $vgpr56_vgpr57
	s_and_saveexec_b64 s[2:3], s[38:39]
	s_cbranch_execnz .LBB1110_272
.LBB1110_67:
	s_or_b64 exec, exec, s[2:3]
                                        ; implicit-def: $vgpr58_vgpr59
	s_and_saveexec_b64 s[2:3], s[40:41]
	s_cbranch_execnz .LBB1110_273
.LBB1110_68:
	s_or_b64 exec, exec, s[2:3]
                                        ; implicit-def: $vgpr60_vgpr61
	s_and_saveexec_b64 s[2:3], s[42:43]
	s_cbranch_execnz .LBB1110_274
.LBB1110_69:
	s_or_b64 exec, exec, s[2:3]
                                        ; implicit-def: $vgpr62_vgpr63
	s_and_saveexec_b64 s[2:3], s[44:45]
	s_cbranch_execz .LBB1110_71
.LBB1110_70:
	v_lshlrev_b32_e32 v1, 3, v65
	v_mov_b32_e32 v63, s62
	v_add_co_u32_e32 v62, vcc, s7, v1
	v_addc_co_u32_e32 v63, vcc, 0, v63, vcc
	flat_load_dwordx2 v[62:63], v[62:63]
.LBB1110_71:
	s_or_b64 exec, exec, s[2:3]
	v_lshl_add_u32 v69, v0, 2, v66
	v_mul_u32_u24_e32 v65, 21, v0
	s_waitcnt vmcnt(0) lgkmcnt(0)
	ds_write2st64_b64 v69, v[2:3], v[6:7] offset1:1
	ds_write2st64_b64 v69, v[10:11], v[14:15] offset0:2 offset1:3
	ds_write2st64_b64 v69, v[18:19], v[20:21] offset0:4 offset1:5
	;; [unrolled: 1-line block ×9, first 2 shown]
	ds_write_b64 v69, v[62:63] offset:10240
	v_pk_mov_b32 v[10:11], 0, 0
	v_cmp_gt_u32_e32 vcc, s64, v65
	s_mov_b64 s[4:5], 0
	s_mov_b64 s[10:11], 0
	s_mov_b32 s63, 0
	v_mov_b32_e32 v128, 0
	v_mov_b32_e32 v122, 0
	;; [unrolled: 1-line block ×5, first 2 shown]
	v_pk_mov_b32 v[70:71], v[10:11], v[10:11] op_sel:[0,1]
	v_pk_mov_b32 v[78:79], v[10:11], v[10:11] op_sel:[0,1]
	;; [unrolled: 1-line block ×8, first 2 shown]
	v_mov_b32_e32 v124, 0
	v_pk_mov_b32 v[38:39], v[10:11], v[10:11] op_sel:[0,1]
	v_pk_mov_b32 v[50:51], v[10:11], v[10:11] op_sel:[0,1]
	;; [unrolled: 1-line block ×5, first 2 shown]
	v_mov_b32_e32 v123, 0
	v_pk_mov_b32 v[34:35], v[10:11], v[10:11] op_sel:[0,1]
	v_pk_mov_b32 v[14:15], v[10:11], v[10:11] op_sel:[0,1]
	;; [unrolled: 1-line block ×5, first 2 shown]
	v_mov_b32_e32 v1, 0
	v_pk_mov_b32 v[2:3], v[10:11], v[10:11] op_sel:[0,1]
	s_waitcnt lgkmcnt(0)
	; wave barrier
	s_waitcnt lgkmcnt(0)
                                        ; implicit-def: $sgpr2_sgpr3
                                        ; implicit-def: $vgpr83
                                        ; implicit-def: $vgpr82
                                        ; implicit-def: $vgpr84
                                        ; implicit-def: $vgpr85
	s_and_saveexec_b64 s[12:13], vcc
	s_cbranch_execz .LBB1110_111
; %bb.72:
	s_movk_i32 s2, 0xa0
	v_mad_u32_u24 v2, v0, s2, v69
	ds_read_b64 v[2:3], v2
	v_cmp_ne_u32_e32 vcc, v68, v36
	v_add_u32_e32 v6, 1, v65
	v_pk_mov_b32 v[10:11], 0, 0
	v_cndmask_b32_e64 v1, 0, 1, vcc
	v_cmp_gt_u32_e32 vcc, s64, v6
	s_mov_b64 s[18:19], 0
	v_mov_b32_e32 v128, 0
	v_mov_b32_e32 v122, 0
	;; [unrolled: 1-line block ×5, first 2 shown]
	v_pk_mov_b32 v[70:71], v[10:11], v[10:11] op_sel:[0,1]
	v_pk_mov_b32 v[78:79], v[10:11], v[10:11] op_sel:[0,1]
	;; [unrolled: 1-line block ×8, first 2 shown]
	v_mov_b32_e32 v124, 0
	v_pk_mov_b32 v[38:39], v[10:11], v[10:11] op_sel:[0,1]
	v_pk_mov_b32 v[50:51], v[10:11], v[10:11] op_sel:[0,1]
	;; [unrolled: 1-line block ×5, first 2 shown]
	v_mov_b32_e32 v123, 0
	v_pk_mov_b32 v[34:35], v[10:11], v[10:11] op_sel:[0,1]
	v_pk_mov_b32 v[14:15], v[10:11], v[10:11] op_sel:[0,1]
	;; [unrolled: 1-line block ×5, first 2 shown]
                                        ; implicit-def: $sgpr2_sgpr3
                                        ; implicit-def: $vgpr83
                                        ; implicit-def: $vgpr82
                                        ; implicit-def: $vgpr84
                                        ; implicit-def: $vgpr85
	s_and_saveexec_b64 s[14:15], vcc
	s_cbranch_execz .LBB1110_110
; %bb.73:
	v_mul_u32_u24_e32 v6, 0xa0, v0
	v_add_u32_e32 v48, v69, v6
	ds_read2_b64 v[18:21], v48 offset0:1 offset1:2
	v_cmp_ne_u32_e64 s[8:9], v36, v37
	v_add_u32_e32 v6, 2, v65
	v_pk_mov_b32 v[10:11], 0, 0
	v_cmp_ne_u32_e32 vcc, v28, v29
	v_cmp_ne_u32_e64 s[2:3], v29, v32
	v_cmp_ne_u32_e64 s[4:5], v37, v28
	v_cndmask_b32_e64 v128, 0, 1, s[8:9]
	v_cmp_gt_u32_e64 s[8:9], s64, v6
	s_mov_b64 s[20:21], 0
	v_mov_b32_e32 v127, 0
	v_mov_b32_e32 v122, 0
	v_mov_b32_e32 v126, 0
	v_mov_b32_e32 v125, 0
	v_pk_mov_b32 v[70:71], v[10:11], v[10:11] op_sel:[0,1]
	v_pk_mov_b32 v[78:79], v[10:11], v[10:11] op_sel:[0,1]
	;; [unrolled: 1-line block ×8, first 2 shown]
	v_mov_b32_e32 v124, 0
	v_pk_mov_b32 v[38:39], v[10:11], v[10:11] op_sel:[0,1]
	v_pk_mov_b32 v[50:51], v[10:11], v[10:11] op_sel:[0,1]
	;; [unrolled: 1-line block ×5, first 2 shown]
	v_mov_b32_e32 v123, 0
	v_pk_mov_b32 v[34:35], v[10:11], v[10:11] op_sel:[0,1]
	v_pk_mov_b32 v[14:15], v[10:11], v[10:11] op_sel:[0,1]
	;; [unrolled: 1-line block ×4, first 2 shown]
                                        ; implicit-def: $sgpr22_sgpr23
                                        ; implicit-def: $vgpr83
                                        ; implicit-def: $vgpr82
                                        ; implicit-def: $vgpr84
                                        ; implicit-def: $vgpr85
	s_and_saveexec_b64 s[16:17], s[8:9]
	s_cbranch_execz .LBB1110_109
; %bb.74:
	v_cndmask_b32_e64 v6, 0, 1, s[4:5]
	v_cndmask_b32_e64 v7, 0, 1, s[2:3]
	v_lshlrev_b16_e32 v6, 8, v6
	v_lshlrev_b16_e32 v7, 8, v7
	v_cndmask_b32_e64 v10, 0, 1, vcc
	v_or_b32_e32 v6, v128, v6
	v_or_b32_sdwa v7, v10, v7 dst_sel:WORD_1 dst_unused:UNUSED_PAD src0_sel:DWORD src1_sel:DWORD
	v_add_u32_e32 v10, 3, v65
	v_or_b32_sdwa v83, v6, v7 dst_sel:DWORD dst_unused:UNUSED_PAD src0_sel:WORD_0 src1_sel:DWORD
	v_cmp_gt_u32_e32 vcc, s64, v10
	v_pk_mov_b32 v[10:11], 0, 0
	v_and_b32_e32 v128, 0xffff, v83
	s_waitcnt lgkmcnt(0)
	v_mov_b32_e32 v6, v20
	v_mov_b32_e32 v7, v21
	s_mov_b64 s[2:3], 0
	v_mov_b32_e32 v127, 0
	v_mov_b32_e32 v122, 0
	;; [unrolled: 1-line block ×4, first 2 shown]
	v_pk_mov_b32 v[70:71], v[10:11], v[10:11] op_sel:[0,1]
	v_pk_mov_b32 v[78:79], v[10:11], v[10:11] op_sel:[0,1]
	v_pk_mov_b32 v[62:63], v[10:11], v[10:11] op_sel:[0,1]
	v_pk_mov_b32 v[74:75], v[10:11], v[10:11] op_sel:[0,1]
	v_pk_mov_b32 v[54:55], v[10:11], v[10:11] op_sel:[0,1]
	v_pk_mov_b32 v[66:67], v[10:11], v[10:11] op_sel:[0,1]
	v_pk_mov_b32 v[46:47], v[10:11], v[10:11] op_sel:[0,1]
	v_pk_mov_b32 v[58:59], v[10:11], v[10:11] op_sel:[0,1]
	v_mov_b32_e32 v124, 0
	v_pk_mov_b32 v[38:39], v[10:11], v[10:11] op_sel:[0,1]
	v_pk_mov_b32 v[50:51], v[10:11], v[10:11] op_sel:[0,1]
	;; [unrolled: 1-line block ×5, first 2 shown]
	v_mov_b32_e32 v123, 0
	v_pk_mov_b32 v[34:35], v[10:11], v[10:11] op_sel:[0,1]
	v_pk_mov_b32 v[14:15], v[10:11], v[10:11] op_sel:[0,1]
	;; [unrolled: 1-line block ×3, first 2 shown]
                                        ; implicit-def: $sgpr4_sgpr5
                                        ; implicit-def: $vgpr82
                                        ; implicit-def: $vgpr84
                                        ; implicit-def: $vgpr85
	s_and_saveexec_b64 s[18:19], vcc
	s_cbranch_execz .LBB1110_108
; %bb.75:
	ds_read2_b64 v[26:29], v48 offset0:3 offset1:4
	v_add_u32_e32 v10, 4, v65
	v_cmp_gt_u32_e32 vcc, s64, v10
	v_pk_mov_b32 v[10:11], 0, 0
	v_and_b32_e32 v128, 0xffffff, v83
	s_mov_b64 s[4:5], 0
	v_mov_b32_e32 v127, 0
	v_mov_b32_e32 v122, 0
	;; [unrolled: 1-line block ×4, first 2 shown]
	v_pk_mov_b32 v[70:71], v[10:11], v[10:11] op_sel:[0,1]
	v_pk_mov_b32 v[78:79], v[10:11], v[10:11] op_sel:[0,1]
	;; [unrolled: 1-line block ×8, first 2 shown]
	v_mov_b32_e32 v124, 0
	v_pk_mov_b32 v[38:39], v[10:11], v[10:11] op_sel:[0,1]
	v_pk_mov_b32 v[50:51], v[10:11], v[10:11] op_sel:[0,1]
	;; [unrolled: 1-line block ×5, first 2 shown]
	v_mov_b32_e32 v123, 0
	v_pk_mov_b32 v[34:35], v[10:11], v[10:11] op_sel:[0,1]
	v_pk_mov_b32 v[14:15], v[10:11], v[10:11] op_sel:[0,1]
                                        ; implicit-def: $sgpr8_sgpr9
                                        ; implicit-def: $vgpr82
                                        ; implicit-def: $vgpr84
                                        ; implicit-def: $vgpr85
	s_and_saveexec_b64 s[20:21], vcc
	s_cbranch_execz .LBB1110_107
; %bb.76:
	v_add_u32_e32 v10, 5, v65
	v_cmp_gt_u32_e32 vcc, s64, v10
	v_pk_mov_b32 v[10:11], 0, 0
	s_waitcnt lgkmcnt(0)
	v_mov_b32_e32 v14, v28
	v_mov_b32_e32 v15, v29
	v_mov_b32_e32 v127, 0
	v_mov_b32_e32 v122, 0
	v_mov_b32_e32 v126, 0
	v_mov_b32_e32 v125, 0
	v_pk_mov_b32 v[70:71], v[10:11], v[10:11] op_sel:[0,1]
	v_pk_mov_b32 v[78:79], v[10:11], v[10:11] op_sel:[0,1]
	;; [unrolled: 1-line block ×8, first 2 shown]
	v_mov_b32_e32 v124, 0
	v_pk_mov_b32 v[38:39], v[10:11], v[10:11] op_sel:[0,1]
	v_pk_mov_b32 v[50:51], v[10:11], v[10:11] op_sel:[0,1]
	;; [unrolled: 1-line block ×5, first 2 shown]
	v_mov_b32_e32 v123, 0
	v_pk_mov_b32 v[34:35], v[10:11], v[10:11] op_sel:[0,1]
                                        ; implicit-def: $sgpr8_sgpr9
                                        ; implicit-def: $vgpr82
                                        ; implicit-def: $vgpr84
                                        ; implicit-def: $vgpr85
	s_and_saveexec_b64 s[22:23], vcc
	s_cbranch_execz .LBB1110_106
; %bb.77:
	ds_read2_b64 v[34:37], v48 offset0:5 offset1:6
	v_cmp_ne_u32_e32 vcc, v32, v44
	v_add_u32_e32 v10, 6, v65
	v_cndmask_b32_e64 v123, 0, 1, vcc
	v_cmp_gt_u32_e32 vcc, s64, v10
	v_pk_mov_b32 v[10:11], 0, 0
	s_mov_b64 s[28:29], 0
	v_mov_b32_e32 v127, 0
	v_mov_b32_e32 v122, 0
	;; [unrolled: 1-line block ×4, first 2 shown]
	v_pk_mov_b32 v[70:71], v[10:11], v[10:11] op_sel:[0,1]
	v_pk_mov_b32 v[78:79], v[10:11], v[10:11] op_sel:[0,1]
	v_pk_mov_b32 v[62:63], v[10:11], v[10:11] op_sel:[0,1]
	v_pk_mov_b32 v[74:75], v[10:11], v[10:11] op_sel:[0,1]
	v_pk_mov_b32 v[54:55], v[10:11], v[10:11] op_sel:[0,1]
	v_pk_mov_b32 v[66:67], v[10:11], v[10:11] op_sel:[0,1]
	v_pk_mov_b32 v[46:47], v[10:11], v[10:11] op_sel:[0,1]
	v_pk_mov_b32 v[58:59], v[10:11], v[10:11] op_sel:[0,1]
	v_mov_b32_e32 v124, 0
	v_pk_mov_b32 v[38:39], v[10:11], v[10:11] op_sel:[0,1]
	v_pk_mov_b32 v[50:51], v[10:11], v[10:11] op_sel:[0,1]
	;; [unrolled: 1-line block ×5, first 2 shown]
                                        ; implicit-def: $sgpr4_sgpr5
                                        ; implicit-def: $vgpr82
                                        ; implicit-def: $vgpr84
                                        ; implicit-def: $vgpr85
	s_and_saveexec_b64 s[24:25], vcc
	s_cbranch_execz .LBB1110_105
; %bb.78:
	v_cmp_ne_u32_e64 s[8:9], v44, v45
	v_add_u32_e32 v10, 7, v65
	v_cndmask_b32_e64 v127, 0, 1, s[8:9]
	v_cmp_gt_u32_e64 s[8:9], s64, v10
	v_pk_mov_b32 v[10:11], 0, 0
	s_waitcnt lgkmcnt(0)
	v_mov_b32_e32 v22, v36
	v_mov_b32_e32 v23, v37
	v_cmp_ne_u32_e32 vcc, v40, v41
	v_cmp_ne_u32_e64 s[2:3], v41, v33
	v_cmp_ne_u32_e64 s[4:5], v45, v40
	s_mov_b64 s[30:31], 0
	v_mov_b32_e32 v126, 0
	v_mov_b32_e32 v122, 0
	;; [unrolled: 1-line block ×3, first 2 shown]
	v_pk_mov_b32 v[70:71], v[10:11], v[10:11] op_sel:[0,1]
	v_pk_mov_b32 v[78:79], v[10:11], v[10:11] op_sel:[0,1]
	;; [unrolled: 1-line block ×8, first 2 shown]
	v_mov_b32_e32 v124, 0
	v_pk_mov_b32 v[38:39], v[10:11], v[10:11] op_sel:[0,1]
	v_pk_mov_b32 v[50:51], v[10:11], v[10:11] op_sel:[0,1]
	;; [unrolled: 1-line block ×4, first 2 shown]
                                        ; implicit-def: $sgpr34_sgpr35
                                        ; implicit-def: $vgpr82
                                        ; implicit-def: $vgpr84
                                        ; implicit-def: $vgpr85
	s_and_saveexec_b64 s[26:27], s[8:9]
	s_cbranch_execz .LBB1110_104
; %bb.79:
	v_cndmask_b32_e64 v10, 0, 1, s[4:5]
	v_cndmask_b32_e64 v11, 0, 1, s[2:3]
	v_lshlrev_b16_e32 v10, 8, v10
	v_lshlrev_b16_e32 v11, 8, v11
	v_cndmask_b32_e64 v20, 0, 1, vcc
	ds_read2_b64 v[42:45], v48 offset0:7 offset1:8
	v_or_b32_e32 v10, v127, v10
	v_or_b32_sdwa v11, v20, v11 dst_sel:WORD_1 dst_unused:UNUSED_PAD src0_sel:DWORD src1_sel:DWORD
	v_or_b32_sdwa v82, v10, v11 dst_sel:DWORD dst_unused:UNUSED_PAD src0_sel:WORD_0 src1_sel:DWORD
	v_add_u32_e32 v10, 8, v65
	v_cmp_gt_u32_e32 vcc, s64, v10
	v_pk_mov_b32 v[10:11], 0, 0
	v_and_b32_e32 v127, 0xffff, v82
	s_mov_b64 s[2:3], 0
	v_mov_b32_e32 v126, 0
	v_mov_b32_e32 v122, 0
	;; [unrolled: 1-line block ×3, first 2 shown]
	v_pk_mov_b32 v[70:71], v[10:11], v[10:11] op_sel:[0,1]
	v_pk_mov_b32 v[78:79], v[10:11], v[10:11] op_sel:[0,1]
	;; [unrolled: 1-line block ×8, first 2 shown]
	v_mov_b32_e32 v124, 0
	v_pk_mov_b32 v[38:39], v[10:11], v[10:11] op_sel:[0,1]
	v_pk_mov_b32 v[50:51], v[10:11], v[10:11] op_sel:[0,1]
	;; [unrolled: 1-line block ×3, first 2 shown]
                                        ; implicit-def: $sgpr4_sgpr5
                                        ; implicit-def: $vgpr84
                                        ; implicit-def: $vgpr85
	s_and_saveexec_b64 s[28:29], vcc
	s_cbranch_execz .LBB1110_103
; %bb.80:
	v_add_u32_e32 v10, 9, v65
	v_cmp_gt_u32_e32 vcc, s64, v10
	v_pk_mov_b32 v[10:11], 0, 0
	s_waitcnt lgkmcnt(0)
	v_mov_b32_e32 v30, v44
	v_mov_b32_e32 v31, v45
	v_and_b32_e32 v127, 0xffffff, v82
	s_mov_b64 s[4:5], 0
	v_mov_b32_e32 v126, 0
	v_mov_b32_e32 v122, 0
	;; [unrolled: 1-line block ×3, first 2 shown]
	v_pk_mov_b32 v[70:71], v[10:11], v[10:11] op_sel:[0,1]
	v_pk_mov_b32 v[78:79], v[10:11], v[10:11] op_sel:[0,1]
	;; [unrolled: 1-line block ×8, first 2 shown]
	v_mov_b32_e32 v124, 0
	v_pk_mov_b32 v[38:39], v[10:11], v[10:11] op_sel:[0,1]
	v_pk_mov_b32 v[50:51], v[10:11], v[10:11] op_sel:[0,1]
                                        ; implicit-def: $sgpr8_sgpr9
                                        ; implicit-def: $vgpr84
                                        ; implicit-def: $vgpr85
	s_and_saveexec_b64 s[30:31], vcc
	s_cbranch_execz .LBB1110_102
; %bb.81:
	ds_read2_b64 v[50:53], v48 offset0:9 offset1:10
	v_add_u32_e32 v10, 10, v65
	v_cmp_gt_u32_e32 vcc, s64, v10
	v_pk_mov_b32 v[10:11], 0, 0
	v_mov_b32_e32 v126, 0
	v_mov_b32_e32 v122, 0
	;; [unrolled: 1-line block ×3, first 2 shown]
	v_pk_mov_b32 v[70:71], v[10:11], v[10:11] op_sel:[0,1]
	v_pk_mov_b32 v[78:79], v[10:11], v[10:11] op_sel:[0,1]
	;; [unrolled: 1-line block ×8, first 2 shown]
	v_mov_b32_e32 v124, 0
	v_pk_mov_b32 v[38:39], v[10:11], v[10:11] op_sel:[0,1]
                                        ; implicit-def: $sgpr8_sgpr9
                                        ; implicit-def: $vgpr84
                                        ; implicit-def: $vgpr85
	s_and_saveexec_b64 s[34:35], vcc
	s_cbranch_execz .LBB1110_101
; %bb.82:
	v_cmp_ne_u32_e32 vcc, v33, v24
	v_add_u32_e32 v10, 11, v65
	v_cndmask_b32_e64 v124, 0, 1, vcc
	v_cmp_gt_u32_e32 vcc, s64, v10
	v_pk_mov_b32 v[10:11], 0, 0
	s_waitcnt lgkmcnt(0)
	v_mov_b32_e32 v38, v52
	v_mov_b32_e32 v39, v53
	s_mov_b64 s[40:41], 0
	v_mov_b32_e32 v126, 0
	v_mov_b32_e32 v122, 0
	;; [unrolled: 1-line block ×3, first 2 shown]
	v_pk_mov_b32 v[70:71], v[10:11], v[10:11] op_sel:[0,1]
	v_pk_mov_b32 v[78:79], v[10:11], v[10:11] op_sel:[0,1]
	;; [unrolled: 1-line block ×8, first 2 shown]
                                        ; implicit-def: $sgpr4_sgpr5
                                        ; implicit-def: $vgpr84
                                        ; implicit-def: $vgpr85
	s_and_saveexec_b64 s[36:37], vcc
	s_cbranch_execz .LBB1110_100
; %bb.83:
	ds_read2_b64 v[58:61], v48 offset0:11 offset1:12
	v_cmp_ne_u32_e64 s[8:9], v24, v25
	v_add_u32_e32 v10, 12, v65
	v_cndmask_b32_e64 v126, 0, 1, s[8:9]
	v_cmp_gt_u32_e64 s[8:9], s64, v10
	v_pk_mov_b32 v[10:11], 0, 0
	v_cmp_ne_u32_e32 vcc, v16, v17
	v_cmp_ne_u32_e64 s[2:3], v17, v64
	v_cmp_ne_u32_e64 s[4:5], v25, v16
	s_mov_b64 s[42:43], 0
	v_mov_b32_e32 v125, 0
	v_mov_b32_e32 v122, 0
	v_pk_mov_b32 v[70:71], v[10:11], v[10:11] op_sel:[0,1]
	v_pk_mov_b32 v[78:79], v[10:11], v[10:11] op_sel:[0,1]
	;; [unrolled: 1-line block ×7, first 2 shown]
                                        ; implicit-def: $sgpr44_sgpr45
                                        ; implicit-def: $vgpr84
                                        ; implicit-def: $vgpr85
	s_and_saveexec_b64 s[38:39], s[8:9]
	s_cbranch_execz .LBB1110_99
; %bb.84:
	v_cndmask_b32_e64 v10, 0, 1, s[4:5]
	v_cndmask_b32_e64 v11, 0, 1, s[2:3]
	v_lshlrev_b16_e32 v10, 8, v10
	v_lshlrev_b16_e32 v11, 8, v11
	v_cndmask_b32_e64 v16, 0, 1, vcc
	v_or_b32_e32 v10, v126, v10
	v_or_b32_sdwa v11, v16, v11 dst_sel:WORD_1 dst_unused:UNUSED_PAD src0_sel:DWORD src1_sel:DWORD
	v_or_b32_sdwa v84, v10, v11 dst_sel:DWORD dst_unused:UNUSED_PAD src0_sel:WORD_0 src1_sel:DWORD
	v_add_u32_e32 v10, 13, v65
	v_cmp_gt_u32_e32 vcc, s64, v10
	v_pk_mov_b32 v[10:11], 0, 0
	s_mov_b64 s[66:67], s[58:59]
	v_and_b32_e32 v126, 0xffff, v84
	s_waitcnt lgkmcnt(0)
	v_mov_b32_e32 v46, v60
	v_mov_b32_e32 v47, v61
	s_mov_b64 s[2:3], 0
	v_mov_b32_e32 v125, 0
	v_mov_b32_e32 v122, 0
	v_pk_mov_b32 v[70:71], v[10:11], v[10:11] op_sel:[0,1]
	v_pk_mov_b32 v[78:79], v[10:11], v[10:11] op_sel:[0,1]
	;; [unrolled: 1-line block ×6, first 2 shown]
                                        ; implicit-def: $sgpr4_sgpr5
                                        ; implicit-def: $vgpr85
	s_and_saveexec_b64 s[40:41], vcc
	s_cbranch_execz .LBB1110_98
; %bb.85:
	ds_read2_b64 v[66:69], v48 offset0:13 offset1:14
	v_add_u32_e32 v10, 14, v65
	v_cmp_gt_u32_e32 vcc, s64, v10
	v_pk_mov_b32 v[10:11], 0, 0
	v_and_b32_e32 v126, 0xffffff, v84
	s_mov_b64 s[4:5], 0
	v_mov_b32_e32 v125, 0
	v_mov_b32_e32 v122, 0
	v_pk_mov_b32 v[70:71], v[10:11], v[10:11] op_sel:[0,1]
	v_pk_mov_b32 v[78:79], v[10:11], v[10:11] op_sel:[0,1]
	;; [unrolled: 1-line block ×5, first 2 shown]
                                        ; implicit-def: $sgpr8_sgpr9
                                        ; implicit-def: $vgpr85
	s_and_saveexec_b64 s[42:43], vcc
	s_cbranch_execz .LBB1110_97
; %bb.86:
	v_add_u32_e32 v10, 15, v65
	v_cmp_gt_u32_e32 vcc, s64, v10
	v_pk_mov_b32 v[10:11], 0, 0
	s_waitcnt lgkmcnt(0)
	v_mov_b32_e32 v54, v68
	v_mov_b32_e32 v55, v69
	;; [unrolled: 1-line block ×4, first 2 shown]
	v_pk_mov_b32 v[70:71], v[10:11], v[10:11] op_sel:[0,1]
	v_pk_mov_b32 v[78:79], v[10:11], v[10:11] op_sel:[0,1]
	v_pk_mov_b32 v[62:63], v[10:11], v[10:11] op_sel:[0,1]
	v_pk_mov_b32 v[74:75], v[10:11], v[10:11] op_sel:[0,1]
                                        ; implicit-def: $sgpr8_sgpr9
                                        ; implicit-def: $vgpr85
	s_and_saveexec_b64 s[44:45], vcc
	s_cbranch_execz .LBB1110_96
; %bb.87:
	ds_read2_b64 v[74:77], v48 offset0:15 offset1:16
	v_cmp_ne_u32_e32 vcc, v64, v8
	v_add_u32_e32 v10, 16, v65
	v_cndmask_b32_e64 v122, 0, 1, vcc
	v_cmp_gt_u32_e32 vcc, s64, v10
	v_pk_mov_b32 v[10:11], 0, 0
	s_mov_b64 s[56:57], 0
	v_mov_b32_e32 v125, 0
	v_pk_mov_b32 v[70:71], v[10:11], v[10:11] op_sel:[0,1]
	v_pk_mov_b32 v[78:79], v[10:11], v[10:11] op_sel:[0,1]
	;; [unrolled: 1-line block ×3, first 2 shown]
                                        ; implicit-def: $sgpr4_sgpr5
                                        ; implicit-def: $vgpr85
	s_and_saveexec_b64 s[46:47], vcc
	s_cbranch_execz .LBB1110_95
; %bb.88:
	v_cmp_ne_u32_e64 s[8:9], v8, v9
	v_add_u32_e32 v8, 17, v65
	v_pk_mov_b32 v[10:11], 0, 0
	s_waitcnt lgkmcnt(0)
	v_mov_b32_e32 v62, v76
	v_mov_b32_e32 v63, v77
	v_cmp_ne_u32_e32 vcc, v12, v13
	v_cmp_ne_u32_e64 s[2:3], v13, v4
	v_cmp_ne_u32_e64 s[4:5], v9, v12
	v_cndmask_b32_e64 v125, 0, 1, s[8:9]
	v_cmp_gt_u32_e64 s[8:9], s64, v8
	s_mov_b64 s[58:59], 0
	v_pk_mov_b32 v[70:71], v[10:11], v[10:11] op_sel:[0,1]
	v_pk_mov_b32 v[78:79], v[10:11], v[10:11] op_sel:[0,1]
                                        ; implicit-def: $sgpr60_sgpr61
                                        ; implicit-def: $vgpr85
	s_and_saveexec_b64 s[54:55], s[8:9]
	s_cbranch_execz .LBB1110_94
; %bb.89:
	v_cndmask_b32_e64 v8, 0, 1, s[4:5]
	v_cndmask_b32_e64 v9, 0, 1, s[2:3]
	ds_read2_b64 v[78:81], v48 offset0:17 offset1:18
	v_lshlrev_b16_e32 v8, 8, v8
	v_lshlrev_b16_e32 v9, 8, v9
	v_cndmask_b32_e64 v10, 0, 1, vcc
	v_or_b32_e32 v8, v125, v8
	v_or_b32_sdwa v9, v10, v9 dst_sel:WORD_1 dst_unused:UNUSED_PAD src0_sel:DWORD src1_sel:DWORD
	v_or_b32_sdwa v85, v8, v9 dst_sel:DWORD dst_unused:UNUSED_PAD src0_sel:WORD_0 src1_sel:DWORD
	v_add_u32_e32 v8, 18, v65
	v_pk_mov_b32 v[10:11], 0, 0
	v_and_b32_e32 v125, 0xffff, v85
	v_cmp_gt_u32_e32 vcc, s64, v8
	s_mov_b64 s[2:3], 0
	v_pk_mov_b32 v[70:71], v[10:11], v[10:11] op_sel:[0,1]
                                        ; implicit-def: $sgpr8_sgpr9
	s_and_saveexec_b64 s[4:5], vcc
	s_cbranch_execz .LBB1110_93
; %bb.90:
	v_add_u32_e32 v8, 19, v65
	s_waitcnt lgkmcnt(0)
	v_mov_b32_e32 v70, v80
	v_mov_b32_e32 v71, v81
	v_cmp_gt_u32_e32 vcc, s64, v8
	v_and_b32_e32 v125, 0xffffff, v85
	v_pk_mov_b32 v[10:11], 0, 0
                                        ; implicit-def: $sgpr8_sgpr9
	s_and_saveexec_b64 s[56:57], vcc
	s_xor_b64 s[56:57], exec, s[56:57]
	s_cbranch_execz .LBB1110_92
; %bb.91:
	ds_read2_b64 v[10:13], v48 offset0:19 offset1:20
	v_cmp_ne_u32_e32 vcc, v4, v5
	v_add_u32_e32 v4, 20, v65
	v_cmp_gt_u32_e64 s[2:3], s64, v4
	s_and_b64 s[8:9], vcc, exec
	s_and_b64 s[2:3], s[2:3], exec
	s_waitcnt lgkmcnt(0)
	v_pk_mov_b32 v[72:73], v[10:11], v[10:11] op_sel:[0,1]
	v_mov_b32_e32 v125, v85
.LBB1110_92:
	s_or_b64 exec, exec, s[56:57]
	s_and_b64 s[8:9], s[8:9], exec
	s_and_b64 s[58:59], s[2:3], exec
.LBB1110_93:
	s_or_b64 exec, exec, s[4:5]
	s_and_b64 s[60:61], s[8:9], exec
	s_and_b64 s[56:57], s[58:59], exec
	s_waitcnt lgkmcnt(0)
	v_pk_mov_b32 v[64:65], v[78:79], v[78:79] op_sel:[0,1]
	v_pk_mov_b32 v[56:57], v[74:75], v[74:75] op_sel:[0,1]
	;; [unrolled: 1-line block ×9, first 2 shown]
.LBB1110_94:
	s_or_b64 exec, exec, s[54:55]
	s_and_b64 s[4:5], s[60:61], exec
	s_and_b64 s[2:3], s[56:57], exec
.LBB1110_95:
	s_or_b64 exec, exec, s[46:47]
	s_and_b64 s[8:9], s[4:5], exec
	s_and_b64 s[4:5], s[2:3], exec
.LBB1110_96:
	s_or_b64 exec, exec, s[44:45]
	s_and_b64 s[8:9], s[8:9], exec
	s_and_b64 s[2:3], s[4:5], exec
	v_mov_b32_e32 v126, v84
.LBB1110_97:
	s_or_b64 exec, exec, s[42:43]
	s_and_b64 s[4:5], s[8:9], exec
	s_and_b64 s[42:43], s[2:3], exec
.LBB1110_98:
	s_or_b64 exec, exec, s[40:41]
	s_and_b64 s[44:45], s[4:5], exec
	s_and_b64 s[40:41], s[42:43], exec
	s_mov_b64 s[58:59], s[66:67]
.LBB1110_99:
	s_or_b64 exec, exec, s[38:39]
	s_and_b64 s[4:5], s[44:45], exec
	s_and_b64 s[2:3], s[40:41], exec
.LBB1110_100:
	s_or_b64 exec, exec, s[36:37]
	s_and_b64 s[8:9], s[4:5], exec
	s_and_b64 s[4:5], s[2:3], exec
.LBB1110_101:
	s_or_b64 exec, exec, s[34:35]
	s_and_b64 s[8:9], s[8:9], exec
	s_and_b64 s[2:3], s[4:5], exec
	v_mov_b32_e32 v127, v82
.LBB1110_102:
	s_or_b64 exec, exec, s[30:31]
	s_and_b64 s[4:5], s[8:9], exec
	s_and_b64 s[30:31], s[2:3], exec
.LBB1110_103:
	s_or_b64 exec, exec, s[28:29]
	s_and_b64 s[34:35], s[4:5], exec
	s_and_b64 s[28:29], s[30:31], exec
.LBB1110_104:
	s_or_b64 exec, exec, s[26:27]
	s_and_b64 s[4:5], s[34:35], exec
	s_and_b64 s[2:3], s[28:29], exec
.LBB1110_105:
	s_or_b64 exec, exec, s[24:25]
	s_and_b64 s[8:9], s[4:5], exec
	s_and_b64 s[4:5], s[2:3], exec
.LBB1110_106:
	s_or_b64 exec, exec, s[22:23]
	s_and_b64 s[8:9], s[8:9], exec
	s_and_b64 s[2:3], s[4:5], exec
	v_mov_b32_e32 v128, v83
.LBB1110_107:
	s_or_b64 exec, exec, s[20:21]
	s_and_b64 s[4:5], s[8:9], exec
	s_and_b64 s[20:21], s[2:3], exec
.LBB1110_108:
	s_or_b64 exec, exec, s[18:19]
	s_and_b64 s[22:23], s[4:5], exec
	s_and_b64 s[18:19], s[20:21], exec
.LBB1110_109:
	s_or_b64 exec, exec, s[16:17]
	s_and_b64 s[2:3], s[22:23], exec
	s_and_b64 s[4:5], s[18:19], exec
.LBB1110_110:
	s_or_b64 exec, exec, s[14:15]
	s_and_b64 s[2:3], s[2:3], exec
	s_and_b64 s[4:5], s[4:5], exec
.LBB1110_111:
	s_or_b64 exec, exec, s[12:13]
	s_mov_b64 s[8:9], 0
	s_and_b64 vcc, exec, s[10:11]
	s_cbranch_vccnz .LBB1110_113
	s_branch .LBB1110_121
.LBB1110_112:
                                        ; implicit-def: $sgpr2_sgpr3
                                        ; implicit-def: $vgpr83
                                        ; implicit-def: $vgpr82
                                        ; implicit-def: $vgpr84
                                        ; implicit-def: $vgpr85
                                        ; implicit-def: $vgpr12_vgpr13
                                        ; implicit-def: $vgpr72_vgpr73
                                        ; implicit-def: $vgpr64_vgpr65
                                        ; implicit-def: $vgpr122
                                        ; implicit-def: $vgpr56_vgpr57
                                        ; implicit-def: $vgpr48_vgpr49
                                        ; implicit-def: $vgpr40_vgpr41
                                        ; implicit-def: $vgpr124
                                        ; implicit-def: $vgpr32_vgpr33
                                        ; implicit-def: $vgpr24_vgpr25
                                        ; implicit-def: $vgpr123
                                        ; implicit-def: $vgpr16_vgpr17
                                        ; implicit-def: $vgpr8_vgpr9
                                        ; implicit-def: $vgpr4_vgpr5
                                        ; implicit-def: $vgpr1
                                        ; implicit-def: $vgpr128
                                        ; implicit-def: $vgpr127
                                        ; implicit-def: $vgpr126
                                        ; implicit-def: $vgpr125
                                        ; implicit-def: $sgpr63
                                        ; implicit-def: $sgpr8_sgpr9
                                        ; implicit-def: $vgpr78_vgpr79
                                        ; implicit-def: $vgpr74_vgpr75
                                        ; implicit-def: $vgpr66_vgpr67
                                        ; implicit-def: $vgpr58_vgpr59
                                        ; implicit-def: $vgpr50_vgpr51
                                        ; implicit-def: $vgpr42_vgpr43
                                        ; implicit-def: $vgpr34_vgpr35
                                        ; implicit-def: $vgpr26_vgpr27
                                        ; implicit-def: $vgpr18_vgpr19
	s_and_b64 vcc, exec, s[10:11]
	s_cbranch_vccz .LBB1110_121
.LBB1110_113:
	v_lshlrev_b32_e32 v1, 2, v0
	s_waitcnt lgkmcnt(0)
	v_mov_b32_e32 v3, s49
	v_add_co_u32_e32 v2, vcc, s48, v1
	v_addc_co_u32_e32 v3, vcc, 0, v3, vcc
	s_movk_i32 s2, 0x1000
	flat_load_dword v4, v[2:3]
	flat_load_dword v5, v[2:3] offset:256
	flat_load_dword v6, v[2:3] offset:512
	;; [unrolled: 1-line block ×15, first 2 shown]
	v_add_co_u32_e32 v2, vcc, s2, v2
	v_addc_co_u32_e32 v3, vcc, 0, v3, vcc
	flat_load_dword v20, v[2:3]
	flat_load_dword v21, v[2:3] offset:256
	flat_load_dword v22, v[2:3] offset:512
	;; [unrolled: 1-line block ×4, first 2 shown]
	s_movk_i32 s2, 0x50
	v_mad_u32_u24 v23, v0, s2, v1
	s_cmp_eq_u64 s[52:53], 0
	s_waitcnt vmcnt(0) lgkmcnt(0)
	ds_write2st64_b32 v1, v4, v5 offset1:1
	ds_write2st64_b32 v1, v6, v7 offset0:2 offset1:3
	ds_write2st64_b32 v1, v8, v9 offset0:4 offset1:5
	;; [unrolled: 1-line block ×9, first 2 shown]
	ds_write_b32 v1, v25 offset:5120
	s_waitcnt lgkmcnt(0)
	; wave barrier
	s_waitcnt lgkmcnt(0)
	ds_read2_b32 v[8:9], v23 offset0:7 offset1:8
	ds_read2_b32 v[6:7], v23 offset0:5 offset1:6
	;; [unrolled: 1-line block ×3, first 2 shown]
	ds_read2_b32 v[10:11], v23 offset1:1
	ds_read2_b32 v[4:5], v23 offset0:4 offset1:9
	ds_read2_b32 v[16:17], v23 offset0:15 offset1:16
	ds_read_b32 v22, v23 offset:56
	ds_read2_b32 v[14:15], v23 offset0:12 offset1:13
	ds_read2_b32 v[12:13], v23 offset0:10 offset1:11
	;; [unrolled: 1-line block ×4, first 2 shown]
	s_cbranch_scc1 .LBB1110_118
; %bb.114:
	s_andn2_b64 vcc, exec, s[50:51]
	s_cbranch_vccnz .LBB1110_276
; %bb.115:
	v_readlane_b32 s8, v135, 2
	s_lshl_b64 s[2:3], s[52:53], 2
	v_readlane_b32 s14, v135, 8
	v_readlane_b32 s15, v135, 9
	s_add_u32 s2, s14, s2
	s_addc_u32 s3, s15, s3
	s_add_u32 s2, s2, -4
	s_addc_u32 s3, s3, -1
	v_readlane_b32 s9, v135, 3
	v_readlane_b32 s10, v135, 4
	;; [unrolled: 1-line block ×5, first 2 shown]
	s_cbranch_execnz .LBB1110_117
.LBB1110_116:
	s_add_u32 s2, s48, -4
	s_addc_u32 s3, s49, -1
.LBB1110_117:
	s_mov_b64 s[48:49], s[2:3]
.LBB1110_118:
	v_pk_mov_b32 v[24:25], s[48:49], s[48:49] op_sel:[0,1]
	flat_load_dword v1, v[24:25]
	s_movk_i32 s2, 0xffb0
	v_mad_i32_i24 v23, v0, s2, v23
	v_cmp_ne_u32_e32 vcc, 0, v0
	s_waitcnt lgkmcnt(0)
	ds_write_b32 v23, v21 offset:5376
	s_waitcnt lgkmcnt(0)
	; wave barrier
	s_waitcnt lgkmcnt(0)
	s_and_saveexec_b64 s[2:3], vcc
	s_cbranch_execz .LBB1110_120
; %bb.119:
	s_waitcnt vmcnt(0)
	ds_read_b32 v1, v23 offset:5372
.LBB1110_120:
	s_or_b64 exec, exec, s[2:3]
	v_lshlrev_b32_e32 v24, 3, v0
	v_mov_b32_e32 v25, s62
	v_add_co_u32_e32 v24, vcc, s7, v24
	v_addc_co_u32_e32 v25, vcc, 0, v25, vcc
	s_movk_i32 s2, 0x1000
	v_add_co_u32_e32 v42, vcc, s2, v24
	v_addc_co_u32_e32 v43, vcc, 0, v25, vcc
	s_movk_i32 s2, 0x2000
	s_waitcnt lgkmcnt(0)
	; wave barrier
	s_waitcnt lgkmcnt(0)
	flat_load_dwordx2 v[26:27], v[24:25]
	flat_load_dwordx2 v[28:29], v[24:25] offset:512
	flat_load_dwordx2 v[30:31], v[24:25] offset:1024
	;; [unrolled: 1-line block ×7, first 2 shown]
	v_add_co_u32_e32 v24, vcc, s2, v24
	v_addc_co_u32_e32 v25, vcc, 0, v25, vcc
	flat_load_dwordx2 v[44:45], v[42:43]
	flat_load_dwordx2 v[46:47], v[42:43] offset:512
	flat_load_dwordx2 v[48:49], v[42:43] offset:1024
	;; [unrolled: 1-line block ×7, first 2 shown]
	s_nop 0
	flat_load_dwordx2 v[42:43], v[24:25]
	flat_load_dwordx2 v[60:61], v[24:25] offset:512
	flat_load_dwordx2 v[62:63], v[24:25] offset:1024
	;; [unrolled: 1-line block ×4, first 2 shown]
	v_cmp_ne_u32_e32 vcc, v17, v18
	v_cmp_ne_u32_e64 s[2:3], v20, v21
	v_cndmask_b32_e64 v21, 0, 1, vcc
	v_cmp_ne_u32_e32 vcc, v16, v17
	v_cndmask_b32_e64 v17, 0, 1, vcc
	v_cmp_ne_u32_e32 vcc, v19, v20
	;; [unrolled: 2-line block ×6, first 2 shown]
	v_lshlrev_b16_e32 v16, 8, v16
	v_cndmask_b32_e64 v13, 0, 1, vcc
	v_cmp_ne_u32_e32 vcc, v15, v22
	v_or_b32_e32 v13, v13, v16
	v_cndmask_b32_e64 v16, 0, 1, vcc
	v_cmp_ne_u32_e32 vcc, v14, v15
	v_cndmask_b32_e64 v14, 0, 1, vcc
	v_cmp_ne_u32_e32 vcc, v5, v12
	;; [unrolled: 2-line block ×6, first 2 shown]
	v_lshlrev_b16_e32 v12, 8, v12
	v_lshlrev_b16_e32 v5, 8, v5
	v_cndmask_b32_e64 v8, 0, 1, vcc
	v_cmp_ne_u32_e32 vcc, v4, v6
	v_or_b32_e32 v7, v7, v12
	v_or_b32_sdwa v5, v8, v5 dst_sel:WORD_1 dst_unused:UNUSED_PAD src0_sel:DWORD src1_sel:DWORD
	v_cndmask_b32_e64 v123, 0, 1, vcc
	v_cmp_ne_u32_e32 vcc, v11, v2
	v_or_b32_sdwa v82, v7, v5 dst_sel:DWORD dst_unused:UNUSED_PAD src0_sel:WORD_0 src1_sel:DWORD
	v_cndmask_b32_e64 v5, 0, 1, vcc
	v_cmp_ne_u32_e32 vcc, v10, v11
	v_cndmask_b32_e64 v6, 0, 1, vcc
	v_cmp_ne_u32_e32 vcc, v3, v4
	v_lshlrev_b16_e32 v21, 8, v21
	v_lshlrev_b16_e32 v20, 8, v20
	v_cndmask_b32_e64 v4, 0, 1, vcc
	v_cmp_ne_u32_e32 vcc, v2, v3
	v_or_b32_e32 v17, v17, v21
	v_or_b32_sdwa v18, v18, v20 dst_sel:WORD_1 dst_unused:UNUSED_PAD src0_sel:DWORD src1_sel:DWORD
	v_lshlrev_b16_e32 v4, 8, v4
	v_cndmask_b32_e64 v2, 0, 1, vcc
	v_or_b32_sdwa v85, v17, v18 dst_sel:DWORD dst_unused:UNUSED_PAD src0_sel:WORD_0 src1_sel:DWORD
	v_lshlrev_b16_e32 v16, 8, v16
	v_or_b32_sdwa v18, v2, v4 dst_sel:WORD_1 dst_unused:UNUSED_PAD src0_sel:DWORD src1_sel:DWORD
	v_lshl_add_u32 v2, v0, 2, v23
	s_movk_i32 s4, 0xa0
	v_or_b32_sdwa v14, v14, v16 dst_sel:WORD_1 dst_unused:UNUSED_PAD src0_sel:DWORD src1_sel:DWORD
	v_lshlrev_b16_e32 v5, 8, v5
	v_mad_u32_u24 v12, v0, s4, v2
	v_or_b32_sdwa v84, v13, v14 dst_sel:DWORD dst_unused:UNUSED_PAD src0_sel:WORD_0 src1_sel:DWORD
	v_or_b32_e32 v11, v6, v5
	s_waitcnt vmcnt(0)
	v_cmp_ne_u32_e32 vcc, v1, v10
	v_or_b32_sdwa v83, v11, v18 dst_sel:DWORD dst_unused:UNUSED_PAD src0_sel:WORD_0 src1_sel:DWORD
	v_cndmask_b32_e64 v1, 0, 1, vcc
	s_mov_b64 s[4:5], -1
                                        ; implicit-def: $vgpr128
                                        ; implicit-def: $vgpr127
                                        ; implicit-def: $vgpr126
                                        ; implicit-def: $vgpr125
                                        ; implicit-def: $sgpr63
                                        ; implicit-def: $sgpr8_sgpr9
                                        ; implicit-def: $vgpr78_vgpr79
                                        ; implicit-def: $vgpr74_vgpr75
                                        ; implicit-def: $vgpr18_vgpr19
	s_waitcnt lgkmcnt(0)
	ds_write2st64_b64 v2, v[26:27], v[28:29] offset1:1
	ds_write2st64_b64 v2, v[30:31], v[32:33] offset0:2 offset1:3
	ds_write2st64_b64 v2, v[34:35], v[36:37] offset0:4 offset1:5
	;; [unrolled: 1-line block ×9, first 2 shown]
	ds_write_b64 v2, v[66:67] offset:10240
	s_waitcnt lgkmcnt(0)
	; wave barrier
	s_waitcnt lgkmcnt(0)
	ds_read2_b64 v[2:5], v12 offset1:1
	ds_read2_b64 v[6:9], v12 offset0:2 offset1:3
	ds_read2_b64 v[14:17], v12 offset0:4 offset1:5
	;; [unrolled: 1-line block ×9, first 2 shown]
	ds_read_b64 v[12:13], v12 offset:160
                                        ; implicit-def: $vgpr66_vgpr67
                                        ; implicit-def: $vgpr58_vgpr59
                                        ; implicit-def: $vgpr50_vgpr51
                                        ; implicit-def: $vgpr42_vgpr43
                                        ; implicit-def: $vgpr34_vgpr35
                                        ; implicit-def: $vgpr26_vgpr27
.LBB1110_121:
	s_waitcnt lgkmcnt(0)
	v_pk_mov_b32 v[20:21], s[8:9], s[8:9] op_sel:[0,1]
	v_mov_b32_e32 v36, s63
	s_and_saveexec_b64 s[8:9], s[4:5]
	s_cbranch_execz .LBB1110_123
; %bb.122:
	v_cndmask_b32_e64 v36, 0, 1, s[2:3]
	v_pk_mov_b32 v[18:19], v[4:5], v[4:5] op_sel:[0,1]
	v_pk_mov_b32 v[26:27], v[8:9], v[8:9] op_sel:[0,1]
	;; [unrolled: 1-line block ×11, first 2 shown]
	v_mov_b32_e32 v125, v85
	v_mov_b32_e32 v126, v84
	;; [unrolled: 1-line block ×4, first 2 shown]
.LBB1110_123:
	s_or_b64 exec, exec, s[8:9]
	v_and_b32_e32 v133, 1, v123
	v_and_b32_e32 v131, 1, v124
	;; [unrolled: 1-line block ×4, first 2 shown]
	s_cmp_lg_u32 s6, 0
	v_lshrrev_b32_e32 v134, 8, v128
	v_cmp_eq_u32_e32 vcc, 1, v133
	v_lshrrev_b32_e32 v132, 8, v127
	v_cmp_eq_u32_e64 s[44:45], 1, v131
	v_lshrrev_b32_e32 v130, 8, v126
	v_cmp_eq_u32_e64 s[46:47], 1, v129
	;; [unrolled: 2-line block ×3, first 2 shown]
	v_mbcnt_lo_u32_b32 v37, -1, 0
	s_waitcnt lgkmcnt(0)
	; wave barrier
	s_cbranch_scc0 .LBB1110_186
; %bb.124:
	v_mov_b32_e32 v9, 0
	v_and_b32_e32 v12, 1, v128
	s_movk_i32 s7, 0xff
	v_add_f64 v[4:5], v[2:3], v[18:19]
	v_cmp_eq_u16_sdwa s[2:3], v128, v9 src0_sel:BYTE_0 src1_sel:DWORD
	v_cmp_eq_u32_e64 s[48:49], 1, v12
	v_and_b32_e32 v12, 0x100, v128
	v_cndmask_b32_e64 v5, v19, v5, s[2:3]
	v_cndmask_b32_e64 v4, v18, v4, s[2:3]
	v_cmp_ne_u32_e64 s[52:53], 0, v12
	v_and_b32_sdwa v12, v128, s7 dst_sel:DWORD dst_unused:UNUSED_PAD src0_sel:WORD_1 src1_sel:DWORD
	v_add_f64 v[4:5], v[6:7], v[4:5]
	v_cmp_eq_u16_sdwa s[4:5], v134, v9 src0_sel:BYTE_0 src1_sel:DWORD
	v_cmp_eq_u16_e64 s[66:67], 0, v12
	v_and_b32_e32 v12, 0x10000, v128
	v_cndmask_b32_e64 v5, v7, v5, s[4:5]
	v_cndmask_b32_e64 v4, v6, v4, s[4:5]
	v_cmp_ne_u32_e64 s[54:55], 0, v12
	v_and_b32_e32 v12, 0x1000000, v128
	v_add_f64 v[4:5], v[26:27], v[4:5]
	v_cmp_ne_u32_e64 s[56:57], 0, v12
	v_and_b32_e32 v12, 1, v127
	s_mov_b64 s[14:15], s[58:59]
	v_cndmask_b32_e64 v5, v27, v5, s[66:67]
	v_cndmask_b32_e64 v4, v26, v4, s[66:67]
	v_cmp_eq_u32_e64 s[58:59], 1, v12
	v_and_b32_e32 v12, 0x100, v127
	v_add_f64 v[4:5], v[14:15], v[4:5]
	v_cmp_eq_u16_sdwa s[8:9], v128, v9 src0_sel:BYTE_3 src1_sel:DWORD
	v_cmp_ne_u32_e64 s[60:61], 0, v12
	v_and_b32_sdwa v12, v127, s7 dst_sel:DWORD dst_unused:UNUSED_PAD src0_sel:WORD_1 src1_sel:DWORD
	v_cndmask_b32_e64 v5, v15, v5, s[8:9]
	v_cndmask_b32_e64 v4, v14, v4, s[8:9]
	v_cmp_eq_u16_e64 s[16:17], 0, v12
	v_and_b32_e32 v12, 0x10000, v127
	v_add_f64 v[4:5], v[34:35], v[4:5]
	v_cmp_eq_u16_sdwa s[10:11], v123, v9 src0_sel:BYTE_0 src1_sel:DWORD
	v_cmp_ne_u32_e64 s[62:63], 0, v12
	v_and_b32_e32 v12, 0x1000000, v127
	v_cndmask_b32_e64 v5, v35, v5, s[10:11]
	v_cndmask_b32_e64 v4, v34, v4, s[10:11]
	v_cmp_ne_u32_e64 s[64:65], 0, v12
	v_and_b32_e32 v12, 1, v126
	v_add_f64 v[4:5], v[22:23], v[4:5]
	v_cmp_eq_u16_sdwa s[12:13], v127, v9 src0_sel:BYTE_0 src1_sel:DWORD
	v_cmp_eq_u32_e64 s[68:69], 1, v12
	v_and_b32_e32 v12, 0x100, v126
	v_writelane_b32 v135, s0, 10
	v_cndmask_b32_e64 v5, v23, v5, s[12:13]
	v_cndmask_b32_e64 v4, v22, v4, s[12:13]
	v_cmp_ne_u32_e64 s[70:71], 0, v12
	v_and_b32_sdwa v12, v126, s7 dst_sel:DWORD dst_unused:UNUSED_PAD src0_sel:WORD_1 src1_sel:DWORD
	v_writelane_b32 v135, s1, 11
	v_add_f64 v[4:5], v[42:43], v[4:5]
	v_cmp_eq_u16_sdwa s[0:1], v132, v9 src0_sel:BYTE_0 src1_sel:DWORD
	v_cmp_eq_u16_e64 s[26:27], 0, v12
	v_and_b32_e32 v12, 0x10000, v126
	v_cndmask_b32_e64 v5, v43, v5, s[0:1]
	v_cndmask_b32_e64 v4, v42, v4, s[0:1]
	v_cmp_ne_u32_e64 s[72:73], 0, v12
	v_and_b32_e32 v12, 0x1000000, v126
	v_add_f64 v[4:5], v[30:31], v[4:5]
	v_cmp_ne_u32_e64 s[74:75], 0, v12
	v_and_b32_e32 v12, 1, v125
	v_cndmask_b32_e64 v5, v31, v5, s[16:17]
	v_cndmask_b32_e64 v4, v30, v4, s[16:17]
	v_cmp_eq_u32_e64 s[76:77], 1, v12
	v_and_b32_e32 v12, 0x100, v125
	v_add_f64 v[4:5], v[50:51], v[4:5]
	v_cmp_eq_u16_sdwa s[18:19], v127, v9 src0_sel:BYTE_3 src1_sel:DWORD
	v_cmp_ne_u32_e64 s[78:79], 0, v12
	v_and_b32_sdwa v12, v125, s7 dst_sel:DWORD dst_unused:UNUSED_PAD src0_sel:WORD_1 src1_sel:DWORD
	v_cndmask_b32_e64 v5, v51, v5, s[18:19]
	v_cndmask_b32_e64 v4, v50, v4, s[18:19]
	v_cmp_eq_u16_e64 s[38:39], 0, v12
	v_and_b32_e32 v12, 0x10000, v125
	v_add_f64 v[4:5], v[38:39], v[4:5]
	v_cmp_eq_u16_sdwa s[20:21], v124, v9 src0_sel:BYTE_0 src1_sel:DWORD
	v_cmp_ne_u32_e64 s[80:81], 0, v12
	v_and_b32_e32 v12, 0x1000000, v125
	v_cndmask_b32_e64 v5, v39, v5, s[20:21]
	v_cndmask_b32_e64 v4, v38, v4, s[20:21]
	v_cmp_ne_u32_e64 s[82:83], 0, v12
	v_add_f64 v[4:5], v[58:59], v[4:5]
	v_cmp_eq_u16_sdwa s[22:23], v126, v9 src0_sel:BYTE_0 src1_sel:DWORD
	s_or_b64 s[50:51], s[50:51], s[82:83]
	v_cndmask_b32_e64 v5, v59, v5, s[22:23]
	v_cndmask_b32_e64 v4, v58, v4, s[22:23]
	s_or_b64 s[50:51], s[50:51], s[80:81]
	v_add_f64 v[4:5], v[46:47], v[4:5]
	v_cmp_eq_u16_sdwa s[24:25], v130, v9 src0_sel:BYTE_0 src1_sel:DWORD
	s_or_b64 s[50:51], s[50:51], s[78:79]
	v_cndmask_b32_e64 v5, v47, v5, s[24:25]
	v_cndmask_b32_e64 v4, v46, v4, s[24:25]
	s_or_b64 s[50:51], s[50:51], s[76:77]
	v_add_f64 v[4:5], v[66:67], v[4:5]
	s_or_b64 s[46:47], s[50:51], s[46:47]
	v_cndmask_b32_e64 v5, v67, v5, s[26:27]
	v_cndmask_b32_e64 v4, v66, v4, s[26:27]
	s_or_b64 s[46:47], s[46:47], s[74:75]
	v_add_f64 v[4:5], v[54:55], v[4:5]
	v_cmp_eq_u16_sdwa s[28:29], v126, v9 src0_sel:BYTE_3 src1_sel:DWORD
	s_or_b64 s[46:47], s[46:47], s[72:73]
	v_cndmask_b32_e64 v5, v55, v5, s[28:29]
	v_cndmask_b32_e64 v4, v54, v4, s[28:29]
	s_or_b64 s[46:47], s[46:47], s[70:71]
	v_add_f64 v[4:5], v[74:75], v[4:5]
	v_cmp_eq_u16_sdwa s[30:31], v122, v9 src0_sel:BYTE_0 src1_sel:DWORD
	s_or_b64 s[46:47], s[46:47], s[68:69]
	v_cndmask_b32_e64 v5, v75, v5, s[30:31]
	v_cndmask_b32_e64 v4, v74, v4, s[30:31]
	s_or_b64 s[44:45], s[46:47], s[44:45]
	v_add_f64 v[4:5], v[62:63], v[4:5]
	v_cmp_eq_u16_sdwa s[34:35], v125, v9 src0_sel:BYTE_0 src1_sel:DWORD
	;; [unrolled: 6-line block ×3, first 2 shown]
	s_or_b64 s[44:45], s[44:45], s[60:61]
	v_cndmask_b32_e64 v5, v79, v5, s[36:37]
	v_cndmask_b32_e64 v4, v78, v4, s[36:37]
	s_or_b64 s[44:45], s[44:45], s[58:59]
	v_add_f64 v[4:5], v[70:71], v[4:5]
	s_or_b64 s[44:45], s[44:45], vcc
	v_cndmask_b32_e64 v5, v71, v5, s[38:39]
	v_cndmask_b32_e64 v4, v70, v4, s[38:39]
	s_or_b64 s[44:45], s[44:45], s[56:57]
	v_add_f64 v[4:5], v[10:11], v[4:5]
	v_cmp_eq_u16_sdwa s[40:41], v125, v9 src0_sel:BYTE_3 src1_sel:DWORD
	s_or_b64 s[44:45], s[44:45], s[54:55]
	v_cndmask_b32_e64 v5, v11, v5, s[40:41]
	v_cndmask_b32_e64 v4, v10, v4, s[40:41]
	s_or_b64 s[44:45], s[44:45], s[52:53]
	v_and_b32_e32 v8, 0xff, v1
	v_add_f64 v[4:5], v[20:21], v[4:5]
	v_cmp_eq_u16_sdwa s[42:43], v36, v9 src0_sel:BYTE_0 src1_sel:DWORD
	s_or_b64 s[44:45], s[44:45], s[48:49]
	v_mbcnt_hi_u32_b32 v13, -1, v37
	v_cndmask_b32_e64 v5, v21, v5, s[42:43]
	v_cndmask_b32_e64 v4, v20, v4, s[42:43]
	;; [unrolled: 1-line block ×3, first 2 shown]
	v_and_b32_e32 v16, 15, v13
	v_mov_b32_dpp v8, v4 row_shr:1 row_mask:0xf bank_mask:0xf
	v_mov_b32_dpp v9, v5 row_shr:1 row_mask:0xf bank_mask:0xf
	;; [unrolled: 1-line block ×3, first 2 shown]
	v_cmp_ne_u32_e32 vcc, 0, v16
	s_and_saveexec_b64 s[44:45], vcc
; %bb.125:
	v_add_f64 v[8:9], v[4:5], v[8:9]
	v_cmp_eq_u32_e32 vcc, 0, v12
	v_cndmask_b32_e32 v5, v5, v9, vcc
	v_cndmask_b32_e32 v4, v4, v8, vcc
	v_and_or_b32 v12, v17, 1, v12
; %bb.126:
	s_or_b64 exec, exec, s[44:45]
	v_mov_b32_dpp v8, v4 row_shr:2 row_mask:0xf bank_mask:0xf
	v_mov_b32_dpp v9, v5 row_shr:2 row_mask:0xf bank_mask:0xf
	;; [unrolled: 1-line block ×3, first 2 shown]
	v_cmp_lt_u32_e32 vcc, 1, v16
	s_and_saveexec_b64 s[44:45], vcc
; %bb.127:
	v_add_f64 v[8:9], v[4:5], v[8:9]
	v_cmp_eq_u32_e32 vcc, 0, v12
	v_cndmask_b32_e32 v4, v4, v8, vcc
	v_or_b32_e32 v8, v17, v12
	v_cndmask_b32_e32 v5, v5, v9, vcc
	v_and_b32_e32 v12, 1, v8
; %bb.128:
	s_or_b64 exec, exec, s[44:45]
	v_mov_b32_dpp v8, v4 row_shr:4 row_mask:0xf bank_mask:0xf
	v_mov_b32_dpp v9, v5 row_shr:4 row_mask:0xf bank_mask:0xf
	;; [unrolled: 1-line block ×3, first 2 shown]
	v_cmp_lt_u32_e32 vcc, 3, v16
	s_and_saveexec_b64 s[44:45], vcc
	s_mov_b64 s[58:59], s[14:15]
; %bb.129:
	v_add_f64 v[8:9], v[4:5], v[8:9]
	v_cmp_eq_u32_e32 vcc, 0, v12
	v_cndmask_b32_e32 v4, v4, v8, vcc
	v_or_b32_e32 v8, v17, v12
	v_cndmask_b32_e32 v5, v5, v9, vcc
	v_and_b32_e32 v12, 1, v8
; %bb.130:
	s_or_b64 exec, exec, s[44:45]
	v_mov_b32_dpp v8, v4 row_shr:8 row_mask:0xf bank_mask:0xf
	v_mov_b32_dpp v9, v5 row_shr:8 row_mask:0xf bank_mask:0xf
	;; [unrolled: 1-line block ×3, first 2 shown]
	v_cmp_lt_u32_e32 vcc, 7, v16
	s_and_saveexec_b64 s[44:45], vcc
; %bb.131:
	v_add_f64 v[8:9], v[4:5], v[8:9]
	v_cmp_eq_u32_e32 vcc, 0, v12
	v_cndmask_b32_e32 v4, v4, v8, vcc
	v_or_b32_e32 v8, v17, v12
	v_cndmask_b32_e32 v5, v5, v9, vcc
	v_and_b32_e32 v12, 1, v8
; %bb.132:
	s_or_b64 exec, exec, s[44:45]
	v_and_b32_e32 v17, 16, v13
	v_mov_b32_dpp v8, v4 row_bcast:15 row_mask:0xf bank_mask:0xf
	v_mov_b32_dpp v9, v5 row_bcast:15 row_mask:0xf bank_mask:0xf
	;; [unrolled: 1-line block ×3, first 2 shown]
	v_cmp_ne_u32_e32 vcc, 0, v17
	s_and_saveexec_b64 s[44:45], vcc
; %bb.133:
	v_add_f64 v[8:9], v[4:5], v[8:9]
	v_cmp_eq_u32_e32 vcc, 0, v12
	v_cndmask_b32_e32 v4, v4, v8, vcc
	v_or_b32_e32 v8, v16, v12
	v_cndmask_b32_e32 v5, v5, v9, vcc
	v_and_b32_e32 v12, 1, v8
; %bb.134:
	s_or_b64 exec, exec, s[44:45]
	v_mov_b32_dpp v8, v4 row_bcast:31 row_mask:0xf bank_mask:0xf
	v_mov_b32_dpp v9, v5 row_bcast:31 row_mask:0xf bank_mask:0xf
	;; [unrolled: 1-line block ×3, first 2 shown]
	v_cmp_lt_u32_e32 vcc, 31, v13
	v_mov_b32_e32 v16, v12
	s_and_saveexec_b64 s[44:45], vcc
; %bb.135:
	v_add_f64 v[8:9], v[4:5], v[8:9]
	v_cmp_eq_u32_e32 vcc, 0, v12
	v_cndmask_b32_e32 v4, v4, v8, vcc
	v_or_b32_e32 v8, v17, v12
	v_cndmask_b32_e32 v5, v5, v9, vcc
	v_and_b32_e32 v16, 1, v8
	v_and_b32_e32 v12, 1, v8
; %bb.136:
	s_or_b64 exec, exec, s[44:45]
	v_cmp_eq_u32_e32 vcc, 63, v0
	s_and_saveexec_b64 s[44:45], vcc
	s_cbranch_execz .LBB1110_138
; %bb.137:
	v_mov_b32_e32 v8, 0
	ds_write_b64 v8, v[4:5]
	ds_write_b8 v8, v16 offset:8
.LBB1110_138:
	s_or_b64 exec, exec, s[44:45]
	v_add_u32_e32 v8, -1, v13
	v_and_b32_e32 v9, 64, v13
	v_cmp_lt_i32_e32 vcc, v8, v9
	v_cndmask_b32_e32 v8, v8, v13, vcc
	v_lshlrev_b32_e32 v8, 2, v8
	ds_bpermute_b32 v4, v8, v4
	ds_bpermute_b32 v5, v8, v5
	;; [unrolled: 1-line block ×3, first 2 shown]
	v_cmp_gt_u32_e32 vcc, 64, v0
	s_waitcnt lgkmcnt(0)
	; wave barrier
	s_waitcnt lgkmcnt(0)
	s_and_saveexec_b64 s[48:49], vcc
	s_cbranch_execz .LBB1110_185
; %bb.139:
	v_mov_b32_e32 v17, 0
	ds_read_b64 v[8:9], v17
	ds_read_u8 v45, v17 offset:8
	s_mov_b32 s51, 0
	v_cmp_eq_u32_e64 s[44:45], 0, v13
	s_and_saveexec_b64 s[46:47], s[44:45]
	s_cbranch_execz .LBB1110_141
; %bb.140:
	s_add_i32 s50, s6, 64
	s_lshl_b64 s[52:53], s[50:51], 4
	s_add_u32 s52, s84, s52
	s_addc_u32 s53, s85, s53
	v_mov_b32_e32 v12, s50
	v_mov_b32_e32 v16, 1
	s_waitcnt lgkmcnt(1)
	global_store_dwordx2 v17, v[8:9], s[52:53]
	s_waitcnt lgkmcnt(0)
	global_store_byte v17, v45, s[52:53] offset:8
	s_waitcnt vmcnt(0)
	buffer_wbinvl1_vol
	global_store_byte v12, v16, s[88:89]
.LBB1110_141:
	s_or_b64 exec, exec, s[46:47]
	v_xad_u32 v12, v13, -1, s6
	v_add_u32_e32 v16, 64, v12
	global_load_ubyte v48, v16, s[88:89] glc
	s_waitcnt vmcnt(0)
	v_cmp_eq_u16_e32 vcc, 0, v48
	s_and_saveexec_b64 s[46:47], vcc
	s_cbranch_execz .LBB1110_147
; %bb.142:
	v_mov_b32_e32 v25, s89
	v_add_co_u32_e32 v24, vcc, s88, v16
	v_addc_co_u32_e32 v25, vcc, 0, v25, vcc
	s_mov_b32 s7, 1
	s_mov_b64 s[50:51], 0
.LBB1110_143:                           ; =>This Loop Header: Depth=1
                                        ;     Child Loop BB1110_144 Depth 2
	s_max_u32 s52, s7, 1
.LBB1110_144:                           ;   Parent Loop BB1110_143 Depth=1
                                        ; =>  This Inner Loop Header: Depth=2
	s_add_i32 s52, s52, -1
	s_cmp_eq_u32 s52, 0
	s_sleep 1
	s_cbranch_scc0 .LBB1110_144
; %bb.145:                              ;   in Loop: Header=BB1110_143 Depth=1
	global_load_ubyte v48, v[24:25], off glc
	s_cmp_lt_u32 s7, 32
	s_cselect_b64 s[52:53], -1, 0
	s_cmp_lg_u64 s[52:53], 0
	s_addc_u32 s7, s7, 0
	s_waitcnt vmcnt(0)
	v_cmp_ne_u16_e32 vcc, 0, v48
	s_or_b64 s[50:51], vcc, s[50:51]
	s_andn2_b64 exec, exec, s[50:51]
	s_cbranch_execnz .LBB1110_143
; %bb.146:
	s_or_b64 exec, exec, s[50:51]
.LBB1110_147:
	s_or_b64 exec, exec, s[46:47]
	v_mov_b32_e32 v24, s87
	v_mov_b32_e32 v25, s85
	v_cmp_eq_u16_e32 vcc, 1, v48
	v_cndmask_b32_e32 v24, v24, v25, vcc
	v_mov_b32_e32 v25, s86
	v_mov_b32_e32 v28, s84
	v_cndmask_b32_e32 v25, v25, v28, vcc
	v_lshlrev_b64 v[16:17], 4, v[16:17]
	v_add_co_u32_e32 v16, vcc, v25, v16
	v_addc_co_u32_e32 v17, vcc, v24, v17, vcc
	s_waitcnt lgkmcnt(0)
	buffer_wbinvl1_vol
	global_load_dwordx2 v[28:29], v[16:17], off
	global_load_ubyte v32, v[16:17], off offset:8
	v_cmp_eq_u16_e32 vcc, 2, v48
	v_lshlrev_b64 v[16:17], v13, -1
	v_and_b32_e32 v49, 63, v13
	v_and_b32_e32 v24, vcc_hi, v17
	v_and_b32_e32 v33, vcc_lo, v16
	v_cmp_ne_u32_e32 vcc, 63, v49
	v_addc_co_u32_e32 v25, vcc, 0, v13, vcc
	v_or_b32_e32 v24, 0x80000000, v24
	v_lshlrev_b32_e32 v52, 2, v25
	v_ffbl_b32_e32 v56, v24
	v_add_u32_e32 v56, 32, v56
	v_ffbl_b32_e32 v33, v33
	v_min_u32_e32 v33, v33, v56
	v_cmp_lt_u32_e32 vcc, v49, v33
	s_waitcnt vmcnt(1)
	ds_bpermute_b32 v24, v52, v28
	s_waitcnt vmcnt(0)
	v_and_b32_e32 v72, 1, v32
	ds_bpermute_b32 v25, v52, v29
	ds_bpermute_b32 v53, v52, v72
	s_and_saveexec_b64 s[46:47], vcc
	s_cbranch_execz .LBB1110_149
; %bb.148:
	v_mov_b32_e32 v56, 0
	s_waitcnt lgkmcnt(1)
	v_add_f64 v[24:25], v[28:29], v[24:25]
	v_cmp_eq_u16_sdwa vcc, v32, v56 src0_sel:BYTE_0 src1_sel:DWORD
	v_cndmask_b32_e32 v28, v28, v24, vcc
	s_waitcnt lgkmcnt(0)
	v_and_b32_e32 v24, 1, v53
	v_or_b32_e32 v32, v24, v32
	v_cndmask_b32_e32 v29, v29, v25, vcc
	v_and_b32_e32 v72, 0xff, v32
.LBB1110_149:
	s_or_b64 exec, exec, s[46:47]
	v_cmp_gt_u32_e32 vcc, 62, v49
	s_waitcnt lgkmcnt(2)
	v_cndmask_b32_e64 v24, 0, 1, vcc
	v_lshlrev_b32_e32 v24, 1, v24
	s_waitcnt lgkmcnt(0)
	v_add_lshl_u32 v53, v24, v13, 2
	ds_bpermute_b32 v24, v53, v28
	ds_bpermute_b32 v25, v53, v29
	ds_bpermute_b32 v57, v53, v72
	v_add_u32_e32 v56, 2, v49
	v_cmp_le_u32_e32 vcc, v56, v33
	s_and_saveexec_b64 s[50:51], vcc
	s_cbranch_execz .LBB1110_151
; %bb.150:
	v_mov_b32_e32 v60, 0
	s_waitcnt lgkmcnt(1)
	v_add_f64 v[24:25], v[28:29], v[24:25]
	v_cmp_eq_u16_sdwa vcc, v32, v60 src0_sel:BYTE_0 src1_sel:DWORD
	v_cndmask_b32_e32 v28, v28, v24, vcc
	v_and_b32_e32 v24, 1, v32
	v_cndmask_b32_e32 v29, v29, v25, vcc
	v_cmp_eq_u32_e32 vcc, 1, v24
	s_waitcnt lgkmcnt(0)
	v_and_b32_e32 v24, 1, v57
	v_cmp_eq_u32_e64 s[46:47], 1, v24
	s_or_b64 s[46:47], vcc, s[46:47]
	v_cndmask_b32_e64 v32, 0, 1, s[46:47]
	v_cndmask_b32_e64 v72, 0, 1, s[46:47]
.LBB1110_151:
	s_or_b64 exec, exec, s[50:51]
	v_cmp_gt_u32_e32 vcc, 60, v49
	s_waitcnt lgkmcnt(2)
	v_cndmask_b32_e64 v24, 0, 1, vcc
	v_lshlrev_b32_e32 v24, 2, v24
	s_waitcnt lgkmcnt(0)
	v_add_lshl_u32 v57, v24, v13, 2
	ds_bpermute_b32 v24, v57, v28
	ds_bpermute_b32 v25, v57, v29
	ds_bpermute_b32 v61, v57, v72
	v_add_u32_e32 v60, 4, v49
	v_cmp_le_u32_e32 vcc, v60, v33
	s_and_saveexec_b64 s[50:51], vcc
	s_cbranch_execz .LBB1110_153
; %bb.152:
	v_mov_b32_e32 v64, 0
	s_waitcnt lgkmcnt(1)
	v_add_f64 v[24:25], v[28:29], v[24:25]
	v_cmp_eq_u16_sdwa vcc, v32, v64 src0_sel:BYTE_0 src1_sel:DWORD
	v_cndmask_b32_e32 v28, v28, v24, vcc
	v_and_b32_e32 v24, 1, v32
	v_cndmask_b32_e32 v29, v29, v25, vcc
	v_cmp_eq_u32_e32 vcc, 1, v24
	s_waitcnt lgkmcnt(0)
	v_and_b32_e32 v24, 1, v61
	v_cmp_eq_u32_e64 s[46:47], 1, v24
	s_or_b64 s[46:47], vcc, s[46:47]
	v_cndmask_b32_e64 v32, 0, 1, s[46:47]
	v_cndmask_b32_e64 v72, 0, 1, s[46:47]
.LBB1110_153:
	;; [unrolled: 30-line block ×4, first 2 shown]
	s_or_b64 exec, exec, s[50:51]
	v_cmp_gt_u32_e32 vcc, 32, v49
	s_waitcnt lgkmcnt(2)
	v_cndmask_b32_e64 v24, 0, 1, vcc
	v_lshlrev_b32_e32 v24, 5, v24
	s_waitcnt lgkmcnt(0)
	v_add_lshl_u32 v69, v24, v13, 2
	ds_bpermute_b32 v24, v69, v28
	ds_bpermute_b32 v25, v69, v29
	;; [unrolled: 1-line block ×3, first 2 shown]
	v_add_u32_e32 v73, 32, v49
	v_cmp_le_u32_e32 vcc, v73, v33
	s_and_saveexec_b64 s[50:51], vcc
	s_cbranch_execz .LBB1110_159
; %bb.158:
	v_mov_b32_e32 v33, 0
	s_waitcnt lgkmcnt(1)
	v_add_f64 v[24:25], v[28:29], v[24:25]
	v_cmp_eq_u16_sdwa vcc, v32, v33 src0_sel:BYTE_0 src1_sel:DWORD
	v_cndmask_b32_e32 v28, v28, v24, vcc
	v_and_b32_e32 v24, 1, v32
	s_waitcnt lgkmcnt(0)
	v_and_b32_e32 v13, 1, v13
	v_cndmask_b32_e32 v29, v29, v25, vcc
	v_cmp_eq_u32_e32 vcc, 1, v24
	v_cmp_eq_u32_e64 s[46:47], 1, v13
	s_or_b64 s[46:47], vcc, s[46:47]
	v_cndmask_b32_e64 v32, 0, 1, s[46:47]
.LBB1110_159:
	s_or_b64 exec, exec, s[50:51]
	s_waitcnt lgkmcnt(0)
	v_mov_b32_e32 v13, 0
	v_mov_b32_e32 v76, 2
	s_branch .LBB1110_161
.LBB1110_160:                           ;   in Loop: Header=BB1110_161 Depth=1
	s_or_b64 exec, exec, s[52:53]
	v_add_f64 v[28:29], v[24:25], v[28:29]
	v_cmp_eq_u16_sdwa vcc, v72, v13 src0_sel:BYTE_0 src1_sel:DWORD
	s_waitcnt lgkmcnt(2)
	v_and_b32_e32 v32, 1, v72
	v_cndmask_b32_e32 v29, v25, v29, vcc
	v_cndmask_b32_e32 v28, v24, v28, vcc
	v_cmp_eq_u32_e32 vcc, 1, v32
	s_or_b64 s[46:47], vcc, s[50:51]
	v_subrev_u32_e32 v12, 64, v12
	v_cndmask_b32_e64 v32, 0, 1, s[46:47]
.LBB1110_161:                           ; =>This Loop Header: Depth=1
                                        ;     Child Loop BB1110_164 Depth 2
                                        ;       Child Loop BB1110_165 Depth 3
	v_cmp_ne_u16_sdwa s[46:47], v48, v76 src0_sel:BYTE_0 src1_sel:DWORD
	v_cndmask_b32_e64 v24, 0, 1, s[46:47]
	;;#ASMSTART
	;;#ASMEND
	v_cmp_ne_u32_e32 vcc, 0, v24
	v_mov_b32_e32 v72, v32
	s_cmp_lg_u64 vcc, exec
	v_pk_mov_b32 v[24:25], v[28:29], v[28:29] op_sel:[0,1]
	s_cbranch_scc1 .LBB1110_180
; %bb.162:                              ;   in Loop: Header=BB1110_161 Depth=1
	global_load_ubyte v48, v12, s[88:89] glc
	s_waitcnt vmcnt(0)
	v_cmp_eq_u16_e32 vcc, 0, v48
	s_and_saveexec_b64 s[46:47], vcc
	s_cbranch_execz .LBB1110_168
; %bb.163:                              ;   in Loop: Header=BB1110_161 Depth=1
	v_mov_b32_e32 v29, s89
	v_add_co_u32_e32 v28, vcc, s88, v12
	v_addc_co_u32_e32 v29, vcc, 0, v29, vcc
	s_mov_b32 s7, 1
	s_mov_b64 s[50:51], 0
.LBB1110_164:                           ;   Parent Loop BB1110_161 Depth=1
                                        ; =>  This Loop Header: Depth=2
                                        ;       Child Loop BB1110_165 Depth 3
	s_max_u32 s52, s7, 1
.LBB1110_165:                           ;   Parent Loop BB1110_161 Depth=1
                                        ;     Parent Loop BB1110_164 Depth=2
                                        ; =>    This Inner Loop Header: Depth=3
	s_add_i32 s52, s52, -1
	s_cmp_eq_u32 s52, 0
	s_sleep 1
	s_cbranch_scc0 .LBB1110_165
; %bb.166:                              ;   in Loop: Header=BB1110_164 Depth=2
	global_load_ubyte v48, v[28:29], off glc
	s_cmp_lt_u32 s7, 32
	s_cselect_b64 s[52:53], -1, 0
	s_cmp_lg_u64 s[52:53], 0
	s_addc_u32 s7, s7, 0
	s_waitcnt vmcnt(0)
	v_cmp_ne_u16_e32 vcc, 0, v48
	s_or_b64 s[50:51], vcc, s[50:51]
	s_andn2_b64 exec, exec, s[50:51]
	s_cbranch_execnz .LBB1110_164
; %bb.167:                              ;   in Loop: Header=BB1110_161 Depth=1
	s_or_b64 exec, exec, s[50:51]
.LBB1110_168:                           ;   in Loop: Header=BB1110_161 Depth=1
	s_or_b64 exec, exec, s[46:47]
	v_mov_b32_e32 v28, s87
	v_mov_b32_e32 v29, s85
	v_cmp_eq_u16_e32 vcc, 1, v48
	s_waitcnt lgkmcnt(1)
	v_cndmask_b32_e32 v33, v28, v29, vcc
	v_mov_b32_e32 v28, s86
	v_mov_b32_e32 v29, s84
	v_cndmask_b32_e32 v32, v28, v29, vcc
	v_lshlrev_b64 v[28:29], 4, v[12:13]
	v_add_co_u32_e32 v32, vcc, v32, v28
	v_addc_co_u32_e32 v33, vcc, v33, v29, vcc
	buffer_wbinvl1_vol
	global_load_dwordx2 v[28:29], v[32:33], off
	global_load_ubyte v77, v[32:33], off offset:8
	v_cmp_eq_u16_e32 vcc, 2, v48
	v_and_b32_e32 v32, vcc_hi, v17
	v_or_b32_e32 v32, 0x80000000, v32
	v_ffbl_b32_e32 v83, v32
	v_and_b32_e32 v80, vcc_lo, v16
	v_add_u32_e32 v83, 32, v83
	v_ffbl_b32_e32 v80, v80
	v_min_u32_e32 v80, v80, v83
	v_cmp_lt_u32_e32 vcc, v49, v80
	s_waitcnt vmcnt(1)
	ds_bpermute_b32 v32, v52, v28
	s_waitcnt vmcnt(0) lgkmcnt(1)
	v_and_b32_e32 v81, 1, v77
	ds_bpermute_b32 v33, v52, v29
	ds_bpermute_b32 v82, v52, v81
	s_and_saveexec_b64 s[46:47], vcc
	s_cbranch_execz .LBB1110_170
; %bb.169:                              ;   in Loop: Header=BB1110_161 Depth=1
	s_waitcnt lgkmcnt(1)
	v_add_f64 v[32:33], v[28:29], v[32:33]
	v_cmp_eq_u16_sdwa vcc, v77, v13 src0_sel:BYTE_0 src1_sel:DWORD
	v_cndmask_b32_e32 v28, v28, v32, vcc
	s_waitcnt lgkmcnt(0)
	v_and_b32_e32 v32, 1, v82
	v_or_b32_e32 v77, v32, v77
	v_cndmask_b32_e32 v29, v29, v33, vcc
	v_and_b32_e32 v81, 0xff, v77
.LBB1110_170:                           ;   in Loop: Header=BB1110_161 Depth=1
	s_or_b64 exec, exec, s[46:47]
	s_waitcnt lgkmcnt(2)
	ds_bpermute_b32 v32, v53, v28
	s_waitcnt lgkmcnt(2)
	ds_bpermute_b32 v33, v53, v29
	;; [unrolled: 2-line block ×3, first 2 shown]
	v_and_b32_e32 v83, 1, v77
	v_cmp_le_u32_e32 vcc, v56, v80
	v_cmp_eq_u32_e64 s[50:51], 1, v83
	s_and_saveexec_b64 s[46:47], vcc
	s_cbranch_execz .LBB1110_172
; %bb.171:                              ;   in Loop: Header=BB1110_161 Depth=1
	s_waitcnt lgkmcnt(1)
	v_add_f64 v[32:33], v[28:29], v[32:33]
	v_cmp_eq_u16_sdwa vcc, v77, v13 src0_sel:BYTE_0 src1_sel:DWORD
	v_cndmask_b32_e32 v28, v28, v32, vcc
	s_waitcnt lgkmcnt(0)
	v_and_b32_e32 v32, 1, v82
	v_cndmask_b32_e32 v29, v29, v33, vcc
	v_cmp_eq_u32_e32 vcc, 1, v32
	s_or_b64 s[52:53], s[50:51], vcc
	v_cndmask_b32_e64 v77, 0, 1, s[52:53]
	v_cndmask_b32_e64 v81, 0, 1, s[52:53]
	s_andn2_b64 s[50:51], s[50:51], exec
	s_and_b64 s[52:53], s[52:53], exec
	s_or_b64 s[50:51], s[50:51], s[52:53]
.LBB1110_172:                           ;   in Loop: Header=BB1110_161 Depth=1
	s_or_b64 exec, exec, s[46:47]
	s_waitcnt lgkmcnt(2)
	ds_bpermute_b32 v32, v57, v28
	s_waitcnt lgkmcnt(2)
	ds_bpermute_b32 v33, v57, v29
	s_waitcnt lgkmcnt(2)
	ds_bpermute_b32 v82, v57, v81
	v_cmp_le_u32_e32 vcc, v60, v80
	s_and_saveexec_b64 s[52:53], vcc
	s_cbranch_execz .LBB1110_174
; %bb.173:                              ;   in Loop: Header=BB1110_161 Depth=1
	s_waitcnt lgkmcnt(1)
	v_add_f64 v[32:33], v[28:29], v[32:33]
	v_cmp_eq_u16_sdwa vcc, v77, v13 src0_sel:BYTE_0 src1_sel:DWORD
	v_cndmask_b32_e32 v28, v28, v32, vcc
	v_and_b32_e32 v32, 1, v77
	v_cndmask_b32_e32 v29, v29, v33, vcc
	v_cmp_eq_u32_e32 vcc, 1, v32
	s_waitcnt lgkmcnt(0)
	v_and_b32_e32 v32, 1, v82
	v_cmp_eq_u32_e64 s[46:47], 1, v32
	s_or_b64 s[46:47], vcc, s[46:47]
	v_cndmask_b32_e64 v77, 0, 1, s[46:47]
	v_cndmask_b32_e64 v81, 0, 1, s[46:47]
	s_andn2_b64 s[50:51], s[50:51], exec
	s_and_b64 s[46:47], s[46:47], exec
	s_or_b64 s[50:51], s[50:51], s[46:47]
.LBB1110_174:                           ;   in Loop: Header=BB1110_161 Depth=1
	s_or_b64 exec, exec, s[52:53]
	s_waitcnt lgkmcnt(2)
	ds_bpermute_b32 v32, v61, v28
	s_waitcnt lgkmcnt(2)
	ds_bpermute_b32 v33, v61, v29
	s_waitcnt lgkmcnt(2)
	ds_bpermute_b32 v82, v61, v81
	v_cmp_le_u32_e32 vcc, v64, v80
	s_and_saveexec_b64 s[52:53], vcc
	s_cbranch_execz .LBB1110_176
; %bb.175:                              ;   in Loop: Header=BB1110_161 Depth=1
	s_waitcnt lgkmcnt(1)
	v_add_f64 v[32:33], v[28:29], v[32:33]
	v_cmp_eq_u16_sdwa vcc, v77, v13 src0_sel:BYTE_0 src1_sel:DWORD
	v_cndmask_b32_e32 v28, v28, v32, vcc
	v_and_b32_e32 v32, 1, v77
	v_cndmask_b32_e32 v29, v29, v33, vcc
	v_cmp_eq_u32_e32 vcc, 1, v32
	s_waitcnt lgkmcnt(0)
	v_and_b32_e32 v32, 1, v82
	v_cmp_eq_u32_e64 s[46:47], 1, v32
	s_or_b64 s[46:47], vcc, s[46:47]
	v_cndmask_b32_e64 v77, 0, 1, s[46:47]
	v_cndmask_b32_e64 v81, 0, 1, s[46:47]
	s_andn2_b64 s[50:51], s[50:51], exec
	s_and_b64 s[46:47], s[46:47], exec
	s_or_b64 s[50:51], s[50:51], s[46:47]
.LBB1110_176:                           ;   in Loop: Header=BB1110_161 Depth=1
	;; [unrolled: 28-line block ×3, first 2 shown]
	s_or_b64 exec, exec, s[52:53]
	s_waitcnt lgkmcnt(2)
	ds_bpermute_b32 v32, v69, v28
	s_waitcnt lgkmcnt(2)
	ds_bpermute_b32 v33, v69, v29
	ds_bpermute_b32 v81, v69, v81
	v_cmp_le_u32_e32 vcc, v73, v80
	s_and_saveexec_b64 s[52:53], vcc
	s_cbranch_execz .LBB1110_160
; %bb.179:                              ;   in Loop: Header=BB1110_161 Depth=1
	s_waitcnt lgkmcnt(1)
	v_add_f64 v[32:33], v[28:29], v[32:33]
	v_cmp_eq_u16_sdwa vcc, v77, v13 src0_sel:BYTE_0 src1_sel:DWORD
	v_cndmask_b32_e32 v28, v28, v32, vcc
	v_and_b32_e32 v32, 1, v77
	v_cndmask_b32_e32 v29, v29, v33, vcc
	v_cmp_eq_u32_e32 vcc, 1, v32
	s_waitcnt lgkmcnt(0)
	v_and_b32_e32 v32, 1, v81
	v_cmp_eq_u32_e64 s[46:47], 1, v32
	s_or_b64 s[46:47], vcc, s[46:47]
	s_andn2_b64 s[50:51], s[50:51], exec
	s_and_b64 s[46:47], s[46:47], exec
	s_or_b64 s[50:51], s[50:51], s[46:47]
	s_branch .LBB1110_160
.LBB1110_180:                           ;   in Loop: Header=BB1110_161 Depth=1
                                        ; implicit-def: $vgpr32
                                        ; implicit-def: $vgpr28_vgpr29
                                        ; implicit-def: $vgpr48
	s_cbranch_execz .LBB1110_161
; %bb.181:
	s_and_saveexec_b64 s[46:47], s[44:45]
	s_cbranch_execz .LBB1110_183
; %bb.182:
	s_mov_b32 s7, 0
	s_add_i32 s6, s6, 64
	v_mov_b32_e32 v16, 0
	s_lshl_b64 s[44:45], s[6:7], 4
	v_add_f64 v[12:13], v[8:9], v[24:25]
	v_cmp_eq_u16_sdwa vcc, v45, v16 src0_sel:BYTE_0 src1_sel:DWORD
	s_add_u32 s44, s86, s44
	v_cndmask_b32_e32 v9, v9, v13, vcc
	v_cndmask_b32_e32 v8, v8, v12, vcc
	v_or_b32_e32 v12, v45, v72
	s_addc_u32 s45, s87, s45
	v_and_b32_e32 v12, 1, v12
	global_store_dwordx2 v16, v[8:9], s[44:45]
	global_store_byte v16, v12, s[44:45] offset:8
	v_mov_b32_e32 v8, s6
	v_mov_b32_e32 v9, 2
	s_waitcnt vmcnt(0) lgkmcnt(0)
	buffer_wbinvl1_vol
	global_store_byte v8, v9, s[88:89]
.LBB1110_183:
	s_or_b64 exec, exec, s[46:47]
	v_cmp_eq_u32_e32 vcc, 0, v0
	s_and_b64 exec, exec, vcc
	s_cbranch_execz .LBB1110_185
; %bb.184:
	v_mov_b32_e32 v8, 0
	ds_write_b64 v8, v[24:25]
	ds_write_b8 v8, v72 offset:8
.LBB1110_185:
	s_or_b64 exec, exec, s[48:49]
	v_mov_b32_e32 v12, 0
	v_and_b32_e32 v13, 1, v1
	s_waitcnt lgkmcnt(0)
	; wave barrier
	s_waitcnt lgkmcnt(0)
	ds_read_b64 v[8:9], v12
	v_cmp_eq_u32_e32 vcc, 1, v13
	v_and_b32_e32 v13, 1, v44
	v_cmp_eq_u32_e64 s[6:7], 1, v13
	s_or_b64 s[6:7], vcc, s[6:7]
	v_add_f64 v[4:5], v[2:3], v[4:5]
	v_cmp_eq_u16_sdwa vcc, v1, v12 src0_sel:BYTE_0 src1_sel:DWORD
	v_cndmask_b32_e64 v13, 0, 1, s[6:7]
	v_cndmask_b32_e32 v4, v2, v4, vcc
	v_cndmask_b32_e32 v5, v3, v5, vcc
	v_cmp_eq_u32_e32 vcc, 0, v0
	v_cndmask_b32_e32 v13, v13, v1, vcc
	v_cndmask_b32_e32 v5, v5, v3, vcc
	;; [unrolled: 1-line block ×3, first 2 shown]
	s_waitcnt lgkmcnt(0)
	v_add_f64 v[8:9], v[4:5], v[8:9]
	v_cmp_eq_u16_sdwa vcc, v13, v12 src0_sel:BYTE_0 src1_sel:DWORD
	v_cndmask_b32_e32 v115, v5, v9, vcc
	v_cndmask_b32_e32 v114, v4, v8, vcc
	v_add_f64 v[4:5], v[18:19], v[114:115]
	v_cndmask_b32_e64 v45, v19, v5, s[2:3]
	v_cndmask_b32_e64 v44, v18, v4, s[2:3]
	v_add_f64 v[4:5], v[6:7], v[44:45]
	v_cndmask_b32_e64 v81, v7, v5, s[4:5]
	v_cndmask_b32_e64 v80, v6, v4, s[4:5]
	;; [unrolled: 3-line block ×19, first 2 shown]
	v_add_f64 v[4:5], v[20:21], v[118:119]
	v_readlane_b32 s0, v135, 10
	v_cndmask_b32_e64 v121, v21, v5, s[42:43]
	v_cndmask_b32_e64 v120, v20, v4, s[42:43]
	v_readlane_b32 s1, v135, 11
	s_branch .LBB1110_208
.LBB1110_186:
                                        ; implicit-def: $vgpr112_vgpr113_vgpr114_vgpr115
                                        ; implicit-def: $vgpr120_vgpr121
                                        ; implicit-def: $vgpr118_vgpr119
                                        ; implicit-def: $vgpr76_vgpr77
                                        ; implicit-def: $vgpr72_vgpr73
                                        ; implicit-def: $vgpr68_vgpr69
                                        ; implicit-def: $vgpr64_vgpr65
                                        ; implicit-def: $vgpr60_vgpr61
                                        ; implicit-def: $vgpr56_vgpr57
                                        ; implicit-def: $vgpr52_vgpr53
                                        ; implicit-def: $vgpr48_vgpr49
                                        ; implicit-def: $vgpr44_vgpr45
                                        ; implicit-def: $vgpr108_vgpr109_vgpr110_vgpr111
                                        ; implicit-def: $vgpr104_vgpr105_vgpr106_vgpr107
                                        ; implicit-def: $vgpr100_vgpr101_vgpr102_vgpr103
                                        ; implicit-def: $vgpr96_vgpr97_vgpr98_vgpr99
                                        ; implicit-def: $vgpr92_vgpr93_vgpr94_vgpr95
                                        ; implicit-def: $vgpr88_vgpr89_vgpr90_vgpr91
                                        ; implicit-def: $vgpr84_vgpr85_vgpr86_vgpr87
                                        ; implicit-def: $vgpr80_vgpr81_vgpr82_vgpr83
                                        ; implicit-def: $vgpr114_vgpr115_vgpr116_vgpr117
	s_cbranch_execz .LBB1110_208
; %bb.187:
	v_readlane_b32 s2, v135, 0
	v_readlane_b32 s4, v135, 2
	v_readlane_b32 s3, v135, 1
	v_readlane_b32 s6, v135, 4
	v_readlane_b32 s7, v135, 5
	s_cmp_lg_u64 s[2:3], 0
	v_readlane_b32 s5, v135, 3
	s_mov_b64 s[2:3], s[6:7]
	s_cselect_b32 s5, s3, 0
	s_cselect_b32 s4, s2, 0
	s_cmp_lg_u64 s[4:5], 0
	v_readlane_b32 s8, v135, 6
	v_readlane_b32 s9, v135, 7
	s_cselect_b64 s[6:7], -1, 0
	v_cmp_eq_u32_e32 vcc, 0, v0
	v_cmp_ne_u32_e64 s[2:3], 0, v0
	s_and_b64 s[8:9], vcc, s[6:7]
	v_readlane_b32 s10, v135, 8
	v_readlane_b32 s11, v135, 9
	s_and_saveexec_b64 s[6:7], s[8:9]
	s_cbranch_execz .LBB1110_189
; %bb.188:
	v_mov_b32_e32 v8, 0
	global_load_dwordx2 v[4:5], v8, s[4:5]
	global_load_ubyte v9, v8, s[4:5] offset:8
	v_cmp_eq_u16_sdwa s[4:5], v1, v8 src0_sel:BYTE_0 src1_sel:DWORD
	s_waitcnt vmcnt(1)
	v_add_f64 v[4:5], v[2:3], v[4:5]
	s_waitcnt vmcnt(0)
	v_or_b32_e32 v9, v1, v9
	v_cndmask_b32_e64 v3, v3, v5, s[4:5]
	v_cndmask_b32_e64 v2, v2, v4, s[4:5]
	v_and_b32_e32 v1, 1, v9
.LBB1110_189:
	s_or_b64 exec, exec, s[6:7]
	v_mov_b32_e32 v9, 0
	v_add_f64 v[4:5], v[18:19], v[2:3]
	v_cmp_eq_u16_sdwa s[4:5], v128, v9 src0_sel:BYTE_0 src1_sel:DWORD
	v_cndmask_b32_e64 v45, v19, v5, s[4:5]
	v_cndmask_b32_e64 v44, v18, v4, s[4:5]
	s_movk_i32 s40, 0xff
	v_add_f64 v[4:5], v[6:7], v[44:45]
	v_cmp_eq_u16_sdwa s[6:7], v134, v9 src0_sel:BYTE_0 src1_sel:DWORD
	v_cndmask_b32_e64 v81, v7, v5, s[6:7]
	v_cndmask_b32_e64 v80, v6, v4, s[6:7]
	v_and_b32_sdwa v12, v128, s40 dst_sel:DWORD dst_unused:UNUSED_PAD src0_sel:WORD_1 src1_sel:DWORD
	v_add_f64 v[4:5], v[26:27], v[80:81]
	v_cmp_eq_u16_e64 s[8:9], 0, v12
	v_cndmask_b32_e64 v49, v27, v5, s[8:9]
	v_cndmask_b32_e64 v48, v26, v4, s[8:9]
	v_add_f64 v[4:5], v[14:15], v[48:49]
	v_cmp_eq_u16_sdwa s[10:11], v128, v9 src0_sel:BYTE_3 src1_sel:DWORD
	v_cndmask_b32_e64 v85, v15, v5, s[10:11]
	v_cndmask_b32_e64 v84, v14, v4, s[10:11]
	v_add_f64 v[4:5], v[34:35], v[84:85]
	v_cmp_eq_u16_sdwa s[12:13], v123, v9 src0_sel:BYTE_0 src1_sel:DWORD
	v_cndmask_b32_e64 v53, v35, v5, s[12:13]
	v_cndmask_b32_e64 v52, v34, v4, s[12:13]
	v_add_f64 v[4:5], v[22:23], v[52:53]
	v_cmp_eq_u16_sdwa s[14:15], v127, v9 src0_sel:BYTE_0 src1_sel:DWORD
	v_cndmask_b32_e64 v89, v23, v5, s[14:15]
	v_cndmask_b32_e64 v88, v22, v4, s[14:15]
	v_add_f64 v[4:5], v[42:43], v[88:89]
	v_cmp_eq_u16_sdwa s[16:17], v132, v9 src0_sel:BYTE_0 src1_sel:DWORD
	v_cndmask_b32_e64 v57, v43, v5, s[16:17]
	v_cndmask_b32_e64 v56, v42, v4, s[16:17]
	v_and_b32_sdwa v12, v127, s40 dst_sel:DWORD dst_unused:UNUSED_PAD src0_sel:WORD_1 src1_sel:DWORD
	v_add_f64 v[4:5], v[30:31], v[56:57]
	v_cmp_eq_u16_e64 s[18:19], 0, v12
	v_cndmask_b32_e64 v93, v31, v5, s[18:19]
	v_cndmask_b32_e64 v92, v30, v4, s[18:19]
	v_add_f64 v[4:5], v[50:51], v[92:93]
	v_cmp_eq_u16_sdwa s[20:21], v127, v9 src0_sel:BYTE_3 src1_sel:DWORD
	v_cndmask_b32_e64 v61, v51, v5, s[20:21]
	v_cndmask_b32_e64 v60, v50, v4, s[20:21]
	v_add_f64 v[4:5], v[38:39], v[60:61]
	v_cmp_eq_u16_sdwa s[22:23], v124, v9 src0_sel:BYTE_0 src1_sel:DWORD
	v_cndmask_b32_e64 v97, v39, v5, s[22:23]
	v_cndmask_b32_e64 v96, v38, v4, s[22:23]
	v_add_f64 v[4:5], v[58:59], v[96:97]
	v_cmp_eq_u16_sdwa s[24:25], v126, v9 src0_sel:BYTE_0 src1_sel:DWORD
	v_cndmask_b32_e64 v65, v59, v5, s[24:25]
	v_cndmask_b32_e64 v64, v58, v4, s[24:25]
	;; [unrolled: 21-line block ×3, first 2 shown]
	v_add_f64 v[4:5], v[78:79], v[108:109]
	v_cmp_eq_u16_sdwa s[38:39], v41, v9 src0_sel:BYTE_0 src1_sel:DWORD
	v_cndmask_b32_e64 v77, v79, v5, s[38:39]
	v_cndmask_b32_e64 v76, v78, v4, s[38:39]
	v_and_b32_sdwa v12, v125, s40 dst_sel:DWORD dst_unused:UNUSED_PAD src0_sel:WORD_1 src1_sel:DWORD
	v_add_f64 v[4:5], v[70:71], v[76:77]
	v_cmp_eq_u16_e64 s[40:41], 0, v12
	v_cndmask_b32_e64 v113, v71, v5, s[40:41]
	v_cndmask_b32_e64 v112, v70, v4, s[40:41]
	v_add_f64 v[4:5], v[10:11], v[112:113]
	v_cmp_eq_u16_sdwa s[42:43], v125, v9 src0_sel:BYTE_3 src1_sel:DWORD
	v_cndmask_b32_e64 v119, v11, v5, s[42:43]
	v_cndmask_b32_e64 v118, v10, v4, s[42:43]
	v_add_f64 v[4:5], v[20:21], v[118:119]
	v_cmp_eq_u16_sdwa s[44:45], v36, v9 src0_sel:BYTE_0 src1_sel:DWORD
	v_cndmask_b32_e64 v120, v20, v4, s[44:45]
	v_or_b32_e32 v4, v125, v126
	v_or3_b32 v4, v4, v127, v128
	v_lshrrev_b16_e32 v9, 7, v4
	v_cndmask_b32_e64 v121, v21, v5, s[44:45]
	v_and_b32_e32 v5, 1, v4
	v_and_b32_e32 v9, 2, v9
	v_or_b32_e32 v5, v5, v9
	v_lshrrev_b32_e32 v9, 23, v4
	v_mov_b32_e32 v12, 1
	v_and_b32_e32 v9, 2, v9
	v_and_b32_sdwa v4, v4, v12 dst_sel:DWORD dst_unused:UNUSED_PAD src0_sel:WORD_1 src1_sel:DWORD
	v_or_b32_e32 v4, v4, v9
	v_lshlrev_b16_e32 v4, 2, v4
	v_or_b32_e32 v4, v5, v4
	v_cmp_eq_u32_e64 s[52:53], 1, v40
	v_cmp_ne_u16_e64 s[54:55], 0, v4
	v_cmp_eq_u32_e64 s[50:51], 1, v129
	s_or_b64 s[52:53], s[54:55], s[52:53]
	v_cmp_eq_u32_e64 s[48:49], 1, v131
	s_or_b64 s[50:51], s[52:53], s[50:51]
	;; [unrolled: 2-line block ×3, first 2 shown]
	v_and_b32_e32 v8, 0xff, v1
	s_or_b64 s[46:47], s[48:49], s[46:47]
	v_mbcnt_hi_u32_b32 v16, -1, v37
	v_cndmask_b32_e64 v17, v8, 1, s[46:47]
	v_and_b32_e32 v24, 15, v16
	v_mov_b32_dpp v12, v120 row_shr:1 row_mask:0xf bank_mask:0xf
	v_mov_b32_dpp v13, v121 row_shr:1 row_mask:0xf bank_mask:0xf
	;; [unrolled: 1-line block ×3, first 2 shown]
	v_cmp_ne_u32_e64 s[46:47], 0, v24
	v_pk_mov_b32 v[4:5], v[120:121], v[120:121] op_sel:[0,1]
	v_mov_b32_e32 v9, v121
	v_mov_b32_e32 v8, v120
	s_and_saveexec_b64 s[48:49], s[46:47]
; %bb.190:
	v_add_f64 v[4:5], v[120:121], v[12:13]
	v_cmp_eq_u32_e64 s[46:47], 0, v17
	v_cndmask_b32_e64 v5, v121, v5, s[46:47]
	v_cndmask_b32_e64 v4, v120, v4, s[46:47]
	v_and_or_b32 v17, v25, 1, v17
	v_mov_b32_e32 v9, v5
	v_mov_b32_e32 v8, v4
; %bb.191:
	s_or_b64 exec, exec, s[48:49]
	s_nop 0
	v_mov_b32_dpp v12, v8 row_shr:2 row_mask:0xf bank_mask:0xf
	v_mov_b32_dpp v13, v9 row_shr:2 row_mask:0xf bank_mask:0xf
	v_mov_b32_dpp v25, v17 row_shr:2 row_mask:0xf bank_mask:0xf
	v_cmp_lt_u32_e64 s[46:47], 1, v24
	s_and_saveexec_b64 s[48:49], s[46:47]
; %bb.192:
	v_add_f64 v[8:9], v[4:5], v[12:13]
	v_cmp_eq_u32_e64 s[46:47], 0, v17
	v_cndmask_b32_e64 v9, v5, v9, s[46:47]
	v_cndmask_b32_e64 v8, v4, v8, s[46:47]
	v_or_b32_e32 v4, v25, v17
	v_and_b32_e32 v17, 1, v4
	v_pk_mov_b32 v[4:5], v[8:9], v[8:9] op_sel:[0,1]
; %bb.193:
	s_or_b64 exec, exec, s[48:49]
	v_mov_b32_dpp v12, v8 row_shr:4 row_mask:0xf bank_mask:0xf
	v_mov_b32_dpp v13, v9 row_shr:4 row_mask:0xf bank_mask:0xf
	v_mov_b32_dpp v25, v17 row_shr:4 row_mask:0xf bank_mask:0xf
	v_cmp_lt_u32_e64 s[46:47], 3, v24
	s_and_saveexec_b64 s[48:49], s[46:47]
; %bb.194:
	v_add_f64 v[8:9], v[4:5], v[12:13]
	v_cmp_eq_u32_e64 s[46:47], 0, v17
	v_cndmask_b32_e64 v9, v5, v9, s[46:47]
	v_cndmask_b32_e64 v8, v4, v8, s[46:47]
	v_or_b32_e32 v4, v25, v17
	v_and_b32_e32 v17, 1, v4
	v_pk_mov_b32 v[4:5], v[8:9], v[8:9] op_sel:[0,1]
; %bb.195:
	s_or_b64 exec, exec, s[48:49]
	;; [unrolled: 15-line block ×3, first 2 shown]
	v_and_b32_e32 v25, 16, v16
	v_mov_b32_dpp v12, v8 row_bcast:15 row_mask:0xf bank_mask:0xf
	v_mov_b32_dpp v13, v9 row_bcast:15 row_mask:0xf bank_mask:0xf
	;; [unrolled: 1-line block ×3, first 2 shown]
	v_cmp_ne_u32_e64 s[46:47], 0, v25
	s_and_saveexec_b64 s[48:49], s[46:47]
; %bb.198:
	v_add_f64 v[8:9], v[4:5], v[12:13]
	v_cmp_eq_u32_e64 s[46:47], 0, v17
	v_cndmask_b32_e64 v5, v5, v9, s[46:47]
	v_cndmask_b32_e64 v4, v4, v8, s[46:47]
	v_or_b32_e32 v8, v24, v17
	v_and_b32_e32 v17, 1, v8
	v_mov_b32_e32 v9, v5
	v_mov_b32_e32 v8, v4
; %bb.199:
	s_or_b64 exec, exec, s[48:49]
	s_nop 0
	v_mov_b32_dpp v8, v8 row_bcast:31 row_mask:0xf bank_mask:0xf
	v_mov_b32_dpp v9, v9 row_bcast:31 row_mask:0xf bank_mask:0xf
	v_mov_b32_dpp v12, v17 row_bcast:31 row_mask:0xf bank_mask:0xf
	v_cmp_lt_u32_e64 s[46:47], 31, v16
	s_and_saveexec_b64 s[48:49], s[46:47]
; %bb.200:
	v_add_f64 v[8:9], v[4:5], v[8:9]
	v_cmp_eq_u32_e64 s[46:47], 0, v17
	v_cndmask_b32_e64 v4, v4, v8, s[46:47]
	v_or_b32_e32 v8, v12, v17
	v_cndmask_b32_e64 v5, v5, v9, s[46:47]
	v_and_b32_e32 v17, 1, v8
; %bb.201:
	s_or_b64 exec, exec, s[48:49]
	v_cmp_eq_u32_e64 s[46:47], 63, v0
	s_and_saveexec_b64 s[48:49], s[46:47]
	s_cbranch_execz .LBB1110_203
; %bb.202:
	v_mov_b32_e32 v8, 0
	ds_write_b64 v8, v[4:5]
	ds_write_b8 v8, v17 offset:8
.LBB1110_203:
	s_or_b64 exec, exec, s[48:49]
	v_add_u32_e32 v8, -1, v16
	v_and_b32_e32 v9, 64, v16
	v_cmp_lt_i32_e64 s[46:47], v8, v9
	v_cndmask_b32_e64 v8, v8, v16, s[46:47]
	v_lshlrev_b32_e32 v8, 2, v8
	ds_bpermute_b32 v4, v8, v4
	ds_bpermute_b32 v5, v8, v5
	s_waitcnt lgkmcnt(0)
	; wave barrier
	s_waitcnt lgkmcnt(0)
	s_and_saveexec_b64 s[46:47], s[2:3]
	s_cbranch_execz .LBB1110_205
; %bb.204:
	v_mov_b32_e32 v8, 0
	v_add_f64 v[4:5], v[2:3], v[4:5]
	v_cmp_eq_u16_sdwa s[2:3], v1, v8 src0_sel:BYTE_0 src1_sel:DWORD
	v_cndmask_b32_e64 v3, v3, v5, s[2:3]
	v_cndmask_b32_e64 v2, v2, v4, s[2:3]
	v_add_f64 v[4:5], v[18:19], v[2:3]
	v_cndmask_b32_e64 v45, v19, v5, s[4:5]
	v_cndmask_b32_e64 v44, v18, v4, s[4:5]
	v_add_f64 v[4:5], v[6:7], v[44:45]
	;; [unrolled: 3-line block ×20, first 2 shown]
	v_cndmask_b32_e64 v121, v21, v5, s[44:45]
	v_cndmask_b32_e64 v120, v20, v4, s[44:45]
	;;#ASMSTART
	;;#ASMEND
.LBB1110_205:
	s_or_b64 exec, exec, s[46:47]
	s_and_saveexec_b64 s[2:3], vcc
	s_cbranch_execz .LBB1110_207
; %bb.206:
	v_mov_b32_e32 v1, 0
	ds_read_b64 v[4:5], v1
	ds_read_u8 v6, v1 offset:8
	v_mov_b32_e32 v7, 2
	s_waitcnt lgkmcnt(1)
	global_store_dwordx2 v1, v[4:5], s[86:87] offset:1024
	s_waitcnt lgkmcnt(0)
	global_store_byte v1, v6, s[86:87] offset:1032
	s_waitcnt vmcnt(0)
	buffer_wbinvl1_vol
	global_store_byte v1, v7, s[88:89] offset:64
.LBB1110_207:
	s_or_b64 exec, exec, s[2:3]
	v_pk_mov_b32 v[114:115], v[2:3], v[2:3] op_sel:[0,1]
.LBB1110_208:
	s_add_u32 s2, s58, s94
	s_addc_u32 s3, s59, s95
	s_add_u32 s4, s2, s92
	s_addc_u32 s5, s3, s93
	s_and_b64 vcc, exec, s[0:1]
	v_lshlrev_b32_e32 v46, 3, v0
	s_cbranch_vccz .LBB1110_250
; %bb.209:
	s_movk_i32 s0, 0xa8
	v_mul_i32_i24_e32 v50, 0xffffff60, v0
	v_mul_u32_u24_e32 v47, 0xa8, v0
	v_mad_u32_u24 v2, v0, s0, v50
	s_waitcnt lgkmcnt(0)
	; wave barrier
	ds_write2_b64 v47, v[114:115], v[44:45] offset1:1
	ds_write2_b64 v47, v[80:81], v[48:49] offset0:2 offset1:3
	ds_write2_b64 v47, v[84:85], v[52:53] offset0:4 offset1:5
	;; [unrolled: 1-line block ×9, first 2 shown]
	ds_write_b64 v47, v[120:121] offset:160
	s_waitcnt lgkmcnt(0)
	; wave barrier
	s_waitcnt lgkmcnt(0)
	ds_read2st64_b64 v[38:41], v2 offset0:1 offset1:2
	ds_read2st64_b64 v[34:37], v2 offset0:3 offset1:4
	;; [unrolled: 1-line block ×10, first 2 shown]
	v_mov_b32_e32 v43, s5
	v_add_co_u32_e32 v42, vcc, s4, v46
	s_add_i32 s33, s33, s90
	v_addc_co_u32_e32 v43, vcc, 0, v43, vcc
	v_mov_b32_e32 v1, 0
	v_cmp_gt_u32_e32 vcc, s33, v0
	s_and_saveexec_b64 s[0:1], vcc
	s_cbranch_execz .LBB1110_211
; %bb.210:
	v_add_u32_e32 v47, v47, v50
	ds_read_b64 v[50:51], v47
	s_waitcnt lgkmcnt(0)
	flat_store_dwordx2 v[42:43], v[50:51]
.LBB1110_211:
	s_or_b64 exec, exec, s[0:1]
	v_or_b32_e32 v47, 64, v0
	v_cmp_gt_u32_e32 vcc, s33, v47
	s_and_saveexec_b64 s[0:1], vcc
	s_cbranch_execz .LBB1110_213
; %bb.212:
	s_waitcnt lgkmcnt(0)
	flat_store_dwordx2 v[42:43], v[38:39] offset:512
.LBB1110_213:
	s_or_b64 exec, exec, s[0:1]
	s_waitcnt lgkmcnt(0)
	v_or_b32_e32 v38, 0x80, v0
	v_cmp_gt_u32_e32 vcc, s33, v38
	s_and_saveexec_b64 s[0:1], vcc
	s_cbranch_execz .LBB1110_215
; %bb.214:
	flat_store_dwordx2 v[42:43], v[40:41] offset:1024
.LBB1110_215:
	s_or_b64 exec, exec, s[0:1]
	v_or_b32_e32 v38, 0xc0, v0
	v_cmp_gt_u32_e32 vcc, s33, v38
	s_and_saveexec_b64 s[0:1], vcc
	s_cbranch_execz .LBB1110_217
; %bb.216:
	flat_store_dwordx2 v[42:43], v[34:35] offset:1536
.LBB1110_217:
	s_or_b64 exec, exec, s[0:1]
	;; [unrolled: 8-line block ×6, first 2 shown]
	v_or_b32_e32 v26, 0x200, v0
	v_cmp_gt_u32_e32 vcc, s33, v26
	s_and_saveexec_b64 s[0:1], vcc
	s_cbranch_execz .LBB1110_227
; %bb.226:
	v_add_co_u32_e32 v26, vcc, 0x1000, v42
	v_addc_co_u32_e32 v27, vcc, 0, v43, vcc
	flat_store_dwordx2 v[26:27], v[28:29]
.LBB1110_227:
	s_or_b64 exec, exec, s[0:1]
	v_or_b32_e32 v26, 0x240, v0
	v_cmp_gt_u32_e32 vcc, s33, v26
	s_and_saveexec_b64 s[0:1], vcc
	s_cbranch_execz .LBB1110_229
; %bb.228:
	v_add_co_u32_e32 v26, vcc, 0x1000, v42
	v_addc_co_u32_e32 v27, vcc, 0, v43, vcc
	flat_store_dwordx2 v[26:27], v[22:23] offset:512
.LBB1110_229:
	s_or_b64 exec, exec, s[0:1]
	v_or_b32_e32 v22, 0x280, v0
	v_cmp_gt_u32_e32 vcc, s33, v22
	s_and_saveexec_b64 s[0:1], vcc
	s_cbranch_execz .LBB1110_231
; %bb.230:
	v_add_co_u32_e32 v22, vcc, 0x1000, v42
	v_addc_co_u32_e32 v23, vcc, 0, v43, vcc
	flat_store_dwordx2 v[22:23], v[24:25] offset:1024
.LBB1110_231:
	;; [unrolled: 10-line block ×7, first 2 shown]
	s_or_b64 exec, exec, s[0:1]
	v_or_b32_e32 v10, 0x400, v0
	v_cmp_gt_u32_e32 vcc, s33, v10
	s_and_saveexec_b64 s[0:1], vcc
	s_cbranch_execz .LBB1110_243
; %bb.242:
	v_add_co_u32_e32 v10, vcc, 0x2000, v42
	v_addc_co_u32_e32 v11, vcc, 0, v43, vcc
	flat_store_dwordx2 v[10:11], v[12:13]
.LBB1110_243:
	s_or_b64 exec, exec, s[0:1]
	v_or_b32_e32 v10, 0x440, v0
	v_cmp_gt_u32_e32 vcc, s33, v10
	s_and_saveexec_b64 s[0:1], vcc
	s_cbranch_execz .LBB1110_245
; %bb.244:
	v_add_co_u32_e32 v10, vcc, 0x2000, v42
	v_addc_co_u32_e32 v11, vcc, 0, v43, vcc
	flat_store_dwordx2 v[10:11], v[6:7] offset:512
.LBB1110_245:
	s_or_b64 exec, exec, s[0:1]
	v_or_b32_e32 v6, 0x480, v0
	v_cmp_gt_u32_e32 vcc, s33, v6
	s_and_saveexec_b64 s[0:1], vcc
	s_cbranch_execz .LBB1110_247
; %bb.246:
	v_add_co_u32_e32 v6, vcc, 0x2000, v42
	v_addc_co_u32_e32 v7, vcc, 0, v43, vcc
	flat_store_dwordx2 v[6:7], v[8:9] offset:1024
.LBB1110_247:
	;; [unrolled: 10-line block ×3, first 2 shown]
	s_or_b64 exec, exec, s[0:1]
	v_or_b32_e32 v2, 0x500, v0
	v_cmp_gt_u32_e64 s[0:1], s33, v2
	s_branch .LBB1110_252
.LBB1110_250:
	s_mov_b64 s[0:1], 0
                                        ; implicit-def: $vgpr4_vgpr5
	s_cbranch_execz .LBB1110_252
; %bb.251:
	s_movk_i32 s2, 0xa8
	v_mul_i32_i24_e32 v2, 0xffffff60, v0
	v_mul_u32_u24_e32 v1, 0xa8, v0
	v_mad_u32_u24 v2, v0, s2, v2
	s_waitcnt lgkmcnt(0)
	; wave barrier
	s_waitcnt lgkmcnt(0)
	ds_write2_b64 v1, v[114:115], v[44:45] offset1:1
	ds_write2_b64 v1, v[80:81], v[48:49] offset0:2 offset1:3
	ds_write2_b64 v1, v[84:85], v[52:53] offset0:4 offset1:5
	;; [unrolled: 1-line block ×9, first 2 shown]
	ds_write_b64 v1, v[120:121] offset:160
	s_waitcnt lgkmcnt(0)
	; wave barrier
	s_waitcnt lgkmcnt(0)
	ds_read2st64_b64 v[6:9], v2 offset1:1
	ds_read2st64_b64 v[10:13], v2 offset0:2 offset1:3
	ds_read2st64_b64 v[14:17], v2 offset0:4 offset1:5
	;; [unrolled: 1-line block ×9, first 2 shown]
	ds_read_b64 v[4:5], v2 offset:10240
	v_mov_b32_e32 v3, s5
	v_add_co_u32_e32 v2, vcc, s4, v46
	v_addc_co_u32_e32 v3, vcc, 0, v3, vcc
	s_movk_i32 s2, 0x1000
	s_waitcnt lgkmcnt(0)
	flat_store_dwordx2 v[2:3], v[6:7]
	flat_store_dwordx2 v[2:3], v[8:9] offset:512
	flat_store_dwordx2 v[2:3], v[10:11] offset:1024
	;; [unrolled: 1-line block ×7, first 2 shown]
	v_add_co_u32_e32 v6, vcc, s2, v2
	v_addc_co_u32_e32 v7, vcc, 0, v3, vcc
	v_add_co_u32_e32 v2, vcc, 0x2000, v2
	v_mov_b32_e32 v1, 0
	v_addc_co_u32_e32 v3, vcc, 0, v3, vcc
	s_or_b64 s[0:1], s[0:1], exec
	flat_store_dwordx2 v[6:7], v[22:23]
	flat_store_dwordx2 v[6:7], v[24:25] offset:512
	flat_store_dwordx2 v[6:7], v[26:27] offset:1024
	;; [unrolled: 1-line block ×7, first 2 shown]
	flat_store_dwordx2 v[2:3], v[38:39]
	flat_store_dwordx2 v[2:3], v[40:41] offset:512
	flat_store_dwordx2 v[2:3], v[42:43] offset:1024
	;; [unrolled: 1-line block ×3, first 2 shown]
.LBB1110_252:
	s_and_saveexec_b64 s[2:3], s[0:1]
	s_cbranch_execnz .LBB1110_254
; %bb.253:
	s_endpgm
.LBB1110_254:
	v_lshlrev_b64 v[0:1], 3, v[0:1]
	v_mov_b32_e32 v2, s5
	v_add_co_u32_e32 v0, vcc, s4, v0
	v_addc_co_u32_e32 v1, vcc, v2, v1, vcc
	v_add_co_u32_e32 v0, vcc, 0x2000, v0
	v_addc_co_u32_e32 v1, vcc, 0, v1, vcc
	flat_store_dwordx2 v[0:1], v[4:5] offset:2048
	s_endpgm
.LBB1110_255:
	v_lshlrev_b32_e32 v2, 3, v0
	v_mov_b32_e32 v3, s62
	v_add_co_u32_e32 v2, vcc, s7, v2
	v_addc_co_u32_e32 v3, vcc, 0, v3, vcc
	flat_load_dwordx2 v[2:3], v[2:3]
	s_or_b64 exec, exec, s[54:55]
                                        ; implicit-def: $vgpr6_vgpr7
	s_and_saveexec_b64 s[2:3], s[4:5]
	s_cbranch_execz .LBB1110_51
.LBB1110_256:
	v_lshlrev_b32_e32 v6, 3, v0
	v_mov_b32_e32 v7, s62
	v_add_co_u32_e32 v6, vcc, s7, v6
	v_addc_co_u32_e32 v7, vcc, 0, v7, vcc
	flat_load_dwordx2 v[6:7], v[6:7] offset:512
	s_or_b64 exec, exec, s[2:3]
                                        ; implicit-def: $vgpr10_vgpr11
	s_and_saveexec_b64 s[2:3], s[46:47]
	s_cbranch_execz .LBB1110_52
.LBB1110_257:
	v_lshlrev_b32_e32 v10, 3, v0
	v_mov_b32_e32 v11, s62
	v_add_co_u32_e32 v10, vcc, s7, v10
	v_addc_co_u32_e32 v11, vcc, 0, v11, vcc
	flat_load_dwordx2 v[10:11], v[10:11] offset:1024
	s_or_b64 exec, exec, s[2:3]
                                        ; implicit-def: $vgpr14_vgpr15
	s_and_saveexec_b64 s[2:3], s[8:9]
	s_cbranch_execz .LBB1110_53
.LBB1110_258:
	v_lshlrev_b32_e32 v14, 3, v0
	v_mov_b32_e32 v15, s62
	v_add_co_u32_e32 v14, vcc, s7, v14
	v_addc_co_u32_e32 v15, vcc, 0, v15, vcc
	flat_load_dwordx2 v[14:15], v[14:15] offset:1536
	s_or_b64 exec, exec, s[2:3]
                                        ; implicit-def: $vgpr18_vgpr19
	s_and_saveexec_b64 s[2:3], s[10:11]
	s_cbranch_execz .LBB1110_54
.LBB1110_259:
	v_lshlrev_b32_e32 v18, 3, v0
	v_mov_b32_e32 v19, s62
	v_add_co_u32_e32 v18, vcc, s7, v18
	v_addc_co_u32_e32 v19, vcc, 0, v19, vcc
	flat_load_dwordx2 v[18:19], v[18:19] offset:2048
	s_or_b64 exec, exec, s[2:3]
                                        ; implicit-def: $vgpr20_vgpr21
	s_and_saveexec_b64 s[2:3], s[12:13]
	s_cbranch_execz .LBB1110_55
.LBB1110_260:
	v_lshlrev_b32_e32 v20, 3, v0
	v_mov_b32_e32 v21, s62
	v_add_co_u32_e32 v20, vcc, s7, v20
	v_addc_co_u32_e32 v21, vcc, 0, v21, vcc
	flat_load_dwordx2 v[20:21], v[20:21] offset:2560
	s_or_b64 exec, exec, s[2:3]
                                        ; implicit-def: $vgpr22_vgpr23
	s_and_saveexec_b64 s[2:3], s[14:15]
	s_cbranch_execz .LBB1110_56
.LBB1110_261:
	v_lshlrev_b32_e32 v22, 3, v0
	v_mov_b32_e32 v23, s62
	v_add_co_u32_e32 v22, vcc, s7, v22
	v_addc_co_u32_e32 v23, vcc, 0, v23, vcc
	flat_load_dwordx2 v[22:23], v[22:23] offset:3072
	s_or_b64 exec, exec, s[2:3]
                                        ; implicit-def: $vgpr26_vgpr27
	s_and_saveexec_b64 s[2:3], s[16:17]
	s_cbranch_execz .LBB1110_57
.LBB1110_262:
	v_lshlrev_b32_e32 v26, 3, v0
	v_mov_b32_e32 v27, s62
	v_add_co_u32_e32 v26, vcc, s7, v26
	v_addc_co_u32_e32 v27, vcc, 0, v27, vcc
	flat_load_dwordx2 v[26:27], v[26:27] offset:3584
	s_or_b64 exec, exec, s[2:3]
                                        ; implicit-def: $vgpr30_vgpr31
	s_and_saveexec_b64 s[2:3], s[18:19]
	s_cbranch_execz .LBB1110_58
.LBB1110_263:
	v_lshlrev_b32_e32 v1, 3, v1
	v_mov_b32_e32 v31, s62
	v_add_co_u32_e32 v30, vcc, s7, v1
	v_addc_co_u32_e32 v31, vcc, 0, v31, vcc
	flat_load_dwordx2 v[30:31], v[30:31]
	s_or_b64 exec, exec, s[2:3]
                                        ; implicit-def: $vgpr34_vgpr35
	s_and_saveexec_b64 s[2:3], s[20:21]
	s_cbranch_execz .LBB1110_59
.LBB1110_264:
	v_lshlrev_b32_e32 v1, 3, v38
	v_mov_b32_e32 v35, s62
	v_add_co_u32_e32 v34, vcc, s7, v1
	v_addc_co_u32_e32 v35, vcc, 0, v35, vcc
	flat_load_dwordx2 v[34:35], v[34:35]
	s_or_b64 exec, exec, s[2:3]
                                        ; implicit-def: $vgpr38_vgpr39
	s_and_saveexec_b64 s[2:3], s[22:23]
	s_cbranch_execz .LBB1110_60
.LBB1110_265:
	v_lshlrev_b32_e32 v1, 3, v42
	v_mov_b32_e32 v39, s62
	v_add_co_u32_e32 v38, vcc, s7, v1
	v_addc_co_u32_e32 v39, vcc, 0, v39, vcc
	flat_load_dwordx2 v[38:39], v[38:39]
	s_or_b64 exec, exec, s[2:3]
                                        ; implicit-def: $vgpr42_vgpr43
	s_and_saveexec_b64 s[2:3], s[24:25]
	s_cbranch_execz .LBB1110_61
.LBB1110_266:
	v_lshlrev_b32_e32 v1, 3, v46
	v_mov_b32_e32 v43, s62
	v_add_co_u32_e32 v42, vcc, s7, v1
	v_addc_co_u32_e32 v43, vcc, 0, v43, vcc
	flat_load_dwordx2 v[42:43], v[42:43]
	s_or_b64 exec, exec, s[2:3]
                                        ; implicit-def: $vgpr46_vgpr47
	s_and_saveexec_b64 s[2:3], s[26:27]
	s_cbranch_execz .LBB1110_62
.LBB1110_267:
	v_lshlrev_b32_e32 v1, 3, v48
	v_mov_b32_e32 v47, s62
	v_add_co_u32_e32 v46, vcc, s7, v1
	v_addc_co_u32_e32 v47, vcc, 0, v47, vcc
	flat_load_dwordx2 v[46:47], v[46:47]
	s_or_b64 exec, exec, s[2:3]
                                        ; implicit-def: $vgpr48_vgpr49
	s_and_saveexec_b64 s[2:3], s[28:29]
	s_cbranch_execz .LBB1110_63
.LBB1110_268:
	v_lshlrev_b32_e32 v1, 3, v50
	v_mov_b32_e32 v49, s62
	v_add_co_u32_e32 v48, vcc, s7, v1
	v_addc_co_u32_e32 v49, vcc, 0, v49, vcc
	flat_load_dwordx2 v[48:49], v[48:49]
	s_or_b64 exec, exec, s[2:3]
                                        ; implicit-def: $vgpr50_vgpr51
	s_and_saveexec_b64 s[2:3], s[30:31]
	s_cbranch_execz .LBB1110_64
.LBB1110_269:
	v_lshlrev_b32_e32 v1, 3, v52
	v_mov_b32_e32 v51, s62
	v_add_co_u32_e32 v50, vcc, s7, v1
	v_addc_co_u32_e32 v51, vcc, 0, v51, vcc
	flat_load_dwordx2 v[50:51], v[50:51]
	s_or_b64 exec, exec, s[2:3]
                                        ; implicit-def: $vgpr52_vgpr53
	s_and_saveexec_b64 s[2:3], s[34:35]
	s_cbranch_execz .LBB1110_65
.LBB1110_270:
	v_lshlrev_b32_e32 v1, 3, v54
	v_mov_b32_e32 v53, s62
	v_add_co_u32_e32 v52, vcc, s7, v1
	v_addc_co_u32_e32 v53, vcc, 0, v53, vcc
	flat_load_dwordx2 v[52:53], v[52:53]
	s_or_b64 exec, exec, s[2:3]
                                        ; implicit-def: $vgpr54_vgpr55
	s_and_saveexec_b64 s[2:3], s[36:37]
	s_cbranch_execz .LBB1110_66
.LBB1110_271:
	v_lshlrev_b32_e32 v1, 3, v56
	v_mov_b32_e32 v55, s62
	v_add_co_u32_e32 v54, vcc, s7, v1
	v_addc_co_u32_e32 v55, vcc, 0, v55, vcc
	flat_load_dwordx2 v[54:55], v[54:55]
	s_or_b64 exec, exec, s[2:3]
                                        ; implicit-def: $vgpr56_vgpr57
	s_and_saveexec_b64 s[2:3], s[38:39]
	s_cbranch_execz .LBB1110_67
.LBB1110_272:
	v_lshlrev_b32_e32 v1, 3, v58
	v_mov_b32_e32 v57, s62
	v_add_co_u32_e32 v56, vcc, s7, v1
	v_addc_co_u32_e32 v57, vcc, 0, v57, vcc
	flat_load_dwordx2 v[56:57], v[56:57]
	s_or_b64 exec, exec, s[2:3]
                                        ; implicit-def: $vgpr58_vgpr59
	s_and_saveexec_b64 s[2:3], s[40:41]
	s_cbranch_execz .LBB1110_68
.LBB1110_273:
	v_lshlrev_b32_e32 v1, 3, v60
	v_mov_b32_e32 v59, s62
	v_add_co_u32_e32 v58, vcc, s7, v1
	v_addc_co_u32_e32 v59, vcc, 0, v59, vcc
	flat_load_dwordx2 v[58:59], v[58:59]
	s_or_b64 exec, exec, s[2:3]
                                        ; implicit-def: $vgpr60_vgpr61
	s_and_saveexec_b64 s[2:3], s[42:43]
	s_cbranch_execz .LBB1110_69
.LBB1110_274:
	v_lshlrev_b32_e32 v1, 3, v62
	v_mov_b32_e32 v61, s62
	v_add_co_u32_e32 v60, vcc, s7, v1
	v_addc_co_u32_e32 v61, vcc, 0, v61, vcc
	flat_load_dwordx2 v[60:61], v[60:61]
	s_or_b64 exec, exec, s[2:3]
                                        ; implicit-def: $vgpr62_vgpr63
	s_and_saveexec_b64 s[2:3], s[44:45]
	s_cbranch_execnz .LBB1110_70
	s_branch .LBB1110_71
.LBB1110_275:
                                        ; implicit-def: $sgpr54_sgpr55
	s_branch .LBB1110_46
.LBB1110_276:
                                        ; implicit-def: $sgpr2_sgpr3
	s_branch .LBB1110_116
	.section	.rodata,"a",@progbits
	.p2align	6, 0x0
	.amdhsa_kernel _ZN7rocprim17ROCPRIM_400000_NS6detail17trampoline_kernelINS0_14default_configENS1_27scan_by_key_config_selectorIidEEZZNS1_16scan_by_key_implILNS1_25lookback_scan_determinismE0ELb0ES3_N6thrust23THRUST_200600_302600_NS6detail15normal_iteratorINS9_10device_ptrIiEEEENSB_INSC_IdEEEESG_dNS9_4plusIvEENS9_8equal_toIvEEdEE10hipError_tPvRmT2_T3_T4_T5_mT6_T7_P12ihipStream_tbENKUlT_T0_E_clISt17integral_constantIbLb1EES10_IbLb0EEEEDaSW_SX_EUlSW_E_NS1_11comp_targetILNS1_3genE4ELNS1_11target_archE910ELNS1_3gpuE8ELNS1_3repE0EEENS1_30default_config_static_selectorELNS0_4arch9wavefront6targetE1EEEvT1_
		.amdhsa_group_segment_fixed_size 10752
		.amdhsa_private_segment_fixed_size 0
		.amdhsa_kernarg_size 136
		.amdhsa_user_sgpr_count 6
		.amdhsa_user_sgpr_private_segment_buffer 1
		.amdhsa_user_sgpr_dispatch_ptr 0
		.amdhsa_user_sgpr_queue_ptr 0
		.amdhsa_user_sgpr_kernarg_segment_ptr 1
		.amdhsa_user_sgpr_dispatch_id 0
		.amdhsa_user_sgpr_flat_scratch_init 0
		.amdhsa_user_sgpr_kernarg_preload_length 0
		.amdhsa_user_sgpr_kernarg_preload_offset 0
		.amdhsa_user_sgpr_private_segment_size 0
		.amdhsa_uses_dynamic_stack 0
		.amdhsa_system_sgpr_private_segment_wavefront_offset 0
		.amdhsa_system_sgpr_workgroup_id_x 1
		.amdhsa_system_sgpr_workgroup_id_y 0
		.amdhsa_system_sgpr_workgroup_id_z 0
		.amdhsa_system_sgpr_workgroup_info 0
		.amdhsa_system_vgpr_workitem_id 0
		.amdhsa_next_free_vgpr 136
		.amdhsa_next_free_sgpr 96
		.amdhsa_accum_offset 136
		.amdhsa_reserve_vcc 1
		.amdhsa_reserve_flat_scratch 0
		.amdhsa_float_round_mode_32 0
		.amdhsa_float_round_mode_16_64 0
		.amdhsa_float_denorm_mode_32 3
		.amdhsa_float_denorm_mode_16_64 3
		.amdhsa_dx10_clamp 1
		.amdhsa_ieee_mode 1
		.amdhsa_fp16_overflow 0
		.amdhsa_tg_split 0
		.amdhsa_exception_fp_ieee_invalid_op 0
		.amdhsa_exception_fp_denorm_src 0
		.amdhsa_exception_fp_ieee_div_zero 0
		.amdhsa_exception_fp_ieee_overflow 0
		.amdhsa_exception_fp_ieee_underflow 0
		.amdhsa_exception_fp_ieee_inexact 0
		.amdhsa_exception_int_div_zero 0
	.end_amdhsa_kernel
	.section	.text._ZN7rocprim17ROCPRIM_400000_NS6detail17trampoline_kernelINS0_14default_configENS1_27scan_by_key_config_selectorIidEEZZNS1_16scan_by_key_implILNS1_25lookback_scan_determinismE0ELb0ES3_N6thrust23THRUST_200600_302600_NS6detail15normal_iteratorINS9_10device_ptrIiEEEENSB_INSC_IdEEEESG_dNS9_4plusIvEENS9_8equal_toIvEEdEE10hipError_tPvRmT2_T3_T4_T5_mT6_T7_P12ihipStream_tbENKUlT_T0_E_clISt17integral_constantIbLb1EES10_IbLb0EEEEDaSW_SX_EUlSW_E_NS1_11comp_targetILNS1_3genE4ELNS1_11target_archE910ELNS1_3gpuE8ELNS1_3repE0EEENS1_30default_config_static_selectorELNS0_4arch9wavefront6targetE1EEEvT1_,"axG",@progbits,_ZN7rocprim17ROCPRIM_400000_NS6detail17trampoline_kernelINS0_14default_configENS1_27scan_by_key_config_selectorIidEEZZNS1_16scan_by_key_implILNS1_25lookback_scan_determinismE0ELb0ES3_N6thrust23THRUST_200600_302600_NS6detail15normal_iteratorINS9_10device_ptrIiEEEENSB_INSC_IdEEEESG_dNS9_4plusIvEENS9_8equal_toIvEEdEE10hipError_tPvRmT2_T3_T4_T5_mT6_T7_P12ihipStream_tbENKUlT_T0_E_clISt17integral_constantIbLb1EES10_IbLb0EEEEDaSW_SX_EUlSW_E_NS1_11comp_targetILNS1_3genE4ELNS1_11target_archE910ELNS1_3gpuE8ELNS1_3repE0EEENS1_30default_config_static_selectorELNS0_4arch9wavefront6targetE1EEEvT1_,comdat
.Lfunc_end1110:
	.size	_ZN7rocprim17ROCPRIM_400000_NS6detail17trampoline_kernelINS0_14default_configENS1_27scan_by_key_config_selectorIidEEZZNS1_16scan_by_key_implILNS1_25lookback_scan_determinismE0ELb0ES3_N6thrust23THRUST_200600_302600_NS6detail15normal_iteratorINS9_10device_ptrIiEEEENSB_INSC_IdEEEESG_dNS9_4plusIvEENS9_8equal_toIvEEdEE10hipError_tPvRmT2_T3_T4_T5_mT6_T7_P12ihipStream_tbENKUlT_T0_E_clISt17integral_constantIbLb1EES10_IbLb0EEEEDaSW_SX_EUlSW_E_NS1_11comp_targetILNS1_3genE4ELNS1_11target_archE910ELNS1_3gpuE8ELNS1_3repE0EEENS1_30default_config_static_selectorELNS0_4arch9wavefront6targetE1EEEvT1_, .Lfunc_end1110-_ZN7rocprim17ROCPRIM_400000_NS6detail17trampoline_kernelINS0_14default_configENS1_27scan_by_key_config_selectorIidEEZZNS1_16scan_by_key_implILNS1_25lookback_scan_determinismE0ELb0ES3_N6thrust23THRUST_200600_302600_NS6detail15normal_iteratorINS9_10device_ptrIiEEEENSB_INSC_IdEEEESG_dNS9_4plusIvEENS9_8equal_toIvEEdEE10hipError_tPvRmT2_T3_T4_T5_mT6_T7_P12ihipStream_tbENKUlT_T0_E_clISt17integral_constantIbLb1EES10_IbLb0EEEEDaSW_SX_EUlSW_E_NS1_11comp_targetILNS1_3genE4ELNS1_11target_archE910ELNS1_3gpuE8ELNS1_3repE0EEENS1_30default_config_static_selectorELNS0_4arch9wavefront6targetE1EEEvT1_
                                        ; -- End function
	.section	.AMDGPU.csdata,"",@progbits
; Kernel info:
; codeLenInByte = 16536
; NumSgprs: 100
; NumVgprs: 136
; NumAgprs: 0
; TotalNumVgprs: 136
; ScratchSize: 0
; MemoryBound: 0
; FloatMode: 240
; IeeeMode: 1
; LDSByteSize: 10752 bytes/workgroup (compile time only)
; SGPRBlocks: 12
; VGPRBlocks: 16
; NumSGPRsForWavesPerEU: 100
; NumVGPRsForWavesPerEU: 136
; AccumOffset: 136
; Occupancy: 2
; WaveLimiterHint : 1
; COMPUTE_PGM_RSRC2:SCRATCH_EN: 0
; COMPUTE_PGM_RSRC2:USER_SGPR: 6
; COMPUTE_PGM_RSRC2:TRAP_HANDLER: 0
; COMPUTE_PGM_RSRC2:TGID_X_EN: 1
; COMPUTE_PGM_RSRC2:TGID_Y_EN: 0
; COMPUTE_PGM_RSRC2:TGID_Z_EN: 0
; COMPUTE_PGM_RSRC2:TIDIG_COMP_CNT: 0
; COMPUTE_PGM_RSRC3_GFX90A:ACCUM_OFFSET: 33
; COMPUTE_PGM_RSRC3_GFX90A:TG_SPLIT: 0
	.section	.text._ZN7rocprim17ROCPRIM_400000_NS6detail17trampoline_kernelINS0_14default_configENS1_27scan_by_key_config_selectorIidEEZZNS1_16scan_by_key_implILNS1_25lookback_scan_determinismE0ELb0ES3_N6thrust23THRUST_200600_302600_NS6detail15normal_iteratorINS9_10device_ptrIiEEEENSB_INSC_IdEEEESG_dNS9_4plusIvEENS9_8equal_toIvEEdEE10hipError_tPvRmT2_T3_T4_T5_mT6_T7_P12ihipStream_tbENKUlT_T0_E_clISt17integral_constantIbLb1EES10_IbLb0EEEEDaSW_SX_EUlSW_E_NS1_11comp_targetILNS1_3genE3ELNS1_11target_archE908ELNS1_3gpuE7ELNS1_3repE0EEENS1_30default_config_static_selectorELNS0_4arch9wavefront6targetE1EEEvT1_,"axG",@progbits,_ZN7rocprim17ROCPRIM_400000_NS6detail17trampoline_kernelINS0_14default_configENS1_27scan_by_key_config_selectorIidEEZZNS1_16scan_by_key_implILNS1_25lookback_scan_determinismE0ELb0ES3_N6thrust23THRUST_200600_302600_NS6detail15normal_iteratorINS9_10device_ptrIiEEEENSB_INSC_IdEEEESG_dNS9_4plusIvEENS9_8equal_toIvEEdEE10hipError_tPvRmT2_T3_T4_T5_mT6_T7_P12ihipStream_tbENKUlT_T0_E_clISt17integral_constantIbLb1EES10_IbLb0EEEEDaSW_SX_EUlSW_E_NS1_11comp_targetILNS1_3genE3ELNS1_11target_archE908ELNS1_3gpuE7ELNS1_3repE0EEENS1_30default_config_static_selectorELNS0_4arch9wavefront6targetE1EEEvT1_,comdat
	.protected	_ZN7rocprim17ROCPRIM_400000_NS6detail17trampoline_kernelINS0_14default_configENS1_27scan_by_key_config_selectorIidEEZZNS1_16scan_by_key_implILNS1_25lookback_scan_determinismE0ELb0ES3_N6thrust23THRUST_200600_302600_NS6detail15normal_iteratorINS9_10device_ptrIiEEEENSB_INSC_IdEEEESG_dNS9_4plusIvEENS9_8equal_toIvEEdEE10hipError_tPvRmT2_T3_T4_T5_mT6_T7_P12ihipStream_tbENKUlT_T0_E_clISt17integral_constantIbLb1EES10_IbLb0EEEEDaSW_SX_EUlSW_E_NS1_11comp_targetILNS1_3genE3ELNS1_11target_archE908ELNS1_3gpuE7ELNS1_3repE0EEENS1_30default_config_static_selectorELNS0_4arch9wavefront6targetE1EEEvT1_ ; -- Begin function _ZN7rocprim17ROCPRIM_400000_NS6detail17trampoline_kernelINS0_14default_configENS1_27scan_by_key_config_selectorIidEEZZNS1_16scan_by_key_implILNS1_25lookback_scan_determinismE0ELb0ES3_N6thrust23THRUST_200600_302600_NS6detail15normal_iteratorINS9_10device_ptrIiEEEENSB_INSC_IdEEEESG_dNS9_4plusIvEENS9_8equal_toIvEEdEE10hipError_tPvRmT2_T3_T4_T5_mT6_T7_P12ihipStream_tbENKUlT_T0_E_clISt17integral_constantIbLb1EES10_IbLb0EEEEDaSW_SX_EUlSW_E_NS1_11comp_targetILNS1_3genE3ELNS1_11target_archE908ELNS1_3gpuE7ELNS1_3repE0EEENS1_30default_config_static_selectorELNS0_4arch9wavefront6targetE1EEEvT1_
	.globl	_ZN7rocprim17ROCPRIM_400000_NS6detail17trampoline_kernelINS0_14default_configENS1_27scan_by_key_config_selectorIidEEZZNS1_16scan_by_key_implILNS1_25lookback_scan_determinismE0ELb0ES3_N6thrust23THRUST_200600_302600_NS6detail15normal_iteratorINS9_10device_ptrIiEEEENSB_INSC_IdEEEESG_dNS9_4plusIvEENS9_8equal_toIvEEdEE10hipError_tPvRmT2_T3_T4_T5_mT6_T7_P12ihipStream_tbENKUlT_T0_E_clISt17integral_constantIbLb1EES10_IbLb0EEEEDaSW_SX_EUlSW_E_NS1_11comp_targetILNS1_3genE3ELNS1_11target_archE908ELNS1_3gpuE7ELNS1_3repE0EEENS1_30default_config_static_selectorELNS0_4arch9wavefront6targetE1EEEvT1_
	.p2align	8
	.type	_ZN7rocprim17ROCPRIM_400000_NS6detail17trampoline_kernelINS0_14default_configENS1_27scan_by_key_config_selectorIidEEZZNS1_16scan_by_key_implILNS1_25lookback_scan_determinismE0ELb0ES3_N6thrust23THRUST_200600_302600_NS6detail15normal_iteratorINS9_10device_ptrIiEEEENSB_INSC_IdEEEESG_dNS9_4plusIvEENS9_8equal_toIvEEdEE10hipError_tPvRmT2_T3_T4_T5_mT6_T7_P12ihipStream_tbENKUlT_T0_E_clISt17integral_constantIbLb1EES10_IbLb0EEEEDaSW_SX_EUlSW_E_NS1_11comp_targetILNS1_3genE3ELNS1_11target_archE908ELNS1_3gpuE7ELNS1_3repE0EEENS1_30default_config_static_selectorELNS0_4arch9wavefront6targetE1EEEvT1_,@function
_ZN7rocprim17ROCPRIM_400000_NS6detail17trampoline_kernelINS0_14default_configENS1_27scan_by_key_config_selectorIidEEZZNS1_16scan_by_key_implILNS1_25lookback_scan_determinismE0ELb0ES3_N6thrust23THRUST_200600_302600_NS6detail15normal_iteratorINS9_10device_ptrIiEEEENSB_INSC_IdEEEESG_dNS9_4plusIvEENS9_8equal_toIvEEdEE10hipError_tPvRmT2_T3_T4_T5_mT6_T7_P12ihipStream_tbENKUlT_T0_E_clISt17integral_constantIbLb1EES10_IbLb0EEEEDaSW_SX_EUlSW_E_NS1_11comp_targetILNS1_3genE3ELNS1_11target_archE908ELNS1_3gpuE7ELNS1_3repE0EEENS1_30default_config_static_selectorELNS0_4arch9wavefront6targetE1EEEvT1_: ; @_ZN7rocprim17ROCPRIM_400000_NS6detail17trampoline_kernelINS0_14default_configENS1_27scan_by_key_config_selectorIidEEZZNS1_16scan_by_key_implILNS1_25lookback_scan_determinismE0ELb0ES3_N6thrust23THRUST_200600_302600_NS6detail15normal_iteratorINS9_10device_ptrIiEEEENSB_INSC_IdEEEESG_dNS9_4plusIvEENS9_8equal_toIvEEdEE10hipError_tPvRmT2_T3_T4_T5_mT6_T7_P12ihipStream_tbENKUlT_T0_E_clISt17integral_constantIbLb1EES10_IbLb0EEEEDaSW_SX_EUlSW_E_NS1_11comp_targetILNS1_3genE3ELNS1_11target_archE908ELNS1_3gpuE7ELNS1_3repE0EEENS1_30default_config_static_selectorELNS0_4arch9wavefront6targetE1EEEvT1_
; %bb.0:
	.section	.rodata,"a",@progbits
	.p2align	6, 0x0
	.amdhsa_kernel _ZN7rocprim17ROCPRIM_400000_NS6detail17trampoline_kernelINS0_14default_configENS1_27scan_by_key_config_selectorIidEEZZNS1_16scan_by_key_implILNS1_25lookback_scan_determinismE0ELb0ES3_N6thrust23THRUST_200600_302600_NS6detail15normal_iteratorINS9_10device_ptrIiEEEENSB_INSC_IdEEEESG_dNS9_4plusIvEENS9_8equal_toIvEEdEE10hipError_tPvRmT2_T3_T4_T5_mT6_T7_P12ihipStream_tbENKUlT_T0_E_clISt17integral_constantIbLb1EES10_IbLb0EEEEDaSW_SX_EUlSW_E_NS1_11comp_targetILNS1_3genE3ELNS1_11target_archE908ELNS1_3gpuE7ELNS1_3repE0EEENS1_30default_config_static_selectorELNS0_4arch9wavefront6targetE1EEEvT1_
		.amdhsa_group_segment_fixed_size 0
		.amdhsa_private_segment_fixed_size 0
		.amdhsa_kernarg_size 136
		.amdhsa_user_sgpr_count 6
		.amdhsa_user_sgpr_private_segment_buffer 1
		.amdhsa_user_sgpr_dispatch_ptr 0
		.amdhsa_user_sgpr_queue_ptr 0
		.amdhsa_user_sgpr_kernarg_segment_ptr 1
		.amdhsa_user_sgpr_dispatch_id 0
		.amdhsa_user_sgpr_flat_scratch_init 0
		.amdhsa_user_sgpr_kernarg_preload_length 0
		.amdhsa_user_sgpr_kernarg_preload_offset 0
		.amdhsa_user_sgpr_private_segment_size 0
		.amdhsa_uses_dynamic_stack 0
		.amdhsa_system_sgpr_private_segment_wavefront_offset 0
		.amdhsa_system_sgpr_workgroup_id_x 1
		.amdhsa_system_sgpr_workgroup_id_y 0
		.amdhsa_system_sgpr_workgroup_id_z 0
		.amdhsa_system_sgpr_workgroup_info 0
		.amdhsa_system_vgpr_workitem_id 0
		.amdhsa_next_free_vgpr 1
		.amdhsa_next_free_sgpr 0
		.amdhsa_accum_offset 4
		.amdhsa_reserve_vcc 0
		.amdhsa_reserve_flat_scratch 0
		.amdhsa_float_round_mode_32 0
		.amdhsa_float_round_mode_16_64 0
		.amdhsa_float_denorm_mode_32 3
		.amdhsa_float_denorm_mode_16_64 3
		.amdhsa_dx10_clamp 1
		.amdhsa_ieee_mode 1
		.amdhsa_fp16_overflow 0
		.amdhsa_tg_split 0
		.amdhsa_exception_fp_ieee_invalid_op 0
		.amdhsa_exception_fp_denorm_src 0
		.amdhsa_exception_fp_ieee_div_zero 0
		.amdhsa_exception_fp_ieee_overflow 0
		.amdhsa_exception_fp_ieee_underflow 0
		.amdhsa_exception_fp_ieee_inexact 0
		.amdhsa_exception_int_div_zero 0
	.end_amdhsa_kernel
	.section	.text._ZN7rocprim17ROCPRIM_400000_NS6detail17trampoline_kernelINS0_14default_configENS1_27scan_by_key_config_selectorIidEEZZNS1_16scan_by_key_implILNS1_25lookback_scan_determinismE0ELb0ES3_N6thrust23THRUST_200600_302600_NS6detail15normal_iteratorINS9_10device_ptrIiEEEENSB_INSC_IdEEEESG_dNS9_4plusIvEENS9_8equal_toIvEEdEE10hipError_tPvRmT2_T3_T4_T5_mT6_T7_P12ihipStream_tbENKUlT_T0_E_clISt17integral_constantIbLb1EES10_IbLb0EEEEDaSW_SX_EUlSW_E_NS1_11comp_targetILNS1_3genE3ELNS1_11target_archE908ELNS1_3gpuE7ELNS1_3repE0EEENS1_30default_config_static_selectorELNS0_4arch9wavefront6targetE1EEEvT1_,"axG",@progbits,_ZN7rocprim17ROCPRIM_400000_NS6detail17trampoline_kernelINS0_14default_configENS1_27scan_by_key_config_selectorIidEEZZNS1_16scan_by_key_implILNS1_25lookback_scan_determinismE0ELb0ES3_N6thrust23THRUST_200600_302600_NS6detail15normal_iteratorINS9_10device_ptrIiEEEENSB_INSC_IdEEEESG_dNS9_4plusIvEENS9_8equal_toIvEEdEE10hipError_tPvRmT2_T3_T4_T5_mT6_T7_P12ihipStream_tbENKUlT_T0_E_clISt17integral_constantIbLb1EES10_IbLb0EEEEDaSW_SX_EUlSW_E_NS1_11comp_targetILNS1_3genE3ELNS1_11target_archE908ELNS1_3gpuE7ELNS1_3repE0EEENS1_30default_config_static_selectorELNS0_4arch9wavefront6targetE1EEEvT1_,comdat
.Lfunc_end1111:
	.size	_ZN7rocprim17ROCPRIM_400000_NS6detail17trampoline_kernelINS0_14default_configENS1_27scan_by_key_config_selectorIidEEZZNS1_16scan_by_key_implILNS1_25lookback_scan_determinismE0ELb0ES3_N6thrust23THRUST_200600_302600_NS6detail15normal_iteratorINS9_10device_ptrIiEEEENSB_INSC_IdEEEESG_dNS9_4plusIvEENS9_8equal_toIvEEdEE10hipError_tPvRmT2_T3_T4_T5_mT6_T7_P12ihipStream_tbENKUlT_T0_E_clISt17integral_constantIbLb1EES10_IbLb0EEEEDaSW_SX_EUlSW_E_NS1_11comp_targetILNS1_3genE3ELNS1_11target_archE908ELNS1_3gpuE7ELNS1_3repE0EEENS1_30default_config_static_selectorELNS0_4arch9wavefront6targetE1EEEvT1_, .Lfunc_end1111-_ZN7rocprim17ROCPRIM_400000_NS6detail17trampoline_kernelINS0_14default_configENS1_27scan_by_key_config_selectorIidEEZZNS1_16scan_by_key_implILNS1_25lookback_scan_determinismE0ELb0ES3_N6thrust23THRUST_200600_302600_NS6detail15normal_iteratorINS9_10device_ptrIiEEEENSB_INSC_IdEEEESG_dNS9_4plusIvEENS9_8equal_toIvEEdEE10hipError_tPvRmT2_T3_T4_T5_mT6_T7_P12ihipStream_tbENKUlT_T0_E_clISt17integral_constantIbLb1EES10_IbLb0EEEEDaSW_SX_EUlSW_E_NS1_11comp_targetILNS1_3genE3ELNS1_11target_archE908ELNS1_3gpuE7ELNS1_3repE0EEENS1_30default_config_static_selectorELNS0_4arch9wavefront6targetE1EEEvT1_
                                        ; -- End function
	.section	.AMDGPU.csdata,"",@progbits
; Kernel info:
; codeLenInByte = 0
; NumSgprs: 4
; NumVgprs: 0
; NumAgprs: 0
; TotalNumVgprs: 0
; ScratchSize: 0
; MemoryBound: 0
; FloatMode: 240
; IeeeMode: 1
; LDSByteSize: 0 bytes/workgroup (compile time only)
; SGPRBlocks: 0
; VGPRBlocks: 0
; NumSGPRsForWavesPerEU: 4
; NumVGPRsForWavesPerEU: 1
; AccumOffset: 4
; Occupancy: 8
; WaveLimiterHint : 0
; COMPUTE_PGM_RSRC2:SCRATCH_EN: 0
; COMPUTE_PGM_RSRC2:USER_SGPR: 6
; COMPUTE_PGM_RSRC2:TRAP_HANDLER: 0
; COMPUTE_PGM_RSRC2:TGID_X_EN: 1
; COMPUTE_PGM_RSRC2:TGID_Y_EN: 0
; COMPUTE_PGM_RSRC2:TGID_Z_EN: 0
; COMPUTE_PGM_RSRC2:TIDIG_COMP_CNT: 0
; COMPUTE_PGM_RSRC3_GFX90A:ACCUM_OFFSET: 0
; COMPUTE_PGM_RSRC3_GFX90A:TG_SPLIT: 0
	.section	.text._ZN7rocprim17ROCPRIM_400000_NS6detail17trampoline_kernelINS0_14default_configENS1_27scan_by_key_config_selectorIidEEZZNS1_16scan_by_key_implILNS1_25lookback_scan_determinismE0ELb0ES3_N6thrust23THRUST_200600_302600_NS6detail15normal_iteratorINS9_10device_ptrIiEEEENSB_INSC_IdEEEESG_dNS9_4plusIvEENS9_8equal_toIvEEdEE10hipError_tPvRmT2_T3_T4_T5_mT6_T7_P12ihipStream_tbENKUlT_T0_E_clISt17integral_constantIbLb1EES10_IbLb0EEEEDaSW_SX_EUlSW_E_NS1_11comp_targetILNS1_3genE2ELNS1_11target_archE906ELNS1_3gpuE6ELNS1_3repE0EEENS1_30default_config_static_selectorELNS0_4arch9wavefront6targetE1EEEvT1_,"axG",@progbits,_ZN7rocprim17ROCPRIM_400000_NS6detail17trampoline_kernelINS0_14default_configENS1_27scan_by_key_config_selectorIidEEZZNS1_16scan_by_key_implILNS1_25lookback_scan_determinismE0ELb0ES3_N6thrust23THRUST_200600_302600_NS6detail15normal_iteratorINS9_10device_ptrIiEEEENSB_INSC_IdEEEESG_dNS9_4plusIvEENS9_8equal_toIvEEdEE10hipError_tPvRmT2_T3_T4_T5_mT6_T7_P12ihipStream_tbENKUlT_T0_E_clISt17integral_constantIbLb1EES10_IbLb0EEEEDaSW_SX_EUlSW_E_NS1_11comp_targetILNS1_3genE2ELNS1_11target_archE906ELNS1_3gpuE6ELNS1_3repE0EEENS1_30default_config_static_selectorELNS0_4arch9wavefront6targetE1EEEvT1_,comdat
	.protected	_ZN7rocprim17ROCPRIM_400000_NS6detail17trampoline_kernelINS0_14default_configENS1_27scan_by_key_config_selectorIidEEZZNS1_16scan_by_key_implILNS1_25lookback_scan_determinismE0ELb0ES3_N6thrust23THRUST_200600_302600_NS6detail15normal_iteratorINS9_10device_ptrIiEEEENSB_INSC_IdEEEESG_dNS9_4plusIvEENS9_8equal_toIvEEdEE10hipError_tPvRmT2_T3_T4_T5_mT6_T7_P12ihipStream_tbENKUlT_T0_E_clISt17integral_constantIbLb1EES10_IbLb0EEEEDaSW_SX_EUlSW_E_NS1_11comp_targetILNS1_3genE2ELNS1_11target_archE906ELNS1_3gpuE6ELNS1_3repE0EEENS1_30default_config_static_selectorELNS0_4arch9wavefront6targetE1EEEvT1_ ; -- Begin function _ZN7rocprim17ROCPRIM_400000_NS6detail17trampoline_kernelINS0_14default_configENS1_27scan_by_key_config_selectorIidEEZZNS1_16scan_by_key_implILNS1_25lookback_scan_determinismE0ELb0ES3_N6thrust23THRUST_200600_302600_NS6detail15normal_iteratorINS9_10device_ptrIiEEEENSB_INSC_IdEEEESG_dNS9_4plusIvEENS9_8equal_toIvEEdEE10hipError_tPvRmT2_T3_T4_T5_mT6_T7_P12ihipStream_tbENKUlT_T0_E_clISt17integral_constantIbLb1EES10_IbLb0EEEEDaSW_SX_EUlSW_E_NS1_11comp_targetILNS1_3genE2ELNS1_11target_archE906ELNS1_3gpuE6ELNS1_3repE0EEENS1_30default_config_static_selectorELNS0_4arch9wavefront6targetE1EEEvT1_
	.globl	_ZN7rocprim17ROCPRIM_400000_NS6detail17trampoline_kernelINS0_14default_configENS1_27scan_by_key_config_selectorIidEEZZNS1_16scan_by_key_implILNS1_25lookback_scan_determinismE0ELb0ES3_N6thrust23THRUST_200600_302600_NS6detail15normal_iteratorINS9_10device_ptrIiEEEENSB_INSC_IdEEEESG_dNS9_4plusIvEENS9_8equal_toIvEEdEE10hipError_tPvRmT2_T3_T4_T5_mT6_T7_P12ihipStream_tbENKUlT_T0_E_clISt17integral_constantIbLb1EES10_IbLb0EEEEDaSW_SX_EUlSW_E_NS1_11comp_targetILNS1_3genE2ELNS1_11target_archE906ELNS1_3gpuE6ELNS1_3repE0EEENS1_30default_config_static_selectorELNS0_4arch9wavefront6targetE1EEEvT1_
	.p2align	8
	.type	_ZN7rocprim17ROCPRIM_400000_NS6detail17trampoline_kernelINS0_14default_configENS1_27scan_by_key_config_selectorIidEEZZNS1_16scan_by_key_implILNS1_25lookback_scan_determinismE0ELb0ES3_N6thrust23THRUST_200600_302600_NS6detail15normal_iteratorINS9_10device_ptrIiEEEENSB_INSC_IdEEEESG_dNS9_4plusIvEENS9_8equal_toIvEEdEE10hipError_tPvRmT2_T3_T4_T5_mT6_T7_P12ihipStream_tbENKUlT_T0_E_clISt17integral_constantIbLb1EES10_IbLb0EEEEDaSW_SX_EUlSW_E_NS1_11comp_targetILNS1_3genE2ELNS1_11target_archE906ELNS1_3gpuE6ELNS1_3repE0EEENS1_30default_config_static_selectorELNS0_4arch9wavefront6targetE1EEEvT1_,@function
_ZN7rocprim17ROCPRIM_400000_NS6detail17trampoline_kernelINS0_14default_configENS1_27scan_by_key_config_selectorIidEEZZNS1_16scan_by_key_implILNS1_25lookback_scan_determinismE0ELb0ES3_N6thrust23THRUST_200600_302600_NS6detail15normal_iteratorINS9_10device_ptrIiEEEENSB_INSC_IdEEEESG_dNS9_4plusIvEENS9_8equal_toIvEEdEE10hipError_tPvRmT2_T3_T4_T5_mT6_T7_P12ihipStream_tbENKUlT_T0_E_clISt17integral_constantIbLb1EES10_IbLb0EEEEDaSW_SX_EUlSW_E_NS1_11comp_targetILNS1_3genE2ELNS1_11target_archE906ELNS1_3gpuE6ELNS1_3repE0EEENS1_30default_config_static_selectorELNS0_4arch9wavefront6targetE1EEEvT1_: ; @_ZN7rocprim17ROCPRIM_400000_NS6detail17trampoline_kernelINS0_14default_configENS1_27scan_by_key_config_selectorIidEEZZNS1_16scan_by_key_implILNS1_25lookback_scan_determinismE0ELb0ES3_N6thrust23THRUST_200600_302600_NS6detail15normal_iteratorINS9_10device_ptrIiEEEENSB_INSC_IdEEEESG_dNS9_4plusIvEENS9_8equal_toIvEEdEE10hipError_tPvRmT2_T3_T4_T5_mT6_T7_P12ihipStream_tbENKUlT_T0_E_clISt17integral_constantIbLb1EES10_IbLb0EEEEDaSW_SX_EUlSW_E_NS1_11comp_targetILNS1_3genE2ELNS1_11target_archE906ELNS1_3gpuE6ELNS1_3repE0EEENS1_30default_config_static_selectorELNS0_4arch9wavefront6targetE1EEEvT1_
; %bb.0:
	.section	.rodata,"a",@progbits
	.p2align	6, 0x0
	.amdhsa_kernel _ZN7rocprim17ROCPRIM_400000_NS6detail17trampoline_kernelINS0_14default_configENS1_27scan_by_key_config_selectorIidEEZZNS1_16scan_by_key_implILNS1_25lookback_scan_determinismE0ELb0ES3_N6thrust23THRUST_200600_302600_NS6detail15normal_iteratorINS9_10device_ptrIiEEEENSB_INSC_IdEEEESG_dNS9_4plusIvEENS9_8equal_toIvEEdEE10hipError_tPvRmT2_T3_T4_T5_mT6_T7_P12ihipStream_tbENKUlT_T0_E_clISt17integral_constantIbLb1EES10_IbLb0EEEEDaSW_SX_EUlSW_E_NS1_11comp_targetILNS1_3genE2ELNS1_11target_archE906ELNS1_3gpuE6ELNS1_3repE0EEENS1_30default_config_static_selectorELNS0_4arch9wavefront6targetE1EEEvT1_
		.amdhsa_group_segment_fixed_size 0
		.amdhsa_private_segment_fixed_size 0
		.amdhsa_kernarg_size 136
		.amdhsa_user_sgpr_count 6
		.amdhsa_user_sgpr_private_segment_buffer 1
		.amdhsa_user_sgpr_dispatch_ptr 0
		.amdhsa_user_sgpr_queue_ptr 0
		.amdhsa_user_sgpr_kernarg_segment_ptr 1
		.amdhsa_user_sgpr_dispatch_id 0
		.amdhsa_user_sgpr_flat_scratch_init 0
		.amdhsa_user_sgpr_kernarg_preload_length 0
		.amdhsa_user_sgpr_kernarg_preload_offset 0
		.amdhsa_user_sgpr_private_segment_size 0
		.amdhsa_uses_dynamic_stack 0
		.amdhsa_system_sgpr_private_segment_wavefront_offset 0
		.amdhsa_system_sgpr_workgroup_id_x 1
		.amdhsa_system_sgpr_workgroup_id_y 0
		.amdhsa_system_sgpr_workgroup_id_z 0
		.amdhsa_system_sgpr_workgroup_info 0
		.amdhsa_system_vgpr_workitem_id 0
		.amdhsa_next_free_vgpr 1
		.amdhsa_next_free_sgpr 0
		.amdhsa_accum_offset 4
		.amdhsa_reserve_vcc 0
		.amdhsa_reserve_flat_scratch 0
		.amdhsa_float_round_mode_32 0
		.amdhsa_float_round_mode_16_64 0
		.amdhsa_float_denorm_mode_32 3
		.amdhsa_float_denorm_mode_16_64 3
		.amdhsa_dx10_clamp 1
		.amdhsa_ieee_mode 1
		.amdhsa_fp16_overflow 0
		.amdhsa_tg_split 0
		.amdhsa_exception_fp_ieee_invalid_op 0
		.amdhsa_exception_fp_denorm_src 0
		.amdhsa_exception_fp_ieee_div_zero 0
		.amdhsa_exception_fp_ieee_overflow 0
		.amdhsa_exception_fp_ieee_underflow 0
		.amdhsa_exception_fp_ieee_inexact 0
		.amdhsa_exception_int_div_zero 0
	.end_amdhsa_kernel
	.section	.text._ZN7rocprim17ROCPRIM_400000_NS6detail17trampoline_kernelINS0_14default_configENS1_27scan_by_key_config_selectorIidEEZZNS1_16scan_by_key_implILNS1_25lookback_scan_determinismE0ELb0ES3_N6thrust23THRUST_200600_302600_NS6detail15normal_iteratorINS9_10device_ptrIiEEEENSB_INSC_IdEEEESG_dNS9_4plusIvEENS9_8equal_toIvEEdEE10hipError_tPvRmT2_T3_T4_T5_mT6_T7_P12ihipStream_tbENKUlT_T0_E_clISt17integral_constantIbLb1EES10_IbLb0EEEEDaSW_SX_EUlSW_E_NS1_11comp_targetILNS1_3genE2ELNS1_11target_archE906ELNS1_3gpuE6ELNS1_3repE0EEENS1_30default_config_static_selectorELNS0_4arch9wavefront6targetE1EEEvT1_,"axG",@progbits,_ZN7rocprim17ROCPRIM_400000_NS6detail17trampoline_kernelINS0_14default_configENS1_27scan_by_key_config_selectorIidEEZZNS1_16scan_by_key_implILNS1_25lookback_scan_determinismE0ELb0ES3_N6thrust23THRUST_200600_302600_NS6detail15normal_iteratorINS9_10device_ptrIiEEEENSB_INSC_IdEEEESG_dNS9_4plusIvEENS9_8equal_toIvEEdEE10hipError_tPvRmT2_T3_T4_T5_mT6_T7_P12ihipStream_tbENKUlT_T0_E_clISt17integral_constantIbLb1EES10_IbLb0EEEEDaSW_SX_EUlSW_E_NS1_11comp_targetILNS1_3genE2ELNS1_11target_archE906ELNS1_3gpuE6ELNS1_3repE0EEENS1_30default_config_static_selectorELNS0_4arch9wavefront6targetE1EEEvT1_,comdat
.Lfunc_end1112:
	.size	_ZN7rocprim17ROCPRIM_400000_NS6detail17trampoline_kernelINS0_14default_configENS1_27scan_by_key_config_selectorIidEEZZNS1_16scan_by_key_implILNS1_25lookback_scan_determinismE0ELb0ES3_N6thrust23THRUST_200600_302600_NS6detail15normal_iteratorINS9_10device_ptrIiEEEENSB_INSC_IdEEEESG_dNS9_4plusIvEENS9_8equal_toIvEEdEE10hipError_tPvRmT2_T3_T4_T5_mT6_T7_P12ihipStream_tbENKUlT_T0_E_clISt17integral_constantIbLb1EES10_IbLb0EEEEDaSW_SX_EUlSW_E_NS1_11comp_targetILNS1_3genE2ELNS1_11target_archE906ELNS1_3gpuE6ELNS1_3repE0EEENS1_30default_config_static_selectorELNS0_4arch9wavefront6targetE1EEEvT1_, .Lfunc_end1112-_ZN7rocprim17ROCPRIM_400000_NS6detail17trampoline_kernelINS0_14default_configENS1_27scan_by_key_config_selectorIidEEZZNS1_16scan_by_key_implILNS1_25lookback_scan_determinismE0ELb0ES3_N6thrust23THRUST_200600_302600_NS6detail15normal_iteratorINS9_10device_ptrIiEEEENSB_INSC_IdEEEESG_dNS9_4plusIvEENS9_8equal_toIvEEdEE10hipError_tPvRmT2_T3_T4_T5_mT6_T7_P12ihipStream_tbENKUlT_T0_E_clISt17integral_constantIbLb1EES10_IbLb0EEEEDaSW_SX_EUlSW_E_NS1_11comp_targetILNS1_3genE2ELNS1_11target_archE906ELNS1_3gpuE6ELNS1_3repE0EEENS1_30default_config_static_selectorELNS0_4arch9wavefront6targetE1EEEvT1_
                                        ; -- End function
	.section	.AMDGPU.csdata,"",@progbits
; Kernel info:
; codeLenInByte = 0
; NumSgprs: 4
; NumVgprs: 0
; NumAgprs: 0
; TotalNumVgprs: 0
; ScratchSize: 0
; MemoryBound: 0
; FloatMode: 240
; IeeeMode: 1
; LDSByteSize: 0 bytes/workgroup (compile time only)
; SGPRBlocks: 0
; VGPRBlocks: 0
; NumSGPRsForWavesPerEU: 4
; NumVGPRsForWavesPerEU: 1
; AccumOffset: 4
; Occupancy: 8
; WaveLimiterHint : 0
; COMPUTE_PGM_RSRC2:SCRATCH_EN: 0
; COMPUTE_PGM_RSRC2:USER_SGPR: 6
; COMPUTE_PGM_RSRC2:TRAP_HANDLER: 0
; COMPUTE_PGM_RSRC2:TGID_X_EN: 1
; COMPUTE_PGM_RSRC2:TGID_Y_EN: 0
; COMPUTE_PGM_RSRC2:TGID_Z_EN: 0
; COMPUTE_PGM_RSRC2:TIDIG_COMP_CNT: 0
; COMPUTE_PGM_RSRC3_GFX90A:ACCUM_OFFSET: 0
; COMPUTE_PGM_RSRC3_GFX90A:TG_SPLIT: 0
	.section	.text._ZN7rocprim17ROCPRIM_400000_NS6detail17trampoline_kernelINS0_14default_configENS1_27scan_by_key_config_selectorIidEEZZNS1_16scan_by_key_implILNS1_25lookback_scan_determinismE0ELb0ES3_N6thrust23THRUST_200600_302600_NS6detail15normal_iteratorINS9_10device_ptrIiEEEENSB_INSC_IdEEEESG_dNS9_4plusIvEENS9_8equal_toIvEEdEE10hipError_tPvRmT2_T3_T4_T5_mT6_T7_P12ihipStream_tbENKUlT_T0_E_clISt17integral_constantIbLb1EES10_IbLb0EEEEDaSW_SX_EUlSW_E_NS1_11comp_targetILNS1_3genE10ELNS1_11target_archE1200ELNS1_3gpuE4ELNS1_3repE0EEENS1_30default_config_static_selectorELNS0_4arch9wavefront6targetE1EEEvT1_,"axG",@progbits,_ZN7rocprim17ROCPRIM_400000_NS6detail17trampoline_kernelINS0_14default_configENS1_27scan_by_key_config_selectorIidEEZZNS1_16scan_by_key_implILNS1_25lookback_scan_determinismE0ELb0ES3_N6thrust23THRUST_200600_302600_NS6detail15normal_iteratorINS9_10device_ptrIiEEEENSB_INSC_IdEEEESG_dNS9_4plusIvEENS9_8equal_toIvEEdEE10hipError_tPvRmT2_T3_T4_T5_mT6_T7_P12ihipStream_tbENKUlT_T0_E_clISt17integral_constantIbLb1EES10_IbLb0EEEEDaSW_SX_EUlSW_E_NS1_11comp_targetILNS1_3genE10ELNS1_11target_archE1200ELNS1_3gpuE4ELNS1_3repE0EEENS1_30default_config_static_selectorELNS0_4arch9wavefront6targetE1EEEvT1_,comdat
	.protected	_ZN7rocprim17ROCPRIM_400000_NS6detail17trampoline_kernelINS0_14default_configENS1_27scan_by_key_config_selectorIidEEZZNS1_16scan_by_key_implILNS1_25lookback_scan_determinismE0ELb0ES3_N6thrust23THRUST_200600_302600_NS6detail15normal_iteratorINS9_10device_ptrIiEEEENSB_INSC_IdEEEESG_dNS9_4plusIvEENS9_8equal_toIvEEdEE10hipError_tPvRmT2_T3_T4_T5_mT6_T7_P12ihipStream_tbENKUlT_T0_E_clISt17integral_constantIbLb1EES10_IbLb0EEEEDaSW_SX_EUlSW_E_NS1_11comp_targetILNS1_3genE10ELNS1_11target_archE1200ELNS1_3gpuE4ELNS1_3repE0EEENS1_30default_config_static_selectorELNS0_4arch9wavefront6targetE1EEEvT1_ ; -- Begin function _ZN7rocprim17ROCPRIM_400000_NS6detail17trampoline_kernelINS0_14default_configENS1_27scan_by_key_config_selectorIidEEZZNS1_16scan_by_key_implILNS1_25lookback_scan_determinismE0ELb0ES3_N6thrust23THRUST_200600_302600_NS6detail15normal_iteratorINS9_10device_ptrIiEEEENSB_INSC_IdEEEESG_dNS9_4plusIvEENS9_8equal_toIvEEdEE10hipError_tPvRmT2_T3_T4_T5_mT6_T7_P12ihipStream_tbENKUlT_T0_E_clISt17integral_constantIbLb1EES10_IbLb0EEEEDaSW_SX_EUlSW_E_NS1_11comp_targetILNS1_3genE10ELNS1_11target_archE1200ELNS1_3gpuE4ELNS1_3repE0EEENS1_30default_config_static_selectorELNS0_4arch9wavefront6targetE1EEEvT1_
	.globl	_ZN7rocprim17ROCPRIM_400000_NS6detail17trampoline_kernelINS0_14default_configENS1_27scan_by_key_config_selectorIidEEZZNS1_16scan_by_key_implILNS1_25lookback_scan_determinismE0ELb0ES3_N6thrust23THRUST_200600_302600_NS6detail15normal_iteratorINS9_10device_ptrIiEEEENSB_INSC_IdEEEESG_dNS9_4plusIvEENS9_8equal_toIvEEdEE10hipError_tPvRmT2_T3_T4_T5_mT6_T7_P12ihipStream_tbENKUlT_T0_E_clISt17integral_constantIbLb1EES10_IbLb0EEEEDaSW_SX_EUlSW_E_NS1_11comp_targetILNS1_3genE10ELNS1_11target_archE1200ELNS1_3gpuE4ELNS1_3repE0EEENS1_30default_config_static_selectorELNS0_4arch9wavefront6targetE1EEEvT1_
	.p2align	8
	.type	_ZN7rocprim17ROCPRIM_400000_NS6detail17trampoline_kernelINS0_14default_configENS1_27scan_by_key_config_selectorIidEEZZNS1_16scan_by_key_implILNS1_25lookback_scan_determinismE0ELb0ES3_N6thrust23THRUST_200600_302600_NS6detail15normal_iteratorINS9_10device_ptrIiEEEENSB_INSC_IdEEEESG_dNS9_4plusIvEENS9_8equal_toIvEEdEE10hipError_tPvRmT2_T3_T4_T5_mT6_T7_P12ihipStream_tbENKUlT_T0_E_clISt17integral_constantIbLb1EES10_IbLb0EEEEDaSW_SX_EUlSW_E_NS1_11comp_targetILNS1_3genE10ELNS1_11target_archE1200ELNS1_3gpuE4ELNS1_3repE0EEENS1_30default_config_static_selectorELNS0_4arch9wavefront6targetE1EEEvT1_,@function
_ZN7rocprim17ROCPRIM_400000_NS6detail17trampoline_kernelINS0_14default_configENS1_27scan_by_key_config_selectorIidEEZZNS1_16scan_by_key_implILNS1_25lookback_scan_determinismE0ELb0ES3_N6thrust23THRUST_200600_302600_NS6detail15normal_iteratorINS9_10device_ptrIiEEEENSB_INSC_IdEEEESG_dNS9_4plusIvEENS9_8equal_toIvEEdEE10hipError_tPvRmT2_T3_T4_T5_mT6_T7_P12ihipStream_tbENKUlT_T0_E_clISt17integral_constantIbLb1EES10_IbLb0EEEEDaSW_SX_EUlSW_E_NS1_11comp_targetILNS1_3genE10ELNS1_11target_archE1200ELNS1_3gpuE4ELNS1_3repE0EEENS1_30default_config_static_selectorELNS0_4arch9wavefront6targetE1EEEvT1_: ; @_ZN7rocprim17ROCPRIM_400000_NS6detail17trampoline_kernelINS0_14default_configENS1_27scan_by_key_config_selectorIidEEZZNS1_16scan_by_key_implILNS1_25lookback_scan_determinismE0ELb0ES3_N6thrust23THRUST_200600_302600_NS6detail15normal_iteratorINS9_10device_ptrIiEEEENSB_INSC_IdEEEESG_dNS9_4plusIvEENS9_8equal_toIvEEdEE10hipError_tPvRmT2_T3_T4_T5_mT6_T7_P12ihipStream_tbENKUlT_T0_E_clISt17integral_constantIbLb1EES10_IbLb0EEEEDaSW_SX_EUlSW_E_NS1_11comp_targetILNS1_3genE10ELNS1_11target_archE1200ELNS1_3gpuE4ELNS1_3repE0EEENS1_30default_config_static_selectorELNS0_4arch9wavefront6targetE1EEEvT1_
; %bb.0:
	.section	.rodata,"a",@progbits
	.p2align	6, 0x0
	.amdhsa_kernel _ZN7rocprim17ROCPRIM_400000_NS6detail17trampoline_kernelINS0_14default_configENS1_27scan_by_key_config_selectorIidEEZZNS1_16scan_by_key_implILNS1_25lookback_scan_determinismE0ELb0ES3_N6thrust23THRUST_200600_302600_NS6detail15normal_iteratorINS9_10device_ptrIiEEEENSB_INSC_IdEEEESG_dNS9_4plusIvEENS9_8equal_toIvEEdEE10hipError_tPvRmT2_T3_T4_T5_mT6_T7_P12ihipStream_tbENKUlT_T0_E_clISt17integral_constantIbLb1EES10_IbLb0EEEEDaSW_SX_EUlSW_E_NS1_11comp_targetILNS1_3genE10ELNS1_11target_archE1200ELNS1_3gpuE4ELNS1_3repE0EEENS1_30default_config_static_selectorELNS0_4arch9wavefront6targetE1EEEvT1_
		.amdhsa_group_segment_fixed_size 0
		.amdhsa_private_segment_fixed_size 0
		.amdhsa_kernarg_size 136
		.amdhsa_user_sgpr_count 6
		.amdhsa_user_sgpr_private_segment_buffer 1
		.amdhsa_user_sgpr_dispatch_ptr 0
		.amdhsa_user_sgpr_queue_ptr 0
		.amdhsa_user_sgpr_kernarg_segment_ptr 1
		.amdhsa_user_sgpr_dispatch_id 0
		.amdhsa_user_sgpr_flat_scratch_init 0
		.amdhsa_user_sgpr_kernarg_preload_length 0
		.amdhsa_user_sgpr_kernarg_preload_offset 0
		.amdhsa_user_sgpr_private_segment_size 0
		.amdhsa_uses_dynamic_stack 0
		.amdhsa_system_sgpr_private_segment_wavefront_offset 0
		.amdhsa_system_sgpr_workgroup_id_x 1
		.amdhsa_system_sgpr_workgroup_id_y 0
		.amdhsa_system_sgpr_workgroup_id_z 0
		.amdhsa_system_sgpr_workgroup_info 0
		.amdhsa_system_vgpr_workitem_id 0
		.amdhsa_next_free_vgpr 1
		.amdhsa_next_free_sgpr 0
		.amdhsa_accum_offset 4
		.amdhsa_reserve_vcc 0
		.amdhsa_reserve_flat_scratch 0
		.amdhsa_float_round_mode_32 0
		.amdhsa_float_round_mode_16_64 0
		.amdhsa_float_denorm_mode_32 3
		.amdhsa_float_denorm_mode_16_64 3
		.amdhsa_dx10_clamp 1
		.amdhsa_ieee_mode 1
		.amdhsa_fp16_overflow 0
		.amdhsa_tg_split 0
		.amdhsa_exception_fp_ieee_invalid_op 0
		.amdhsa_exception_fp_denorm_src 0
		.amdhsa_exception_fp_ieee_div_zero 0
		.amdhsa_exception_fp_ieee_overflow 0
		.amdhsa_exception_fp_ieee_underflow 0
		.amdhsa_exception_fp_ieee_inexact 0
		.amdhsa_exception_int_div_zero 0
	.end_amdhsa_kernel
	.section	.text._ZN7rocprim17ROCPRIM_400000_NS6detail17trampoline_kernelINS0_14default_configENS1_27scan_by_key_config_selectorIidEEZZNS1_16scan_by_key_implILNS1_25lookback_scan_determinismE0ELb0ES3_N6thrust23THRUST_200600_302600_NS6detail15normal_iteratorINS9_10device_ptrIiEEEENSB_INSC_IdEEEESG_dNS9_4plusIvEENS9_8equal_toIvEEdEE10hipError_tPvRmT2_T3_T4_T5_mT6_T7_P12ihipStream_tbENKUlT_T0_E_clISt17integral_constantIbLb1EES10_IbLb0EEEEDaSW_SX_EUlSW_E_NS1_11comp_targetILNS1_3genE10ELNS1_11target_archE1200ELNS1_3gpuE4ELNS1_3repE0EEENS1_30default_config_static_selectorELNS0_4arch9wavefront6targetE1EEEvT1_,"axG",@progbits,_ZN7rocprim17ROCPRIM_400000_NS6detail17trampoline_kernelINS0_14default_configENS1_27scan_by_key_config_selectorIidEEZZNS1_16scan_by_key_implILNS1_25lookback_scan_determinismE0ELb0ES3_N6thrust23THRUST_200600_302600_NS6detail15normal_iteratorINS9_10device_ptrIiEEEENSB_INSC_IdEEEESG_dNS9_4plusIvEENS9_8equal_toIvEEdEE10hipError_tPvRmT2_T3_T4_T5_mT6_T7_P12ihipStream_tbENKUlT_T0_E_clISt17integral_constantIbLb1EES10_IbLb0EEEEDaSW_SX_EUlSW_E_NS1_11comp_targetILNS1_3genE10ELNS1_11target_archE1200ELNS1_3gpuE4ELNS1_3repE0EEENS1_30default_config_static_selectorELNS0_4arch9wavefront6targetE1EEEvT1_,comdat
.Lfunc_end1113:
	.size	_ZN7rocprim17ROCPRIM_400000_NS6detail17trampoline_kernelINS0_14default_configENS1_27scan_by_key_config_selectorIidEEZZNS1_16scan_by_key_implILNS1_25lookback_scan_determinismE0ELb0ES3_N6thrust23THRUST_200600_302600_NS6detail15normal_iteratorINS9_10device_ptrIiEEEENSB_INSC_IdEEEESG_dNS9_4plusIvEENS9_8equal_toIvEEdEE10hipError_tPvRmT2_T3_T4_T5_mT6_T7_P12ihipStream_tbENKUlT_T0_E_clISt17integral_constantIbLb1EES10_IbLb0EEEEDaSW_SX_EUlSW_E_NS1_11comp_targetILNS1_3genE10ELNS1_11target_archE1200ELNS1_3gpuE4ELNS1_3repE0EEENS1_30default_config_static_selectorELNS0_4arch9wavefront6targetE1EEEvT1_, .Lfunc_end1113-_ZN7rocprim17ROCPRIM_400000_NS6detail17trampoline_kernelINS0_14default_configENS1_27scan_by_key_config_selectorIidEEZZNS1_16scan_by_key_implILNS1_25lookback_scan_determinismE0ELb0ES3_N6thrust23THRUST_200600_302600_NS6detail15normal_iteratorINS9_10device_ptrIiEEEENSB_INSC_IdEEEESG_dNS9_4plusIvEENS9_8equal_toIvEEdEE10hipError_tPvRmT2_T3_T4_T5_mT6_T7_P12ihipStream_tbENKUlT_T0_E_clISt17integral_constantIbLb1EES10_IbLb0EEEEDaSW_SX_EUlSW_E_NS1_11comp_targetILNS1_3genE10ELNS1_11target_archE1200ELNS1_3gpuE4ELNS1_3repE0EEENS1_30default_config_static_selectorELNS0_4arch9wavefront6targetE1EEEvT1_
                                        ; -- End function
	.section	.AMDGPU.csdata,"",@progbits
; Kernel info:
; codeLenInByte = 0
; NumSgprs: 4
; NumVgprs: 0
; NumAgprs: 0
; TotalNumVgprs: 0
; ScratchSize: 0
; MemoryBound: 0
; FloatMode: 240
; IeeeMode: 1
; LDSByteSize: 0 bytes/workgroup (compile time only)
; SGPRBlocks: 0
; VGPRBlocks: 0
; NumSGPRsForWavesPerEU: 4
; NumVGPRsForWavesPerEU: 1
; AccumOffset: 4
; Occupancy: 8
; WaveLimiterHint : 0
; COMPUTE_PGM_RSRC2:SCRATCH_EN: 0
; COMPUTE_PGM_RSRC2:USER_SGPR: 6
; COMPUTE_PGM_RSRC2:TRAP_HANDLER: 0
; COMPUTE_PGM_RSRC2:TGID_X_EN: 1
; COMPUTE_PGM_RSRC2:TGID_Y_EN: 0
; COMPUTE_PGM_RSRC2:TGID_Z_EN: 0
; COMPUTE_PGM_RSRC2:TIDIG_COMP_CNT: 0
; COMPUTE_PGM_RSRC3_GFX90A:ACCUM_OFFSET: 0
; COMPUTE_PGM_RSRC3_GFX90A:TG_SPLIT: 0
	.section	.text._ZN7rocprim17ROCPRIM_400000_NS6detail17trampoline_kernelINS0_14default_configENS1_27scan_by_key_config_selectorIidEEZZNS1_16scan_by_key_implILNS1_25lookback_scan_determinismE0ELb0ES3_N6thrust23THRUST_200600_302600_NS6detail15normal_iteratorINS9_10device_ptrIiEEEENSB_INSC_IdEEEESG_dNS9_4plusIvEENS9_8equal_toIvEEdEE10hipError_tPvRmT2_T3_T4_T5_mT6_T7_P12ihipStream_tbENKUlT_T0_E_clISt17integral_constantIbLb1EES10_IbLb0EEEEDaSW_SX_EUlSW_E_NS1_11comp_targetILNS1_3genE9ELNS1_11target_archE1100ELNS1_3gpuE3ELNS1_3repE0EEENS1_30default_config_static_selectorELNS0_4arch9wavefront6targetE1EEEvT1_,"axG",@progbits,_ZN7rocprim17ROCPRIM_400000_NS6detail17trampoline_kernelINS0_14default_configENS1_27scan_by_key_config_selectorIidEEZZNS1_16scan_by_key_implILNS1_25lookback_scan_determinismE0ELb0ES3_N6thrust23THRUST_200600_302600_NS6detail15normal_iteratorINS9_10device_ptrIiEEEENSB_INSC_IdEEEESG_dNS9_4plusIvEENS9_8equal_toIvEEdEE10hipError_tPvRmT2_T3_T4_T5_mT6_T7_P12ihipStream_tbENKUlT_T0_E_clISt17integral_constantIbLb1EES10_IbLb0EEEEDaSW_SX_EUlSW_E_NS1_11comp_targetILNS1_3genE9ELNS1_11target_archE1100ELNS1_3gpuE3ELNS1_3repE0EEENS1_30default_config_static_selectorELNS0_4arch9wavefront6targetE1EEEvT1_,comdat
	.protected	_ZN7rocprim17ROCPRIM_400000_NS6detail17trampoline_kernelINS0_14default_configENS1_27scan_by_key_config_selectorIidEEZZNS1_16scan_by_key_implILNS1_25lookback_scan_determinismE0ELb0ES3_N6thrust23THRUST_200600_302600_NS6detail15normal_iteratorINS9_10device_ptrIiEEEENSB_INSC_IdEEEESG_dNS9_4plusIvEENS9_8equal_toIvEEdEE10hipError_tPvRmT2_T3_T4_T5_mT6_T7_P12ihipStream_tbENKUlT_T0_E_clISt17integral_constantIbLb1EES10_IbLb0EEEEDaSW_SX_EUlSW_E_NS1_11comp_targetILNS1_3genE9ELNS1_11target_archE1100ELNS1_3gpuE3ELNS1_3repE0EEENS1_30default_config_static_selectorELNS0_4arch9wavefront6targetE1EEEvT1_ ; -- Begin function _ZN7rocprim17ROCPRIM_400000_NS6detail17trampoline_kernelINS0_14default_configENS1_27scan_by_key_config_selectorIidEEZZNS1_16scan_by_key_implILNS1_25lookback_scan_determinismE0ELb0ES3_N6thrust23THRUST_200600_302600_NS6detail15normal_iteratorINS9_10device_ptrIiEEEENSB_INSC_IdEEEESG_dNS9_4plusIvEENS9_8equal_toIvEEdEE10hipError_tPvRmT2_T3_T4_T5_mT6_T7_P12ihipStream_tbENKUlT_T0_E_clISt17integral_constantIbLb1EES10_IbLb0EEEEDaSW_SX_EUlSW_E_NS1_11comp_targetILNS1_3genE9ELNS1_11target_archE1100ELNS1_3gpuE3ELNS1_3repE0EEENS1_30default_config_static_selectorELNS0_4arch9wavefront6targetE1EEEvT1_
	.globl	_ZN7rocprim17ROCPRIM_400000_NS6detail17trampoline_kernelINS0_14default_configENS1_27scan_by_key_config_selectorIidEEZZNS1_16scan_by_key_implILNS1_25lookback_scan_determinismE0ELb0ES3_N6thrust23THRUST_200600_302600_NS6detail15normal_iteratorINS9_10device_ptrIiEEEENSB_INSC_IdEEEESG_dNS9_4plusIvEENS9_8equal_toIvEEdEE10hipError_tPvRmT2_T3_T4_T5_mT6_T7_P12ihipStream_tbENKUlT_T0_E_clISt17integral_constantIbLb1EES10_IbLb0EEEEDaSW_SX_EUlSW_E_NS1_11comp_targetILNS1_3genE9ELNS1_11target_archE1100ELNS1_3gpuE3ELNS1_3repE0EEENS1_30default_config_static_selectorELNS0_4arch9wavefront6targetE1EEEvT1_
	.p2align	8
	.type	_ZN7rocprim17ROCPRIM_400000_NS6detail17trampoline_kernelINS0_14default_configENS1_27scan_by_key_config_selectorIidEEZZNS1_16scan_by_key_implILNS1_25lookback_scan_determinismE0ELb0ES3_N6thrust23THRUST_200600_302600_NS6detail15normal_iteratorINS9_10device_ptrIiEEEENSB_INSC_IdEEEESG_dNS9_4plusIvEENS9_8equal_toIvEEdEE10hipError_tPvRmT2_T3_T4_T5_mT6_T7_P12ihipStream_tbENKUlT_T0_E_clISt17integral_constantIbLb1EES10_IbLb0EEEEDaSW_SX_EUlSW_E_NS1_11comp_targetILNS1_3genE9ELNS1_11target_archE1100ELNS1_3gpuE3ELNS1_3repE0EEENS1_30default_config_static_selectorELNS0_4arch9wavefront6targetE1EEEvT1_,@function
_ZN7rocprim17ROCPRIM_400000_NS6detail17trampoline_kernelINS0_14default_configENS1_27scan_by_key_config_selectorIidEEZZNS1_16scan_by_key_implILNS1_25lookback_scan_determinismE0ELb0ES3_N6thrust23THRUST_200600_302600_NS6detail15normal_iteratorINS9_10device_ptrIiEEEENSB_INSC_IdEEEESG_dNS9_4plusIvEENS9_8equal_toIvEEdEE10hipError_tPvRmT2_T3_T4_T5_mT6_T7_P12ihipStream_tbENKUlT_T0_E_clISt17integral_constantIbLb1EES10_IbLb0EEEEDaSW_SX_EUlSW_E_NS1_11comp_targetILNS1_3genE9ELNS1_11target_archE1100ELNS1_3gpuE3ELNS1_3repE0EEENS1_30default_config_static_selectorELNS0_4arch9wavefront6targetE1EEEvT1_: ; @_ZN7rocprim17ROCPRIM_400000_NS6detail17trampoline_kernelINS0_14default_configENS1_27scan_by_key_config_selectorIidEEZZNS1_16scan_by_key_implILNS1_25lookback_scan_determinismE0ELb0ES3_N6thrust23THRUST_200600_302600_NS6detail15normal_iteratorINS9_10device_ptrIiEEEENSB_INSC_IdEEEESG_dNS9_4plusIvEENS9_8equal_toIvEEdEE10hipError_tPvRmT2_T3_T4_T5_mT6_T7_P12ihipStream_tbENKUlT_T0_E_clISt17integral_constantIbLb1EES10_IbLb0EEEEDaSW_SX_EUlSW_E_NS1_11comp_targetILNS1_3genE9ELNS1_11target_archE1100ELNS1_3gpuE3ELNS1_3repE0EEENS1_30default_config_static_selectorELNS0_4arch9wavefront6targetE1EEEvT1_
; %bb.0:
	.section	.rodata,"a",@progbits
	.p2align	6, 0x0
	.amdhsa_kernel _ZN7rocprim17ROCPRIM_400000_NS6detail17trampoline_kernelINS0_14default_configENS1_27scan_by_key_config_selectorIidEEZZNS1_16scan_by_key_implILNS1_25lookback_scan_determinismE0ELb0ES3_N6thrust23THRUST_200600_302600_NS6detail15normal_iteratorINS9_10device_ptrIiEEEENSB_INSC_IdEEEESG_dNS9_4plusIvEENS9_8equal_toIvEEdEE10hipError_tPvRmT2_T3_T4_T5_mT6_T7_P12ihipStream_tbENKUlT_T0_E_clISt17integral_constantIbLb1EES10_IbLb0EEEEDaSW_SX_EUlSW_E_NS1_11comp_targetILNS1_3genE9ELNS1_11target_archE1100ELNS1_3gpuE3ELNS1_3repE0EEENS1_30default_config_static_selectorELNS0_4arch9wavefront6targetE1EEEvT1_
		.amdhsa_group_segment_fixed_size 0
		.amdhsa_private_segment_fixed_size 0
		.amdhsa_kernarg_size 136
		.amdhsa_user_sgpr_count 6
		.amdhsa_user_sgpr_private_segment_buffer 1
		.amdhsa_user_sgpr_dispatch_ptr 0
		.amdhsa_user_sgpr_queue_ptr 0
		.amdhsa_user_sgpr_kernarg_segment_ptr 1
		.amdhsa_user_sgpr_dispatch_id 0
		.amdhsa_user_sgpr_flat_scratch_init 0
		.amdhsa_user_sgpr_kernarg_preload_length 0
		.amdhsa_user_sgpr_kernarg_preload_offset 0
		.amdhsa_user_sgpr_private_segment_size 0
		.amdhsa_uses_dynamic_stack 0
		.amdhsa_system_sgpr_private_segment_wavefront_offset 0
		.amdhsa_system_sgpr_workgroup_id_x 1
		.amdhsa_system_sgpr_workgroup_id_y 0
		.amdhsa_system_sgpr_workgroup_id_z 0
		.amdhsa_system_sgpr_workgroup_info 0
		.amdhsa_system_vgpr_workitem_id 0
		.amdhsa_next_free_vgpr 1
		.amdhsa_next_free_sgpr 0
		.amdhsa_accum_offset 4
		.amdhsa_reserve_vcc 0
		.amdhsa_reserve_flat_scratch 0
		.amdhsa_float_round_mode_32 0
		.amdhsa_float_round_mode_16_64 0
		.amdhsa_float_denorm_mode_32 3
		.amdhsa_float_denorm_mode_16_64 3
		.amdhsa_dx10_clamp 1
		.amdhsa_ieee_mode 1
		.amdhsa_fp16_overflow 0
		.amdhsa_tg_split 0
		.amdhsa_exception_fp_ieee_invalid_op 0
		.amdhsa_exception_fp_denorm_src 0
		.amdhsa_exception_fp_ieee_div_zero 0
		.amdhsa_exception_fp_ieee_overflow 0
		.amdhsa_exception_fp_ieee_underflow 0
		.amdhsa_exception_fp_ieee_inexact 0
		.amdhsa_exception_int_div_zero 0
	.end_amdhsa_kernel
	.section	.text._ZN7rocprim17ROCPRIM_400000_NS6detail17trampoline_kernelINS0_14default_configENS1_27scan_by_key_config_selectorIidEEZZNS1_16scan_by_key_implILNS1_25lookback_scan_determinismE0ELb0ES3_N6thrust23THRUST_200600_302600_NS6detail15normal_iteratorINS9_10device_ptrIiEEEENSB_INSC_IdEEEESG_dNS9_4plusIvEENS9_8equal_toIvEEdEE10hipError_tPvRmT2_T3_T4_T5_mT6_T7_P12ihipStream_tbENKUlT_T0_E_clISt17integral_constantIbLb1EES10_IbLb0EEEEDaSW_SX_EUlSW_E_NS1_11comp_targetILNS1_3genE9ELNS1_11target_archE1100ELNS1_3gpuE3ELNS1_3repE0EEENS1_30default_config_static_selectorELNS0_4arch9wavefront6targetE1EEEvT1_,"axG",@progbits,_ZN7rocprim17ROCPRIM_400000_NS6detail17trampoline_kernelINS0_14default_configENS1_27scan_by_key_config_selectorIidEEZZNS1_16scan_by_key_implILNS1_25lookback_scan_determinismE0ELb0ES3_N6thrust23THRUST_200600_302600_NS6detail15normal_iteratorINS9_10device_ptrIiEEEENSB_INSC_IdEEEESG_dNS9_4plusIvEENS9_8equal_toIvEEdEE10hipError_tPvRmT2_T3_T4_T5_mT6_T7_P12ihipStream_tbENKUlT_T0_E_clISt17integral_constantIbLb1EES10_IbLb0EEEEDaSW_SX_EUlSW_E_NS1_11comp_targetILNS1_3genE9ELNS1_11target_archE1100ELNS1_3gpuE3ELNS1_3repE0EEENS1_30default_config_static_selectorELNS0_4arch9wavefront6targetE1EEEvT1_,comdat
.Lfunc_end1114:
	.size	_ZN7rocprim17ROCPRIM_400000_NS6detail17trampoline_kernelINS0_14default_configENS1_27scan_by_key_config_selectorIidEEZZNS1_16scan_by_key_implILNS1_25lookback_scan_determinismE0ELb0ES3_N6thrust23THRUST_200600_302600_NS6detail15normal_iteratorINS9_10device_ptrIiEEEENSB_INSC_IdEEEESG_dNS9_4plusIvEENS9_8equal_toIvEEdEE10hipError_tPvRmT2_T3_T4_T5_mT6_T7_P12ihipStream_tbENKUlT_T0_E_clISt17integral_constantIbLb1EES10_IbLb0EEEEDaSW_SX_EUlSW_E_NS1_11comp_targetILNS1_3genE9ELNS1_11target_archE1100ELNS1_3gpuE3ELNS1_3repE0EEENS1_30default_config_static_selectorELNS0_4arch9wavefront6targetE1EEEvT1_, .Lfunc_end1114-_ZN7rocprim17ROCPRIM_400000_NS6detail17trampoline_kernelINS0_14default_configENS1_27scan_by_key_config_selectorIidEEZZNS1_16scan_by_key_implILNS1_25lookback_scan_determinismE0ELb0ES3_N6thrust23THRUST_200600_302600_NS6detail15normal_iteratorINS9_10device_ptrIiEEEENSB_INSC_IdEEEESG_dNS9_4plusIvEENS9_8equal_toIvEEdEE10hipError_tPvRmT2_T3_T4_T5_mT6_T7_P12ihipStream_tbENKUlT_T0_E_clISt17integral_constantIbLb1EES10_IbLb0EEEEDaSW_SX_EUlSW_E_NS1_11comp_targetILNS1_3genE9ELNS1_11target_archE1100ELNS1_3gpuE3ELNS1_3repE0EEENS1_30default_config_static_selectorELNS0_4arch9wavefront6targetE1EEEvT1_
                                        ; -- End function
	.section	.AMDGPU.csdata,"",@progbits
; Kernel info:
; codeLenInByte = 0
; NumSgprs: 4
; NumVgprs: 0
; NumAgprs: 0
; TotalNumVgprs: 0
; ScratchSize: 0
; MemoryBound: 0
; FloatMode: 240
; IeeeMode: 1
; LDSByteSize: 0 bytes/workgroup (compile time only)
; SGPRBlocks: 0
; VGPRBlocks: 0
; NumSGPRsForWavesPerEU: 4
; NumVGPRsForWavesPerEU: 1
; AccumOffset: 4
; Occupancy: 8
; WaveLimiterHint : 0
; COMPUTE_PGM_RSRC2:SCRATCH_EN: 0
; COMPUTE_PGM_RSRC2:USER_SGPR: 6
; COMPUTE_PGM_RSRC2:TRAP_HANDLER: 0
; COMPUTE_PGM_RSRC2:TGID_X_EN: 1
; COMPUTE_PGM_RSRC2:TGID_Y_EN: 0
; COMPUTE_PGM_RSRC2:TGID_Z_EN: 0
; COMPUTE_PGM_RSRC2:TIDIG_COMP_CNT: 0
; COMPUTE_PGM_RSRC3_GFX90A:ACCUM_OFFSET: 0
; COMPUTE_PGM_RSRC3_GFX90A:TG_SPLIT: 0
	.section	.text._ZN7rocprim17ROCPRIM_400000_NS6detail17trampoline_kernelINS0_14default_configENS1_27scan_by_key_config_selectorIidEEZZNS1_16scan_by_key_implILNS1_25lookback_scan_determinismE0ELb0ES3_N6thrust23THRUST_200600_302600_NS6detail15normal_iteratorINS9_10device_ptrIiEEEENSB_INSC_IdEEEESG_dNS9_4plusIvEENS9_8equal_toIvEEdEE10hipError_tPvRmT2_T3_T4_T5_mT6_T7_P12ihipStream_tbENKUlT_T0_E_clISt17integral_constantIbLb1EES10_IbLb0EEEEDaSW_SX_EUlSW_E_NS1_11comp_targetILNS1_3genE8ELNS1_11target_archE1030ELNS1_3gpuE2ELNS1_3repE0EEENS1_30default_config_static_selectorELNS0_4arch9wavefront6targetE1EEEvT1_,"axG",@progbits,_ZN7rocprim17ROCPRIM_400000_NS6detail17trampoline_kernelINS0_14default_configENS1_27scan_by_key_config_selectorIidEEZZNS1_16scan_by_key_implILNS1_25lookback_scan_determinismE0ELb0ES3_N6thrust23THRUST_200600_302600_NS6detail15normal_iteratorINS9_10device_ptrIiEEEENSB_INSC_IdEEEESG_dNS9_4plusIvEENS9_8equal_toIvEEdEE10hipError_tPvRmT2_T3_T4_T5_mT6_T7_P12ihipStream_tbENKUlT_T0_E_clISt17integral_constantIbLb1EES10_IbLb0EEEEDaSW_SX_EUlSW_E_NS1_11comp_targetILNS1_3genE8ELNS1_11target_archE1030ELNS1_3gpuE2ELNS1_3repE0EEENS1_30default_config_static_selectorELNS0_4arch9wavefront6targetE1EEEvT1_,comdat
	.protected	_ZN7rocprim17ROCPRIM_400000_NS6detail17trampoline_kernelINS0_14default_configENS1_27scan_by_key_config_selectorIidEEZZNS1_16scan_by_key_implILNS1_25lookback_scan_determinismE0ELb0ES3_N6thrust23THRUST_200600_302600_NS6detail15normal_iteratorINS9_10device_ptrIiEEEENSB_INSC_IdEEEESG_dNS9_4plusIvEENS9_8equal_toIvEEdEE10hipError_tPvRmT2_T3_T4_T5_mT6_T7_P12ihipStream_tbENKUlT_T0_E_clISt17integral_constantIbLb1EES10_IbLb0EEEEDaSW_SX_EUlSW_E_NS1_11comp_targetILNS1_3genE8ELNS1_11target_archE1030ELNS1_3gpuE2ELNS1_3repE0EEENS1_30default_config_static_selectorELNS0_4arch9wavefront6targetE1EEEvT1_ ; -- Begin function _ZN7rocprim17ROCPRIM_400000_NS6detail17trampoline_kernelINS0_14default_configENS1_27scan_by_key_config_selectorIidEEZZNS1_16scan_by_key_implILNS1_25lookback_scan_determinismE0ELb0ES3_N6thrust23THRUST_200600_302600_NS6detail15normal_iteratorINS9_10device_ptrIiEEEENSB_INSC_IdEEEESG_dNS9_4plusIvEENS9_8equal_toIvEEdEE10hipError_tPvRmT2_T3_T4_T5_mT6_T7_P12ihipStream_tbENKUlT_T0_E_clISt17integral_constantIbLb1EES10_IbLb0EEEEDaSW_SX_EUlSW_E_NS1_11comp_targetILNS1_3genE8ELNS1_11target_archE1030ELNS1_3gpuE2ELNS1_3repE0EEENS1_30default_config_static_selectorELNS0_4arch9wavefront6targetE1EEEvT1_
	.globl	_ZN7rocprim17ROCPRIM_400000_NS6detail17trampoline_kernelINS0_14default_configENS1_27scan_by_key_config_selectorIidEEZZNS1_16scan_by_key_implILNS1_25lookback_scan_determinismE0ELb0ES3_N6thrust23THRUST_200600_302600_NS6detail15normal_iteratorINS9_10device_ptrIiEEEENSB_INSC_IdEEEESG_dNS9_4plusIvEENS9_8equal_toIvEEdEE10hipError_tPvRmT2_T3_T4_T5_mT6_T7_P12ihipStream_tbENKUlT_T0_E_clISt17integral_constantIbLb1EES10_IbLb0EEEEDaSW_SX_EUlSW_E_NS1_11comp_targetILNS1_3genE8ELNS1_11target_archE1030ELNS1_3gpuE2ELNS1_3repE0EEENS1_30default_config_static_selectorELNS0_4arch9wavefront6targetE1EEEvT1_
	.p2align	8
	.type	_ZN7rocprim17ROCPRIM_400000_NS6detail17trampoline_kernelINS0_14default_configENS1_27scan_by_key_config_selectorIidEEZZNS1_16scan_by_key_implILNS1_25lookback_scan_determinismE0ELb0ES3_N6thrust23THRUST_200600_302600_NS6detail15normal_iteratorINS9_10device_ptrIiEEEENSB_INSC_IdEEEESG_dNS9_4plusIvEENS9_8equal_toIvEEdEE10hipError_tPvRmT2_T3_T4_T5_mT6_T7_P12ihipStream_tbENKUlT_T0_E_clISt17integral_constantIbLb1EES10_IbLb0EEEEDaSW_SX_EUlSW_E_NS1_11comp_targetILNS1_3genE8ELNS1_11target_archE1030ELNS1_3gpuE2ELNS1_3repE0EEENS1_30default_config_static_selectorELNS0_4arch9wavefront6targetE1EEEvT1_,@function
_ZN7rocprim17ROCPRIM_400000_NS6detail17trampoline_kernelINS0_14default_configENS1_27scan_by_key_config_selectorIidEEZZNS1_16scan_by_key_implILNS1_25lookback_scan_determinismE0ELb0ES3_N6thrust23THRUST_200600_302600_NS6detail15normal_iteratorINS9_10device_ptrIiEEEENSB_INSC_IdEEEESG_dNS9_4plusIvEENS9_8equal_toIvEEdEE10hipError_tPvRmT2_T3_T4_T5_mT6_T7_P12ihipStream_tbENKUlT_T0_E_clISt17integral_constantIbLb1EES10_IbLb0EEEEDaSW_SX_EUlSW_E_NS1_11comp_targetILNS1_3genE8ELNS1_11target_archE1030ELNS1_3gpuE2ELNS1_3repE0EEENS1_30default_config_static_selectorELNS0_4arch9wavefront6targetE1EEEvT1_: ; @_ZN7rocprim17ROCPRIM_400000_NS6detail17trampoline_kernelINS0_14default_configENS1_27scan_by_key_config_selectorIidEEZZNS1_16scan_by_key_implILNS1_25lookback_scan_determinismE0ELb0ES3_N6thrust23THRUST_200600_302600_NS6detail15normal_iteratorINS9_10device_ptrIiEEEENSB_INSC_IdEEEESG_dNS9_4plusIvEENS9_8equal_toIvEEdEE10hipError_tPvRmT2_T3_T4_T5_mT6_T7_P12ihipStream_tbENKUlT_T0_E_clISt17integral_constantIbLb1EES10_IbLb0EEEEDaSW_SX_EUlSW_E_NS1_11comp_targetILNS1_3genE8ELNS1_11target_archE1030ELNS1_3gpuE2ELNS1_3repE0EEENS1_30default_config_static_selectorELNS0_4arch9wavefront6targetE1EEEvT1_
; %bb.0:
	.section	.rodata,"a",@progbits
	.p2align	6, 0x0
	.amdhsa_kernel _ZN7rocprim17ROCPRIM_400000_NS6detail17trampoline_kernelINS0_14default_configENS1_27scan_by_key_config_selectorIidEEZZNS1_16scan_by_key_implILNS1_25lookback_scan_determinismE0ELb0ES3_N6thrust23THRUST_200600_302600_NS6detail15normal_iteratorINS9_10device_ptrIiEEEENSB_INSC_IdEEEESG_dNS9_4plusIvEENS9_8equal_toIvEEdEE10hipError_tPvRmT2_T3_T4_T5_mT6_T7_P12ihipStream_tbENKUlT_T0_E_clISt17integral_constantIbLb1EES10_IbLb0EEEEDaSW_SX_EUlSW_E_NS1_11comp_targetILNS1_3genE8ELNS1_11target_archE1030ELNS1_3gpuE2ELNS1_3repE0EEENS1_30default_config_static_selectorELNS0_4arch9wavefront6targetE1EEEvT1_
		.amdhsa_group_segment_fixed_size 0
		.amdhsa_private_segment_fixed_size 0
		.amdhsa_kernarg_size 136
		.amdhsa_user_sgpr_count 6
		.amdhsa_user_sgpr_private_segment_buffer 1
		.amdhsa_user_sgpr_dispatch_ptr 0
		.amdhsa_user_sgpr_queue_ptr 0
		.amdhsa_user_sgpr_kernarg_segment_ptr 1
		.amdhsa_user_sgpr_dispatch_id 0
		.amdhsa_user_sgpr_flat_scratch_init 0
		.amdhsa_user_sgpr_kernarg_preload_length 0
		.amdhsa_user_sgpr_kernarg_preload_offset 0
		.amdhsa_user_sgpr_private_segment_size 0
		.amdhsa_uses_dynamic_stack 0
		.amdhsa_system_sgpr_private_segment_wavefront_offset 0
		.amdhsa_system_sgpr_workgroup_id_x 1
		.amdhsa_system_sgpr_workgroup_id_y 0
		.amdhsa_system_sgpr_workgroup_id_z 0
		.amdhsa_system_sgpr_workgroup_info 0
		.amdhsa_system_vgpr_workitem_id 0
		.amdhsa_next_free_vgpr 1
		.amdhsa_next_free_sgpr 0
		.amdhsa_accum_offset 4
		.amdhsa_reserve_vcc 0
		.amdhsa_reserve_flat_scratch 0
		.amdhsa_float_round_mode_32 0
		.amdhsa_float_round_mode_16_64 0
		.amdhsa_float_denorm_mode_32 3
		.amdhsa_float_denorm_mode_16_64 3
		.amdhsa_dx10_clamp 1
		.amdhsa_ieee_mode 1
		.amdhsa_fp16_overflow 0
		.amdhsa_tg_split 0
		.amdhsa_exception_fp_ieee_invalid_op 0
		.amdhsa_exception_fp_denorm_src 0
		.amdhsa_exception_fp_ieee_div_zero 0
		.amdhsa_exception_fp_ieee_overflow 0
		.amdhsa_exception_fp_ieee_underflow 0
		.amdhsa_exception_fp_ieee_inexact 0
		.amdhsa_exception_int_div_zero 0
	.end_amdhsa_kernel
	.section	.text._ZN7rocprim17ROCPRIM_400000_NS6detail17trampoline_kernelINS0_14default_configENS1_27scan_by_key_config_selectorIidEEZZNS1_16scan_by_key_implILNS1_25lookback_scan_determinismE0ELb0ES3_N6thrust23THRUST_200600_302600_NS6detail15normal_iteratorINS9_10device_ptrIiEEEENSB_INSC_IdEEEESG_dNS9_4plusIvEENS9_8equal_toIvEEdEE10hipError_tPvRmT2_T3_T4_T5_mT6_T7_P12ihipStream_tbENKUlT_T0_E_clISt17integral_constantIbLb1EES10_IbLb0EEEEDaSW_SX_EUlSW_E_NS1_11comp_targetILNS1_3genE8ELNS1_11target_archE1030ELNS1_3gpuE2ELNS1_3repE0EEENS1_30default_config_static_selectorELNS0_4arch9wavefront6targetE1EEEvT1_,"axG",@progbits,_ZN7rocprim17ROCPRIM_400000_NS6detail17trampoline_kernelINS0_14default_configENS1_27scan_by_key_config_selectorIidEEZZNS1_16scan_by_key_implILNS1_25lookback_scan_determinismE0ELb0ES3_N6thrust23THRUST_200600_302600_NS6detail15normal_iteratorINS9_10device_ptrIiEEEENSB_INSC_IdEEEESG_dNS9_4plusIvEENS9_8equal_toIvEEdEE10hipError_tPvRmT2_T3_T4_T5_mT6_T7_P12ihipStream_tbENKUlT_T0_E_clISt17integral_constantIbLb1EES10_IbLb0EEEEDaSW_SX_EUlSW_E_NS1_11comp_targetILNS1_3genE8ELNS1_11target_archE1030ELNS1_3gpuE2ELNS1_3repE0EEENS1_30default_config_static_selectorELNS0_4arch9wavefront6targetE1EEEvT1_,comdat
.Lfunc_end1115:
	.size	_ZN7rocprim17ROCPRIM_400000_NS6detail17trampoline_kernelINS0_14default_configENS1_27scan_by_key_config_selectorIidEEZZNS1_16scan_by_key_implILNS1_25lookback_scan_determinismE0ELb0ES3_N6thrust23THRUST_200600_302600_NS6detail15normal_iteratorINS9_10device_ptrIiEEEENSB_INSC_IdEEEESG_dNS9_4plusIvEENS9_8equal_toIvEEdEE10hipError_tPvRmT2_T3_T4_T5_mT6_T7_P12ihipStream_tbENKUlT_T0_E_clISt17integral_constantIbLb1EES10_IbLb0EEEEDaSW_SX_EUlSW_E_NS1_11comp_targetILNS1_3genE8ELNS1_11target_archE1030ELNS1_3gpuE2ELNS1_3repE0EEENS1_30default_config_static_selectorELNS0_4arch9wavefront6targetE1EEEvT1_, .Lfunc_end1115-_ZN7rocprim17ROCPRIM_400000_NS6detail17trampoline_kernelINS0_14default_configENS1_27scan_by_key_config_selectorIidEEZZNS1_16scan_by_key_implILNS1_25lookback_scan_determinismE0ELb0ES3_N6thrust23THRUST_200600_302600_NS6detail15normal_iteratorINS9_10device_ptrIiEEEENSB_INSC_IdEEEESG_dNS9_4plusIvEENS9_8equal_toIvEEdEE10hipError_tPvRmT2_T3_T4_T5_mT6_T7_P12ihipStream_tbENKUlT_T0_E_clISt17integral_constantIbLb1EES10_IbLb0EEEEDaSW_SX_EUlSW_E_NS1_11comp_targetILNS1_3genE8ELNS1_11target_archE1030ELNS1_3gpuE2ELNS1_3repE0EEENS1_30default_config_static_selectorELNS0_4arch9wavefront6targetE1EEEvT1_
                                        ; -- End function
	.section	.AMDGPU.csdata,"",@progbits
; Kernel info:
; codeLenInByte = 0
; NumSgprs: 4
; NumVgprs: 0
; NumAgprs: 0
; TotalNumVgprs: 0
; ScratchSize: 0
; MemoryBound: 0
; FloatMode: 240
; IeeeMode: 1
; LDSByteSize: 0 bytes/workgroup (compile time only)
; SGPRBlocks: 0
; VGPRBlocks: 0
; NumSGPRsForWavesPerEU: 4
; NumVGPRsForWavesPerEU: 1
; AccumOffset: 4
; Occupancy: 8
; WaveLimiterHint : 0
; COMPUTE_PGM_RSRC2:SCRATCH_EN: 0
; COMPUTE_PGM_RSRC2:USER_SGPR: 6
; COMPUTE_PGM_RSRC2:TRAP_HANDLER: 0
; COMPUTE_PGM_RSRC2:TGID_X_EN: 1
; COMPUTE_PGM_RSRC2:TGID_Y_EN: 0
; COMPUTE_PGM_RSRC2:TGID_Z_EN: 0
; COMPUTE_PGM_RSRC2:TIDIG_COMP_CNT: 0
; COMPUTE_PGM_RSRC3_GFX90A:ACCUM_OFFSET: 0
; COMPUTE_PGM_RSRC3_GFX90A:TG_SPLIT: 0
	.section	.text._ZN7rocprim17ROCPRIM_400000_NS6detail30init_device_scan_by_key_kernelINS1_19lookback_scan_stateINS0_5tupleIJdbEEELb0ELb0EEEN6thrust23THRUST_200600_302600_NS6detail15normal_iteratorINS8_10device_ptrIiEEEEjNS1_16block_id_wrapperIjLb1EEEEEvT_jjPNSG_10value_typeET0_PNSt15iterator_traitsISJ_E10value_typeEmT1_T2_,"axG",@progbits,_ZN7rocprim17ROCPRIM_400000_NS6detail30init_device_scan_by_key_kernelINS1_19lookback_scan_stateINS0_5tupleIJdbEEELb0ELb0EEEN6thrust23THRUST_200600_302600_NS6detail15normal_iteratorINS8_10device_ptrIiEEEEjNS1_16block_id_wrapperIjLb1EEEEEvT_jjPNSG_10value_typeET0_PNSt15iterator_traitsISJ_E10value_typeEmT1_T2_,comdat
	.protected	_ZN7rocprim17ROCPRIM_400000_NS6detail30init_device_scan_by_key_kernelINS1_19lookback_scan_stateINS0_5tupleIJdbEEELb0ELb0EEEN6thrust23THRUST_200600_302600_NS6detail15normal_iteratorINS8_10device_ptrIiEEEEjNS1_16block_id_wrapperIjLb1EEEEEvT_jjPNSG_10value_typeET0_PNSt15iterator_traitsISJ_E10value_typeEmT1_T2_ ; -- Begin function _ZN7rocprim17ROCPRIM_400000_NS6detail30init_device_scan_by_key_kernelINS1_19lookback_scan_stateINS0_5tupleIJdbEEELb0ELb0EEEN6thrust23THRUST_200600_302600_NS6detail15normal_iteratorINS8_10device_ptrIiEEEEjNS1_16block_id_wrapperIjLb1EEEEEvT_jjPNSG_10value_typeET0_PNSt15iterator_traitsISJ_E10value_typeEmT1_T2_
	.globl	_ZN7rocprim17ROCPRIM_400000_NS6detail30init_device_scan_by_key_kernelINS1_19lookback_scan_stateINS0_5tupleIJdbEEELb0ELb0EEEN6thrust23THRUST_200600_302600_NS6detail15normal_iteratorINS8_10device_ptrIiEEEEjNS1_16block_id_wrapperIjLb1EEEEEvT_jjPNSG_10value_typeET0_PNSt15iterator_traitsISJ_E10value_typeEmT1_T2_
	.p2align	8
	.type	_ZN7rocprim17ROCPRIM_400000_NS6detail30init_device_scan_by_key_kernelINS1_19lookback_scan_stateINS0_5tupleIJdbEEELb0ELb0EEEN6thrust23THRUST_200600_302600_NS6detail15normal_iteratorINS8_10device_ptrIiEEEEjNS1_16block_id_wrapperIjLb1EEEEEvT_jjPNSG_10value_typeET0_PNSt15iterator_traitsISJ_E10value_typeEmT1_T2_,@function
_ZN7rocprim17ROCPRIM_400000_NS6detail30init_device_scan_by_key_kernelINS1_19lookback_scan_stateINS0_5tupleIJdbEEELb0ELb0EEEN6thrust23THRUST_200600_302600_NS6detail15normal_iteratorINS8_10device_ptrIiEEEEjNS1_16block_id_wrapperIjLb1EEEEEvT_jjPNSG_10value_typeET0_PNSt15iterator_traitsISJ_E10value_typeEmT1_T2_: ; @_ZN7rocprim17ROCPRIM_400000_NS6detail30init_device_scan_by_key_kernelINS1_19lookback_scan_stateINS0_5tupleIJdbEEELb0ELb0EEEN6thrust23THRUST_200600_302600_NS6detail15normal_iteratorINS8_10device_ptrIiEEEEjNS1_16block_id_wrapperIjLb1EEEEEvT_jjPNSG_10value_typeET0_PNSt15iterator_traitsISJ_E10value_typeEmT1_T2_
; %bb.0:
	s_load_dword s0, s[4:5], 0x5c
	s_load_dwordx8 s[8:15], s[4:5], 0x10
	s_load_dword s20, s[4:5], 0x50
	s_waitcnt lgkmcnt(0)
	s_and_b32 s21, s0, 0xffff
	s_mul_i32 s6, s6, s21
	s_cmp_eq_u64 s[12:13], 0
	v_add_u32_e32 v0, s6, v0
	s_cbranch_scc1 .LBB1116_7
; %bb.1:
	s_cmp_lt_u32 s11, s10
	s_cselect_b32 s0, s11, 0
	s_mov_b32 s17, 0
	v_cmp_eq_u32_e32 vcc, s0, v0
	s_and_saveexec_b64 s[6:7], vcc
	s_cbranch_execz .LBB1116_6
; %bb.2:
	s_add_i32 s16, s11, 64
	v_mov_b32_e32 v1, s16
	global_load_ubyte v1, v1, s[8:9] glc
	s_load_dwordx4 s[0:3], s[4:5], 0x0
	s_add_u32 s18, s8, s16
	s_addc_u32 s19, s9, 0
	s_waitcnt vmcnt(0)
	v_cmp_ne_u16_e32 vcc, 0, v1
	v_readfirstlane_b32 s11, v1
	s_cbranch_vccnz .LBB1116_5
; %bb.3:
	v_mov_b32_e32 v1, 0
.LBB1116_4:                             ; =>This Inner Loop Header: Depth=1
	global_load_ubyte v2, v1, s[18:19] glc
	s_waitcnt vmcnt(0)
	v_cmp_eq_u16_e32 vcc, 0, v2
	v_readfirstlane_b32 s11, v2
	s_cbranch_vccnz .LBB1116_4
.LBB1116_5:
	s_and_b32 s11, 0xffff, s11
	s_cmp_eq_u32 s11, 1
	s_waitcnt lgkmcnt(0)
	s_cselect_b32 s3, s1, s3
	s_cselect_b32 s2, s0, s2
	s_lshl_b64 s[0:1], s[16:17], 4
	s_add_u32 s0, s2, s0
	s_addc_u32 s1, s3, s1
	v_mov_b32_e32 v1, 0
	buffer_wbinvl1_vol
	global_load_dwordx2 v[2:3], v1, s[0:1]
	global_load_ubyte v4, v1, s[0:1] offset:8
	s_waitcnt vmcnt(1)
	global_store_dwordx2 v1, v[2:3], s[12:13]
	s_waitcnt vmcnt(1)
	global_store_byte v1, v4, s[12:13] offset:8
.LBB1116_6:
	s_or_b64 exec, exec, s[6:7]
.LBB1116_7:
	v_cmp_eq_u32_e32 vcc, 0, v0
	s_and_saveexec_b64 s[0:1], vcc
	s_cbranch_execz .LBB1116_9
; %bb.8:
	s_load_dwordx2 s[2:3], s[4:5], 0x48
	v_mov_b32_e32 v1, 0
	s_waitcnt lgkmcnt(0)
	global_store_dword v1, v1, s[2:3]
.LBB1116_9:
	s_or_b64 exec, exec, s[0:1]
	v_cmp_gt_u32_e32 vcc, s10, v0
	s_and_saveexec_b64 s[0:1], vcc
	s_cbranch_execz .LBB1116_11
; %bb.10:
	v_add_u32_e32 v1, 64, v0
	v_mov_b32_e32 v2, 0
	global_store_byte v1, v2, s[8:9]
.LBB1116_11:
	s_or_b64 exec, exec, s[0:1]
	v_cmp_gt_u32_e32 vcc, 64, v0
	v_mov_b32_e32 v1, 0
	s_and_saveexec_b64 s[0:1], vcc
	s_cbranch_execz .LBB1116_13
; %bb.12:
	v_mov_b32_e32 v3, s9
	v_add_co_u32_e32 v2, vcc, s8, v0
	v_addc_co_u32_e32 v3, vcc, 0, v3, vcc
	v_mov_b32_e32 v4, 0xff
	global_store_byte v[2:3], v4, off
.LBB1116_13:
	s_or_b64 exec, exec, s[0:1]
	s_load_dwordx2 s[0:1], s[4:5], 0x38
	s_waitcnt lgkmcnt(0)
	v_cmp_gt_u64_e32 vcc, s[0:1], v[0:1]
	s_and_saveexec_b64 s[2:3], vcc
	s_cbranch_execz .LBB1116_16
; %bb.14:
	s_load_dword s10, s[4:5], 0x40
	s_load_dwordx2 s[6:7], s[4:5], 0x30
	s_mov_b32 s5, 0
	s_mov_b32 s3, s5
	s_mul_i32 s2, s20, s21
	s_waitcnt lgkmcnt(0)
	s_add_i32 s4, s10, -1
	s_lshl_b64 s[4:5], s[4:5], 2
	v_mad_u64_u32 v[2:3], s[8:9], s10, v0, 0
	s_add_u32 s4, s14, s4
	v_lshlrev_b64 v[2:3], 2, v[2:3]
	s_addc_u32 s5, s15, s5
	v_mov_b32_e32 v4, s5
	v_add_co_u32_e32 v2, vcc, s4, v2
	v_addc_co_u32_e32 v3, vcc, v4, v3, vcc
	s_mul_hi_u32 s5, s10, s2
	s_mul_i32 s4, s10, s2
	v_lshlrev_b64 v[4:5], 2, v[0:1]
	s_lshl_b64 s[4:5], s[4:5], 2
	v_mov_b32_e32 v6, s7
	v_add_co_u32_e32 v4, vcc, s6, v4
	s_lshl_b64 s[6:7], s[2:3], 2
	v_addc_co_u32_e32 v5, vcc, v6, v5, vcc
	s_mov_b64 s[8:9], 0
	v_mov_b32_e32 v6, s3
	v_mov_b32_e32 v7, s5
	;; [unrolled: 1-line block ×3, first 2 shown]
.LBB1116_15:                            ; =>This Inner Loop Header: Depth=1
	global_load_dword v9, v[2:3], off
	v_add_co_u32_e32 v0, vcc, s2, v0
	v_addc_co_u32_e32 v1, vcc, v1, v6, vcc
	v_add_co_u32_e32 v2, vcc, s4, v2
	v_addc_co_u32_e32 v3, vcc, v3, v7, vcc
	v_cmp_le_u64_e32 vcc, s[0:1], v[0:1]
	s_or_b64 s[8:9], vcc, s[8:9]
	s_waitcnt vmcnt(0)
	global_store_dword v[4:5], v9, off
	v_add_co_u32_e32 v4, vcc, s6, v4
	v_addc_co_u32_e32 v5, vcc, v5, v8, vcc
	s_andn2_b64 exec, exec, s[8:9]
	s_cbranch_execnz .LBB1116_15
.LBB1116_16:
	s_endpgm
	.section	.rodata,"a",@progbits
	.p2align	6, 0x0
	.amdhsa_kernel _ZN7rocprim17ROCPRIM_400000_NS6detail30init_device_scan_by_key_kernelINS1_19lookback_scan_stateINS0_5tupleIJdbEEELb0ELb0EEEN6thrust23THRUST_200600_302600_NS6detail15normal_iteratorINS8_10device_ptrIiEEEEjNS1_16block_id_wrapperIjLb1EEEEEvT_jjPNSG_10value_typeET0_PNSt15iterator_traitsISJ_E10value_typeEmT1_T2_
		.amdhsa_group_segment_fixed_size 0
		.amdhsa_private_segment_fixed_size 0
		.amdhsa_kernarg_size 336
		.amdhsa_user_sgpr_count 6
		.amdhsa_user_sgpr_private_segment_buffer 1
		.amdhsa_user_sgpr_dispatch_ptr 0
		.amdhsa_user_sgpr_queue_ptr 0
		.amdhsa_user_sgpr_kernarg_segment_ptr 1
		.amdhsa_user_sgpr_dispatch_id 0
		.amdhsa_user_sgpr_flat_scratch_init 0
		.amdhsa_user_sgpr_kernarg_preload_length 0
		.amdhsa_user_sgpr_kernarg_preload_offset 0
		.amdhsa_user_sgpr_private_segment_size 0
		.amdhsa_uses_dynamic_stack 0
		.amdhsa_system_sgpr_private_segment_wavefront_offset 0
		.amdhsa_system_sgpr_workgroup_id_x 1
		.amdhsa_system_sgpr_workgroup_id_y 0
		.amdhsa_system_sgpr_workgroup_id_z 0
		.amdhsa_system_sgpr_workgroup_info 0
		.amdhsa_system_vgpr_workitem_id 0
		.amdhsa_next_free_vgpr 10
		.amdhsa_next_free_sgpr 22
		.amdhsa_accum_offset 12
		.amdhsa_reserve_vcc 1
		.amdhsa_reserve_flat_scratch 0
		.amdhsa_float_round_mode_32 0
		.amdhsa_float_round_mode_16_64 0
		.amdhsa_float_denorm_mode_32 3
		.amdhsa_float_denorm_mode_16_64 3
		.amdhsa_dx10_clamp 1
		.amdhsa_ieee_mode 1
		.amdhsa_fp16_overflow 0
		.amdhsa_tg_split 0
		.amdhsa_exception_fp_ieee_invalid_op 0
		.amdhsa_exception_fp_denorm_src 0
		.amdhsa_exception_fp_ieee_div_zero 0
		.amdhsa_exception_fp_ieee_overflow 0
		.amdhsa_exception_fp_ieee_underflow 0
		.amdhsa_exception_fp_ieee_inexact 0
		.amdhsa_exception_int_div_zero 0
	.end_amdhsa_kernel
	.section	.text._ZN7rocprim17ROCPRIM_400000_NS6detail30init_device_scan_by_key_kernelINS1_19lookback_scan_stateINS0_5tupleIJdbEEELb0ELb0EEEN6thrust23THRUST_200600_302600_NS6detail15normal_iteratorINS8_10device_ptrIiEEEEjNS1_16block_id_wrapperIjLb1EEEEEvT_jjPNSG_10value_typeET0_PNSt15iterator_traitsISJ_E10value_typeEmT1_T2_,"axG",@progbits,_ZN7rocprim17ROCPRIM_400000_NS6detail30init_device_scan_by_key_kernelINS1_19lookback_scan_stateINS0_5tupleIJdbEEELb0ELb0EEEN6thrust23THRUST_200600_302600_NS6detail15normal_iteratorINS8_10device_ptrIiEEEEjNS1_16block_id_wrapperIjLb1EEEEEvT_jjPNSG_10value_typeET0_PNSt15iterator_traitsISJ_E10value_typeEmT1_T2_,comdat
.Lfunc_end1116:
	.size	_ZN7rocprim17ROCPRIM_400000_NS6detail30init_device_scan_by_key_kernelINS1_19lookback_scan_stateINS0_5tupleIJdbEEELb0ELb0EEEN6thrust23THRUST_200600_302600_NS6detail15normal_iteratorINS8_10device_ptrIiEEEEjNS1_16block_id_wrapperIjLb1EEEEEvT_jjPNSG_10value_typeET0_PNSt15iterator_traitsISJ_E10value_typeEmT1_T2_, .Lfunc_end1116-_ZN7rocprim17ROCPRIM_400000_NS6detail30init_device_scan_by_key_kernelINS1_19lookback_scan_stateINS0_5tupleIJdbEEELb0ELb0EEEN6thrust23THRUST_200600_302600_NS6detail15normal_iteratorINS8_10device_ptrIiEEEEjNS1_16block_id_wrapperIjLb1EEEEEvT_jjPNSG_10value_typeET0_PNSt15iterator_traitsISJ_E10value_typeEmT1_T2_
                                        ; -- End function
	.section	.AMDGPU.csdata,"",@progbits
; Kernel info:
; codeLenInByte = 580
; NumSgprs: 26
; NumVgprs: 10
; NumAgprs: 0
; TotalNumVgprs: 10
; ScratchSize: 0
; MemoryBound: 0
; FloatMode: 240
; IeeeMode: 1
; LDSByteSize: 0 bytes/workgroup (compile time only)
; SGPRBlocks: 3
; VGPRBlocks: 1
; NumSGPRsForWavesPerEU: 26
; NumVGPRsForWavesPerEU: 10
; AccumOffset: 12
; Occupancy: 8
; WaveLimiterHint : 0
; COMPUTE_PGM_RSRC2:SCRATCH_EN: 0
; COMPUTE_PGM_RSRC2:USER_SGPR: 6
; COMPUTE_PGM_RSRC2:TRAP_HANDLER: 0
; COMPUTE_PGM_RSRC2:TGID_X_EN: 1
; COMPUTE_PGM_RSRC2:TGID_Y_EN: 0
; COMPUTE_PGM_RSRC2:TGID_Z_EN: 0
; COMPUTE_PGM_RSRC2:TIDIG_COMP_CNT: 0
; COMPUTE_PGM_RSRC3_GFX90A:ACCUM_OFFSET: 2
; COMPUTE_PGM_RSRC3_GFX90A:TG_SPLIT: 0
	.section	.text._ZN7rocprim17ROCPRIM_400000_NS6detail30init_device_scan_by_key_kernelINS1_19lookback_scan_stateINS0_5tupleIJdbEEELb0ELb0EEENS1_16block_id_wrapperIjLb1EEEEEvT_jjPNS9_10value_typeET0_,"axG",@progbits,_ZN7rocprim17ROCPRIM_400000_NS6detail30init_device_scan_by_key_kernelINS1_19lookback_scan_stateINS0_5tupleIJdbEEELb0ELb0EEENS1_16block_id_wrapperIjLb1EEEEEvT_jjPNS9_10value_typeET0_,comdat
	.protected	_ZN7rocprim17ROCPRIM_400000_NS6detail30init_device_scan_by_key_kernelINS1_19lookback_scan_stateINS0_5tupleIJdbEEELb0ELb0EEENS1_16block_id_wrapperIjLb1EEEEEvT_jjPNS9_10value_typeET0_ ; -- Begin function _ZN7rocprim17ROCPRIM_400000_NS6detail30init_device_scan_by_key_kernelINS1_19lookback_scan_stateINS0_5tupleIJdbEEELb0ELb0EEENS1_16block_id_wrapperIjLb1EEEEEvT_jjPNS9_10value_typeET0_
	.globl	_ZN7rocprim17ROCPRIM_400000_NS6detail30init_device_scan_by_key_kernelINS1_19lookback_scan_stateINS0_5tupleIJdbEEELb0ELb0EEENS1_16block_id_wrapperIjLb1EEEEEvT_jjPNS9_10value_typeET0_
	.p2align	8
	.type	_ZN7rocprim17ROCPRIM_400000_NS6detail30init_device_scan_by_key_kernelINS1_19lookback_scan_stateINS0_5tupleIJdbEEELb0ELb0EEENS1_16block_id_wrapperIjLb1EEEEEvT_jjPNS9_10value_typeET0_,@function
_ZN7rocprim17ROCPRIM_400000_NS6detail30init_device_scan_by_key_kernelINS1_19lookback_scan_stateINS0_5tupleIJdbEEELb0ELb0EEENS1_16block_id_wrapperIjLb1EEEEEvT_jjPNS9_10value_typeET0_: ; @_ZN7rocprim17ROCPRIM_400000_NS6detail30init_device_scan_by_key_kernelINS1_19lookback_scan_stateINS0_5tupleIJdbEEELb0ELb0EEENS1_16block_id_wrapperIjLb1EEEEEvT_jjPNS9_10value_typeET0_
; %bb.0:
	s_load_dword s0, s[4:5], 0x3c
	s_load_dwordx8 s[8:15], s[4:5], 0x10
	s_waitcnt lgkmcnt(0)
	s_and_b32 s0, s0, 0xffff
	s_mul_i32 s6, s6, s0
	s_cmp_eq_u64 s[12:13], 0
	v_add_u32_e32 v0, s6, v0
	s_cbranch_scc1 .LBB1117_7
; %bb.1:
	s_cmp_lt_u32 s11, s10
	s_cselect_b32 s0, s11, 0
	s_mov_b32 s17, 0
	v_cmp_eq_u32_e32 vcc, s0, v0
	s_and_saveexec_b64 s[6:7], vcc
	s_cbranch_execz .LBB1117_6
; %bb.2:
	s_add_i32 s16, s11, 64
	v_mov_b32_e32 v1, s16
	global_load_ubyte v1, v1, s[8:9] glc
	s_load_dwordx4 s[0:3], s[4:5], 0x0
	s_add_u32 s4, s8, s16
	s_addc_u32 s5, s9, 0
	s_waitcnt vmcnt(0)
	v_cmp_ne_u16_e32 vcc, 0, v1
	v_readfirstlane_b32 s11, v1
	s_cbranch_vccnz .LBB1117_5
; %bb.3:
	v_mov_b32_e32 v1, 0
.LBB1117_4:                             ; =>This Inner Loop Header: Depth=1
	global_load_ubyte v2, v1, s[4:5] glc
	s_waitcnt vmcnt(0)
	v_cmp_eq_u16_e32 vcc, 0, v2
	v_readfirstlane_b32 s11, v2
	s_cbranch_vccnz .LBB1117_4
.LBB1117_5:
	s_and_b32 s4, 0xffff, s11
	s_cmp_eq_u32 s4, 1
	s_waitcnt lgkmcnt(0)
	s_cselect_b32 s3, s1, s3
	s_cselect_b32 s2, s0, s2
	s_lshl_b64 s[0:1], s[16:17], 4
	s_add_u32 s0, s2, s0
	s_addc_u32 s1, s3, s1
	v_mov_b32_e32 v1, 0
	buffer_wbinvl1_vol
	global_load_dwordx2 v[2:3], v1, s[0:1]
	global_load_ubyte v4, v1, s[0:1] offset:8
	s_waitcnt vmcnt(1)
	global_store_dwordx2 v1, v[2:3], s[12:13]
	s_waitcnt vmcnt(1)
	global_store_byte v1, v4, s[12:13] offset:8
.LBB1117_6:
	s_or_b64 exec, exec, s[6:7]
.LBB1117_7:
	v_cmp_eq_u32_e32 vcc, 0, v0
	s_and_saveexec_b64 s[0:1], vcc
	s_cbranch_execnz .LBB1117_11
; %bb.8:
	s_or_b64 exec, exec, s[0:1]
	v_cmp_gt_u32_e32 vcc, s10, v0
	s_and_saveexec_b64 s[0:1], vcc
	s_cbranch_execnz .LBB1117_12
.LBB1117_9:
	s_or_b64 exec, exec, s[0:1]
	v_cmp_gt_u32_e32 vcc, 64, v0
	s_and_saveexec_b64 s[0:1], vcc
	s_cbranch_execnz .LBB1117_13
.LBB1117_10:
	s_endpgm
.LBB1117_11:
	v_mov_b32_e32 v1, 0
	global_store_dword v1, v1, s[14:15]
	s_or_b64 exec, exec, s[0:1]
	v_cmp_gt_u32_e32 vcc, s10, v0
	s_and_saveexec_b64 s[0:1], vcc
	s_cbranch_execz .LBB1117_9
.LBB1117_12:
	v_add_u32_e32 v1, 64, v0
	v_mov_b32_e32 v2, 0
	global_store_byte v1, v2, s[8:9]
	s_or_b64 exec, exec, s[0:1]
	v_cmp_gt_u32_e32 vcc, 64, v0
	s_and_saveexec_b64 s[0:1], vcc
	s_cbranch_execz .LBB1117_10
.LBB1117_13:
	v_mov_b32_e32 v1, 0xff
	global_store_byte v0, v1, s[8:9]
	s_endpgm
	.section	.rodata,"a",@progbits
	.p2align	6, 0x0
	.amdhsa_kernel _ZN7rocprim17ROCPRIM_400000_NS6detail30init_device_scan_by_key_kernelINS1_19lookback_scan_stateINS0_5tupleIJdbEEELb0ELb0EEENS1_16block_id_wrapperIjLb1EEEEEvT_jjPNS9_10value_typeET0_
		.amdhsa_group_segment_fixed_size 0
		.amdhsa_private_segment_fixed_size 0
		.amdhsa_kernarg_size 304
		.amdhsa_user_sgpr_count 6
		.amdhsa_user_sgpr_private_segment_buffer 1
		.amdhsa_user_sgpr_dispatch_ptr 0
		.amdhsa_user_sgpr_queue_ptr 0
		.amdhsa_user_sgpr_kernarg_segment_ptr 1
		.amdhsa_user_sgpr_dispatch_id 0
		.amdhsa_user_sgpr_flat_scratch_init 0
		.amdhsa_user_sgpr_kernarg_preload_length 0
		.amdhsa_user_sgpr_kernarg_preload_offset 0
		.amdhsa_user_sgpr_private_segment_size 0
		.amdhsa_uses_dynamic_stack 0
		.amdhsa_system_sgpr_private_segment_wavefront_offset 0
		.amdhsa_system_sgpr_workgroup_id_x 1
		.amdhsa_system_sgpr_workgroup_id_y 0
		.amdhsa_system_sgpr_workgroup_id_z 0
		.amdhsa_system_sgpr_workgroup_info 0
		.amdhsa_system_vgpr_workitem_id 0
		.amdhsa_next_free_vgpr 5
		.amdhsa_next_free_sgpr 18
		.amdhsa_accum_offset 8
		.amdhsa_reserve_vcc 1
		.amdhsa_reserve_flat_scratch 0
		.amdhsa_float_round_mode_32 0
		.amdhsa_float_round_mode_16_64 0
		.amdhsa_float_denorm_mode_32 3
		.amdhsa_float_denorm_mode_16_64 3
		.amdhsa_dx10_clamp 1
		.amdhsa_ieee_mode 1
		.amdhsa_fp16_overflow 0
		.amdhsa_tg_split 0
		.amdhsa_exception_fp_ieee_invalid_op 0
		.amdhsa_exception_fp_denorm_src 0
		.amdhsa_exception_fp_ieee_div_zero 0
		.amdhsa_exception_fp_ieee_overflow 0
		.amdhsa_exception_fp_ieee_underflow 0
		.amdhsa_exception_fp_ieee_inexact 0
		.amdhsa_exception_int_div_zero 0
	.end_amdhsa_kernel
	.section	.text._ZN7rocprim17ROCPRIM_400000_NS6detail30init_device_scan_by_key_kernelINS1_19lookback_scan_stateINS0_5tupleIJdbEEELb0ELb0EEENS1_16block_id_wrapperIjLb1EEEEEvT_jjPNS9_10value_typeET0_,"axG",@progbits,_ZN7rocprim17ROCPRIM_400000_NS6detail30init_device_scan_by_key_kernelINS1_19lookback_scan_stateINS0_5tupleIJdbEEELb0ELb0EEENS1_16block_id_wrapperIjLb1EEEEEvT_jjPNS9_10value_typeET0_,comdat
.Lfunc_end1117:
	.size	_ZN7rocprim17ROCPRIM_400000_NS6detail30init_device_scan_by_key_kernelINS1_19lookback_scan_stateINS0_5tupleIJdbEEELb0ELb0EEENS1_16block_id_wrapperIjLb1EEEEEvT_jjPNS9_10value_typeET0_, .Lfunc_end1117-_ZN7rocprim17ROCPRIM_400000_NS6detail30init_device_scan_by_key_kernelINS1_19lookback_scan_stateINS0_5tupleIJdbEEELb0ELb0EEENS1_16block_id_wrapperIjLb1EEEEEvT_jjPNS9_10value_typeET0_
                                        ; -- End function
	.section	.AMDGPU.csdata,"",@progbits
; Kernel info:
; codeLenInByte = 364
; NumSgprs: 22
; NumVgprs: 5
; NumAgprs: 0
; TotalNumVgprs: 5
; ScratchSize: 0
; MemoryBound: 0
; FloatMode: 240
; IeeeMode: 1
; LDSByteSize: 0 bytes/workgroup (compile time only)
; SGPRBlocks: 2
; VGPRBlocks: 0
; NumSGPRsForWavesPerEU: 22
; NumVGPRsForWavesPerEU: 5
; AccumOffset: 8
; Occupancy: 8
; WaveLimiterHint : 0
; COMPUTE_PGM_RSRC2:SCRATCH_EN: 0
; COMPUTE_PGM_RSRC2:USER_SGPR: 6
; COMPUTE_PGM_RSRC2:TRAP_HANDLER: 0
; COMPUTE_PGM_RSRC2:TGID_X_EN: 1
; COMPUTE_PGM_RSRC2:TGID_Y_EN: 0
; COMPUTE_PGM_RSRC2:TGID_Z_EN: 0
; COMPUTE_PGM_RSRC2:TIDIG_COMP_CNT: 0
; COMPUTE_PGM_RSRC3_GFX90A:ACCUM_OFFSET: 1
; COMPUTE_PGM_RSRC3_GFX90A:TG_SPLIT: 0
	.section	.text._ZN7rocprim17ROCPRIM_400000_NS6detail17trampoline_kernelINS0_14default_configENS1_27scan_by_key_config_selectorIidEEZZNS1_16scan_by_key_implILNS1_25lookback_scan_determinismE0ELb0ES3_N6thrust23THRUST_200600_302600_NS6detail15normal_iteratorINS9_10device_ptrIiEEEENSB_INSC_IdEEEESG_dNS9_4plusIvEENS9_8equal_toIvEEdEE10hipError_tPvRmT2_T3_T4_T5_mT6_T7_P12ihipStream_tbENKUlT_T0_E_clISt17integral_constantIbLb0EES10_IbLb1EEEEDaSW_SX_EUlSW_E_NS1_11comp_targetILNS1_3genE0ELNS1_11target_archE4294967295ELNS1_3gpuE0ELNS1_3repE0EEENS1_30default_config_static_selectorELNS0_4arch9wavefront6targetE1EEEvT1_,"axG",@progbits,_ZN7rocprim17ROCPRIM_400000_NS6detail17trampoline_kernelINS0_14default_configENS1_27scan_by_key_config_selectorIidEEZZNS1_16scan_by_key_implILNS1_25lookback_scan_determinismE0ELb0ES3_N6thrust23THRUST_200600_302600_NS6detail15normal_iteratorINS9_10device_ptrIiEEEENSB_INSC_IdEEEESG_dNS9_4plusIvEENS9_8equal_toIvEEdEE10hipError_tPvRmT2_T3_T4_T5_mT6_T7_P12ihipStream_tbENKUlT_T0_E_clISt17integral_constantIbLb0EES10_IbLb1EEEEDaSW_SX_EUlSW_E_NS1_11comp_targetILNS1_3genE0ELNS1_11target_archE4294967295ELNS1_3gpuE0ELNS1_3repE0EEENS1_30default_config_static_selectorELNS0_4arch9wavefront6targetE1EEEvT1_,comdat
	.protected	_ZN7rocprim17ROCPRIM_400000_NS6detail17trampoline_kernelINS0_14default_configENS1_27scan_by_key_config_selectorIidEEZZNS1_16scan_by_key_implILNS1_25lookback_scan_determinismE0ELb0ES3_N6thrust23THRUST_200600_302600_NS6detail15normal_iteratorINS9_10device_ptrIiEEEENSB_INSC_IdEEEESG_dNS9_4plusIvEENS9_8equal_toIvEEdEE10hipError_tPvRmT2_T3_T4_T5_mT6_T7_P12ihipStream_tbENKUlT_T0_E_clISt17integral_constantIbLb0EES10_IbLb1EEEEDaSW_SX_EUlSW_E_NS1_11comp_targetILNS1_3genE0ELNS1_11target_archE4294967295ELNS1_3gpuE0ELNS1_3repE0EEENS1_30default_config_static_selectorELNS0_4arch9wavefront6targetE1EEEvT1_ ; -- Begin function _ZN7rocprim17ROCPRIM_400000_NS6detail17trampoline_kernelINS0_14default_configENS1_27scan_by_key_config_selectorIidEEZZNS1_16scan_by_key_implILNS1_25lookback_scan_determinismE0ELb0ES3_N6thrust23THRUST_200600_302600_NS6detail15normal_iteratorINS9_10device_ptrIiEEEENSB_INSC_IdEEEESG_dNS9_4plusIvEENS9_8equal_toIvEEdEE10hipError_tPvRmT2_T3_T4_T5_mT6_T7_P12ihipStream_tbENKUlT_T0_E_clISt17integral_constantIbLb0EES10_IbLb1EEEEDaSW_SX_EUlSW_E_NS1_11comp_targetILNS1_3genE0ELNS1_11target_archE4294967295ELNS1_3gpuE0ELNS1_3repE0EEENS1_30default_config_static_selectorELNS0_4arch9wavefront6targetE1EEEvT1_
	.globl	_ZN7rocprim17ROCPRIM_400000_NS6detail17trampoline_kernelINS0_14default_configENS1_27scan_by_key_config_selectorIidEEZZNS1_16scan_by_key_implILNS1_25lookback_scan_determinismE0ELb0ES3_N6thrust23THRUST_200600_302600_NS6detail15normal_iteratorINS9_10device_ptrIiEEEENSB_INSC_IdEEEESG_dNS9_4plusIvEENS9_8equal_toIvEEdEE10hipError_tPvRmT2_T3_T4_T5_mT6_T7_P12ihipStream_tbENKUlT_T0_E_clISt17integral_constantIbLb0EES10_IbLb1EEEEDaSW_SX_EUlSW_E_NS1_11comp_targetILNS1_3genE0ELNS1_11target_archE4294967295ELNS1_3gpuE0ELNS1_3repE0EEENS1_30default_config_static_selectorELNS0_4arch9wavefront6targetE1EEEvT1_
	.p2align	8
	.type	_ZN7rocprim17ROCPRIM_400000_NS6detail17trampoline_kernelINS0_14default_configENS1_27scan_by_key_config_selectorIidEEZZNS1_16scan_by_key_implILNS1_25lookback_scan_determinismE0ELb0ES3_N6thrust23THRUST_200600_302600_NS6detail15normal_iteratorINS9_10device_ptrIiEEEENSB_INSC_IdEEEESG_dNS9_4plusIvEENS9_8equal_toIvEEdEE10hipError_tPvRmT2_T3_T4_T5_mT6_T7_P12ihipStream_tbENKUlT_T0_E_clISt17integral_constantIbLb0EES10_IbLb1EEEEDaSW_SX_EUlSW_E_NS1_11comp_targetILNS1_3genE0ELNS1_11target_archE4294967295ELNS1_3gpuE0ELNS1_3repE0EEENS1_30default_config_static_selectorELNS0_4arch9wavefront6targetE1EEEvT1_,@function
_ZN7rocprim17ROCPRIM_400000_NS6detail17trampoline_kernelINS0_14default_configENS1_27scan_by_key_config_selectorIidEEZZNS1_16scan_by_key_implILNS1_25lookback_scan_determinismE0ELb0ES3_N6thrust23THRUST_200600_302600_NS6detail15normal_iteratorINS9_10device_ptrIiEEEENSB_INSC_IdEEEESG_dNS9_4plusIvEENS9_8equal_toIvEEdEE10hipError_tPvRmT2_T3_T4_T5_mT6_T7_P12ihipStream_tbENKUlT_T0_E_clISt17integral_constantIbLb0EES10_IbLb1EEEEDaSW_SX_EUlSW_E_NS1_11comp_targetILNS1_3genE0ELNS1_11target_archE4294967295ELNS1_3gpuE0ELNS1_3repE0EEENS1_30default_config_static_selectorELNS0_4arch9wavefront6targetE1EEEvT1_: ; @_ZN7rocprim17ROCPRIM_400000_NS6detail17trampoline_kernelINS0_14default_configENS1_27scan_by_key_config_selectorIidEEZZNS1_16scan_by_key_implILNS1_25lookback_scan_determinismE0ELb0ES3_N6thrust23THRUST_200600_302600_NS6detail15normal_iteratorINS9_10device_ptrIiEEEENSB_INSC_IdEEEESG_dNS9_4plusIvEENS9_8equal_toIvEEdEE10hipError_tPvRmT2_T3_T4_T5_mT6_T7_P12ihipStream_tbENKUlT_T0_E_clISt17integral_constantIbLb0EES10_IbLb1EEEEDaSW_SX_EUlSW_E_NS1_11comp_targetILNS1_3genE0ELNS1_11target_archE4294967295ELNS1_3gpuE0ELNS1_3repE0EEENS1_30default_config_static_selectorELNS0_4arch9wavefront6targetE1EEEvT1_
; %bb.0:
	.section	.rodata,"a",@progbits
	.p2align	6, 0x0
	.amdhsa_kernel _ZN7rocprim17ROCPRIM_400000_NS6detail17trampoline_kernelINS0_14default_configENS1_27scan_by_key_config_selectorIidEEZZNS1_16scan_by_key_implILNS1_25lookback_scan_determinismE0ELb0ES3_N6thrust23THRUST_200600_302600_NS6detail15normal_iteratorINS9_10device_ptrIiEEEENSB_INSC_IdEEEESG_dNS9_4plusIvEENS9_8equal_toIvEEdEE10hipError_tPvRmT2_T3_T4_T5_mT6_T7_P12ihipStream_tbENKUlT_T0_E_clISt17integral_constantIbLb0EES10_IbLb1EEEEDaSW_SX_EUlSW_E_NS1_11comp_targetILNS1_3genE0ELNS1_11target_archE4294967295ELNS1_3gpuE0ELNS1_3repE0EEENS1_30default_config_static_selectorELNS0_4arch9wavefront6targetE1EEEvT1_
		.amdhsa_group_segment_fixed_size 0
		.amdhsa_private_segment_fixed_size 0
		.amdhsa_kernarg_size 136
		.amdhsa_user_sgpr_count 6
		.amdhsa_user_sgpr_private_segment_buffer 1
		.amdhsa_user_sgpr_dispatch_ptr 0
		.amdhsa_user_sgpr_queue_ptr 0
		.amdhsa_user_sgpr_kernarg_segment_ptr 1
		.amdhsa_user_sgpr_dispatch_id 0
		.amdhsa_user_sgpr_flat_scratch_init 0
		.amdhsa_user_sgpr_kernarg_preload_length 0
		.amdhsa_user_sgpr_kernarg_preload_offset 0
		.amdhsa_user_sgpr_private_segment_size 0
		.amdhsa_uses_dynamic_stack 0
		.amdhsa_system_sgpr_private_segment_wavefront_offset 0
		.amdhsa_system_sgpr_workgroup_id_x 1
		.amdhsa_system_sgpr_workgroup_id_y 0
		.amdhsa_system_sgpr_workgroup_id_z 0
		.amdhsa_system_sgpr_workgroup_info 0
		.amdhsa_system_vgpr_workitem_id 0
		.amdhsa_next_free_vgpr 1
		.amdhsa_next_free_sgpr 0
		.amdhsa_accum_offset 4
		.amdhsa_reserve_vcc 0
		.amdhsa_reserve_flat_scratch 0
		.amdhsa_float_round_mode_32 0
		.amdhsa_float_round_mode_16_64 0
		.amdhsa_float_denorm_mode_32 3
		.amdhsa_float_denorm_mode_16_64 3
		.amdhsa_dx10_clamp 1
		.amdhsa_ieee_mode 1
		.amdhsa_fp16_overflow 0
		.amdhsa_tg_split 0
		.amdhsa_exception_fp_ieee_invalid_op 0
		.amdhsa_exception_fp_denorm_src 0
		.amdhsa_exception_fp_ieee_div_zero 0
		.amdhsa_exception_fp_ieee_overflow 0
		.amdhsa_exception_fp_ieee_underflow 0
		.amdhsa_exception_fp_ieee_inexact 0
		.amdhsa_exception_int_div_zero 0
	.end_amdhsa_kernel
	.section	.text._ZN7rocprim17ROCPRIM_400000_NS6detail17trampoline_kernelINS0_14default_configENS1_27scan_by_key_config_selectorIidEEZZNS1_16scan_by_key_implILNS1_25lookback_scan_determinismE0ELb0ES3_N6thrust23THRUST_200600_302600_NS6detail15normal_iteratorINS9_10device_ptrIiEEEENSB_INSC_IdEEEESG_dNS9_4plusIvEENS9_8equal_toIvEEdEE10hipError_tPvRmT2_T3_T4_T5_mT6_T7_P12ihipStream_tbENKUlT_T0_E_clISt17integral_constantIbLb0EES10_IbLb1EEEEDaSW_SX_EUlSW_E_NS1_11comp_targetILNS1_3genE0ELNS1_11target_archE4294967295ELNS1_3gpuE0ELNS1_3repE0EEENS1_30default_config_static_selectorELNS0_4arch9wavefront6targetE1EEEvT1_,"axG",@progbits,_ZN7rocprim17ROCPRIM_400000_NS6detail17trampoline_kernelINS0_14default_configENS1_27scan_by_key_config_selectorIidEEZZNS1_16scan_by_key_implILNS1_25lookback_scan_determinismE0ELb0ES3_N6thrust23THRUST_200600_302600_NS6detail15normal_iteratorINS9_10device_ptrIiEEEENSB_INSC_IdEEEESG_dNS9_4plusIvEENS9_8equal_toIvEEdEE10hipError_tPvRmT2_T3_T4_T5_mT6_T7_P12ihipStream_tbENKUlT_T0_E_clISt17integral_constantIbLb0EES10_IbLb1EEEEDaSW_SX_EUlSW_E_NS1_11comp_targetILNS1_3genE0ELNS1_11target_archE4294967295ELNS1_3gpuE0ELNS1_3repE0EEENS1_30default_config_static_selectorELNS0_4arch9wavefront6targetE1EEEvT1_,comdat
.Lfunc_end1118:
	.size	_ZN7rocprim17ROCPRIM_400000_NS6detail17trampoline_kernelINS0_14default_configENS1_27scan_by_key_config_selectorIidEEZZNS1_16scan_by_key_implILNS1_25lookback_scan_determinismE0ELb0ES3_N6thrust23THRUST_200600_302600_NS6detail15normal_iteratorINS9_10device_ptrIiEEEENSB_INSC_IdEEEESG_dNS9_4plusIvEENS9_8equal_toIvEEdEE10hipError_tPvRmT2_T3_T4_T5_mT6_T7_P12ihipStream_tbENKUlT_T0_E_clISt17integral_constantIbLb0EES10_IbLb1EEEEDaSW_SX_EUlSW_E_NS1_11comp_targetILNS1_3genE0ELNS1_11target_archE4294967295ELNS1_3gpuE0ELNS1_3repE0EEENS1_30default_config_static_selectorELNS0_4arch9wavefront6targetE1EEEvT1_, .Lfunc_end1118-_ZN7rocprim17ROCPRIM_400000_NS6detail17trampoline_kernelINS0_14default_configENS1_27scan_by_key_config_selectorIidEEZZNS1_16scan_by_key_implILNS1_25lookback_scan_determinismE0ELb0ES3_N6thrust23THRUST_200600_302600_NS6detail15normal_iteratorINS9_10device_ptrIiEEEENSB_INSC_IdEEEESG_dNS9_4plusIvEENS9_8equal_toIvEEdEE10hipError_tPvRmT2_T3_T4_T5_mT6_T7_P12ihipStream_tbENKUlT_T0_E_clISt17integral_constantIbLb0EES10_IbLb1EEEEDaSW_SX_EUlSW_E_NS1_11comp_targetILNS1_3genE0ELNS1_11target_archE4294967295ELNS1_3gpuE0ELNS1_3repE0EEENS1_30default_config_static_selectorELNS0_4arch9wavefront6targetE1EEEvT1_
                                        ; -- End function
	.section	.AMDGPU.csdata,"",@progbits
; Kernel info:
; codeLenInByte = 0
; NumSgprs: 4
; NumVgprs: 0
; NumAgprs: 0
; TotalNumVgprs: 0
; ScratchSize: 0
; MemoryBound: 0
; FloatMode: 240
; IeeeMode: 1
; LDSByteSize: 0 bytes/workgroup (compile time only)
; SGPRBlocks: 0
; VGPRBlocks: 0
; NumSGPRsForWavesPerEU: 4
; NumVGPRsForWavesPerEU: 1
; AccumOffset: 4
; Occupancy: 8
; WaveLimiterHint : 0
; COMPUTE_PGM_RSRC2:SCRATCH_EN: 0
; COMPUTE_PGM_RSRC2:USER_SGPR: 6
; COMPUTE_PGM_RSRC2:TRAP_HANDLER: 0
; COMPUTE_PGM_RSRC2:TGID_X_EN: 1
; COMPUTE_PGM_RSRC2:TGID_Y_EN: 0
; COMPUTE_PGM_RSRC2:TGID_Z_EN: 0
; COMPUTE_PGM_RSRC2:TIDIG_COMP_CNT: 0
; COMPUTE_PGM_RSRC3_GFX90A:ACCUM_OFFSET: 0
; COMPUTE_PGM_RSRC3_GFX90A:TG_SPLIT: 0
	.section	.text._ZN7rocprim17ROCPRIM_400000_NS6detail17trampoline_kernelINS0_14default_configENS1_27scan_by_key_config_selectorIidEEZZNS1_16scan_by_key_implILNS1_25lookback_scan_determinismE0ELb0ES3_N6thrust23THRUST_200600_302600_NS6detail15normal_iteratorINS9_10device_ptrIiEEEENSB_INSC_IdEEEESG_dNS9_4plusIvEENS9_8equal_toIvEEdEE10hipError_tPvRmT2_T3_T4_T5_mT6_T7_P12ihipStream_tbENKUlT_T0_E_clISt17integral_constantIbLb0EES10_IbLb1EEEEDaSW_SX_EUlSW_E_NS1_11comp_targetILNS1_3genE10ELNS1_11target_archE1201ELNS1_3gpuE5ELNS1_3repE0EEENS1_30default_config_static_selectorELNS0_4arch9wavefront6targetE1EEEvT1_,"axG",@progbits,_ZN7rocprim17ROCPRIM_400000_NS6detail17trampoline_kernelINS0_14default_configENS1_27scan_by_key_config_selectorIidEEZZNS1_16scan_by_key_implILNS1_25lookback_scan_determinismE0ELb0ES3_N6thrust23THRUST_200600_302600_NS6detail15normal_iteratorINS9_10device_ptrIiEEEENSB_INSC_IdEEEESG_dNS9_4plusIvEENS9_8equal_toIvEEdEE10hipError_tPvRmT2_T3_T4_T5_mT6_T7_P12ihipStream_tbENKUlT_T0_E_clISt17integral_constantIbLb0EES10_IbLb1EEEEDaSW_SX_EUlSW_E_NS1_11comp_targetILNS1_3genE10ELNS1_11target_archE1201ELNS1_3gpuE5ELNS1_3repE0EEENS1_30default_config_static_selectorELNS0_4arch9wavefront6targetE1EEEvT1_,comdat
	.protected	_ZN7rocprim17ROCPRIM_400000_NS6detail17trampoline_kernelINS0_14default_configENS1_27scan_by_key_config_selectorIidEEZZNS1_16scan_by_key_implILNS1_25lookback_scan_determinismE0ELb0ES3_N6thrust23THRUST_200600_302600_NS6detail15normal_iteratorINS9_10device_ptrIiEEEENSB_INSC_IdEEEESG_dNS9_4plusIvEENS9_8equal_toIvEEdEE10hipError_tPvRmT2_T3_T4_T5_mT6_T7_P12ihipStream_tbENKUlT_T0_E_clISt17integral_constantIbLb0EES10_IbLb1EEEEDaSW_SX_EUlSW_E_NS1_11comp_targetILNS1_3genE10ELNS1_11target_archE1201ELNS1_3gpuE5ELNS1_3repE0EEENS1_30default_config_static_selectorELNS0_4arch9wavefront6targetE1EEEvT1_ ; -- Begin function _ZN7rocprim17ROCPRIM_400000_NS6detail17trampoline_kernelINS0_14default_configENS1_27scan_by_key_config_selectorIidEEZZNS1_16scan_by_key_implILNS1_25lookback_scan_determinismE0ELb0ES3_N6thrust23THRUST_200600_302600_NS6detail15normal_iteratorINS9_10device_ptrIiEEEENSB_INSC_IdEEEESG_dNS9_4plusIvEENS9_8equal_toIvEEdEE10hipError_tPvRmT2_T3_T4_T5_mT6_T7_P12ihipStream_tbENKUlT_T0_E_clISt17integral_constantIbLb0EES10_IbLb1EEEEDaSW_SX_EUlSW_E_NS1_11comp_targetILNS1_3genE10ELNS1_11target_archE1201ELNS1_3gpuE5ELNS1_3repE0EEENS1_30default_config_static_selectorELNS0_4arch9wavefront6targetE1EEEvT1_
	.globl	_ZN7rocprim17ROCPRIM_400000_NS6detail17trampoline_kernelINS0_14default_configENS1_27scan_by_key_config_selectorIidEEZZNS1_16scan_by_key_implILNS1_25lookback_scan_determinismE0ELb0ES3_N6thrust23THRUST_200600_302600_NS6detail15normal_iteratorINS9_10device_ptrIiEEEENSB_INSC_IdEEEESG_dNS9_4plusIvEENS9_8equal_toIvEEdEE10hipError_tPvRmT2_T3_T4_T5_mT6_T7_P12ihipStream_tbENKUlT_T0_E_clISt17integral_constantIbLb0EES10_IbLb1EEEEDaSW_SX_EUlSW_E_NS1_11comp_targetILNS1_3genE10ELNS1_11target_archE1201ELNS1_3gpuE5ELNS1_3repE0EEENS1_30default_config_static_selectorELNS0_4arch9wavefront6targetE1EEEvT1_
	.p2align	8
	.type	_ZN7rocprim17ROCPRIM_400000_NS6detail17trampoline_kernelINS0_14default_configENS1_27scan_by_key_config_selectorIidEEZZNS1_16scan_by_key_implILNS1_25lookback_scan_determinismE0ELb0ES3_N6thrust23THRUST_200600_302600_NS6detail15normal_iteratorINS9_10device_ptrIiEEEENSB_INSC_IdEEEESG_dNS9_4plusIvEENS9_8equal_toIvEEdEE10hipError_tPvRmT2_T3_T4_T5_mT6_T7_P12ihipStream_tbENKUlT_T0_E_clISt17integral_constantIbLb0EES10_IbLb1EEEEDaSW_SX_EUlSW_E_NS1_11comp_targetILNS1_3genE10ELNS1_11target_archE1201ELNS1_3gpuE5ELNS1_3repE0EEENS1_30default_config_static_selectorELNS0_4arch9wavefront6targetE1EEEvT1_,@function
_ZN7rocprim17ROCPRIM_400000_NS6detail17trampoline_kernelINS0_14default_configENS1_27scan_by_key_config_selectorIidEEZZNS1_16scan_by_key_implILNS1_25lookback_scan_determinismE0ELb0ES3_N6thrust23THRUST_200600_302600_NS6detail15normal_iteratorINS9_10device_ptrIiEEEENSB_INSC_IdEEEESG_dNS9_4plusIvEENS9_8equal_toIvEEdEE10hipError_tPvRmT2_T3_T4_T5_mT6_T7_P12ihipStream_tbENKUlT_T0_E_clISt17integral_constantIbLb0EES10_IbLb1EEEEDaSW_SX_EUlSW_E_NS1_11comp_targetILNS1_3genE10ELNS1_11target_archE1201ELNS1_3gpuE5ELNS1_3repE0EEENS1_30default_config_static_selectorELNS0_4arch9wavefront6targetE1EEEvT1_: ; @_ZN7rocprim17ROCPRIM_400000_NS6detail17trampoline_kernelINS0_14default_configENS1_27scan_by_key_config_selectorIidEEZZNS1_16scan_by_key_implILNS1_25lookback_scan_determinismE0ELb0ES3_N6thrust23THRUST_200600_302600_NS6detail15normal_iteratorINS9_10device_ptrIiEEEENSB_INSC_IdEEEESG_dNS9_4plusIvEENS9_8equal_toIvEEdEE10hipError_tPvRmT2_T3_T4_T5_mT6_T7_P12ihipStream_tbENKUlT_T0_E_clISt17integral_constantIbLb0EES10_IbLb1EEEEDaSW_SX_EUlSW_E_NS1_11comp_targetILNS1_3genE10ELNS1_11target_archE1201ELNS1_3gpuE5ELNS1_3repE0EEENS1_30default_config_static_selectorELNS0_4arch9wavefront6targetE1EEEvT1_
; %bb.0:
	.section	.rodata,"a",@progbits
	.p2align	6, 0x0
	.amdhsa_kernel _ZN7rocprim17ROCPRIM_400000_NS6detail17trampoline_kernelINS0_14default_configENS1_27scan_by_key_config_selectorIidEEZZNS1_16scan_by_key_implILNS1_25lookback_scan_determinismE0ELb0ES3_N6thrust23THRUST_200600_302600_NS6detail15normal_iteratorINS9_10device_ptrIiEEEENSB_INSC_IdEEEESG_dNS9_4plusIvEENS9_8equal_toIvEEdEE10hipError_tPvRmT2_T3_T4_T5_mT6_T7_P12ihipStream_tbENKUlT_T0_E_clISt17integral_constantIbLb0EES10_IbLb1EEEEDaSW_SX_EUlSW_E_NS1_11comp_targetILNS1_3genE10ELNS1_11target_archE1201ELNS1_3gpuE5ELNS1_3repE0EEENS1_30default_config_static_selectorELNS0_4arch9wavefront6targetE1EEEvT1_
		.amdhsa_group_segment_fixed_size 0
		.amdhsa_private_segment_fixed_size 0
		.amdhsa_kernarg_size 136
		.amdhsa_user_sgpr_count 6
		.amdhsa_user_sgpr_private_segment_buffer 1
		.amdhsa_user_sgpr_dispatch_ptr 0
		.amdhsa_user_sgpr_queue_ptr 0
		.amdhsa_user_sgpr_kernarg_segment_ptr 1
		.amdhsa_user_sgpr_dispatch_id 0
		.amdhsa_user_sgpr_flat_scratch_init 0
		.amdhsa_user_sgpr_kernarg_preload_length 0
		.amdhsa_user_sgpr_kernarg_preload_offset 0
		.amdhsa_user_sgpr_private_segment_size 0
		.amdhsa_uses_dynamic_stack 0
		.amdhsa_system_sgpr_private_segment_wavefront_offset 0
		.amdhsa_system_sgpr_workgroup_id_x 1
		.amdhsa_system_sgpr_workgroup_id_y 0
		.amdhsa_system_sgpr_workgroup_id_z 0
		.amdhsa_system_sgpr_workgroup_info 0
		.amdhsa_system_vgpr_workitem_id 0
		.amdhsa_next_free_vgpr 1
		.amdhsa_next_free_sgpr 0
		.amdhsa_accum_offset 4
		.amdhsa_reserve_vcc 0
		.amdhsa_reserve_flat_scratch 0
		.amdhsa_float_round_mode_32 0
		.amdhsa_float_round_mode_16_64 0
		.amdhsa_float_denorm_mode_32 3
		.amdhsa_float_denorm_mode_16_64 3
		.amdhsa_dx10_clamp 1
		.amdhsa_ieee_mode 1
		.amdhsa_fp16_overflow 0
		.amdhsa_tg_split 0
		.amdhsa_exception_fp_ieee_invalid_op 0
		.amdhsa_exception_fp_denorm_src 0
		.amdhsa_exception_fp_ieee_div_zero 0
		.amdhsa_exception_fp_ieee_overflow 0
		.amdhsa_exception_fp_ieee_underflow 0
		.amdhsa_exception_fp_ieee_inexact 0
		.amdhsa_exception_int_div_zero 0
	.end_amdhsa_kernel
	.section	.text._ZN7rocprim17ROCPRIM_400000_NS6detail17trampoline_kernelINS0_14default_configENS1_27scan_by_key_config_selectorIidEEZZNS1_16scan_by_key_implILNS1_25lookback_scan_determinismE0ELb0ES3_N6thrust23THRUST_200600_302600_NS6detail15normal_iteratorINS9_10device_ptrIiEEEENSB_INSC_IdEEEESG_dNS9_4plusIvEENS9_8equal_toIvEEdEE10hipError_tPvRmT2_T3_T4_T5_mT6_T7_P12ihipStream_tbENKUlT_T0_E_clISt17integral_constantIbLb0EES10_IbLb1EEEEDaSW_SX_EUlSW_E_NS1_11comp_targetILNS1_3genE10ELNS1_11target_archE1201ELNS1_3gpuE5ELNS1_3repE0EEENS1_30default_config_static_selectorELNS0_4arch9wavefront6targetE1EEEvT1_,"axG",@progbits,_ZN7rocprim17ROCPRIM_400000_NS6detail17trampoline_kernelINS0_14default_configENS1_27scan_by_key_config_selectorIidEEZZNS1_16scan_by_key_implILNS1_25lookback_scan_determinismE0ELb0ES3_N6thrust23THRUST_200600_302600_NS6detail15normal_iteratorINS9_10device_ptrIiEEEENSB_INSC_IdEEEESG_dNS9_4plusIvEENS9_8equal_toIvEEdEE10hipError_tPvRmT2_T3_T4_T5_mT6_T7_P12ihipStream_tbENKUlT_T0_E_clISt17integral_constantIbLb0EES10_IbLb1EEEEDaSW_SX_EUlSW_E_NS1_11comp_targetILNS1_3genE10ELNS1_11target_archE1201ELNS1_3gpuE5ELNS1_3repE0EEENS1_30default_config_static_selectorELNS0_4arch9wavefront6targetE1EEEvT1_,comdat
.Lfunc_end1119:
	.size	_ZN7rocprim17ROCPRIM_400000_NS6detail17trampoline_kernelINS0_14default_configENS1_27scan_by_key_config_selectorIidEEZZNS1_16scan_by_key_implILNS1_25lookback_scan_determinismE0ELb0ES3_N6thrust23THRUST_200600_302600_NS6detail15normal_iteratorINS9_10device_ptrIiEEEENSB_INSC_IdEEEESG_dNS9_4plusIvEENS9_8equal_toIvEEdEE10hipError_tPvRmT2_T3_T4_T5_mT6_T7_P12ihipStream_tbENKUlT_T0_E_clISt17integral_constantIbLb0EES10_IbLb1EEEEDaSW_SX_EUlSW_E_NS1_11comp_targetILNS1_3genE10ELNS1_11target_archE1201ELNS1_3gpuE5ELNS1_3repE0EEENS1_30default_config_static_selectorELNS0_4arch9wavefront6targetE1EEEvT1_, .Lfunc_end1119-_ZN7rocprim17ROCPRIM_400000_NS6detail17trampoline_kernelINS0_14default_configENS1_27scan_by_key_config_selectorIidEEZZNS1_16scan_by_key_implILNS1_25lookback_scan_determinismE0ELb0ES3_N6thrust23THRUST_200600_302600_NS6detail15normal_iteratorINS9_10device_ptrIiEEEENSB_INSC_IdEEEESG_dNS9_4plusIvEENS9_8equal_toIvEEdEE10hipError_tPvRmT2_T3_T4_T5_mT6_T7_P12ihipStream_tbENKUlT_T0_E_clISt17integral_constantIbLb0EES10_IbLb1EEEEDaSW_SX_EUlSW_E_NS1_11comp_targetILNS1_3genE10ELNS1_11target_archE1201ELNS1_3gpuE5ELNS1_3repE0EEENS1_30default_config_static_selectorELNS0_4arch9wavefront6targetE1EEEvT1_
                                        ; -- End function
	.section	.AMDGPU.csdata,"",@progbits
; Kernel info:
; codeLenInByte = 0
; NumSgprs: 4
; NumVgprs: 0
; NumAgprs: 0
; TotalNumVgprs: 0
; ScratchSize: 0
; MemoryBound: 0
; FloatMode: 240
; IeeeMode: 1
; LDSByteSize: 0 bytes/workgroup (compile time only)
; SGPRBlocks: 0
; VGPRBlocks: 0
; NumSGPRsForWavesPerEU: 4
; NumVGPRsForWavesPerEU: 1
; AccumOffset: 4
; Occupancy: 8
; WaveLimiterHint : 0
; COMPUTE_PGM_RSRC2:SCRATCH_EN: 0
; COMPUTE_PGM_RSRC2:USER_SGPR: 6
; COMPUTE_PGM_RSRC2:TRAP_HANDLER: 0
; COMPUTE_PGM_RSRC2:TGID_X_EN: 1
; COMPUTE_PGM_RSRC2:TGID_Y_EN: 0
; COMPUTE_PGM_RSRC2:TGID_Z_EN: 0
; COMPUTE_PGM_RSRC2:TIDIG_COMP_CNT: 0
; COMPUTE_PGM_RSRC3_GFX90A:ACCUM_OFFSET: 0
; COMPUTE_PGM_RSRC3_GFX90A:TG_SPLIT: 0
	.section	.text._ZN7rocprim17ROCPRIM_400000_NS6detail17trampoline_kernelINS0_14default_configENS1_27scan_by_key_config_selectorIidEEZZNS1_16scan_by_key_implILNS1_25lookback_scan_determinismE0ELb0ES3_N6thrust23THRUST_200600_302600_NS6detail15normal_iteratorINS9_10device_ptrIiEEEENSB_INSC_IdEEEESG_dNS9_4plusIvEENS9_8equal_toIvEEdEE10hipError_tPvRmT2_T3_T4_T5_mT6_T7_P12ihipStream_tbENKUlT_T0_E_clISt17integral_constantIbLb0EES10_IbLb1EEEEDaSW_SX_EUlSW_E_NS1_11comp_targetILNS1_3genE5ELNS1_11target_archE942ELNS1_3gpuE9ELNS1_3repE0EEENS1_30default_config_static_selectorELNS0_4arch9wavefront6targetE1EEEvT1_,"axG",@progbits,_ZN7rocprim17ROCPRIM_400000_NS6detail17trampoline_kernelINS0_14default_configENS1_27scan_by_key_config_selectorIidEEZZNS1_16scan_by_key_implILNS1_25lookback_scan_determinismE0ELb0ES3_N6thrust23THRUST_200600_302600_NS6detail15normal_iteratorINS9_10device_ptrIiEEEENSB_INSC_IdEEEESG_dNS9_4plusIvEENS9_8equal_toIvEEdEE10hipError_tPvRmT2_T3_T4_T5_mT6_T7_P12ihipStream_tbENKUlT_T0_E_clISt17integral_constantIbLb0EES10_IbLb1EEEEDaSW_SX_EUlSW_E_NS1_11comp_targetILNS1_3genE5ELNS1_11target_archE942ELNS1_3gpuE9ELNS1_3repE0EEENS1_30default_config_static_selectorELNS0_4arch9wavefront6targetE1EEEvT1_,comdat
	.protected	_ZN7rocprim17ROCPRIM_400000_NS6detail17trampoline_kernelINS0_14default_configENS1_27scan_by_key_config_selectorIidEEZZNS1_16scan_by_key_implILNS1_25lookback_scan_determinismE0ELb0ES3_N6thrust23THRUST_200600_302600_NS6detail15normal_iteratorINS9_10device_ptrIiEEEENSB_INSC_IdEEEESG_dNS9_4plusIvEENS9_8equal_toIvEEdEE10hipError_tPvRmT2_T3_T4_T5_mT6_T7_P12ihipStream_tbENKUlT_T0_E_clISt17integral_constantIbLb0EES10_IbLb1EEEEDaSW_SX_EUlSW_E_NS1_11comp_targetILNS1_3genE5ELNS1_11target_archE942ELNS1_3gpuE9ELNS1_3repE0EEENS1_30default_config_static_selectorELNS0_4arch9wavefront6targetE1EEEvT1_ ; -- Begin function _ZN7rocprim17ROCPRIM_400000_NS6detail17trampoline_kernelINS0_14default_configENS1_27scan_by_key_config_selectorIidEEZZNS1_16scan_by_key_implILNS1_25lookback_scan_determinismE0ELb0ES3_N6thrust23THRUST_200600_302600_NS6detail15normal_iteratorINS9_10device_ptrIiEEEENSB_INSC_IdEEEESG_dNS9_4plusIvEENS9_8equal_toIvEEdEE10hipError_tPvRmT2_T3_T4_T5_mT6_T7_P12ihipStream_tbENKUlT_T0_E_clISt17integral_constantIbLb0EES10_IbLb1EEEEDaSW_SX_EUlSW_E_NS1_11comp_targetILNS1_3genE5ELNS1_11target_archE942ELNS1_3gpuE9ELNS1_3repE0EEENS1_30default_config_static_selectorELNS0_4arch9wavefront6targetE1EEEvT1_
	.globl	_ZN7rocprim17ROCPRIM_400000_NS6detail17trampoline_kernelINS0_14default_configENS1_27scan_by_key_config_selectorIidEEZZNS1_16scan_by_key_implILNS1_25lookback_scan_determinismE0ELb0ES3_N6thrust23THRUST_200600_302600_NS6detail15normal_iteratorINS9_10device_ptrIiEEEENSB_INSC_IdEEEESG_dNS9_4plusIvEENS9_8equal_toIvEEdEE10hipError_tPvRmT2_T3_T4_T5_mT6_T7_P12ihipStream_tbENKUlT_T0_E_clISt17integral_constantIbLb0EES10_IbLb1EEEEDaSW_SX_EUlSW_E_NS1_11comp_targetILNS1_3genE5ELNS1_11target_archE942ELNS1_3gpuE9ELNS1_3repE0EEENS1_30default_config_static_selectorELNS0_4arch9wavefront6targetE1EEEvT1_
	.p2align	8
	.type	_ZN7rocprim17ROCPRIM_400000_NS6detail17trampoline_kernelINS0_14default_configENS1_27scan_by_key_config_selectorIidEEZZNS1_16scan_by_key_implILNS1_25lookback_scan_determinismE0ELb0ES3_N6thrust23THRUST_200600_302600_NS6detail15normal_iteratorINS9_10device_ptrIiEEEENSB_INSC_IdEEEESG_dNS9_4plusIvEENS9_8equal_toIvEEdEE10hipError_tPvRmT2_T3_T4_T5_mT6_T7_P12ihipStream_tbENKUlT_T0_E_clISt17integral_constantIbLb0EES10_IbLb1EEEEDaSW_SX_EUlSW_E_NS1_11comp_targetILNS1_3genE5ELNS1_11target_archE942ELNS1_3gpuE9ELNS1_3repE0EEENS1_30default_config_static_selectorELNS0_4arch9wavefront6targetE1EEEvT1_,@function
_ZN7rocprim17ROCPRIM_400000_NS6detail17trampoline_kernelINS0_14default_configENS1_27scan_by_key_config_selectorIidEEZZNS1_16scan_by_key_implILNS1_25lookback_scan_determinismE0ELb0ES3_N6thrust23THRUST_200600_302600_NS6detail15normal_iteratorINS9_10device_ptrIiEEEENSB_INSC_IdEEEESG_dNS9_4plusIvEENS9_8equal_toIvEEdEE10hipError_tPvRmT2_T3_T4_T5_mT6_T7_P12ihipStream_tbENKUlT_T0_E_clISt17integral_constantIbLb0EES10_IbLb1EEEEDaSW_SX_EUlSW_E_NS1_11comp_targetILNS1_3genE5ELNS1_11target_archE942ELNS1_3gpuE9ELNS1_3repE0EEENS1_30default_config_static_selectorELNS0_4arch9wavefront6targetE1EEEvT1_: ; @_ZN7rocprim17ROCPRIM_400000_NS6detail17trampoline_kernelINS0_14default_configENS1_27scan_by_key_config_selectorIidEEZZNS1_16scan_by_key_implILNS1_25lookback_scan_determinismE0ELb0ES3_N6thrust23THRUST_200600_302600_NS6detail15normal_iteratorINS9_10device_ptrIiEEEENSB_INSC_IdEEEESG_dNS9_4plusIvEENS9_8equal_toIvEEdEE10hipError_tPvRmT2_T3_T4_T5_mT6_T7_P12ihipStream_tbENKUlT_T0_E_clISt17integral_constantIbLb0EES10_IbLb1EEEEDaSW_SX_EUlSW_E_NS1_11comp_targetILNS1_3genE5ELNS1_11target_archE942ELNS1_3gpuE9ELNS1_3repE0EEENS1_30default_config_static_selectorELNS0_4arch9wavefront6targetE1EEEvT1_
; %bb.0:
	.section	.rodata,"a",@progbits
	.p2align	6, 0x0
	.amdhsa_kernel _ZN7rocprim17ROCPRIM_400000_NS6detail17trampoline_kernelINS0_14default_configENS1_27scan_by_key_config_selectorIidEEZZNS1_16scan_by_key_implILNS1_25lookback_scan_determinismE0ELb0ES3_N6thrust23THRUST_200600_302600_NS6detail15normal_iteratorINS9_10device_ptrIiEEEENSB_INSC_IdEEEESG_dNS9_4plusIvEENS9_8equal_toIvEEdEE10hipError_tPvRmT2_T3_T4_T5_mT6_T7_P12ihipStream_tbENKUlT_T0_E_clISt17integral_constantIbLb0EES10_IbLb1EEEEDaSW_SX_EUlSW_E_NS1_11comp_targetILNS1_3genE5ELNS1_11target_archE942ELNS1_3gpuE9ELNS1_3repE0EEENS1_30default_config_static_selectorELNS0_4arch9wavefront6targetE1EEEvT1_
		.amdhsa_group_segment_fixed_size 0
		.amdhsa_private_segment_fixed_size 0
		.amdhsa_kernarg_size 136
		.amdhsa_user_sgpr_count 6
		.amdhsa_user_sgpr_private_segment_buffer 1
		.amdhsa_user_sgpr_dispatch_ptr 0
		.amdhsa_user_sgpr_queue_ptr 0
		.amdhsa_user_sgpr_kernarg_segment_ptr 1
		.amdhsa_user_sgpr_dispatch_id 0
		.amdhsa_user_sgpr_flat_scratch_init 0
		.amdhsa_user_sgpr_kernarg_preload_length 0
		.amdhsa_user_sgpr_kernarg_preload_offset 0
		.amdhsa_user_sgpr_private_segment_size 0
		.amdhsa_uses_dynamic_stack 0
		.amdhsa_system_sgpr_private_segment_wavefront_offset 0
		.amdhsa_system_sgpr_workgroup_id_x 1
		.amdhsa_system_sgpr_workgroup_id_y 0
		.amdhsa_system_sgpr_workgroup_id_z 0
		.amdhsa_system_sgpr_workgroup_info 0
		.amdhsa_system_vgpr_workitem_id 0
		.amdhsa_next_free_vgpr 1
		.amdhsa_next_free_sgpr 0
		.amdhsa_accum_offset 4
		.amdhsa_reserve_vcc 0
		.amdhsa_reserve_flat_scratch 0
		.amdhsa_float_round_mode_32 0
		.amdhsa_float_round_mode_16_64 0
		.amdhsa_float_denorm_mode_32 3
		.amdhsa_float_denorm_mode_16_64 3
		.amdhsa_dx10_clamp 1
		.amdhsa_ieee_mode 1
		.amdhsa_fp16_overflow 0
		.amdhsa_tg_split 0
		.amdhsa_exception_fp_ieee_invalid_op 0
		.amdhsa_exception_fp_denorm_src 0
		.amdhsa_exception_fp_ieee_div_zero 0
		.amdhsa_exception_fp_ieee_overflow 0
		.amdhsa_exception_fp_ieee_underflow 0
		.amdhsa_exception_fp_ieee_inexact 0
		.amdhsa_exception_int_div_zero 0
	.end_amdhsa_kernel
	.section	.text._ZN7rocprim17ROCPRIM_400000_NS6detail17trampoline_kernelINS0_14default_configENS1_27scan_by_key_config_selectorIidEEZZNS1_16scan_by_key_implILNS1_25lookback_scan_determinismE0ELb0ES3_N6thrust23THRUST_200600_302600_NS6detail15normal_iteratorINS9_10device_ptrIiEEEENSB_INSC_IdEEEESG_dNS9_4plusIvEENS9_8equal_toIvEEdEE10hipError_tPvRmT2_T3_T4_T5_mT6_T7_P12ihipStream_tbENKUlT_T0_E_clISt17integral_constantIbLb0EES10_IbLb1EEEEDaSW_SX_EUlSW_E_NS1_11comp_targetILNS1_3genE5ELNS1_11target_archE942ELNS1_3gpuE9ELNS1_3repE0EEENS1_30default_config_static_selectorELNS0_4arch9wavefront6targetE1EEEvT1_,"axG",@progbits,_ZN7rocprim17ROCPRIM_400000_NS6detail17trampoline_kernelINS0_14default_configENS1_27scan_by_key_config_selectorIidEEZZNS1_16scan_by_key_implILNS1_25lookback_scan_determinismE0ELb0ES3_N6thrust23THRUST_200600_302600_NS6detail15normal_iteratorINS9_10device_ptrIiEEEENSB_INSC_IdEEEESG_dNS9_4plusIvEENS9_8equal_toIvEEdEE10hipError_tPvRmT2_T3_T4_T5_mT6_T7_P12ihipStream_tbENKUlT_T0_E_clISt17integral_constantIbLb0EES10_IbLb1EEEEDaSW_SX_EUlSW_E_NS1_11comp_targetILNS1_3genE5ELNS1_11target_archE942ELNS1_3gpuE9ELNS1_3repE0EEENS1_30default_config_static_selectorELNS0_4arch9wavefront6targetE1EEEvT1_,comdat
.Lfunc_end1120:
	.size	_ZN7rocprim17ROCPRIM_400000_NS6detail17trampoline_kernelINS0_14default_configENS1_27scan_by_key_config_selectorIidEEZZNS1_16scan_by_key_implILNS1_25lookback_scan_determinismE0ELb0ES3_N6thrust23THRUST_200600_302600_NS6detail15normal_iteratorINS9_10device_ptrIiEEEENSB_INSC_IdEEEESG_dNS9_4plusIvEENS9_8equal_toIvEEdEE10hipError_tPvRmT2_T3_T4_T5_mT6_T7_P12ihipStream_tbENKUlT_T0_E_clISt17integral_constantIbLb0EES10_IbLb1EEEEDaSW_SX_EUlSW_E_NS1_11comp_targetILNS1_3genE5ELNS1_11target_archE942ELNS1_3gpuE9ELNS1_3repE0EEENS1_30default_config_static_selectorELNS0_4arch9wavefront6targetE1EEEvT1_, .Lfunc_end1120-_ZN7rocprim17ROCPRIM_400000_NS6detail17trampoline_kernelINS0_14default_configENS1_27scan_by_key_config_selectorIidEEZZNS1_16scan_by_key_implILNS1_25lookback_scan_determinismE0ELb0ES3_N6thrust23THRUST_200600_302600_NS6detail15normal_iteratorINS9_10device_ptrIiEEEENSB_INSC_IdEEEESG_dNS9_4plusIvEENS9_8equal_toIvEEdEE10hipError_tPvRmT2_T3_T4_T5_mT6_T7_P12ihipStream_tbENKUlT_T0_E_clISt17integral_constantIbLb0EES10_IbLb1EEEEDaSW_SX_EUlSW_E_NS1_11comp_targetILNS1_3genE5ELNS1_11target_archE942ELNS1_3gpuE9ELNS1_3repE0EEENS1_30default_config_static_selectorELNS0_4arch9wavefront6targetE1EEEvT1_
                                        ; -- End function
	.section	.AMDGPU.csdata,"",@progbits
; Kernel info:
; codeLenInByte = 0
; NumSgprs: 4
; NumVgprs: 0
; NumAgprs: 0
; TotalNumVgprs: 0
; ScratchSize: 0
; MemoryBound: 0
; FloatMode: 240
; IeeeMode: 1
; LDSByteSize: 0 bytes/workgroup (compile time only)
; SGPRBlocks: 0
; VGPRBlocks: 0
; NumSGPRsForWavesPerEU: 4
; NumVGPRsForWavesPerEU: 1
; AccumOffset: 4
; Occupancy: 8
; WaveLimiterHint : 0
; COMPUTE_PGM_RSRC2:SCRATCH_EN: 0
; COMPUTE_PGM_RSRC2:USER_SGPR: 6
; COMPUTE_PGM_RSRC2:TRAP_HANDLER: 0
; COMPUTE_PGM_RSRC2:TGID_X_EN: 1
; COMPUTE_PGM_RSRC2:TGID_Y_EN: 0
; COMPUTE_PGM_RSRC2:TGID_Z_EN: 0
; COMPUTE_PGM_RSRC2:TIDIG_COMP_CNT: 0
; COMPUTE_PGM_RSRC3_GFX90A:ACCUM_OFFSET: 0
; COMPUTE_PGM_RSRC3_GFX90A:TG_SPLIT: 0
	.section	.text._ZN7rocprim17ROCPRIM_400000_NS6detail17trampoline_kernelINS0_14default_configENS1_27scan_by_key_config_selectorIidEEZZNS1_16scan_by_key_implILNS1_25lookback_scan_determinismE0ELb0ES3_N6thrust23THRUST_200600_302600_NS6detail15normal_iteratorINS9_10device_ptrIiEEEENSB_INSC_IdEEEESG_dNS9_4plusIvEENS9_8equal_toIvEEdEE10hipError_tPvRmT2_T3_T4_T5_mT6_T7_P12ihipStream_tbENKUlT_T0_E_clISt17integral_constantIbLb0EES10_IbLb1EEEEDaSW_SX_EUlSW_E_NS1_11comp_targetILNS1_3genE4ELNS1_11target_archE910ELNS1_3gpuE8ELNS1_3repE0EEENS1_30default_config_static_selectorELNS0_4arch9wavefront6targetE1EEEvT1_,"axG",@progbits,_ZN7rocprim17ROCPRIM_400000_NS6detail17trampoline_kernelINS0_14default_configENS1_27scan_by_key_config_selectorIidEEZZNS1_16scan_by_key_implILNS1_25lookback_scan_determinismE0ELb0ES3_N6thrust23THRUST_200600_302600_NS6detail15normal_iteratorINS9_10device_ptrIiEEEENSB_INSC_IdEEEESG_dNS9_4plusIvEENS9_8equal_toIvEEdEE10hipError_tPvRmT2_T3_T4_T5_mT6_T7_P12ihipStream_tbENKUlT_T0_E_clISt17integral_constantIbLb0EES10_IbLb1EEEEDaSW_SX_EUlSW_E_NS1_11comp_targetILNS1_3genE4ELNS1_11target_archE910ELNS1_3gpuE8ELNS1_3repE0EEENS1_30default_config_static_selectorELNS0_4arch9wavefront6targetE1EEEvT1_,comdat
	.protected	_ZN7rocprim17ROCPRIM_400000_NS6detail17trampoline_kernelINS0_14default_configENS1_27scan_by_key_config_selectorIidEEZZNS1_16scan_by_key_implILNS1_25lookback_scan_determinismE0ELb0ES3_N6thrust23THRUST_200600_302600_NS6detail15normal_iteratorINS9_10device_ptrIiEEEENSB_INSC_IdEEEESG_dNS9_4plusIvEENS9_8equal_toIvEEdEE10hipError_tPvRmT2_T3_T4_T5_mT6_T7_P12ihipStream_tbENKUlT_T0_E_clISt17integral_constantIbLb0EES10_IbLb1EEEEDaSW_SX_EUlSW_E_NS1_11comp_targetILNS1_3genE4ELNS1_11target_archE910ELNS1_3gpuE8ELNS1_3repE0EEENS1_30default_config_static_selectorELNS0_4arch9wavefront6targetE1EEEvT1_ ; -- Begin function _ZN7rocprim17ROCPRIM_400000_NS6detail17trampoline_kernelINS0_14default_configENS1_27scan_by_key_config_selectorIidEEZZNS1_16scan_by_key_implILNS1_25lookback_scan_determinismE0ELb0ES3_N6thrust23THRUST_200600_302600_NS6detail15normal_iteratorINS9_10device_ptrIiEEEENSB_INSC_IdEEEESG_dNS9_4plusIvEENS9_8equal_toIvEEdEE10hipError_tPvRmT2_T3_T4_T5_mT6_T7_P12ihipStream_tbENKUlT_T0_E_clISt17integral_constantIbLb0EES10_IbLb1EEEEDaSW_SX_EUlSW_E_NS1_11comp_targetILNS1_3genE4ELNS1_11target_archE910ELNS1_3gpuE8ELNS1_3repE0EEENS1_30default_config_static_selectorELNS0_4arch9wavefront6targetE1EEEvT1_
	.globl	_ZN7rocprim17ROCPRIM_400000_NS6detail17trampoline_kernelINS0_14default_configENS1_27scan_by_key_config_selectorIidEEZZNS1_16scan_by_key_implILNS1_25lookback_scan_determinismE0ELb0ES3_N6thrust23THRUST_200600_302600_NS6detail15normal_iteratorINS9_10device_ptrIiEEEENSB_INSC_IdEEEESG_dNS9_4plusIvEENS9_8equal_toIvEEdEE10hipError_tPvRmT2_T3_T4_T5_mT6_T7_P12ihipStream_tbENKUlT_T0_E_clISt17integral_constantIbLb0EES10_IbLb1EEEEDaSW_SX_EUlSW_E_NS1_11comp_targetILNS1_3genE4ELNS1_11target_archE910ELNS1_3gpuE8ELNS1_3repE0EEENS1_30default_config_static_selectorELNS0_4arch9wavefront6targetE1EEEvT1_
	.p2align	8
	.type	_ZN7rocprim17ROCPRIM_400000_NS6detail17trampoline_kernelINS0_14default_configENS1_27scan_by_key_config_selectorIidEEZZNS1_16scan_by_key_implILNS1_25lookback_scan_determinismE0ELb0ES3_N6thrust23THRUST_200600_302600_NS6detail15normal_iteratorINS9_10device_ptrIiEEEENSB_INSC_IdEEEESG_dNS9_4plusIvEENS9_8equal_toIvEEdEE10hipError_tPvRmT2_T3_T4_T5_mT6_T7_P12ihipStream_tbENKUlT_T0_E_clISt17integral_constantIbLb0EES10_IbLb1EEEEDaSW_SX_EUlSW_E_NS1_11comp_targetILNS1_3genE4ELNS1_11target_archE910ELNS1_3gpuE8ELNS1_3repE0EEENS1_30default_config_static_selectorELNS0_4arch9wavefront6targetE1EEEvT1_,@function
_ZN7rocprim17ROCPRIM_400000_NS6detail17trampoline_kernelINS0_14default_configENS1_27scan_by_key_config_selectorIidEEZZNS1_16scan_by_key_implILNS1_25lookback_scan_determinismE0ELb0ES3_N6thrust23THRUST_200600_302600_NS6detail15normal_iteratorINS9_10device_ptrIiEEEENSB_INSC_IdEEEESG_dNS9_4plusIvEENS9_8equal_toIvEEdEE10hipError_tPvRmT2_T3_T4_T5_mT6_T7_P12ihipStream_tbENKUlT_T0_E_clISt17integral_constantIbLb0EES10_IbLb1EEEEDaSW_SX_EUlSW_E_NS1_11comp_targetILNS1_3genE4ELNS1_11target_archE910ELNS1_3gpuE8ELNS1_3repE0EEENS1_30default_config_static_selectorELNS0_4arch9wavefront6targetE1EEEvT1_: ; @_ZN7rocprim17ROCPRIM_400000_NS6detail17trampoline_kernelINS0_14default_configENS1_27scan_by_key_config_selectorIidEEZZNS1_16scan_by_key_implILNS1_25lookback_scan_determinismE0ELb0ES3_N6thrust23THRUST_200600_302600_NS6detail15normal_iteratorINS9_10device_ptrIiEEEENSB_INSC_IdEEEESG_dNS9_4plusIvEENS9_8equal_toIvEEdEE10hipError_tPvRmT2_T3_T4_T5_mT6_T7_P12ihipStream_tbENKUlT_T0_E_clISt17integral_constantIbLb0EES10_IbLb1EEEEDaSW_SX_EUlSW_E_NS1_11comp_targetILNS1_3genE4ELNS1_11target_archE910ELNS1_3gpuE8ELNS1_3repE0EEENS1_30default_config_static_selectorELNS0_4arch9wavefront6targetE1EEEvT1_
; %bb.0:
	s_load_dwordx8 s[72:79], s[4:5], 0x30
	s_load_dwordx2 s[14:15], s[4:5], 0x50
	v_cmp_ne_u32_e64 s[80:81], 0, v0
	v_cmp_eq_u32_e64 s[0:1], 0, v0
	s_and_saveexec_b64 s[2:3], s[0:1]
	s_cbranch_execz .LBB1121_4
; %bb.1:
	s_mov_b64 s[8:9], exec
	v_mbcnt_lo_u32_b32 v1, s8, 0
	v_mbcnt_hi_u32_b32 v1, s9, v1
	v_cmp_eq_u32_e32 vcc, 0, v1
                                        ; implicit-def: $vgpr2
	s_and_saveexec_b64 s[6:7], vcc
	s_cbranch_execz .LBB1121_3
; %bb.2:
	s_load_dwordx2 s[10:11], s[4:5], 0x80
	s_bcnt1_i32_b64 s8, s[8:9]
	v_mov_b32_e32 v2, 0
	v_mov_b32_e32 v3, s8
	s_waitcnt lgkmcnt(0)
	global_atomic_add v2, v2, v3, s[10:11] glc
.LBB1121_3:
	s_or_b64 exec, exec, s[6:7]
	s_waitcnt vmcnt(0)
	v_readfirstlane_b32 s6, v2
	v_add_u32_e32 v1, s6, v1
	v_mov_b32_e32 v2, 0
	ds_write_b32 v2, v1
.LBB1121_4:
	s_or_b64 exec, exec, s[2:3]
	s_load_dwordx8 s[60:67], s[4:5], 0x0
	s_load_dword s2, s[4:5], 0x58
	s_load_dwordx8 s[84:91], s[4:5], 0x60
	v_mov_b32_e32 v1, 0
	s_waitcnt lgkmcnt(0)
	; wave barrier
	s_waitcnt lgkmcnt(0)
	ds_read_b32 v1, v1
	s_lshl_b64 s[4:5], s[62:63], 2
	s_add_u32 s8, s60, s4
	s_addc_u32 s9, s61, s5
	s_lshl_b64 s[60:61], s[62:63], 3
	s_add_u32 s10, s64, s60
	s_mul_i32 s3, s15, s2
	s_mul_hi_u32 s4, s14, s2
	s_addc_u32 s11, s65, s61
	s_add_i32 s12, s4, s3
                                        ; implicit-def: $vgpr135 : SGPR spill to VGPR lane
	s_waitcnt lgkmcnt(0)
	v_readfirstlane_b32 s33, v1
	v_writelane_b32 v135, s14, 0
	s_mul_i32 s13, s14, s2
	s_cmp_lg_u64 s[88:89], 0
	s_mov_b32 s3, 0
	s_mul_i32 s2, s33, 0x540
	s_cselect_b64 s[52:53], -1, 0
	s_lshl_b64 s[4:5], s[2:3], 2
	s_add_u32 s50, s8, s4
	s_addc_u32 s51, s9, s5
	s_lshl_b64 s[68:69], s[2:3], 3
	s_add_u32 s62, s10, s68
	s_addc_u32 s63, s11, s69
	s_add_u32 s54, s13, s33
	s_addc_u32 s55, s12, 0
	s_add_u32 s4, s84, -1
	s_addc_u32 s5, s85, -1
	v_pk_mov_b32 v[2:3], s[4:5], s[4:5] op_sel:[0,1]
	v_cmp_ge_u64_e64 s[58:59], s[54:55], v[2:3]
	s_mov_b64 s[6:7], 0
	s_mov_b64 s[10:11], -1
	s_and_b64 vcc, exec, s[58:59]
	s_mul_i32 s2, s4, 0xfffffac0
	v_writelane_b32 v135, s15, 1
	s_waitcnt lgkmcnt(0)
	; wave barrier
	s_waitcnt lgkmcnt(0)
	s_waitcnt lgkmcnt(0)
	; wave barrier
	s_cbranch_vccz .LBB1121_116
; %bb.5:
	v_pk_mov_b32 v[2:3], s[50:51], s[50:51] op_sel:[0,1]
	flat_load_dword v2, v[2:3]
	s_add_i32 s65, s2, s78
	v_cmp_gt_u32_e64 s[6:7], s65, v0
	s_waitcnt vmcnt(0) lgkmcnt(0)
	v_mov_b32_e32 v3, v2
	s_and_saveexec_b64 s[4:5], s[6:7]
	s_cbranch_execz .LBB1121_7
; %bb.6:
	v_lshlrev_b32_e32 v1, 2, v0
	v_mov_b32_e32 v3, s51
	v_add_co_u32_e32 v4, vcc, s50, v1
	v_addc_co_u32_e32 v5, vcc, 0, v3, vcc
	flat_load_dword v3, v[4:5]
.LBB1121_7:
	s_or_b64 exec, exec, s[4:5]
	v_or_b32_e32 v1, 64, v0
	v_cmp_gt_u32_e64 s[8:9], s65, v1
	v_mov_b32_e32 v4, v2
	s_and_saveexec_b64 s[4:5], s[8:9]
	s_cbranch_execz .LBB1121_9
; %bb.8:
	v_lshlrev_b32_e32 v1, 2, v0
	v_mov_b32_e32 v5, s51
	v_add_co_u32_e32 v4, vcc, s50, v1
	v_addc_co_u32_e32 v5, vcc, 0, v5, vcc
	flat_load_dword v4, v[4:5] offset:256
.LBB1121_9:
	s_or_b64 exec, exec, s[4:5]
	v_or_b32_e32 v1, 0x80, v0
	v_cmp_gt_u32_e64 s[10:11], s65, v1
	v_mov_b32_e32 v5, v2
	s_and_saveexec_b64 s[4:5], s[10:11]
	s_cbranch_execz .LBB1121_11
; %bb.10:
	v_lshlrev_b32_e32 v1, 2, v0
	v_mov_b32_e32 v5, s51
	v_add_co_u32_e32 v6, vcc, s50, v1
	v_addc_co_u32_e32 v7, vcc, 0, v5, vcc
	flat_load_dword v5, v[6:7] offset:512
.LBB1121_11:
	;; [unrolled: 13-line block ×15, first 2 shown]
	s_or_b64 exec, exec, s[4:5]
	v_or_b32_e32 v56, 0x400, v0
	v_cmp_gt_u32_e64 s[40:41], s65, v56
	v_mov_b32_e32 v19, v2
	s_and_saveexec_b64 s[4:5], s[40:41]
	s_cbranch_execz .LBB1121_39
; %bb.38:
	v_lshlrev_b32_e32 v19, 2, v56
	v_mov_b32_e32 v21, s51
	v_add_co_u32_e32 v20, vcc, s50, v19
	v_addc_co_u32_e32 v21, vcc, 0, v21, vcc
	flat_load_dword v19, v[20:21]
.LBB1121_39:
	s_or_b64 exec, exec, s[4:5]
	v_or_b32_e32 v58, 0x440, v0
	v_cmp_gt_u32_e64 s[42:43], s65, v58
	v_mov_b32_e32 v20, v2
	s_and_saveexec_b64 s[4:5], s[42:43]
	s_cbranch_execz .LBB1121_41
; %bb.40:
	v_lshlrev_b32_e32 v20, 2, v58
	v_mov_b32_e32 v21, s51
	v_add_co_u32_e32 v20, vcc, s50, v20
	v_addc_co_u32_e32 v21, vcc, 0, v21, vcc
	flat_load_dword v20, v[20:21]
.LBB1121_41:
	;; [unrolled: 13-line block ×4, first 2 shown]
	s_or_b64 exec, exec, s[4:5]
	v_or_b32_e32 v65, 0x500, v0
	v_cmp_gt_u32_e64 s[48:49], s65, v65
	s_and_saveexec_b64 s[4:5], s[48:49]
	s_cbranch_execz .LBB1121_47
; %bb.46:
	v_lshlrev_b32_e32 v2, 2, v65
	v_mov_b32_e32 v23, s51
	v_add_co_u32_e32 v24, vcc, s50, v2
	v_addc_co_u32_e32 v25, vcc, 0, v23, vcc
	flat_load_dword v2, v[24:25]
.LBB1121_47:
	s_or_b64 exec, exec, s[4:5]
	v_lshlrev_b32_e32 v23, 2, v0
	s_movk_i32 s4, 0x50
	s_waitcnt vmcnt(0) lgkmcnt(0)
	ds_write2st64_b32 v23, v3, v4 offset1:1
	ds_write2st64_b32 v23, v5, v6 offset0:2 offset1:3
	ds_write2st64_b32 v23, v7, v8 offset0:4 offset1:5
	ds_write2st64_b32 v23, v9, v10 offset0:6 offset1:7
	ds_write2st64_b32 v23, v11, v12 offset0:8 offset1:9
	ds_write2st64_b32 v23, v13, v14 offset0:10 offset1:11
	ds_write2st64_b32 v23, v15, v16 offset0:12 offset1:13
	ds_write2st64_b32 v23, v17, v18 offset0:14 offset1:15
	ds_write2st64_b32 v23, v19, v20 offset0:16 offset1:17
	ds_write2st64_b32 v23, v21, v22 offset0:18 offset1:19
	ds_write_b32 v23, v2 offset:5120
	v_mad_u32_u24 v2, v0, s4, v23
	s_waitcnt lgkmcnt(0)
	; wave barrier
	s_waitcnt lgkmcnt(0)
	ds_read2_b32 v[40:41], v2 offset0:7 offset1:8
	ds_read2_b32 v[44:45], v2 offset0:5 offset1:6
	ds_read2_b32 v[28:29], v2 offset0:2 offset1:3
	ds_read2_b32 v[36:37], v2 offset1:1
	ds_read2_b32 v[32:33], v2 offset0:4 offset1:9
	ds_read2_b32 v[8:9], v2 offset0:15 offset1:16
	ds_read_b32 v64, v2 offset:56
	ds_read2_b32 v[16:17], v2 offset0:12 offset1:13
	ds_read2_b32 v[24:25], v2 offset0:10 offset1:11
	ds_read2_b32 v[12:13], v2 offset0:17 offset1:18
	ds_read2_b32 v[4:5], v2 offset0:19 offset1:20
	s_cmp_eq_u64 s[54:55], 0
	s_mov_b64 s[4:5], s[50:51]
	s_cbranch_scc1 .LBB1121_51
; %bb.48:
	s_andn2_b64 vcc, exec, s[52:53]
	s_cbranch_vccnz .LBB1121_276
; %bb.49:
	s_lshl_b64 s[4:5], s[54:55], 2
	s_add_u32 s4, s90, s4
	s_addc_u32 s5, s91, s5
	s_add_u32 s4, s4, -4
	s_addc_u32 s5, s5, -1
	s_cbranch_execnz .LBB1121_51
.LBB1121_50:
	s_add_u32 s4, s50, -4
	s_addc_u32 s5, s51, -1
.LBB1121_51:
	v_pk_mov_b32 v[6:7], s[4:5], s[4:5] op_sel:[0,1]
	flat_load_dword v68, v[6:7]
	s_movk_i32 s4, 0xffb0
	v_mad_i32_i24 v66, v0, s4, v2
	s_waitcnt lgkmcnt(0)
	ds_write_b32 v66, v5 offset:5376
	s_waitcnt lgkmcnt(0)
	; wave barrier
	s_waitcnt lgkmcnt(0)
	s_and_saveexec_b64 s[4:5], s[80:81]
	s_cbranch_execz .LBB1121_53
; %bb.52:
	s_waitcnt vmcnt(0)
	ds_read_b32 v68, v66 offset:5372
.LBB1121_53:
	s_or_b64 exec, exec, s[4:5]
	s_waitcnt lgkmcnt(0)
	; wave barrier
	s_waitcnt lgkmcnt(0)
                                        ; implicit-def: $vgpr2_vgpr3
	s_and_saveexec_b64 s[4:5], s[6:7]
	s_cbranch_execnz .LBB1121_256
; %bb.54:
	s_or_b64 exec, exec, s[4:5]
                                        ; implicit-def: $vgpr6_vgpr7
	s_and_saveexec_b64 s[4:5], s[8:9]
	s_cbranch_execnz .LBB1121_257
.LBB1121_55:
	s_or_b64 exec, exec, s[4:5]
                                        ; implicit-def: $vgpr10_vgpr11
	s_and_saveexec_b64 s[4:5], s[10:11]
	s_cbranch_execnz .LBB1121_258
.LBB1121_56:
	s_or_b64 exec, exec, s[4:5]
                                        ; implicit-def: $vgpr14_vgpr15
	s_and_saveexec_b64 s[4:5], s[12:13]
	s_cbranch_execnz .LBB1121_259
.LBB1121_57:
	s_or_b64 exec, exec, s[4:5]
                                        ; implicit-def: $vgpr18_vgpr19
	s_and_saveexec_b64 s[4:5], s[14:15]
	s_cbranch_execnz .LBB1121_260
.LBB1121_58:
	s_or_b64 exec, exec, s[4:5]
                                        ; implicit-def: $vgpr20_vgpr21
	s_and_saveexec_b64 s[4:5], s[16:17]
	s_cbranch_execnz .LBB1121_261
.LBB1121_59:
	s_or_b64 exec, exec, s[4:5]
                                        ; implicit-def: $vgpr22_vgpr23
	s_and_saveexec_b64 s[4:5], s[18:19]
	s_cbranch_execnz .LBB1121_262
.LBB1121_60:
	s_or_b64 exec, exec, s[4:5]
                                        ; implicit-def: $vgpr26_vgpr27
	s_and_saveexec_b64 s[4:5], s[20:21]
	s_cbranch_execnz .LBB1121_263
.LBB1121_61:
	s_or_b64 exec, exec, s[4:5]
                                        ; implicit-def: $vgpr30_vgpr31
	s_and_saveexec_b64 s[4:5], s[22:23]
	s_cbranch_execnz .LBB1121_264
.LBB1121_62:
	s_or_b64 exec, exec, s[4:5]
                                        ; implicit-def: $vgpr34_vgpr35
	s_and_saveexec_b64 s[4:5], s[24:25]
	s_cbranch_execnz .LBB1121_265
.LBB1121_63:
	s_or_b64 exec, exec, s[4:5]
                                        ; implicit-def: $vgpr38_vgpr39
	s_and_saveexec_b64 s[4:5], s[26:27]
	s_cbranch_execnz .LBB1121_266
.LBB1121_64:
	s_or_b64 exec, exec, s[4:5]
                                        ; implicit-def: $vgpr42_vgpr43
	s_and_saveexec_b64 s[4:5], s[28:29]
	s_cbranch_execnz .LBB1121_267
.LBB1121_65:
	s_or_b64 exec, exec, s[4:5]
                                        ; implicit-def: $vgpr46_vgpr47
	s_and_saveexec_b64 s[4:5], s[30:31]
	s_cbranch_execnz .LBB1121_268
.LBB1121_66:
	s_or_b64 exec, exec, s[4:5]
                                        ; implicit-def: $vgpr48_vgpr49
	s_and_saveexec_b64 s[4:5], s[34:35]
	s_cbranch_execnz .LBB1121_269
.LBB1121_67:
	s_or_b64 exec, exec, s[4:5]
                                        ; implicit-def: $vgpr50_vgpr51
	s_and_saveexec_b64 s[4:5], s[36:37]
	s_cbranch_execnz .LBB1121_270
.LBB1121_68:
	s_or_b64 exec, exec, s[4:5]
                                        ; implicit-def: $vgpr52_vgpr53
	s_and_saveexec_b64 s[4:5], s[38:39]
	s_cbranch_execnz .LBB1121_271
.LBB1121_69:
	s_or_b64 exec, exec, s[4:5]
                                        ; implicit-def: $vgpr54_vgpr55
	s_and_saveexec_b64 s[4:5], s[40:41]
	s_cbranch_execnz .LBB1121_272
.LBB1121_70:
	s_or_b64 exec, exec, s[4:5]
                                        ; implicit-def: $vgpr56_vgpr57
	s_and_saveexec_b64 s[4:5], s[42:43]
	s_cbranch_execnz .LBB1121_273
.LBB1121_71:
	s_or_b64 exec, exec, s[4:5]
                                        ; implicit-def: $vgpr58_vgpr59
	s_and_saveexec_b64 s[4:5], s[44:45]
	s_cbranch_execnz .LBB1121_274
.LBB1121_72:
	s_or_b64 exec, exec, s[4:5]
                                        ; implicit-def: $vgpr60_vgpr61
	s_and_saveexec_b64 s[4:5], s[46:47]
	s_cbranch_execnz .LBB1121_275
.LBB1121_73:
	s_or_b64 exec, exec, s[4:5]
                                        ; implicit-def: $vgpr62_vgpr63
	s_and_saveexec_b64 s[4:5], s[48:49]
	s_cbranch_execz .LBB1121_75
.LBB1121_74:
	v_lshlrev_b32_e32 v1, 3, v65
	v_mov_b32_e32 v63, s63
	v_add_co_u32_e32 v62, vcc, s62, v1
	v_addc_co_u32_e32 v63, vcc, 0, v63, vcc
	flat_load_dwordx2 v[62:63], v[62:63]
.LBB1121_75:
	s_or_b64 exec, exec, s[4:5]
	v_lshl_add_u32 v69, v0, 2, v66
	v_mul_u32_u24_e32 v65, 21, v0
	s_waitcnt vmcnt(0) lgkmcnt(0)
	ds_write2st64_b64 v69, v[2:3], v[6:7] offset1:1
	ds_write2st64_b64 v69, v[10:11], v[14:15] offset0:2 offset1:3
	ds_write2st64_b64 v69, v[18:19], v[20:21] offset0:4 offset1:5
	;; [unrolled: 1-line block ×9, first 2 shown]
	ds_write_b64 v69, v[62:63] offset:10240
	v_pk_mov_b32 v[10:11], 0, 0
	v_cmp_gt_u32_e32 vcc, s65, v65
	s_mov_b64 s[6:7], 0
	s_mov_b64 s[10:11], 0
	s_mov_b32 s64, 0
	v_mov_b32_e32 v128, 0
	v_mov_b32_e32 v122, 0
	;; [unrolled: 1-line block ×5, first 2 shown]
	v_pk_mov_b32 v[70:71], v[10:11], v[10:11] op_sel:[0,1]
	v_pk_mov_b32 v[78:79], v[10:11], v[10:11] op_sel:[0,1]
	;; [unrolled: 1-line block ×8, first 2 shown]
	v_mov_b32_e32 v124, 0
	v_pk_mov_b32 v[38:39], v[10:11], v[10:11] op_sel:[0,1]
	v_pk_mov_b32 v[50:51], v[10:11], v[10:11] op_sel:[0,1]
	;; [unrolled: 1-line block ×5, first 2 shown]
	v_mov_b32_e32 v123, 0
	v_pk_mov_b32 v[34:35], v[10:11], v[10:11] op_sel:[0,1]
	v_pk_mov_b32 v[14:15], v[10:11], v[10:11] op_sel:[0,1]
	;; [unrolled: 1-line block ×5, first 2 shown]
	v_mov_b32_e32 v1, 0
	v_pk_mov_b32 v[2:3], v[10:11], v[10:11] op_sel:[0,1]
	s_waitcnt lgkmcnt(0)
	; wave barrier
	s_waitcnt lgkmcnt(0)
                                        ; implicit-def: $sgpr4_sgpr5
                                        ; implicit-def: $vgpr83
                                        ; implicit-def: $vgpr82
                                        ; implicit-def: $vgpr84
                                        ; implicit-def: $vgpr85
	s_and_saveexec_b64 s[12:13], vcc
	s_cbranch_execz .LBB1121_115
; %bb.76:
	s_movk_i32 s4, 0xa0
	v_mad_u32_u24 v2, v0, s4, v69
	ds_read_b64 v[2:3], v2
	v_cmp_ne_u32_e32 vcc, v68, v36
	v_add_u32_e32 v6, 1, v65
	v_pk_mov_b32 v[10:11], 0, 0
	v_cndmask_b32_e64 v1, 0, 1, vcc
	v_cmp_gt_u32_e32 vcc, s65, v6
	s_mov_b64 s[18:19], 0
	v_mov_b32_e32 v128, 0
	v_mov_b32_e32 v122, 0
	;; [unrolled: 1-line block ×5, first 2 shown]
	v_pk_mov_b32 v[70:71], v[10:11], v[10:11] op_sel:[0,1]
	v_pk_mov_b32 v[78:79], v[10:11], v[10:11] op_sel:[0,1]
	;; [unrolled: 1-line block ×8, first 2 shown]
	v_mov_b32_e32 v124, 0
	v_pk_mov_b32 v[38:39], v[10:11], v[10:11] op_sel:[0,1]
	v_pk_mov_b32 v[50:51], v[10:11], v[10:11] op_sel:[0,1]
	;; [unrolled: 1-line block ×5, first 2 shown]
	v_mov_b32_e32 v123, 0
	v_pk_mov_b32 v[34:35], v[10:11], v[10:11] op_sel:[0,1]
	v_pk_mov_b32 v[14:15], v[10:11], v[10:11] op_sel:[0,1]
	;; [unrolled: 1-line block ×5, first 2 shown]
                                        ; implicit-def: $sgpr4_sgpr5
                                        ; implicit-def: $vgpr83
                                        ; implicit-def: $vgpr82
                                        ; implicit-def: $vgpr84
                                        ; implicit-def: $vgpr85
	s_and_saveexec_b64 s[14:15], vcc
	s_cbranch_execz .LBB1121_114
; %bb.77:
	v_mul_u32_u24_e32 v6, 0xa0, v0
	v_add_u32_e32 v48, v69, v6
	ds_read2_b64 v[18:21], v48 offset0:1 offset1:2
	v_cmp_ne_u32_e64 s[4:5], v36, v37
	v_add_u32_e32 v6, 2, v65
	v_pk_mov_b32 v[10:11], 0, 0
	v_cmp_ne_u32_e32 vcc, v28, v29
	v_cmp_ne_u32_e64 s[6:7], v29, v32
	v_cmp_ne_u32_e64 s[8:9], v37, v28
	v_cndmask_b32_e64 v128, 0, 1, s[4:5]
	v_cmp_gt_u32_e64 s[4:5], s65, v6
	s_mov_b64 s[20:21], 0
	v_mov_b32_e32 v127, 0
	v_mov_b32_e32 v122, 0
	;; [unrolled: 1-line block ×4, first 2 shown]
	v_pk_mov_b32 v[70:71], v[10:11], v[10:11] op_sel:[0,1]
	v_pk_mov_b32 v[78:79], v[10:11], v[10:11] op_sel:[0,1]
	;; [unrolled: 1-line block ×8, first 2 shown]
	v_mov_b32_e32 v124, 0
	v_pk_mov_b32 v[38:39], v[10:11], v[10:11] op_sel:[0,1]
	v_pk_mov_b32 v[50:51], v[10:11], v[10:11] op_sel:[0,1]
	;; [unrolled: 1-line block ×5, first 2 shown]
	v_mov_b32_e32 v123, 0
	v_pk_mov_b32 v[34:35], v[10:11], v[10:11] op_sel:[0,1]
	v_pk_mov_b32 v[14:15], v[10:11], v[10:11] op_sel:[0,1]
	;; [unrolled: 1-line block ×4, first 2 shown]
                                        ; implicit-def: $sgpr22_sgpr23
                                        ; implicit-def: $vgpr83
                                        ; implicit-def: $vgpr82
                                        ; implicit-def: $vgpr84
                                        ; implicit-def: $vgpr85
	s_and_saveexec_b64 s[16:17], s[4:5]
	s_cbranch_execz .LBB1121_113
; %bb.78:
	v_cndmask_b32_e64 v6, 0, 1, s[8:9]
	v_cndmask_b32_e64 v7, 0, 1, s[6:7]
	v_lshlrev_b16_e32 v6, 8, v6
	v_lshlrev_b16_e32 v7, 8, v7
	v_cndmask_b32_e64 v10, 0, 1, vcc
	v_or_b32_e32 v6, v128, v6
	v_or_b32_sdwa v7, v10, v7 dst_sel:WORD_1 dst_unused:UNUSED_PAD src0_sel:DWORD src1_sel:DWORD
	v_add_u32_e32 v10, 3, v65
	v_or_b32_sdwa v83, v6, v7 dst_sel:DWORD dst_unused:UNUSED_PAD src0_sel:WORD_0 src1_sel:DWORD
	v_cmp_gt_u32_e32 vcc, s65, v10
	v_pk_mov_b32 v[10:11], 0, 0
	v_and_b32_e32 v128, 0xffff, v83
	s_waitcnt lgkmcnt(0)
	v_mov_b32_e32 v6, v20
	v_mov_b32_e32 v7, v21
	s_mov_b64 s[4:5], 0
	v_mov_b32_e32 v127, 0
	v_mov_b32_e32 v122, 0
	;; [unrolled: 1-line block ×4, first 2 shown]
	v_pk_mov_b32 v[70:71], v[10:11], v[10:11] op_sel:[0,1]
	v_pk_mov_b32 v[78:79], v[10:11], v[10:11] op_sel:[0,1]
	;; [unrolled: 1-line block ×8, first 2 shown]
	v_mov_b32_e32 v124, 0
	v_pk_mov_b32 v[38:39], v[10:11], v[10:11] op_sel:[0,1]
	v_pk_mov_b32 v[50:51], v[10:11], v[10:11] op_sel:[0,1]
	v_pk_mov_b32 v[30:31], v[10:11], v[10:11] op_sel:[0,1]
	v_pk_mov_b32 v[42:43], v[10:11], v[10:11] op_sel:[0,1]
	v_pk_mov_b32 v[22:23], v[10:11], v[10:11] op_sel:[0,1]
	v_mov_b32_e32 v123, 0
	v_pk_mov_b32 v[34:35], v[10:11], v[10:11] op_sel:[0,1]
	v_pk_mov_b32 v[14:15], v[10:11], v[10:11] op_sel:[0,1]
	;; [unrolled: 1-line block ×3, first 2 shown]
                                        ; implicit-def: $sgpr6_sgpr7
                                        ; implicit-def: $vgpr82
                                        ; implicit-def: $vgpr84
                                        ; implicit-def: $vgpr85
	s_and_saveexec_b64 s[18:19], vcc
	s_cbranch_execz .LBB1121_112
; %bb.79:
	ds_read2_b64 v[26:29], v48 offset0:3 offset1:4
	v_add_u32_e32 v10, 4, v65
	v_cmp_gt_u32_e32 vcc, s65, v10
	v_pk_mov_b32 v[10:11], 0, 0
	v_and_b32_e32 v128, 0xffffff, v83
	s_mov_b64 s[6:7], 0
	v_mov_b32_e32 v127, 0
	v_mov_b32_e32 v122, 0
	;; [unrolled: 1-line block ×4, first 2 shown]
	v_pk_mov_b32 v[70:71], v[10:11], v[10:11] op_sel:[0,1]
	v_pk_mov_b32 v[78:79], v[10:11], v[10:11] op_sel:[0,1]
	;; [unrolled: 1-line block ×8, first 2 shown]
	v_mov_b32_e32 v124, 0
	v_pk_mov_b32 v[38:39], v[10:11], v[10:11] op_sel:[0,1]
	v_pk_mov_b32 v[50:51], v[10:11], v[10:11] op_sel:[0,1]
	;; [unrolled: 1-line block ×5, first 2 shown]
	v_mov_b32_e32 v123, 0
	v_pk_mov_b32 v[34:35], v[10:11], v[10:11] op_sel:[0,1]
	v_pk_mov_b32 v[14:15], v[10:11], v[10:11] op_sel:[0,1]
                                        ; implicit-def: $sgpr8_sgpr9
                                        ; implicit-def: $vgpr82
                                        ; implicit-def: $vgpr84
                                        ; implicit-def: $vgpr85
	s_and_saveexec_b64 s[20:21], vcc
	s_cbranch_execz .LBB1121_111
; %bb.80:
	v_add_u32_e32 v10, 5, v65
	v_cmp_gt_u32_e32 vcc, s65, v10
	v_pk_mov_b32 v[10:11], 0, 0
	s_waitcnt lgkmcnt(0)
	v_mov_b32_e32 v14, v28
	v_mov_b32_e32 v15, v29
	;; [unrolled: 1-line block ×6, first 2 shown]
	v_pk_mov_b32 v[70:71], v[10:11], v[10:11] op_sel:[0,1]
	v_pk_mov_b32 v[78:79], v[10:11], v[10:11] op_sel:[0,1]
	;; [unrolled: 1-line block ×8, first 2 shown]
	v_mov_b32_e32 v124, 0
	v_pk_mov_b32 v[38:39], v[10:11], v[10:11] op_sel:[0,1]
	v_pk_mov_b32 v[50:51], v[10:11], v[10:11] op_sel:[0,1]
	;; [unrolled: 1-line block ×5, first 2 shown]
	v_mov_b32_e32 v123, 0
	v_pk_mov_b32 v[34:35], v[10:11], v[10:11] op_sel:[0,1]
                                        ; implicit-def: $sgpr8_sgpr9
                                        ; implicit-def: $vgpr82
                                        ; implicit-def: $vgpr84
                                        ; implicit-def: $vgpr85
	s_and_saveexec_b64 s[22:23], vcc
	s_cbranch_execz .LBB1121_110
; %bb.81:
	ds_read2_b64 v[34:37], v48 offset0:5 offset1:6
	v_cmp_ne_u32_e32 vcc, v32, v44
	v_add_u32_e32 v10, 6, v65
	v_cndmask_b32_e64 v123, 0, 1, vcc
	v_cmp_gt_u32_e32 vcc, s65, v10
	v_pk_mov_b32 v[10:11], 0, 0
	s_mov_b64 s[28:29], 0
	v_mov_b32_e32 v127, 0
	v_mov_b32_e32 v122, 0
	;; [unrolled: 1-line block ×4, first 2 shown]
	v_pk_mov_b32 v[70:71], v[10:11], v[10:11] op_sel:[0,1]
	v_pk_mov_b32 v[78:79], v[10:11], v[10:11] op_sel:[0,1]
	;; [unrolled: 1-line block ×8, first 2 shown]
	v_mov_b32_e32 v124, 0
	v_pk_mov_b32 v[38:39], v[10:11], v[10:11] op_sel:[0,1]
	v_pk_mov_b32 v[50:51], v[10:11], v[10:11] op_sel:[0,1]
	;; [unrolled: 1-line block ×5, first 2 shown]
                                        ; implicit-def: $sgpr6_sgpr7
                                        ; implicit-def: $vgpr82
                                        ; implicit-def: $vgpr84
                                        ; implicit-def: $vgpr85
	s_and_saveexec_b64 s[24:25], vcc
	s_cbranch_execz .LBB1121_109
; %bb.82:
	v_cmp_ne_u32_e64 s[4:5], v44, v45
	v_add_u32_e32 v10, 7, v65
	v_cndmask_b32_e64 v127, 0, 1, s[4:5]
	v_cmp_gt_u32_e64 s[4:5], s65, v10
	v_pk_mov_b32 v[10:11], 0, 0
	s_waitcnt lgkmcnt(0)
	v_mov_b32_e32 v22, v36
	v_mov_b32_e32 v23, v37
	v_cmp_ne_u32_e32 vcc, v40, v41
	v_cmp_ne_u32_e64 s[6:7], v41, v33
	v_cmp_ne_u32_e64 s[8:9], v45, v40
	s_mov_b64 s[30:31], 0
	v_mov_b32_e32 v126, 0
	v_mov_b32_e32 v122, 0
	;; [unrolled: 1-line block ×3, first 2 shown]
	v_pk_mov_b32 v[70:71], v[10:11], v[10:11] op_sel:[0,1]
	v_pk_mov_b32 v[78:79], v[10:11], v[10:11] op_sel:[0,1]
	;; [unrolled: 1-line block ×8, first 2 shown]
	v_mov_b32_e32 v124, 0
	v_pk_mov_b32 v[38:39], v[10:11], v[10:11] op_sel:[0,1]
	v_pk_mov_b32 v[50:51], v[10:11], v[10:11] op_sel:[0,1]
	;; [unrolled: 1-line block ×4, first 2 shown]
                                        ; implicit-def: $sgpr34_sgpr35
                                        ; implicit-def: $vgpr82
                                        ; implicit-def: $vgpr84
                                        ; implicit-def: $vgpr85
	s_and_saveexec_b64 s[26:27], s[4:5]
	s_cbranch_execz .LBB1121_108
; %bb.83:
	v_cndmask_b32_e64 v10, 0, 1, s[8:9]
	v_cndmask_b32_e64 v11, 0, 1, s[6:7]
	v_lshlrev_b16_e32 v10, 8, v10
	v_lshlrev_b16_e32 v11, 8, v11
	v_cndmask_b32_e64 v20, 0, 1, vcc
	ds_read2_b64 v[42:45], v48 offset0:7 offset1:8
	v_or_b32_e32 v10, v127, v10
	v_or_b32_sdwa v11, v20, v11 dst_sel:WORD_1 dst_unused:UNUSED_PAD src0_sel:DWORD src1_sel:DWORD
	v_or_b32_sdwa v82, v10, v11 dst_sel:DWORD dst_unused:UNUSED_PAD src0_sel:WORD_0 src1_sel:DWORD
	v_add_u32_e32 v10, 8, v65
	v_cmp_gt_u32_e32 vcc, s65, v10
	v_pk_mov_b32 v[10:11], 0, 0
	v_and_b32_e32 v127, 0xffff, v82
	s_mov_b64 s[4:5], 0
	v_mov_b32_e32 v126, 0
	v_mov_b32_e32 v122, 0
	;; [unrolled: 1-line block ×3, first 2 shown]
	v_pk_mov_b32 v[70:71], v[10:11], v[10:11] op_sel:[0,1]
	v_pk_mov_b32 v[78:79], v[10:11], v[10:11] op_sel:[0,1]
	;; [unrolled: 1-line block ×8, first 2 shown]
	v_mov_b32_e32 v124, 0
	v_pk_mov_b32 v[38:39], v[10:11], v[10:11] op_sel:[0,1]
	v_pk_mov_b32 v[50:51], v[10:11], v[10:11] op_sel:[0,1]
	;; [unrolled: 1-line block ×3, first 2 shown]
                                        ; implicit-def: $sgpr6_sgpr7
                                        ; implicit-def: $vgpr84
                                        ; implicit-def: $vgpr85
	s_and_saveexec_b64 s[28:29], vcc
	s_cbranch_execz .LBB1121_107
; %bb.84:
	v_add_u32_e32 v10, 9, v65
	v_cmp_gt_u32_e32 vcc, s65, v10
	v_pk_mov_b32 v[10:11], 0, 0
	s_waitcnt lgkmcnt(0)
	v_mov_b32_e32 v30, v44
	v_mov_b32_e32 v31, v45
	v_and_b32_e32 v127, 0xffffff, v82
	s_mov_b64 s[6:7], 0
	v_mov_b32_e32 v126, 0
	v_mov_b32_e32 v122, 0
	;; [unrolled: 1-line block ×3, first 2 shown]
	v_pk_mov_b32 v[70:71], v[10:11], v[10:11] op_sel:[0,1]
	v_pk_mov_b32 v[78:79], v[10:11], v[10:11] op_sel:[0,1]
	;; [unrolled: 1-line block ×8, first 2 shown]
	v_mov_b32_e32 v124, 0
	v_pk_mov_b32 v[38:39], v[10:11], v[10:11] op_sel:[0,1]
	v_pk_mov_b32 v[50:51], v[10:11], v[10:11] op_sel:[0,1]
                                        ; implicit-def: $sgpr8_sgpr9
                                        ; implicit-def: $vgpr84
                                        ; implicit-def: $vgpr85
	s_and_saveexec_b64 s[30:31], vcc
	s_cbranch_execz .LBB1121_106
; %bb.85:
	ds_read2_b64 v[50:53], v48 offset0:9 offset1:10
	v_add_u32_e32 v10, 10, v65
	v_cmp_gt_u32_e32 vcc, s65, v10
	v_pk_mov_b32 v[10:11], 0, 0
	v_mov_b32_e32 v126, 0
	v_mov_b32_e32 v122, 0
	;; [unrolled: 1-line block ×3, first 2 shown]
	v_pk_mov_b32 v[70:71], v[10:11], v[10:11] op_sel:[0,1]
	v_pk_mov_b32 v[78:79], v[10:11], v[10:11] op_sel:[0,1]
	;; [unrolled: 1-line block ×8, first 2 shown]
	v_mov_b32_e32 v124, 0
	v_pk_mov_b32 v[38:39], v[10:11], v[10:11] op_sel:[0,1]
                                        ; implicit-def: $sgpr8_sgpr9
                                        ; implicit-def: $vgpr84
                                        ; implicit-def: $vgpr85
	s_and_saveexec_b64 s[34:35], vcc
	s_cbranch_execz .LBB1121_105
; %bb.86:
	v_cmp_ne_u32_e32 vcc, v33, v24
	v_add_u32_e32 v10, 11, v65
	v_cndmask_b32_e64 v124, 0, 1, vcc
	v_cmp_gt_u32_e32 vcc, s65, v10
	v_pk_mov_b32 v[10:11], 0, 0
	s_waitcnt lgkmcnt(0)
	v_mov_b32_e32 v38, v52
	v_mov_b32_e32 v39, v53
	s_mov_b64 s[40:41], 0
	v_mov_b32_e32 v126, 0
	v_mov_b32_e32 v122, 0
	;; [unrolled: 1-line block ×3, first 2 shown]
	v_pk_mov_b32 v[70:71], v[10:11], v[10:11] op_sel:[0,1]
	v_pk_mov_b32 v[78:79], v[10:11], v[10:11] op_sel:[0,1]
	;; [unrolled: 1-line block ×8, first 2 shown]
                                        ; implicit-def: $sgpr6_sgpr7
                                        ; implicit-def: $vgpr84
                                        ; implicit-def: $vgpr85
	s_and_saveexec_b64 s[36:37], vcc
	s_cbranch_execz .LBB1121_104
; %bb.87:
	ds_read2_b64 v[58:61], v48 offset0:11 offset1:12
	v_cmp_ne_u32_e64 s[4:5], v24, v25
	v_add_u32_e32 v10, 12, v65
	v_cndmask_b32_e64 v126, 0, 1, s[4:5]
	v_cmp_gt_u32_e64 s[4:5], s65, v10
	v_pk_mov_b32 v[10:11], 0, 0
	v_cmp_ne_u32_e32 vcc, v16, v17
	v_cmp_ne_u32_e64 s[6:7], v17, v64
	v_cmp_ne_u32_e64 s[8:9], v25, v16
	s_mov_b64 s[42:43], 0
	v_mov_b32_e32 v125, 0
	v_mov_b32_e32 v122, 0
	v_pk_mov_b32 v[70:71], v[10:11], v[10:11] op_sel:[0,1]
	v_pk_mov_b32 v[78:79], v[10:11], v[10:11] op_sel:[0,1]
	;; [unrolled: 1-line block ×7, first 2 shown]
                                        ; implicit-def: $sgpr44_sgpr45
                                        ; implicit-def: $vgpr84
                                        ; implicit-def: $vgpr85
	s_and_saveexec_b64 s[38:39], s[4:5]
	s_cbranch_execz .LBB1121_103
; %bb.88:
	v_cndmask_b32_e64 v10, 0, 1, s[8:9]
	v_cndmask_b32_e64 v11, 0, 1, s[6:7]
	v_lshlrev_b16_e32 v10, 8, v10
	v_lshlrev_b16_e32 v11, 8, v11
	v_cndmask_b32_e64 v16, 0, 1, vcc
	v_or_b32_e32 v10, v126, v10
	v_or_b32_sdwa v11, v16, v11 dst_sel:WORD_1 dst_unused:UNUSED_PAD src0_sel:DWORD src1_sel:DWORD
	v_or_b32_sdwa v84, v10, v11 dst_sel:DWORD dst_unused:UNUSED_PAD src0_sel:WORD_0 src1_sel:DWORD
	v_add_u32_e32 v10, 13, v65
	v_cmp_gt_u32_e32 vcc, s65, v10
	v_pk_mov_b32 v[10:11], 0, 0
	v_and_b32_e32 v126, 0xffff, v84
	s_waitcnt lgkmcnt(0)
	v_mov_b32_e32 v46, v60
	v_mov_b32_e32 v47, v61
	s_mov_b64 s[4:5], 0
	v_mov_b32_e32 v125, 0
	v_mov_b32_e32 v122, 0
	v_pk_mov_b32 v[70:71], v[10:11], v[10:11] op_sel:[0,1]
	v_pk_mov_b32 v[78:79], v[10:11], v[10:11] op_sel:[0,1]
	;; [unrolled: 1-line block ×6, first 2 shown]
                                        ; implicit-def: $sgpr6_sgpr7
                                        ; implicit-def: $vgpr85
	s_and_saveexec_b64 s[40:41], vcc
	s_cbranch_execz .LBB1121_102
; %bb.89:
	ds_read2_b64 v[66:69], v48 offset0:13 offset1:14
	v_add_u32_e32 v10, 14, v65
	s_mov_b64 s[84:85], s[80:81]
	s_mov_b32 s82, s78
	v_cmp_gt_u32_e32 vcc, s65, v10
	v_pk_mov_b32 v[10:11], 0, 0
	s_mov_b32 s70, s2
	s_mov_b64 s[2:3], s[60:61]
	s_mov_b64 s[80:81], s[76:77]
	;; [unrolled: 1-line block ×6, first 2 shown]
	v_and_b32_e32 v126, 0xffffff, v84
	s_mov_b64 s[6:7], 0
	v_mov_b32_e32 v125, 0
	v_mov_b32_e32 v122, 0
	v_pk_mov_b32 v[70:71], v[10:11], v[10:11] op_sel:[0,1]
	v_pk_mov_b32 v[78:79], v[10:11], v[10:11] op_sel:[0,1]
	;; [unrolled: 1-line block ×5, first 2 shown]
                                        ; implicit-def: $sgpr8_sgpr9
                                        ; implicit-def: $vgpr85
	s_and_saveexec_b64 s[42:43], vcc
	s_cbranch_execz .LBB1121_101
; %bb.90:
	v_add_u32_e32 v10, 15, v65
	v_cmp_gt_u32_e32 vcc, s65, v10
	v_pk_mov_b32 v[10:11], 0, 0
	s_waitcnt lgkmcnt(0)
	v_mov_b32_e32 v54, v68
	v_mov_b32_e32 v55, v69
	;; [unrolled: 1-line block ×4, first 2 shown]
	v_pk_mov_b32 v[70:71], v[10:11], v[10:11] op_sel:[0,1]
	v_pk_mov_b32 v[78:79], v[10:11], v[10:11] op_sel:[0,1]
	;; [unrolled: 1-line block ×4, first 2 shown]
                                        ; implicit-def: $sgpr8_sgpr9
                                        ; implicit-def: $vgpr85
	s_and_saveexec_b64 s[44:45], vcc
	s_cbranch_execz .LBB1121_100
; %bb.91:
	ds_read2_b64 v[74:77], v48 offset0:15 offset1:16
	v_cmp_ne_u32_e32 vcc, v64, v8
	v_add_u32_e32 v10, 16, v65
	v_cndmask_b32_e64 v122, 0, 1, vcc
	v_cmp_gt_u32_e32 vcc, s65, v10
	v_pk_mov_b32 v[10:11], 0, 0
	s_mov_b64 s[56:57], 0
	v_mov_b32_e32 v125, 0
	v_pk_mov_b32 v[70:71], v[10:11], v[10:11] op_sel:[0,1]
	v_pk_mov_b32 v[78:79], v[10:11], v[10:11] op_sel:[0,1]
	;; [unrolled: 1-line block ×3, first 2 shown]
                                        ; implicit-def: $sgpr6_sgpr7
                                        ; implicit-def: $vgpr85
	s_and_saveexec_b64 s[46:47], vcc
	s_cbranch_execz .LBB1121_99
; %bb.92:
	v_cmp_ne_u32_e64 s[4:5], v8, v9
	v_add_u32_e32 v8, 17, v65
	v_pk_mov_b32 v[10:11], 0, 0
	s_waitcnt lgkmcnt(0)
	v_mov_b32_e32 v62, v76
	v_mov_b32_e32 v63, v77
	v_cmp_ne_u32_e32 vcc, v12, v13
	v_cmp_ne_u32_e64 s[6:7], v13, v4
	v_cmp_ne_u32_e64 s[8:9], v9, v12
	v_cndmask_b32_e64 v125, 0, 1, s[4:5]
	v_cmp_gt_u32_e64 s[4:5], s65, v8
	s_mov_b64 s[58:59], 0
	v_pk_mov_b32 v[70:71], v[10:11], v[10:11] op_sel:[0,1]
	v_pk_mov_b32 v[78:79], v[10:11], v[10:11] op_sel:[0,1]
                                        ; implicit-def: $sgpr60_sgpr61
                                        ; implicit-def: $vgpr85
	s_and_saveexec_b64 s[48:49], s[4:5]
	s_cbranch_execz .LBB1121_98
; %bb.93:
	v_cndmask_b32_e64 v8, 0, 1, s[8:9]
	v_cndmask_b32_e64 v9, 0, 1, s[6:7]
	ds_read2_b64 v[78:81], v48 offset0:17 offset1:18
	v_lshlrev_b16_e32 v8, 8, v8
	v_lshlrev_b16_e32 v9, 8, v9
	v_cndmask_b32_e64 v10, 0, 1, vcc
	v_or_b32_e32 v8, v125, v8
	v_or_b32_sdwa v9, v10, v9 dst_sel:WORD_1 dst_unused:UNUSED_PAD src0_sel:DWORD src1_sel:DWORD
	v_or_b32_sdwa v85, v8, v9 dst_sel:DWORD dst_unused:UNUSED_PAD src0_sel:WORD_0 src1_sel:DWORD
	v_add_u32_e32 v8, 18, v65
	v_pk_mov_b32 v[10:11], 0, 0
	v_and_b32_e32 v125, 0xffff, v85
	v_cmp_gt_u32_e32 vcc, s65, v8
	s_mov_b64 s[4:5], 0
	v_pk_mov_b32 v[70:71], v[10:11], v[10:11] op_sel:[0,1]
                                        ; implicit-def: $sgpr8_sgpr9
	s_and_saveexec_b64 s[6:7], vcc
	s_cbranch_execz .LBB1121_97
; %bb.94:
	v_add_u32_e32 v8, 19, v65
	s_waitcnt lgkmcnt(0)
	v_mov_b32_e32 v70, v80
	v_mov_b32_e32 v71, v81
	v_cmp_gt_u32_e32 vcc, s65, v8
	v_and_b32_e32 v125, 0xffffff, v85
	v_pk_mov_b32 v[10:11], 0, 0
                                        ; implicit-def: $sgpr8_sgpr9
	s_and_saveexec_b64 s[56:57], vcc
	s_xor_b64 s[56:57], exec, s[56:57]
	s_cbranch_execz .LBB1121_96
; %bb.95:
	ds_read2_b64 v[10:13], v48 offset0:19 offset1:20
	v_cmp_ne_u32_e32 vcc, v4, v5
	v_add_u32_e32 v4, 20, v65
	v_cmp_gt_u32_e64 s[4:5], s65, v4
	s_and_b64 s[8:9], vcc, exec
	s_and_b64 s[4:5], s[4:5], exec
	s_waitcnt lgkmcnt(0)
	v_pk_mov_b32 v[72:73], v[10:11], v[10:11] op_sel:[0,1]
	v_mov_b32_e32 v125, v85
.LBB1121_96:
	s_or_b64 exec, exec, s[56:57]
	s_and_b64 s[8:9], s[8:9], exec
	s_and_b64 s[58:59], s[4:5], exec
.LBB1121_97:
	s_or_b64 exec, exec, s[6:7]
	s_and_b64 s[60:61], s[8:9], exec
	s_and_b64 s[56:57], s[58:59], exec
	s_waitcnt lgkmcnt(0)
	v_pk_mov_b32 v[64:65], v[78:79], v[78:79] op_sel:[0,1]
	v_pk_mov_b32 v[56:57], v[74:75], v[74:75] op_sel:[0,1]
	;; [unrolled: 1-line block ×9, first 2 shown]
.LBB1121_98:
	s_or_b64 exec, exec, s[48:49]
	s_and_b64 s[6:7], s[60:61], exec
	s_and_b64 s[4:5], s[56:57], exec
.LBB1121_99:
	s_or_b64 exec, exec, s[46:47]
	s_and_b64 s[8:9], s[6:7], exec
	s_and_b64 s[6:7], s[4:5], exec
.LBB1121_100:
	s_or_b64 exec, exec, s[44:45]
	s_and_b64 s[8:9], s[8:9], exec
	s_and_b64 s[4:5], s[6:7], exec
	v_mov_b32_e32 v126, v84
.LBB1121_101:
	s_or_b64 exec, exec, s[42:43]
	s_mov_b64 s[58:59], s[66:67]
	s_mov_b64 s[66:67], s[74:75]
	;; [unrolled: 1-line block ×3, first 2 shown]
	s_and_b64 s[6:7], s[8:9], exec
	s_and_b64 s[42:43], s[4:5], exec
	s_mov_b64 s[74:75], s[78:79]
	s_mov_b64 s[76:77], s[80:81]
	s_mov_b32 s78, s82
	s_mov_b64 s[60:61], s[2:3]
	s_mov_b32 s2, s70
	s_mov_b64 s[80:81], s[84:85]
.LBB1121_102:
	s_or_b64 exec, exec, s[40:41]
	s_and_b64 s[44:45], s[6:7], exec
	s_and_b64 s[40:41], s[42:43], exec
.LBB1121_103:
	s_or_b64 exec, exec, s[38:39]
	s_and_b64 s[6:7], s[44:45], exec
	s_and_b64 s[4:5], s[40:41], exec
.LBB1121_104:
	s_or_b64 exec, exec, s[36:37]
	s_and_b64 s[8:9], s[6:7], exec
	s_and_b64 s[6:7], s[4:5], exec
.LBB1121_105:
	s_or_b64 exec, exec, s[34:35]
	s_and_b64 s[8:9], s[8:9], exec
	s_and_b64 s[4:5], s[6:7], exec
	v_mov_b32_e32 v127, v82
.LBB1121_106:
	s_or_b64 exec, exec, s[30:31]
	s_and_b64 s[6:7], s[8:9], exec
	s_and_b64 s[30:31], s[4:5], exec
.LBB1121_107:
	s_or_b64 exec, exec, s[28:29]
	s_and_b64 s[34:35], s[6:7], exec
	s_and_b64 s[28:29], s[30:31], exec
.LBB1121_108:
	s_or_b64 exec, exec, s[26:27]
	s_and_b64 s[6:7], s[34:35], exec
	s_and_b64 s[4:5], s[28:29], exec
.LBB1121_109:
	s_or_b64 exec, exec, s[24:25]
	s_and_b64 s[8:9], s[6:7], exec
	s_and_b64 s[6:7], s[4:5], exec
.LBB1121_110:
	s_or_b64 exec, exec, s[22:23]
	s_and_b64 s[8:9], s[8:9], exec
	s_and_b64 s[4:5], s[6:7], exec
	v_mov_b32_e32 v128, v83
.LBB1121_111:
	s_or_b64 exec, exec, s[20:21]
	s_and_b64 s[6:7], s[8:9], exec
	s_and_b64 s[20:21], s[4:5], exec
.LBB1121_112:
	s_or_b64 exec, exec, s[18:19]
	s_and_b64 s[22:23], s[6:7], exec
	s_and_b64 s[18:19], s[20:21], exec
.LBB1121_113:
	s_or_b64 exec, exec, s[16:17]
	s_and_b64 s[4:5], s[22:23], exec
	s_and_b64 s[6:7], s[18:19], exec
.LBB1121_114:
	s_or_b64 exec, exec, s[14:15]
	s_and_b64 s[4:5], s[4:5], exec
	s_and_b64 s[6:7], s[6:7], exec
.LBB1121_115:
	s_or_b64 exec, exec, s[12:13]
	s_mov_b64 s[8:9], 0
	s_and_b64 vcc, exec, s[10:11]
	s_cbranch_vccnz .LBB1121_117
	s_branch .LBB1121_125
.LBB1121_116:
                                        ; implicit-def: $sgpr4_sgpr5
                                        ; implicit-def: $vgpr83
                                        ; implicit-def: $vgpr82
                                        ; implicit-def: $vgpr84
                                        ; implicit-def: $vgpr85
                                        ; implicit-def: $vgpr12_vgpr13
                                        ; implicit-def: $vgpr72_vgpr73
                                        ; implicit-def: $vgpr64_vgpr65
                                        ; implicit-def: $vgpr122
                                        ; implicit-def: $vgpr56_vgpr57
                                        ; implicit-def: $vgpr48_vgpr49
                                        ; implicit-def: $vgpr40_vgpr41
                                        ; implicit-def: $vgpr124
                                        ; implicit-def: $vgpr32_vgpr33
                                        ; implicit-def: $vgpr24_vgpr25
                                        ; implicit-def: $vgpr123
                                        ; implicit-def: $vgpr16_vgpr17
                                        ; implicit-def: $vgpr8_vgpr9
                                        ; implicit-def: $vgpr4_vgpr5
                                        ; implicit-def: $vgpr1
                                        ; implicit-def: $vgpr128
                                        ; implicit-def: $vgpr127
                                        ; implicit-def: $vgpr126
                                        ; implicit-def: $vgpr125
                                        ; implicit-def: $sgpr64
                                        ; implicit-def: $sgpr8_sgpr9
                                        ; implicit-def: $vgpr78_vgpr79
                                        ; implicit-def: $vgpr74_vgpr75
                                        ; implicit-def: $vgpr66_vgpr67
                                        ; implicit-def: $vgpr58_vgpr59
                                        ; implicit-def: $vgpr50_vgpr51
                                        ; implicit-def: $vgpr42_vgpr43
                                        ; implicit-def: $vgpr34_vgpr35
                                        ; implicit-def: $vgpr26_vgpr27
                                        ; implicit-def: $vgpr18_vgpr19
	s_and_b64 vcc, exec, s[10:11]
	s_cbranch_vccz .LBB1121_125
.LBB1121_117:
	v_lshlrev_b32_e32 v1, 2, v0
	s_waitcnt lgkmcnt(0)
	v_mov_b32_e32 v3, s51
	v_add_co_u32_e32 v2, vcc, s50, v1
	v_addc_co_u32_e32 v3, vcc, 0, v3, vcc
	s_movk_i32 s4, 0x1000
	flat_load_dword v4, v[2:3]
	flat_load_dword v5, v[2:3] offset:256
	flat_load_dword v6, v[2:3] offset:512
	;; [unrolled: 1-line block ×15, first 2 shown]
	v_add_co_u32_e32 v2, vcc, s4, v2
	v_addc_co_u32_e32 v3, vcc, 0, v3, vcc
	flat_load_dword v20, v[2:3]
	flat_load_dword v21, v[2:3] offset:256
	flat_load_dword v22, v[2:3] offset:512
	flat_load_dword v24, v[2:3] offset:768
	flat_load_dword v25, v[2:3] offset:1024
	s_movk_i32 s4, 0x50
	v_mad_u32_u24 v23, v0, s4, v1
	s_cmp_eq_u64 s[54:55], 0
	s_waitcnt vmcnt(0) lgkmcnt(0)
	ds_write2st64_b32 v1, v4, v5 offset1:1
	ds_write2st64_b32 v1, v6, v7 offset0:2 offset1:3
	ds_write2st64_b32 v1, v8, v9 offset0:4 offset1:5
	;; [unrolled: 1-line block ×9, first 2 shown]
	ds_write_b32 v1, v25 offset:5120
	s_waitcnt lgkmcnt(0)
	; wave barrier
	s_waitcnt lgkmcnt(0)
	ds_read2_b32 v[8:9], v23 offset0:7 offset1:8
	ds_read2_b32 v[6:7], v23 offset0:5 offset1:6
	;; [unrolled: 1-line block ×3, first 2 shown]
	ds_read2_b32 v[10:11], v23 offset1:1
	ds_read2_b32 v[4:5], v23 offset0:4 offset1:9
	ds_read2_b32 v[16:17], v23 offset0:15 offset1:16
	ds_read_b32 v22, v23 offset:56
	ds_read2_b32 v[14:15], v23 offset0:12 offset1:13
	ds_read2_b32 v[12:13], v23 offset0:10 offset1:11
	ds_read2_b32 v[18:19], v23 offset0:17 offset1:18
	ds_read2_b32 v[20:21], v23 offset0:19 offset1:20
	s_cbranch_scc1 .LBB1121_122
; %bb.118:
	s_andn2_b64 vcc, exec, s[52:53]
	s_cbranch_vccnz .LBB1121_277
; %bb.119:
	s_lshl_b64 s[4:5], s[54:55], 2
	s_add_u32 s4, s90, s4
	s_addc_u32 s5, s91, s5
	s_add_u32 s4, s4, -4
	s_addc_u32 s5, s5, -1
	s_cbranch_execnz .LBB1121_121
.LBB1121_120:
	s_add_u32 s4, s50, -4
	s_addc_u32 s5, s51, -1
.LBB1121_121:
	s_mov_b64 s[50:51], s[4:5]
.LBB1121_122:
	v_pk_mov_b32 v[24:25], s[50:51], s[50:51] op_sel:[0,1]
	flat_load_dword v1, v[24:25]
	s_movk_i32 s4, 0xffb0
	v_mad_i32_i24 v23, v0, s4, v23
	s_waitcnt lgkmcnt(0)
	ds_write_b32 v23, v21 offset:5376
	s_waitcnt lgkmcnt(0)
	; wave barrier
	s_waitcnt lgkmcnt(0)
	s_and_saveexec_b64 s[4:5], s[80:81]
	s_cbranch_execz .LBB1121_124
; %bb.123:
	s_waitcnt vmcnt(0)
	ds_read_b32 v1, v23 offset:5372
.LBB1121_124:
	s_or_b64 exec, exec, s[4:5]
	v_lshlrev_b32_e32 v24, 3, v0
	v_mov_b32_e32 v25, s63
	v_add_co_u32_e32 v24, vcc, s62, v24
	v_addc_co_u32_e32 v25, vcc, 0, v25, vcc
	s_movk_i32 s4, 0x1000
	v_add_co_u32_e32 v42, vcc, s4, v24
	v_addc_co_u32_e32 v43, vcc, 0, v25, vcc
	s_movk_i32 s4, 0x2000
	s_waitcnt lgkmcnt(0)
	; wave barrier
	s_waitcnt lgkmcnt(0)
	flat_load_dwordx2 v[26:27], v[24:25]
	flat_load_dwordx2 v[28:29], v[24:25] offset:512
	flat_load_dwordx2 v[30:31], v[24:25] offset:1024
	;; [unrolled: 1-line block ×7, first 2 shown]
	v_add_co_u32_e32 v24, vcc, s4, v24
	v_addc_co_u32_e32 v25, vcc, 0, v25, vcc
	flat_load_dwordx2 v[44:45], v[42:43]
	flat_load_dwordx2 v[46:47], v[42:43] offset:512
	flat_load_dwordx2 v[48:49], v[42:43] offset:1024
	;; [unrolled: 1-line block ×7, first 2 shown]
	s_nop 0
	flat_load_dwordx2 v[42:43], v[24:25]
	flat_load_dwordx2 v[60:61], v[24:25] offset:512
	flat_load_dwordx2 v[62:63], v[24:25] offset:1024
	;; [unrolled: 1-line block ×4, first 2 shown]
	v_cmp_ne_u32_e32 vcc, v17, v18
	v_cmp_ne_u32_e64 s[4:5], v20, v21
	v_cndmask_b32_e64 v21, 0, 1, vcc
	v_cmp_ne_u32_e32 vcc, v16, v17
	v_cndmask_b32_e64 v17, 0, 1, vcc
	v_cmp_ne_u32_e32 vcc, v19, v20
	;; [unrolled: 2-line block ×6, first 2 shown]
	v_lshlrev_b16_e32 v16, 8, v16
	v_cndmask_b32_e64 v13, 0, 1, vcc
	v_cmp_ne_u32_e32 vcc, v15, v22
	v_or_b32_e32 v13, v13, v16
	v_cndmask_b32_e64 v16, 0, 1, vcc
	v_cmp_ne_u32_e32 vcc, v14, v15
	v_cndmask_b32_e64 v14, 0, 1, vcc
	v_cmp_ne_u32_e32 vcc, v5, v12
	;; [unrolled: 2-line block ×6, first 2 shown]
	v_lshlrev_b16_e32 v12, 8, v12
	v_lshlrev_b16_e32 v5, 8, v5
	v_cndmask_b32_e64 v8, 0, 1, vcc
	v_cmp_ne_u32_e32 vcc, v4, v6
	v_or_b32_e32 v7, v7, v12
	v_or_b32_sdwa v5, v8, v5 dst_sel:WORD_1 dst_unused:UNUSED_PAD src0_sel:DWORD src1_sel:DWORD
	v_cndmask_b32_e64 v123, 0, 1, vcc
	v_cmp_ne_u32_e32 vcc, v11, v2
	v_or_b32_sdwa v82, v7, v5 dst_sel:DWORD dst_unused:UNUSED_PAD src0_sel:WORD_0 src1_sel:DWORD
	v_cndmask_b32_e64 v5, 0, 1, vcc
	v_cmp_ne_u32_e32 vcc, v10, v11
	v_cndmask_b32_e64 v6, 0, 1, vcc
	v_cmp_ne_u32_e32 vcc, v3, v4
	v_lshlrev_b16_e32 v21, 8, v21
	v_lshlrev_b16_e32 v20, 8, v20
	v_cndmask_b32_e64 v4, 0, 1, vcc
	v_cmp_ne_u32_e32 vcc, v2, v3
	v_or_b32_e32 v17, v17, v21
	v_or_b32_sdwa v18, v18, v20 dst_sel:WORD_1 dst_unused:UNUSED_PAD src0_sel:DWORD src1_sel:DWORD
	v_lshlrev_b16_e32 v4, 8, v4
	v_cndmask_b32_e64 v2, 0, 1, vcc
	v_or_b32_sdwa v85, v17, v18 dst_sel:DWORD dst_unused:UNUSED_PAD src0_sel:WORD_0 src1_sel:DWORD
	v_lshlrev_b16_e32 v16, 8, v16
	v_or_b32_sdwa v18, v2, v4 dst_sel:WORD_1 dst_unused:UNUSED_PAD src0_sel:DWORD src1_sel:DWORD
	v_lshl_add_u32 v2, v0, 2, v23
	s_movk_i32 s6, 0xa0
	v_or_b32_sdwa v14, v14, v16 dst_sel:WORD_1 dst_unused:UNUSED_PAD src0_sel:DWORD src1_sel:DWORD
	v_lshlrev_b16_e32 v5, 8, v5
	v_mad_u32_u24 v12, v0, s6, v2
	v_or_b32_sdwa v84, v13, v14 dst_sel:DWORD dst_unused:UNUSED_PAD src0_sel:WORD_0 src1_sel:DWORD
	v_or_b32_e32 v11, v6, v5
	s_waitcnt vmcnt(0)
	v_cmp_ne_u32_e32 vcc, v1, v10
	v_or_b32_sdwa v83, v11, v18 dst_sel:DWORD dst_unused:UNUSED_PAD src0_sel:WORD_0 src1_sel:DWORD
	v_cndmask_b32_e64 v1, 0, 1, vcc
	s_mov_b64 s[6:7], -1
                                        ; implicit-def: $vgpr128
                                        ; implicit-def: $vgpr127
                                        ; implicit-def: $vgpr126
                                        ; implicit-def: $vgpr125
                                        ; implicit-def: $sgpr64
                                        ; implicit-def: $sgpr8_sgpr9
                                        ; implicit-def: $vgpr78_vgpr79
                                        ; implicit-def: $vgpr74_vgpr75
                                        ; implicit-def: $vgpr18_vgpr19
	s_waitcnt lgkmcnt(0)
	ds_write2st64_b64 v2, v[26:27], v[28:29] offset1:1
	ds_write2st64_b64 v2, v[30:31], v[32:33] offset0:2 offset1:3
	ds_write2st64_b64 v2, v[34:35], v[36:37] offset0:4 offset1:5
	;; [unrolled: 1-line block ×9, first 2 shown]
	ds_write_b64 v2, v[66:67] offset:10240
	s_waitcnt lgkmcnt(0)
	; wave barrier
	s_waitcnt lgkmcnt(0)
	ds_read2_b64 v[2:5], v12 offset1:1
	ds_read2_b64 v[6:9], v12 offset0:2 offset1:3
	ds_read2_b64 v[14:17], v12 offset0:4 offset1:5
	;; [unrolled: 1-line block ×9, first 2 shown]
	ds_read_b64 v[12:13], v12 offset:160
                                        ; implicit-def: $vgpr66_vgpr67
                                        ; implicit-def: $vgpr58_vgpr59
                                        ; implicit-def: $vgpr50_vgpr51
                                        ; implicit-def: $vgpr42_vgpr43
                                        ; implicit-def: $vgpr34_vgpr35
                                        ; implicit-def: $vgpr26_vgpr27
.LBB1121_125:
	v_writelane_b32 v135, s84, 2
	v_writelane_b32 v135, s85, 3
	;; [unrolled: 1-line block ×7, first 2 shown]
	s_waitcnt lgkmcnt(0)
	v_pk_mov_b32 v[20:21], s[8:9], s[8:9] op_sel:[0,1]
	v_mov_b32_e32 v36, s64
	v_writelane_b32 v135, s91, 9
	s_and_saveexec_b64 s[8:9], s[6:7]
	s_cbranch_execz .LBB1121_127
; %bb.126:
	v_cndmask_b32_e64 v36, 0, 1, s[4:5]
	v_pk_mov_b32 v[18:19], v[4:5], v[4:5] op_sel:[0,1]
	v_pk_mov_b32 v[26:27], v[8:9], v[8:9] op_sel:[0,1]
	;; [unrolled: 1-line block ×11, first 2 shown]
	v_mov_b32_e32 v125, v85
	v_mov_b32_e32 v126, v84
	;; [unrolled: 1-line block ×4, first 2 shown]
.LBB1121_127:
	s_or_b64 exec, exec, s[8:9]
	v_and_b32_e32 v133, 1, v123
	v_and_b32_e32 v131, 1, v124
	;; [unrolled: 1-line block ×4, first 2 shown]
	s_cmp_lg_u32 s33, 0
	v_lshrrev_b32_e32 v134, 8, v128
	v_cmp_eq_u32_e32 vcc, 1, v133
	v_lshrrev_b32_e32 v132, 8, v127
	v_cmp_eq_u32_e64 s[48:49], 1, v131
	v_lshrrev_b32_e32 v130, 8, v126
	v_cmp_eq_u32_e64 s[50:51], 1, v129
	;; [unrolled: 2-line block ×3, first 2 shown]
	v_mbcnt_lo_u32_b32 v37, -1, 0
	s_waitcnt lgkmcnt(0)
	; wave barrier
	s_cbranch_scc0 .LBB1121_186
; %bb.128:
	v_mov_b32_e32 v9, 0
	v_and_b32_e32 v12, 1, v128
	s_mov_b32 s15, s2
	s_movk_i32 s42, 0xff
	v_add_f64 v[4:5], v[2:3], v[18:19]
	v_cmp_eq_u16_sdwa s[2:3], v128, v9 src0_sel:BYTE_0 src1_sel:DWORD
	v_cmp_eq_u32_e64 s[52:53], 1, v12
	v_and_b32_e32 v12, 0x100, v128
	v_cndmask_b32_e64 v5, v19, v5, s[2:3]
	v_writelane_b32 v135, s2, 10
	v_cndmask_b32_e64 v4, v18, v4, s[2:3]
	v_cmp_ne_u32_e64 s[56:57], 0, v12
	v_and_b32_sdwa v12, v128, s42 dst_sel:DWORD dst_unused:UNUSED_PAD src0_sel:WORD_1 src1_sel:DWORD
	v_writelane_b32 v135, s3, 11
	v_add_f64 v[4:5], v[6:7], v[4:5]
	v_cmp_eq_u16_sdwa s[2:3], v134, v9 src0_sel:BYTE_0 src1_sel:DWORD
	v_cmp_eq_u16_e64 s[92:93], 0, v12
	v_and_b32_e32 v12, 0x10000, v128
	s_mov_b64 s[86:87], s[58:59]
	v_cndmask_b32_e64 v5, v7, v5, s[2:3]
	v_writelane_b32 v135, s2, 12
	v_cndmask_b32_e64 v4, v6, v4, s[2:3]
	v_cmp_ne_u32_e64 s[58:59], 0, v12
	v_and_b32_e32 v12, 0x1000000, v128
	s_mov_b64 s[88:89], s[0:1]
	s_mov_b64 s[0:1], s[60:61]
	v_add_f64 v[4:5], v[26:27], v[4:5]
	v_cmp_ne_u32_e64 s[60:61], 0, v12
	v_and_b32_e32 v12, 1, v127
	v_cndmask_b32_e64 v5, v27, v5, s[92:93]
	v_cndmask_b32_e64 v4, v26, v4, s[92:93]
	v_cmp_eq_u32_e64 s[62:63], 1, v12
	v_and_b32_e32 v12, 0x100, v127
	v_add_f64 v[4:5], v[14:15], v[4:5]
	v_cmp_eq_u16_sdwa s[70:71], v128, v9 src0_sel:BYTE_3 src1_sel:DWORD
	v_cmp_ne_u32_e64 s[64:65], 0, v12
	v_and_b32_sdwa v12, v127, s42 dst_sel:DWORD dst_unused:UNUSED_PAD src0_sel:WORD_1 src1_sel:DWORD
	v_cndmask_b32_e64 v5, v15, v5, s[70:71]
	v_cndmask_b32_e64 v4, v14, v4, s[70:71]
	v_cmp_eq_u16_e64 s[20:21], 0, v12
	v_and_b32_e32 v12, 0x10000, v127
	s_mov_b64 s[94:95], s[66:67]
	v_writelane_b32 v135, s3, 13
	v_add_f64 v[4:5], v[34:35], v[4:5]
	v_cmp_eq_u16_sdwa s[2:3], v123, v9 src0_sel:BYTE_0 src1_sel:DWORD
	v_cmp_ne_u32_e64 s[66:67], 0, v12
	v_and_b32_e32 v12, 0x1000000, v127
	s_mov_b64 s[6:7], s[68:69]
	v_cndmask_b32_e64 v5, v35, v5, s[2:3]
	v_cndmask_b32_e64 v4, v34, v4, s[2:3]
	v_cmp_ne_u32_e64 s[68:69], 0, v12
	v_and_b32_e32 v12, 1, v126
	s_mov_b64 s[8:9], s[72:73]
	v_add_f64 v[4:5], v[22:23], v[4:5]
	v_cmp_eq_u16_sdwa s[16:17], v127, v9 src0_sel:BYTE_0 src1_sel:DWORD
	v_cmp_eq_u32_e64 s[4:5], 1, v12
	v_and_b32_e32 v12, 0x100, v126
	s_mov_b64 s[10:11], s[74:75]
	s_mov_b64 s[12:13], s[76:77]
	s_mov_b32 s14, s78
	v_cndmask_b32_e64 v5, v23, v5, s[16:17]
	v_cndmask_b32_e64 v4, v22, v4, s[16:17]
	v_cmp_ne_u32_e64 s[72:73], 0, v12
	v_and_b32_sdwa v12, v126, s42 dst_sel:DWORD dst_unused:UNUSED_PAD src0_sel:WORD_1 src1_sel:DWORD
	v_add_f64 v[4:5], v[42:43], v[4:5]
	v_cmp_eq_u16_sdwa s[18:19], v132, v9 src0_sel:BYTE_0 src1_sel:DWORD
	v_cmp_eq_u16_e64 s[30:31], 0, v12
	v_and_b32_e32 v12, 0x10000, v126
	v_cndmask_b32_e64 v5, v43, v5, s[18:19]
	v_cndmask_b32_e64 v4, v42, v4, s[18:19]
	v_cmp_ne_u32_e64 s[74:75], 0, v12
	v_and_b32_e32 v12, 0x1000000, v126
	v_add_f64 v[4:5], v[30:31], v[4:5]
	v_cmp_ne_u32_e64 s[76:77], 0, v12
	v_and_b32_e32 v12, 1, v125
	v_cndmask_b32_e64 v5, v31, v5, s[20:21]
	v_cndmask_b32_e64 v4, v30, v4, s[20:21]
	v_cmp_eq_u32_e64 s[78:79], 1, v12
	v_and_b32_e32 v12, 0x100, v125
	s_mov_b64 s[90:91], s[80:81]
	v_add_f64 v[4:5], v[50:51], v[4:5]
	v_cmp_eq_u16_sdwa s[22:23], v127, v9 src0_sel:BYTE_3 src1_sel:DWORD
	v_cmp_ne_u32_e64 s[80:81], 0, v12
	v_and_b32_sdwa v12, v125, s42 dst_sel:DWORD dst_unused:UNUSED_PAD src0_sel:WORD_1 src1_sel:DWORD
	v_cndmask_b32_e64 v5, v51, v5, s[22:23]
	v_cndmask_b32_e64 v4, v50, v4, s[22:23]
	v_cmp_eq_u16_e64 s[42:43], 0, v12
	v_and_b32_e32 v12, 0x10000, v125
	v_add_f64 v[4:5], v[38:39], v[4:5]
	v_cmp_eq_u16_sdwa s[24:25], v124, v9 src0_sel:BYTE_0 src1_sel:DWORD
	v_cmp_ne_u32_e64 s[82:83], 0, v12
	v_and_b32_e32 v12, 0x1000000, v125
	v_cndmask_b32_e64 v5, v39, v5, s[24:25]
	v_cndmask_b32_e64 v4, v38, v4, s[24:25]
	v_cmp_ne_u32_e64 s[84:85], 0, v12
	v_add_f64 v[4:5], v[58:59], v[4:5]
	v_cmp_eq_u16_sdwa s[26:27], v126, v9 src0_sel:BYTE_0 src1_sel:DWORD
	s_or_b64 s[54:55], s[54:55], s[84:85]
	v_cndmask_b32_e64 v5, v59, v5, s[26:27]
	v_cndmask_b32_e64 v4, v58, v4, s[26:27]
	s_or_b64 s[54:55], s[54:55], s[82:83]
	v_add_f64 v[4:5], v[46:47], v[4:5]
	v_cmp_eq_u16_sdwa s[28:29], v130, v9 src0_sel:BYTE_0 src1_sel:DWORD
	s_or_b64 s[54:55], s[54:55], s[80:81]
	v_cndmask_b32_e64 v5, v47, v5, s[28:29]
	v_cndmask_b32_e64 v4, v46, v4, s[28:29]
	s_or_b64 s[54:55], s[54:55], s[78:79]
	v_add_f64 v[4:5], v[66:67], v[4:5]
	s_or_b64 s[50:51], s[54:55], s[50:51]
	v_cndmask_b32_e64 v5, v67, v5, s[30:31]
	v_cndmask_b32_e64 v4, v66, v4, s[30:31]
	s_or_b64 s[50:51], s[50:51], s[76:77]
	v_add_f64 v[4:5], v[54:55], v[4:5]
	v_cmp_eq_u16_sdwa s[34:35], v126, v9 src0_sel:BYTE_3 src1_sel:DWORD
	s_or_b64 s[50:51], s[50:51], s[74:75]
	v_cndmask_b32_e64 v5, v55, v5, s[34:35]
	v_cndmask_b32_e64 v4, v54, v4, s[34:35]
	s_or_b64 s[50:51], s[50:51], s[72:73]
	v_add_f64 v[4:5], v[74:75], v[4:5]
	v_cmp_eq_u16_sdwa s[36:37], v122, v9 src0_sel:BYTE_0 src1_sel:DWORD
	s_or_b64 s[4:5], s[50:51], s[4:5]
	v_cndmask_b32_e64 v5, v75, v5, s[36:37]
	v_cndmask_b32_e64 v4, v74, v4, s[36:37]
	s_or_b64 s[4:5], s[4:5], s[48:49]
	v_add_f64 v[4:5], v[62:63], v[4:5]
	v_cmp_eq_u16_sdwa s[38:39], v125, v9 src0_sel:BYTE_0 src1_sel:DWORD
	;; [unrolled: 6-line block ×3, first 2 shown]
	s_or_b64 s[4:5], s[4:5], s[64:65]
	v_cndmask_b32_e64 v5, v79, v5, s[40:41]
	v_cndmask_b32_e64 v4, v78, v4, s[40:41]
	s_or_b64 s[4:5], s[4:5], s[62:63]
	v_add_f64 v[4:5], v[70:71], v[4:5]
	s_or_b64 s[4:5], s[4:5], vcc
	v_cndmask_b32_e64 v5, v71, v5, s[42:43]
	v_cndmask_b32_e64 v4, v70, v4, s[42:43]
	s_or_b64 s[4:5], s[4:5], s[60:61]
	v_add_f64 v[4:5], v[10:11], v[4:5]
	v_cmp_eq_u16_sdwa s[44:45], v125, v9 src0_sel:BYTE_3 src1_sel:DWORD
	s_or_b64 s[4:5], s[4:5], s[58:59]
	v_cndmask_b32_e64 v5, v11, v5, s[44:45]
	v_cndmask_b32_e64 v4, v10, v4, s[44:45]
	s_or_b64 s[4:5], s[4:5], s[56:57]
	v_and_b32_e32 v8, 0xff, v1
	v_add_f64 v[4:5], v[20:21], v[4:5]
	v_cmp_eq_u16_sdwa s[46:47], v36, v9 src0_sel:BYTE_0 src1_sel:DWORD
	s_or_b64 s[4:5], s[4:5], s[52:53]
	v_mbcnt_hi_u32_b32 v13, -1, v37
	v_cndmask_b32_e64 v5, v21, v5, s[46:47]
	v_cndmask_b32_e64 v4, v20, v4, s[46:47]
	;; [unrolled: 1-line block ×3, first 2 shown]
	v_and_b32_e32 v16, 15, v13
	v_mov_b32_dpp v8, v4 row_shr:1 row_mask:0xf bank_mask:0xf
	v_mov_b32_dpp v9, v5 row_shr:1 row_mask:0xf bank_mask:0xf
	;; [unrolled: 1-line block ×3, first 2 shown]
	v_cmp_ne_u32_e32 vcc, 0, v16
	s_and_saveexec_b64 s[4:5], vcc
; %bb.129:
	v_add_f64 v[8:9], v[4:5], v[8:9]
	v_cmp_eq_u32_e32 vcc, 0, v12
	v_cndmask_b32_e32 v5, v5, v9, vcc
	v_cndmask_b32_e32 v4, v4, v8, vcc
	v_and_or_b32 v12, v17, 1, v12
; %bb.130:
	s_or_b64 exec, exec, s[4:5]
	v_mov_b32_dpp v8, v4 row_shr:2 row_mask:0xf bank_mask:0xf
	v_mov_b32_dpp v9, v5 row_shr:2 row_mask:0xf bank_mask:0xf
	v_mov_b32_dpp v17, v12 row_shr:2 row_mask:0xf bank_mask:0xf
	v_cmp_lt_u32_e32 vcc, 1, v16
	s_and_saveexec_b64 s[4:5], vcc
; %bb.131:
	v_add_f64 v[8:9], v[4:5], v[8:9]
	v_cmp_eq_u32_e32 vcc, 0, v12
	v_cndmask_b32_e32 v4, v4, v8, vcc
	v_or_b32_e32 v8, v17, v12
	v_cndmask_b32_e32 v5, v5, v9, vcc
	v_and_b32_e32 v12, 1, v8
; %bb.132:
	s_or_b64 exec, exec, s[4:5]
	v_mov_b32_dpp v8, v4 row_shr:4 row_mask:0xf bank_mask:0xf
	v_mov_b32_dpp v9, v5 row_shr:4 row_mask:0xf bank_mask:0xf
	;; [unrolled: 1-line block ×3, first 2 shown]
	v_cmp_lt_u32_e32 vcc, 3, v16
	s_and_saveexec_b64 s[4:5], vcc
	s_mov_b32 s78, s14
	s_mov_b64 s[58:59], s[86:87]
	s_mov_b64 s[66:67], s[94:95]
	s_mov_b64 s[76:77], s[12:13]
	s_mov_b64 s[74:75], s[10:11]
	s_mov_b64 s[72:73], s[8:9]
	s_mov_b64 s[60:61], s[0:1]
	s_mov_b64 s[0:1], s[88:89]
	s_mov_b64 s[68:69], s[6:7]
	s_mov_b64 s[80:81], s[90:91]
; %bb.133:
	v_add_f64 v[8:9], v[4:5], v[8:9]
	v_cmp_eq_u32_e32 vcc, 0, v12
	v_cndmask_b32_e32 v4, v4, v8, vcc
	v_or_b32_e32 v8, v17, v12
	v_cndmask_b32_e32 v5, v5, v9, vcc
	v_and_b32_e32 v12, 1, v8
; %bb.134:
	s_or_b64 exec, exec, s[4:5]
	v_mov_b32_dpp v8, v4 row_shr:8 row_mask:0xf bank_mask:0xf
	v_mov_b32_dpp v9, v5 row_shr:8 row_mask:0xf bank_mask:0xf
	;; [unrolled: 1-line block ×3, first 2 shown]
	v_cmp_lt_u32_e32 vcc, 7, v16
	s_and_saveexec_b64 s[4:5], vcc
; %bb.135:
	v_add_f64 v[8:9], v[4:5], v[8:9]
	v_cmp_eq_u32_e32 vcc, 0, v12
	v_cndmask_b32_e32 v4, v4, v8, vcc
	v_or_b32_e32 v8, v17, v12
	v_cndmask_b32_e32 v5, v5, v9, vcc
	v_and_b32_e32 v12, 1, v8
; %bb.136:
	s_or_b64 exec, exec, s[4:5]
	v_and_b32_e32 v17, 16, v13
	v_mov_b32_dpp v8, v4 row_bcast:15 row_mask:0xf bank_mask:0xf
	v_mov_b32_dpp v9, v5 row_bcast:15 row_mask:0xf bank_mask:0xf
	;; [unrolled: 1-line block ×3, first 2 shown]
	v_cmp_ne_u32_e32 vcc, 0, v17
	s_and_saveexec_b64 s[4:5], vcc
; %bb.137:
	v_add_f64 v[8:9], v[4:5], v[8:9]
	v_cmp_eq_u32_e32 vcc, 0, v12
	v_cndmask_b32_e32 v4, v4, v8, vcc
	v_or_b32_e32 v8, v16, v12
	v_cndmask_b32_e32 v5, v5, v9, vcc
	v_and_b32_e32 v12, 1, v8
; %bb.138:
	s_or_b64 exec, exec, s[4:5]
	v_mov_b32_dpp v8, v4 row_bcast:31 row_mask:0xf bank_mask:0xf
	v_mov_b32_dpp v9, v5 row_bcast:31 row_mask:0xf bank_mask:0xf
	;; [unrolled: 1-line block ×3, first 2 shown]
	v_cmp_lt_u32_e32 vcc, 31, v13
	v_mov_b32_e32 v16, v12
	s_and_saveexec_b64 s[4:5], vcc
; %bb.139:
	v_add_f64 v[8:9], v[4:5], v[8:9]
	v_cmp_eq_u32_e32 vcc, 0, v12
	v_cndmask_b32_e32 v4, v4, v8, vcc
	v_or_b32_e32 v8, v17, v12
	v_cndmask_b32_e32 v5, v5, v9, vcc
	v_and_b32_e32 v16, 1, v8
	v_and_b32_e32 v12, 1, v8
; %bb.140:
	s_or_b64 exec, exec, s[4:5]
	v_cmp_eq_u32_e32 vcc, 63, v0
	s_and_saveexec_b64 s[4:5], vcc
	s_cbranch_execz .LBB1121_142
; %bb.141:
	v_mov_b32_e32 v8, 0
	ds_write_b64 v8, v[4:5]
	ds_write_b8 v8, v16 offset:8
.LBB1121_142:
	s_or_b64 exec, exec, s[4:5]
	v_add_u32_e32 v8, -1, v13
	v_and_b32_e32 v9, 64, v13
	v_cmp_lt_i32_e32 vcc, v8, v9
	v_cndmask_b32_e32 v8, v8, v13, vcc
	v_lshlrev_b32_e32 v8, 2, v8
	ds_bpermute_b32 v4, v8, v4
	ds_bpermute_b32 v5, v8, v5
	;; [unrolled: 1-line block ×3, first 2 shown]
	v_cmp_gt_u32_e32 vcc, 64, v0
	s_waitcnt lgkmcnt(0)
	; wave barrier
	s_waitcnt lgkmcnt(0)
	s_and_saveexec_b64 s[50:51], vcc
	s_cbranch_execz .LBB1121_185
; %bb.143:
	v_mov_b32_e32 v17, 0
	ds_read_b64 v[8:9], v17
	ds_read_u8 v45, v17 offset:8
	s_mov_b32 s53, 0
	v_cmp_eq_u32_e64 s[48:49], 0, v13
	s_and_saveexec_b64 s[4:5], s[48:49]
	s_cbranch_execz .LBB1121_145
; %bb.144:
	s_add_i32 s52, s33, 64
	s_lshl_b64 s[54:55], s[52:53], 4
	s_add_u32 s54, s72, s54
	s_addc_u32 s55, s73, s55
	v_mov_b32_e32 v12, s52
	v_mov_b32_e32 v16, 1
	s_waitcnt lgkmcnt(1)
	global_store_dwordx2 v17, v[8:9], s[54:55]
	s_waitcnt lgkmcnt(0)
	global_store_byte v17, v45, s[54:55] offset:8
	s_waitcnt vmcnt(0)
	buffer_wbinvl1_vol
	global_store_byte v12, v16, s[76:77]
.LBB1121_145:
	s_or_b64 exec, exec, s[4:5]
	v_xad_u32 v12, v13, -1, s33
	v_add_u32_e32 v16, 64, v12
	global_load_ubyte v48, v16, s[76:77] glc
	s_waitcnt vmcnt(0)
	v_cmp_eq_u16_e32 vcc, 0, v48
	s_and_saveexec_b64 s[4:5], vcc
	s_cbranch_execz .LBB1121_149
; %bb.146:
	v_mov_b32_e32 v25, s77
	v_add_co_u32_e32 v24, vcc, s76, v16
	v_addc_co_u32_e32 v25, vcc, 0, v25, vcc
	s_mov_b64 s[52:53], 0
.LBB1121_147:                           ; =>This Inner Loop Header: Depth=1
	global_load_ubyte v48, v[24:25], off glc
	s_waitcnt vmcnt(0)
	v_cmp_ne_u16_e32 vcc, 0, v48
	s_or_b64 s[52:53], vcc, s[52:53]
	s_andn2_b64 exec, exec, s[52:53]
	s_cbranch_execnz .LBB1121_147
; %bb.148:
	s_or_b64 exec, exec, s[52:53]
.LBB1121_149:
	s_or_b64 exec, exec, s[4:5]
	v_mov_b32_e32 v24, s75
	v_mov_b32_e32 v25, s73
	v_cmp_eq_u16_e32 vcc, 1, v48
	v_cndmask_b32_e32 v24, v24, v25, vcc
	v_mov_b32_e32 v25, s74
	v_mov_b32_e32 v28, s72
	v_cndmask_b32_e32 v25, v25, v28, vcc
	v_lshlrev_b64 v[16:17], 4, v[16:17]
	v_add_co_u32_e32 v16, vcc, v25, v16
	v_addc_co_u32_e32 v17, vcc, v24, v17, vcc
	s_waitcnt lgkmcnt(0)
	buffer_wbinvl1_vol
	global_load_dwordx2 v[28:29], v[16:17], off
	global_load_ubyte v32, v[16:17], off offset:8
	v_cmp_eq_u16_e32 vcc, 2, v48
	v_lshlrev_b64 v[16:17], v13, -1
	v_and_b32_e32 v49, 63, v13
	v_and_b32_e32 v24, vcc_hi, v17
	v_and_b32_e32 v33, vcc_lo, v16
	v_cmp_ne_u32_e32 vcc, 63, v49
	v_addc_co_u32_e32 v25, vcc, 0, v13, vcc
	v_or_b32_e32 v24, 0x80000000, v24
	v_lshlrev_b32_e32 v52, 2, v25
	v_ffbl_b32_e32 v56, v24
	v_add_u32_e32 v56, 32, v56
	v_ffbl_b32_e32 v33, v33
	v_min_u32_e32 v33, v33, v56
	v_cmp_lt_u32_e32 vcc, v49, v33
	s_waitcnt vmcnt(1)
	ds_bpermute_b32 v24, v52, v28
	s_waitcnt vmcnt(0)
	v_and_b32_e32 v72, 1, v32
	ds_bpermute_b32 v25, v52, v29
	ds_bpermute_b32 v53, v52, v72
	s_and_saveexec_b64 s[4:5], vcc
	s_cbranch_execz .LBB1121_151
; %bb.150:
	v_mov_b32_e32 v56, 0
	s_waitcnt lgkmcnt(1)
	v_add_f64 v[24:25], v[28:29], v[24:25]
	v_cmp_eq_u16_sdwa vcc, v32, v56 src0_sel:BYTE_0 src1_sel:DWORD
	v_cndmask_b32_e32 v28, v28, v24, vcc
	s_waitcnt lgkmcnt(0)
	v_and_b32_e32 v24, 1, v53
	v_or_b32_e32 v32, v24, v32
	v_cndmask_b32_e32 v29, v29, v25, vcc
	v_and_b32_e32 v72, 0xff, v32
.LBB1121_151:
	s_or_b64 exec, exec, s[4:5]
	v_cmp_gt_u32_e32 vcc, 62, v49
	s_waitcnt lgkmcnt(2)
	v_cndmask_b32_e64 v24, 0, 1, vcc
	v_lshlrev_b32_e32 v24, 1, v24
	s_waitcnt lgkmcnt(0)
	v_add_lshl_u32 v53, v24, v13, 2
	ds_bpermute_b32 v24, v53, v28
	ds_bpermute_b32 v25, v53, v29
	ds_bpermute_b32 v57, v53, v72
	v_add_u32_e32 v56, 2, v49
	v_cmp_le_u32_e32 vcc, v56, v33
	s_and_saveexec_b64 s[52:53], vcc
	s_cbranch_execz .LBB1121_153
; %bb.152:
	v_mov_b32_e32 v60, 0
	s_waitcnt lgkmcnt(1)
	v_add_f64 v[24:25], v[28:29], v[24:25]
	v_cmp_eq_u16_sdwa vcc, v32, v60 src0_sel:BYTE_0 src1_sel:DWORD
	v_cndmask_b32_e32 v28, v28, v24, vcc
	v_and_b32_e32 v24, 1, v32
	v_cndmask_b32_e32 v29, v29, v25, vcc
	v_cmp_eq_u32_e32 vcc, 1, v24
	s_waitcnt lgkmcnt(0)
	v_and_b32_e32 v24, 1, v57
	v_cmp_eq_u32_e64 s[4:5], 1, v24
	s_or_b64 s[4:5], vcc, s[4:5]
	v_cndmask_b32_e64 v32, 0, 1, s[4:5]
	v_cndmask_b32_e64 v72, 0, 1, s[4:5]
.LBB1121_153:
	s_or_b64 exec, exec, s[52:53]
	v_cmp_gt_u32_e32 vcc, 60, v49
	s_waitcnt lgkmcnt(2)
	v_cndmask_b32_e64 v24, 0, 1, vcc
	v_lshlrev_b32_e32 v24, 2, v24
	s_waitcnt lgkmcnt(0)
	v_add_lshl_u32 v57, v24, v13, 2
	ds_bpermute_b32 v24, v57, v28
	ds_bpermute_b32 v25, v57, v29
	ds_bpermute_b32 v61, v57, v72
	v_add_u32_e32 v60, 4, v49
	v_cmp_le_u32_e32 vcc, v60, v33
	s_and_saveexec_b64 s[52:53], vcc
	s_cbranch_execz .LBB1121_155
; %bb.154:
	v_mov_b32_e32 v64, 0
	s_waitcnt lgkmcnt(1)
	v_add_f64 v[24:25], v[28:29], v[24:25]
	v_cmp_eq_u16_sdwa vcc, v32, v64 src0_sel:BYTE_0 src1_sel:DWORD
	v_cndmask_b32_e32 v28, v28, v24, vcc
	v_and_b32_e32 v24, 1, v32
	v_cndmask_b32_e32 v29, v29, v25, vcc
	v_cmp_eq_u32_e32 vcc, 1, v24
	s_waitcnt lgkmcnt(0)
	v_and_b32_e32 v24, 1, v61
	v_cmp_eq_u32_e64 s[4:5], 1, v24
	s_or_b64 s[4:5], vcc, s[4:5]
	v_cndmask_b32_e64 v32, 0, 1, s[4:5]
	v_cndmask_b32_e64 v72, 0, 1, s[4:5]
.LBB1121_155:
	;; [unrolled: 30-line block ×4, first 2 shown]
	s_or_b64 exec, exec, s[52:53]
	v_cmp_gt_u32_e32 vcc, 32, v49
	s_waitcnt lgkmcnt(2)
	v_cndmask_b32_e64 v24, 0, 1, vcc
	v_lshlrev_b32_e32 v24, 5, v24
	s_waitcnt lgkmcnt(0)
	v_add_lshl_u32 v69, v24, v13, 2
	ds_bpermute_b32 v24, v69, v28
	ds_bpermute_b32 v25, v69, v29
	;; [unrolled: 1-line block ×3, first 2 shown]
	v_add_u32_e32 v73, 32, v49
	v_cmp_le_u32_e32 vcc, v73, v33
	s_and_saveexec_b64 s[52:53], vcc
	s_cbranch_execz .LBB1121_161
; %bb.160:
	v_mov_b32_e32 v33, 0
	s_waitcnt lgkmcnt(1)
	v_add_f64 v[24:25], v[28:29], v[24:25]
	v_cmp_eq_u16_sdwa vcc, v32, v33 src0_sel:BYTE_0 src1_sel:DWORD
	v_cndmask_b32_e32 v28, v28, v24, vcc
	v_and_b32_e32 v24, 1, v32
	s_waitcnt lgkmcnt(0)
	v_and_b32_e32 v13, 1, v13
	v_cndmask_b32_e32 v29, v29, v25, vcc
	v_cmp_eq_u32_e32 vcc, 1, v24
	v_cmp_eq_u32_e64 s[4:5], 1, v13
	s_or_b64 s[4:5], vcc, s[4:5]
	v_cndmask_b32_e64 v32, 0, 1, s[4:5]
.LBB1121_161:
	s_or_b64 exec, exec, s[52:53]
	s_waitcnt lgkmcnt(0)
	v_mov_b32_e32 v13, 0
	v_mov_b32_e32 v76, 2
	s_branch .LBB1121_163
.LBB1121_162:                           ;   in Loop: Header=BB1121_163 Depth=1
	s_or_b64 exec, exec, s[54:55]
	v_add_f64 v[28:29], v[24:25], v[28:29]
	v_cmp_eq_u16_sdwa vcc, v72, v13 src0_sel:BYTE_0 src1_sel:DWORD
	s_waitcnt lgkmcnt(2)
	v_and_b32_e32 v32, 1, v72
	v_cndmask_b32_e32 v29, v25, v29, vcc
	v_cndmask_b32_e32 v28, v24, v28, vcc
	v_cmp_eq_u32_e32 vcc, 1, v32
	s_or_b64 s[4:5], vcc, s[52:53]
	v_subrev_u32_e32 v12, 64, v12
	v_cndmask_b32_e64 v32, 0, 1, s[4:5]
.LBB1121_163:                           ; =>This Loop Header: Depth=1
                                        ;     Child Loop BB1121_166 Depth 2
	v_cmp_ne_u16_sdwa s[4:5], v48, v76 src0_sel:BYTE_0 src1_sel:DWORD
	v_cndmask_b32_e64 v24, 0, 1, s[4:5]
	;;#ASMSTART
	;;#ASMEND
	v_cmp_ne_u32_e32 vcc, 0, v24
	v_mov_b32_e32 v72, v32
	s_cmp_lg_u64 vcc, exec
	v_pk_mov_b32 v[24:25], v[28:29], v[28:29] op_sel:[0,1]
	s_cbranch_scc1 .LBB1121_180
; %bb.164:                              ;   in Loop: Header=BB1121_163 Depth=1
	global_load_ubyte v48, v12, s[76:77] glc
	s_waitcnt vmcnt(0)
	v_cmp_eq_u16_e32 vcc, 0, v48
	s_and_saveexec_b64 s[4:5], vcc
	s_cbranch_execz .LBB1121_168
; %bb.165:                              ;   in Loop: Header=BB1121_163 Depth=1
	v_mov_b32_e32 v29, s77
	v_add_co_u32_e32 v28, vcc, s76, v12
	v_addc_co_u32_e32 v29, vcc, 0, v29, vcc
	s_mov_b64 s[52:53], 0
.LBB1121_166:                           ;   Parent Loop BB1121_163 Depth=1
                                        ; =>  This Inner Loop Header: Depth=2
	global_load_ubyte v48, v[28:29], off glc
	s_waitcnt vmcnt(0)
	v_cmp_ne_u16_e32 vcc, 0, v48
	s_or_b64 s[52:53], vcc, s[52:53]
	s_andn2_b64 exec, exec, s[52:53]
	s_cbranch_execnz .LBB1121_166
; %bb.167:                              ;   in Loop: Header=BB1121_163 Depth=1
	s_or_b64 exec, exec, s[52:53]
.LBB1121_168:                           ;   in Loop: Header=BB1121_163 Depth=1
	s_or_b64 exec, exec, s[4:5]
	v_mov_b32_e32 v28, s75
	v_mov_b32_e32 v29, s73
	v_cmp_eq_u16_e32 vcc, 1, v48
	s_waitcnt lgkmcnt(1)
	v_cndmask_b32_e32 v33, v28, v29, vcc
	v_mov_b32_e32 v28, s74
	v_mov_b32_e32 v29, s72
	v_cndmask_b32_e32 v32, v28, v29, vcc
	v_lshlrev_b64 v[28:29], 4, v[12:13]
	v_add_co_u32_e32 v32, vcc, v32, v28
	v_addc_co_u32_e32 v33, vcc, v33, v29, vcc
	buffer_wbinvl1_vol
	global_load_dwordx2 v[28:29], v[32:33], off
	global_load_ubyte v77, v[32:33], off offset:8
	v_cmp_eq_u16_e32 vcc, 2, v48
	v_and_b32_e32 v32, vcc_hi, v17
	v_or_b32_e32 v32, 0x80000000, v32
	v_ffbl_b32_e32 v83, v32
	v_and_b32_e32 v80, vcc_lo, v16
	v_add_u32_e32 v83, 32, v83
	v_ffbl_b32_e32 v80, v80
	v_min_u32_e32 v80, v80, v83
	v_cmp_lt_u32_e32 vcc, v49, v80
	s_waitcnt vmcnt(1)
	ds_bpermute_b32 v32, v52, v28
	s_waitcnt vmcnt(0) lgkmcnt(1)
	v_and_b32_e32 v81, 1, v77
	ds_bpermute_b32 v33, v52, v29
	ds_bpermute_b32 v82, v52, v81
	s_and_saveexec_b64 s[4:5], vcc
	s_cbranch_execz .LBB1121_170
; %bb.169:                              ;   in Loop: Header=BB1121_163 Depth=1
	s_waitcnt lgkmcnt(1)
	v_add_f64 v[32:33], v[28:29], v[32:33]
	v_cmp_eq_u16_sdwa vcc, v77, v13 src0_sel:BYTE_0 src1_sel:DWORD
	v_cndmask_b32_e32 v28, v28, v32, vcc
	s_waitcnt lgkmcnt(0)
	v_and_b32_e32 v32, 1, v82
	v_or_b32_e32 v77, v32, v77
	v_cndmask_b32_e32 v29, v29, v33, vcc
	v_and_b32_e32 v81, 0xff, v77
.LBB1121_170:                           ;   in Loop: Header=BB1121_163 Depth=1
	s_or_b64 exec, exec, s[4:5]
	s_waitcnt lgkmcnt(2)
	ds_bpermute_b32 v32, v53, v28
	s_waitcnt lgkmcnt(2)
	ds_bpermute_b32 v33, v53, v29
	;; [unrolled: 2-line block ×3, first 2 shown]
	v_and_b32_e32 v83, 1, v77
	v_cmp_le_u32_e32 vcc, v56, v80
	v_cmp_eq_u32_e64 s[52:53], 1, v83
	s_and_saveexec_b64 s[4:5], vcc
	s_cbranch_execz .LBB1121_172
; %bb.171:                              ;   in Loop: Header=BB1121_163 Depth=1
	s_waitcnt lgkmcnt(1)
	v_add_f64 v[32:33], v[28:29], v[32:33]
	v_cmp_eq_u16_sdwa vcc, v77, v13 src0_sel:BYTE_0 src1_sel:DWORD
	v_cndmask_b32_e32 v28, v28, v32, vcc
	s_waitcnt lgkmcnt(0)
	v_and_b32_e32 v32, 1, v82
	v_cndmask_b32_e32 v29, v29, v33, vcc
	v_cmp_eq_u32_e32 vcc, 1, v32
	s_or_b64 s[54:55], s[52:53], vcc
	v_cndmask_b32_e64 v77, 0, 1, s[54:55]
	v_cndmask_b32_e64 v81, 0, 1, s[54:55]
	s_andn2_b64 s[52:53], s[52:53], exec
	s_and_b64 s[54:55], s[54:55], exec
	s_or_b64 s[52:53], s[52:53], s[54:55]
.LBB1121_172:                           ;   in Loop: Header=BB1121_163 Depth=1
	s_or_b64 exec, exec, s[4:5]
	s_waitcnt lgkmcnt(2)
	ds_bpermute_b32 v32, v57, v28
	s_waitcnt lgkmcnt(2)
	ds_bpermute_b32 v33, v57, v29
	s_waitcnt lgkmcnt(2)
	ds_bpermute_b32 v82, v57, v81
	v_cmp_le_u32_e32 vcc, v60, v80
	s_and_saveexec_b64 s[54:55], vcc
	s_cbranch_execz .LBB1121_174
; %bb.173:                              ;   in Loop: Header=BB1121_163 Depth=1
	s_waitcnt lgkmcnt(1)
	v_add_f64 v[32:33], v[28:29], v[32:33]
	v_cmp_eq_u16_sdwa vcc, v77, v13 src0_sel:BYTE_0 src1_sel:DWORD
	v_cndmask_b32_e32 v28, v28, v32, vcc
	v_and_b32_e32 v32, 1, v77
	v_cndmask_b32_e32 v29, v29, v33, vcc
	v_cmp_eq_u32_e32 vcc, 1, v32
	s_waitcnt lgkmcnt(0)
	v_and_b32_e32 v32, 1, v82
	v_cmp_eq_u32_e64 s[4:5], 1, v32
	s_or_b64 s[4:5], vcc, s[4:5]
	v_cndmask_b32_e64 v77, 0, 1, s[4:5]
	v_cndmask_b32_e64 v81, 0, 1, s[4:5]
	s_andn2_b64 s[52:53], s[52:53], exec
	s_and_b64 s[4:5], s[4:5], exec
	s_or_b64 s[52:53], s[52:53], s[4:5]
.LBB1121_174:                           ;   in Loop: Header=BB1121_163 Depth=1
	s_or_b64 exec, exec, s[54:55]
	s_waitcnt lgkmcnt(2)
	ds_bpermute_b32 v32, v61, v28
	s_waitcnt lgkmcnt(2)
	ds_bpermute_b32 v33, v61, v29
	s_waitcnt lgkmcnt(2)
	ds_bpermute_b32 v82, v61, v81
	v_cmp_le_u32_e32 vcc, v64, v80
	s_and_saveexec_b64 s[54:55], vcc
	s_cbranch_execz .LBB1121_176
; %bb.175:                              ;   in Loop: Header=BB1121_163 Depth=1
	s_waitcnt lgkmcnt(1)
	v_add_f64 v[32:33], v[28:29], v[32:33]
	v_cmp_eq_u16_sdwa vcc, v77, v13 src0_sel:BYTE_0 src1_sel:DWORD
	v_cndmask_b32_e32 v28, v28, v32, vcc
	v_and_b32_e32 v32, 1, v77
	v_cndmask_b32_e32 v29, v29, v33, vcc
	v_cmp_eq_u32_e32 vcc, 1, v32
	s_waitcnt lgkmcnt(0)
	v_and_b32_e32 v32, 1, v82
	v_cmp_eq_u32_e64 s[4:5], 1, v32
	s_or_b64 s[4:5], vcc, s[4:5]
	v_cndmask_b32_e64 v77, 0, 1, s[4:5]
	v_cndmask_b32_e64 v81, 0, 1, s[4:5]
	s_andn2_b64 s[52:53], s[52:53], exec
	s_and_b64 s[4:5], s[4:5], exec
	s_or_b64 s[52:53], s[52:53], s[4:5]
.LBB1121_176:                           ;   in Loop: Header=BB1121_163 Depth=1
	;; [unrolled: 28-line block ×3, first 2 shown]
	s_or_b64 exec, exec, s[54:55]
	s_waitcnt lgkmcnt(2)
	ds_bpermute_b32 v32, v69, v28
	s_waitcnt lgkmcnt(2)
	ds_bpermute_b32 v33, v69, v29
	ds_bpermute_b32 v81, v69, v81
	v_cmp_le_u32_e32 vcc, v73, v80
	s_and_saveexec_b64 s[54:55], vcc
	s_cbranch_execz .LBB1121_162
; %bb.179:                              ;   in Loop: Header=BB1121_163 Depth=1
	s_waitcnt lgkmcnt(1)
	v_add_f64 v[32:33], v[28:29], v[32:33]
	v_cmp_eq_u16_sdwa vcc, v77, v13 src0_sel:BYTE_0 src1_sel:DWORD
	v_cndmask_b32_e32 v28, v28, v32, vcc
	v_and_b32_e32 v32, 1, v77
	v_cndmask_b32_e32 v29, v29, v33, vcc
	v_cmp_eq_u32_e32 vcc, 1, v32
	s_waitcnt lgkmcnt(0)
	v_and_b32_e32 v32, 1, v81
	v_cmp_eq_u32_e64 s[4:5], 1, v32
	s_or_b64 s[4:5], vcc, s[4:5]
	s_andn2_b64 s[52:53], s[52:53], exec
	s_and_b64 s[4:5], s[4:5], exec
	s_or_b64 s[52:53], s[52:53], s[4:5]
	s_branch .LBB1121_162
.LBB1121_180:                           ;   in Loop: Header=BB1121_163 Depth=1
                                        ; implicit-def: $vgpr32
                                        ; implicit-def: $vgpr28_vgpr29
                                        ; implicit-def: $vgpr48
	s_cbranch_execz .LBB1121_163
; %bb.181:
	s_and_saveexec_b64 s[4:5], s[48:49]
	s_cbranch_execz .LBB1121_183
; %bb.182:
	s_mov_b32 s49, 0
	s_add_i32 s48, s33, 64
	v_mov_b32_e32 v16, 0
	s_lshl_b64 s[52:53], s[48:49], 4
	v_add_f64 v[12:13], v[8:9], v[24:25]
	v_cmp_eq_u16_sdwa vcc, v45, v16 src0_sel:BYTE_0 src1_sel:DWORD
	s_add_u32 s52, s74, s52
	v_cndmask_b32_e32 v9, v9, v13, vcc
	v_cndmask_b32_e32 v8, v8, v12, vcc
	v_or_b32_e32 v12, v45, v72
	s_addc_u32 s53, s75, s53
	v_and_b32_e32 v12, 1, v12
	global_store_dwordx2 v16, v[8:9], s[52:53]
	global_store_byte v16, v12, s[52:53] offset:8
	v_mov_b32_e32 v8, s48
	v_mov_b32_e32 v9, 2
	s_waitcnt vmcnt(0) lgkmcnt(0)
	buffer_wbinvl1_vol
	global_store_byte v8, v9, s[76:77]
.LBB1121_183:
	s_or_b64 exec, exec, s[4:5]
	s_and_b64 exec, exec, s[0:1]
	s_cbranch_execz .LBB1121_185
; %bb.184:
	v_mov_b32_e32 v8, 0
	ds_write_b64 v8, v[24:25]
	ds_write_b8 v8, v72 offset:8
.LBB1121_185:
	s_or_b64 exec, exec, s[50:51]
	v_mov_b32_e32 v12, 0
	v_and_b32_e32 v13, 1, v1
	s_waitcnt lgkmcnt(0)
	; wave barrier
	s_waitcnt lgkmcnt(0)
	ds_read_b64 v[8:9], v12
	v_cmp_eq_u32_e32 vcc, 1, v13
	v_and_b32_e32 v13, 1, v44
	v_cmp_eq_u32_e64 s[4:5], 1, v13
	s_or_b64 s[4:5], vcc, s[4:5]
	v_add_f64 v[4:5], v[2:3], v[4:5]
	v_cmp_eq_u16_sdwa vcc, v1, v12 src0_sel:BYTE_0 src1_sel:DWORD
	v_cndmask_b32_e64 v13, 0, 1, s[4:5]
	v_cndmask_b32_e32 v4, v2, v4, vcc
	v_cndmask_b32_e32 v5, v3, v5, vcc
	v_cndmask_b32_e64 v13, v13, v1, s[0:1]
	v_cndmask_b32_e64 v5, v5, v3, s[0:1]
	;; [unrolled: 1-line block ×3, first 2 shown]
	s_waitcnt lgkmcnt(0)
	v_add_f64 v[8:9], v[4:5], v[8:9]
	v_cmp_eq_u16_sdwa vcc, v13, v12 src0_sel:BYTE_0 src1_sel:DWORD
	v_cndmask_b32_e32 v115, v5, v9, vcc
	v_cndmask_b32_e32 v114, v4, v8, vcc
	v_readlane_b32 s4, v135, 10
	v_add_f64 v[4:5], v[18:19], v[114:115]
	v_readlane_b32 s5, v135, 11
	v_cndmask_b32_e64 v45, v19, v5, s[4:5]
	v_cndmask_b32_e64 v44, v18, v4, s[4:5]
	v_readlane_b32 s4, v135, 12
	v_add_f64 v[4:5], v[6:7], v[44:45]
	v_readlane_b32 s5, v135, 13
	v_cndmask_b32_e64 v81, v7, v5, s[4:5]
	v_cndmask_b32_e64 v80, v6, v4, s[4:5]
	v_add_f64 v[4:5], v[26:27], v[80:81]
	v_cndmask_b32_e64 v49, v27, v5, s[92:93]
	v_cndmask_b32_e64 v48, v26, v4, s[92:93]
	v_add_f64 v[4:5], v[14:15], v[48:49]
	;; [unrolled: 3-line block ×18, first 2 shown]
	v_cndmask_b32_e64 v121, v21, v5, s[46:47]
	v_cndmask_b32_e64 v120, v20, v4, s[46:47]
	s_mov_b64 s[4:5], 0
	s_mov_b32 s2, s15
	s_branch .LBB1121_187
.LBB1121_186:
                                        ; implicit-def: $vgpr112_vgpr113_vgpr114_vgpr115
	s_mov_b64 s[4:5], -1
                                        ; implicit-def: $vgpr120_vgpr121
                                        ; implicit-def: $vgpr118_vgpr119
                                        ; implicit-def: $vgpr76_vgpr77
                                        ; implicit-def: $vgpr72_vgpr73
                                        ; implicit-def: $vgpr68_vgpr69
                                        ; implicit-def: $vgpr64_vgpr65
                                        ; implicit-def: $vgpr60_vgpr61
                                        ; implicit-def: $vgpr56_vgpr57
                                        ; implicit-def: $vgpr52_vgpr53
                                        ; implicit-def: $vgpr48_vgpr49
                                        ; implicit-def: $vgpr44_vgpr45
                                        ; implicit-def: $vgpr108_vgpr109_vgpr110_vgpr111
                                        ; implicit-def: $vgpr104_vgpr105_vgpr106_vgpr107
                                        ; implicit-def: $vgpr100_vgpr101_vgpr102_vgpr103
                                        ; implicit-def: $vgpr96_vgpr97_vgpr98_vgpr99
                                        ; implicit-def: $vgpr92_vgpr93_vgpr94_vgpr95
                                        ; implicit-def: $vgpr88_vgpr89_vgpr90_vgpr91
                                        ; implicit-def: $vgpr84_vgpr85_vgpr86_vgpr87
                                        ; implicit-def: $vgpr80_vgpr81_vgpr82_vgpr83
                                        ; implicit-def: $vgpr114_vgpr115_vgpr116_vgpr117
.LBB1121_187:
	s_and_b64 vcc, exec, s[4:5]
	v_readlane_b32 s4, v135, 2
	v_readlane_b32 s6, v135, 4
	;; [unrolled: 1-line block ×8, first 2 shown]
	s_cbranch_vccz .LBB1121_209
; %bb.188:
	v_readlane_b32 s4, v135, 0
	v_readlane_b32 s5, v135, 1
	s_cmp_lg_u64 s[4:5], 0
	s_cselect_b32 s7, s7, 0
	s_cselect_b32 s6, s6, 0
	s_cmp_lg_u64 s[6:7], 0
	s_cselect_b64 s[4:5], -1, 0
	s_and_b64 s[8:9], s[0:1], s[4:5]
	s_and_saveexec_b64 s[4:5], s[8:9]
	s_cbranch_execz .LBB1121_190
; %bb.189:
	v_mov_b32_e32 v8, 0
	global_load_dwordx2 v[4:5], v8, s[6:7]
	global_load_ubyte v9, v8, s[6:7] offset:8
	v_cmp_eq_u16_sdwa vcc, v1, v8 src0_sel:BYTE_0 src1_sel:DWORD
	s_waitcnt vmcnt(1)
	v_add_f64 v[4:5], v[2:3], v[4:5]
	s_waitcnt vmcnt(0)
	v_or_b32_e32 v9, v1, v9
	v_cndmask_b32_e32 v3, v3, v5, vcc
	v_cndmask_b32_e32 v2, v2, v4, vcc
	v_and_b32_e32 v1, 1, v9
.LBB1121_190:
	s_or_b64 exec, exec, s[4:5]
	v_mov_b32_e32 v9, 0
	v_add_f64 v[4:5], v[18:19], v[2:3]
	v_cmp_eq_u16_sdwa vcc, v128, v9 src0_sel:BYTE_0 src1_sel:DWORD
	v_cndmask_b32_e32 v45, v19, v5, vcc
	v_cndmask_b32_e32 v44, v18, v4, vcc
	s_movk_i32 s40, 0xff
	v_add_f64 v[4:5], v[6:7], v[44:45]
	v_cmp_eq_u16_sdwa s[6:7], v134, v9 src0_sel:BYTE_0 src1_sel:DWORD
	v_cndmask_b32_e64 v81, v7, v5, s[6:7]
	v_cndmask_b32_e64 v80, v6, v4, s[6:7]
	v_and_b32_sdwa v12, v128, s40 dst_sel:DWORD dst_unused:UNUSED_PAD src0_sel:WORD_1 src1_sel:DWORD
	v_add_f64 v[4:5], v[26:27], v[80:81]
	v_cmp_eq_u16_e64 s[8:9], 0, v12
	v_cndmask_b32_e64 v49, v27, v5, s[8:9]
	v_cndmask_b32_e64 v48, v26, v4, s[8:9]
	v_add_f64 v[4:5], v[14:15], v[48:49]
	v_cmp_eq_u16_sdwa s[10:11], v128, v9 src0_sel:BYTE_3 src1_sel:DWORD
	v_cndmask_b32_e64 v85, v15, v5, s[10:11]
	v_cndmask_b32_e64 v84, v14, v4, s[10:11]
	v_add_f64 v[4:5], v[34:35], v[84:85]
	v_cmp_eq_u16_sdwa s[12:13], v123, v9 src0_sel:BYTE_0 src1_sel:DWORD
	v_cndmask_b32_e64 v53, v35, v5, s[12:13]
	v_cndmask_b32_e64 v52, v34, v4, s[12:13]
	v_add_f64 v[4:5], v[22:23], v[52:53]
	v_cmp_eq_u16_sdwa s[14:15], v127, v9 src0_sel:BYTE_0 src1_sel:DWORD
	v_cndmask_b32_e64 v89, v23, v5, s[14:15]
	v_cndmask_b32_e64 v88, v22, v4, s[14:15]
	v_add_f64 v[4:5], v[42:43], v[88:89]
	v_cmp_eq_u16_sdwa s[16:17], v132, v9 src0_sel:BYTE_0 src1_sel:DWORD
	v_cndmask_b32_e64 v57, v43, v5, s[16:17]
	v_cndmask_b32_e64 v56, v42, v4, s[16:17]
	v_and_b32_sdwa v12, v127, s40 dst_sel:DWORD dst_unused:UNUSED_PAD src0_sel:WORD_1 src1_sel:DWORD
	v_add_f64 v[4:5], v[30:31], v[56:57]
	v_cmp_eq_u16_e64 s[18:19], 0, v12
	v_cndmask_b32_e64 v93, v31, v5, s[18:19]
	v_cndmask_b32_e64 v92, v30, v4, s[18:19]
	v_add_f64 v[4:5], v[50:51], v[92:93]
	v_cmp_eq_u16_sdwa s[20:21], v127, v9 src0_sel:BYTE_3 src1_sel:DWORD
	v_cndmask_b32_e64 v61, v51, v5, s[20:21]
	v_cndmask_b32_e64 v60, v50, v4, s[20:21]
	v_add_f64 v[4:5], v[38:39], v[60:61]
	v_cmp_eq_u16_sdwa s[22:23], v124, v9 src0_sel:BYTE_0 src1_sel:DWORD
	v_cndmask_b32_e64 v97, v39, v5, s[22:23]
	v_cndmask_b32_e64 v96, v38, v4, s[22:23]
	v_add_f64 v[4:5], v[58:59], v[96:97]
	v_cmp_eq_u16_sdwa s[24:25], v126, v9 src0_sel:BYTE_0 src1_sel:DWORD
	v_cndmask_b32_e64 v65, v59, v5, s[24:25]
	v_cndmask_b32_e64 v64, v58, v4, s[24:25]
	;; [unrolled: 21-line block ×3, first 2 shown]
	v_add_f64 v[4:5], v[78:79], v[108:109]
	v_cmp_eq_u16_sdwa s[38:39], v41, v9 src0_sel:BYTE_0 src1_sel:DWORD
	v_cndmask_b32_e64 v77, v79, v5, s[38:39]
	v_cndmask_b32_e64 v76, v78, v4, s[38:39]
	v_and_b32_sdwa v12, v125, s40 dst_sel:DWORD dst_unused:UNUSED_PAD src0_sel:WORD_1 src1_sel:DWORD
	v_add_f64 v[4:5], v[70:71], v[76:77]
	v_cmp_eq_u16_e64 s[40:41], 0, v12
	v_cndmask_b32_e64 v113, v71, v5, s[40:41]
	v_cndmask_b32_e64 v112, v70, v4, s[40:41]
	v_add_f64 v[4:5], v[10:11], v[112:113]
	v_cmp_eq_u16_sdwa s[42:43], v125, v9 src0_sel:BYTE_3 src1_sel:DWORD
	v_cndmask_b32_e64 v119, v11, v5, s[42:43]
	v_cndmask_b32_e64 v118, v10, v4, s[42:43]
	v_add_f64 v[4:5], v[20:21], v[118:119]
	v_cmp_eq_u16_sdwa s[44:45], v36, v9 src0_sel:BYTE_0 src1_sel:DWORD
	v_cndmask_b32_e64 v120, v20, v4, s[44:45]
	v_or_b32_e32 v4, v125, v126
	v_or3_b32 v4, v4, v127, v128
	v_lshrrev_b16_e32 v9, 7, v4
	v_cndmask_b32_e64 v121, v21, v5, s[44:45]
	v_and_b32_e32 v5, 1, v4
	v_and_b32_e32 v9, 2, v9
	v_or_b32_e32 v5, v5, v9
	v_lshrrev_b32_e32 v9, 23, v4
	v_mov_b32_e32 v12, 1
	v_and_b32_e32 v9, 2, v9
	v_and_b32_sdwa v4, v4, v12 dst_sel:DWORD dst_unused:UNUSED_PAD src0_sel:WORD_1 src1_sel:DWORD
	v_or_b32_e32 v4, v4, v9
	v_lshlrev_b16_e32 v4, 2, v4
	v_or_b32_e32 v4, v5, v4
	v_cmp_eq_u32_e64 s[50:51], 1, v40
	v_cmp_ne_u16_e64 s[52:53], 0, v4
	v_cmp_eq_u32_e64 s[48:49], 1, v129
	s_or_b64 s[50:51], s[52:53], s[50:51]
	v_cmp_eq_u32_e64 s[4:5], 1, v131
	s_or_b64 s[48:49], s[50:51], s[48:49]
	;; [unrolled: 2-line block ×3, first 2 shown]
	v_and_b32_e32 v8, 0xff, v1
	s_or_b64 s[4:5], s[4:5], s[46:47]
	v_mbcnt_hi_u32_b32 v16, -1, v37
	v_cndmask_b32_e64 v17, v8, 1, s[4:5]
	v_and_b32_e32 v24, 15, v16
	v_mov_b32_dpp v12, v120 row_shr:1 row_mask:0xf bank_mask:0xf
	v_mov_b32_dpp v13, v121 row_shr:1 row_mask:0xf bank_mask:0xf
	v_mov_b32_dpp v25, v17 row_shr:1 row_mask:0xf bank_mask:0xf
	v_cmp_ne_u32_e64 s[4:5], 0, v24
	v_pk_mov_b32 v[4:5], v[120:121], v[120:121] op_sel:[0,1]
	v_mov_b32_e32 v9, v121
	v_mov_b32_e32 v8, v120
	s_and_saveexec_b64 s[46:47], s[4:5]
; %bb.191:
	v_add_f64 v[4:5], v[120:121], v[12:13]
	v_cmp_eq_u32_e64 s[4:5], 0, v17
	v_cndmask_b32_e64 v5, v121, v5, s[4:5]
	v_cndmask_b32_e64 v4, v120, v4, s[4:5]
	v_and_or_b32 v17, v25, 1, v17
	v_mov_b32_e32 v9, v5
	v_mov_b32_e32 v8, v4
; %bb.192:
	s_or_b64 exec, exec, s[46:47]
	s_nop 0
	v_mov_b32_dpp v12, v8 row_shr:2 row_mask:0xf bank_mask:0xf
	v_mov_b32_dpp v13, v9 row_shr:2 row_mask:0xf bank_mask:0xf
	v_mov_b32_dpp v25, v17 row_shr:2 row_mask:0xf bank_mask:0xf
	v_cmp_lt_u32_e64 s[4:5], 1, v24
	s_and_saveexec_b64 s[46:47], s[4:5]
; %bb.193:
	v_add_f64 v[8:9], v[4:5], v[12:13]
	v_cmp_eq_u32_e64 s[4:5], 0, v17
	v_cndmask_b32_e64 v9, v5, v9, s[4:5]
	v_cndmask_b32_e64 v8, v4, v8, s[4:5]
	v_or_b32_e32 v4, v25, v17
	v_and_b32_e32 v17, 1, v4
	v_pk_mov_b32 v[4:5], v[8:9], v[8:9] op_sel:[0,1]
; %bb.194:
	s_or_b64 exec, exec, s[46:47]
	v_mov_b32_dpp v12, v8 row_shr:4 row_mask:0xf bank_mask:0xf
	v_mov_b32_dpp v13, v9 row_shr:4 row_mask:0xf bank_mask:0xf
	v_mov_b32_dpp v25, v17 row_shr:4 row_mask:0xf bank_mask:0xf
	v_cmp_lt_u32_e64 s[4:5], 3, v24
	s_and_saveexec_b64 s[46:47], s[4:5]
; %bb.195:
	v_add_f64 v[8:9], v[4:5], v[12:13]
	v_cmp_eq_u32_e64 s[4:5], 0, v17
	v_cndmask_b32_e64 v9, v5, v9, s[4:5]
	v_cndmask_b32_e64 v8, v4, v8, s[4:5]
	v_or_b32_e32 v4, v25, v17
	v_and_b32_e32 v17, 1, v4
	v_pk_mov_b32 v[4:5], v[8:9], v[8:9] op_sel:[0,1]
; %bb.196:
	s_or_b64 exec, exec, s[46:47]
	;; [unrolled: 15-line block ×3, first 2 shown]
	v_and_b32_e32 v25, 16, v16
	v_mov_b32_dpp v12, v8 row_bcast:15 row_mask:0xf bank_mask:0xf
	v_mov_b32_dpp v13, v9 row_bcast:15 row_mask:0xf bank_mask:0xf
	;; [unrolled: 1-line block ×3, first 2 shown]
	v_cmp_ne_u32_e64 s[4:5], 0, v25
	s_and_saveexec_b64 s[46:47], s[4:5]
; %bb.199:
	v_add_f64 v[8:9], v[4:5], v[12:13]
	v_cmp_eq_u32_e64 s[4:5], 0, v17
	v_cndmask_b32_e64 v5, v5, v9, s[4:5]
	v_cndmask_b32_e64 v4, v4, v8, s[4:5]
	v_or_b32_e32 v8, v24, v17
	v_and_b32_e32 v17, 1, v8
	v_mov_b32_e32 v9, v5
	v_mov_b32_e32 v8, v4
; %bb.200:
	s_or_b64 exec, exec, s[46:47]
	s_nop 0
	v_mov_b32_dpp v8, v8 row_bcast:31 row_mask:0xf bank_mask:0xf
	v_mov_b32_dpp v9, v9 row_bcast:31 row_mask:0xf bank_mask:0xf
	;; [unrolled: 1-line block ×3, first 2 shown]
	v_cmp_lt_u32_e64 s[4:5], 31, v16
	s_and_saveexec_b64 s[46:47], s[4:5]
; %bb.201:
	v_add_f64 v[8:9], v[4:5], v[8:9]
	v_cmp_eq_u32_e64 s[4:5], 0, v17
	v_cndmask_b32_e64 v4, v4, v8, s[4:5]
	v_or_b32_e32 v8, v12, v17
	v_cndmask_b32_e64 v5, v5, v9, s[4:5]
	v_and_b32_e32 v17, 1, v8
; %bb.202:
	s_or_b64 exec, exec, s[46:47]
	v_cmp_eq_u32_e64 s[4:5], 63, v0
	s_and_saveexec_b64 s[46:47], s[4:5]
	s_cbranch_execz .LBB1121_204
; %bb.203:
	v_mov_b32_e32 v8, 0
	ds_write_b64 v8, v[4:5]
	ds_write_b8 v8, v17 offset:8
.LBB1121_204:
	s_or_b64 exec, exec, s[46:47]
	v_add_u32_e32 v8, -1, v16
	v_and_b32_e32 v9, 64, v16
	v_cmp_lt_i32_e64 s[4:5], v8, v9
	v_cndmask_b32_e64 v8, v8, v16, s[4:5]
	v_lshlrev_b32_e32 v8, 2, v8
	ds_bpermute_b32 v4, v8, v4
	ds_bpermute_b32 v5, v8, v5
	s_waitcnt lgkmcnt(0)
	; wave barrier
	s_waitcnt lgkmcnt(0)
	s_and_saveexec_b64 s[46:47], s[80:81]
	s_cbranch_execz .LBB1121_206
; %bb.205:
	v_mov_b32_e32 v8, 0
	v_add_f64 v[4:5], v[2:3], v[4:5]
	v_cmp_eq_u16_sdwa s[4:5], v1, v8 src0_sel:BYTE_0 src1_sel:DWORD
	v_cndmask_b32_e64 v3, v3, v5, s[4:5]
	v_cndmask_b32_e64 v2, v2, v4, s[4:5]
	v_add_f64 v[4:5], v[18:19], v[2:3]
	v_cndmask_b32_e32 v45, v19, v5, vcc
	v_cndmask_b32_e32 v44, v18, v4, vcc
	v_add_f64 v[4:5], v[6:7], v[44:45]
	v_cndmask_b32_e64 v81, v7, v5, s[6:7]
	v_cndmask_b32_e64 v80, v6, v4, s[6:7]
	v_add_f64 v[4:5], v[26:27], v[80:81]
	v_cndmask_b32_e64 v49, v27, v5, s[8:9]
	v_cndmask_b32_e64 v48, v26, v4, s[8:9]
	v_add_f64 v[4:5], v[14:15], v[48:49]
	v_cndmask_b32_e64 v85, v15, v5, s[10:11]
	v_cndmask_b32_e64 v84, v14, v4, s[10:11]
	v_add_f64 v[4:5], v[34:35], v[84:85]
	v_cndmask_b32_e64 v53, v35, v5, s[12:13]
	v_cndmask_b32_e64 v52, v34, v4, s[12:13]
	v_add_f64 v[4:5], v[22:23], v[52:53]
	v_cndmask_b32_e64 v89, v23, v5, s[14:15]
	v_cndmask_b32_e64 v88, v22, v4, s[14:15]
	v_add_f64 v[4:5], v[42:43], v[88:89]
	v_cndmask_b32_e64 v57, v43, v5, s[16:17]
	v_cndmask_b32_e64 v56, v42, v4, s[16:17]
	v_add_f64 v[4:5], v[30:31], v[56:57]
	v_cndmask_b32_e64 v93, v31, v5, s[18:19]
	v_cndmask_b32_e64 v92, v30, v4, s[18:19]
	v_add_f64 v[4:5], v[50:51], v[92:93]
	v_cndmask_b32_e64 v61, v51, v5, s[20:21]
	v_cndmask_b32_e64 v60, v50, v4, s[20:21]
	v_add_f64 v[4:5], v[38:39], v[60:61]
	v_cndmask_b32_e64 v97, v39, v5, s[22:23]
	v_cndmask_b32_e64 v96, v38, v4, s[22:23]
	v_add_f64 v[4:5], v[58:59], v[96:97]
	v_cndmask_b32_e64 v65, v59, v5, s[24:25]
	v_cndmask_b32_e64 v64, v58, v4, s[24:25]
	v_add_f64 v[4:5], v[46:47], v[64:65]
	v_cndmask_b32_e64 v101, v47, v5, s[26:27]
	v_cndmask_b32_e64 v100, v46, v4, s[26:27]
	v_add_f64 v[4:5], v[66:67], v[100:101]
	v_cndmask_b32_e64 v69, v67, v5, s[28:29]
	v_cndmask_b32_e64 v68, v66, v4, s[28:29]
	v_add_f64 v[4:5], v[54:55], v[68:69]
	v_cndmask_b32_e64 v105, v55, v5, s[30:31]
	v_cndmask_b32_e64 v104, v54, v4, s[30:31]
	v_add_f64 v[4:5], v[74:75], v[104:105]
	v_cndmask_b32_e64 v73, v75, v5, s[34:35]
	v_cndmask_b32_e64 v72, v74, v4, s[34:35]
	v_add_f64 v[4:5], v[62:63], v[72:73]
	v_cndmask_b32_e64 v109, v63, v5, s[36:37]
	v_cndmask_b32_e64 v108, v62, v4, s[36:37]
	v_add_f64 v[4:5], v[78:79], v[108:109]
	v_cndmask_b32_e64 v77, v79, v5, s[38:39]
	v_cndmask_b32_e64 v76, v78, v4, s[38:39]
	v_add_f64 v[4:5], v[70:71], v[76:77]
	v_cndmask_b32_e64 v113, v71, v5, s[40:41]
	v_cndmask_b32_e64 v112, v70, v4, s[40:41]
	v_add_f64 v[4:5], v[10:11], v[112:113]
	v_cndmask_b32_e64 v119, v11, v5, s[42:43]
	v_cndmask_b32_e64 v118, v10, v4, s[42:43]
	v_add_f64 v[4:5], v[20:21], v[118:119]
	v_cndmask_b32_e64 v121, v21, v5, s[44:45]
	v_cndmask_b32_e64 v120, v20, v4, s[44:45]
	;;#ASMSTART
	;;#ASMEND
.LBB1121_206:
	s_or_b64 exec, exec, s[46:47]
	s_and_saveexec_b64 s[4:5], s[0:1]
	s_cbranch_execz .LBB1121_208
; %bb.207:
	v_mov_b32_e32 v1, 0
	ds_read_b64 v[4:5], v1
	ds_read_u8 v6, v1 offset:8
	v_mov_b32_e32 v7, 2
	s_waitcnt lgkmcnt(1)
	global_store_dwordx2 v1, v[4:5], s[74:75] offset:1024
	s_waitcnt lgkmcnt(0)
	global_store_byte v1, v6, s[74:75] offset:1032
	s_waitcnt vmcnt(0)
	buffer_wbinvl1_vol
	global_store_byte v1, v7, s[76:77] offset:64
.LBB1121_208:
	s_or_b64 exec, exec, s[4:5]
	v_pk_mov_b32 v[114:115], v[2:3], v[2:3] op_sel:[0,1]
.LBB1121_209:
	s_add_u32 s0, s66, s60
	s_addc_u32 s1, s67, s61
	s_add_u32 s4, s0, s68
	s_addc_u32 s5, s1, s69
	s_and_b64 vcc, exec, s[58:59]
	v_lshlrev_b32_e32 v46, 3, v0
	s_cbranch_vccz .LBB1121_251
; %bb.210:
	s_movk_i32 s0, 0xa8
	v_mul_i32_i24_e32 v50, 0xffffff60, v0
	v_mul_u32_u24_e32 v47, 0xa8, v0
	v_mad_u32_u24 v2, v0, s0, v50
	s_waitcnt lgkmcnt(0)
	; wave barrier
	ds_write2_b64 v47, v[114:115], v[44:45] offset1:1
	ds_write2_b64 v47, v[80:81], v[48:49] offset0:2 offset1:3
	ds_write2_b64 v47, v[84:85], v[52:53] offset0:4 offset1:5
	;; [unrolled: 1-line block ×9, first 2 shown]
	ds_write_b64 v47, v[120:121] offset:160
	s_waitcnt lgkmcnt(0)
	; wave barrier
	s_waitcnt lgkmcnt(0)
	ds_read2st64_b64 v[38:41], v2 offset0:1 offset1:2
	ds_read2st64_b64 v[34:37], v2 offset0:3 offset1:4
	;; [unrolled: 1-line block ×10, first 2 shown]
	v_mov_b32_e32 v43, s5
	v_add_co_u32_e32 v42, vcc, s4, v46
	s_add_i32 s33, s2, s78
	v_addc_co_u32_e32 v43, vcc, 0, v43, vcc
	v_mov_b32_e32 v1, 0
	v_cmp_gt_u32_e32 vcc, s33, v0
	s_and_saveexec_b64 s[0:1], vcc
	s_cbranch_execz .LBB1121_212
; %bb.211:
	v_add_u32_e32 v47, v47, v50
	ds_read_b64 v[50:51], v47
	s_waitcnt lgkmcnt(0)
	flat_store_dwordx2 v[42:43], v[50:51]
.LBB1121_212:
	s_or_b64 exec, exec, s[0:1]
	v_or_b32_e32 v47, 64, v0
	v_cmp_gt_u32_e32 vcc, s33, v47
	s_and_saveexec_b64 s[0:1], vcc
	s_cbranch_execz .LBB1121_214
; %bb.213:
	s_waitcnt lgkmcnt(0)
	flat_store_dwordx2 v[42:43], v[38:39] offset:512
.LBB1121_214:
	s_or_b64 exec, exec, s[0:1]
	s_waitcnt lgkmcnt(0)
	v_or_b32_e32 v38, 0x80, v0
	v_cmp_gt_u32_e32 vcc, s33, v38
	s_and_saveexec_b64 s[0:1], vcc
	s_cbranch_execz .LBB1121_216
; %bb.215:
	flat_store_dwordx2 v[42:43], v[40:41] offset:1024
.LBB1121_216:
	s_or_b64 exec, exec, s[0:1]
	v_or_b32_e32 v38, 0xc0, v0
	v_cmp_gt_u32_e32 vcc, s33, v38
	s_and_saveexec_b64 s[0:1], vcc
	s_cbranch_execz .LBB1121_218
; %bb.217:
	flat_store_dwordx2 v[42:43], v[34:35] offset:1536
.LBB1121_218:
	s_or_b64 exec, exec, s[0:1]
	;; [unrolled: 8-line block ×6, first 2 shown]
	v_or_b32_e32 v26, 0x200, v0
	v_cmp_gt_u32_e32 vcc, s33, v26
	s_and_saveexec_b64 s[0:1], vcc
	s_cbranch_execz .LBB1121_228
; %bb.227:
	v_add_co_u32_e32 v26, vcc, 0x1000, v42
	v_addc_co_u32_e32 v27, vcc, 0, v43, vcc
	flat_store_dwordx2 v[26:27], v[28:29]
.LBB1121_228:
	s_or_b64 exec, exec, s[0:1]
	v_or_b32_e32 v26, 0x240, v0
	v_cmp_gt_u32_e32 vcc, s33, v26
	s_and_saveexec_b64 s[0:1], vcc
	s_cbranch_execz .LBB1121_230
; %bb.229:
	v_add_co_u32_e32 v26, vcc, 0x1000, v42
	v_addc_co_u32_e32 v27, vcc, 0, v43, vcc
	flat_store_dwordx2 v[26:27], v[22:23] offset:512
.LBB1121_230:
	s_or_b64 exec, exec, s[0:1]
	v_or_b32_e32 v22, 0x280, v0
	v_cmp_gt_u32_e32 vcc, s33, v22
	s_and_saveexec_b64 s[0:1], vcc
	s_cbranch_execz .LBB1121_232
; %bb.231:
	v_add_co_u32_e32 v22, vcc, 0x1000, v42
	v_addc_co_u32_e32 v23, vcc, 0, v43, vcc
	flat_store_dwordx2 v[22:23], v[24:25] offset:1024
.LBB1121_232:
	;; [unrolled: 10-line block ×7, first 2 shown]
	s_or_b64 exec, exec, s[0:1]
	v_or_b32_e32 v10, 0x400, v0
	v_cmp_gt_u32_e32 vcc, s33, v10
	s_and_saveexec_b64 s[0:1], vcc
	s_cbranch_execz .LBB1121_244
; %bb.243:
	v_add_co_u32_e32 v10, vcc, 0x2000, v42
	v_addc_co_u32_e32 v11, vcc, 0, v43, vcc
	flat_store_dwordx2 v[10:11], v[12:13]
.LBB1121_244:
	s_or_b64 exec, exec, s[0:1]
	v_or_b32_e32 v10, 0x440, v0
	v_cmp_gt_u32_e32 vcc, s33, v10
	s_and_saveexec_b64 s[0:1], vcc
	s_cbranch_execz .LBB1121_246
; %bb.245:
	v_add_co_u32_e32 v10, vcc, 0x2000, v42
	v_addc_co_u32_e32 v11, vcc, 0, v43, vcc
	flat_store_dwordx2 v[10:11], v[6:7] offset:512
.LBB1121_246:
	s_or_b64 exec, exec, s[0:1]
	v_or_b32_e32 v6, 0x480, v0
	v_cmp_gt_u32_e32 vcc, s33, v6
	s_and_saveexec_b64 s[0:1], vcc
	s_cbranch_execz .LBB1121_248
; %bb.247:
	v_add_co_u32_e32 v6, vcc, 0x2000, v42
	v_addc_co_u32_e32 v7, vcc, 0, v43, vcc
	flat_store_dwordx2 v[6:7], v[8:9] offset:1024
.LBB1121_248:
	;; [unrolled: 10-line block ×3, first 2 shown]
	s_or_b64 exec, exec, s[0:1]
	v_or_b32_e32 v2, 0x500, v0
	v_cmp_gt_u32_e64 s[0:1], s33, v2
	s_branch .LBB1121_253
.LBB1121_251:
	s_mov_b64 s[0:1], 0
                                        ; implicit-def: $vgpr4_vgpr5
	s_cbranch_execz .LBB1121_253
; %bb.252:
	s_movk_i32 s2, 0xa8
	v_mul_i32_i24_e32 v2, 0xffffff60, v0
	v_mul_u32_u24_e32 v1, 0xa8, v0
	v_mad_u32_u24 v2, v0, s2, v2
	s_waitcnt lgkmcnt(0)
	; wave barrier
	s_waitcnt lgkmcnt(0)
	ds_write2_b64 v1, v[114:115], v[44:45] offset1:1
	ds_write2_b64 v1, v[80:81], v[48:49] offset0:2 offset1:3
	ds_write2_b64 v1, v[84:85], v[52:53] offset0:4 offset1:5
	;; [unrolled: 1-line block ×9, first 2 shown]
	ds_write_b64 v1, v[120:121] offset:160
	s_waitcnt lgkmcnt(0)
	; wave barrier
	s_waitcnt lgkmcnt(0)
	ds_read2st64_b64 v[6:9], v2 offset1:1
	ds_read2st64_b64 v[10:13], v2 offset0:2 offset1:3
	ds_read2st64_b64 v[14:17], v2 offset0:4 offset1:5
	;; [unrolled: 1-line block ×9, first 2 shown]
	ds_read_b64 v[4:5], v2 offset:10240
	v_mov_b32_e32 v3, s5
	v_add_co_u32_e32 v2, vcc, s4, v46
	v_addc_co_u32_e32 v3, vcc, 0, v3, vcc
	s_movk_i32 s2, 0x1000
	s_waitcnt lgkmcnt(0)
	flat_store_dwordx2 v[2:3], v[6:7]
	flat_store_dwordx2 v[2:3], v[8:9] offset:512
	flat_store_dwordx2 v[2:3], v[10:11] offset:1024
	;; [unrolled: 1-line block ×7, first 2 shown]
	v_add_co_u32_e32 v6, vcc, s2, v2
	v_addc_co_u32_e32 v7, vcc, 0, v3, vcc
	v_add_co_u32_e32 v2, vcc, 0x2000, v2
	v_mov_b32_e32 v1, 0
	v_addc_co_u32_e32 v3, vcc, 0, v3, vcc
	s_or_b64 s[0:1], s[0:1], exec
	flat_store_dwordx2 v[6:7], v[22:23]
	flat_store_dwordx2 v[6:7], v[24:25] offset:512
	flat_store_dwordx2 v[6:7], v[26:27] offset:1024
	flat_store_dwordx2 v[6:7], v[28:29] offset:1536
	flat_store_dwordx2 v[6:7], v[30:31] offset:2048
	flat_store_dwordx2 v[6:7], v[32:33] offset:2560
	flat_store_dwordx2 v[6:7], v[34:35] offset:3072
	flat_store_dwordx2 v[6:7], v[36:37] offset:3584
	flat_store_dwordx2 v[2:3], v[38:39]
	flat_store_dwordx2 v[2:3], v[40:41] offset:512
	flat_store_dwordx2 v[2:3], v[42:43] offset:1024
	;; [unrolled: 1-line block ×3, first 2 shown]
.LBB1121_253:
	s_and_saveexec_b64 s[2:3], s[0:1]
	s_cbranch_execnz .LBB1121_255
; %bb.254:
	s_endpgm
.LBB1121_255:
	v_lshlrev_b64 v[0:1], 3, v[0:1]
	v_mov_b32_e32 v2, s5
	v_add_co_u32_e32 v0, vcc, s4, v0
	v_addc_co_u32_e32 v1, vcc, v2, v1, vcc
	v_add_co_u32_e32 v0, vcc, 0x2000, v0
	v_addc_co_u32_e32 v1, vcc, 0, v1, vcc
	flat_store_dwordx2 v[0:1], v[4:5] offset:2048
	s_endpgm
.LBB1121_256:
	v_lshlrev_b32_e32 v2, 3, v0
	v_mov_b32_e32 v3, s63
	v_add_co_u32_e32 v2, vcc, s62, v2
	v_addc_co_u32_e32 v3, vcc, 0, v3, vcc
	flat_load_dwordx2 v[2:3], v[2:3]
	s_or_b64 exec, exec, s[4:5]
                                        ; implicit-def: $vgpr6_vgpr7
	s_and_saveexec_b64 s[4:5], s[8:9]
	s_cbranch_execz .LBB1121_55
.LBB1121_257:
	v_lshlrev_b32_e32 v6, 3, v0
	v_mov_b32_e32 v7, s63
	v_add_co_u32_e32 v6, vcc, s62, v6
	v_addc_co_u32_e32 v7, vcc, 0, v7, vcc
	flat_load_dwordx2 v[6:7], v[6:7] offset:512
	s_or_b64 exec, exec, s[4:5]
                                        ; implicit-def: $vgpr10_vgpr11
	s_and_saveexec_b64 s[4:5], s[10:11]
	s_cbranch_execz .LBB1121_56
.LBB1121_258:
	v_lshlrev_b32_e32 v10, 3, v0
	v_mov_b32_e32 v11, s63
	v_add_co_u32_e32 v10, vcc, s62, v10
	v_addc_co_u32_e32 v11, vcc, 0, v11, vcc
	flat_load_dwordx2 v[10:11], v[10:11] offset:1024
	s_or_b64 exec, exec, s[4:5]
                                        ; implicit-def: $vgpr14_vgpr15
	s_and_saveexec_b64 s[4:5], s[12:13]
	s_cbranch_execz .LBB1121_57
.LBB1121_259:
	v_lshlrev_b32_e32 v14, 3, v0
	v_mov_b32_e32 v15, s63
	v_add_co_u32_e32 v14, vcc, s62, v14
	v_addc_co_u32_e32 v15, vcc, 0, v15, vcc
	flat_load_dwordx2 v[14:15], v[14:15] offset:1536
	s_or_b64 exec, exec, s[4:5]
                                        ; implicit-def: $vgpr18_vgpr19
	s_and_saveexec_b64 s[4:5], s[14:15]
	s_cbranch_execz .LBB1121_58
.LBB1121_260:
	v_lshlrev_b32_e32 v18, 3, v0
	v_mov_b32_e32 v19, s63
	v_add_co_u32_e32 v18, vcc, s62, v18
	v_addc_co_u32_e32 v19, vcc, 0, v19, vcc
	flat_load_dwordx2 v[18:19], v[18:19] offset:2048
	s_or_b64 exec, exec, s[4:5]
                                        ; implicit-def: $vgpr20_vgpr21
	s_and_saveexec_b64 s[4:5], s[16:17]
	s_cbranch_execz .LBB1121_59
.LBB1121_261:
	v_lshlrev_b32_e32 v20, 3, v0
	v_mov_b32_e32 v21, s63
	v_add_co_u32_e32 v20, vcc, s62, v20
	v_addc_co_u32_e32 v21, vcc, 0, v21, vcc
	flat_load_dwordx2 v[20:21], v[20:21] offset:2560
	s_or_b64 exec, exec, s[4:5]
                                        ; implicit-def: $vgpr22_vgpr23
	s_and_saveexec_b64 s[4:5], s[18:19]
	s_cbranch_execz .LBB1121_60
.LBB1121_262:
	v_lshlrev_b32_e32 v22, 3, v0
	v_mov_b32_e32 v23, s63
	v_add_co_u32_e32 v22, vcc, s62, v22
	v_addc_co_u32_e32 v23, vcc, 0, v23, vcc
	flat_load_dwordx2 v[22:23], v[22:23] offset:3072
	s_or_b64 exec, exec, s[4:5]
                                        ; implicit-def: $vgpr26_vgpr27
	s_and_saveexec_b64 s[4:5], s[20:21]
	s_cbranch_execz .LBB1121_61
.LBB1121_263:
	v_lshlrev_b32_e32 v26, 3, v0
	v_mov_b32_e32 v27, s63
	v_add_co_u32_e32 v26, vcc, s62, v26
	v_addc_co_u32_e32 v27, vcc, 0, v27, vcc
	flat_load_dwordx2 v[26:27], v[26:27] offset:3584
	s_or_b64 exec, exec, s[4:5]
                                        ; implicit-def: $vgpr30_vgpr31
	s_and_saveexec_b64 s[4:5], s[22:23]
	s_cbranch_execz .LBB1121_62
.LBB1121_264:
	v_lshlrev_b32_e32 v1, 3, v1
	v_mov_b32_e32 v31, s63
	v_add_co_u32_e32 v30, vcc, s62, v1
	v_addc_co_u32_e32 v31, vcc, 0, v31, vcc
	flat_load_dwordx2 v[30:31], v[30:31]
	s_or_b64 exec, exec, s[4:5]
                                        ; implicit-def: $vgpr34_vgpr35
	s_and_saveexec_b64 s[4:5], s[24:25]
	s_cbranch_execz .LBB1121_63
.LBB1121_265:
	v_lshlrev_b32_e32 v1, 3, v38
	v_mov_b32_e32 v35, s63
	v_add_co_u32_e32 v34, vcc, s62, v1
	v_addc_co_u32_e32 v35, vcc, 0, v35, vcc
	flat_load_dwordx2 v[34:35], v[34:35]
	s_or_b64 exec, exec, s[4:5]
                                        ; implicit-def: $vgpr38_vgpr39
	s_and_saveexec_b64 s[4:5], s[26:27]
	s_cbranch_execz .LBB1121_64
.LBB1121_266:
	v_lshlrev_b32_e32 v1, 3, v42
	v_mov_b32_e32 v39, s63
	v_add_co_u32_e32 v38, vcc, s62, v1
	v_addc_co_u32_e32 v39, vcc, 0, v39, vcc
	flat_load_dwordx2 v[38:39], v[38:39]
	s_or_b64 exec, exec, s[4:5]
                                        ; implicit-def: $vgpr42_vgpr43
	s_and_saveexec_b64 s[4:5], s[28:29]
	s_cbranch_execz .LBB1121_65
.LBB1121_267:
	v_lshlrev_b32_e32 v1, 3, v46
	v_mov_b32_e32 v43, s63
	v_add_co_u32_e32 v42, vcc, s62, v1
	v_addc_co_u32_e32 v43, vcc, 0, v43, vcc
	flat_load_dwordx2 v[42:43], v[42:43]
	s_or_b64 exec, exec, s[4:5]
                                        ; implicit-def: $vgpr46_vgpr47
	s_and_saveexec_b64 s[4:5], s[30:31]
	s_cbranch_execz .LBB1121_66
.LBB1121_268:
	v_lshlrev_b32_e32 v1, 3, v48
	v_mov_b32_e32 v47, s63
	v_add_co_u32_e32 v46, vcc, s62, v1
	v_addc_co_u32_e32 v47, vcc, 0, v47, vcc
	flat_load_dwordx2 v[46:47], v[46:47]
	s_or_b64 exec, exec, s[4:5]
                                        ; implicit-def: $vgpr48_vgpr49
	s_and_saveexec_b64 s[4:5], s[34:35]
	s_cbranch_execz .LBB1121_67
.LBB1121_269:
	v_lshlrev_b32_e32 v1, 3, v50
	v_mov_b32_e32 v49, s63
	v_add_co_u32_e32 v48, vcc, s62, v1
	v_addc_co_u32_e32 v49, vcc, 0, v49, vcc
	flat_load_dwordx2 v[48:49], v[48:49]
	s_or_b64 exec, exec, s[4:5]
                                        ; implicit-def: $vgpr50_vgpr51
	s_and_saveexec_b64 s[4:5], s[36:37]
	s_cbranch_execz .LBB1121_68
.LBB1121_270:
	v_lshlrev_b32_e32 v1, 3, v52
	v_mov_b32_e32 v51, s63
	v_add_co_u32_e32 v50, vcc, s62, v1
	v_addc_co_u32_e32 v51, vcc, 0, v51, vcc
	flat_load_dwordx2 v[50:51], v[50:51]
	s_or_b64 exec, exec, s[4:5]
                                        ; implicit-def: $vgpr52_vgpr53
	s_and_saveexec_b64 s[4:5], s[38:39]
	s_cbranch_execz .LBB1121_69
.LBB1121_271:
	v_lshlrev_b32_e32 v1, 3, v54
	v_mov_b32_e32 v53, s63
	v_add_co_u32_e32 v52, vcc, s62, v1
	v_addc_co_u32_e32 v53, vcc, 0, v53, vcc
	flat_load_dwordx2 v[52:53], v[52:53]
	s_or_b64 exec, exec, s[4:5]
                                        ; implicit-def: $vgpr54_vgpr55
	s_and_saveexec_b64 s[4:5], s[40:41]
	s_cbranch_execz .LBB1121_70
.LBB1121_272:
	v_lshlrev_b32_e32 v1, 3, v56
	v_mov_b32_e32 v55, s63
	v_add_co_u32_e32 v54, vcc, s62, v1
	v_addc_co_u32_e32 v55, vcc, 0, v55, vcc
	flat_load_dwordx2 v[54:55], v[54:55]
	s_or_b64 exec, exec, s[4:5]
                                        ; implicit-def: $vgpr56_vgpr57
	s_and_saveexec_b64 s[4:5], s[42:43]
	s_cbranch_execz .LBB1121_71
.LBB1121_273:
	v_lshlrev_b32_e32 v1, 3, v58
	v_mov_b32_e32 v57, s63
	v_add_co_u32_e32 v56, vcc, s62, v1
	v_addc_co_u32_e32 v57, vcc, 0, v57, vcc
	flat_load_dwordx2 v[56:57], v[56:57]
	s_or_b64 exec, exec, s[4:5]
                                        ; implicit-def: $vgpr58_vgpr59
	s_and_saveexec_b64 s[4:5], s[44:45]
	s_cbranch_execz .LBB1121_72
.LBB1121_274:
	v_lshlrev_b32_e32 v1, 3, v60
	v_mov_b32_e32 v59, s63
	v_add_co_u32_e32 v58, vcc, s62, v1
	v_addc_co_u32_e32 v59, vcc, 0, v59, vcc
	flat_load_dwordx2 v[58:59], v[58:59]
	s_or_b64 exec, exec, s[4:5]
                                        ; implicit-def: $vgpr60_vgpr61
	s_and_saveexec_b64 s[4:5], s[46:47]
	s_cbranch_execz .LBB1121_73
.LBB1121_275:
	v_lshlrev_b32_e32 v1, 3, v62
	v_mov_b32_e32 v61, s63
	v_add_co_u32_e32 v60, vcc, s62, v1
	v_addc_co_u32_e32 v61, vcc, 0, v61, vcc
	flat_load_dwordx2 v[60:61], v[60:61]
	s_or_b64 exec, exec, s[4:5]
                                        ; implicit-def: $vgpr62_vgpr63
	s_and_saveexec_b64 s[4:5], s[48:49]
	s_cbranch_execnz .LBB1121_74
	s_branch .LBB1121_75
.LBB1121_276:
                                        ; implicit-def: $sgpr4_sgpr5
	s_branch .LBB1121_50
.LBB1121_277:
                                        ; implicit-def: $sgpr4_sgpr5
	s_branch .LBB1121_120
	.section	.rodata,"a",@progbits
	.p2align	6, 0x0
	.amdhsa_kernel _ZN7rocprim17ROCPRIM_400000_NS6detail17trampoline_kernelINS0_14default_configENS1_27scan_by_key_config_selectorIidEEZZNS1_16scan_by_key_implILNS1_25lookback_scan_determinismE0ELb0ES3_N6thrust23THRUST_200600_302600_NS6detail15normal_iteratorINS9_10device_ptrIiEEEENSB_INSC_IdEEEESG_dNS9_4plusIvEENS9_8equal_toIvEEdEE10hipError_tPvRmT2_T3_T4_T5_mT6_T7_P12ihipStream_tbENKUlT_T0_E_clISt17integral_constantIbLb0EES10_IbLb1EEEEDaSW_SX_EUlSW_E_NS1_11comp_targetILNS1_3genE4ELNS1_11target_archE910ELNS1_3gpuE8ELNS1_3repE0EEENS1_30default_config_static_selectorELNS0_4arch9wavefront6targetE1EEEvT1_
		.amdhsa_group_segment_fixed_size 10752
		.amdhsa_private_segment_fixed_size 0
		.amdhsa_kernarg_size 136
		.amdhsa_user_sgpr_count 6
		.amdhsa_user_sgpr_private_segment_buffer 1
		.amdhsa_user_sgpr_dispatch_ptr 0
		.amdhsa_user_sgpr_queue_ptr 0
		.amdhsa_user_sgpr_kernarg_segment_ptr 1
		.amdhsa_user_sgpr_dispatch_id 0
		.amdhsa_user_sgpr_flat_scratch_init 0
		.amdhsa_user_sgpr_kernarg_preload_length 0
		.amdhsa_user_sgpr_kernarg_preload_offset 0
		.amdhsa_user_sgpr_private_segment_size 0
		.amdhsa_uses_dynamic_stack 0
		.amdhsa_system_sgpr_private_segment_wavefront_offset 0
		.amdhsa_system_sgpr_workgroup_id_x 1
		.amdhsa_system_sgpr_workgroup_id_y 0
		.amdhsa_system_sgpr_workgroup_id_z 0
		.amdhsa_system_sgpr_workgroup_info 0
		.amdhsa_system_vgpr_workitem_id 0
		.amdhsa_next_free_vgpr 136
		.amdhsa_next_free_sgpr 96
		.amdhsa_accum_offset 136
		.amdhsa_reserve_vcc 1
		.amdhsa_reserve_flat_scratch 0
		.amdhsa_float_round_mode_32 0
		.amdhsa_float_round_mode_16_64 0
		.amdhsa_float_denorm_mode_32 3
		.amdhsa_float_denorm_mode_16_64 3
		.amdhsa_dx10_clamp 1
		.amdhsa_ieee_mode 1
		.amdhsa_fp16_overflow 0
		.amdhsa_tg_split 0
		.amdhsa_exception_fp_ieee_invalid_op 0
		.amdhsa_exception_fp_denorm_src 0
		.amdhsa_exception_fp_ieee_div_zero 0
		.amdhsa_exception_fp_ieee_overflow 0
		.amdhsa_exception_fp_ieee_underflow 0
		.amdhsa_exception_fp_ieee_inexact 0
		.amdhsa_exception_int_div_zero 0
	.end_amdhsa_kernel
	.section	.text._ZN7rocprim17ROCPRIM_400000_NS6detail17trampoline_kernelINS0_14default_configENS1_27scan_by_key_config_selectorIidEEZZNS1_16scan_by_key_implILNS1_25lookback_scan_determinismE0ELb0ES3_N6thrust23THRUST_200600_302600_NS6detail15normal_iteratorINS9_10device_ptrIiEEEENSB_INSC_IdEEEESG_dNS9_4plusIvEENS9_8equal_toIvEEdEE10hipError_tPvRmT2_T3_T4_T5_mT6_T7_P12ihipStream_tbENKUlT_T0_E_clISt17integral_constantIbLb0EES10_IbLb1EEEEDaSW_SX_EUlSW_E_NS1_11comp_targetILNS1_3genE4ELNS1_11target_archE910ELNS1_3gpuE8ELNS1_3repE0EEENS1_30default_config_static_selectorELNS0_4arch9wavefront6targetE1EEEvT1_,"axG",@progbits,_ZN7rocprim17ROCPRIM_400000_NS6detail17trampoline_kernelINS0_14default_configENS1_27scan_by_key_config_selectorIidEEZZNS1_16scan_by_key_implILNS1_25lookback_scan_determinismE0ELb0ES3_N6thrust23THRUST_200600_302600_NS6detail15normal_iteratorINS9_10device_ptrIiEEEENSB_INSC_IdEEEESG_dNS9_4plusIvEENS9_8equal_toIvEEdEE10hipError_tPvRmT2_T3_T4_T5_mT6_T7_P12ihipStream_tbENKUlT_T0_E_clISt17integral_constantIbLb0EES10_IbLb1EEEEDaSW_SX_EUlSW_E_NS1_11comp_targetILNS1_3genE4ELNS1_11target_archE910ELNS1_3gpuE8ELNS1_3repE0EEENS1_30default_config_static_selectorELNS0_4arch9wavefront6targetE1EEEvT1_,comdat
.Lfunc_end1121:
	.size	_ZN7rocprim17ROCPRIM_400000_NS6detail17trampoline_kernelINS0_14default_configENS1_27scan_by_key_config_selectorIidEEZZNS1_16scan_by_key_implILNS1_25lookback_scan_determinismE0ELb0ES3_N6thrust23THRUST_200600_302600_NS6detail15normal_iteratorINS9_10device_ptrIiEEEENSB_INSC_IdEEEESG_dNS9_4plusIvEENS9_8equal_toIvEEdEE10hipError_tPvRmT2_T3_T4_T5_mT6_T7_P12ihipStream_tbENKUlT_T0_E_clISt17integral_constantIbLb0EES10_IbLb1EEEEDaSW_SX_EUlSW_E_NS1_11comp_targetILNS1_3genE4ELNS1_11target_archE910ELNS1_3gpuE8ELNS1_3repE0EEENS1_30default_config_static_selectorELNS0_4arch9wavefront6targetE1EEEvT1_, .Lfunc_end1121-_ZN7rocprim17ROCPRIM_400000_NS6detail17trampoline_kernelINS0_14default_configENS1_27scan_by_key_config_selectorIidEEZZNS1_16scan_by_key_implILNS1_25lookback_scan_determinismE0ELb0ES3_N6thrust23THRUST_200600_302600_NS6detail15normal_iteratorINS9_10device_ptrIiEEEENSB_INSC_IdEEEESG_dNS9_4plusIvEENS9_8equal_toIvEEdEE10hipError_tPvRmT2_T3_T4_T5_mT6_T7_P12ihipStream_tbENKUlT_T0_E_clISt17integral_constantIbLb0EES10_IbLb1EEEEDaSW_SX_EUlSW_E_NS1_11comp_targetILNS1_3genE4ELNS1_11target_archE910ELNS1_3gpuE8ELNS1_3repE0EEENS1_30default_config_static_selectorELNS0_4arch9wavefront6targetE1EEEvT1_
                                        ; -- End function
	.section	.AMDGPU.csdata,"",@progbits
; Kernel info:
; codeLenInByte = 16612
; NumSgprs: 100
; NumVgprs: 136
; NumAgprs: 0
; TotalNumVgprs: 136
; ScratchSize: 0
; MemoryBound: 0
; FloatMode: 240
; IeeeMode: 1
; LDSByteSize: 10752 bytes/workgroup (compile time only)
; SGPRBlocks: 12
; VGPRBlocks: 16
; NumSGPRsForWavesPerEU: 100
; NumVGPRsForWavesPerEU: 136
; AccumOffset: 136
; Occupancy: 2
; WaveLimiterHint : 1
; COMPUTE_PGM_RSRC2:SCRATCH_EN: 0
; COMPUTE_PGM_RSRC2:USER_SGPR: 6
; COMPUTE_PGM_RSRC2:TRAP_HANDLER: 0
; COMPUTE_PGM_RSRC2:TGID_X_EN: 1
; COMPUTE_PGM_RSRC2:TGID_Y_EN: 0
; COMPUTE_PGM_RSRC2:TGID_Z_EN: 0
; COMPUTE_PGM_RSRC2:TIDIG_COMP_CNT: 0
; COMPUTE_PGM_RSRC3_GFX90A:ACCUM_OFFSET: 33
; COMPUTE_PGM_RSRC3_GFX90A:TG_SPLIT: 0
	.section	.text._ZN7rocprim17ROCPRIM_400000_NS6detail17trampoline_kernelINS0_14default_configENS1_27scan_by_key_config_selectorIidEEZZNS1_16scan_by_key_implILNS1_25lookback_scan_determinismE0ELb0ES3_N6thrust23THRUST_200600_302600_NS6detail15normal_iteratorINS9_10device_ptrIiEEEENSB_INSC_IdEEEESG_dNS9_4plusIvEENS9_8equal_toIvEEdEE10hipError_tPvRmT2_T3_T4_T5_mT6_T7_P12ihipStream_tbENKUlT_T0_E_clISt17integral_constantIbLb0EES10_IbLb1EEEEDaSW_SX_EUlSW_E_NS1_11comp_targetILNS1_3genE3ELNS1_11target_archE908ELNS1_3gpuE7ELNS1_3repE0EEENS1_30default_config_static_selectorELNS0_4arch9wavefront6targetE1EEEvT1_,"axG",@progbits,_ZN7rocprim17ROCPRIM_400000_NS6detail17trampoline_kernelINS0_14default_configENS1_27scan_by_key_config_selectorIidEEZZNS1_16scan_by_key_implILNS1_25lookback_scan_determinismE0ELb0ES3_N6thrust23THRUST_200600_302600_NS6detail15normal_iteratorINS9_10device_ptrIiEEEENSB_INSC_IdEEEESG_dNS9_4plusIvEENS9_8equal_toIvEEdEE10hipError_tPvRmT2_T3_T4_T5_mT6_T7_P12ihipStream_tbENKUlT_T0_E_clISt17integral_constantIbLb0EES10_IbLb1EEEEDaSW_SX_EUlSW_E_NS1_11comp_targetILNS1_3genE3ELNS1_11target_archE908ELNS1_3gpuE7ELNS1_3repE0EEENS1_30default_config_static_selectorELNS0_4arch9wavefront6targetE1EEEvT1_,comdat
	.protected	_ZN7rocprim17ROCPRIM_400000_NS6detail17trampoline_kernelINS0_14default_configENS1_27scan_by_key_config_selectorIidEEZZNS1_16scan_by_key_implILNS1_25lookback_scan_determinismE0ELb0ES3_N6thrust23THRUST_200600_302600_NS6detail15normal_iteratorINS9_10device_ptrIiEEEENSB_INSC_IdEEEESG_dNS9_4plusIvEENS9_8equal_toIvEEdEE10hipError_tPvRmT2_T3_T4_T5_mT6_T7_P12ihipStream_tbENKUlT_T0_E_clISt17integral_constantIbLb0EES10_IbLb1EEEEDaSW_SX_EUlSW_E_NS1_11comp_targetILNS1_3genE3ELNS1_11target_archE908ELNS1_3gpuE7ELNS1_3repE0EEENS1_30default_config_static_selectorELNS0_4arch9wavefront6targetE1EEEvT1_ ; -- Begin function _ZN7rocprim17ROCPRIM_400000_NS6detail17trampoline_kernelINS0_14default_configENS1_27scan_by_key_config_selectorIidEEZZNS1_16scan_by_key_implILNS1_25lookback_scan_determinismE0ELb0ES3_N6thrust23THRUST_200600_302600_NS6detail15normal_iteratorINS9_10device_ptrIiEEEENSB_INSC_IdEEEESG_dNS9_4plusIvEENS9_8equal_toIvEEdEE10hipError_tPvRmT2_T3_T4_T5_mT6_T7_P12ihipStream_tbENKUlT_T0_E_clISt17integral_constantIbLb0EES10_IbLb1EEEEDaSW_SX_EUlSW_E_NS1_11comp_targetILNS1_3genE3ELNS1_11target_archE908ELNS1_3gpuE7ELNS1_3repE0EEENS1_30default_config_static_selectorELNS0_4arch9wavefront6targetE1EEEvT1_
	.globl	_ZN7rocprim17ROCPRIM_400000_NS6detail17trampoline_kernelINS0_14default_configENS1_27scan_by_key_config_selectorIidEEZZNS1_16scan_by_key_implILNS1_25lookback_scan_determinismE0ELb0ES3_N6thrust23THRUST_200600_302600_NS6detail15normal_iteratorINS9_10device_ptrIiEEEENSB_INSC_IdEEEESG_dNS9_4plusIvEENS9_8equal_toIvEEdEE10hipError_tPvRmT2_T3_T4_T5_mT6_T7_P12ihipStream_tbENKUlT_T0_E_clISt17integral_constantIbLb0EES10_IbLb1EEEEDaSW_SX_EUlSW_E_NS1_11comp_targetILNS1_3genE3ELNS1_11target_archE908ELNS1_3gpuE7ELNS1_3repE0EEENS1_30default_config_static_selectorELNS0_4arch9wavefront6targetE1EEEvT1_
	.p2align	8
	.type	_ZN7rocprim17ROCPRIM_400000_NS6detail17trampoline_kernelINS0_14default_configENS1_27scan_by_key_config_selectorIidEEZZNS1_16scan_by_key_implILNS1_25lookback_scan_determinismE0ELb0ES3_N6thrust23THRUST_200600_302600_NS6detail15normal_iteratorINS9_10device_ptrIiEEEENSB_INSC_IdEEEESG_dNS9_4plusIvEENS9_8equal_toIvEEdEE10hipError_tPvRmT2_T3_T4_T5_mT6_T7_P12ihipStream_tbENKUlT_T0_E_clISt17integral_constantIbLb0EES10_IbLb1EEEEDaSW_SX_EUlSW_E_NS1_11comp_targetILNS1_3genE3ELNS1_11target_archE908ELNS1_3gpuE7ELNS1_3repE0EEENS1_30default_config_static_selectorELNS0_4arch9wavefront6targetE1EEEvT1_,@function
_ZN7rocprim17ROCPRIM_400000_NS6detail17trampoline_kernelINS0_14default_configENS1_27scan_by_key_config_selectorIidEEZZNS1_16scan_by_key_implILNS1_25lookback_scan_determinismE0ELb0ES3_N6thrust23THRUST_200600_302600_NS6detail15normal_iteratorINS9_10device_ptrIiEEEENSB_INSC_IdEEEESG_dNS9_4plusIvEENS9_8equal_toIvEEdEE10hipError_tPvRmT2_T3_T4_T5_mT6_T7_P12ihipStream_tbENKUlT_T0_E_clISt17integral_constantIbLb0EES10_IbLb1EEEEDaSW_SX_EUlSW_E_NS1_11comp_targetILNS1_3genE3ELNS1_11target_archE908ELNS1_3gpuE7ELNS1_3repE0EEENS1_30default_config_static_selectorELNS0_4arch9wavefront6targetE1EEEvT1_: ; @_ZN7rocprim17ROCPRIM_400000_NS6detail17trampoline_kernelINS0_14default_configENS1_27scan_by_key_config_selectorIidEEZZNS1_16scan_by_key_implILNS1_25lookback_scan_determinismE0ELb0ES3_N6thrust23THRUST_200600_302600_NS6detail15normal_iteratorINS9_10device_ptrIiEEEENSB_INSC_IdEEEESG_dNS9_4plusIvEENS9_8equal_toIvEEdEE10hipError_tPvRmT2_T3_T4_T5_mT6_T7_P12ihipStream_tbENKUlT_T0_E_clISt17integral_constantIbLb0EES10_IbLb1EEEEDaSW_SX_EUlSW_E_NS1_11comp_targetILNS1_3genE3ELNS1_11target_archE908ELNS1_3gpuE7ELNS1_3repE0EEENS1_30default_config_static_selectorELNS0_4arch9wavefront6targetE1EEEvT1_
; %bb.0:
	.section	.rodata,"a",@progbits
	.p2align	6, 0x0
	.amdhsa_kernel _ZN7rocprim17ROCPRIM_400000_NS6detail17trampoline_kernelINS0_14default_configENS1_27scan_by_key_config_selectorIidEEZZNS1_16scan_by_key_implILNS1_25lookback_scan_determinismE0ELb0ES3_N6thrust23THRUST_200600_302600_NS6detail15normal_iteratorINS9_10device_ptrIiEEEENSB_INSC_IdEEEESG_dNS9_4plusIvEENS9_8equal_toIvEEdEE10hipError_tPvRmT2_T3_T4_T5_mT6_T7_P12ihipStream_tbENKUlT_T0_E_clISt17integral_constantIbLb0EES10_IbLb1EEEEDaSW_SX_EUlSW_E_NS1_11comp_targetILNS1_3genE3ELNS1_11target_archE908ELNS1_3gpuE7ELNS1_3repE0EEENS1_30default_config_static_selectorELNS0_4arch9wavefront6targetE1EEEvT1_
		.amdhsa_group_segment_fixed_size 0
		.amdhsa_private_segment_fixed_size 0
		.amdhsa_kernarg_size 136
		.amdhsa_user_sgpr_count 6
		.amdhsa_user_sgpr_private_segment_buffer 1
		.amdhsa_user_sgpr_dispatch_ptr 0
		.amdhsa_user_sgpr_queue_ptr 0
		.amdhsa_user_sgpr_kernarg_segment_ptr 1
		.amdhsa_user_sgpr_dispatch_id 0
		.amdhsa_user_sgpr_flat_scratch_init 0
		.amdhsa_user_sgpr_kernarg_preload_length 0
		.amdhsa_user_sgpr_kernarg_preload_offset 0
		.amdhsa_user_sgpr_private_segment_size 0
		.amdhsa_uses_dynamic_stack 0
		.amdhsa_system_sgpr_private_segment_wavefront_offset 0
		.amdhsa_system_sgpr_workgroup_id_x 1
		.amdhsa_system_sgpr_workgroup_id_y 0
		.amdhsa_system_sgpr_workgroup_id_z 0
		.amdhsa_system_sgpr_workgroup_info 0
		.amdhsa_system_vgpr_workitem_id 0
		.amdhsa_next_free_vgpr 1
		.amdhsa_next_free_sgpr 0
		.amdhsa_accum_offset 4
		.amdhsa_reserve_vcc 0
		.amdhsa_reserve_flat_scratch 0
		.amdhsa_float_round_mode_32 0
		.amdhsa_float_round_mode_16_64 0
		.amdhsa_float_denorm_mode_32 3
		.amdhsa_float_denorm_mode_16_64 3
		.amdhsa_dx10_clamp 1
		.amdhsa_ieee_mode 1
		.amdhsa_fp16_overflow 0
		.amdhsa_tg_split 0
		.amdhsa_exception_fp_ieee_invalid_op 0
		.amdhsa_exception_fp_denorm_src 0
		.amdhsa_exception_fp_ieee_div_zero 0
		.amdhsa_exception_fp_ieee_overflow 0
		.amdhsa_exception_fp_ieee_underflow 0
		.amdhsa_exception_fp_ieee_inexact 0
		.amdhsa_exception_int_div_zero 0
	.end_amdhsa_kernel
	.section	.text._ZN7rocprim17ROCPRIM_400000_NS6detail17trampoline_kernelINS0_14default_configENS1_27scan_by_key_config_selectorIidEEZZNS1_16scan_by_key_implILNS1_25lookback_scan_determinismE0ELb0ES3_N6thrust23THRUST_200600_302600_NS6detail15normal_iteratorINS9_10device_ptrIiEEEENSB_INSC_IdEEEESG_dNS9_4plusIvEENS9_8equal_toIvEEdEE10hipError_tPvRmT2_T3_T4_T5_mT6_T7_P12ihipStream_tbENKUlT_T0_E_clISt17integral_constantIbLb0EES10_IbLb1EEEEDaSW_SX_EUlSW_E_NS1_11comp_targetILNS1_3genE3ELNS1_11target_archE908ELNS1_3gpuE7ELNS1_3repE0EEENS1_30default_config_static_selectorELNS0_4arch9wavefront6targetE1EEEvT1_,"axG",@progbits,_ZN7rocprim17ROCPRIM_400000_NS6detail17trampoline_kernelINS0_14default_configENS1_27scan_by_key_config_selectorIidEEZZNS1_16scan_by_key_implILNS1_25lookback_scan_determinismE0ELb0ES3_N6thrust23THRUST_200600_302600_NS6detail15normal_iteratorINS9_10device_ptrIiEEEENSB_INSC_IdEEEESG_dNS9_4plusIvEENS9_8equal_toIvEEdEE10hipError_tPvRmT2_T3_T4_T5_mT6_T7_P12ihipStream_tbENKUlT_T0_E_clISt17integral_constantIbLb0EES10_IbLb1EEEEDaSW_SX_EUlSW_E_NS1_11comp_targetILNS1_3genE3ELNS1_11target_archE908ELNS1_3gpuE7ELNS1_3repE0EEENS1_30default_config_static_selectorELNS0_4arch9wavefront6targetE1EEEvT1_,comdat
.Lfunc_end1122:
	.size	_ZN7rocprim17ROCPRIM_400000_NS6detail17trampoline_kernelINS0_14default_configENS1_27scan_by_key_config_selectorIidEEZZNS1_16scan_by_key_implILNS1_25lookback_scan_determinismE0ELb0ES3_N6thrust23THRUST_200600_302600_NS6detail15normal_iteratorINS9_10device_ptrIiEEEENSB_INSC_IdEEEESG_dNS9_4plusIvEENS9_8equal_toIvEEdEE10hipError_tPvRmT2_T3_T4_T5_mT6_T7_P12ihipStream_tbENKUlT_T0_E_clISt17integral_constantIbLb0EES10_IbLb1EEEEDaSW_SX_EUlSW_E_NS1_11comp_targetILNS1_3genE3ELNS1_11target_archE908ELNS1_3gpuE7ELNS1_3repE0EEENS1_30default_config_static_selectorELNS0_4arch9wavefront6targetE1EEEvT1_, .Lfunc_end1122-_ZN7rocprim17ROCPRIM_400000_NS6detail17trampoline_kernelINS0_14default_configENS1_27scan_by_key_config_selectorIidEEZZNS1_16scan_by_key_implILNS1_25lookback_scan_determinismE0ELb0ES3_N6thrust23THRUST_200600_302600_NS6detail15normal_iteratorINS9_10device_ptrIiEEEENSB_INSC_IdEEEESG_dNS9_4plusIvEENS9_8equal_toIvEEdEE10hipError_tPvRmT2_T3_T4_T5_mT6_T7_P12ihipStream_tbENKUlT_T0_E_clISt17integral_constantIbLb0EES10_IbLb1EEEEDaSW_SX_EUlSW_E_NS1_11comp_targetILNS1_3genE3ELNS1_11target_archE908ELNS1_3gpuE7ELNS1_3repE0EEENS1_30default_config_static_selectorELNS0_4arch9wavefront6targetE1EEEvT1_
                                        ; -- End function
	.section	.AMDGPU.csdata,"",@progbits
; Kernel info:
; codeLenInByte = 0
; NumSgprs: 4
; NumVgprs: 0
; NumAgprs: 0
; TotalNumVgprs: 0
; ScratchSize: 0
; MemoryBound: 0
; FloatMode: 240
; IeeeMode: 1
; LDSByteSize: 0 bytes/workgroup (compile time only)
; SGPRBlocks: 0
; VGPRBlocks: 0
; NumSGPRsForWavesPerEU: 4
; NumVGPRsForWavesPerEU: 1
; AccumOffset: 4
; Occupancy: 8
; WaveLimiterHint : 0
; COMPUTE_PGM_RSRC2:SCRATCH_EN: 0
; COMPUTE_PGM_RSRC2:USER_SGPR: 6
; COMPUTE_PGM_RSRC2:TRAP_HANDLER: 0
; COMPUTE_PGM_RSRC2:TGID_X_EN: 1
; COMPUTE_PGM_RSRC2:TGID_Y_EN: 0
; COMPUTE_PGM_RSRC2:TGID_Z_EN: 0
; COMPUTE_PGM_RSRC2:TIDIG_COMP_CNT: 0
; COMPUTE_PGM_RSRC3_GFX90A:ACCUM_OFFSET: 0
; COMPUTE_PGM_RSRC3_GFX90A:TG_SPLIT: 0
	.section	.text._ZN7rocprim17ROCPRIM_400000_NS6detail17trampoline_kernelINS0_14default_configENS1_27scan_by_key_config_selectorIidEEZZNS1_16scan_by_key_implILNS1_25lookback_scan_determinismE0ELb0ES3_N6thrust23THRUST_200600_302600_NS6detail15normal_iteratorINS9_10device_ptrIiEEEENSB_INSC_IdEEEESG_dNS9_4plusIvEENS9_8equal_toIvEEdEE10hipError_tPvRmT2_T3_T4_T5_mT6_T7_P12ihipStream_tbENKUlT_T0_E_clISt17integral_constantIbLb0EES10_IbLb1EEEEDaSW_SX_EUlSW_E_NS1_11comp_targetILNS1_3genE2ELNS1_11target_archE906ELNS1_3gpuE6ELNS1_3repE0EEENS1_30default_config_static_selectorELNS0_4arch9wavefront6targetE1EEEvT1_,"axG",@progbits,_ZN7rocprim17ROCPRIM_400000_NS6detail17trampoline_kernelINS0_14default_configENS1_27scan_by_key_config_selectorIidEEZZNS1_16scan_by_key_implILNS1_25lookback_scan_determinismE0ELb0ES3_N6thrust23THRUST_200600_302600_NS6detail15normal_iteratorINS9_10device_ptrIiEEEENSB_INSC_IdEEEESG_dNS9_4plusIvEENS9_8equal_toIvEEdEE10hipError_tPvRmT2_T3_T4_T5_mT6_T7_P12ihipStream_tbENKUlT_T0_E_clISt17integral_constantIbLb0EES10_IbLb1EEEEDaSW_SX_EUlSW_E_NS1_11comp_targetILNS1_3genE2ELNS1_11target_archE906ELNS1_3gpuE6ELNS1_3repE0EEENS1_30default_config_static_selectorELNS0_4arch9wavefront6targetE1EEEvT1_,comdat
	.protected	_ZN7rocprim17ROCPRIM_400000_NS6detail17trampoline_kernelINS0_14default_configENS1_27scan_by_key_config_selectorIidEEZZNS1_16scan_by_key_implILNS1_25lookback_scan_determinismE0ELb0ES3_N6thrust23THRUST_200600_302600_NS6detail15normal_iteratorINS9_10device_ptrIiEEEENSB_INSC_IdEEEESG_dNS9_4plusIvEENS9_8equal_toIvEEdEE10hipError_tPvRmT2_T3_T4_T5_mT6_T7_P12ihipStream_tbENKUlT_T0_E_clISt17integral_constantIbLb0EES10_IbLb1EEEEDaSW_SX_EUlSW_E_NS1_11comp_targetILNS1_3genE2ELNS1_11target_archE906ELNS1_3gpuE6ELNS1_3repE0EEENS1_30default_config_static_selectorELNS0_4arch9wavefront6targetE1EEEvT1_ ; -- Begin function _ZN7rocprim17ROCPRIM_400000_NS6detail17trampoline_kernelINS0_14default_configENS1_27scan_by_key_config_selectorIidEEZZNS1_16scan_by_key_implILNS1_25lookback_scan_determinismE0ELb0ES3_N6thrust23THRUST_200600_302600_NS6detail15normal_iteratorINS9_10device_ptrIiEEEENSB_INSC_IdEEEESG_dNS9_4plusIvEENS9_8equal_toIvEEdEE10hipError_tPvRmT2_T3_T4_T5_mT6_T7_P12ihipStream_tbENKUlT_T0_E_clISt17integral_constantIbLb0EES10_IbLb1EEEEDaSW_SX_EUlSW_E_NS1_11comp_targetILNS1_3genE2ELNS1_11target_archE906ELNS1_3gpuE6ELNS1_3repE0EEENS1_30default_config_static_selectorELNS0_4arch9wavefront6targetE1EEEvT1_
	.globl	_ZN7rocprim17ROCPRIM_400000_NS6detail17trampoline_kernelINS0_14default_configENS1_27scan_by_key_config_selectorIidEEZZNS1_16scan_by_key_implILNS1_25lookback_scan_determinismE0ELb0ES3_N6thrust23THRUST_200600_302600_NS6detail15normal_iteratorINS9_10device_ptrIiEEEENSB_INSC_IdEEEESG_dNS9_4plusIvEENS9_8equal_toIvEEdEE10hipError_tPvRmT2_T3_T4_T5_mT6_T7_P12ihipStream_tbENKUlT_T0_E_clISt17integral_constantIbLb0EES10_IbLb1EEEEDaSW_SX_EUlSW_E_NS1_11comp_targetILNS1_3genE2ELNS1_11target_archE906ELNS1_3gpuE6ELNS1_3repE0EEENS1_30default_config_static_selectorELNS0_4arch9wavefront6targetE1EEEvT1_
	.p2align	8
	.type	_ZN7rocprim17ROCPRIM_400000_NS6detail17trampoline_kernelINS0_14default_configENS1_27scan_by_key_config_selectorIidEEZZNS1_16scan_by_key_implILNS1_25lookback_scan_determinismE0ELb0ES3_N6thrust23THRUST_200600_302600_NS6detail15normal_iteratorINS9_10device_ptrIiEEEENSB_INSC_IdEEEESG_dNS9_4plusIvEENS9_8equal_toIvEEdEE10hipError_tPvRmT2_T3_T4_T5_mT6_T7_P12ihipStream_tbENKUlT_T0_E_clISt17integral_constantIbLb0EES10_IbLb1EEEEDaSW_SX_EUlSW_E_NS1_11comp_targetILNS1_3genE2ELNS1_11target_archE906ELNS1_3gpuE6ELNS1_3repE0EEENS1_30default_config_static_selectorELNS0_4arch9wavefront6targetE1EEEvT1_,@function
_ZN7rocprim17ROCPRIM_400000_NS6detail17trampoline_kernelINS0_14default_configENS1_27scan_by_key_config_selectorIidEEZZNS1_16scan_by_key_implILNS1_25lookback_scan_determinismE0ELb0ES3_N6thrust23THRUST_200600_302600_NS6detail15normal_iteratorINS9_10device_ptrIiEEEENSB_INSC_IdEEEESG_dNS9_4plusIvEENS9_8equal_toIvEEdEE10hipError_tPvRmT2_T3_T4_T5_mT6_T7_P12ihipStream_tbENKUlT_T0_E_clISt17integral_constantIbLb0EES10_IbLb1EEEEDaSW_SX_EUlSW_E_NS1_11comp_targetILNS1_3genE2ELNS1_11target_archE906ELNS1_3gpuE6ELNS1_3repE0EEENS1_30default_config_static_selectorELNS0_4arch9wavefront6targetE1EEEvT1_: ; @_ZN7rocprim17ROCPRIM_400000_NS6detail17trampoline_kernelINS0_14default_configENS1_27scan_by_key_config_selectorIidEEZZNS1_16scan_by_key_implILNS1_25lookback_scan_determinismE0ELb0ES3_N6thrust23THRUST_200600_302600_NS6detail15normal_iteratorINS9_10device_ptrIiEEEENSB_INSC_IdEEEESG_dNS9_4plusIvEENS9_8equal_toIvEEdEE10hipError_tPvRmT2_T3_T4_T5_mT6_T7_P12ihipStream_tbENKUlT_T0_E_clISt17integral_constantIbLb0EES10_IbLb1EEEEDaSW_SX_EUlSW_E_NS1_11comp_targetILNS1_3genE2ELNS1_11target_archE906ELNS1_3gpuE6ELNS1_3repE0EEENS1_30default_config_static_selectorELNS0_4arch9wavefront6targetE1EEEvT1_
; %bb.0:
	.section	.rodata,"a",@progbits
	.p2align	6, 0x0
	.amdhsa_kernel _ZN7rocprim17ROCPRIM_400000_NS6detail17trampoline_kernelINS0_14default_configENS1_27scan_by_key_config_selectorIidEEZZNS1_16scan_by_key_implILNS1_25lookback_scan_determinismE0ELb0ES3_N6thrust23THRUST_200600_302600_NS6detail15normal_iteratorINS9_10device_ptrIiEEEENSB_INSC_IdEEEESG_dNS9_4plusIvEENS9_8equal_toIvEEdEE10hipError_tPvRmT2_T3_T4_T5_mT6_T7_P12ihipStream_tbENKUlT_T0_E_clISt17integral_constantIbLb0EES10_IbLb1EEEEDaSW_SX_EUlSW_E_NS1_11comp_targetILNS1_3genE2ELNS1_11target_archE906ELNS1_3gpuE6ELNS1_3repE0EEENS1_30default_config_static_selectorELNS0_4arch9wavefront6targetE1EEEvT1_
		.amdhsa_group_segment_fixed_size 0
		.amdhsa_private_segment_fixed_size 0
		.amdhsa_kernarg_size 136
		.amdhsa_user_sgpr_count 6
		.amdhsa_user_sgpr_private_segment_buffer 1
		.amdhsa_user_sgpr_dispatch_ptr 0
		.amdhsa_user_sgpr_queue_ptr 0
		.amdhsa_user_sgpr_kernarg_segment_ptr 1
		.amdhsa_user_sgpr_dispatch_id 0
		.amdhsa_user_sgpr_flat_scratch_init 0
		.amdhsa_user_sgpr_kernarg_preload_length 0
		.amdhsa_user_sgpr_kernarg_preload_offset 0
		.amdhsa_user_sgpr_private_segment_size 0
		.amdhsa_uses_dynamic_stack 0
		.amdhsa_system_sgpr_private_segment_wavefront_offset 0
		.amdhsa_system_sgpr_workgroup_id_x 1
		.amdhsa_system_sgpr_workgroup_id_y 0
		.amdhsa_system_sgpr_workgroup_id_z 0
		.amdhsa_system_sgpr_workgroup_info 0
		.amdhsa_system_vgpr_workitem_id 0
		.amdhsa_next_free_vgpr 1
		.amdhsa_next_free_sgpr 0
		.amdhsa_accum_offset 4
		.amdhsa_reserve_vcc 0
		.amdhsa_reserve_flat_scratch 0
		.amdhsa_float_round_mode_32 0
		.amdhsa_float_round_mode_16_64 0
		.amdhsa_float_denorm_mode_32 3
		.amdhsa_float_denorm_mode_16_64 3
		.amdhsa_dx10_clamp 1
		.amdhsa_ieee_mode 1
		.amdhsa_fp16_overflow 0
		.amdhsa_tg_split 0
		.amdhsa_exception_fp_ieee_invalid_op 0
		.amdhsa_exception_fp_denorm_src 0
		.amdhsa_exception_fp_ieee_div_zero 0
		.amdhsa_exception_fp_ieee_overflow 0
		.amdhsa_exception_fp_ieee_underflow 0
		.amdhsa_exception_fp_ieee_inexact 0
		.amdhsa_exception_int_div_zero 0
	.end_amdhsa_kernel
	.section	.text._ZN7rocprim17ROCPRIM_400000_NS6detail17trampoline_kernelINS0_14default_configENS1_27scan_by_key_config_selectorIidEEZZNS1_16scan_by_key_implILNS1_25lookback_scan_determinismE0ELb0ES3_N6thrust23THRUST_200600_302600_NS6detail15normal_iteratorINS9_10device_ptrIiEEEENSB_INSC_IdEEEESG_dNS9_4plusIvEENS9_8equal_toIvEEdEE10hipError_tPvRmT2_T3_T4_T5_mT6_T7_P12ihipStream_tbENKUlT_T0_E_clISt17integral_constantIbLb0EES10_IbLb1EEEEDaSW_SX_EUlSW_E_NS1_11comp_targetILNS1_3genE2ELNS1_11target_archE906ELNS1_3gpuE6ELNS1_3repE0EEENS1_30default_config_static_selectorELNS0_4arch9wavefront6targetE1EEEvT1_,"axG",@progbits,_ZN7rocprim17ROCPRIM_400000_NS6detail17trampoline_kernelINS0_14default_configENS1_27scan_by_key_config_selectorIidEEZZNS1_16scan_by_key_implILNS1_25lookback_scan_determinismE0ELb0ES3_N6thrust23THRUST_200600_302600_NS6detail15normal_iteratorINS9_10device_ptrIiEEEENSB_INSC_IdEEEESG_dNS9_4plusIvEENS9_8equal_toIvEEdEE10hipError_tPvRmT2_T3_T4_T5_mT6_T7_P12ihipStream_tbENKUlT_T0_E_clISt17integral_constantIbLb0EES10_IbLb1EEEEDaSW_SX_EUlSW_E_NS1_11comp_targetILNS1_3genE2ELNS1_11target_archE906ELNS1_3gpuE6ELNS1_3repE0EEENS1_30default_config_static_selectorELNS0_4arch9wavefront6targetE1EEEvT1_,comdat
.Lfunc_end1123:
	.size	_ZN7rocprim17ROCPRIM_400000_NS6detail17trampoline_kernelINS0_14default_configENS1_27scan_by_key_config_selectorIidEEZZNS1_16scan_by_key_implILNS1_25lookback_scan_determinismE0ELb0ES3_N6thrust23THRUST_200600_302600_NS6detail15normal_iteratorINS9_10device_ptrIiEEEENSB_INSC_IdEEEESG_dNS9_4plusIvEENS9_8equal_toIvEEdEE10hipError_tPvRmT2_T3_T4_T5_mT6_T7_P12ihipStream_tbENKUlT_T0_E_clISt17integral_constantIbLb0EES10_IbLb1EEEEDaSW_SX_EUlSW_E_NS1_11comp_targetILNS1_3genE2ELNS1_11target_archE906ELNS1_3gpuE6ELNS1_3repE0EEENS1_30default_config_static_selectorELNS0_4arch9wavefront6targetE1EEEvT1_, .Lfunc_end1123-_ZN7rocprim17ROCPRIM_400000_NS6detail17trampoline_kernelINS0_14default_configENS1_27scan_by_key_config_selectorIidEEZZNS1_16scan_by_key_implILNS1_25lookback_scan_determinismE0ELb0ES3_N6thrust23THRUST_200600_302600_NS6detail15normal_iteratorINS9_10device_ptrIiEEEENSB_INSC_IdEEEESG_dNS9_4plusIvEENS9_8equal_toIvEEdEE10hipError_tPvRmT2_T3_T4_T5_mT6_T7_P12ihipStream_tbENKUlT_T0_E_clISt17integral_constantIbLb0EES10_IbLb1EEEEDaSW_SX_EUlSW_E_NS1_11comp_targetILNS1_3genE2ELNS1_11target_archE906ELNS1_3gpuE6ELNS1_3repE0EEENS1_30default_config_static_selectorELNS0_4arch9wavefront6targetE1EEEvT1_
                                        ; -- End function
	.section	.AMDGPU.csdata,"",@progbits
; Kernel info:
; codeLenInByte = 0
; NumSgprs: 4
; NumVgprs: 0
; NumAgprs: 0
; TotalNumVgprs: 0
; ScratchSize: 0
; MemoryBound: 0
; FloatMode: 240
; IeeeMode: 1
; LDSByteSize: 0 bytes/workgroup (compile time only)
; SGPRBlocks: 0
; VGPRBlocks: 0
; NumSGPRsForWavesPerEU: 4
; NumVGPRsForWavesPerEU: 1
; AccumOffset: 4
; Occupancy: 8
; WaveLimiterHint : 0
; COMPUTE_PGM_RSRC2:SCRATCH_EN: 0
; COMPUTE_PGM_RSRC2:USER_SGPR: 6
; COMPUTE_PGM_RSRC2:TRAP_HANDLER: 0
; COMPUTE_PGM_RSRC2:TGID_X_EN: 1
; COMPUTE_PGM_RSRC2:TGID_Y_EN: 0
; COMPUTE_PGM_RSRC2:TGID_Z_EN: 0
; COMPUTE_PGM_RSRC2:TIDIG_COMP_CNT: 0
; COMPUTE_PGM_RSRC3_GFX90A:ACCUM_OFFSET: 0
; COMPUTE_PGM_RSRC3_GFX90A:TG_SPLIT: 0
	.section	.text._ZN7rocprim17ROCPRIM_400000_NS6detail17trampoline_kernelINS0_14default_configENS1_27scan_by_key_config_selectorIidEEZZNS1_16scan_by_key_implILNS1_25lookback_scan_determinismE0ELb0ES3_N6thrust23THRUST_200600_302600_NS6detail15normal_iteratorINS9_10device_ptrIiEEEENSB_INSC_IdEEEESG_dNS9_4plusIvEENS9_8equal_toIvEEdEE10hipError_tPvRmT2_T3_T4_T5_mT6_T7_P12ihipStream_tbENKUlT_T0_E_clISt17integral_constantIbLb0EES10_IbLb1EEEEDaSW_SX_EUlSW_E_NS1_11comp_targetILNS1_3genE10ELNS1_11target_archE1200ELNS1_3gpuE4ELNS1_3repE0EEENS1_30default_config_static_selectorELNS0_4arch9wavefront6targetE1EEEvT1_,"axG",@progbits,_ZN7rocprim17ROCPRIM_400000_NS6detail17trampoline_kernelINS0_14default_configENS1_27scan_by_key_config_selectorIidEEZZNS1_16scan_by_key_implILNS1_25lookback_scan_determinismE0ELb0ES3_N6thrust23THRUST_200600_302600_NS6detail15normal_iteratorINS9_10device_ptrIiEEEENSB_INSC_IdEEEESG_dNS9_4plusIvEENS9_8equal_toIvEEdEE10hipError_tPvRmT2_T3_T4_T5_mT6_T7_P12ihipStream_tbENKUlT_T0_E_clISt17integral_constantIbLb0EES10_IbLb1EEEEDaSW_SX_EUlSW_E_NS1_11comp_targetILNS1_3genE10ELNS1_11target_archE1200ELNS1_3gpuE4ELNS1_3repE0EEENS1_30default_config_static_selectorELNS0_4arch9wavefront6targetE1EEEvT1_,comdat
	.protected	_ZN7rocprim17ROCPRIM_400000_NS6detail17trampoline_kernelINS0_14default_configENS1_27scan_by_key_config_selectorIidEEZZNS1_16scan_by_key_implILNS1_25lookback_scan_determinismE0ELb0ES3_N6thrust23THRUST_200600_302600_NS6detail15normal_iteratorINS9_10device_ptrIiEEEENSB_INSC_IdEEEESG_dNS9_4plusIvEENS9_8equal_toIvEEdEE10hipError_tPvRmT2_T3_T4_T5_mT6_T7_P12ihipStream_tbENKUlT_T0_E_clISt17integral_constantIbLb0EES10_IbLb1EEEEDaSW_SX_EUlSW_E_NS1_11comp_targetILNS1_3genE10ELNS1_11target_archE1200ELNS1_3gpuE4ELNS1_3repE0EEENS1_30default_config_static_selectorELNS0_4arch9wavefront6targetE1EEEvT1_ ; -- Begin function _ZN7rocprim17ROCPRIM_400000_NS6detail17trampoline_kernelINS0_14default_configENS1_27scan_by_key_config_selectorIidEEZZNS1_16scan_by_key_implILNS1_25lookback_scan_determinismE0ELb0ES3_N6thrust23THRUST_200600_302600_NS6detail15normal_iteratorINS9_10device_ptrIiEEEENSB_INSC_IdEEEESG_dNS9_4plusIvEENS9_8equal_toIvEEdEE10hipError_tPvRmT2_T3_T4_T5_mT6_T7_P12ihipStream_tbENKUlT_T0_E_clISt17integral_constantIbLb0EES10_IbLb1EEEEDaSW_SX_EUlSW_E_NS1_11comp_targetILNS1_3genE10ELNS1_11target_archE1200ELNS1_3gpuE4ELNS1_3repE0EEENS1_30default_config_static_selectorELNS0_4arch9wavefront6targetE1EEEvT1_
	.globl	_ZN7rocprim17ROCPRIM_400000_NS6detail17trampoline_kernelINS0_14default_configENS1_27scan_by_key_config_selectorIidEEZZNS1_16scan_by_key_implILNS1_25lookback_scan_determinismE0ELb0ES3_N6thrust23THRUST_200600_302600_NS6detail15normal_iteratorINS9_10device_ptrIiEEEENSB_INSC_IdEEEESG_dNS9_4plusIvEENS9_8equal_toIvEEdEE10hipError_tPvRmT2_T3_T4_T5_mT6_T7_P12ihipStream_tbENKUlT_T0_E_clISt17integral_constantIbLb0EES10_IbLb1EEEEDaSW_SX_EUlSW_E_NS1_11comp_targetILNS1_3genE10ELNS1_11target_archE1200ELNS1_3gpuE4ELNS1_3repE0EEENS1_30default_config_static_selectorELNS0_4arch9wavefront6targetE1EEEvT1_
	.p2align	8
	.type	_ZN7rocprim17ROCPRIM_400000_NS6detail17trampoline_kernelINS0_14default_configENS1_27scan_by_key_config_selectorIidEEZZNS1_16scan_by_key_implILNS1_25lookback_scan_determinismE0ELb0ES3_N6thrust23THRUST_200600_302600_NS6detail15normal_iteratorINS9_10device_ptrIiEEEENSB_INSC_IdEEEESG_dNS9_4plusIvEENS9_8equal_toIvEEdEE10hipError_tPvRmT2_T3_T4_T5_mT6_T7_P12ihipStream_tbENKUlT_T0_E_clISt17integral_constantIbLb0EES10_IbLb1EEEEDaSW_SX_EUlSW_E_NS1_11comp_targetILNS1_3genE10ELNS1_11target_archE1200ELNS1_3gpuE4ELNS1_3repE0EEENS1_30default_config_static_selectorELNS0_4arch9wavefront6targetE1EEEvT1_,@function
_ZN7rocprim17ROCPRIM_400000_NS6detail17trampoline_kernelINS0_14default_configENS1_27scan_by_key_config_selectorIidEEZZNS1_16scan_by_key_implILNS1_25lookback_scan_determinismE0ELb0ES3_N6thrust23THRUST_200600_302600_NS6detail15normal_iteratorINS9_10device_ptrIiEEEENSB_INSC_IdEEEESG_dNS9_4plusIvEENS9_8equal_toIvEEdEE10hipError_tPvRmT2_T3_T4_T5_mT6_T7_P12ihipStream_tbENKUlT_T0_E_clISt17integral_constantIbLb0EES10_IbLb1EEEEDaSW_SX_EUlSW_E_NS1_11comp_targetILNS1_3genE10ELNS1_11target_archE1200ELNS1_3gpuE4ELNS1_3repE0EEENS1_30default_config_static_selectorELNS0_4arch9wavefront6targetE1EEEvT1_: ; @_ZN7rocprim17ROCPRIM_400000_NS6detail17trampoline_kernelINS0_14default_configENS1_27scan_by_key_config_selectorIidEEZZNS1_16scan_by_key_implILNS1_25lookback_scan_determinismE0ELb0ES3_N6thrust23THRUST_200600_302600_NS6detail15normal_iteratorINS9_10device_ptrIiEEEENSB_INSC_IdEEEESG_dNS9_4plusIvEENS9_8equal_toIvEEdEE10hipError_tPvRmT2_T3_T4_T5_mT6_T7_P12ihipStream_tbENKUlT_T0_E_clISt17integral_constantIbLb0EES10_IbLb1EEEEDaSW_SX_EUlSW_E_NS1_11comp_targetILNS1_3genE10ELNS1_11target_archE1200ELNS1_3gpuE4ELNS1_3repE0EEENS1_30default_config_static_selectorELNS0_4arch9wavefront6targetE1EEEvT1_
; %bb.0:
	.section	.rodata,"a",@progbits
	.p2align	6, 0x0
	.amdhsa_kernel _ZN7rocprim17ROCPRIM_400000_NS6detail17trampoline_kernelINS0_14default_configENS1_27scan_by_key_config_selectorIidEEZZNS1_16scan_by_key_implILNS1_25lookback_scan_determinismE0ELb0ES3_N6thrust23THRUST_200600_302600_NS6detail15normal_iteratorINS9_10device_ptrIiEEEENSB_INSC_IdEEEESG_dNS9_4plusIvEENS9_8equal_toIvEEdEE10hipError_tPvRmT2_T3_T4_T5_mT6_T7_P12ihipStream_tbENKUlT_T0_E_clISt17integral_constantIbLb0EES10_IbLb1EEEEDaSW_SX_EUlSW_E_NS1_11comp_targetILNS1_3genE10ELNS1_11target_archE1200ELNS1_3gpuE4ELNS1_3repE0EEENS1_30default_config_static_selectorELNS0_4arch9wavefront6targetE1EEEvT1_
		.amdhsa_group_segment_fixed_size 0
		.amdhsa_private_segment_fixed_size 0
		.amdhsa_kernarg_size 136
		.amdhsa_user_sgpr_count 6
		.amdhsa_user_sgpr_private_segment_buffer 1
		.amdhsa_user_sgpr_dispatch_ptr 0
		.amdhsa_user_sgpr_queue_ptr 0
		.amdhsa_user_sgpr_kernarg_segment_ptr 1
		.amdhsa_user_sgpr_dispatch_id 0
		.amdhsa_user_sgpr_flat_scratch_init 0
		.amdhsa_user_sgpr_kernarg_preload_length 0
		.amdhsa_user_sgpr_kernarg_preload_offset 0
		.amdhsa_user_sgpr_private_segment_size 0
		.amdhsa_uses_dynamic_stack 0
		.amdhsa_system_sgpr_private_segment_wavefront_offset 0
		.amdhsa_system_sgpr_workgroup_id_x 1
		.amdhsa_system_sgpr_workgroup_id_y 0
		.amdhsa_system_sgpr_workgroup_id_z 0
		.amdhsa_system_sgpr_workgroup_info 0
		.amdhsa_system_vgpr_workitem_id 0
		.amdhsa_next_free_vgpr 1
		.amdhsa_next_free_sgpr 0
		.amdhsa_accum_offset 4
		.amdhsa_reserve_vcc 0
		.amdhsa_reserve_flat_scratch 0
		.amdhsa_float_round_mode_32 0
		.amdhsa_float_round_mode_16_64 0
		.amdhsa_float_denorm_mode_32 3
		.amdhsa_float_denorm_mode_16_64 3
		.amdhsa_dx10_clamp 1
		.amdhsa_ieee_mode 1
		.amdhsa_fp16_overflow 0
		.amdhsa_tg_split 0
		.amdhsa_exception_fp_ieee_invalid_op 0
		.amdhsa_exception_fp_denorm_src 0
		.amdhsa_exception_fp_ieee_div_zero 0
		.amdhsa_exception_fp_ieee_overflow 0
		.amdhsa_exception_fp_ieee_underflow 0
		.amdhsa_exception_fp_ieee_inexact 0
		.amdhsa_exception_int_div_zero 0
	.end_amdhsa_kernel
	.section	.text._ZN7rocprim17ROCPRIM_400000_NS6detail17trampoline_kernelINS0_14default_configENS1_27scan_by_key_config_selectorIidEEZZNS1_16scan_by_key_implILNS1_25lookback_scan_determinismE0ELb0ES3_N6thrust23THRUST_200600_302600_NS6detail15normal_iteratorINS9_10device_ptrIiEEEENSB_INSC_IdEEEESG_dNS9_4plusIvEENS9_8equal_toIvEEdEE10hipError_tPvRmT2_T3_T4_T5_mT6_T7_P12ihipStream_tbENKUlT_T0_E_clISt17integral_constantIbLb0EES10_IbLb1EEEEDaSW_SX_EUlSW_E_NS1_11comp_targetILNS1_3genE10ELNS1_11target_archE1200ELNS1_3gpuE4ELNS1_3repE0EEENS1_30default_config_static_selectorELNS0_4arch9wavefront6targetE1EEEvT1_,"axG",@progbits,_ZN7rocprim17ROCPRIM_400000_NS6detail17trampoline_kernelINS0_14default_configENS1_27scan_by_key_config_selectorIidEEZZNS1_16scan_by_key_implILNS1_25lookback_scan_determinismE0ELb0ES3_N6thrust23THRUST_200600_302600_NS6detail15normal_iteratorINS9_10device_ptrIiEEEENSB_INSC_IdEEEESG_dNS9_4plusIvEENS9_8equal_toIvEEdEE10hipError_tPvRmT2_T3_T4_T5_mT6_T7_P12ihipStream_tbENKUlT_T0_E_clISt17integral_constantIbLb0EES10_IbLb1EEEEDaSW_SX_EUlSW_E_NS1_11comp_targetILNS1_3genE10ELNS1_11target_archE1200ELNS1_3gpuE4ELNS1_3repE0EEENS1_30default_config_static_selectorELNS0_4arch9wavefront6targetE1EEEvT1_,comdat
.Lfunc_end1124:
	.size	_ZN7rocprim17ROCPRIM_400000_NS6detail17trampoline_kernelINS0_14default_configENS1_27scan_by_key_config_selectorIidEEZZNS1_16scan_by_key_implILNS1_25lookback_scan_determinismE0ELb0ES3_N6thrust23THRUST_200600_302600_NS6detail15normal_iteratorINS9_10device_ptrIiEEEENSB_INSC_IdEEEESG_dNS9_4plusIvEENS9_8equal_toIvEEdEE10hipError_tPvRmT2_T3_T4_T5_mT6_T7_P12ihipStream_tbENKUlT_T0_E_clISt17integral_constantIbLb0EES10_IbLb1EEEEDaSW_SX_EUlSW_E_NS1_11comp_targetILNS1_3genE10ELNS1_11target_archE1200ELNS1_3gpuE4ELNS1_3repE0EEENS1_30default_config_static_selectorELNS0_4arch9wavefront6targetE1EEEvT1_, .Lfunc_end1124-_ZN7rocprim17ROCPRIM_400000_NS6detail17trampoline_kernelINS0_14default_configENS1_27scan_by_key_config_selectorIidEEZZNS1_16scan_by_key_implILNS1_25lookback_scan_determinismE0ELb0ES3_N6thrust23THRUST_200600_302600_NS6detail15normal_iteratorINS9_10device_ptrIiEEEENSB_INSC_IdEEEESG_dNS9_4plusIvEENS9_8equal_toIvEEdEE10hipError_tPvRmT2_T3_T4_T5_mT6_T7_P12ihipStream_tbENKUlT_T0_E_clISt17integral_constantIbLb0EES10_IbLb1EEEEDaSW_SX_EUlSW_E_NS1_11comp_targetILNS1_3genE10ELNS1_11target_archE1200ELNS1_3gpuE4ELNS1_3repE0EEENS1_30default_config_static_selectorELNS0_4arch9wavefront6targetE1EEEvT1_
                                        ; -- End function
	.section	.AMDGPU.csdata,"",@progbits
; Kernel info:
; codeLenInByte = 0
; NumSgprs: 4
; NumVgprs: 0
; NumAgprs: 0
; TotalNumVgprs: 0
; ScratchSize: 0
; MemoryBound: 0
; FloatMode: 240
; IeeeMode: 1
; LDSByteSize: 0 bytes/workgroup (compile time only)
; SGPRBlocks: 0
; VGPRBlocks: 0
; NumSGPRsForWavesPerEU: 4
; NumVGPRsForWavesPerEU: 1
; AccumOffset: 4
; Occupancy: 8
; WaveLimiterHint : 0
; COMPUTE_PGM_RSRC2:SCRATCH_EN: 0
; COMPUTE_PGM_RSRC2:USER_SGPR: 6
; COMPUTE_PGM_RSRC2:TRAP_HANDLER: 0
; COMPUTE_PGM_RSRC2:TGID_X_EN: 1
; COMPUTE_PGM_RSRC2:TGID_Y_EN: 0
; COMPUTE_PGM_RSRC2:TGID_Z_EN: 0
; COMPUTE_PGM_RSRC2:TIDIG_COMP_CNT: 0
; COMPUTE_PGM_RSRC3_GFX90A:ACCUM_OFFSET: 0
; COMPUTE_PGM_RSRC3_GFX90A:TG_SPLIT: 0
	.section	.text._ZN7rocprim17ROCPRIM_400000_NS6detail17trampoline_kernelINS0_14default_configENS1_27scan_by_key_config_selectorIidEEZZNS1_16scan_by_key_implILNS1_25lookback_scan_determinismE0ELb0ES3_N6thrust23THRUST_200600_302600_NS6detail15normal_iteratorINS9_10device_ptrIiEEEENSB_INSC_IdEEEESG_dNS9_4plusIvEENS9_8equal_toIvEEdEE10hipError_tPvRmT2_T3_T4_T5_mT6_T7_P12ihipStream_tbENKUlT_T0_E_clISt17integral_constantIbLb0EES10_IbLb1EEEEDaSW_SX_EUlSW_E_NS1_11comp_targetILNS1_3genE9ELNS1_11target_archE1100ELNS1_3gpuE3ELNS1_3repE0EEENS1_30default_config_static_selectorELNS0_4arch9wavefront6targetE1EEEvT1_,"axG",@progbits,_ZN7rocprim17ROCPRIM_400000_NS6detail17trampoline_kernelINS0_14default_configENS1_27scan_by_key_config_selectorIidEEZZNS1_16scan_by_key_implILNS1_25lookback_scan_determinismE0ELb0ES3_N6thrust23THRUST_200600_302600_NS6detail15normal_iteratorINS9_10device_ptrIiEEEENSB_INSC_IdEEEESG_dNS9_4plusIvEENS9_8equal_toIvEEdEE10hipError_tPvRmT2_T3_T4_T5_mT6_T7_P12ihipStream_tbENKUlT_T0_E_clISt17integral_constantIbLb0EES10_IbLb1EEEEDaSW_SX_EUlSW_E_NS1_11comp_targetILNS1_3genE9ELNS1_11target_archE1100ELNS1_3gpuE3ELNS1_3repE0EEENS1_30default_config_static_selectorELNS0_4arch9wavefront6targetE1EEEvT1_,comdat
	.protected	_ZN7rocprim17ROCPRIM_400000_NS6detail17trampoline_kernelINS0_14default_configENS1_27scan_by_key_config_selectorIidEEZZNS1_16scan_by_key_implILNS1_25lookback_scan_determinismE0ELb0ES3_N6thrust23THRUST_200600_302600_NS6detail15normal_iteratorINS9_10device_ptrIiEEEENSB_INSC_IdEEEESG_dNS9_4plusIvEENS9_8equal_toIvEEdEE10hipError_tPvRmT2_T3_T4_T5_mT6_T7_P12ihipStream_tbENKUlT_T0_E_clISt17integral_constantIbLb0EES10_IbLb1EEEEDaSW_SX_EUlSW_E_NS1_11comp_targetILNS1_3genE9ELNS1_11target_archE1100ELNS1_3gpuE3ELNS1_3repE0EEENS1_30default_config_static_selectorELNS0_4arch9wavefront6targetE1EEEvT1_ ; -- Begin function _ZN7rocprim17ROCPRIM_400000_NS6detail17trampoline_kernelINS0_14default_configENS1_27scan_by_key_config_selectorIidEEZZNS1_16scan_by_key_implILNS1_25lookback_scan_determinismE0ELb0ES3_N6thrust23THRUST_200600_302600_NS6detail15normal_iteratorINS9_10device_ptrIiEEEENSB_INSC_IdEEEESG_dNS9_4plusIvEENS9_8equal_toIvEEdEE10hipError_tPvRmT2_T3_T4_T5_mT6_T7_P12ihipStream_tbENKUlT_T0_E_clISt17integral_constantIbLb0EES10_IbLb1EEEEDaSW_SX_EUlSW_E_NS1_11comp_targetILNS1_3genE9ELNS1_11target_archE1100ELNS1_3gpuE3ELNS1_3repE0EEENS1_30default_config_static_selectorELNS0_4arch9wavefront6targetE1EEEvT1_
	.globl	_ZN7rocprim17ROCPRIM_400000_NS6detail17trampoline_kernelINS0_14default_configENS1_27scan_by_key_config_selectorIidEEZZNS1_16scan_by_key_implILNS1_25lookback_scan_determinismE0ELb0ES3_N6thrust23THRUST_200600_302600_NS6detail15normal_iteratorINS9_10device_ptrIiEEEENSB_INSC_IdEEEESG_dNS9_4plusIvEENS9_8equal_toIvEEdEE10hipError_tPvRmT2_T3_T4_T5_mT6_T7_P12ihipStream_tbENKUlT_T0_E_clISt17integral_constantIbLb0EES10_IbLb1EEEEDaSW_SX_EUlSW_E_NS1_11comp_targetILNS1_3genE9ELNS1_11target_archE1100ELNS1_3gpuE3ELNS1_3repE0EEENS1_30default_config_static_selectorELNS0_4arch9wavefront6targetE1EEEvT1_
	.p2align	8
	.type	_ZN7rocprim17ROCPRIM_400000_NS6detail17trampoline_kernelINS0_14default_configENS1_27scan_by_key_config_selectorIidEEZZNS1_16scan_by_key_implILNS1_25lookback_scan_determinismE0ELb0ES3_N6thrust23THRUST_200600_302600_NS6detail15normal_iteratorINS9_10device_ptrIiEEEENSB_INSC_IdEEEESG_dNS9_4plusIvEENS9_8equal_toIvEEdEE10hipError_tPvRmT2_T3_T4_T5_mT6_T7_P12ihipStream_tbENKUlT_T0_E_clISt17integral_constantIbLb0EES10_IbLb1EEEEDaSW_SX_EUlSW_E_NS1_11comp_targetILNS1_3genE9ELNS1_11target_archE1100ELNS1_3gpuE3ELNS1_3repE0EEENS1_30default_config_static_selectorELNS0_4arch9wavefront6targetE1EEEvT1_,@function
_ZN7rocprim17ROCPRIM_400000_NS6detail17trampoline_kernelINS0_14default_configENS1_27scan_by_key_config_selectorIidEEZZNS1_16scan_by_key_implILNS1_25lookback_scan_determinismE0ELb0ES3_N6thrust23THRUST_200600_302600_NS6detail15normal_iteratorINS9_10device_ptrIiEEEENSB_INSC_IdEEEESG_dNS9_4plusIvEENS9_8equal_toIvEEdEE10hipError_tPvRmT2_T3_T4_T5_mT6_T7_P12ihipStream_tbENKUlT_T0_E_clISt17integral_constantIbLb0EES10_IbLb1EEEEDaSW_SX_EUlSW_E_NS1_11comp_targetILNS1_3genE9ELNS1_11target_archE1100ELNS1_3gpuE3ELNS1_3repE0EEENS1_30default_config_static_selectorELNS0_4arch9wavefront6targetE1EEEvT1_: ; @_ZN7rocprim17ROCPRIM_400000_NS6detail17trampoline_kernelINS0_14default_configENS1_27scan_by_key_config_selectorIidEEZZNS1_16scan_by_key_implILNS1_25lookback_scan_determinismE0ELb0ES3_N6thrust23THRUST_200600_302600_NS6detail15normal_iteratorINS9_10device_ptrIiEEEENSB_INSC_IdEEEESG_dNS9_4plusIvEENS9_8equal_toIvEEdEE10hipError_tPvRmT2_T3_T4_T5_mT6_T7_P12ihipStream_tbENKUlT_T0_E_clISt17integral_constantIbLb0EES10_IbLb1EEEEDaSW_SX_EUlSW_E_NS1_11comp_targetILNS1_3genE9ELNS1_11target_archE1100ELNS1_3gpuE3ELNS1_3repE0EEENS1_30default_config_static_selectorELNS0_4arch9wavefront6targetE1EEEvT1_
; %bb.0:
	.section	.rodata,"a",@progbits
	.p2align	6, 0x0
	.amdhsa_kernel _ZN7rocprim17ROCPRIM_400000_NS6detail17trampoline_kernelINS0_14default_configENS1_27scan_by_key_config_selectorIidEEZZNS1_16scan_by_key_implILNS1_25lookback_scan_determinismE0ELb0ES3_N6thrust23THRUST_200600_302600_NS6detail15normal_iteratorINS9_10device_ptrIiEEEENSB_INSC_IdEEEESG_dNS9_4plusIvEENS9_8equal_toIvEEdEE10hipError_tPvRmT2_T3_T4_T5_mT6_T7_P12ihipStream_tbENKUlT_T0_E_clISt17integral_constantIbLb0EES10_IbLb1EEEEDaSW_SX_EUlSW_E_NS1_11comp_targetILNS1_3genE9ELNS1_11target_archE1100ELNS1_3gpuE3ELNS1_3repE0EEENS1_30default_config_static_selectorELNS0_4arch9wavefront6targetE1EEEvT1_
		.amdhsa_group_segment_fixed_size 0
		.amdhsa_private_segment_fixed_size 0
		.amdhsa_kernarg_size 136
		.amdhsa_user_sgpr_count 6
		.amdhsa_user_sgpr_private_segment_buffer 1
		.amdhsa_user_sgpr_dispatch_ptr 0
		.amdhsa_user_sgpr_queue_ptr 0
		.amdhsa_user_sgpr_kernarg_segment_ptr 1
		.amdhsa_user_sgpr_dispatch_id 0
		.amdhsa_user_sgpr_flat_scratch_init 0
		.amdhsa_user_sgpr_kernarg_preload_length 0
		.amdhsa_user_sgpr_kernarg_preload_offset 0
		.amdhsa_user_sgpr_private_segment_size 0
		.amdhsa_uses_dynamic_stack 0
		.amdhsa_system_sgpr_private_segment_wavefront_offset 0
		.amdhsa_system_sgpr_workgroup_id_x 1
		.amdhsa_system_sgpr_workgroup_id_y 0
		.amdhsa_system_sgpr_workgroup_id_z 0
		.amdhsa_system_sgpr_workgroup_info 0
		.amdhsa_system_vgpr_workitem_id 0
		.amdhsa_next_free_vgpr 1
		.amdhsa_next_free_sgpr 0
		.amdhsa_accum_offset 4
		.amdhsa_reserve_vcc 0
		.amdhsa_reserve_flat_scratch 0
		.amdhsa_float_round_mode_32 0
		.amdhsa_float_round_mode_16_64 0
		.amdhsa_float_denorm_mode_32 3
		.amdhsa_float_denorm_mode_16_64 3
		.amdhsa_dx10_clamp 1
		.amdhsa_ieee_mode 1
		.amdhsa_fp16_overflow 0
		.amdhsa_tg_split 0
		.amdhsa_exception_fp_ieee_invalid_op 0
		.amdhsa_exception_fp_denorm_src 0
		.amdhsa_exception_fp_ieee_div_zero 0
		.amdhsa_exception_fp_ieee_overflow 0
		.amdhsa_exception_fp_ieee_underflow 0
		.amdhsa_exception_fp_ieee_inexact 0
		.amdhsa_exception_int_div_zero 0
	.end_amdhsa_kernel
	.section	.text._ZN7rocprim17ROCPRIM_400000_NS6detail17trampoline_kernelINS0_14default_configENS1_27scan_by_key_config_selectorIidEEZZNS1_16scan_by_key_implILNS1_25lookback_scan_determinismE0ELb0ES3_N6thrust23THRUST_200600_302600_NS6detail15normal_iteratorINS9_10device_ptrIiEEEENSB_INSC_IdEEEESG_dNS9_4plusIvEENS9_8equal_toIvEEdEE10hipError_tPvRmT2_T3_T4_T5_mT6_T7_P12ihipStream_tbENKUlT_T0_E_clISt17integral_constantIbLb0EES10_IbLb1EEEEDaSW_SX_EUlSW_E_NS1_11comp_targetILNS1_3genE9ELNS1_11target_archE1100ELNS1_3gpuE3ELNS1_3repE0EEENS1_30default_config_static_selectorELNS0_4arch9wavefront6targetE1EEEvT1_,"axG",@progbits,_ZN7rocprim17ROCPRIM_400000_NS6detail17trampoline_kernelINS0_14default_configENS1_27scan_by_key_config_selectorIidEEZZNS1_16scan_by_key_implILNS1_25lookback_scan_determinismE0ELb0ES3_N6thrust23THRUST_200600_302600_NS6detail15normal_iteratorINS9_10device_ptrIiEEEENSB_INSC_IdEEEESG_dNS9_4plusIvEENS9_8equal_toIvEEdEE10hipError_tPvRmT2_T3_T4_T5_mT6_T7_P12ihipStream_tbENKUlT_T0_E_clISt17integral_constantIbLb0EES10_IbLb1EEEEDaSW_SX_EUlSW_E_NS1_11comp_targetILNS1_3genE9ELNS1_11target_archE1100ELNS1_3gpuE3ELNS1_3repE0EEENS1_30default_config_static_selectorELNS0_4arch9wavefront6targetE1EEEvT1_,comdat
.Lfunc_end1125:
	.size	_ZN7rocprim17ROCPRIM_400000_NS6detail17trampoline_kernelINS0_14default_configENS1_27scan_by_key_config_selectorIidEEZZNS1_16scan_by_key_implILNS1_25lookback_scan_determinismE0ELb0ES3_N6thrust23THRUST_200600_302600_NS6detail15normal_iteratorINS9_10device_ptrIiEEEENSB_INSC_IdEEEESG_dNS9_4plusIvEENS9_8equal_toIvEEdEE10hipError_tPvRmT2_T3_T4_T5_mT6_T7_P12ihipStream_tbENKUlT_T0_E_clISt17integral_constantIbLb0EES10_IbLb1EEEEDaSW_SX_EUlSW_E_NS1_11comp_targetILNS1_3genE9ELNS1_11target_archE1100ELNS1_3gpuE3ELNS1_3repE0EEENS1_30default_config_static_selectorELNS0_4arch9wavefront6targetE1EEEvT1_, .Lfunc_end1125-_ZN7rocprim17ROCPRIM_400000_NS6detail17trampoline_kernelINS0_14default_configENS1_27scan_by_key_config_selectorIidEEZZNS1_16scan_by_key_implILNS1_25lookback_scan_determinismE0ELb0ES3_N6thrust23THRUST_200600_302600_NS6detail15normal_iteratorINS9_10device_ptrIiEEEENSB_INSC_IdEEEESG_dNS9_4plusIvEENS9_8equal_toIvEEdEE10hipError_tPvRmT2_T3_T4_T5_mT6_T7_P12ihipStream_tbENKUlT_T0_E_clISt17integral_constantIbLb0EES10_IbLb1EEEEDaSW_SX_EUlSW_E_NS1_11comp_targetILNS1_3genE9ELNS1_11target_archE1100ELNS1_3gpuE3ELNS1_3repE0EEENS1_30default_config_static_selectorELNS0_4arch9wavefront6targetE1EEEvT1_
                                        ; -- End function
	.section	.AMDGPU.csdata,"",@progbits
; Kernel info:
; codeLenInByte = 0
; NumSgprs: 4
; NumVgprs: 0
; NumAgprs: 0
; TotalNumVgprs: 0
; ScratchSize: 0
; MemoryBound: 0
; FloatMode: 240
; IeeeMode: 1
; LDSByteSize: 0 bytes/workgroup (compile time only)
; SGPRBlocks: 0
; VGPRBlocks: 0
; NumSGPRsForWavesPerEU: 4
; NumVGPRsForWavesPerEU: 1
; AccumOffset: 4
; Occupancy: 8
; WaveLimiterHint : 0
; COMPUTE_PGM_RSRC2:SCRATCH_EN: 0
; COMPUTE_PGM_RSRC2:USER_SGPR: 6
; COMPUTE_PGM_RSRC2:TRAP_HANDLER: 0
; COMPUTE_PGM_RSRC2:TGID_X_EN: 1
; COMPUTE_PGM_RSRC2:TGID_Y_EN: 0
; COMPUTE_PGM_RSRC2:TGID_Z_EN: 0
; COMPUTE_PGM_RSRC2:TIDIG_COMP_CNT: 0
; COMPUTE_PGM_RSRC3_GFX90A:ACCUM_OFFSET: 0
; COMPUTE_PGM_RSRC3_GFX90A:TG_SPLIT: 0
	.section	.text._ZN7rocprim17ROCPRIM_400000_NS6detail17trampoline_kernelINS0_14default_configENS1_27scan_by_key_config_selectorIidEEZZNS1_16scan_by_key_implILNS1_25lookback_scan_determinismE0ELb0ES3_N6thrust23THRUST_200600_302600_NS6detail15normal_iteratorINS9_10device_ptrIiEEEENSB_INSC_IdEEEESG_dNS9_4plusIvEENS9_8equal_toIvEEdEE10hipError_tPvRmT2_T3_T4_T5_mT6_T7_P12ihipStream_tbENKUlT_T0_E_clISt17integral_constantIbLb0EES10_IbLb1EEEEDaSW_SX_EUlSW_E_NS1_11comp_targetILNS1_3genE8ELNS1_11target_archE1030ELNS1_3gpuE2ELNS1_3repE0EEENS1_30default_config_static_selectorELNS0_4arch9wavefront6targetE1EEEvT1_,"axG",@progbits,_ZN7rocprim17ROCPRIM_400000_NS6detail17trampoline_kernelINS0_14default_configENS1_27scan_by_key_config_selectorIidEEZZNS1_16scan_by_key_implILNS1_25lookback_scan_determinismE0ELb0ES3_N6thrust23THRUST_200600_302600_NS6detail15normal_iteratorINS9_10device_ptrIiEEEENSB_INSC_IdEEEESG_dNS9_4plusIvEENS9_8equal_toIvEEdEE10hipError_tPvRmT2_T3_T4_T5_mT6_T7_P12ihipStream_tbENKUlT_T0_E_clISt17integral_constantIbLb0EES10_IbLb1EEEEDaSW_SX_EUlSW_E_NS1_11comp_targetILNS1_3genE8ELNS1_11target_archE1030ELNS1_3gpuE2ELNS1_3repE0EEENS1_30default_config_static_selectorELNS0_4arch9wavefront6targetE1EEEvT1_,comdat
	.protected	_ZN7rocprim17ROCPRIM_400000_NS6detail17trampoline_kernelINS0_14default_configENS1_27scan_by_key_config_selectorIidEEZZNS1_16scan_by_key_implILNS1_25lookback_scan_determinismE0ELb0ES3_N6thrust23THRUST_200600_302600_NS6detail15normal_iteratorINS9_10device_ptrIiEEEENSB_INSC_IdEEEESG_dNS9_4plusIvEENS9_8equal_toIvEEdEE10hipError_tPvRmT2_T3_T4_T5_mT6_T7_P12ihipStream_tbENKUlT_T0_E_clISt17integral_constantIbLb0EES10_IbLb1EEEEDaSW_SX_EUlSW_E_NS1_11comp_targetILNS1_3genE8ELNS1_11target_archE1030ELNS1_3gpuE2ELNS1_3repE0EEENS1_30default_config_static_selectorELNS0_4arch9wavefront6targetE1EEEvT1_ ; -- Begin function _ZN7rocprim17ROCPRIM_400000_NS6detail17trampoline_kernelINS0_14default_configENS1_27scan_by_key_config_selectorIidEEZZNS1_16scan_by_key_implILNS1_25lookback_scan_determinismE0ELb0ES3_N6thrust23THRUST_200600_302600_NS6detail15normal_iteratorINS9_10device_ptrIiEEEENSB_INSC_IdEEEESG_dNS9_4plusIvEENS9_8equal_toIvEEdEE10hipError_tPvRmT2_T3_T4_T5_mT6_T7_P12ihipStream_tbENKUlT_T0_E_clISt17integral_constantIbLb0EES10_IbLb1EEEEDaSW_SX_EUlSW_E_NS1_11comp_targetILNS1_3genE8ELNS1_11target_archE1030ELNS1_3gpuE2ELNS1_3repE0EEENS1_30default_config_static_selectorELNS0_4arch9wavefront6targetE1EEEvT1_
	.globl	_ZN7rocprim17ROCPRIM_400000_NS6detail17trampoline_kernelINS0_14default_configENS1_27scan_by_key_config_selectorIidEEZZNS1_16scan_by_key_implILNS1_25lookback_scan_determinismE0ELb0ES3_N6thrust23THRUST_200600_302600_NS6detail15normal_iteratorINS9_10device_ptrIiEEEENSB_INSC_IdEEEESG_dNS9_4plusIvEENS9_8equal_toIvEEdEE10hipError_tPvRmT2_T3_T4_T5_mT6_T7_P12ihipStream_tbENKUlT_T0_E_clISt17integral_constantIbLb0EES10_IbLb1EEEEDaSW_SX_EUlSW_E_NS1_11comp_targetILNS1_3genE8ELNS1_11target_archE1030ELNS1_3gpuE2ELNS1_3repE0EEENS1_30default_config_static_selectorELNS0_4arch9wavefront6targetE1EEEvT1_
	.p2align	8
	.type	_ZN7rocprim17ROCPRIM_400000_NS6detail17trampoline_kernelINS0_14default_configENS1_27scan_by_key_config_selectorIidEEZZNS1_16scan_by_key_implILNS1_25lookback_scan_determinismE0ELb0ES3_N6thrust23THRUST_200600_302600_NS6detail15normal_iteratorINS9_10device_ptrIiEEEENSB_INSC_IdEEEESG_dNS9_4plusIvEENS9_8equal_toIvEEdEE10hipError_tPvRmT2_T3_T4_T5_mT6_T7_P12ihipStream_tbENKUlT_T0_E_clISt17integral_constantIbLb0EES10_IbLb1EEEEDaSW_SX_EUlSW_E_NS1_11comp_targetILNS1_3genE8ELNS1_11target_archE1030ELNS1_3gpuE2ELNS1_3repE0EEENS1_30default_config_static_selectorELNS0_4arch9wavefront6targetE1EEEvT1_,@function
_ZN7rocprim17ROCPRIM_400000_NS6detail17trampoline_kernelINS0_14default_configENS1_27scan_by_key_config_selectorIidEEZZNS1_16scan_by_key_implILNS1_25lookback_scan_determinismE0ELb0ES3_N6thrust23THRUST_200600_302600_NS6detail15normal_iteratorINS9_10device_ptrIiEEEENSB_INSC_IdEEEESG_dNS9_4plusIvEENS9_8equal_toIvEEdEE10hipError_tPvRmT2_T3_T4_T5_mT6_T7_P12ihipStream_tbENKUlT_T0_E_clISt17integral_constantIbLb0EES10_IbLb1EEEEDaSW_SX_EUlSW_E_NS1_11comp_targetILNS1_3genE8ELNS1_11target_archE1030ELNS1_3gpuE2ELNS1_3repE0EEENS1_30default_config_static_selectorELNS0_4arch9wavefront6targetE1EEEvT1_: ; @_ZN7rocprim17ROCPRIM_400000_NS6detail17trampoline_kernelINS0_14default_configENS1_27scan_by_key_config_selectorIidEEZZNS1_16scan_by_key_implILNS1_25lookback_scan_determinismE0ELb0ES3_N6thrust23THRUST_200600_302600_NS6detail15normal_iteratorINS9_10device_ptrIiEEEENSB_INSC_IdEEEESG_dNS9_4plusIvEENS9_8equal_toIvEEdEE10hipError_tPvRmT2_T3_T4_T5_mT6_T7_P12ihipStream_tbENKUlT_T0_E_clISt17integral_constantIbLb0EES10_IbLb1EEEEDaSW_SX_EUlSW_E_NS1_11comp_targetILNS1_3genE8ELNS1_11target_archE1030ELNS1_3gpuE2ELNS1_3repE0EEENS1_30default_config_static_selectorELNS0_4arch9wavefront6targetE1EEEvT1_
; %bb.0:
	.section	.rodata,"a",@progbits
	.p2align	6, 0x0
	.amdhsa_kernel _ZN7rocprim17ROCPRIM_400000_NS6detail17trampoline_kernelINS0_14default_configENS1_27scan_by_key_config_selectorIidEEZZNS1_16scan_by_key_implILNS1_25lookback_scan_determinismE0ELb0ES3_N6thrust23THRUST_200600_302600_NS6detail15normal_iteratorINS9_10device_ptrIiEEEENSB_INSC_IdEEEESG_dNS9_4plusIvEENS9_8equal_toIvEEdEE10hipError_tPvRmT2_T3_T4_T5_mT6_T7_P12ihipStream_tbENKUlT_T0_E_clISt17integral_constantIbLb0EES10_IbLb1EEEEDaSW_SX_EUlSW_E_NS1_11comp_targetILNS1_3genE8ELNS1_11target_archE1030ELNS1_3gpuE2ELNS1_3repE0EEENS1_30default_config_static_selectorELNS0_4arch9wavefront6targetE1EEEvT1_
		.amdhsa_group_segment_fixed_size 0
		.amdhsa_private_segment_fixed_size 0
		.amdhsa_kernarg_size 136
		.amdhsa_user_sgpr_count 6
		.amdhsa_user_sgpr_private_segment_buffer 1
		.amdhsa_user_sgpr_dispatch_ptr 0
		.amdhsa_user_sgpr_queue_ptr 0
		.amdhsa_user_sgpr_kernarg_segment_ptr 1
		.amdhsa_user_sgpr_dispatch_id 0
		.amdhsa_user_sgpr_flat_scratch_init 0
		.amdhsa_user_sgpr_kernarg_preload_length 0
		.amdhsa_user_sgpr_kernarg_preload_offset 0
		.amdhsa_user_sgpr_private_segment_size 0
		.amdhsa_uses_dynamic_stack 0
		.amdhsa_system_sgpr_private_segment_wavefront_offset 0
		.amdhsa_system_sgpr_workgroup_id_x 1
		.amdhsa_system_sgpr_workgroup_id_y 0
		.amdhsa_system_sgpr_workgroup_id_z 0
		.amdhsa_system_sgpr_workgroup_info 0
		.amdhsa_system_vgpr_workitem_id 0
		.amdhsa_next_free_vgpr 1
		.amdhsa_next_free_sgpr 0
		.amdhsa_accum_offset 4
		.amdhsa_reserve_vcc 0
		.amdhsa_reserve_flat_scratch 0
		.amdhsa_float_round_mode_32 0
		.amdhsa_float_round_mode_16_64 0
		.amdhsa_float_denorm_mode_32 3
		.amdhsa_float_denorm_mode_16_64 3
		.amdhsa_dx10_clamp 1
		.amdhsa_ieee_mode 1
		.amdhsa_fp16_overflow 0
		.amdhsa_tg_split 0
		.amdhsa_exception_fp_ieee_invalid_op 0
		.amdhsa_exception_fp_denorm_src 0
		.amdhsa_exception_fp_ieee_div_zero 0
		.amdhsa_exception_fp_ieee_overflow 0
		.amdhsa_exception_fp_ieee_underflow 0
		.amdhsa_exception_fp_ieee_inexact 0
		.amdhsa_exception_int_div_zero 0
	.end_amdhsa_kernel
	.section	.text._ZN7rocprim17ROCPRIM_400000_NS6detail17trampoline_kernelINS0_14default_configENS1_27scan_by_key_config_selectorIidEEZZNS1_16scan_by_key_implILNS1_25lookback_scan_determinismE0ELb0ES3_N6thrust23THRUST_200600_302600_NS6detail15normal_iteratorINS9_10device_ptrIiEEEENSB_INSC_IdEEEESG_dNS9_4plusIvEENS9_8equal_toIvEEdEE10hipError_tPvRmT2_T3_T4_T5_mT6_T7_P12ihipStream_tbENKUlT_T0_E_clISt17integral_constantIbLb0EES10_IbLb1EEEEDaSW_SX_EUlSW_E_NS1_11comp_targetILNS1_3genE8ELNS1_11target_archE1030ELNS1_3gpuE2ELNS1_3repE0EEENS1_30default_config_static_selectorELNS0_4arch9wavefront6targetE1EEEvT1_,"axG",@progbits,_ZN7rocprim17ROCPRIM_400000_NS6detail17trampoline_kernelINS0_14default_configENS1_27scan_by_key_config_selectorIidEEZZNS1_16scan_by_key_implILNS1_25lookback_scan_determinismE0ELb0ES3_N6thrust23THRUST_200600_302600_NS6detail15normal_iteratorINS9_10device_ptrIiEEEENSB_INSC_IdEEEESG_dNS9_4plusIvEENS9_8equal_toIvEEdEE10hipError_tPvRmT2_T3_T4_T5_mT6_T7_P12ihipStream_tbENKUlT_T0_E_clISt17integral_constantIbLb0EES10_IbLb1EEEEDaSW_SX_EUlSW_E_NS1_11comp_targetILNS1_3genE8ELNS1_11target_archE1030ELNS1_3gpuE2ELNS1_3repE0EEENS1_30default_config_static_selectorELNS0_4arch9wavefront6targetE1EEEvT1_,comdat
.Lfunc_end1126:
	.size	_ZN7rocprim17ROCPRIM_400000_NS6detail17trampoline_kernelINS0_14default_configENS1_27scan_by_key_config_selectorIidEEZZNS1_16scan_by_key_implILNS1_25lookback_scan_determinismE0ELb0ES3_N6thrust23THRUST_200600_302600_NS6detail15normal_iteratorINS9_10device_ptrIiEEEENSB_INSC_IdEEEESG_dNS9_4plusIvEENS9_8equal_toIvEEdEE10hipError_tPvRmT2_T3_T4_T5_mT6_T7_P12ihipStream_tbENKUlT_T0_E_clISt17integral_constantIbLb0EES10_IbLb1EEEEDaSW_SX_EUlSW_E_NS1_11comp_targetILNS1_3genE8ELNS1_11target_archE1030ELNS1_3gpuE2ELNS1_3repE0EEENS1_30default_config_static_selectorELNS0_4arch9wavefront6targetE1EEEvT1_, .Lfunc_end1126-_ZN7rocprim17ROCPRIM_400000_NS6detail17trampoline_kernelINS0_14default_configENS1_27scan_by_key_config_selectorIidEEZZNS1_16scan_by_key_implILNS1_25lookback_scan_determinismE0ELb0ES3_N6thrust23THRUST_200600_302600_NS6detail15normal_iteratorINS9_10device_ptrIiEEEENSB_INSC_IdEEEESG_dNS9_4plusIvEENS9_8equal_toIvEEdEE10hipError_tPvRmT2_T3_T4_T5_mT6_T7_P12ihipStream_tbENKUlT_T0_E_clISt17integral_constantIbLb0EES10_IbLb1EEEEDaSW_SX_EUlSW_E_NS1_11comp_targetILNS1_3genE8ELNS1_11target_archE1030ELNS1_3gpuE2ELNS1_3repE0EEENS1_30default_config_static_selectorELNS0_4arch9wavefront6targetE1EEEvT1_
                                        ; -- End function
	.section	.AMDGPU.csdata,"",@progbits
; Kernel info:
; codeLenInByte = 0
; NumSgprs: 4
; NumVgprs: 0
; NumAgprs: 0
; TotalNumVgprs: 0
; ScratchSize: 0
; MemoryBound: 0
; FloatMode: 240
; IeeeMode: 1
; LDSByteSize: 0 bytes/workgroup (compile time only)
; SGPRBlocks: 0
; VGPRBlocks: 0
; NumSGPRsForWavesPerEU: 4
; NumVGPRsForWavesPerEU: 1
; AccumOffset: 4
; Occupancy: 8
; WaveLimiterHint : 0
; COMPUTE_PGM_RSRC2:SCRATCH_EN: 0
; COMPUTE_PGM_RSRC2:USER_SGPR: 6
; COMPUTE_PGM_RSRC2:TRAP_HANDLER: 0
; COMPUTE_PGM_RSRC2:TGID_X_EN: 1
; COMPUTE_PGM_RSRC2:TGID_Y_EN: 0
; COMPUTE_PGM_RSRC2:TGID_Z_EN: 0
; COMPUTE_PGM_RSRC2:TIDIG_COMP_CNT: 0
; COMPUTE_PGM_RSRC3_GFX90A:ACCUM_OFFSET: 0
; COMPUTE_PGM_RSRC3_GFX90A:TG_SPLIT: 0
	.section	.text._ZN6thrust23THRUST_200600_302600_NS11hip_rocprim14__parallel_for6kernelILj256ENS1_11__transform17unary_transform_fINS0_7pointerIiNS1_3tagENS0_11use_defaultES8_EENS0_10device_ptrIfEENS4_14no_stencil_tagENS0_8identityIiEENS4_21always_true_predicateEEElLj1EEEvT0_T1_SI_,"axG",@progbits,_ZN6thrust23THRUST_200600_302600_NS11hip_rocprim14__parallel_for6kernelILj256ENS1_11__transform17unary_transform_fINS0_7pointerIiNS1_3tagENS0_11use_defaultES8_EENS0_10device_ptrIfEENS4_14no_stencil_tagENS0_8identityIiEENS4_21always_true_predicateEEElLj1EEEvT0_T1_SI_,comdat
	.protected	_ZN6thrust23THRUST_200600_302600_NS11hip_rocprim14__parallel_for6kernelILj256ENS1_11__transform17unary_transform_fINS0_7pointerIiNS1_3tagENS0_11use_defaultES8_EENS0_10device_ptrIfEENS4_14no_stencil_tagENS0_8identityIiEENS4_21always_true_predicateEEElLj1EEEvT0_T1_SI_ ; -- Begin function _ZN6thrust23THRUST_200600_302600_NS11hip_rocprim14__parallel_for6kernelILj256ENS1_11__transform17unary_transform_fINS0_7pointerIiNS1_3tagENS0_11use_defaultES8_EENS0_10device_ptrIfEENS4_14no_stencil_tagENS0_8identityIiEENS4_21always_true_predicateEEElLj1EEEvT0_T1_SI_
	.globl	_ZN6thrust23THRUST_200600_302600_NS11hip_rocprim14__parallel_for6kernelILj256ENS1_11__transform17unary_transform_fINS0_7pointerIiNS1_3tagENS0_11use_defaultES8_EENS0_10device_ptrIfEENS4_14no_stencil_tagENS0_8identityIiEENS4_21always_true_predicateEEElLj1EEEvT0_T1_SI_
	.p2align	8
	.type	_ZN6thrust23THRUST_200600_302600_NS11hip_rocprim14__parallel_for6kernelILj256ENS1_11__transform17unary_transform_fINS0_7pointerIiNS1_3tagENS0_11use_defaultES8_EENS0_10device_ptrIfEENS4_14no_stencil_tagENS0_8identityIiEENS4_21always_true_predicateEEElLj1EEEvT0_T1_SI_,@function
_ZN6thrust23THRUST_200600_302600_NS11hip_rocprim14__parallel_for6kernelILj256ENS1_11__transform17unary_transform_fINS0_7pointerIiNS1_3tagENS0_11use_defaultES8_EENS0_10device_ptrIfEENS4_14no_stencil_tagENS0_8identityIiEENS4_21always_true_predicateEEElLj1EEEvT0_T1_SI_: ; @_ZN6thrust23THRUST_200600_302600_NS11hip_rocprim14__parallel_for6kernelILj256ENS1_11__transform17unary_transform_fINS0_7pointerIiNS1_3tagENS0_11use_defaultES8_EENS0_10device_ptrIfEENS4_14no_stencil_tagENS0_8identityIiEENS4_21always_true_predicateEEElLj1EEEvT0_T1_SI_
; %bb.0:
	s_load_dwordx4 s[8:11], s[4:5], 0x18
	s_load_dwordx4 s[0:3], s[4:5], 0x0
	s_lshl_b32 s4, s6, 8
	v_mov_b32_e32 v2, 0x100
	v_mov_b32_e32 v3, 0
	s_waitcnt lgkmcnt(0)
	s_add_u32 s6, s4, s10
	s_addc_u32 s7, 0, s11
	s_sub_u32 s4, s8, s6
	s_subb_u32 s5, s9, s7
	v_cmp_lt_i64_e32 vcc, s[4:5], v[2:3]
	s_and_b64 s[8:9], vcc, exec
	s_cselect_b32 s8, s4, 0x100
	s_cmpk_lg_i32 s8, 0x100
	s_mov_b64 s[4:5], -1
	s_cbranch_scc1 .LBB1127_3
; %bb.1:
	s_andn2_b64 vcc, exec, s[4:5]
	s_cbranch_vccz .LBB1127_6
.LBB1127_2:
	s_endpgm
.LBB1127_3:
	v_cmp_gt_u32_e32 vcc, s8, v0
	s_and_saveexec_b64 s[4:5], vcc
	s_cbranch_execz .LBB1127_5
; %bb.4:
	v_mov_b32_e32 v1, s7
	v_add_co_u32_e32 v2, vcc, s6, v0
	v_addc_co_u32_e32 v3, vcc, 0, v1, vcc
	v_lshlrev_b64 v[2:3], 2, v[2:3]
	v_mov_b32_e32 v1, s1
	v_add_co_u32_e32 v4, vcc, s0, v2
	v_addc_co_u32_e32 v5, vcc, v1, v3, vcc
	flat_load_dword v1, v[4:5]
	v_mov_b32_e32 v4, s3
	v_add_co_u32_e32 v2, vcc, s2, v2
	v_addc_co_u32_e32 v3, vcc, v4, v3, vcc
	s_waitcnt vmcnt(0) lgkmcnt(0)
	v_cvt_f32_i32_e32 v1, v1
	flat_store_dword v[2:3], v1
.LBB1127_5:
	s_or_b64 exec, exec, s[4:5]
	s_cbranch_execnz .LBB1127_2
.LBB1127_6:
	v_mov_b32_e32 v1, s7
	v_add_co_u32_e32 v0, vcc, s6, v0
	v_addc_co_u32_e32 v1, vcc, 0, v1, vcc
	v_lshlrev_b64 v[0:1], 2, v[0:1]
	v_mov_b32_e32 v3, s1
	v_add_co_u32_e32 v2, vcc, s0, v0
	v_addc_co_u32_e32 v3, vcc, v3, v1, vcc
	flat_load_dword v2, v[2:3]
	v_mov_b32_e32 v3, s3
	v_add_co_u32_e32 v0, vcc, s2, v0
	v_addc_co_u32_e32 v1, vcc, v3, v1, vcc
	s_waitcnt vmcnt(0) lgkmcnt(0)
	v_cvt_f32_i32_e32 v2, v2
	flat_store_dword v[0:1], v2
	s_endpgm
	.section	.rodata,"a",@progbits
	.p2align	6, 0x0
	.amdhsa_kernel _ZN6thrust23THRUST_200600_302600_NS11hip_rocprim14__parallel_for6kernelILj256ENS1_11__transform17unary_transform_fINS0_7pointerIiNS1_3tagENS0_11use_defaultES8_EENS0_10device_ptrIfEENS4_14no_stencil_tagENS0_8identityIiEENS4_21always_true_predicateEEElLj1EEEvT0_T1_SI_
		.amdhsa_group_segment_fixed_size 0
		.amdhsa_private_segment_fixed_size 0
		.amdhsa_kernarg_size 40
		.amdhsa_user_sgpr_count 6
		.amdhsa_user_sgpr_private_segment_buffer 1
		.amdhsa_user_sgpr_dispatch_ptr 0
		.amdhsa_user_sgpr_queue_ptr 0
		.amdhsa_user_sgpr_kernarg_segment_ptr 1
		.amdhsa_user_sgpr_dispatch_id 0
		.amdhsa_user_sgpr_flat_scratch_init 0
		.amdhsa_user_sgpr_kernarg_preload_length 0
		.amdhsa_user_sgpr_kernarg_preload_offset 0
		.amdhsa_user_sgpr_private_segment_size 0
		.amdhsa_uses_dynamic_stack 0
		.amdhsa_system_sgpr_private_segment_wavefront_offset 0
		.amdhsa_system_sgpr_workgroup_id_x 1
		.amdhsa_system_sgpr_workgroup_id_y 0
		.amdhsa_system_sgpr_workgroup_id_z 0
		.amdhsa_system_sgpr_workgroup_info 0
		.amdhsa_system_vgpr_workitem_id 0
		.amdhsa_next_free_vgpr 6
		.amdhsa_next_free_sgpr 12
		.amdhsa_accum_offset 8
		.amdhsa_reserve_vcc 1
		.amdhsa_reserve_flat_scratch 0
		.amdhsa_float_round_mode_32 0
		.amdhsa_float_round_mode_16_64 0
		.amdhsa_float_denorm_mode_32 3
		.amdhsa_float_denorm_mode_16_64 3
		.amdhsa_dx10_clamp 1
		.amdhsa_ieee_mode 1
		.amdhsa_fp16_overflow 0
		.amdhsa_tg_split 0
		.amdhsa_exception_fp_ieee_invalid_op 0
		.amdhsa_exception_fp_denorm_src 0
		.amdhsa_exception_fp_ieee_div_zero 0
		.amdhsa_exception_fp_ieee_overflow 0
		.amdhsa_exception_fp_ieee_underflow 0
		.amdhsa_exception_fp_ieee_inexact 0
		.amdhsa_exception_int_div_zero 0
	.end_amdhsa_kernel
	.section	.text._ZN6thrust23THRUST_200600_302600_NS11hip_rocprim14__parallel_for6kernelILj256ENS1_11__transform17unary_transform_fINS0_7pointerIiNS1_3tagENS0_11use_defaultES8_EENS0_10device_ptrIfEENS4_14no_stencil_tagENS0_8identityIiEENS4_21always_true_predicateEEElLj1EEEvT0_T1_SI_,"axG",@progbits,_ZN6thrust23THRUST_200600_302600_NS11hip_rocprim14__parallel_for6kernelILj256ENS1_11__transform17unary_transform_fINS0_7pointerIiNS1_3tagENS0_11use_defaultES8_EENS0_10device_ptrIfEENS4_14no_stencil_tagENS0_8identityIiEENS4_21always_true_predicateEEElLj1EEEvT0_T1_SI_,comdat
.Lfunc_end1127:
	.size	_ZN6thrust23THRUST_200600_302600_NS11hip_rocprim14__parallel_for6kernelILj256ENS1_11__transform17unary_transform_fINS0_7pointerIiNS1_3tagENS0_11use_defaultES8_EENS0_10device_ptrIfEENS4_14no_stencil_tagENS0_8identityIiEENS4_21always_true_predicateEEElLj1EEEvT0_T1_SI_, .Lfunc_end1127-_ZN6thrust23THRUST_200600_302600_NS11hip_rocprim14__parallel_for6kernelILj256ENS1_11__transform17unary_transform_fINS0_7pointerIiNS1_3tagENS0_11use_defaultES8_EENS0_10device_ptrIfEENS4_14no_stencil_tagENS0_8identityIiEENS4_21always_true_predicateEEElLj1EEEvT0_T1_SI_
                                        ; -- End function
	.section	.AMDGPU.csdata,"",@progbits
; Kernel info:
; codeLenInByte = 252
; NumSgprs: 16
; NumVgprs: 6
; NumAgprs: 0
; TotalNumVgprs: 6
; ScratchSize: 0
; MemoryBound: 0
; FloatMode: 240
; IeeeMode: 1
; LDSByteSize: 0 bytes/workgroup (compile time only)
; SGPRBlocks: 1
; VGPRBlocks: 0
; NumSGPRsForWavesPerEU: 16
; NumVGPRsForWavesPerEU: 6
; AccumOffset: 8
; Occupancy: 8
; WaveLimiterHint : 0
; COMPUTE_PGM_RSRC2:SCRATCH_EN: 0
; COMPUTE_PGM_RSRC2:USER_SGPR: 6
; COMPUTE_PGM_RSRC2:TRAP_HANDLER: 0
; COMPUTE_PGM_RSRC2:TGID_X_EN: 1
; COMPUTE_PGM_RSRC2:TGID_Y_EN: 0
; COMPUTE_PGM_RSRC2:TGID_Z_EN: 0
; COMPUTE_PGM_RSRC2:TIDIG_COMP_CNT: 0
; COMPUTE_PGM_RSRC3_GFX90A:ACCUM_OFFSET: 1
; COMPUTE_PGM_RSRC3_GFX90A:TG_SPLIT: 0
	.section	.text._ZN7rocprim17ROCPRIM_400000_NS6detail30init_device_scan_by_key_kernelINS1_19lookback_scan_stateINS0_5tupleIJfbEEELb0ELb1EEEN6thrust23THRUST_200600_302600_NS6detail15normal_iteratorINS8_10device_ptrIiEEEEjNS1_16block_id_wrapperIjLb0EEEEEvT_jjPNSG_10value_typeET0_PNSt15iterator_traitsISJ_E10value_typeEmT1_T2_,"axG",@progbits,_ZN7rocprim17ROCPRIM_400000_NS6detail30init_device_scan_by_key_kernelINS1_19lookback_scan_stateINS0_5tupleIJfbEEELb0ELb1EEEN6thrust23THRUST_200600_302600_NS6detail15normal_iteratorINS8_10device_ptrIiEEEEjNS1_16block_id_wrapperIjLb0EEEEEvT_jjPNSG_10value_typeET0_PNSt15iterator_traitsISJ_E10value_typeEmT1_T2_,comdat
	.protected	_ZN7rocprim17ROCPRIM_400000_NS6detail30init_device_scan_by_key_kernelINS1_19lookback_scan_stateINS0_5tupleIJfbEEELb0ELb1EEEN6thrust23THRUST_200600_302600_NS6detail15normal_iteratorINS8_10device_ptrIiEEEEjNS1_16block_id_wrapperIjLb0EEEEEvT_jjPNSG_10value_typeET0_PNSt15iterator_traitsISJ_E10value_typeEmT1_T2_ ; -- Begin function _ZN7rocprim17ROCPRIM_400000_NS6detail30init_device_scan_by_key_kernelINS1_19lookback_scan_stateINS0_5tupleIJfbEEELb0ELb1EEEN6thrust23THRUST_200600_302600_NS6detail15normal_iteratorINS8_10device_ptrIiEEEEjNS1_16block_id_wrapperIjLb0EEEEEvT_jjPNSG_10value_typeET0_PNSt15iterator_traitsISJ_E10value_typeEmT1_T2_
	.globl	_ZN7rocprim17ROCPRIM_400000_NS6detail30init_device_scan_by_key_kernelINS1_19lookback_scan_stateINS0_5tupleIJfbEEELb0ELb1EEEN6thrust23THRUST_200600_302600_NS6detail15normal_iteratorINS8_10device_ptrIiEEEEjNS1_16block_id_wrapperIjLb0EEEEEvT_jjPNSG_10value_typeET0_PNSt15iterator_traitsISJ_E10value_typeEmT1_T2_
	.p2align	8
	.type	_ZN7rocprim17ROCPRIM_400000_NS6detail30init_device_scan_by_key_kernelINS1_19lookback_scan_stateINS0_5tupleIJfbEEELb0ELb1EEEN6thrust23THRUST_200600_302600_NS6detail15normal_iteratorINS8_10device_ptrIiEEEEjNS1_16block_id_wrapperIjLb0EEEEEvT_jjPNSG_10value_typeET0_PNSt15iterator_traitsISJ_E10value_typeEmT1_T2_,@function
_ZN7rocprim17ROCPRIM_400000_NS6detail30init_device_scan_by_key_kernelINS1_19lookback_scan_stateINS0_5tupleIJfbEEELb0ELb1EEEN6thrust23THRUST_200600_302600_NS6detail15normal_iteratorINS8_10device_ptrIiEEEEjNS1_16block_id_wrapperIjLb0EEEEEvT_jjPNSG_10value_typeET0_PNSt15iterator_traitsISJ_E10value_typeEmT1_T2_: ; @_ZN7rocprim17ROCPRIM_400000_NS6detail30init_device_scan_by_key_kernelINS1_19lookback_scan_stateINS0_5tupleIJfbEEELb0ELb1EEEN6thrust23THRUST_200600_302600_NS6detail15normal_iteratorINS8_10device_ptrIiEEEEjNS1_16block_id_wrapperIjLb0EEEEEvT_jjPNSG_10value_typeET0_PNSt15iterator_traitsISJ_E10value_typeEmT1_T2_
; %bb.0:
	s_load_dword s0, s[4:5], 0x44
	s_load_dwordx8 s[8:15], s[4:5], 0x0
	s_load_dword s18, s[4:5], 0x38
	s_waitcnt lgkmcnt(0)
	s_and_b32 s19, s0, 0xffff
	s_mul_i32 s6, s6, s19
	s_cmp_eq_u64 s[12:13], 0
	v_add_u32_e32 v4, s6, v0
	s_cbranch_scc1 .LBB1128_8
; %bb.1:
	s_cmp_lt_u32 s11, s10
	s_cselect_b32 s0, s11, 0
	s_mov_b32 s3, 0
	v_cmp_eq_u32_e32 vcc, s0, v4
	s_and_saveexec_b64 s[0:1], vcc
	s_cbranch_execz .LBB1128_7
; %bb.2:
	s_add_i32 s2, s11, 64
	s_lshl_b64 s[2:3], s[2:3], 4
	s_add_u32 s16, s8, s2
	s_addc_u32 s17, s9, s3
	v_pk_mov_b32 v[0:1], s[16:17], s[16:17] op_sel:[0,1]
	;;#ASMSTART
	global_load_dwordx4 v[0:3], v[0:1] off glc	
s_waitcnt vmcnt(0)
	;;#ASMEND
	v_mov_b32_e32 v7, 0
	v_and_b32_e32 v6, 0xff, v2
	s_mov_b64 s[6:7], 0
	v_cmp_eq_u64_e32 vcc, 0, v[6:7]
	s_and_saveexec_b64 s[2:3], vcc
	s_cbranch_execz .LBB1128_6
; %bb.3:
	v_pk_mov_b32 v[8:9], s[16:17], s[16:17] op_sel:[0,1]
.LBB1128_4:                             ; =>This Inner Loop Header: Depth=1
	;;#ASMSTART
	global_load_dwordx4 v[0:3], v[8:9] off glc	
s_waitcnt vmcnt(0)
	;;#ASMEND
	v_and_b32_e32 v6, 0xff, v2
	v_cmp_ne_u64_e32 vcc, 0, v[6:7]
	s_or_b64 s[6:7], vcc, s[6:7]
	s_andn2_b64 exec, exec, s[6:7]
	s_cbranch_execnz .LBB1128_4
; %bb.5:
	s_or_b64 exec, exec, s[6:7]
.LBB1128_6:
	s_or_b64 exec, exec, s[2:3]
	v_mov_b32_e32 v2, 0
	global_store_dword v2, v0, s[12:13]
	global_store_byte v2, v1, s[12:13] offset:4
.LBB1128_7:
	s_or_b64 exec, exec, s[0:1]
.LBB1128_8:
	v_cmp_gt_u32_e32 vcc, s10, v4
	s_and_saveexec_b64 s[0:1], vcc
	s_cbranch_execz .LBB1128_10
; %bb.9:
	v_add_u32_e32 v0, 64, v4
	v_mov_b32_e32 v1, 0
	v_lshlrev_b64 v[2:3], 4, v[0:1]
	v_mov_b32_e32 v0, s9
	v_add_co_u32_e32 v6, vcc, s8, v2
	v_addc_co_u32_e32 v7, vcc, v0, v3, vcc
	v_mov_b32_e32 v0, v1
	v_mov_b32_e32 v2, v1
	;; [unrolled: 1-line block ×3, first 2 shown]
	global_store_dwordx4 v[6:7], v[0:3], off
.LBB1128_10:
	s_or_b64 exec, exec, s[0:1]
	v_cmp_gt_u32_e32 vcc, 64, v4
	v_mov_b32_e32 v5, 0
	s_and_saveexec_b64 s[0:1], vcc
	s_cbranch_execz .LBB1128_12
; %bb.11:
	v_lshlrev_b64 v[0:1], 4, v[4:5]
	v_mov_b32_e32 v2, s9
	v_add_co_u32_e32 v6, vcc, s8, v0
	v_addc_co_u32_e32 v7, vcc, v2, v1, vcc
	v_mov_b32_e32 v2, 0xff
	v_mov_b32_e32 v0, v5
	v_mov_b32_e32 v1, v5
	v_mov_b32_e32 v3, v5
	global_store_dwordx4 v[6:7], v[0:3], off
.LBB1128_12:
	s_or_b64 exec, exec, s[0:1]
	s_load_dwordx2 s[0:1], s[4:5], 0x28
	s_waitcnt lgkmcnt(0)
	v_cmp_gt_u64_e32 vcc, s[0:1], v[4:5]
	s_and_saveexec_b64 s[2:3], vcc
	s_cbranch_execz .LBB1128_15
; %bb.13:
	s_load_dword s10, s[4:5], 0x30
	s_load_dwordx2 s[6:7], s[4:5], 0x20
	s_mov_b32 s5, 0
	s_mov_b32 s3, s5
	s_mul_i32 s2, s18, s19
	s_waitcnt lgkmcnt(0)
	s_add_i32 s4, s10, -1
	s_lshl_b64 s[4:5], s[4:5], 2
	v_mad_u64_u32 v[0:1], s[8:9], s10, v4, 0
	s_add_u32 s4, s14, s4
	v_lshlrev_b64 v[0:1], 2, v[0:1]
	s_addc_u32 s5, s15, s5
	v_mov_b32_e32 v2, s5
	v_add_co_u32_e32 v0, vcc, s4, v0
	v_addc_co_u32_e32 v1, vcc, v2, v1, vcc
	s_mul_hi_u32 s5, s10, s2
	s_mul_i32 s4, s10, s2
	v_lshlrev_b64 v[2:3], 2, v[4:5]
	s_lshl_b64 s[4:5], s[4:5], 2
	v_mov_b32_e32 v6, s7
	v_add_co_u32_e32 v2, vcc, s6, v2
	s_lshl_b64 s[6:7], s[2:3], 2
	v_addc_co_u32_e32 v3, vcc, v6, v3, vcc
	s_mov_b64 s[8:9], 0
	v_mov_b32_e32 v6, s3
	v_mov_b32_e32 v7, s5
	v_mov_b32_e32 v8, s7
.LBB1128_14:                            ; =>This Inner Loop Header: Depth=1
	global_load_dword v9, v[0:1], off
	v_add_co_u32_e32 v4, vcc, s2, v4
	v_addc_co_u32_e32 v5, vcc, v5, v6, vcc
	v_add_co_u32_e32 v0, vcc, s4, v0
	v_addc_co_u32_e32 v1, vcc, v1, v7, vcc
	v_cmp_le_u64_e32 vcc, s[0:1], v[4:5]
	s_or_b64 s[8:9], vcc, s[8:9]
	s_waitcnt vmcnt(0)
	global_store_dword v[2:3], v9, off
	v_add_co_u32_e32 v2, vcc, s6, v2
	v_addc_co_u32_e32 v3, vcc, v3, v8, vcc
	s_andn2_b64 exec, exec, s[8:9]
	s_cbranch_execnz .LBB1128_14
.LBB1128_15:
	s_endpgm
	.section	.rodata,"a",@progbits
	.p2align	6, 0x0
	.amdhsa_kernel _ZN7rocprim17ROCPRIM_400000_NS6detail30init_device_scan_by_key_kernelINS1_19lookback_scan_stateINS0_5tupleIJfbEEELb0ELb1EEEN6thrust23THRUST_200600_302600_NS6detail15normal_iteratorINS8_10device_ptrIiEEEEjNS1_16block_id_wrapperIjLb0EEEEEvT_jjPNSG_10value_typeET0_PNSt15iterator_traitsISJ_E10value_typeEmT1_T2_
		.amdhsa_group_segment_fixed_size 0
		.amdhsa_private_segment_fixed_size 0
		.amdhsa_kernarg_size 312
		.amdhsa_user_sgpr_count 6
		.amdhsa_user_sgpr_private_segment_buffer 1
		.amdhsa_user_sgpr_dispatch_ptr 0
		.amdhsa_user_sgpr_queue_ptr 0
		.amdhsa_user_sgpr_kernarg_segment_ptr 1
		.amdhsa_user_sgpr_dispatch_id 0
		.amdhsa_user_sgpr_flat_scratch_init 0
		.amdhsa_user_sgpr_kernarg_preload_length 0
		.amdhsa_user_sgpr_kernarg_preload_offset 0
		.amdhsa_user_sgpr_private_segment_size 0
		.amdhsa_uses_dynamic_stack 0
		.amdhsa_system_sgpr_private_segment_wavefront_offset 0
		.amdhsa_system_sgpr_workgroup_id_x 1
		.amdhsa_system_sgpr_workgroup_id_y 0
		.amdhsa_system_sgpr_workgroup_id_z 0
		.amdhsa_system_sgpr_workgroup_info 0
		.amdhsa_system_vgpr_workitem_id 0
		.amdhsa_next_free_vgpr 10
		.amdhsa_next_free_sgpr 20
		.amdhsa_accum_offset 12
		.amdhsa_reserve_vcc 1
		.amdhsa_reserve_flat_scratch 0
		.amdhsa_float_round_mode_32 0
		.amdhsa_float_round_mode_16_64 0
		.amdhsa_float_denorm_mode_32 3
		.amdhsa_float_denorm_mode_16_64 3
		.amdhsa_dx10_clamp 1
		.amdhsa_ieee_mode 1
		.amdhsa_fp16_overflow 0
		.amdhsa_tg_split 0
		.amdhsa_exception_fp_ieee_invalid_op 0
		.amdhsa_exception_fp_denorm_src 0
		.amdhsa_exception_fp_ieee_div_zero 0
		.amdhsa_exception_fp_ieee_overflow 0
		.amdhsa_exception_fp_ieee_underflow 0
		.amdhsa_exception_fp_ieee_inexact 0
		.amdhsa_exception_int_div_zero 0
	.end_amdhsa_kernel
	.section	.text._ZN7rocprim17ROCPRIM_400000_NS6detail30init_device_scan_by_key_kernelINS1_19lookback_scan_stateINS0_5tupleIJfbEEELb0ELb1EEEN6thrust23THRUST_200600_302600_NS6detail15normal_iteratorINS8_10device_ptrIiEEEEjNS1_16block_id_wrapperIjLb0EEEEEvT_jjPNSG_10value_typeET0_PNSt15iterator_traitsISJ_E10value_typeEmT1_T2_,"axG",@progbits,_ZN7rocprim17ROCPRIM_400000_NS6detail30init_device_scan_by_key_kernelINS1_19lookback_scan_stateINS0_5tupleIJfbEEELb0ELb1EEEN6thrust23THRUST_200600_302600_NS6detail15normal_iteratorINS8_10device_ptrIiEEEEjNS1_16block_id_wrapperIjLb0EEEEEvT_jjPNSG_10value_typeET0_PNSt15iterator_traitsISJ_E10value_typeEmT1_T2_,comdat
.Lfunc_end1128:
	.size	_ZN7rocprim17ROCPRIM_400000_NS6detail30init_device_scan_by_key_kernelINS1_19lookback_scan_stateINS0_5tupleIJfbEEELb0ELb1EEEN6thrust23THRUST_200600_302600_NS6detail15normal_iteratorINS8_10device_ptrIiEEEEjNS1_16block_id_wrapperIjLb0EEEEEvT_jjPNSG_10value_typeET0_PNSt15iterator_traitsISJ_E10value_typeEmT1_T2_, .Lfunc_end1128-_ZN7rocprim17ROCPRIM_400000_NS6detail30init_device_scan_by_key_kernelINS1_19lookback_scan_stateINS0_5tupleIJfbEEELb0ELb1EEEN6thrust23THRUST_200600_302600_NS6detail15normal_iteratorINS8_10device_ptrIiEEEEjNS1_16block_id_wrapperIjLb0EEEEEvT_jjPNSG_10value_typeET0_PNSt15iterator_traitsISJ_E10value_typeEmT1_T2_
                                        ; -- End function
	.section	.AMDGPU.csdata,"",@progbits
; Kernel info:
; codeLenInByte = 572
; NumSgprs: 24
; NumVgprs: 10
; NumAgprs: 0
; TotalNumVgprs: 10
; ScratchSize: 0
; MemoryBound: 0
; FloatMode: 240
; IeeeMode: 1
; LDSByteSize: 0 bytes/workgroup (compile time only)
; SGPRBlocks: 2
; VGPRBlocks: 1
; NumSGPRsForWavesPerEU: 24
; NumVGPRsForWavesPerEU: 10
; AccumOffset: 12
; Occupancy: 8
; WaveLimiterHint : 0
; COMPUTE_PGM_RSRC2:SCRATCH_EN: 0
; COMPUTE_PGM_RSRC2:USER_SGPR: 6
; COMPUTE_PGM_RSRC2:TRAP_HANDLER: 0
; COMPUTE_PGM_RSRC2:TGID_X_EN: 1
; COMPUTE_PGM_RSRC2:TGID_Y_EN: 0
; COMPUTE_PGM_RSRC2:TGID_Z_EN: 0
; COMPUTE_PGM_RSRC2:TIDIG_COMP_CNT: 0
; COMPUTE_PGM_RSRC3_GFX90A:ACCUM_OFFSET: 2
; COMPUTE_PGM_RSRC3_GFX90A:TG_SPLIT: 0
	.section	.text._ZN7rocprim17ROCPRIM_400000_NS6detail30init_device_scan_by_key_kernelINS1_19lookback_scan_stateINS0_5tupleIJfbEEELb0ELb1EEENS1_16block_id_wrapperIjLb0EEEEEvT_jjPNS9_10value_typeET0_,"axG",@progbits,_ZN7rocprim17ROCPRIM_400000_NS6detail30init_device_scan_by_key_kernelINS1_19lookback_scan_stateINS0_5tupleIJfbEEELb0ELb1EEENS1_16block_id_wrapperIjLb0EEEEEvT_jjPNS9_10value_typeET0_,comdat
	.protected	_ZN7rocprim17ROCPRIM_400000_NS6detail30init_device_scan_by_key_kernelINS1_19lookback_scan_stateINS0_5tupleIJfbEEELb0ELb1EEENS1_16block_id_wrapperIjLb0EEEEEvT_jjPNS9_10value_typeET0_ ; -- Begin function _ZN7rocprim17ROCPRIM_400000_NS6detail30init_device_scan_by_key_kernelINS1_19lookback_scan_stateINS0_5tupleIJfbEEELb0ELb1EEENS1_16block_id_wrapperIjLb0EEEEEvT_jjPNS9_10value_typeET0_
	.globl	_ZN7rocprim17ROCPRIM_400000_NS6detail30init_device_scan_by_key_kernelINS1_19lookback_scan_stateINS0_5tupleIJfbEEELb0ELb1EEENS1_16block_id_wrapperIjLb0EEEEEvT_jjPNS9_10value_typeET0_
	.p2align	8
	.type	_ZN7rocprim17ROCPRIM_400000_NS6detail30init_device_scan_by_key_kernelINS1_19lookback_scan_stateINS0_5tupleIJfbEEELb0ELb1EEENS1_16block_id_wrapperIjLb0EEEEEvT_jjPNS9_10value_typeET0_,@function
_ZN7rocprim17ROCPRIM_400000_NS6detail30init_device_scan_by_key_kernelINS1_19lookback_scan_stateINS0_5tupleIJfbEEELb0ELb1EEENS1_16block_id_wrapperIjLb0EEEEEvT_jjPNS9_10value_typeET0_: ; @_ZN7rocprim17ROCPRIM_400000_NS6detail30init_device_scan_by_key_kernelINS1_19lookback_scan_stateINS0_5tupleIJfbEEELb0ELb1EEENS1_16block_id_wrapperIjLb0EEEEEvT_jjPNS9_10value_typeET0_
; %bb.0:
	s_load_dword s7, s[4:5], 0x2c
	s_load_dwordx2 s[8:9], s[4:5], 0x10
	s_load_dwordx4 s[0:3], s[4:5], 0x0
	s_waitcnt lgkmcnt(0)
	s_and_b32 s4, s7, 0xffff
	s_mul_i32 s6, s6, s4
	s_cmp_eq_u64 s[8:9], 0
	v_add_u32_e32 v0, s6, v0
	s_cbranch_scc1 .LBB1129_8
; %bb.1:
	s_cmp_lt_u32 s3, s2
	s_cselect_b32 s4, s3, 0
	s_mov_b32 s7, 0
	v_cmp_eq_u32_e32 vcc, s4, v0
	s_and_saveexec_b64 s[4:5], vcc
	s_cbranch_execz .LBB1129_7
; %bb.2:
	s_add_i32 s6, s3, 64
	s_lshl_b64 s[6:7], s[6:7], 4
	s_add_u32 s12, s0, s6
	s_addc_u32 s13, s1, s7
	v_pk_mov_b32 v[2:3], s[12:13], s[12:13] op_sel:[0,1]
	;;#ASMSTART
	global_load_dwordx4 v[2:5], v[2:3] off glc	
s_waitcnt vmcnt(0)
	;;#ASMEND
	v_mov_b32_e32 v7, 0
	v_and_b32_e32 v6, 0xff, v4
	s_mov_b64 s[10:11], 0
	v_cmp_eq_u64_e32 vcc, 0, v[6:7]
	s_and_saveexec_b64 s[6:7], vcc
	s_cbranch_execz .LBB1129_6
; %bb.3:
	v_pk_mov_b32 v[8:9], s[12:13], s[12:13] op_sel:[0,1]
.LBB1129_4:                             ; =>This Inner Loop Header: Depth=1
	;;#ASMSTART
	global_load_dwordx4 v[2:5], v[8:9] off glc	
s_waitcnt vmcnt(0)
	;;#ASMEND
	v_and_b32_e32 v6, 0xff, v4
	v_cmp_ne_u64_e32 vcc, 0, v[6:7]
	s_or_b64 s[10:11], vcc, s[10:11]
	s_andn2_b64 exec, exec, s[10:11]
	s_cbranch_execnz .LBB1129_4
; %bb.5:
	s_or_b64 exec, exec, s[10:11]
.LBB1129_6:
	s_or_b64 exec, exec, s[6:7]
	v_mov_b32_e32 v1, 0
	global_store_dword v1, v2, s[8:9]
	global_store_byte v1, v3, s[8:9] offset:4
.LBB1129_7:
	s_or_b64 exec, exec, s[4:5]
.LBB1129_8:
	v_cmp_gt_u32_e32 vcc, s2, v0
	s_and_saveexec_b64 s[2:3], vcc
	s_cbranch_execnz .LBB1129_11
; %bb.9:
	s_or_b64 exec, exec, s[2:3]
	v_cmp_gt_u32_e32 vcc, 64, v0
	s_and_saveexec_b64 s[2:3], vcc
	s_cbranch_execnz .LBB1129_12
.LBB1129_10:
	s_endpgm
.LBB1129_11:
	v_add_u32_e32 v2, 64, v0
	v_mov_b32_e32 v3, 0
	v_lshlrev_b64 v[4:5], 4, v[2:3]
	v_mov_b32_e32 v1, s1
	v_add_co_u32_e32 v6, vcc, s0, v4
	v_addc_co_u32_e32 v7, vcc, v1, v5, vcc
	v_mov_b32_e32 v2, v3
	v_mov_b32_e32 v4, v3
	;; [unrolled: 1-line block ×3, first 2 shown]
	global_store_dwordx4 v[6:7], v[2:5], off
	s_or_b64 exec, exec, s[2:3]
	v_cmp_gt_u32_e32 vcc, 64, v0
	s_and_saveexec_b64 s[2:3], vcc
	s_cbranch_execz .LBB1129_10
.LBB1129_12:
	v_mov_b32_e32 v1, 0
	v_lshlrev_b64 v[2:3], 4, v[0:1]
	v_mov_b32_e32 v0, s1
	v_add_co_u32_e32 v4, vcc, s0, v2
	v_addc_co_u32_e32 v5, vcc, v0, v3, vcc
	v_mov_b32_e32 v2, 0xff
	v_mov_b32_e32 v0, v1
	;; [unrolled: 1-line block ×3, first 2 shown]
	global_store_dwordx4 v[4:5], v[0:3], off
	s_endpgm
	.section	.rodata,"a",@progbits
	.p2align	6, 0x0
	.amdhsa_kernel _ZN7rocprim17ROCPRIM_400000_NS6detail30init_device_scan_by_key_kernelINS1_19lookback_scan_stateINS0_5tupleIJfbEEELb0ELb1EEENS1_16block_id_wrapperIjLb0EEEEEvT_jjPNS9_10value_typeET0_
		.amdhsa_group_segment_fixed_size 0
		.amdhsa_private_segment_fixed_size 0
		.amdhsa_kernarg_size 288
		.amdhsa_user_sgpr_count 6
		.amdhsa_user_sgpr_private_segment_buffer 1
		.amdhsa_user_sgpr_dispatch_ptr 0
		.amdhsa_user_sgpr_queue_ptr 0
		.amdhsa_user_sgpr_kernarg_segment_ptr 1
		.amdhsa_user_sgpr_dispatch_id 0
		.amdhsa_user_sgpr_flat_scratch_init 0
		.amdhsa_user_sgpr_kernarg_preload_length 0
		.amdhsa_user_sgpr_kernarg_preload_offset 0
		.amdhsa_user_sgpr_private_segment_size 0
		.amdhsa_uses_dynamic_stack 0
		.amdhsa_system_sgpr_private_segment_wavefront_offset 0
		.amdhsa_system_sgpr_workgroup_id_x 1
		.amdhsa_system_sgpr_workgroup_id_y 0
		.amdhsa_system_sgpr_workgroup_id_z 0
		.amdhsa_system_sgpr_workgroup_info 0
		.amdhsa_system_vgpr_workitem_id 0
		.amdhsa_next_free_vgpr 10
		.amdhsa_next_free_sgpr 14
		.amdhsa_accum_offset 12
		.amdhsa_reserve_vcc 1
		.amdhsa_reserve_flat_scratch 0
		.amdhsa_float_round_mode_32 0
		.amdhsa_float_round_mode_16_64 0
		.amdhsa_float_denorm_mode_32 3
		.amdhsa_float_denorm_mode_16_64 3
		.amdhsa_dx10_clamp 1
		.amdhsa_ieee_mode 1
		.amdhsa_fp16_overflow 0
		.amdhsa_tg_split 0
		.amdhsa_exception_fp_ieee_invalid_op 0
		.amdhsa_exception_fp_denorm_src 0
		.amdhsa_exception_fp_ieee_div_zero 0
		.amdhsa_exception_fp_ieee_overflow 0
		.amdhsa_exception_fp_ieee_underflow 0
		.amdhsa_exception_fp_ieee_inexact 0
		.amdhsa_exception_int_div_zero 0
	.end_amdhsa_kernel
	.section	.text._ZN7rocprim17ROCPRIM_400000_NS6detail30init_device_scan_by_key_kernelINS1_19lookback_scan_stateINS0_5tupleIJfbEEELb0ELb1EEENS1_16block_id_wrapperIjLb0EEEEEvT_jjPNS9_10value_typeET0_,"axG",@progbits,_ZN7rocprim17ROCPRIM_400000_NS6detail30init_device_scan_by_key_kernelINS1_19lookback_scan_stateINS0_5tupleIJfbEEELb0ELb1EEENS1_16block_id_wrapperIjLb0EEEEEvT_jjPNS9_10value_typeET0_,comdat
.Lfunc_end1129:
	.size	_ZN7rocprim17ROCPRIM_400000_NS6detail30init_device_scan_by_key_kernelINS1_19lookback_scan_stateINS0_5tupleIJfbEEELb0ELb1EEENS1_16block_id_wrapperIjLb0EEEEEvT_jjPNS9_10value_typeET0_, .Lfunc_end1129-_ZN7rocprim17ROCPRIM_400000_NS6detail30init_device_scan_by_key_kernelINS1_19lookback_scan_stateINS0_5tupleIJfbEEELb0ELb1EEENS1_16block_id_wrapperIjLb0EEEEEvT_jjPNS9_10value_typeET0_
                                        ; -- End function
	.section	.AMDGPU.csdata,"",@progbits
; Kernel info:
; codeLenInByte = 372
; NumSgprs: 18
; NumVgprs: 10
; NumAgprs: 0
; TotalNumVgprs: 10
; ScratchSize: 0
; MemoryBound: 0
; FloatMode: 240
; IeeeMode: 1
; LDSByteSize: 0 bytes/workgroup (compile time only)
; SGPRBlocks: 2
; VGPRBlocks: 1
; NumSGPRsForWavesPerEU: 18
; NumVGPRsForWavesPerEU: 10
; AccumOffset: 12
; Occupancy: 8
; WaveLimiterHint : 0
; COMPUTE_PGM_RSRC2:SCRATCH_EN: 0
; COMPUTE_PGM_RSRC2:USER_SGPR: 6
; COMPUTE_PGM_RSRC2:TRAP_HANDLER: 0
; COMPUTE_PGM_RSRC2:TGID_X_EN: 1
; COMPUTE_PGM_RSRC2:TGID_Y_EN: 0
; COMPUTE_PGM_RSRC2:TGID_Z_EN: 0
; COMPUTE_PGM_RSRC2:TIDIG_COMP_CNT: 0
; COMPUTE_PGM_RSRC3_GFX90A:ACCUM_OFFSET: 2
; COMPUTE_PGM_RSRC3_GFX90A:TG_SPLIT: 0
	.section	.text._ZN7rocprim17ROCPRIM_400000_NS6detail17trampoline_kernelINS0_14default_configENS1_27scan_by_key_config_selectorIifEEZZNS1_16scan_by_key_implILNS1_25lookback_scan_determinismE0ELb0ES3_N6thrust23THRUST_200600_302600_NS6detail15normal_iteratorINS9_10device_ptrIiEEEENSB_INSC_IfEEEESG_fNS9_4plusIvEENS9_8equal_toIvEEfEE10hipError_tPvRmT2_T3_T4_T5_mT6_T7_P12ihipStream_tbENKUlT_T0_E_clISt17integral_constantIbLb0EES11_EEDaSW_SX_EUlSW_E_NS1_11comp_targetILNS1_3genE0ELNS1_11target_archE4294967295ELNS1_3gpuE0ELNS1_3repE0EEENS1_30default_config_static_selectorELNS0_4arch9wavefront6targetE1EEEvT1_,"axG",@progbits,_ZN7rocprim17ROCPRIM_400000_NS6detail17trampoline_kernelINS0_14default_configENS1_27scan_by_key_config_selectorIifEEZZNS1_16scan_by_key_implILNS1_25lookback_scan_determinismE0ELb0ES3_N6thrust23THRUST_200600_302600_NS6detail15normal_iteratorINS9_10device_ptrIiEEEENSB_INSC_IfEEEESG_fNS9_4plusIvEENS9_8equal_toIvEEfEE10hipError_tPvRmT2_T3_T4_T5_mT6_T7_P12ihipStream_tbENKUlT_T0_E_clISt17integral_constantIbLb0EES11_EEDaSW_SX_EUlSW_E_NS1_11comp_targetILNS1_3genE0ELNS1_11target_archE4294967295ELNS1_3gpuE0ELNS1_3repE0EEENS1_30default_config_static_selectorELNS0_4arch9wavefront6targetE1EEEvT1_,comdat
	.protected	_ZN7rocprim17ROCPRIM_400000_NS6detail17trampoline_kernelINS0_14default_configENS1_27scan_by_key_config_selectorIifEEZZNS1_16scan_by_key_implILNS1_25lookback_scan_determinismE0ELb0ES3_N6thrust23THRUST_200600_302600_NS6detail15normal_iteratorINS9_10device_ptrIiEEEENSB_INSC_IfEEEESG_fNS9_4plusIvEENS9_8equal_toIvEEfEE10hipError_tPvRmT2_T3_T4_T5_mT6_T7_P12ihipStream_tbENKUlT_T0_E_clISt17integral_constantIbLb0EES11_EEDaSW_SX_EUlSW_E_NS1_11comp_targetILNS1_3genE0ELNS1_11target_archE4294967295ELNS1_3gpuE0ELNS1_3repE0EEENS1_30default_config_static_selectorELNS0_4arch9wavefront6targetE1EEEvT1_ ; -- Begin function _ZN7rocprim17ROCPRIM_400000_NS6detail17trampoline_kernelINS0_14default_configENS1_27scan_by_key_config_selectorIifEEZZNS1_16scan_by_key_implILNS1_25lookback_scan_determinismE0ELb0ES3_N6thrust23THRUST_200600_302600_NS6detail15normal_iteratorINS9_10device_ptrIiEEEENSB_INSC_IfEEEESG_fNS9_4plusIvEENS9_8equal_toIvEEfEE10hipError_tPvRmT2_T3_T4_T5_mT6_T7_P12ihipStream_tbENKUlT_T0_E_clISt17integral_constantIbLb0EES11_EEDaSW_SX_EUlSW_E_NS1_11comp_targetILNS1_3genE0ELNS1_11target_archE4294967295ELNS1_3gpuE0ELNS1_3repE0EEENS1_30default_config_static_selectorELNS0_4arch9wavefront6targetE1EEEvT1_
	.globl	_ZN7rocprim17ROCPRIM_400000_NS6detail17trampoline_kernelINS0_14default_configENS1_27scan_by_key_config_selectorIifEEZZNS1_16scan_by_key_implILNS1_25lookback_scan_determinismE0ELb0ES3_N6thrust23THRUST_200600_302600_NS6detail15normal_iteratorINS9_10device_ptrIiEEEENSB_INSC_IfEEEESG_fNS9_4plusIvEENS9_8equal_toIvEEfEE10hipError_tPvRmT2_T3_T4_T5_mT6_T7_P12ihipStream_tbENKUlT_T0_E_clISt17integral_constantIbLb0EES11_EEDaSW_SX_EUlSW_E_NS1_11comp_targetILNS1_3genE0ELNS1_11target_archE4294967295ELNS1_3gpuE0ELNS1_3repE0EEENS1_30default_config_static_selectorELNS0_4arch9wavefront6targetE1EEEvT1_
	.p2align	8
	.type	_ZN7rocprim17ROCPRIM_400000_NS6detail17trampoline_kernelINS0_14default_configENS1_27scan_by_key_config_selectorIifEEZZNS1_16scan_by_key_implILNS1_25lookback_scan_determinismE0ELb0ES3_N6thrust23THRUST_200600_302600_NS6detail15normal_iteratorINS9_10device_ptrIiEEEENSB_INSC_IfEEEESG_fNS9_4plusIvEENS9_8equal_toIvEEfEE10hipError_tPvRmT2_T3_T4_T5_mT6_T7_P12ihipStream_tbENKUlT_T0_E_clISt17integral_constantIbLb0EES11_EEDaSW_SX_EUlSW_E_NS1_11comp_targetILNS1_3genE0ELNS1_11target_archE4294967295ELNS1_3gpuE0ELNS1_3repE0EEENS1_30default_config_static_selectorELNS0_4arch9wavefront6targetE1EEEvT1_,@function
_ZN7rocprim17ROCPRIM_400000_NS6detail17trampoline_kernelINS0_14default_configENS1_27scan_by_key_config_selectorIifEEZZNS1_16scan_by_key_implILNS1_25lookback_scan_determinismE0ELb0ES3_N6thrust23THRUST_200600_302600_NS6detail15normal_iteratorINS9_10device_ptrIiEEEENSB_INSC_IfEEEESG_fNS9_4plusIvEENS9_8equal_toIvEEfEE10hipError_tPvRmT2_T3_T4_T5_mT6_T7_P12ihipStream_tbENKUlT_T0_E_clISt17integral_constantIbLb0EES11_EEDaSW_SX_EUlSW_E_NS1_11comp_targetILNS1_3genE0ELNS1_11target_archE4294967295ELNS1_3gpuE0ELNS1_3repE0EEENS1_30default_config_static_selectorELNS0_4arch9wavefront6targetE1EEEvT1_: ; @_ZN7rocprim17ROCPRIM_400000_NS6detail17trampoline_kernelINS0_14default_configENS1_27scan_by_key_config_selectorIifEEZZNS1_16scan_by_key_implILNS1_25lookback_scan_determinismE0ELb0ES3_N6thrust23THRUST_200600_302600_NS6detail15normal_iteratorINS9_10device_ptrIiEEEENSB_INSC_IfEEEESG_fNS9_4plusIvEENS9_8equal_toIvEEfEE10hipError_tPvRmT2_T3_T4_T5_mT6_T7_P12ihipStream_tbENKUlT_T0_E_clISt17integral_constantIbLb0EES11_EEDaSW_SX_EUlSW_E_NS1_11comp_targetILNS1_3genE0ELNS1_11target_archE4294967295ELNS1_3gpuE0ELNS1_3repE0EEENS1_30default_config_static_selectorELNS0_4arch9wavefront6targetE1EEEvT1_
; %bb.0:
	.section	.rodata,"a",@progbits
	.p2align	6, 0x0
	.amdhsa_kernel _ZN7rocprim17ROCPRIM_400000_NS6detail17trampoline_kernelINS0_14default_configENS1_27scan_by_key_config_selectorIifEEZZNS1_16scan_by_key_implILNS1_25lookback_scan_determinismE0ELb0ES3_N6thrust23THRUST_200600_302600_NS6detail15normal_iteratorINS9_10device_ptrIiEEEENSB_INSC_IfEEEESG_fNS9_4plusIvEENS9_8equal_toIvEEfEE10hipError_tPvRmT2_T3_T4_T5_mT6_T7_P12ihipStream_tbENKUlT_T0_E_clISt17integral_constantIbLb0EES11_EEDaSW_SX_EUlSW_E_NS1_11comp_targetILNS1_3genE0ELNS1_11target_archE4294967295ELNS1_3gpuE0ELNS1_3repE0EEENS1_30default_config_static_selectorELNS0_4arch9wavefront6targetE1EEEvT1_
		.amdhsa_group_segment_fixed_size 0
		.amdhsa_private_segment_fixed_size 0
		.amdhsa_kernarg_size 112
		.amdhsa_user_sgpr_count 6
		.amdhsa_user_sgpr_private_segment_buffer 1
		.amdhsa_user_sgpr_dispatch_ptr 0
		.amdhsa_user_sgpr_queue_ptr 0
		.amdhsa_user_sgpr_kernarg_segment_ptr 1
		.amdhsa_user_sgpr_dispatch_id 0
		.amdhsa_user_sgpr_flat_scratch_init 0
		.amdhsa_user_sgpr_kernarg_preload_length 0
		.amdhsa_user_sgpr_kernarg_preload_offset 0
		.amdhsa_user_sgpr_private_segment_size 0
		.amdhsa_uses_dynamic_stack 0
		.amdhsa_system_sgpr_private_segment_wavefront_offset 0
		.amdhsa_system_sgpr_workgroup_id_x 1
		.amdhsa_system_sgpr_workgroup_id_y 0
		.amdhsa_system_sgpr_workgroup_id_z 0
		.amdhsa_system_sgpr_workgroup_info 0
		.amdhsa_system_vgpr_workitem_id 0
		.amdhsa_next_free_vgpr 1
		.amdhsa_next_free_sgpr 0
		.amdhsa_accum_offset 4
		.amdhsa_reserve_vcc 0
		.amdhsa_reserve_flat_scratch 0
		.amdhsa_float_round_mode_32 0
		.amdhsa_float_round_mode_16_64 0
		.amdhsa_float_denorm_mode_32 3
		.amdhsa_float_denorm_mode_16_64 3
		.amdhsa_dx10_clamp 1
		.amdhsa_ieee_mode 1
		.amdhsa_fp16_overflow 0
		.amdhsa_tg_split 0
		.amdhsa_exception_fp_ieee_invalid_op 0
		.amdhsa_exception_fp_denorm_src 0
		.amdhsa_exception_fp_ieee_div_zero 0
		.amdhsa_exception_fp_ieee_overflow 0
		.amdhsa_exception_fp_ieee_underflow 0
		.amdhsa_exception_fp_ieee_inexact 0
		.amdhsa_exception_int_div_zero 0
	.end_amdhsa_kernel
	.section	.text._ZN7rocprim17ROCPRIM_400000_NS6detail17trampoline_kernelINS0_14default_configENS1_27scan_by_key_config_selectorIifEEZZNS1_16scan_by_key_implILNS1_25lookback_scan_determinismE0ELb0ES3_N6thrust23THRUST_200600_302600_NS6detail15normal_iteratorINS9_10device_ptrIiEEEENSB_INSC_IfEEEESG_fNS9_4plusIvEENS9_8equal_toIvEEfEE10hipError_tPvRmT2_T3_T4_T5_mT6_T7_P12ihipStream_tbENKUlT_T0_E_clISt17integral_constantIbLb0EES11_EEDaSW_SX_EUlSW_E_NS1_11comp_targetILNS1_3genE0ELNS1_11target_archE4294967295ELNS1_3gpuE0ELNS1_3repE0EEENS1_30default_config_static_selectorELNS0_4arch9wavefront6targetE1EEEvT1_,"axG",@progbits,_ZN7rocprim17ROCPRIM_400000_NS6detail17trampoline_kernelINS0_14default_configENS1_27scan_by_key_config_selectorIifEEZZNS1_16scan_by_key_implILNS1_25lookback_scan_determinismE0ELb0ES3_N6thrust23THRUST_200600_302600_NS6detail15normal_iteratorINS9_10device_ptrIiEEEENSB_INSC_IfEEEESG_fNS9_4plusIvEENS9_8equal_toIvEEfEE10hipError_tPvRmT2_T3_T4_T5_mT6_T7_P12ihipStream_tbENKUlT_T0_E_clISt17integral_constantIbLb0EES11_EEDaSW_SX_EUlSW_E_NS1_11comp_targetILNS1_3genE0ELNS1_11target_archE4294967295ELNS1_3gpuE0ELNS1_3repE0EEENS1_30default_config_static_selectorELNS0_4arch9wavefront6targetE1EEEvT1_,comdat
.Lfunc_end1130:
	.size	_ZN7rocprim17ROCPRIM_400000_NS6detail17trampoline_kernelINS0_14default_configENS1_27scan_by_key_config_selectorIifEEZZNS1_16scan_by_key_implILNS1_25lookback_scan_determinismE0ELb0ES3_N6thrust23THRUST_200600_302600_NS6detail15normal_iteratorINS9_10device_ptrIiEEEENSB_INSC_IfEEEESG_fNS9_4plusIvEENS9_8equal_toIvEEfEE10hipError_tPvRmT2_T3_T4_T5_mT6_T7_P12ihipStream_tbENKUlT_T0_E_clISt17integral_constantIbLb0EES11_EEDaSW_SX_EUlSW_E_NS1_11comp_targetILNS1_3genE0ELNS1_11target_archE4294967295ELNS1_3gpuE0ELNS1_3repE0EEENS1_30default_config_static_selectorELNS0_4arch9wavefront6targetE1EEEvT1_, .Lfunc_end1130-_ZN7rocprim17ROCPRIM_400000_NS6detail17trampoline_kernelINS0_14default_configENS1_27scan_by_key_config_selectorIifEEZZNS1_16scan_by_key_implILNS1_25lookback_scan_determinismE0ELb0ES3_N6thrust23THRUST_200600_302600_NS6detail15normal_iteratorINS9_10device_ptrIiEEEENSB_INSC_IfEEEESG_fNS9_4plusIvEENS9_8equal_toIvEEfEE10hipError_tPvRmT2_T3_T4_T5_mT6_T7_P12ihipStream_tbENKUlT_T0_E_clISt17integral_constantIbLb0EES11_EEDaSW_SX_EUlSW_E_NS1_11comp_targetILNS1_3genE0ELNS1_11target_archE4294967295ELNS1_3gpuE0ELNS1_3repE0EEENS1_30default_config_static_selectorELNS0_4arch9wavefront6targetE1EEEvT1_
                                        ; -- End function
	.section	.AMDGPU.csdata,"",@progbits
; Kernel info:
; codeLenInByte = 0
; NumSgprs: 4
; NumVgprs: 0
; NumAgprs: 0
; TotalNumVgprs: 0
; ScratchSize: 0
; MemoryBound: 0
; FloatMode: 240
; IeeeMode: 1
; LDSByteSize: 0 bytes/workgroup (compile time only)
; SGPRBlocks: 0
; VGPRBlocks: 0
; NumSGPRsForWavesPerEU: 4
; NumVGPRsForWavesPerEU: 1
; AccumOffset: 4
; Occupancy: 8
; WaveLimiterHint : 0
; COMPUTE_PGM_RSRC2:SCRATCH_EN: 0
; COMPUTE_PGM_RSRC2:USER_SGPR: 6
; COMPUTE_PGM_RSRC2:TRAP_HANDLER: 0
; COMPUTE_PGM_RSRC2:TGID_X_EN: 1
; COMPUTE_PGM_RSRC2:TGID_Y_EN: 0
; COMPUTE_PGM_RSRC2:TGID_Z_EN: 0
; COMPUTE_PGM_RSRC2:TIDIG_COMP_CNT: 0
; COMPUTE_PGM_RSRC3_GFX90A:ACCUM_OFFSET: 0
; COMPUTE_PGM_RSRC3_GFX90A:TG_SPLIT: 0
	.section	.text._ZN7rocprim17ROCPRIM_400000_NS6detail17trampoline_kernelINS0_14default_configENS1_27scan_by_key_config_selectorIifEEZZNS1_16scan_by_key_implILNS1_25lookback_scan_determinismE0ELb0ES3_N6thrust23THRUST_200600_302600_NS6detail15normal_iteratorINS9_10device_ptrIiEEEENSB_INSC_IfEEEESG_fNS9_4plusIvEENS9_8equal_toIvEEfEE10hipError_tPvRmT2_T3_T4_T5_mT6_T7_P12ihipStream_tbENKUlT_T0_E_clISt17integral_constantIbLb0EES11_EEDaSW_SX_EUlSW_E_NS1_11comp_targetILNS1_3genE10ELNS1_11target_archE1201ELNS1_3gpuE5ELNS1_3repE0EEENS1_30default_config_static_selectorELNS0_4arch9wavefront6targetE1EEEvT1_,"axG",@progbits,_ZN7rocprim17ROCPRIM_400000_NS6detail17trampoline_kernelINS0_14default_configENS1_27scan_by_key_config_selectorIifEEZZNS1_16scan_by_key_implILNS1_25lookback_scan_determinismE0ELb0ES3_N6thrust23THRUST_200600_302600_NS6detail15normal_iteratorINS9_10device_ptrIiEEEENSB_INSC_IfEEEESG_fNS9_4plusIvEENS9_8equal_toIvEEfEE10hipError_tPvRmT2_T3_T4_T5_mT6_T7_P12ihipStream_tbENKUlT_T0_E_clISt17integral_constantIbLb0EES11_EEDaSW_SX_EUlSW_E_NS1_11comp_targetILNS1_3genE10ELNS1_11target_archE1201ELNS1_3gpuE5ELNS1_3repE0EEENS1_30default_config_static_selectorELNS0_4arch9wavefront6targetE1EEEvT1_,comdat
	.protected	_ZN7rocprim17ROCPRIM_400000_NS6detail17trampoline_kernelINS0_14default_configENS1_27scan_by_key_config_selectorIifEEZZNS1_16scan_by_key_implILNS1_25lookback_scan_determinismE0ELb0ES3_N6thrust23THRUST_200600_302600_NS6detail15normal_iteratorINS9_10device_ptrIiEEEENSB_INSC_IfEEEESG_fNS9_4plusIvEENS9_8equal_toIvEEfEE10hipError_tPvRmT2_T3_T4_T5_mT6_T7_P12ihipStream_tbENKUlT_T0_E_clISt17integral_constantIbLb0EES11_EEDaSW_SX_EUlSW_E_NS1_11comp_targetILNS1_3genE10ELNS1_11target_archE1201ELNS1_3gpuE5ELNS1_3repE0EEENS1_30default_config_static_selectorELNS0_4arch9wavefront6targetE1EEEvT1_ ; -- Begin function _ZN7rocprim17ROCPRIM_400000_NS6detail17trampoline_kernelINS0_14default_configENS1_27scan_by_key_config_selectorIifEEZZNS1_16scan_by_key_implILNS1_25lookback_scan_determinismE0ELb0ES3_N6thrust23THRUST_200600_302600_NS6detail15normal_iteratorINS9_10device_ptrIiEEEENSB_INSC_IfEEEESG_fNS9_4plusIvEENS9_8equal_toIvEEfEE10hipError_tPvRmT2_T3_T4_T5_mT6_T7_P12ihipStream_tbENKUlT_T0_E_clISt17integral_constantIbLb0EES11_EEDaSW_SX_EUlSW_E_NS1_11comp_targetILNS1_3genE10ELNS1_11target_archE1201ELNS1_3gpuE5ELNS1_3repE0EEENS1_30default_config_static_selectorELNS0_4arch9wavefront6targetE1EEEvT1_
	.globl	_ZN7rocprim17ROCPRIM_400000_NS6detail17trampoline_kernelINS0_14default_configENS1_27scan_by_key_config_selectorIifEEZZNS1_16scan_by_key_implILNS1_25lookback_scan_determinismE0ELb0ES3_N6thrust23THRUST_200600_302600_NS6detail15normal_iteratorINS9_10device_ptrIiEEEENSB_INSC_IfEEEESG_fNS9_4plusIvEENS9_8equal_toIvEEfEE10hipError_tPvRmT2_T3_T4_T5_mT6_T7_P12ihipStream_tbENKUlT_T0_E_clISt17integral_constantIbLb0EES11_EEDaSW_SX_EUlSW_E_NS1_11comp_targetILNS1_3genE10ELNS1_11target_archE1201ELNS1_3gpuE5ELNS1_3repE0EEENS1_30default_config_static_selectorELNS0_4arch9wavefront6targetE1EEEvT1_
	.p2align	8
	.type	_ZN7rocprim17ROCPRIM_400000_NS6detail17trampoline_kernelINS0_14default_configENS1_27scan_by_key_config_selectorIifEEZZNS1_16scan_by_key_implILNS1_25lookback_scan_determinismE0ELb0ES3_N6thrust23THRUST_200600_302600_NS6detail15normal_iteratorINS9_10device_ptrIiEEEENSB_INSC_IfEEEESG_fNS9_4plusIvEENS9_8equal_toIvEEfEE10hipError_tPvRmT2_T3_T4_T5_mT6_T7_P12ihipStream_tbENKUlT_T0_E_clISt17integral_constantIbLb0EES11_EEDaSW_SX_EUlSW_E_NS1_11comp_targetILNS1_3genE10ELNS1_11target_archE1201ELNS1_3gpuE5ELNS1_3repE0EEENS1_30default_config_static_selectorELNS0_4arch9wavefront6targetE1EEEvT1_,@function
_ZN7rocprim17ROCPRIM_400000_NS6detail17trampoline_kernelINS0_14default_configENS1_27scan_by_key_config_selectorIifEEZZNS1_16scan_by_key_implILNS1_25lookback_scan_determinismE0ELb0ES3_N6thrust23THRUST_200600_302600_NS6detail15normal_iteratorINS9_10device_ptrIiEEEENSB_INSC_IfEEEESG_fNS9_4plusIvEENS9_8equal_toIvEEfEE10hipError_tPvRmT2_T3_T4_T5_mT6_T7_P12ihipStream_tbENKUlT_T0_E_clISt17integral_constantIbLb0EES11_EEDaSW_SX_EUlSW_E_NS1_11comp_targetILNS1_3genE10ELNS1_11target_archE1201ELNS1_3gpuE5ELNS1_3repE0EEENS1_30default_config_static_selectorELNS0_4arch9wavefront6targetE1EEEvT1_: ; @_ZN7rocprim17ROCPRIM_400000_NS6detail17trampoline_kernelINS0_14default_configENS1_27scan_by_key_config_selectorIifEEZZNS1_16scan_by_key_implILNS1_25lookback_scan_determinismE0ELb0ES3_N6thrust23THRUST_200600_302600_NS6detail15normal_iteratorINS9_10device_ptrIiEEEENSB_INSC_IfEEEESG_fNS9_4plusIvEENS9_8equal_toIvEEfEE10hipError_tPvRmT2_T3_T4_T5_mT6_T7_P12ihipStream_tbENKUlT_T0_E_clISt17integral_constantIbLb0EES11_EEDaSW_SX_EUlSW_E_NS1_11comp_targetILNS1_3genE10ELNS1_11target_archE1201ELNS1_3gpuE5ELNS1_3repE0EEENS1_30default_config_static_selectorELNS0_4arch9wavefront6targetE1EEEvT1_
; %bb.0:
	.section	.rodata,"a",@progbits
	.p2align	6, 0x0
	.amdhsa_kernel _ZN7rocprim17ROCPRIM_400000_NS6detail17trampoline_kernelINS0_14default_configENS1_27scan_by_key_config_selectorIifEEZZNS1_16scan_by_key_implILNS1_25lookback_scan_determinismE0ELb0ES3_N6thrust23THRUST_200600_302600_NS6detail15normal_iteratorINS9_10device_ptrIiEEEENSB_INSC_IfEEEESG_fNS9_4plusIvEENS9_8equal_toIvEEfEE10hipError_tPvRmT2_T3_T4_T5_mT6_T7_P12ihipStream_tbENKUlT_T0_E_clISt17integral_constantIbLb0EES11_EEDaSW_SX_EUlSW_E_NS1_11comp_targetILNS1_3genE10ELNS1_11target_archE1201ELNS1_3gpuE5ELNS1_3repE0EEENS1_30default_config_static_selectorELNS0_4arch9wavefront6targetE1EEEvT1_
		.amdhsa_group_segment_fixed_size 0
		.amdhsa_private_segment_fixed_size 0
		.amdhsa_kernarg_size 112
		.amdhsa_user_sgpr_count 6
		.amdhsa_user_sgpr_private_segment_buffer 1
		.amdhsa_user_sgpr_dispatch_ptr 0
		.amdhsa_user_sgpr_queue_ptr 0
		.amdhsa_user_sgpr_kernarg_segment_ptr 1
		.amdhsa_user_sgpr_dispatch_id 0
		.amdhsa_user_sgpr_flat_scratch_init 0
		.amdhsa_user_sgpr_kernarg_preload_length 0
		.amdhsa_user_sgpr_kernarg_preload_offset 0
		.amdhsa_user_sgpr_private_segment_size 0
		.amdhsa_uses_dynamic_stack 0
		.amdhsa_system_sgpr_private_segment_wavefront_offset 0
		.amdhsa_system_sgpr_workgroup_id_x 1
		.amdhsa_system_sgpr_workgroup_id_y 0
		.amdhsa_system_sgpr_workgroup_id_z 0
		.amdhsa_system_sgpr_workgroup_info 0
		.amdhsa_system_vgpr_workitem_id 0
		.amdhsa_next_free_vgpr 1
		.amdhsa_next_free_sgpr 0
		.amdhsa_accum_offset 4
		.amdhsa_reserve_vcc 0
		.amdhsa_reserve_flat_scratch 0
		.amdhsa_float_round_mode_32 0
		.amdhsa_float_round_mode_16_64 0
		.amdhsa_float_denorm_mode_32 3
		.amdhsa_float_denorm_mode_16_64 3
		.amdhsa_dx10_clamp 1
		.amdhsa_ieee_mode 1
		.amdhsa_fp16_overflow 0
		.amdhsa_tg_split 0
		.amdhsa_exception_fp_ieee_invalid_op 0
		.amdhsa_exception_fp_denorm_src 0
		.amdhsa_exception_fp_ieee_div_zero 0
		.amdhsa_exception_fp_ieee_overflow 0
		.amdhsa_exception_fp_ieee_underflow 0
		.amdhsa_exception_fp_ieee_inexact 0
		.amdhsa_exception_int_div_zero 0
	.end_amdhsa_kernel
	.section	.text._ZN7rocprim17ROCPRIM_400000_NS6detail17trampoline_kernelINS0_14default_configENS1_27scan_by_key_config_selectorIifEEZZNS1_16scan_by_key_implILNS1_25lookback_scan_determinismE0ELb0ES3_N6thrust23THRUST_200600_302600_NS6detail15normal_iteratorINS9_10device_ptrIiEEEENSB_INSC_IfEEEESG_fNS9_4plusIvEENS9_8equal_toIvEEfEE10hipError_tPvRmT2_T3_T4_T5_mT6_T7_P12ihipStream_tbENKUlT_T0_E_clISt17integral_constantIbLb0EES11_EEDaSW_SX_EUlSW_E_NS1_11comp_targetILNS1_3genE10ELNS1_11target_archE1201ELNS1_3gpuE5ELNS1_3repE0EEENS1_30default_config_static_selectorELNS0_4arch9wavefront6targetE1EEEvT1_,"axG",@progbits,_ZN7rocprim17ROCPRIM_400000_NS6detail17trampoline_kernelINS0_14default_configENS1_27scan_by_key_config_selectorIifEEZZNS1_16scan_by_key_implILNS1_25lookback_scan_determinismE0ELb0ES3_N6thrust23THRUST_200600_302600_NS6detail15normal_iteratorINS9_10device_ptrIiEEEENSB_INSC_IfEEEESG_fNS9_4plusIvEENS9_8equal_toIvEEfEE10hipError_tPvRmT2_T3_T4_T5_mT6_T7_P12ihipStream_tbENKUlT_T0_E_clISt17integral_constantIbLb0EES11_EEDaSW_SX_EUlSW_E_NS1_11comp_targetILNS1_3genE10ELNS1_11target_archE1201ELNS1_3gpuE5ELNS1_3repE0EEENS1_30default_config_static_selectorELNS0_4arch9wavefront6targetE1EEEvT1_,comdat
.Lfunc_end1131:
	.size	_ZN7rocprim17ROCPRIM_400000_NS6detail17trampoline_kernelINS0_14default_configENS1_27scan_by_key_config_selectorIifEEZZNS1_16scan_by_key_implILNS1_25lookback_scan_determinismE0ELb0ES3_N6thrust23THRUST_200600_302600_NS6detail15normal_iteratorINS9_10device_ptrIiEEEENSB_INSC_IfEEEESG_fNS9_4plusIvEENS9_8equal_toIvEEfEE10hipError_tPvRmT2_T3_T4_T5_mT6_T7_P12ihipStream_tbENKUlT_T0_E_clISt17integral_constantIbLb0EES11_EEDaSW_SX_EUlSW_E_NS1_11comp_targetILNS1_3genE10ELNS1_11target_archE1201ELNS1_3gpuE5ELNS1_3repE0EEENS1_30default_config_static_selectorELNS0_4arch9wavefront6targetE1EEEvT1_, .Lfunc_end1131-_ZN7rocprim17ROCPRIM_400000_NS6detail17trampoline_kernelINS0_14default_configENS1_27scan_by_key_config_selectorIifEEZZNS1_16scan_by_key_implILNS1_25lookback_scan_determinismE0ELb0ES3_N6thrust23THRUST_200600_302600_NS6detail15normal_iteratorINS9_10device_ptrIiEEEENSB_INSC_IfEEEESG_fNS9_4plusIvEENS9_8equal_toIvEEfEE10hipError_tPvRmT2_T3_T4_T5_mT6_T7_P12ihipStream_tbENKUlT_T0_E_clISt17integral_constantIbLb0EES11_EEDaSW_SX_EUlSW_E_NS1_11comp_targetILNS1_3genE10ELNS1_11target_archE1201ELNS1_3gpuE5ELNS1_3repE0EEENS1_30default_config_static_selectorELNS0_4arch9wavefront6targetE1EEEvT1_
                                        ; -- End function
	.section	.AMDGPU.csdata,"",@progbits
; Kernel info:
; codeLenInByte = 0
; NumSgprs: 4
; NumVgprs: 0
; NumAgprs: 0
; TotalNumVgprs: 0
; ScratchSize: 0
; MemoryBound: 0
; FloatMode: 240
; IeeeMode: 1
; LDSByteSize: 0 bytes/workgroup (compile time only)
; SGPRBlocks: 0
; VGPRBlocks: 0
; NumSGPRsForWavesPerEU: 4
; NumVGPRsForWavesPerEU: 1
; AccumOffset: 4
; Occupancy: 8
; WaveLimiterHint : 0
; COMPUTE_PGM_RSRC2:SCRATCH_EN: 0
; COMPUTE_PGM_RSRC2:USER_SGPR: 6
; COMPUTE_PGM_RSRC2:TRAP_HANDLER: 0
; COMPUTE_PGM_RSRC2:TGID_X_EN: 1
; COMPUTE_PGM_RSRC2:TGID_Y_EN: 0
; COMPUTE_PGM_RSRC2:TGID_Z_EN: 0
; COMPUTE_PGM_RSRC2:TIDIG_COMP_CNT: 0
; COMPUTE_PGM_RSRC3_GFX90A:ACCUM_OFFSET: 0
; COMPUTE_PGM_RSRC3_GFX90A:TG_SPLIT: 0
	.section	.text._ZN7rocprim17ROCPRIM_400000_NS6detail17trampoline_kernelINS0_14default_configENS1_27scan_by_key_config_selectorIifEEZZNS1_16scan_by_key_implILNS1_25lookback_scan_determinismE0ELb0ES3_N6thrust23THRUST_200600_302600_NS6detail15normal_iteratorINS9_10device_ptrIiEEEENSB_INSC_IfEEEESG_fNS9_4plusIvEENS9_8equal_toIvEEfEE10hipError_tPvRmT2_T3_T4_T5_mT6_T7_P12ihipStream_tbENKUlT_T0_E_clISt17integral_constantIbLb0EES11_EEDaSW_SX_EUlSW_E_NS1_11comp_targetILNS1_3genE5ELNS1_11target_archE942ELNS1_3gpuE9ELNS1_3repE0EEENS1_30default_config_static_selectorELNS0_4arch9wavefront6targetE1EEEvT1_,"axG",@progbits,_ZN7rocprim17ROCPRIM_400000_NS6detail17trampoline_kernelINS0_14default_configENS1_27scan_by_key_config_selectorIifEEZZNS1_16scan_by_key_implILNS1_25lookback_scan_determinismE0ELb0ES3_N6thrust23THRUST_200600_302600_NS6detail15normal_iteratorINS9_10device_ptrIiEEEENSB_INSC_IfEEEESG_fNS9_4plusIvEENS9_8equal_toIvEEfEE10hipError_tPvRmT2_T3_T4_T5_mT6_T7_P12ihipStream_tbENKUlT_T0_E_clISt17integral_constantIbLb0EES11_EEDaSW_SX_EUlSW_E_NS1_11comp_targetILNS1_3genE5ELNS1_11target_archE942ELNS1_3gpuE9ELNS1_3repE0EEENS1_30default_config_static_selectorELNS0_4arch9wavefront6targetE1EEEvT1_,comdat
	.protected	_ZN7rocprim17ROCPRIM_400000_NS6detail17trampoline_kernelINS0_14default_configENS1_27scan_by_key_config_selectorIifEEZZNS1_16scan_by_key_implILNS1_25lookback_scan_determinismE0ELb0ES3_N6thrust23THRUST_200600_302600_NS6detail15normal_iteratorINS9_10device_ptrIiEEEENSB_INSC_IfEEEESG_fNS9_4plusIvEENS9_8equal_toIvEEfEE10hipError_tPvRmT2_T3_T4_T5_mT6_T7_P12ihipStream_tbENKUlT_T0_E_clISt17integral_constantIbLb0EES11_EEDaSW_SX_EUlSW_E_NS1_11comp_targetILNS1_3genE5ELNS1_11target_archE942ELNS1_3gpuE9ELNS1_3repE0EEENS1_30default_config_static_selectorELNS0_4arch9wavefront6targetE1EEEvT1_ ; -- Begin function _ZN7rocprim17ROCPRIM_400000_NS6detail17trampoline_kernelINS0_14default_configENS1_27scan_by_key_config_selectorIifEEZZNS1_16scan_by_key_implILNS1_25lookback_scan_determinismE0ELb0ES3_N6thrust23THRUST_200600_302600_NS6detail15normal_iteratorINS9_10device_ptrIiEEEENSB_INSC_IfEEEESG_fNS9_4plusIvEENS9_8equal_toIvEEfEE10hipError_tPvRmT2_T3_T4_T5_mT6_T7_P12ihipStream_tbENKUlT_T0_E_clISt17integral_constantIbLb0EES11_EEDaSW_SX_EUlSW_E_NS1_11comp_targetILNS1_3genE5ELNS1_11target_archE942ELNS1_3gpuE9ELNS1_3repE0EEENS1_30default_config_static_selectorELNS0_4arch9wavefront6targetE1EEEvT1_
	.globl	_ZN7rocprim17ROCPRIM_400000_NS6detail17trampoline_kernelINS0_14default_configENS1_27scan_by_key_config_selectorIifEEZZNS1_16scan_by_key_implILNS1_25lookback_scan_determinismE0ELb0ES3_N6thrust23THRUST_200600_302600_NS6detail15normal_iteratorINS9_10device_ptrIiEEEENSB_INSC_IfEEEESG_fNS9_4plusIvEENS9_8equal_toIvEEfEE10hipError_tPvRmT2_T3_T4_T5_mT6_T7_P12ihipStream_tbENKUlT_T0_E_clISt17integral_constantIbLb0EES11_EEDaSW_SX_EUlSW_E_NS1_11comp_targetILNS1_3genE5ELNS1_11target_archE942ELNS1_3gpuE9ELNS1_3repE0EEENS1_30default_config_static_selectorELNS0_4arch9wavefront6targetE1EEEvT1_
	.p2align	8
	.type	_ZN7rocprim17ROCPRIM_400000_NS6detail17trampoline_kernelINS0_14default_configENS1_27scan_by_key_config_selectorIifEEZZNS1_16scan_by_key_implILNS1_25lookback_scan_determinismE0ELb0ES3_N6thrust23THRUST_200600_302600_NS6detail15normal_iteratorINS9_10device_ptrIiEEEENSB_INSC_IfEEEESG_fNS9_4plusIvEENS9_8equal_toIvEEfEE10hipError_tPvRmT2_T3_T4_T5_mT6_T7_P12ihipStream_tbENKUlT_T0_E_clISt17integral_constantIbLb0EES11_EEDaSW_SX_EUlSW_E_NS1_11comp_targetILNS1_3genE5ELNS1_11target_archE942ELNS1_3gpuE9ELNS1_3repE0EEENS1_30default_config_static_selectorELNS0_4arch9wavefront6targetE1EEEvT1_,@function
_ZN7rocprim17ROCPRIM_400000_NS6detail17trampoline_kernelINS0_14default_configENS1_27scan_by_key_config_selectorIifEEZZNS1_16scan_by_key_implILNS1_25lookback_scan_determinismE0ELb0ES3_N6thrust23THRUST_200600_302600_NS6detail15normal_iteratorINS9_10device_ptrIiEEEENSB_INSC_IfEEEESG_fNS9_4plusIvEENS9_8equal_toIvEEfEE10hipError_tPvRmT2_T3_T4_T5_mT6_T7_P12ihipStream_tbENKUlT_T0_E_clISt17integral_constantIbLb0EES11_EEDaSW_SX_EUlSW_E_NS1_11comp_targetILNS1_3genE5ELNS1_11target_archE942ELNS1_3gpuE9ELNS1_3repE0EEENS1_30default_config_static_selectorELNS0_4arch9wavefront6targetE1EEEvT1_: ; @_ZN7rocprim17ROCPRIM_400000_NS6detail17trampoline_kernelINS0_14default_configENS1_27scan_by_key_config_selectorIifEEZZNS1_16scan_by_key_implILNS1_25lookback_scan_determinismE0ELb0ES3_N6thrust23THRUST_200600_302600_NS6detail15normal_iteratorINS9_10device_ptrIiEEEENSB_INSC_IfEEEESG_fNS9_4plusIvEENS9_8equal_toIvEEfEE10hipError_tPvRmT2_T3_T4_T5_mT6_T7_P12ihipStream_tbENKUlT_T0_E_clISt17integral_constantIbLb0EES11_EEDaSW_SX_EUlSW_E_NS1_11comp_targetILNS1_3genE5ELNS1_11target_archE942ELNS1_3gpuE9ELNS1_3repE0EEENS1_30default_config_static_selectorELNS0_4arch9wavefront6targetE1EEEvT1_
; %bb.0:
	.section	.rodata,"a",@progbits
	.p2align	6, 0x0
	.amdhsa_kernel _ZN7rocprim17ROCPRIM_400000_NS6detail17trampoline_kernelINS0_14default_configENS1_27scan_by_key_config_selectorIifEEZZNS1_16scan_by_key_implILNS1_25lookback_scan_determinismE0ELb0ES3_N6thrust23THRUST_200600_302600_NS6detail15normal_iteratorINS9_10device_ptrIiEEEENSB_INSC_IfEEEESG_fNS9_4plusIvEENS9_8equal_toIvEEfEE10hipError_tPvRmT2_T3_T4_T5_mT6_T7_P12ihipStream_tbENKUlT_T0_E_clISt17integral_constantIbLb0EES11_EEDaSW_SX_EUlSW_E_NS1_11comp_targetILNS1_3genE5ELNS1_11target_archE942ELNS1_3gpuE9ELNS1_3repE0EEENS1_30default_config_static_selectorELNS0_4arch9wavefront6targetE1EEEvT1_
		.amdhsa_group_segment_fixed_size 0
		.amdhsa_private_segment_fixed_size 0
		.amdhsa_kernarg_size 112
		.amdhsa_user_sgpr_count 6
		.amdhsa_user_sgpr_private_segment_buffer 1
		.amdhsa_user_sgpr_dispatch_ptr 0
		.amdhsa_user_sgpr_queue_ptr 0
		.amdhsa_user_sgpr_kernarg_segment_ptr 1
		.amdhsa_user_sgpr_dispatch_id 0
		.amdhsa_user_sgpr_flat_scratch_init 0
		.amdhsa_user_sgpr_kernarg_preload_length 0
		.amdhsa_user_sgpr_kernarg_preload_offset 0
		.amdhsa_user_sgpr_private_segment_size 0
		.amdhsa_uses_dynamic_stack 0
		.amdhsa_system_sgpr_private_segment_wavefront_offset 0
		.amdhsa_system_sgpr_workgroup_id_x 1
		.amdhsa_system_sgpr_workgroup_id_y 0
		.amdhsa_system_sgpr_workgroup_id_z 0
		.amdhsa_system_sgpr_workgroup_info 0
		.amdhsa_system_vgpr_workitem_id 0
		.amdhsa_next_free_vgpr 1
		.amdhsa_next_free_sgpr 0
		.amdhsa_accum_offset 4
		.amdhsa_reserve_vcc 0
		.amdhsa_reserve_flat_scratch 0
		.amdhsa_float_round_mode_32 0
		.amdhsa_float_round_mode_16_64 0
		.amdhsa_float_denorm_mode_32 3
		.amdhsa_float_denorm_mode_16_64 3
		.amdhsa_dx10_clamp 1
		.amdhsa_ieee_mode 1
		.amdhsa_fp16_overflow 0
		.amdhsa_tg_split 0
		.amdhsa_exception_fp_ieee_invalid_op 0
		.amdhsa_exception_fp_denorm_src 0
		.amdhsa_exception_fp_ieee_div_zero 0
		.amdhsa_exception_fp_ieee_overflow 0
		.amdhsa_exception_fp_ieee_underflow 0
		.amdhsa_exception_fp_ieee_inexact 0
		.amdhsa_exception_int_div_zero 0
	.end_amdhsa_kernel
	.section	.text._ZN7rocprim17ROCPRIM_400000_NS6detail17trampoline_kernelINS0_14default_configENS1_27scan_by_key_config_selectorIifEEZZNS1_16scan_by_key_implILNS1_25lookback_scan_determinismE0ELb0ES3_N6thrust23THRUST_200600_302600_NS6detail15normal_iteratorINS9_10device_ptrIiEEEENSB_INSC_IfEEEESG_fNS9_4plusIvEENS9_8equal_toIvEEfEE10hipError_tPvRmT2_T3_T4_T5_mT6_T7_P12ihipStream_tbENKUlT_T0_E_clISt17integral_constantIbLb0EES11_EEDaSW_SX_EUlSW_E_NS1_11comp_targetILNS1_3genE5ELNS1_11target_archE942ELNS1_3gpuE9ELNS1_3repE0EEENS1_30default_config_static_selectorELNS0_4arch9wavefront6targetE1EEEvT1_,"axG",@progbits,_ZN7rocprim17ROCPRIM_400000_NS6detail17trampoline_kernelINS0_14default_configENS1_27scan_by_key_config_selectorIifEEZZNS1_16scan_by_key_implILNS1_25lookback_scan_determinismE0ELb0ES3_N6thrust23THRUST_200600_302600_NS6detail15normal_iteratorINS9_10device_ptrIiEEEENSB_INSC_IfEEEESG_fNS9_4plusIvEENS9_8equal_toIvEEfEE10hipError_tPvRmT2_T3_T4_T5_mT6_T7_P12ihipStream_tbENKUlT_T0_E_clISt17integral_constantIbLb0EES11_EEDaSW_SX_EUlSW_E_NS1_11comp_targetILNS1_3genE5ELNS1_11target_archE942ELNS1_3gpuE9ELNS1_3repE0EEENS1_30default_config_static_selectorELNS0_4arch9wavefront6targetE1EEEvT1_,comdat
.Lfunc_end1132:
	.size	_ZN7rocprim17ROCPRIM_400000_NS6detail17trampoline_kernelINS0_14default_configENS1_27scan_by_key_config_selectorIifEEZZNS1_16scan_by_key_implILNS1_25lookback_scan_determinismE0ELb0ES3_N6thrust23THRUST_200600_302600_NS6detail15normal_iteratorINS9_10device_ptrIiEEEENSB_INSC_IfEEEESG_fNS9_4plusIvEENS9_8equal_toIvEEfEE10hipError_tPvRmT2_T3_T4_T5_mT6_T7_P12ihipStream_tbENKUlT_T0_E_clISt17integral_constantIbLb0EES11_EEDaSW_SX_EUlSW_E_NS1_11comp_targetILNS1_3genE5ELNS1_11target_archE942ELNS1_3gpuE9ELNS1_3repE0EEENS1_30default_config_static_selectorELNS0_4arch9wavefront6targetE1EEEvT1_, .Lfunc_end1132-_ZN7rocprim17ROCPRIM_400000_NS6detail17trampoline_kernelINS0_14default_configENS1_27scan_by_key_config_selectorIifEEZZNS1_16scan_by_key_implILNS1_25lookback_scan_determinismE0ELb0ES3_N6thrust23THRUST_200600_302600_NS6detail15normal_iteratorINS9_10device_ptrIiEEEENSB_INSC_IfEEEESG_fNS9_4plusIvEENS9_8equal_toIvEEfEE10hipError_tPvRmT2_T3_T4_T5_mT6_T7_P12ihipStream_tbENKUlT_T0_E_clISt17integral_constantIbLb0EES11_EEDaSW_SX_EUlSW_E_NS1_11comp_targetILNS1_3genE5ELNS1_11target_archE942ELNS1_3gpuE9ELNS1_3repE0EEENS1_30default_config_static_selectorELNS0_4arch9wavefront6targetE1EEEvT1_
                                        ; -- End function
	.section	.AMDGPU.csdata,"",@progbits
; Kernel info:
; codeLenInByte = 0
; NumSgprs: 4
; NumVgprs: 0
; NumAgprs: 0
; TotalNumVgprs: 0
; ScratchSize: 0
; MemoryBound: 0
; FloatMode: 240
; IeeeMode: 1
; LDSByteSize: 0 bytes/workgroup (compile time only)
; SGPRBlocks: 0
; VGPRBlocks: 0
; NumSGPRsForWavesPerEU: 4
; NumVGPRsForWavesPerEU: 1
; AccumOffset: 4
; Occupancy: 8
; WaveLimiterHint : 0
; COMPUTE_PGM_RSRC2:SCRATCH_EN: 0
; COMPUTE_PGM_RSRC2:USER_SGPR: 6
; COMPUTE_PGM_RSRC2:TRAP_HANDLER: 0
; COMPUTE_PGM_RSRC2:TGID_X_EN: 1
; COMPUTE_PGM_RSRC2:TGID_Y_EN: 0
; COMPUTE_PGM_RSRC2:TGID_Z_EN: 0
; COMPUTE_PGM_RSRC2:TIDIG_COMP_CNT: 0
; COMPUTE_PGM_RSRC3_GFX90A:ACCUM_OFFSET: 0
; COMPUTE_PGM_RSRC3_GFX90A:TG_SPLIT: 0
	.section	.text._ZN7rocprim17ROCPRIM_400000_NS6detail17trampoline_kernelINS0_14default_configENS1_27scan_by_key_config_selectorIifEEZZNS1_16scan_by_key_implILNS1_25lookback_scan_determinismE0ELb0ES3_N6thrust23THRUST_200600_302600_NS6detail15normal_iteratorINS9_10device_ptrIiEEEENSB_INSC_IfEEEESG_fNS9_4plusIvEENS9_8equal_toIvEEfEE10hipError_tPvRmT2_T3_T4_T5_mT6_T7_P12ihipStream_tbENKUlT_T0_E_clISt17integral_constantIbLb0EES11_EEDaSW_SX_EUlSW_E_NS1_11comp_targetILNS1_3genE4ELNS1_11target_archE910ELNS1_3gpuE8ELNS1_3repE0EEENS1_30default_config_static_selectorELNS0_4arch9wavefront6targetE1EEEvT1_,"axG",@progbits,_ZN7rocprim17ROCPRIM_400000_NS6detail17trampoline_kernelINS0_14default_configENS1_27scan_by_key_config_selectorIifEEZZNS1_16scan_by_key_implILNS1_25lookback_scan_determinismE0ELb0ES3_N6thrust23THRUST_200600_302600_NS6detail15normal_iteratorINS9_10device_ptrIiEEEENSB_INSC_IfEEEESG_fNS9_4plusIvEENS9_8equal_toIvEEfEE10hipError_tPvRmT2_T3_T4_T5_mT6_T7_P12ihipStream_tbENKUlT_T0_E_clISt17integral_constantIbLb0EES11_EEDaSW_SX_EUlSW_E_NS1_11comp_targetILNS1_3genE4ELNS1_11target_archE910ELNS1_3gpuE8ELNS1_3repE0EEENS1_30default_config_static_selectorELNS0_4arch9wavefront6targetE1EEEvT1_,comdat
	.protected	_ZN7rocprim17ROCPRIM_400000_NS6detail17trampoline_kernelINS0_14default_configENS1_27scan_by_key_config_selectorIifEEZZNS1_16scan_by_key_implILNS1_25lookback_scan_determinismE0ELb0ES3_N6thrust23THRUST_200600_302600_NS6detail15normal_iteratorINS9_10device_ptrIiEEEENSB_INSC_IfEEEESG_fNS9_4plusIvEENS9_8equal_toIvEEfEE10hipError_tPvRmT2_T3_T4_T5_mT6_T7_P12ihipStream_tbENKUlT_T0_E_clISt17integral_constantIbLb0EES11_EEDaSW_SX_EUlSW_E_NS1_11comp_targetILNS1_3genE4ELNS1_11target_archE910ELNS1_3gpuE8ELNS1_3repE0EEENS1_30default_config_static_selectorELNS0_4arch9wavefront6targetE1EEEvT1_ ; -- Begin function _ZN7rocprim17ROCPRIM_400000_NS6detail17trampoline_kernelINS0_14default_configENS1_27scan_by_key_config_selectorIifEEZZNS1_16scan_by_key_implILNS1_25lookback_scan_determinismE0ELb0ES3_N6thrust23THRUST_200600_302600_NS6detail15normal_iteratorINS9_10device_ptrIiEEEENSB_INSC_IfEEEESG_fNS9_4plusIvEENS9_8equal_toIvEEfEE10hipError_tPvRmT2_T3_T4_T5_mT6_T7_P12ihipStream_tbENKUlT_T0_E_clISt17integral_constantIbLb0EES11_EEDaSW_SX_EUlSW_E_NS1_11comp_targetILNS1_3genE4ELNS1_11target_archE910ELNS1_3gpuE8ELNS1_3repE0EEENS1_30default_config_static_selectorELNS0_4arch9wavefront6targetE1EEEvT1_
	.globl	_ZN7rocprim17ROCPRIM_400000_NS6detail17trampoline_kernelINS0_14default_configENS1_27scan_by_key_config_selectorIifEEZZNS1_16scan_by_key_implILNS1_25lookback_scan_determinismE0ELb0ES3_N6thrust23THRUST_200600_302600_NS6detail15normal_iteratorINS9_10device_ptrIiEEEENSB_INSC_IfEEEESG_fNS9_4plusIvEENS9_8equal_toIvEEfEE10hipError_tPvRmT2_T3_T4_T5_mT6_T7_P12ihipStream_tbENKUlT_T0_E_clISt17integral_constantIbLb0EES11_EEDaSW_SX_EUlSW_E_NS1_11comp_targetILNS1_3genE4ELNS1_11target_archE910ELNS1_3gpuE8ELNS1_3repE0EEENS1_30default_config_static_selectorELNS0_4arch9wavefront6targetE1EEEvT1_
	.p2align	8
	.type	_ZN7rocprim17ROCPRIM_400000_NS6detail17trampoline_kernelINS0_14default_configENS1_27scan_by_key_config_selectorIifEEZZNS1_16scan_by_key_implILNS1_25lookback_scan_determinismE0ELb0ES3_N6thrust23THRUST_200600_302600_NS6detail15normal_iteratorINS9_10device_ptrIiEEEENSB_INSC_IfEEEESG_fNS9_4plusIvEENS9_8equal_toIvEEfEE10hipError_tPvRmT2_T3_T4_T5_mT6_T7_P12ihipStream_tbENKUlT_T0_E_clISt17integral_constantIbLb0EES11_EEDaSW_SX_EUlSW_E_NS1_11comp_targetILNS1_3genE4ELNS1_11target_archE910ELNS1_3gpuE8ELNS1_3repE0EEENS1_30default_config_static_selectorELNS0_4arch9wavefront6targetE1EEEvT1_,@function
_ZN7rocprim17ROCPRIM_400000_NS6detail17trampoline_kernelINS0_14default_configENS1_27scan_by_key_config_selectorIifEEZZNS1_16scan_by_key_implILNS1_25lookback_scan_determinismE0ELb0ES3_N6thrust23THRUST_200600_302600_NS6detail15normal_iteratorINS9_10device_ptrIiEEEENSB_INSC_IfEEEESG_fNS9_4plusIvEENS9_8equal_toIvEEfEE10hipError_tPvRmT2_T3_T4_T5_mT6_T7_P12ihipStream_tbENKUlT_T0_E_clISt17integral_constantIbLb0EES11_EEDaSW_SX_EUlSW_E_NS1_11comp_targetILNS1_3genE4ELNS1_11target_archE910ELNS1_3gpuE8ELNS1_3repE0EEENS1_30default_config_static_selectorELNS0_4arch9wavefront6targetE1EEEvT1_: ; @_ZN7rocprim17ROCPRIM_400000_NS6detail17trampoline_kernelINS0_14default_configENS1_27scan_by_key_config_selectorIifEEZZNS1_16scan_by_key_implILNS1_25lookback_scan_determinismE0ELb0ES3_N6thrust23THRUST_200600_302600_NS6detail15normal_iteratorINS9_10device_ptrIiEEEENSB_INSC_IfEEEESG_fNS9_4plusIvEENS9_8equal_toIvEEfEE10hipError_tPvRmT2_T3_T4_T5_mT6_T7_P12ihipStream_tbENKUlT_T0_E_clISt17integral_constantIbLb0EES11_EEDaSW_SX_EUlSW_E_NS1_11comp_targetILNS1_3genE4ELNS1_11target_archE910ELNS1_3gpuE8ELNS1_3repE0EEENS1_30default_config_static_selectorELNS0_4arch9wavefront6targetE1EEEvT1_
; %bb.0:
	s_load_dwordx8 s[36:43], s[4:5], 0x0
	s_load_dwordx4 s[52:55], s[4:5], 0x28
	s_load_dwordx2 s[56:57], s[4:5], 0x38
	s_load_dword s0, s[4:5], 0x40
	s_load_dwordx8 s[44:51], s[4:5], 0x48
	s_waitcnt lgkmcnt(0)
	s_lshl_b64 s[34:35], s[38:39], 2
	s_add_u32 s2, s36, s34
	s_addc_u32 s3, s37, s35
	s_add_u32 s4, s40, s34
	s_mul_i32 s1, s57, s0
	s_mul_hi_u32 s7, s56, s0
	s_addc_u32 s5, s41, s35
	s_add_i32 s8, s7, s1
	s_mul_i32 s9, s56, s0
	s_cmp_lg_u64 s[48:49], 0
	s_mul_i32 s0, s6, 0xe00
	s_mov_b32 s1, 0
	s_cselect_b64 s[40:41], -1, 0
	s_lshl_b64 s[36:37], s[0:1], 2
	s_add_u32 s38, s2, s36
	s_addc_u32 s39, s3, s37
	s_add_u32 s7, s4, s36
	s_addc_u32 s55, s5, s37
	s_add_u32 s48, s9, s6
	s_addc_u32 s49, s8, 0
	s_add_u32 s2, s44, -1
	s_addc_u32 s3, s45, -1
	v_pk_mov_b32 v[2:3], s[2:3], s[2:3] op_sel:[0,1]
	v_cmp_ge_u64_e64 s[0:1], s[48:49], v[2:3]
	s_mov_b64 s[12:13], 0
	s_mov_b64 s[8:9], -1
	s_and_b64 vcc, exec, s[0:1]
	s_mul_i32 s33, s2, 0xfffff200
	s_barrier
	s_cbranch_vccz .LBB1133_77
; %bb.1:
	v_pk_mov_b32 v[2:3], s[38:39], s[38:39] op_sel:[0,1]
	flat_load_dword v2, v[2:3]
	s_add_i32 s62, s33, s54
	v_cmp_gt_u32_e64 s[2:3], s62, v0
	s_waitcnt vmcnt(0) lgkmcnt(0)
	v_mov_b32_e32 v3, v2
	s_and_saveexec_b64 s[4:5], s[2:3]
	s_cbranch_execz .LBB1133_3
; %bb.2:
	v_lshlrev_b32_e32 v1, 2, v0
	v_mov_b32_e32 v3, s39
	v_add_co_u32_e32 v4, vcc, s38, v1
	v_addc_co_u32_e32 v5, vcc, 0, v3, vcc
	flat_load_dword v3, v[4:5]
.LBB1133_3:
	s_or_b64 exec, exec, s[4:5]
	v_or_b32_e32 v1, 0x100, v0
	v_cmp_gt_u32_e64 s[4:5], s62, v1
	v_mov_b32_e32 v4, v2
	s_and_saveexec_b64 s[8:9], s[4:5]
	s_cbranch_execz .LBB1133_5
; %bb.4:
	v_lshlrev_b32_e32 v1, 2, v0
	v_mov_b32_e32 v5, s39
	v_add_co_u32_e32 v4, vcc, s38, v1
	v_addc_co_u32_e32 v5, vcc, 0, v5, vcc
	flat_load_dword v4, v[4:5] offset:1024
.LBB1133_5:
	s_or_b64 exec, exec, s[8:9]
	v_or_b32_e32 v1, 0x200, v0
	v_cmp_gt_u32_e64 s[30:31], s62, v1
	v_mov_b32_e32 v5, v2
	s_and_saveexec_b64 s[8:9], s[30:31]
	s_cbranch_execz .LBB1133_7
; %bb.6:
	v_lshlrev_b32_e32 v1, 2, v0
	v_mov_b32_e32 v5, s39
	v_add_co_u32_e32 v6, vcc, s38, v1
	v_addc_co_u32_e32 v7, vcc, 0, v5, vcc
	flat_load_dword v5, v[6:7] offset:2048
.LBB1133_7:
	;; [unrolled: 13-line block ×3, first 2 shown]
	s_or_b64 exec, exec, s[10:11]
	v_or_b32_e32 v1, 0x400, v0
	v_cmp_gt_u32_e64 s[10:11], s62, v1
	v_lshlrev_b32_e32 v1, 2, v1
	v_mov_b32_e32 v7, v2
	s_and_saveexec_b64 s[12:13], s[10:11]
	s_cbranch_execz .LBB1133_11
; %bb.10:
	v_mov_b32_e32 v7, s39
	v_add_co_u32_e32 v8, vcc, s38, v1
	v_addc_co_u32_e32 v9, vcc, 0, v7, vcc
	flat_load_dword v7, v[8:9]
.LBB1133_11:
	s_or_b64 exec, exec, s[12:13]
	v_or_b32_e32 v8, 0x500, v0
	v_cmp_gt_u32_e64 s[12:13], s62, v8
	v_lshlrev_b32_e32 v14, 2, v8
	v_mov_b32_e32 v8, v2
	s_and_saveexec_b64 s[14:15], s[12:13]
	s_cbranch_execz .LBB1133_13
; %bb.12:
	v_mov_b32_e32 v9, s39
	v_add_co_u32_e32 v8, vcc, s38, v14
	v_addc_co_u32_e32 v9, vcc, 0, v9, vcc
	flat_load_dword v8, v[8:9]
.LBB1133_13:
	;; [unrolled: 13-line block ×9, first 2 shown]
	s_or_b64 exec, exec, s[28:29]
	v_or_b32_e32 v23, 0xd00, v0
	v_cmp_gt_u32_e64 s[28:29], s62, v23
	v_lshlrev_b32_e32 v23, 2, v23
	s_and_saveexec_b64 s[44:45], s[28:29]
	s_cbranch_execz .LBB1133_29
; %bb.28:
	v_mov_b32_e32 v2, s39
	v_add_co_u32_e32 v26, vcc, s38, v23
	v_addc_co_u32_e32 v27, vcc, 0, v2, vcc
	flat_load_dword v2, v[26:27]
.LBB1133_29:
	s_or_b64 exec, exec, s[44:45]
	v_lshlrev_b32_e32 v24, 2, v0
	s_waitcnt vmcnt(0) lgkmcnt(0)
	ds_write2st64_b32 v24, v3, v4 offset1:4
	ds_write2st64_b32 v24, v5, v6 offset0:8 offset1:12
	ds_write2st64_b32 v24, v7, v8 offset0:16 offset1:20
	;; [unrolled: 1-line block ×6, first 2 shown]
	v_mad_u32_u24 v15, v0, 52, v24
	s_waitcnt lgkmcnt(0)
	s_barrier
	ds_read2_b64 v[10:13], v15 offset1:1
	ds_read2_b64 v[6:9], v15 offset0:2 offset1:3
	ds_read2_b64 v[2:5], v15 offset0:4 offset1:5
	ds_read_b64 v[40:41], v15 offset:48
	s_cmp_eq_u64 s[48:49], 0
	s_mov_b64 s[44:45], s[38:39]
	s_cbranch_scc1 .LBB1133_33
; %bb.30:
	s_andn2_b64 vcc, exec, s[40:41]
	s_cbranch_vccnz .LBB1133_225
; %bb.31:
	s_lshl_b64 s[44:45], s[48:49], 2
	s_add_u32 s44, s50, s44
	s_addc_u32 s45, s51, s45
	s_add_u32 s44, s44, -4
	s_addc_u32 s45, s45, -1
	s_cbranch_execnz .LBB1133_33
.LBB1133_32:
	s_add_u32 s44, s38, -4
	s_addc_u32 s45, s39, -1
.LBB1133_33:
	v_pk_mov_b32 v[26:27], s[44:45], s[44:45] op_sel:[0,1]
	flat_load_dword v55, v[26:27]
	s_movk_i32 s44, 0xffcc
	v_mad_i32_i24 v25, v0, s44, v15
	v_cmp_ne_u32_e32 vcc, 0, v0
	s_waitcnt lgkmcnt(0)
	ds_write_b32 v25, v41 offset:14336
	s_waitcnt lgkmcnt(0)
	s_barrier
	s_and_saveexec_b64 s[44:45], vcc
	s_cbranch_execz .LBB1133_35
; %bb.34:
	v_mul_i32_i24_e32 v25, 0xffffffcc, v0
	v_add_u32_e32 v25, v15, v25
	s_waitcnt vmcnt(0)
	ds_read_b32 v55, v25 offset:14332
.LBB1133_35:
	s_or_b64 exec, exec, s[44:45]
	s_waitcnt lgkmcnt(0)
	s_barrier
	s_waitcnt lgkmcnt(0)
                                        ; implicit-def: $vgpr25
	s_and_saveexec_b64 s[44:45], s[2:3]
	s_cbranch_execnz .LBB1133_212
; %bb.36:
	s_or_b64 exec, exec, s[44:45]
                                        ; implicit-def: $vgpr26
	s_and_saveexec_b64 s[2:3], s[4:5]
	s_cbranch_execnz .LBB1133_213
.LBB1133_37:
	s_or_b64 exec, exec, s[2:3]
                                        ; implicit-def: $vgpr27
	s_and_saveexec_b64 s[2:3], s[30:31]
	s_cbranch_execnz .LBB1133_214
.LBB1133_38:
	s_or_b64 exec, exec, s[2:3]
                                        ; implicit-def: $vgpr28
	s_and_saveexec_b64 s[2:3], s[8:9]
	s_cbranch_execnz .LBB1133_215
.LBB1133_39:
	s_or_b64 exec, exec, s[2:3]
                                        ; implicit-def: $vgpr29
	s_and_saveexec_b64 s[2:3], s[10:11]
	s_cbranch_execnz .LBB1133_216
.LBB1133_40:
	s_or_b64 exec, exec, s[2:3]
                                        ; implicit-def: $vgpr1
	s_and_saveexec_b64 s[2:3], s[12:13]
	s_cbranch_execnz .LBB1133_217
.LBB1133_41:
	s_or_b64 exec, exec, s[2:3]
                                        ; implicit-def: $vgpr14
	s_and_saveexec_b64 s[2:3], s[14:15]
	s_cbranch_execnz .LBB1133_218
.LBB1133_42:
	s_or_b64 exec, exec, s[2:3]
                                        ; implicit-def: $vgpr16
	s_and_saveexec_b64 s[2:3], s[16:17]
	s_cbranch_execnz .LBB1133_219
.LBB1133_43:
	s_or_b64 exec, exec, s[2:3]
                                        ; implicit-def: $vgpr17
	s_and_saveexec_b64 s[2:3], s[18:19]
	s_cbranch_execnz .LBB1133_220
.LBB1133_44:
	s_or_b64 exec, exec, s[2:3]
                                        ; implicit-def: $vgpr18
	s_and_saveexec_b64 s[2:3], s[20:21]
	s_cbranch_execnz .LBB1133_221
.LBB1133_45:
	s_or_b64 exec, exec, s[2:3]
                                        ; implicit-def: $vgpr19
	s_and_saveexec_b64 s[2:3], s[22:23]
	s_cbranch_execnz .LBB1133_222
.LBB1133_46:
	s_or_b64 exec, exec, s[2:3]
                                        ; implicit-def: $vgpr20
	s_and_saveexec_b64 s[2:3], s[24:25]
	s_cbranch_execnz .LBB1133_223
.LBB1133_47:
	s_or_b64 exec, exec, s[2:3]
                                        ; implicit-def: $vgpr21
	s_and_saveexec_b64 s[2:3], s[26:27]
	s_cbranch_execnz .LBB1133_224
.LBB1133_48:
	s_or_b64 exec, exec, s[2:3]
                                        ; implicit-def: $vgpr22
	s_and_saveexec_b64 s[2:3], s[28:29]
	s_cbranch_execz .LBB1133_50
.LBB1133_49:
	v_mov_b32_e32 v30, s55
	v_add_co_u32_e32 v22, vcc, s7, v23
	v_addc_co_u32_e32 v23, vcc, 0, v30, vcc
	flat_load_dword v22, v[22:23]
.LBB1133_50:
	s_or_b64 exec, exec, s[2:3]
	s_mov_b32 s4, 0
	v_mul_u32_u24_e32 v54, 14, v0
	s_mov_b32 s5, s4
	s_waitcnt vmcnt(0) lgkmcnt(0)
	ds_write2st64_b32 v24, v25, v26 offset1:4
	ds_write2st64_b32 v24, v27, v28 offset0:8 offset1:12
	ds_write2st64_b32 v24, v29, v1 offset0:16 offset1:20
	;; [unrolled: 1-line block ×6, first 2 shown]
	v_cmp_gt_u32_e32 vcc, s62, v54
	s_mov_b64 s[8:9], 0
	v_pk_mov_b32 v[16:17], s[4:5], s[4:5] op_sel:[0,1]
	v_mov_b32_e32 v1, 0
	v_mov_b32_e32 v14, 0
	s_mov_b64 s[12:13], 0
	v_pk_mov_b32 v[18:19], s[4:5], s[4:5] op_sel:[0,1]
	v_pk_mov_b32 v[20:21], s[4:5], s[4:5] op_sel:[0,1]
	;; [unrolled: 1-line block ×5, first 2 shown]
	v_mov_b32_e32 v47, 0
	v_mov_b32_e32 v53, 0
	;; [unrolled: 1-line block ×12, first 2 shown]
	s_waitcnt lgkmcnt(0)
	s_barrier
	s_waitcnt lgkmcnt(0)
                                        ; implicit-def: $sgpr2_sgpr3
                                        ; implicit-def: $vgpr38_vgpr39
                                        ; implicit-def: $vgpr36_vgpr37
                                        ; implicit-def: $vgpr34_vgpr35
                                        ; implicit-def: $vgpr32_vgpr33
                                        ; implicit-def: $vgpr30_vgpr31
                                        ; implicit-def: $vgpr28_vgpr29
	s_and_saveexec_b64 s[10:11], vcc
	s_cbranch_execz .LBB1133_76
; %bb.51:
	ds_read_b32 v14, v15
	s_mov_b32 s20, 0
	v_cmp_ne_u32_e32 vcc, v55, v10
	v_or_b32_e32 v16, 1, v54
	s_mov_b32 s21, s20
	v_cndmask_b32_e64 v1, 0, 1, vcc
	v_cmp_gt_u32_e32 vcc, s62, v16
	s_mov_b64 s[14:15], 0
	v_pk_mov_b32 v[16:17], s[20:21], s[20:21] op_sel:[0,1]
	v_mov_b32_e32 v47, 0
	v_pk_mov_b32 v[18:19], s[20:21], s[20:21] op_sel:[0,1]
	v_pk_mov_b32 v[20:21], s[20:21], s[20:21] op_sel:[0,1]
	;; [unrolled: 1-line block ×5, first 2 shown]
	v_mov_b32_e32 v53, 0
	v_mov_b32_e32 v42, 0
	;; [unrolled: 1-line block ×11, first 2 shown]
                                        ; implicit-def: $sgpr2_sgpr3
                                        ; implicit-def: $vgpr38_vgpr39
                                        ; implicit-def: $vgpr36_vgpr37
                                        ; implicit-def: $vgpr34_vgpr35
                                        ; implicit-def: $vgpr32_vgpr33
                                        ; implicit-def: $vgpr30_vgpr31
                                        ; implicit-def: $vgpr28_vgpr29
	s_and_saveexec_b64 s[12:13], vcc
	s_cbranch_execz .LBB1133_75
; %bb.52:
	ds_read2_b32 v[28:29], v15 offset0:1 offset1:2
	v_cmp_ne_u32_e32 vcc, v10, v11
	v_add_u32_e32 v10, 2, v54
	v_mov_b32_e32 v27, 0
	v_cndmask_b32_e64 v42, 0, 1, vcc
	v_cmp_gt_u32_e32 vcc, s62, v10
	s_waitcnt lgkmcnt(0)
	v_mov_b32_e32 v26, v28
	s_mov_b64 s[16:17], 0
	v_pk_mov_b32 v[16:17], s[20:21], s[20:21] op_sel:[0,1]
	v_pk_mov_b32 v[18:19], s[20:21], s[20:21] op_sel:[0,1]
	;; [unrolled: 1-line block ×5, first 2 shown]
	v_mov_b32_e32 v47, v27
	v_mov_b32_e32 v53, v27
	;; [unrolled: 1-line block ×11, first 2 shown]
                                        ; implicit-def: $sgpr2_sgpr3
                                        ; implicit-def: $vgpr38_vgpr39
                                        ; implicit-def: $vgpr36_vgpr37
                                        ; implicit-def: $vgpr34_vgpr35
                                        ; implicit-def: $vgpr32_vgpr33
                                        ; implicit-def: $vgpr30_vgpr31
	s_and_saveexec_b64 s[14:15], vcc
	s_cbranch_execz .LBB1133_74
; %bb.53:
	v_cmp_ne_u32_e32 vcc, v11, v12
	v_add_u32_e32 v10, 3, v54
	s_mov_b32 s21, s20
	v_cndmask_b32_e64 v43, 0, 1, vcc
	v_cmp_gt_u32_e32 vcc, s62, v10
	s_mov_b64 s[18:19], 0
	s_mov_b32 s24, 0
	v_pk_mov_b32 v[16:17], s[20:21], s[20:21] op_sel:[0,1]
	v_mov_b32_e32 v47, 0
	v_pk_mov_b32 v[18:19], s[20:21], s[20:21] op_sel:[0,1]
	v_pk_mov_b32 v[20:21], s[20:21], s[20:21] op_sel:[0,1]
	;; [unrolled: 1-line block ×4, first 2 shown]
	v_mov_b32_e32 v53, 0
	v_mov_b32_e32 v52, 0
	;; [unrolled: 1-line block ×9, first 2 shown]
                                        ; implicit-def: $sgpr2_sgpr3
                                        ; implicit-def: $vgpr38_vgpr39
                                        ; implicit-def: $vgpr36_vgpr37
                                        ; implicit-def: $vgpr34_vgpr35
                                        ; implicit-def: $vgpr32_vgpr33
                                        ; implicit-def: $vgpr30_vgpr31
	s_and_saveexec_b64 s[16:17], vcc
	s_cbranch_execz .LBB1133_73
; %bb.54:
	ds_read2_b32 v[30:31], v15 offset0:3 offset1:4
	v_cmp_ne_u32_e32 vcc, v12, v13
	v_add_u32_e32 v10, 4, v54
	v_mov_b32_e32 v25, 0
	s_mov_b32 s25, s24
	v_cndmask_b32_e64 v44, 0, 1, vcc
	v_cmp_gt_u32_e32 vcc, s62, v10
	s_waitcnt lgkmcnt(0)
	v_mov_b32_e32 v24, v30
	s_mov_b64 s[20:21], 0
	v_pk_mov_b32 v[16:17], s[24:25], s[24:25] op_sel:[0,1]
	v_pk_mov_b32 v[18:19], s[24:25], s[24:25] op_sel:[0,1]
	;; [unrolled: 1-line block ×4, first 2 shown]
	v_mov_b32_e32 v47, v25
	v_mov_b32_e32 v53, v25
	;; [unrolled: 1-line block ×9, first 2 shown]
                                        ; implicit-def: $sgpr2_sgpr3
                                        ; implicit-def: $vgpr38_vgpr39
                                        ; implicit-def: $vgpr36_vgpr37
                                        ; implicit-def: $vgpr34_vgpr35
                                        ; implicit-def: $vgpr32_vgpr33
	s_and_saveexec_b64 s[18:19], vcc
	s_cbranch_execz .LBB1133_72
; %bb.55:
	v_cmp_ne_u32_e32 vcc, v13, v6
	v_add_u32_e32 v10, 5, v54
	v_cndmask_b32_e64 v45, 0, 1, vcc
	v_cmp_gt_u32_e32 vcc, s62, v10
	s_mov_b64 s[22:23], 0
	s_mov_b32 s28, 0
	v_pk_mov_b32 v[16:17], s[24:25], s[24:25] op_sel:[0,1]
	v_mov_b32_e32 v47, 0
	v_pk_mov_b32 v[18:19], s[24:25], s[24:25] op_sel:[0,1]
	v_pk_mov_b32 v[20:21], s[24:25], s[24:25] op_sel:[0,1]
	;; [unrolled: 1-line block ×3, first 2 shown]
	v_mov_b32_e32 v53, 0
	v_mov_b32_e32 v52, 0
	;; [unrolled: 1-line block ×7, first 2 shown]
                                        ; implicit-def: $sgpr2_sgpr3
                                        ; implicit-def: $vgpr38_vgpr39
                                        ; implicit-def: $vgpr36_vgpr37
                                        ; implicit-def: $vgpr34_vgpr35
                                        ; implicit-def: $vgpr32_vgpr33
	s_and_saveexec_b64 s[20:21], vcc
	s_cbranch_execz .LBB1133_71
; %bb.56:
	ds_read2_b32 v[32:33], v15 offset0:5 offset1:6
	v_cmp_ne_u32_e32 vcc, v6, v7
	v_add_u32_e32 v6, 6, v54
	v_mov_b32_e32 v23, 0
	s_mov_b32 s29, s28
	v_cndmask_b32_e64 v46, 0, 1, vcc
	v_cmp_gt_u32_e32 vcc, s62, v6
	s_waitcnt lgkmcnt(0)
	v_mov_b32_e32 v22, v32
	s_mov_b64 s[24:25], 0
	v_pk_mov_b32 v[16:17], s[28:29], s[28:29] op_sel:[0,1]
	v_pk_mov_b32 v[18:19], s[28:29], s[28:29] op_sel:[0,1]
	;; [unrolled: 1-line block ×3, first 2 shown]
	v_mov_b32_e32 v47, v23
	v_mov_b32_e32 v53, v23
	;; [unrolled: 1-line block ×7, first 2 shown]
                                        ; implicit-def: $sgpr2_sgpr3
                                        ; implicit-def: $vgpr38_vgpr39
                                        ; implicit-def: $vgpr36_vgpr37
                                        ; implicit-def: $vgpr34_vgpr35
	s_and_saveexec_b64 s[22:23], vcc
	s_cbranch_execz .LBB1133_70
; %bb.57:
	v_cmp_ne_u32_e32 vcc, v7, v8
	v_add_u32_e32 v6, 7, v54
	v_cndmask_b32_e64 v48, 0, 1, vcc
	v_cmp_gt_u32_e32 vcc, s62, v6
	s_mov_b64 s[26:27], 0
	s_mov_b32 s44, 0
	v_pk_mov_b32 v[16:17], s[28:29], s[28:29] op_sel:[0,1]
	v_mov_b32_e32 v47, 0
	v_pk_mov_b32 v[18:19], s[28:29], s[28:29] op_sel:[0,1]
	v_pk_mov_b32 v[20:21], s[28:29], s[28:29] op_sel:[0,1]
	v_mov_b32_e32 v53, 0
	v_mov_b32_e32 v52, 0
	;; [unrolled: 1-line block ×5, first 2 shown]
                                        ; implicit-def: $sgpr2_sgpr3
                                        ; implicit-def: $vgpr38_vgpr39
                                        ; implicit-def: $vgpr36_vgpr37
                                        ; implicit-def: $vgpr34_vgpr35
	s_and_saveexec_b64 s[24:25], vcc
	s_cbranch_execz .LBB1133_69
; %bb.58:
	ds_read2_b32 v[34:35], v15 offset0:7 offset1:8
	v_cmp_ne_u32_e32 vcc, v8, v9
	v_add_u32_e32 v6, 8, v54
	v_mov_b32_e32 v21, 0
	s_mov_b32 s45, s44
	v_cndmask_b32_e64 v49, 0, 1, vcc
	v_cmp_gt_u32_e32 vcc, s62, v6
	s_waitcnt lgkmcnt(0)
	v_mov_b32_e32 v20, v34
	s_mov_b64 s[28:29], 0
	v_pk_mov_b32 v[16:17], s[44:45], s[44:45] op_sel:[0,1]
	v_pk_mov_b32 v[18:19], s[44:45], s[44:45] op_sel:[0,1]
	v_mov_b32_e32 v47, v21
	v_mov_b32_e32 v53, v21
	;; [unrolled: 1-line block ×5, first 2 shown]
                                        ; implicit-def: $sgpr2_sgpr3
                                        ; implicit-def: $vgpr38_vgpr39
                                        ; implicit-def: $vgpr36_vgpr37
	s_and_saveexec_b64 s[26:27], vcc
	s_cbranch_execz .LBB1133_68
; %bb.59:
	v_cmp_ne_u32_e32 vcc, v9, v2
	v_add_u32_e32 v6, 9, v54
	v_cndmask_b32_e64 v50, 0, 1, vcc
	v_cmp_gt_u32_e32 vcc, s62, v6
	s_mov_b64 s[30:31], 0
	s_mov_b32 s60, 0
	v_pk_mov_b32 v[16:17], s[44:45], s[44:45] op_sel:[0,1]
	v_mov_b32_e32 v47, 0
	v_pk_mov_b32 v[18:19], s[44:45], s[44:45] op_sel:[0,1]
	v_mov_b32_e32 v53, 0
	v_mov_b32_e32 v52, 0
	;; [unrolled: 1-line block ×3, first 2 shown]
                                        ; implicit-def: $sgpr2_sgpr3
                                        ; implicit-def: $vgpr38_vgpr39
                                        ; implicit-def: $vgpr36_vgpr37
	s_and_saveexec_b64 s[28:29], vcc
	s_cbranch_execz .LBB1133_67
; %bb.60:
	ds_read2_b32 v[36:37], v15 offset0:9 offset1:10
	v_cmp_ne_u32_e32 vcc, v2, v3
	v_add_u32_e32 v2, 10, v54
	v_mov_b32_e32 v19, 0
	s_mov_b32 s61, s60
	v_cndmask_b32_e64 v51, 0, 1, vcc
	v_cmp_gt_u32_e32 vcc, s62, v2
	s_waitcnt lgkmcnt(0)
	v_mov_b32_e32 v18, v36
	s_mov_b64 s[44:45], 0
	v_pk_mov_b32 v[16:17], s[60:61], s[60:61] op_sel:[0,1]
	v_mov_b32_e32 v47, v19
	v_mov_b32_e32 v53, v19
	v_mov_b32_e32 v52, v19
                                        ; implicit-def: $sgpr2_sgpr3
                                        ; implicit-def: $vgpr38_vgpr39
	s_and_saveexec_b64 s[30:31], vcc
	s_cbranch_execz .LBB1133_66
; %bb.61:
	v_cmp_ne_u32_e32 vcc, v3, v4
	v_add_u32_e32 v2, 11, v54
	v_cndmask_b32_e64 v52, 0, 1, vcc
	v_cmp_gt_u32_e32 vcc, s62, v2
	s_mov_b64 s[58:59], 0
	v_pk_mov_b32 v[16:17], s[60:61], s[60:61] op_sel:[0,1]
	v_mov_b32_e32 v47, 0
	v_mov_b32_e32 v53, 0
                                        ; implicit-def: $sgpr60_sgpr61
                                        ; implicit-def: $vgpr38_vgpr39
	s_and_saveexec_b64 s[44:45], vcc
	s_cbranch_execz .LBB1133_65
; %bb.62:
	ds_read2_b32 v[38:39], v15 offset0:11 offset1:12
	v_cmp_ne_u32_e32 vcc, v4, v5
	v_add_u32_e32 v2, 12, v54
	v_mov_b32_e32 v17, 0
	v_cndmask_b32_e64 v53, 0, 1, vcc
	v_cmp_gt_u32_e32 vcc, s62, v2
	s_waitcnt lgkmcnt(0)
	v_mov_b32_e32 v16, v38
	s_mov_b64 s[2:3], 0
	v_mov_b32_e32 v47, v17
                                        ; implicit-def: $sgpr58_sgpr59
	s_and_saveexec_b64 s[60:61], vcc
	s_xor_b64 s[60:61], exec, s[60:61]
	s_cbranch_execz .LBB1133_64
; %bb.63:
	ds_read_b32 v15, v15 offset:52
	v_cmp_ne_u32_e64 s[2:3], v5, v40
	v_add_u32_e32 v2, 13, v54
	v_cmp_ne_u32_e32 vcc, v40, v41
	v_cndmask_b32_e64 v47, 0, 1, s[2:3]
	v_cmp_gt_u32_e64 s[2:3], s62, v2
	s_and_b64 s[58:59], vcc, exec
	s_and_b64 s[2:3], s[2:3], exec
	v_pk_mov_b32 v[16:17], v[38:39], v[38:39] op_sel:[0,1]
.LBB1133_64:
	s_or_b64 exec, exec, s[60:61]
	s_and_b64 s[60:61], s[58:59], exec
	s_and_b64 s[58:59], s[2:3], exec
.LBB1133_65:
	s_or_b64 exec, exec, s[44:45]
	s_and_b64 s[2:3], s[60:61], exec
	s_and_b64 s[44:45], s[58:59], exec
	v_pk_mov_b32 v[18:19], v[36:37], v[36:37] op_sel:[0,1]
.LBB1133_66:
	s_or_b64 exec, exec, s[30:31]
	s_and_b64 s[2:3], s[2:3], exec
	s_and_b64 s[30:31], s[44:45], exec
.LBB1133_67:
	s_or_b64 exec, exec, s[28:29]
	s_and_b64 s[2:3], s[2:3], exec
	s_and_b64 s[28:29], s[30:31], exec
	v_pk_mov_b32 v[20:21], v[34:35], v[34:35] op_sel:[0,1]
.LBB1133_68:
	s_or_b64 exec, exec, s[26:27]
	s_and_b64 s[2:3], s[2:3], exec
	s_and_b64 s[26:27], s[28:29], exec
.LBB1133_69:
	s_or_b64 exec, exec, s[24:25]
	s_and_b64 s[2:3], s[2:3], exec
	s_and_b64 s[24:25], s[26:27], exec
	v_pk_mov_b32 v[22:23], v[32:33], v[32:33] op_sel:[0,1]
.LBB1133_70:
	s_or_b64 exec, exec, s[22:23]
	s_and_b64 s[2:3], s[2:3], exec
	s_and_b64 s[22:23], s[24:25], exec
.LBB1133_71:
	s_or_b64 exec, exec, s[20:21]
	s_and_b64 s[2:3], s[2:3], exec
	s_and_b64 s[20:21], s[22:23], exec
	v_pk_mov_b32 v[24:25], v[30:31], v[30:31] op_sel:[0,1]
.LBB1133_72:
	s_or_b64 exec, exec, s[18:19]
	s_and_b64 s[2:3], s[2:3], exec
	s_and_b64 s[18:19], s[20:21], exec
.LBB1133_73:
	s_or_b64 exec, exec, s[16:17]
	s_and_b64 s[2:3], s[2:3], exec
	s_and_b64 s[16:17], s[18:19], exec
	v_pk_mov_b32 v[26:27], v[28:29], v[28:29] op_sel:[0,1]
.LBB1133_74:
	s_or_b64 exec, exec, s[14:15]
	s_and_b64 s[2:3], s[2:3], exec
	s_and_b64 s[14:15], s[16:17], exec
.LBB1133_75:
	s_or_b64 exec, exec, s[12:13]
	s_and_b64 s[2:3], s[2:3], exec
	s_and_b64 s[12:13], s[14:15], exec
.LBB1133_76:
	s_or_b64 exec, exec, s[10:11]
	s_mov_b32 s5, 0
	s_and_b64 vcc, exec, s[8:9]
	v_lshlrev_b32_e32 v40, 2, v0
	s_cbranch_vccnz .LBB1133_78
	s_branch .LBB1133_86
.LBB1133_77:
                                        ; implicit-def: $sgpr2_sgpr3
                                        ; implicit-def: $vgpr38_vgpr39
                                        ; implicit-def: $vgpr36_vgpr37
                                        ; implicit-def: $vgpr34_vgpr35
                                        ; implicit-def: $vgpr32_vgpr33
                                        ; implicit-def: $vgpr30_vgpr31
                                        ; implicit-def: $vgpr28_vgpr29
                                        ; implicit-def: $vgpr15
                                        ; implicit-def: $vgpr1
                                        ; implicit-def: $vgpr47
                                        ; implicit-def: $vgpr53
                                        ; implicit-def: $vgpr42
                                        ; implicit-def: $vgpr52
                                        ; implicit-def: $vgpr51
                                        ; implicit-def: $vgpr43
                                        ; implicit-def: $vgpr50
                                        ; implicit-def: $vgpr49
                                        ; implicit-def: $vgpr44
                                        ; implicit-def: $vgpr48
                                        ; implicit-def: $vgpr46
                                        ; implicit-def: $vgpr45
                                        ; implicit-def: $vgpr16_vgpr17
                                        ; implicit-def: $vgpr18_vgpr19
                                        ; implicit-def: $vgpr20_vgpr21
                                        ; implicit-def: $vgpr22_vgpr23
                                        ; implicit-def: $vgpr24_vgpr25
                                        ; implicit-def: $vgpr26_vgpr27
                                        ; implicit-def: $sgpr5
                                        ; implicit-def: $sgpr4
	s_and_b64 vcc, exec, s[8:9]
	v_lshlrev_b32_e32 v40, 2, v0
	s_cbranch_vccz .LBB1133_86
.LBB1133_78:
	v_mov_b32_e32 v1, s39
	v_add_co_u32_e32 v2, vcc, s38, v40
	v_addc_co_u32_e32 v3, vcc, 0, v1, vcc
	v_add_co_u32_e32 v4, vcc, 0x1000, v2
	v_addc_co_u32_e32 v5, vcc, 0, v3, vcc
	flat_load_dword v6, v[2:3]
	flat_load_dword v7, v[2:3] offset:1024
	flat_load_dword v8, v[2:3] offset:2048
	;; [unrolled: 1-line block ×3, first 2 shown]
	flat_load_dword v10, v[4:5]
	flat_load_dword v11, v[4:5] offset:1024
	flat_load_dword v12, v[4:5] offset:2048
	;; [unrolled: 1-line block ×3, first 2 shown]
	v_add_co_u32_e32 v4, vcc, 0x2000, v2
	v_addc_co_u32_e32 v5, vcc, 0, v3, vcc
	v_add_co_u32_e32 v2, vcc, 0x3000, v2
	v_addc_co_u32_e32 v3, vcc, 0, v3, vcc
	s_waitcnt lgkmcnt(0)
	flat_load_dword v14, v[4:5]
	flat_load_dword v15, v[4:5] offset:1024
	flat_load_dword v16, v[4:5] offset:2048
	;; [unrolled: 1-line block ×3, first 2 shown]
	flat_load_dword v18, v[2:3]
	flat_load_dword v19, v[2:3] offset:1024
	v_mad_u32_u24 v1, v0, 52, v40
	s_cmp_eq_u64 s[48:49], 0
	s_waitcnt vmcnt(0)
	ds_write2st64_b32 v40, v6, v7 offset1:4
	ds_write2st64_b32 v40, v8, v9 offset0:8 offset1:12
	ds_write2st64_b32 v40, v10, v11 offset0:16 offset1:20
	;; [unrolled: 1-line block ×3, first 2 shown]
	s_waitcnt lgkmcnt(0)
	ds_write2st64_b32 v40, v14, v15 offset0:32 offset1:36
	ds_write2st64_b32 v40, v16, v17 offset0:40 offset1:44
	;; [unrolled: 1-line block ×3, first 2 shown]
	s_waitcnt lgkmcnt(0)
	s_barrier
	ds_read2_b64 v[2:5], v1 offset1:1
	ds_read2_b64 v[6:9], v1 offset0:2 offset1:3
	ds_read2_b64 v[10:13], v1 offset0:4 offset1:5
	ds_read_b64 v[14:15], v1 offset:48
	s_cbranch_scc1 .LBB1133_83
; %bb.79:
	s_andn2_b64 vcc, exec, s[40:41]
	s_cbranch_vccnz .LBB1133_226
; %bb.80:
	s_lshl_b64 s[2:3], s[48:49], 2
	s_add_u32 s2, s50, s2
	s_addc_u32 s3, s51, s3
	s_add_u32 s2, s2, -4
	s_addc_u32 s3, s3, -1
	s_cbranch_execnz .LBB1133_82
.LBB1133_81:
	s_add_u32 s2, s38, -4
	s_addc_u32 s3, s39, -1
.LBB1133_82:
	s_mov_b64 s[38:39], s[2:3]
.LBB1133_83:
	v_pk_mov_b32 v[16:17], s[38:39], s[38:39] op_sel:[0,1]
	flat_load_dword v16, v[16:17]
	s_movk_i32 s2, 0xffcc
	v_mad_i32_i24 v17, v0, s2, v1
	v_cmp_ne_u32_e32 vcc, 0, v0
	s_waitcnt lgkmcnt(0)
	ds_write_b32 v17, v15 offset:14336
	s_waitcnt lgkmcnt(0)
	s_barrier
	s_and_saveexec_b64 s[2:3], vcc
	s_cbranch_execz .LBB1133_85
; %bb.84:
	s_waitcnt vmcnt(0)
	v_mul_i32_i24_e32 v16, 0xffffffcc, v0
	v_add_u32_e32 v16, v1, v16
	ds_read_b32 v16, v16 offset:14332
.LBB1133_85:
	s_or_b64 exec, exec, s[2:3]
	v_mov_b32_e32 v17, s55
	v_add_co_u32_e32 v18, vcc, s7, v40
	v_addc_co_u32_e32 v19, vcc, 0, v17, vcc
	s_movk_i32 s2, 0x1000
	v_add_co_u32_e32 v20, vcc, s2, v18
	v_addc_co_u32_e32 v21, vcc, 0, v19, vcc
	s_movk_i32 s2, 0x2000
	s_waitcnt lgkmcnt(0)
	s_barrier
	flat_load_dword v17, v[18:19]
	flat_load_dword v22, v[18:19] offset:1024
	flat_load_dword v23, v[18:19] offset:2048
	;; [unrolled: 1-line block ×3, first 2 shown]
	flat_load_dword v25, v[20:21]
	flat_load_dword v26, v[20:21] offset:1024
	flat_load_dword v27, v[20:21] offset:2048
	;; [unrolled: 1-line block ×3, first 2 shown]
	v_add_co_u32_e32 v20, vcc, s2, v18
	v_addc_co_u32_e32 v21, vcc, 0, v19, vcc
	s_movk_i32 s2, 0x3000
	v_add_co_u32_e32 v18, vcc, s2, v18
	v_addc_co_u32_e32 v19, vcc, 0, v19, vcc
	flat_load_dword v29, v[20:21]
	flat_load_dword v30, v[20:21] offset:1024
	flat_load_dword v31, v[20:21] offset:2048
	;; [unrolled: 1-line block ×3, first 2 shown]
	flat_load_dword v33, v[18:19]
	flat_load_dword v34, v[18:19] offset:1024
	v_cmp_ne_u32_e32 vcc, v13, v14
	v_cndmask_b32_e64 v47, 0, 1, vcc
	v_cmp_ne_u32_e32 vcc, v12, v13
	v_cndmask_b32_e64 v53, 0, 1, vcc
	;; [unrolled: 2-line block ×3, first 2 shown]
	v_cmp_ne_u32_e32 vcc, v10, v11
	v_cmp_ne_u32_e64 s[2:3], v14, v15
	v_cndmask_b32_e64 v51, 0, 1, vcc
	v_cmp_ne_u32_e32 vcc, v9, v10
	v_cndmask_b32_e64 v50, 0, 1, vcc
	v_cmp_ne_u32_e32 vcc, v8, v9
	;; [unrolled: 2-line block ×8, first 2 shown]
	v_cndmask_b32_e64 v42, 0, 1, vcc
	s_waitcnt vmcnt(0)
	v_cmp_ne_u32_e32 vcc, v16, v2
	s_mov_b64 s[12:13], -1
                                        ; implicit-def: $vgpr18_vgpr19
                                        ; implicit-def: $vgpr20_vgpr21
                                        ; implicit-def: $sgpr5
                                        ; implicit-def: $sgpr4
	s_waitcnt lgkmcnt(0)
	ds_write2st64_b32 v40, v17, v22 offset1:4
	ds_write2st64_b32 v40, v23, v24 offset0:8 offset1:12
	ds_write2st64_b32 v40, v25, v26 offset0:16 offset1:20
	;; [unrolled: 1-line block ×6, first 2 shown]
	s_waitcnt lgkmcnt(0)
	s_barrier
	ds_read2_b32 v[14:15], v1 offset1:13
	ds_read2_b32 v[28:29], v1 offset0:1 offset1:2
	ds_read2_b32 v[30:31], v1 offset0:3 offset1:4
	;; [unrolled: 1-line block ×6, first 2 shown]
	v_cndmask_b32_e64 v1, 0, 1, vcc
                                        ; implicit-def: $vgpr16_vgpr17
                                        ; implicit-def: $vgpr22_vgpr23
                                        ; implicit-def: $vgpr24_vgpr25
                                        ; implicit-def: $vgpr26_vgpr27
.LBB1133_86:
	v_mov_b32_e32 v54, s4
	v_mov_b32_e32 v41, s5
	s_and_saveexec_b64 s[4:5], s[12:13]
	s_cbranch_execz .LBB1133_88
; %bb.87:
	v_cndmask_b32_e64 v54, 0, 1, s[2:3]
	s_waitcnt lgkmcnt(0)
	v_mov_b32_e32 v41, v15
	v_pk_mov_b32 v[26:27], v[28:29], v[28:29] op_sel:[0,1]
	v_pk_mov_b32 v[24:25], v[30:31], v[30:31] op_sel:[0,1]
	;; [unrolled: 1-line block ×6, first 2 shown]
.LBB1133_88:
	s_or_b64 exec, exec, s[4:5]
	v_or_b32_e32 v2, v54, v47
	s_cmp_lg_u32 s6, 0
	s_waitcnt lgkmcnt(1)
	v_or_b32_e32 v36, v2, v53
	s_waitcnt lgkmcnt(0)
	v_mbcnt_lo_u32_b32 v15, -1, 0
	s_barrier
	s_cbranch_scc0 .LBB1133_151
; %bb.89:
	v_mov_b32_e32 v2, 0
	v_add_f32_e32 v3, v26, v14
	v_cmp_eq_u16_sdwa s[2:3], v42, v2 src0_sel:BYTE_0 src1_sel:DWORD
	v_cndmask_b32_e64 v3, v26, v3, s[2:3]
	v_add_f32_e32 v3, v27, v3
	v_cmp_eq_u16_sdwa s[4:5], v43, v2 src0_sel:BYTE_0 src1_sel:DWORD
	v_cndmask_b32_e64 v3, v27, v3, s[4:5]
	v_add_f32_e32 v3, v24, v3
	v_cmp_eq_u16_sdwa s[30:31], v44, v2 src0_sel:BYTE_0 src1_sel:DWORD
	v_cndmask_b32_e64 v3, v24, v3, s[30:31]
	v_add_f32_e32 v3, v25, v3
	v_cmp_eq_u16_sdwa s[8:9], v45, v2 src0_sel:BYTE_0 src1_sel:DWORD
	v_cndmask_b32_e64 v3, v25, v3, s[8:9]
	v_add_f32_e32 v3, v22, v3
	v_cmp_eq_u16_sdwa s[10:11], v46, v2 src0_sel:BYTE_0 src1_sel:DWORD
	v_cndmask_b32_e64 v3, v22, v3, s[10:11]
	v_add_f32_e32 v3, v23, v3
	v_cmp_eq_u16_sdwa s[12:13], v48, v2 src0_sel:BYTE_0 src1_sel:DWORD
	v_cndmask_b32_e64 v3, v23, v3, s[12:13]
	v_add_f32_e32 v3, v20, v3
	v_cmp_eq_u16_sdwa s[14:15], v49, v2 src0_sel:BYTE_0 src1_sel:DWORD
	v_cndmask_b32_e64 v3, v20, v3, s[14:15]
	v_add_f32_e32 v3, v21, v3
	v_cmp_eq_u16_sdwa s[16:17], v50, v2 src0_sel:BYTE_0 src1_sel:DWORD
	v_cmp_eq_u16_sdwa s[18:19], v51, v2 src0_sel:BYTE_0 src1_sel:DWORD
	;; [unrolled: 1-line block ×6, first 2 shown]
	v_or_b32_e32 v2, v36, v52
	v_cndmask_b32_e64 v3, v21, v3, s[16:17]
	v_or_b32_e32 v2, v2, v51
	v_add_f32_e32 v3, v18, v3
	v_or_b32_e32 v2, v2, v50
	v_cndmask_b32_e64 v3, v18, v3, s[18:19]
	v_or_b32_e32 v2, v2, v49
	v_add_f32_e32 v3, v19, v3
	;; [unrolled: 4-line block ×5, first 2 shown]
	v_and_b32_e32 v2, 1, v2
	v_cndmask_b32_e64 v4, v41, v3, s[26:27]
	v_and_b32_e32 v3, 0xff, v1
	v_cmp_eq_u32_e32 vcc, 1, v2
	v_mbcnt_hi_u32_b32 v11, -1, v15
	v_cndmask_b32_e64 v5, v3, 1, vcc
	v_and_b32_e32 v2, 15, v11
	v_mov_b32_dpp v6, v4 row_shr:1 row_mask:0xf bank_mask:0xf
	v_mov_b32_dpp v3, v5 row_shr:1 row_mask:0xf bank_mask:0xf
	v_cmp_ne_u32_e32 vcc, 0, v2
	s_and_saveexec_b64 s[28:29], vcc
; %bb.90:
	v_add_f32_e32 v6, v4, v6
	v_cmp_eq_u32_e32 vcc, 0, v5
	v_and_b32_e32 v5, 1, v5
	v_cndmask_b32_e32 v4, v4, v6, vcc
	v_and_b32_e32 v3, 1, v3
	v_cmp_eq_u32_e32 vcc, 1, v5
	v_cndmask_b32_e64 v5, v3, 1, vcc
; %bb.91:
	s_or_b64 exec, exec, s[28:29]
	v_mov_b32_dpp v6, v4 row_shr:2 row_mask:0xf bank_mask:0xf
	v_mov_b32_dpp v3, v5 row_shr:2 row_mask:0xf bank_mask:0xf
	v_cmp_lt_u32_e32 vcc, 1, v2
	s_and_saveexec_b64 s[28:29], vcc
; %bb.92:
	v_add_f32_e32 v6, v4, v6
	v_cmp_eq_u32_e32 vcc, 0, v5
	v_and_b32_e32 v5, 1, v5
	v_cndmask_b32_e32 v4, v4, v6, vcc
	v_and_b32_e32 v3, 1, v3
	v_cmp_eq_u32_e32 vcc, 1, v5
	v_cndmask_b32_e64 v5, v3, 1, vcc
; %bb.93:
	s_or_b64 exec, exec, s[28:29]
	v_mov_b32_dpp v6, v4 row_shr:4 row_mask:0xf bank_mask:0xf
	v_mov_b32_dpp v3, v5 row_shr:4 row_mask:0xf bank_mask:0xf
	v_cmp_lt_u32_e32 vcc, 3, v2
	;; [unrolled: 14-line block ×3, first 2 shown]
	s_and_saveexec_b64 s[28:29], vcc
; %bb.96:
	v_add_f32_e32 v2, v4, v6
	v_cmp_eq_u32_e32 vcc, 0, v5
	v_cndmask_b32_e32 v4, v4, v2, vcc
	v_and_b32_e32 v2, 1, v5
	v_and_b32_e32 v3, 1, v3
	v_cmp_eq_u32_e32 vcc, 1, v2
	v_cndmask_b32_e64 v5, v3, 1, vcc
; %bb.97:
	s_or_b64 exec, exec, s[28:29]
	v_and_b32_e32 v6, 16, v11
	v_mov_b32_dpp v3, v4 row_bcast:15 row_mask:0xf bank_mask:0xf
	v_mov_b32_dpp v2, v5 row_bcast:15 row_mask:0xf bank_mask:0xf
	v_cmp_ne_u32_e32 vcc, 0, v6
	s_and_saveexec_b64 s[28:29], vcc
; %bb.98:
	v_add_f32_e32 v3, v4, v3
	v_cmp_eq_u32_e32 vcc, 0, v5
	v_cndmask_b32_e32 v4, v4, v3, vcc
	v_and_b32_e32 v3, 1, v5
	v_and_b32_e32 v2, 1, v2
	v_cmp_eq_u32_e32 vcc, 1, v3
	v_cndmask_b32_e64 v5, v2, 1, vcc
; %bb.99:
	s_or_b64 exec, exec, s[28:29]
	v_mov_b32_dpp v3, v4 row_bcast:31 row_mask:0xf bank_mask:0xf
	v_mov_b32_dpp v2, v5 row_bcast:31 row_mask:0xf bank_mask:0xf
	v_cmp_lt_u32_e32 vcc, 31, v11
	s_and_saveexec_b64 s[28:29], vcc
; %bb.100:
	v_add_f32_e32 v3, v4, v3
	v_cmp_eq_u32_e32 vcc, 0, v5
	v_cndmask_b32_e32 v4, v4, v3, vcc
	v_and_b32_e32 v3, 1, v5
	v_and_b32_e32 v2, 1, v2
	v_cmp_eq_u32_e32 vcc, 1, v3
	v_cndmask_b32_e64 v5, v2, 1, vcc
; %bb.101:
	s_or_b64 exec, exec, s[28:29]
	v_or_b32_e32 v2, 63, v0
	v_lshrrev_b32_e32 v6, 6, v0
	v_cmp_eq_u32_e32 vcc, v2, v0
	s_and_saveexec_b64 s[28:29], vcc
	s_cbranch_execz .LBB1133_103
; %bb.102:
	v_lshlrev_b32_e32 v2, 3, v6
	ds_write_b32 v2, v4
	ds_write_b8 v2, v5 offset:4
.LBB1133_103:
	s_or_b64 exec, exec, s[28:29]
	v_cmp_gt_u32_e32 vcc, 4, v0
	s_waitcnt lgkmcnt(0)
	s_barrier
	s_and_saveexec_b64 s[28:29], vcc
	s_cbranch_execz .LBB1133_107
; %bb.104:
	v_lshlrev_b32_e32 v7, 3, v0
	ds_read_b64 v[2:3], v7
	v_and_b32_e32 v8, 3, v11
	v_cmp_ne_u32_e32 vcc, 0, v8
	s_waitcnt lgkmcnt(0)
	v_mov_b32_dpp v12, v2 row_shr:1 row_mask:0xf bank_mask:0xf
	v_mov_b32_dpp v10, v3 row_shr:1 row_mask:0xf bank_mask:0xf
	v_mov_b32_e32 v9, v3
	s_and_saveexec_b64 s[38:39], vcc
; %bb.105:
	v_mov_b32_e32 v9, 0
	v_add_f32_e32 v12, v2, v12
	v_cmp_eq_u16_sdwa vcc, v3, v9 src0_sel:BYTE_0 src1_sel:DWORD
	v_and_b32_e32 v9, 1, v3
	v_cndmask_b32_e32 v2, v2, v12, vcc
	v_and_b32_e32 v10, 1, v10
	v_cmp_eq_u32_e32 vcc, 1, v9
	v_cndmask_b32_e64 v9, v10, 1, vcc
	s_movk_i32 s7, 0xff00
	v_and_or_b32 v3, v3, s7, v9
; %bb.106:
	s_or_b64 exec, exec, s[38:39]
	v_mov_b32_e32 v13, 0
	v_mov_b32_dpp v12, v3 row_shr:2 row_mask:0xf bank_mask:0xf
	v_cmp_eq_u16_sdwa s[38:39], v9, v13 src0_sel:BYTE_0 src1_sel:DWORD
	v_and_b32_e32 v9, 1, v9
	v_and_b32_e32 v12, 1, v12
	v_cmp_eq_u32_e32 vcc, 1, v9
	v_mov_b32_dpp v10, v2 row_shr:2 row_mask:0xf bank_mask:0xf
	v_cndmask_b32_e64 v9, v12, 1, vcc
	v_cmp_lt_u32_e32 vcc, 1, v8
	v_add_f32_e32 v10, v2, v10
	v_cndmask_b32_e32 v3, v3, v9, vcc
	s_and_b64 vcc, vcc, s[38:39]
	v_cndmask_b32_e32 v2, v2, v10, vcc
	ds_write_b32 v7, v2
	ds_write_b8 v7, v3 offset:4
.LBB1133_107:
	s_or_b64 exec, exec, s[28:29]
	v_cmp_gt_u32_e32 vcc, 64, v0
	v_cmp_lt_u32_e64 s[28:29], 63, v0
	v_mov_b32_e32 v28, 0
	v_mov_b32_e32 v29, 0
	s_waitcnt lgkmcnt(0)
	s_barrier
	s_and_saveexec_b64 s[38:39], s[28:29]
	s_cbranch_execz .LBB1133_109
; %bb.108:
	v_lshl_add_u32 v2, v6, 3, -8
	ds_read_b32 v28, v2
	ds_read_u8 v29, v2 offset:4
	v_and_b32_e32 v2, 1, v5
	v_cmp_eq_u32_e64 s[28:29], 0, v5
	s_waitcnt lgkmcnt(1)
	v_add_f32_e32 v3, v4, v28
	s_waitcnt lgkmcnt(0)
	v_and_b32_e32 v6, 1, v29
	v_cndmask_b32_e64 v4, v4, v3, s[28:29]
	v_cmp_eq_u32_e64 s[28:29], 1, v2
	v_cndmask_b32_e64 v5, v6, 1, s[28:29]
.LBB1133_109:
	s_or_b64 exec, exec, s[38:39]
	v_add_u32_e32 v2, -1, v11
	v_and_b32_e32 v3, 64, v11
	v_cmp_lt_i32_e64 s[28:29], v2, v3
	v_cndmask_b32_e64 v2, v2, v11, s[28:29]
	v_lshlrev_b32_e32 v2, 2, v2
	ds_bpermute_b32 v30, v2, v4
	ds_bpermute_b32 v31, v2, v5
	v_cmp_eq_u32_e64 s[28:29], 0, v11
	s_and_saveexec_b64 s[38:39], vcc
	s_cbranch_execz .LBB1133_150
; %bb.110:
	v_mov_b32_e32 v5, 0
	ds_read_b64 v[2:3], v5 offset:24
	s_waitcnt lgkmcnt(0)
	v_readfirstlane_b32 s7, v3
	s_and_saveexec_b64 s[40:41], s[28:29]
	s_cbranch_execz .LBB1133_112
; %bb.111:
	s_add_i32 s44, s6, 64
	s_mov_b32 s45, 0
	s_lshl_b64 s[48:49], s[44:45], 4
	s_add_u32 s48, s52, s48
	s_addc_u32 s49, s53, s49
	s_and_b32 s51, s7, 0xff000000
	s_mov_b32 s50, s45
	s_and_b32 s59, s7, 0xff0000
	s_mov_b32 s58, s45
	s_or_b64 s[50:51], s[58:59], s[50:51]
	s_and_b32 s59, s7, 0xff00
	s_or_b64 s[50:51], s[50:51], s[58:59]
	s_and_b32 s59, s7, 0xff
	s_or_b64 s[44:45], s[50:51], s[58:59]
	v_mov_b32_e32 v3, s45
	v_mov_b32_e32 v4, 1
	v_pk_mov_b32 v[6:7], s[48:49], s[48:49] op_sel:[0,1]
	;;#ASMSTART
	global_store_dwordx4 v[6:7], v[2:5] off	
s_waitcnt vmcnt(0)
	;;#ASMEND
.LBB1133_112:
	s_or_b64 exec, exec, s[40:41]
	v_xad_u32 v10, v11, -1, s6
	v_add_u32_e32 v4, 64, v10
	v_lshlrev_b64 v[6:7], 4, v[4:5]
	v_mov_b32_e32 v3, s53
	v_add_co_u32_e32 v12, vcc, s52, v6
	v_addc_co_u32_e32 v13, vcc, v3, v7, vcc
	;;#ASMSTART
	global_load_dwordx4 v[6:9], v[12:13] off glc	
s_waitcnt vmcnt(0)
	;;#ASMEND
	v_cmp_eq_u16_sdwa s[44:45], v8, v5 src0_sel:BYTE_0 src1_sel:DWORD
	s_and_saveexec_b64 s[40:41], s[44:45]
	s_cbranch_execz .LBB1133_116
; %bb.113:
	s_mov_b64 s[44:45], 0
	v_mov_b32_e32 v3, 0
.LBB1133_114:                           ; =>This Inner Loop Header: Depth=1
	;;#ASMSTART
	global_load_dwordx4 v[6:9], v[12:13] off glc	
s_waitcnt vmcnt(0)
	;;#ASMEND
	v_cmp_ne_u16_sdwa s[48:49], v8, v3 src0_sel:BYTE_0 src1_sel:DWORD
	s_or_b64 s[44:45], s[48:49], s[44:45]
	s_andn2_b64 exec, exec, s[44:45]
	s_cbranch_execnz .LBB1133_114
; %bb.115:
	s_or_b64 exec, exec, s[44:45]
.LBB1133_116:
	s_or_b64 exec, exec, s[40:41]
	v_mov_b32_e32 v3, 2
	v_cmp_eq_u16_sdwa s[40:41], v8, v3 src0_sel:BYTE_0 src1_sel:DWORD
	v_lshlrev_b64 v[4:5], v11, -1
	v_and_b32_e32 v3, s41, v5
	v_or_b32_e32 v3, 0x80000000, v3
	v_ffbl_b32_e32 v34, v3
	v_and_b32_e32 v3, 63, v11
	v_cmp_ne_u32_e32 vcc, 63, v3
	v_addc_co_u32_e32 v13, vcc, 0, v11, vcc
	v_and_b32_e32 v12, 0xff, v7
	v_lshlrev_b32_e32 v32, 2, v13
	ds_bpermute_b32 v33, v32, v6
	ds_bpermute_b32 v13, v32, v12
	v_and_b32_e32 v9, s40, v4
	v_add_u32_e32 v34, 32, v34
	v_ffbl_b32_e32 v9, v9
	v_min_u32_e32 v9, v9, v34
	v_cmp_lt_u32_e32 vcc, v3, v9
	s_and_saveexec_b64 s[40:41], vcc
	s_cbranch_execz .LBB1133_118
; %bb.117:
	v_mov_b32_e32 v12, 0
	s_waitcnt lgkmcnt(1)
	v_add_f32_e32 v33, v6, v33
	v_cmp_eq_u16_sdwa vcc, v7, v12 src0_sel:BYTE_0 src1_sel:DWORD
	v_and_b32_e32 v7, 1, v7
	v_cndmask_b32_e32 v6, v6, v33, vcc
	s_waitcnt lgkmcnt(0)
	v_and_b32_e32 v12, 1, v13
	v_cmp_eq_u32_e32 vcc, 1, v7
	v_cndmask_b32_e64 v7, v12, 1, vcc
	v_and_b32_e32 v12, 0xffff, v7
.LBB1133_118:
	s_or_b64 exec, exec, s[40:41]
	v_cmp_gt_u32_e32 vcc, 62, v3
	s_waitcnt lgkmcnt(0)
	v_cndmask_b32_e64 v13, 0, 1, vcc
	v_lshlrev_b32_e32 v13, 1, v13
	v_add_lshl_u32 v33, v13, v11, 2
	ds_bpermute_b32 v35, v33, v6
	ds_bpermute_b32 v13, v33, v12
	v_add_u32_e32 v34, 2, v3
	v_cmp_le_u32_e32 vcc, v34, v9
	s_and_saveexec_b64 s[40:41], vcc
	s_cbranch_execz .LBB1133_120
; %bb.119:
	v_mov_b32_e32 v12, 0
	s_waitcnt lgkmcnt(1)
	v_add_f32_e32 v35, v6, v35
	v_cmp_eq_u16_sdwa vcc, v7, v12 src0_sel:BYTE_0 src1_sel:DWORD
	v_and_b32_e32 v7, 1, v7
	v_cndmask_b32_e32 v6, v6, v35, vcc
	s_waitcnt lgkmcnt(0)
	v_and_b32_e32 v12, 1, v13
	v_cmp_eq_u32_e32 vcc, 1, v7
	v_cndmask_b32_e64 v7, v12, 1, vcc
	v_and_b32_e32 v12, 0xffff, v7
.LBB1133_120:
	s_or_b64 exec, exec, s[40:41]
	v_cmp_gt_u32_e32 vcc, 60, v3
	s_waitcnt lgkmcnt(0)
	v_cndmask_b32_e64 v13, 0, 1, vcc
	v_lshlrev_b32_e32 v13, 2, v13
	v_add_lshl_u32 v35, v13, v11, 2
	ds_bpermute_b32 v38, v35, v6
	ds_bpermute_b32 v13, v35, v12
	v_add_u32_e32 v37, 4, v3
	v_cmp_le_u32_e32 vcc, v37, v9
	s_and_saveexec_b64 s[40:41], vcc
	s_cbranch_execz .LBB1133_122
; %bb.121:
	v_mov_b32_e32 v12, 0
	s_waitcnt lgkmcnt(1)
	v_add_f32_e32 v38, v6, v38
	v_cmp_eq_u16_sdwa vcc, v7, v12 src0_sel:BYTE_0 src1_sel:DWORD
	v_and_b32_e32 v7, 1, v7
	v_cndmask_b32_e32 v6, v6, v38, vcc
	s_waitcnt lgkmcnt(0)
	v_and_b32_e32 v12, 1, v13
	v_cmp_eq_u32_e32 vcc, 1, v7
	v_cndmask_b32_e64 v7, v12, 1, vcc
	v_and_b32_e32 v12, 0xffff, v7
.LBB1133_122:
	s_or_b64 exec, exec, s[40:41]
	v_cmp_gt_u32_e32 vcc, 56, v3
	s_waitcnt lgkmcnt(0)
	v_cndmask_b32_e64 v13, 0, 1, vcc
	v_lshlrev_b32_e32 v13, 3, v13
	v_add_lshl_u32 v38, v13, v11, 2
	ds_bpermute_b32 v55, v38, v6
	ds_bpermute_b32 v13, v38, v12
	v_add_u32_e32 v39, 8, v3
	v_cmp_le_u32_e32 vcc, v39, v9
	s_and_saveexec_b64 s[40:41], vcc
	s_cbranch_execz .LBB1133_124
; %bb.123:
	v_mov_b32_e32 v12, 0
	s_waitcnt lgkmcnt(1)
	v_add_f32_e32 v55, v6, v55
	v_cmp_eq_u16_sdwa vcc, v7, v12 src0_sel:BYTE_0 src1_sel:DWORD
	v_and_b32_e32 v7, 1, v7
	v_cndmask_b32_e32 v6, v6, v55, vcc
	s_waitcnt lgkmcnt(0)
	v_and_b32_e32 v12, 1, v13
	v_cmp_eq_u32_e32 vcc, 1, v7
	v_cndmask_b32_e64 v7, v12, 1, vcc
	v_and_b32_e32 v12, 0xffff, v7
.LBB1133_124:
	s_or_b64 exec, exec, s[40:41]
	v_cmp_gt_u32_e32 vcc, 48, v3
	s_waitcnt lgkmcnt(0)
	v_cndmask_b32_e64 v13, 0, 1, vcc
	v_lshlrev_b32_e32 v13, 4, v13
	v_add_lshl_u32 v55, v13, v11, 2
	ds_bpermute_b32 v57, v55, v6
	ds_bpermute_b32 v13, v55, v12
	v_add_u32_e32 v56, 16, v3
	v_cmp_le_u32_e32 vcc, v56, v9
	s_and_saveexec_b64 s[40:41], vcc
	s_cbranch_execz .LBB1133_126
; %bb.125:
	v_mov_b32_e32 v12, 0
	s_waitcnt lgkmcnt(1)
	v_add_f32_e32 v57, v6, v57
	v_cmp_eq_u16_sdwa vcc, v7, v12 src0_sel:BYTE_0 src1_sel:DWORD
	v_and_b32_e32 v7, 1, v7
	v_cndmask_b32_e32 v6, v6, v57, vcc
	s_waitcnt lgkmcnt(0)
	v_and_b32_e32 v12, 1, v13
	v_cmp_eq_u32_e32 vcc, 1, v7
	v_cndmask_b32_e64 v7, v12, 1, vcc
	v_and_b32_e32 v12, 0xffff, v7
.LBB1133_126:
	s_or_b64 exec, exec, s[40:41]
	v_cmp_gt_u32_e32 vcc, 32, v3
	s_waitcnt lgkmcnt(0)
	v_cndmask_b32_e64 v13, 0, 1, vcc
	v_lshlrev_b32_e32 v13, 5, v13
	v_add_lshl_u32 v58, v13, v11, 2
	ds_bpermute_b32 v13, v58, v6
	ds_bpermute_b32 v11, v58, v12
	v_add_u32_e32 v60, 32, v3
	v_cmp_le_u32_e32 vcc, v60, v9
	s_and_saveexec_b64 s[40:41], vcc
	s_cbranch_execz .LBB1133_128
; %bb.127:
	v_mov_b32_e32 v9, 0
	s_waitcnt lgkmcnt(1)
	v_add_f32_e32 v12, v6, v13
	v_cmp_eq_u16_sdwa vcc, v7, v9 src0_sel:BYTE_0 src1_sel:DWORD
	v_and_b32_e32 v7, 1, v7
	v_cndmask_b32_e32 v6, v6, v12, vcc
	s_waitcnt lgkmcnt(0)
	v_and_b32_e32 v9, 1, v11
	v_cmp_eq_u32_e32 vcc, 1, v7
	v_cndmask_b32_e64 v7, v9, 1, vcc
.LBB1133_128:
	s_or_b64 exec, exec, s[40:41]
	s_waitcnt lgkmcnt(0)
	v_mov_b32_e32 v11, 0
	v_mov_b32_e32 v61, 2
	s_branch .LBB1133_130
.LBB1133_129:                           ;   in Loop: Header=BB1133_130 Depth=1
	s_or_b64 exec, exec, s[40:41]
	s_waitcnt lgkmcnt(0)
	ds_bpermute_b32 v13, v58, v6
	ds_bpermute_b32 v12, v58, v12
	v_and_b32_e32 v62, 1, v7
	v_cmp_eq_u16_sdwa vcc, v7, v11 src0_sel:BYTE_0 src1_sel:DWORD
	v_subrev_u32_e32 v10, 64, v10
	s_waitcnt lgkmcnt(1)
	v_add_f32_e32 v13, v6, v13
	v_cndmask_b32_e32 v13, v6, v13, vcc
	v_cmp_eq_u32_e32 vcc, 1, v62
	s_waitcnt lgkmcnt(0)
	v_cndmask_b32_e64 v12, v12, 1, vcc
	v_cmp_gt_u32_e32 vcc, v60, v9
	v_cndmask_b32_e32 v6, v13, v6, vcc
	v_cndmask_b32_e32 v7, v12, v7, vcc
	v_add_f32_e32 v6, v59, v6
	v_cmp_eq_u16_sdwa vcc, v57, v11 src0_sel:BYTE_0 src1_sel:DWORD
	v_and_b32_e32 v9, 1, v57
	v_cndmask_b32_e32 v6, v59, v6, vcc
	v_and_b32_e32 v7, 1, v7
	v_cmp_eq_u32_e32 vcc, 1, v9
	v_cndmask_b32_e64 v7, v7, 1, vcc
.LBB1133_130:                           ; =>This Loop Header: Depth=1
                                        ;     Child Loop BB1133_133 Depth 2
	v_cmp_ne_u16_sdwa s[40:41], v8, v61 src0_sel:BYTE_0 src1_sel:DWORD
	v_mov_b32_e32 v57, v7
	v_cndmask_b32_e64 v7, 0, 1, s[40:41]
	;;#ASMSTART
	;;#ASMEND
	v_cmp_ne_u32_e32 vcc, 0, v7
	s_cmp_lg_u64 vcc, exec
	v_mov_b32_e32 v59, v6
	s_cbranch_scc1 .LBB1133_145
; %bb.131:                              ;   in Loop: Header=BB1133_130 Depth=1
	v_lshlrev_b64 v[6:7], 4, v[10:11]
	v_mov_b32_e32 v8, s53
	v_add_co_u32_e32 v12, vcc, s52, v6
	v_addc_co_u32_e32 v13, vcc, v8, v7, vcc
	;;#ASMSTART
	global_load_dwordx4 v[6:9], v[12:13] off glc	
s_waitcnt vmcnt(0)
	;;#ASMEND
	v_cmp_eq_u16_sdwa s[44:45], v8, v11 src0_sel:BYTE_0 src1_sel:DWORD
	s_and_saveexec_b64 s[40:41], s[44:45]
	s_cbranch_execz .LBB1133_135
; %bb.132:                              ;   in Loop: Header=BB1133_130 Depth=1
	s_mov_b64 s[44:45], 0
.LBB1133_133:                           ;   Parent Loop BB1133_130 Depth=1
                                        ; =>  This Inner Loop Header: Depth=2
	;;#ASMSTART
	global_load_dwordx4 v[6:9], v[12:13] off glc	
s_waitcnt vmcnt(0)
	;;#ASMEND
	v_cmp_ne_u16_sdwa s[48:49], v8, v11 src0_sel:BYTE_0 src1_sel:DWORD
	s_or_b64 s[44:45], s[48:49], s[44:45]
	s_andn2_b64 exec, exec, s[44:45]
	s_cbranch_execnz .LBB1133_133
; %bb.134:                              ;   in Loop: Header=BB1133_130 Depth=1
	s_or_b64 exec, exec, s[44:45]
.LBB1133_135:                           ;   in Loop: Header=BB1133_130 Depth=1
	s_or_b64 exec, exec, s[40:41]
	v_cmp_eq_u16_sdwa s[40:41], v8, v61 src0_sel:BYTE_0 src1_sel:DWORD
	v_and_b32_e32 v9, s41, v5
	v_and_b32_e32 v12, 0xff, v7
	v_or_b32_e32 v9, 0x80000000, v9
	ds_bpermute_b32 v62, v32, v6
	ds_bpermute_b32 v13, v32, v12
	v_and_b32_e32 v63, s40, v4
	v_ffbl_b32_e32 v9, v9
	v_add_u32_e32 v9, 32, v9
	v_ffbl_b32_e32 v63, v63
	v_min_u32_e32 v9, v63, v9
	v_cmp_lt_u32_e32 vcc, v3, v9
	s_and_saveexec_b64 s[40:41], vcc
	s_cbranch_execz .LBB1133_137
; %bb.136:                              ;   in Loop: Header=BB1133_130 Depth=1
	s_waitcnt lgkmcnt(1)
	v_add_f32_e32 v12, v6, v62
	v_cmp_eq_u16_sdwa vcc, v7, v11 src0_sel:BYTE_0 src1_sel:DWORD
	v_and_b32_e32 v7, 1, v7
	v_cndmask_b32_e32 v6, v6, v12, vcc
	s_waitcnt lgkmcnt(0)
	v_and_b32_e32 v12, 1, v13
	v_cmp_eq_u32_e32 vcc, 1, v7
	v_cndmask_b32_e64 v7, v12, 1, vcc
	v_and_b32_e32 v12, 0xffff, v7
.LBB1133_137:                           ;   in Loop: Header=BB1133_130 Depth=1
	s_or_b64 exec, exec, s[40:41]
	s_waitcnt lgkmcnt(1)
	ds_bpermute_b32 v62, v33, v6
	s_waitcnt lgkmcnt(1)
	ds_bpermute_b32 v13, v33, v12
	v_cmp_le_u32_e32 vcc, v34, v9
	s_and_saveexec_b64 s[40:41], vcc
	s_cbranch_execz .LBB1133_139
; %bb.138:                              ;   in Loop: Header=BB1133_130 Depth=1
	s_waitcnt lgkmcnt(1)
	v_add_f32_e32 v12, v6, v62
	v_cmp_eq_u16_sdwa vcc, v7, v11 src0_sel:BYTE_0 src1_sel:DWORD
	v_and_b32_e32 v7, 1, v7
	v_cndmask_b32_e32 v6, v6, v12, vcc
	s_waitcnt lgkmcnt(0)
	v_and_b32_e32 v12, 1, v13
	v_cmp_eq_u32_e32 vcc, 1, v7
	v_cndmask_b32_e64 v7, v12, 1, vcc
	v_and_b32_e32 v12, 0xffff, v7
.LBB1133_139:                           ;   in Loop: Header=BB1133_130 Depth=1
	s_or_b64 exec, exec, s[40:41]
	s_waitcnt lgkmcnt(1)
	ds_bpermute_b32 v62, v35, v6
	s_waitcnt lgkmcnt(1)
	ds_bpermute_b32 v13, v35, v12
	v_cmp_le_u32_e32 vcc, v37, v9
	;; [unrolled: 20-line block ×4, first 2 shown]
	s_and_saveexec_b64 s[40:41], vcc
	s_cbranch_execz .LBB1133_129
; %bb.144:                              ;   in Loop: Header=BB1133_130 Depth=1
	s_waitcnt lgkmcnt(1)
	v_add_f32_e32 v12, v6, v62
	v_cmp_eq_u16_sdwa vcc, v7, v11 src0_sel:BYTE_0 src1_sel:DWORD
	v_and_b32_e32 v7, 1, v7
	v_cndmask_b32_e32 v6, v6, v12, vcc
	s_waitcnt lgkmcnt(0)
	v_and_b32_e32 v12, 1, v13
	v_cmp_eq_u32_e32 vcc, 1, v7
	v_cndmask_b32_e64 v7, v12, 1, vcc
	v_and_b32_e32 v12, 0xffff, v7
	s_branch .LBB1133_129
.LBB1133_145:                           ;   in Loop: Header=BB1133_130 Depth=1
                                        ; implicit-def: $vgpr7
	s_cbranch_execz .LBB1133_130
; %bb.146:
	s_and_saveexec_b64 s[40:41], s[28:29]
	s_cbranch_execz .LBB1133_148
; %bb.147:
	s_and_b32 s44, s7, 0xff
	s_cmp_eq_u32 s44, 0
	s_cselect_b64 vcc, -1, 0
	s_bitcmp1_b32 s7, 0
	s_mov_b32 s45, 0
	s_cselect_b64 s[48:49], -1, 0
	s_add_i32 s44, s6, 64
	s_lshl_b64 s[6:7], s[44:45], 4
	v_add_f32_e32 v3, v59, v2
	s_add_u32 s6, s52, s6
	v_cndmask_b32_e32 v2, v2, v3, vcc
	v_and_b32_e32 v3, 1, v57
	s_addc_u32 s7, s53, s7
	v_cndmask_b32_e64 v3, v3, 1, s[48:49]
	v_mov_b32_e32 v4, 2
	v_mov_b32_e32 v5, 0
	v_pk_mov_b32 v[6:7], s[6:7], s[6:7] op_sel:[0,1]
	;;#ASMSTART
	global_store_dwordx4 v[6:7], v[2:5] off	
s_waitcnt vmcnt(0)
	;;#ASMEND
.LBB1133_148:
	s_or_b64 exec, exec, s[40:41]
	v_cmp_eq_u32_e32 vcc, 0, v0
	s_and_b64 exec, exec, vcc
	s_cbranch_execz .LBB1133_150
; %bb.149:
	v_mov_b32_e32 v2, 0
	ds_write_b32 v2, v59 offset:24
	ds_write_b8 v2, v57 offset:28
.LBB1133_150:
	s_or_b64 exec, exec, s[38:39]
	v_mov_b32_e32 v4, 0
	s_waitcnt lgkmcnt(0)
	v_cndmask_b32_e64 v2, v31, v29, s[28:29]
	s_barrier
	ds_read_b32 v5, v4 offset:24
	v_and_b32_e32 v6, 1, v1
	v_cndmask_b32_e64 v3, v30, v28, s[28:29]
	v_and_b32_e32 v2, 1, v2
	v_cmp_eq_u32_e32 vcc, 1, v6
	v_cndmask_b32_e64 v2, v2, 1, vcc
	v_add_f32_e32 v3, v14, v3
	v_cmp_eq_u16_sdwa vcc, v1, v4 src0_sel:BYTE_0 src1_sel:DWORD
	v_cndmask_b32_e32 v3, v14, v3, vcc
	v_cmp_eq_u32_e32 vcc, 0, v0
	v_cndmask_b32_e32 v2, v2, v1, vcc
	v_cndmask_b32_e32 v3, v3, v14, vcc
	s_waitcnt lgkmcnt(0)
	v_add_f32_e32 v5, v3, v5
	v_cmp_eq_u16_sdwa vcc, v2, v4 src0_sel:BYTE_0 src1_sel:DWORD
	v_cndmask_b32_e32 v2, v3, v5, vcc
	v_add_f32_e32 v3, v26, v2
	v_cndmask_b32_e64 v3, v26, v3, s[2:3]
	v_add_f32_e32 v4, v27, v3
	v_cndmask_b32_e64 v28, v27, v4, s[4:5]
	;; [unrolled: 2-line block ×13, first 2 shown]
	s_branch .LBB1133_179
.LBB1133_151:
                                        ; implicit-def: $vgpr35
                                        ; implicit-def: $vgpr33
                                        ; implicit-def: $vgpr31
                                        ; implicit-def: $vgpr29
                                        ; implicit-def: $vgpr10_vgpr11_vgpr12_vgpr13
                                        ; implicit-def: $vgpr6_vgpr7_vgpr8_vgpr9
                                        ; implicit-def: $vgpr2_vgpr3_vgpr4_vgpr5
	s_cbranch_execz .LBB1133_179
; %bb.152:
	s_cmp_lg_u64 s[56:57], 0
	s_cselect_b32 s5, s47, 0
	s_cselect_b32 s4, s46, 0
	s_cmp_lg_u64 s[4:5], 0
	s_cselect_b64 s[6:7], -1, 0
	v_cmp_eq_u32_e32 vcc, 0, v0
	v_cmp_ne_u32_e64 s[2:3], 0, v0
	s_and_b64 s[8:9], vcc, s[6:7]
	s_and_saveexec_b64 s[6:7], s[8:9]
	s_cbranch_execz .LBB1133_154
; %bb.153:
	v_mov_b32_e32 v2, 0
	global_load_dword v3, v2, s[4:5]
	global_load_ubyte v4, v2, s[4:5] offset:4
	v_and_b32_e32 v5, 1, v1
	v_cmp_eq_u16_sdwa s[4:5], v1, v2 src0_sel:BYTE_0 src1_sel:DWORD
	s_waitcnt vmcnt(1)
	v_add_f32_e32 v3, v14, v3
	s_waitcnt vmcnt(0)
	v_and_b32_e32 v4, 1, v4
	v_cndmask_b32_e64 v14, v14, v3, s[4:5]
	v_cmp_eq_u32_e64 s[4:5], 1, v5
	v_cndmask_b32_e64 v1, v4, 1, s[4:5]
.LBB1133_154:
	s_or_b64 exec, exec, s[6:7]
	v_mov_b32_e32 v2, 0
	v_add_f32_e32 v3, v26, v14
	v_cmp_eq_u16_sdwa s[4:5], v42, v2 src0_sel:BYTE_0 src1_sel:DWORD
	v_cndmask_b32_e64 v3, v26, v3, s[4:5]
	v_add_f32_e32 v4, v27, v3
	v_cmp_eq_u16_sdwa s[6:7], v43, v2 src0_sel:BYTE_0 src1_sel:DWORD
	v_cndmask_b32_e64 v28, v27, v4, s[6:7]
	;; [unrolled: 3-line block ×7, first 2 shown]
	v_add_f32_e32 v4, v21, v31
	v_cmp_eq_u16_sdwa s[18:19], v50, v2 src0_sel:BYTE_0 src1_sel:DWORD
	v_cmp_eq_u16_sdwa s[20:21], v51, v2 src0_sel:BYTE_0 src1_sel:DWORD
	v_cmp_eq_u16_sdwa s[22:23], v52, v2 src0_sel:BYTE_0 src1_sel:DWORD
	v_cmp_eq_u16_sdwa s[24:25], v53, v2 src0_sel:BYTE_0 src1_sel:DWORD
	v_cmp_eq_u16_sdwa s[26:27], v47, v2 src0_sel:BYTE_0 src1_sel:DWORD
	v_cmp_eq_u16_sdwa s[28:29], v54, v2 src0_sel:BYTE_0 src1_sel:DWORD
	v_or_b32_e32 v2, v36, v52
	v_cndmask_b32_e64 v10, v21, v4, s[18:19]
	v_or_b32_e32 v2, v2, v51
	v_add_f32_e32 v4, v18, v10
	v_or_b32_e32 v2, v2, v50
	v_cndmask_b32_e64 v11, v18, v4, s[20:21]
	v_or_b32_e32 v2, v2, v49
	v_add_f32_e32 v4, v19, v11
	;; [unrolled: 4-line block ×5, first 2 shown]
	v_and_b32_e32 v2, 1, v2
	v_cndmask_b32_e64 v35, v41, v4, s[28:29]
	v_and_b32_e32 v4, 0xff, v1
	v_cmp_eq_u32_e64 s[30:31], 1, v2
	v_mbcnt_hi_u32_b32 v2, -1, v15
	v_cndmask_b32_e64 v9, v4, 1, s[30:31]
	v_and_b32_e32 v5, 15, v2
	v_mov_b32_dpp v13, v35 row_shr:1 row_mask:0xf bank_mask:0xf
	v_mov_b32_dpp v12, v9 row_shr:1 row_mask:0xf bank_mask:0xf
	v_cmp_ne_u32_e64 s[30:31], 0, v5
	v_mov_b32_e32 v8, v35
	v_mov_b32_e32 v4, v35
	s_and_saveexec_b64 s[38:39], s[30:31]
; %bb.155:
	v_add_f32_e32 v4, v35, v13
	v_cmp_eq_u32_e64 s[30:31], 0, v9
	v_cndmask_b32_e64 v8, v35, v4, s[30:31]
	v_and_b32_e32 v4, 1, v9
	v_and_b32_e32 v9, 1, v12
	v_cmp_eq_u32_e64 s[30:31], 1, v4
	v_cndmask_b32_e64 v9, v9, 1, s[30:31]
	v_mov_b32_e32 v4, v8
; %bb.156:
	s_or_b64 exec, exec, s[38:39]
	s_nop 0
	v_mov_b32_dpp v13, v4 row_shr:2 row_mask:0xf bank_mask:0xf
	v_mov_b32_dpp v12, v9 row_shr:2 row_mask:0xf bank_mask:0xf
	v_cmp_lt_u32_e64 s[30:31], 1, v5
	s_and_saveexec_b64 s[38:39], s[30:31]
; %bb.157:
	v_add_f32_e32 v4, v8, v13
	v_cmp_eq_u32_e64 s[30:31], 0, v9
	v_cndmask_b32_e64 v4, v8, v4, s[30:31]
	v_and_b32_e32 v8, 1, v9
	v_and_b32_e32 v9, 1, v12
	v_cmp_eq_u32_e64 s[30:31], 1, v8
	v_cndmask_b32_e64 v9, v9, 1, s[30:31]
	v_mov_b32_e32 v8, v4
; %bb.158:
	s_or_b64 exec, exec, s[38:39]
	v_mov_b32_dpp v13, v4 row_shr:4 row_mask:0xf bank_mask:0xf
	v_mov_b32_dpp v12, v9 row_shr:4 row_mask:0xf bank_mask:0xf
	v_cmp_lt_u32_e64 s[30:31], 3, v5
	s_and_saveexec_b64 s[38:39], s[30:31]
; %bb.159:
	v_add_f32_e32 v4, v8, v13
	v_cmp_eq_u32_e64 s[30:31], 0, v9
	v_cndmask_b32_e64 v4, v8, v4, s[30:31]
	v_and_b32_e32 v8, 1, v9
	v_and_b32_e32 v9, 1, v12
	v_cmp_eq_u32_e64 s[30:31], 1, v8
	v_cndmask_b32_e64 v9, v9, 1, s[30:31]
	v_mov_b32_e32 v8, v4
; %bb.160:
	s_or_b64 exec, exec, s[38:39]
	v_mov_b32_dpp v13, v4 row_shr:8 row_mask:0xf bank_mask:0xf
	v_mov_b32_dpp v12, v9 row_shr:8 row_mask:0xf bank_mask:0xf
	v_cmp_lt_u32_e64 s[30:31], 7, v5
	s_and_saveexec_b64 s[38:39], s[30:31]
; %bb.161:
	v_add_f32_e32 v4, v8, v13
	v_cmp_eq_u32_e64 s[30:31], 0, v9
	v_and_b32_e32 v5, 1, v9
	v_cndmask_b32_e64 v4, v8, v4, s[30:31]
	v_and_b32_e32 v8, 1, v12
	v_cmp_eq_u32_e64 s[30:31], 1, v5
	v_cndmask_b32_e64 v9, v8, 1, s[30:31]
	v_mov_b32_e32 v8, v4
; %bb.162:
	s_or_b64 exec, exec, s[38:39]
	v_and_b32_e32 v13, 16, v2
	v_mov_b32_dpp v12, v4 row_bcast:15 row_mask:0xf bank_mask:0xf
	v_mov_b32_dpp v5, v9 row_bcast:15 row_mask:0xf bank_mask:0xf
	v_cmp_ne_u32_e64 s[30:31], 0, v13
	s_and_saveexec_b64 s[38:39], s[30:31]
; %bb.163:
	v_add_f32_e32 v4, v8, v12
	v_cmp_eq_u32_e64 s[30:31], 0, v9
	v_cndmask_b32_e64 v8, v8, v4, s[30:31]
	v_and_b32_e32 v4, 1, v9
	v_and_b32_e32 v5, 1, v5
	v_cmp_eq_u32_e64 s[30:31], 1, v4
	v_cndmask_b32_e64 v9, v5, 1, s[30:31]
	v_mov_b32_e32 v4, v8
; %bb.164:
	s_or_b64 exec, exec, s[38:39]
	s_nop 0
	v_mov_b32_dpp v12, v4 row_bcast:31 row_mask:0xf bank_mask:0xf
	v_mov_b32_dpp v5, v9 row_bcast:31 row_mask:0xf bank_mask:0xf
	v_cmp_lt_u32_e64 s[30:31], 31, v2
	s_and_saveexec_b64 s[38:39], s[30:31]
; %bb.165:
	v_add_f32_e32 v4, v8, v12
	v_cmp_eq_u32_e64 s[30:31], 0, v9
	v_cndmask_b32_e64 v8, v8, v4, s[30:31]
	v_and_b32_e32 v4, 1, v9
	v_and_b32_e32 v5, 1, v5
	v_cmp_eq_u32_e64 s[30:31], 1, v4
	v_cndmask_b32_e64 v9, v5, 1, s[30:31]
	v_mov_b32_e32 v4, v8
; %bb.166:
	s_or_b64 exec, exec, s[38:39]
	v_or_b32_e32 v5, 63, v0
	v_lshrrev_b32_e32 v12, 6, v0
	v_cmp_eq_u32_e64 s[30:31], v5, v0
	s_and_saveexec_b64 s[38:39], s[30:31]
	s_cbranch_execz .LBB1133_168
; %bb.167:
	v_lshlrev_b32_e32 v5, 3, v12
	ds_write_b32 v5, v4
	ds_write_b8 v5, v9 offset:4
.LBB1133_168:
	s_or_b64 exec, exec, s[38:39]
	v_cmp_gt_u32_e64 s[30:31], 4, v0
	s_waitcnt lgkmcnt(0)
	s_barrier
	s_and_saveexec_b64 s[38:39], s[30:31]
	s_cbranch_execz .LBB1133_172
; %bb.169:
	v_lshlrev_b32_e32 v13, 3, v0
	ds_read_b64 v[4:5], v13
	v_and_b32_e32 v15, 3, v2
	v_cmp_ne_u32_e64 s[30:31], 0, v15
	s_waitcnt lgkmcnt(0)
	v_mov_b32_dpp v38, v4 row_shr:1 row_mask:0xf bank_mask:0xf
	v_mov_b32_dpp v37, v5 row_shr:1 row_mask:0xf bank_mask:0xf
	v_mov_b32_e32 v36, v5
	s_and_saveexec_b64 s[40:41], s[30:31]
; %bb.170:
	v_mov_b32_e32 v36, 0
	v_add_f32_e32 v38, v4, v38
	v_cmp_eq_u16_sdwa s[30:31], v5, v36 src0_sel:BYTE_0 src1_sel:DWORD
	v_and_b32_e32 v36, 1, v5
	v_cndmask_b32_e64 v4, v4, v38, s[30:31]
	v_and_b32_e32 v37, 1, v37
	v_cmp_eq_u32_e64 s[30:31], 1, v36
	v_cndmask_b32_e64 v36, v37, 1, s[30:31]
	s_movk_i32 s30, 0xff00
	v_and_or_b32 v5, v5, s30, v36
; %bb.171:
	s_or_b64 exec, exec, s[40:41]
	v_mov_b32_e32 v39, 0
	v_mov_b32_dpp v38, v5 row_shr:2 row_mask:0xf bank_mask:0xf
	v_cmp_eq_u16_sdwa s[40:41], v36, v39 src0_sel:BYTE_0 src1_sel:DWORD
	v_and_b32_e32 v36, 1, v36
	v_and_b32_e32 v38, 1, v38
	v_cmp_eq_u32_e64 s[30:31], 1, v36
	v_mov_b32_dpp v37, v4 row_shr:2 row_mask:0xf bank_mask:0xf
	v_cndmask_b32_e64 v36, v38, 1, s[30:31]
	v_cmp_lt_u32_e64 s[30:31], 1, v15
	v_add_f32_e32 v37, v4, v37
	v_cndmask_b32_e64 v5, v5, v36, s[30:31]
	s_and_b64 s[30:31], s[30:31], s[40:41]
	v_cndmask_b32_e64 v4, v4, v37, s[30:31]
	ds_write_b32 v13, v4
	ds_write_b8 v13, v5 offset:4
.LBB1133_172:
	s_or_b64 exec, exec, s[38:39]
	v_cmp_lt_u32_e64 s[30:31], 63, v0
	v_mov_b32_e32 v4, 0
	s_waitcnt lgkmcnt(0)
	s_barrier
	s_and_saveexec_b64 s[38:39], s[30:31]
	s_cbranch_execz .LBB1133_174
; %bb.173:
	v_lshl_add_u32 v4, v12, 3, -8
	ds_read_b32 v4, v4
	v_cmp_eq_u32_e64 s[30:31], 0, v9
	s_waitcnt lgkmcnt(0)
	v_add_f32_e32 v5, v8, v4
	v_cndmask_b32_e64 v8, v8, v5, s[30:31]
.LBB1133_174:
	s_or_b64 exec, exec, s[38:39]
	v_add_u32_e32 v5, -1, v2
	v_and_b32_e32 v9, 64, v2
	v_cmp_lt_i32_e64 s[30:31], v5, v9
	v_cndmask_b32_e64 v5, v5, v2, s[30:31]
	v_lshlrev_b32_e32 v5, 2, v5
	ds_bpermute_b32 v5, v5, v8
	s_and_saveexec_b64 s[30:31], s[2:3]
	s_cbranch_execz .LBB1133_176
; %bb.175:
	v_cmp_eq_u32_e64 s[2:3], 0, v2
	s_waitcnt lgkmcnt(0)
	v_cndmask_b32_e64 v2, v5, v4, s[2:3]
	v_mov_b32_e32 v3, 0
	v_add_f32_e32 v2, v14, v2
	v_cmp_eq_u16_sdwa s[2:3], v1, v3 src0_sel:BYTE_0 src1_sel:DWORD
	v_cndmask_b32_e64 v14, v14, v2, s[2:3]
	v_add_f32_e32 v1, v26, v14
	v_cndmask_b32_e64 v3, v26, v1, s[4:5]
	v_add_f32_e32 v1, v27, v3
	;; [unrolled: 2-line block ×13, first 2 shown]
	v_cndmask_b32_e64 v35, v41, v1, s[28:29]
	;;#ASMSTART
	;;#ASMEND
.LBB1133_176:
	s_or_b64 exec, exec, s[30:31]
	s_and_saveexec_b64 s[2:3], vcc
	s_cbranch_execz .LBB1133_178
; %bb.177:
	v_mov_b32_e32 v19, 0
	ds_read_b32 v16, v19 offset:24
	ds_read_u8 v17, v19 offset:28
	s_add_u32 s4, s52, 0x400
	s_addc_u32 s5, s53, 0
	v_mov_b32_e32 v18, 2
	s_waitcnt lgkmcnt(2)
	v_pk_mov_b32 v[4:5], s[4:5], s[4:5] op_sel:[0,1]
	s_waitcnt lgkmcnt(0)
	;;#ASMSTART
	global_store_dwordx4 v[4:5], v[16:19] off	
s_waitcnt vmcnt(0)
	;;#ASMEND
.LBB1133_178:
	s_or_b64 exec, exec, s[2:3]
	v_mov_b32_e32 v2, v14
.LBB1133_179:
	s_add_u32 s2, s42, s34
	s_addc_u32 s3, s43, s35
	s_add_u32 s4, s2, s36
	v_mul_u32_u24_e32 v1, 14, v0
	s_addc_u32 s5, s3, s37
	s_and_b64 vcc, exec, s[0:1]
	v_lshlrev_b32_e32 v4, 2, v1
	s_cbranch_vccz .LBB1133_207
; %bb.180:
	s_movk_i32 s0, 0xffcc
	s_waitcnt lgkmcnt(0)
	v_mad_i32_i24 v5, v0, s0, v4
	s_barrier
	ds_write2_b64 v4, v[2:3], v[28:29] offset1:1
	ds_write2_b64 v4, v[6:7], v[30:31] offset0:2 offset1:3
	ds_write2_b64 v4, v[10:11], v[32:33] offset0:4 offset1:5
	ds_write_b64 v4, v[34:35] offset:48
	s_waitcnt lgkmcnt(0)
	s_barrier
	ds_read2st64_b32 v[22:23], v5 offset0:4 offset1:8
	ds_read2st64_b32 v[20:21], v5 offset0:12 offset1:16
	;; [unrolled: 1-line block ×6, first 2 shown]
	ds_read_b32 v5, v5 offset:13312
	v_mov_b32_e32 v13, s5
	v_add_co_u32_e32 v12, vcc, s4, v40
	s_add_i32 s33, s33, s54
	v_addc_co_u32_e32 v13, vcc, 0, v13, vcc
	v_mov_b32_e32 v1, 0
	v_cmp_gt_u32_e32 vcc, s33, v0
	s_and_saveexec_b64 s[0:1], vcc
	s_cbranch_execz .LBB1133_182
; %bb.181:
	v_mul_i32_i24_e32 v24, 0xffffffcc, v0
	v_add_u32_e32 v24, v4, v24
	ds_read_b32 v24, v24
	s_waitcnt lgkmcnt(0)
	flat_store_dword v[12:13], v24
.LBB1133_182:
	s_or_b64 exec, exec, s[0:1]
	v_or_b32_e32 v24, 0x100, v0
	v_cmp_gt_u32_e32 vcc, s33, v24
	s_and_saveexec_b64 s[0:1], vcc
	s_cbranch_execz .LBB1133_184
; %bb.183:
	s_waitcnt lgkmcnt(0)
	flat_store_dword v[12:13], v22 offset:1024
.LBB1133_184:
	s_or_b64 exec, exec, s[0:1]
	s_waitcnt lgkmcnt(0)
	v_or_b32_e32 v22, 0x200, v0
	v_cmp_gt_u32_e32 vcc, s33, v22
	s_and_saveexec_b64 s[0:1], vcc
	s_cbranch_execz .LBB1133_186
; %bb.185:
	flat_store_dword v[12:13], v23 offset:2048
.LBB1133_186:
	s_or_b64 exec, exec, s[0:1]
	v_or_b32_e32 v22, 0x300, v0
	v_cmp_gt_u32_e32 vcc, s33, v22
	s_and_saveexec_b64 s[0:1], vcc
	s_cbranch_execz .LBB1133_188
; %bb.187:
	flat_store_dword v[12:13], v20 offset:3072
.LBB1133_188:
	s_or_b64 exec, exec, s[0:1]
	v_or_b32_e32 v20, 0x400, v0
	v_cmp_gt_u32_e32 vcc, s33, v20
	s_and_saveexec_b64 s[0:1], vcc
	s_cbranch_execz .LBB1133_190
; %bb.189:
	v_add_co_u32_e32 v22, vcc, 0x1000, v12
	v_addc_co_u32_e32 v23, vcc, 0, v13, vcc
	flat_store_dword v[22:23], v21
.LBB1133_190:
	s_or_b64 exec, exec, s[0:1]
	v_or_b32_e32 v20, 0x500, v0
	v_cmp_gt_u32_e32 vcc, s33, v20
	s_and_saveexec_b64 s[0:1], vcc
	s_cbranch_execz .LBB1133_192
; %bb.191:
	v_add_co_u32_e32 v20, vcc, 0x1000, v12
	v_addc_co_u32_e32 v21, vcc, 0, v13, vcc
	flat_store_dword v[20:21], v18 offset:1024
.LBB1133_192:
	s_or_b64 exec, exec, s[0:1]
	v_or_b32_e32 v18, 0x600, v0
	v_cmp_gt_u32_e32 vcc, s33, v18
	s_and_saveexec_b64 s[0:1], vcc
	s_cbranch_execz .LBB1133_194
; %bb.193:
	v_add_co_u32_e32 v20, vcc, 0x1000, v12
	v_addc_co_u32_e32 v21, vcc, 0, v13, vcc
	flat_store_dword v[20:21], v19 offset:2048
.LBB1133_194:
	;; [unrolled: 10-line block ×3, first 2 shown]
	s_or_b64 exec, exec, s[0:1]
	v_or_b32_e32 v16, 0x800, v0
	v_cmp_gt_u32_e32 vcc, s33, v16
	s_and_saveexec_b64 s[0:1], vcc
	s_cbranch_execz .LBB1133_198
; %bb.197:
	v_add_co_u32_e32 v18, vcc, 0x2000, v12
	v_addc_co_u32_e32 v19, vcc, 0, v13, vcc
	flat_store_dword v[18:19], v17
.LBB1133_198:
	s_or_b64 exec, exec, s[0:1]
	v_or_b32_e32 v16, 0x900, v0
	v_cmp_gt_u32_e32 vcc, s33, v16
	s_and_saveexec_b64 s[0:1], vcc
	s_cbranch_execz .LBB1133_200
; %bb.199:
	v_add_co_u32_e32 v16, vcc, 0x2000, v12
	v_addc_co_u32_e32 v17, vcc, 0, v13, vcc
	flat_store_dword v[16:17], v14 offset:1024
.LBB1133_200:
	s_or_b64 exec, exec, s[0:1]
	v_or_b32_e32 v14, 0xa00, v0
	v_cmp_gt_u32_e32 vcc, s33, v14
	s_and_saveexec_b64 s[0:1], vcc
	s_cbranch_execz .LBB1133_202
; %bb.201:
	v_add_co_u32_e32 v16, vcc, 0x2000, v12
	v_addc_co_u32_e32 v17, vcc, 0, v13, vcc
	flat_store_dword v[16:17], v15 offset:2048
.LBB1133_202:
	;; [unrolled: 10-line block ×3, first 2 shown]
	s_or_b64 exec, exec, s[0:1]
	v_or_b32_e32 v8, 0xc00, v0
	v_cmp_gt_u32_e32 vcc, s33, v8
	s_and_saveexec_b64 s[0:1], vcc
	s_cbranch_execz .LBB1133_206
; %bb.205:
	v_add_co_u32_e32 v12, vcc, 0x3000, v12
	v_addc_co_u32_e32 v13, vcc, 0, v13, vcc
	flat_store_dword v[12:13], v9
.LBB1133_206:
	s_or_b64 exec, exec, s[0:1]
	v_or_b32_e32 v8, 0xd00, v0
	v_cmp_gt_u32_e64 s[0:1], s33, v8
	s_branch .LBB1133_209
.LBB1133_207:
	s_mov_b64 s[0:1], 0
                                        ; implicit-def: $vgpr5
	s_cbranch_execz .LBB1133_209
; %bb.208:
	s_movk_i32 s2, 0xffcc
	s_waitcnt lgkmcnt(0)
	s_barrier
	ds_write2_b64 v4, v[2:3], v[28:29] offset1:1
	ds_write2_b64 v4, v[6:7], v[30:31] offset0:2 offset1:3
	ds_write2_b64 v4, v[10:11], v[32:33] offset0:4 offset1:5
	ds_write_b64 v4, v[34:35] offset:48
	v_mad_i32_i24 v4, v0, s2, v4
	v_mov_b32_e32 v17, s5
	v_add_co_u32_e32 v16, vcc, s4, v40
	s_waitcnt lgkmcnt(0)
	s_barrier
	ds_read2st64_b32 v[2:3], v4 offset1:4
	ds_read2st64_b32 v[6:7], v4 offset0:8 offset1:12
	ds_read2st64_b32 v[8:9], v4 offset0:16 offset1:20
	;; [unrolled: 1-line block ×6, first 2 shown]
	v_addc_co_u32_e32 v17, vcc, 0, v17, vcc
	s_movk_i32 s2, 0x1000
	s_waitcnt lgkmcnt(0)
	flat_store_dword v[16:17], v2
	flat_store_dword v[16:17], v3 offset:1024
	flat_store_dword v[16:17], v6 offset:2048
	;; [unrolled: 1-line block ×3, first 2 shown]
	v_add_co_u32_e32 v2, vcc, s2, v16
	v_addc_co_u32_e32 v3, vcc, 0, v17, vcc
	flat_store_dword v[2:3], v8
	flat_store_dword v[2:3], v9 offset:1024
	flat_store_dword v[2:3], v10 offset:2048
	flat_store_dword v[2:3], v11 offset:3072
	v_add_co_u32_e32 v2, vcc, 0x2000, v16
	v_addc_co_u32_e32 v3, vcc, 0, v17, vcc
	flat_store_dword v[2:3], v12
	flat_store_dword v[2:3], v13 offset:1024
	flat_store_dword v[2:3], v14 offset:2048
	;; [unrolled: 1-line block ×3, first 2 shown]
	v_add_co_u32_e32 v2, vcc, 0x3000, v16
	v_mov_b32_e32 v1, 0
	v_addc_co_u32_e32 v3, vcc, 0, v17, vcc
	s_or_b64 s[0:1], s[0:1], exec
	flat_store_dword v[2:3], v4
.LBB1133_209:
	s_and_saveexec_b64 s[2:3], s[0:1]
	s_cbranch_execnz .LBB1133_211
; %bb.210:
	s_endpgm
.LBB1133_211:
	v_lshlrev_b64 v[0:1], 2, v[0:1]
	v_mov_b32_e32 v2, s5
	v_add_co_u32_e32 v0, vcc, s4, v0
	v_addc_co_u32_e32 v1, vcc, v2, v1, vcc
	v_add_co_u32_e32 v0, vcc, 0x3000, v0
	v_addc_co_u32_e32 v1, vcc, 0, v1, vcc
	s_waitcnt lgkmcnt(0)
	flat_store_dword v[0:1], v5 offset:1024
	s_endpgm
.LBB1133_212:
	v_mov_b32_e32 v25, s55
	v_add_co_u32_e32 v26, vcc, s7, v24
	v_addc_co_u32_e32 v27, vcc, 0, v25, vcc
	flat_load_dword v25, v[26:27]
	s_or_b64 exec, exec, s[44:45]
                                        ; implicit-def: $vgpr26
	s_and_saveexec_b64 s[2:3], s[4:5]
	s_cbranch_execz .LBB1133_37
.LBB1133_213:
	v_mov_b32_e32 v27, s55
	v_add_co_u32_e32 v26, vcc, s7, v24
	v_addc_co_u32_e32 v27, vcc, 0, v27, vcc
	flat_load_dword v26, v[26:27] offset:1024
	s_or_b64 exec, exec, s[2:3]
                                        ; implicit-def: $vgpr27
	s_and_saveexec_b64 s[2:3], s[30:31]
	s_cbranch_execz .LBB1133_38
.LBB1133_214:
	v_mov_b32_e32 v27, s55
	v_add_co_u32_e32 v28, vcc, s7, v24
	v_addc_co_u32_e32 v29, vcc, 0, v27, vcc
	flat_load_dword v27, v[28:29] offset:2048
	s_or_b64 exec, exec, s[2:3]
                                        ; implicit-def: $vgpr28
	s_and_saveexec_b64 s[2:3], s[8:9]
	s_cbranch_execz .LBB1133_39
.LBB1133_215:
	v_mov_b32_e32 v29, s55
	v_add_co_u32_e32 v28, vcc, s7, v24
	v_addc_co_u32_e32 v29, vcc, 0, v29, vcc
	flat_load_dword v28, v[28:29] offset:3072
	s_or_b64 exec, exec, s[2:3]
                                        ; implicit-def: $vgpr29
	s_and_saveexec_b64 s[2:3], s[10:11]
	s_cbranch_execz .LBB1133_40
.LBB1133_216:
	v_mov_b32_e32 v29, s55
	v_add_co_u32_e32 v30, vcc, s7, v1
	v_addc_co_u32_e32 v31, vcc, 0, v29, vcc
	flat_load_dword v29, v[30:31]
	s_or_b64 exec, exec, s[2:3]
                                        ; implicit-def: $vgpr1
	s_and_saveexec_b64 s[2:3], s[12:13]
	s_cbranch_execz .LBB1133_41
.LBB1133_217:
	v_mov_b32_e32 v1, s55
	v_add_co_u32_e32 v30, vcc, s7, v14
	v_addc_co_u32_e32 v31, vcc, 0, v1, vcc
	flat_load_dword v1, v[30:31]
	s_or_b64 exec, exec, s[2:3]
                                        ; implicit-def: $vgpr14
	s_and_saveexec_b64 s[2:3], s[14:15]
	s_cbranch_execz .LBB1133_42
.LBB1133_218:
	v_mov_b32_e32 v14, s55
	v_add_co_u32_e32 v30, vcc, s7, v16
	v_addc_co_u32_e32 v31, vcc, 0, v14, vcc
	flat_load_dword v14, v[30:31]
	s_or_b64 exec, exec, s[2:3]
                                        ; implicit-def: $vgpr16
	s_and_saveexec_b64 s[2:3], s[16:17]
	s_cbranch_execz .LBB1133_43
.LBB1133_219:
	v_mov_b32_e32 v30, s55
	v_add_co_u32_e32 v16, vcc, s7, v17
	v_addc_co_u32_e32 v17, vcc, 0, v30, vcc
	flat_load_dword v16, v[16:17]
	s_or_b64 exec, exec, s[2:3]
                                        ; implicit-def: $vgpr17
	s_and_saveexec_b64 s[2:3], s[18:19]
	s_cbranch_execz .LBB1133_44
.LBB1133_220:
	v_mov_b32_e32 v17, s55
	v_add_co_u32_e32 v30, vcc, s7, v18
	v_addc_co_u32_e32 v31, vcc, 0, v17, vcc
	flat_load_dword v17, v[30:31]
	s_or_b64 exec, exec, s[2:3]
                                        ; implicit-def: $vgpr18
	s_and_saveexec_b64 s[2:3], s[20:21]
	s_cbranch_execz .LBB1133_45
.LBB1133_221:
	v_mov_b32_e32 v30, s55
	v_add_co_u32_e32 v18, vcc, s7, v19
	v_addc_co_u32_e32 v19, vcc, 0, v30, vcc
	flat_load_dword v18, v[18:19]
	s_or_b64 exec, exec, s[2:3]
                                        ; implicit-def: $vgpr19
	s_and_saveexec_b64 s[2:3], s[22:23]
	s_cbranch_execz .LBB1133_46
.LBB1133_222:
	v_mov_b32_e32 v19, s55
	v_add_co_u32_e32 v30, vcc, s7, v20
	v_addc_co_u32_e32 v31, vcc, 0, v19, vcc
	flat_load_dword v19, v[30:31]
	s_or_b64 exec, exec, s[2:3]
                                        ; implicit-def: $vgpr20
	s_and_saveexec_b64 s[2:3], s[24:25]
	s_cbranch_execz .LBB1133_47
.LBB1133_223:
	v_mov_b32_e32 v30, s55
	v_add_co_u32_e32 v20, vcc, s7, v21
	v_addc_co_u32_e32 v21, vcc, 0, v30, vcc
	flat_load_dword v20, v[20:21]
	s_or_b64 exec, exec, s[2:3]
                                        ; implicit-def: $vgpr21
	s_and_saveexec_b64 s[2:3], s[26:27]
	s_cbranch_execz .LBB1133_48
.LBB1133_224:
	v_mov_b32_e32 v21, s55
	v_add_co_u32_e32 v30, vcc, s7, v22
	v_addc_co_u32_e32 v31, vcc, 0, v21, vcc
	flat_load_dword v21, v[30:31]
	s_or_b64 exec, exec, s[2:3]
                                        ; implicit-def: $vgpr22
	s_and_saveexec_b64 s[2:3], s[28:29]
	s_cbranch_execnz .LBB1133_49
	s_branch .LBB1133_50
.LBB1133_225:
                                        ; implicit-def: $sgpr44_sgpr45
	s_branch .LBB1133_32
.LBB1133_226:
                                        ; implicit-def: $sgpr2_sgpr3
	s_branch .LBB1133_81
	.section	.rodata,"a",@progbits
	.p2align	6, 0x0
	.amdhsa_kernel _ZN7rocprim17ROCPRIM_400000_NS6detail17trampoline_kernelINS0_14default_configENS1_27scan_by_key_config_selectorIifEEZZNS1_16scan_by_key_implILNS1_25lookback_scan_determinismE0ELb0ES3_N6thrust23THRUST_200600_302600_NS6detail15normal_iteratorINS9_10device_ptrIiEEEENSB_INSC_IfEEEESG_fNS9_4plusIvEENS9_8equal_toIvEEfEE10hipError_tPvRmT2_T3_T4_T5_mT6_T7_P12ihipStream_tbENKUlT_T0_E_clISt17integral_constantIbLb0EES11_EEDaSW_SX_EUlSW_E_NS1_11comp_targetILNS1_3genE4ELNS1_11target_archE910ELNS1_3gpuE8ELNS1_3repE0EEENS1_30default_config_static_selectorELNS0_4arch9wavefront6targetE1EEEvT1_
		.amdhsa_group_segment_fixed_size 16384
		.amdhsa_private_segment_fixed_size 0
		.amdhsa_kernarg_size 112
		.amdhsa_user_sgpr_count 6
		.amdhsa_user_sgpr_private_segment_buffer 1
		.amdhsa_user_sgpr_dispatch_ptr 0
		.amdhsa_user_sgpr_queue_ptr 0
		.amdhsa_user_sgpr_kernarg_segment_ptr 1
		.amdhsa_user_sgpr_dispatch_id 0
		.amdhsa_user_sgpr_flat_scratch_init 0
		.amdhsa_user_sgpr_kernarg_preload_length 0
		.amdhsa_user_sgpr_kernarg_preload_offset 0
		.amdhsa_user_sgpr_private_segment_size 0
		.amdhsa_uses_dynamic_stack 0
		.amdhsa_system_sgpr_private_segment_wavefront_offset 0
		.amdhsa_system_sgpr_workgroup_id_x 1
		.amdhsa_system_sgpr_workgroup_id_y 0
		.amdhsa_system_sgpr_workgroup_id_z 0
		.amdhsa_system_sgpr_workgroup_info 0
		.amdhsa_system_vgpr_workitem_id 0
		.amdhsa_next_free_vgpr 64
		.amdhsa_next_free_sgpr 63
		.amdhsa_accum_offset 64
		.amdhsa_reserve_vcc 1
		.amdhsa_reserve_flat_scratch 0
		.amdhsa_float_round_mode_32 0
		.amdhsa_float_round_mode_16_64 0
		.amdhsa_float_denorm_mode_32 3
		.amdhsa_float_denorm_mode_16_64 3
		.amdhsa_dx10_clamp 1
		.amdhsa_ieee_mode 1
		.amdhsa_fp16_overflow 0
		.amdhsa_tg_split 0
		.amdhsa_exception_fp_ieee_invalid_op 0
		.amdhsa_exception_fp_denorm_src 0
		.amdhsa_exception_fp_ieee_div_zero 0
		.amdhsa_exception_fp_ieee_overflow 0
		.amdhsa_exception_fp_ieee_underflow 0
		.amdhsa_exception_fp_ieee_inexact 0
		.amdhsa_exception_int_div_zero 0
	.end_amdhsa_kernel
	.section	.text._ZN7rocprim17ROCPRIM_400000_NS6detail17trampoline_kernelINS0_14default_configENS1_27scan_by_key_config_selectorIifEEZZNS1_16scan_by_key_implILNS1_25lookback_scan_determinismE0ELb0ES3_N6thrust23THRUST_200600_302600_NS6detail15normal_iteratorINS9_10device_ptrIiEEEENSB_INSC_IfEEEESG_fNS9_4plusIvEENS9_8equal_toIvEEfEE10hipError_tPvRmT2_T3_T4_T5_mT6_T7_P12ihipStream_tbENKUlT_T0_E_clISt17integral_constantIbLb0EES11_EEDaSW_SX_EUlSW_E_NS1_11comp_targetILNS1_3genE4ELNS1_11target_archE910ELNS1_3gpuE8ELNS1_3repE0EEENS1_30default_config_static_selectorELNS0_4arch9wavefront6targetE1EEEvT1_,"axG",@progbits,_ZN7rocprim17ROCPRIM_400000_NS6detail17trampoline_kernelINS0_14default_configENS1_27scan_by_key_config_selectorIifEEZZNS1_16scan_by_key_implILNS1_25lookback_scan_determinismE0ELb0ES3_N6thrust23THRUST_200600_302600_NS6detail15normal_iteratorINS9_10device_ptrIiEEEENSB_INSC_IfEEEESG_fNS9_4plusIvEENS9_8equal_toIvEEfEE10hipError_tPvRmT2_T3_T4_T5_mT6_T7_P12ihipStream_tbENKUlT_T0_E_clISt17integral_constantIbLb0EES11_EEDaSW_SX_EUlSW_E_NS1_11comp_targetILNS1_3genE4ELNS1_11target_archE910ELNS1_3gpuE8ELNS1_3repE0EEENS1_30default_config_static_selectorELNS0_4arch9wavefront6targetE1EEEvT1_,comdat
.Lfunc_end1133:
	.size	_ZN7rocprim17ROCPRIM_400000_NS6detail17trampoline_kernelINS0_14default_configENS1_27scan_by_key_config_selectorIifEEZZNS1_16scan_by_key_implILNS1_25lookback_scan_determinismE0ELb0ES3_N6thrust23THRUST_200600_302600_NS6detail15normal_iteratorINS9_10device_ptrIiEEEENSB_INSC_IfEEEESG_fNS9_4plusIvEENS9_8equal_toIvEEfEE10hipError_tPvRmT2_T3_T4_T5_mT6_T7_P12ihipStream_tbENKUlT_T0_E_clISt17integral_constantIbLb0EES11_EEDaSW_SX_EUlSW_E_NS1_11comp_targetILNS1_3genE4ELNS1_11target_archE910ELNS1_3gpuE8ELNS1_3repE0EEENS1_30default_config_static_selectorELNS0_4arch9wavefront6targetE1EEEvT1_, .Lfunc_end1133-_ZN7rocprim17ROCPRIM_400000_NS6detail17trampoline_kernelINS0_14default_configENS1_27scan_by_key_config_selectorIifEEZZNS1_16scan_by_key_implILNS1_25lookback_scan_determinismE0ELb0ES3_N6thrust23THRUST_200600_302600_NS6detail15normal_iteratorINS9_10device_ptrIiEEEENSB_INSC_IfEEEESG_fNS9_4plusIvEENS9_8equal_toIvEEfEE10hipError_tPvRmT2_T3_T4_T5_mT6_T7_P12ihipStream_tbENKUlT_T0_E_clISt17integral_constantIbLb0EES11_EEDaSW_SX_EUlSW_E_NS1_11comp_targetILNS1_3genE4ELNS1_11target_archE910ELNS1_3gpuE8ELNS1_3repE0EEENS1_30default_config_static_selectorELNS0_4arch9wavefront6targetE1EEEvT1_
                                        ; -- End function
	.section	.AMDGPU.csdata,"",@progbits
; Kernel info:
; codeLenInByte = 10572
; NumSgprs: 67
; NumVgprs: 64
; NumAgprs: 0
; TotalNumVgprs: 64
; ScratchSize: 0
; MemoryBound: 0
; FloatMode: 240
; IeeeMode: 1
; LDSByteSize: 16384 bytes/workgroup (compile time only)
; SGPRBlocks: 8
; VGPRBlocks: 7
; NumSGPRsForWavesPerEU: 67
; NumVGPRsForWavesPerEU: 64
; AccumOffset: 64
; Occupancy: 4
; WaveLimiterHint : 1
; COMPUTE_PGM_RSRC2:SCRATCH_EN: 0
; COMPUTE_PGM_RSRC2:USER_SGPR: 6
; COMPUTE_PGM_RSRC2:TRAP_HANDLER: 0
; COMPUTE_PGM_RSRC2:TGID_X_EN: 1
; COMPUTE_PGM_RSRC2:TGID_Y_EN: 0
; COMPUTE_PGM_RSRC2:TGID_Z_EN: 0
; COMPUTE_PGM_RSRC2:TIDIG_COMP_CNT: 0
; COMPUTE_PGM_RSRC3_GFX90A:ACCUM_OFFSET: 15
; COMPUTE_PGM_RSRC3_GFX90A:TG_SPLIT: 0
	.section	.text._ZN7rocprim17ROCPRIM_400000_NS6detail17trampoline_kernelINS0_14default_configENS1_27scan_by_key_config_selectorIifEEZZNS1_16scan_by_key_implILNS1_25lookback_scan_determinismE0ELb0ES3_N6thrust23THRUST_200600_302600_NS6detail15normal_iteratorINS9_10device_ptrIiEEEENSB_INSC_IfEEEESG_fNS9_4plusIvEENS9_8equal_toIvEEfEE10hipError_tPvRmT2_T3_T4_T5_mT6_T7_P12ihipStream_tbENKUlT_T0_E_clISt17integral_constantIbLb0EES11_EEDaSW_SX_EUlSW_E_NS1_11comp_targetILNS1_3genE3ELNS1_11target_archE908ELNS1_3gpuE7ELNS1_3repE0EEENS1_30default_config_static_selectorELNS0_4arch9wavefront6targetE1EEEvT1_,"axG",@progbits,_ZN7rocprim17ROCPRIM_400000_NS6detail17trampoline_kernelINS0_14default_configENS1_27scan_by_key_config_selectorIifEEZZNS1_16scan_by_key_implILNS1_25lookback_scan_determinismE0ELb0ES3_N6thrust23THRUST_200600_302600_NS6detail15normal_iteratorINS9_10device_ptrIiEEEENSB_INSC_IfEEEESG_fNS9_4plusIvEENS9_8equal_toIvEEfEE10hipError_tPvRmT2_T3_T4_T5_mT6_T7_P12ihipStream_tbENKUlT_T0_E_clISt17integral_constantIbLb0EES11_EEDaSW_SX_EUlSW_E_NS1_11comp_targetILNS1_3genE3ELNS1_11target_archE908ELNS1_3gpuE7ELNS1_3repE0EEENS1_30default_config_static_selectorELNS0_4arch9wavefront6targetE1EEEvT1_,comdat
	.protected	_ZN7rocprim17ROCPRIM_400000_NS6detail17trampoline_kernelINS0_14default_configENS1_27scan_by_key_config_selectorIifEEZZNS1_16scan_by_key_implILNS1_25lookback_scan_determinismE0ELb0ES3_N6thrust23THRUST_200600_302600_NS6detail15normal_iteratorINS9_10device_ptrIiEEEENSB_INSC_IfEEEESG_fNS9_4plusIvEENS9_8equal_toIvEEfEE10hipError_tPvRmT2_T3_T4_T5_mT6_T7_P12ihipStream_tbENKUlT_T0_E_clISt17integral_constantIbLb0EES11_EEDaSW_SX_EUlSW_E_NS1_11comp_targetILNS1_3genE3ELNS1_11target_archE908ELNS1_3gpuE7ELNS1_3repE0EEENS1_30default_config_static_selectorELNS0_4arch9wavefront6targetE1EEEvT1_ ; -- Begin function _ZN7rocprim17ROCPRIM_400000_NS6detail17trampoline_kernelINS0_14default_configENS1_27scan_by_key_config_selectorIifEEZZNS1_16scan_by_key_implILNS1_25lookback_scan_determinismE0ELb0ES3_N6thrust23THRUST_200600_302600_NS6detail15normal_iteratorINS9_10device_ptrIiEEEENSB_INSC_IfEEEESG_fNS9_4plusIvEENS9_8equal_toIvEEfEE10hipError_tPvRmT2_T3_T4_T5_mT6_T7_P12ihipStream_tbENKUlT_T0_E_clISt17integral_constantIbLb0EES11_EEDaSW_SX_EUlSW_E_NS1_11comp_targetILNS1_3genE3ELNS1_11target_archE908ELNS1_3gpuE7ELNS1_3repE0EEENS1_30default_config_static_selectorELNS0_4arch9wavefront6targetE1EEEvT1_
	.globl	_ZN7rocprim17ROCPRIM_400000_NS6detail17trampoline_kernelINS0_14default_configENS1_27scan_by_key_config_selectorIifEEZZNS1_16scan_by_key_implILNS1_25lookback_scan_determinismE0ELb0ES3_N6thrust23THRUST_200600_302600_NS6detail15normal_iteratorINS9_10device_ptrIiEEEENSB_INSC_IfEEEESG_fNS9_4plusIvEENS9_8equal_toIvEEfEE10hipError_tPvRmT2_T3_T4_T5_mT6_T7_P12ihipStream_tbENKUlT_T0_E_clISt17integral_constantIbLb0EES11_EEDaSW_SX_EUlSW_E_NS1_11comp_targetILNS1_3genE3ELNS1_11target_archE908ELNS1_3gpuE7ELNS1_3repE0EEENS1_30default_config_static_selectorELNS0_4arch9wavefront6targetE1EEEvT1_
	.p2align	8
	.type	_ZN7rocprim17ROCPRIM_400000_NS6detail17trampoline_kernelINS0_14default_configENS1_27scan_by_key_config_selectorIifEEZZNS1_16scan_by_key_implILNS1_25lookback_scan_determinismE0ELb0ES3_N6thrust23THRUST_200600_302600_NS6detail15normal_iteratorINS9_10device_ptrIiEEEENSB_INSC_IfEEEESG_fNS9_4plusIvEENS9_8equal_toIvEEfEE10hipError_tPvRmT2_T3_T4_T5_mT6_T7_P12ihipStream_tbENKUlT_T0_E_clISt17integral_constantIbLb0EES11_EEDaSW_SX_EUlSW_E_NS1_11comp_targetILNS1_3genE3ELNS1_11target_archE908ELNS1_3gpuE7ELNS1_3repE0EEENS1_30default_config_static_selectorELNS0_4arch9wavefront6targetE1EEEvT1_,@function
_ZN7rocprim17ROCPRIM_400000_NS6detail17trampoline_kernelINS0_14default_configENS1_27scan_by_key_config_selectorIifEEZZNS1_16scan_by_key_implILNS1_25lookback_scan_determinismE0ELb0ES3_N6thrust23THRUST_200600_302600_NS6detail15normal_iteratorINS9_10device_ptrIiEEEENSB_INSC_IfEEEESG_fNS9_4plusIvEENS9_8equal_toIvEEfEE10hipError_tPvRmT2_T3_T4_T5_mT6_T7_P12ihipStream_tbENKUlT_T0_E_clISt17integral_constantIbLb0EES11_EEDaSW_SX_EUlSW_E_NS1_11comp_targetILNS1_3genE3ELNS1_11target_archE908ELNS1_3gpuE7ELNS1_3repE0EEENS1_30default_config_static_selectorELNS0_4arch9wavefront6targetE1EEEvT1_: ; @_ZN7rocprim17ROCPRIM_400000_NS6detail17trampoline_kernelINS0_14default_configENS1_27scan_by_key_config_selectorIifEEZZNS1_16scan_by_key_implILNS1_25lookback_scan_determinismE0ELb0ES3_N6thrust23THRUST_200600_302600_NS6detail15normal_iteratorINS9_10device_ptrIiEEEENSB_INSC_IfEEEESG_fNS9_4plusIvEENS9_8equal_toIvEEfEE10hipError_tPvRmT2_T3_T4_T5_mT6_T7_P12ihipStream_tbENKUlT_T0_E_clISt17integral_constantIbLb0EES11_EEDaSW_SX_EUlSW_E_NS1_11comp_targetILNS1_3genE3ELNS1_11target_archE908ELNS1_3gpuE7ELNS1_3repE0EEENS1_30default_config_static_selectorELNS0_4arch9wavefront6targetE1EEEvT1_
; %bb.0:
	.section	.rodata,"a",@progbits
	.p2align	6, 0x0
	.amdhsa_kernel _ZN7rocprim17ROCPRIM_400000_NS6detail17trampoline_kernelINS0_14default_configENS1_27scan_by_key_config_selectorIifEEZZNS1_16scan_by_key_implILNS1_25lookback_scan_determinismE0ELb0ES3_N6thrust23THRUST_200600_302600_NS6detail15normal_iteratorINS9_10device_ptrIiEEEENSB_INSC_IfEEEESG_fNS9_4plusIvEENS9_8equal_toIvEEfEE10hipError_tPvRmT2_T3_T4_T5_mT6_T7_P12ihipStream_tbENKUlT_T0_E_clISt17integral_constantIbLb0EES11_EEDaSW_SX_EUlSW_E_NS1_11comp_targetILNS1_3genE3ELNS1_11target_archE908ELNS1_3gpuE7ELNS1_3repE0EEENS1_30default_config_static_selectorELNS0_4arch9wavefront6targetE1EEEvT1_
		.amdhsa_group_segment_fixed_size 0
		.amdhsa_private_segment_fixed_size 0
		.amdhsa_kernarg_size 112
		.amdhsa_user_sgpr_count 6
		.amdhsa_user_sgpr_private_segment_buffer 1
		.amdhsa_user_sgpr_dispatch_ptr 0
		.amdhsa_user_sgpr_queue_ptr 0
		.amdhsa_user_sgpr_kernarg_segment_ptr 1
		.amdhsa_user_sgpr_dispatch_id 0
		.amdhsa_user_sgpr_flat_scratch_init 0
		.amdhsa_user_sgpr_kernarg_preload_length 0
		.amdhsa_user_sgpr_kernarg_preload_offset 0
		.amdhsa_user_sgpr_private_segment_size 0
		.amdhsa_uses_dynamic_stack 0
		.amdhsa_system_sgpr_private_segment_wavefront_offset 0
		.amdhsa_system_sgpr_workgroup_id_x 1
		.amdhsa_system_sgpr_workgroup_id_y 0
		.amdhsa_system_sgpr_workgroup_id_z 0
		.amdhsa_system_sgpr_workgroup_info 0
		.amdhsa_system_vgpr_workitem_id 0
		.amdhsa_next_free_vgpr 1
		.amdhsa_next_free_sgpr 0
		.amdhsa_accum_offset 4
		.amdhsa_reserve_vcc 0
		.amdhsa_reserve_flat_scratch 0
		.amdhsa_float_round_mode_32 0
		.amdhsa_float_round_mode_16_64 0
		.amdhsa_float_denorm_mode_32 3
		.amdhsa_float_denorm_mode_16_64 3
		.amdhsa_dx10_clamp 1
		.amdhsa_ieee_mode 1
		.amdhsa_fp16_overflow 0
		.amdhsa_tg_split 0
		.amdhsa_exception_fp_ieee_invalid_op 0
		.amdhsa_exception_fp_denorm_src 0
		.amdhsa_exception_fp_ieee_div_zero 0
		.amdhsa_exception_fp_ieee_overflow 0
		.amdhsa_exception_fp_ieee_underflow 0
		.amdhsa_exception_fp_ieee_inexact 0
		.amdhsa_exception_int_div_zero 0
	.end_amdhsa_kernel
	.section	.text._ZN7rocprim17ROCPRIM_400000_NS6detail17trampoline_kernelINS0_14default_configENS1_27scan_by_key_config_selectorIifEEZZNS1_16scan_by_key_implILNS1_25lookback_scan_determinismE0ELb0ES3_N6thrust23THRUST_200600_302600_NS6detail15normal_iteratorINS9_10device_ptrIiEEEENSB_INSC_IfEEEESG_fNS9_4plusIvEENS9_8equal_toIvEEfEE10hipError_tPvRmT2_T3_T4_T5_mT6_T7_P12ihipStream_tbENKUlT_T0_E_clISt17integral_constantIbLb0EES11_EEDaSW_SX_EUlSW_E_NS1_11comp_targetILNS1_3genE3ELNS1_11target_archE908ELNS1_3gpuE7ELNS1_3repE0EEENS1_30default_config_static_selectorELNS0_4arch9wavefront6targetE1EEEvT1_,"axG",@progbits,_ZN7rocprim17ROCPRIM_400000_NS6detail17trampoline_kernelINS0_14default_configENS1_27scan_by_key_config_selectorIifEEZZNS1_16scan_by_key_implILNS1_25lookback_scan_determinismE0ELb0ES3_N6thrust23THRUST_200600_302600_NS6detail15normal_iteratorINS9_10device_ptrIiEEEENSB_INSC_IfEEEESG_fNS9_4plusIvEENS9_8equal_toIvEEfEE10hipError_tPvRmT2_T3_T4_T5_mT6_T7_P12ihipStream_tbENKUlT_T0_E_clISt17integral_constantIbLb0EES11_EEDaSW_SX_EUlSW_E_NS1_11comp_targetILNS1_3genE3ELNS1_11target_archE908ELNS1_3gpuE7ELNS1_3repE0EEENS1_30default_config_static_selectorELNS0_4arch9wavefront6targetE1EEEvT1_,comdat
.Lfunc_end1134:
	.size	_ZN7rocprim17ROCPRIM_400000_NS6detail17trampoline_kernelINS0_14default_configENS1_27scan_by_key_config_selectorIifEEZZNS1_16scan_by_key_implILNS1_25lookback_scan_determinismE0ELb0ES3_N6thrust23THRUST_200600_302600_NS6detail15normal_iteratorINS9_10device_ptrIiEEEENSB_INSC_IfEEEESG_fNS9_4plusIvEENS9_8equal_toIvEEfEE10hipError_tPvRmT2_T3_T4_T5_mT6_T7_P12ihipStream_tbENKUlT_T0_E_clISt17integral_constantIbLb0EES11_EEDaSW_SX_EUlSW_E_NS1_11comp_targetILNS1_3genE3ELNS1_11target_archE908ELNS1_3gpuE7ELNS1_3repE0EEENS1_30default_config_static_selectorELNS0_4arch9wavefront6targetE1EEEvT1_, .Lfunc_end1134-_ZN7rocprim17ROCPRIM_400000_NS6detail17trampoline_kernelINS0_14default_configENS1_27scan_by_key_config_selectorIifEEZZNS1_16scan_by_key_implILNS1_25lookback_scan_determinismE0ELb0ES3_N6thrust23THRUST_200600_302600_NS6detail15normal_iteratorINS9_10device_ptrIiEEEENSB_INSC_IfEEEESG_fNS9_4plusIvEENS9_8equal_toIvEEfEE10hipError_tPvRmT2_T3_T4_T5_mT6_T7_P12ihipStream_tbENKUlT_T0_E_clISt17integral_constantIbLb0EES11_EEDaSW_SX_EUlSW_E_NS1_11comp_targetILNS1_3genE3ELNS1_11target_archE908ELNS1_3gpuE7ELNS1_3repE0EEENS1_30default_config_static_selectorELNS0_4arch9wavefront6targetE1EEEvT1_
                                        ; -- End function
	.section	.AMDGPU.csdata,"",@progbits
; Kernel info:
; codeLenInByte = 0
; NumSgprs: 4
; NumVgprs: 0
; NumAgprs: 0
; TotalNumVgprs: 0
; ScratchSize: 0
; MemoryBound: 0
; FloatMode: 240
; IeeeMode: 1
; LDSByteSize: 0 bytes/workgroup (compile time only)
; SGPRBlocks: 0
; VGPRBlocks: 0
; NumSGPRsForWavesPerEU: 4
; NumVGPRsForWavesPerEU: 1
; AccumOffset: 4
; Occupancy: 8
; WaveLimiterHint : 0
; COMPUTE_PGM_RSRC2:SCRATCH_EN: 0
; COMPUTE_PGM_RSRC2:USER_SGPR: 6
; COMPUTE_PGM_RSRC2:TRAP_HANDLER: 0
; COMPUTE_PGM_RSRC2:TGID_X_EN: 1
; COMPUTE_PGM_RSRC2:TGID_Y_EN: 0
; COMPUTE_PGM_RSRC2:TGID_Z_EN: 0
; COMPUTE_PGM_RSRC2:TIDIG_COMP_CNT: 0
; COMPUTE_PGM_RSRC3_GFX90A:ACCUM_OFFSET: 0
; COMPUTE_PGM_RSRC3_GFX90A:TG_SPLIT: 0
	.section	.text._ZN7rocprim17ROCPRIM_400000_NS6detail17trampoline_kernelINS0_14default_configENS1_27scan_by_key_config_selectorIifEEZZNS1_16scan_by_key_implILNS1_25lookback_scan_determinismE0ELb0ES3_N6thrust23THRUST_200600_302600_NS6detail15normal_iteratorINS9_10device_ptrIiEEEENSB_INSC_IfEEEESG_fNS9_4plusIvEENS9_8equal_toIvEEfEE10hipError_tPvRmT2_T3_T4_T5_mT6_T7_P12ihipStream_tbENKUlT_T0_E_clISt17integral_constantIbLb0EES11_EEDaSW_SX_EUlSW_E_NS1_11comp_targetILNS1_3genE2ELNS1_11target_archE906ELNS1_3gpuE6ELNS1_3repE0EEENS1_30default_config_static_selectorELNS0_4arch9wavefront6targetE1EEEvT1_,"axG",@progbits,_ZN7rocprim17ROCPRIM_400000_NS6detail17trampoline_kernelINS0_14default_configENS1_27scan_by_key_config_selectorIifEEZZNS1_16scan_by_key_implILNS1_25lookback_scan_determinismE0ELb0ES3_N6thrust23THRUST_200600_302600_NS6detail15normal_iteratorINS9_10device_ptrIiEEEENSB_INSC_IfEEEESG_fNS9_4plusIvEENS9_8equal_toIvEEfEE10hipError_tPvRmT2_T3_T4_T5_mT6_T7_P12ihipStream_tbENKUlT_T0_E_clISt17integral_constantIbLb0EES11_EEDaSW_SX_EUlSW_E_NS1_11comp_targetILNS1_3genE2ELNS1_11target_archE906ELNS1_3gpuE6ELNS1_3repE0EEENS1_30default_config_static_selectorELNS0_4arch9wavefront6targetE1EEEvT1_,comdat
	.protected	_ZN7rocprim17ROCPRIM_400000_NS6detail17trampoline_kernelINS0_14default_configENS1_27scan_by_key_config_selectorIifEEZZNS1_16scan_by_key_implILNS1_25lookback_scan_determinismE0ELb0ES3_N6thrust23THRUST_200600_302600_NS6detail15normal_iteratorINS9_10device_ptrIiEEEENSB_INSC_IfEEEESG_fNS9_4plusIvEENS9_8equal_toIvEEfEE10hipError_tPvRmT2_T3_T4_T5_mT6_T7_P12ihipStream_tbENKUlT_T0_E_clISt17integral_constantIbLb0EES11_EEDaSW_SX_EUlSW_E_NS1_11comp_targetILNS1_3genE2ELNS1_11target_archE906ELNS1_3gpuE6ELNS1_3repE0EEENS1_30default_config_static_selectorELNS0_4arch9wavefront6targetE1EEEvT1_ ; -- Begin function _ZN7rocprim17ROCPRIM_400000_NS6detail17trampoline_kernelINS0_14default_configENS1_27scan_by_key_config_selectorIifEEZZNS1_16scan_by_key_implILNS1_25lookback_scan_determinismE0ELb0ES3_N6thrust23THRUST_200600_302600_NS6detail15normal_iteratorINS9_10device_ptrIiEEEENSB_INSC_IfEEEESG_fNS9_4plusIvEENS9_8equal_toIvEEfEE10hipError_tPvRmT2_T3_T4_T5_mT6_T7_P12ihipStream_tbENKUlT_T0_E_clISt17integral_constantIbLb0EES11_EEDaSW_SX_EUlSW_E_NS1_11comp_targetILNS1_3genE2ELNS1_11target_archE906ELNS1_3gpuE6ELNS1_3repE0EEENS1_30default_config_static_selectorELNS0_4arch9wavefront6targetE1EEEvT1_
	.globl	_ZN7rocprim17ROCPRIM_400000_NS6detail17trampoline_kernelINS0_14default_configENS1_27scan_by_key_config_selectorIifEEZZNS1_16scan_by_key_implILNS1_25lookback_scan_determinismE0ELb0ES3_N6thrust23THRUST_200600_302600_NS6detail15normal_iteratorINS9_10device_ptrIiEEEENSB_INSC_IfEEEESG_fNS9_4plusIvEENS9_8equal_toIvEEfEE10hipError_tPvRmT2_T3_T4_T5_mT6_T7_P12ihipStream_tbENKUlT_T0_E_clISt17integral_constantIbLb0EES11_EEDaSW_SX_EUlSW_E_NS1_11comp_targetILNS1_3genE2ELNS1_11target_archE906ELNS1_3gpuE6ELNS1_3repE0EEENS1_30default_config_static_selectorELNS0_4arch9wavefront6targetE1EEEvT1_
	.p2align	8
	.type	_ZN7rocprim17ROCPRIM_400000_NS6detail17trampoline_kernelINS0_14default_configENS1_27scan_by_key_config_selectorIifEEZZNS1_16scan_by_key_implILNS1_25lookback_scan_determinismE0ELb0ES3_N6thrust23THRUST_200600_302600_NS6detail15normal_iteratorINS9_10device_ptrIiEEEENSB_INSC_IfEEEESG_fNS9_4plusIvEENS9_8equal_toIvEEfEE10hipError_tPvRmT2_T3_T4_T5_mT6_T7_P12ihipStream_tbENKUlT_T0_E_clISt17integral_constantIbLb0EES11_EEDaSW_SX_EUlSW_E_NS1_11comp_targetILNS1_3genE2ELNS1_11target_archE906ELNS1_3gpuE6ELNS1_3repE0EEENS1_30default_config_static_selectorELNS0_4arch9wavefront6targetE1EEEvT1_,@function
_ZN7rocprim17ROCPRIM_400000_NS6detail17trampoline_kernelINS0_14default_configENS1_27scan_by_key_config_selectorIifEEZZNS1_16scan_by_key_implILNS1_25lookback_scan_determinismE0ELb0ES3_N6thrust23THRUST_200600_302600_NS6detail15normal_iteratorINS9_10device_ptrIiEEEENSB_INSC_IfEEEESG_fNS9_4plusIvEENS9_8equal_toIvEEfEE10hipError_tPvRmT2_T3_T4_T5_mT6_T7_P12ihipStream_tbENKUlT_T0_E_clISt17integral_constantIbLb0EES11_EEDaSW_SX_EUlSW_E_NS1_11comp_targetILNS1_3genE2ELNS1_11target_archE906ELNS1_3gpuE6ELNS1_3repE0EEENS1_30default_config_static_selectorELNS0_4arch9wavefront6targetE1EEEvT1_: ; @_ZN7rocprim17ROCPRIM_400000_NS6detail17trampoline_kernelINS0_14default_configENS1_27scan_by_key_config_selectorIifEEZZNS1_16scan_by_key_implILNS1_25lookback_scan_determinismE0ELb0ES3_N6thrust23THRUST_200600_302600_NS6detail15normal_iteratorINS9_10device_ptrIiEEEENSB_INSC_IfEEEESG_fNS9_4plusIvEENS9_8equal_toIvEEfEE10hipError_tPvRmT2_T3_T4_T5_mT6_T7_P12ihipStream_tbENKUlT_T0_E_clISt17integral_constantIbLb0EES11_EEDaSW_SX_EUlSW_E_NS1_11comp_targetILNS1_3genE2ELNS1_11target_archE906ELNS1_3gpuE6ELNS1_3repE0EEENS1_30default_config_static_selectorELNS0_4arch9wavefront6targetE1EEEvT1_
; %bb.0:
	.section	.rodata,"a",@progbits
	.p2align	6, 0x0
	.amdhsa_kernel _ZN7rocprim17ROCPRIM_400000_NS6detail17trampoline_kernelINS0_14default_configENS1_27scan_by_key_config_selectorIifEEZZNS1_16scan_by_key_implILNS1_25lookback_scan_determinismE0ELb0ES3_N6thrust23THRUST_200600_302600_NS6detail15normal_iteratorINS9_10device_ptrIiEEEENSB_INSC_IfEEEESG_fNS9_4plusIvEENS9_8equal_toIvEEfEE10hipError_tPvRmT2_T3_T4_T5_mT6_T7_P12ihipStream_tbENKUlT_T0_E_clISt17integral_constantIbLb0EES11_EEDaSW_SX_EUlSW_E_NS1_11comp_targetILNS1_3genE2ELNS1_11target_archE906ELNS1_3gpuE6ELNS1_3repE0EEENS1_30default_config_static_selectorELNS0_4arch9wavefront6targetE1EEEvT1_
		.amdhsa_group_segment_fixed_size 0
		.amdhsa_private_segment_fixed_size 0
		.amdhsa_kernarg_size 112
		.amdhsa_user_sgpr_count 6
		.amdhsa_user_sgpr_private_segment_buffer 1
		.amdhsa_user_sgpr_dispatch_ptr 0
		.amdhsa_user_sgpr_queue_ptr 0
		.amdhsa_user_sgpr_kernarg_segment_ptr 1
		.amdhsa_user_sgpr_dispatch_id 0
		.amdhsa_user_sgpr_flat_scratch_init 0
		.amdhsa_user_sgpr_kernarg_preload_length 0
		.amdhsa_user_sgpr_kernarg_preload_offset 0
		.amdhsa_user_sgpr_private_segment_size 0
		.amdhsa_uses_dynamic_stack 0
		.amdhsa_system_sgpr_private_segment_wavefront_offset 0
		.amdhsa_system_sgpr_workgroup_id_x 1
		.amdhsa_system_sgpr_workgroup_id_y 0
		.amdhsa_system_sgpr_workgroup_id_z 0
		.amdhsa_system_sgpr_workgroup_info 0
		.amdhsa_system_vgpr_workitem_id 0
		.amdhsa_next_free_vgpr 1
		.amdhsa_next_free_sgpr 0
		.amdhsa_accum_offset 4
		.amdhsa_reserve_vcc 0
		.amdhsa_reserve_flat_scratch 0
		.amdhsa_float_round_mode_32 0
		.amdhsa_float_round_mode_16_64 0
		.amdhsa_float_denorm_mode_32 3
		.amdhsa_float_denorm_mode_16_64 3
		.amdhsa_dx10_clamp 1
		.amdhsa_ieee_mode 1
		.amdhsa_fp16_overflow 0
		.amdhsa_tg_split 0
		.amdhsa_exception_fp_ieee_invalid_op 0
		.amdhsa_exception_fp_denorm_src 0
		.amdhsa_exception_fp_ieee_div_zero 0
		.amdhsa_exception_fp_ieee_overflow 0
		.amdhsa_exception_fp_ieee_underflow 0
		.amdhsa_exception_fp_ieee_inexact 0
		.amdhsa_exception_int_div_zero 0
	.end_amdhsa_kernel
	.section	.text._ZN7rocprim17ROCPRIM_400000_NS6detail17trampoline_kernelINS0_14default_configENS1_27scan_by_key_config_selectorIifEEZZNS1_16scan_by_key_implILNS1_25lookback_scan_determinismE0ELb0ES3_N6thrust23THRUST_200600_302600_NS6detail15normal_iteratorINS9_10device_ptrIiEEEENSB_INSC_IfEEEESG_fNS9_4plusIvEENS9_8equal_toIvEEfEE10hipError_tPvRmT2_T3_T4_T5_mT6_T7_P12ihipStream_tbENKUlT_T0_E_clISt17integral_constantIbLb0EES11_EEDaSW_SX_EUlSW_E_NS1_11comp_targetILNS1_3genE2ELNS1_11target_archE906ELNS1_3gpuE6ELNS1_3repE0EEENS1_30default_config_static_selectorELNS0_4arch9wavefront6targetE1EEEvT1_,"axG",@progbits,_ZN7rocprim17ROCPRIM_400000_NS6detail17trampoline_kernelINS0_14default_configENS1_27scan_by_key_config_selectorIifEEZZNS1_16scan_by_key_implILNS1_25lookback_scan_determinismE0ELb0ES3_N6thrust23THRUST_200600_302600_NS6detail15normal_iteratorINS9_10device_ptrIiEEEENSB_INSC_IfEEEESG_fNS9_4plusIvEENS9_8equal_toIvEEfEE10hipError_tPvRmT2_T3_T4_T5_mT6_T7_P12ihipStream_tbENKUlT_T0_E_clISt17integral_constantIbLb0EES11_EEDaSW_SX_EUlSW_E_NS1_11comp_targetILNS1_3genE2ELNS1_11target_archE906ELNS1_3gpuE6ELNS1_3repE0EEENS1_30default_config_static_selectorELNS0_4arch9wavefront6targetE1EEEvT1_,comdat
.Lfunc_end1135:
	.size	_ZN7rocprim17ROCPRIM_400000_NS6detail17trampoline_kernelINS0_14default_configENS1_27scan_by_key_config_selectorIifEEZZNS1_16scan_by_key_implILNS1_25lookback_scan_determinismE0ELb0ES3_N6thrust23THRUST_200600_302600_NS6detail15normal_iteratorINS9_10device_ptrIiEEEENSB_INSC_IfEEEESG_fNS9_4plusIvEENS9_8equal_toIvEEfEE10hipError_tPvRmT2_T3_T4_T5_mT6_T7_P12ihipStream_tbENKUlT_T0_E_clISt17integral_constantIbLb0EES11_EEDaSW_SX_EUlSW_E_NS1_11comp_targetILNS1_3genE2ELNS1_11target_archE906ELNS1_3gpuE6ELNS1_3repE0EEENS1_30default_config_static_selectorELNS0_4arch9wavefront6targetE1EEEvT1_, .Lfunc_end1135-_ZN7rocprim17ROCPRIM_400000_NS6detail17trampoline_kernelINS0_14default_configENS1_27scan_by_key_config_selectorIifEEZZNS1_16scan_by_key_implILNS1_25lookback_scan_determinismE0ELb0ES3_N6thrust23THRUST_200600_302600_NS6detail15normal_iteratorINS9_10device_ptrIiEEEENSB_INSC_IfEEEESG_fNS9_4plusIvEENS9_8equal_toIvEEfEE10hipError_tPvRmT2_T3_T4_T5_mT6_T7_P12ihipStream_tbENKUlT_T0_E_clISt17integral_constantIbLb0EES11_EEDaSW_SX_EUlSW_E_NS1_11comp_targetILNS1_3genE2ELNS1_11target_archE906ELNS1_3gpuE6ELNS1_3repE0EEENS1_30default_config_static_selectorELNS0_4arch9wavefront6targetE1EEEvT1_
                                        ; -- End function
	.section	.AMDGPU.csdata,"",@progbits
; Kernel info:
; codeLenInByte = 0
; NumSgprs: 4
; NumVgprs: 0
; NumAgprs: 0
; TotalNumVgprs: 0
; ScratchSize: 0
; MemoryBound: 0
; FloatMode: 240
; IeeeMode: 1
; LDSByteSize: 0 bytes/workgroup (compile time only)
; SGPRBlocks: 0
; VGPRBlocks: 0
; NumSGPRsForWavesPerEU: 4
; NumVGPRsForWavesPerEU: 1
; AccumOffset: 4
; Occupancy: 8
; WaveLimiterHint : 0
; COMPUTE_PGM_RSRC2:SCRATCH_EN: 0
; COMPUTE_PGM_RSRC2:USER_SGPR: 6
; COMPUTE_PGM_RSRC2:TRAP_HANDLER: 0
; COMPUTE_PGM_RSRC2:TGID_X_EN: 1
; COMPUTE_PGM_RSRC2:TGID_Y_EN: 0
; COMPUTE_PGM_RSRC2:TGID_Z_EN: 0
; COMPUTE_PGM_RSRC2:TIDIG_COMP_CNT: 0
; COMPUTE_PGM_RSRC3_GFX90A:ACCUM_OFFSET: 0
; COMPUTE_PGM_RSRC3_GFX90A:TG_SPLIT: 0
	.section	.text._ZN7rocprim17ROCPRIM_400000_NS6detail17trampoline_kernelINS0_14default_configENS1_27scan_by_key_config_selectorIifEEZZNS1_16scan_by_key_implILNS1_25lookback_scan_determinismE0ELb0ES3_N6thrust23THRUST_200600_302600_NS6detail15normal_iteratorINS9_10device_ptrIiEEEENSB_INSC_IfEEEESG_fNS9_4plusIvEENS9_8equal_toIvEEfEE10hipError_tPvRmT2_T3_T4_T5_mT6_T7_P12ihipStream_tbENKUlT_T0_E_clISt17integral_constantIbLb0EES11_EEDaSW_SX_EUlSW_E_NS1_11comp_targetILNS1_3genE10ELNS1_11target_archE1200ELNS1_3gpuE4ELNS1_3repE0EEENS1_30default_config_static_selectorELNS0_4arch9wavefront6targetE1EEEvT1_,"axG",@progbits,_ZN7rocprim17ROCPRIM_400000_NS6detail17trampoline_kernelINS0_14default_configENS1_27scan_by_key_config_selectorIifEEZZNS1_16scan_by_key_implILNS1_25lookback_scan_determinismE0ELb0ES3_N6thrust23THRUST_200600_302600_NS6detail15normal_iteratorINS9_10device_ptrIiEEEENSB_INSC_IfEEEESG_fNS9_4plusIvEENS9_8equal_toIvEEfEE10hipError_tPvRmT2_T3_T4_T5_mT6_T7_P12ihipStream_tbENKUlT_T0_E_clISt17integral_constantIbLb0EES11_EEDaSW_SX_EUlSW_E_NS1_11comp_targetILNS1_3genE10ELNS1_11target_archE1200ELNS1_3gpuE4ELNS1_3repE0EEENS1_30default_config_static_selectorELNS0_4arch9wavefront6targetE1EEEvT1_,comdat
	.protected	_ZN7rocprim17ROCPRIM_400000_NS6detail17trampoline_kernelINS0_14default_configENS1_27scan_by_key_config_selectorIifEEZZNS1_16scan_by_key_implILNS1_25lookback_scan_determinismE0ELb0ES3_N6thrust23THRUST_200600_302600_NS6detail15normal_iteratorINS9_10device_ptrIiEEEENSB_INSC_IfEEEESG_fNS9_4plusIvEENS9_8equal_toIvEEfEE10hipError_tPvRmT2_T3_T4_T5_mT6_T7_P12ihipStream_tbENKUlT_T0_E_clISt17integral_constantIbLb0EES11_EEDaSW_SX_EUlSW_E_NS1_11comp_targetILNS1_3genE10ELNS1_11target_archE1200ELNS1_3gpuE4ELNS1_3repE0EEENS1_30default_config_static_selectorELNS0_4arch9wavefront6targetE1EEEvT1_ ; -- Begin function _ZN7rocprim17ROCPRIM_400000_NS6detail17trampoline_kernelINS0_14default_configENS1_27scan_by_key_config_selectorIifEEZZNS1_16scan_by_key_implILNS1_25lookback_scan_determinismE0ELb0ES3_N6thrust23THRUST_200600_302600_NS6detail15normal_iteratorINS9_10device_ptrIiEEEENSB_INSC_IfEEEESG_fNS9_4plusIvEENS9_8equal_toIvEEfEE10hipError_tPvRmT2_T3_T4_T5_mT6_T7_P12ihipStream_tbENKUlT_T0_E_clISt17integral_constantIbLb0EES11_EEDaSW_SX_EUlSW_E_NS1_11comp_targetILNS1_3genE10ELNS1_11target_archE1200ELNS1_3gpuE4ELNS1_3repE0EEENS1_30default_config_static_selectorELNS0_4arch9wavefront6targetE1EEEvT1_
	.globl	_ZN7rocprim17ROCPRIM_400000_NS6detail17trampoline_kernelINS0_14default_configENS1_27scan_by_key_config_selectorIifEEZZNS1_16scan_by_key_implILNS1_25lookback_scan_determinismE0ELb0ES3_N6thrust23THRUST_200600_302600_NS6detail15normal_iteratorINS9_10device_ptrIiEEEENSB_INSC_IfEEEESG_fNS9_4plusIvEENS9_8equal_toIvEEfEE10hipError_tPvRmT2_T3_T4_T5_mT6_T7_P12ihipStream_tbENKUlT_T0_E_clISt17integral_constantIbLb0EES11_EEDaSW_SX_EUlSW_E_NS1_11comp_targetILNS1_3genE10ELNS1_11target_archE1200ELNS1_3gpuE4ELNS1_3repE0EEENS1_30default_config_static_selectorELNS0_4arch9wavefront6targetE1EEEvT1_
	.p2align	8
	.type	_ZN7rocprim17ROCPRIM_400000_NS6detail17trampoline_kernelINS0_14default_configENS1_27scan_by_key_config_selectorIifEEZZNS1_16scan_by_key_implILNS1_25lookback_scan_determinismE0ELb0ES3_N6thrust23THRUST_200600_302600_NS6detail15normal_iteratorINS9_10device_ptrIiEEEENSB_INSC_IfEEEESG_fNS9_4plusIvEENS9_8equal_toIvEEfEE10hipError_tPvRmT2_T3_T4_T5_mT6_T7_P12ihipStream_tbENKUlT_T0_E_clISt17integral_constantIbLb0EES11_EEDaSW_SX_EUlSW_E_NS1_11comp_targetILNS1_3genE10ELNS1_11target_archE1200ELNS1_3gpuE4ELNS1_3repE0EEENS1_30default_config_static_selectorELNS0_4arch9wavefront6targetE1EEEvT1_,@function
_ZN7rocprim17ROCPRIM_400000_NS6detail17trampoline_kernelINS0_14default_configENS1_27scan_by_key_config_selectorIifEEZZNS1_16scan_by_key_implILNS1_25lookback_scan_determinismE0ELb0ES3_N6thrust23THRUST_200600_302600_NS6detail15normal_iteratorINS9_10device_ptrIiEEEENSB_INSC_IfEEEESG_fNS9_4plusIvEENS9_8equal_toIvEEfEE10hipError_tPvRmT2_T3_T4_T5_mT6_T7_P12ihipStream_tbENKUlT_T0_E_clISt17integral_constantIbLb0EES11_EEDaSW_SX_EUlSW_E_NS1_11comp_targetILNS1_3genE10ELNS1_11target_archE1200ELNS1_3gpuE4ELNS1_3repE0EEENS1_30default_config_static_selectorELNS0_4arch9wavefront6targetE1EEEvT1_: ; @_ZN7rocprim17ROCPRIM_400000_NS6detail17trampoline_kernelINS0_14default_configENS1_27scan_by_key_config_selectorIifEEZZNS1_16scan_by_key_implILNS1_25lookback_scan_determinismE0ELb0ES3_N6thrust23THRUST_200600_302600_NS6detail15normal_iteratorINS9_10device_ptrIiEEEENSB_INSC_IfEEEESG_fNS9_4plusIvEENS9_8equal_toIvEEfEE10hipError_tPvRmT2_T3_T4_T5_mT6_T7_P12ihipStream_tbENKUlT_T0_E_clISt17integral_constantIbLb0EES11_EEDaSW_SX_EUlSW_E_NS1_11comp_targetILNS1_3genE10ELNS1_11target_archE1200ELNS1_3gpuE4ELNS1_3repE0EEENS1_30default_config_static_selectorELNS0_4arch9wavefront6targetE1EEEvT1_
; %bb.0:
	.section	.rodata,"a",@progbits
	.p2align	6, 0x0
	.amdhsa_kernel _ZN7rocprim17ROCPRIM_400000_NS6detail17trampoline_kernelINS0_14default_configENS1_27scan_by_key_config_selectorIifEEZZNS1_16scan_by_key_implILNS1_25lookback_scan_determinismE0ELb0ES3_N6thrust23THRUST_200600_302600_NS6detail15normal_iteratorINS9_10device_ptrIiEEEENSB_INSC_IfEEEESG_fNS9_4plusIvEENS9_8equal_toIvEEfEE10hipError_tPvRmT2_T3_T4_T5_mT6_T7_P12ihipStream_tbENKUlT_T0_E_clISt17integral_constantIbLb0EES11_EEDaSW_SX_EUlSW_E_NS1_11comp_targetILNS1_3genE10ELNS1_11target_archE1200ELNS1_3gpuE4ELNS1_3repE0EEENS1_30default_config_static_selectorELNS0_4arch9wavefront6targetE1EEEvT1_
		.amdhsa_group_segment_fixed_size 0
		.amdhsa_private_segment_fixed_size 0
		.amdhsa_kernarg_size 112
		.amdhsa_user_sgpr_count 6
		.amdhsa_user_sgpr_private_segment_buffer 1
		.amdhsa_user_sgpr_dispatch_ptr 0
		.amdhsa_user_sgpr_queue_ptr 0
		.amdhsa_user_sgpr_kernarg_segment_ptr 1
		.amdhsa_user_sgpr_dispatch_id 0
		.amdhsa_user_sgpr_flat_scratch_init 0
		.amdhsa_user_sgpr_kernarg_preload_length 0
		.amdhsa_user_sgpr_kernarg_preload_offset 0
		.amdhsa_user_sgpr_private_segment_size 0
		.amdhsa_uses_dynamic_stack 0
		.amdhsa_system_sgpr_private_segment_wavefront_offset 0
		.amdhsa_system_sgpr_workgroup_id_x 1
		.amdhsa_system_sgpr_workgroup_id_y 0
		.amdhsa_system_sgpr_workgroup_id_z 0
		.amdhsa_system_sgpr_workgroup_info 0
		.amdhsa_system_vgpr_workitem_id 0
		.amdhsa_next_free_vgpr 1
		.amdhsa_next_free_sgpr 0
		.amdhsa_accum_offset 4
		.amdhsa_reserve_vcc 0
		.amdhsa_reserve_flat_scratch 0
		.amdhsa_float_round_mode_32 0
		.amdhsa_float_round_mode_16_64 0
		.amdhsa_float_denorm_mode_32 3
		.amdhsa_float_denorm_mode_16_64 3
		.amdhsa_dx10_clamp 1
		.amdhsa_ieee_mode 1
		.amdhsa_fp16_overflow 0
		.amdhsa_tg_split 0
		.amdhsa_exception_fp_ieee_invalid_op 0
		.amdhsa_exception_fp_denorm_src 0
		.amdhsa_exception_fp_ieee_div_zero 0
		.amdhsa_exception_fp_ieee_overflow 0
		.amdhsa_exception_fp_ieee_underflow 0
		.amdhsa_exception_fp_ieee_inexact 0
		.amdhsa_exception_int_div_zero 0
	.end_amdhsa_kernel
	.section	.text._ZN7rocprim17ROCPRIM_400000_NS6detail17trampoline_kernelINS0_14default_configENS1_27scan_by_key_config_selectorIifEEZZNS1_16scan_by_key_implILNS1_25lookback_scan_determinismE0ELb0ES3_N6thrust23THRUST_200600_302600_NS6detail15normal_iteratorINS9_10device_ptrIiEEEENSB_INSC_IfEEEESG_fNS9_4plusIvEENS9_8equal_toIvEEfEE10hipError_tPvRmT2_T3_T4_T5_mT6_T7_P12ihipStream_tbENKUlT_T0_E_clISt17integral_constantIbLb0EES11_EEDaSW_SX_EUlSW_E_NS1_11comp_targetILNS1_3genE10ELNS1_11target_archE1200ELNS1_3gpuE4ELNS1_3repE0EEENS1_30default_config_static_selectorELNS0_4arch9wavefront6targetE1EEEvT1_,"axG",@progbits,_ZN7rocprim17ROCPRIM_400000_NS6detail17trampoline_kernelINS0_14default_configENS1_27scan_by_key_config_selectorIifEEZZNS1_16scan_by_key_implILNS1_25lookback_scan_determinismE0ELb0ES3_N6thrust23THRUST_200600_302600_NS6detail15normal_iteratorINS9_10device_ptrIiEEEENSB_INSC_IfEEEESG_fNS9_4plusIvEENS9_8equal_toIvEEfEE10hipError_tPvRmT2_T3_T4_T5_mT6_T7_P12ihipStream_tbENKUlT_T0_E_clISt17integral_constantIbLb0EES11_EEDaSW_SX_EUlSW_E_NS1_11comp_targetILNS1_3genE10ELNS1_11target_archE1200ELNS1_3gpuE4ELNS1_3repE0EEENS1_30default_config_static_selectorELNS0_4arch9wavefront6targetE1EEEvT1_,comdat
.Lfunc_end1136:
	.size	_ZN7rocprim17ROCPRIM_400000_NS6detail17trampoline_kernelINS0_14default_configENS1_27scan_by_key_config_selectorIifEEZZNS1_16scan_by_key_implILNS1_25lookback_scan_determinismE0ELb0ES3_N6thrust23THRUST_200600_302600_NS6detail15normal_iteratorINS9_10device_ptrIiEEEENSB_INSC_IfEEEESG_fNS9_4plusIvEENS9_8equal_toIvEEfEE10hipError_tPvRmT2_T3_T4_T5_mT6_T7_P12ihipStream_tbENKUlT_T0_E_clISt17integral_constantIbLb0EES11_EEDaSW_SX_EUlSW_E_NS1_11comp_targetILNS1_3genE10ELNS1_11target_archE1200ELNS1_3gpuE4ELNS1_3repE0EEENS1_30default_config_static_selectorELNS0_4arch9wavefront6targetE1EEEvT1_, .Lfunc_end1136-_ZN7rocprim17ROCPRIM_400000_NS6detail17trampoline_kernelINS0_14default_configENS1_27scan_by_key_config_selectorIifEEZZNS1_16scan_by_key_implILNS1_25lookback_scan_determinismE0ELb0ES3_N6thrust23THRUST_200600_302600_NS6detail15normal_iteratorINS9_10device_ptrIiEEEENSB_INSC_IfEEEESG_fNS9_4plusIvEENS9_8equal_toIvEEfEE10hipError_tPvRmT2_T3_T4_T5_mT6_T7_P12ihipStream_tbENKUlT_T0_E_clISt17integral_constantIbLb0EES11_EEDaSW_SX_EUlSW_E_NS1_11comp_targetILNS1_3genE10ELNS1_11target_archE1200ELNS1_3gpuE4ELNS1_3repE0EEENS1_30default_config_static_selectorELNS0_4arch9wavefront6targetE1EEEvT1_
                                        ; -- End function
	.section	.AMDGPU.csdata,"",@progbits
; Kernel info:
; codeLenInByte = 0
; NumSgprs: 4
; NumVgprs: 0
; NumAgprs: 0
; TotalNumVgprs: 0
; ScratchSize: 0
; MemoryBound: 0
; FloatMode: 240
; IeeeMode: 1
; LDSByteSize: 0 bytes/workgroup (compile time only)
; SGPRBlocks: 0
; VGPRBlocks: 0
; NumSGPRsForWavesPerEU: 4
; NumVGPRsForWavesPerEU: 1
; AccumOffset: 4
; Occupancy: 8
; WaveLimiterHint : 0
; COMPUTE_PGM_RSRC2:SCRATCH_EN: 0
; COMPUTE_PGM_RSRC2:USER_SGPR: 6
; COMPUTE_PGM_RSRC2:TRAP_HANDLER: 0
; COMPUTE_PGM_RSRC2:TGID_X_EN: 1
; COMPUTE_PGM_RSRC2:TGID_Y_EN: 0
; COMPUTE_PGM_RSRC2:TGID_Z_EN: 0
; COMPUTE_PGM_RSRC2:TIDIG_COMP_CNT: 0
; COMPUTE_PGM_RSRC3_GFX90A:ACCUM_OFFSET: 0
; COMPUTE_PGM_RSRC3_GFX90A:TG_SPLIT: 0
	.section	.text._ZN7rocprim17ROCPRIM_400000_NS6detail17trampoline_kernelINS0_14default_configENS1_27scan_by_key_config_selectorIifEEZZNS1_16scan_by_key_implILNS1_25lookback_scan_determinismE0ELb0ES3_N6thrust23THRUST_200600_302600_NS6detail15normal_iteratorINS9_10device_ptrIiEEEENSB_INSC_IfEEEESG_fNS9_4plusIvEENS9_8equal_toIvEEfEE10hipError_tPvRmT2_T3_T4_T5_mT6_T7_P12ihipStream_tbENKUlT_T0_E_clISt17integral_constantIbLb0EES11_EEDaSW_SX_EUlSW_E_NS1_11comp_targetILNS1_3genE9ELNS1_11target_archE1100ELNS1_3gpuE3ELNS1_3repE0EEENS1_30default_config_static_selectorELNS0_4arch9wavefront6targetE1EEEvT1_,"axG",@progbits,_ZN7rocprim17ROCPRIM_400000_NS6detail17trampoline_kernelINS0_14default_configENS1_27scan_by_key_config_selectorIifEEZZNS1_16scan_by_key_implILNS1_25lookback_scan_determinismE0ELb0ES3_N6thrust23THRUST_200600_302600_NS6detail15normal_iteratorINS9_10device_ptrIiEEEENSB_INSC_IfEEEESG_fNS9_4plusIvEENS9_8equal_toIvEEfEE10hipError_tPvRmT2_T3_T4_T5_mT6_T7_P12ihipStream_tbENKUlT_T0_E_clISt17integral_constantIbLb0EES11_EEDaSW_SX_EUlSW_E_NS1_11comp_targetILNS1_3genE9ELNS1_11target_archE1100ELNS1_3gpuE3ELNS1_3repE0EEENS1_30default_config_static_selectorELNS0_4arch9wavefront6targetE1EEEvT1_,comdat
	.protected	_ZN7rocprim17ROCPRIM_400000_NS6detail17trampoline_kernelINS0_14default_configENS1_27scan_by_key_config_selectorIifEEZZNS1_16scan_by_key_implILNS1_25lookback_scan_determinismE0ELb0ES3_N6thrust23THRUST_200600_302600_NS6detail15normal_iteratorINS9_10device_ptrIiEEEENSB_INSC_IfEEEESG_fNS9_4plusIvEENS9_8equal_toIvEEfEE10hipError_tPvRmT2_T3_T4_T5_mT6_T7_P12ihipStream_tbENKUlT_T0_E_clISt17integral_constantIbLb0EES11_EEDaSW_SX_EUlSW_E_NS1_11comp_targetILNS1_3genE9ELNS1_11target_archE1100ELNS1_3gpuE3ELNS1_3repE0EEENS1_30default_config_static_selectorELNS0_4arch9wavefront6targetE1EEEvT1_ ; -- Begin function _ZN7rocprim17ROCPRIM_400000_NS6detail17trampoline_kernelINS0_14default_configENS1_27scan_by_key_config_selectorIifEEZZNS1_16scan_by_key_implILNS1_25lookback_scan_determinismE0ELb0ES3_N6thrust23THRUST_200600_302600_NS6detail15normal_iteratorINS9_10device_ptrIiEEEENSB_INSC_IfEEEESG_fNS9_4plusIvEENS9_8equal_toIvEEfEE10hipError_tPvRmT2_T3_T4_T5_mT6_T7_P12ihipStream_tbENKUlT_T0_E_clISt17integral_constantIbLb0EES11_EEDaSW_SX_EUlSW_E_NS1_11comp_targetILNS1_3genE9ELNS1_11target_archE1100ELNS1_3gpuE3ELNS1_3repE0EEENS1_30default_config_static_selectorELNS0_4arch9wavefront6targetE1EEEvT1_
	.globl	_ZN7rocprim17ROCPRIM_400000_NS6detail17trampoline_kernelINS0_14default_configENS1_27scan_by_key_config_selectorIifEEZZNS1_16scan_by_key_implILNS1_25lookback_scan_determinismE0ELb0ES3_N6thrust23THRUST_200600_302600_NS6detail15normal_iteratorINS9_10device_ptrIiEEEENSB_INSC_IfEEEESG_fNS9_4plusIvEENS9_8equal_toIvEEfEE10hipError_tPvRmT2_T3_T4_T5_mT6_T7_P12ihipStream_tbENKUlT_T0_E_clISt17integral_constantIbLb0EES11_EEDaSW_SX_EUlSW_E_NS1_11comp_targetILNS1_3genE9ELNS1_11target_archE1100ELNS1_3gpuE3ELNS1_3repE0EEENS1_30default_config_static_selectorELNS0_4arch9wavefront6targetE1EEEvT1_
	.p2align	8
	.type	_ZN7rocprim17ROCPRIM_400000_NS6detail17trampoline_kernelINS0_14default_configENS1_27scan_by_key_config_selectorIifEEZZNS1_16scan_by_key_implILNS1_25lookback_scan_determinismE0ELb0ES3_N6thrust23THRUST_200600_302600_NS6detail15normal_iteratorINS9_10device_ptrIiEEEENSB_INSC_IfEEEESG_fNS9_4plusIvEENS9_8equal_toIvEEfEE10hipError_tPvRmT2_T3_T4_T5_mT6_T7_P12ihipStream_tbENKUlT_T0_E_clISt17integral_constantIbLb0EES11_EEDaSW_SX_EUlSW_E_NS1_11comp_targetILNS1_3genE9ELNS1_11target_archE1100ELNS1_3gpuE3ELNS1_3repE0EEENS1_30default_config_static_selectorELNS0_4arch9wavefront6targetE1EEEvT1_,@function
_ZN7rocprim17ROCPRIM_400000_NS6detail17trampoline_kernelINS0_14default_configENS1_27scan_by_key_config_selectorIifEEZZNS1_16scan_by_key_implILNS1_25lookback_scan_determinismE0ELb0ES3_N6thrust23THRUST_200600_302600_NS6detail15normal_iteratorINS9_10device_ptrIiEEEENSB_INSC_IfEEEESG_fNS9_4plusIvEENS9_8equal_toIvEEfEE10hipError_tPvRmT2_T3_T4_T5_mT6_T7_P12ihipStream_tbENKUlT_T0_E_clISt17integral_constantIbLb0EES11_EEDaSW_SX_EUlSW_E_NS1_11comp_targetILNS1_3genE9ELNS1_11target_archE1100ELNS1_3gpuE3ELNS1_3repE0EEENS1_30default_config_static_selectorELNS0_4arch9wavefront6targetE1EEEvT1_: ; @_ZN7rocprim17ROCPRIM_400000_NS6detail17trampoline_kernelINS0_14default_configENS1_27scan_by_key_config_selectorIifEEZZNS1_16scan_by_key_implILNS1_25lookback_scan_determinismE0ELb0ES3_N6thrust23THRUST_200600_302600_NS6detail15normal_iteratorINS9_10device_ptrIiEEEENSB_INSC_IfEEEESG_fNS9_4plusIvEENS9_8equal_toIvEEfEE10hipError_tPvRmT2_T3_T4_T5_mT6_T7_P12ihipStream_tbENKUlT_T0_E_clISt17integral_constantIbLb0EES11_EEDaSW_SX_EUlSW_E_NS1_11comp_targetILNS1_3genE9ELNS1_11target_archE1100ELNS1_3gpuE3ELNS1_3repE0EEENS1_30default_config_static_selectorELNS0_4arch9wavefront6targetE1EEEvT1_
; %bb.0:
	.section	.rodata,"a",@progbits
	.p2align	6, 0x0
	.amdhsa_kernel _ZN7rocprim17ROCPRIM_400000_NS6detail17trampoline_kernelINS0_14default_configENS1_27scan_by_key_config_selectorIifEEZZNS1_16scan_by_key_implILNS1_25lookback_scan_determinismE0ELb0ES3_N6thrust23THRUST_200600_302600_NS6detail15normal_iteratorINS9_10device_ptrIiEEEENSB_INSC_IfEEEESG_fNS9_4plusIvEENS9_8equal_toIvEEfEE10hipError_tPvRmT2_T3_T4_T5_mT6_T7_P12ihipStream_tbENKUlT_T0_E_clISt17integral_constantIbLb0EES11_EEDaSW_SX_EUlSW_E_NS1_11comp_targetILNS1_3genE9ELNS1_11target_archE1100ELNS1_3gpuE3ELNS1_3repE0EEENS1_30default_config_static_selectorELNS0_4arch9wavefront6targetE1EEEvT1_
		.amdhsa_group_segment_fixed_size 0
		.amdhsa_private_segment_fixed_size 0
		.amdhsa_kernarg_size 112
		.amdhsa_user_sgpr_count 6
		.amdhsa_user_sgpr_private_segment_buffer 1
		.amdhsa_user_sgpr_dispatch_ptr 0
		.amdhsa_user_sgpr_queue_ptr 0
		.amdhsa_user_sgpr_kernarg_segment_ptr 1
		.amdhsa_user_sgpr_dispatch_id 0
		.amdhsa_user_sgpr_flat_scratch_init 0
		.amdhsa_user_sgpr_kernarg_preload_length 0
		.amdhsa_user_sgpr_kernarg_preload_offset 0
		.amdhsa_user_sgpr_private_segment_size 0
		.amdhsa_uses_dynamic_stack 0
		.amdhsa_system_sgpr_private_segment_wavefront_offset 0
		.amdhsa_system_sgpr_workgroup_id_x 1
		.amdhsa_system_sgpr_workgroup_id_y 0
		.amdhsa_system_sgpr_workgroup_id_z 0
		.amdhsa_system_sgpr_workgroup_info 0
		.amdhsa_system_vgpr_workitem_id 0
		.amdhsa_next_free_vgpr 1
		.amdhsa_next_free_sgpr 0
		.amdhsa_accum_offset 4
		.amdhsa_reserve_vcc 0
		.amdhsa_reserve_flat_scratch 0
		.amdhsa_float_round_mode_32 0
		.amdhsa_float_round_mode_16_64 0
		.amdhsa_float_denorm_mode_32 3
		.amdhsa_float_denorm_mode_16_64 3
		.amdhsa_dx10_clamp 1
		.amdhsa_ieee_mode 1
		.amdhsa_fp16_overflow 0
		.amdhsa_tg_split 0
		.amdhsa_exception_fp_ieee_invalid_op 0
		.amdhsa_exception_fp_denorm_src 0
		.amdhsa_exception_fp_ieee_div_zero 0
		.amdhsa_exception_fp_ieee_overflow 0
		.amdhsa_exception_fp_ieee_underflow 0
		.amdhsa_exception_fp_ieee_inexact 0
		.amdhsa_exception_int_div_zero 0
	.end_amdhsa_kernel
	.section	.text._ZN7rocprim17ROCPRIM_400000_NS6detail17trampoline_kernelINS0_14default_configENS1_27scan_by_key_config_selectorIifEEZZNS1_16scan_by_key_implILNS1_25lookback_scan_determinismE0ELb0ES3_N6thrust23THRUST_200600_302600_NS6detail15normal_iteratorINS9_10device_ptrIiEEEENSB_INSC_IfEEEESG_fNS9_4plusIvEENS9_8equal_toIvEEfEE10hipError_tPvRmT2_T3_T4_T5_mT6_T7_P12ihipStream_tbENKUlT_T0_E_clISt17integral_constantIbLb0EES11_EEDaSW_SX_EUlSW_E_NS1_11comp_targetILNS1_3genE9ELNS1_11target_archE1100ELNS1_3gpuE3ELNS1_3repE0EEENS1_30default_config_static_selectorELNS0_4arch9wavefront6targetE1EEEvT1_,"axG",@progbits,_ZN7rocprim17ROCPRIM_400000_NS6detail17trampoline_kernelINS0_14default_configENS1_27scan_by_key_config_selectorIifEEZZNS1_16scan_by_key_implILNS1_25lookback_scan_determinismE0ELb0ES3_N6thrust23THRUST_200600_302600_NS6detail15normal_iteratorINS9_10device_ptrIiEEEENSB_INSC_IfEEEESG_fNS9_4plusIvEENS9_8equal_toIvEEfEE10hipError_tPvRmT2_T3_T4_T5_mT6_T7_P12ihipStream_tbENKUlT_T0_E_clISt17integral_constantIbLb0EES11_EEDaSW_SX_EUlSW_E_NS1_11comp_targetILNS1_3genE9ELNS1_11target_archE1100ELNS1_3gpuE3ELNS1_3repE0EEENS1_30default_config_static_selectorELNS0_4arch9wavefront6targetE1EEEvT1_,comdat
.Lfunc_end1137:
	.size	_ZN7rocprim17ROCPRIM_400000_NS6detail17trampoline_kernelINS0_14default_configENS1_27scan_by_key_config_selectorIifEEZZNS1_16scan_by_key_implILNS1_25lookback_scan_determinismE0ELb0ES3_N6thrust23THRUST_200600_302600_NS6detail15normal_iteratorINS9_10device_ptrIiEEEENSB_INSC_IfEEEESG_fNS9_4plusIvEENS9_8equal_toIvEEfEE10hipError_tPvRmT2_T3_T4_T5_mT6_T7_P12ihipStream_tbENKUlT_T0_E_clISt17integral_constantIbLb0EES11_EEDaSW_SX_EUlSW_E_NS1_11comp_targetILNS1_3genE9ELNS1_11target_archE1100ELNS1_3gpuE3ELNS1_3repE0EEENS1_30default_config_static_selectorELNS0_4arch9wavefront6targetE1EEEvT1_, .Lfunc_end1137-_ZN7rocprim17ROCPRIM_400000_NS6detail17trampoline_kernelINS0_14default_configENS1_27scan_by_key_config_selectorIifEEZZNS1_16scan_by_key_implILNS1_25lookback_scan_determinismE0ELb0ES3_N6thrust23THRUST_200600_302600_NS6detail15normal_iteratorINS9_10device_ptrIiEEEENSB_INSC_IfEEEESG_fNS9_4plusIvEENS9_8equal_toIvEEfEE10hipError_tPvRmT2_T3_T4_T5_mT6_T7_P12ihipStream_tbENKUlT_T0_E_clISt17integral_constantIbLb0EES11_EEDaSW_SX_EUlSW_E_NS1_11comp_targetILNS1_3genE9ELNS1_11target_archE1100ELNS1_3gpuE3ELNS1_3repE0EEENS1_30default_config_static_selectorELNS0_4arch9wavefront6targetE1EEEvT1_
                                        ; -- End function
	.section	.AMDGPU.csdata,"",@progbits
; Kernel info:
; codeLenInByte = 0
; NumSgprs: 4
; NumVgprs: 0
; NumAgprs: 0
; TotalNumVgprs: 0
; ScratchSize: 0
; MemoryBound: 0
; FloatMode: 240
; IeeeMode: 1
; LDSByteSize: 0 bytes/workgroup (compile time only)
; SGPRBlocks: 0
; VGPRBlocks: 0
; NumSGPRsForWavesPerEU: 4
; NumVGPRsForWavesPerEU: 1
; AccumOffset: 4
; Occupancy: 8
; WaveLimiterHint : 0
; COMPUTE_PGM_RSRC2:SCRATCH_EN: 0
; COMPUTE_PGM_RSRC2:USER_SGPR: 6
; COMPUTE_PGM_RSRC2:TRAP_HANDLER: 0
; COMPUTE_PGM_RSRC2:TGID_X_EN: 1
; COMPUTE_PGM_RSRC2:TGID_Y_EN: 0
; COMPUTE_PGM_RSRC2:TGID_Z_EN: 0
; COMPUTE_PGM_RSRC2:TIDIG_COMP_CNT: 0
; COMPUTE_PGM_RSRC3_GFX90A:ACCUM_OFFSET: 0
; COMPUTE_PGM_RSRC3_GFX90A:TG_SPLIT: 0
	.section	.text._ZN7rocprim17ROCPRIM_400000_NS6detail17trampoline_kernelINS0_14default_configENS1_27scan_by_key_config_selectorIifEEZZNS1_16scan_by_key_implILNS1_25lookback_scan_determinismE0ELb0ES3_N6thrust23THRUST_200600_302600_NS6detail15normal_iteratorINS9_10device_ptrIiEEEENSB_INSC_IfEEEESG_fNS9_4plusIvEENS9_8equal_toIvEEfEE10hipError_tPvRmT2_T3_T4_T5_mT6_T7_P12ihipStream_tbENKUlT_T0_E_clISt17integral_constantIbLb0EES11_EEDaSW_SX_EUlSW_E_NS1_11comp_targetILNS1_3genE8ELNS1_11target_archE1030ELNS1_3gpuE2ELNS1_3repE0EEENS1_30default_config_static_selectorELNS0_4arch9wavefront6targetE1EEEvT1_,"axG",@progbits,_ZN7rocprim17ROCPRIM_400000_NS6detail17trampoline_kernelINS0_14default_configENS1_27scan_by_key_config_selectorIifEEZZNS1_16scan_by_key_implILNS1_25lookback_scan_determinismE0ELb0ES3_N6thrust23THRUST_200600_302600_NS6detail15normal_iteratorINS9_10device_ptrIiEEEENSB_INSC_IfEEEESG_fNS9_4plusIvEENS9_8equal_toIvEEfEE10hipError_tPvRmT2_T3_T4_T5_mT6_T7_P12ihipStream_tbENKUlT_T0_E_clISt17integral_constantIbLb0EES11_EEDaSW_SX_EUlSW_E_NS1_11comp_targetILNS1_3genE8ELNS1_11target_archE1030ELNS1_3gpuE2ELNS1_3repE0EEENS1_30default_config_static_selectorELNS0_4arch9wavefront6targetE1EEEvT1_,comdat
	.protected	_ZN7rocprim17ROCPRIM_400000_NS6detail17trampoline_kernelINS0_14default_configENS1_27scan_by_key_config_selectorIifEEZZNS1_16scan_by_key_implILNS1_25lookback_scan_determinismE0ELb0ES3_N6thrust23THRUST_200600_302600_NS6detail15normal_iteratorINS9_10device_ptrIiEEEENSB_INSC_IfEEEESG_fNS9_4plusIvEENS9_8equal_toIvEEfEE10hipError_tPvRmT2_T3_T4_T5_mT6_T7_P12ihipStream_tbENKUlT_T0_E_clISt17integral_constantIbLb0EES11_EEDaSW_SX_EUlSW_E_NS1_11comp_targetILNS1_3genE8ELNS1_11target_archE1030ELNS1_3gpuE2ELNS1_3repE0EEENS1_30default_config_static_selectorELNS0_4arch9wavefront6targetE1EEEvT1_ ; -- Begin function _ZN7rocprim17ROCPRIM_400000_NS6detail17trampoline_kernelINS0_14default_configENS1_27scan_by_key_config_selectorIifEEZZNS1_16scan_by_key_implILNS1_25lookback_scan_determinismE0ELb0ES3_N6thrust23THRUST_200600_302600_NS6detail15normal_iteratorINS9_10device_ptrIiEEEENSB_INSC_IfEEEESG_fNS9_4plusIvEENS9_8equal_toIvEEfEE10hipError_tPvRmT2_T3_T4_T5_mT6_T7_P12ihipStream_tbENKUlT_T0_E_clISt17integral_constantIbLb0EES11_EEDaSW_SX_EUlSW_E_NS1_11comp_targetILNS1_3genE8ELNS1_11target_archE1030ELNS1_3gpuE2ELNS1_3repE0EEENS1_30default_config_static_selectorELNS0_4arch9wavefront6targetE1EEEvT1_
	.globl	_ZN7rocprim17ROCPRIM_400000_NS6detail17trampoline_kernelINS0_14default_configENS1_27scan_by_key_config_selectorIifEEZZNS1_16scan_by_key_implILNS1_25lookback_scan_determinismE0ELb0ES3_N6thrust23THRUST_200600_302600_NS6detail15normal_iteratorINS9_10device_ptrIiEEEENSB_INSC_IfEEEESG_fNS9_4plusIvEENS9_8equal_toIvEEfEE10hipError_tPvRmT2_T3_T4_T5_mT6_T7_P12ihipStream_tbENKUlT_T0_E_clISt17integral_constantIbLb0EES11_EEDaSW_SX_EUlSW_E_NS1_11comp_targetILNS1_3genE8ELNS1_11target_archE1030ELNS1_3gpuE2ELNS1_3repE0EEENS1_30default_config_static_selectorELNS0_4arch9wavefront6targetE1EEEvT1_
	.p2align	8
	.type	_ZN7rocprim17ROCPRIM_400000_NS6detail17trampoline_kernelINS0_14default_configENS1_27scan_by_key_config_selectorIifEEZZNS1_16scan_by_key_implILNS1_25lookback_scan_determinismE0ELb0ES3_N6thrust23THRUST_200600_302600_NS6detail15normal_iteratorINS9_10device_ptrIiEEEENSB_INSC_IfEEEESG_fNS9_4plusIvEENS9_8equal_toIvEEfEE10hipError_tPvRmT2_T3_T4_T5_mT6_T7_P12ihipStream_tbENKUlT_T0_E_clISt17integral_constantIbLb0EES11_EEDaSW_SX_EUlSW_E_NS1_11comp_targetILNS1_3genE8ELNS1_11target_archE1030ELNS1_3gpuE2ELNS1_3repE0EEENS1_30default_config_static_selectorELNS0_4arch9wavefront6targetE1EEEvT1_,@function
_ZN7rocprim17ROCPRIM_400000_NS6detail17trampoline_kernelINS0_14default_configENS1_27scan_by_key_config_selectorIifEEZZNS1_16scan_by_key_implILNS1_25lookback_scan_determinismE0ELb0ES3_N6thrust23THRUST_200600_302600_NS6detail15normal_iteratorINS9_10device_ptrIiEEEENSB_INSC_IfEEEESG_fNS9_4plusIvEENS9_8equal_toIvEEfEE10hipError_tPvRmT2_T3_T4_T5_mT6_T7_P12ihipStream_tbENKUlT_T0_E_clISt17integral_constantIbLb0EES11_EEDaSW_SX_EUlSW_E_NS1_11comp_targetILNS1_3genE8ELNS1_11target_archE1030ELNS1_3gpuE2ELNS1_3repE0EEENS1_30default_config_static_selectorELNS0_4arch9wavefront6targetE1EEEvT1_: ; @_ZN7rocprim17ROCPRIM_400000_NS6detail17trampoline_kernelINS0_14default_configENS1_27scan_by_key_config_selectorIifEEZZNS1_16scan_by_key_implILNS1_25lookback_scan_determinismE0ELb0ES3_N6thrust23THRUST_200600_302600_NS6detail15normal_iteratorINS9_10device_ptrIiEEEENSB_INSC_IfEEEESG_fNS9_4plusIvEENS9_8equal_toIvEEfEE10hipError_tPvRmT2_T3_T4_T5_mT6_T7_P12ihipStream_tbENKUlT_T0_E_clISt17integral_constantIbLb0EES11_EEDaSW_SX_EUlSW_E_NS1_11comp_targetILNS1_3genE8ELNS1_11target_archE1030ELNS1_3gpuE2ELNS1_3repE0EEENS1_30default_config_static_selectorELNS0_4arch9wavefront6targetE1EEEvT1_
; %bb.0:
	.section	.rodata,"a",@progbits
	.p2align	6, 0x0
	.amdhsa_kernel _ZN7rocprim17ROCPRIM_400000_NS6detail17trampoline_kernelINS0_14default_configENS1_27scan_by_key_config_selectorIifEEZZNS1_16scan_by_key_implILNS1_25lookback_scan_determinismE0ELb0ES3_N6thrust23THRUST_200600_302600_NS6detail15normal_iteratorINS9_10device_ptrIiEEEENSB_INSC_IfEEEESG_fNS9_4plusIvEENS9_8equal_toIvEEfEE10hipError_tPvRmT2_T3_T4_T5_mT6_T7_P12ihipStream_tbENKUlT_T0_E_clISt17integral_constantIbLb0EES11_EEDaSW_SX_EUlSW_E_NS1_11comp_targetILNS1_3genE8ELNS1_11target_archE1030ELNS1_3gpuE2ELNS1_3repE0EEENS1_30default_config_static_selectorELNS0_4arch9wavefront6targetE1EEEvT1_
		.amdhsa_group_segment_fixed_size 0
		.amdhsa_private_segment_fixed_size 0
		.amdhsa_kernarg_size 112
		.amdhsa_user_sgpr_count 6
		.amdhsa_user_sgpr_private_segment_buffer 1
		.amdhsa_user_sgpr_dispatch_ptr 0
		.amdhsa_user_sgpr_queue_ptr 0
		.amdhsa_user_sgpr_kernarg_segment_ptr 1
		.amdhsa_user_sgpr_dispatch_id 0
		.amdhsa_user_sgpr_flat_scratch_init 0
		.amdhsa_user_sgpr_kernarg_preload_length 0
		.amdhsa_user_sgpr_kernarg_preload_offset 0
		.amdhsa_user_sgpr_private_segment_size 0
		.amdhsa_uses_dynamic_stack 0
		.amdhsa_system_sgpr_private_segment_wavefront_offset 0
		.amdhsa_system_sgpr_workgroup_id_x 1
		.amdhsa_system_sgpr_workgroup_id_y 0
		.amdhsa_system_sgpr_workgroup_id_z 0
		.amdhsa_system_sgpr_workgroup_info 0
		.amdhsa_system_vgpr_workitem_id 0
		.amdhsa_next_free_vgpr 1
		.amdhsa_next_free_sgpr 0
		.amdhsa_accum_offset 4
		.amdhsa_reserve_vcc 0
		.amdhsa_reserve_flat_scratch 0
		.amdhsa_float_round_mode_32 0
		.amdhsa_float_round_mode_16_64 0
		.amdhsa_float_denorm_mode_32 3
		.amdhsa_float_denorm_mode_16_64 3
		.amdhsa_dx10_clamp 1
		.amdhsa_ieee_mode 1
		.amdhsa_fp16_overflow 0
		.amdhsa_tg_split 0
		.amdhsa_exception_fp_ieee_invalid_op 0
		.amdhsa_exception_fp_denorm_src 0
		.amdhsa_exception_fp_ieee_div_zero 0
		.amdhsa_exception_fp_ieee_overflow 0
		.amdhsa_exception_fp_ieee_underflow 0
		.amdhsa_exception_fp_ieee_inexact 0
		.amdhsa_exception_int_div_zero 0
	.end_amdhsa_kernel
	.section	.text._ZN7rocprim17ROCPRIM_400000_NS6detail17trampoline_kernelINS0_14default_configENS1_27scan_by_key_config_selectorIifEEZZNS1_16scan_by_key_implILNS1_25lookback_scan_determinismE0ELb0ES3_N6thrust23THRUST_200600_302600_NS6detail15normal_iteratorINS9_10device_ptrIiEEEENSB_INSC_IfEEEESG_fNS9_4plusIvEENS9_8equal_toIvEEfEE10hipError_tPvRmT2_T3_T4_T5_mT6_T7_P12ihipStream_tbENKUlT_T0_E_clISt17integral_constantIbLb0EES11_EEDaSW_SX_EUlSW_E_NS1_11comp_targetILNS1_3genE8ELNS1_11target_archE1030ELNS1_3gpuE2ELNS1_3repE0EEENS1_30default_config_static_selectorELNS0_4arch9wavefront6targetE1EEEvT1_,"axG",@progbits,_ZN7rocprim17ROCPRIM_400000_NS6detail17trampoline_kernelINS0_14default_configENS1_27scan_by_key_config_selectorIifEEZZNS1_16scan_by_key_implILNS1_25lookback_scan_determinismE0ELb0ES3_N6thrust23THRUST_200600_302600_NS6detail15normal_iteratorINS9_10device_ptrIiEEEENSB_INSC_IfEEEESG_fNS9_4plusIvEENS9_8equal_toIvEEfEE10hipError_tPvRmT2_T3_T4_T5_mT6_T7_P12ihipStream_tbENKUlT_T0_E_clISt17integral_constantIbLb0EES11_EEDaSW_SX_EUlSW_E_NS1_11comp_targetILNS1_3genE8ELNS1_11target_archE1030ELNS1_3gpuE2ELNS1_3repE0EEENS1_30default_config_static_selectorELNS0_4arch9wavefront6targetE1EEEvT1_,comdat
.Lfunc_end1138:
	.size	_ZN7rocprim17ROCPRIM_400000_NS6detail17trampoline_kernelINS0_14default_configENS1_27scan_by_key_config_selectorIifEEZZNS1_16scan_by_key_implILNS1_25lookback_scan_determinismE0ELb0ES3_N6thrust23THRUST_200600_302600_NS6detail15normal_iteratorINS9_10device_ptrIiEEEENSB_INSC_IfEEEESG_fNS9_4plusIvEENS9_8equal_toIvEEfEE10hipError_tPvRmT2_T3_T4_T5_mT6_T7_P12ihipStream_tbENKUlT_T0_E_clISt17integral_constantIbLb0EES11_EEDaSW_SX_EUlSW_E_NS1_11comp_targetILNS1_3genE8ELNS1_11target_archE1030ELNS1_3gpuE2ELNS1_3repE0EEENS1_30default_config_static_selectorELNS0_4arch9wavefront6targetE1EEEvT1_, .Lfunc_end1138-_ZN7rocprim17ROCPRIM_400000_NS6detail17trampoline_kernelINS0_14default_configENS1_27scan_by_key_config_selectorIifEEZZNS1_16scan_by_key_implILNS1_25lookback_scan_determinismE0ELb0ES3_N6thrust23THRUST_200600_302600_NS6detail15normal_iteratorINS9_10device_ptrIiEEEENSB_INSC_IfEEEESG_fNS9_4plusIvEENS9_8equal_toIvEEfEE10hipError_tPvRmT2_T3_T4_T5_mT6_T7_P12ihipStream_tbENKUlT_T0_E_clISt17integral_constantIbLb0EES11_EEDaSW_SX_EUlSW_E_NS1_11comp_targetILNS1_3genE8ELNS1_11target_archE1030ELNS1_3gpuE2ELNS1_3repE0EEENS1_30default_config_static_selectorELNS0_4arch9wavefront6targetE1EEEvT1_
                                        ; -- End function
	.section	.AMDGPU.csdata,"",@progbits
; Kernel info:
; codeLenInByte = 0
; NumSgprs: 4
; NumVgprs: 0
; NumAgprs: 0
; TotalNumVgprs: 0
; ScratchSize: 0
; MemoryBound: 0
; FloatMode: 240
; IeeeMode: 1
; LDSByteSize: 0 bytes/workgroup (compile time only)
; SGPRBlocks: 0
; VGPRBlocks: 0
; NumSGPRsForWavesPerEU: 4
; NumVGPRsForWavesPerEU: 1
; AccumOffset: 4
; Occupancy: 8
; WaveLimiterHint : 0
; COMPUTE_PGM_RSRC2:SCRATCH_EN: 0
; COMPUTE_PGM_RSRC2:USER_SGPR: 6
; COMPUTE_PGM_RSRC2:TRAP_HANDLER: 0
; COMPUTE_PGM_RSRC2:TGID_X_EN: 1
; COMPUTE_PGM_RSRC2:TGID_Y_EN: 0
; COMPUTE_PGM_RSRC2:TGID_Z_EN: 0
; COMPUTE_PGM_RSRC2:TIDIG_COMP_CNT: 0
; COMPUTE_PGM_RSRC3_GFX90A:ACCUM_OFFSET: 0
; COMPUTE_PGM_RSRC3_GFX90A:TG_SPLIT: 0
	.section	.text._ZN7rocprim17ROCPRIM_400000_NS6detail30init_device_scan_by_key_kernelINS1_19lookback_scan_stateINS0_5tupleIJfbEEELb1ELb1EEEN6thrust23THRUST_200600_302600_NS6detail15normal_iteratorINS8_10device_ptrIiEEEEjNS1_16block_id_wrapperIjLb1EEEEEvT_jjPNSG_10value_typeET0_PNSt15iterator_traitsISJ_E10value_typeEmT1_T2_,"axG",@progbits,_ZN7rocprim17ROCPRIM_400000_NS6detail30init_device_scan_by_key_kernelINS1_19lookback_scan_stateINS0_5tupleIJfbEEELb1ELb1EEEN6thrust23THRUST_200600_302600_NS6detail15normal_iteratorINS8_10device_ptrIiEEEEjNS1_16block_id_wrapperIjLb1EEEEEvT_jjPNSG_10value_typeET0_PNSt15iterator_traitsISJ_E10value_typeEmT1_T2_,comdat
	.protected	_ZN7rocprim17ROCPRIM_400000_NS6detail30init_device_scan_by_key_kernelINS1_19lookback_scan_stateINS0_5tupleIJfbEEELb1ELb1EEEN6thrust23THRUST_200600_302600_NS6detail15normal_iteratorINS8_10device_ptrIiEEEEjNS1_16block_id_wrapperIjLb1EEEEEvT_jjPNSG_10value_typeET0_PNSt15iterator_traitsISJ_E10value_typeEmT1_T2_ ; -- Begin function _ZN7rocprim17ROCPRIM_400000_NS6detail30init_device_scan_by_key_kernelINS1_19lookback_scan_stateINS0_5tupleIJfbEEELb1ELb1EEEN6thrust23THRUST_200600_302600_NS6detail15normal_iteratorINS8_10device_ptrIiEEEEjNS1_16block_id_wrapperIjLb1EEEEEvT_jjPNSG_10value_typeET0_PNSt15iterator_traitsISJ_E10value_typeEmT1_T2_
	.globl	_ZN7rocprim17ROCPRIM_400000_NS6detail30init_device_scan_by_key_kernelINS1_19lookback_scan_stateINS0_5tupleIJfbEEELb1ELb1EEEN6thrust23THRUST_200600_302600_NS6detail15normal_iteratorINS8_10device_ptrIiEEEEjNS1_16block_id_wrapperIjLb1EEEEEvT_jjPNSG_10value_typeET0_PNSt15iterator_traitsISJ_E10value_typeEmT1_T2_
	.p2align	8
	.type	_ZN7rocprim17ROCPRIM_400000_NS6detail30init_device_scan_by_key_kernelINS1_19lookback_scan_stateINS0_5tupleIJfbEEELb1ELb1EEEN6thrust23THRUST_200600_302600_NS6detail15normal_iteratorINS8_10device_ptrIiEEEEjNS1_16block_id_wrapperIjLb1EEEEEvT_jjPNSG_10value_typeET0_PNSt15iterator_traitsISJ_E10value_typeEmT1_T2_,@function
_ZN7rocprim17ROCPRIM_400000_NS6detail30init_device_scan_by_key_kernelINS1_19lookback_scan_stateINS0_5tupleIJfbEEELb1ELb1EEEN6thrust23THRUST_200600_302600_NS6detail15normal_iteratorINS8_10device_ptrIiEEEEjNS1_16block_id_wrapperIjLb1EEEEEvT_jjPNSG_10value_typeET0_PNSt15iterator_traitsISJ_E10value_typeEmT1_T2_: ; @_ZN7rocprim17ROCPRIM_400000_NS6detail30init_device_scan_by_key_kernelINS1_19lookback_scan_stateINS0_5tupleIJfbEEELb1ELb1EEEN6thrust23THRUST_200600_302600_NS6detail15normal_iteratorINS8_10device_ptrIiEEEEjNS1_16block_id_wrapperIjLb1EEEEEvT_jjPNSG_10value_typeET0_PNSt15iterator_traitsISJ_E10value_typeEmT1_T2_
; %bb.0:
	s_load_dword s0, s[4:5], 0x4c
	s_load_dwordx8 s[8:15], s[4:5], 0x0
	s_load_dword s18, s[4:5], 0x40
	s_waitcnt lgkmcnt(0)
	s_and_b32 s19, s0, 0xffff
	s_mul_i32 s6, s6, s19
	s_cmp_eq_u64 s[12:13], 0
	v_add_u32_e32 v4, s6, v0
	s_cbranch_scc1 .LBB1139_10
; %bb.1:
	s_cmp_lt_u32 s11, s10
	s_cselect_b32 s0, s11, 0
	s_mov_b32 s3, 0
	v_cmp_eq_u32_e32 vcc, s0, v4
	s_and_saveexec_b64 s[0:1], vcc
	s_cbranch_execz .LBB1139_9
; %bb.2:
	s_add_i32 s2, s11, 64
	s_lshl_b64 s[2:3], s[2:3], 4
	s_add_u32 s16, s8, s2
	s_addc_u32 s17, s9, s3
	v_pk_mov_b32 v[0:1], s[16:17], s[16:17] op_sel:[0,1]
	;;#ASMSTART
	global_load_dwordx4 v[0:3], v[0:1] off glc	
s_waitcnt vmcnt(0)
	;;#ASMEND
	v_mov_b32_e32 v7, 0
	v_and_b32_e32 v6, 0xff, v2
	s_mov_b64 s[6:7], 0
	v_cmp_eq_u64_e32 vcc, 0, v[6:7]
	s_and_saveexec_b64 s[2:3], vcc
	s_cbranch_execz .LBB1139_8
; %bb.3:
	s_mov_b32 s11, 1
	v_pk_mov_b32 v[8:9], s[16:17], s[16:17] op_sel:[0,1]
.LBB1139_4:                             ; =>This Loop Header: Depth=1
                                        ;     Child Loop BB1139_5 Depth 2
	s_max_u32 s16, s11, 1
.LBB1139_5:                             ;   Parent Loop BB1139_4 Depth=1
                                        ; =>  This Inner Loop Header: Depth=2
	s_add_i32 s16, s16, -1
	s_cmp_eq_u32 s16, 0
	s_sleep 1
	s_cbranch_scc0 .LBB1139_5
; %bb.6:                                ;   in Loop: Header=BB1139_4 Depth=1
	s_cmp_lt_u32 s11, 32
	s_cselect_b64 s[16:17], -1, 0
	s_cmp_lg_u64 s[16:17], 0
	;;#ASMSTART
	global_load_dwordx4 v[0:3], v[8:9] off glc	
s_waitcnt vmcnt(0)
	;;#ASMEND
	v_and_b32_e32 v6, 0xff, v2
	s_addc_u32 s11, s11, 0
	v_cmp_ne_u64_e32 vcc, 0, v[6:7]
	s_or_b64 s[6:7], vcc, s[6:7]
	s_andn2_b64 exec, exec, s[6:7]
	s_cbranch_execnz .LBB1139_4
; %bb.7:
	s_or_b64 exec, exec, s[6:7]
.LBB1139_8:
	s_or_b64 exec, exec, s[2:3]
	v_mov_b32_e32 v2, 0
	global_store_dword v2, v0, s[12:13]
	global_store_byte v2, v1, s[12:13] offset:4
.LBB1139_9:
	s_or_b64 exec, exec, s[0:1]
.LBB1139_10:
	v_cmp_eq_u32_e32 vcc, 0, v4
	s_and_saveexec_b64 s[0:1], vcc
	s_cbranch_execz .LBB1139_12
; %bb.11:
	s_load_dwordx2 s[2:3], s[4:5], 0x38
	v_mov_b32_e32 v0, 0
	s_waitcnt lgkmcnt(0)
	global_store_dword v0, v0, s[2:3]
.LBB1139_12:
	s_or_b64 exec, exec, s[0:1]
	v_cmp_gt_u32_e32 vcc, s10, v4
	s_and_saveexec_b64 s[0:1], vcc
	s_cbranch_execz .LBB1139_14
; %bb.13:
	v_add_u32_e32 v0, 64, v4
	v_mov_b32_e32 v1, 0
	v_lshlrev_b64 v[2:3], 4, v[0:1]
	v_mov_b32_e32 v0, s9
	v_add_co_u32_e32 v6, vcc, s8, v2
	v_addc_co_u32_e32 v7, vcc, v0, v3, vcc
	v_mov_b32_e32 v0, v1
	v_mov_b32_e32 v2, v1
	v_mov_b32_e32 v3, v1
	global_store_dwordx4 v[6:7], v[0:3], off
.LBB1139_14:
	s_or_b64 exec, exec, s[0:1]
	v_cmp_gt_u32_e32 vcc, 64, v4
	v_mov_b32_e32 v5, 0
	s_and_saveexec_b64 s[0:1], vcc
	s_cbranch_execz .LBB1139_16
; %bb.15:
	v_lshlrev_b64 v[0:1], 4, v[4:5]
	v_mov_b32_e32 v2, s9
	v_add_co_u32_e32 v6, vcc, s8, v0
	v_addc_co_u32_e32 v7, vcc, v2, v1, vcc
	v_mov_b32_e32 v2, 0xff
	v_mov_b32_e32 v0, v5
	;; [unrolled: 1-line block ×4, first 2 shown]
	global_store_dwordx4 v[6:7], v[0:3], off
.LBB1139_16:
	s_or_b64 exec, exec, s[0:1]
	s_load_dwordx2 s[0:1], s[4:5], 0x28
	s_waitcnt lgkmcnt(0)
	v_cmp_gt_u64_e32 vcc, s[0:1], v[4:5]
	s_and_saveexec_b64 s[2:3], vcc
	s_cbranch_execz .LBB1139_19
; %bb.17:
	s_load_dword s10, s[4:5], 0x30
	s_load_dwordx2 s[6:7], s[4:5], 0x20
	s_mov_b32 s5, 0
	s_mov_b32 s3, s5
	s_mul_i32 s2, s18, s19
	s_waitcnt lgkmcnt(0)
	s_add_i32 s4, s10, -1
	s_lshl_b64 s[4:5], s[4:5], 2
	v_mad_u64_u32 v[0:1], s[8:9], s10, v4, 0
	s_add_u32 s4, s14, s4
	v_lshlrev_b64 v[0:1], 2, v[0:1]
	s_addc_u32 s5, s15, s5
	v_mov_b32_e32 v2, s5
	v_add_co_u32_e32 v0, vcc, s4, v0
	v_addc_co_u32_e32 v1, vcc, v2, v1, vcc
	s_mul_hi_u32 s5, s10, s2
	s_mul_i32 s4, s10, s2
	v_lshlrev_b64 v[2:3], 2, v[4:5]
	s_lshl_b64 s[4:5], s[4:5], 2
	v_mov_b32_e32 v6, s7
	v_add_co_u32_e32 v2, vcc, s6, v2
	s_lshl_b64 s[6:7], s[2:3], 2
	v_addc_co_u32_e32 v3, vcc, v6, v3, vcc
	s_mov_b64 s[8:9], 0
	v_mov_b32_e32 v6, s3
	v_mov_b32_e32 v7, s5
	;; [unrolled: 1-line block ×3, first 2 shown]
.LBB1139_18:                            ; =>This Inner Loop Header: Depth=1
	global_load_dword v9, v[0:1], off
	v_add_co_u32_e32 v4, vcc, s2, v4
	v_addc_co_u32_e32 v5, vcc, v5, v6, vcc
	v_add_co_u32_e32 v0, vcc, s4, v0
	v_addc_co_u32_e32 v1, vcc, v1, v7, vcc
	v_cmp_le_u64_e32 vcc, s[0:1], v[4:5]
	s_or_b64 s[8:9], vcc, s[8:9]
	s_waitcnt vmcnt(0)
	global_store_dword v[2:3], v9, off
	v_add_co_u32_e32 v2, vcc, s6, v2
	v_addc_co_u32_e32 v3, vcc, v3, v8, vcc
	s_andn2_b64 exec, exec, s[8:9]
	s_cbranch_execnz .LBB1139_18
.LBB1139_19:
	s_endpgm
	.section	.rodata,"a",@progbits
	.p2align	6, 0x0
	.amdhsa_kernel _ZN7rocprim17ROCPRIM_400000_NS6detail30init_device_scan_by_key_kernelINS1_19lookback_scan_stateINS0_5tupleIJfbEEELb1ELb1EEEN6thrust23THRUST_200600_302600_NS6detail15normal_iteratorINS8_10device_ptrIiEEEEjNS1_16block_id_wrapperIjLb1EEEEEvT_jjPNSG_10value_typeET0_PNSt15iterator_traitsISJ_E10value_typeEmT1_T2_
		.amdhsa_group_segment_fixed_size 0
		.amdhsa_private_segment_fixed_size 0
		.amdhsa_kernarg_size 320
		.amdhsa_user_sgpr_count 6
		.amdhsa_user_sgpr_private_segment_buffer 1
		.amdhsa_user_sgpr_dispatch_ptr 0
		.amdhsa_user_sgpr_queue_ptr 0
		.amdhsa_user_sgpr_kernarg_segment_ptr 1
		.amdhsa_user_sgpr_dispatch_id 0
		.amdhsa_user_sgpr_flat_scratch_init 0
		.amdhsa_user_sgpr_kernarg_preload_length 0
		.amdhsa_user_sgpr_kernarg_preload_offset 0
		.amdhsa_user_sgpr_private_segment_size 0
		.amdhsa_uses_dynamic_stack 0
		.amdhsa_system_sgpr_private_segment_wavefront_offset 0
		.amdhsa_system_sgpr_workgroup_id_x 1
		.amdhsa_system_sgpr_workgroup_id_y 0
		.amdhsa_system_sgpr_workgroup_id_z 0
		.amdhsa_system_sgpr_workgroup_info 0
		.amdhsa_system_vgpr_workitem_id 0
		.amdhsa_next_free_vgpr 10
		.amdhsa_next_free_sgpr 20
		.amdhsa_accum_offset 12
		.amdhsa_reserve_vcc 1
		.amdhsa_reserve_flat_scratch 0
		.amdhsa_float_round_mode_32 0
		.amdhsa_float_round_mode_16_64 0
		.amdhsa_float_denorm_mode_32 3
		.amdhsa_float_denorm_mode_16_64 3
		.amdhsa_dx10_clamp 1
		.amdhsa_ieee_mode 1
		.amdhsa_fp16_overflow 0
		.amdhsa_tg_split 0
		.amdhsa_exception_fp_ieee_invalid_op 0
		.amdhsa_exception_fp_denorm_src 0
		.amdhsa_exception_fp_ieee_div_zero 0
		.amdhsa_exception_fp_ieee_overflow 0
		.amdhsa_exception_fp_ieee_underflow 0
		.amdhsa_exception_fp_ieee_inexact 0
		.amdhsa_exception_int_div_zero 0
	.end_amdhsa_kernel
	.section	.text._ZN7rocprim17ROCPRIM_400000_NS6detail30init_device_scan_by_key_kernelINS1_19lookback_scan_stateINS0_5tupleIJfbEEELb1ELb1EEEN6thrust23THRUST_200600_302600_NS6detail15normal_iteratorINS8_10device_ptrIiEEEEjNS1_16block_id_wrapperIjLb1EEEEEvT_jjPNSG_10value_typeET0_PNSt15iterator_traitsISJ_E10value_typeEmT1_T2_,"axG",@progbits,_ZN7rocprim17ROCPRIM_400000_NS6detail30init_device_scan_by_key_kernelINS1_19lookback_scan_stateINS0_5tupleIJfbEEELb1ELb1EEEN6thrust23THRUST_200600_302600_NS6detail15normal_iteratorINS8_10device_ptrIiEEEEjNS1_16block_id_wrapperIjLb1EEEEEvT_jjPNSG_10value_typeET0_PNSt15iterator_traitsISJ_E10value_typeEmT1_T2_,comdat
.Lfunc_end1139:
	.size	_ZN7rocprim17ROCPRIM_400000_NS6detail30init_device_scan_by_key_kernelINS1_19lookback_scan_stateINS0_5tupleIJfbEEELb1ELb1EEEN6thrust23THRUST_200600_302600_NS6detail15normal_iteratorINS8_10device_ptrIiEEEEjNS1_16block_id_wrapperIjLb1EEEEEvT_jjPNSG_10value_typeET0_PNSt15iterator_traitsISJ_E10value_typeEmT1_T2_, .Lfunc_end1139-_ZN7rocprim17ROCPRIM_400000_NS6detail30init_device_scan_by_key_kernelINS1_19lookback_scan_stateINS0_5tupleIJfbEEELb1ELb1EEEN6thrust23THRUST_200600_302600_NS6detail15normal_iteratorINS8_10device_ptrIiEEEEjNS1_16block_id_wrapperIjLb1EEEEEvT_jjPNSG_10value_typeET0_PNSt15iterator_traitsISJ_E10value_typeEmT1_T2_
                                        ; -- End function
	.section	.AMDGPU.csdata,"",@progbits
; Kernel info:
; codeLenInByte = 652
; NumSgprs: 24
; NumVgprs: 10
; NumAgprs: 0
; TotalNumVgprs: 10
; ScratchSize: 0
; MemoryBound: 0
; FloatMode: 240
; IeeeMode: 1
; LDSByteSize: 0 bytes/workgroup (compile time only)
; SGPRBlocks: 2
; VGPRBlocks: 1
; NumSGPRsForWavesPerEU: 24
; NumVGPRsForWavesPerEU: 10
; AccumOffset: 12
; Occupancy: 8
; WaveLimiterHint : 0
; COMPUTE_PGM_RSRC2:SCRATCH_EN: 0
; COMPUTE_PGM_RSRC2:USER_SGPR: 6
; COMPUTE_PGM_RSRC2:TRAP_HANDLER: 0
; COMPUTE_PGM_RSRC2:TGID_X_EN: 1
; COMPUTE_PGM_RSRC2:TGID_Y_EN: 0
; COMPUTE_PGM_RSRC2:TGID_Z_EN: 0
; COMPUTE_PGM_RSRC2:TIDIG_COMP_CNT: 0
; COMPUTE_PGM_RSRC3_GFX90A:ACCUM_OFFSET: 2
; COMPUTE_PGM_RSRC3_GFX90A:TG_SPLIT: 0
	.section	.text._ZN7rocprim17ROCPRIM_400000_NS6detail30init_device_scan_by_key_kernelINS1_19lookback_scan_stateINS0_5tupleIJfbEEELb1ELb1EEENS1_16block_id_wrapperIjLb1EEEEEvT_jjPNS9_10value_typeET0_,"axG",@progbits,_ZN7rocprim17ROCPRIM_400000_NS6detail30init_device_scan_by_key_kernelINS1_19lookback_scan_stateINS0_5tupleIJfbEEELb1ELb1EEENS1_16block_id_wrapperIjLb1EEEEEvT_jjPNS9_10value_typeET0_,comdat
	.protected	_ZN7rocprim17ROCPRIM_400000_NS6detail30init_device_scan_by_key_kernelINS1_19lookback_scan_stateINS0_5tupleIJfbEEELb1ELb1EEENS1_16block_id_wrapperIjLb1EEEEEvT_jjPNS9_10value_typeET0_ ; -- Begin function _ZN7rocprim17ROCPRIM_400000_NS6detail30init_device_scan_by_key_kernelINS1_19lookback_scan_stateINS0_5tupleIJfbEEELb1ELb1EEENS1_16block_id_wrapperIjLb1EEEEEvT_jjPNS9_10value_typeET0_
	.globl	_ZN7rocprim17ROCPRIM_400000_NS6detail30init_device_scan_by_key_kernelINS1_19lookback_scan_stateINS0_5tupleIJfbEEELb1ELb1EEENS1_16block_id_wrapperIjLb1EEEEEvT_jjPNS9_10value_typeET0_
	.p2align	8
	.type	_ZN7rocprim17ROCPRIM_400000_NS6detail30init_device_scan_by_key_kernelINS1_19lookback_scan_stateINS0_5tupleIJfbEEELb1ELb1EEENS1_16block_id_wrapperIjLb1EEEEEvT_jjPNS9_10value_typeET0_,@function
_ZN7rocprim17ROCPRIM_400000_NS6detail30init_device_scan_by_key_kernelINS1_19lookback_scan_stateINS0_5tupleIJfbEEELb1ELb1EEENS1_16block_id_wrapperIjLb1EEEEEvT_jjPNS9_10value_typeET0_: ; @_ZN7rocprim17ROCPRIM_400000_NS6detail30init_device_scan_by_key_kernelINS1_19lookback_scan_stateINS0_5tupleIJfbEEELb1ELb1EEENS1_16block_id_wrapperIjLb1EEEEEvT_jjPNS9_10value_typeET0_
; %bb.0:
	s_load_dword s0, s[4:5], 0x2c
	s_load_dwordx8 s[8:15], s[4:5], 0x0
	s_waitcnt lgkmcnt(0)
	s_and_b32 s0, s0, 0xffff
	s_mul_i32 s6, s6, s0
	s_cmp_eq_u64 s[12:13], 0
	v_add_u32_e32 v0, s6, v0
	s_cbranch_scc1 .LBB1140_10
; %bb.1:
	s_cmp_lt_u32 s11, s10
	s_cselect_b32 s0, s11, 0
	s_mov_b32 s3, 0
	v_cmp_eq_u32_e32 vcc, s0, v0
	s_and_saveexec_b64 s[0:1], vcc
	s_cbranch_execz .LBB1140_9
; %bb.2:
	s_add_i32 s2, s11, 64
	s_lshl_b64 s[2:3], s[2:3], 4
	s_add_u32 s6, s8, s2
	s_addc_u32 s7, s9, s3
	v_pk_mov_b32 v[2:3], s[6:7], s[6:7] op_sel:[0,1]
	;;#ASMSTART
	global_load_dwordx4 v[2:5], v[2:3] off glc	
s_waitcnt vmcnt(0)
	;;#ASMEND
	v_mov_b32_e32 v7, 0
	v_and_b32_e32 v6, 0xff, v4
	s_mov_b64 s[4:5], 0
	v_cmp_eq_u64_e32 vcc, 0, v[6:7]
	s_and_saveexec_b64 s[2:3], vcc
	s_cbranch_execz .LBB1140_8
; %bb.3:
	s_mov_b32 s11, 1
	v_pk_mov_b32 v[8:9], s[6:7], s[6:7] op_sel:[0,1]
.LBB1140_4:                             ; =>This Loop Header: Depth=1
                                        ;     Child Loop BB1140_5 Depth 2
	s_max_u32 s6, s11, 1
.LBB1140_5:                             ;   Parent Loop BB1140_4 Depth=1
                                        ; =>  This Inner Loop Header: Depth=2
	s_add_i32 s6, s6, -1
	s_cmp_eq_u32 s6, 0
	s_sleep 1
	s_cbranch_scc0 .LBB1140_5
; %bb.6:                                ;   in Loop: Header=BB1140_4 Depth=1
	s_cmp_lt_u32 s11, 32
	s_cselect_b64 s[6:7], -1, 0
	s_cmp_lg_u64 s[6:7], 0
	;;#ASMSTART
	global_load_dwordx4 v[2:5], v[8:9] off glc	
s_waitcnt vmcnt(0)
	;;#ASMEND
	v_and_b32_e32 v6, 0xff, v4
	s_addc_u32 s11, s11, 0
	v_cmp_ne_u64_e32 vcc, 0, v[6:7]
	s_or_b64 s[4:5], vcc, s[4:5]
	s_andn2_b64 exec, exec, s[4:5]
	s_cbranch_execnz .LBB1140_4
; %bb.7:
	s_or_b64 exec, exec, s[4:5]
.LBB1140_8:
	s_or_b64 exec, exec, s[2:3]
	v_mov_b32_e32 v1, 0
	global_store_dword v1, v2, s[12:13]
	global_store_byte v1, v3, s[12:13] offset:4
.LBB1140_9:
	s_or_b64 exec, exec, s[0:1]
.LBB1140_10:
	v_cmp_eq_u32_e32 vcc, 0, v0
	s_and_saveexec_b64 s[0:1], vcc
	s_cbranch_execnz .LBB1140_14
; %bb.11:
	s_or_b64 exec, exec, s[0:1]
	v_cmp_gt_u32_e32 vcc, s10, v0
	s_and_saveexec_b64 s[0:1], vcc
	s_cbranch_execnz .LBB1140_15
.LBB1140_12:
	s_or_b64 exec, exec, s[0:1]
	v_cmp_gt_u32_e32 vcc, 64, v0
	s_and_saveexec_b64 s[0:1], vcc
	s_cbranch_execnz .LBB1140_16
.LBB1140_13:
	s_endpgm
.LBB1140_14:
	v_mov_b32_e32 v1, 0
	global_store_dword v1, v1, s[14:15]
	s_or_b64 exec, exec, s[0:1]
	v_cmp_gt_u32_e32 vcc, s10, v0
	s_and_saveexec_b64 s[0:1], vcc
	s_cbranch_execz .LBB1140_12
.LBB1140_15:
	v_add_u32_e32 v2, 64, v0
	v_mov_b32_e32 v3, 0
	v_lshlrev_b64 v[4:5], 4, v[2:3]
	v_mov_b32_e32 v1, s9
	v_add_co_u32_e32 v6, vcc, s8, v4
	v_addc_co_u32_e32 v7, vcc, v1, v5, vcc
	v_mov_b32_e32 v2, v3
	v_mov_b32_e32 v4, v3
	;; [unrolled: 1-line block ×3, first 2 shown]
	global_store_dwordx4 v[6:7], v[2:5], off
	s_or_b64 exec, exec, s[0:1]
	v_cmp_gt_u32_e32 vcc, 64, v0
	s_and_saveexec_b64 s[0:1], vcc
	s_cbranch_execz .LBB1140_13
.LBB1140_16:
	v_mov_b32_e32 v1, 0
	v_lshlrev_b64 v[2:3], 4, v[0:1]
	v_mov_b32_e32 v0, s9
	v_add_co_u32_e32 v4, vcc, s8, v2
	v_addc_co_u32_e32 v5, vcc, v0, v3, vcc
	v_mov_b32_e32 v2, 0xff
	v_mov_b32_e32 v0, v1
	;; [unrolled: 1-line block ×3, first 2 shown]
	global_store_dwordx4 v[4:5], v[0:3], off
	s_endpgm
	.section	.rodata,"a",@progbits
	.p2align	6, 0x0
	.amdhsa_kernel _ZN7rocprim17ROCPRIM_400000_NS6detail30init_device_scan_by_key_kernelINS1_19lookback_scan_stateINS0_5tupleIJfbEEELb1ELb1EEENS1_16block_id_wrapperIjLb1EEEEEvT_jjPNS9_10value_typeET0_
		.amdhsa_group_segment_fixed_size 0
		.amdhsa_private_segment_fixed_size 0
		.amdhsa_kernarg_size 288
		.amdhsa_user_sgpr_count 6
		.amdhsa_user_sgpr_private_segment_buffer 1
		.amdhsa_user_sgpr_dispatch_ptr 0
		.amdhsa_user_sgpr_queue_ptr 0
		.amdhsa_user_sgpr_kernarg_segment_ptr 1
		.amdhsa_user_sgpr_dispatch_id 0
		.amdhsa_user_sgpr_flat_scratch_init 0
		.amdhsa_user_sgpr_kernarg_preload_length 0
		.amdhsa_user_sgpr_kernarg_preload_offset 0
		.amdhsa_user_sgpr_private_segment_size 0
		.amdhsa_uses_dynamic_stack 0
		.amdhsa_system_sgpr_private_segment_wavefront_offset 0
		.amdhsa_system_sgpr_workgroup_id_x 1
		.amdhsa_system_sgpr_workgroup_id_y 0
		.amdhsa_system_sgpr_workgroup_id_z 0
		.amdhsa_system_sgpr_workgroup_info 0
		.amdhsa_system_vgpr_workitem_id 0
		.amdhsa_next_free_vgpr 10
		.amdhsa_next_free_sgpr 16
		.amdhsa_accum_offset 12
		.amdhsa_reserve_vcc 1
		.amdhsa_reserve_flat_scratch 0
		.amdhsa_float_round_mode_32 0
		.amdhsa_float_round_mode_16_64 0
		.amdhsa_float_denorm_mode_32 3
		.amdhsa_float_denorm_mode_16_64 3
		.amdhsa_dx10_clamp 1
		.amdhsa_ieee_mode 1
		.amdhsa_fp16_overflow 0
		.amdhsa_tg_split 0
		.amdhsa_exception_fp_ieee_invalid_op 0
		.amdhsa_exception_fp_denorm_src 0
		.amdhsa_exception_fp_ieee_div_zero 0
		.amdhsa_exception_fp_ieee_overflow 0
		.amdhsa_exception_fp_ieee_underflow 0
		.amdhsa_exception_fp_ieee_inexact 0
		.amdhsa_exception_int_div_zero 0
	.end_amdhsa_kernel
	.section	.text._ZN7rocprim17ROCPRIM_400000_NS6detail30init_device_scan_by_key_kernelINS1_19lookback_scan_stateINS0_5tupleIJfbEEELb1ELb1EEENS1_16block_id_wrapperIjLb1EEEEEvT_jjPNS9_10value_typeET0_,"axG",@progbits,_ZN7rocprim17ROCPRIM_400000_NS6detail30init_device_scan_by_key_kernelINS1_19lookback_scan_stateINS0_5tupleIJfbEEELb1ELb1EEENS1_16block_id_wrapperIjLb1EEEEEvT_jjPNS9_10value_typeET0_,comdat
.Lfunc_end1140:
	.size	_ZN7rocprim17ROCPRIM_400000_NS6detail30init_device_scan_by_key_kernelINS1_19lookback_scan_stateINS0_5tupleIJfbEEELb1ELb1EEENS1_16block_id_wrapperIjLb1EEEEEvT_jjPNS9_10value_typeET0_, .Lfunc_end1140-_ZN7rocprim17ROCPRIM_400000_NS6detail30init_device_scan_by_key_kernelINS1_19lookback_scan_stateINS0_5tupleIJfbEEELb1ELb1EEENS1_16block_id_wrapperIjLb1EEEEEvT_jjPNS9_10value_typeET0_
                                        ; -- End function
	.section	.AMDGPU.csdata,"",@progbits
; Kernel info:
; codeLenInByte = 448
; NumSgprs: 20
; NumVgprs: 10
; NumAgprs: 0
; TotalNumVgprs: 10
; ScratchSize: 0
; MemoryBound: 0
; FloatMode: 240
; IeeeMode: 1
; LDSByteSize: 0 bytes/workgroup (compile time only)
; SGPRBlocks: 2
; VGPRBlocks: 1
; NumSGPRsForWavesPerEU: 20
; NumVGPRsForWavesPerEU: 10
; AccumOffset: 12
; Occupancy: 8
; WaveLimiterHint : 0
; COMPUTE_PGM_RSRC2:SCRATCH_EN: 0
; COMPUTE_PGM_RSRC2:USER_SGPR: 6
; COMPUTE_PGM_RSRC2:TRAP_HANDLER: 0
; COMPUTE_PGM_RSRC2:TGID_X_EN: 1
; COMPUTE_PGM_RSRC2:TGID_Y_EN: 0
; COMPUTE_PGM_RSRC2:TGID_Z_EN: 0
; COMPUTE_PGM_RSRC2:TIDIG_COMP_CNT: 0
; COMPUTE_PGM_RSRC3_GFX90A:ACCUM_OFFSET: 2
; COMPUTE_PGM_RSRC3_GFX90A:TG_SPLIT: 0
	.section	.text._ZN7rocprim17ROCPRIM_400000_NS6detail17trampoline_kernelINS0_14default_configENS1_27scan_by_key_config_selectorIifEEZZNS1_16scan_by_key_implILNS1_25lookback_scan_determinismE0ELb0ES3_N6thrust23THRUST_200600_302600_NS6detail15normal_iteratorINS9_10device_ptrIiEEEENSB_INSC_IfEEEESG_fNS9_4plusIvEENS9_8equal_toIvEEfEE10hipError_tPvRmT2_T3_T4_T5_mT6_T7_P12ihipStream_tbENKUlT_T0_E_clISt17integral_constantIbLb1EES11_EEDaSW_SX_EUlSW_E_NS1_11comp_targetILNS1_3genE0ELNS1_11target_archE4294967295ELNS1_3gpuE0ELNS1_3repE0EEENS1_30default_config_static_selectorELNS0_4arch9wavefront6targetE1EEEvT1_,"axG",@progbits,_ZN7rocprim17ROCPRIM_400000_NS6detail17trampoline_kernelINS0_14default_configENS1_27scan_by_key_config_selectorIifEEZZNS1_16scan_by_key_implILNS1_25lookback_scan_determinismE0ELb0ES3_N6thrust23THRUST_200600_302600_NS6detail15normal_iteratorINS9_10device_ptrIiEEEENSB_INSC_IfEEEESG_fNS9_4plusIvEENS9_8equal_toIvEEfEE10hipError_tPvRmT2_T3_T4_T5_mT6_T7_P12ihipStream_tbENKUlT_T0_E_clISt17integral_constantIbLb1EES11_EEDaSW_SX_EUlSW_E_NS1_11comp_targetILNS1_3genE0ELNS1_11target_archE4294967295ELNS1_3gpuE0ELNS1_3repE0EEENS1_30default_config_static_selectorELNS0_4arch9wavefront6targetE1EEEvT1_,comdat
	.protected	_ZN7rocprim17ROCPRIM_400000_NS6detail17trampoline_kernelINS0_14default_configENS1_27scan_by_key_config_selectorIifEEZZNS1_16scan_by_key_implILNS1_25lookback_scan_determinismE0ELb0ES3_N6thrust23THRUST_200600_302600_NS6detail15normal_iteratorINS9_10device_ptrIiEEEENSB_INSC_IfEEEESG_fNS9_4plusIvEENS9_8equal_toIvEEfEE10hipError_tPvRmT2_T3_T4_T5_mT6_T7_P12ihipStream_tbENKUlT_T0_E_clISt17integral_constantIbLb1EES11_EEDaSW_SX_EUlSW_E_NS1_11comp_targetILNS1_3genE0ELNS1_11target_archE4294967295ELNS1_3gpuE0ELNS1_3repE0EEENS1_30default_config_static_selectorELNS0_4arch9wavefront6targetE1EEEvT1_ ; -- Begin function _ZN7rocprim17ROCPRIM_400000_NS6detail17trampoline_kernelINS0_14default_configENS1_27scan_by_key_config_selectorIifEEZZNS1_16scan_by_key_implILNS1_25lookback_scan_determinismE0ELb0ES3_N6thrust23THRUST_200600_302600_NS6detail15normal_iteratorINS9_10device_ptrIiEEEENSB_INSC_IfEEEESG_fNS9_4plusIvEENS9_8equal_toIvEEfEE10hipError_tPvRmT2_T3_T4_T5_mT6_T7_P12ihipStream_tbENKUlT_T0_E_clISt17integral_constantIbLb1EES11_EEDaSW_SX_EUlSW_E_NS1_11comp_targetILNS1_3genE0ELNS1_11target_archE4294967295ELNS1_3gpuE0ELNS1_3repE0EEENS1_30default_config_static_selectorELNS0_4arch9wavefront6targetE1EEEvT1_
	.globl	_ZN7rocprim17ROCPRIM_400000_NS6detail17trampoline_kernelINS0_14default_configENS1_27scan_by_key_config_selectorIifEEZZNS1_16scan_by_key_implILNS1_25lookback_scan_determinismE0ELb0ES3_N6thrust23THRUST_200600_302600_NS6detail15normal_iteratorINS9_10device_ptrIiEEEENSB_INSC_IfEEEESG_fNS9_4plusIvEENS9_8equal_toIvEEfEE10hipError_tPvRmT2_T3_T4_T5_mT6_T7_P12ihipStream_tbENKUlT_T0_E_clISt17integral_constantIbLb1EES11_EEDaSW_SX_EUlSW_E_NS1_11comp_targetILNS1_3genE0ELNS1_11target_archE4294967295ELNS1_3gpuE0ELNS1_3repE0EEENS1_30default_config_static_selectorELNS0_4arch9wavefront6targetE1EEEvT1_
	.p2align	8
	.type	_ZN7rocprim17ROCPRIM_400000_NS6detail17trampoline_kernelINS0_14default_configENS1_27scan_by_key_config_selectorIifEEZZNS1_16scan_by_key_implILNS1_25lookback_scan_determinismE0ELb0ES3_N6thrust23THRUST_200600_302600_NS6detail15normal_iteratorINS9_10device_ptrIiEEEENSB_INSC_IfEEEESG_fNS9_4plusIvEENS9_8equal_toIvEEfEE10hipError_tPvRmT2_T3_T4_T5_mT6_T7_P12ihipStream_tbENKUlT_T0_E_clISt17integral_constantIbLb1EES11_EEDaSW_SX_EUlSW_E_NS1_11comp_targetILNS1_3genE0ELNS1_11target_archE4294967295ELNS1_3gpuE0ELNS1_3repE0EEENS1_30default_config_static_selectorELNS0_4arch9wavefront6targetE1EEEvT1_,@function
_ZN7rocprim17ROCPRIM_400000_NS6detail17trampoline_kernelINS0_14default_configENS1_27scan_by_key_config_selectorIifEEZZNS1_16scan_by_key_implILNS1_25lookback_scan_determinismE0ELb0ES3_N6thrust23THRUST_200600_302600_NS6detail15normal_iteratorINS9_10device_ptrIiEEEENSB_INSC_IfEEEESG_fNS9_4plusIvEENS9_8equal_toIvEEfEE10hipError_tPvRmT2_T3_T4_T5_mT6_T7_P12ihipStream_tbENKUlT_T0_E_clISt17integral_constantIbLb1EES11_EEDaSW_SX_EUlSW_E_NS1_11comp_targetILNS1_3genE0ELNS1_11target_archE4294967295ELNS1_3gpuE0ELNS1_3repE0EEENS1_30default_config_static_selectorELNS0_4arch9wavefront6targetE1EEEvT1_: ; @_ZN7rocprim17ROCPRIM_400000_NS6detail17trampoline_kernelINS0_14default_configENS1_27scan_by_key_config_selectorIifEEZZNS1_16scan_by_key_implILNS1_25lookback_scan_determinismE0ELb0ES3_N6thrust23THRUST_200600_302600_NS6detail15normal_iteratorINS9_10device_ptrIiEEEENSB_INSC_IfEEEESG_fNS9_4plusIvEENS9_8equal_toIvEEfEE10hipError_tPvRmT2_T3_T4_T5_mT6_T7_P12ihipStream_tbENKUlT_T0_E_clISt17integral_constantIbLb1EES11_EEDaSW_SX_EUlSW_E_NS1_11comp_targetILNS1_3genE0ELNS1_11target_archE4294967295ELNS1_3gpuE0ELNS1_3repE0EEENS1_30default_config_static_selectorELNS0_4arch9wavefront6targetE1EEEvT1_
; %bb.0:
	.section	.rodata,"a",@progbits
	.p2align	6, 0x0
	.amdhsa_kernel _ZN7rocprim17ROCPRIM_400000_NS6detail17trampoline_kernelINS0_14default_configENS1_27scan_by_key_config_selectorIifEEZZNS1_16scan_by_key_implILNS1_25lookback_scan_determinismE0ELb0ES3_N6thrust23THRUST_200600_302600_NS6detail15normal_iteratorINS9_10device_ptrIiEEEENSB_INSC_IfEEEESG_fNS9_4plusIvEENS9_8equal_toIvEEfEE10hipError_tPvRmT2_T3_T4_T5_mT6_T7_P12ihipStream_tbENKUlT_T0_E_clISt17integral_constantIbLb1EES11_EEDaSW_SX_EUlSW_E_NS1_11comp_targetILNS1_3genE0ELNS1_11target_archE4294967295ELNS1_3gpuE0ELNS1_3repE0EEENS1_30default_config_static_selectorELNS0_4arch9wavefront6targetE1EEEvT1_
		.amdhsa_group_segment_fixed_size 0
		.amdhsa_private_segment_fixed_size 0
		.amdhsa_kernarg_size 112
		.amdhsa_user_sgpr_count 6
		.amdhsa_user_sgpr_private_segment_buffer 1
		.amdhsa_user_sgpr_dispatch_ptr 0
		.amdhsa_user_sgpr_queue_ptr 0
		.amdhsa_user_sgpr_kernarg_segment_ptr 1
		.amdhsa_user_sgpr_dispatch_id 0
		.amdhsa_user_sgpr_flat_scratch_init 0
		.amdhsa_user_sgpr_kernarg_preload_length 0
		.amdhsa_user_sgpr_kernarg_preload_offset 0
		.amdhsa_user_sgpr_private_segment_size 0
		.amdhsa_uses_dynamic_stack 0
		.amdhsa_system_sgpr_private_segment_wavefront_offset 0
		.amdhsa_system_sgpr_workgroup_id_x 1
		.amdhsa_system_sgpr_workgroup_id_y 0
		.amdhsa_system_sgpr_workgroup_id_z 0
		.amdhsa_system_sgpr_workgroup_info 0
		.amdhsa_system_vgpr_workitem_id 0
		.amdhsa_next_free_vgpr 1
		.amdhsa_next_free_sgpr 0
		.amdhsa_accum_offset 4
		.amdhsa_reserve_vcc 0
		.amdhsa_reserve_flat_scratch 0
		.amdhsa_float_round_mode_32 0
		.amdhsa_float_round_mode_16_64 0
		.amdhsa_float_denorm_mode_32 3
		.amdhsa_float_denorm_mode_16_64 3
		.amdhsa_dx10_clamp 1
		.amdhsa_ieee_mode 1
		.amdhsa_fp16_overflow 0
		.amdhsa_tg_split 0
		.amdhsa_exception_fp_ieee_invalid_op 0
		.amdhsa_exception_fp_denorm_src 0
		.amdhsa_exception_fp_ieee_div_zero 0
		.amdhsa_exception_fp_ieee_overflow 0
		.amdhsa_exception_fp_ieee_underflow 0
		.amdhsa_exception_fp_ieee_inexact 0
		.amdhsa_exception_int_div_zero 0
	.end_amdhsa_kernel
	.section	.text._ZN7rocprim17ROCPRIM_400000_NS6detail17trampoline_kernelINS0_14default_configENS1_27scan_by_key_config_selectorIifEEZZNS1_16scan_by_key_implILNS1_25lookback_scan_determinismE0ELb0ES3_N6thrust23THRUST_200600_302600_NS6detail15normal_iteratorINS9_10device_ptrIiEEEENSB_INSC_IfEEEESG_fNS9_4plusIvEENS9_8equal_toIvEEfEE10hipError_tPvRmT2_T3_T4_T5_mT6_T7_P12ihipStream_tbENKUlT_T0_E_clISt17integral_constantIbLb1EES11_EEDaSW_SX_EUlSW_E_NS1_11comp_targetILNS1_3genE0ELNS1_11target_archE4294967295ELNS1_3gpuE0ELNS1_3repE0EEENS1_30default_config_static_selectorELNS0_4arch9wavefront6targetE1EEEvT1_,"axG",@progbits,_ZN7rocprim17ROCPRIM_400000_NS6detail17trampoline_kernelINS0_14default_configENS1_27scan_by_key_config_selectorIifEEZZNS1_16scan_by_key_implILNS1_25lookback_scan_determinismE0ELb0ES3_N6thrust23THRUST_200600_302600_NS6detail15normal_iteratorINS9_10device_ptrIiEEEENSB_INSC_IfEEEESG_fNS9_4plusIvEENS9_8equal_toIvEEfEE10hipError_tPvRmT2_T3_T4_T5_mT6_T7_P12ihipStream_tbENKUlT_T0_E_clISt17integral_constantIbLb1EES11_EEDaSW_SX_EUlSW_E_NS1_11comp_targetILNS1_3genE0ELNS1_11target_archE4294967295ELNS1_3gpuE0ELNS1_3repE0EEENS1_30default_config_static_selectorELNS0_4arch9wavefront6targetE1EEEvT1_,comdat
.Lfunc_end1141:
	.size	_ZN7rocprim17ROCPRIM_400000_NS6detail17trampoline_kernelINS0_14default_configENS1_27scan_by_key_config_selectorIifEEZZNS1_16scan_by_key_implILNS1_25lookback_scan_determinismE0ELb0ES3_N6thrust23THRUST_200600_302600_NS6detail15normal_iteratorINS9_10device_ptrIiEEEENSB_INSC_IfEEEESG_fNS9_4plusIvEENS9_8equal_toIvEEfEE10hipError_tPvRmT2_T3_T4_T5_mT6_T7_P12ihipStream_tbENKUlT_T0_E_clISt17integral_constantIbLb1EES11_EEDaSW_SX_EUlSW_E_NS1_11comp_targetILNS1_3genE0ELNS1_11target_archE4294967295ELNS1_3gpuE0ELNS1_3repE0EEENS1_30default_config_static_selectorELNS0_4arch9wavefront6targetE1EEEvT1_, .Lfunc_end1141-_ZN7rocprim17ROCPRIM_400000_NS6detail17trampoline_kernelINS0_14default_configENS1_27scan_by_key_config_selectorIifEEZZNS1_16scan_by_key_implILNS1_25lookback_scan_determinismE0ELb0ES3_N6thrust23THRUST_200600_302600_NS6detail15normal_iteratorINS9_10device_ptrIiEEEENSB_INSC_IfEEEESG_fNS9_4plusIvEENS9_8equal_toIvEEfEE10hipError_tPvRmT2_T3_T4_T5_mT6_T7_P12ihipStream_tbENKUlT_T0_E_clISt17integral_constantIbLb1EES11_EEDaSW_SX_EUlSW_E_NS1_11comp_targetILNS1_3genE0ELNS1_11target_archE4294967295ELNS1_3gpuE0ELNS1_3repE0EEENS1_30default_config_static_selectorELNS0_4arch9wavefront6targetE1EEEvT1_
                                        ; -- End function
	.section	.AMDGPU.csdata,"",@progbits
; Kernel info:
; codeLenInByte = 0
; NumSgprs: 4
; NumVgprs: 0
; NumAgprs: 0
; TotalNumVgprs: 0
; ScratchSize: 0
; MemoryBound: 0
; FloatMode: 240
; IeeeMode: 1
; LDSByteSize: 0 bytes/workgroup (compile time only)
; SGPRBlocks: 0
; VGPRBlocks: 0
; NumSGPRsForWavesPerEU: 4
; NumVGPRsForWavesPerEU: 1
; AccumOffset: 4
; Occupancy: 8
; WaveLimiterHint : 0
; COMPUTE_PGM_RSRC2:SCRATCH_EN: 0
; COMPUTE_PGM_RSRC2:USER_SGPR: 6
; COMPUTE_PGM_RSRC2:TRAP_HANDLER: 0
; COMPUTE_PGM_RSRC2:TGID_X_EN: 1
; COMPUTE_PGM_RSRC2:TGID_Y_EN: 0
; COMPUTE_PGM_RSRC2:TGID_Z_EN: 0
; COMPUTE_PGM_RSRC2:TIDIG_COMP_CNT: 0
; COMPUTE_PGM_RSRC3_GFX90A:ACCUM_OFFSET: 0
; COMPUTE_PGM_RSRC3_GFX90A:TG_SPLIT: 0
	.section	.text._ZN7rocprim17ROCPRIM_400000_NS6detail17trampoline_kernelINS0_14default_configENS1_27scan_by_key_config_selectorIifEEZZNS1_16scan_by_key_implILNS1_25lookback_scan_determinismE0ELb0ES3_N6thrust23THRUST_200600_302600_NS6detail15normal_iteratorINS9_10device_ptrIiEEEENSB_INSC_IfEEEESG_fNS9_4plusIvEENS9_8equal_toIvEEfEE10hipError_tPvRmT2_T3_T4_T5_mT6_T7_P12ihipStream_tbENKUlT_T0_E_clISt17integral_constantIbLb1EES11_EEDaSW_SX_EUlSW_E_NS1_11comp_targetILNS1_3genE10ELNS1_11target_archE1201ELNS1_3gpuE5ELNS1_3repE0EEENS1_30default_config_static_selectorELNS0_4arch9wavefront6targetE1EEEvT1_,"axG",@progbits,_ZN7rocprim17ROCPRIM_400000_NS6detail17trampoline_kernelINS0_14default_configENS1_27scan_by_key_config_selectorIifEEZZNS1_16scan_by_key_implILNS1_25lookback_scan_determinismE0ELb0ES3_N6thrust23THRUST_200600_302600_NS6detail15normal_iteratorINS9_10device_ptrIiEEEENSB_INSC_IfEEEESG_fNS9_4plusIvEENS9_8equal_toIvEEfEE10hipError_tPvRmT2_T3_T4_T5_mT6_T7_P12ihipStream_tbENKUlT_T0_E_clISt17integral_constantIbLb1EES11_EEDaSW_SX_EUlSW_E_NS1_11comp_targetILNS1_3genE10ELNS1_11target_archE1201ELNS1_3gpuE5ELNS1_3repE0EEENS1_30default_config_static_selectorELNS0_4arch9wavefront6targetE1EEEvT1_,comdat
	.protected	_ZN7rocprim17ROCPRIM_400000_NS6detail17trampoline_kernelINS0_14default_configENS1_27scan_by_key_config_selectorIifEEZZNS1_16scan_by_key_implILNS1_25lookback_scan_determinismE0ELb0ES3_N6thrust23THRUST_200600_302600_NS6detail15normal_iteratorINS9_10device_ptrIiEEEENSB_INSC_IfEEEESG_fNS9_4plusIvEENS9_8equal_toIvEEfEE10hipError_tPvRmT2_T3_T4_T5_mT6_T7_P12ihipStream_tbENKUlT_T0_E_clISt17integral_constantIbLb1EES11_EEDaSW_SX_EUlSW_E_NS1_11comp_targetILNS1_3genE10ELNS1_11target_archE1201ELNS1_3gpuE5ELNS1_3repE0EEENS1_30default_config_static_selectorELNS0_4arch9wavefront6targetE1EEEvT1_ ; -- Begin function _ZN7rocprim17ROCPRIM_400000_NS6detail17trampoline_kernelINS0_14default_configENS1_27scan_by_key_config_selectorIifEEZZNS1_16scan_by_key_implILNS1_25lookback_scan_determinismE0ELb0ES3_N6thrust23THRUST_200600_302600_NS6detail15normal_iteratorINS9_10device_ptrIiEEEENSB_INSC_IfEEEESG_fNS9_4plusIvEENS9_8equal_toIvEEfEE10hipError_tPvRmT2_T3_T4_T5_mT6_T7_P12ihipStream_tbENKUlT_T0_E_clISt17integral_constantIbLb1EES11_EEDaSW_SX_EUlSW_E_NS1_11comp_targetILNS1_3genE10ELNS1_11target_archE1201ELNS1_3gpuE5ELNS1_3repE0EEENS1_30default_config_static_selectorELNS0_4arch9wavefront6targetE1EEEvT1_
	.globl	_ZN7rocprim17ROCPRIM_400000_NS6detail17trampoline_kernelINS0_14default_configENS1_27scan_by_key_config_selectorIifEEZZNS1_16scan_by_key_implILNS1_25lookback_scan_determinismE0ELb0ES3_N6thrust23THRUST_200600_302600_NS6detail15normal_iteratorINS9_10device_ptrIiEEEENSB_INSC_IfEEEESG_fNS9_4plusIvEENS9_8equal_toIvEEfEE10hipError_tPvRmT2_T3_T4_T5_mT6_T7_P12ihipStream_tbENKUlT_T0_E_clISt17integral_constantIbLb1EES11_EEDaSW_SX_EUlSW_E_NS1_11comp_targetILNS1_3genE10ELNS1_11target_archE1201ELNS1_3gpuE5ELNS1_3repE0EEENS1_30default_config_static_selectorELNS0_4arch9wavefront6targetE1EEEvT1_
	.p2align	8
	.type	_ZN7rocprim17ROCPRIM_400000_NS6detail17trampoline_kernelINS0_14default_configENS1_27scan_by_key_config_selectorIifEEZZNS1_16scan_by_key_implILNS1_25lookback_scan_determinismE0ELb0ES3_N6thrust23THRUST_200600_302600_NS6detail15normal_iteratorINS9_10device_ptrIiEEEENSB_INSC_IfEEEESG_fNS9_4plusIvEENS9_8equal_toIvEEfEE10hipError_tPvRmT2_T3_T4_T5_mT6_T7_P12ihipStream_tbENKUlT_T0_E_clISt17integral_constantIbLb1EES11_EEDaSW_SX_EUlSW_E_NS1_11comp_targetILNS1_3genE10ELNS1_11target_archE1201ELNS1_3gpuE5ELNS1_3repE0EEENS1_30default_config_static_selectorELNS0_4arch9wavefront6targetE1EEEvT1_,@function
_ZN7rocprim17ROCPRIM_400000_NS6detail17trampoline_kernelINS0_14default_configENS1_27scan_by_key_config_selectorIifEEZZNS1_16scan_by_key_implILNS1_25lookback_scan_determinismE0ELb0ES3_N6thrust23THRUST_200600_302600_NS6detail15normal_iteratorINS9_10device_ptrIiEEEENSB_INSC_IfEEEESG_fNS9_4plusIvEENS9_8equal_toIvEEfEE10hipError_tPvRmT2_T3_T4_T5_mT6_T7_P12ihipStream_tbENKUlT_T0_E_clISt17integral_constantIbLb1EES11_EEDaSW_SX_EUlSW_E_NS1_11comp_targetILNS1_3genE10ELNS1_11target_archE1201ELNS1_3gpuE5ELNS1_3repE0EEENS1_30default_config_static_selectorELNS0_4arch9wavefront6targetE1EEEvT1_: ; @_ZN7rocprim17ROCPRIM_400000_NS6detail17trampoline_kernelINS0_14default_configENS1_27scan_by_key_config_selectorIifEEZZNS1_16scan_by_key_implILNS1_25lookback_scan_determinismE0ELb0ES3_N6thrust23THRUST_200600_302600_NS6detail15normal_iteratorINS9_10device_ptrIiEEEENSB_INSC_IfEEEESG_fNS9_4plusIvEENS9_8equal_toIvEEfEE10hipError_tPvRmT2_T3_T4_T5_mT6_T7_P12ihipStream_tbENKUlT_T0_E_clISt17integral_constantIbLb1EES11_EEDaSW_SX_EUlSW_E_NS1_11comp_targetILNS1_3genE10ELNS1_11target_archE1201ELNS1_3gpuE5ELNS1_3repE0EEENS1_30default_config_static_selectorELNS0_4arch9wavefront6targetE1EEEvT1_
; %bb.0:
	.section	.rodata,"a",@progbits
	.p2align	6, 0x0
	.amdhsa_kernel _ZN7rocprim17ROCPRIM_400000_NS6detail17trampoline_kernelINS0_14default_configENS1_27scan_by_key_config_selectorIifEEZZNS1_16scan_by_key_implILNS1_25lookback_scan_determinismE0ELb0ES3_N6thrust23THRUST_200600_302600_NS6detail15normal_iteratorINS9_10device_ptrIiEEEENSB_INSC_IfEEEESG_fNS9_4plusIvEENS9_8equal_toIvEEfEE10hipError_tPvRmT2_T3_T4_T5_mT6_T7_P12ihipStream_tbENKUlT_T0_E_clISt17integral_constantIbLb1EES11_EEDaSW_SX_EUlSW_E_NS1_11comp_targetILNS1_3genE10ELNS1_11target_archE1201ELNS1_3gpuE5ELNS1_3repE0EEENS1_30default_config_static_selectorELNS0_4arch9wavefront6targetE1EEEvT1_
		.amdhsa_group_segment_fixed_size 0
		.amdhsa_private_segment_fixed_size 0
		.amdhsa_kernarg_size 112
		.amdhsa_user_sgpr_count 6
		.amdhsa_user_sgpr_private_segment_buffer 1
		.amdhsa_user_sgpr_dispatch_ptr 0
		.amdhsa_user_sgpr_queue_ptr 0
		.amdhsa_user_sgpr_kernarg_segment_ptr 1
		.amdhsa_user_sgpr_dispatch_id 0
		.amdhsa_user_sgpr_flat_scratch_init 0
		.amdhsa_user_sgpr_kernarg_preload_length 0
		.amdhsa_user_sgpr_kernarg_preload_offset 0
		.amdhsa_user_sgpr_private_segment_size 0
		.amdhsa_uses_dynamic_stack 0
		.amdhsa_system_sgpr_private_segment_wavefront_offset 0
		.amdhsa_system_sgpr_workgroup_id_x 1
		.amdhsa_system_sgpr_workgroup_id_y 0
		.amdhsa_system_sgpr_workgroup_id_z 0
		.amdhsa_system_sgpr_workgroup_info 0
		.amdhsa_system_vgpr_workitem_id 0
		.amdhsa_next_free_vgpr 1
		.amdhsa_next_free_sgpr 0
		.amdhsa_accum_offset 4
		.amdhsa_reserve_vcc 0
		.amdhsa_reserve_flat_scratch 0
		.amdhsa_float_round_mode_32 0
		.amdhsa_float_round_mode_16_64 0
		.amdhsa_float_denorm_mode_32 3
		.amdhsa_float_denorm_mode_16_64 3
		.amdhsa_dx10_clamp 1
		.amdhsa_ieee_mode 1
		.amdhsa_fp16_overflow 0
		.amdhsa_tg_split 0
		.amdhsa_exception_fp_ieee_invalid_op 0
		.amdhsa_exception_fp_denorm_src 0
		.amdhsa_exception_fp_ieee_div_zero 0
		.amdhsa_exception_fp_ieee_overflow 0
		.amdhsa_exception_fp_ieee_underflow 0
		.amdhsa_exception_fp_ieee_inexact 0
		.amdhsa_exception_int_div_zero 0
	.end_amdhsa_kernel
	.section	.text._ZN7rocprim17ROCPRIM_400000_NS6detail17trampoline_kernelINS0_14default_configENS1_27scan_by_key_config_selectorIifEEZZNS1_16scan_by_key_implILNS1_25lookback_scan_determinismE0ELb0ES3_N6thrust23THRUST_200600_302600_NS6detail15normal_iteratorINS9_10device_ptrIiEEEENSB_INSC_IfEEEESG_fNS9_4plusIvEENS9_8equal_toIvEEfEE10hipError_tPvRmT2_T3_T4_T5_mT6_T7_P12ihipStream_tbENKUlT_T0_E_clISt17integral_constantIbLb1EES11_EEDaSW_SX_EUlSW_E_NS1_11comp_targetILNS1_3genE10ELNS1_11target_archE1201ELNS1_3gpuE5ELNS1_3repE0EEENS1_30default_config_static_selectorELNS0_4arch9wavefront6targetE1EEEvT1_,"axG",@progbits,_ZN7rocprim17ROCPRIM_400000_NS6detail17trampoline_kernelINS0_14default_configENS1_27scan_by_key_config_selectorIifEEZZNS1_16scan_by_key_implILNS1_25lookback_scan_determinismE0ELb0ES3_N6thrust23THRUST_200600_302600_NS6detail15normal_iteratorINS9_10device_ptrIiEEEENSB_INSC_IfEEEESG_fNS9_4plusIvEENS9_8equal_toIvEEfEE10hipError_tPvRmT2_T3_T4_T5_mT6_T7_P12ihipStream_tbENKUlT_T0_E_clISt17integral_constantIbLb1EES11_EEDaSW_SX_EUlSW_E_NS1_11comp_targetILNS1_3genE10ELNS1_11target_archE1201ELNS1_3gpuE5ELNS1_3repE0EEENS1_30default_config_static_selectorELNS0_4arch9wavefront6targetE1EEEvT1_,comdat
.Lfunc_end1142:
	.size	_ZN7rocprim17ROCPRIM_400000_NS6detail17trampoline_kernelINS0_14default_configENS1_27scan_by_key_config_selectorIifEEZZNS1_16scan_by_key_implILNS1_25lookback_scan_determinismE0ELb0ES3_N6thrust23THRUST_200600_302600_NS6detail15normal_iteratorINS9_10device_ptrIiEEEENSB_INSC_IfEEEESG_fNS9_4plusIvEENS9_8equal_toIvEEfEE10hipError_tPvRmT2_T3_T4_T5_mT6_T7_P12ihipStream_tbENKUlT_T0_E_clISt17integral_constantIbLb1EES11_EEDaSW_SX_EUlSW_E_NS1_11comp_targetILNS1_3genE10ELNS1_11target_archE1201ELNS1_3gpuE5ELNS1_3repE0EEENS1_30default_config_static_selectorELNS0_4arch9wavefront6targetE1EEEvT1_, .Lfunc_end1142-_ZN7rocprim17ROCPRIM_400000_NS6detail17trampoline_kernelINS0_14default_configENS1_27scan_by_key_config_selectorIifEEZZNS1_16scan_by_key_implILNS1_25lookback_scan_determinismE0ELb0ES3_N6thrust23THRUST_200600_302600_NS6detail15normal_iteratorINS9_10device_ptrIiEEEENSB_INSC_IfEEEESG_fNS9_4plusIvEENS9_8equal_toIvEEfEE10hipError_tPvRmT2_T3_T4_T5_mT6_T7_P12ihipStream_tbENKUlT_T0_E_clISt17integral_constantIbLb1EES11_EEDaSW_SX_EUlSW_E_NS1_11comp_targetILNS1_3genE10ELNS1_11target_archE1201ELNS1_3gpuE5ELNS1_3repE0EEENS1_30default_config_static_selectorELNS0_4arch9wavefront6targetE1EEEvT1_
                                        ; -- End function
	.section	.AMDGPU.csdata,"",@progbits
; Kernel info:
; codeLenInByte = 0
; NumSgprs: 4
; NumVgprs: 0
; NumAgprs: 0
; TotalNumVgprs: 0
; ScratchSize: 0
; MemoryBound: 0
; FloatMode: 240
; IeeeMode: 1
; LDSByteSize: 0 bytes/workgroup (compile time only)
; SGPRBlocks: 0
; VGPRBlocks: 0
; NumSGPRsForWavesPerEU: 4
; NumVGPRsForWavesPerEU: 1
; AccumOffset: 4
; Occupancy: 8
; WaveLimiterHint : 0
; COMPUTE_PGM_RSRC2:SCRATCH_EN: 0
; COMPUTE_PGM_RSRC2:USER_SGPR: 6
; COMPUTE_PGM_RSRC2:TRAP_HANDLER: 0
; COMPUTE_PGM_RSRC2:TGID_X_EN: 1
; COMPUTE_PGM_RSRC2:TGID_Y_EN: 0
; COMPUTE_PGM_RSRC2:TGID_Z_EN: 0
; COMPUTE_PGM_RSRC2:TIDIG_COMP_CNT: 0
; COMPUTE_PGM_RSRC3_GFX90A:ACCUM_OFFSET: 0
; COMPUTE_PGM_RSRC3_GFX90A:TG_SPLIT: 0
	.section	.text._ZN7rocprim17ROCPRIM_400000_NS6detail17trampoline_kernelINS0_14default_configENS1_27scan_by_key_config_selectorIifEEZZNS1_16scan_by_key_implILNS1_25lookback_scan_determinismE0ELb0ES3_N6thrust23THRUST_200600_302600_NS6detail15normal_iteratorINS9_10device_ptrIiEEEENSB_INSC_IfEEEESG_fNS9_4plusIvEENS9_8equal_toIvEEfEE10hipError_tPvRmT2_T3_T4_T5_mT6_T7_P12ihipStream_tbENKUlT_T0_E_clISt17integral_constantIbLb1EES11_EEDaSW_SX_EUlSW_E_NS1_11comp_targetILNS1_3genE5ELNS1_11target_archE942ELNS1_3gpuE9ELNS1_3repE0EEENS1_30default_config_static_selectorELNS0_4arch9wavefront6targetE1EEEvT1_,"axG",@progbits,_ZN7rocprim17ROCPRIM_400000_NS6detail17trampoline_kernelINS0_14default_configENS1_27scan_by_key_config_selectorIifEEZZNS1_16scan_by_key_implILNS1_25lookback_scan_determinismE0ELb0ES3_N6thrust23THRUST_200600_302600_NS6detail15normal_iteratorINS9_10device_ptrIiEEEENSB_INSC_IfEEEESG_fNS9_4plusIvEENS9_8equal_toIvEEfEE10hipError_tPvRmT2_T3_T4_T5_mT6_T7_P12ihipStream_tbENKUlT_T0_E_clISt17integral_constantIbLb1EES11_EEDaSW_SX_EUlSW_E_NS1_11comp_targetILNS1_3genE5ELNS1_11target_archE942ELNS1_3gpuE9ELNS1_3repE0EEENS1_30default_config_static_selectorELNS0_4arch9wavefront6targetE1EEEvT1_,comdat
	.protected	_ZN7rocprim17ROCPRIM_400000_NS6detail17trampoline_kernelINS0_14default_configENS1_27scan_by_key_config_selectorIifEEZZNS1_16scan_by_key_implILNS1_25lookback_scan_determinismE0ELb0ES3_N6thrust23THRUST_200600_302600_NS6detail15normal_iteratorINS9_10device_ptrIiEEEENSB_INSC_IfEEEESG_fNS9_4plusIvEENS9_8equal_toIvEEfEE10hipError_tPvRmT2_T3_T4_T5_mT6_T7_P12ihipStream_tbENKUlT_T0_E_clISt17integral_constantIbLb1EES11_EEDaSW_SX_EUlSW_E_NS1_11comp_targetILNS1_3genE5ELNS1_11target_archE942ELNS1_3gpuE9ELNS1_3repE0EEENS1_30default_config_static_selectorELNS0_4arch9wavefront6targetE1EEEvT1_ ; -- Begin function _ZN7rocprim17ROCPRIM_400000_NS6detail17trampoline_kernelINS0_14default_configENS1_27scan_by_key_config_selectorIifEEZZNS1_16scan_by_key_implILNS1_25lookback_scan_determinismE0ELb0ES3_N6thrust23THRUST_200600_302600_NS6detail15normal_iteratorINS9_10device_ptrIiEEEENSB_INSC_IfEEEESG_fNS9_4plusIvEENS9_8equal_toIvEEfEE10hipError_tPvRmT2_T3_T4_T5_mT6_T7_P12ihipStream_tbENKUlT_T0_E_clISt17integral_constantIbLb1EES11_EEDaSW_SX_EUlSW_E_NS1_11comp_targetILNS1_3genE5ELNS1_11target_archE942ELNS1_3gpuE9ELNS1_3repE0EEENS1_30default_config_static_selectorELNS0_4arch9wavefront6targetE1EEEvT1_
	.globl	_ZN7rocprim17ROCPRIM_400000_NS6detail17trampoline_kernelINS0_14default_configENS1_27scan_by_key_config_selectorIifEEZZNS1_16scan_by_key_implILNS1_25lookback_scan_determinismE0ELb0ES3_N6thrust23THRUST_200600_302600_NS6detail15normal_iteratorINS9_10device_ptrIiEEEENSB_INSC_IfEEEESG_fNS9_4plusIvEENS9_8equal_toIvEEfEE10hipError_tPvRmT2_T3_T4_T5_mT6_T7_P12ihipStream_tbENKUlT_T0_E_clISt17integral_constantIbLb1EES11_EEDaSW_SX_EUlSW_E_NS1_11comp_targetILNS1_3genE5ELNS1_11target_archE942ELNS1_3gpuE9ELNS1_3repE0EEENS1_30default_config_static_selectorELNS0_4arch9wavefront6targetE1EEEvT1_
	.p2align	8
	.type	_ZN7rocprim17ROCPRIM_400000_NS6detail17trampoline_kernelINS0_14default_configENS1_27scan_by_key_config_selectorIifEEZZNS1_16scan_by_key_implILNS1_25lookback_scan_determinismE0ELb0ES3_N6thrust23THRUST_200600_302600_NS6detail15normal_iteratorINS9_10device_ptrIiEEEENSB_INSC_IfEEEESG_fNS9_4plusIvEENS9_8equal_toIvEEfEE10hipError_tPvRmT2_T3_T4_T5_mT6_T7_P12ihipStream_tbENKUlT_T0_E_clISt17integral_constantIbLb1EES11_EEDaSW_SX_EUlSW_E_NS1_11comp_targetILNS1_3genE5ELNS1_11target_archE942ELNS1_3gpuE9ELNS1_3repE0EEENS1_30default_config_static_selectorELNS0_4arch9wavefront6targetE1EEEvT1_,@function
_ZN7rocprim17ROCPRIM_400000_NS6detail17trampoline_kernelINS0_14default_configENS1_27scan_by_key_config_selectorIifEEZZNS1_16scan_by_key_implILNS1_25lookback_scan_determinismE0ELb0ES3_N6thrust23THRUST_200600_302600_NS6detail15normal_iteratorINS9_10device_ptrIiEEEENSB_INSC_IfEEEESG_fNS9_4plusIvEENS9_8equal_toIvEEfEE10hipError_tPvRmT2_T3_T4_T5_mT6_T7_P12ihipStream_tbENKUlT_T0_E_clISt17integral_constantIbLb1EES11_EEDaSW_SX_EUlSW_E_NS1_11comp_targetILNS1_3genE5ELNS1_11target_archE942ELNS1_3gpuE9ELNS1_3repE0EEENS1_30default_config_static_selectorELNS0_4arch9wavefront6targetE1EEEvT1_: ; @_ZN7rocprim17ROCPRIM_400000_NS6detail17trampoline_kernelINS0_14default_configENS1_27scan_by_key_config_selectorIifEEZZNS1_16scan_by_key_implILNS1_25lookback_scan_determinismE0ELb0ES3_N6thrust23THRUST_200600_302600_NS6detail15normal_iteratorINS9_10device_ptrIiEEEENSB_INSC_IfEEEESG_fNS9_4plusIvEENS9_8equal_toIvEEfEE10hipError_tPvRmT2_T3_T4_T5_mT6_T7_P12ihipStream_tbENKUlT_T0_E_clISt17integral_constantIbLb1EES11_EEDaSW_SX_EUlSW_E_NS1_11comp_targetILNS1_3genE5ELNS1_11target_archE942ELNS1_3gpuE9ELNS1_3repE0EEENS1_30default_config_static_selectorELNS0_4arch9wavefront6targetE1EEEvT1_
; %bb.0:
	.section	.rodata,"a",@progbits
	.p2align	6, 0x0
	.amdhsa_kernel _ZN7rocprim17ROCPRIM_400000_NS6detail17trampoline_kernelINS0_14default_configENS1_27scan_by_key_config_selectorIifEEZZNS1_16scan_by_key_implILNS1_25lookback_scan_determinismE0ELb0ES3_N6thrust23THRUST_200600_302600_NS6detail15normal_iteratorINS9_10device_ptrIiEEEENSB_INSC_IfEEEESG_fNS9_4plusIvEENS9_8equal_toIvEEfEE10hipError_tPvRmT2_T3_T4_T5_mT6_T7_P12ihipStream_tbENKUlT_T0_E_clISt17integral_constantIbLb1EES11_EEDaSW_SX_EUlSW_E_NS1_11comp_targetILNS1_3genE5ELNS1_11target_archE942ELNS1_3gpuE9ELNS1_3repE0EEENS1_30default_config_static_selectorELNS0_4arch9wavefront6targetE1EEEvT1_
		.amdhsa_group_segment_fixed_size 0
		.amdhsa_private_segment_fixed_size 0
		.amdhsa_kernarg_size 112
		.amdhsa_user_sgpr_count 6
		.amdhsa_user_sgpr_private_segment_buffer 1
		.amdhsa_user_sgpr_dispatch_ptr 0
		.amdhsa_user_sgpr_queue_ptr 0
		.amdhsa_user_sgpr_kernarg_segment_ptr 1
		.amdhsa_user_sgpr_dispatch_id 0
		.amdhsa_user_sgpr_flat_scratch_init 0
		.amdhsa_user_sgpr_kernarg_preload_length 0
		.amdhsa_user_sgpr_kernarg_preload_offset 0
		.amdhsa_user_sgpr_private_segment_size 0
		.amdhsa_uses_dynamic_stack 0
		.amdhsa_system_sgpr_private_segment_wavefront_offset 0
		.amdhsa_system_sgpr_workgroup_id_x 1
		.amdhsa_system_sgpr_workgroup_id_y 0
		.amdhsa_system_sgpr_workgroup_id_z 0
		.amdhsa_system_sgpr_workgroup_info 0
		.amdhsa_system_vgpr_workitem_id 0
		.amdhsa_next_free_vgpr 1
		.amdhsa_next_free_sgpr 0
		.amdhsa_accum_offset 4
		.amdhsa_reserve_vcc 0
		.amdhsa_reserve_flat_scratch 0
		.amdhsa_float_round_mode_32 0
		.amdhsa_float_round_mode_16_64 0
		.amdhsa_float_denorm_mode_32 3
		.amdhsa_float_denorm_mode_16_64 3
		.amdhsa_dx10_clamp 1
		.amdhsa_ieee_mode 1
		.amdhsa_fp16_overflow 0
		.amdhsa_tg_split 0
		.amdhsa_exception_fp_ieee_invalid_op 0
		.amdhsa_exception_fp_denorm_src 0
		.amdhsa_exception_fp_ieee_div_zero 0
		.amdhsa_exception_fp_ieee_overflow 0
		.amdhsa_exception_fp_ieee_underflow 0
		.amdhsa_exception_fp_ieee_inexact 0
		.amdhsa_exception_int_div_zero 0
	.end_amdhsa_kernel
	.section	.text._ZN7rocprim17ROCPRIM_400000_NS6detail17trampoline_kernelINS0_14default_configENS1_27scan_by_key_config_selectorIifEEZZNS1_16scan_by_key_implILNS1_25lookback_scan_determinismE0ELb0ES3_N6thrust23THRUST_200600_302600_NS6detail15normal_iteratorINS9_10device_ptrIiEEEENSB_INSC_IfEEEESG_fNS9_4plusIvEENS9_8equal_toIvEEfEE10hipError_tPvRmT2_T3_T4_T5_mT6_T7_P12ihipStream_tbENKUlT_T0_E_clISt17integral_constantIbLb1EES11_EEDaSW_SX_EUlSW_E_NS1_11comp_targetILNS1_3genE5ELNS1_11target_archE942ELNS1_3gpuE9ELNS1_3repE0EEENS1_30default_config_static_selectorELNS0_4arch9wavefront6targetE1EEEvT1_,"axG",@progbits,_ZN7rocprim17ROCPRIM_400000_NS6detail17trampoline_kernelINS0_14default_configENS1_27scan_by_key_config_selectorIifEEZZNS1_16scan_by_key_implILNS1_25lookback_scan_determinismE0ELb0ES3_N6thrust23THRUST_200600_302600_NS6detail15normal_iteratorINS9_10device_ptrIiEEEENSB_INSC_IfEEEESG_fNS9_4plusIvEENS9_8equal_toIvEEfEE10hipError_tPvRmT2_T3_T4_T5_mT6_T7_P12ihipStream_tbENKUlT_T0_E_clISt17integral_constantIbLb1EES11_EEDaSW_SX_EUlSW_E_NS1_11comp_targetILNS1_3genE5ELNS1_11target_archE942ELNS1_3gpuE9ELNS1_3repE0EEENS1_30default_config_static_selectorELNS0_4arch9wavefront6targetE1EEEvT1_,comdat
.Lfunc_end1143:
	.size	_ZN7rocprim17ROCPRIM_400000_NS6detail17trampoline_kernelINS0_14default_configENS1_27scan_by_key_config_selectorIifEEZZNS1_16scan_by_key_implILNS1_25lookback_scan_determinismE0ELb0ES3_N6thrust23THRUST_200600_302600_NS6detail15normal_iteratorINS9_10device_ptrIiEEEENSB_INSC_IfEEEESG_fNS9_4plusIvEENS9_8equal_toIvEEfEE10hipError_tPvRmT2_T3_T4_T5_mT6_T7_P12ihipStream_tbENKUlT_T0_E_clISt17integral_constantIbLb1EES11_EEDaSW_SX_EUlSW_E_NS1_11comp_targetILNS1_3genE5ELNS1_11target_archE942ELNS1_3gpuE9ELNS1_3repE0EEENS1_30default_config_static_selectorELNS0_4arch9wavefront6targetE1EEEvT1_, .Lfunc_end1143-_ZN7rocprim17ROCPRIM_400000_NS6detail17trampoline_kernelINS0_14default_configENS1_27scan_by_key_config_selectorIifEEZZNS1_16scan_by_key_implILNS1_25lookback_scan_determinismE0ELb0ES3_N6thrust23THRUST_200600_302600_NS6detail15normal_iteratorINS9_10device_ptrIiEEEENSB_INSC_IfEEEESG_fNS9_4plusIvEENS9_8equal_toIvEEfEE10hipError_tPvRmT2_T3_T4_T5_mT6_T7_P12ihipStream_tbENKUlT_T0_E_clISt17integral_constantIbLb1EES11_EEDaSW_SX_EUlSW_E_NS1_11comp_targetILNS1_3genE5ELNS1_11target_archE942ELNS1_3gpuE9ELNS1_3repE0EEENS1_30default_config_static_selectorELNS0_4arch9wavefront6targetE1EEEvT1_
                                        ; -- End function
	.section	.AMDGPU.csdata,"",@progbits
; Kernel info:
; codeLenInByte = 0
; NumSgprs: 4
; NumVgprs: 0
; NumAgprs: 0
; TotalNumVgprs: 0
; ScratchSize: 0
; MemoryBound: 0
; FloatMode: 240
; IeeeMode: 1
; LDSByteSize: 0 bytes/workgroup (compile time only)
; SGPRBlocks: 0
; VGPRBlocks: 0
; NumSGPRsForWavesPerEU: 4
; NumVGPRsForWavesPerEU: 1
; AccumOffset: 4
; Occupancy: 8
; WaveLimiterHint : 0
; COMPUTE_PGM_RSRC2:SCRATCH_EN: 0
; COMPUTE_PGM_RSRC2:USER_SGPR: 6
; COMPUTE_PGM_RSRC2:TRAP_HANDLER: 0
; COMPUTE_PGM_RSRC2:TGID_X_EN: 1
; COMPUTE_PGM_RSRC2:TGID_Y_EN: 0
; COMPUTE_PGM_RSRC2:TGID_Z_EN: 0
; COMPUTE_PGM_RSRC2:TIDIG_COMP_CNT: 0
; COMPUTE_PGM_RSRC3_GFX90A:ACCUM_OFFSET: 0
; COMPUTE_PGM_RSRC3_GFX90A:TG_SPLIT: 0
	.section	.text._ZN7rocprim17ROCPRIM_400000_NS6detail17trampoline_kernelINS0_14default_configENS1_27scan_by_key_config_selectorIifEEZZNS1_16scan_by_key_implILNS1_25lookback_scan_determinismE0ELb0ES3_N6thrust23THRUST_200600_302600_NS6detail15normal_iteratorINS9_10device_ptrIiEEEENSB_INSC_IfEEEESG_fNS9_4plusIvEENS9_8equal_toIvEEfEE10hipError_tPvRmT2_T3_T4_T5_mT6_T7_P12ihipStream_tbENKUlT_T0_E_clISt17integral_constantIbLb1EES11_EEDaSW_SX_EUlSW_E_NS1_11comp_targetILNS1_3genE4ELNS1_11target_archE910ELNS1_3gpuE8ELNS1_3repE0EEENS1_30default_config_static_selectorELNS0_4arch9wavefront6targetE1EEEvT1_,"axG",@progbits,_ZN7rocprim17ROCPRIM_400000_NS6detail17trampoline_kernelINS0_14default_configENS1_27scan_by_key_config_selectorIifEEZZNS1_16scan_by_key_implILNS1_25lookback_scan_determinismE0ELb0ES3_N6thrust23THRUST_200600_302600_NS6detail15normal_iteratorINS9_10device_ptrIiEEEENSB_INSC_IfEEEESG_fNS9_4plusIvEENS9_8equal_toIvEEfEE10hipError_tPvRmT2_T3_T4_T5_mT6_T7_P12ihipStream_tbENKUlT_T0_E_clISt17integral_constantIbLb1EES11_EEDaSW_SX_EUlSW_E_NS1_11comp_targetILNS1_3genE4ELNS1_11target_archE910ELNS1_3gpuE8ELNS1_3repE0EEENS1_30default_config_static_selectorELNS0_4arch9wavefront6targetE1EEEvT1_,comdat
	.protected	_ZN7rocprim17ROCPRIM_400000_NS6detail17trampoline_kernelINS0_14default_configENS1_27scan_by_key_config_selectorIifEEZZNS1_16scan_by_key_implILNS1_25lookback_scan_determinismE0ELb0ES3_N6thrust23THRUST_200600_302600_NS6detail15normal_iteratorINS9_10device_ptrIiEEEENSB_INSC_IfEEEESG_fNS9_4plusIvEENS9_8equal_toIvEEfEE10hipError_tPvRmT2_T3_T4_T5_mT6_T7_P12ihipStream_tbENKUlT_T0_E_clISt17integral_constantIbLb1EES11_EEDaSW_SX_EUlSW_E_NS1_11comp_targetILNS1_3genE4ELNS1_11target_archE910ELNS1_3gpuE8ELNS1_3repE0EEENS1_30default_config_static_selectorELNS0_4arch9wavefront6targetE1EEEvT1_ ; -- Begin function _ZN7rocprim17ROCPRIM_400000_NS6detail17trampoline_kernelINS0_14default_configENS1_27scan_by_key_config_selectorIifEEZZNS1_16scan_by_key_implILNS1_25lookback_scan_determinismE0ELb0ES3_N6thrust23THRUST_200600_302600_NS6detail15normal_iteratorINS9_10device_ptrIiEEEENSB_INSC_IfEEEESG_fNS9_4plusIvEENS9_8equal_toIvEEfEE10hipError_tPvRmT2_T3_T4_T5_mT6_T7_P12ihipStream_tbENKUlT_T0_E_clISt17integral_constantIbLb1EES11_EEDaSW_SX_EUlSW_E_NS1_11comp_targetILNS1_3genE4ELNS1_11target_archE910ELNS1_3gpuE8ELNS1_3repE0EEENS1_30default_config_static_selectorELNS0_4arch9wavefront6targetE1EEEvT1_
	.globl	_ZN7rocprim17ROCPRIM_400000_NS6detail17trampoline_kernelINS0_14default_configENS1_27scan_by_key_config_selectorIifEEZZNS1_16scan_by_key_implILNS1_25lookback_scan_determinismE0ELb0ES3_N6thrust23THRUST_200600_302600_NS6detail15normal_iteratorINS9_10device_ptrIiEEEENSB_INSC_IfEEEESG_fNS9_4plusIvEENS9_8equal_toIvEEfEE10hipError_tPvRmT2_T3_T4_T5_mT6_T7_P12ihipStream_tbENKUlT_T0_E_clISt17integral_constantIbLb1EES11_EEDaSW_SX_EUlSW_E_NS1_11comp_targetILNS1_3genE4ELNS1_11target_archE910ELNS1_3gpuE8ELNS1_3repE0EEENS1_30default_config_static_selectorELNS0_4arch9wavefront6targetE1EEEvT1_
	.p2align	8
	.type	_ZN7rocprim17ROCPRIM_400000_NS6detail17trampoline_kernelINS0_14default_configENS1_27scan_by_key_config_selectorIifEEZZNS1_16scan_by_key_implILNS1_25lookback_scan_determinismE0ELb0ES3_N6thrust23THRUST_200600_302600_NS6detail15normal_iteratorINS9_10device_ptrIiEEEENSB_INSC_IfEEEESG_fNS9_4plusIvEENS9_8equal_toIvEEfEE10hipError_tPvRmT2_T3_T4_T5_mT6_T7_P12ihipStream_tbENKUlT_T0_E_clISt17integral_constantIbLb1EES11_EEDaSW_SX_EUlSW_E_NS1_11comp_targetILNS1_3genE4ELNS1_11target_archE910ELNS1_3gpuE8ELNS1_3repE0EEENS1_30default_config_static_selectorELNS0_4arch9wavefront6targetE1EEEvT1_,@function
_ZN7rocprim17ROCPRIM_400000_NS6detail17trampoline_kernelINS0_14default_configENS1_27scan_by_key_config_selectorIifEEZZNS1_16scan_by_key_implILNS1_25lookback_scan_determinismE0ELb0ES3_N6thrust23THRUST_200600_302600_NS6detail15normal_iteratorINS9_10device_ptrIiEEEENSB_INSC_IfEEEESG_fNS9_4plusIvEENS9_8equal_toIvEEfEE10hipError_tPvRmT2_T3_T4_T5_mT6_T7_P12ihipStream_tbENKUlT_T0_E_clISt17integral_constantIbLb1EES11_EEDaSW_SX_EUlSW_E_NS1_11comp_targetILNS1_3genE4ELNS1_11target_archE910ELNS1_3gpuE8ELNS1_3repE0EEENS1_30default_config_static_selectorELNS0_4arch9wavefront6targetE1EEEvT1_: ; @_ZN7rocprim17ROCPRIM_400000_NS6detail17trampoline_kernelINS0_14default_configENS1_27scan_by_key_config_selectorIifEEZZNS1_16scan_by_key_implILNS1_25lookback_scan_determinismE0ELb0ES3_N6thrust23THRUST_200600_302600_NS6detail15normal_iteratorINS9_10device_ptrIiEEEENSB_INSC_IfEEEESG_fNS9_4plusIvEENS9_8equal_toIvEEfEE10hipError_tPvRmT2_T3_T4_T5_mT6_T7_P12ihipStream_tbENKUlT_T0_E_clISt17integral_constantIbLb1EES11_EEDaSW_SX_EUlSW_E_NS1_11comp_targetILNS1_3genE4ELNS1_11target_archE910ELNS1_3gpuE8ELNS1_3repE0EEENS1_30default_config_static_selectorELNS0_4arch9wavefront6targetE1EEEvT1_
; %bb.0:
	s_load_dwordx4 s[56:59], s[4:5], 0x28
	s_load_dwordx2 s[60:61], s[4:5], 0x38
	v_cmp_ne_u32_e64 s[36:37], 0, v0
	v_cmp_eq_u32_e64 s[0:1], 0, v0
	s_and_saveexec_b64 s[2:3], s[0:1]
	s_cbranch_execz .LBB1144_4
; %bb.1:
	s_mov_b64 s[8:9], exec
	v_mbcnt_lo_u32_b32 v1, s8, 0
	v_mbcnt_hi_u32_b32 v1, s9, v1
	v_cmp_eq_u32_e32 vcc, 0, v1
                                        ; implicit-def: $vgpr2
	s_and_saveexec_b64 s[6:7], vcc
	s_cbranch_execz .LBB1144_3
; %bb.2:
	s_load_dwordx2 s[10:11], s[4:5], 0x68
	s_bcnt1_i32_b64 s8, s[8:9]
	v_mov_b32_e32 v2, 0
	v_mov_b32_e32 v3, s8
	s_waitcnt lgkmcnt(0)
	global_atomic_add v2, v2, v3, s[10:11] glc
.LBB1144_3:
	s_or_b64 exec, exec, s[6:7]
	s_waitcnt vmcnt(0)
	v_readfirstlane_b32 s6, v2
	v_add_u32_e32 v1, s6, v1
	v_mov_b32_e32 v2, 0
	ds_write_b32 v2, v1
.LBB1144_4:
	s_or_b64 exec, exec, s[2:3]
	s_load_dwordx8 s[40:47], s[4:5], 0x0
	s_load_dword s2, s[4:5], 0x40
	s_load_dwordx8 s[48:55], s[4:5], 0x48
	v_mov_b32_e32 v1, 0
	s_waitcnt lgkmcnt(0)
	s_barrier
	ds_read_b32 v1, v1
	s_lshl_b64 s[38:39], s[42:43], 2
	s_add_u32 s4, s40, s38
	s_addc_u32 s5, s41, s39
	s_add_u32 s6, s44, s38
	s_mul_i32 s3, s61, s2
	s_mul_hi_u32 s8, s60, s2
	s_addc_u32 s7, s45, s39
	s_add_i32 s8, s8, s3
	s_waitcnt lgkmcnt(0)
	v_readfirstlane_b32 s59, v1
	s_mul_i32 s9, s60, s2
	s_cmp_lg_u64 s[52:53], 0
	s_mov_b32 s3, 0
	s_mul_i32 s2, s59, 0xe00
	s_cselect_b64 s[44:45], -1, 0
	s_lshl_b64 s[40:41], s[2:3], 2
	s_add_u32 s42, s4, s40
	s_addc_u32 s43, s5, s41
	s_add_u32 s64, s6, s40
	s_addc_u32 s65, s7, s41
	;; [unrolled: 2-line block ×3, first 2 shown]
	s_add_u32 s4, s48, -1
	s_addc_u32 s5, s49, -1
	v_pk_mov_b32 v[2:3], s[4:5], s[4:5] op_sel:[0,1]
	v_cmp_ge_u64_e64 s[2:3], s[52:53], v[2:3]
	s_mov_b64 s[12:13], 0
	s_mov_b64 s[8:9], -1
	s_and_b64 vcc, exec, s[2:3]
	s_mul_i32 s33, s4, 0xfffff200
	s_barrier
	s_barrier
	s_cbranch_vccz .LBB1144_81
; %bb.5:
	v_pk_mov_b32 v[2:3], s[42:43], s[42:43] op_sel:[0,1]
	flat_load_dword v2, v[2:3]
	s_add_i32 s66, s33, s58
	v_cmp_gt_u32_e64 s[6:7], s66, v0
	s_waitcnt vmcnt(0) lgkmcnt(0)
	v_mov_b32_e32 v3, v2
	s_and_saveexec_b64 s[4:5], s[6:7]
	s_cbranch_execz .LBB1144_7
; %bb.6:
	v_lshlrev_b32_e32 v1, 2, v0
	v_mov_b32_e32 v3, s43
	v_add_co_u32_e32 v4, vcc, s42, v1
	v_addc_co_u32_e32 v5, vcc, 0, v3, vcc
	flat_load_dword v3, v[4:5]
.LBB1144_7:
	s_or_b64 exec, exec, s[4:5]
	v_or_b32_e32 v1, 0x100, v0
	v_cmp_gt_u32_e64 s[8:9], s66, v1
	v_mov_b32_e32 v4, v2
	s_and_saveexec_b64 s[4:5], s[8:9]
	s_cbranch_execz .LBB1144_9
; %bb.8:
	v_lshlrev_b32_e32 v1, 2, v0
	v_mov_b32_e32 v5, s43
	v_add_co_u32_e32 v4, vcc, s42, v1
	v_addc_co_u32_e32 v5, vcc, 0, v5, vcc
	flat_load_dword v4, v[4:5] offset:1024
.LBB1144_9:
	s_or_b64 exec, exec, s[4:5]
	v_or_b32_e32 v1, 0x200, v0
	v_cmp_gt_u32_e64 s[10:11], s66, v1
	v_mov_b32_e32 v5, v2
	s_and_saveexec_b64 s[4:5], s[10:11]
	s_cbranch_execz .LBB1144_11
; %bb.10:
	v_lshlrev_b32_e32 v1, 2, v0
	v_mov_b32_e32 v5, s43
	v_add_co_u32_e32 v6, vcc, s42, v1
	v_addc_co_u32_e32 v7, vcc, 0, v5, vcc
	flat_load_dword v5, v[6:7] offset:2048
.LBB1144_11:
	;; [unrolled: 13-line block ×3, first 2 shown]
	s_or_b64 exec, exec, s[4:5]
	v_or_b32_e32 v1, 0x400, v0
	v_cmp_gt_u32_e64 s[14:15], s66, v1
	v_mov_b32_e32 v7, v2
	s_and_saveexec_b64 s[4:5], s[14:15]
	s_cbranch_execz .LBB1144_15
; %bb.14:
	v_lshlrev_b32_e32 v7, 2, v1
	v_mov_b32_e32 v9, s43
	v_add_co_u32_e32 v8, vcc, s42, v7
	v_addc_co_u32_e32 v9, vcc, 0, v9, vcc
	flat_load_dword v7, v[8:9]
.LBB1144_15:
	s_or_b64 exec, exec, s[4:5]
	v_or_b32_e32 v14, 0x500, v0
	v_cmp_gt_u32_e64 s[16:17], s66, v14
	v_mov_b32_e32 v8, v2
	s_and_saveexec_b64 s[4:5], s[16:17]
	s_cbranch_execz .LBB1144_17
; %bb.16:
	v_lshlrev_b32_e32 v8, 2, v14
	v_mov_b32_e32 v9, s43
	v_add_co_u32_e32 v8, vcc, s42, v8
	v_addc_co_u32_e32 v9, vcc, 0, v9, vcc
	flat_load_dword v8, v[8:9]
.LBB1144_17:
	;; [unrolled: 13-line block ×9, first 2 shown]
	s_or_b64 exec, exec, s[4:5]
	v_or_b32_e32 v23, 0xd00, v0
	v_cmp_gt_u32_e64 s[34:35], s66, v23
	s_and_saveexec_b64 s[4:5], s[34:35]
	s_cbranch_execz .LBB1144_33
; %bb.32:
	v_lshlrev_b32_e32 v2, 2, v23
	v_mov_b32_e32 v24, s43
	v_add_co_u32_e32 v26, vcc, s42, v2
	v_addc_co_u32_e32 v27, vcc, 0, v24, vcc
	flat_load_dword v2, v[26:27]
.LBB1144_33:
	s_or_b64 exec, exec, s[4:5]
	v_lshlrev_b32_e32 v24, 2, v0
	s_waitcnt vmcnt(0) lgkmcnt(0)
	ds_write2st64_b32 v24, v3, v4 offset1:4
	ds_write2st64_b32 v24, v5, v6 offset0:8 offset1:12
	ds_write2st64_b32 v24, v7, v8 offset0:16 offset1:20
	;; [unrolled: 1-line block ×6, first 2 shown]
	v_mad_u32_u24 v15, v0, 52, v24
	s_waitcnt lgkmcnt(0)
	s_barrier
	ds_read2_b64 v[10:13], v15 offset1:1
	ds_read2_b64 v[6:9], v15 offset0:2 offset1:3
	ds_read2_b64 v[2:5], v15 offset0:4 offset1:5
	ds_read_b64 v[40:41], v15 offset:48
	s_cmp_eq_u64 s[52:53], 0
	s_mov_b64 s[4:5], s[42:43]
	s_cbranch_scc1 .LBB1144_37
; %bb.34:
	s_andn2_b64 vcc, exec, s[44:45]
	s_cbranch_vccnz .LBB1144_233
; %bb.35:
	s_lshl_b64 s[4:5], s[52:53], 2
	s_add_u32 s4, s54, s4
	s_addc_u32 s5, s55, s5
	s_add_u32 s4, s4, -4
	s_addc_u32 s5, s5, -1
	s_cbranch_execnz .LBB1144_37
.LBB1144_36:
	s_add_u32 s4, s42, -4
	s_addc_u32 s5, s43, -1
.LBB1144_37:
	v_pk_mov_b32 v[26:27], s[4:5], s[4:5] op_sel:[0,1]
	flat_load_dword v55, v[26:27]
	s_movk_i32 s4, 0xffcc
	v_mad_i32_i24 v25, v0, s4, v15
	s_waitcnt lgkmcnt(0)
	ds_write_b32 v25, v41 offset:14336
	s_waitcnt lgkmcnt(0)
	s_barrier
	s_and_saveexec_b64 s[4:5], s[36:37]
	s_cbranch_execz .LBB1144_39
; %bb.38:
	v_mul_i32_i24_e32 v25, 0xffffffcc, v0
	v_add_u32_e32 v25, v15, v25
	s_waitcnt vmcnt(0)
	ds_read_b32 v55, v25 offset:14332
.LBB1144_39:
	s_or_b64 exec, exec, s[4:5]
	s_waitcnt lgkmcnt(0)
	s_barrier
	s_waitcnt lgkmcnt(0)
                                        ; implicit-def: $vgpr25
	s_and_saveexec_b64 s[4:5], s[6:7]
	s_cbranch_execnz .LBB1144_220
; %bb.40:
	s_or_b64 exec, exec, s[4:5]
                                        ; implicit-def: $vgpr26
	s_and_saveexec_b64 s[4:5], s[8:9]
	s_cbranch_execnz .LBB1144_221
.LBB1144_41:
	s_or_b64 exec, exec, s[4:5]
                                        ; implicit-def: $vgpr27
	s_and_saveexec_b64 s[4:5], s[10:11]
	s_cbranch_execnz .LBB1144_222
.LBB1144_42:
	s_or_b64 exec, exec, s[4:5]
                                        ; implicit-def: $vgpr28
	s_and_saveexec_b64 s[4:5], s[12:13]
	s_cbranch_execnz .LBB1144_223
.LBB1144_43:
	s_or_b64 exec, exec, s[4:5]
                                        ; implicit-def: $vgpr29
	s_and_saveexec_b64 s[4:5], s[14:15]
	s_cbranch_execnz .LBB1144_224
.LBB1144_44:
	s_or_b64 exec, exec, s[4:5]
                                        ; implicit-def: $vgpr1
	s_and_saveexec_b64 s[4:5], s[16:17]
	s_cbranch_execnz .LBB1144_225
.LBB1144_45:
	s_or_b64 exec, exec, s[4:5]
                                        ; implicit-def: $vgpr14
	s_and_saveexec_b64 s[4:5], s[18:19]
	s_cbranch_execnz .LBB1144_226
.LBB1144_46:
	s_or_b64 exec, exec, s[4:5]
                                        ; implicit-def: $vgpr16
	s_and_saveexec_b64 s[4:5], s[20:21]
	s_cbranch_execnz .LBB1144_227
.LBB1144_47:
	s_or_b64 exec, exec, s[4:5]
                                        ; implicit-def: $vgpr17
	s_and_saveexec_b64 s[4:5], s[22:23]
	s_cbranch_execnz .LBB1144_228
.LBB1144_48:
	s_or_b64 exec, exec, s[4:5]
                                        ; implicit-def: $vgpr18
	s_and_saveexec_b64 s[4:5], s[24:25]
	s_cbranch_execnz .LBB1144_229
.LBB1144_49:
	s_or_b64 exec, exec, s[4:5]
                                        ; implicit-def: $vgpr19
	s_and_saveexec_b64 s[4:5], s[26:27]
	s_cbranch_execnz .LBB1144_230
.LBB1144_50:
	s_or_b64 exec, exec, s[4:5]
                                        ; implicit-def: $vgpr20
	s_and_saveexec_b64 s[4:5], s[28:29]
	s_cbranch_execnz .LBB1144_231
.LBB1144_51:
	s_or_b64 exec, exec, s[4:5]
                                        ; implicit-def: $vgpr21
	s_and_saveexec_b64 s[4:5], s[30:31]
	s_cbranch_execnz .LBB1144_232
.LBB1144_52:
	s_or_b64 exec, exec, s[4:5]
                                        ; implicit-def: $vgpr22
	s_and_saveexec_b64 s[4:5], s[34:35]
	s_cbranch_execz .LBB1144_54
.LBB1144_53:
	v_lshlrev_b32_e32 v22, 2, v23
	v_mov_b32_e32 v23, s65
	v_add_co_u32_e32 v22, vcc, s64, v22
	v_addc_co_u32_e32 v23, vcc, 0, v23, vcc
	flat_load_dword v22, v[22:23]
.LBB1144_54:
	s_or_b64 exec, exec, s[4:5]
	s_mov_b32 s6, 0
	v_mul_u32_u24_e32 v54, 14, v0
	s_mov_b32 s7, s6
	s_waitcnt vmcnt(0) lgkmcnt(0)
	ds_write2st64_b32 v24, v25, v26 offset1:4
	ds_write2st64_b32 v24, v27, v28 offset0:8 offset1:12
	ds_write2st64_b32 v24, v29, v1 offset0:16 offset1:20
	;; [unrolled: 1-line block ×6, first 2 shown]
	v_cmp_gt_u32_e32 vcc, s66, v54
	s_mov_b64 s[8:9], 0
	v_pk_mov_b32 v[16:17], s[6:7], s[6:7] op_sel:[0,1]
	v_mov_b32_e32 v1, 0
	v_mov_b32_e32 v14, 0
	s_mov_b64 s[12:13], 0
	v_pk_mov_b32 v[18:19], s[6:7], s[6:7] op_sel:[0,1]
	v_pk_mov_b32 v[20:21], s[6:7], s[6:7] op_sel:[0,1]
	;; [unrolled: 1-line block ×5, first 2 shown]
	v_mov_b32_e32 v47, 0
	v_mov_b32_e32 v53, 0
	;; [unrolled: 1-line block ×12, first 2 shown]
	s_waitcnt lgkmcnt(0)
	s_barrier
	s_waitcnt lgkmcnt(0)
                                        ; implicit-def: $sgpr4_sgpr5
                                        ; implicit-def: $vgpr38_vgpr39
                                        ; implicit-def: $vgpr36_vgpr37
                                        ; implicit-def: $vgpr34_vgpr35
                                        ; implicit-def: $vgpr32_vgpr33
                                        ; implicit-def: $vgpr30_vgpr31
                                        ; implicit-def: $vgpr28_vgpr29
	s_and_saveexec_b64 s[10:11], vcc
	s_cbranch_execz .LBB1144_80
; %bb.55:
	ds_read_b32 v14, v15
	s_mov_b32 s20, 0
	v_cmp_ne_u32_e32 vcc, v55, v10
	v_or_b32_e32 v16, 1, v54
	s_mov_b32 s21, s20
	v_cndmask_b32_e64 v1, 0, 1, vcc
	v_cmp_gt_u32_e32 vcc, s66, v16
	s_mov_b64 s[14:15], 0
	v_pk_mov_b32 v[16:17], s[20:21], s[20:21] op_sel:[0,1]
	v_mov_b32_e32 v47, 0
	v_pk_mov_b32 v[18:19], s[20:21], s[20:21] op_sel:[0,1]
	v_pk_mov_b32 v[20:21], s[20:21], s[20:21] op_sel:[0,1]
	;; [unrolled: 1-line block ×5, first 2 shown]
	v_mov_b32_e32 v53, 0
	v_mov_b32_e32 v42, 0
	;; [unrolled: 1-line block ×11, first 2 shown]
                                        ; implicit-def: $sgpr4_sgpr5
                                        ; implicit-def: $vgpr38_vgpr39
                                        ; implicit-def: $vgpr36_vgpr37
                                        ; implicit-def: $vgpr34_vgpr35
                                        ; implicit-def: $vgpr32_vgpr33
                                        ; implicit-def: $vgpr30_vgpr31
                                        ; implicit-def: $vgpr28_vgpr29
	s_and_saveexec_b64 s[12:13], vcc
	s_cbranch_execz .LBB1144_79
; %bb.56:
	ds_read2_b32 v[28:29], v15 offset0:1 offset1:2
	v_cmp_ne_u32_e32 vcc, v10, v11
	v_add_u32_e32 v10, 2, v54
	v_mov_b32_e32 v27, 0
	v_cndmask_b32_e64 v42, 0, 1, vcc
	v_cmp_gt_u32_e32 vcc, s66, v10
	s_waitcnt lgkmcnt(0)
	v_mov_b32_e32 v26, v28
	s_mov_b64 s[16:17], 0
	v_pk_mov_b32 v[16:17], s[20:21], s[20:21] op_sel:[0,1]
	v_pk_mov_b32 v[18:19], s[20:21], s[20:21] op_sel:[0,1]
	;; [unrolled: 1-line block ×5, first 2 shown]
	v_mov_b32_e32 v47, v27
	v_mov_b32_e32 v53, v27
	;; [unrolled: 1-line block ×11, first 2 shown]
                                        ; implicit-def: $sgpr4_sgpr5
                                        ; implicit-def: $vgpr38_vgpr39
                                        ; implicit-def: $vgpr36_vgpr37
                                        ; implicit-def: $vgpr34_vgpr35
                                        ; implicit-def: $vgpr32_vgpr33
                                        ; implicit-def: $vgpr30_vgpr31
	s_and_saveexec_b64 s[14:15], vcc
	s_cbranch_execz .LBB1144_78
; %bb.57:
	v_cmp_ne_u32_e32 vcc, v11, v12
	v_add_u32_e32 v10, 3, v54
	s_mov_b32 s21, s20
	v_cndmask_b32_e64 v43, 0, 1, vcc
	v_cmp_gt_u32_e32 vcc, s66, v10
	s_mov_b64 s[18:19], 0
	s_mov_b32 s24, 0
	v_pk_mov_b32 v[16:17], s[20:21], s[20:21] op_sel:[0,1]
	v_mov_b32_e32 v47, 0
	v_pk_mov_b32 v[18:19], s[20:21], s[20:21] op_sel:[0,1]
	v_pk_mov_b32 v[20:21], s[20:21], s[20:21] op_sel:[0,1]
	;; [unrolled: 1-line block ×4, first 2 shown]
	v_mov_b32_e32 v53, 0
	v_mov_b32_e32 v52, 0
	;; [unrolled: 1-line block ×9, first 2 shown]
                                        ; implicit-def: $sgpr4_sgpr5
                                        ; implicit-def: $vgpr38_vgpr39
                                        ; implicit-def: $vgpr36_vgpr37
                                        ; implicit-def: $vgpr34_vgpr35
                                        ; implicit-def: $vgpr32_vgpr33
                                        ; implicit-def: $vgpr30_vgpr31
	s_and_saveexec_b64 s[16:17], vcc
	s_cbranch_execz .LBB1144_77
; %bb.58:
	ds_read2_b32 v[30:31], v15 offset0:3 offset1:4
	v_cmp_ne_u32_e32 vcc, v12, v13
	v_add_u32_e32 v10, 4, v54
	v_mov_b32_e32 v25, 0
	s_mov_b32 s25, s24
	v_cndmask_b32_e64 v44, 0, 1, vcc
	v_cmp_gt_u32_e32 vcc, s66, v10
	s_waitcnt lgkmcnt(0)
	v_mov_b32_e32 v24, v30
	s_mov_b64 s[20:21], 0
	v_pk_mov_b32 v[16:17], s[24:25], s[24:25] op_sel:[0,1]
	v_pk_mov_b32 v[18:19], s[24:25], s[24:25] op_sel:[0,1]
	;; [unrolled: 1-line block ×4, first 2 shown]
	v_mov_b32_e32 v47, v25
	v_mov_b32_e32 v53, v25
	;; [unrolled: 1-line block ×9, first 2 shown]
                                        ; implicit-def: $sgpr4_sgpr5
                                        ; implicit-def: $vgpr38_vgpr39
                                        ; implicit-def: $vgpr36_vgpr37
                                        ; implicit-def: $vgpr34_vgpr35
                                        ; implicit-def: $vgpr32_vgpr33
	s_and_saveexec_b64 s[18:19], vcc
	s_cbranch_execz .LBB1144_76
; %bb.59:
	v_cmp_ne_u32_e32 vcc, v13, v6
	v_add_u32_e32 v10, 5, v54
	v_cndmask_b32_e64 v45, 0, 1, vcc
	v_cmp_gt_u32_e32 vcc, s66, v10
	s_mov_b64 s[22:23], 0
	s_mov_b32 s28, 0
	v_pk_mov_b32 v[16:17], s[24:25], s[24:25] op_sel:[0,1]
	v_mov_b32_e32 v47, 0
	v_pk_mov_b32 v[18:19], s[24:25], s[24:25] op_sel:[0,1]
	v_pk_mov_b32 v[20:21], s[24:25], s[24:25] op_sel:[0,1]
	;; [unrolled: 1-line block ×3, first 2 shown]
	v_mov_b32_e32 v53, 0
	v_mov_b32_e32 v52, 0
	;; [unrolled: 1-line block ×7, first 2 shown]
                                        ; implicit-def: $sgpr4_sgpr5
                                        ; implicit-def: $vgpr38_vgpr39
                                        ; implicit-def: $vgpr36_vgpr37
                                        ; implicit-def: $vgpr34_vgpr35
                                        ; implicit-def: $vgpr32_vgpr33
	s_and_saveexec_b64 s[20:21], vcc
	s_cbranch_execz .LBB1144_75
; %bb.60:
	ds_read2_b32 v[32:33], v15 offset0:5 offset1:6
	v_cmp_ne_u32_e32 vcc, v6, v7
	v_add_u32_e32 v6, 6, v54
	v_mov_b32_e32 v23, 0
	s_mov_b32 s29, s28
	v_cndmask_b32_e64 v46, 0, 1, vcc
	v_cmp_gt_u32_e32 vcc, s66, v6
	s_waitcnt lgkmcnt(0)
	v_mov_b32_e32 v22, v32
	s_mov_b64 s[24:25], 0
	v_pk_mov_b32 v[16:17], s[28:29], s[28:29] op_sel:[0,1]
	v_pk_mov_b32 v[18:19], s[28:29], s[28:29] op_sel:[0,1]
	;; [unrolled: 1-line block ×3, first 2 shown]
	v_mov_b32_e32 v47, v23
	v_mov_b32_e32 v53, v23
	;; [unrolled: 1-line block ×7, first 2 shown]
                                        ; implicit-def: $sgpr4_sgpr5
                                        ; implicit-def: $vgpr38_vgpr39
                                        ; implicit-def: $vgpr36_vgpr37
                                        ; implicit-def: $vgpr34_vgpr35
	s_and_saveexec_b64 s[22:23], vcc
	s_cbranch_execz .LBB1144_74
; %bb.61:
	v_cmp_ne_u32_e32 vcc, v7, v8
	v_add_u32_e32 v6, 7, v54
	v_cndmask_b32_e64 v48, 0, 1, vcc
	v_cmp_gt_u32_e32 vcc, s66, v6
	s_mov_b64 s[26:27], 0
	s_mov_b32 s34, 0
	v_pk_mov_b32 v[16:17], s[28:29], s[28:29] op_sel:[0,1]
	v_mov_b32_e32 v47, 0
	v_pk_mov_b32 v[18:19], s[28:29], s[28:29] op_sel:[0,1]
	v_pk_mov_b32 v[20:21], s[28:29], s[28:29] op_sel:[0,1]
	v_mov_b32_e32 v53, 0
	v_mov_b32_e32 v52, 0
	;; [unrolled: 1-line block ×5, first 2 shown]
                                        ; implicit-def: $sgpr4_sgpr5
                                        ; implicit-def: $vgpr38_vgpr39
                                        ; implicit-def: $vgpr36_vgpr37
                                        ; implicit-def: $vgpr34_vgpr35
	s_and_saveexec_b64 s[24:25], vcc
	s_cbranch_execz .LBB1144_73
; %bb.62:
	ds_read2_b32 v[34:35], v15 offset0:7 offset1:8
	v_cmp_ne_u32_e32 vcc, v8, v9
	v_add_u32_e32 v6, 8, v54
	v_mov_b32_e32 v21, 0
	s_mov_b32 s35, s34
	v_cndmask_b32_e64 v49, 0, 1, vcc
	v_cmp_gt_u32_e32 vcc, s66, v6
	s_waitcnt lgkmcnt(0)
	v_mov_b32_e32 v20, v34
	s_mov_b64 s[28:29], 0
	v_pk_mov_b32 v[16:17], s[34:35], s[34:35] op_sel:[0,1]
	v_pk_mov_b32 v[18:19], s[34:35], s[34:35] op_sel:[0,1]
	v_mov_b32_e32 v47, v21
	v_mov_b32_e32 v53, v21
	;; [unrolled: 1-line block ×5, first 2 shown]
                                        ; implicit-def: $sgpr4_sgpr5
                                        ; implicit-def: $vgpr38_vgpr39
                                        ; implicit-def: $vgpr36_vgpr37
	s_and_saveexec_b64 s[26:27], vcc
	s_cbranch_execz .LBB1144_72
; %bb.63:
	v_cmp_ne_u32_e32 vcc, v9, v2
	v_add_u32_e32 v6, 9, v54
	v_cndmask_b32_e64 v50, 0, 1, vcc
	v_cmp_gt_u32_e32 vcc, s66, v6
	s_mov_b64 s[30:31], 0
	s_mov_b32 s62, 0
	v_pk_mov_b32 v[16:17], s[34:35], s[34:35] op_sel:[0,1]
	v_mov_b32_e32 v47, 0
	v_pk_mov_b32 v[18:19], s[34:35], s[34:35] op_sel:[0,1]
	v_mov_b32_e32 v53, 0
	v_mov_b32_e32 v52, 0
	;; [unrolled: 1-line block ×3, first 2 shown]
                                        ; implicit-def: $sgpr4_sgpr5
                                        ; implicit-def: $vgpr38_vgpr39
                                        ; implicit-def: $vgpr36_vgpr37
	s_and_saveexec_b64 s[28:29], vcc
	s_cbranch_execz .LBB1144_71
; %bb.64:
	ds_read2_b32 v[36:37], v15 offset0:9 offset1:10
	v_cmp_ne_u32_e32 vcc, v2, v3
	v_add_u32_e32 v2, 10, v54
	v_mov_b32_e32 v19, 0
	s_mov_b32 s63, s62
	v_cndmask_b32_e64 v51, 0, 1, vcc
	v_cmp_gt_u32_e32 vcc, s66, v2
	s_waitcnt lgkmcnt(0)
	v_mov_b32_e32 v18, v36
	s_mov_b64 s[34:35], 0
	v_pk_mov_b32 v[16:17], s[62:63], s[62:63] op_sel:[0,1]
	v_mov_b32_e32 v47, v19
	v_mov_b32_e32 v53, v19
	;; [unrolled: 1-line block ×3, first 2 shown]
                                        ; implicit-def: $sgpr4_sgpr5
                                        ; implicit-def: $vgpr38_vgpr39
	s_and_saveexec_b64 s[30:31], vcc
	s_cbranch_execz .LBB1144_70
; %bb.65:
	v_cmp_ne_u32_e32 vcc, v3, v4
	v_add_u32_e32 v2, 11, v54
	v_cndmask_b32_e64 v52, 0, 1, vcc
	v_cmp_gt_u32_e32 vcc, s66, v2
	s_mov_b64 s[48:49], 0
	v_pk_mov_b32 v[16:17], s[62:63], s[62:63] op_sel:[0,1]
	v_mov_b32_e32 v47, 0
	v_mov_b32_e32 v53, 0
                                        ; implicit-def: $sgpr62_sgpr63
                                        ; implicit-def: $vgpr38_vgpr39
	s_and_saveexec_b64 s[34:35], vcc
	s_cbranch_execz .LBB1144_69
; %bb.66:
	ds_read2_b32 v[38:39], v15 offset0:11 offset1:12
	v_cmp_ne_u32_e32 vcc, v4, v5
	v_add_u32_e32 v2, 12, v54
	v_mov_b32_e32 v17, 0
	v_cndmask_b32_e64 v53, 0, 1, vcc
	v_cmp_gt_u32_e32 vcc, s66, v2
	s_waitcnt lgkmcnt(0)
	v_mov_b32_e32 v16, v38
	s_mov_b64 s[4:5], 0
	v_mov_b32_e32 v47, v17
                                        ; implicit-def: $sgpr48_sgpr49
	s_and_saveexec_b64 s[62:63], vcc
	s_xor_b64 s[62:63], exec, s[62:63]
	s_cbranch_execz .LBB1144_68
; %bb.67:
	ds_read_b32 v15, v15 offset:52
	v_cmp_ne_u32_e64 s[4:5], v5, v40
	v_add_u32_e32 v2, 13, v54
	v_cmp_ne_u32_e32 vcc, v40, v41
	v_cndmask_b32_e64 v47, 0, 1, s[4:5]
	v_cmp_gt_u32_e64 s[4:5], s66, v2
	s_and_b64 s[48:49], vcc, exec
	s_and_b64 s[4:5], s[4:5], exec
	v_pk_mov_b32 v[16:17], v[38:39], v[38:39] op_sel:[0,1]
.LBB1144_68:
	s_or_b64 exec, exec, s[62:63]
	s_and_b64 s[62:63], s[48:49], exec
	s_and_b64 s[48:49], s[4:5], exec
.LBB1144_69:
	s_or_b64 exec, exec, s[34:35]
	s_and_b64 s[4:5], s[62:63], exec
	s_and_b64 s[34:35], s[48:49], exec
	v_pk_mov_b32 v[18:19], v[36:37], v[36:37] op_sel:[0,1]
.LBB1144_70:
	s_or_b64 exec, exec, s[30:31]
	s_and_b64 s[4:5], s[4:5], exec
	s_and_b64 s[30:31], s[34:35], exec
.LBB1144_71:
	s_or_b64 exec, exec, s[28:29]
	s_and_b64 s[4:5], s[4:5], exec
	s_and_b64 s[28:29], s[30:31], exec
	v_pk_mov_b32 v[20:21], v[34:35], v[34:35] op_sel:[0,1]
.LBB1144_72:
	s_or_b64 exec, exec, s[26:27]
	s_and_b64 s[4:5], s[4:5], exec
	s_and_b64 s[26:27], s[28:29], exec
.LBB1144_73:
	s_or_b64 exec, exec, s[24:25]
	s_and_b64 s[4:5], s[4:5], exec
	s_and_b64 s[24:25], s[26:27], exec
	v_pk_mov_b32 v[22:23], v[32:33], v[32:33] op_sel:[0,1]
.LBB1144_74:
	s_or_b64 exec, exec, s[22:23]
	s_and_b64 s[4:5], s[4:5], exec
	s_and_b64 s[22:23], s[24:25], exec
.LBB1144_75:
	s_or_b64 exec, exec, s[20:21]
	s_and_b64 s[4:5], s[4:5], exec
	s_and_b64 s[20:21], s[22:23], exec
	v_pk_mov_b32 v[24:25], v[30:31], v[30:31] op_sel:[0,1]
.LBB1144_76:
	s_or_b64 exec, exec, s[18:19]
	s_and_b64 s[4:5], s[4:5], exec
	s_and_b64 s[18:19], s[20:21], exec
.LBB1144_77:
	s_or_b64 exec, exec, s[16:17]
	s_and_b64 s[4:5], s[4:5], exec
	s_and_b64 s[16:17], s[18:19], exec
	v_pk_mov_b32 v[26:27], v[28:29], v[28:29] op_sel:[0,1]
.LBB1144_78:
	s_or_b64 exec, exec, s[14:15]
	s_and_b64 s[4:5], s[4:5], exec
	s_and_b64 s[14:15], s[16:17], exec
.LBB1144_79:
	s_or_b64 exec, exec, s[12:13]
	s_and_b64 s[4:5], s[4:5], exec
	s_and_b64 s[12:13], s[14:15], exec
.LBB1144_80:
	s_or_b64 exec, exec, s[10:11]
	s_mov_b32 s7, 0
	s_and_b64 vcc, exec, s[8:9]
	v_lshlrev_b32_e32 v40, 2, v0
	s_cbranch_vccnz .LBB1144_82
	s_branch .LBB1144_90
.LBB1144_81:
                                        ; implicit-def: $sgpr4_sgpr5
                                        ; implicit-def: $vgpr38_vgpr39
                                        ; implicit-def: $vgpr36_vgpr37
                                        ; implicit-def: $vgpr34_vgpr35
                                        ; implicit-def: $vgpr32_vgpr33
                                        ; implicit-def: $vgpr30_vgpr31
                                        ; implicit-def: $vgpr28_vgpr29
                                        ; implicit-def: $vgpr15
                                        ; implicit-def: $vgpr1
                                        ; implicit-def: $vgpr47
                                        ; implicit-def: $vgpr53
                                        ; implicit-def: $vgpr42
                                        ; implicit-def: $vgpr52
                                        ; implicit-def: $vgpr51
                                        ; implicit-def: $vgpr43
                                        ; implicit-def: $vgpr50
                                        ; implicit-def: $vgpr49
                                        ; implicit-def: $vgpr44
                                        ; implicit-def: $vgpr48
                                        ; implicit-def: $vgpr46
                                        ; implicit-def: $vgpr45
                                        ; implicit-def: $vgpr16_vgpr17
                                        ; implicit-def: $vgpr18_vgpr19
                                        ; implicit-def: $vgpr20_vgpr21
                                        ; implicit-def: $vgpr22_vgpr23
                                        ; implicit-def: $vgpr24_vgpr25
                                        ; implicit-def: $vgpr26_vgpr27
                                        ; implicit-def: $sgpr7
                                        ; implicit-def: $sgpr6
	s_and_b64 vcc, exec, s[8:9]
	v_lshlrev_b32_e32 v40, 2, v0
	s_cbranch_vccz .LBB1144_90
.LBB1144_82:
	v_mov_b32_e32 v1, s43
	v_add_co_u32_e32 v2, vcc, s42, v40
	v_addc_co_u32_e32 v3, vcc, 0, v1, vcc
	v_add_co_u32_e32 v4, vcc, 0x1000, v2
	v_addc_co_u32_e32 v5, vcc, 0, v3, vcc
	flat_load_dword v6, v[2:3]
	flat_load_dword v7, v[2:3] offset:1024
	flat_load_dword v8, v[2:3] offset:2048
	;; [unrolled: 1-line block ×3, first 2 shown]
	flat_load_dword v10, v[4:5]
	flat_load_dword v11, v[4:5] offset:1024
	flat_load_dword v12, v[4:5] offset:2048
	;; [unrolled: 1-line block ×3, first 2 shown]
	v_add_co_u32_e32 v4, vcc, 0x2000, v2
	v_addc_co_u32_e32 v5, vcc, 0, v3, vcc
	v_add_co_u32_e32 v2, vcc, 0x3000, v2
	v_addc_co_u32_e32 v3, vcc, 0, v3, vcc
	s_waitcnt lgkmcnt(0)
	flat_load_dword v14, v[4:5]
	flat_load_dword v15, v[4:5] offset:1024
	flat_load_dword v16, v[4:5] offset:2048
	;; [unrolled: 1-line block ×3, first 2 shown]
	flat_load_dword v18, v[2:3]
	flat_load_dword v19, v[2:3] offset:1024
	v_mad_u32_u24 v1, v0, 52, v40
	s_cmp_eq_u64 s[52:53], 0
	s_waitcnt vmcnt(0)
	ds_write2st64_b32 v40, v6, v7 offset1:4
	ds_write2st64_b32 v40, v8, v9 offset0:8 offset1:12
	ds_write2st64_b32 v40, v10, v11 offset0:16 offset1:20
	ds_write2st64_b32 v40, v12, v13 offset0:24 offset1:28
	s_waitcnt lgkmcnt(0)
	ds_write2st64_b32 v40, v14, v15 offset0:32 offset1:36
	ds_write2st64_b32 v40, v16, v17 offset0:40 offset1:44
	;; [unrolled: 1-line block ×3, first 2 shown]
	s_waitcnt lgkmcnt(0)
	s_barrier
	ds_read2_b64 v[2:5], v1 offset1:1
	ds_read2_b64 v[6:9], v1 offset0:2 offset1:3
	ds_read2_b64 v[10:13], v1 offset0:4 offset1:5
	ds_read_b64 v[14:15], v1 offset:48
	s_cbranch_scc1 .LBB1144_87
; %bb.83:
	s_andn2_b64 vcc, exec, s[44:45]
	s_cbranch_vccnz .LBB1144_234
; %bb.84:
	s_lshl_b64 s[4:5], s[52:53], 2
	s_add_u32 s4, s54, s4
	s_addc_u32 s5, s55, s5
	s_add_u32 s4, s4, -4
	s_addc_u32 s5, s5, -1
	s_cbranch_execnz .LBB1144_86
.LBB1144_85:
	s_add_u32 s4, s42, -4
	s_addc_u32 s5, s43, -1
.LBB1144_86:
	s_mov_b64 s[42:43], s[4:5]
.LBB1144_87:
	v_pk_mov_b32 v[16:17], s[42:43], s[42:43] op_sel:[0,1]
	flat_load_dword v16, v[16:17]
	s_movk_i32 s4, 0xffcc
	v_mad_i32_i24 v17, v0, s4, v1
	s_waitcnt lgkmcnt(0)
	ds_write_b32 v17, v15 offset:14336
	s_waitcnt lgkmcnt(0)
	s_barrier
	s_and_saveexec_b64 s[4:5], s[36:37]
	s_cbranch_execz .LBB1144_89
; %bb.88:
	s_waitcnt vmcnt(0)
	v_mul_i32_i24_e32 v16, 0xffffffcc, v0
	v_add_u32_e32 v16, v1, v16
	ds_read_b32 v16, v16 offset:14332
.LBB1144_89:
	s_or_b64 exec, exec, s[4:5]
	v_mov_b32_e32 v17, s65
	v_add_co_u32_e32 v18, vcc, s64, v40
	v_addc_co_u32_e32 v19, vcc, 0, v17, vcc
	s_movk_i32 s4, 0x1000
	v_add_co_u32_e32 v20, vcc, s4, v18
	v_addc_co_u32_e32 v21, vcc, 0, v19, vcc
	s_movk_i32 s4, 0x2000
	s_waitcnt lgkmcnt(0)
	s_barrier
	flat_load_dword v17, v[18:19]
	flat_load_dword v22, v[18:19] offset:1024
	flat_load_dword v23, v[18:19] offset:2048
	;; [unrolled: 1-line block ×3, first 2 shown]
	flat_load_dword v25, v[20:21]
	flat_load_dword v26, v[20:21] offset:1024
	flat_load_dword v27, v[20:21] offset:2048
	;; [unrolled: 1-line block ×3, first 2 shown]
	v_add_co_u32_e32 v20, vcc, s4, v18
	v_addc_co_u32_e32 v21, vcc, 0, v19, vcc
	s_movk_i32 s4, 0x3000
	v_add_co_u32_e32 v18, vcc, s4, v18
	v_addc_co_u32_e32 v19, vcc, 0, v19, vcc
	flat_load_dword v29, v[20:21]
	flat_load_dword v30, v[20:21] offset:1024
	flat_load_dword v31, v[20:21] offset:2048
	;; [unrolled: 1-line block ×3, first 2 shown]
	flat_load_dword v33, v[18:19]
	flat_load_dword v34, v[18:19] offset:1024
	v_cmp_ne_u32_e32 vcc, v13, v14
	v_cndmask_b32_e64 v47, 0, 1, vcc
	v_cmp_ne_u32_e32 vcc, v12, v13
	v_cndmask_b32_e64 v53, 0, 1, vcc
	;; [unrolled: 2-line block ×3, first 2 shown]
	v_cmp_ne_u32_e32 vcc, v10, v11
	v_cmp_ne_u32_e64 s[4:5], v14, v15
	v_cndmask_b32_e64 v51, 0, 1, vcc
	v_cmp_ne_u32_e32 vcc, v9, v10
	v_cndmask_b32_e64 v50, 0, 1, vcc
	v_cmp_ne_u32_e32 vcc, v8, v9
	v_cndmask_b32_e64 v49, 0, 1, vcc
	v_cmp_ne_u32_e32 vcc, v7, v8
	v_cndmask_b32_e64 v48, 0, 1, vcc
	v_cmp_ne_u32_e32 vcc, v6, v7
	v_cndmask_b32_e64 v46, 0, 1, vcc
	v_cmp_ne_u32_e32 vcc, v5, v6
	v_cndmask_b32_e64 v45, 0, 1, vcc
	v_cmp_ne_u32_e32 vcc, v4, v5
	v_cndmask_b32_e64 v44, 0, 1, vcc
	v_cmp_ne_u32_e32 vcc, v3, v4
	v_cndmask_b32_e64 v43, 0, 1, vcc
	v_cmp_ne_u32_e32 vcc, v2, v3
	v_cndmask_b32_e64 v42, 0, 1, vcc
	s_waitcnt vmcnt(0)
	v_cmp_ne_u32_e32 vcc, v16, v2
	s_mov_b64 s[12:13], -1
                                        ; implicit-def: $vgpr18_vgpr19
                                        ; implicit-def: $vgpr20_vgpr21
                                        ; implicit-def: $sgpr7
                                        ; implicit-def: $sgpr6
	s_waitcnt lgkmcnt(0)
	ds_write2st64_b32 v40, v17, v22 offset1:4
	ds_write2st64_b32 v40, v23, v24 offset0:8 offset1:12
	ds_write2st64_b32 v40, v25, v26 offset0:16 offset1:20
	;; [unrolled: 1-line block ×6, first 2 shown]
	s_waitcnt lgkmcnt(0)
	s_barrier
	ds_read2_b32 v[14:15], v1 offset1:13
	ds_read2_b32 v[28:29], v1 offset0:1 offset1:2
	ds_read2_b32 v[30:31], v1 offset0:3 offset1:4
	;; [unrolled: 1-line block ×6, first 2 shown]
	v_cndmask_b32_e64 v1, 0, 1, vcc
                                        ; implicit-def: $vgpr16_vgpr17
                                        ; implicit-def: $vgpr22_vgpr23
                                        ; implicit-def: $vgpr24_vgpr25
                                        ; implicit-def: $vgpr26_vgpr27
.LBB1144_90:
	v_mov_b32_e32 v54, s6
	v_mov_b32_e32 v41, s7
	s_and_saveexec_b64 s[6:7], s[12:13]
	s_cbranch_execz .LBB1144_92
; %bb.91:
	v_cndmask_b32_e64 v54, 0, 1, s[4:5]
	s_waitcnt lgkmcnt(0)
	v_mov_b32_e32 v41, v15
	v_pk_mov_b32 v[26:27], v[28:29], v[28:29] op_sel:[0,1]
	v_pk_mov_b32 v[24:25], v[30:31], v[30:31] op_sel:[0,1]
	;; [unrolled: 1-line block ×6, first 2 shown]
.LBB1144_92:
	s_or_b64 exec, exec, s[6:7]
	v_or_b32_e32 v2, v54, v47
	s_cmp_lg_u32 s59, 0
	s_waitcnt lgkmcnt(1)
	v_or_b32_e32 v36, v2, v53
	s_waitcnt lgkmcnt(0)
	v_mbcnt_lo_u32_b32 v15, -1, 0
	s_barrier
	s_cbranch_scc0 .LBB1144_159
; %bb.93:
	v_mov_b32_e32 v2, 0
	v_add_f32_e32 v3, v26, v14
	v_cmp_eq_u16_sdwa s[6:7], v42, v2 src0_sel:BYTE_0 src1_sel:DWORD
	v_cndmask_b32_e64 v3, v26, v3, s[6:7]
	v_add_f32_e32 v3, v27, v3
	v_cmp_eq_u16_sdwa s[8:9], v43, v2 src0_sel:BYTE_0 src1_sel:DWORD
	v_cndmask_b32_e64 v3, v27, v3, s[8:9]
	;; [unrolled: 3-line block ×7, first 2 shown]
	v_add_f32_e32 v3, v21, v3
	v_cmp_eq_u16_sdwa s[20:21], v50, v2 src0_sel:BYTE_0 src1_sel:DWORD
	v_cmp_eq_u16_sdwa s[22:23], v51, v2 src0_sel:BYTE_0 src1_sel:DWORD
	;; [unrolled: 1-line block ×6, first 2 shown]
	v_or_b32_e32 v2, v36, v52
	v_cndmask_b32_e64 v3, v21, v3, s[20:21]
	v_or_b32_e32 v2, v2, v51
	v_add_f32_e32 v3, v18, v3
	v_or_b32_e32 v2, v2, v50
	v_cndmask_b32_e64 v3, v18, v3, s[22:23]
	v_or_b32_e32 v2, v2, v49
	v_add_f32_e32 v3, v19, v3
	;; [unrolled: 4-line block ×5, first 2 shown]
	v_and_b32_e32 v2, 1, v2
	v_cndmask_b32_e64 v4, v41, v3, s[30:31]
	v_and_b32_e32 v3, 0xff, v1
	v_cmp_eq_u32_e32 vcc, 1, v2
	v_mbcnt_hi_u32_b32 v11, -1, v15
	v_cndmask_b32_e64 v5, v3, 1, vcc
	v_and_b32_e32 v2, 15, v11
	v_mov_b32_dpp v6, v4 row_shr:1 row_mask:0xf bank_mask:0xf
	v_mov_b32_dpp v3, v5 row_shr:1 row_mask:0xf bank_mask:0xf
	v_cmp_ne_u32_e32 vcc, 0, v2
	s_and_saveexec_b64 s[4:5], vcc
; %bb.94:
	v_add_f32_e32 v6, v4, v6
	v_cmp_eq_u32_e32 vcc, 0, v5
	v_and_b32_e32 v5, 1, v5
	v_cndmask_b32_e32 v4, v4, v6, vcc
	v_and_b32_e32 v3, 1, v3
	v_cmp_eq_u32_e32 vcc, 1, v5
	v_cndmask_b32_e64 v5, v3, 1, vcc
; %bb.95:
	s_or_b64 exec, exec, s[4:5]
	v_mov_b32_dpp v6, v4 row_shr:2 row_mask:0xf bank_mask:0xf
	v_mov_b32_dpp v3, v5 row_shr:2 row_mask:0xf bank_mask:0xf
	v_cmp_lt_u32_e32 vcc, 1, v2
	s_and_saveexec_b64 s[4:5], vcc
; %bb.96:
	v_add_f32_e32 v6, v4, v6
	v_cmp_eq_u32_e32 vcc, 0, v5
	v_and_b32_e32 v5, 1, v5
	v_cndmask_b32_e32 v4, v4, v6, vcc
	v_and_b32_e32 v3, 1, v3
	v_cmp_eq_u32_e32 vcc, 1, v5
	v_cndmask_b32_e64 v5, v3, 1, vcc
; %bb.97:
	s_or_b64 exec, exec, s[4:5]
	v_mov_b32_dpp v6, v4 row_shr:4 row_mask:0xf bank_mask:0xf
	v_mov_b32_dpp v3, v5 row_shr:4 row_mask:0xf bank_mask:0xf
	v_cmp_lt_u32_e32 vcc, 3, v2
	;; [unrolled: 14-line block ×3, first 2 shown]
	s_and_saveexec_b64 s[4:5], vcc
; %bb.100:
	v_add_f32_e32 v2, v4, v6
	v_cmp_eq_u32_e32 vcc, 0, v5
	v_cndmask_b32_e32 v4, v4, v2, vcc
	v_and_b32_e32 v2, 1, v5
	v_and_b32_e32 v3, 1, v3
	v_cmp_eq_u32_e32 vcc, 1, v2
	v_cndmask_b32_e64 v5, v3, 1, vcc
; %bb.101:
	s_or_b64 exec, exec, s[4:5]
	v_and_b32_e32 v6, 16, v11
	v_mov_b32_dpp v3, v4 row_bcast:15 row_mask:0xf bank_mask:0xf
	v_mov_b32_dpp v2, v5 row_bcast:15 row_mask:0xf bank_mask:0xf
	v_cmp_ne_u32_e32 vcc, 0, v6
	s_and_saveexec_b64 s[4:5], vcc
; %bb.102:
	v_add_f32_e32 v3, v4, v3
	v_cmp_eq_u32_e32 vcc, 0, v5
	v_cndmask_b32_e32 v4, v4, v3, vcc
	v_and_b32_e32 v3, 1, v5
	v_and_b32_e32 v2, 1, v2
	v_cmp_eq_u32_e32 vcc, 1, v3
	v_cndmask_b32_e64 v5, v2, 1, vcc
; %bb.103:
	s_or_b64 exec, exec, s[4:5]
	v_mov_b32_dpp v3, v4 row_bcast:31 row_mask:0xf bank_mask:0xf
	v_mov_b32_dpp v2, v5 row_bcast:31 row_mask:0xf bank_mask:0xf
	v_cmp_lt_u32_e32 vcc, 31, v11
	s_and_saveexec_b64 s[4:5], vcc
; %bb.104:
	v_add_f32_e32 v3, v4, v3
	v_cmp_eq_u32_e32 vcc, 0, v5
	v_cndmask_b32_e32 v4, v4, v3, vcc
	v_and_b32_e32 v3, 1, v5
	v_and_b32_e32 v2, 1, v2
	v_cmp_eq_u32_e32 vcc, 1, v3
	v_cndmask_b32_e64 v5, v2, 1, vcc
; %bb.105:
	s_or_b64 exec, exec, s[4:5]
	v_or_b32_e32 v2, 63, v0
	v_lshrrev_b32_e32 v6, 6, v0
	v_cmp_eq_u32_e32 vcc, v2, v0
	s_and_saveexec_b64 s[4:5], vcc
	s_cbranch_execz .LBB1144_107
; %bb.106:
	v_lshlrev_b32_e32 v2, 3, v6
	ds_write_b32 v2, v4
	ds_write_b8 v2, v5 offset:4
.LBB1144_107:
	s_or_b64 exec, exec, s[4:5]
	v_cmp_gt_u32_e32 vcc, 4, v0
	s_waitcnt lgkmcnt(0)
	s_barrier
	s_and_saveexec_b64 s[4:5], vcc
	s_cbranch_execz .LBB1144_111
; %bb.108:
	v_lshlrev_b32_e32 v7, 3, v0
	ds_read_b64 v[2:3], v7
	v_and_b32_e32 v8, 3, v11
	v_cmp_ne_u32_e32 vcc, 0, v8
	s_waitcnt lgkmcnt(0)
	v_mov_b32_dpp v12, v2 row_shr:1 row_mask:0xf bank_mask:0xf
	v_mov_b32_dpp v10, v3 row_shr:1 row_mask:0xf bank_mask:0xf
	v_mov_b32_e32 v9, v3
	s_and_saveexec_b64 s[34:35], vcc
; %bb.109:
	v_mov_b32_e32 v9, 0
	v_add_f32_e32 v12, v2, v12
	v_cmp_eq_u16_sdwa vcc, v3, v9 src0_sel:BYTE_0 src1_sel:DWORD
	v_and_b32_e32 v9, 1, v3
	v_cndmask_b32_e32 v2, v2, v12, vcc
	v_and_b32_e32 v10, 1, v10
	v_cmp_eq_u32_e32 vcc, 1, v9
	v_cndmask_b32_e64 v9, v10, 1, vcc
	s_movk_i32 s42, 0xff00
	v_and_or_b32 v3, v3, s42, v9
; %bb.110:
	s_or_b64 exec, exec, s[34:35]
	v_mov_b32_e32 v13, 0
	v_mov_b32_dpp v12, v3 row_shr:2 row_mask:0xf bank_mask:0xf
	v_cmp_eq_u16_sdwa s[34:35], v9, v13 src0_sel:BYTE_0 src1_sel:DWORD
	v_and_b32_e32 v9, 1, v9
	v_and_b32_e32 v12, 1, v12
	v_cmp_eq_u32_e32 vcc, 1, v9
	v_mov_b32_dpp v10, v2 row_shr:2 row_mask:0xf bank_mask:0xf
	v_cndmask_b32_e64 v9, v12, 1, vcc
	v_cmp_lt_u32_e32 vcc, 1, v8
	v_add_f32_e32 v10, v2, v10
	v_cndmask_b32_e32 v3, v3, v9, vcc
	s_and_b64 vcc, vcc, s[34:35]
	v_cndmask_b32_e32 v2, v2, v10, vcc
	ds_write_b32 v7, v2
	ds_write_b8 v7, v3 offset:4
.LBB1144_111:
	s_or_b64 exec, exec, s[4:5]
	v_cmp_gt_u32_e32 vcc, 64, v0
	v_cmp_lt_u32_e64 s[4:5], 63, v0
	v_mov_b32_e32 v28, 0
	v_mov_b32_e32 v29, 0
	s_waitcnt lgkmcnt(0)
	s_barrier
	s_and_saveexec_b64 s[34:35], s[4:5]
	s_cbranch_execz .LBB1144_113
; %bb.112:
	v_lshl_add_u32 v2, v6, 3, -8
	ds_read_b32 v28, v2
	ds_read_u8 v29, v2 offset:4
	v_and_b32_e32 v2, 1, v5
	v_cmp_eq_u32_e64 s[4:5], 0, v5
	s_waitcnt lgkmcnt(1)
	v_add_f32_e32 v3, v4, v28
	s_waitcnt lgkmcnt(0)
	v_and_b32_e32 v6, 1, v29
	v_cndmask_b32_e64 v4, v4, v3, s[4:5]
	v_cmp_eq_u32_e64 s[4:5], 1, v2
	v_cndmask_b32_e64 v5, v6, 1, s[4:5]
.LBB1144_113:
	s_or_b64 exec, exec, s[34:35]
	v_add_u32_e32 v2, -1, v11
	v_and_b32_e32 v3, 64, v11
	v_cmp_lt_i32_e64 s[4:5], v2, v3
	v_cndmask_b32_e64 v2, v2, v11, s[4:5]
	v_lshlrev_b32_e32 v2, 2, v2
	ds_bpermute_b32 v30, v2, v4
	ds_bpermute_b32 v31, v2, v5
	v_cmp_eq_u32_e64 s[34:35], 0, v11
	s_and_saveexec_b64 s[4:5], vcc
	s_cbranch_execz .LBB1144_158
; %bb.114:
	v_mov_b32_e32 v5, 0
	ds_read_b64 v[2:3], v5 offset:24
	s_waitcnt lgkmcnt(0)
	v_readfirstlane_b32 s48, v3
	s_and_saveexec_b64 s[42:43], s[34:35]
	s_cbranch_execz .LBB1144_116
; %bb.115:
	s_add_i32 s44, s59, 64
	s_mov_b32 s45, 0
	s_lshl_b64 s[52:53], s[44:45], 4
	s_add_u32 s52, s56, s52
	s_addc_u32 s53, s57, s53
	s_and_b32 s55, s48, 0xff000000
	s_mov_b32 s54, s45
	s_and_b32 s63, s48, 0xff0000
	s_mov_b32 s62, s45
	s_or_b64 s[54:55], s[62:63], s[54:55]
	s_and_b32 s63, s48, 0xff00
	s_or_b64 s[54:55], s[54:55], s[62:63]
	s_and_b32 s63, s48, 0xff
	s_or_b64 s[44:45], s[54:55], s[62:63]
	v_mov_b32_e32 v3, s45
	v_mov_b32_e32 v4, 1
	v_pk_mov_b32 v[6:7], s[52:53], s[52:53] op_sel:[0,1]
	;;#ASMSTART
	global_store_dwordx4 v[6:7], v[2:5] off	
s_waitcnt vmcnt(0)
	;;#ASMEND
.LBB1144_116:
	s_or_b64 exec, exec, s[42:43]
	v_xad_u32 v10, v11, -1, s59
	v_add_u32_e32 v4, 64, v10
	v_lshlrev_b64 v[6:7], 4, v[4:5]
	v_mov_b32_e32 v3, s57
	v_add_co_u32_e32 v12, vcc, s56, v6
	v_addc_co_u32_e32 v13, vcc, v3, v7, vcc
	;;#ASMSTART
	global_load_dwordx4 v[6:9], v[12:13] off glc	
s_waitcnt vmcnt(0)
	;;#ASMEND
	v_cmp_eq_u16_sdwa s[44:45], v8, v5 src0_sel:BYTE_0 src1_sel:DWORD
	s_and_saveexec_b64 s[42:43], s[44:45]
	s_cbranch_execz .LBB1144_122
; %bb.117:
	s_mov_b32 s49, 1
	s_mov_b64 s[44:45], 0
	v_mov_b32_e32 v3, 0
.LBB1144_118:                           ; =>This Loop Header: Depth=1
                                        ;     Child Loop BB1144_119 Depth 2
	s_max_u32 s52, s49, 1
.LBB1144_119:                           ;   Parent Loop BB1144_118 Depth=1
                                        ; =>  This Inner Loop Header: Depth=2
	s_add_i32 s52, s52, -1
	s_cmp_eq_u32 s52, 0
	s_sleep 1
	s_cbranch_scc0 .LBB1144_119
; %bb.120:                              ;   in Loop: Header=BB1144_118 Depth=1
	s_cmp_lt_u32 s49, 32
	s_cselect_b64 s[52:53], -1, 0
	s_cmp_lg_u64 s[52:53], 0
	s_addc_u32 s49, s49, 0
	;;#ASMSTART
	global_load_dwordx4 v[6:9], v[12:13] off glc	
s_waitcnt vmcnt(0)
	;;#ASMEND
	v_cmp_ne_u16_sdwa s[52:53], v8, v3 src0_sel:BYTE_0 src1_sel:DWORD
	s_or_b64 s[44:45], s[52:53], s[44:45]
	s_andn2_b64 exec, exec, s[44:45]
	s_cbranch_execnz .LBB1144_118
; %bb.121:
	s_or_b64 exec, exec, s[44:45]
.LBB1144_122:
	s_or_b64 exec, exec, s[42:43]
	v_mov_b32_e32 v3, 2
	v_cmp_eq_u16_sdwa s[42:43], v8, v3 src0_sel:BYTE_0 src1_sel:DWORD
	v_lshlrev_b64 v[4:5], v11, -1
	v_and_b32_e32 v3, s43, v5
	v_or_b32_e32 v3, 0x80000000, v3
	v_ffbl_b32_e32 v34, v3
	v_and_b32_e32 v3, 63, v11
	v_cmp_ne_u32_e32 vcc, 63, v3
	v_addc_co_u32_e32 v13, vcc, 0, v11, vcc
	v_and_b32_e32 v12, 0xff, v7
	v_lshlrev_b32_e32 v32, 2, v13
	ds_bpermute_b32 v33, v32, v6
	ds_bpermute_b32 v13, v32, v12
	v_and_b32_e32 v9, s42, v4
	v_add_u32_e32 v34, 32, v34
	v_ffbl_b32_e32 v9, v9
	v_min_u32_e32 v9, v9, v34
	v_cmp_lt_u32_e32 vcc, v3, v9
	s_and_saveexec_b64 s[42:43], vcc
	s_cbranch_execz .LBB1144_124
; %bb.123:
	v_mov_b32_e32 v12, 0
	s_waitcnt lgkmcnt(1)
	v_add_f32_e32 v33, v6, v33
	v_cmp_eq_u16_sdwa vcc, v7, v12 src0_sel:BYTE_0 src1_sel:DWORD
	v_and_b32_e32 v7, 1, v7
	v_cndmask_b32_e32 v6, v6, v33, vcc
	s_waitcnt lgkmcnt(0)
	v_and_b32_e32 v12, 1, v13
	v_cmp_eq_u32_e32 vcc, 1, v7
	v_cndmask_b32_e64 v7, v12, 1, vcc
	v_and_b32_e32 v12, 0xffff, v7
.LBB1144_124:
	s_or_b64 exec, exec, s[42:43]
	v_cmp_gt_u32_e32 vcc, 62, v3
	s_waitcnt lgkmcnt(0)
	v_cndmask_b32_e64 v13, 0, 1, vcc
	v_lshlrev_b32_e32 v13, 1, v13
	v_add_lshl_u32 v33, v13, v11, 2
	ds_bpermute_b32 v35, v33, v6
	ds_bpermute_b32 v13, v33, v12
	v_add_u32_e32 v34, 2, v3
	v_cmp_le_u32_e32 vcc, v34, v9
	s_and_saveexec_b64 s[42:43], vcc
	s_cbranch_execz .LBB1144_126
; %bb.125:
	v_mov_b32_e32 v12, 0
	s_waitcnt lgkmcnt(1)
	v_add_f32_e32 v35, v6, v35
	v_cmp_eq_u16_sdwa vcc, v7, v12 src0_sel:BYTE_0 src1_sel:DWORD
	v_and_b32_e32 v7, 1, v7
	v_cndmask_b32_e32 v6, v6, v35, vcc
	s_waitcnt lgkmcnt(0)
	v_and_b32_e32 v12, 1, v13
	v_cmp_eq_u32_e32 vcc, 1, v7
	v_cndmask_b32_e64 v7, v12, 1, vcc
	v_and_b32_e32 v12, 0xffff, v7
.LBB1144_126:
	s_or_b64 exec, exec, s[42:43]
	v_cmp_gt_u32_e32 vcc, 60, v3
	s_waitcnt lgkmcnt(0)
	v_cndmask_b32_e64 v13, 0, 1, vcc
	v_lshlrev_b32_e32 v13, 2, v13
	v_add_lshl_u32 v35, v13, v11, 2
	ds_bpermute_b32 v38, v35, v6
	ds_bpermute_b32 v13, v35, v12
	v_add_u32_e32 v37, 4, v3
	v_cmp_le_u32_e32 vcc, v37, v9
	;; [unrolled: 25-line block ×5, first 2 shown]
	s_and_saveexec_b64 s[42:43], vcc
	s_cbranch_execz .LBB1144_134
; %bb.133:
	v_mov_b32_e32 v9, 0
	s_waitcnt lgkmcnt(1)
	v_add_f32_e32 v12, v6, v13
	v_cmp_eq_u16_sdwa vcc, v7, v9 src0_sel:BYTE_0 src1_sel:DWORD
	v_and_b32_e32 v7, 1, v7
	v_cndmask_b32_e32 v6, v6, v12, vcc
	s_waitcnt lgkmcnt(0)
	v_and_b32_e32 v9, 1, v11
	v_cmp_eq_u32_e32 vcc, 1, v7
	v_cndmask_b32_e64 v7, v9, 1, vcc
.LBB1144_134:
	s_or_b64 exec, exec, s[42:43]
	s_waitcnt lgkmcnt(0)
	v_mov_b32_e32 v11, 0
	v_mov_b32_e32 v61, 2
	s_branch .LBB1144_136
.LBB1144_135:                           ;   in Loop: Header=BB1144_136 Depth=1
	s_or_b64 exec, exec, s[42:43]
	s_waitcnt lgkmcnt(0)
	ds_bpermute_b32 v13, v58, v6
	ds_bpermute_b32 v12, v58, v12
	v_and_b32_e32 v62, 1, v7
	v_cmp_eq_u16_sdwa vcc, v7, v11 src0_sel:BYTE_0 src1_sel:DWORD
	v_subrev_u32_e32 v10, 64, v10
	s_waitcnt lgkmcnt(1)
	v_add_f32_e32 v13, v6, v13
	v_cndmask_b32_e32 v13, v6, v13, vcc
	v_cmp_eq_u32_e32 vcc, 1, v62
	s_waitcnt lgkmcnt(0)
	v_cndmask_b32_e64 v12, v12, 1, vcc
	v_cmp_gt_u32_e32 vcc, v60, v9
	v_cndmask_b32_e32 v6, v13, v6, vcc
	v_cndmask_b32_e32 v7, v12, v7, vcc
	v_add_f32_e32 v6, v59, v6
	v_cmp_eq_u16_sdwa vcc, v57, v11 src0_sel:BYTE_0 src1_sel:DWORD
	v_and_b32_e32 v9, 1, v57
	v_cndmask_b32_e32 v6, v59, v6, vcc
	v_and_b32_e32 v7, 1, v7
	v_cmp_eq_u32_e32 vcc, 1, v9
	v_cndmask_b32_e64 v7, v7, 1, vcc
.LBB1144_136:                           ; =>This Loop Header: Depth=1
                                        ;     Child Loop BB1144_139 Depth 2
                                        ;       Child Loop BB1144_140 Depth 3
	v_cmp_ne_u16_sdwa s[42:43], v8, v61 src0_sel:BYTE_0 src1_sel:DWORD
	v_mov_b32_e32 v57, v7
	v_cndmask_b32_e64 v7, 0, 1, s[42:43]
	;;#ASMSTART
	;;#ASMEND
	v_cmp_ne_u32_e32 vcc, 0, v7
	s_cmp_lg_u64 vcc, exec
	v_mov_b32_e32 v59, v6
	s_cbranch_scc1 .LBB1144_153
; %bb.137:                              ;   in Loop: Header=BB1144_136 Depth=1
	v_lshlrev_b64 v[6:7], 4, v[10:11]
	v_mov_b32_e32 v8, s57
	v_add_co_u32_e32 v12, vcc, s56, v6
	v_addc_co_u32_e32 v13, vcc, v8, v7, vcc
	;;#ASMSTART
	global_load_dwordx4 v[6:9], v[12:13] off glc	
s_waitcnt vmcnt(0)
	;;#ASMEND
	v_cmp_eq_u16_sdwa s[44:45], v8, v11 src0_sel:BYTE_0 src1_sel:DWORD
	s_and_saveexec_b64 s[42:43], s[44:45]
	s_cbranch_execz .LBB1144_143
; %bb.138:                              ;   in Loop: Header=BB1144_136 Depth=1
	s_mov_b32 s49, 1
	s_mov_b64 s[44:45], 0
.LBB1144_139:                           ;   Parent Loop BB1144_136 Depth=1
                                        ; =>  This Loop Header: Depth=2
                                        ;       Child Loop BB1144_140 Depth 3
	s_max_u32 s52, s49, 1
.LBB1144_140:                           ;   Parent Loop BB1144_136 Depth=1
                                        ;     Parent Loop BB1144_139 Depth=2
                                        ; =>    This Inner Loop Header: Depth=3
	s_add_i32 s52, s52, -1
	s_cmp_eq_u32 s52, 0
	s_sleep 1
	s_cbranch_scc0 .LBB1144_140
; %bb.141:                              ;   in Loop: Header=BB1144_139 Depth=2
	s_cmp_lt_u32 s49, 32
	s_cselect_b64 s[52:53], -1, 0
	s_cmp_lg_u64 s[52:53], 0
	s_addc_u32 s49, s49, 0
	;;#ASMSTART
	global_load_dwordx4 v[6:9], v[12:13] off glc	
s_waitcnt vmcnt(0)
	;;#ASMEND
	v_cmp_ne_u16_sdwa s[52:53], v8, v11 src0_sel:BYTE_0 src1_sel:DWORD
	s_or_b64 s[44:45], s[52:53], s[44:45]
	s_andn2_b64 exec, exec, s[44:45]
	s_cbranch_execnz .LBB1144_139
; %bb.142:                              ;   in Loop: Header=BB1144_136 Depth=1
	s_or_b64 exec, exec, s[44:45]
.LBB1144_143:                           ;   in Loop: Header=BB1144_136 Depth=1
	s_or_b64 exec, exec, s[42:43]
	v_cmp_eq_u16_sdwa s[42:43], v8, v61 src0_sel:BYTE_0 src1_sel:DWORD
	v_and_b32_e32 v9, s43, v5
	v_and_b32_e32 v12, 0xff, v7
	v_or_b32_e32 v9, 0x80000000, v9
	ds_bpermute_b32 v62, v32, v6
	ds_bpermute_b32 v13, v32, v12
	v_and_b32_e32 v63, s42, v4
	v_ffbl_b32_e32 v9, v9
	v_add_u32_e32 v9, 32, v9
	v_ffbl_b32_e32 v63, v63
	v_min_u32_e32 v9, v63, v9
	v_cmp_lt_u32_e32 vcc, v3, v9
	s_and_saveexec_b64 s[42:43], vcc
	s_cbranch_execz .LBB1144_145
; %bb.144:                              ;   in Loop: Header=BB1144_136 Depth=1
	s_waitcnt lgkmcnt(1)
	v_add_f32_e32 v12, v6, v62
	v_cmp_eq_u16_sdwa vcc, v7, v11 src0_sel:BYTE_0 src1_sel:DWORD
	v_and_b32_e32 v7, 1, v7
	v_cndmask_b32_e32 v6, v6, v12, vcc
	s_waitcnt lgkmcnt(0)
	v_and_b32_e32 v12, 1, v13
	v_cmp_eq_u32_e32 vcc, 1, v7
	v_cndmask_b32_e64 v7, v12, 1, vcc
	v_and_b32_e32 v12, 0xffff, v7
.LBB1144_145:                           ;   in Loop: Header=BB1144_136 Depth=1
	s_or_b64 exec, exec, s[42:43]
	s_waitcnt lgkmcnt(1)
	ds_bpermute_b32 v62, v33, v6
	s_waitcnt lgkmcnt(1)
	ds_bpermute_b32 v13, v33, v12
	v_cmp_le_u32_e32 vcc, v34, v9
	s_and_saveexec_b64 s[42:43], vcc
	s_cbranch_execz .LBB1144_147
; %bb.146:                              ;   in Loop: Header=BB1144_136 Depth=1
	s_waitcnt lgkmcnt(1)
	v_add_f32_e32 v12, v6, v62
	v_cmp_eq_u16_sdwa vcc, v7, v11 src0_sel:BYTE_0 src1_sel:DWORD
	v_and_b32_e32 v7, 1, v7
	v_cndmask_b32_e32 v6, v6, v12, vcc
	s_waitcnt lgkmcnt(0)
	v_and_b32_e32 v12, 1, v13
	v_cmp_eq_u32_e32 vcc, 1, v7
	v_cndmask_b32_e64 v7, v12, 1, vcc
	v_and_b32_e32 v12, 0xffff, v7
.LBB1144_147:                           ;   in Loop: Header=BB1144_136 Depth=1
	s_or_b64 exec, exec, s[42:43]
	s_waitcnt lgkmcnt(1)
	ds_bpermute_b32 v62, v35, v6
	s_waitcnt lgkmcnt(1)
	ds_bpermute_b32 v13, v35, v12
	v_cmp_le_u32_e32 vcc, v37, v9
	;; [unrolled: 20-line block ×4, first 2 shown]
	s_and_saveexec_b64 s[42:43], vcc
	s_cbranch_execz .LBB1144_135
; %bb.152:                              ;   in Loop: Header=BB1144_136 Depth=1
	s_waitcnt lgkmcnt(1)
	v_add_f32_e32 v12, v6, v62
	v_cmp_eq_u16_sdwa vcc, v7, v11 src0_sel:BYTE_0 src1_sel:DWORD
	v_and_b32_e32 v7, 1, v7
	v_cndmask_b32_e32 v6, v6, v12, vcc
	s_waitcnt lgkmcnt(0)
	v_and_b32_e32 v12, 1, v13
	v_cmp_eq_u32_e32 vcc, 1, v7
	v_cndmask_b32_e64 v7, v12, 1, vcc
	v_and_b32_e32 v12, 0xffff, v7
	s_branch .LBB1144_135
.LBB1144_153:                           ;   in Loop: Header=BB1144_136 Depth=1
                                        ; implicit-def: $vgpr7
	s_cbranch_execz .LBB1144_136
; %bb.154:
	s_and_saveexec_b64 s[42:43], s[34:35]
	s_cbranch_execz .LBB1144_156
; %bb.155:
	s_and_b32 s44, s48, 0xff
	s_cmp_eq_u32 s44, 0
	s_cselect_b64 vcc, -1, 0
	s_bitcmp1_b32 s48, 0
	s_mov_b32 s45, 0
	s_cselect_b64 s[48:49], -1, 0
	s_add_i32 s44, s59, 64
	s_lshl_b64 s[44:45], s[44:45], 4
	v_add_f32_e32 v3, v59, v2
	s_add_u32 s44, s56, s44
	v_cndmask_b32_e32 v2, v2, v3, vcc
	v_and_b32_e32 v3, 1, v57
	s_addc_u32 s45, s57, s45
	v_cndmask_b32_e64 v3, v3, 1, s[48:49]
	v_mov_b32_e32 v4, 2
	v_mov_b32_e32 v5, 0
	v_pk_mov_b32 v[6:7], s[44:45], s[44:45] op_sel:[0,1]
	;;#ASMSTART
	global_store_dwordx4 v[6:7], v[2:5] off	
s_waitcnt vmcnt(0)
	;;#ASMEND
.LBB1144_156:
	s_or_b64 exec, exec, s[42:43]
	s_and_b64 exec, exec, s[0:1]
	s_cbranch_execz .LBB1144_158
; %bb.157:
	v_mov_b32_e32 v2, 0
	ds_write_b32 v2, v59 offset:24
	ds_write_b8 v2, v57 offset:28
.LBB1144_158:
	s_or_b64 exec, exec, s[4:5]
	v_mov_b32_e32 v4, 0
	s_waitcnt lgkmcnt(0)
	v_cndmask_b32_e64 v2, v31, v29, s[34:35]
	s_barrier
	ds_read_b32 v5, v4 offset:24
	v_and_b32_e32 v6, 1, v1
	v_cndmask_b32_e64 v3, v30, v28, s[34:35]
	v_and_b32_e32 v2, 1, v2
	v_cmp_eq_u32_e32 vcc, 1, v6
	v_cndmask_b32_e64 v2, v2, 1, vcc
	v_add_f32_e32 v3, v14, v3
	v_cmp_eq_u16_sdwa vcc, v1, v4 src0_sel:BYTE_0 src1_sel:DWORD
	v_cndmask_b32_e32 v3, v14, v3, vcc
	v_cndmask_b32_e64 v2, v2, v1, s[0:1]
	v_cndmask_b32_e64 v3, v3, v14, s[0:1]
	s_waitcnt lgkmcnt(0)
	v_add_f32_e32 v5, v3, v5
	v_cmp_eq_u16_sdwa vcc, v2, v4 src0_sel:BYTE_0 src1_sel:DWORD
	v_cndmask_b32_e32 v2, v3, v5, vcc
	v_add_f32_e32 v3, v26, v2
	v_cndmask_b32_e64 v3, v26, v3, s[6:7]
	v_add_f32_e32 v4, v27, v3
	v_cndmask_b32_e64 v28, v27, v4, s[8:9]
	;; [unrolled: 2-line block ×13, first 2 shown]
	s_branch .LBB1144_187
.LBB1144_159:
                                        ; implicit-def: $vgpr35
                                        ; implicit-def: $vgpr33
                                        ; implicit-def: $vgpr31
                                        ; implicit-def: $vgpr29
                                        ; implicit-def: $vgpr10_vgpr11_vgpr12_vgpr13
                                        ; implicit-def: $vgpr6_vgpr7_vgpr8_vgpr9
                                        ; implicit-def: $vgpr2_vgpr3_vgpr4_vgpr5
	s_cbranch_execz .LBB1144_187
; %bb.160:
	s_cmp_lg_u64 s[60:61], 0
	s_cselect_b32 s7, s51, 0
	s_cselect_b32 s6, s50, 0
	s_cmp_lg_u64 s[6:7], 0
	s_cselect_b64 s[4:5], -1, 0
	s_and_b64 s[8:9], s[0:1], s[4:5]
	s_and_saveexec_b64 s[4:5], s[8:9]
	s_cbranch_execz .LBB1144_162
; %bb.161:
	v_mov_b32_e32 v2, 0
	global_load_dword v3, v2, s[6:7]
	global_load_ubyte v4, v2, s[6:7] offset:4
	v_and_b32_e32 v5, 1, v1
	v_cmp_eq_u16_sdwa vcc, v1, v2 src0_sel:BYTE_0 src1_sel:DWORD
	s_waitcnt vmcnt(1)
	v_add_f32_e32 v3, v14, v3
	s_waitcnt vmcnt(0)
	v_and_b32_e32 v4, 1, v4
	v_cndmask_b32_e32 v14, v14, v3, vcc
	v_cmp_eq_u32_e32 vcc, 1, v5
	v_cndmask_b32_e64 v1, v4, 1, vcc
.LBB1144_162:
	s_or_b64 exec, exec, s[4:5]
	v_mov_b32_e32 v2, 0
	v_add_f32_e32 v3, v26, v14
	v_cmp_eq_u16_sdwa vcc, v42, v2 src0_sel:BYTE_0 src1_sel:DWORD
	v_cndmask_b32_e32 v3, v26, v3, vcc
	v_add_f32_e32 v4, v27, v3
	v_cmp_eq_u16_sdwa s[6:7], v43, v2 src0_sel:BYTE_0 src1_sel:DWORD
	v_cndmask_b32_e64 v28, v27, v4, s[6:7]
	v_add_f32_e32 v4, v24, v28
	v_cmp_eq_u16_sdwa s[8:9], v44, v2 src0_sel:BYTE_0 src1_sel:DWORD
	v_cndmask_b32_e64 v29, v24, v4, s[8:9]
	;; [unrolled: 3-line block ×6, first 2 shown]
	v_add_f32_e32 v4, v21, v31
	v_cmp_eq_u16_sdwa s[18:19], v50, v2 src0_sel:BYTE_0 src1_sel:DWORD
	v_cmp_eq_u16_sdwa s[20:21], v51, v2 src0_sel:BYTE_0 src1_sel:DWORD
	;; [unrolled: 1-line block ×6, first 2 shown]
	v_or_b32_e32 v2, v36, v52
	v_cndmask_b32_e64 v10, v21, v4, s[18:19]
	v_or_b32_e32 v2, v2, v51
	v_add_f32_e32 v4, v18, v10
	v_or_b32_e32 v2, v2, v50
	v_cndmask_b32_e64 v11, v18, v4, s[20:21]
	v_or_b32_e32 v2, v2, v49
	v_add_f32_e32 v4, v19, v11
	;; [unrolled: 4-line block ×5, first 2 shown]
	v_and_b32_e32 v2, 1, v2
	v_cndmask_b32_e64 v35, v41, v4, s[28:29]
	v_and_b32_e32 v4, 0xff, v1
	v_cmp_eq_u32_e64 s[4:5], 1, v2
	v_mbcnt_hi_u32_b32 v2, -1, v15
	v_cndmask_b32_e64 v9, v4, 1, s[4:5]
	v_and_b32_e32 v5, 15, v2
	v_mov_b32_dpp v13, v35 row_shr:1 row_mask:0xf bank_mask:0xf
	v_mov_b32_dpp v12, v9 row_shr:1 row_mask:0xf bank_mask:0xf
	v_cmp_ne_u32_e64 s[4:5], 0, v5
	v_mov_b32_e32 v8, v35
	v_mov_b32_e32 v4, v35
	s_and_saveexec_b64 s[30:31], s[4:5]
; %bb.163:
	v_add_f32_e32 v4, v35, v13
	v_cmp_eq_u32_e64 s[4:5], 0, v9
	v_cndmask_b32_e64 v8, v35, v4, s[4:5]
	v_and_b32_e32 v4, 1, v9
	v_and_b32_e32 v9, 1, v12
	v_cmp_eq_u32_e64 s[4:5], 1, v4
	v_cndmask_b32_e64 v9, v9, 1, s[4:5]
	v_mov_b32_e32 v4, v8
; %bb.164:
	s_or_b64 exec, exec, s[30:31]
	s_nop 0
	v_mov_b32_dpp v13, v4 row_shr:2 row_mask:0xf bank_mask:0xf
	v_mov_b32_dpp v12, v9 row_shr:2 row_mask:0xf bank_mask:0xf
	v_cmp_lt_u32_e64 s[4:5], 1, v5
	s_and_saveexec_b64 s[30:31], s[4:5]
; %bb.165:
	v_add_f32_e32 v4, v8, v13
	v_cmp_eq_u32_e64 s[4:5], 0, v9
	v_cndmask_b32_e64 v4, v8, v4, s[4:5]
	v_and_b32_e32 v8, 1, v9
	v_and_b32_e32 v9, 1, v12
	v_cmp_eq_u32_e64 s[4:5], 1, v8
	v_cndmask_b32_e64 v9, v9, 1, s[4:5]
	v_mov_b32_e32 v8, v4
; %bb.166:
	s_or_b64 exec, exec, s[30:31]
	v_mov_b32_dpp v13, v4 row_shr:4 row_mask:0xf bank_mask:0xf
	v_mov_b32_dpp v12, v9 row_shr:4 row_mask:0xf bank_mask:0xf
	v_cmp_lt_u32_e64 s[4:5], 3, v5
	s_and_saveexec_b64 s[30:31], s[4:5]
; %bb.167:
	v_add_f32_e32 v4, v8, v13
	v_cmp_eq_u32_e64 s[4:5], 0, v9
	v_cndmask_b32_e64 v4, v8, v4, s[4:5]
	v_and_b32_e32 v8, 1, v9
	v_and_b32_e32 v9, 1, v12
	v_cmp_eq_u32_e64 s[4:5], 1, v8
	v_cndmask_b32_e64 v9, v9, 1, s[4:5]
	v_mov_b32_e32 v8, v4
; %bb.168:
	s_or_b64 exec, exec, s[30:31]
	v_mov_b32_dpp v13, v4 row_shr:8 row_mask:0xf bank_mask:0xf
	v_mov_b32_dpp v12, v9 row_shr:8 row_mask:0xf bank_mask:0xf
	v_cmp_lt_u32_e64 s[4:5], 7, v5
	s_and_saveexec_b64 s[30:31], s[4:5]
; %bb.169:
	v_add_f32_e32 v4, v8, v13
	v_cmp_eq_u32_e64 s[4:5], 0, v9
	v_and_b32_e32 v5, 1, v9
	v_cndmask_b32_e64 v4, v8, v4, s[4:5]
	v_and_b32_e32 v8, 1, v12
	v_cmp_eq_u32_e64 s[4:5], 1, v5
	v_cndmask_b32_e64 v9, v8, 1, s[4:5]
	v_mov_b32_e32 v8, v4
; %bb.170:
	s_or_b64 exec, exec, s[30:31]
	v_and_b32_e32 v13, 16, v2
	v_mov_b32_dpp v12, v4 row_bcast:15 row_mask:0xf bank_mask:0xf
	v_mov_b32_dpp v5, v9 row_bcast:15 row_mask:0xf bank_mask:0xf
	v_cmp_ne_u32_e64 s[4:5], 0, v13
	s_and_saveexec_b64 s[30:31], s[4:5]
; %bb.171:
	v_add_f32_e32 v4, v8, v12
	v_cmp_eq_u32_e64 s[4:5], 0, v9
	v_cndmask_b32_e64 v8, v8, v4, s[4:5]
	v_and_b32_e32 v4, 1, v9
	v_and_b32_e32 v5, 1, v5
	v_cmp_eq_u32_e64 s[4:5], 1, v4
	v_cndmask_b32_e64 v9, v5, 1, s[4:5]
	v_mov_b32_e32 v4, v8
; %bb.172:
	s_or_b64 exec, exec, s[30:31]
	s_nop 0
	v_mov_b32_dpp v12, v4 row_bcast:31 row_mask:0xf bank_mask:0xf
	v_mov_b32_dpp v5, v9 row_bcast:31 row_mask:0xf bank_mask:0xf
	v_cmp_lt_u32_e64 s[4:5], 31, v2
	s_and_saveexec_b64 s[30:31], s[4:5]
; %bb.173:
	v_add_f32_e32 v4, v8, v12
	v_cmp_eq_u32_e64 s[4:5], 0, v9
	v_cndmask_b32_e64 v8, v8, v4, s[4:5]
	v_and_b32_e32 v4, 1, v9
	v_and_b32_e32 v5, 1, v5
	v_cmp_eq_u32_e64 s[4:5], 1, v4
	v_cndmask_b32_e64 v9, v5, 1, s[4:5]
	v_mov_b32_e32 v4, v8
; %bb.174:
	s_or_b64 exec, exec, s[30:31]
	v_or_b32_e32 v5, 63, v0
	v_lshrrev_b32_e32 v12, 6, v0
	v_cmp_eq_u32_e64 s[4:5], v5, v0
	s_and_saveexec_b64 s[30:31], s[4:5]
	s_cbranch_execz .LBB1144_176
; %bb.175:
	v_lshlrev_b32_e32 v5, 3, v12
	ds_write_b32 v5, v4
	ds_write_b8 v5, v9 offset:4
.LBB1144_176:
	s_or_b64 exec, exec, s[30:31]
	v_cmp_gt_u32_e64 s[4:5], 4, v0
	s_waitcnt lgkmcnt(0)
	s_barrier
	s_and_saveexec_b64 s[30:31], s[4:5]
	s_cbranch_execz .LBB1144_180
; %bb.177:
	v_lshlrev_b32_e32 v13, 3, v0
	ds_read_b64 v[4:5], v13
	v_and_b32_e32 v15, 3, v2
	v_cmp_ne_u32_e64 s[4:5], 0, v15
	s_waitcnt lgkmcnt(0)
	v_mov_b32_dpp v38, v4 row_shr:1 row_mask:0xf bank_mask:0xf
	v_mov_b32_dpp v37, v5 row_shr:1 row_mask:0xf bank_mask:0xf
	v_mov_b32_e32 v36, v5
	s_and_saveexec_b64 s[34:35], s[4:5]
; %bb.178:
	v_mov_b32_e32 v36, 0
	v_add_f32_e32 v38, v4, v38
	v_cmp_eq_u16_sdwa s[4:5], v5, v36 src0_sel:BYTE_0 src1_sel:DWORD
	v_and_b32_e32 v36, 1, v5
	v_cndmask_b32_e64 v4, v4, v38, s[4:5]
	v_and_b32_e32 v37, 1, v37
	v_cmp_eq_u32_e64 s[4:5], 1, v36
	v_cndmask_b32_e64 v36, v37, 1, s[4:5]
	s_movk_i32 s4, 0xff00
	v_and_or_b32 v5, v5, s4, v36
; %bb.179:
	s_or_b64 exec, exec, s[34:35]
	v_mov_b32_e32 v39, 0
	v_mov_b32_dpp v38, v5 row_shr:2 row_mask:0xf bank_mask:0xf
	v_cmp_eq_u16_sdwa s[34:35], v36, v39 src0_sel:BYTE_0 src1_sel:DWORD
	v_and_b32_e32 v36, 1, v36
	v_and_b32_e32 v38, 1, v38
	v_cmp_eq_u32_e64 s[4:5], 1, v36
	v_mov_b32_dpp v37, v4 row_shr:2 row_mask:0xf bank_mask:0xf
	v_cndmask_b32_e64 v36, v38, 1, s[4:5]
	v_cmp_lt_u32_e64 s[4:5], 1, v15
	v_add_f32_e32 v37, v4, v37
	v_cndmask_b32_e64 v5, v5, v36, s[4:5]
	s_and_b64 s[4:5], s[4:5], s[34:35]
	v_cndmask_b32_e64 v4, v4, v37, s[4:5]
	ds_write_b32 v13, v4
	ds_write_b8 v13, v5 offset:4
.LBB1144_180:
	s_or_b64 exec, exec, s[30:31]
	v_cmp_lt_u32_e64 s[4:5], 63, v0
	v_mov_b32_e32 v4, 0
	s_waitcnt lgkmcnt(0)
	s_barrier
	s_and_saveexec_b64 s[30:31], s[4:5]
	s_cbranch_execz .LBB1144_182
; %bb.181:
	v_lshl_add_u32 v4, v12, 3, -8
	ds_read_b32 v4, v4
	v_cmp_eq_u32_e64 s[4:5], 0, v9
	s_waitcnt lgkmcnt(0)
	v_add_f32_e32 v5, v8, v4
	v_cndmask_b32_e64 v8, v8, v5, s[4:5]
.LBB1144_182:
	s_or_b64 exec, exec, s[30:31]
	v_add_u32_e32 v5, -1, v2
	v_and_b32_e32 v9, 64, v2
	v_cmp_lt_i32_e64 s[4:5], v5, v9
	v_cndmask_b32_e64 v5, v5, v2, s[4:5]
	v_lshlrev_b32_e32 v5, 2, v5
	ds_bpermute_b32 v5, v5, v8
	s_and_saveexec_b64 s[30:31], s[36:37]
	s_cbranch_execz .LBB1144_184
; %bb.183:
	v_cmp_eq_u32_e64 s[4:5], 0, v2
	s_waitcnt lgkmcnt(0)
	v_cndmask_b32_e64 v2, v5, v4, s[4:5]
	v_mov_b32_e32 v3, 0
	v_add_f32_e32 v2, v14, v2
	v_cmp_eq_u16_sdwa s[4:5], v1, v3 src0_sel:BYTE_0 src1_sel:DWORD
	v_cndmask_b32_e64 v14, v14, v2, s[4:5]
	v_add_f32_e32 v1, v26, v14
	v_cndmask_b32_e32 v3, v26, v1, vcc
	v_add_f32_e32 v1, v27, v3
	v_cndmask_b32_e64 v28, v27, v1, s[6:7]
	v_add_f32_e32 v1, v24, v28
	v_cndmask_b32_e64 v29, v24, v1, s[8:9]
	;; [unrolled: 2-line block ×12, first 2 shown]
	;;#ASMSTART
	;;#ASMEND
.LBB1144_184:
	s_or_b64 exec, exec, s[30:31]
	s_and_saveexec_b64 s[4:5], s[0:1]
	s_cbranch_execz .LBB1144_186
; %bb.185:
	v_mov_b32_e32 v19, 0
	ds_read_b32 v16, v19 offset:24
	ds_read_u8 v17, v19 offset:28
	s_add_u32 s0, s56, 0x400
	s_addc_u32 s1, s57, 0
	v_mov_b32_e32 v18, 2
	s_waitcnt lgkmcnt(2)
	v_pk_mov_b32 v[4:5], s[0:1], s[0:1] op_sel:[0,1]
	s_waitcnt lgkmcnt(0)
	;;#ASMSTART
	global_store_dwordx4 v[4:5], v[16:19] off	
s_waitcnt vmcnt(0)
	;;#ASMEND
.LBB1144_186:
	s_or_b64 exec, exec, s[4:5]
	v_mov_b32_e32 v2, v14
.LBB1144_187:
	s_add_u32 s0, s46, s38
	s_addc_u32 s1, s47, s39
	s_add_u32 s4, s0, s40
	v_mul_u32_u24_e32 v1, 14, v0
	s_addc_u32 s5, s1, s41
	s_and_b64 vcc, exec, s[2:3]
	v_lshlrev_b32_e32 v4, 2, v1
	s_cbranch_vccz .LBB1144_215
; %bb.188:
	s_movk_i32 s0, 0xffcc
	s_waitcnt lgkmcnt(0)
	v_mad_i32_i24 v5, v0, s0, v4
	s_barrier
	ds_write2_b64 v4, v[2:3], v[28:29] offset1:1
	ds_write2_b64 v4, v[6:7], v[30:31] offset0:2 offset1:3
	ds_write2_b64 v4, v[10:11], v[32:33] offset0:4 offset1:5
	ds_write_b64 v4, v[34:35] offset:48
	s_waitcnt lgkmcnt(0)
	s_barrier
	ds_read2st64_b32 v[22:23], v5 offset0:4 offset1:8
	ds_read2st64_b32 v[20:21], v5 offset0:12 offset1:16
	;; [unrolled: 1-line block ×6, first 2 shown]
	ds_read_b32 v5, v5 offset:13312
	v_mov_b32_e32 v13, s5
	v_add_co_u32_e32 v12, vcc, s4, v40
	s_add_i32 s33, s33, s58
	v_addc_co_u32_e32 v13, vcc, 0, v13, vcc
	v_mov_b32_e32 v1, 0
	v_cmp_gt_u32_e32 vcc, s33, v0
	s_and_saveexec_b64 s[0:1], vcc
	s_cbranch_execz .LBB1144_190
; %bb.189:
	v_mul_i32_i24_e32 v24, 0xffffffcc, v0
	v_add_u32_e32 v24, v4, v24
	ds_read_b32 v24, v24
	s_waitcnt lgkmcnt(0)
	flat_store_dword v[12:13], v24
.LBB1144_190:
	s_or_b64 exec, exec, s[0:1]
	v_or_b32_e32 v24, 0x100, v0
	v_cmp_gt_u32_e32 vcc, s33, v24
	s_and_saveexec_b64 s[0:1], vcc
	s_cbranch_execz .LBB1144_192
; %bb.191:
	s_waitcnt lgkmcnt(0)
	flat_store_dword v[12:13], v22 offset:1024
.LBB1144_192:
	s_or_b64 exec, exec, s[0:1]
	s_waitcnt lgkmcnt(0)
	v_or_b32_e32 v22, 0x200, v0
	v_cmp_gt_u32_e32 vcc, s33, v22
	s_and_saveexec_b64 s[0:1], vcc
	s_cbranch_execz .LBB1144_194
; %bb.193:
	flat_store_dword v[12:13], v23 offset:2048
.LBB1144_194:
	s_or_b64 exec, exec, s[0:1]
	v_or_b32_e32 v22, 0x300, v0
	v_cmp_gt_u32_e32 vcc, s33, v22
	s_and_saveexec_b64 s[0:1], vcc
	s_cbranch_execz .LBB1144_196
; %bb.195:
	flat_store_dword v[12:13], v20 offset:3072
.LBB1144_196:
	s_or_b64 exec, exec, s[0:1]
	v_or_b32_e32 v20, 0x400, v0
	v_cmp_gt_u32_e32 vcc, s33, v20
	s_and_saveexec_b64 s[0:1], vcc
	s_cbranch_execz .LBB1144_198
; %bb.197:
	v_add_co_u32_e32 v22, vcc, 0x1000, v12
	v_addc_co_u32_e32 v23, vcc, 0, v13, vcc
	flat_store_dword v[22:23], v21
.LBB1144_198:
	s_or_b64 exec, exec, s[0:1]
	v_or_b32_e32 v20, 0x500, v0
	v_cmp_gt_u32_e32 vcc, s33, v20
	s_and_saveexec_b64 s[0:1], vcc
	s_cbranch_execz .LBB1144_200
; %bb.199:
	v_add_co_u32_e32 v20, vcc, 0x1000, v12
	v_addc_co_u32_e32 v21, vcc, 0, v13, vcc
	flat_store_dword v[20:21], v18 offset:1024
.LBB1144_200:
	s_or_b64 exec, exec, s[0:1]
	v_or_b32_e32 v18, 0x600, v0
	v_cmp_gt_u32_e32 vcc, s33, v18
	s_and_saveexec_b64 s[0:1], vcc
	s_cbranch_execz .LBB1144_202
; %bb.201:
	v_add_co_u32_e32 v20, vcc, 0x1000, v12
	v_addc_co_u32_e32 v21, vcc, 0, v13, vcc
	flat_store_dword v[20:21], v19 offset:2048
.LBB1144_202:
	s_or_b64 exec, exec, s[0:1]
	v_or_b32_e32 v18, 0x700, v0
	v_cmp_gt_u32_e32 vcc, s33, v18
	s_and_saveexec_b64 s[0:1], vcc
	s_cbranch_execz .LBB1144_204
; %bb.203:
	v_add_co_u32_e32 v18, vcc, 0x1000, v12
	v_addc_co_u32_e32 v19, vcc, 0, v13, vcc
	flat_store_dword v[18:19], v16 offset:3072
.LBB1144_204:
	s_or_b64 exec, exec, s[0:1]
	v_or_b32_e32 v16, 0x800, v0
	v_cmp_gt_u32_e32 vcc, s33, v16
	s_and_saveexec_b64 s[0:1], vcc
	s_cbranch_execz .LBB1144_206
; %bb.205:
	v_add_co_u32_e32 v18, vcc, 0x2000, v12
	v_addc_co_u32_e32 v19, vcc, 0, v13, vcc
	flat_store_dword v[18:19], v17
.LBB1144_206:
	s_or_b64 exec, exec, s[0:1]
	v_or_b32_e32 v16, 0x900, v0
	v_cmp_gt_u32_e32 vcc, s33, v16
	s_and_saveexec_b64 s[0:1], vcc
	s_cbranch_execz .LBB1144_208
; %bb.207:
	v_add_co_u32_e32 v16, vcc, 0x2000, v12
	v_addc_co_u32_e32 v17, vcc, 0, v13, vcc
	flat_store_dword v[16:17], v14 offset:1024
.LBB1144_208:
	s_or_b64 exec, exec, s[0:1]
	v_or_b32_e32 v14, 0xa00, v0
	v_cmp_gt_u32_e32 vcc, s33, v14
	s_and_saveexec_b64 s[0:1], vcc
	s_cbranch_execz .LBB1144_210
; %bb.209:
	v_add_co_u32_e32 v16, vcc, 0x2000, v12
	v_addc_co_u32_e32 v17, vcc, 0, v13, vcc
	flat_store_dword v[16:17], v15 offset:2048
.LBB1144_210:
	;; [unrolled: 10-line block ×3, first 2 shown]
	s_or_b64 exec, exec, s[0:1]
	v_or_b32_e32 v8, 0xc00, v0
	v_cmp_gt_u32_e32 vcc, s33, v8
	s_and_saveexec_b64 s[0:1], vcc
	s_cbranch_execz .LBB1144_214
; %bb.213:
	v_add_co_u32_e32 v12, vcc, 0x3000, v12
	v_addc_co_u32_e32 v13, vcc, 0, v13, vcc
	flat_store_dword v[12:13], v9
.LBB1144_214:
	s_or_b64 exec, exec, s[0:1]
	v_or_b32_e32 v8, 0xd00, v0
	v_cmp_gt_u32_e64 s[0:1], s33, v8
	s_branch .LBB1144_217
.LBB1144_215:
	s_mov_b64 s[0:1], 0
                                        ; implicit-def: $vgpr5
	s_cbranch_execz .LBB1144_217
; %bb.216:
	s_movk_i32 s2, 0xffcc
	s_waitcnt lgkmcnt(0)
	s_barrier
	ds_write2_b64 v4, v[2:3], v[28:29] offset1:1
	ds_write2_b64 v4, v[6:7], v[30:31] offset0:2 offset1:3
	ds_write2_b64 v4, v[10:11], v[32:33] offset0:4 offset1:5
	ds_write_b64 v4, v[34:35] offset:48
	v_mad_i32_i24 v4, v0, s2, v4
	v_mov_b32_e32 v17, s5
	v_add_co_u32_e32 v16, vcc, s4, v40
	s_waitcnt lgkmcnt(0)
	s_barrier
	ds_read2st64_b32 v[2:3], v4 offset1:4
	ds_read2st64_b32 v[6:7], v4 offset0:8 offset1:12
	ds_read2st64_b32 v[8:9], v4 offset0:16 offset1:20
	;; [unrolled: 1-line block ×6, first 2 shown]
	v_addc_co_u32_e32 v17, vcc, 0, v17, vcc
	s_movk_i32 s2, 0x1000
	s_waitcnt lgkmcnt(0)
	flat_store_dword v[16:17], v2
	flat_store_dword v[16:17], v3 offset:1024
	flat_store_dword v[16:17], v6 offset:2048
	;; [unrolled: 1-line block ×3, first 2 shown]
	v_add_co_u32_e32 v2, vcc, s2, v16
	v_addc_co_u32_e32 v3, vcc, 0, v17, vcc
	flat_store_dword v[2:3], v8
	flat_store_dword v[2:3], v9 offset:1024
	flat_store_dword v[2:3], v10 offset:2048
	;; [unrolled: 1-line block ×3, first 2 shown]
	v_add_co_u32_e32 v2, vcc, 0x2000, v16
	v_addc_co_u32_e32 v3, vcc, 0, v17, vcc
	flat_store_dword v[2:3], v12
	flat_store_dword v[2:3], v13 offset:1024
	flat_store_dword v[2:3], v14 offset:2048
	;; [unrolled: 1-line block ×3, first 2 shown]
	v_add_co_u32_e32 v2, vcc, 0x3000, v16
	v_mov_b32_e32 v1, 0
	v_addc_co_u32_e32 v3, vcc, 0, v17, vcc
	s_or_b64 s[0:1], s[0:1], exec
	flat_store_dword v[2:3], v4
.LBB1144_217:
	s_and_saveexec_b64 s[2:3], s[0:1]
	s_cbranch_execnz .LBB1144_219
; %bb.218:
	s_endpgm
.LBB1144_219:
	v_lshlrev_b64 v[0:1], 2, v[0:1]
	v_mov_b32_e32 v2, s5
	v_add_co_u32_e32 v0, vcc, s4, v0
	v_addc_co_u32_e32 v1, vcc, v2, v1, vcc
	v_add_co_u32_e32 v0, vcc, 0x3000, v0
	v_addc_co_u32_e32 v1, vcc, 0, v1, vcc
	s_waitcnt lgkmcnt(0)
	flat_store_dword v[0:1], v5 offset:1024
	s_endpgm
.LBB1144_220:
	v_mov_b32_e32 v25, s65
	v_add_co_u32_e32 v26, vcc, s64, v24
	v_addc_co_u32_e32 v27, vcc, 0, v25, vcc
	flat_load_dword v25, v[26:27]
	s_or_b64 exec, exec, s[4:5]
                                        ; implicit-def: $vgpr26
	s_and_saveexec_b64 s[4:5], s[8:9]
	s_cbranch_execz .LBB1144_41
.LBB1144_221:
	v_mov_b32_e32 v27, s65
	v_add_co_u32_e32 v26, vcc, s64, v24
	v_addc_co_u32_e32 v27, vcc, 0, v27, vcc
	flat_load_dword v26, v[26:27] offset:1024
	s_or_b64 exec, exec, s[4:5]
                                        ; implicit-def: $vgpr27
	s_and_saveexec_b64 s[4:5], s[10:11]
	s_cbranch_execz .LBB1144_42
.LBB1144_222:
	v_mov_b32_e32 v27, s65
	v_add_co_u32_e32 v28, vcc, s64, v24
	v_addc_co_u32_e32 v29, vcc, 0, v27, vcc
	flat_load_dword v27, v[28:29] offset:2048
	s_or_b64 exec, exec, s[4:5]
                                        ; implicit-def: $vgpr28
	s_and_saveexec_b64 s[4:5], s[12:13]
	s_cbranch_execz .LBB1144_43
.LBB1144_223:
	v_mov_b32_e32 v29, s65
	v_add_co_u32_e32 v28, vcc, s64, v24
	v_addc_co_u32_e32 v29, vcc, 0, v29, vcc
	flat_load_dword v28, v[28:29] offset:3072
	s_or_b64 exec, exec, s[4:5]
                                        ; implicit-def: $vgpr29
	s_and_saveexec_b64 s[4:5], s[14:15]
	s_cbranch_execz .LBB1144_44
.LBB1144_224:
	v_lshlrev_b32_e32 v1, 2, v1
	v_mov_b32_e32 v29, s65
	v_add_co_u32_e32 v30, vcc, s64, v1
	v_addc_co_u32_e32 v31, vcc, 0, v29, vcc
	flat_load_dword v29, v[30:31]
	s_or_b64 exec, exec, s[4:5]
                                        ; implicit-def: $vgpr1
	s_and_saveexec_b64 s[4:5], s[16:17]
	s_cbranch_execz .LBB1144_45
.LBB1144_225:
	v_lshlrev_b32_e32 v1, 2, v14
	v_mov_b32_e32 v14, s65
	v_add_co_u32_e32 v30, vcc, s64, v1
	v_addc_co_u32_e32 v31, vcc, 0, v14, vcc
	flat_load_dword v1, v[30:31]
	s_or_b64 exec, exec, s[4:5]
                                        ; implicit-def: $vgpr14
	s_and_saveexec_b64 s[4:5], s[18:19]
	s_cbranch_execz .LBB1144_46
.LBB1144_226:
	v_lshlrev_b32_e32 v14, 2, v16
	v_mov_b32_e32 v16, s65
	v_add_co_u32_e32 v30, vcc, s64, v14
	v_addc_co_u32_e32 v31, vcc, 0, v16, vcc
	flat_load_dword v14, v[30:31]
	s_or_b64 exec, exec, s[4:5]
                                        ; implicit-def: $vgpr16
	s_and_saveexec_b64 s[4:5], s[20:21]
	s_cbranch_execz .LBB1144_47
.LBB1144_227:
	v_lshlrev_b32_e32 v16, 2, v17
	v_mov_b32_e32 v17, s65
	v_add_co_u32_e32 v16, vcc, s64, v16
	v_addc_co_u32_e32 v17, vcc, 0, v17, vcc
	flat_load_dword v16, v[16:17]
	s_or_b64 exec, exec, s[4:5]
                                        ; implicit-def: $vgpr17
	s_and_saveexec_b64 s[4:5], s[22:23]
	s_cbranch_execz .LBB1144_48
.LBB1144_228:
	v_lshlrev_b32_e32 v17, 2, v18
	v_mov_b32_e32 v18, s65
	v_add_co_u32_e32 v30, vcc, s64, v17
	v_addc_co_u32_e32 v31, vcc, 0, v18, vcc
	flat_load_dword v17, v[30:31]
	s_or_b64 exec, exec, s[4:5]
                                        ; implicit-def: $vgpr18
	s_and_saveexec_b64 s[4:5], s[24:25]
	s_cbranch_execz .LBB1144_49
.LBB1144_229:
	v_lshlrev_b32_e32 v18, 2, v19
	v_mov_b32_e32 v19, s65
	v_add_co_u32_e32 v18, vcc, s64, v18
	v_addc_co_u32_e32 v19, vcc, 0, v19, vcc
	flat_load_dword v18, v[18:19]
	s_or_b64 exec, exec, s[4:5]
                                        ; implicit-def: $vgpr19
	s_and_saveexec_b64 s[4:5], s[26:27]
	s_cbranch_execz .LBB1144_50
.LBB1144_230:
	v_lshlrev_b32_e32 v19, 2, v20
	v_mov_b32_e32 v20, s65
	v_add_co_u32_e32 v30, vcc, s64, v19
	v_addc_co_u32_e32 v31, vcc, 0, v20, vcc
	flat_load_dword v19, v[30:31]
	s_or_b64 exec, exec, s[4:5]
                                        ; implicit-def: $vgpr20
	s_and_saveexec_b64 s[4:5], s[28:29]
	s_cbranch_execz .LBB1144_51
.LBB1144_231:
	v_lshlrev_b32_e32 v20, 2, v21
	v_mov_b32_e32 v21, s65
	v_add_co_u32_e32 v20, vcc, s64, v20
	v_addc_co_u32_e32 v21, vcc, 0, v21, vcc
	flat_load_dword v20, v[20:21]
	s_or_b64 exec, exec, s[4:5]
                                        ; implicit-def: $vgpr21
	s_and_saveexec_b64 s[4:5], s[30:31]
	s_cbranch_execz .LBB1144_52
.LBB1144_232:
	v_lshlrev_b32_e32 v21, 2, v22
	v_mov_b32_e32 v22, s65
	v_add_co_u32_e32 v30, vcc, s64, v21
	v_addc_co_u32_e32 v31, vcc, 0, v22, vcc
	flat_load_dword v21, v[30:31]
	s_or_b64 exec, exec, s[4:5]
                                        ; implicit-def: $vgpr22
	s_and_saveexec_b64 s[4:5], s[34:35]
	s_cbranch_execnz .LBB1144_53
	s_branch .LBB1144_54
.LBB1144_233:
                                        ; implicit-def: $sgpr4_sgpr5
	s_branch .LBB1144_36
.LBB1144_234:
                                        ; implicit-def: $sgpr4_sgpr5
	s_branch .LBB1144_85
	.section	.rodata,"a",@progbits
	.p2align	6, 0x0
	.amdhsa_kernel _ZN7rocprim17ROCPRIM_400000_NS6detail17trampoline_kernelINS0_14default_configENS1_27scan_by_key_config_selectorIifEEZZNS1_16scan_by_key_implILNS1_25lookback_scan_determinismE0ELb0ES3_N6thrust23THRUST_200600_302600_NS6detail15normal_iteratorINS9_10device_ptrIiEEEENSB_INSC_IfEEEESG_fNS9_4plusIvEENS9_8equal_toIvEEfEE10hipError_tPvRmT2_T3_T4_T5_mT6_T7_P12ihipStream_tbENKUlT_T0_E_clISt17integral_constantIbLb1EES11_EEDaSW_SX_EUlSW_E_NS1_11comp_targetILNS1_3genE4ELNS1_11target_archE910ELNS1_3gpuE8ELNS1_3repE0EEENS1_30default_config_static_selectorELNS0_4arch9wavefront6targetE1EEEvT1_
		.amdhsa_group_segment_fixed_size 16384
		.amdhsa_private_segment_fixed_size 0
		.amdhsa_kernarg_size 112
		.amdhsa_user_sgpr_count 6
		.amdhsa_user_sgpr_private_segment_buffer 1
		.amdhsa_user_sgpr_dispatch_ptr 0
		.amdhsa_user_sgpr_queue_ptr 0
		.amdhsa_user_sgpr_kernarg_segment_ptr 1
		.amdhsa_user_sgpr_dispatch_id 0
		.amdhsa_user_sgpr_flat_scratch_init 0
		.amdhsa_user_sgpr_kernarg_preload_length 0
		.amdhsa_user_sgpr_kernarg_preload_offset 0
		.amdhsa_user_sgpr_private_segment_size 0
		.amdhsa_uses_dynamic_stack 0
		.amdhsa_system_sgpr_private_segment_wavefront_offset 0
		.amdhsa_system_sgpr_workgroup_id_x 1
		.amdhsa_system_sgpr_workgroup_id_y 0
		.amdhsa_system_sgpr_workgroup_id_z 0
		.amdhsa_system_sgpr_workgroup_info 0
		.amdhsa_system_vgpr_workitem_id 0
		.amdhsa_next_free_vgpr 64
		.amdhsa_next_free_sgpr 67
		.amdhsa_accum_offset 64
		.amdhsa_reserve_vcc 1
		.amdhsa_reserve_flat_scratch 0
		.amdhsa_float_round_mode_32 0
		.amdhsa_float_round_mode_16_64 0
		.amdhsa_float_denorm_mode_32 3
		.amdhsa_float_denorm_mode_16_64 3
		.amdhsa_dx10_clamp 1
		.amdhsa_ieee_mode 1
		.amdhsa_fp16_overflow 0
		.amdhsa_tg_split 0
		.amdhsa_exception_fp_ieee_invalid_op 0
		.amdhsa_exception_fp_denorm_src 0
		.amdhsa_exception_fp_ieee_div_zero 0
		.amdhsa_exception_fp_ieee_overflow 0
		.amdhsa_exception_fp_ieee_underflow 0
		.amdhsa_exception_fp_ieee_inexact 0
		.amdhsa_exception_int_div_zero 0
	.end_amdhsa_kernel
	.section	.text._ZN7rocprim17ROCPRIM_400000_NS6detail17trampoline_kernelINS0_14default_configENS1_27scan_by_key_config_selectorIifEEZZNS1_16scan_by_key_implILNS1_25lookback_scan_determinismE0ELb0ES3_N6thrust23THRUST_200600_302600_NS6detail15normal_iteratorINS9_10device_ptrIiEEEENSB_INSC_IfEEEESG_fNS9_4plusIvEENS9_8equal_toIvEEfEE10hipError_tPvRmT2_T3_T4_T5_mT6_T7_P12ihipStream_tbENKUlT_T0_E_clISt17integral_constantIbLb1EES11_EEDaSW_SX_EUlSW_E_NS1_11comp_targetILNS1_3genE4ELNS1_11target_archE910ELNS1_3gpuE8ELNS1_3repE0EEENS1_30default_config_static_selectorELNS0_4arch9wavefront6targetE1EEEvT1_,"axG",@progbits,_ZN7rocprim17ROCPRIM_400000_NS6detail17trampoline_kernelINS0_14default_configENS1_27scan_by_key_config_selectorIifEEZZNS1_16scan_by_key_implILNS1_25lookback_scan_determinismE0ELb0ES3_N6thrust23THRUST_200600_302600_NS6detail15normal_iteratorINS9_10device_ptrIiEEEENSB_INSC_IfEEEESG_fNS9_4plusIvEENS9_8equal_toIvEEfEE10hipError_tPvRmT2_T3_T4_T5_mT6_T7_P12ihipStream_tbENKUlT_T0_E_clISt17integral_constantIbLb1EES11_EEDaSW_SX_EUlSW_E_NS1_11comp_targetILNS1_3genE4ELNS1_11target_archE910ELNS1_3gpuE8ELNS1_3repE0EEENS1_30default_config_static_selectorELNS0_4arch9wavefront6targetE1EEEvT1_,comdat
.Lfunc_end1144:
	.size	_ZN7rocprim17ROCPRIM_400000_NS6detail17trampoline_kernelINS0_14default_configENS1_27scan_by_key_config_selectorIifEEZZNS1_16scan_by_key_implILNS1_25lookback_scan_determinismE0ELb0ES3_N6thrust23THRUST_200600_302600_NS6detail15normal_iteratorINS9_10device_ptrIiEEEENSB_INSC_IfEEEESG_fNS9_4plusIvEENS9_8equal_toIvEEfEE10hipError_tPvRmT2_T3_T4_T5_mT6_T7_P12ihipStream_tbENKUlT_T0_E_clISt17integral_constantIbLb1EES11_EEDaSW_SX_EUlSW_E_NS1_11comp_targetILNS1_3genE4ELNS1_11target_archE910ELNS1_3gpuE8ELNS1_3repE0EEENS1_30default_config_static_selectorELNS0_4arch9wavefront6targetE1EEEvT1_, .Lfunc_end1144-_ZN7rocprim17ROCPRIM_400000_NS6detail17trampoline_kernelINS0_14default_configENS1_27scan_by_key_config_selectorIifEEZZNS1_16scan_by_key_implILNS1_25lookback_scan_determinismE0ELb0ES3_N6thrust23THRUST_200600_302600_NS6detail15normal_iteratorINS9_10device_ptrIiEEEENSB_INSC_IfEEEESG_fNS9_4plusIvEENS9_8equal_toIvEEfEE10hipError_tPvRmT2_T3_T4_T5_mT6_T7_P12ihipStream_tbENKUlT_T0_E_clISt17integral_constantIbLb1EES11_EEDaSW_SX_EUlSW_E_NS1_11comp_targetILNS1_3genE4ELNS1_11target_archE910ELNS1_3gpuE8ELNS1_3repE0EEENS1_30default_config_static_selectorELNS0_4arch9wavefront6targetE1EEEvT1_
                                        ; -- End function
	.section	.AMDGPU.csdata,"",@progbits
; Kernel info:
; codeLenInByte = 10804
; NumSgprs: 71
; NumVgprs: 64
; NumAgprs: 0
; TotalNumVgprs: 64
; ScratchSize: 0
; MemoryBound: 0
; FloatMode: 240
; IeeeMode: 1
; LDSByteSize: 16384 bytes/workgroup (compile time only)
; SGPRBlocks: 8
; VGPRBlocks: 7
; NumSGPRsForWavesPerEU: 71
; NumVGPRsForWavesPerEU: 64
; AccumOffset: 64
; Occupancy: 4
; WaveLimiterHint : 1
; COMPUTE_PGM_RSRC2:SCRATCH_EN: 0
; COMPUTE_PGM_RSRC2:USER_SGPR: 6
; COMPUTE_PGM_RSRC2:TRAP_HANDLER: 0
; COMPUTE_PGM_RSRC2:TGID_X_EN: 1
; COMPUTE_PGM_RSRC2:TGID_Y_EN: 0
; COMPUTE_PGM_RSRC2:TGID_Z_EN: 0
; COMPUTE_PGM_RSRC2:TIDIG_COMP_CNT: 0
; COMPUTE_PGM_RSRC3_GFX90A:ACCUM_OFFSET: 15
; COMPUTE_PGM_RSRC3_GFX90A:TG_SPLIT: 0
	.section	.text._ZN7rocprim17ROCPRIM_400000_NS6detail17trampoline_kernelINS0_14default_configENS1_27scan_by_key_config_selectorIifEEZZNS1_16scan_by_key_implILNS1_25lookback_scan_determinismE0ELb0ES3_N6thrust23THRUST_200600_302600_NS6detail15normal_iteratorINS9_10device_ptrIiEEEENSB_INSC_IfEEEESG_fNS9_4plusIvEENS9_8equal_toIvEEfEE10hipError_tPvRmT2_T3_T4_T5_mT6_T7_P12ihipStream_tbENKUlT_T0_E_clISt17integral_constantIbLb1EES11_EEDaSW_SX_EUlSW_E_NS1_11comp_targetILNS1_3genE3ELNS1_11target_archE908ELNS1_3gpuE7ELNS1_3repE0EEENS1_30default_config_static_selectorELNS0_4arch9wavefront6targetE1EEEvT1_,"axG",@progbits,_ZN7rocprim17ROCPRIM_400000_NS6detail17trampoline_kernelINS0_14default_configENS1_27scan_by_key_config_selectorIifEEZZNS1_16scan_by_key_implILNS1_25lookback_scan_determinismE0ELb0ES3_N6thrust23THRUST_200600_302600_NS6detail15normal_iteratorINS9_10device_ptrIiEEEENSB_INSC_IfEEEESG_fNS9_4plusIvEENS9_8equal_toIvEEfEE10hipError_tPvRmT2_T3_T4_T5_mT6_T7_P12ihipStream_tbENKUlT_T0_E_clISt17integral_constantIbLb1EES11_EEDaSW_SX_EUlSW_E_NS1_11comp_targetILNS1_3genE3ELNS1_11target_archE908ELNS1_3gpuE7ELNS1_3repE0EEENS1_30default_config_static_selectorELNS0_4arch9wavefront6targetE1EEEvT1_,comdat
	.protected	_ZN7rocprim17ROCPRIM_400000_NS6detail17trampoline_kernelINS0_14default_configENS1_27scan_by_key_config_selectorIifEEZZNS1_16scan_by_key_implILNS1_25lookback_scan_determinismE0ELb0ES3_N6thrust23THRUST_200600_302600_NS6detail15normal_iteratorINS9_10device_ptrIiEEEENSB_INSC_IfEEEESG_fNS9_4plusIvEENS9_8equal_toIvEEfEE10hipError_tPvRmT2_T3_T4_T5_mT6_T7_P12ihipStream_tbENKUlT_T0_E_clISt17integral_constantIbLb1EES11_EEDaSW_SX_EUlSW_E_NS1_11comp_targetILNS1_3genE3ELNS1_11target_archE908ELNS1_3gpuE7ELNS1_3repE0EEENS1_30default_config_static_selectorELNS0_4arch9wavefront6targetE1EEEvT1_ ; -- Begin function _ZN7rocprim17ROCPRIM_400000_NS6detail17trampoline_kernelINS0_14default_configENS1_27scan_by_key_config_selectorIifEEZZNS1_16scan_by_key_implILNS1_25lookback_scan_determinismE0ELb0ES3_N6thrust23THRUST_200600_302600_NS6detail15normal_iteratorINS9_10device_ptrIiEEEENSB_INSC_IfEEEESG_fNS9_4plusIvEENS9_8equal_toIvEEfEE10hipError_tPvRmT2_T3_T4_T5_mT6_T7_P12ihipStream_tbENKUlT_T0_E_clISt17integral_constantIbLb1EES11_EEDaSW_SX_EUlSW_E_NS1_11comp_targetILNS1_3genE3ELNS1_11target_archE908ELNS1_3gpuE7ELNS1_3repE0EEENS1_30default_config_static_selectorELNS0_4arch9wavefront6targetE1EEEvT1_
	.globl	_ZN7rocprim17ROCPRIM_400000_NS6detail17trampoline_kernelINS0_14default_configENS1_27scan_by_key_config_selectorIifEEZZNS1_16scan_by_key_implILNS1_25lookback_scan_determinismE0ELb0ES3_N6thrust23THRUST_200600_302600_NS6detail15normal_iteratorINS9_10device_ptrIiEEEENSB_INSC_IfEEEESG_fNS9_4plusIvEENS9_8equal_toIvEEfEE10hipError_tPvRmT2_T3_T4_T5_mT6_T7_P12ihipStream_tbENKUlT_T0_E_clISt17integral_constantIbLb1EES11_EEDaSW_SX_EUlSW_E_NS1_11comp_targetILNS1_3genE3ELNS1_11target_archE908ELNS1_3gpuE7ELNS1_3repE0EEENS1_30default_config_static_selectorELNS0_4arch9wavefront6targetE1EEEvT1_
	.p2align	8
	.type	_ZN7rocprim17ROCPRIM_400000_NS6detail17trampoline_kernelINS0_14default_configENS1_27scan_by_key_config_selectorIifEEZZNS1_16scan_by_key_implILNS1_25lookback_scan_determinismE0ELb0ES3_N6thrust23THRUST_200600_302600_NS6detail15normal_iteratorINS9_10device_ptrIiEEEENSB_INSC_IfEEEESG_fNS9_4plusIvEENS9_8equal_toIvEEfEE10hipError_tPvRmT2_T3_T4_T5_mT6_T7_P12ihipStream_tbENKUlT_T0_E_clISt17integral_constantIbLb1EES11_EEDaSW_SX_EUlSW_E_NS1_11comp_targetILNS1_3genE3ELNS1_11target_archE908ELNS1_3gpuE7ELNS1_3repE0EEENS1_30default_config_static_selectorELNS0_4arch9wavefront6targetE1EEEvT1_,@function
_ZN7rocprim17ROCPRIM_400000_NS6detail17trampoline_kernelINS0_14default_configENS1_27scan_by_key_config_selectorIifEEZZNS1_16scan_by_key_implILNS1_25lookback_scan_determinismE0ELb0ES3_N6thrust23THRUST_200600_302600_NS6detail15normal_iteratorINS9_10device_ptrIiEEEENSB_INSC_IfEEEESG_fNS9_4plusIvEENS9_8equal_toIvEEfEE10hipError_tPvRmT2_T3_T4_T5_mT6_T7_P12ihipStream_tbENKUlT_T0_E_clISt17integral_constantIbLb1EES11_EEDaSW_SX_EUlSW_E_NS1_11comp_targetILNS1_3genE3ELNS1_11target_archE908ELNS1_3gpuE7ELNS1_3repE0EEENS1_30default_config_static_selectorELNS0_4arch9wavefront6targetE1EEEvT1_: ; @_ZN7rocprim17ROCPRIM_400000_NS6detail17trampoline_kernelINS0_14default_configENS1_27scan_by_key_config_selectorIifEEZZNS1_16scan_by_key_implILNS1_25lookback_scan_determinismE0ELb0ES3_N6thrust23THRUST_200600_302600_NS6detail15normal_iteratorINS9_10device_ptrIiEEEENSB_INSC_IfEEEESG_fNS9_4plusIvEENS9_8equal_toIvEEfEE10hipError_tPvRmT2_T3_T4_T5_mT6_T7_P12ihipStream_tbENKUlT_T0_E_clISt17integral_constantIbLb1EES11_EEDaSW_SX_EUlSW_E_NS1_11comp_targetILNS1_3genE3ELNS1_11target_archE908ELNS1_3gpuE7ELNS1_3repE0EEENS1_30default_config_static_selectorELNS0_4arch9wavefront6targetE1EEEvT1_
; %bb.0:
	.section	.rodata,"a",@progbits
	.p2align	6, 0x0
	.amdhsa_kernel _ZN7rocprim17ROCPRIM_400000_NS6detail17trampoline_kernelINS0_14default_configENS1_27scan_by_key_config_selectorIifEEZZNS1_16scan_by_key_implILNS1_25lookback_scan_determinismE0ELb0ES3_N6thrust23THRUST_200600_302600_NS6detail15normal_iteratorINS9_10device_ptrIiEEEENSB_INSC_IfEEEESG_fNS9_4plusIvEENS9_8equal_toIvEEfEE10hipError_tPvRmT2_T3_T4_T5_mT6_T7_P12ihipStream_tbENKUlT_T0_E_clISt17integral_constantIbLb1EES11_EEDaSW_SX_EUlSW_E_NS1_11comp_targetILNS1_3genE3ELNS1_11target_archE908ELNS1_3gpuE7ELNS1_3repE0EEENS1_30default_config_static_selectorELNS0_4arch9wavefront6targetE1EEEvT1_
		.amdhsa_group_segment_fixed_size 0
		.amdhsa_private_segment_fixed_size 0
		.amdhsa_kernarg_size 112
		.amdhsa_user_sgpr_count 6
		.amdhsa_user_sgpr_private_segment_buffer 1
		.amdhsa_user_sgpr_dispatch_ptr 0
		.amdhsa_user_sgpr_queue_ptr 0
		.amdhsa_user_sgpr_kernarg_segment_ptr 1
		.amdhsa_user_sgpr_dispatch_id 0
		.amdhsa_user_sgpr_flat_scratch_init 0
		.amdhsa_user_sgpr_kernarg_preload_length 0
		.amdhsa_user_sgpr_kernarg_preload_offset 0
		.amdhsa_user_sgpr_private_segment_size 0
		.amdhsa_uses_dynamic_stack 0
		.amdhsa_system_sgpr_private_segment_wavefront_offset 0
		.amdhsa_system_sgpr_workgroup_id_x 1
		.amdhsa_system_sgpr_workgroup_id_y 0
		.amdhsa_system_sgpr_workgroup_id_z 0
		.amdhsa_system_sgpr_workgroup_info 0
		.amdhsa_system_vgpr_workitem_id 0
		.amdhsa_next_free_vgpr 1
		.amdhsa_next_free_sgpr 0
		.amdhsa_accum_offset 4
		.amdhsa_reserve_vcc 0
		.amdhsa_reserve_flat_scratch 0
		.amdhsa_float_round_mode_32 0
		.amdhsa_float_round_mode_16_64 0
		.amdhsa_float_denorm_mode_32 3
		.amdhsa_float_denorm_mode_16_64 3
		.amdhsa_dx10_clamp 1
		.amdhsa_ieee_mode 1
		.amdhsa_fp16_overflow 0
		.amdhsa_tg_split 0
		.amdhsa_exception_fp_ieee_invalid_op 0
		.amdhsa_exception_fp_denorm_src 0
		.amdhsa_exception_fp_ieee_div_zero 0
		.amdhsa_exception_fp_ieee_overflow 0
		.amdhsa_exception_fp_ieee_underflow 0
		.amdhsa_exception_fp_ieee_inexact 0
		.amdhsa_exception_int_div_zero 0
	.end_amdhsa_kernel
	.section	.text._ZN7rocprim17ROCPRIM_400000_NS6detail17trampoline_kernelINS0_14default_configENS1_27scan_by_key_config_selectorIifEEZZNS1_16scan_by_key_implILNS1_25lookback_scan_determinismE0ELb0ES3_N6thrust23THRUST_200600_302600_NS6detail15normal_iteratorINS9_10device_ptrIiEEEENSB_INSC_IfEEEESG_fNS9_4plusIvEENS9_8equal_toIvEEfEE10hipError_tPvRmT2_T3_T4_T5_mT6_T7_P12ihipStream_tbENKUlT_T0_E_clISt17integral_constantIbLb1EES11_EEDaSW_SX_EUlSW_E_NS1_11comp_targetILNS1_3genE3ELNS1_11target_archE908ELNS1_3gpuE7ELNS1_3repE0EEENS1_30default_config_static_selectorELNS0_4arch9wavefront6targetE1EEEvT1_,"axG",@progbits,_ZN7rocprim17ROCPRIM_400000_NS6detail17trampoline_kernelINS0_14default_configENS1_27scan_by_key_config_selectorIifEEZZNS1_16scan_by_key_implILNS1_25lookback_scan_determinismE0ELb0ES3_N6thrust23THRUST_200600_302600_NS6detail15normal_iteratorINS9_10device_ptrIiEEEENSB_INSC_IfEEEESG_fNS9_4plusIvEENS9_8equal_toIvEEfEE10hipError_tPvRmT2_T3_T4_T5_mT6_T7_P12ihipStream_tbENKUlT_T0_E_clISt17integral_constantIbLb1EES11_EEDaSW_SX_EUlSW_E_NS1_11comp_targetILNS1_3genE3ELNS1_11target_archE908ELNS1_3gpuE7ELNS1_3repE0EEENS1_30default_config_static_selectorELNS0_4arch9wavefront6targetE1EEEvT1_,comdat
.Lfunc_end1145:
	.size	_ZN7rocprim17ROCPRIM_400000_NS6detail17trampoline_kernelINS0_14default_configENS1_27scan_by_key_config_selectorIifEEZZNS1_16scan_by_key_implILNS1_25lookback_scan_determinismE0ELb0ES3_N6thrust23THRUST_200600_302600_NS6detail15normal_iteratorINS9_10device_ptrIiEEEENSB_INSC_IfEEEESG_fNS9_4plusIvEENS9_8equal_toIvEEfEE10hipError_tPvRmT2_T3_T4_T5_mT6_T7_P12ihipStream_tbENKUlT_T0_E_clISt17integral_constantIbLb1EES11_EEDaSW_SX_EUlSW_E_NS1_11comp_targetILNS1_3genE3ELNS1_11target_archE908ELNS1_3gpuE7ELNS1_3repE0EEENS1_30default_config_static_selectorELNS0_4arch9wavefront6targetE1EEEvT1_, .Lfunc_end1145-_ZN7rocprim17ROCPRIM_400000_NS6detail17trampoline_kernelINS0_14default_configENS1_27scan_by_key_config_selectorIifEEZZNS1_16scan_by_key_implILNS1_25lookback_scan_determinismE0ELb0ES3_N6thrust23THRUST_200600_302600_NS6detail15normal_iteratorINS9_10device_ptrIiEEEENSB_INSC_IfEEEESG_fNS9_4plusIvEENS9_8equal_toIvEEfEE10hipError_tPvRmT2_T3_T4_T5_mT6_T7_P12ihipStream_tbENKUlT_T0_E_clISt17integral_constantIbLb1EES11_EEDaSW_SX_EUlSW_E_NS1_11comp_targetILNS1_3genE3ELNS1_11target_archE908ELNS1_3gpuE7ELNS1_3repE0EEENS1_30default_config_static_selectorELNS0_4arch9wavefront6targetE1EEEvT1_
                                        ; -- End function
	.section	.AMDGPU.csdata,"",@progbits
; Kernel info:
; codeLenInByte = 0
; NumSgprs: 4
; NumVgprs: 0
; NumAgprs: 0
; TotalNumVgprs: 0
; ScratchSize: 0
; MemoryBound: 0
; FloatMode: 240
; IeeeMode: 1
; LDSByteSize: 0 bytes/workgroup (compile time only)
; SGPRBlocks: 0
; VGPRBlocks: 0
; NumSGPRsForWavesPerEU: 4
; NumVGPRsForWavesPerEU: 1
; AccumOffset: 4
; Occupancy: 8
; WaveLimiterHint : 0
; COMPUTE_PGM_RSRC2:SCRATCH_EN: 0
; COMPUTE_PGM_RSRC2:USER_SGPR: 6
; COMPUTE_PGM_RSRC2:TRAP_HANDLER: 0
; COMPUTE_PGM_RSRC2:TGID_X_EN: 1
; COMPUTE_PGM_RSRC2:TGID_Y_EN: 0
; COMPUTE_PGM_RSRC2:TGID_Z_EN: 0
; COMPUTE_PGM_RSRC2:TIDIG_COMP_CNT: 0
; COMPUTE_PGM_RSRC3_GFX90A:ACCUM_OFFSET: 0
; COMPUTE_PGM_RSRC3_GFX90A:TG_SPLIT: 0
	.section	.text._ZN7rocprim17ROCPRIM_400000_NS6detail17trampoline_kernelINS0_14default_configENS1_27scan_by_key_config_selectorIifEEZZNS1_16scan_by_key_implILNS1_25lookback_scan_determinismE0ELb0ES3_N6thrust23THRUST_200600_302600_NS6detail15normal_iteratorINS9_10device_ptrIiEEEENSB_INSC_IfEEEESG_fNS9_4plusIvEENS9_8equal_toIvEEfEE10hipError_tPvRmT2_T3_T4_T5_mT6_T7_P12ihipStream_tbENKUlT_T0_E_clISt17integral_constantIbLb1EES11_EEDaSW_SX_EUlSW_E_NS1_11comp_targetILNS1_3genE2ELNS1_11target_archE906ELNS1_3gpuE6ELNS1_3repE0EEENS1_30default_config_static_selectorELNS0_4arch9wavefront6targetE1EEEvT1_,"axG",@progbits,_ZN7rocprim17ROCPRIM_400000_NS6detail17trampoline_kernelINS0_14default_configENS1_27scan_by_key_config_selectorIifEEZZNS1_16scan_by_key_implILNS1_25lookback_scan_determinismE0ELb0ES3_N6thrust23THRUST_200600_302600_NS6detail15normal_iteratorINS9_10device_ptrIiEEEENSB_INSC_IfEEEESG_fNS9_4plusIvEENS9_8equal_toIvEEfEE10hipError_tPvRmT2_T3_T4_T5_mT6_T7_P12ihipStream_tbENKUlT_T0_E_clISt17integral_constantIbLb1EES11_EEDaSW_SX_EUlSW_E_NS1_11comp_targetILNS1_3genE2ELNS1_11target_archE906ELNS1_3gpuE6ELNS1_3repE0EEENS1_30default_config_static_selectorELNS0_4arch9wavefront6targetE1EEEvT1_,comdat
	.protected	_ZN7rocprim17ROCPRIM_400000_NS6detail17trampoline_kernelINS0_14default_configENS1_27scan_by_key_config_selectorIifEEZZNS1_16scan_by_key_implILNS1_25lookback_scan_determinismE0ELb0ES3_N6thrust23THRUST_200600_302600_NS6detail15normal_iteratorINS9_10device_ptrIiEEEENSB_INSC_IfEEEESG_fNS9_4plusIvEENS9_8equal_toIvEEfEE10hipError_tPvRmT2_T3_T4_T5_mT6_T7_P12ihipStream_tbENKUlT_T0_E_clISt17integral_constantIbLb1EES11_EEDaSW_SX_EUlSW_E_NS1_11comp_targetILNS1_3genE2ELNS1_11target_archE906ELNS1_3gpuE6ELNS1_3repE0EEENS1_30default_config_static_selectorELNS0_4arch9wavefront6targetE1EEEvT1_ ; -- Begin function _ZN7rocprim17ROCPRIM_400000_NS6detail17trampoline_kernelINS0_14default_configENS1_27scan_by_key_config_selectorIifEEZZNS1_16scan_by_key_implILNS1_25lookback_scan_determinismE0ELb0ES3_N6thrust23THRUST_200600_302600_NS6detail15normal_iteratorINS9_10device_ptrIiEEEENSB_INSC_IfEEEESG_fNS9_4plusIvEENS9_8equal_toIvEEfEE10hipError_tPvRmT2_T3_T4_T5_mT6_T7_P12ihipStream_tbENKUlT_T0_E_clISt17integral_constantIbLb1EES11_EEDaSW_SX_EUlSW_E_NS1_11comp_targetILNS1_3genE2ELNS1_11target_archE906ELNS1_3gpuE6ELNS1_3repE0EEENS1_30default_config_static_selectorELNS0_4arch9wavefront6targetE1EEEvT1_
	.globl	_ZN7rocprim17ROCPRIM_400000_NS6detail17trampoline_kernelINS0_14default_configENS1_27scan_by_key_config_selectorIifEEZZNS1_16scan_by_key_implILNS1_25lookback_scan_determinismE0ELb0ES3_N6thrust23THRUST_200600_302600_NS6detail15normal_iteratorINS9_10device_ptrIiEEEENSB_INSC_IfEEEESG_fNS9_4plusIvEENS9_8equal_toIvEEfEE10hipError_tPvRmT2_T3_T4_T5_mT6_T7_P12ihipStream_tbENKUlT_T0_E_clISt17integral_constantIbLb1EES11_EEDaSW_SX_EUlSW_E_NS1_11comp_targetILNS1_3genE2ELNS1_11target_archE906ELNS1_3gpuE6ELNS1_3repE0EEENS1_30default_config_static_selectorELNS0_4arch9wavefront6targetE1EEEvT1_
	.p2align	8
	.type	_ZN7rocprim17ROCPRIM_400000_NS6detail17trampoline_kernelINS0_14default_configENS1_27scan_by_key_config_selectorIifEEZZNS1_16scan_by_key_implILNS1_25lookback_scan_determinismE0ELb0ES3_N6thrust23THRUST_200600_302600_NS6detail15normal_iteratorINS9_10device_ptrIiEEEENSB_INSC_IfEEEESG_fNS9_4plusIvEENS9_8equal_toIvEEfEE10hipError_tPvRmT2_T3_T4_T5_mT6_T7_P12ihipStream_tbENKUlT_T0_E_clISt17integral_constantIbLb1EES11_EEDaSW_SX_EUlSW_E_NS1_11comp_targetILNS1_3genE2ELNS1_11target_archE906ELNS1_3gpuE6ELNS1_3repE0EEENS1_30default_config_static_selectorELNS0_4arch9wavefront6targetE1EEEvT1_,@function
_ZN7rocprim17ROCPRIM_400000_NS6detail17trampoline_kernelINS0_14default_configENS1_27scan_by_key_config_selectorIifEEZZNS1_16scan_by_key_implILNS1_25lookback_scan_determinismE0ELb0ES3_N6thrust23THRUST_200600_302600_NS6detail15normal_iteratorINS9_10device_ptrIiEEEENSB_INSC_IfEEEESG_fNS9_4plusIvEENS9_8equal_toIvEEfEE10hipError_tPvRmT2_T3_T4_T5_mT6_T7_P12ihipStream_tbENKUlT_T0_E_clISt17integral_constantIbLb1EES11_EEDaSW_SX_EUlSW_E_NS1_11comp_targetILNS1_3genE2ELNS1_11target_archE906ELNS1_3gpuE6ELNS1_3repE0EEENS1_30default_config_static_selectorELNS0_4arch9wavefront6targetE1EEEvT1_: ; @_ZN7rocprim17ROCPRIM_400000_NS6detail17trampoline_kernelINS0_14default_configENS1_27scan_by_key_config_selectorIifEEZZNS1_16scan_by_key_implILNS1_25lookback_scan_determinismE0ELb0ES3_N6thrust23THRUST_200600_302600_NS6detail15normal_iteratorINS9_10device_ptrIiEEEENSB_INSC_IfEEEESG_fNS9_4plusIvEENS9_8equal_toIvEEfEE10hipError_tPvRmT2_T3_T4_T5_mT6_T7_P12ihipStream_tbENKUlT_T0_E_clISt17integral_constantIbLb1EES11_EEDaSW_SX_EUlSW_E_NS1_11comp_targetILNS1_3genE2ELNS1_11target_archE906ELNS1_3gpuE6ELNS1_3repE0EEENS1_30default_config_static_selectorELNS0_4arch9wavefront6targetE1EEEvT1_
; %bb.0:
	.section	.rodata,"a",@progbits
	.p2align	6, 0x0
	.amdhsa_kernel _ZN7rocprim17ROCPRIM_400000_NS6detail17trampoline_kernelINS0_14default_configENS1_27scan_by_key_config_selectorIifEEZZNS1_16scan_by_key_implILNS1_25lookback_scan_determinismE0ELb0ES3_N6thrust23THRUST_200600_302600_NS6detail15normal_iteratorINS9_10device_ptrIiEEEENSB_INSC_IfEEEESG_fNS9_4plusIvEENS9_8equal_toIvEEfEE10hipError_tPvRmT2_T3_T4_T5_mT6_T7_P12ihipStream_tbENKUlT_T0_E_clISt17integral_constantIbLb1EES11_EEDaSW_SX_EUlSW_E_NS1_11comp_targetILNS1_3genE2ELNS1_11target_archE906ELNS1_3gpuE6ELNS1_3repE0EEENS1_30default_config_static_selectorELNS0_4arch9wavefront6targetE1EEEvT1_
		.amdhsa_group_segment_fixed_size 0
		.amdhsa_private_segment_fixed_size 0
		.amdhsa_kernarg_size 112
		.amdhsa_user_sgpr_count 6
		.amdhsa_user_sgpr_private_segment_buffer 1
		.amdhsa_user_sgpr_dispatch_ptr 0
		.amdhsa_user_sgpr_queue_ptr 0
		.amdhsa_user_sgpr_kernarg_segment_ptr 1
		.amdhsa_user_sgpr_dispatch_id 0
		.amdhsa_user_sgpr_flat_scratch_init 0
		.amdhsa_user_sgpr_kernarg_preload_length 0
		.amdhsa_user_sgpr_kernarg_preload_offset 0
		.amdhsa_user_sgpr_private_segment_size 0
		.amdhsa_uses_dynamic_stack 0
		.amdhsa_system_sgpr_private_segment_wavefront_offset 0
		.amdhsa_system_sgpr_workgroup_id_x 1
		.amdhsa_system_sgpr_workgroup_id_y 0
		.amdhsa_system_sgpr_workgroup_id_z 0
		.amdhsa_system_sgpr_workgroup_info 0
		.amdhsa_system_vgpr_workitem_id 0
		.amdhsa_next_free_vgpr 1
		.amdhsa_next_free_sgpr 0
		.amdhsa_accum_offset 4
		.amdhsa_reserve_vcc 0
		.amdhsa_reserve_flat_scratch 0
		.amdhsa_float_round_mode_32 0
		.amdhsa_float_round_mode_16_64 0
		.amdhsa_float_denorm_mode_32 3
		.amdhsa_float_denorm_mode_16_64 3
		.amdhsa_dx10_clamp 1
		.amdhsa_ieee_mode 1
		.amdhsa_fp16_overflow 0
		.amdhsa_tg_split 0
		.amdhsa_exception_fp_ieee_invalid_op 0
		.amdhsa_exception_fp_denorm_src 0
		.amdhsa_exception_fp_ieee_div_zero 0
		.amdhsa_exception_fp_ieee_overflow 0
		.amdhsa_exception_fp_ieee_underflow 0
		.amdhsa_exception_fp_ieee_inexact 0
		.amdhsa_exception_int_div_zero 0
	.end_amdhsa_kernel
	.section	.text._ZN7rocprim17ROCPRIM_400000_NS6detail17trampoline_kernelINS0_14default_configENS1_27scan_by_key_config_selectorIifEEZZNS1_16scan_by_key_implILNS1_25lookback_scan_determinismE0ELb0ES3_N6thrust23THRUST_200600_302600_NS6detail15normal_iteratorINS9_10device_ptrIiEEEENSB_INSC_IfEEEESG_fNS9_4plusIvEENS9_8equal_toIvEEfEE10hipError_tPvRmT2_T3_T4_T5_mT6_T7_P12ihipStream_tbENKUlT_T0_E_clISt17integral_constantIbLb1EES11_EEDaSW_SX_EUlSW_E_NS1_11comp_targetILNS1_3genE2ELNS1_11target_archE906ELNS1_3gpuE6ELNS1_3repE0EEENS1_30default_config_static_selectorELNS0_4arch9wavefront6targetE1EEEvT1_,"axG",@progbits,_ZN7rocprim17ROCPRIM_400000_NS6detail17trampoline_kernelINS0_14default_configENS1_27scan_by_key_config_selectorIifEEZZNS1_16scan_by_key_implILNS1_25lookback_scan_determinismE0ELb0ES3_N6thrust23THRUST_200600_302600_NS6detail15normal_iteratorINS9_10device_ptrIiEEEENSB_INSC_IfEEEESG_fNS9_4plusIvEENS9_8equal_toIvEEfEE10hipError_tPvRmT2_T3_T4_T5_mT6_T7_P12ihipStream_tbENKUlT_T0_E_clISt17integral_constantIbLb1EES11_EEDaSW_SX_EUlSW_E_NS1_11comp_targetILNS1_3genE2ELNS1_11target_archE906ELNS1_3gpuE6ELNS1_3repE0EEENS1_30default_config_static_selectorELNS0_4arch9wavefront6targetE1EEEvT1_,comdat
.Lfunc_end1146:
	.size	_ZN7rocprim17ROCPRIM_400000_NS6detail17trampoline_kernelINS0_14default_configENS1_27scan_by_key_config_selectorIifEEZZNS1_16scan_by_key_implILNS1_25lookback_scan_determinismE0ELb0ES3_N6thrust23THRUST_200600_302600_NS6detail15normal_iteratorINS9_10device_ptrIiEEEENSB_INSC_IfEEEESG_fNS9_4plusIvEENS9_8equal_toIvEEfEE10hipError_tPvRmT2_T3_T4_T5_mT6_T7_P12ihipStream_tbENKUlT_T0_E_clISt17integral_constantIbLb1EES11_EEDaSW_SX_EUlSW_E_NS1_11comp_targetILNS1_3genE2ELNS1_11target_archE906ELNS1_3gpuE6ELNS1_3repE0EEENS1_30default_config_static_selectorELNS0_4arch9wavefront6targetE1EEEvT1_, .Lfunc_end1146-_ZN7rocprim17ROCPRIM_400000_NS6detail17trampoline_kernelINS0_14default_configENS1_27scan_by_key_config_selectorIifEEZZNS1_16scan_by_key_implILNS1_25lookback_scan_determinismE0ELb0ES3_N6thrust23THRUST_200600_302600_NS6detail15normal_iteratorINS9_10device_ptrIiEEEENSB_INSC_IfEEEESG_fNS9_4plusIvEENS9_8equal_toIvEEfEE10hipError_tPvRmT2_T3_T4_T5_mT6_T7_P12ihipStream_tbENKUlT_T0_E_clISt17integral_constantIbLb1EES11_EEDaSW_SX_EUlSW_E_NS1_11comp_targetILNS1_3genE2ELNS1_11target_archE906ELNS1_3gpuE6ELNS1_3repE0EEENS1_30default_config_static_selectorELNS0_4arch9wavefront6targetE1EEEvT1_
                                        ; -- End function
	.section	.AMDGPU.csdata,"",@progbits
; Kernel info:
; codeLenInByte = 0
; NumSgprs: 4
; NumVgprs: 0
; NumAgprs: 0
; TotalNumVgprs: 0
; ScratchSize: 0
; MemoryBound: 0
; FloatMode: 240
; IeeeMode: 1
; LDSByteSize: 0 bytes/workgroup (compile time only)
; SGPRBlocks: 0
; VGPRBlocks: 0
; NumSGPRsForWavesPerEU: 4
; NumVGPRsForWavesPerEU: 1
; AccumOffset: 4
; Occupancy: 8
; WaveLimiterHint : 0
; COMPUTE_PGM_RSRC2:SCRATCH_EN: 0
; COMPUTE_PGM_RSRC2:USER_SGPR: 6
; COMPUTE_PGM_RSRC2:TRAP_HANDLER: 0
; COMPUTE_PGM_RSRC2:TGID_X_EN: 1
; COMPUTE_PGM_RSRC2:TGID_Y_EN: 0
; COMPUTE_PGM_RSRC2:TGID_Z_EN: 0
; COMPUTE_PGM_RSRC2:TIDIG_COMP_CNT: 0
; COMPUTE_PGM_RSRC3_GFX90A:ACCUM_OFFSET: 0
; COMPUTE_PGM_RSRC3_GFX90A:TG_SPLIT: 0
	.section	.text._ZN7rocprim17ROCPRIM_400000_NS6detail17trampoline_kernelINS0_14default_configENS1_27scan_by_key_config_selectorIifEEZZNS1_16scan_by_key_implILNS1_25lookback_scan_determinismE0ELb0ES3_N6thrust23THRUST_200600_302600_NS6detail15normal_iteratorINS9_10device_ptrIiEEEENSB_INSC_IfEEEESG_fNS9_4plusIvEENS9_8equal_toIvEEfEE10hipError_tPvRmT2_T3_T4_T5_mT6_T7_P12ihipStream_tbENKUlT_T0_E_clISt17integral_constantIbLb1EES11_EEDaSW_SX_EUlSW_E_NS1_11comp_targetILNS1_3genE10ELNS1_11target_archE1200ELNS1_3gpuE4ELNS1_3repE0EEENS1_30default_config_static_selectorELNS0_4arch9wavefront6targetE1EEEvT1_,"axG",@progbits,_ZN7rocprim17ROCPRIM_400000_NS6detail17trampoline_kernelINS0_14default_configENS1_27scan_by_key_config_selectorIifEEZZNS1_16scan_by_key_implILNS1_25lookback_scan_determinismE0ELb0ES3_N6thrust23THRUST_200600_302600_NS6detail15normal_iteratorINS9_10device_ptrIiEEEENSB_INSC_IfEEEESG_fNS9_4plusIvEENS9_8equal_toIvEEfEE10hipError_tPvRmT2_T3_T4_T5_mT6_T7_P12ihipStream_tbENKUlT_T0_E_clISt17integral_constantIbLb1EES11_EEDaSW_SX_EUlSW_E_NS1_11comp_targetILNS1_3genE10ELNS1_11target_archE1200ELNS1_3gpuE4ELNS1_3repE0EEENS1_30default_config_static_selectorELNS0_4arch9wavefront6targetE1EEEvT1_,comdat
	.protected	_ZN7rocprim17ROCPRIM_400000_NS6detail17trampoline_kernelINS0_14default_configENS1_27scan_by_key_config_selectorIifEEZZNS1_16scan_by_key_implILNS1_25lookback_scan_determinismE0ELb0ES3_N6thrust23THRUST_200600_302600_NS6detail15normal_iteratorINS9_10device_ptrIiEEEENSB_INSC_IfEEEESG_fNS9_4plusIvEENS9_8equal_toIvEEfEE10hipError_tPvRmT2_T3_T4_T5_mT6_T7_P12ihipStream_tbENKUlT_T0_E_clISt17integral_constantIbLb1EES11_EEDaSW_SX_EUlSW_E_NS1_11comp_targetILNS1_3genE10ELNS1_11target_archE1200ELNS1_3gpuE4ELNS1_3repE0EEENS1_30default_config_static_selectorELNS0_4arch9wavefront6targetE1EEEvT1_ ; -- Begin function _ZN7rocprim17ROCPRIM_400000_NS6detail17trampoline_kernelINS0_14default_configENS1_27scan_by_key_config_selectorIifEEZZNS1_16scan_by_key_implILNS1_25lookback_scan_determinismE0ELb0ES3_N6thrust23THRUST_200600_302600_NS6detail15normal_iteratorINS9_10device_ptrIiEEEENSB_INSC_IfEEEESG_fNS9_4plusIvEENS9_8equal_toIvEEfEE10hipError_tPvRmT2_T3_T4_T5_mT6_T7_P12ihipStream_tbENKUlT_T0_E_clISt17integral_constantIbLb1EES11_EEDaSW_SX_EUlSW_E_NS1_11comp_targetILNS1_3genE10ELNS1_11target_archE1200ELNS1_3gpuE4ELNS1_3repE0EEENS1_30default_config_static_selectorELNS0_4arch9wavefront6targetE1EEEvT1_
	.globl	_ZN7rocprim17ROCPRIM_400000_NS6detail17trampoline_kernelINS0_14default_configENS1_27scan_by_key_config_selectorIifEEZZNS1_16scan_by_key_implILNS1_25lookback_scan_determinismE0ELb0ES3_N6thrust23THRUST_200600_302600_NS6detail15normal_iteratorINS9_10device_ptrIiEEEENSB_INSC_IfEEEESG_fNS9_4plusIvEENS9_8equal_toIvEEfEE10hipError_tPvRmT2_T3_T4_T5_mT6_T7_P12ihipStream_tbENKUlT_T0_E_clISt17integral_constantIbLb1EES11_EEDaSW_SX_EUlSW_E_NS1_11comp_targetILNS1_3genE10ELNS1_11target_archE1200ELNS1_3gpuE4ELNS1_3repE0EEENS1_30default_config_static_selectorELNS0_4arch9wavefront6targetE1EEEvT1_
	.p2align	8
	.type	_ZN7rocprim17ROCPRIM_400000_NS6detail17trampoline_kernelINS0_14default_configENS1_27scan_by_key_config_selectorIifEEZZNS1_16scan_by_key_implILNS1_25lookback_scan_determinismE0ELb0ES3_N6thrust23THRUST_200600_302600_NS6detail15normal_iteratorINS9_10device_ptrIiEEEENSB_INSC_IfEEEESG_fNS9_4plusIvEENS9_8equal_toIvEEfEE10hipError_tPvRmT2_T3_T4_T5_mT6_T7_P12ihipStream_tbENKUlT_T0_E_clISt17integral_constantIbLb1EES11_EEDaSW_SX_EUlSW_E_NS1_11comp_targetILNS1_3genE10ELNS1_11target_archE1200ELNS1_3gpuE4ELNS1_3repE0EEENS1_30default_config_static_selectorELNS0_4arch9wavefront6targetE1EEEvT1_,@function
_ZN7rocprim17ROCPRIM_400000_NS6detail17trampoline_kernelINS0_14default_configENS1_27scan_by_key_config_selectorIifEEZZNS1_16scan_by_key_implILNS1_25lookback_scan_determinismE0ELb0ES3_N6thrust23THRUST_200600_302600_NS6detail15normal_iteratorINS9_10device_ptrIiEEEENSB_INSC_IfEEEESG_fNS9_4plusIvEENS9_8equal_toIvEEfEE10hipError_tPvRmT2_T3_T4_T5_mT6_T7_P12ihipStream_tbENKUlT_T0_E_clISt17integral_constantIbLb1EES11_EEDaSW_SX_EUlSW_E_NS1_11comp_targetILNS1_3genE10ELNS1_11target_archE1200ELNS1_3gpuE4ELNS1_3repE0EEENS1_30default_config_static_selectorELNS0_4arch9wavefront6targetE1EEEvT1_: ; @_ZN7rocprim17ROCPRIM_400000_NS6detail17trampoline_kernelINS0_14default_configENS1_27scan_by_key_config_selectorIifEEZZNS1_16scan_by_key_implILNS1_25lookback_scan_determinismE0ELb0ES3_N6thrust23THRUST_200600_302600_NS6detail15normal_iteratorINS9_10device_ptrIiEEEENSB_INSC_IfEEEESG_fNS9_4plusIvEENS9_8equal_toIvEEfEE10hipError_tPvRmT2_T3_T4_T5_mT6_T7_P12ihipStream_tbENKUlT_T0_E_clISt17integral_constantIbLb1EES11_EEDaSW_SX_EUlSW_E_NS1_11comp_targetILNS1_3genE10ELNS1_11target_archE1200ELNS1_3gpuE4ELNS1_3repE0EEENS1_30default_config_static_selectorELNS0_4arch9wavefront6targetE1EEEvT1_
; %bb.0:
	.section	.rodata,"a",@progbits
	.p2align	6, 0x0
	.amdhsa_kernel _ZN7rocprim17ROCPRIM_400000_NS6detail17trampoline_kernelINS0_14default_configENS1_27scan_by_key_config_selectorIifEEZZNS1_16scan_by_key_implILNS1_25lookback_scan_determinismE0ELb0ES3_N6thrust23THRUST_200600_302600_NS6detail15normal_iteratorINS9_10device_ptrIiEEEENSB_INSC_IfEEEESG_fNS9_4plusIvEENS9_8equal_toIvEEfEE10hipError_tPvRmT2_T3_T4_T5_mT6_T7_P12ihipStream_tbENKUlT_T0_E_clISt17integral_constantIbLb1EES11_EEDaSW_SX_EUlSW_E_NS1_11comp_targetILNS1_3genE10ELNS1_11target_archE1200ELNS1_3gpuE4ELNS1_3repE0EEENS1_30default_config_static_selectorELNS0_4arch9wavefront6targetE1EEEvT1_
		.amdhsa_group_segment_fixed_size 0
		.amdhsa_private_segment_fixed_size 0
		.amdhsa_kernarg_size 112
		.amdhsa_user_sgpr_count 6
		.amdhsa_user_sgpr_private_segment_buffer 1
		.amdhsa_user_sgpr_dispatch_ptr 0
		.amdhsa_user_sgpr_queue_ptr 0
		.amdhsa_user_sgpr_kernarg_segment_ptr 1
		.amdhsa_user_sgpr_dispatch_id 0
		.amdhsa_user_sgpr_flat_scratch_init 0
		.amdhsa_user_sgpr_kernarg_preload_length 0
		.amdhsa_user_sgpr_kernarg_preload_offset 0
		.amdhsa_user_sgpr_private_segment_size 0
		.amdhsa_uses_dynamic_stack 0
		.amdhsa_system_sgpr_private_segment_wavefront_offset 0
		.amdhsa_system_sgpr_workgroup_id_x 1
		.amdhsa_system_sgpr_workgroup_id_y 0
		.amdhsa_system_sgpr_workgroup_id_z 0
		.amdhsa_system_sgpr_workgroup_info 0
		.amdhsa_system_vgpr_workitem_id 0
		.amdhsa_next_free_vgpr 1
		.amdhsa_next_free_sgpr 0
		.amdhsa_accum_offset 4
		.amdhsa_reserve_vcc 0
		.amdhsa_reserve_flat_scratch 0
		.amdhsa_float_round_mode_32 0
		.amdhsa_float_round_mode_16_64 0
		.amdhsa_float_denorm_mode_32 3
		.amdhsa_float_denorm_mode_16_64 3
		.amdhsa_dx10_clamp 1
		.amdhsa_ieee_mode 1
		.amdhsa_fp16_overflow 0
		.amdhsa_tg_split 0
		.amdhsa_exception_fp_ieee_invalid_op 0
		.amdhsa_exception_fp_denorm_src 0
		.amdhsa_exception_fp_ieee_div_zero 0
		.amdhsa_exception_fp_ieee_overflow 0
		.amdhsa_exception_fp_ieee_underflow 0
		.amdhsa_exception_fp_ieee_inexact 0
		.amdhsa_exception_int_div_zero 0
	.end_amdhsa_kernel
	.section	.text._ZN7rocprim17ROCPRIM_400000_NS6detail17trampoline_kernelINS0_14default_configENS1_27scan_by_key_config_selectorIifEEZZNS1_16scan_by_key_implILNS1_25lookback_scan_determinismE0ELb0ES3_N6thrust23THRUST_200600_302600_NS6detail15normal_iteratorINS9_10device_ptrIiEEEENSB_INSC_IfEEEESG_fNS9_4plusIvEENS9_8equal_toIvEEfEE10hipError_tPvRmT2_T3_T4_T5_mT6_T7_P12ihipStream_tbENKUlT_T0_E_clISt17integral_constantIbLb1EES11_EEDaSW_SX_EUlSW_E_NS1_11comp_targetILNS1_3genE10ELNS1_11target_archE1200ELNS1_3gpuE4ELNS1_3repE0EEENS1_30default_config_static_selectorELNS0_4arch9wavefront6targetE1EEEvT1_,"axG",@progbits,_ZN7rocprim17ROCPRIM_400000_NS6detail17trampoline_kernelINS0_14default_configENS1_27scan_by_key_config_selectorIifEEZZNS1_16scan_by_key_implILNS1_25lookback_scan_determinismE0ELb0ES3_N6thrust23THRUST_200600_302600_NS6detail15normal_iteratorINS9_10device_ptrIiEEEENSB_INSC_IfEEEESG_fNS9_4plusIvEENS9_8equal_toIvEEfEE10hipError_tPvRmT2_T3_T4_T5_mT6_T7_P12ihipStream_tbENKUlT_T0_E_clISt17integral_constantIbLb1EES11_EEDaSW_SX_EUlSW_E_NS1_11comp_targetILNS1_3genE10ELNS1_11target_archE1200ELNS1_3gpuE4ELNS1_3repE0EEENS1_30default_config_static_selectorELNS0_4arch9wavefront6targetE1EEEvT1_,comdat
.Lfunc_end1147:
	.size	_ZN7rocprim17ROCPRIM_400000_NS6detail17trampoline_kernelINS0_14default_configENS1_27scan_by_key_config_selectorIifEEZZNS1_16scan_by_key_implILNS1_25lookback_scan_determinismE0ELb0ES3_N6thrust23THRUST_200600_302600_NS6detail15normal_iteratorINS9_10device_ptrIiEEEENSB_INSC_IfEEEESG_fNS9_4plusIvEENS9_8equal_toIvEEfEE10hipError_tPvRmT2_T3_T4_T5_mT6_T7_P12ihipStream_tbENKUlT_T0_E_clISt17integral_constantIbLb1EES11_EEDaSW_SX_EUlSW_E_NS1_11comp_targetILNS1_3genE10ELNS1_11target_archE1200ELNS1_3gpuE4ELNS1_3repE0EEENS1_30default_config_static_selectorELNS0_4arch9wavefront6targetE1EEEvT1_, .Lfunc_end1147-_ZN7rocprim17ROCPRIM_400000_NS6detail17trampoline_kernelINS0_14default_configENS1_27scan_by_key_config_selectorIifEEZZNS1_16scan_by_key_implILNS1_25lookback_scan_determinismE0ELb0ES3_N6thrust23THRUST_200600_302600_NS6detail15normal_iteratorINS9_10device_ptrIiEEEENSB_INSC_IfEEEESG_fNS9_4plusIvEENS9_8equal_toIvEEfEE10hipError_tPvRmT2_T3_T4_T5_mT6_T7_P12ihipStream_tbENKUlT_T0_E_clISt17integral_constantIbLb1EES11_EEDaSW_SX_EUlSW_E_NS1_11comp_targetILNS1_3genE10ELNS1_11target_archE1200ELNS1_3gpuE4ELNS1_3repE0EEENS1_30default_config_static_selectorELNS0_4arch9wavefront6targetE1EEEvT1_
                                        ; -- End function
	.section	.AMDGPU.csdata,"",@progbits
; Kernel info:
; codeLenInByte = 0
; NumSgprs: 4
; NumVgprs: 0
; NumAgprs: 0
; TotalNumVgprs: 0
; ScratchSize: 0
; MemoryBound: 0
; FloatMode: 240
; IeeeMode: 1
; LDSByteSize: 0 bytes/workgroup (compile time only)
; SGPRBlocks: 0
; VGPRBlocks: 0
; NumSGPRsForWavesPerEU: 4
; NumVGPRsForWavesPerEU: 1
; AccumOffset: 4
; Occupancy: 8
; WaveLimiterHint : 0
; COMPUTE_PGM_RSRC2:SCRATCH_EN: 0
; COMPUTE_PGM_RSRC2:USER_SGPR: 6
; COMPUTE_PGM_RSRC2:TRAP_HANDLER: 0
; COMPUTE_PGM_RSRC2:TGID_X_EN: 1
; COMPUTE_PGM_RSRC2:TGID_Y_EN: 0
; COMPUTE_PGM_RSRC2:TGID_Z_EN: 0
; COMPUTE_PGM_RSRC2:TIDIG_COMP_CNT: 0
; COMPUTE_PGM_RSRC3_GFX90A:ACCUM_OFFSET: 0
; COMPUTE_PGM_RSRC3_GFX90A:TG_SPLIT: 0
	.section	.text._ZN7rocprim17ROCPRIM_400000_NS6detail17trampoline_kernelINS0_14default_configENS1_27scan_by_key_config_selectorIifEEZZNS1_16scan_by_key_implILNS1_25lookback_scan_determinismE0ELb0ES3_N6thrust23THRUST_200600_302600_NS6detail15normal_iteratorINS9_10device_ptrIiEEEENSB_INSC_IfEEEESG_fNS9_4plusIvEENS9_8equal_toIvEEfEE10hipError_tPvRmT2_T3_T4_T5_mT6_T7_P12ihipStream_tbENKUlT_T0_E_clISt17integral_constantIbLb1EES11_EEDaSW_SX_EUlSW_E_NS1_11comp_targetILNS1_3genE9ELNS1_11target_archE1100ELNS1_3gpuE3ELNS1_3repE0EEENS1_30default_config_static_selectorELNS0_4arch9wavefront6targetE1EEEvT1_,"axG",@progbits,_ZN7rocprim17ROCPRIM_400000_NS6detail17trampoline_kernelINS0_14default_configENS1_27scan_by_key_config_selectorIifEEZZNS1_16scan_by_key_implILNS1_25lookback_scan_determinismE0ELb0ES3_N6thrust23THRUST_200600_302600_NS6detail15normal_iteratorINS9_10device_ptrIiEEEENSB_INSC_IfEEEESG_fNS9_4plusIvEENS9_8equal_toIvEEfEE10hipError_tPvRmT2_T3_T4_T5_mT6_T7_P12ihipStream_tbENKUlT_T0_E_clISt17integral_constantIbLb1EES11_EEDaSW_SX_EUlSW_E_NS1_11comp_targetILNS1_3genE9ELNS1_11target_archE1100ELNS1_3gpuE3ELNS1_3repE0EEENS1_30default_config_static_selectorELNS0_4arch9wavefront6targetE1EEEvT1_,comdat
	.protected	_ZN7rocprim17ROCPRIM_400000_NS6detail17trampoline_kernelINS0_14default_configENS1_27scan_by_key_config_selectorIifEEZZNS1_16scan_by_key_implILNS1_25lookback_scan_determinismE0ELb0ES3_N6thrust23THRUST_200600_302600_NS6detail15normal_iteratorINS9_10device_ptrIiEEEENSB_INSC_IfEEEESG_fNS9_4plusIvEENS9_8equal_toIvEEfEE10hipError_tPvRmT2_T3_T4_T5_mT6_T7_P12ihipStream_tbENKUlT_T0_E_clISt17integral_constantIbLb1EES11_EEDaSW_SX_EUlSW_E_NS1_11comp_targetILNS1_3genE9ELNS1_11target_archE1100ELNS1_3gpuE3ELNS1_3repE0EEENS1_30default_config_static_selectorELNS0_4arch9wavefront6targetE1EEEvT1_ ; -- Begin function _ZN7rocprim17ROCPRIM_400000_NS6detail17trampoline_kernelINS0_14default_configENS1_27scan_by_key_config_selectorIifEEZZNS1_16scan_by_key_implILNS1_25lookback_scan_determinismE0ELb0ES3_N6thrust23THRUST_200600_302600_NS6detail15normal_iteratorINS9_10device_ptrIiEEEENSB_INSC_IfEEEESG_fNS9_4plusIvEENS9_8equal_toIvEEfEE10hipError_tPvRmT2_T3_T4_T5_mT6_T7_P12ihipStream_tbENKUlT_T0_E_clISt17integral_constantIbLb1EES11_EEDaSW_SX_EUlSW_E_NS1_11comp_targetILNS1_3genE9ELNS1_11target_archE1100ELNS1_3gpuE3ELNS1_3repE0EEENS1_30default_config_static_selectorELNS0_4arch9wavefront6targetE1EEEvT1_
	.globl	_ZN7rocprim17ROCPRIM_400000_NS6detail17trampoline_kernelINS0_14default_configENS1_27scan_by_key_config_selectorIifEEZZNS1_16scan_by_key_implILNS1_25lookback_scan_determinismE0ELb0ES3_N6thrust23THRUST_200600_302600_NS6detail15normal_iteratorINS9_10device_ptrIiEEEENSB_INSC_IfEEEESG_fNS9_4plusIvEENS9_8equal_toIvEEfEE10hipError_tPvRmT2_T3_T4_T5_mT6_T7_P12ihipStream_tbENKUlT_T0_E_clISt17integral_constantIbLb1EES11_EEDaSW_SX_EUlSW_E_NS1_11comp_targetILNS1_3genE9ELNS1_11target_archE1100ELNS1_3gpuE3ELNS1_3repE0EEENS1_30default_config_static_selectorELNS0_4arch9wavefront6targetE1EEEvT1_
	.p2align	8
	.type	_ZN7rocprim17ROCPRIM_400000_NS6detail17trampoline_kernelINS0_14default_configENS1_27scan_by_key_config_selectorIifEEZZNS1_16scan_by_key_implILNS1_25lookback_scan_determinismE0ELb0ES3_N6thrust23THRUST_200600_302600_NS6detail15normal_iteratorINS9_10device_ptrIiEEEENSB_INSC_IfEEEESG_fNS9_4plusIvEENS9_8equal_toIvEEfEE10hipError_tPvRmT2_T3_T4_T5_mT6_T7_P12ihipStream_tbENKUlT_T0_E_clISt17integral_constantIbLb1EES11_EEDaSW_SX_EUlSW_E_NS1_11comp_targetILNS1_3genE9ELNS1_11target_archE1100ELNS1_3gpuE3ELNS1_3repE0EEENS1_30default_config_static_selectorELNS0_4arch9wavefront6targetE1EEEvT1_,@function
_ZN7rocprim17ROCPRIM_400000_NS6detail17trampoline_kernelINS0_14default_configENS1_27scan_by_key_config_selectorIifEEZZNS1_16scan_by_key_implILNS1_25lookback_scan_determinismE0ELb0ES3_N6thrust23THRUST_200600_302600_NS6detail15normal_iteratorINS9_10device_ptrIiEEEENSB_INSC_IfEEEESG_fNS9_4plusIvEENS9_8equal_toIvEEfEE10hipError_tPvRmT2_T3_T4_T5_mT6_T7_P12ihipStream_tbENKUlT_T0_E_clISt17integral_constantIbLb1EES11_EEDaSW_SX_EUlSW_E_NS1_11comp_targetILNS1_3genE9ELNS1_11target_archE1100ELNS1_3gpuE3ELNS1_3repE0EEENS1_30default_config_static_selectorELNS0_4arch9wavefront6targetE1EEEvT1_: ; @_ZN7rocprim17ROCPRIM_400000_NS6detail17trampoline_kernelINS0_14default_configENS1_27scan_by_key_config_selectorIifEEZZNS1_16scan_by_key_implILNS1_25lookback_scan_determinismE0ELb0ES3_N6thrust23THRUST_200600_302600_NS6detail15normal_iteratorINS9_10device_ptrIiEEEENSB_INSC_IfEEEESG_fNS9_4plusIvEENS9_8equal_toIvEEfEE10hipError_tPvRmT2_T3_T4_T5_mT6_T7_P12ihipStream_tbENKUlT_T0_E_clISt17integral_constantIbLb1EES11_EEDaSW_SX_EUlSW_E_NS1_11comp_targetILNS1_3genE9ELNS1_11target_archE1100ELNS1_3gpuE3ELNS1_3repE0EEENS1_30default_config_static_selectorELNS0_4arch9wavefront6targetE1EEEvT1_
; %bb.0:
	.section	.rodata,"a",@progbits
	.p2align	6, 0x0
	.amdhsa_kernel _ZN7rocprim17ROCPRIM_400000_NS6detail17trampoline_kernelINS0_14default_configENS1_27scan_by_key_config_selectorIifEEZZNS1_16scan_by_key_implILNS1_25lookback_scan_determinismE0ELb0ES3_N6thrust23THRUST_200600_302600_NS6detail15normal_iteratorINS9_10device_ptrIiEEEENSB_INSC_IfEEEESG_fNS9_4plusIvEENS9_8equal_toIvEEfEE10hipError_tPvRmT2_T3_T4_T5_mT6_T7_P12ihipStream_tbENKUlT_T0_E_clISt17integral_constantIbLb1EES11_EEDaSW_SX_EUlSW_E_NS1_11comp_targetILNS1_3genE9ELNS1_11target_archE1100ELNS1_3gpuE3ELNS1_3repE0EEENS1_30default_config_static_selectorELNS0_4arch9wavefront6targetE1EEEvT1_
		.amdhsa_group_segment_fixed_size 0
		.amdhsa_private_segment_fixed_size 0
		.amdhsa_kernarg_size 112
		.amdhsa_user_sgpr_count 6
		.amdhsa_user_sgpr_private_segment_buffer 1
		.amdhsa_user_sgpr_dispatch_ptr 0
		.amdhsa_user_sgpr_queue_ptr 0
		.amdhsa_user_sgpr_kernarg_segment_ptr 1
		.amdhsa_user_sgpr_dispatch_id 0
		.amdhsa_user_sgpr_flat_scratch_init 0
		.amdhsa_user_sgpr_kernarg_preload_length 0
		.amdhsa_user_sgpr_kernarg_preload_offset 0
		.amdhsa_user_sgpr_private_segment_size 0
		.amdhsa_uses_dynamic_stack 0
		.amdhsa_system_sgpr_private_segment_wavefront_offset 0
		.amdhsa_system_sgpr_workgroup_id_x 1
		.amdhsa_system_sgpr_workgroup_id_y 0
		.amdhsa_system_sgpr_workgroup_id_z 0
		.amdhsa_system_sgpr_workgroup_info 0
		.amdhsa_system_vgpr_workitem_id 0
		.amdhsa_next_free_vgpr 1
		.amdhsa_next_free_sgpr 0
		.amdhsa_accum_offset 4
		.amdhsa_reserve_vcc 0
		.amdhsa_reserve_flat_scratch 0
		.amdhsa_float_round_mode_32 0
		.amdhsa_float_round_mode_16_64 0
		.amdhsa_float_denorm_mode_32 3
		.amdhsa_float_denorm_mode_16_64 3
		.amdhsa_dx10_clamp 1
		.amdhsa_ieee_mode 1
		.amdhsa_fp16_overflow 0
		.amdhsa_tg_split 0
		.amdhsa_exception_fp_ieee_invalid_op 0
		.amdhsa_exception_fp_denorm_src 0
		.amdhsa_exception_fp_ieee_div_zero 0
		.amdhsa_exception_fp_ieee_overflow 0
		.amdhsa_exception_fp_ieee_underflow 0
		.amdhsa_exception_fp_ieee_inexact 0
		.amdhsa_exception_int_div_zero 0
	.end_amdhsa_kernel
	.section	.text._ZN7rocprim17ROCPRIM_400000_NS6detail17trampoline_kernelINS0_14default_configENS1_27scan_by_key_config_selectorIifEEZZNS1_16scan_by_key_implILNS1_25lookback_scan_determinismE0ELb0ES3_N6thrust23THRUST_200600_302600_NS6detail15normal_iteratorINS9_10device_ptrIiEEEENSB_INSC_IfEEEESG_fNS9_4plusIvEENS9_8equal_toIvEEfEE10hipError_tPvRmT2_T3_T4_T5_mT6_T7_P12ihipStream_tbENKUlT_T0_E_clISt17integral_constantIbLb1EES11_EEDaSW_SX_EUlSW_E_NS1_11comp_targetILNS1_3genE9ELNS1_11target_archE1100ELNS1_3gpuE3ELNS1_3repE0EEENS1_30default_config_static_selectorELNS0_4arch9wavefront6targetE1EEEvT1_,"axG",@progbits,_ZN7rocprim17ROCPRIM_400000_NS6detail17trampoline_kernelINS0_14default_configENS1_27scan_by_key_config_selectorIifEEZZNS1_16scan_by_key_implILNS1_25lookback_scan_determinismE0ELb0ES3_N6thrust23THRUST_200600_302600_NS6detail15normal_iteratorINS9_10device_ptrIiEEEENSB_INSC_IfEEEESG_fNS9_4plusIvEENS9_8equal_toIvEEfEE10hipError_tPvRmT2_T3_T4_T5_mT6_T7_P12ihipStream_tbENKUlT_T0_E_clISt17integral_constantIbLb1EES11_EEDaSW_SX_EUlSW_E_NS1_11comp_targetILNS1_3genE9ELNS1_11target_archE1100ELNS1_3gpuE3ELNS1_3repE0EEENS1_30default_config_static_selectorELNS0_4arch9wavefront6targetE1EEEvT1_,comdat
.Lfunc_end1148:
	.size	_ZN7rocprim17ROCPRIM_400000_NS6detail17trampoline_kernelINS0_14default_configENS1_27scan_by_key_config_selectorIifEEZZNS1_16scan_by_key_implILNS1_25lookback_scan_determinismE0ELb0ES3_N6thrust23THRUST_200600_302600_NS6detail15normal_iteratorINS9_10device_ptrIiEEEENSB_INSC_IfEEEESG_fNS9_4plusIvEENS9_8equal_toIvEEfEE10hipError_tPvRmT2_T3_T4_T5_mT6_T7_P12ihipStream_tbENKUlT_T0_E_clISt17integral_constantIbLb1EES11_EEDaSW_SX_EUlSW_E_NS1_11comp_targetILNS1_3genE9ELNS1_11target_archE1100ELNS1_3gpuE3ELNS1_3repE0EEENS1_30default_config_static_selectorELNS0_4arch9wavefront6targetE1EEEvT1_, .Lfunc_end1148-_ZN7rocprim17ROCPRIM_400000_NS6detail17trampoline_kernelINS0_14default_configENS1_27scan_by_key_config_selectorIifEEZZNS1_16scan_by_key_implILNS1_25lookback_scan_determinismE0ELb0ES3_N6thrust23THRUST_200600_302600_NS6detail15normal_iteratorINS9_10device_ptrIiEEEENSB_INSC_IfEEEESG_fNS9_4plusIvEENS9_8equal_toIvEEfEE10hipError_tPvRmT2_T3_T4_T5_mT6_T7_P12ihipStream_tbENKUlT_T0_E_clISt17integral_constantIbLb1EES11_EEDaSW_SX_EUlSW_E_NS1_11comp_targetILNS1_3genE9ELNS1_11target_archE1100ELNS1_3gpuE3ELNS1_3repE0EEENS1_30default_config_static_selectorELNS0_4arch9wavefront6targetE1EEEvT1_
                                        ; -- End function
	.section	.AMDGPU.csdata,"",@progbits
; Kernel info:
; codeLenInByte = 0
; NumSgprs: 4
; NumVgprs: 0
; NumAgprs: 0
; TotalNumVgprs: 0
; ScratchSize: 0
; MemoryBound: 0
; FloatMode: 240
; IeeeMode: 1
; LDSByteSize: 0 bytes/workgroup (compile time only)
; SGPRBlocks: 0
; VGPRBlocks: 0
; NumSGPRsForWavesPerEU: 4
; NumVGPRsForWavesPerEU: 1
; AccumOffset: 4
; Occupancy: 8
; WaveLimiterHint : 0
; COMPUTE_PGM_RSRC2:SCRATCH_EN: 0
; COMPUTE_PGM_RSRC2:USER_SGPR: 6
; COMPUTE_PGM_RSRC2:TRAP_HANDLER: 0
; COMPUTE_PGM_RSRC2:TGID_X_EN: 1
; COMPUTE_PGM_RSRC2:TGID_Y_EN: 0
; COMPUTE_PGM_RSRC2:TGID_Z_EN: 0
; COMPUTE_PGM_RSRC2:TIDIG_COMP_CNT: 0
; COMPUTE_PGM_RSRC3_GFX90A:ACCUM_OFFSET: 0
; COMPUTE_PGM_RSRC3_GFX90A:TG_SPLIT: 0
	.section	.text._ZN7rocprim17ROCPRIM_400000_NS6detail17trampoline_kernelINS0_14default_configENS1_27scan_by_key_config_selectorIifEEZZNS1_16scan_by_key_implILNS1_25lookback_scan_determinismE0ELb0ES3_N6thrust23THRUST_200600_302600_NS6detail15normal_iteratorINS9_10device_ptrIiEEEENSB_INSC_IfEEEESG_fNS9_4plusIvEENS9_8equal_toIvEEfEE10hipError_tPvRmT2_T3_T4_T5_mT6_T7_P12ihipStream_tbENKUlT_T0_E_clISt17integral_constantIbLb1EES11_EEDaSW_SX_EUlSW_E_NS1_11comp_targetILNS1_3genE8ELNS1_11target_archE1030ELNS1_3gpuE2ELNS1_3repE0EEENS1_30default_config_static_selectorELNS0_4arch9wavefront6targetE1EEEvT1_,"axG",@progbits,_ZN7rocprim17ROCPRIM_400000_NS6detail17trampoline_kernelINS0_14default_configENS1_27scan_by_key_config_selectorIifEEZZNS1_16scan_by_key_implILNS1_25lookback_scan_determinismE0ELb0ES3_N6thrust23THRUST_200600_302600_NS6detail15normal_iteratorINS9_10device_ptrIiEEEENSB_INSC_IfEEEESG_fNS9_4plusIvEENS9_8equal_toIvEEfEE10hipError_tPvRmT2_T3_T4_T5_mT6_T7_P12ihipStream_tbENKUlT_T0_E_clISt17integral_constantIbLb1EES11_EEDaSW_SX_EUlSW_E_NS1_11comp_targetILNS1_3genE8ELNS1_11target_archE1030ELNS1_3gpuE2ELNS1_3repE0EEENS1_30default_config_static_selectorELNS0_4arch9wavefront6targetE1EEEvT1_,comdat
	.protected	_ZN7rocprim17ROCPRIM_400000_NS6detail17trampoline_kernelINS0_14default_configENS1_27scan_by_key_config_selectorIifEEZZNS1_16scan_by_key_implILNS1_25lookback_scan_determinismE0ELb0ES3_N6thrust23THRUST_200600_302600_NS6detail15normal_iteratorINS9_10device_ptrIiEEEENSB_INSC_IfEEEESG_fNS9_4plusIvEENS9_8equal_toIvEEfEE10hipError_tPvRmT2_T3_T4_T5_mT6_T7_P12ihipStream_tbENKUlT_T0_E_clISt17integral_constantIbLb1EES11_EEDaSW_SX_EUlSW_E_NS1_11comp_targetILNS1_3genE8ELNS1_11target_archE1030ELNS1_3gpuE2ELNS1_3repE0EEENS1_30default_config_static_selectorELNS0_4arch9wavefront6targetE1EEEvT1_ ; -- Begin function _ZN7rocprim17ROCPRIM_400000_NS6detail17trampoline_kernelINS0_14default_configENS1_27scan_by_key_config_selectorIifEEZZNS1_16scan_by_key_implILNS1_25lookback_scan_determinismE0ELb0ES3_N6thrust23THRUST_200600_302600_NS6detail15normal_iteratorINS9_10device_ptrIiEEEENSB_INSC_IfEEEESG_fNS9_4plusIvEENS9_8equal_toIvEEfEE10hipError_tPvRmT2_T3_T4_T5_mT6_T7_P12ihipStream_tbENKUlT_T0_E_clISt17integral_constantIbLb1EES11_EEDaSW_SX_EUlSW_E_NS1_11comp_targetILNS1_3genE8ELNS1_11target_archE1030ELNS1_3gpuE2ELNS1_3repE0EEENS1_30default_config_static_selectorELNS0_4arch9wavefront6targetE1EEEvT1_
	.globl	_ZN7rocprim17ROCPRIM_400000_NS6detail17trampoline_kernelINS0_14default_configENS1_27scan_by_key_config_selectorIifEEZZNS1_16scan_by_key_implILNS1_25lookback_scan_determinismE0ELb0ES3_N6thrust23THRUST_200600_302600_NS6detail15normal_iteratorINS9_10device_ptrIiEEEENSB_INSC_IfEEEESG_fNS9_4plusIvEENS9_8equal_toIvEEfEE10hipError_tPvRmT2_T3_T4_T5_mT6_T7_P12ihipStream_tbENKUlT_T0_E_clISt17integral_constantIbLb1EES11_EEDaSW_SX_EUlSW_E_NS1_11comp_targetILNS1_3genE8ELNS1_11target_archE1030ELNS1_3gpuE2ELNS1_3repE0EEENS1_30default_config_static_selectorELNS0_4arch9wavefront6targetE1EEEvT1_
	.p2align	8
	.type	_ZN7rocprim17ROCPRIM_400000_NS6detail17trampoline_kernelINS0_14default_configENS1_27scan_by_key_config_selectorIifEEZZNS1_16scan_by_key_implILNS1_25lookback_scan_determinismE0ELb0ES3_N6thrust23THRUST_200600_302600_NS6detail15normal_iteratorINS9_10device_ptrIiEEEENSB_INSC_IfEEEESG_fNS9_4plusIvEENS9_8equal_toIvEEfEE10hipError_tPvRmT2_T3_T4_T5_mT6_T7_P12ihipStream_tbENKUlT_T0_E_clISt17integral_constantIbLb1EES11_EEDaSW_SX_EUlSW_E_NS1_11comp_targetILNS1_3genE8ELNS1_11target_archE1030ELNS1_3gpuE2ELNS1_3repE0EEENS1_30default_config_static_selectorELNS0_4arch9wavefront6targetE1EEEvT1_,@function
_ZN7rocprim17ROCPRIM_400000_NS6detail17trampoline_kernelINS0_14default_configENS1_27scan_by_key_config_selectorIifEEZZNS1_16scan_by_key_implILNS1_25lookback_scan_determinismE0ELb0ES3_N6thrust23THRUST_200600_302600_NS6detail15normal_iteratorINS9_10device_ptrIiEEEENSB_INSC_IfEEEESG_fNS9_4plusIvEENS9_8equal_toIvEEfEE10hipError_tPvRmT2_T3_T4_T5_mT6_T7_P12ihipStream_tbENKUlT_T0_E_clISt17integral_constantIbLb1EES11_EEDaSW_SX_EUlSW_E_NS1_11comp_targetILNS1_3genE8ELNS1_11target_archE1030ELNS1_3gpuE2ELNS1_3repE0EEENS1_30default_config_static_selectorELNS0_4arch9wavefront6targetE1EEEvT1_: ; @_ZN7rocprim17ROCPRIM_400000_NS6detail17trampoline_kernelINS0_14default_configENS1_27scan_by_key_config_selectorIifEEZZNS1_16scan_by_key_implILNS1_25lookback_scan_determinismE0ELb0ES3_N6thrust23THRUST_200600_302600_NS6detail15normal_iteratorINS9_10device_ptrIiEEEENSB_INSC_IfEEEESG_fNS9_4plusIvEENS9_8equal_toIvEEfEE10hipError_tPvRmT2_T3_T4_T5_mT6_T7_P12ihipStream_tbENKUlT_T0_E_clISt17integral_constantIbLb1EES11_EEDaSW_SX_EUlSW_E_NS1_11comp_targetILNS1_3genE8ELNS1_11target_archE1030ELNS1_3gpuE2ELNS1_3repE0EEENS1_30default_config_static_selectorELNS0_4arch9wavefront6targetE1EEEvT1_
; %bb.0:
	.section	.rodata,"a",@progbits
	.p2align	6, 0x0
	.amdhsa_kernel _ZN7rocprim17ROCPRIM_400000_NS6detail17trampoline_kernelINS0_14default_configENS1_27scan_by_key_config_selectorIifEEZZNS1_16scan_by_key_implILNS1_25lookback_scan_determinismE0ELb0ES3_N6thrust23THRUST_200600_302600_NS6detail15normal_iteratorINS9_10device_ptrIiEEEENSB_INSC_IfEEEESG_fNS9_4plusIvEENS9_8equal_toIvEEfEE10hipError_tPvRmT2_T3_T4_T5_mT6_T7_P12ihipStream_tbENKUlT_T0_E_clISt17integral_constantIbLb1EES11_EEDaSW_SX_EUlSW_E_NS1_11comp_targetILNS1_3genE8ELNS1_11target_archE1030ELNS1_3gpuE2ELNS1_3repE0EEENS1_30default_config_static_selectorELNS0_4arch9wavefront6targetE1EEEvT1_
		.amdhsa_group_segment_fixed_size 0
		.amdhsa_private_segment_fixed_size 0
		.amdhsa_kernarg_size 112
		.amdhsa_user_sgpr_count 6
		.amdhsa_user_sgpr_private_segment_buffer 1
		.amdhsa_user_sgpr_dispatch_ptr 0
		.amdhsa_user_sgpr_queue_ptr 0
		.amdhsa_user_sgpr_kernarg_segment_ptr 1
		.amdhsa_user_sgpr_dispatch_id 0
		.amdhsa_user_sgpr_flat_scratch_init 0
		.amdhsa_user_sgpr_kernarg_preload_length 0
		.amdhsa_user_sgpr_kernarg_preload_offset 0
		.amdhsa_user_sgpr_private_segment_size 0
		.amdhsa_uses_dynamic_stack 0
		.amdhsa_system_sgpr_private_segment_wavefront_offset 0
		.amdhsa_system_sgpr_workgroup_id_x 1
		.amdhsa_system_sgpr_workgroup_id_y 0
		.amdhsa_system_sgpr_workgroup_id_z 0
		.amdhsa_system_sgpr_workgroup_info 0
		.amdhsa_system_vgpr_workitem_id 0
		.amdhsa_next_free_vgpr 1
		.amdhsa_next_free_sgpr 0
		.amdhsa_accum_offset 4
		.amdhsa_reserve_vcc 0
		.amdhsa_reserve_flat_scratch 0
		.amdhsa_float_round_mode_32 0
		.amdhsa_float_round_mode_16_64 0
		.amdhsa_float_denorm_mode_32 3
		.amdhsa_float_denorm_mode_16_64 3
		.amdhsa_dx10_clamp 1
		.amdhsa_ieee_mode 1
		.amdhsa_fp16_overflow 0
		.amdhsa_tg_split 0
		.amdhsa_exception_fp_ieee_invalid_op 0
		.amdhsa_exception_fp_denorm_src 0
		.amdhsa_exception_fp_ieee_div_zero 0
		.amdhsa_exception_fp_ieee_overflow 0
		.amdhsa_exception_fp_ieee_underflow 0
		.amdhsa_exception_fp_ieee_inexact 0
		.amdhsa_exception_int_div_zero 0
	.end_amdhsa_kernel
	.section	.text._ZN7rocprim17ROCPRIM_400000_NS6detail17trampoline_kernelINS0_14default_configENS1_27scan_by_key_config_selectorIifEEZZNS1_16scan_by_key_implILNS1_25lookback_scan_determinismE0ELb0ES3_N6thrust23THRUST_200600_302600_NS6detail15normal_iteratorINS9_10device_ptrIiEEEENSB_INSC_IfEEEESG_fNS9_4plusIvEENS9_8equal_toIvEEfEE10hipError_tPvRmT2_T3_T4_T5_mT6_T7_P12ihipStream_tbENKUlT_T0_E_clISt17integral_constantIbLb1EES11_EEDaSW_SX_EUlSW_E_NS1_11comp_targetILNS1_3genE8ELNS1_11target_archE1030ELNS1_3gpuE2ELNS1_3repE0EEENS1_30default_config_static_selectorELNS0_4arch9wavefront6targetE1EEEvT1_,"axG",@progbits,_ZN7rocprim17ROCPRIM_400000_NS6detail17trampoline_kernelINS0_14default_configENS1_27scan_by_key_config_selectorIifEEZZNS1_16scan_by_key_implILNS1_25lookback_scan_determinismE0ELb0ES3_N6thrust23THRUST_200600_302600_NS6detail15normal_iteratorINS9_10device_ptrIiEEEENSB_INSC_IfEEEESG_fNS9_4plusIvEENS9_8equal_toIvEEfEE10hipError_tPvRmT2_T3_T4_T5_mT6_T7_P12ihipStream_tbENKUlT_T0_E_clISt17integral_constantIbLb1EES11_EEDaSW_SX_EUlSW_E_NS1_11comp_targetILNS1_3genE8ELNS1_11target_archE1030ELNS1_3gpuE2ELNS1_3repE0EEENS1_30default_config_static_selectorELNS0_4arch9wavefront6targetE1EEEvT1_,comdat
.Lfunc_end1149:
	.size	_ZN7rocprim17ROCPRIM_400000_NS6detail17trampoline_kernelINS0_14default_configENS1_27scan_by_key_config_selectorIifEEZZNS1_16scan_by_key_implILNS1_25lookback_scan_determinismE0ELb0ES3_N6thrust23THRUST_200600_302600_NS6detail15normal_iteratorINS9_10device_ptrIiEEEENSB_INSC_IfEEEESG_fNS9_4plusIvEENS9_8equal_toIvEEfEE10hipError_tPvRmT2_T3_T4_T5_mT6_T7_P12ihipStream_tbENKUlT_T0_E_clISt17integral_constantIbLb1EES11_EEDaSW_SX_EUlSW_E_NS1_11comp_targetILNS1_3genE8ELNS1_11target_archE1030ELNS1_3gpuE2ELNS1_3repE0EEENS1_30default_config_static_selectorELNS0_4arch9wavefront6targetE1EEEvT1_, .Lfunc_end1149-_ZN7rocprim17ROCPRIM_400000_NS6detail17trampoline_kernelINS0_14default_configENS1_27scan_by_key_config_selectorIifEEZZNS1_16scan_by_key_implILNS1_25lookback_scan_determinismE0ELb0ES3_N6thrust23THRUST_200600_302600_NS6detail15normal_iteratorINS9_10device_ptrIiEEEENSB_INSC_IfEEEESG_fNS9_4plusIvEENS9_8equal_toIvEEfEE10hipError_tPvRmT2_T3_T4_T5_mT6_T7_P12ihipStream_tbENKUlT_T0_E_clISt17integral_constantIbLb1EES11_EEDaSW_SX_EUlSW_E_NS1_11comp_targetILNS1_3genE8ELNS1_11target_archE1030ELNS1_3gpuE2ELNS1_3repE0EEENS1_30default_config_static_selectorELNS0_4arch9wavefront6targetE1EEEvT1_
                                        ; -- End function
	.section	.AMDGPU.csdata,"",@progbits
; Kernel info:
; codeLenInByte = 0
; NumSgprs: 4
; NumVgprs: 0
; NumAgprs: 0
; TotalNumVgprs: 0
; ScratchSize: 0
; MemoryBound: 0
; FloatMode: 240
; IeeeMode: 1
; LDSByteSize: 0 bytes/workgroup (compile time only)
; SGPRBlocks: 0
; VGPRBlocks: 0
; NumSGPRsForWavesPerEU: 4
; NumVGPRsForWavesPerEU: 1
; AccumOffset: 4
; Occupancy: 8
; WaveLimiterHint : 0
; COMPUTE_PGM_RSRC2:SCRATCH_EN: 0
; COMPUTE_PGM_RSRC2:USER_SGPR: 6
; COMPUTE_PGM_RSRC2:TRAP_HANDLER: 0
; COMPUTE_PGM_RSRC2:TGID_X_EN: 1
; COMPUTE_PGM_RSRC2:TGID_Y_EN: 0
; COMPUTE_PGM_RSRC2:TGID_Z_EN: 0
; COMPUTE_PGM_RSRC2:TIDIG_COMP_CNT: 0
; COMPUTE_PGM_RSRC3_GFX90A:ACCUM_OFFSET: 0
; COMPUTE_PGM_RSRC3_GFX90A:TG_SPLIT: 0
	.section	.text._ZN7rocprim17ROCPRIM_400000_NS6detail30init_device_scan_by_key_kernelINS1_19lookback_scan_stateINS0_5tupleIJfbEEELb1ELb1EEEN6thrust23THRUST_200600_302600_NS6detail15normal_iteratorINS8_10device_ptrIiEEEEjNS1_16block_id_wrapperIjLb0EEEEEvT_jjPNSG_10value_typeET0_PNSt15iterator_traitsISJ_E10value_typeEmT1_T2_,"axG",@progbits,_ZN7rocprim17ROCPRIM_400000_NS6detail30init_device_scan_by_key_kernelINS1_19lookback_scan_stateINS0_5tupleIJfbEEELb1ELb1EEEN6thrust23THRUST_200600_302600_NS6detail15normal_iteratorINS8_10device_ptrIiEEEEjNS1_16block_id_wrapperIjLb0EEEEEvT_jjPNSG_10value_typeET0_PNSt15iterator_traitsISJ_E10value_typeEmT1_T2_,comdat
	.protected	_ZN7rocprim17ROCPRIM_400000_NS6detail30init_device_scan_by_key_kernelINS1_19lookback_scan_stateINS0_5tupleIJfbEEELb1ELb1EEEN6thrust23THRUST_200600_302600_NS6detail15normal_iteratorINS8_10device_ptrIiEEEEjNS1_16block_id_wrapperIjLb0EEEEEvT_jjPNSG_10value_typeET0_PNSt15iterator_traitsISJ_E10value_typeEmT1_T2_ ; -- Begin function _ZN7rocprim17ROCPRIM_400000_NS6detail30init_device_scan_by_key_kernelINS1_19lookback_scan_stateINS0_5tupleIJfbEEELb1ELb1EEEN6thrust23THRUST_200600_302600_NS6detail15normal_iteratorINS8_10device_ptrIiEEEEjNS1_16block_id_wrapperIjLb0EEEEEvT_jjPNSG_10value_typeET0_PNSt15iterator_traitsISJ_E10value_typeEmT1_T2_
	.globl	_ZN7rocprim17ROCPRIM_400000_NS6detail30init_device_scan_by_key_kernelINS1_19lookback_scan_stateINS0_5tupleIJfbEEELb1ELb1EEEN6thrust23THRUST_200600_302600_NS6detail15normal_iteratorINS8_10device_ptrIiEEEEjNS1_16block_id_wrapperIjLb0EEEEEvT_jjPNSG_10value_typeET0_PNSt15iterator_traitsISJ_E10value_typeEmT1_T2_
	.p2align	8
	.type	_ZN7rocprim17ROCPRIM_400000_NS6detail30init_device_scan_by_key_kernelINS1_19lookback_scan_stateINS0_5tupleIJfbEEELb1ELb1EEEN6thrust23THRUST_200600_302600_NS6detail15normal_iteratorINS8_10device_ptrIiEEEEjNS1_16block_id_wrapperIjLb0EEEEEvT_jjPNSG_10value_typeET0_PNSt15iterator_traitsISJ_E10value_typeEmT1_T2_,@function
_ZN7rocprim17ROCPRIM_400000_NS6detail30init_device_scan_by_key_kernelINS1_19lookback_scan_stateINS0_5tupleIJfbEEELb1ELb1EEEN6thrust23THRUST_200600_302600_NS6detail15normal_iteratorINS8_10device_ptrIiEEEEjNS1_16block_id_wrapperIjLb0EEEEEvT_jjPNSG_10value_typeET0_PNSt15iterator_traitsISJ_E10value_typeEmT1_T2_: ; @_ZN7rocprim17ROCPRIM_400000_NS6detail30init_device_scan_by_key_kernelINS1_19lookback_scan_stateINS0_5tupleIJfbEEELb1ELb1EEEN6thrust23THRUST_200600_302600_NS6detail15normal_iteratorINS8_10device_ptrIiEEEEjNS1_16block_id_wrapperIjLb0EEEEEvT_jjPNSG_10value_typeET0_PNSt15iterator_traitsISJ_E10value_typeEmT1_T2_
; %bb.0:
	s_load_dword s0, s[4:5], 0x44
	s_load_dwordx8 s[8:15], s[4:5], 0x0
	s_load_dword s18, s[4:5], 0x38
	s_waitcnt lgkmcnt(0)
	s_and_b32 s19, s0, 0xffff
	s_mul_i32 s6, s6, s19
	s_cmp_eq_u64 s[12:13], 0
	v_add_u32_e32 v4, s6, v0
	s_cbranch_scc1 .LBB1150_10
; %bb.1:
	s_cmp_lt_u32 s11, s10
	s_cselect_b32 s0, s11, 0
	s_mov_b32 s3, 0
	v_cmp_eq_u32_e32 vcc, s0, v4
	s_and_saveexec_b64 s[0:1], vcc
	s_cbranch_execz .LBB1150_9
; %bb.2:
	s_add_i32 s2, s11, 64
	s_lshl_b64 s[2:3], s[2:3], 4
	s_add_u32 s16, s8, s2
	s_addc_u32 s17, s9, s3
	v_pk_mov_b32 v[0:1], s[16:17], s[16:17] op_sel:[0,1]
	;;#ASMSTART
	global_load_dwordx4 v[0:3], v[0:1] off glc	
s_waitcnt vmcnt(0)
	;;#ASMEND
	v_mov_b32_e32 v7, 0
	v_and_b32_e32 v6, 0xff, v2
	s_mov_b64 s[6:7], 0
	v_cmp_eq_u64_e32 vcc, 0, v[6:7]
	s_and_saveexec_b64 s[2:3], vcc
	s_cbranch_execz .LBB1150_8
; %bb.3:
	s_mov_b32 s11, 1
	v_pk_mov_b32 v[8:9], s[16:17], s[16:17] op_sel:[0,1]
.LBB1150_4:                             ; =>This Loop Header: Depth=1
                                        ;     Child Loop BB1150_5 Depth 2
	s_max_u32 s16, s11, 1
.LBB1150_5:                             ;   Parent Loop BB1150_4 Depth=1
                                        ; =>  This Inner Loop Header: Depth=2
	s_add_i32 s16, s16, -1
	s_cmp_eq_u32 s16, 0
	s_sleep 1
	s_cbranch_scc0 .LBB1150_5
; %bb.6:                                ;   in Loop: Header=BB1150_4 Depth=1
	s_cmp_lt_u32 s11, 32
	s_cselect_b64 s[16:17], -1, 0
	s_cmp_lg_u64 s[16:17], 0
	;;#ASMSTART
	global_load_dwordx4 v[0:3], v[8:9] off glc	
s_waitcnt vmcnt(0)
	;;#ASMEND
	v_and_b32_e32 v6, 0xff, v2
	s_addc_u32 s11, s11, 0
	v_cmp_ne_u64_e32 vcc, 0, v[6:7]
	s_or_b64 s[6:7], vcc, s[6:7]
	s_andn2_b64 exec, exec, s[6:7]
	s_cbranch_execnz .LBB1150_4
; %bb.7:
	s_or_b64 exec, exec, s[6:7]
.LBB1150_8:
	s_or_b64 exec, exec, s[2:3]
	v_mov_b32_e32 v2, 0
	global_store_dword v2, v0, s[12:13]
	global_store_byte v2, v1, s[12:13] offset:4
.LBB1150_9:
	s_or_b64 exec, exec, s[0:1]
.LBB1150_10:
	v_cmp_gt_u32_e32 vcc, s10, v4
	s_and_saveexec_b64 s[0:1], vcc
	s_cbranch_execz .LBB1150_12
; %bb.11:
	v_add_u32_e32 v0, 64, v4
	v_mov_b32_e32 v1, 0
	v_lshlrev_b64 v[2:3], 4, v[0:1]
	v_mov_b32_e32 v0, s9
	v_add_co_u32_e32 v6, vcc, s8, v2
	v_addc_co_u32_e32 v7, vcc, v0, v3, vcc
	v_mov_b32_e32 v0, v1
	v_mov_b32_e32 v2, v1
	v_mov_b32_e32 v3, v1
	global_store_dwordx4 v[6:7], v[0:3], off
.LBB1150_12:
	s_or_b64 exec, exec, s[0:1]
	v_cmp_gt_u32_e32 vcc, 64, v4
	v_mov_b32_e32 v5, 0
	s_and_saveexec_b64 s[0:1], vcc
	s_cbranch_execz .LBB1150_14
; %bb.13:
	v_lshlrev_b64 v[0:1], 4, v[4:5]
	v_mov_b32_e32 v2, s9
	v_add_co_u32_e32 v6, vcc, s8, v0
	v_addc_co_u32_e32 v7, vcc, v2, v1, vcc
	v_mov_b32_e32 v2, 0xff
	v_mov_b32_e32 v0, v5
	;; [unrolled: 1-line block ×4, first 2 shown]
	global_store_dwordx4 v[6:7], v[0:3], off
.LBB1150_14:
	s_or_b64 exec, exec, s[0:1]
	s_load_dwordx2 s[0:1], s[4:5], 0x28
	s_waitcnt lgkmcnt(0)
	v_cmp_gt_u64_e32 vcc, s[0:1], v[4:5]
	s_and_saveexec_b64 s[2:3], vcc
	s_cbranch_execz .LBB1150_17
; %bb.15:
	s_load_dword s10, s[4:5], 0x30
	s_load_dwordx2 s[6:7], s[4:5], 0x20
	s_mov_b32 s5, 0
	s_mov_b32 s3, s5
	s_mul_i32 s2, s18, s19
	s_waitcnt lgkmcnt(0)
	s_add_i32 s4, s10, -1
	s_lshl_b64 s[4:5], s[4:5], 2
	v_mad_u64_u32 v[0:1], s[8:9], s10, v4, 0
	s_add_u32 s4, s14, s4
	v_lshlrev_b64 v[0:1], 2, v[0:1]
	s_addc_u32 s5, s15, s5
	v_mov_b32_e32 v2, s5
	v_add_co_u32_e32 v0, vcc, s4, v0
	v_addc_co_u32_e32 v1, vcc, v2, v1, vcc
	s_mul_hi_u32 s5, s10, s2
	s_mul_i32 s4, s10, s2
	v_lshlrev_b64 v[2:3], 2, v[4:5]
	s_lshl_b64 s[4:5], s[4:5], 2
	v_mov_b32_e32 v6, s7
	v_add_co_u32_e32 v2, vcc, s6, v2
	s_lshl_b64 s[6:7], s[2:3], 2
	v_addc_co_u32_e32 v3, vcc, v6, v3, vcc
	s_mov_b64 s[8:9], 0
	v_mov_b32_e32 v6, s3
	v_mov_b32_e32 v7, s5
	;; [unrolled: 1-line block ×3, first 2 shown]
.LBB1150_16:                            ; =>This Inner Loop Header: Depth=1
	global_load_dword v9, v[0:1], off
	v_add_co_u32_e32 v4, vcc, s2, v4
	v_addc_co_u32_e32 v5, vcc, v5, v6, vcc
	v_add_co_u32_e32 v0, vcc, s4, v0
	v_addc_co_u32_e32 v1, vcc, v1, v7, vcc
	v_cmp_le_u64_e32 vcc, s[0:1], v[4:5]
	s_or_b64 s[8:9], vcc, s[8:9]
	s_waitcnt vmcnt(0)
	global_store_dword v[2:3], v9, off
	v_add_co_u32_e32 v2, vcc, s6, v2
	v_addc_co_u32_e32 v3, vcc, v3, v8, vcc
	s_andn2_b64 exec, exec, s[8:9]
	s_cbranch_execnz .LBB1150_16
.LBB1150_17:
	s_endpgm
	.section	.rodata,"a",@progbits
	.p2align	6, 0x0
	.amdhsa_kernel _ZN7rocprim17ROCPRIM_400000_NS6detail30init_device_scan_by_key_kernelINS1_19lookback_scan_stateINS0_5tupleIJfbEEELb1ELb1EEEN6thrust23THRUST_200600_302600_NS6detail15normal_iteratorINS8_10device_ptrIiEEEEjNS1_16block_id_wrapperIjLb0EEEEEvT_jjPNSG_10value_typeET0_PNSt15iterator_traitsISJ_E10value_typeEmT1_T2_
		.amdhsa_group_segment_fixed_size 0
		.amdhsa_private_segment_fixed_size 0
		.amdhsa_kernarg_size 312
		.amdhsa_user_sgpr_count 6
		.amdhsa_user_sgpr_private_segment_buffer 1
		.amdhsa_user_sgpr_dispatch_ptr 0
		.amdhsa_user_sgpr_queue_ptr 0
		.amdhsa_user_sgpr_kernarg_segment_ptr 1
		.amdhsa_user_sgpr_dispatch_id 0
		.amdhsa_user_sgpr_flat_scratch_init 0
		.amdhsa_user_sgpr_kernarg_preload_length 0
		.amdhsa_user_sgpr_kernarg_preload_offset 0
		.amdhsa_user_sgpr_private_segment_size 0
		.amdhsa_uses_dynamic_stack 0
		.amdhsa_system_sgpr_private_segment_wavefront_offset 0
		.amdhsa_system_sgpr_workgroup_id_x 1
		.amdhsa_system_sgpr_workgroup_id_y 0
		.amdhsa_system_sgpr_workgroup_id_z 0
		.amdhsa_system_sgpr_workgroup_info 0
		.amdhsa_system_vgpr_workitem_id 0
		.amdhsa_next_free_vgpr 10
		.amdhsa_next_free_sgpr 20
		.amdhsa_accum_offset 12
		.amdhsa_reserve_vcc 1
		.amdhsa_reserve_flat_scratch 0
		.amdhsa_float_round_mode_32 0
		.amdhsa_float_round_mode_16_64 0
		.amdhsa_float_denorm_mode_32 3
		.amdhsa_float_denorm_mode_16_64 3
		.amdhsa_dx10_clamp 1
		.amdhsa_ieee_mode 1
		.amdhsa_fp16_overflow 0
		.amdhsa_tg_split 0
		.amdhsa_exception_fp_ieee_invalid_op 0
		.amdhsa_exception_fp_denorm_src 0
		.amdhsa_exception_fp_ieee_div_zero 0
		.amdhsa_exception_fp_ieee_overflow 0
		.amdhsa_exception_fp_ieee_underflow 0
		.amdhsa_exception_fp_ieee_inexact 0
		.amdhsa_exception_int_div_zero 0
	.end_amdhsa_kernel
	.section	.text._ZN7rocprim17ROCPRIM_400000_NS6detail30init_device_scan_by_key_kernelINS1_19lookback_scan_stateINS0_5tupleIJfbEEELb1ELb1EEEN6thrust23THRUST_200600_302600_NS6detail15normal_iteratorINS8_10device_ptrIiEEEEjNS1_16block_id_wrapperIjLb0EEEEEvT_jjPNSG_10value_typeET0_PNSt15iterator_traitsISJ_E10value_typeEmT1_T2_,"axG",@progbits,_ZN7rocprim17ROCPRIM_400000_NS6detail30init_device_scan_by_key_kernelINS1_19lookback_scan_stateINS0_5tupleIJfbEEELb1ELb1EEEN6thrust23THRUST_200600_302600_NS6detail15normal_iteratorINS8_10device_ptrIiEEEEjNS1_16block_id_wrapperIjLb0EEEEEvT_jjPNSG_10value_typeET0_PNSt15iterator_traitsISJ_E10value_typeEmT1_T2_,comdat
.Lfunc_end1150:
	.size	_ZN7rocprim17ROCPRIM_400000_NS6detail30init_device_scan_by_key_kernelINS1_19lookback_scan_stateINS0_5tupleIJfbEEELb1ELb1EEEN6thrust23THRUST_200600_302600_NS6detail15normal_iteratorINS8_10device_ptrIiEEEEjNS1_16block_id_wrapperIjLb0EEEEEvT_jjPNSG_10value_typeET0_PNSt15iterator_traitsISJ_E10value_typeEmT1_T2_, .Lfunc_end1150-_ZN7rocprim17ROCPRIM_400000_NS6detail30init_device_scan_by_key_kernelINS1_19lookback_scan_stateINS0_5tupleIJfbEEELb1ELb1EEEN6thrust23THRUST_200600_302600_NS6detail15normal_iteratorINS8_10device_ptrIiEEEEjNS1_16block_id_wrapperIjLb0EEEEEvT_jjPNSG_10value_typeET0_PNSt15iterator_traitsISJ_E10value_typeEmT1_T2_
                                        ; -- End function
	.section	.AMDGPU.csdata,"",@progbits
; Kernel info:
; codeLenInByte = 612
; NumSgprs: 24
; NumVgprs: 10
; NumAgprs: 0
; TotalNumVgprs: 10
; ScratchSize: 0
; MemoryBound: 0
; FloatMode: 240
; IeeeMode: 1
; LDSByteSize: 0 bytes/workgroup (compile time only)
; SGPRBlocks: 2
; VGPRBlocks: 1
; NumSGPRsForWavesPerEU: 24
; NumVGPRsForWavesPerEU: 10
; AccumOffset: 12
; Occupancy: 8
; WaveLimiterHint : 0
; COMPUTE_PGM_RSRC2:SCRATCH_EN: 0
; COMPUTE_PGM_RSRC2:USER_SGPR: 6
; COMPUTE_PGM_RSRC2:TRAP_HANDLER: 0
; COMPUTE_PGM_RSRC2:TGID_X_EN: 1
; COMPUTE_PGM_RSRC2:TGID_Y_EN: 0
; COMPUTE_PGM_RSRC2:TGID_Z_EN: 0
; COMPUTE_PGM_RSRC2:TIDIG_COMP_CNT: 0
; COMPUTE_PGM_RSRC3_GFX90A:ACCUM_OFFSET: 2
; COMPUTE_PGM_RSRC3_GFX90A:TG_SPLIT: 0
	.section	.text._ZN7rocprim17ROCPRIM_400000_NS6detail30init_device_scan_by_key_kernelINS1_19lookback_scan_stateINS0_5tupleIJfbEEELb1ELb1EEENS1_16block_id_wrapperIjLb0EEEEEvT_jjPNS9_10value_typeET0_,"axG",@progbits,_ZN7rocprim17ROCPRIM_400000_NS6detail30init_device_scan_by_key_kernelINS1_19lookback_scan_stateINS0_5tupleIJfbEEELb1ELb1EEENS1_16block_id_wrapperIjLb0EEEEEvT_jjPNS9_10value_typeET0_,comdat
	.protected	_ZN7rocprim17ROCPRIM_400000_NS6detail30init_device_scan_by_key_kernelINS1_19lookback_scan_stateINS0_5tupleIJfbEEELb1ELb1EEENS1_16block_id_wrapperIjLb0EEEEEvT_jjPNS9_10value_typeET0_ ; -- Begin function _ZN7rocprim17ROCPRIM_400000_NS6detail30init_device_scan_by_key_kernelINS1_19lookback_scan_stateINS0_5tupleIJfbEEELb1ELb1EEENS1_16block_id_wrapperIjLb0EEEEEvT_jjPNS9_10value_typeET0_
	.globl	_ZN7rocprim17ROCPRIM_400000_NS6detail30init_device_scan_by_key_kernelINS1_19lookback_scan_stateINS0_5tupleIJfbEEELb1ELb1EEENS1_16block_id_wrapperIjLb0EEEEEvT_jjPNS9_10value_typeET0_
	.p2align	8
	.type	_ZN7rocprim17ROCPRIM_400000_NS6detail30init_device_scan_by_key_kernelINS1_19lookback_scan_stateINS0_5tupleIJfbEEELb1ELb1EEENS1_16block_id_wrapperIjLb0EEEEEvT_jjPNS9_10value_typeET0_,@function
_ZN7rocprim17ROCPRIM_400000_NS6detail30init_device_scan_by_key_kernelINS1_19lookback_scan_stateINS0_5tupleIJfbEEELb1ELb1EEENS1_16block_id_wrapperIjLb0EEEEEvT_jjPNS9_10value_typeET0_: ; @_ZN7rocprim17ROCPRIM_400000_NS6detail30init_device_scan_by_key_kernelINS1_19lookback_scan_stateINS0_5tupleIJfbEEELb1ELb1EEENS1_16block_id_wrapperIjLb0EEEEEvT_jjPNS9_10value_typeET0_
; %bb.0:
	s_load_dword s7, s[4:5], 0x2c
	s_load_dwordx2 s[8:9], s[4:5], 0x10
	s_load_dwordx4 s[0:3], s[4:5], 0x0
	s_waitcnt lgkmcnt(0)
	s_and_b32 s4, s7, 0xffff
	s_mul_i32 s6, s6, s4
	s_cmp_eq_u64 s[8:9], 0
	v_add_u32_e32 v0, s6, v0
	s_cbranch_scc1 .LBB1151_10
; %bb.1:
	s_cmp_lt_u32 s3, s2
	s_cselect_b32 s4, s3, 0
	s_mov_b32 s7, 0
	v_cmp_eq_u32_e32 vcc, s4, v0
	s_and_saveexec_b64 s[4:5], vcc
	s_cbranch_execz .LBB1151_9
; %bb.2:
	s_add_i32 s6, s3, 64
	s_lshl_b64 s[6:7], s[6:7], 4
	s_add_u32 s12, s0, s6
	s_addc_u32 s13, s1, s7
	v_pk_mov_b32 v[2:3], s[12:13], s[12:13] op_sel:[0,1]
	;;#ASMSTART
	global_load_dwordx4 v[2:5], v[2:3] off glc	
s_waitcnt vmcnt(0)
	;;#ASMEND
	v_mov_b32_e32 v7, 0
	v_and_b32_e32 v6, 0xff, v4
	s_mov_b64 s[10:11], 0
	v_cmp_eq_u64_e32 vcc, 0, v[6:7]
	s_and_saveexec_b64 s[6:7], vcc
	s_cbranch_execz .LBB1151_8
; %bb.3:
	s_mov_b32 s3, 1
	v_pk_mov_b32 v[8:9], s[12:13], s[12:13] op_sel:[0,1]
.LBB1151_4:                             ; =>This Loop Header: Depth=1
                                        ;     Child Loop BB1151_5 Depth 2
	s_max_u32 s12, s3, 1
.LBB1151_5:                             ;   Parent Loop BB1151_4 Depth=1
                                        ; =>  This Inner Loop Header: Depth=2
	s_add_i32 s12, s12, -1
	s_cmp_eq_u32 s12, 0
	s_sleep 1
	s_cbranch_scc0 .LBB1151_5
; %bb.6:                                ;   in Loop: Header=BB1151_4 Depth=1
	s_cmp_lt_u32 s3, 32
	s_cselect_b64 s[12:13], -1, 0
	s_cmp_lg_u64 s[12:13], 0
	;;#ASMSTART
	global_load_dwordx4 v[2:5], v[8:9] off glc	
s_waitcnt vmcnt(0)
	;;#ASMEND
	v_and_b32_e32 v6, 0xff, v4
	s_addc_u32 s3, s3, 0
	v_cmp_ne_u64_e32 vcc, 0, v[6:7]
	s_or_b64 s[10:11], vcc, s[10:11]
	s_andn2_b64 exec, exec, s[10:11]
	s_cbranch_execnz .LBB1151_4
; %bb.7:
	s_or_b64 exec, exec, s[10:11]
.LBB1151_8:
	s_or_b64 exec, exec, s[6:7]
	v_mov_b32_e32 v1, 0
	global_store_dword v1, v2, s[8:9]
	global_store_byte v1, v3, s[8:9] offset:4
.LBB1151_9:
	s_or_b64 exec, exec, s[4:5]
.LBB1151_10:
	v_cmp_gt_u32_e32 vcc, s2, v0
	s_and_saveexec_b64 s[2:3], vcc
	s_cbranch_execnz .LBB1151_13
; %bb.11:
	s_or_b64 exec, exec, s[2:3]
	v_cmp_gt_u32_e32 vcc, 64, v0
	s_and_saveexec_b64 s[2:3], vcc
	s_cbranch_execnz .LBB1151_14
.LBB1151_12:
	s_endpgm
.LBB1151_13:
	v_add_u32_e32 v2, 64, v0
	v_mov_b32_e32 v3, 0
	v_lshlrev_b64 v[4:5], 4, v[2:3]
	v_mov_b32_e32 v1, s1
	v_add_co_u32_e32 v6, vcc, s0, v4
	v_addc_co_u32_e32 v7, vcc, v1, v5, vcc
	v_mov_b32_e32 v2, v3
	v_mov_b32_e32 v4, v3
	;; [unrolled: 1-line block ×3, first 2 shown]
	global_store_dwordx4 v[6:7], v[2:5], off
	s_or_b64 exec, exec, s[2:3]
	v_cmp_gt_u32_e32 vcc, 64, v0
	s_and_saveexec_b64 s[2:3], vcc
	s_cbranch_execz .LBB1151_12
.LBB1151_14:
	v_mov_b32_e32 v1, 0
	v_lshlrev_b64 v[2:3], 4, v[0:1]
	v_mov_b32_e32 v0, s1
	v_add_co_u32_e32 v4, vcc, s0, v2
	v_addc_co_u32_e32 v5, vcc, v0, v3, vcc
	v_mov_b32_e32 v2, 0xff
	v_mov_b32_e32 v0, v1
	;; [unrolled: 1-line block ×3, first 2 shown]
	global_store_dwordx4 v[4:5], v[0:3], off
	s_endpgm
	.section	.rodata,"a",@progbits
	.p2align	6, 0x0
	.amdhsa_kernel _ZN7rocprim17ROCPRIM_400000_NS6detail30init_device_scan_by_key_kernelINS1_19lookback_scan_stateINS0_5tupleIJfbEEELb1ELb1EEENS1_16block_id_wrapperIjLb0EEEEEvT_jjPNS9_10value_typeET0_
		.amdhsa_group_segment_fixed_size 0
		.amdhsa_private_segment_fixed_size 0
		.amdhsa_kernarg_size 288
		.amdhsa_user_sgpr_count 6
		.amdhsa_user_sgpr_private_segment_buffer 1
		.amdhsa_user_sgpr_dispatch_ptr 0
		.amdhsa_user_sgpr_queue_ptr 0
		.amdhsa_user_sgpr_kernarg_segment_ptr 1
		.amdhsa_user_sgpr_dispatch_id 0
		.amdhsa_user_sgpr_flat_scratch_init 0
		.amdhsa_user_sgpr_kernarg_preload_length 0
		.amdhsa_user_sgpr_kernarg_preload_offset 0
		.amdhsa_user_sgpr_private_segment_size 0
		.amdhsa_uses_dynamic_stack 0
		.amdhsa_system_sgpr_private_segment_wavefront_offset 0
		.amdhsa_system_sgpr_workgroup_id_x 1
		.amdhsa_system_sgpr_workgroup_id_y 0
		.amdhsa_system_sgpr_workgroup_id_z 0
		.amdhsa_system_sgpr_workgroup_info 0
		.amdhsa_system_vgpr_workitem_id 0
		.amdhsa_next_free_vgpr 10
		.amdhsa_next_free_sgpr 14
		.amdhsa_accum_offset 12
		.amdhsa_reserve_vcc 1
		.amdhsa_reserve_flat_scratch 0
		.amdhsa_float_round_mode_32 0
		.amdhsa_float_round_mode_16_64 0
		.amdhsa_float_denorm_mode_32 3
		.amdhsa_float_denorm_mode_16_64 3
		.amdhsa_dx10_clamp 1
		.amdhsa_ieee_mode 1
		.amdhsa_fp16_overflow 0
		.amdhsa_tg_split 0
		.amdhsa_exception_fp_ieee_invalid_op 0
		.amdhsa_exception_fp_denorm_src 0
		.amdhsa_exception_fp_ieee_div_zero 0
		.amdhsa_exception_fp_ieee_overflow 0
		.amdhsa_exception_fp_ieee_underflow 0
		.amdhsa_exception_fp_ieee_inexact 0
		.amdhsa_exception_int_div_zero 0
	.end_amdhsa_kernel
	.section	.text._ZN7rocprim17ROCPRIM_400000_NS6detail30init_device_scan_by_key_kernelINS1_19lookback_scan_stateINS0_5tupleIJfbEEELb1ELb1EEENS1_16block_id_wrapperIjLb0EEEEEvT_jjPNS9_10value_typeET0_,"axG",@progbits,_ZN7rocprim17ROCPRIM_400000_NS6detail30init_device_scan_by_key_kernelINS1_19lookback_scan_stateINS0_5tupleIJfbEEELb1ELb1EEENS1_16block_id_wrapperIjLb0EEEEEvT_jjPNS9_10value_typeET0_,comdat
.Lfunc_end1151:
	.size	_ZN7rocprim17ROCPRIM_400000_NS6detail30init_device_scan_by_key_kernelINS1_19lookback_scan_stateINS0_5tupleIJfbEEELb1ELb1EEENS1_16block_id_wrapperIjLb0EEEEEvT_jjPNS9_10value_typeET0_, .Lfunc_end1151-_ZN7rocprim17ROCPRIM_400000_NS6detail30init_device_scan_by_key_kernelINS1_19lookback_scan_stateINS0_5tupleIJfbEEELb1ELb1EEENS1_16block_id_wrapperIjLb0EEEEEvT_jjPNS9_10value_typeET0_
                                        ; -- End function
	.section	.AMDGPU.csdata,"",@progbits
; Kernel info:
; codeLenInByte = 412
; NumSgprs: 18
; NumVgprs: 10
; NumAgprs: 0
; TotalNumVgprs: 10
; ScratchSize: 0
; MemoryBound: 0
; FloatMode: 240
; IeeeMode: 1
; LDSByteSize: 0 bytes/workgroup (compile time only)
; SGPRBlocks: 2
; VGPRBlocks: 1
; NumSGPRsForWavesPerEU: 18
; NumVGPRsForWavesPerEU: 10
; AccumOffset: 12
; Occupancy: 8
; WaveLimiterHint : 0
; COMPUTE_PGM_RSRC2:SCRATCH_EN: 0
; COMPUTE_PGM_RSRC2:USER_SGPR: 6
; COMPUTE_PGM_RSRC2:TRAP_HANDLER: 0
; COMPUTE_PGM_RSRC2:TGID_X_EN: 1
; COMPUTE_PGM_RSRC2:TGID_Y_EN: 0
; COMPUTE_PGM_RSRC2:TGID_Z_EN: 0
; COMPUTE_PGM_RSRC2:TIDIG_COMP_CNT: 0
; COMPUTE_PGM_RSRC3_GFX90A:ACCUM_OFFSET: 2
; COMPUTE_PGM_RSRC3_GFX90A:TG_SPLIT: 0
	.section	.text._ZN7rocprim17ROCPRIM_400000_NS6detail17trampoline_kernelINS0_14default_configENS1_27scan_by_key_config_selectorIifEEZZNS1_16scan_by_key_implILNS1_25lookback_scan_determinismE0ELb0ES3_N6thrust23THRUST_200600_302600_NS6detail15normal_iteratorINS9_10device_ptrIiEEEENSB_INSC_IfEEEESG_fNS9_4plusIvEENS9_8equal_toIvEEfEE10hipError_tPvRmT2_T3_T4_T5_mT6_T7_P12ihipStream_tbENKUlT_T0_E_clISt17integral_constantIbLb1EES10_IbLb0EEEEDaSW_SX_EUlSW_E_NS1_11comp_targetILNS1_3genE0ELNS1_11target_archE4294967295ELNS1_3gpuE0ELNS1_3repE0EEENS1_30default_config_static_selectorELNS0_4arch9wavefront6targetE1EEEvT1_,"axG",@progbits,_ZN7rocprim17ROCPRIM_400000_NS6detail17trampoline_kernelINS0_14default_configENS1_27scan_by_key_config_selectorIifEEZZNS1_16scan_by_key_implILNS1_25lookback_scan_determinismE0ELb0ES3_N6thrust23THRUST_200600_302600_NS6detail15normal_iteratorINS9_10device_ptrIiEEEENSB_INSC_IfEEEESG_fNS9_4plusIvEENS9_8equal_toIvEEfEE10hipError_tPvRmT2_T3_T4_T5_mT6_T7_P12ihipStream_tbENKUlT_T0_E_clISt17integral_constantIbLb1EES10_IbLb0EEEEDaSW_SX_EUlSW_E_NS1_11comp_targetILNS1_3genE0ELNS1_11target_archE4294967295ELNS1_3gpuE0ELNS1_3repE0EEENS1_30default_config_static_selectorELNS0_4arch9wavefront6targetE1EEEvT1_,comdat
	.protected	_ZN7rocprim17ROCPRIM_400000_NS6detail17trampoline_kernelINS0_14default_configENS1_27scan_by_key_config_selectorIifEEZZNS1_16scan_by_key_implILNS1_25lookback_scan_determinismE0ELb0ES3_N6thrust23THRUST_200600_302600_NS6detail15normal_iteratorINS9_10device_ptrIiEEEENSB_INSC_IfEEEESG_fNS9_4plusIvEENS9_8equal_toIvEEfEE10hipError_tPvRmT2_T3_T4_T5_mT6_T7_P12ihipStream_tbENKUlT_T0_E_clISt17integral_constantIbLb1EES10_IbLb0EEEEDaSW_SX_EUlSW_E_NS1_11comp_targetILNS1_3genE0ELNS1_11target_archE4294967295ELNS1_3gpuE0ELNS1_3repE0EEENS1_30default_config_static_selectorELNS0_4arch9wavefront6targetE1EEEvT1_ ; -- Begin function _ZN7rocprim17ROCPRIM_400000_NS6detail17trampoline_kernelINS0_14default_configENS1_27scan_by_key_config_selectorIifEEZZNS1_16scan_by_key_implILNS1_25lookback_scan_determinismE0ELb0ES3_N6thrust23THRUST_200600_302600_NS6detail15normal_iteratorINS9_10device_ptrIiEEEENSB_INSC_IfEEEESG_fNS9_4plusIvEENS9_8equal_toIvEEfEE10hipError_tPvRmT2_T3_T4_T5_mT6_T7_P12ihipStream_tbENKUlT_T0_E_clISt17integral_constantIbLb1EES10_IbLb0EEEEDaSW_SX_EUlSW_E_NS1_11comp_targetILNS1_3genE0ELNS1_11target_archE4294967295ELNS1_3gpuE0ELNS1_3repE0EEENS1_30default_config_static_selectorELNS0_4arch9wavefront6targetE1EEEvT1_
	.globl	_ZN7rocprim17ROCPRIM_400000_NS6detail17trampoline_kernelINS0_14default_configENS1_27scan_by_key_config_selectorIifEEZZNS1_16scan_by_key_implILNS1_25lookback_scan_determinismE0ELb0ES3_N6thrust23THRUST_200600_302600_NS6detail15normal_iteratorINS9_10device_ptrIiEEEENSB_INSC_IfEEEESG_fNS9_4plusIvEENS9_8equal_toIvEEfEE10hipError_tPvRmT2_T3_T4_T5_mT6_T7_P12ihipStream_tbENKUlT_T0_E_clISt17integral_constantIbLb1EES10_IbLb0EEEEDaSW_SX_EUlSW_E_NS1_11comp_targetILNS1_3genE0ELNS1_11target_archE4294967295ELNS1_3gpuE0ELNS1_3repE0EEENS1_30default_config_static_selectorELNS0_4arch9wavefront6targetE1EEEvT1_
	.p2align	8
	.type	_ZN7rocprim17ROCPRIM_400000_NS6detail17trampoline_kernelINS0_14default_configENS1_27scan_by_key_config_selectorIifEEZZNS1_16scan_by_key_implILNS1_25lookback_scan_determinismE0ELb0ES3_N6thrust23THRUST_200600_302600_NS6detail15normal_iteratorINS9_10device_ptrIiEEEENSB_INSC_IfEEEESG_fNS9_4plusIvEENS9_8equal_toIvEEfEE10hipError_tPvRmT2_T3_T4_T5_mT6_T7_P12ihipStream_tbENKUlT_T0_E_clISt17integral_constantIbLb1EES10_IbLb0EEEEDaSW_SX_EUlSW_E_NS1_11comp_targetILNS1_3genE0ELNS1_11target_archE4294967295ELNS1_3gpuE0ELNS1_3repE0EEENS1_30default_config_static_selectorELNS0_4arch9wavefront6targetE1EEEvT1_,@function
_ZN7rocprim17ROCPRIM_400000_NS6detail17trampoline_kernelINS0_14default_configENS1_27scan_by_key_config_selectorIifEEZZNS1_16scan_by_key_implILNS1_25lookback_scan_determinismE0ELb0ES3_N6thrust23THRUST_200600_302600_NS6detail15normal_iteratorINS9_10device_ptrIiEEEENSB_INSC_IfEEEESG_fNS9_4plusIvEENS9_8equal_toIvEEfEE10hipError_tPvRmT2_T3_T4_T5_mT6_T7_P12ihipStream_tbENKUlT_T0_E_clISt17integral_constantIbLb1EES10_IbLb0EEEEDaSW_SX_EUlSW_E_NS1_11comp_targetILNS1_3genE0ELNS1_11target_archE4294967295ELNS1_3gpuE0ELNS1_3repE0EEENS1_30default_config_static_selectorELNS0_4arch9wavefront6targetE1EEEvT1_: ; @_ZN7rocprim17ROCPRIM_400000_NS6detail17trampoline_kernelINS0_14default_configENS1_27scan_by_key_config_selectorIifEEZZNS1_16scan_by_key_implILNS1_25lookback_scan_determinismE0ELb0ES3_N6thrust23THRUST_200600_302600_NS6detail15normal_iteratorINS9_10device_ptrIiEEEENSB_INSC_IfEEEESG_fNS9_4plusIvEENS9_8equal_toIvEEfEE10hipError_tPvRmT2_T3_T4_T5_mT6_T7_P12ihipStream_tbENKUlT_T0_E_clISt17integral_constantIbLb1EES10_IbLb0EEEEDaSW_SX_EUlSW_E_NS1_11comp_targetILNS1_3genE0ELNS1_11target_archE4294967295ELNS1_3gpuE0ELNS1_3repE0EEENS1_30default_config_static_selectorELNS0_4arch9wavefront6targetE1EEEvT1_
; %bb.0:
	.section	.rodata,"a",@progbits
	.p2align	6, 0x0
	.amdhsa_kernel _ZN7rocprim17ROCPRIM_400000_NS6detail17trampoline_kernelINS0_14default_configENS1_27scan_by_key_config_selectorIifEEZZNS1_16scan_by_key_implILNS1_25lookback_scan_determinismE0ELb0ES3_N6thrust23THRUST_200600_302600_NS6detail15normal_iteratorINS9_10device_ptrIiEEEENSB_INSC_IfEEEESG_fNS9_4plusIvEENS9_8equal_toIvEEfEE10hipError_tPvRmT2_T3_T4_T5_mT6_T7_P12ihipStream_tbENKUlT_T0_E_clISt17integral_constantIbLb1EES10_IbLb0EEEEDaSW_SX_EUlSW_E_NS1_11comp_targetILNS1_3genE0ELNS1_11target_archE4294967295ELNS1_3gpuE0ELNS1_3repE0EEENS1_30default_config_static_selectorELNS0_4arch9wavefront6targetE1EEEvT1_
		.amdhsa_group_segment_fixed_size 0
		.amdhsa_private_segment_fixed_size 0
		.amdhsa_kernarg_size 112
		.amdhsa_user_sgpr_count 6
		.amdhsa_user_sgpr_private_segment_buffer 1
		.amdhsa_user_sgpr_dispatch_ptr 0
		.amdhsa_user_sgpr_queue_ptr 0
		.amdhsa_user_sgpr_kernarg_segment_ptr 1
		.amdhsa_user_sgpr_dispatch_id 0
		.amdhsa_user_sgpr_flat_scratch_init 0
		.amdhsa_user_sgpr_kernarg_preload_length 0
		.amdhsa_user_sgpr_kernarg_preload_offset 0
		.amdhsa_user_sgpr_private_segment_size 0
		.amdhsa_uses_dynamic_stack 0
		.amdhsa_system_sgpr_private_segment_wavefront_offset 0
		.amdhsa_system_sgpr_workgroup_id_x 1
		.amdhsa_system_sgpr_workgroup_id_y 0
		.amdhsa_system_sgpr_workgroup_id_z 0
		.amdhsa_system_sgpr_workgroup_info 0
		.amdhsa_system_vgpr_workitem_id 0
		.amdhsa_next_free_vgpr 1
		.amdhsa_next_free_sgpr 0
		.amdhsa_accum_offset 4
		.amdhsa_reserve_vcc 0
		.amdhsa_reserve_flat_scratch 0
		.amdhsa_float_round_mode_32 0
		.amdhsa_float_round_mode_16_64 0
		.amdhsa_float_denorm_mode_32 3
		.amdhsa_float_denorm_mode_16_64 3
		.amdhsa_dx10_clamp 1
		.amdhsa_ieee_mode 1
		.amdhsa_fp16_overflow 0
		.amdhsa_tg_split 0
		.amdhsa_exception_fp_ieee_invalid_op 0
		.amdhsa_exception_fp_denorm_src 0
		.amdhsa_exception_fp_ieee_div_zero 0
		.amdhsa_exception_fp_ieee_overflow 0
		.amdhsa_exception_fp_ieee_underflow 0
		.amdhsa_exception_fp_ieee_inexact 0
		.amdhsa_exception_int_div_zero 0
	.end_amdhsa_kernel
	.section	.text._ZN7rocprim17ROCPRIM_400000_NS6detail17trampoline_kernelINS0_14default_configENS1_27scan_by_key_config_selectorIifEEZZNS1_16scan_by_key_implILNS1_25lookback_scan_determinismE0ELb0ES3_N6thrust23THRUST_200600_302600_NS6detail15normal_iteratorINS9_10device_ptrIiEEEENSB_INSC_IfEEEESG_fNS9_4plusIvEENS9_8equal_toIvEEfEE10hipError_tPvRmT2_T3_T4_T5_mT6_T7_P12ihipStream_tbENKUlT_T0_E_clISt17integral_constantIbLb1EES10_IbLb0EEEEDaSW_SX_EUlSW_E_NS1_11comp_targetILNS1_3genE0ELNS1_11target_archE4294967295ELNS1_3gpuE0ELNS1_3repE0EEENS1_30default_config_static_selectorELNS0_4arch9wavefront6targetE1EEEvT1_,"axG",@progbits,_ZN7rocprim17ROCPRIM_400000_NS6detail17trampoline_kernelINS0_14default_configENS1_27scan_by_key_config_selectorIifEEZZNS1_16scan_by_key_implILNS1_25lookback_scan_determinismE0ELb0ES3_N6thrust23THRUST_200600_302600_NS6detail15normal_iteratorINS9_10device_ptrIiEEEENSB_INSC_IfEEEESG_fNS9_4plusIvEENS9_8equal_toIvEEfEE10hipError_tPvRmT2_T3_T4_T5_mT6_T7_P12ihipStream_tbENKUlT_T0_E_clISt17integral_constantIbLb1EES10_IbLb0EEEEDaSW_SX_EUlSW_E_NS1_11comp_targetILNS1_3genE0ELNS1_11target_archE4294967295ELNS1_3gpuE0ELNS1_3repE0EEENS1_30default_config_static_selectorELNS0_4arch9wavefront6targetE1EEEvT1_,comdat
.Lfunc_end1152:
	.size	_ZN7rocprim17ROCPRIM_400000_NS6detail17trampoline_kernelINS0_14default_configENS1_27scan_by_key_config_selectorIifEEZZNS1_16scan_by_key_implILNS1_25lookback_scan_determinismE0ELb0ES3_N6thrust23THRUST_200600_302600_NS6detail15normal_iteratorINS9_10device_ptrIiEEEENSB_INSC_IfEEEESG_fNS9_4plusIvEENS9_8equal_toIvEEfEE10hipError_tPvRmT2_T3_T4_T5_mT6_T7_P12ihipStream_tbENKUlT_T0_E_clISt17integral_constantIbLb1EES10_IbLb0EEEEDaSW_SX_EUlSW_E_NS1_11comp_targetILNS1_3genE0ELNS1_11target_archE4294967295ELNS1_3gpuE0ELNS1_3repE0EEENS1_30default_config_static_selectorELNS0_4arch9wavefront6targetE1EEEvT1_, .Lfunc_end1152-_ZN7rocprim17ROCPRIM_400000_NS6detail17trampoline_kernelINS0_14default_configENS1_27scan_by_key_config_selectorIifEEZZNS1_16scan_by_key_implILNS1_25lookback_scan_determinismE0ELb0ES3_N6thrust23THRUST_200600_302600_NS6detail15normal_iteratorINS9_10device_ptrIiEEEENSB_INSC_IfEEEESG_fNS9_4plusIvEENS9_8equal_toIvEEfEE10hipError_tPvRmT2_T3_T4_T5_mT6_T7_P12ihipStream_tbENKUlT_T0_E_clISt17integral_constantIbLb1EES10_IbLb0EEEEDaSW_SX_EUlSW_E_NS1_11comp_targetILNS1_3genE0ELNS1_11target_archE4294967295ELNS1_3gpuE0ELNS1_3repE0EEENS1_30default_config_static_selectorELNS0_4arch9wavefront6targetE1EEEvT1_
                                        ; -- End function
	.section	.AMDGPU.csdata,"",@progbits
; Kernel info:
; codeLenInByte = 0
; NumSgprs: 4
; NumVgprs: 0
; NumAgprs: 0
; TotalNumVgprs: 0
; ScratchSize: 0
; MemoryBound: 0
; FloatMode: 240
; IeeeMode: 1
; LDSByteSize: 0 bytes/workgroup (compile time only)
; SGPRBlocks: 0
; VGPRBlocks: 0
; NumSGPRsForWavesPerEU: 4
; NumVGPRsForWavesPerEU: 1
; AccumOffset: 4
; Occupancy: 8
; WaveLimiterHint : 0
; COMPUTE_PGM_RSRC2:SCRATCH_EN: 0
; COMPUTE_PGM_RSRC2:USER_SGPR: 6
; COMPUTE_PGM_RSRC2:TRAP_HANDLER: 0
; COMPUTE_PGM_RSRC2:TGID_X_EN: 1
; COMPUTE_PGM_RSRC2:TGID_Y_EN: 0
; COMPUTE_PGM_RSRC2:TGID_Z_EN: 0
; COMPUTE_PGM_RSRC2:TIDIG_COMP_CNT: 0
; COMPUTE_PGM_RSRC3_GFX90A:ACCUM_OFFSET: 0
; COMPUTE_PGM_RSRC3_GFX90A:TG_SPLIT: 0
	.section	.text._ZN7rocprim17ROCPRIM_400000_NS6detail17trampoline_kernelINS0_14default_configENS1_27scan_by_key_config_selectorIifEEZZNS1_16scan_by_key_implILNS1_25lookback_scan_determinismE0ELb0ES3_N6thrust23THRUST_200600_302600_NS6detail15normal_iteratorINS9_10device_ptrIiEEEENSB_INSC_IfEEEESG_fNS9_4plusIvEENS9_8equal_toIvEEfEE10hipError_tPvRmT2_T3_T4_T5_mT6_T7_P12ihipStream_tbENKUlT_T0_E_clISt17integral_constantIbLb1EES10_IbLb0EEEEDaSW_SX_EUlSW_E_NS1_11comp_targetILNS1_3genE10ELNS1_11target_archE1201ELNS1_3gpuE5ELNS1_3repE0EEENS1_30default_config_static_selectorELNS0_4arch9wavefront6targetE1EEEvT1_,"axG",@progbits,_ZN7rocprim17ROCPRIM_400000_NS6detail17trampoline_kernelINS0_14default_configENS1_27scan_by_key_config_selectorIifEEZZNS1_16scan_by_key_implILNS1_25lookback_scan_determinismE0ELb0ES3_N6thrust23THRUST_200600_302600_NS6detail15normal_iteratorINS9_10device_ptrIiEEEENSB_INSC_IfEEEESG_fNS9_4plusIvEENS9_8equal_toIvEEfEE10hipError_tPvRmT2_T3_T4_T5_mT6_T7_P12ihipStream_tbENKUlT_T0_E_clISt17integral_constantIbLb1EES10_IbLb0EEEEDaSW_SX_EUlSW_E_NS1_11comp_targetILNS1_3genE10ELNS1_11target_archE1201ELNS1_3gpuE5ELNS1_3repE0EEENS1_30default_config_static_selectorELNS0_4arch9wavefront6targetE1EEEvT1_,comdat
	.protected	_ZN7rocprim17ROCPRIM_400000_NS6detail17trampoline_kernelINS0_14default_configENS1_27scan_by_key_config_selectorIifEEZZNS1_16scan_by_key_implILNS1_25lookback_scan_determinismE0ELb0ES3_N6thrust23THRUST_200600_302600_NS6detail15normal_iteratorINS9_10device_ptrIiEEEENSB_INSC_IfEEEESG_fNS9_4plusIvEENS9_8equal_toIvEEfEE10hipError_tPvRmT2_T3_T4_T5_mT6_T7_P12ihipStream_tbENKUlT_T0_E_clISt17integral_constantIbLb1EES10_IbLb0EEEEDaSW_SX_EUlSW_E_NS1_11comp_targetILNS1_3genE10ELNS1_11target_archE1201ELNS1_3gpuE5ELNS1_3repE0EEENS1_30default_config_static_selectorELNS0_4arch9wavefront6targetE1EEEvT1_ ; -- Begin function _ZN7rocprim17ROCPRIM_400000_NS6detail17trampoline_kernelINS0_14default_configENS1_27scan_by_key_config_selectorIifEEZZNS1_16scan_by_key_implILNS1_25lookback_scan_determinismE0ELb0ES3_N6thrust23THRUST_200600_302600_NS6detail15normal_iteratorINS9_10device_ptrIiEEEENSB_INSC_IfEEEESG_fNS9_4plusIvEENS9_8equal_toIvEEfEE10hipError_tPvRmT2_T3_T4_T5_mT6_T7_P12ihipStream_tbENKUlT_T0_E_clISt17integral_constantIbLb1EES10_IbLb0EEEEDaSW_SX_EUlSW_E_NS1_11comp_targetILNS1_3genE10ELNS1_11target_archE1201ELNS1_3gpuE5ELNS1_3repE0EEENS1_30default_config_static_selectorELNS0_4arch9wavefront6targetE1EEEvT1_
	.globl	_ZN7rocprim17ROCPRIM_400000_NS6detail17trampoline_kernelINS0_14default_configENS1_27scan_by_key_config_selectorIifEEZZNS1_16scan_by_key_implILNS1_25lookback_scan_determinismE0ELb0ES3_N6thrust23THRUST_200600_302600_NS6detail15normal_iteratorINS9_10device_ptrIiEEEENSB_INSC_IfEEEESG_fNS9_4plusIvEENS9_8equal_toIvEEfEE10hipError_tPvRmT2_T3_T4_T5_mT6_T7_P12ihipStream_tbENKUlT_T0_E_clISt17integral_constantIbLb1EES10_IbLb0EEEEDaSW_SX_EUlSW_E_NS1_11comp_targetILNS1_3genE10ELNS1_11target_archE1201ELNS1_3gpuE5ELNS1_3repE0EEENS1_30default_config_static_selectorELNS0_4arch9wavefront6targetE1EEEvT1_
	.p2align	8
	.type	_ZN7rocprim17ROCPRIM_400000_NS6detail17trampoline_kernelINS0_14default_configENS1_27scan_by_key_config_selectorIifEEZZNS1_16scan_by_key_implILNS1_25lookback_scan_determinismE0ELb0ES3_N6thrust23THRUST_200600_302600_NS6detail15normal_iteratorINS9_10device_ptrIiEEEENSB_INSC_IfEEEESG_fNS9_4plusIvEENS9_8equal_toIvEEfEE10hipError_tPvRmT2_T3_T4_T5_mT6_T7_P12ihipStream_tbENKUlT_T0_E_clISt17integral_constantIbLb1EES10_IbLb0EEEEDaSW_SX_EUlSW_E_NS1_11comp_targetILNS1_3genE10ELNS1_11target_archE1201ELNS1_3gpuE5ELNS1_3repE0EEENS1_30default_config_static_selectorELNS0_4arch9wavefront6targetE1EEEvT1_,@function
_ZN7rocprim17ROCPRIM_400000_NS6detail17trampoline_kernelINS0_14default_configENS1_27scan_by_key_config_selectorIifEEZZNS1_16scan_by_key_implILNS1_25lookback_scan_determinismE0ELb0ES3_N6thrust23THRUST_200600_302600_NS6detail15normal_iteratorINS9_10device_ptrIiEEEENSB_INSC_IfEEEESG_fNS9_4plusIvEENS9_8equal_toIvEEfEE10hipError_tPvRmT2_T3_T4_T5_mT6_T7_P12ihipStream_tbENKUlT_T0_E_clISt17integral_constantIbLb1EES10_IbLb0EEEEDaSW_SX_EUlSW_E_NS1_11comp_targetILNS1_3genE10ELNS1_11target_archE1201ELNS1_3gpuE5ELNS1_3repE0EEENS1_30default_config_static_selectorELNS0_4arch9wavefront6targetE1EEEvT1_: ; @_ZN7rocprim17ROCPRIM_400000_NS6detail17trampoline_kernelINS0_14default_configENS1_27scan_by_key_config_selectorIifEEZZNS1_16scan_by_key_implILNS1_25lookback_scan_determinismE0ELb0ES3_N6thrust23THRUST_200600_302600_NS6detail15normal_iteratorINS9_10device_ptrIiEEEENSB_INSC_IfEEEESG_fNS9_4plusIvEENS9_8equal_toIvEEfEE10hipError_tPvRmT2_T3_T4_T5_mT6_T7_P12ihipStream_tbENKUlT_T0_E_clISt17integral_constantIbLb1EES10_IbLb0EEEEDaSW_SX_EUlSW_E_NS1_11comp_targetILNS1_3genE10ELNS1_11target_archE1201ELNS1_3gpuE5ELNS1_3repE0EEENS1_30default_config_static_selectorELNS0_4arch9wavefront6targetE1EEEvT1_
; %bb.0:
	.section	.rodata,"a",@progbits
	.p2align	6, 0x0
	.amdhsa_kernel _ZN7rocprim17ROCPRIM_400000_NS6detail17trampoline_kernelINS0_14default_configENS1_27scan_by_key_config_selectorIifEEZZNS1_16scan_by_key_implILNS1_25lookback_scan_determinismE0ELb0ES3_N6thrust23THRUST_200600_302600_NS6detail15normal_iteratorINS9_10device_ptrIiEEEENSB_INSC_IfEEEESG_fNS9_4plusIvEENS9_8equal_toIvEEfEE10hipError_tPvRmT2_T3_T4_T5_mT6_T7_P12ihipStream_tbENKUlT_T0_E_clISt17integral_constantIbLb1EES10_IbLb0EEEEDaSW_SX_EUlSW_E_NS1_11comp_targetILNS1_3genE10ELNS1_11target_archE1201ELNS1_3gpuE5ELNS1_3repE0EEENS1_30default_config_static_selectorELNS0_4arch9wavefront6targetE1EEEvT1_
		.amdhsa_group_segment_fixed_size 0
		.amdhsa_private_segment_fixed_size 0
		.amdhsa_kernarg_size 112
		.amdhsa_user_sgpr_count 6
		.amdhsa_user_sgpr_private_segment_buffer 1
		.amdhsa_user_sgpr_dispatch_ptr 0
		.amdhsa_user_sgpr_queue_ptr 0
		.amdhsa_user_sgpr_kernarg_segment_ptr 1
		.amdhsa_user_sgpr_dispatch_id 0
		.amdhsa_user_sgpr_flat_scratch_init 0
		.amdhsa_user_sgpr_kernarg_preload_length 0
		.amdhsa_user_sgpr_kernarg_preload_offset 0
		.amdhsa_user_sgpr_private_segment_size 0
		.amdhsa_uses_dynamic_stack 0
		.amdhsa_system_sgpr_private_segment_wavefront_offset 0
		.amdhsa_system_sgpr_workgroup_id_x 1
		.amdhsa_system_sgpr_workgroup_id_y 0
		.amdhsa_system_sgpr_workgroup_id_z 0
		.amdhsa_system_sgpr_workgroup_info 0
		.amdhsa_system_vgpr_workitem_id 0
		.amdhsa_next_free_vgpr 1
		.amdhsa_next_free_sgpr 0
		.amdhsa_accum_offset 4
		.amdhsa_reserve_vcc 0
		.amdhsa_reserve_flat_scratch 0
		.amdhsa_float_round_mode_32 0
		.amdhsa_float_round_mode_16_64 0
		.amdhsa_float_denorm_mode_32 3
		.amdhsa_float_denorm_mode_16_64 3
		.amdhsa_dx10_clamp 1
		.amdhsa_ieee_mode 1
		.amdhsa_fp16_overflow 0
		.amdhsa_tg_split 0
		.amdhsa_exception_fp_ieee_invalid_op 0
		.amdhsa_exception_fp_denorm_src 0
		.amdhsa_exception_fp_ieee_div_zero 0
		.amdhsa_exception_fp_ieee_overflow 0
		.amdhsa_exception_fp_ieee_underflow 0
		.amdhsa_exception_fp_ieee_inexact 0
		.amdhsa_exception_int_div_zero 0
	.end_amdhsa_kernel
	.section	.text._ZN7rocprim17ROCPRIM_400000_NS6detail17trampoline_kernelINS0_14default_configENS1_27scan_by_key_config_selectorIifEEZZNS1_16scan_by_key_implILNS1_25lookback_scan_determinismE0ELb0ES3_N6thrust23THRUST_200600_302600_NS6detail15normal_iteratorINS9_10device_ptrIiEEEENSB_INSC_IfEEEESG_fNS9_4plusIvEENS9_8equal_toIvEEfEE10hipError_tPvRmT2_T3_T4_T5_mT6_T7_P12ihipStream_tbENKUlT_T0_E_clISt17integral_constantIbLb1EES10_IbLb0EEEEDaSW_SX_EUlSW_E_NS1_11comp_targetILNS1_3genE10ELNS1_11target_archE1201ELNS1_3gpuE5ELNS1_3repE0EEENS1_30default_config_static_selectorELNS0_4arch9wavefront6targetE1EEEvT1_,"axG",@progbits,_ZN7rocprim17ROCPRIM_400000_NS6detail17trampoline_kernelINS0_14default_configENS1_27scan_by_key_config_selectorIifEEZZNS1_16scan_by_key_implILNS1_25lookback_scan_determinismE0ELb0ES3_N6thrust23THRUST_200600_302600_NS6detail15normal_iteratorINS9_10device_ptrIiEEEENSB_INSC_IfEEEESG_fNS9_4plusIvEENS9_8equal_toIvEEfEE10hipError_tPvRmT2_T3_T4_T5_mT6_T7_P12ihipStream_tbENKUlT_T0_E_clISt17integral_constantIbLb1EES10_IbLb0EEEEDaSW_SX_EUlSW_E_NS1_11comp_targetILNS1_3genE10ELNS1_11target_archE1201ELNS1_3gpuE5ELNS1_3repE0EEENS1_30default_config_static_selectorELNS0_4arch9wavefront6targetE1EEEvT1_,comdat
.Lfunc_end1153:
	.size	_ZN7rocprim17ROCPRIM_400000_NS6detail17trampoline_kernelINS0_14default_configENS1_27scan_by_key_config_selectorIifEEZZNS1_16scan_by_key_implILNS1_25lookback_scan_determinismE0ELb0ES3_N6thrust23THRUST_200600_302600_NS6detail15normal_iteratorINS9_10device_ptrIiEEEENSB_INSC_IfEEEESG_fNS9_4plusIvEENS9_8equal_toIvEEfEE10hipError_tPvRmT2_T3_T4_T5_mT6_T7_P12ihipStream_tbENKUlT_T0_E_clISt17integral_constantIbLb1EES10_IbLb0EEEEDaSW_SX_EUlSW_E_NS1_11comp_targetILNS1_3genE10ELNS1_11target_archE1201ELNS1_3gpuE5ELNS1_3repE0EEENS1_30default_config_static_selectorELNS0_4arch9wavefront6targetE1EEEvT1_, .Lfunc_end1153-_ZN7rocprim17ROCPRIM_400000_NS6detail17trampoline_kernelINS0_14default_configENS1_27scan_by_key_config_selectorIifEEZZNS1_16scan_by_key_implILNS1_25lookback_scan_determinismE0ELb0ES3_N6thrust23THRUST_200600_302600_NS6detail15normal_iteratorINS9_10device_ptrIiEEEENSB_INSC_IfEEEESG_fNS9_4plusIvEENS9_8equal_toIvEEfEE10hipError_tPvRmT2_T3_T4_T5_mT6_T7_P12ihipStream_tbENKUlT_T0_E_clISt17integral_constantIbLb1EES10_IbLb0EEEEDaSW_SX_EUlSW_E_NS1_11comp_targetILNS1_3genE10ELNS1_11target_archE1201ELNS1_3gpuE5ELNS1_3repE0EEENS1_30default_config_static_selectorELNS0_4arch9wavefront6targetE1EEEvT1_
                                        ; -- End function
	.section	.AMDGPU.csdata,"",@progbits
; Kernel info:
; codeLenInByte = 0
; NumSgprs: 4
; NumVgprs: 0
; NumAgprs: 0
; TotalNumVgprs: 0
; ScratchSize: 0
; MemoryBound: 0
; FloatMode: 240
; IeeeMode: 1
; LDSByteSize: 0 bytes/workgroup (compile time only)
; SGPRBlocks: 0
; VGPRBlocks: 0
; NumSGPRsForWavesPerEU: 4
; NumVGPRsForWavesPerEU: 1
; AccumOffset: 4
; Occupancy: 8
; WaveLimiterHint : 0
; COMPUTE_PGM_RSRC2:SCRATCH_EN: 0
; COMPUTE_PGM_RSRC2:USER_SGPR: 6
; COMPUTE_PGM_RSRC2:TRAP_HANDLER: 0
; COMPUTE_PGM_RSRC2:TGID_X_EN: 1
; COMPUTE_PGM_RSRC2:TGID_Y_EN: 0
; COMPUTE_PGM_RSRC2:TGID_Z_EN: 0
; COMPUTE_PGM_RSRC2:TIDIG_COMP_CNT: 0
; COMPUTE_PGM_RSRC3_GFX90A:ACCUM_OFFSET: 0
; COMPUTE_PGM_RSRC3_GFX90A:TG_SPLIT: 0
	.section	.text._ZN7rocprim17ROCPRIM_400000_NS6detail17trampoline_kernelINS0_14default_configENS1_27scan_by_key_config_selectorIifEEZZNS1_16scan_by_key_implILNS1_25lookback_scan_determinismE0ELb0ES3_N6thrust23THRUST_200600_302600_NS6detail15normal_iteratorINS9_10device_ptrIiEEEENSB_INSC_IfEEEESG_fNS9_4plusIvEENS9_8equal_toIvEEfEE10hipError_tPvRmT2_T3_T4_T5_mT6_T7_P12ihipStream_tbENKUlT_T0_E_clISt17integral_constantIbLb1EES10_IbLb0EEEEDaSW_SX_EUlSW_E_NS1_11comp_targetILNS1_3genE5ELNS1_11target_archE942ELNS1_3gpuE9ELNS1_3repE0EEENS1_30default_config_static_selectorELNS0_4arch9wavefront6targetE1EEEvT1_,"axG",@progbits,_ZN7rocprim17ROCPRIM_400000_NS6detail17trampoline_kernelINS0_14default_configENS1_27scan_by_key_config_selectorIifEEZZNS1_16scan_by_key_implILNS1_25lookback_scan_determinismE0ELb0ES3_N6thrust23THRUST_200600_302600_NS6detail15normal_iteratorINS9_10device_ptrIiEEEENSB_INSC_IfEEEESG_fNS9_4plusIvEENS9_8equal_toIvEEfEE10hipError_tPvRmT2_T3_T4_T5_mT6_T7_P12ihipStream_tbENKUlT_T0_E_clISt17integral_constantIbLb1EES10_IbLb0EEEEDaSW_SX_EUlSW_E_NS1_11comp_targetILNS1_3genE5ELNS1_11target_archE942ELNS1_3gpuE9ELNS1_3repE0EEENS1_30default_config_static_selectorELNS0_4arch9wavefront6targetE1EEEvT1_,comdat
	.protected	_ZN7rocprim17ROCPRIM_400000_NS6detail17trampoline_kernelINS0_14default_configENS1_27scan_by_key_config_selectorIifEEZZNS1_16scan_by_key_implILNS1_25lookback_scan_determinismE0ELb0ES3_N6thrust23THRUST_200600_302600_NS6detail15normal_iteratorINS9_10device_ptrIiEEEENSB_INSC_IfEEEESG_fNS9_4plusIvEENS9_8equal_toIvEEfEE10hipError_tPvRmT2_T3_T4_T5_mT6_T7_P12ihipStream_tbENKUlT_T0_E_clISt17integral_constantIbLb1EES10_IbLb0EEEEDaSW_SX_EUlSW_E_NS1_11comp_targetILNS1_3genE5ELNS1_11target_archE942ELNS1_3gpuE9ELNS1_3repE0EEENS1_30default_config_static_selectorELNS0_4arch9wavefront6targetE1EEEvT1_ ; -- Begin function _ZN7rocprim17ROCPRIM_400000_NS6detail17trampoline_kernelINS0_14default_configENS1_27scan_by_key_config_selectorIifEEZZNS1_16scan_by_key_implILNS1_25lookback_scan_determinismE0ELb0ES3_N6thrust23THRUST_200600_302600_NS6detail15normal_iteratorINS9_10device_ptrIiEEEENSB_INSC_IfEEEESG_fNS9_4plusIvEENS9_8equal_toIvEEfEE10hipError_tPvRmT2_T3_T4_T5_mT6_T7_P12ihipStream_tbENKUlT_T0_E_clISt17integral_constantIbLb1EES10_IbLb0EEEEDaSW_SX_EUlSW_E_NS1_11comp_targetILNS1_3genE5ELNS1_11target_archE942ELNS1_3gpuE9ELNS1_3repE0EEENS1_30default_config_static_selectorELNS0_4arch9wavefront6targetE1EEEvT1_
	.globl	_ZN7rocprim17ROCPRIM_400000_NS6detail17trampoline_kernelINS0_14default_configENS1_27scan_by_key_config_selectorIifEEZZNS1_16scan_by_key_implILNS1_25lookback_scan_determinismE0ELb0ES3_N6thrust23THRUST_200600_302600_NS6detail15normal_iteratorINS9_10device_ptrIiEEEENSB_INSC_IfEEEESG_fNS9_4plusIvEENS9_8equal_toIvEEfEE10hipError_tPvRmT2_T3_T4_T5_mT6_T7_P12ihipStream_tbENKUlT_T0_E_clISt17integral_constantIbLb1EES10_IbLb0EEEEDaSW_SX_EUlSW_E_NS1_11comp_targetILNS1_3genE5ELNS1_11target_archE942ELNS1_3gpuE9ELNS1_3repE0EEENS1_30default_config_static_selectorELNS0_4arch9wavefront6targetE1EEEvT1_
	.p2align	8
	.type	_ZN7rocprim17ROCPRIM_400000_NS6detail17trampoline_kernelINS0_14default_configENS1_27scan_by_key_config_selectorIifEEZZNS1_16scan_by_key_implILNS1_25lookback_scan_determinismE0ELb0ES3_N6thrust23THRUST_200600_302600_NS6detail15normal_iteratorINS9_10device_ptrIiEEEENSB_INSC_IfEEEESG_fNS9_4plusIvEENS9_8equal_toIvEEfEE10hipError_tPvRmT2_T3_T4_T5_mT6_T7_P12ihipStream_tbENKUlT_T0_E_clISt17integral_constantIbLb1EES10_IbLb0EEEEDaSW_SX_EUlSW_E_NS1_11comp_targetILNS1_3genE5ELNS1_11target_archE942ELNS1_3gpuE9ELNS1_3repE0EEENS1_30default_config_static_selectorELNS0_4arch9wavefront6targetE1EEEvT1_,@function
_ZN7rocprim17ROCPRIM_400000_NS6detail17trampoline_kernelINS0_14default_configENS1_27scan_by_key_config_selectorIifEEZZNS1_16scan_by_key_implILNS1_25lookback_scan_determinismE0ELb0ES3_N6thrust23THRUST_200600_302600_NS6detail15normal_iteratorINS9_10device_ptrIiEEEENSB_INSC_IfEEEESG_fNS9_4plusIvEENS9_8equal_toIvEEfEE10hipError_tPvRmT2_T3_T4_T5_mT6_T7_P12ihipStream_tbENKUlT_T0_E_clISt17integral_constantIbLb1EES10_IbLb0EEEEDaSW_SX_EUlSW_E_NS1_11comp_targetILNS1_3genE5ELNS1_11target_archE942ELNS1_3gpuE9ELNS1_3repE0EEENS1_30default_config_static_selectorELNS0_4arch9wavefront6targetE1EEEvT1_: ; @_ZN7rocprim17ROCPRIM_400000_NS6detail17trampoline_kernelINS0_14default_configENS1_27scan_by_key_config_selectorIifEEZZNS1_16scan_by_key_implILNS1_25lookback_scan_determinismE0ELb0ES3_N6thrust23THRUST_200600_302600_NS6detail15normal_iteratorINS9_10device_ptrIiEEEENSB_INSC_IfEEEESG_fNS9_4plusIvEENS9_8equal_toIvEEfEE10hipError_tPvRmT2_T3_T4_T5_mT6_T7_P12ihipStream_tbENKUlT_T0_E_clISt17integral_constantIbLb1EES10_IbLb0EEEEDaSW_SX_EUlSW_E_NS1_11comp_targetILNS1_3genE5ELNS1_11target_archE942ELNS1_3gpuE9ELNS1_3repE0EEENS1_30default_config_static_selectorELNS0_4arch9wavefront6targetE1EEEvT1_
; %bb.0:
	.section	.rodata,"a",@progbits
	.p2align	6, 0x0
	.amdhsa_kernel _ZN7rocprim17ROCPRIM_400000_NS6detail17trampoline_kernelINS0_14default_configENS1_27scan_by_key_config_selectorIifEEZZNS1_16scan_by_key_implILNS1_25lookback_scan_determinismE0ELb0ES3_N6thrust23THRUST_200600_302600_NS6detail15normal_iteratorINS9_10device_ptrIiEEEENSB_INSC_IfEEEESG_fNS9_4plusIvEENS9_8equal_toIvEEfEE10hipError_tPvRmT2_T3_T4_T5_mT6_T7_P12ihipStream_tbENKUlT_T0_E_clISt17integral_constantIbLb1EES10_IbLb0EEEEDaSW_SX_EUlSW_E_NS1_11comp_targetILNS1_3genE5ELNS1_11target_archE942ELNS1_3gpuE9ELNS1_3repE0EEENS1_30default_config_static_selectorELNS0_4arch9wavefront6targetE1EEEvT1_
		.amdhsa_group_segment_fixed_size 0
		.amdhsa_private_segment_fixed_size 0
		.amdhsa_kernarg_size 112
		.amdhsa_user_sgpr_count 6
		.amdhsa_user_sgpr_private_segment_buffer 1
		.amdhsa_user_sgpr_dispatch_ptr 0
		.amdhsa_user_sgpr_queue_ptr 0
		.amdhsa_user_sgpr_kernarg_segment_ptr 1
		.amdhsa_user_sgpr_dispatch_id 0
		.amdhsa_user_sgpr_flat_scratch_init 0
		.amdhsa_user_sgpr_kernarg_preload_length 0
		.amdhsa_user_sgpr_kernarg_preload_offset 0
		.amdhsa_user_sgpr_private_segment_size 0
		.amdhsa_uses_dynamic_stack 0
		.amdhsa_system_sgpr_private_segment_wavefront_offset 0
		.amdhsa_system_sgpr_workgroup_id_x 1
		.amdhsa_system_sgpr_workgroup_id_y 0
		.amdhsa_system_sgpr_workgroup_id_z 0
		.amdhsa_system_sgpr_workgroup_info 0
		.amdhsa_system_vgpr_workitem_id 0
		.amdhsa_next_free_vgpr 1
		.amdhsa_next_free_sgpr 0
		.amdhsa_accum_offset 4
		.amdhsa_reserve_vcc 0
		.amdhsa_reserve_flat_scratch 0
		.amdhsa_float_round_mode_32 0
		.amdhsa_float_round_mode_16_64 0
		.amdhsa_float_denorm_mode_32 3
		.amdhsa_float_denorm_mode_16_64 3
		.amdhsa_dx10_clamp 1
		.amdhsa_ieee_mode 1
		.amdhsa_fp16_overflow 0
		.amdhsa_tg_split 0
		.amdhsa_exception_fp_ieee_invalid_op 0
		.amdhsa_exception_fp_denorm_src 0
		.amdhsa_exception_fp_ieee_div_zero 0
		.amdhsa_exception_fp_ieee_overflow 0
		.amdhsa_exception_fp_ieee_underflow 0
		.amdhsa_exception_fp_ieee_inexact 0
		.amdhsa_exception_int_div_zero 0
	.end_amdhsa_kernel
	.section	.text._ZN7rocprim17ROCPRIM_400000_NS6detail17trampoline_kernelINS0_14default_configENS1_27scan_by_key_config_selectorIifEEZZNS1_16scan_by_key_implILNS1_25lookback_scan_determinismE0ELb0ES3_N6thrust23THRUST_200600_302600_NS6detail15normal_iteratorINS9_10device_ptrIiEEEENSB_INSC_IfEEEESG_fNS9_4plusIvEENS9_8equal_toIvEEfEE10hipError_tPvRmT2_T3_T4_T5_mT6_T7_P12ihipStream_tbENKUlT_T0_E_clISt17integral_constantIbLb1EES10_IbLb0EEEEDaSW_SX_EUlSW_E_NS1_11comp_targetILNS1_3genE5ELNS1_11target_archE942ELNS1_3gpuE9ELNS1_3repE0EEENS1_30default_config_static_selectorELNS0_4arch9wavefront6targetE1EEEvT1_,"axG",@progbits,_ZN7rocprim17ROCPRIM_400000_NS6detail17trampoline_kernelINS0_14default_configENS1_27scan_by_key_config_selectorIifEEZZNS1_16scan_by_key_implILNS1_25lookback_scan_determinismE0ELb0ES3_N6thrust23THRUST_200600_302600_NS6detail15normal_iteratorINS9_10device_ptrIiEEEENSB_INSC_IfEEEESG_fNS9_4plusIvEENS9_8equal_toIvEEfEE10hipError_tPvRmT2_T3_T4_T5_mT6_T7_P12ihipStream_tbENKUlT_T0_E_clISt17integral_constantIbLb1EES10_IbLb0EEEEDaSW_SX_EUlSW_E_NS1_11comp_targetILNS1_3genE5ELNS1_11target_archE942ELNS1_3gpuE9ELNS1_3repE0EEENS1_30default_config_static_selectorELNS0_4arch9wavefront6targetE1EEEvT1_,comdat
.Lfunc_end1154:
	.size	_ZN7rocprim17ROCPRIM_400000_NS6detail17trampoline_kernelINS0_14default_configENS1_27scan_by_key_config_selectorIifEEZZNS1_16scan_by_key_implILNS1_25lookback_scan_determinismE0ELb0ES3_N6thrust23THRUST_200600_302600_NS6detail15normal_iteratorINS9_10device_ptrIiEEEENSB_INSC_IfEEEESG_fNS9_4plusIvEENS9_8equal_toIvEEfEE10hipError_tPvRmT2_T3_T4_T5_mT6_T7_P12ihipStream_tbENKUlT_T0_E_clISt17integral_constantIbLb1EES10_IbLb0EEEEDaSW_SX_EUlSW_E_NS1_11comp_targetILNS1_3genE5ELNS1_11target_archE942ELNS1_3gpuE9ELNS1_3repE0EEENS1_30default_config_static_selectorELNS0_4arch9wavefront6targetE1EEEvT1_, .Lfunc_end1154-_ZN7rocprim17ROCPRIM_400000_NS6detail17trampoline_kernelINS0_14default_configENS1_27scan_by_key_config_selectorIifEEZZNS1_16scan_by_key_implILNS1_25lookback_scan_determinismE0ELb0ES3_N6thrust23THRUST_200600_302600_NS6detail15normal_iteratorINS9_10device_ptrIiEEEENSB_INSC_IfEEEESG_fNS9_4plusIvEENS9_8equal_toIvEEfEE10hipError_tPvRmT2_T3_T4_T5_mT6_T7_P12ihipStream_tbENKUlT_T0_E_clISt17integral_constantIbLb1EES10_IbLb0EEEEDaSW_SX_EUlSW_E_NS1_11comp_targetILNS1_3genE5ELNS1_11target_archE942ELNS1_3gpuE9ELNS1_3repE0EEENS1_30default_config_static_selectorELNS0_4arch9wavefront6targetE1EEEvT1_
                                        ; -- End function
	.section	.AMDGPU.csdata,"",@progbits
; Kernel info:
; codeLenInByte = 0
; NumSgprs: 4
; NumVgprs: 0
; NumAgprs: 0
; TotalNumVgprs: 0
; ScratchSize: 0
; MemoryBound: 0
; FloatMode: 240
; IeeeMode: 1
; LDSByteSize: 0 bytes/workgroup (compile time only)
; SGPRBlocks: 0
; VGPRBlocks: 0
; NumSGPRsForWavesPerEU: 4
; NumVGPRsForWavesPerEU: 1
; AccumOffset: 4
; Occupancy: 8
; WaveLimiterHint : 0
; COMPUTE_PGM_RSRC2:SCRATCH_EN: 0
; COMPUTE_PGM_RSRC2:USER_SGPR: 6
; COMPUTE_PGM_RSRC2:TRAP_HANDLER: 0
; COMPUTE_PGM_RSRC2:TGID_X_EN: 1
; COMPUTE_PGM_RSRC2:TGID_Y_EN: 0
; COMPUTE_PGM_RSRC2:TGID_Z_EN: 0
; COMPUTE_PGM_RSRC2:TIDIG_COMP_CNT: 0
; COMPUTE_PGM_RSRC3_GFX90A:ACCUM_OFFSET: 0
; COMPUTE_PGM_RSRC3_GFX90A:TG_SPLIT: 0
	.section	.text._ZN7rocprim17ROCPRIM_400000_NS6detail17trampoline_kernelINS0_14default_configENS1_27scan_by_key_config_selectorIifEEZZNS1_16scan_by_key_implILNS1_25lookback_scan_determinismE0ELb0ES3_N6thrust23THRUST_200600_302600_NS6detail15normal_iteratorINS9_10device_ptrIiEEEENSB_INSC_IfEEEESG_fNS9_4plusIvEENS9_8equal_toIvEEfEE10hipError_tPvRmT2_T3_T4_T5_mT6_T7_P12ihipStream_tbENKUlT_T0_E_clISt17integral_constantIbLb1EES10_IbLb0EEEEDaSW_SX_EUlSW_E_NS1_11comp_targetILNS1_3genE4ELNS1_11target_archE910ELNS1_3gpuE8ELNS1_3repE0EEENS1_30default_config_static_selectorELNS0_4arch9wavefront6targetE1EEEvT1_,"axG",@progbits,_ZN7rocprim17ROCPRIM_400000_NS6detail17trampoline_kernelINS0_14default_configENS1_27scan_by_key_config_selectorIifEEZZNS1_16scan_by_key_implILNS1_25lookback_scan_determinismE0ELb0ES3_N6thrust23THRUST_200600_302600_NS6detail15normal_iteratorINS9_10device_ptrIiEEEENSB_INSC_IfEEEESG_fNS9_4plusIvEENS9_8equal_toIvEEfEE10hipError_tPvRmT2_T3_T4_T5_mT6_T7_P12ihipStream_tbENKUlT_T0_E_clISt17integral_constantIbLb1EES10_IbLb0EEEEDaSW_SX_EUlSW_E_NS1_11comp_targetILNS1_3genE4ELNS1_11target_archE910ELNS1_3gpuE8ELNS1_3repE0EEENS1_30default_config_static_selectorELNS0_4arch9wavefront6targetE1EEEvT1_,comdat
	.protected	_ZN7rocprim17ROCPRIM_400000_NS6detail17trampoline_kernelINS0_14default_configENS1_27scan_by_key_config_selectorIifEEZZNS1_16scan_by_key_implILNS1_25lookback_scan_determinismE0ELb0ES3_N6thrust23THRUST_200600_302600_NS6detail15normal_iteratorINS9_10device_ptrIiEEEENSB_INSC_IfEEEESG_fNS9_4plusIvEENS9_8equal_toIvEEfEE10hipError_tPvRmT2_T3_T4_T5_mT6_T7_P12ihipStream_tbENKUlT_T0_E_clISt17integral_constantIbLb1EES10_IbLb0EEEEDaSW_SX_EUlSW_E_NS1_11comp_targetILNS1_3genE4ELNS1_11target_archE910ELNS1_3gpuE8ELNS1_3repE0EEENS1_30default_config_static_selectorELNS0_4arch9wavefront6targetE1EEEvT1_ ; -- Begin function _ZN7rocprim17ROCPRIM_400000_NS6detail17trampoline_kernelINS0_14default_configENS1_27scan_by_key_config_selectorIifEEZZNS1_16scan_by_key_implILNS1_25lookback_scan_determinismE0ELb0ES3_N6thrust23THRUST_200600_302600_NS6detail15normal_iteratorINS9_10device_ptrIiEEEENSB_INSC_IfEEEESG_fNS9_4plusIvEENS9_8equal_toIvEEfEE10hipError_tPvRmT2_T3_T4_T5_mT6_T7_P12ihipStream_tbENKUlT_T0_E_clISt17integral_constantIbLb1EES10_IbLb0EEEEDaSW_SX_EUlSW_E_NS1_11comp_targetILNS1_3genE4ELNS1_11target_archE910ELNS1_3gpuE8ELNS1_3repE0EEENS1_30default_config_static_selectorELNS0_4arch9wavefront6targetE1EEEvT1_
	.globl	_ZN7rocprim17ROCPRIM_400000_NS6detail17trampoline_kernelINS0_14default_configENS1_27scan_by_key_config_selectorIifEEZZNS1_16scan_by_key_implILNS1_25lookback_scan_determinismE0ELb0ES3_N6thrust23THRUST_200600_302600_NS6detail15normal_iteratorINS9_10device_ptrIiEEEENSB_INSC_IfEEEESG_fNS9_4plusIvEENS9_8equal_toIvEEfEE10hipError_tPvRmT2_T3_T4_T5_mT6_T7_P12ihipStream_tbENKUlT_T0_E_clISt17integral_constantIbLb1EES10_IbLb0EEEEDaSW_SX_EUlSW_E_NS1_11comp_targetILNS1_3genE4ELNS1_11target_archE910ELNS1_3gpuE8ELNS1_3repE0EEENS1_30default_config_static_selectorELNS0_4arch9wavefront6targetE1EEEvT1_
	.p2align	8
	.type	_ZN7rocprim17ROCPRIM_400000_NS6detail17trampoline_kernelINS0_14default_configENS1_27scan_by_key_config_selectorIifEEZZNS1_16scan_by_key_implILNS1_25lookback_scan_determinismE0ELb0ES3_N6thrust23THRUST_200600_302600_NS6detail15normal_iteratorINS9_10device_ptrIiEEEENSB_INSC_IfEEEESG_fNS9_4plusIvEENS9_8equal_toIvEEfEE10hipError_tPvRmT2_T3_T4_T5_mT6_T7_P12ihipStream_tbENKUlT_T0_E_clISt17integral_constantIbLb1EES10_IbLb0EEEEDaSW_SX_EUlSW_E_NS1_11comp_targetILNS1_3genE4ELNS1_11target_archE910ELNS1_3gpuE8ELNS1_3repE0EEENS1_30default_config_static_selectorELNS0_4arch9wavefront6targetE1EEEvT1_,@function
_ZN7rocprim17ROCPRIM_400000_NS6detail17trampoline_kernelINS0_14default_configENS1_27scan_by_key_config_selectorIifEEZZNS1_16scan_by_key_implILNS1_25lookback_scan_determinismE0ELb0ES3_N6thrust23THRUST_200600_302600_NS6detail15normal_iteratorINS9_10device_ptrIiEEEENSB_INSC_IfEEEESG_fNS9_4plusIvEENS9_8equal_toIvEEfEE10hipError_tPvRmT2_T3_T4_T5_mT6_T7_P12ihipStream_tbENKUlT_T0_E_clISt17integral_constantIbLb1EES10_IbLb0EEEEDaSW_SX_EUlSW_E_NS1_11comp_targetILNS1_3genE4ELNS1_11target_archE910ELNS1_3gpuE8ELNS1_3repE0EEENS1_30default_config_static_selectorELNS0_4arch9wavefront6targetE1EEEvT1_: ; @_ZN7rocprim17ROCPRIM_400000_NS6detail17trampoline_kernelINS0_14default_configENS1_27scan_by_key_config_selectorIifEEZZNS1_16scan_by_key_implILNS1_25lookback_scan_determinismE0ELb0ES3_N6thrust23THRUST_200600_302600_NS6detail15normal_iteratorINS9_10device_ptrIiEEEENSB_INSC_IfEEEESG_fNS9_4plusIvEENS9_8equal_toIvEEfEE10hipError_tPvRmT2_T3_T4_T5_mT6_T7_P12ihipStream_tbENKUlT_T0_E_clISt17integral_constantIbLb1EES10_IbLb0EEEEDaSW_SX_EUlSW_E_NS1_11comp_targetILNS1_3genE4ELNS1_11target_archE910ELNS1_3gpuE8ELNS1_3repE0EEENS1_30default_config_static_selectorELNS0_4arch9wavefront6targetE1EEEvT1_
; %bb.0:
	s_load_dwordx8 s[36:43], s[4:5], 0x0
	s_load_dwordx4 s[52:55], s[4:5], 0x28
	s_load_dwordx2 s[56:57], s[4:5], 0x38
	s_load_dword s0, s[4:5], 0x40
	s_load_dwordx8 s[44:51], s[4:5], 0x48
	s_waitcnt lgkmcnt(0)
	s_lshl_b64 s[34:35], s[38:39], 2
	s_add_u32 s2, s36, s34
	s_addc_u32 s3, s37, s35
	s_add_u32 s4, s40, s34
	s_mul_i32 s1, s57, s0
	s_mul_hi_u32 s7, s56, s0
	s_addc_u32 s5, s41, s35
	s_add_i32 s8, s7, s1
	s_mul_i32 s9, s56, s0
	s_cmp_lg_u64 s[48:49], 0
	s_mul_i32 s0, s6, 0xe00
	s_mov_b32 s1, 0
	s_cselect_b64 s[40:41], -1, 0
	s_lshl_b64 s[36:37], s[0:1], 2
	s_add_u32 s38, s2, s36
	s_addc_u32 s39, s3, s37
	s_add_u32 s7, s4, s36
	s_addc_u32 s55, s5, s37
	;; [unrolled: 2-line block ×3, first 2 shown]
	s_add_u32 s2, s44, -1
	s_addc_u32 s3, s45, -1
	v_pk_mov_b32 v[2:3], s[2:3], s[2:3] op_sel:[0,1]
	v_cmp_ge_u64_e64 s[0:1], s[48:49], v[2:3]
	s_mov_b64 s[12:13], 0
	s_mov_b64 s[8:9], -1
	s_and_b64 vcc, exec, s[0:1]
	s_mul_i32 s33, s2, 0xfffff200
	s_barrier
	s_cbranch_vccz .LBB1155_77
; %bb.1:
	v_pk_mov_b32 v[2:3], s[38:39], s[38:39] op_sel:[0,1]
	flat_load_dword v2, v[2:3]
	s_add_i32 s62, s33, s54
	v_cmp_gt_u32_e64 s[2:3], s62, v0
	s_waitcnt vmcnt(0) lgkmcnt(0)
	v_mov_b32_e32 v3, v2
	s_and_saveexec_b64 s[4:5], s[2:3]
	s_cbranch_execz .LBB1155_3
; %bb.2:
	v_lshlrev_b32_e32 v1, 2, v0
	v_mov_b32_e32 v3, s39
	v_add_co_u32_e32 v4, vcc, s38, v1
	v_addc_co_u32_e32 v5, vcc, 0, v3, vcc
	flat_load_dword v3, v[4:5]
.LBB1155_3:
	s_or_b64 exec, exec, s[4:5]
	v_or_b32_e32 v1, 0x100, v0
	v_cmp_gt_u32_e64 s[4:5], s62, v1
	v_mov_b32_e32 v4, v2
	s_and_saveexec_b64 s[8:9], s[4:5]
	s_cbranch_execz .LBB1155_5
; %bb.4:
	v_lshlrev_b32_e32 v1, 2, v0
	v_mov_b32_e32 v5, s39
	v_add_co_u32_e32 v4, vcc, s38, v1
	v_addc_co_u32_e32 v5, vcc, 0, v5, vcc
	flat_load_dword v4, v[4:5] offset:1024
.LBB1155_5:
	s_or_b64 exec, exec, s[8:9]
	v_or_b32_e32 v1, 0x200, v0
	v_cmp_gt_u32_e64 s[30:31], s62, v1
	v_mov_b32_e32 v5, v2
	s_and_saveexec_b64 s[8:9], s[30:31]
	s_cbranch_execz .LBB1155_7
; %bb.6:
	v_lshlrev_b32_e32 v1, 2, v0
	v_mov_b32_e32 v5, s39
	v_add_co_u32_e32 v6, vcc, s38, v1
	v_addc_co_u32_e32 v7, vcc, 0, v5, vcc
	flat_load_dword v5, v[6:7] offset:2048
.LBB1155_7:
	;; [unrolled: 13-line block ×3, first 2 shown]
	s_or_b64 exec, exec, s[10:11]
	v_or_b32_e32 v1, 0x400, v0
	v_cmp_gt_u32_e64 s[10:11], s62, v1
	v_mov_b32_e32 v7, v2
	s_and_saveexec_b64 s[12:13], s[10:11]
	s_cbranch_execz .LBB1155_11
; %bb.10:
	v_lshlrev_b32_e32 v7, 2, v1
	v_mov_b32_e32 v9, s39
	v_add_co_u32_e32 v8, vcc, s38, v7
	v_addc_co_u32_e32 v9, vcc, 0, v9, vcc
	flat_load_dword v7, v[8:9]
.LBB1155_11:
	s_or_b64 exec, exec, s[12:13]
	v_or_b32_e32 v14, 0x500, v0
	v_cmp_gt_u32_e64 s[12:13], s62, v14
	v_mov_b32_e32 v8, v2
	s_and_saveexec_b64 s[14:15], s[12:13]
	s_cbranch_execz .LBB1155_13
; %bb.12:
	v_lshlrev_b32_e32 v8, 2, v14
	v_mov_b32_e32 v9, s39
	v_add_co_u32_e32 v8, vcc, s38, v8
	v_addc_co_u32_e32 v9, vcc, 0, v9, vcc
	flat_load_dword v8, v[8:9]
.LBB1155_13:
	;; [unrolled: 13-line block ×9, first 2 shown]
	s_or_b64 exec, exec, s[28:29]
	v_or_b32_e32 v23, 0xd00, v0
	v_cmp_gt_u32_e64 s[28:29], s62, v23
	s_and_saveexec_b64 s[44:45], s[28:29]
	s_cbranch_execz .LBB1155_29
; %bb.28:
	v_lshlrev_b32_e32 v2, 2, v23
	v_mov_b32_e32 v24, s39
	v_add_co_u32_e32 v26, vcc, s38, v2
	v_addc_co_u32_e32 v27, vcc, 0, v24, vcc
	flat_load_dword v2, v[26:27]
.LBB1155_29:
	s_or_b64 exec, exec, s[44:45]
	v_lshlrev_b32_e32 v24, 2, v0
	s_waitcnt vmcnt(0) lgkmcnt(0)
	ds_write2st64_b32 v24, v3, v4 offset1:4
	ds_write2st64_b32 v24, v5, v6 offset0:8 offset1:12
	ds_write2st64_b32 v24, v7, v8 offset0:16 offset1:20
	;; [unrolled: 1-line block ×6, first 2 shown]
	v_mad_u32_u24 v15, v0, 52, v24
	s_waitcnt lgkmcnt(0)
	s_barrier
	ds_read2_b64 v[10:13], v15 offset1:1
	ds_read2_b64 v[6:9], v15 offset0:2 offset1:3
	ds_read2_b64 v[2:5], v15 offset0:4 offset1:5
	ds_read_b64 v[40:41], v15 offset:48
	s_cmp_eq_u64 s[48:49], 0
	s_mov_b64 s[44:45], s[38:39]
	s_cbranch_scc1 .LBB1155_33
; %bb.30:
	s_andn2_b64 vcc, exec, s[40:41]
	s_cbranch_vccnz .LBB1155_229
; %bb.31:
	s_lshl_b64 s[44:45], s[48:49], 2
	s_add_u32 s44, s50, s44
	s_addc_u32 s45, s51, s45
	s_add_u32 s44, s44, -4
	s_addc_u32 s45, s45, -1
	s_cbranch_execnz .LBB1155_33
.LBB1155_32:
	s_add_u32 s44, s38, -4
	s_addc_u32 s45, s39, -1
.LBB1155_33:
	v_pk_mov_b32 v[26:27], s[44:45], s[44:45] op_sel:[0,1]
	flat_load_dword v55, v[26:27]
	s_movk_i32 s44, 0xffcc
	v_mad_i32_i24 v25, v0, s44, v15
	v_cmp_ne_u32_e32 vcc, 0, v0
	s_waitcnt lgkmcnt(0)
	ds_write_b32 v25, v41 offset:14336
	s_waitcnt lgkmcnt(0)
	s_barrier
	s_and_saveexec_b64 s[44:45], vcc
	s_cbranch_execz .LBB1155_35
; %bb.34:
	v_mul_i32_i24_e32 v25, 0xffffffcc, v0
	v_add_u32_e32 v25, v15, v25
	s_waitcnt vmcnt(0)
	ds_read_b32 v55, v25 offset:14332
.LBB1155_35:
	s_or_b64 exec, exec, s[44:45]
	s_waitcnt lgkmcnt(0)
	s_barrier
	s_waitcnt lgkmcnt(0)
                                        ; implicit-def: $vgpr25
	s_and_saveexec_b64 s[44:45], s[2:3]
	s_cbranch_execnz .LBB1155_216
; %bb.36:
	s_or_b64 exec, exec, s[44:45]
                                        ; implicit-def: $vgpr26
	s_and_saveexec_b64 s[2:3], s[4:5]
	s_cbranch_execnz .LBB1155_217
.LBB1155_37:
	s_or_b64 exec, exec, s[2:3]
                                        ; implicit-def: $vgpr27
	s_and_saveexec_b64 s[2:3], s[30:31]
	s_cbranch_execnz .LBB1155_218
.LBB1155_38:
	s_or_b64 exec, exec, s[2:3]
                                        ; implicit-def: $vgpr28
	s_and_saveexec_b64 s[2:3], s[8:9]
	s_cbranch_execnz .LBB1155_219
.LBB1155_39:
	s_or_b64 exec, exec, s[2:3]
                                        ; implicit-def: $vgpr29
	s_and_saveexec_b64 s[2:3], s[10:11]
	s_cbranch_execnz .LBB1155_220
.LBB1155_40:
	s_or_b64 exec, exec, s[2:3]
                                        ; implicit-def: $vgpr1
	s_and_saveexec_b64 s[2:3], s[12:13]
	s_cbranch_execnz .LBB1155_221
.LBB1155_41:
	s_or_b64 exec, exec, s[2:3]
                                        ; implicit-def: $vgpr14
	s_and_saveexec_b64 s[2:3], s[14:15]
	s_cbranch_execnz .LBB1155_222
.LBB1155_42:
	s_or_b64 exec, exec, s[2:3]
                                        ; implicit-def: $vgpr16
	s_and_saveexec_b64 s[2:3], s[16:17]
	s_cbranch_execnz .LBB1155_223
.LBB1155_43:
	s_or_b64 exec, exec, s[2:3]
                                        ; implicit-def: $vgpr17
	s_and_saveexec_b64 s[2:3], s[18:19]
	s_cbranch_execnz .LBB1155_224
.LBB1155_44:
	s_or_b64 exec, exec, s[2:3]
                                        ; implicit-def: $vgpr18
	s_and_saveexec_b64 s[2:3], s[20:21]
	s_cbranch_execnz .LBB1155_225
.LBB1155_45:
	s_or_b64 exec, exec, s[2:3]
                                        ; implicit-def: $vgpr19
	s_and_saveexec_b64 s[2:3], s[22:23]
	s_cbranch_execnz .LBB1155_226
.LBB1155_46:
	s_or_b64 exec, exec, s[2:3]
                                        ; implicit-def: $vgpr20
	s_and_saveexec_b64 s[2:3], s[24:25]
	s_cbranch_execnz .LBB1155_227
.LBB1155_47:
	s_or_b64 exec, exec, s[2:3]
                                        ; implicit-def: $vgpr21
	s_and_saveexec_b64 s[2:3], s[26:27]
	s_cbranch_execnz .LBB1155_228
.LBB1155_48:
	s_or_b64 exec, exec, s[2:3]
                                        ; implicit-def: $vgpr22
	s_and_saveexec_b64 s[2:3], s[28:29]
	s_cbranch_execz .LBB1155_50
.LBB1155_49:
	v_lshlrev_b32_e32 v22, 2, v23
	v_mov_b32_e32 v23, s55
	v_add_co_u32_e32 v22, vcc, s7, v22
	v_addc_co_u32_e32 v23, vcc, 0, v23, vcc
	flat_load_dword v22, v[22:23]
.LBB1155_50:
	s_or_b64 exec, exec, s[2:3]
	s_mov_b32 s4, 0
	v_mul_u32_u24_e32 v54, 14, v0
	s_mov_b32 s5, s4
	s_waitcnt vmcnt(0) lgkmcnt(0)
	ds_write2st64_b32 v24, v25, v26 offset1:4
	ds_write2st64_b32 v24, v27, v28 offset0:8 offset1:12
	ds_write2st64_b32 v24, v29, v1 offset0:16 offset1:20
	;; [unrolled: 1-line block ×6, first 2 shown]
	v_cmp_gt_u32_e32 vcc, s62, v54
	s_mov_b64 s[8:9], 0
	v_pk_mov_b32 v[16:17], s[4:5], s[4:5] op_sel:[0,1]
	v_mov_b32_e32 v1, 0
	v_mov_b32_e32 v14, 0
	s_mov_b64 s[12:13], 0
	v_pk_mov_b32 v[18:19], s[4:5], s[4:5] op_sel:[0,1]
	v_pk_mov_b32 v[20:21], s[4:5], s[4:5] op_sel:[0,1]
	;; [unrolled: 1-line block ×5, first 2 shown]
	v_mov_b32_e32 v47, 0
	v_mov_b32_e32 v53, 0
	;; [unrolled: 1-line block ×12, first 2 shown]
	s_waitcnt lgkmcnt(0)
	s_barrier
	s_waitcnt lgkmcnt(0)
                                        ; implicit-def: $sgpr2_sgpr3
                                        ; implicit-def: $vgpr38_vgpr39
                                        ; implicit-def: $vgpr36_vgpr37
                                        ; implicit-def: $vgpr34_vgpr35
                                        ; implicit-def: $vgpr32_vgpr33
                                        ; implicit-def: $vgpr30_vgpr31
                                        ; implicit-def: $vgpr28_vgpr29
	s_and_saveexec_b64 s[10:11], vcc
	s_cbranch_execz .LBB1155_76
; %bb.51:
	ds_read_b32 v14, v15
	s_mov_b32 s20, 0
	v_cmp_ne_u32_e32 vcc, v55, v10
	v_or_b32_e32 v16, 1, v54
	s_mov_b32 s21, s20
	v_cndmask_b32_e64 v1, 0, 1, vcc
	v_cmp_gt_u32_e32 vcc, s62, v16
	s_mov_b64 s[14:15], 0
	v_pk_mov_b32 v[16:17], s[20:21], s[20:21] op_sel:[0,1]
	v_mov_b32_e32 v47, 0
	v_pk_mov_b32 v[18:19], s[20:21], s[20:21] op_sel:[0,1]
	v_pk_mov_b32 v[20:21], s[20:21], s[20:21] op_sel:[0,1]
	;; [unrolled: 1-line block ×5, first 2 shown]
	v_mov_b32_e32 v53, 0
	v_mov_b32_e32 v42, 0
	;; [unrolled: 1-line block ×11, first 2 shown]
                                        ; implicit-def: $sgpr2_sgpr3
                                        ; implicit-def: $vgpr38_vgpr39
                                        ; implicit-def: $vgpr36_vgpr37
                                        ; implicit-def: $vgpr34_vgpr35
                                        ; implicit-def: $vgpr32_vgpr33
                                        ; implicit-def: $vgpr30_vgpr31
                                        ; implicit-def: $vgpr28_vgpr29
	s_and_saveexec_b64 s[12:13], vcc
	s_cbranch_execz .LBB1155_75
; %bb.52:
	ds_read2_b32 v[28:29], v15 offset0:1 offset1:2
	v_cmp_ne_u32_e32 vcc, v10, v11
	v_add_u32_e32 v10, 2, v54
	v_mov_b32_e32 v27, 0
	v_cndmask_b32_e64 v42, 0, 1, vcc
	v_cmp_gt_u32_e32 vcc, s62, v10
	s_waitcnt lgkmcnt(0)
	v_mov_b32_e32 v26, v28
	s_mov_b64 s[16:17], 0
	v_pk_mov_b32 v[16:17], s[20:21], s[20:21] op_sel:[0,1]
	v_pk_mov_b32 v[18:19], s[20:21], s[20:21] op_sel:[0,1]
	;; [unrolled: 1-line block ×5, first 2 shown]
	v_mov_b32_e32 v47, v27
	v_mov_b32_e32 v53, v27
	;; [unrolled: 1-line block ×11, first 2 shown]
                                        ; implicit-def: $sgpr2_sgpr3
                                        ; implicit-def: $vgpr38_vgpr39
                                        ; implicit-def: $vgpr36_vgpr37
                                        ; implicit-def: $vgpr34_vgpr35
                                        ; implicit-def: $vgpr32_vgpr33
                                        ; implicit-def: $vgpr30_vgpr31
	s_and_saveexec_b64 s[14:15], vcc
	s_cbranch_execz .LBB1155_74
; %bb.53:
	v_cmp_ne_u32_e32 vcc, v11, v12
	v_add_u32_e32 v10, 3, v54
	s_mov_b32 s21, s20
	v_cndmask_b32_e64 v43, 0, 1, vcc
	v_cmp_gt_u32_e32 vcc, s62, v10
	s_mov_b64 s[18:19], 0
	s_mov_b32 s24, 0
	v_pk_mov_b32 v[16:17], s[20:21], s[20:21] op_sel:[0,1]
	v_mov_b32_e32 v47, 0
	v_pk_mov_b32 v[18:19], s[20:21], s[20:21] op_sel:[0,1]
	v_pk_mov_b32 v[20:21], s[20:21], s[20:21] op_sel:[0,1]
	;; [unrolled: 1-line block ×4, first 2 shown]
	v_mov_b32_e32 v53, 0
	v_mov_b32_e32 v52, 0
	;; [unrolled: 1-line block ×9, first 2 shown]
                                        ; implicit-def: $sgpr2_sgpr3
                                        ; implicit-def: $vgpr38_vgpr39
                                        ; implicit-def: $vgpr36_vgpr37
                                        ; implicit-def: $vgpr34_vgpr35
                                        ; implicit-def: $vgpr32_vgpr33
                                        ; implicit-def: $vgpr30_vgpr31
	s_and_saveexec_b64 s[16:17], vcc
	s_cbranch_execz .LBB1155_73
; %bb.54:
	ds_read2_b32 v[30:31], v15 offset0:3 offset1:4
	v_cmp_ne_u32_e32 vcc, v12, v13
	v_add_u32_e32 v10, 4, v54
	v_mov_b32_e32 v25, 0
	s_mov_b32 s25, s24
	v_cndmask_b32_e64 v44, 0, 1, vcc
	v_cmp_gt_u32_e32 vcc, s62, v10
	s_waitcnt lgkmcnt(0)
	v_mov_b32_e32 v24, v30
	s_mov_b64 s[20:21], 0
	v_pk_mov_b32 v[16:17], s[24:25], s[24:25] op_sel:[0,1]
	v_pk_mov_b32 v[18:19], s[24:25], s[24:25] op_sel:[0,1]
	;; [unrolled: 1-line block ×4, first 2 shown]
	v_mov_b32_e32 v47, v25
	v_mov_b32_e32 v53, v25
	;; [unrolled: 1-line block ×9, first 2 shown]
                                        ; implicit-def: $sgpr2_sgpr3
                                        ; implicit-def: $vgpr38_vgpr39
                                        ; implicit-def: $vgpr36_vgpr37
                                        ; implicit-def: $vgpr34_vgpr35
                                        ; implicit-def: $vgpr32_vgpr33
	s_and_saveexec_b64 s[18:19], vcc
	s_cbranch_execz .LBB1155_72
; %bb.55:
	v_cmp_ne_u32_e32 vcc, v13, v6
	v_add_u32_e32 v10, 5, v54
	v_cndmask_b32_e64 v45, 0, 1, vcc
	v_cmp_gt_u32_e32 vcc, s62, v10
	s_mov_b64 s[22:23], 0
	s_mov_b32 s28, 0
	v_pk_mov_b32 v[16:17], s[24:25], s[24:25] op_sel:[0,1]
	v_mov_b32_e32 v47, 0
	v_pk_mov_b32 v[18:19], s[24:25], s[24:25] op_sel:[0,1]
	v_pk_mov_b32 v[20:21], s[24:25], s[24:25] op_sel:[0,1]
	v_pk_mov_b32 v[22:23], s[24:25], s[24:25] op_sel:[0,1]
	v_mov_b32_e32 v53, 0
	v_mov_b32_e32 v52, 0
	;; [unrolled: 1-line block ×7, first 2 shown]
                                        ; implicit-def: $sgpr2_sgpr3
                                        ; implicit-def: $vgpr38_vgpr39
                                        ; implicit-def: $vgpr36_vgpr37
                                        ; implicit-def: $vgpr34_vgpr35
                                        ; implicit-def: $vgpr32_vgpr33
	s_and_saveexec_b64 s[20:21], vcc
	s_cbranch_execz .LBB1155_71
; %bb.56:
	ds_read2_b32 v[32:33], v15 offset0:5 offset1:6
	v_cmp_ne_u32_e32 vcc, v6, v7
	v_add_u32_e32 v6, 6, v54
	v_mov_b32_e32 v23, 0
	s_mov_b32 s29, s28
	v_cndmask_b32_e64 v46, 0, 1, vcc
	v_cmp_gt_u32_e32 vcc, s62, v6
	s_waitcnt lgkmcnt(0)
	v_mov_b32_e32 v22, v32
	s_mov_b64 s[24:25], 0
	v_pk_mov_b32 v[16:17], s[28:29], s[28:29] op_sel:[0,1]
	v_pk_mov_b32 v[18:19], s[28:29], s[28:29] op_sel:[0,1]
	;; [unrolled: 1-line block ×3, first 2 shown]
	v_mov_b32_e32 v47, v23
	v_mov_b32_e32 v53, v23
	;; [unrolled: 1-line block ×7, first 2 shown]
                                        ; implicit-def: $sgpr2_sgpr3
                                        ; implicit-def: $vgpr38_vgpr39
                                        ; implicit-def: $vgpr36_vgpr37
                                        ; implicit-def: $vgpr34_vgpr35
	s_and_saveexec_b64 s[22:23], vcc
	s_cbranch_execz .LBB1155_70
; %bb.57:
	v_cmp_ne_u32_e32 vcc, v7, v8
	v_add_u32_e32 v6, 7, v54
	v_cndmask_b32_e64 v48, 0, 1, vcc
	v_cmp_gt_u32_e32 vcc, s62, v6
	s_mov_b64 s[26:27], 0
	s_mov_b32 s44, 0
	v_pk_mov_b32 v[16:17], s[28:29], s[28:29] op_sel:[0,1]
	v_mov_b32_e32 v47, 0
	v_pk_mov_b32 v[18:19], s[28:29], s[28:29] op_sel:[0,1]
	v_pk_mov_b32 v[20:21], s[28:29], s[28:29] op_sel:[0,1]
	v_mov_b32_e32 v53, 0
	v_mov_b32_e32 v52, 0
	;; [unrolled: 1-line block ×5, first 2 shown]
                                        ; implicit-def: $sgpr2_sgpr3
                                        ; implicit-def: $vgpr38_vgpr39
                                        ; implicit-def: $vgpr36_vgpr37
                                        ; implicit-def: $vgpr34_vgpr35
	s_and_saveexec_b64 s[24:25], vcc
	s_cbranch_execz .LBB1155_69
; %bb.58:
	ds_read2_b32 v[34:35], v15 offset0:7 offset1:8
	v_cmp_ne_u32_e32 vcc, v8, v9
	v_add_u32_e32 v6, 8, v54
	v_mov_b32_e32 v21, 0
	s_mov_b32 s45, s44
	v_cndmask_b32_e64 v49, 0, 1, vcc
	v_cmp_gt_u32_e32 vcc, s62, v6
	s_waitcnt lgkmcnt(0)
	v_mov_b32_e32 v20, v34
	s_mov_b64 s[28:29], 0
	v_pk_mov_b32 v[16:17], s[44:45], s[44:45] op_sel:[0,1]
	v_pk_mov_b32 v[18:19], s[44:45], s[44:45] op_sel:[0,1]
	v_mov_b32_e32 v47, v21
	v_mov_b32_e32 v53, v21
	;; [unrolled: 1-line block ×5, first 2 shown]
                                        ; implicit-def: $sgpr2_sgpr3
                                        ; implicit-def: $vgpr38_vgpr39
                                        ; implicit-def: $vgpr36_vgpr37
	s_and_saveexec_b64 s[26:27], vcc
	s_cbranch_execz .LBB1155_68
; %bb.59:
	v_cmp_ne_u32_e32 vcc, v9, v2
	v_add_u32_e32 v6, 9, v54
	v_cndmask_b32_e64 v50, 0, 1, vcc
	v_cmp_gt_u32_e32 vcc, s62, v6
	s_mov_b64 s[30:31], 0
	s_mov_b32 s60, 0
	v_pk_mov_b32 v[16:17], s[44:45], s[44:45] op_sel:[0,1]
	v_mov_b32_e32 v47, 0
	v_pk_mov_b32 v[18:19], s[44:45], s[44:45] op_sel:[0,1]
	v_mov_b32_e32 v53, 0
	v_mov_b32_e32 v52, 0
	;; [unrolled: 1-line block ×3, first 2 shown]
                                        ; implicit-def: $sgpr2_sgpr3
                                        ; implicit-def: $vgpr38_vgpr39
                                        ; implicit-def: $vgpr36_vgpr37
	s_and_saveexec_b64 s[28:29], vcc
	s_cbranch_execz .LBB1155_67
; %bb.60:
	ds_read2_b32 v[36:37], v15 offset0:9 offset1:10
	v_cmp_ne_u32_e32 vcc, v2, v3
	v_add_u32_e32 v2, 10, v54
	v_mov_b32_e32 v19, 0
	s_mov_b32 s61, s60
	v_cndmask_b32_e64 v51, 0, 1, vcc
	v_cmp_gt_u32_e32 vcc, s62, v2
	s_waitcnt lgkmcnt(0)
	v_mov_b32_e32 v18, v36
	s_mov_b64 s[44:45], 0
	v_pk_mov_b32 v[16:17], s[60:61], s[60:61] op_sel:[0,1]
	v_mov_b32_e32 v47, v19
	v_mov_b32_e32 v53, v19
	;; [unrolled: 1-line block ×3, first 2 shown]
                                        ; implicit-def: $sgpr2_sgpr3
                                        ; implicit-def: $vgpr38_vgpr39
	s_and_saveexec_b64 s[30:31], vcc
	s_cbranch_execz .LBB1155_66
; %bb.61:
	v_cmp_ne_u32_e32 vcc, v3, v4
	v_add_u32_e32 v2, 11, v54
	v_cndmask_b32_e64 v52, 0, 1, vcc
	v_cmp_gt_u32_e32 vcc, s62, v2
	s_mov_b64 s[58:59], 0
	v_pk_mov_b32 v[16:17], s[60:61], s[60:61] op_sel:[0,1]
	v_mov_b32_e32 v47, 0
	v_mov_b32_e32 v53, 0
                                        ; implicit-def: $sgpr60_sgpr61
                                        ; implicit-def: $vgpr38_vgpr39
	s_and_saveexec_b64 s[44:45], vcc
	s_cbranch_execz .LBB1155_65
; %bb.62:
	ds_read2_b32 v[38:39], v15 offset0:11 offset1:12
	v_cmp_ne_u32_e32 vcc, v4, v5
	v_add_u32_e32 v2, 12, v54
	v_mov_b32_e32 v17, 0
	v_cndmask_b32_e64 v53, 0, 1, vcc
	v_cmp_gt_u32_e32 vcc, s62, v2
	s_waitcnt lgkmcnt(0)
	v_mov_b32_e32 v16, v38
	s_mov_b64 s[2:3], 0
	v_mov_b32_e32 v47, v17
                                        ; implicit-def: $sgpr58_sgpr59
	s_and_saveexec_b64 s[60:61], vcc
	s_xor_b64 s[60:61], exec, s[60:61]
	s_cbranch_execz .LBB1155_64
; %bb.63:
	ds_read_b32 v15, v15 offset:52
	v_cmp_ne_u32_e64 s[2:3], v5, v40
	v_add_u32_e32 v2, 13, v54
	v_cmp_ne_u32_e32 vcc, v40, v41
	v_cndmask_b32_e64 v47, 0, 1, s[2:3]
	v_cmp_gt_u32_e64 s[2:3], s62, v2
	s_and_b64 s[58:59], vcc, exec
	s_and_b64 s[2:3], s[2:3], exec
	v_pk_mov_b32 v[16:17], v[38:39], v[38:39] op_sel:[0,1]
.LBB1155_64:
	s_or_b64 exec, exec, s[60:61]
	s_and_b64 s[60:61], s[58:59], exec
	s_and_b64 s[58:59], s[2:3], exec
.LBB1155_65:
	s_or_b64 exec, exec, s[44:45]
	s_and_b64 s[2:3], s[60:61], exec
	s_and_b64 s[44:45], s[58:59], exec
	v_pk_mov_b32 v[18:19], v[36:37], v[36:37] op_sel:[0,1]
.LBB1155_66:
	s_or_b64 exec, exec, s[30:31]
	s_and_b64 s[2:3], s[2:3], exec
	s_and_b64 s[30:31], s[44:45], exec
.LBB1155_67:
	s_or_b64 exec, exec, s[28:29]
	s_and_b64 s[2:3], s[2:3], exec
	s_and_b64 s[28:29], s[30:31], exec
	v_pk_mov_b32 v[20:21], v[34:35], v[34:35] op_sel:[0,1]
.LBB1155_68:
	s_or_b64 exec, exec, s[26:27]
	s_and_b64 s[2:3], s[2:3], exec
	s_and_b64 s[26:27], s[28:29], exec
.LBB1155_69:
	s_or_b64 exec, exec, s[24:25]
	s_and_b64 s[2:3], s[2:3], exec
	s_and_b64 s[24:25], s[26:27], exec
	v_pk_mov_b32 v[22:23], v[32:33], v[32:33] op_sel:[0,1]
.LBB1155_70:
	s_or_b64 exec, exec, s[22:23]
	s_and_b64 s[2:3], s[2:3], exec
	s_and_b64 s[22:23], s[24:25], exec
.LBB1155_71:
	s_or_b64 exec, exec, s[20:21]
	s_and_b64 s[2:3], s[2:3], exec
	s_and_b64 s[20:21], s[22:23], exec
	v_pk_mov_b32 v[24:25], v[30:31], v[30:31] op_sel:[0,1]
.LBB1155_72:
	s_or_b64 exec, exec, s[18:19]
	s_and_b64 s[2:3], s[2:3], exec
	s_and_b64 s[18:19], s[20:21], exec
.LBB1155_73:
	s_or_b64 exec, exec, s[16:17]
	s_and_b64 s[2:3], s[2:3], exec
	s_and_b64 s[16:17], s[18:19], exec
	v_pk_mov_b32 v[26:27], v[28:29], v[28:29] op_sel:[0,1]
.LBB1155_74:
	s_or_b64 exec, exec, s[14:15]
	s_and_b64 s[2:3], s[2:3], exec
	s_and_b64 s[14:15], s[16:17], exec
.LBB1155_75:
	s_or_b64 exec, exec, s[12:13]
	s_and_b64 s[2:3], s[2:3], exec
	s_and_b64 s[12:13], s[14:15], exec
.LBB1155_76:
	s_or_b64 exec, exec, s[10:11]
	s_mov_b32 s5, 0
	s_and_b64 vcc, exec, s[8:9]
	v_lshlrev_b32_e32 v40, 2, v0
	s_cbranch_vccnz .LBB1155_78
	s_branch .LBB1155_86
.LBB1155_77:
                                        ; implicit-def: $sgpr2_sgpr3
                                        ; implicit-def: $vgpr38_vgpr39
                                        ; implicit-def: $vgpr36_vgpr37
                                        ; implicit-def: $vgpr34_vgpr35
                                        ; implicit-def: $vgpr32_vgpr33
                                        ; implicit-def: $vgpr30_vgpr31
                                        ; implicit-def: $vgpr28_vgpr29
                                        ; implicit-def: $vgpr15
                                        ; implicit-def: $vgpr1
                                        ; implicit-def: $vgpr47
                                        ; implicit-def: $vgpr53
                                        ; implicit-def: $vgpr42
                                        ; implicit-def: $vgpr52
                                        ; implicit-def: $vgpr51
                                        ; implicit-def: $vgpr43
                                        ; implicit-def: $vgpr50
                                        ; implicit-def: $vgpr49
                                        ; implicit-def: $vgpr44
                                        ; implicit-def: $vgpr48
                                        ; implicit-def: $vgpr46
                                        ; implicit-def: $vgpr45
                                        ; implicit-def: $vgpr16_vgpr17
                                        ; implicit-def: $vgpr18_vgpr19
                                        ; implicit-def: $vgpr20_vgpr21
                                        ; implicit-def: $vgpr22_vgpr23
                                        ; implicit-def: $vgpr24_vgpr25
                                        ; implicit-def: $vgpr26_vgpr27
                                        ; implicit-def: $sgpr5
                                        ; implicit-def: $sgpr4
	s_and_b64 vcc, exec, s[8:9]
	v_lshlrev_b32_e32 v40, 2, v0
	s_cbranch_vccz .LBB1155_86
.LBB1155_78:
	v_mov_b32_e32 v1, s39
	v_add_co_u32_e32 v2, vcc, s38, v40
	v_addc_co_u32_e32 v3, vcc, 0, v1, vcc
	v_add_co_u32_e32 v4, vcc, 0x1000, v2
	v_addc_co_u32_e32 v5, vcc, 0, v3, vcc
	flat_load_dword v6, v[2:3]
	flat_load_dword v7, v[2:3] offset:1024
	flat_load_dword v8, v[2:3] offset:2048
	;; [unrolled: 1-line block ×3, first 2 shown]
	flat_load_dword v10, v[4:5]
	flat_load_dword v11, v[4:5] offset:1024
	flat_load_dword v12, v[4:5] offset:2048
	;; [unrolled: 1-line block ×3, first 2 shown]
	v_add_co_u32_e32 v4, vcc, 0x2000, v2
	v_addc_co_u32_e32 v5, vcc, 0, v3, vcc
	v_add_co_u32_e32 v2, vcc, 0x3000, v2
	v_addc_co_u32_e32 v3, vcc, 0, v3, vcc
	s_waitcnt lgkmcnt(0)
	flat_load_dword v14, v[4:5]
	flat_load_dword v15, v[4:5] offset:1024
	flat_load_dword v16, v[4:5] offset:2048
	;; [unrolled: 1-line block ×3, first 2 shown]
	flat_load_dword v18, v[2:3]
	flat_load_dword v19, v[2:3] offset:1024
	v_mad_u32_u24 v1, v0, 52, v40
	s_cmp_eq_u64 s[48:49], 0
	s_waitcnt vmcnt(0)
	ds_write2st64_b32 v40, v6, v7 offset1:4
	ds_write2st64_b32 v40, v8, v9 offset0:8 offset1:12
	ds_write2st64_b32 v40, v10, v11 offset0:16 offset1:20
	;; [unrolled: 1-line block ×3, first 2 shown]
	s_waitcnt lgkmcnt(0)
	ds_write2st64_b32 v40, v14, v15 offset0:32 offset1:36
	ds_write2st64_b32 v40, v16, v17 offset0:40 offset1:44
	;; [unrolled: 1-line block ×3, first 2 shown]
	s_waitcnt lgkmcnt(0)
	s_barrier
	ds_read2_b64 v[2:5], v1 offset1:1
	ds_read2_b64 v[6:9], v1 offset0:2 offset1:3
	ds_read2_b64 v[10:13], v1 offset0:4 offset1:5
	ds_read_b64 v[14:15], v1 offset:48
	s_cbranch_scc1 .LBB1155_83
; %bb.79:
	s_andn2_b64 vcc, exec, s[40:41]
	s_cbranch_vccnz .LBB1155_230
; %bb.80:
	s_lshl_b64 s[2:3], s[48:49], 2
	s_add_u32 s2, s50, s2
	s_addc_u32 s3, s51, s3
	s_add_u32 s2, s2, -4
	s_addc_u32 s3, s3, -1
	s_cbranch_execnz .LBB1155_82
.LBB1155_81:
	s_add_u32 s2, s38, -4
	s_addc_u32 s3, s39, -1
.LBB1155_82:
	s_mov_b64 s[38:39], s[2:3]
.LBB1155_83:
	v_pk_mov_b32 v[16:17], s[38:39], s[38:39] op_sel:[0,1]
	flat_load_dword v16, v[16:17]
	s_movk_i32 s2, 0xffcc
	v_mad_i32_i24 v17, v0, s2, v1
	v_cmp_ne_u32_e32 vcc, 0, v0
	s_waitcnt lgkmcnt(0)
	ds_write_b32 v17, v15 offset:14336
	s_waitcnt lgkmcnt(0)
	s_barrier
	s_and_saveexec_b64 s[2:3], vcc
	s_cbranch_execz .LBB1155_85
; %bb.84:
	s_waitcnt vmcnt(0)
	v_mul_i32_i24_e32 v16, 0xffffffcc, v0
	v_add_u32_e32 v16, v1, v16
	ds_read_b32 v16, v16 offset:14332
.LBB1155_85:
	s_or_b64 exec, exec, s[2:3]
	v_mov_b32_e32 v17, s55
	v_add_co_u32_e32 v18, vcc, s7, v40
	v_addc_co_u32_e32 v19, vcc, 0, v17, vcc
	s_movk_i32 s2, 0x1000
	v_add_co_u32_e32 v20, vcc, s2, v18
	v_addc_co_u32_e32 v21, vcc, 0, v19, vcc
	s_movk_i32 s2, 0x2000
	s_waitcnt lgkmcnt(0)
	s_barrier
	flat_load_dword v17, v[18:19]
	flat_load_dword v22, v[18:19] offset:1024
	flat_load_dword v23, v[18:19] offset:2048
	;; [unrolled: 1-line block ×3, first 2 shown]
	flat_load_dword v25, v[20:21]
	flat_load_dword v26, v[20:21] offset:1024
	flat_load_dword v27, v[20:21] offset:2048
	;; [unrolled: 1-line block ×3, first 2 shown]
	v_add_co_u32_e32 v20, vcc, s2, v18
	v_addc_co_u32_e32 v21, vcc, 0, v19, vcc
	s_movk_i32 s2, 0x3000
	v_add_co_u32_e32 v18, vcc, s2, v18
	v_addc_co_u32_e32 v19, vcc, 0, v19, vcc
	flat_load_dword v29, v[20:21]
	flat_load_dword v30, v[20:21] offset:1024
	flat_load_dword v31, v[20:21] offset:2048
	;; [unrolled: 1-line block ×3, first 2 shown]
	flat_load_dword v33, v[18:19]
	flat_load_dword v34, v[18:19] offset:1024
	v_cmp_ne_u32_e32 vcc, v13, v14
	v_cndmask_b32_e64 v47, 0, 1, vcc
	v_cmp_ne_u32_e32 vcc, v12, v13
	v_cndmask_b32_e64 v53, 0, 1, vcc
	;; [unrolled: 2-line block ×3, first 2 shown]
	v_cmp_ne_u32_e32 vcc, v10, v11
	v_cmp_ne_u32_e64 s[2:3], v14, v15
	v_cndmask_b32_e64 v51, 0, 1, vcc
	v_cmp_ne_u32_e32 vcc, v9, v10
	v_cndmask_b32_e64 v50, 0, 1, vcc
	v_cmp_ne_u32_e32 vcc, v8, v9
	;; [unrolled: 2-line block ×8, first 2 shown]
	v_cndmask_b32_e64 v42, 0, 1, vcc
	s_waitcnt vmcnt(0)
	v_cmp_ne_u32_e32 vcc, v16, v2
	s_mov_b64 s[12:13], -1
                                        ; implicit-def: $vgpr18_vgpr19
                                        ; implicit-def: $vgpr20_vgpr21
                                        ; implicit-def: $sgpr5
                                        ; implicit-def: $sgpr4
	s_waitcnt lgkmcnt(0)
	ds_write2st64_b32 v40, v17, v22 offset1:4
	ds_write2st64_b32 v40, v23, v24 offset0:8 offset1:12
	ds_write2st64_b32 v40, v25, v26 offset0:16 offset1:20
	;; [unrolled: 1-line block ×6, first 2 shown]
	s_waitcnt lgkmcnt(0)
	s_barrier
	ds_read2_b32 v[14:15], v1 offset1:13
	ds_read2_b32 v[28:29], v1 offset0:1 offset1:2
	ds_read2_b32 v[30:31], v1 offset0:3 offset1:4
	;; [unrolled: 1-line block ×6, first 2 shown]
	v_cndmask_b32_e64 v1, 0, 1, vcc
                                        ; implicit-def: $vgpr16_vgpr17
                                        ; implicit-def: $vgpr22_vgpr23
                                        ; implicit-def: $vgpr24_vgpr25
                                        ; implicit-def: $vgpr26_vgpr27
.LBB1155_86:
	v_mov_b32_e32 v54, s4
	v_mov_b32_e32 v41, s5
	s_and_saveexec_b64 s[4:5], s[12:13]
	s_cbranch_execz .LBB1155_88
; %bb.87:
	v_cndmask_b32_e64 v54, 0, 1, s[2:3]
	s_waitcnt lgkmcnt(0)
	v_mov_b32_e32 v41, v15
	v_pk_mov_b32 v[26:27], v[28:29], v[28:29] op_sel:[0,1]
	v_pk_mov_b32 v[24:25], v[30:31], v[30:31] op_sel:[0,1]
	;; [unrolled: 1-line block ×6, first 2 shown]
.LBB1155_88:
	s_or_b64 exec, exec, s[4:5]
	v_or_b32_e32 v2, v54, v47
	s_cmp_lg_u32 s6, 0
	s_waitcnt lgkmcnt(1)
	v_or_b32_e32 v36, v2, v53
	s_waitcnt lgkmcnt(0)
	v_mbcnt_lo_u32_b32 v15, -1, 0
	s_barrier
	s_cbranch_scc0 .LBB1155_155
; %bb.89:
	v_mov_b32_e32 v2, 0
	v_add_f32_e32 v3, v26, v14
	v_cmp_eq_u16_sdwa s[2:3], v42, v2 src0_sel:BYTE_0 src1_sel:DWORD
	v_cndmask_b32_e64 v3, v26, v3, s[2:3]
	v_add_f32_e32 v3, v27, v3
	v_cmp_eq_u16_sdwa s[4:5], v43, v2 src0_sel:BYTE_0 src1_sel:DWORD
	v_cndmask_b32_e64 v3, v27, v3, s[4:5]
	v_add_f32_e32 v3, v24, v3
	v_cmp_eq_u16_sdwa s[30:31], v44, v2 src0_sel:BYTE_0 src1_sel:DWORD
	v_cndmask_b32_e64 v3, v24, v3, s[30:31]
	v_add_f32_e32 v3, v25, v3
	v_cmp_eq_u16_sdwa s[8:9], v45, v2 src0_sel:BYTE_0 src1_sel:DWORD
	v_cndmask_b32_e64 v3, v25, v3, s[8:9]
	v_add_f32_e32 v3, v22, v3
	v_cmp_eq_u16_sdwa s[10:11], v46, v2 src0_sel:BYTE_0 src1_sel:DWORD
	v_cndmask_b32_e64 v3, v22, v3, s[10:11]
	v_add_f32_e32 v3, v23, v3
	v_cmp_eq_u16_sdwa s[12:13], v48, v2 src0_sel:BYTE_0 src1_sel:DWORD
	v_cndmask_b32_e64 v3, v23, v3, s[12:13]
	v_add_f32_e32 v3, v20, v3
	v_cmp_eq_u16_sdwa s[14:15], v49, v2 src0_sel:BYTE_0 src1_sel:DWORD
	v_cndmask_b32_e64 v3, v20, v3, s[14:15]
	v_add_f32_e32 v3, v21, v3
	v_cmp_eq_u16_sdwa s[16:17], v50, v2 src0_sel:BYTE_0 src1_sel:DWORD
	v_cmp_eq_u16_sdwa s[18:19], v51, v2 src0_sel:BYTE_0 src1_sel:DWORD
	;; [unrolled: 1-line block ×6, first 2 shown]
	v_or_b32_e32 v2, v36, v52
	v_cndmask_b32_e64 v3, v21, v3, s[16:17]
	v_or_b32_e32 v2, v2, v51
	v_add_f32_e32 v3, v18, v3
	v_or_b32_e32 v2, v2, v50
	v_cndmask_b32_e64 v3, v18, v3, s[18:19]
	v_or_b32_e32 v2, v2, v49
	v_add_f32_e32 v3, v19, v3
	;; [unrolled: 4-line block ×5, first 2 shown]
	v_and_b32_e32 v2, 1, v2
	v_cndmask_b32_e64 v4, v41, v3, s[26:27]
	v_and_b32_e32 v3, 0xff, v1
	v_cmp_eq_u32_e32 vcc, 1, v2
	v_mbcnt_hi_u32_b32 v11, -1, v15
	v_cndmask_b32_e64 v5, v3, 1, vcc
	v_and_b32_e32 v2, 15, v11
	v_mov_b32_dpp v6, v4 row_shr:1 row_mask:0xf bank_mask:0xf
	v_mov_b32_dpp v3, v5 row_shr:1 row_mask:0xf bank_mask:0xf
	v_cmp_ne_u32_e32 vcc, 0, v2
	s_and_saveexec_b64 s[28:29], vcc
; %bb.90:
	v_add_f32_e32 v6, v4, v6
	v_cmp_eq_u32_e32 vcc, 0, v5
	v_and_b32_e32 v5, 1, v5
	v_cndmask_b32_e32 v4, v4, v6, vcc
	v_and_b32_e32 v3, 1, v3
	v_cmp_eq_u32_e32 vcc, 1, v5
	v_cndmask_b32_e64 v5, v3, 1, vcc
; %bb.91:
	s_or_b64 exec, exec, s[28:29]
	v_mov_b32_dpp v6, v4 row_shr:2 row_mask:0xf bank_mask:0xf
	v_mov_b32_dpp v3, v5 row_shr:2 row_mask:0xf bank_mask:0xf
	v_cmp_lt_u32_e32 vcc, 1, v2
	s_and_saveexec_b64 s[28:29], vcc
; %bb.92:
	v_add_f32_e32 v6, v4, v6
	v_cmp_eq_u32_e32 vcc, 0, v5
	v_and_b32_e32 v5, 1, v5
	v_cndmask_b32_e32 v4, v4, v6, vcc
	v_and_b32_e32 v3, 1, v3
	v_cmp_eq_u32_e32 vcc, 1, v5
	v_cndmask_b32_e64 v5, v3, 1, vcc
; %bb.93:
	s_or_b64 exec, exec, s[28:29]
	v_mov_b32_dpp v6, v4 row_shr:4 row_mask:0xf bank_mask:0xf
	v_mov_b32_dpp v3, v5 row_shr:4 row_mask:0xf bank_mask:0xf
	v_cmp_lt_u32_e32 vcc, 3, v2
	;; [unrolled: 14-line block ×3, first 2 shown]
	s_and_saveexec_b64 s[28:29], vcc
; %bb.96:
	v_add_f32_e32 v2, v4, v6
	v_cmp_eq_u32_e32 vcc, 0, v5
	v_cndmask_b32_e32 v4, v4, v2, vcc
	v_and_b32_e32 v2, 1, v5
	v_and_b32_e32 v3, 1, v3
	v_cmp_eq_u32_e32 vcc, 1, v2
	v_cndmask_b32_e64 v5, v3, 1, vcc
; %bb.97:
	s_or_b64 exec, exec, s[28:29]
	v_and_b32_e32 v6, 16, v11
	v_mov_b32_dpp v3, v4 row_bcast:15 row_mask:0xf bank_mask:0xf
	v_mov_b32_dpp v2, v5 row_bcast:15 row_mask:0xf bank_mask:0xf
	v_cmp_ne_u32_e32 vcc, 0, v6
	s_and_saveexec_b64 s[28:29], vcc
; %bb.98:
	v_add_f32_e32 v3, v4, v3
	v_cmp_eq_u32_e32 vcc, 0, v5
	v_cndmask_b32_e32 v4, v4, v3, vcc
	v_and_b32_e32 v3, 1, v5
	v_and_b32_e32 v2, 1, v2
	v_cmp_eq_u32_e32 vcc, 1, v3
	v_cndmask_b32_e64 v5, v2, 1, vcc
; %bb.99:
	s_or_b64 exec, exec, s[28:29]
	v_mov_b32_dpp v3, v4 row_bcast:31 row_mask:0xf bank_mask:0xf
	v_mov_b32_dpp v2, v5 row_bcast:31 row_mask:0xf bank_mask:0xf
	v_cmp_lt_u32_e32 vcc, 31, v11
	s_and_saveexec_b64 s[28:29], vcc
; %bb.100:
	v_add_f32_e32 v3, v4, v3
	v_cmp_eq_u32_e32 vcc, 0, v5
	v_cndmask_b32_e32 v4, v4, v3, vcc
	v_and_b32_e32 v3, 1, v5
	v_and_b32_e32 v2, 1, v2
	v_cmp_eq_u32_e32 vcc, 1, v3
	v_cndmask_b32_e64 v5, v2, 1, vcc
; %bb.101:
	s_or_b64 exec, exec, s[28:29]
	v_or_b32_e32 v2, 63, v0
	v_lshrrev_b32_e32 v6, 6, v0
	v_cmp_eq_u32_e32 vcc, v2, v0
	s_and_saveexec_b64 s[28:29], vcc
	s_cbranch_execz .LBB1155_103
; %bb.102:
	v_lshlrev_b32_e32 v2, 3, v6
	ds_write_b32 v2, v4
	ds_write_b8 v2, v5 offset:4
.LBB1155_103:
	s_or_b64 exec, exec, s[28:29]
	v_cmp_gt_u32_e32 vcc, 4, v0
	s_waitcnt lgkmcnt(0)
	s_barrier
	s_and_saveexec_b64 s[28:29], vcc
	s_cbranch_execz .LBB1155_107
; %bb.104:
	v_lshlrev_b32_e32 v7, 3, v0
	ds_read_b64 v[2:3], v7
	v_and_b32_e32 v8, 3, v11
	v_cmp_ne_u32_e32 vcc, 0, v8
	s_waitcnt lgkmcnt(0)
	v_mov_b32_dpp v12, v2 row_shr:1 row_mask:0xf bank_mask:0xf
	v_mov_b32_dpp v10, v3 row_shr:1 row_mask:0xf bank_mask:0xf
	v_mov_b32_e32 v9, v3
	s_and_saveexec_b64 s[38:39], vcc
; %bb.105:
	v_mov_b32_e32 v9, 0
	v_add_f32_e32 v12, v2, v12
	v_cmp_eq_u16_sdwa vcc, v3, v9 src0_sel:BYTE_0 src1_sel:DWORD
	v_and_b32_e32 v9, 1, v3
	v_cndmask_b32_e32 v2, v2, v12, vcc
	v_and_b32_e32 v10, 1, v10
	v_cmp_eq_u32_e32 vcc, 1, v9
	v_cndmask_b32_e64 v9, v10, 1, vcc
	s_movk_i32 s7, 0xff00
	v_and_or_b32 v3, v3, s7, v9
; %bb.106:
	s_or_b64 exec, exec, s[38:39]
	v_mov_b32_e32 v13, 0
	v_mov_b32_dpp v12, v3 row_shr:2 row_mask:0xf bank_mask:0xf
	v_cmp_eq_u16_sdwa s[38:39], v9, v13 src0_sel:BYTE_0 src1_sel:DWORD
	v_and_b32_e32 v9, 1, v9
	v_and_b32_e32 v12, 1, v12
	v_cmp_eq_u32_e32 vcc, 1, v9
	v_mov_b32_dpp v10, v2 row_shr:2 row_mask:0xf bank_mask:0xf
	v_cndmask_b32_e64 v9, v12, 1, vcc
	v_cmp_lt_u32_e32 vcc, 1, v8
	v_add_f32_e32 v10, v2, v10
	v_cndmask_b32_e32 v3, v3, v9, vcc
	s_and_b64 vcc, vcc, s[38:39]
	v_cndmask_b32_e32 v2, v2, v10, vcc
	ds_write_b32 v7, v2
	ds_write_b8 v7, v3 offset:4
.LBB1155_107:
	s_or_b64 exec, exec, s[28:29]
	v_cmp_gt_u32_e32 vcc, 64, v0
	v_cmp_lt_u32_e64 s[28:29], 63, v0
	v_mov_b32_e32 v28, 0
	v_mov_b32_e32 v29, 0
	s_waitcnt lgkmcnt(0)
	s_barrier
	s_and_saveexec_b64 s[38:39], s[28:29]
	s_cbranch_execz .LBB1155_109
; %bb.108:
	v_lshl_add_u32 v2, v6, 3, -8
	ds_read_b32 v28, v2
	ds_read_u8 v29, v2 offset:4
	v_and_b32_e32 v2, 1, v5
	v_cmp_eq_u32_e64 s[28:29], 0, v5
	s_waitcnt lgkmcnt(1)
	v_add_f32_e32 v3, v4, v28
	s_waitcnt lgkmcnt(0)
	v_and_b32_e32 v6, 1, v29
	v_cndmask_b32_e64 v4, v4, v3, s[28:29]
	v_cmp_eq_u32_e64 s[28:29], 1, v2
	v_cndmask_b32_e64 v5, v6, 1, s[28:29]
.LBB1155_109:
	s_or_b64 exec, exec, s[38:39]
	v_add_u32_e32 v2, -1, v11
	v_and_b32_e32 v3, 64, v11
	v_cmp_lt_i32_e64 s[28:29], v2, v3
	v_cndmask_b32_e64 v2, v2, v11, s[28:29]
	v_lshlrev_b32_e32 v2, 2, v2
	ds_bpermute_b32 v30, v2, v4
	ds_bpermute_b32 v31, v2, v5
	v_cmp_eq_u32_e64 s[28:29], 0, v11
	s_and_saveexec_b64 s[38:39], vcc
	s_cbranch_execz .LBB1155_154
; %bb.110:
	v_mov_b32_e32 v5, 0
	ds_read_b64 v[2:3], v5 offset:24
	s_waitcnt lgkmcnt(0)
	v_readfirstlane_b32 s7, v3
	s_and_saveexec_b64 s[40:41], s[28:29]
	s_cbranch_execz .LBB1155_112
; %bb.111:
	s_add_i32 s44, s6, 64
	s_mov_b32 s45, 0
	s_lshl_b64 s[48:49], s[44:45], 4
	s_add_u32 s48, s52, s48
	s_addc_u32 s49, s53, s49
	s_and_b32 s51, s7, 0xff000000
	s_mov_b32 s50, s45
	s_and_b32 s59, s7, 0xff0000
	s_mov_b32 s58, s45
	s_or_b64 s[50:51], s[58:59], s[50:51]
	s_and_b32 s59, s7, 0xff00
	s_or_b64 s[50:51], s[50:51], s[58:59]
	s_and_b32 s59, s7, 0xff
	s_or_b64 s[44:45], s[50:51], s[58:59]
	v_mov_b32_e32 v3, s45
	v_mov_b32_e32 v4, 1
	v_pk_mov_b32 v[6:7], s[48:49], s[48:49] op_sel:[0,1]
	;;#ASMSTART
	global_store_dwordx4 v[6:7], v[2:5] off	
s_waitcnt vmcnt(0)
	;;#ASMEND
.LBB1155_112:
	s_or_b64 exec, exec, s[40:41]
	v_xad_u32 v10, v11, -1, s6
	v_add_u32_e32 v4, 64, v10
	v_lshlrev_b64 v[6:7], 4, v[4:5]
	v_mov_b32_e32 v3, s53
	v_add_co_u32_e32 v12, vcc, s52, v6
	v_addc_co_u32_e32 v13, vcc, v3, v7, vcc
	;;#ASMSTART
	global_load_dwordx4 v[6:9], v[12:13] off glc	
s_waitcnt vmcnt(0)
	;;#ASMEND
	v_cmp_eq_u16_sdwa s[44:45], v8, v5 src0_sel:BYTE_0 src1_sel:DWORD
	s_and_saveexec_b64 s[40:41], s[44:45]
	s_cbranch_execz .LBB1155_118
; %bb.113:
	s_mov_b32 s48, 1
	s_mov_b64 s[44:45], 0
	v_mov_b32_e32 v3, 0
.LBB1155_114:                           ; =>This Loop Header: Depth=1
                                        ;     Child Loop BB1155_115 Depth 2
	s_max_u32 s49, s48, 1
.LBB1155_115:                           ;   Parent Loop BB1155_114 Depth=1
                                        ; =>  This Inner Loop Header: Depth=2
	s_add_i32 s49, s49, -1
	s_cmp_eq_u32 s49, 0
	s_sleep 1
	s_cbranch_scc0 .LBB1155_115
; %bb.116:                              ;   in Loop: Header=BB1155_114 Depth=1
	s_cmp_lt_u32 s48, 32
	s_cselect_b64 s[50:51], -1, 0
	s_cmp_lg_u64 s[50:51], 0
	s_addc_u32 s48, s48, 0
	;;#ASMSTART
	global_load_dwordx4 v[6:9], v[12:13] off glc	
s_waitcnt vmcnt(0)
	;;#ASMEND
	v_cmp_ne_u16_sdwa s[50:51], v8, v3 src0_sel:BYTE_0 src1_sel:DWORD
	s_or_b64 s[44:45], s[50:51], s[44:45]
	s_andn2_b64 exec, exec, s[44:45]
	s_cbranch_execnz .LBB1155_114
; %bb.117:
	s_or_b64 exec, exec, s[44:45]
.LBB1155_118:
	s_or_b64 exec, exec, s[40:41]
	v_mov_b32_e32 v3, 2
	v_cmp_eq_u16_sdwa s[40:41], v8, v3 src0_sel:BYTE_0 src1_sel:DWORD
	v_lshlrev_b64 v[4:5], v11, -1
	v_and_b32_e32 v3, s41, v5
	v_or_b32_e32 v3, 0x80000000, v3
	v_ffbl_b32_e32 v34, v3
	v_and_b32_e32 v3, 63, v11
	v_cmp_ne_u32_e32 vcc, 63, v3
	v_addc_co_u32_e32 v13, vcc, 0, v11, vcc
	v_and_b32_e32 v12, 0xff, v7
	v_lshlrev_b32_e32 v32, 2, v13
	ds_bpermute_b32 v33, v32, v6
	ds_bpermute_b32 v13, v32, v12
	v_and_b32_e32 v9, s40, v4
	v_add_u32_e32 v34, 32, v34
	v_ffbl_b32_e32 v9, v9
	v_min_u32_e32 v9, v9, v34
	v_cmp_lt_u32_e32 vcc, v3, v9
	s_and_saveexec_b64 s[40:41], vcc
	s_cbranch_execz .LBB1155_120
; %bb.119:
	v_mov_b32_e32 v12, 0
	s_waitcnt lgkmcnt(1)
	v_add_f32_e32 v33, v6, v33
	v_cmp_eq_u16_sdwa vcc, v7, v12 src0_sel:BYTE_0 src1_sel:DWORD
	v_and_b32_e32 v7, 1, v7
	v_cndmask_b32_e32 v6, v6, v33, vcc
	s_waitcnt lgkmcnt(0)
	v_and_b32_e32 v12, 1, v13
	v_cmp_eq_u32_e32 vcc, 1, v7
	v_cndmask_b32_e64 v7, v12, 1, vcc
	v_and_b32_e32 v12, 0xffff, v7
.LBB1155_120:
	s_or_b64 exec, exec, s[40:41]
	v_cmp_gt_u32_e32 vcc, 62, v3
	s_waitcnt lgkmcnt(0)
	v_cndmask_b32_e64 v13, 0, 1, vcc
	v_lshlrev_b32_e32 v13, 1, v13
	v_add_lshl_u32 v33, v13, v11, 2
	ds_bpermute_b32 v35, v33, v6
	ds_bpermute_b32 v13, v33, v12
	v_add_u32_e32 v34, 2, v3
	v_cmp_le_u32_e32 vcc, v34, v9
	s_and_saveexec_b64 s[40:41], vcc
	s_cbranch_execz .LBB1155_122
; %bb.121:
	v_mov_b32_e32 v12, 0
	s_waitcnt lgkmcnt(1)
	v_add_f32_e32 v35, v6, v35
	v_cmp_eq_u16_sdwa vcc, v7, v12 src0_sel:BYTE_0 src1_sel:DWORD
	v_and_b32_e32 v7, 1, v7
	v_cndmask_b32_e32 v6, v6, v35, vcc
	s_waitcnt lgkmcnt(0)
	v_and_b32_e32 v12, 1, v13
	v_cmp_eq_u32_e32 vcc, 1, v7
	v_cndmask_b32_e64 v7, v12, 1, vcc
	v_and_b32_e32 v12, 0xffff, v7
.LBB1155_122:
	s_or_b64 exec, exec, s[40:41]
	v_cmp_gt_u32_e32 vcc, 60, v3
	s_waitcnt lgkmcnt(0)
	v_cndmask_b32_e64 v13, 0, 1, vcc
	v_lshlrev_b32_e32 v13, 2, v13
	v_add_lshl_u32 v35, v13, v11, 2
	ds_bpermute_b32 v38, v35, v6
	ds_bpermute_b32 v13, v35, v12
	v_add_u32_e32 v37, 4, v3
	v_cmp_le_u32_e32 vcc, v37, v9
	;; [unrolled: 25-line block ×5, first 2 shown]
	s_and_saveexec_b64 s[40:41], vcc
	s_cbranch_execz .LBB1155_130
; %bb.129:
	v_mov_b32_e32 v9, 0
	s_waitcnt lgkmcnt(1)
	v_add_f32_e32 v12, v6, v13
	v_cmp_eq_u16_sdwa vcc, v7, v9 src0_sel:BYTE_0 src1_sel:DWORD
	v_and_b32_e32 v7, 1, v7
	v_cndmask_b32_e32 v6, v6, v12, vcc
	s_waitcnt lgkmcnt(0)
	v_and_b32_e32 v9, 1, v11
	v_cmp_eq_u32_e32 vcc, 1, v7
	v_cndmask_b32_e64 v7, v9, 1, vcc
.LBB1155_130:
	s_or_b64 exec, exec, s[40:41]
	s_waitcnt lgkmcnt(0)
	v_mov_b32_e32 v11, 0
	v_mov_b32_e32 v61, 2
	s_branch .LBB1155_132
.LBB1155_131:                           ;   in Loop: Header=BB1155_132 Depth=1
	s_or_b64 exec, exec, s[40:41]
	s_waitcnt lgkmcnt(0)
	ds_bpermute_b32 v13, v58, v6
	ds_bpermute_b32 v12, v58, v12
	v_and_b32_e32 v62, 1, v7
	v_cmp_eq_u16_sdwa vcc, v7, v11 src0_sel:BYTE_0 src1_sel:DWORD
	v_subrev_u32_e32 v10, 64, v10
	s_waitcnt lgkmcnt(1)
	v_add_f32_e32 v13, v6, v13
	v_cndmask_b32_e32 v13, v6, v13, vcc
	v_cmp_eq_u32_e32 vcc, 1, v62
	s_waitcnt lgkmcnt(0)
	v_cndmask_b32_e64 v12, v12, 1, vcc
	v_cmp_gt_u32_e32 vcc, v60, v9
	v_cndmask_b32_e32 v6, v13, v6, vcc
	v_cndmask_b32_e32 v7, v12, v7, vcc
	v_add_f32_e32 v6, v59, v6
	v_cmp_eq_u16_sdwa vcc, v57, v11 src0_sel:BYTE_0 src1_sel:DWORD
	v_and_b32_e32 v9, 1, v57
	v_cndmask_b32_e32 v6, v59, v6, vcc
	v_and_b32_e32 v7, 1, v7
	v_cmp_eq_u32_e32 vcc, 1, v9
	v_cndmask_b32_e64 v7, v7, 1, vcc
.LBB1155_132:                           ; =>This Loop Header: Depth=1
                                        ;     Child Loop BB1155_135 Depth 2
                                        ;       Child Loop BB1155_136 Depth 3
	v_cmp_ne_u16_sdwa s[40:41], v8, v61 src0_sel:BYTE_0 src1_sel:DWORD
	v_mov_b32_e32 v57, v7
	v_cndmask_b32_e64 v7, 0, 1, s[40:41]
	;;#ASMSTART
	;;#ASMEND
	v_cmp_ne_u32_e32 vcc, 0, v7
	s_cmp_lg_u64 vcc, exec
	v_mov_b32_e32 v59, v6
	s_cbranch_scc1 .LBB1155_149
; %bb.133:                              ;   in Loop: Header=BB1155_132 Depth=1
	v_lshlrev_b64 v[6:7], 4, v[10:11]
	v_mov_b32_e32 v8, s53
	v_add_co_u32_e32 v12, vcc, s52, v6
	v_addc_co_u32_e32 v13, vcc, v8, v7, vcc
	;;#ASMSTART
	global_load_dwordx4 v[6:9], v[12:13] off glc	
s_waitcnt vmcnt(0)
	;;#ASMEND
	v_cmp_eq_u16_sdwa s[44:45], v8, v11 src0_sel:BYTE_0 src1_sel:DWORD
	s_and_saveexec_b64 s[40:41], s[44:45]
	s_cbranch_execz .LBB1155_139
; %bb.134:                              ;   in Loop: Header=BB1155_132 Depth=1
	s_mov_b32 s48, 1
	s_mov_b64 s[44:45], 0
.LBB1155_135:                           ;   Parent Loop BB1155_132 Depth=1
                                        ; =>  This Loop Header: Depth=2
                                        ;       Child Loop BB1155_136 Depth 3
	s_max_u32 s49, s48, 1
.LBB1155_136:                           ;   Parent Loop BB1155_132 Depth=1
                                        ;     Parent Loop BB1155_135 Depth=2
                                        ; =>    This Inner Loop Header: Depth=3
	s_add_i32 s49, s49, -1
	s_cmp_eq_u32 s49, 0
	s_sleep 1
	s_cbranch_scc0 .LBB1155_136
; %bb.137:                              ;   in Loop: Header=BB1155_135 Depth=2
	s_cmp_lt_u32 s48, 32
	s_cselect_b64 s[50:51], -1, 0
	s_cmp_lg_u64 s[50:51], 0
	s_addc_u32 s48, s48, 0
	;;#ASMSTART
	global_load_dwordx4 v[6:9], v[12:13] off glc	
s_waitcnt vmcnt(0)
	;;#ASMEND
	v_cmp_ne_u16_sdwa s[50:51], v8, v11 src0_sel:BYTE_0 src1_sel:DWORD
	s_or_b64 s[44:45], s[50:51], s[44:45]
	s_andn2_b64 exec, exec, s[44:45]
	s_cbranch_execnz .LBB1155_135
; %bb.138:                              ;   in Loop: Header=BB1155_132 Depth=1
	s_or_b64 exec, exec, s[44:45]
.LBB1155_139:                           ;   in Loop: Header=BB1155_132 Depth=1
	s_or_b64 exec, exec, s[40:41]
	v_cmp_eq_u16_sdwa s[40:41], v8, v61 src0_sel:BYTE_0 src1_sel:DWORD
	v_and_b32_e32 v9, s41, v5
	v_and_b32_e32 v12, 0xff, v7
	v_or_b32_e32 v9, 0x80000000, v9
	ds_bpermute_b32 v62, v32, v6
	ds_bpermute_b32 v13, v32, v12
	v_and_b32_e32 v63, s40, v4
	v_ffbl_b32_e32 v9, v9
	v_add_u32_e32 v9, 32, v9
	v_ffbl_b32_e32 v63, v63
	v_min_u32_e32 v9, v63, v9
	v_cmp_lt_u32_e32 vcc, v3, v9
	s_and_saveexec_b64 s[40:41], vcc
	s_cbranch_execz .LBB1155_141
; %bb.140:                              ;   in Loop: Header=BB1155_132 Depth=1
	s_waitcnt lgkmcnt(1)
	v_add_f32_e32 v12, v6, v62
	v_cmp_eq_u16_sdwa vcc, v7, v11 src0_sel:BYTE_0 src1_sel:DWORD
	v_and_b32_e32 v7, 1, v7
	v_cndmask_b32_e32 v6, v6, v12, vcc
	s_waitcnt lgkmcnt(0)
	v_and_b32_e32 v12, 1, v13
	v_cmp_eq_u32_e32 vcc, 1, v7
	v_cndmask_b32_e64 v7, v12, 1, vcc
	v_and_b32_e32 v12, 0xffff, v7
.LBB1155_141:                           ;   in Loop: Header=BB1155_132 Depth=1
	s_or_b64 exec, exec, s[40:41]
	s_waitcnt lgkmcnt(1)
	ds_bpermute_b32 v62, v33, v6
	s_waitcnt lgkmcnt(1)
	ds_bpermute_b32 v13, v33, v12
	v_cmp_le_u32_e32 vcc, v34, v9
	s_and_saveexec_b64 s[40:41], vcc
	s_cbranch_execz .LBB1155_143
; %bb.142:                              ;   in Loop: Header=BB1155_132 Depth=1
	s_waitcnt lgkmcnt(1)
	v_add_f32_e32 v12, v6, v62
	v_cmp_eq_u16_sdwa vcc, v7, v11 src0_sel:BYTE_0 src1_sel:DWORD
	v_and_b32_e32 v7, 1, v7
	v_cndmask_b32_e32 v6, v6, v12, vcc
	s_waitcnt lgkmcnt(0)
	v_and_b32_e32 v12, 1, v13
	v_cmp_eq_u32_e32 vcc, 1, v7
	v_cndmask_b32_e64 v7, v12, 1, vcc
	v_and_b32_e32 v12, 0xffff, v7
.LBB1155_143:                           ;   in Loop: Header=BB1155_132 Depth=1
	s_or_b64 exec, exec, s[40:41]
	s_waitcnt lgkmcnt(1)
	ds_bpermute_b32 v62, v35, v6
	s_waitcnt lgkmcnt(1)
	ds_bpermute_b32 v13, v35, v12
	v_cmp_le_u32_e32 vcc, v37, v9
	;; [unrolled: 20-line block ×4, first 2 shown]
	s_and_saveexec_b64 s[40:41], vcc
	s_cbranch_execz .LBB1155_131
; %bb.148:                              ;   in Loop: Header=BB1155_132 Depth=1
	s_waitcnt lgkmcnt(1)
	v_add_f32_e32 v12, v6, v62
	v_cmp_eq_u16_sdwa vcc, v7, v11 src0_sel:BYTE_0 src1_sel:DWORD
	v_and_b32_e32 v7, 1, v7
	v_cndmask_b32_e32 v6, v6, v12, vcc
	s_waitcnt lgkmcnt(0)
	v_and_b32_e32 v12, 1, v13
	v_cmp_eq_u32_e32 vcc, 1, v7
	v_cndmask_b32_e64 v7, v12, 1, vcc
	v_and_b32_e32 v12, 0xffff, v7
	s_branch .LBB1155_131
.LBB1155_149:                           ;   in Loop: Header=BB1155_132 Depth=1
                                        ; implicit-def: $vgpr7
	s_cbranch_execz .LBB1155_132
; %bb.150:
	s_and_saveexec_b64 s[40:41], s[28:29]
	s_cbranch_execz .LBB1155_152
; %bb.151:
	s_and_b32 s44, s7, 0xff
	s_cmp_eq_u32 s44, 0
	s_cselect_b64 vcc, -1, 0
	s_bitcmp1_b32 s7, 0
	s_mov_b32 s45, 0
	s_cselect_b64 s[48:49], -1, 0
	s_add_i32 s44, s6, 64
	s_lshl_b64 s[6:7], s[44:45], 4
	v_add_f32_e32 v3, v59, v2
	s_add_u32 s6, s52, s6
	v_cndmask_b32_e32 v2, v2, v3, vcc
	v_and_b32_e32 v3, 1, v57
	s_addc_u32 s7, s53, s7
	v_cndmask_b32_e64 v3, v3, 1, s[48:49]
	v_mov_b32_e32 v4, 2
	v_mov_b32_e32 v5, 0
	v_pk_mov_b32 v[6:7], s[6:7], s[6:7] op_sel:[0,1]
	;;#ASMSTART
	global_store_dwordx4 v[6:7], v[2:5] off	
s_waitcnt vmcnt(0)
	;;#ASMEND
.LBB1155_152:
	s_or_b64 exec, exec, s[40:41]
	v_cmp_eq_u32_e32 vcc, 0, v0
	s_and_b64 exec, exec, vcc
	s_cbranch_execz .LBB1155_154
; %bb.153:
	v_mov_b32_e32 v2, 0
	ds_write_b32 v2, v59 offset:24
	ds_write_b8 v2, v57 offset:28
.LBB1155_154:
	s_or_b64 exec, exec, s[38:39]
	v_mov_b32_e32 v4, 0
	s_waitcnt lgkmcnt(0)
	v_cndmask_b32_e64 v2, v31, v29, s[28:29]
	s_barrier
	ds_read_b32 v5, v4 offset:24
	v_and_b32_e32 v6, 1, v1
	v_cndmask_b32_e64 v3, v30, v28, s[28:29]
	v_and_b32_e32 v2, 1, v2
	v_cmp_eq_u32_e32 vcc, 1, v6
	v_cndmask_b32_e64 v2, v2, 1, vcc
	v_add_f32_e32 v3, v14, v3
	v_cmp_eq_u16_sdwa vcc, v1, v4 src0_sel:BYTE_0 src1_sel:DWORD
	v_cndmask_b32_e32 v3, v14, v3, vcc
	v_cmp_eq_u32_e32 vcc, 0, v0
	v_cndmask_b32_e32 v2, v2, v1, vcc
	v_cndmask_b32_e32 v3, v3, v14, vcc
	s_waitcnt lgkmcnt(0)
	v_add_f32_e32 v5, v3, v5
	v_cmp_eq_u16_sdwa vcc, v2, v4 src0_sel:BYTE_0 src1_sel:DWORD
	v_cndmask_b32_e32 v2, v3, v5, vcc
	v_add_f32_e32 v3, v26, v2
	v_cndmask_b32_e64 v3, v26, v3, s[2:3]
	v_add_f32_e32 v4, v27, v3
	v_cndmask_b32_e64 v28, v27, v4, s[4:5]
	v_add_f32_e32 v4, v24, v28
	v_cndmask_b32_e64 v29, v24, v4, s[30:31]
	v_add_f32_e32 v4, v25, v29
	v_cndmask_b32_e64 v6, v25, v4, s[8:9]
	v_add_f32_e32 v4, v22, v6
	v_cndmask_b32_e64 v7, v22, v4, s[10:11]
	v_add_f32_e32 v4, v23, v7
	v_cndmask_b32_e64 v30, v23, v4, s[12:13]
	v_add_f32_e32 v4, v20, v30
	v_cndmask_b32_e64 v31, v20, v4, s[14:15]
	v_add_f32_e32 v4, v21, v31
	v_cndmask_b32_e64 v10, v21, v4, s[16:17]
	v_add_f32_e32 v4, v18, v10
	v_cndmask_b32_e64 v11, v18, v4, s[18:19]
	v_add_f32_e32 v4, v19, v11
	v_cndmask_b32_e64 v32, v19, v4, s[20:21]
	v_add_f32_e32 v4, v16, v32
	v_cndmask_b32_e64 v33, v16, v4, s[22:23]
	v_add_f32_e32 v4, v17, v33
	v_cndmask_b32_e64 v34, v17, v4, s[24:25]
	v_add_f32_e32 v4, v41, v34
	v_cndmask_b32_e64 v35, v41, v4, s[26:27]
	s_branch .LBB1155_183
.LBB1155_155:
                                        ; implicit-def: $vgpr35
                                        ; implicit-def: $vgpr33
                                        ; implicit-def: $vgpr31
                                        ; implicit-def: $vgpr29
                                        ; implicit-def: $vgpr10_vgpr11_vgpr12_vgpr13
                                        ; implicit-def: $vgpr6_vgpr7_vgpr8_vgpr9
                                        ; implicit-def: $vgpr2_vgpr3_vgpr4_vgpr5
	s_cbranch_execz .LBB1155_183
; %bb.156:
	s_cmp_lg_u64 s[56:57], 0
	s_cselect_b32 s5, s47, 0
	s_cselect_b32 s4, s46, 0
	s_cmp_lg_u64 s[4:5], 0
	s_cselect_b64 s[6:7], -1, 0
	v_cmp_eq_u32_e32 vcc, 0, v0
	v_cmp_ne_u32_e64 s[2:3], 0, v0
	s_and_b64 s[8:9], vcc, s[6:7]
	s_and_saveexec_b64 s[6:7], s[8:9]
	s_cbranch_execz .LBB1155_158
; %bb.157:
	v_mov_b32_e32 v2, 0
	global_load_dword v3, v2, s[4:5]
	global_load_ubyte v4, v2, s[4:5] offset:4
	v_and_b32_e32 v5, 1, v1
	v_cmp_eq_u16_sdwa s[4:5], v1, v2 src0_sel:BYTE_0 src1_sel:DWORD
	s_waitcnt vmcnt(1)
	v_add_f32_e32 v3, v14, v3
	s_waitcnt vmcnt(0)
	v_and_b32_e32 v4, 1, v4
	v_cndmask_b32_e64 v14, v14, v3, s[4:5]
	v_cmp_eq_u32_e64 s[4:5], 1, v5
	v_cndmask_b32_e64 v1, v4, 1, s[4:5]
.LBB1155_158:
	s_or_b64 exec, exec, s[6:7]
	v_mov_b32_e32 v2, 0
	v_add_f32_e32 v3, v26, v14
	v_cmp_eq_u16_sdwa s[4:5], v42, v2 src0_sel:BYTE_0 src1_sel:DWORD
	v_cndmask_b32_e64 v3, v26, v3, s[4:5]
	v_add_f32_e32 v4, v27, v3
	v_cmp_eq_u16_sdwa s[6:7], v43, v2 src0_sel:BYTE_0 src1_sel:DWORD
	v_cndmask_b32_e64 v28, v27, v4, s[6:7]
	;; [unrolled: 3-line block ×7, first 2 shown]
	v_add_f32_e32 v4, v21, v31
	v_cmp_eq_u16_sdwa s[18:19], v50, v2 src0_sel:BYTE_0 src1_sel:DWORD
	v_cmp_eq_u16_sdwa s[20:21], v51, v2 src0_sel:BYTE_0 src1_sel:DWORD
	;; [unrolled: 1-line block ×6, first 2 shown]
	v_or_b32_e32 v2, v36, v52
	v_cndmask_b32_e64 v10, v21, v4, s[18:19]
	v_or_b32_e32 v2, v2, v51
	v_add_f32_e32 v4, v18, v10
	v_or_b32_e32 v2, v2, v50
	v_cndmask_b32_e64 v11, v18, v4, s[20:21]
	v_or_b32_e32 v2, v2, v49
	v_add_f32_e32 v4, v19, v11
	;; [unrolled: 4-line block ×5, first 2 shown]
	v_and_b32_e32 v2, 1, v2
	v_cndmask_b32_e64 v35, v41, v4, s[28:29]
	v_and_b32_e32 v4, 0xff, v1
	v_cmp_eq_u32_e64 s[30:31], 1, v2
	v_mbcnt_hi_u32_b32 v2, -1, v15
	v_cndmask_b32_e64 v9, v4, 1, s[30:31]
	v_and_b32_e32 v5, 15, v2
	v_mov_b32_dpp v13, v35 row_shr:1 row_mask:0xf bank_mask:0xf
	v_mov_b32_dpp v12, v9 row_shr:1 row_mask:0xf bank_mask:0xf
	v_cmp_ne_u32_e64 s[30:31], 0, v5
	v_mov_b32_e32 v8, v35
	v_mov_b32_e32 v4, v35
	s_and_saveexec_b64 s[38:39], s[30:31]
; %bb.159:
	v_add_f32_e32 v4, v35, v13
	v_cmp_eq_u32_e64 s[30:31], 0, v9
	v_cndmask_b32_e64 v8, v35, v4, s[30:31]
	v_and_b32_e32 v4, 1, v9
	v_and_b32_e32 v9, 1, v12
	v_cmp_eq_u32_e64 s[30:31], 1, v4
	v_cndmask_b32_e64 v9, v9, 1, s[30:31]
	v_mov_b32_e32 v4, v8
; %bb.160:
	s_or_b64 exec, exec, s[38:39]
	s_nop 0
	v_mov_b32_dpp v13, v4 row_shr:2 row_mask:0xf bank_mask:0xf
	v_mov_b32_dpp v12, v9 row_shr:2 row_mask:0xf bank_mask:0xf
	v_cmp_lt_u32_e64 s[30:31], 1, v5
	s_and_saveexec_b64 s[38:39], s[30:31]
; %bb.161:
	v_add_f32_e32 v4, v8, v13
	v_cmp_eq_u32_e64 s[30:31], 0, v9
	v_cndmask_b32_e64 v4, v8, v4, s[30:31]
	v_and_b32_e32 v8, 1, v9
	v_and_b32_e32 v9, 1, v12
	v_cmp_eq_u32_e64 s[30:31], 1, v8
	v_cndmask_b32_e64 v9, v9, 1, s[30:31]
	v_mov_b32_e32 v8, v4
; %bb.162:
	s_or_b64 exec, exec, s[38:39]
	v_mov_b32_dpp v13, v4 row_shr:4 row_mask:0xf bank_mask:0xf
	v_mov_b32_dpp v12, v9 row_shr:4 row_mask:0xf bank_mask:0xf
	v_cmp_lt_u32_e64 s[30:31], 3, v5
	s_and_saveexec_b64 s[38:39], s[30:31]
; %bb.163:
	v_add_f32_e32 v4, v8, v13
	v_cmp_eq_u32_e64 s[30:31], 0, v9
	v_cndmask_b32_e64 v4, v8, v4, s[30:31]
	v_and_b32_e32 v8, 1, v9
	v_and_b32_e32 v9, 1, v12
	v_cmp_eq_u32_e64 s[30:31], 1, v8
	v_cndmask_b32_e64 v9, v9, 1, s[30:31]
	v_mov_b32_e32 v8, v4
; %bb.164:
	s_or_b64 exec, exec, s[38:39]
	v_mov_b32_dpp v13, v4 row_shr:8 row_mask:0xf bank_mask:0xf
	v_mov_b32_dpp v12, v9 row_shr:8 row_mask:0xf bank_mask:0xf
	v_cmp_lt_u32_e64 s[30:31], 7, v5
	s_and_saveexec_b64 s[38:39], s[30:31]
; %bb.165:
	v_add_f32_e32 v4, v8, v13
	v_cmp_eq_u32_e64 s[30:31], 0, v9
	v_and_b32_e32 v5, 1, v9
	v_cndmask_b32_e64 v4, v8, v4, s[30:31]
	v_and_b32_e32 v8, 1, v12
	v_cmp_eq_u32_e64 s[30:31], 1, v5
	v_cndmask_b32_e64 v9, v8, 1, s[30:31]
	v_mov_b32_e32 v8, v4
; %bb.166:
	s_or_b64 exec, exec, s[38:39]
	v_and_b32_e32 v13, 16, v2
	v_mov_b32_dpp v12, v4 row_bcast:15 row_mask:0xf bank_mask:0xf
	v_mov_b32_dpp v5, v9 row_bcast:15 row_mask:0xf bank_mask:0xf
	v_cmp_ne_u32_e64 s[30:31], 0, v13
	s_and_saveexec_b64 s[38:39], s[30:31]
; %bb.167:
	v_add_f32_e32 v4, v8, v12
	v_cmp_eq_u32_e64 s[30:31], 0, v9
	v_cndmask_b32_e64 v8, v8, v4, s[30:31]
	v_and_b32_e32 v4, 1, v9
	v_and_b32_e32 v5, 1, v5
	v_cmp_eq_u32_e64 s[30:31], 1, v4
	v_cndmask_b32_e64 v9, v5, 1, s[30:31]
	v_mov_b32_e32 v4, v8
; %bb.168:
	s_or_b64 exec, exec, s[38:39]
	s_nop 0
	v_mov_b32_dpp v12, v4 row_bcast:31 row_mask:0xf bank_mask:0xf
	v_mov_b32_dpp v5, v9 row_bcast:31 row_mask:0xf bank_mask:0xf
	v_cmp_lt_u32_e64 s[30:31], 31, v2
	s_and_saveexec_b64 s[38:39], s[30:31]
; %bb.169:
	v_add_f32_e32 v4, v8, v12
	v_cmp_eq_u32_e64 s[30:31], 0, v9
	v_cndmask_b32_e64 v8, v8, v4, s[30:31]
	v_and_b32_e32 v4, 1, v9
	v_and_b32_e32 v5, 1, v5
	v_cmp_eq_u32_e64 s[30:31], 1, v4
	v_cndmask_b32_e64 v9, v5, 1, s[30:31]
	v_mov_b32_e32 v4, v8
; %bb.170:
	s_or_b64 exec, exec, s[38:39]
	v_or_b32_e32 v5, 63, v0
	v_lshrrev_b32_e32 v12, 6, v0
	v_cmp_eq_u32_e64 s[30:31], v5, v0
	s_and_saveexec_b64 s[38:39], s[30:31]
	s_cbranch_execz .LBB1155_172
; %bb.171:
	v_lshlrev_b32_e32 v5, 3, v12
	ds_write_b32 v5, v4
	ds_write_b8 v5, v9 offset:4
.LBB1155_172:
	s_or_b64 exec, exec, s[38:39]
	v_cmp_gt_u32_e64 s[30:31], 4, v0
	s_waitcnt lgkmcnt(0)
	s_barrier
	s_and_saveexec_b64 s[38:39], s[30:31]
	s_cbranch_execz .LBB1155_176
; %bb.173:
	v_lshlrev_b32_e32 v13, 3, v0
	ds_read_b64 v[4:5], v13
	v_and_b32_e32 v15, 3, v2
	v_cmp_ne_u32_e64 s[30:31], 0, v15
	s_waitcnt lgkmcnt(0)
	v_mov_b32_dpp v38, v4 row_shr:1 row_mask:0xf bank_mask:0xf
	v_mov_b32_dpp v37, v5 row_shr:1 row_mask:0xf bank_mask:0xf
	v_mov_b32_e32 v36, v5
	s_and_saveexec_b64 s[40:41], s[30:31]
; %bb.174:
	v_mov_b32_e32 v36, 0
	v_add_f32_e32 v38, v4, v38
	v_cmp_eq_u16_sdwa s[30:31], v5, v36 src0_sel:BYTE_0 src1_sel:DWORD
	v_and_b32_e32 v36, 1, v5
	v_cndmask_b32_e64 v4, v4, v38, s[30:31]
	v_and_b32_e32 v37, 1, v37
	v_cmp_eq_u32_e64 s[30:31], 1, v36
	v_cndmask_b32_e64 v36, v37, 1, s[30:31]
	s_movk_i32 s30, 0xff00
	v_and_or_b32 v5, v5, s30, v36
; %bb.175:
	s_or_b64 exec, exec, s[40:41]
	v_mov_b32_e32 v39, 0
	v_mov_b32_dpp v38, v5 row_shr:2 row_mask:0xf bank_mask:0xf
	v_cmp_eq_u16_sdwa s[40:41], v36, v39 src0_sel:BYTE_0 src1_sel:DWORD
	v_and_b32_e32 v36, 1, v36
	v_and_b32_e32 v38, 1, v38
	v_cmp_eq_u32_e64 s[30:31], 1, v36
	v_mov_b32_dpp v37, v4 row_shr:2 row_mask:0xf bank_mask:0xf
	v_cndmask_b32_e64 v36, v38, 1, s[30:31]
	v_cmp_lt_u32_e64 s[30:31], 1, v15
	v_add_f32_e32 v37, v4, v37
	v_cndmask_b32_e64 v5, v5, v36, s[30:31]
	s_and_b64 s[30:31], s[30:31], s[40:41]
	v_cndmask_b32_e64 v4, v4, v37, s[30:31]
	ds_write_b32 v13, v4
	ds_write_b8 v13, v5 offset:4
.LBB1155_176:
	s_or_b64 exec, exec, s[38:39]
	v_cmp_lt_u32_e64 s[30:31], 63, v0
	v_mov_b32_e32 v4, 0
	s_waitcnt lgkmcnt(0)
	s_barrier
	s_and_saveexec_b64 s[38:39], s[30:31]
	s_cbranch_execz .LBB1155_178
; %bb.177:
	v_lshl_add_u32 v4, v12, 3, -8
	ds_read_b32 v4, v4
	v_cmp_eq_u32_e64 s[30:31], 0, v9
	s_waitcnt lgkmcnt(0)
	v_add_f32_e32 v5, v8, v4
	v_cndmask_b32_e64 v8, v8, v5, s[30:31]
.LBB1155_178:
	s_or_b64 exec, exec, s[38:39]
	v_add_u32_e32 v5, -1, v2
	v_and_b32_e32 v9, 64, v2
	v_cmp_lt_i32_e64 s[30:31], v5, v9
	v_cndmask_b32_e64 v5, v5, v2, s[30:31]
	v_lshlrev_b32_e32 v5, 2, v5
	ds_bpermute_b32 v5, v5, v8
	s_and_saveexec_b64 s[30:31], s[2:3]
	s_cbranch_execz .LBB1155_180
; %bb.179:
	v_cmp_eq_u32_e64 s[2:3], 0, v2
	s_waitcnt lgkmcnt(0)
	v_cndmask_b32_e64 v2, v5, v4, s[2:3]
	v_mov_b32_e32 v3, 0
	v_add_f32_e32 v2, v14, v2
	v_cmp_eq_u16_sdwa s[2:3], v1, v3 src0_sel:BYTE_0 src1_sel:DWORD
	v_cndmask_b32_e64 v14, v14, v2, s[2:3]
	v_add_f32_e32 v1, v26, v14
	v_cndmask_b32_e64 v3, v26, v1, s[4:5]
	v_add_f32_e32 v1, v27, v3
	;; [unrolled: 2-line block ×13, first 2 shown]
	v_cndmask_b32_e64 v35, v41, v1, s[28:29]
	;;#ASMSTART
	;;#ASMEND
.LBB1155_180:
	s_or_b64 exec, exec, s[30:31]
	s_and_saveexec_b64 s[2:3], vcc
	s_cbranch_execz .LBB1155_182
; %bb.181:
	v_mov_b32_e32 v19, 0
	ds_read_b32 v16, v19 offset:24
	ds_read_u8 v17, v19 offset:28
	s_add_u32 s4, s52, 0x400
	s_addc_u32 s5, s53, 0
	v_mov_b32_e32 v18, 2
	s_waitcnt lgkmcnt(2)
	v_pk_mov_b32 v[4:5], s[4:5], s[4:5] op_sel:[0,1]
	s_waitcnt lgkmcnt(0)
	;;#ASMSTART
	global_store_dwordx4 v[4:5], v[16:19] off	
s_waitcnt vmcnt(0)
	;;#ASMEND
.LBB1155_182:
	s_or_b64 exec, exec, s[2:3]
	v_mov_b32_e32 v2, v14
.LBB1155_183:
	s_add_u32 s2, s42, s34
	s_addc_u32 s3, s43, s35
	s_add_u32 s4, s2, s36
	v_mul_u32_u24_e32 v1, 14, v0
	s_addc_u32 s5, s3, s37
	s_and_b64 vcc, exec, s[0:1]
	v_lshlrev_b32_e32 v4, 2, v1
	s_cbranch_vccz .LBB1155_211
; %bb.184:
	s_movk_i32 s0, 0xffcc
	s_waitcnt lgkmcnt(0)
	v_mad_i32_i24 v5, v0, s0, v4
	s_barrier
	ds_write2_b64 v4, v[2:3], v[28:29] offset1:1
	ds_write2_b64 v4, v[6:7], v[30:31] offset0:2 offset1:3
	ds_write2_b64 v4, v[10:11], v[32:33] offset0:4 offset1:5
	ds_write_b64 v4, v[34:35] offset:48
	s_waitcnt lgkmcnt(0)
	s_barrier
	ds_read2st64_b32 v[22:23], v5 offset0:4 offset1:8
	ds_read2st64_b32 v[20:21], v5 offset0:12 offset1:16
	;; [unrolled: 1-line block ×6, first 2 shown]
	ds_read_b32 v5, v5 offset:13312
	v_mov_b32_e32 v13, s5
	v_add_co_u32_e32 v12, vcc, s4, v40
	s_add_i32 s33, s33, s54
	v_addc_co_u32_e32 v13, vcc, 0, v13, vcc
	v_mov_b32_e32 v1, 0
	v_cmp_gt_u32_e32 vcc, s33, v0
	s_and_saveexec_b64 s[0:1], vcc
	s_cbranch_execz .LBB1155_186
; %bb.185:
	v_mul_i32_i24_e32 v24, 0xffffffcc, v0
	v_add_u32_e32 v24, v4, v24
	ds_read_b32 v24, v24
	s_waitcnt lgkmcnt(0)
	flat_store_dword v[12:13], v24
.LBB1155_186:
	s_or_b64 exec, exec, s[0:1]
	v_or_b32_e32 v24, 0x100, v0
	v_cmp_gt_u32_e32 vcc, s33, v24
	s_and_saveexec_b64 s[0:1], vcc
	s_cbranch_execz .LBB1155_188
; %bb.187:
	s_waitcnt lgkmcnt(0)
	flat_store_dword v[12:13], v22 offset:1024
.LBB1155_188:
	s_or_b64 exec, exec, s[0:1]
	s_waitcnt lgkmcnt(0)
	v_or_b32_e32 v22, 0x200, v0
	v_cmp_gt_u32_e32 vcc, s33, v22
	s_and_saveexec_b64 s[0:1], vcc
	s_cbranch_execz .LBB1155_190
; %bb.189:
	flat_store_dword v[12:13], v23 offset:2048
.LBB1155_190:
	s_or_b64 exec, exec, s[0:1]
	v_or_b32_e32 v22, 0x300, v0
	v_cmp_gt_u32_e32 vcc, s33, v22
	s_and_saveexec_b64 s[0:1], vcc
	s_cbranch_execz .LBB1155_192
; %bb.191:
	flat_store_dword v[12:13], v20 offset:3072
.LBB1155_192:
	s_or_b64 exec, exec, s[0:1]
	v_or_b32_e32 v20, 0x400, v0
	v_cmp_gt_u32_e32 vcc, s33, v20
	s_and_saveexec_b64 s[0:1], vcc
	s_cbranch_execz .LBB1155_194
; %bb.193:
	v_add_co_u32_e32 v22, vcc, 0x1000, v12
	v_addc_co_u32_e32 v23, vcc, 0, v13, vcc
	flat_store_dword v[22:23], v21
.LBB1155_194:
	s_or_b64 exec, exec, s[0:1]
	v_or_b32_e32 v20, 0x500, v0
	v_cmp_gt_u32_e32 vcc, s33, v20
	s_and_saveexec_b64 s[0:1], vcc
	s_cbranch_execz .LBB1155_196
; %bb.195:
	v_add_co_u32_e32 v20, vcc, 0x1000, v12
	v_addc_co_u32_e32 v21, vcc, 0, v13, vcc
	flat_store_dword v[20:21], v18 offset:1024
.LBB1155_196:
	s_or_b64 exec, exec, s[0:1]
	v_or_b32_e32 v18, 0x600, v0
	v_cmp_gt_u32_e32 vcc, s33, v18
	s_and_saveexec_b64 s[0:1], vcc
	s_cbranch_execz .LBB1155_198
; %bb.197:
	v_add_co_u32_e32 v20, vcc, 0x1000, v12
	v_addc_co_u32_e32 v21, vcc, 0, v13, vcc
	flat_store_dword v[20:21], v19 offset:2048
.LBB1155_198:
	;; [unrolled: 10-line block ×3, first 2 shown]
	s_or_b64 exec, exec, s[0:1]
	v_or_b32_e32 v16, 0x800, v0
	v_cmp_gt_u32_e32 vcc, s33, v16
	s_and_saveexec_b64 s[0:1], vcc
	s_cbranch_execz .LBB1155_202
; %bb.201:
	v_add_co_u32_e32 v18, vcc, 0x2000, v12
	v_addc_co_u32_e32 v19, vcc, 0, v13, vcc
	flat_store_dword v[18:19], v17
.LBB1155_202:
	s_or_b64 exec, exec, s[0:1]
	v_or_b32_e32 v16, 0x900, v0
	v_cmp_gt_u32_e32 vcc, s33, v16
	s_and_saveexec_b64 s[0:1], vcc
	s_cbranch_execz .LBB1155_204
; %bb.203:
	v_add_co_u32_e32 v16, vcc, 0x2000, v12
	v_addc_co_u32_e32 v17, vcc, 0, v13, vcc
	flat_store_dword v[16:17], v14 offset:1024
.LBB1155_204:
	s_or_b64 exec, exec, s[0:1]
	v_or_b32_e32 v14, 0xa00, v0
	v_cmp_gt_u32_e32 vcc, s33, v14
	s_and_saveexec_b64 s[0:1], vcc
	s_cbranch_execz .LBB1155_206
; %bb.205:
	v_add_co_u32_e32 v16, vcc, 0x2000, v12
	v_addc_co_u32_e32 v17, vcc, 0, v13, vcc
	flat_store_dword v[16:17], v15 offset:2048
.LBB1155_206:
	;; [unrolled: 10-line block ×3, first 2 shown]
	s_or_b64 exec, exec, s[0:1]
	v_or_b32_e32 v8, 0xc00, v0
	v_cmp_gt_u32_e32 vcc, s33, v8
	s_and_saveexec_b64 s[0:1], vcc
	s_cbranch_execz .LBB1155_210
; %bb.209:
	v_add_co_u32_e32 v12, vcc, 0x3000, v12
	v_addc_co_u32_e32 v13, vcc, 0, v13, vcc
	flat_store_dword v[12:13], v9
.LBB1155_210:
	s_or_b64 exec, exec, s[0:1]
	v_or_b32_e32 v8, 0xd00, v0
	v_cmp_gt_u32_e64 s[0:1], s33, v8
	s_branch .LBB1155_213
.LBB1155_211:
	s_mov_b64 s[0:1], 0
                                        ; implicit-def: $vgpr5
	s_cbranch_execz .LBB1155_213
; %bb.212:
	s_movk_i32 s2, 0xffcc
	s_waitcnt lgkmcnt(0)
	s_barrier
	ds_write2_b64 v4, v[2:3], v[28:29] offset1:1
	ds_write2_b64 v4, v[6:7], v[30:31] offset0:2 offset1:3
	ds_write2_b64 v4, v[10:11], v[32:33] offset0:4 offset1:5
	ds_write_b64 v4, v[34:35] offset:48
	v_mad_i32_i24 v4, v0, s2, v4
	v_mov_b32_e32 v17, s5
	v_add_co_u32_e32 v16, vcc, s4, v40
	s_waitcnt lgkmcnt(0)
	s_barrier
	ds_read2st64_b32 v[2:3], v4 offset1:4
	ds_read2st64_b32 v[6:7], v4 offset0:8 offset1:12
	ds_read2st64_b32 v[8:9], v4 offset0:16 offset1:20
	;; [unrolled: 1-line block ×6, first 2 shown]
	v_addc_co_u32_e32 v17, vcc, 0, v17, vcc
	s_movk_i32 s2, 0x1000
	s_waitcnt lgkmcnt(0)
	flat_store_dword v[16:17], v2
	flat_store_dword v[16:17], v3 offset:1024
	flat_store_dword v[16:17], v6 offset:2048
	;; [unrolled: 1-line block ×3, first 2 shown]
	v_add_co_u32_e32 v2, vcc, s2, v16
	v_addc_co_u32_e32 v3, vcc, 0, v17, vcc
	flat_store_dword v[2:3], v8
	flat_store_dword v[2:3], v9 offset:1024
	flat_store_dword v[2:3], v10 offset:2048
	;; [unrolled: 1-line block ×3, first 2 shown]
	v_add_co_u32_e32 v2, vcc, 0x2000, v16
	v_addc_co_u32_e32 v3, vcc, 0, v17, vcc
	flat_store_dword v[2:3], v12
	flat_store_dword v[2:3], v13 offset:1024
	flat_store_dword v[2:3], v14 offset:2048
	;; [unrolled: 1-line block ×3, first 2 shown]
	v_add_co_u32_e32 v2, vcc, 0x3000, v16
	v_mov_b32_e32 v1, 0
	v_addc_co_u32_e32 v3, vcc, 0, v17, vcc
	s_or_b64 s[0:1], s[0:1], exec
	flat_store_dword v[2:3], v4
.LBB1155_213:
	s_and_saveexec_b64 s[2:3], s[0:1]
	s_cbranch_execnz .LBB1155_215
; %bb.214:
	s_endpgm
.LBB1155_215:
	v_lshlrev_b64 v[0:1], 2, v[0:1]
	v_mov_b32_e32 v2, s5
	v_add_co_u32_e32 v0, vcc, s4, v0
	v_addc_co_u32_e32 v1, vcc, v2, v1, vcc
	v_add_co_u32_e32 v0, vcc, 0x3000, v0
	v_addc_co_u32_e32 v1, vcc, 0, v1, vcc
	s_waitcnt lgkmcnt(0)
	flat_store_dword v[0:1], v5 offset:1024
	s_endpgm
.LBB1155_216:
	v_mov_b32_e32 v25, s55
	v_add_co_u32_e32 v26, vcc, s7, v24
	v_addc_co_u32_e32 v27, vcc, 0, v25, vcc
	flat_load_dword v25, v[26:27]
	s_or_b64 exec, exec, s[44:45]
                                        ; implicit-def: $vgpr26
	s_and_saveexec_b64 s[2:3], s[4:5]
	s_cbranch_execz .LBB1155_37
.LBB1155_217:
	v_mov_b32_e32 v27, s55
	v_add_co_u32_e32 v26, vcc, s7, v24
	v_addc_co_u32_e32 v27, vcc, 0, v27, vcc
	flat_load_dword v26, v[26:27] offset:1024
	s_or_b64 exec, exec, s[2:3]
                                        ; implicit-def: $vgpr27
	s_and_saveexec_b64 s[2:3], s[30:31]
	s_cbranch_execz .LBB1155_38
.LBB1155_218:
	v_mov_b32_e32 v27, s55
	v_add_co_u32_e32 v28, vcc, s7, v24
	v_addc_co_u32_e32 v29, vcc, 0, v27, vcc
	flat_load_dword v27, v[28:29] offset:2048
	s_or_b64 exec, exec, s[2:3]
                                        ; implicit-def: $vgpr28
	s_and_saveexec_b64 s[2:3], s[8:9]
	s_cbranch_execz .LBB1155_39
.LBB1155_219:
	v_mov_b32_e32 v29, s55
	v_add_co_u32_e32 v28, vcc, s7, v24
	v_addc_co_u32_e32 v29, vcc, 0, v29, vcc
	flat_load_dword v28, v[28:29] offset:3072
	s_or_b64 exec, exec, s[2:3]
                                        ; implicit-def: $vgpr29
	s_and_saveexec_b64 s[2:3], s[10:11]
	s_cbranch_execz .LBB1155_40
.LBB1155_220:
	v_lshlrev_b32_e32 v1, 2, v1
	v_mov_b32_e32 v29, s55
	v_add_co_u32_e32 v30, vcc, s7, v1
	v_addc_co_u32_e32 v31, vcc, 0, v29, vcc
	flat_load_dword v29, v[30:31]
	s_or_b64 exec, exec, s[2:3]
                                        ; implicit-def: $vgpr1
	s_and_saveexec_b64 s[2:3], s[12:13]
	s_cbranch_execz .LBB1155_41
.LBB1155_221:
	v_lshlrev_b32_e32 v1, 2, v14
	v_mov_b32_e32 v14, s55
	v_add_co_u32_e32 v30, vcc, s7, v1
	v_addc_co_u32_e32 v31, vcc, 0, v14, vcc
	flat_load_dword v1, v[30:31]
	s_or_b64 exec, exec, s[2:3]
                                        ; implicit-def: $vgpr14
	s_and_saveexec_b64 s[2:3], s[14:15]
	s_cbranch_execz .LBB1155_42
.LBB1155_222:
	v_lshlrev_b32_e32 v14, 2, v16
	v_mov_b32_e32 v16, s55
	v_add_co_u32_e32 v30, vcc, s7, v14
	v_addc_co_u32_e32 v31, vcc, 0, v16, vcc
	flat_load_dword v14, v[30:31]
	s_or_b64 exec, exec, s[2:3]
                                        ; implicit-def: $vgpr16
	s_and_saveexec_b64 s[2:3], s[16:17]
	s_cbranch_execz .LBB1155_43
.LBB1155_223:
	v_lshlrev_b32_e32 v16, 2, v17
	v_mov_b32_e32 v17, s55
	v_add_co_u32_e32 v16, vcc, s7, v16
	v_addc_co_u32_e32 v17, vcc, 0, v17, vcc
	flat_load_dword v16, v[16:17]
	s_or_b64 exec, exec, s[2:3]
                                        ; implicit-def: $vgpr17
	s_and_saveexec_b64 s[2:3], s[18:19]
	s_cbranch_execz .LBB1155_44
.LBB1155_224:
	v_lshlrev_b32_e32 v17, 2, v18
	v_mov_b32_e32 v18, s55
	v_add_co_u32_e32 v30, vcc, s7, v17
	v_addc_co_u32_e32 v31, vcc, 0, v18, vcc
	flat_load_dword v17, v[30:31]
	s_or_b64 exec, exec, s[2:3]
                                        ; implicit-def: $vgpr18
	s_and_saveexec_b64 s[2:3], s[20:21]
	s_cbranch_execz .LBB1155_45
.LBB1155_225:
	v_lshlrev_b32_e32 v18, 2, v19
	v_mov_b32_e32 v19, s55
	v_add_co_u32_e32 v18, vcc, s7, v18
	v_addc_co_u32_e32 v19, vcc, 0, v19, vcc
	flat_load_dword v18, v[18:19]
	s_or_b64 exec, exec, s[2:3]
                                        ; implicit-def: $vgpr19
	s_and_saveexec_b64 s[2:3], s[22:23]
	s_cbranch_execz .LBB1155_46
.LBB1155_226:
	v_lshlrev_b32_e32 v19, 2, v20
	v_mov_b32_e32 v20, s55
	v_add_co_u32_e32 v30, vcc, s7, v19
	v_addc_co_u32_e32 v31, vcc, 0, v20, vcc
	flat_load_dword v19, v[30:31]
	s_or_b64 exec, exec, s[2:3]
                                        ; implicit-def: $vgpr20
	s_and_saveexec_b64 s[2:3], s[24:25]
	s_cbranch_execz .LBB1155_47
.LBB1155_227:
	v_lshlrev_b32_e32 v20, 2, v21
	v_mov_b32_e32 v21, s55
	v_add_co_u32_e32 v20, vcc, s7, v20
	v_addc_co_u32_e32 v21, vcc, 0, v21, vcc
	flat_load_dword v20, v[20:21]
	s_or_b64 exec, exec, s[2:3]
                                        ; implicit-def: $vgpr21
	s_and_saveexec_b64 s[2:3], s[26:27]
	s_cbranch_execz .LBB1155_48
.LBB1155_228:
	v_lshlrev_b32_e32 v21, 2, v22
	v_mov_b32_e32 v22, s55
	v_add_co_u32_e32 v30, vcc, s7, v21
	v_addc_co_u32_e32 v31, vcc, 0, v22, vcc
	flat_load_dword v21, v[30:31]
	s_or_b64 exec, exec, s[2:3]
                                        ; implicit-def: $vgpr22
	s_and_saveexec_b64 s[2:3], s[28:29]
	s_cbranch_execnz .LBB1155_49
	s_branch .LBB1155_50
.LBB1155_229:
                                        ; implicit-def: $sgpr44_sgpr45
	s_branch .LBB1155_32
.LBB1155_230:
                                        ; implicit-def: $sgpr2_sgpr3
	s_branch .LBB1155_81
	.section	.rodata,"a",@progbits
	.p2align	6, 0x0
	.amdhsa_kernel _ZN7rocprim17ROCPRIM_400000_NS6detail17trampoline_kernelINS0_14default_configENS1_27scan_by_key_config_selectorIifEEZZNS1_16scan_by_key_implILNS1_25lookback_scan_determinismE0ELb0ES3_N6thrust23THRUST_200600_302600_NS6detail15normal_iteratorINS9_10device_ptrIiEEEENSB_INSC_IfEEEESG_fNS9_4plusIvEENS9_8equal_toIvEEfEE10hipError_tPvRmT2_T3_T4_T5_mT6_T7_P12ihipStream_tbENKUlT_T0_E_clISt17integral_constantIbLb1EES10_IbLb0EEEEDaSW_SX_EUlSW_E_NS1_11comp_targetILNS1_3genE4ELNS1_11target_archE910ELNS1_3gpuE8ELNS1_3repE0EEENS1_30default_config_static_selectorELNS0_4arch9wavefront6targetE1EEEvT1_
		.amdhsa_group_segment_fixed_size 16384
		.amdhsa_private_segment_fixed_size 0
		.amdhsa_kernarg_size 112
		.amdhsa_user_sgpr_count 6
		.amdhsa_user_sgpr_private_segment_buffer 1
		.amdhsa_user_sgpr_dispatch_ptr 0
		.amdhsa_user_sgpr_queue_ptr 0
		.amdhsa_user_sgpr_kernarg_segment_ptr 1
		.amdhsa_user_sgpr_dispatch_id 0
		.amdhsa_user_sgpr_flat_scratch_init 0
		.amdhsa_user_sgpr_kernarg_preload_length 0
		.amdhsa_user_sgpr_kernarg_preload_offset 0
		.amdhsa_user_sgpr_private_segment_size 0
		.amdhsa_uses_dynamic_stack 0
		.amdhsa_system_sgpr_private_segment_wavefront_offset 0
		.amdhsa_system_sgpr_workgroup_id_x 1
		.amdhsa_system_sgpr_workgroup_id_y 0
		.amdhsa_system_sgpr_workgroup_id_z 0
		.amdhsa_system_sgpr_workgroup_info 0
		.amdhsa_system_vgpr_workitem_id 0
		.amdhsa_next_free_vgpr 64
		.amdhsa_next_free_sgpr 63
		.amdhsa_accum_offset 64
		.amdhsa_reserve_vcc 1
		.amdhsa_reserve_flat_scratch 0
		.amdhsa_float_round_mode_32 0
		.amdhsa_float_round_mode_16_64 0
		.amdhsa_float_denorm_mode_32 3
		.amdhsa_float_denorm_mode_16_64 3
		.amdhsa_dx10_clamp 1
		.amdhsa_ieee_mode 1
		.amdhsa_fp16_overflow 0
		.amdhsa_tg_split 0
		.amdhsa_exception_fp_ieee_invalid_op 0
		.amdhsa_exception_fp_denorm_src 0
		.amdhsa_exception_fp_ieee_div_zero 0
		.amdhsa_exception_fp_ieee_overflow 0
		.amdhsa_exception_fp_ieee_underflow 0
		.amdhsa_exception_fp_ieee_inexact 0
		.amdhsa_exception_int_div_zero 0
	.end_amdhsa_kernel
	.section	.text._ZN7rocprim17ROCPRIM_400000_NS6detail17trampoline_kernelINS0_14default_configENS1_27scan_by_key_config_selectorIifEEZZNS1_16scan_by_key_implILNS1_25lookback_scan_determinismE0ELb0ES3_N6thrust23THRUST_200600_302600_NS6detail15normal_iteratorINS9_10device_ptrIiEEEENSB_INSC_IfEEEESG_fNS9_4plusIvEENS9_8equal_toIvEEfEE10hipError_tPvRmT2_T3_T4_T5_mT6_T7_P12ihipStream_tbENKUlT_T0_E_clISt17integral_constantIbLb1EES10_IbLb0EEEEDaSW_SX_EUlSW_E_NS1_11comp_targetILNS1_3genE4ELNS1_11target_archE910ELNS1_3gpuE8ELNS1_3repE0EEENS1_30default_config_static_selectorELNS0_4arch9wavefront6targetE1EEEvT1_,"axG",@progbits,_ZN7rocprim17ROCPRIM_400000_NS6detail17trampoline_kernelINS0_14default_configENS1_27scan_by_key_config_selectorIifEEZZNS1_16scan_by_key_implILNS1_25lookback_scan_determinismE0ELb0ES3_N6thrust23THRUST_200600_302600_NS6detail15normal_iteratorINS9_10device_ptrIiEEEENSB_INSC_IfEEEESG_fNS9_4plusIvEENS9_8equal_toIvEEfEE10hipError_tPvRmT2_T3_T4_T5_mT6_T7_P12ihipStream_tbENKUlT_T0_E_clISt17integral_constantIbLb1EES10_IbLb0EEEEDaSW_SX_EUlSW_E_NS1_11comp_targetILNS1_3genE4ELNS1_11target_archE910ELNS1_3gpuE8ELNS1_3repE0EEENS1_30default_config_static_selectorELNS0_4arch9wavefront6targetE1EEEvT1_,comdat
.Lfunc_end1155:
	.size	_ZN7rocprim17ROCPRIM_400000_NS6detail17trampoline_kernelINS0_14default_configENS1_27scan_by_key_config_selectorIifEEZZNS1_16scan_by_key_implILNS1_25lookback_scan_determinismE0ELb0ES3_N6thrust23THRUST_200600_302600_NS6detail15normal_iteratorINS9_10device_ptrIiEEEENSB_INSC_IfEEEESG_fNS9_4plusIvEENS9_8equal_toIvEEfEE10hipError_tPvRmT2_T3_T4_T5_mT6_T7_P12ihipStream_tbENKUlT_T0_E_clISt17integral_constantIbLb1EES10_IbLb0EEEEDaSW_SX_EUlSW_E_NS1_11comp_targetILNS1_3genE4ELNS1_11target_archE910ELNS1_3gpuE8ELNS1_3repE0EEENS1_30default_config_static_selectorELNS0_4arch9wavefront6targetE1EEEvT1_, .Lfunc_end1155-_ZN7rocprim17ROCPRIM_400000_NS6detail17trampoline_kernelINS0_14default_configENS1_27scan_by_key_config_selectorIifEEZZNS1_16scan_by_key_implILNS1_25lookback_scan_determinismE0ELb0ES3_N6thrust23THRUST_200600_302600_NS6detail15normal_iteratorINS9_10device_ptrIiEEEENSB_INSC_IfEEEESG_fNS9_4plusIvEENS9_8equal_toIvEEfEE10hipError_tPvRmT2_T3_T4_T5_mT6_T7_P12ihipStream_tbENKUlT_T0_E_clISt17integral_constantIbLb1EES10_IbLb0EEEEDaSW_SX_EUlSW_E_NS1_11comp_targetILNS1_3genE4ELNS1_11target_archE910ELNS1_3gpuE8ELNS1_3repE0EEENS1_30default_config_static_selectorELNS0_4arch9wavefront6targetE1EEEvT1_
                                        ; -- End function
	.section	.AMDGPU.csdata,"",@progbits
; Kernel info:
; codeLenInByte = 10692
; NumSgprs: 67
; NumVgprs: 64
; NumAgprs: 0
; TotalNumVgprs: 64
; ScratchSize: 0
; MemoryBound: 0
; FloatMode: 240
; IeeeMode: 1
; LDSByteSize: 16384 bytes/workgroup (compile time only)
; SGPRBlocks: 8
; VGPRBlocks: 7
; NumSGPRsForWavesPerEU: 67
; NumVGPRsForWavesPerEU: 64
; AccumOffset: 64
; Occupancy: 4
; WaveLimiterHint : 1
; COMPUTE_PGM_RSRC2:SCRATCH_EN: 0
; COMPUTE_PGM_RSRC2:USER_SGPR: 6
; COMPUTE_PGM_RSRC2:TRAP_HANDLER: 0
; COMPUTE_PGM_RSRC2:TGID_X_EN: 1
; COMPUTE_PGM_RSRC2:TGID_Y_EN: 0
; COMPUTE_PGM_RSRC2:TGID_Z_EN: 0
; COMPUTE_PGM_RSRC2:TIDIG_COMP_CNT: 0
; COMPUTE_PGM_RSRC3_GFX90A:ACCUM_OFFSET: 15
; COMPUTE_PGM_RSRC3_GFX90A:TG_SPLIT: 0
	.section	.text._ZN7rocprim17ROCPRIM_400000_NS6detail17trampoline_kernelINS0_14default_configENS1_27scan_by_key_config_selectorIifEEZZNS1_16scan_by_key_implILNS1_25lookback_scan_determinismE0ELb0ES3_N6thrust23THRUST_200600_302600_NS6detail15normal_iteratorINS9_10device_ptrIiEEEENSB_INSC_IfEEEESG_fNS9_4plusIvEENS9_8equal_toIvEEfEE10hipError_tPvRmT2_T3_T4_T5_mT6_T7_P12ihipStream_tbENKUlT_T0_E_clISt17integral_constantIbLb1EES10_IbLb0EEEEDaSW_SX_EUlSW_E_NS1_11comp_targetILNS1_3genE3ELNS1_11target_archE908ELNS1_3gpuE7ELNS1_3repE0EEENS1_30default_config_static_selectorELNS0_4arch9wavefront6targetE1EEEvT1_,"axG",@progbits,_ZN7rocprim17ROCPRIM_400000_NS6detail17trampoline_kernelINS0_14default_configENS1_27scan_by_key_config_selectorIifEEZZNS1_16scan_by_key_implILNS1_25lookback_scan_determinismE0ELb0ES3_N6thrust23THRUST_200600_302600_NS6detail15normal_iteratorINS9_10device_ptrIiEEEENSB_INSC_IfEEEESG_fNS9_4plusIvEENS9_8equal_toIvEEfEE10hipError_tPvRmT2_T3_T4_T5_mT6_T7_P12ihipStream_tbENKUlT_T0_E_clISt17integral_constantIbLb1EES10_IbLb0EEEEDaSW_SX_EUlSW_E_NS1_11comp_targetILNS1_3genE3ELNS1_11target_archE908ELNS1_3gpuE7ELNS1_3repE0EEENS1_30default_config_static_selectorELNS0_4arch9wavefront6targetE1EEEvT1_,comdat
	.protected	_ZN7rocprim17ROCPRIM_400000_NS6detail17trampoline_kernelINS0_14default_configENS1_27scan_by_key_config_selectorIifEEZZNS1_16scan_by_key_implILNS1_25lookback_scan_determinismE0ELb0ES3_N6thrust23THRUST_200600_302600_NS6detail15normal_iteratorINS9_10device_ptrIiEEEENSB_INSC_IfEEEESG_fNS9_4plusIvEENS9_8equal_toIvEEfEE10hipError_tPvRmT2_T3_T4_T5_mT6_T7_P12ihipStream_tbENKUlT_T0_E_clISt17integral_constantIbLb1EES10_IbLb0EEEEDaSW_SX_EUlSW_E_NS1_11comp_targetILNS1_3genE3ELNS1_11target_archE908ELNS1_3gpuE7ELNS1_3repE0EEENS1_30default_config_static_selectorELNS0_4arch9wavefront6targetE1EEEvT1_ ; -- Begin function _ZN7rocprim17ROCPRIM_400000_NS6detail17trampoline_kernelINS0_14default_configENS1_27scan_by_key_config_selectorIifEEZZNS1_16scan_by_key_implILNS1_25lookback_scan_determinismE0ELb0ES3_N6thrust23THRUST_200600_302600_NS6detail15normal_iteratorINS9_10device_ptrIiEEEENSB_INSC_IfEEEESG_fNS9_4plusIvEENS9_8equal_toIvEEfEE10hipError_tPvRmT2_T3_T4_T5_mT6_T7_P12ihipStream_tbENKUlT_T0_E_clISt17integral_constantIbLb1EES10_IbLb0EEEEDaSW_SX_EUlSW_E_NS1_11comp_targetILNS1_3genE3ELNS1_11target_archE908ELNS1_3gpuE7ELNS1_3repE0EEENS1_30default_config_static_selectorELNS0_4arch9wavefront6targetE1EEEvT1_
	.globl	_ZN7rocprim17ROCPRIM_400000_NS6detail17trampoline_kernelINS0_14default_configENS1_27scan_by_key_config_selectorIifEEZZNS1_16scan_by_key_implILNS1_25lookback_scan_determinismE0ELb0ES3_N6thrust23THRUST_200600_302600_NS6detail15normal_iteratorINS9_10device_ptrIiEEEENSB_INSC_IfEEEESG_fNS9_4plusIvEENS9_8equal_toIvEEfEE10hipError_tPvRmT2_T3_T4_T5_mT6_T7_P12ihipStream_tbENKUlT_T0_E_clISt17integral_constantIbLb1EES10_IbLb0EEEEDaSW_SX_EUlSW_E_NS1_11comp_targetILNS1_3genE3ELNS1_11target_archE908ELNS1_3gpuE7ELNS1_3repE0EEENS1_30default_config_static_selectorELNS0_4arch9wavefront6targetE1EEEvT1_
	.p2align	8
	.type	_ZN7rocprim17ROCPRIM_400000_NS6detail17trampoline_kernelINS0_14default_configENS1_27scan_by_key_config_selectorIifEEZZNS1_16scan_by_key_implILNS1_25lookback_scan_determinismE0ELb0ES3_N6thrust23THRUST_200600_302600_NS6detail15normal_iteratorINS9_10device_ptrIiEEEENSB_INSC_IfEEEESG_fNS9_4plusIvEENS9_8equal_toIvEEfEE10hipError_tPvRmT2_T3_T4_T5_mT6_T7_P12ihipStream_tbENKUlT_T0_E_clISt17integral_constantIbLb1EES10_IbLb0EEEEDaSW_SX_EUlSW_E_NS1_11comp_targetILNS1_3genE3ELNS1_11target_archE908ELNS1_3gpuE7ELNS1_3repE0EEENS1_30default_config_static_selectorELNS0_4arch9wavefront6targetE1EEEvT1_,@function
_ZN7rocprim17ROCPRIM_400000_NS6detail17trampoline_kernelINS0_14default_configENS1_27scan_by_key_config_selectorIifEEZZNS1_16scan_by_key_implILNS1_25lookback_scan_determinismE0ELb0ES3_N6thrust23THRUST_200600_302600_NS6detail15normal_iteratorINS9_10device_ptrIiEEEENSB_INSC_IfEEEESG_fNS9_4plusIvEENS9_8equal_toIvEEfEE10hipError_tPvRmT2_T3_T4_T5_mT6_T7_P12ihipStream_tbENKUlT_T0_E_clISt17integral_constantIbLb1EES10_IbLb0EEEEDaSW_SX_EUlSW_E_NS1_11comp_targetILNS1_3genE3ELNS1_11target_archE908ELNS1_3gpuE7ELNS1_3repE0EEENS1_30default_config_static_selectorELNS0_4arch9wavefront6targetE1EEEvT1_: ; @_ZN7rocprim17ROCPRIM_400000_NS6detail17trampoline_kernelINS0_14default_configENS1_27scan_by_key_config_selectorIifEEZZNS1_16scan_by_key_implILNS1_25lookback_scan_determinismE0ELb0ES3_N6thrust23THRUST_200600_302600_NS6detail15normal_iteratorINS9_10device_ptrIiEEEENSB_INSC_IfEEEESG_fNS9_4plusIvEENS9_8equal_toIvEEfEE10hipError_tPvRmT2_T3_T4_T5_mT6_T7_P12ihipStream_tbENKUlT_T0_E_clISt17integral_constantIbLb1EES10_IbLb0EEEEDaSW_SX_EUlSW_E_NS1_11comp_targetILNS1_3genE3ELNS1_11target_archE908ELNS1_3gpuE7ELNS1_3repE0EEENS1_30default_config_static_selectorELNS0_4arch9wavefront6targetE1EEEvT1_
; %bb.0:
	.section	.rodata,"a",@progbits
	.p2align	6, 0x0
	.amdhsa_kernel _ZN7rocprim17ROCPRIM_400000_NS6detail17trampoline_kernelINS0_14default_configENS1_27scan_by_key_config_selectorIifEEZZNS1_16scan_by_key_implILNS1_25lookback_scan_determinismE0ELb0ES3_N6thrust23THRUST_200600_302600_NS6detail15normal_iteratorINS9_10device_ptrIiEEEENSB_INSC_IfEEEESG_fNS9_4plusIvEENS9_8equal_toIvEEfEE10hipError_tPvRmT2_T3_T4_T5_mT6_T7_P12ihipStream_tbENKUlT_T0_E_clISt17integral_constantIbLb1EES10_IbLb0EEEEDaSW_SX_EUlSW_E_NS1_11comp_targetILNS1_3genE3ELNS1_11target_archE908ELNS1_3gpuE7ELNS1_3repE0EEENS1_30default_config_static_selectorELNS0_4arch9wavefront6targetE1EEEvT1_
		.amdhsa_group_segment_fixed_size 0
		.amdhsa_private_segment_fixed_size 0
		.amdhsa_kernarg_size 112
		.amdhsa_user_sgpr_count 6
		.amdhsa_user_sgpr_private_segment_buffer 1
		.amdhsa_user_sgpr_dispatch_ptr 0
		.amdhsa_user_sgpr_queue_ptr 0
		.amdhsa_user_sgpr_kernarg_segment_ptr 1
		.amdhsa_user_sgpr_dispatch_id 0
		.amdhsa_user_sgpr_flat_scratch_init 0
		.amdhsa_user_sgpr_kernarg_preload_length 0
		.amdhsa_user_sgpr_kernarg_preload_offset 0
		.amdhsa_user_sgpr_private_segment_size 0
		.amdhsa_uses_dynamic_stack 0
		.amdhsa_system_sgpr_private_segment_wavefront_offset 0
		.amdhsa_system_sgpr_workgroup_id_x 1
		.amdhsa_system_sgpr_workgroup_id_y 0
		.amdhsa_system_sgpr_workgroup_id_z 0
		.amdhsa_system_sgpr_workgroup_info 0
		.amdhsa_system_vgpr_workitem_id 0
		.amdhsa_next_free_vgpr 1
		.amdhsa_next_free_sgpr 0
		.amdhsa_accum_offset 4
		.amdhsa_reserve_vcc 0
		.amdhsa_reserve_flat_scratch 0
		.amdhsa_float_round_mode_32 0
		.amdhsa_float_round_mode_16_64 0
		.amdhsa_float_denorm_mode_32 3
		.amdhsa_float_denorm_mode_16_64 3
		.amdhsa_dx10_clamp 1
		.amdhsa_ieee_mode 1
		.amdhsa_fp16_overflow 0
		.amdhsa_tg_split 0
		.amdhsa_exception_fp_ieee_invalid_op 0
		.amdhsa_exception_fp_denorm_src 0
		.amdhsa_exception_fp_ieee_div_zero 0
		.amdhsa_exception_fp_ieee_overflow 0
		.amdhsa_exception_fp_ieee_underflow 0
		.amdhsa_exception_fp_ieee_inexact 0
		.amdhsa_exception_int_div_zero 0
	.end_amdhsa_kernel
	.section	.text._ZN7rocprim17ROCPRIM_400000_NS6detail17trampoline_kernelINS0_14default_configENS1_27scan_by_key_config_selectorIifEEZZNS1_16scan_by_key_implILNS1_25lookback_scan_determinismE0ELb0ES3_N6thrust23THRUST_200600_302600_NS6detail15normal_iteratorINS9_10device_ptrIiEEEENSB_INSC_IfEEEESG_fNS9_4plusIvEENS9_8equal_toIvEEfEE10hipError_tPvRmT2_T3_T4_T5_mT6_T7_P12ihipStream_tbENKUlT_T0_E_clISt17integral_constantIbLb1EES10_IbLb0EEEEDaSW_SX_EUlSW_E_NS1_11comp_targetILNS1_3genE3ELNS1_11target_archE908ELNS1_3gpuE7ELNS1_3repE0EEENS1_30default_config_static_selectorELNS0_4arch9wavefront6targetE1EEEvT1_,"axG",@progbits,_ZN7rocprim17ROCPRIM_400000_NS6detail17trampoline_kernelINS0_14default_configENS1_27scan_by_key_config_selectorIifEEZZNS1_16scan_by_key_implILNS1_25lookback_scan_determinismE0ELb0ES3_N6thrust23THRUST_200600_302600_NS6detail15normal_iteratorINS9_10device_ptrIiEEEENSB_INSC_IfEEEESG_fNS9_4plusIvEENS9_8equal_toIvEEfEE10hipError_tPvRmT2_T3_T4_T5_mT6_T7_P12ihipStream_tbENKUlT_T0_E_clISt17integral_constantIbLb1EES10_IbLb0EEEEDaSW_SX_EUlSW_E_NS1_11comp_targetILNS1_3genE3ELNS1_11target_archE908ELNS1_3gpuE7ELNS1_3repE0EEENS1_30default_config_static_selectorELNS0_4arch9wavefront6targetE1EEEvT1_,comdat
.Lfunc_end1156:
	.size	_ZN7rocprim17ROCPRIM_400000_NS6detail17trampoline_kernelINS0_14default_configENS1_27scan_by_key_config_selectorIifEEZZNS1_16scan_by_key_implILNS1_25lookback_scan_determinismE0ELb0ES3_N6thrust23THRUST_200600_302600_NS6detail15normal_iteratorINS9_10device_ptrIiEEEENSB_INSC_IfEEEESG_fNS9_4plusIvEENS9_8equal_toIvEEfEE10hipError_tPvRmT2_T3_T4_T5_mT6_T7_P12ihipStream_tbENKUlT_T0_E_clISt17integral_constantIbLb1EES10_IbLb0EEEEDaSW_SX_EUlSW_E_NS1_11comp_targetILNS1_3genE3ELNS1_11target_archE908ELNS1_3gpuE7ELNS1_3repE0EEENS1_30default_config_static_selectorELNS0_4arch9wavefront6targetE1EEEvT1_, .Lfunc_end1156-_ZN7rocprim17ROCPRIM_400000_NS6detail17trampoline_kernelINS0_14default_configENS1_27scan_by_key_config_selectorIifEEZZNS1_16scan_by_key_implILNS1_25lookback_scan_determinismE0ELb0ES3_N6thrust23THRUST_200600_302600_NS6detail15normal_iteratorINS9_10device_ptrIiEEEENSB_INSC_IfEEEESG_fNS9_4plusIvEENS9_8equal_toIvEEfEE10hipError_tPvRmT2_T3_T4_T5_mT6_T7_P12ihipStream_tbENKUlT_T0_E_clISt17integral_constantIbLb1EES10_IbLb0EEEEDaSW_SX_EUlSW_E_NS1_11comp_targetILNS1_3genE3ELNS1_11target_archE908ELNS1_3gpuE7ELNS1_3repE0EEENS1_30default_config_static_selectorELNS0_4arch9wavefront6targetE1EEEvT1_
                                        ; -- End function
	.section	.AMDGPU.csdata,"",@progbits
; Kernel info:
; codeLenInByte = 0
; NumSgprs: 4
; NumVgprs: 0
; NumAgprs: 0
; TotalNumVgprs: 0
; ScratchSize: 0
; MemoryBound: 0
; FloatMode: 240
; IeeeMode: 1
; LDSByteSize: 0 bytes/workgroup (compile time only)
; SGPRBlocks: 0
; VGPRBlocks: 0
; NumSGPRsForWavesPerEU: 4
; NumVGPRsForWavesPerEU: 1
; AccumOffset: 4
; Occupancy: 8
; WaveLimiterHint : 0
; COMPUTE_PGM_RSRC2:SCRATCH_EN: 0
; COMPUTE_PGM_RSRC2:USER_SGPR: 6
; COMPUTE_PGM_RSRC2:TRAP_HANDLER: 0
; COMPUTE_PGM_RSRC2:TGID_X_EN: 1
; COMPUTE_PGM_RSRC2:TGID_Y_EN: 0
; COMPUTE_PGM_RSRC2:TGID_Z_EN: 0
; COMPUTE_PGM_RSRC2:TIDIG_COMP_CNT: 0
; COMPUTE_PGM_RSRC3_GFX90A:ACCUM_OFFSET: 0
; COMPUTE_PGM_RSRC3_GFX90A:TG_SPLIT: 0
	.section	.text._ZN7rocprim17ROCPRIM_400000_NS6detail17trampoline_kernelINS0_14default_configENS1_27scan_by_key_config_selectorIifEEZZNS1_16scan_by_key_implILNS1_25lookback_scan_determinismE0ELb0ES3_N6thrust23THRUST_200600_302600_NS6detail15normal_iteratorINS9_10device_ptrIiEEEENSB_INSC_IfEEEESG_fNS9_4plusIvEENS9_8equal_toIvEEfEE10hipError_tPvRmT2_T3_T4_T5_mT6_T7_P12ihipStream_tbENKUlT_T0_E_clISt17integral_constantIbLb1EES10_IbLb0EEEEDaSW_SX_EUlSW_E_NS1_11comp_targetILNS1_3genE2ELNS1_11target_archE906ELNS1_3gpuE6ELNS1_3repE0EEENS1_30default_config_static_selectorELNS0_4arch9wavefront6targetE1EEEvT1_,"axG",@progbits,_ZN7rocprim17ROCPRIM_400000_NS6detail17trampoline_kernelINS0_14default_configENS1_27scan_by_key_config_selectorIifEEZZNS1_16scan_by_key_implILNS1_25lookback_scan_determinismE0ELb0ES3_N6thrust23THRUST_200600_302600_NS6detail15normal_iteratorINS9_10device_ptrIiEEEENSB_INSC_IfEEEESG_fNS9_4plusIvEENS9_8equal_toIvEEfEE10hipError_tPvRmT2_T3_T4_T5_mT6_T7_P12ihipStream_tbENKUlT_T0_E_clISt17integral_constantIbLb1EES10_IbLb0EEEEDaSW_SX_EUlSW_E_NS1_11comp_targetILNS1_3genE2ELNS1_11target_archE906ELNS1_3gpuE6ELNS1_3repE0EEENS1_30default_config_static_selectorELNS0_4arch9wavefront6targetE1EEEvT1_,comdat
	.protected	_ZN7rocprim17ROCPRIM_400000_NS6detail17trampoline_kernelINS0_14default_configENS1_27scan_by_key_config_selectorIifEEZZNS1_16scan_by_key_implILNS1_25lookback_scan_determinismE0ELb0ES3_N6thrust23THRUST_200600_302600_NS6detail15normal_iteratorINS9_10device_ptrIiEEEENSB_INSC_IfEEEESG_fNS9_4plusIvEENS9_8equal_toIvEEfEE10hipError_tPvRmT2_T3_T4_T5_mT6_T7_P12ihipStream_tbENKUlT_T0_E_clISt17integral_constantIbLb1EES10_IbLb0EEEEDaSW_SX_EUlSW_E_NS1_11comp_targetILNS1_3genE2ELNS1_11target_archE906ELNS1_3gpuE6ELNS1_3repE0EEENS1_30default_config_static_selectorELNS0_4arch9wavefront6targetE1EEEvT1_ ; -- Begin function _ZN7rocprim17ROCPRIM_400000_NS6detail17trampoline_kernelINS0_14default_configENS1_27scan_by_key_config_selectorIifEEZZNS1_16scan_by_key_implILNS1_25lookback_scan_determinismE0ELb0ES3_N6thrust23THRUST_200600_302600_NS6detail15normal_iteratorINS9_10device_ptrIiEEEENSB_INSC_IfEEEESG_fNS9_4plusIvEENS9_8equal_toIvEEfEE10hipError_tPvRmT2_T3_T4_T5_mT6_T7_P12ihipStream_tbENKUlT_T0_E_clISt17integral_constantIbLb1EES10_IbLb0EEEEDaSW_SX_EUlSW_E_NS1_11comp_targetILNS1_3genE2ELNS1_11target_archE906ELNS1_3gpuE6ELNS1_3repE0EEENS1_30default_config_static_selectorELNS0_4arch9wavefront6targetE1EEEvT1_
	.globl	_ZN7rocprim17ROCPRIM_400000_NS6detail17trampoline_kernelINS0_14default_configENS1_27scan_by_key_config_selectorIifEEZZNS1_16scan_by_key_implILNS1_25lookback_scan_determinismE0ELb0ES3_N6thrust23THRUST_200600_302600_NS6detail15normal_iteratorINS9_10device_ptrIiEEEENSB_INSC_IfEEEESG_fNS9_4plusIvEENS9_8equal_toIvEEfEE10hipError_tPvRmT2_T3_T4_T5_mT6_T7_P12ihipStream_tbENKUlT_T0_E_clISt17integral_constantIbLb1EES10_IbLb0EEEEDaSW_SX_EUlSW_E_NS1_11comp_targetILNS1_3genE2ELNS1_11target_archE906ELNS1_3gpuE6ELNS1_3repE0EEENS1_30default_config_static_selectorELNS0_4arch9wavefront6targetE1EEEvT1_
	.p2align	8
	.type	_ZN7rocprim17ROCPRIM_400000_NS6detail17trampoline_kernelINS0_14default_configENS1_27scan_by_key_config_selectorIifEEZZNS1_16scan_by_key_implILNS1_25lookback_scan_determinismE0ELb0ES3_N6thrust23THRUST_200600_302600_NS6detail15normal_iteratorINS9_10device_ptrIiEEEENSB_INSC_IfEEEESG_fNS9_4plusIvEENS9_8equal_toIvEEfEE10hipError_tPvRmT2_T3_T4_T5_mT6_T7_P12ihipStream_tbENKUlT_T0_E_clISt17integral_constantIbLb1EES10_IbLb0EEEEDaSW_SX_EUlSW_E_NS1_11comp_targetILNS1_3genE2ELNS1_11target_archE906ELNS1_3gpuE6ELNS1_3repE0EEENS1_30default_config_static_selectorELNS0_4arch9wavefront6targetE1EEEvT1_,@function
_ZN7rocprim17ROCPRIM_400000_NS6detail17trampoline_kernelINS0_14default_configENS1_27scan_by_key_config_selectorIifEEZZNS1_16scan_by_key_implILNS1_25lookback_scan_determinismE0ELb0ES3_N6thrust23THRUST_200600_302600_NS6detail15normal_iteratorINS9_10device_ptrIiEEEENSB_INSC_IfEEEESG_fNS9_4plusIvEENS9_8equal_toIvEEfEE10hipError_tPvRmT2_T3_T4_T5_mT6_T7_P12ihipStream_tbENKUlT_T0_E_clISt17integral_constantIbLb1EES10_IbLb0EEEEDaSW_SX_EUlSW_E_NS1_11comp_targetILNS1_3genE2ELNS1_11target_archE906ELNS1_3gpuE6ELNS1_3repE0EEENS1_30default_config_static_selectorELNS0_4arch9wavefront6targetE1EEEvT1_: ; @_ZN7rocprim17ROCPRIM_400000_NS6detail17trampoline_kernelINS0_14default_configENS1_27scan_by_key_config_selectorIifEEZZNS1_16scan_by_key_implILNS1_25lookback_scan_determinismE0ELb0ES3_N6thrust23THRUST_200600_302600_NS6detail15normal_iteratorINS9_10device_ptrIiEEEENSB_INSC_IfEEEESG_fNS9_4plusIvEENS9_8equal_toIvEEfEE10hipError_tPvRmT2_T3_T4_T5_mT6_T7_P12ihipStream_tbENKUlT_T0_E_clISt17integral_constantIbLb1EES10_IbLb0EEEEDaSW_SX_EUlSW_E_NS1_11comp_targetILNS1_3genE2ELNS1_11target_archE906ELNS1_3gpuE6ELNS1_3repE0EEENS1_30default_config_static_selectorELNS0_4arch9wavefront6targetE1EEEvT1_
; %bb.0:
	.section	.rodata,"a",@progbits
	.p2align	6, 0x0
	.amdhsa_kernel _ZN7rocprim17ROCPRIM_400000_NS6detail17trampoline_kernelINS0_14default_configENS1_27scan_by_key_config_selectorIifEEZZNS1_16scan_by_key_implILNS1_25lookback_scan_determinismE0ELb0ES3_N6thrust23THRUST_200600_302600_NS6detail15normal_iteratorINS9_10device_ptrIiEEEENSB_INSC_IfEEEESG_fNS9_4plusIvEENS9_8equal_toIvEEfEE10hipError_tPvRmT2_T3_T4_T5_mT6_T7_P12ihipStream_tbENKUlT_T0_E_clISt17integral_constantIbLb1EES10_IbLb0EEEEDaSW_SX_EUlSW_E_NS1_11comp_targetILNS1_3genE2ELNS1_11target_archE906ELNS1_3gpuE6ELNS1_3repE0EEENS1_30default_config_static_selectorELNS0_4arch9wavefront6targetE1EEEvT1_
		.amdhsa_group_segment_fixed_size 0
		.amdhsa_private_segment_fixed_size 0
		.amdhsa_kernarg_size 112
		.amdhsa_user_sgpr_count 6
		.amdhsa_user_sgpr_private_segment_buffer 1
		.amdhsa_user_sgpr_dispatch_ptr 0
		.amdhsa_user_sgpr_queue_ptr 0
		.amdhsa_user_sgpr_kernarg_segment_ptr 1
		.amdhsa_user_sgpr_dispatch_id 0
		.amdhsa_user_sgpr_flat_scratch_init 0
		.amdhsa_user_sgpr_kernarg_preload_length 0
		.amdhsa_user_sgpr_kernarg_preload_offset 0
		.amdhsa_user_sgpr_private_segment_size 0
		.amdhsa_uses_dynamic_stack 0
		.amdhsa_system_sgpr_private_segment_wavefront_offset 0
		.amdhsa_system_sgpr_workgroup_id_x 1
		.amdhsa_system_sgpr_workgroup_id_y 0
		.amdhsa_system_sgpr_workgroup_id_z 0
		.amdhsa_system_sgpr_workgroup_info 0
		.amdhsa_system_vgpr_workitem_id 0
		.amdhsa_next_free_vgpr 1
		.amdhsa_next_free_sgpr 0
		.amdhsa_accum_offset 4
		.amdhsa_reserve_vcc 0
		.amdhsa_reserve_flat_scratch 0
		.amdhsa_float_round_mode_32 0
		.amdhsa_float_round_mode_16_64 0
		.amdhsa_float_denorm_mode_32 3
		.amdhsa_float_denorm_mode_16_64 3
		.amdhsa_dx10_clamp 1
		.amdhsa_ieee_mode 1
		.amdhsa_fp16_overflow 0
		.amdhsa_tg_split 0
		.amdhsa_exception_fp_ieee_invalid_op 0
		.amdhsa_exception_fp_denorm_src 0
		.amdhsa_exception_fp_ieee_div_zero 0
		.amdhsa_exception_fp_ieee_overflow 0
		.amdhsa_exception_fp_ieee_underflow 0
		.amdhsa_exception_fp_ieee_inexact 0
		.amdhsa_exception_int_div_zero 0
	.end_amdhsa_kernel
	.section	.text._ZN7rocprim17ROCPRIM_400000_NS6detail17trampoline_kernelINS0_14default_configENS1_27scan_by_key_config_selectorIifEEZZNS1_16scan_by_key_implILNS1_25lookback_scan_determinismE0ELb0ES3_N6thrust23THRUST_200600_302600_NS6detail15normal_iteratorINS9_10device_ptrIiEEEENSB_INSC_IfEEEESG_fNS9_4plusIvEENS9_8equal_toIvEEfEE10hipError_tPvRmT2_T3_T4_T5_mT6_T7_P12ihipStream_tbENKUlT_T0_E_clISt17integral_constantIbLb1EES10_IbLb0EEEEDaSW_SX_EUlSW_E_NS1_11comp_targetILNS1_3genE2ELNS1_11target_archE906ELNS1_3gpuE6ELNS1_3repE0EEENS1_30default_config_static_selectorELNS0_4arch9wavefront6targetE1EEEvT1_,"axG",@progbits,_ZN7rocprim17ROCPRIM_400000_NS6detail17trampoline_kernelINS0_14default_configENS1_27scan_by_key_config_selectorIifEEZZNS1_16scan_by_key_implILNS1_25lookback_scan_determinismE0ELb0ES3_N6thrust23THRUST_200600_302600_NS6detail15normal_iteratorINS9_10device_ptrIiEEEENSB_INSC_IfEEEESG_fNS9_4plusIvEENS9_8equal_toIvEEfEE10hipError_tPvRmT2_T3_T4_T5_mT6_T7_P12ihipStream_tbENKUlT_T0_E_clISt17integral_constantIbLb1EES10_IbLb0EEEEDaSW_SX_EUlSW_E_NS1_11comp_targetILNS1_3genE2ELNS1_11target_archE906ELNS1_3gpuE6ELNS1_3repE0EEENS1_30default_config_static_selectorELNS0_4arch9wavefront6targetE1EEEvT1_,comdat
.Lfunc_end1157:
	.size	_ZN7rocprim17ROCPRIM_400000_NS6detail17trampoline_kernelINS0_14default_configENS1_27scan_by_key_config_selectorIifEEZZNS1_16scan_by_key_implILNS1_25lookback_scan_determinismE0ELb0ES3_N6thrust23THRUST_200600_302600_NS6detail15normal_iteratorINS9_10device_ptrIiEEEENSB_INSC_IfEEEESG_fNS9_4plusIvEENS9_8equal_toIvEEfEE10hipError_tPvRmT2_T3_T4_T5_mT6_T7_P12ihipStream_tbENKUlT_T0_E_clISt17integral_constantIbLb1EES10_IbLb0EEEEDaSW_SX_EUlSW_E_NS1_11comp_targetILNS1_3genE2ELNS1_11target_archE906ELNS1_3gpuE6ELNS1_3repE0EEENS1_30default_config_static_selectorELNS0_4arch9wavefront6targetE1EEEvT1_, .Lfunc_end1157-_ZN7rocprim17ROCPRIM_400000_NS6detail17trampoline_kernelINS0_14default_configENS1_27scan_by_key_config_selectorIifEEZZNS1_16scan_by_key_implILNS1_25lookback_scan_determinismE0ELb0ES3_N6thrust23THRUST_200600_302600_NS6detail15normal_iteratorINS9_10device_ptrIiEEEENSB_INSC_IfEEEESG_fNS9_4plusIvEENS9_8equal_toIvEEfEE10hipError_tPvRmT2_T3_T4_T5_mT6_T7_P12ihipStream_tbENKUlT_T0_E_clISt17integral_constantIbLb1EES10_IbLb0EEEEDaSW_SX_EUlSW_E_NS1_11comp_targetILNS1_3genE2ELNS1_11target_archE906ELNS1_3gpuE6ELNS1_3repE0EEENS1_30default_config_static_selectorELNS0_4arch9wavefront6targetE1EEEvT1_
                                        ; -- End function
	.section	.AMDGPU.csdata,"",@progbits
; Kernel info:
; codeLenInByte = 0
; NumSgprs: 4
; NumVgprs: 0
; NumAgprs: 0
; TotalNumVgprs: 0
; ScratchSize: 0
; MemoryBound: 0
; FloatMode: 240
; IeeeMode: 1
; LDSByteSize: 0 bytes/workgroup (compile time only)
; SGPRBlocks: 0
; VGPRBlocks: 0
; NumSGPRsForWavesPerEU: 4
; NumVGPRsForWavesPerEU: 1
; AccumOffset: 4
; Occupancy: 8
; WaveLimiterHint : 0
; COMPUTE_PGM_RSRC2:SCRATCH_EN: 0
; COMPUTE_PGM_RSRC2:USER_SGPR: 6
; COMPUTE_PGM_RSRC2:TRAP_HANDLER: 0
; COMPUTE_PGM_RSRC2:TGID_X_EN: 1
; COMPUTE_PGM_RSRC2:TGID_Y_EN: 0
; COMPUTE_PGM_RSRC2:TGID_Z_EN: 0
; COMPUTE_PGM_RSRC2:TIDIG_COMP_CNT: 0
; COMPUTE_PGM_RSRC3_GFX90A:ACCUM_OFFSET: 0
; COMPUTE_PGM_RSRC3_GFX90A:TG_SPLIT: 0
	.section	.text._ZN7rocprim17ROCPRIM_400000_NS6detail17trampoline_kernelINS0_14default_configENS1_27scan_by_key_config_selectorIifEEZZNS1_16scan_by_key_implILNS1_25lookback_scan_determinismE0ELb0ES3_N6thrust23THRUST_200600_302600_NS6detail15normal_iteratorINS9_10device_ptrIiEEEENSB_INSC_IfEEEESG_fNS9_4plusIvEENS9_8equal_toIvEEfEE10hipError_tPvRmT2_T3_T4_T5_mT6_T7_P12ihipStream_tbENKUlT_T0_E_clISt17integral_constantIbLb1EES10_IbLb0EEEEDaSW_SX_EUlSW_E_NS1_11comp_targetILNS1_3genE10ELNS1_11target_archE1200ELNS1_3gpuE4ELNS1_3repE0EEENS1_30default_config_static_selectorELNS0_4arch9wavefront6targetE1EEEvT1_,"axG",@progbits,_ZN7rocprim17ROCPRIM_400000_NS6detail17trampoline_kernelINS0_14default_configENS1_27scan_by_key_config_selectorIifEEZZNS1_16scan_by_key_implILNS1_25lookback_scan_determinismE0ELb0ES3_N6thrust23THRUST_200600_302600_NS6detail15normal_iteratorINS9_10device_ptrIiEEEENSB_INSC_IfEEEESG_fNS9_4plusIvEENS9_8equal_toIvEEfEE10hipError_tPvRmT2_T3_T4_T5_mT6_T7_P12ihipStream_tbENKUlT_T0_E_clISt17integral_constantIbLb1EES10_IbLb0EEEEDaSW_SX_EUlSW_E_NS1_11comp_targetILNS1_3genE10ELNS1_11target_archE1200ELNS1_3gpuE4ELNS1_3repE0EEENS1_30default_config_static_selectorELNS0_4arch9wavefront6targetE1EEEvT1_,comdat
	.protected	_ZN7rocprim17ROCPRIM_400000_NS6detail17trampoline_kernelINS0_14default_configENS1_27scan_by_key_config_selectorIifEEZZNS1_16scan_by_key_implILNS1_25lookback_scan_determinismE0ELb0ES3_N6thrust23THRUST_200600_302600_NS6detail15normal_iteratorINS9_10device_ptrIiEEEENSB_INSC_IfEEEESG_fNS9_4plusIvEENS9_8equal_toIvEEfEE10hipError_tPvRmT2_T3_T4_T5_mT6_T7_P12ihipStream_tbENKUlT_T0_E_clISt17integral_constantIbLb1EES10_IbLb0EEEEDaSW_SX_EUlSW_E_NS1_11comp_targetILNS1_3genE10ELNS1_11target_archE1200ELNS1_3gpuE4ELNS1_3repE0EEENS1_30default_config_static_selectorELNS0_4arch9wavefront6targetE1EEEvT1_ ; -- Begin function _ZN7rocprim17ROCPRIM_400000_NS6detail17trampoline_kernelINS0_14default_configENS1_27scan_by_key_config_selectorIifEEZZNS1_16scan_by_key_implILNS1_25lookback_scan_determinismE0ELb0ES3_N6thrust23THRUST_200600_302600_NS6detail15normal_iteratorINS9_10device_ptrIiEEEENSB_INSC_IfEEEESG_fNS9_4plusIvEENS9_8equal_toIvEEfEE10hipError_tPvRmT2_T3_T4_T5_mT6_T7_P12ihipStream_tbENKUlT_T0_E_clISt17integral_constantIbLb1EES10_IbLb0EEEEDaSW_SX_EUlSW_E_NS1_11comp_targetILNS1_3genE10ELNS1_11target_archE1200ELNS1_3gpuE4ELNS1_3repE0EEENS1_30default_config_static_selectorELNS0_4arch9wavefront6targetE1EEEvT1_
	.globl	_ZN7rocprim17ROCPRIM_400000_NS6detail17trampoline_kernelINS0_14default_configENS1_27scan_by_key_config_selectorIifEEZZNS1_16scan_by_key_implILNS1_25lookback_scan_determinismE0ELb0ES3_N6thrust23THRUST_200600_302600_NS6detail15normal_iteratorINS9_10device_ptrIiEEEENSB_INSC_IfEEEESG_fNS9_4plusIvEENS9_8equal_toIvEEfEE10hipError_tPvRmT2_T3_T4_T5_mT6_T7_P12ihipStream_tbENKUlT_T0_E_clISt17integral_constantIbLb1EES10_IbLb0EEEEDaSW_SX_EUlSW_E_NS1_11comp_targetILNS1_3genE10ELNS1_11target_archE1200ELNS1_3gpuE4ELNS1_3repE0EEENS1_30default_config_static_selectorELNS0_4arch9wavefront6targetE1EEEvT1_
	.p2align	8
	.type	_ZN7rocprim17ROCPRIM_400000_NS6detail17trampoline_kernelINS0_14default_configENS1_27scan_by_key_config_selectorIifEEZZNS1_16scan_by_key_implILNS1_25lookback_scan_determinismE0ELb0ES3_N6thrust23THRUST_200600_302600_NS6detail15normal_iteratorINS9_10device_ptrIiEEEENSB_INSC_IfEEEESG_fNS9_4plusIvEENS9_8equal_toIvEEfEE10hipError_tPvRmT2_T3_T4_T5_mT6_T7_P12ihipStream_tbENKUlT_T0_E_clISt17integral_constantIbLb1EES10_IbLb0EEEEDaSW_SX_EUlSW_E_NS1_11comp_targetILNS1_3genE10ELNS1_11target_archE1200ELNS1_3gpuE4ELNS1_3repE0EEENS1_30default_config_static_selectorELNS0_4arch9wavefront6targetE1EEEvT1_,@function
_ZN7rocprim17ROCPRIM_400000_NS6detail17trampoline_kernelINS0_14default_configENS1_27scan_by_key_config_selectorIifEEZZNS1_16scan_by_key_implILNS1_25lookback_scan_determinismE0ELb0ES3_N6thrust23THRUST_200600_302600_NS6detail15normal_iteratorINS9_10device_ptrIiEEEENSB_INSC_IfEEEESG_fNS9_4plusIvEENS9_8equal_toIvEEfEE10hipError_tPvRmT2_T3_T4_T5_mT6_T7_P12ihipStream_tbENKUlT_T0_E_clISt17integral_constantIbLb1EES10_IbLb0EEEEDaSW_SX_EUlSW_E_NS1_11comp_targetILNS1_3genE10ELNS1_11target_archE1200ELNS1_3gpuE4ELNS1_3repE0EEENS1_30default_config_static_selectorELNS0_4arch9wavefront6targetE1EEEvT1_: ; @_ZN7rocprim17ROCPRIM_400000_NS6detail17trampoline_kernelINS0_14default_configENS1_27scan_by_key_config_selectorIifEEZZNS1_16scan_by_key_implILNS1_25lookback_scan_determinismE0ELb0ES3_N6thrust23THRUST_200600_302600_NS6detail15normal_iteratorINS9_10device_ptrIiEEEENSB_INSC_IfEEEESG_fNS9_4plusIvEENS9_8equal_toIvEEfEE10hipError_tPvRmT2_T3_T4_T5_mT6_T7_P12ihipStream_tbENKUlT_T0_E_clISt17integral_constantIbLb1EES10_IbLb0EEEEDaSW_SX_EUlSW_E_NS1_11comp_targetILNS1_3genE10ELNS1_11target_archE1200ELNS1_3gpuE4ELNS1_3repE0EEENS1_30default_config_static_selectorELNS0_4arch9wavefront6targetE1EEEvT1_
; %bb.0:
	.section	.rodata,"a",@progbits
	.p2align	6, 0x0
	.amdhsa_kernel _ZN7rocprim17ROCPRIM_400000_NS6detail17trampoline_kernelINS0_14default_configENS1_27scan_by_key_config_selectorIifEEZZNS1_16scan_by_key_implILNS1_25lookback_scan_determinismE0ELb0ES3_N6thrust23THRUST_200600_302600_NS6detail15normal_iteratorINS9_10device_ptrIiEEEENSB_INSC_IfEEEESG_fNS9_4plusIvEENS9_8equal_toIvEEfEE10hipError_tPvRmT2_T3_T4_T5_mT6_T7_P12ihipStream_tbENKUlT_T0_E_clISt17integral_constantIbLb1EES10_IbLb0EEEEDaSW_SX_EUlSW_E_NS1_11comp_targetILNS1_3genE10ELNS1_11target_archE1200ELNS1_3gpuE4ELNS1_3repE0EEENS1_30default_config_static_selectorELNS0_4arch9wavefront6targetE1EEEvT1_
		.amdhsa_group_segment_fixed_size 0
		.amdhsa_private_segment_fixed_size 0
		.amdhsa_kernarg_size 112
		.amdhsa_user_sgpr_count 6
		.amdhsa_user_sgpr_private_segment_buffer 1
		.amdhsa_user_sgpr_dispatch_ptr 0
		.amdhsa_user_sgpr_queue_ptr 0
		.amdhsa_user_sgpr_kernarg_segment_ptr 1
		.amdhsa_user_sgpr_dispatch_id 0
		.amdhsa_user_sgpr_flat_scratch_init 0
		.amdhsa_user_sgpr_kernarg_preload_length 0
		.amdhsa_user_sgpr_kernarg_preload_offset 0
		.amdhsa_user_sgpr_private_segment_size 0
		.amdhsa_uses_dynamic_stack 0
		.amdhsa_system_sgpr_private_segment_wavefront_offset 0
		.amdhsa_system_sgpr_workgroup_id_x 1
		.amdhsa_system_sgpr_workgroup_id_y 0
		.amdhsa_system_sgpr_workgroup_id_z 0
		.amdhsa_system_sgpr_workgroup_info 0
		.amdhsa_system_vgpr_workitem_id 0
		.amdhsa_next_free_vgpr 1
		.amdhsa_next_free_sgpr 0
		.amdhsa_accum_offset 4
		.amdhsa_reserve_vcc 0
		.amdhsa_reserve_flat_scratch 0
		.amdhsa_float_round_mode_32 0
		.amdhsa_float_round_mode_16_64 0
		.amdhsa_float_denorm_mode_32 3
		.amdhsa_float_denorm_mode_16_64 3
		.amdhsa_dx10_clamp 1
		.amdhsa_ieee_mode 1
		.amdhsa_fp16_overflow 0
		.amdhsa_tg_split 0
		.amdhsa_exception_fp_ieee_invalid_op 0
		.amdhsa_exception_fp_denorm_src 0
		.amdhsa_exception_fp_ieee_div_zero 0
		.amdhsa_exception_fp_ieee_overflow 0
		.amdhsa_exception_fp_ieee_underflow 0
		.amdhsa_exception_fp_ieee_inexact 0
		.amdhsa_exception_int_div_zero 0
	.end_amdhsa_kernel
	.section	.text._ZN7rocprim17ROCPRIM_400000_NS6detail17trampoline_kernelINS0_14default_configENS1_27scan_by_key_config_selectorIifEEZZNS1_16scan_by_key_implILNS1_25lookback_scan_determinismE0ELb0ES3_N6thrust23THRUST_200600_302600_NS6detail15normal_iteratorINS9_10device_ptrIiEEEENSB_INSC_IfEEEESG_fNS9_4plusIvEENS9_8equal_toIvEEfEE10hipError_tPvRmT2_T3_T4_T5_mT6_T7_P12ihipStream_tbENKUlT_T0_E_clISt17integral_constantIbLb1EES10_IbLb0EEEEDaSW_SX_EUlSW_E_NS1_11comp_targetILNS1_3genE10ELNS1_11target_archE1200ELNS1_3gpuE4ELNS1_3repE0EEENS1_30default_config_static_selectorELNS0_4arch9wavefront6targetE1EEEvT1_,"axG",@progbits,_ZN7rocprim17ROCPRIM_400000_NS6detail17trampoline_kernelINS0_14default_configENS1_27scan_by_key_config_selectorIifEEZZNS1_16scan_by_key_implILNS1_25lookback_scan_determinismE0ELb0ES3_N6thrust23THRUST_200600_302600_NS6detail15normal_iteratorINS9_10device_ptrIiEEEENSB_INSC_IfEEEESG_fNS9_4plusIvEENS9_8equal_toIvEEfEE10hipError_tPvRmT2_T3_T4_T5_mT6_T7_P12ihipStream_tbENKUlT_T0_E_clISt17integral_constantIbLb1EES10_IbLb0EEEEDaSW_SX_EUlSW_E_NS1_11comp_targetILNS1_3genE10ELNS1_11target_archE1200ELNS1_3gpuE4ELNS1_3repE0EEENS1_30default_config_static_selectorELNS0_4arch9wavefront6targetE1EEEvT1_,comdat
.Lfunc_end1158:
	.size	_ZN7rocprim17ROCPRIM_400000_NS6detail17trampoline_kernelINS0_14default_configENS1_27scan_by_key_config_selectorIifEEZZNS1_16scan_by_key_implILNS1_25lookback_scan_determinismE0ELb0ES3_N6thrust23THRUST_200600_302600_NS6detail15normal_iteratorINS9_10device_ptrIiEEEENSB_INSC_IfEEEESG_fNS9_4plusIvEENS9_8equal_toIvEEfEE10hipError_tPvRmT2_T3_T4_T5_mT6_T7_P12ihipStream_tbENKUlT_T0_E_clISt17integral_constantIbLb1EES10_IbLb0EEEEDaSW_SX_EUlSW_E_NS1_11comp_targetILNS1_3genE10ELNS1_11target_archE1200ELNS1_3gpuE4ELNS1_3repE0EEENS1_30default_config_static_selectorELNS0_4arch9wavefront6targetE1EEEvT1_, .Lfunc_end1158-_ZN7rocprim17ROCPRIM_400000_NS6detail17trampoline_kernelINS0_14default_configENS1_27scan_by_key_config_selectorIifEEZZNS1_16scan_by_key_implILNS1_25lookback_scan_determinismE0ELb0ES3_N6thrust23THRUST_200600_302600_NS6detail15normal_iteratorINS9_10device_ptrIiEEEENSB_INSC_IfEEEESG_fNS9_4plusIvEENS9_8equal_toIvEEfEE10hipError_tPvRmT2_T3_T4_T5_mT6_T7_P12ihipStream_tbENKUlT_T0_E_clISt17integral_constantIbLb1EES10_IbLb0EEEEDaSW_SX_EUlSW_E_NS1_11comp_targetILNS1_3genE10ELNS1_11target_archE1200ELNS1_3gpuE4ELNS1_3repE0EEENS1_30default_config_static_selectorELNS0_4arch9wavefront6targetE1EEEvT1_
                                        ; -- End function
	.section	.AMDGPU.csdata,"",@progbits
; Kernel info:
; codeLenInByte = 0
; NumSgprs: 4
; NumVgprs: 0
; NumAgprs: 0
; TotalNumVgprs: 0
; ScratchSize: 0
; MemoryBound: 0
; FloatMode: 240
; IeeeMode: 1
; LDSByteSize: 0 bytes/workgroup (compile time only)
; SGPRBlocks: 0
; VGPRBlocks: 0
; NumSGPRsForWavesPerEU: 4
; NumVGPRsForWavesPerEU: 1
; AccumOffset: 4
; Occupancy: 8
; WaveLimiterHint : 0
; COMPUTE_PGM_RSRC2:SCRATCH_EN: 0
; COMPUTE_PGM_RSRC2:USER_SGPR: 6
; COMPUTE_PGM_RSRC2:TRAP_HANDLER: 0
; COMPUTE_PGM_RSRC2:TGID_X_EN: 1
; COMPUTE_PGM_RSRC2:TGID_Y_EN: 0
; COMPUTE_PGM_RSRC2:TGID_Z_EN: 0
; COMPUTE_PGM_RSRC2:TIDIG_COMP_CNT: 0
; COMPUTE_PGM_RSRC3_GFX90A:ACCUM_OFFSET: 0
; COMPUTE_PGM_RSRC3_GFX90A:TG_SPLIT: 0
	.section	.text._ZN7rocprim17ROCPRIM_400000_NS6detail17trampoline_kernelINS0_14default_configENS1_27scan_by_key_config_selectorIifEEZZNS1_16scan_by_key_implILNS1_25lookback_scan_determinismE0ELb0ES3_N6thrust23THRUST_200600_302600_NS6detail15normal_iteratorINS9_10device_ptrIiEEEENSB_INSC_IfEEEESG_fNS9_4plusIvEENS9_8equal_toIvEEfEE10hipError_tPvRmT2_T3_T4_T5_mT6_T7_P12ihipStream_tbENKUlT_T0_E_clISt17integral_constantIbLb1EES10_IbLb0EEEEDaSW_SX_EUlSW_E_NS1_11comp_targetILNS1_3genE9ELNS1_11target_archE1100ELNS1_3gpuE3ELNS1_3repE0EEENS1_30default_config_static_selectorELNS0_4arch9wavefront6targetE1EEEvT1_,"axG",@progbits,_ZN7rocprim17ROCPRIM_400000_NS6detail17trampoline_kernelINS0_14default_configENS1_27scan_by_key_config_selectorIifEEZZNS1_16scan_by_key_implILNS1_25lookback_scan_determinismE0ELb0ES3_N6thrust23THRUST_200600_302600_NS6detail15normal_iteratorINS9_10device_ptrIiEEEENSB_INSC_IfEEEESG_fNS9_4plusIvEENS9_8equal_toIvEEfEE10hipError_tPvRmT2_T3_T4_T5_mT6_T7_P12ihipStream_tbENKUlT_T0_E_clISt17integral_constantIbLb1EES10_IbLb0EEEEDaSW_SX_EUlSW_E_NS1_11comp_targetILNS1_3genE9ELNS1_11target_archE1100ELNS1_3gpuE3ELNS1_3repE0EEENS1_30default_config_static_selectorELNS0_4arch9wavefront6targetE1EEEvT1_,comdat
	.protected	_ZN7rocprim17ROCPRIM_400000_NS6detail17trampoline_kernelINS0_14default_configENS1_27scan_by_key_config_selectorIifEEZZNS1_16scan_by_key_implILNS1_25lookback_scan_determinismE0ELb0ES3_N6thrust23THRUST_200600_302600_NS6detail15normal_iteratorINS9_10device_ptrIiEEEENSB_INSC_IfEEEESG_fNS9_4plusIvEENS9_8equal_toIvEEfEE10hipError_tPvRmT2_T3_T4_T5_mT6_T7_P12ihipStream_tbENKUlT_T0_E_clISt17integral_constantIbLb1EES10_IbLb0EEEEDaSW_SX_EUlSW_E_NS1_11comp_targetILNS1_3genE9ELNS1_11target_archE1100ELNS1_3gpuE3ELNS1_3repE0EEENS1_30default_config_static_selectorELNS0_4arch9wavefront6targetE1EEEvT1_ ; -- Begin function _ZN7rocprim17ROCPRIM_400000_NS6detail17trampoline_kernelINS0_14default_configENS1_27scan_by_key_config_selectorIifEEZZNS1_16scan_by_key_implILNS1_25lookback_scan_determinismE0ELb0ES3_N6thrust23THRUST_200600_302600_NS6detail15normal_iteratorINS9_10device_ptrIiEEEENSB_INSC_IfEEEESG_fNS9_4plusIvEENS9_8equal_toIvEEfEE10hipError_tPvRmT2_T3_T4_T5_mT6_T7_P12ihipStream_tbENKUlT_T0_E_clISt17integral_constantIbLb1EES10_IbLb0EEEEDaSW_SX_EUlSW_E_NS1_11comp_targetILNS1_3genE9ELNS1_11target_archE1100ELNS1_3gpuE3ELNS1_3repE0EEENS1_30default_config_static_selectorELNS0_4arch9wavefront6targetE1EEEvT1_
	.globl	_ZN7rocprim17ROCPRIM_400000_NS6detail17trampoline_kernelINS0_14default_configENS1_27scan_by_key_config_selectorIifEEZZNS1_16scan_by_key_implILNS1_25lookback_scan_determinismE0ELb0ES3_N6thrust23THRUST_200600_302600_NS6detail15normal_iteratorINS9_10device_ptrIiEEEENSB_INSC_IfEEEESG_fNS9_4plusIvEENS9_8equal_toIvEEfEE10hipError_tPvRmT2_T3_T4_T5_mT6_T7_P12ihipStream_tbENKUlT_T0_E_clISt17integral_constantIbLb1EES10_IbLb0EEEEDaSW_SX_EUlSW_E_NS1_11comp_targetILNS1_3genE9ELNS1_11target_archE1100ELNS1_3gpuE3ELNS1_3repE0EEENS1_30default_config_static_selectorELNS0_4arch9wavefront6targetE1EEEvT1_
	.p2align	8
	.type	_ZN7rocprim17ROCPRIM_400000_NS6detail17trampoline_kernelINS0_14default_configENS1_27scan_by_key_config_selectorIifEEZZNS1_16scan_by_key_implILNS1_25lookback_scan_determinismE0ELb0ES3_N6thrust23THRUST_200600_302600_NS6detail15normal_iteratorINS9_10device_ptrIiEEEENSB_INSC_IfEEEESG_fNS9_4plusIvEENS9_8equal_toIvEEfEE10hipError_tPvRmT2_T3_T4_T5_mT6_T7_P12ihipStream_tbENKUlT_T0_E_clISt17integral_constantIbLb1EES10_IbLb0EEEEDaSW_SX_EUlSW_E_NS1_11comp_targetILNS1_3genE9ELNS1_11target_archE1100ELNS1_3gpuE3ELNS1_3repE0EEENS1_30default_config_static_selectorELNS0_4arch9wavefront6targetE1EEEvT1_,@function
_ZN7rocprim17ROCPRIM_400000_NS6detail17trampoline_kernelINS0_14default_configENS1_27scan_by_key_config_selectorIifEEZZNS1_16scan_by_key_implILNS1_25lookback_scan_determinismE0ELb0ES3_N6thrust23THRUST_200600_302600_NS6detail15normal_iteratorINS9_10device_ptrIiEEEENSB_INSC_IfEEEESG_fNS9_4plusIvEENS9_8equal_toIvEEfEE10hipError_tPvRmT2_T3_T4_T5_mT6_T7_P12ihipStream_tbENKUlT_T0_E_clISt17integral_constantIbLb1EES10_IbLb0EEEEDaSW_SX_EUlSW_E_NS1_11comp_targetILNS1_3genE9ELNS1_11target_archE1100ELNS1_3gpuE3ELNS1_3repE0EEENS1_30default_config_static_selectorELNS0_4arch9wavefront6targetE1EEEvT1_: ; @_ZN7rocprim17ROCPRIM_400000_NS6detail17trampoline_kernelINS0_14default_configENS1_27scan_by_key_config_selectorIifEEZZNS1_16scan_by_key_implILNS1_25lookback_scan_determinismE0ELb0ES3_N6thrust23THRUST_200600_302600_NS6detail15normal_iteratorINS9_10device_ptrIiEEEENSB_INSC_IfEEEESG_fNS9_4plusIvEENS9_8equal_toIvEEfEE10hipError_tPvRmT2_T3_T4_T5_mT6_T7_P12ihipStream_tbENKUlT_T0_E_clISt17integral_constantIbLb1EES10_IbLb0EEEEDaSW_SX_EUlSW_E_NS1_11comp_targetILNS1_3genE9ELNS1_11target_archE1100ELNS1_3gpuE3ELNS1_3repE0EEENS1_30default_config_static_selectorELNS0_4arch9wavefront6targetE1EEEvT1_
; %bb.0:
	.section	.rodata,"a",@progbits
	.p2align	6, 0x0
	.amdhsa_kernel _ZN7rocprim17ROCPRIM_400000_NS6detail17trampoline_kernelINS0_14default_configENS1_27scan_by_key_config_selectorIifEEZZNS1_16scan_by_key_implILNS1_25lookback_scan_determinismE0ELb0ES3_N6thrust23THRUST_200600_302600_NS6detail15normal_iteratorINS9_10device_ptrIiEEEENSB_INSC_IfEEEESG_fNS9_4plusIvEENS9_8equal_toIvEEfEE10hipError_tPvRmT2_T3_T4_T5_mT6_T7_P12ihipStream_tbENKUlT_T0_E_clISt17integral_constantIbLb1EES10_IbLb0EEEEDaSW_SX_EUlSW_E_NS1_11comp_targetILNS1_3genE9ELNS1_11target_archE1100ELNS1_3gpuE3ELNS1_3repE0EEENS1_30default_config_static_selectorELNS0_4arch9wavefront6targetE1EEEvT1_
		.amdhsa_group_segment_fixed_size 0
		.amdhsa_private_segment_fixed_size 0
		.amdhsa_kernarg_size 112
		.amdhsa_user_sgpr_count 6
		.amdhsa_user_sgpr_private_segment_buffer 1
		.amdhsa_user_sgpr_dispatch_ptr 0
		.amdhsa_user_sgpr_queue_ptr 0
		.amdhsa_user_sgpr_kernarg_segment_ptr 1
		.amdhsa_user_sgpr_dispatch_id 0
		.amdhsa_user_sgpr_flat_scratch_init 0
		.amdhsa_user_sgpr_kernarg_preload_length 0
		.amdhsa_user_sgpr_kernarg_preload_offset 0
		.amdhsa_user_sgpr_private_segment_size 0
		.amdhsa_uses_dynamic_stack 0
		.amdhsa_system_sgpr_private_segment_wavefront_offset 0
		.amdhsa_system_sgpr_workgroup_id_x 1
		.amdhsa_system_sgpr_workgroup_id_y 0
		.amdhsa_system_sgpr_workgroup_id_z 0
		.amdhsa_system_sgpr_workgroup_info 0
		.amdhsa_system_vgpr_workitem_id 0
		.amdhsa_next_free_vgpr 1
		.amdhsa_next_free_sgpr 0
		.amdhsa_accum_offset 4
		.amdhsa_reserve_vcc 0
		.amdhsa_reserve_flat_scratch 0
		.amdhsa_float_round_mode_32 0
		.amdhsa_float_round_mode_16_64 0
		.amdhsa_float_denorm_mode_32 3
		.amdhsa_float_denorm_mode_16_64 3
		.amdhsa_dx10_clamp 1
		.amdhsa_ieee_mode 1
		.amdhsa_fp16_overflow 0
		.amdhsa_tg_split 0
		.amdhsa_exception_fp_ieee_invalid_op 0
		.amdhsa_exception_fp_denorm_src 0
		.amdhsa_exception_fp_ieee_div_zero 0
		.amdhsa_exception_fp_ieee_overflow 0
		.amdhsa_exception_fp_ieee_underflow 0
		.amdhsa_exception_fp_ieee_inexact 0
		.amdhsa_exception_int_div_zero 0
	.end_amdhsa_kernel
	.section	.text._ZN7rocprim17ROCPRIM_400000_NS6detail17trampoline_kernelINS0_14default_configENS1_27scan_by_key_config_selectorIifEEZZNS1_16scan_by_key_implILNS1_25lookback_scan_determinismE0ELb0ES3_N6thrust23THRUST_200600_302600_NS6detail15normal_iteratorINS9_10device_ptrIiEEEENSB_INSC_IfEEEESG_fNS9_4plusIvEENS9_8equal_toIvEEfEE10hipError_tPvRmT2_T3_T4_T5_mT6_T7_P12ihipStream_tbENKUlT_T0_E_clISt17integral_constantIbLb1EES10_IbLb0EEEEDaSW_SX_EUlSW_E_NS1_11comp_targetILNS1_3genE9ELNS1_11target_archE1100ELNS1_3gpuE3ELNS1_3repE0EEENS1_30default_config_static_selectorELNS0_4arch9wavefront6targetE1EEEvT1_,"axG",@progbits,_ZN7rocprim17ROCPRIM_400000_NS6detail17trampoline_kernelINS0_14default_configENS1_27scan_by_key_config_selectorIifEEZZNS1_16scan_by_key_implILNS1_25lookback_scan_determinismE0ELb0ES3_N6thrust23THRUST_200600_302600_NS6detail15normal_iteratorINS9_10device_ptrIiEEEENSB_INSC_IfEEEESG_fNS9_4plusIvEENS9_8equal_toIvEEfEE10hipError_tPvRmT2_T3_T4_T5_mT6_T7_P12ihipStream_tbENKUlT_T0_E_clISt17integral_constantIbLb1EES10_IbLb0EEEEDaSW_SX_EUlSW_E_NS1_11comp_targetILNS1_3genE9ELNS1_11target_archE1100ELNS1_3gpuE3ELNS1_3repE0EEENS1_30default_config_static_selectorELNS0_4arch9wavefront6targetE1EEEvT1_,comdat
.Lfunc_end1159:
	.size	_ZN7rocprim17ROCPRIM_400000_NS6detail17trampoline_kernelINS0_14default_configENS1_27scan_by_key_config_selectorIifEEZZNS1_16scan_by_key_implILNS1_25lookback_scan_determinismE0ELb0ES3_N6thrust23THRUST_200600_302600_NS6detail15normal_iteratorINS9_10device_ptrIiEEEENSB_INSC_IfEEEESG_fNS9_4plusIvEENS9_8equal_toIvEEfEE10hipError_tPvRmT2_T3_T4_T5_mT6_T7_P12ihipStream_tbENKUlT_T0_E_clISt17integral_constantIbLb1EES10_IbLb0EEEEDaSW_SX_EUlSW_E_NS1_11comp_targetILNS1_3genE9ELNS1_11target_archE1100ELNS1_3gpuE3ELNS1_3repE0EEENS1_30default_config_static_selectorELNS0_4arch9wavefront6targetE1EEEvT1_, .Lfunc_end1159-_ZN7rocprim17ROCPRIM_400000_NS6detail17trampoline_kernelINS0_14default_configENS1_27scan_by_key_config_selectorIifEEZZNS1_16scan_by_key_implILNS1_25lookback_scan_determinismE0ELb0ES3_N6thrust23THRUST_200600_302600_NS6detail15normal_iteratorINS9_10device_ptrIiEEEENSB_INSC_IfEEEESG_fNS9_4plusIvEENS9_8equal_toIvEEfEE10hipError_tPvRmT2_T3_T4_T5_mT6_T7_P12ihipStream_tbENKUlT_T0_E_clISt17integral_constantIbLb1EES10_IbLb0EEEEDaSW_SX_EUlSW_E_NS1_11comp_targetILNS1_3genE9ELNS1_11target_archE1100ELNS1_3gpuE3ELNS1_3repE0EEENS1_30default_config_static_selectorELNS0_4arch9wavefront6targetE1EEEvT1_
                                        ; -- End function
	.section	.AMDGPU.csdata,"",@progbits
; Kernel info:
; codeLenInByte = 0
; NumSgprs: 4
; NumVgprs: 0
; NumAgprs: 0
; TotalNumVgprs: 0
; ScratchSize: 0
; MemoryBound: 0
; FloatMode: 240
; IeeeMode: 1
; LDSByteSize: 0 bytes/workgroup (compile time only)
; SGPRBlocks: 0
; VGPRBlocks: 0
; NumSGPRsForWavesPerEU: 4
; NumVGPRsForWavesPerEU: 1
; AccumOffset: 4
; Occupancy: 8
; WaveLimiterHint : 0
; COMPUTE_PGM_RSRC2:SCRATCH_EN: 0
; COMPUTE_PGM_RSRC2:USER_SGPR: 6
; COMPUTE_PGM_RSRC2:TRAP_HANDLER: 0
; COMPUTE_PGM_RSRC2:TGID_X_EN: 1
; COMPUTE_PGM_RSRC2:TGID_Y_EN: 0
; COMPUTE_PGM_RSRC2:TGID_Z_EN: 0
; COMPUTE_PGM_RSRC2:TIDIG_COMP_CNT: 0
; COMPUTE_PGM_RSRC3_GFX90A:ACCUM_OFFSET: 0
; COMPUTE_PGM_RSRC3_GFX90A:TG_SPLIT: 0
	.section	.text._ZN7rocprim17ROCPRIM_400000_NS6detail17trampoline_kernelINS0_14default_configENS1_27scan_by_key_config_selectorIifEEZZNS1_16scan_by_key_implILNS1_25lookback_scan_determinismE0ELb0ES3_N6thrust23THRUST_200600_302600_NS6detail15normal_iteratorINS9_10device_ptrIiEEEENSB_INSC_IfEEEESG_fNS9_4plusIvEENS9_8equal_toIvEEfEE10hipError_tPvRmT2_T3_T4_T5_mT6_T7_P12ihipStream_tbENKUlT_T0_E_clISt17integral_constantIbLb1EES10_IbLb0EEEEDaSW_SX_EUlSW_E_NS1_11comp_targetILNS1_3genE8ELNS1_11target_archE1030ELNS1_3gpuE2ELNS1_3repE0EEENS1_30default_config_static_selectorELNS0_4arch9wavefront6targetE1EEEvT1_,"axG",@progbits,_ZN7rocprim17ROCPRIM_400000_NS6detail17trampoline_kernelINS0_14default_configENS1_27scan_by_key_config_selectorIifEEZZNS1_16scan_by_key_implILNS1_25lookback_scan_determinismE0ELb0ES3_N6thrust23THRUST_200600_302600_NS6detail15normal_iteratorINS9_10device_ptrIiEEEENSB_INSC_IfEEEESG_fNS9_4plusIvEENS9_8equal_toIvEEfEE10hipError_tPvRmT2_T3_T4_T5_mT6_T7_P12ihipStream_tbENKUlT_T0_E_clISt17integral_constantIbLb1EES10_IbLb0EEEEDaSW_SX_EUlSW_E_NS1_11comp_targetILNS1_3genE8ELNS1_11target_archE1030ELNS1_3gpuE2ELNS1_3repE0EEENS1_30default_config_static_selectorELNS0_4arch9wavefront6targetE1EEEvT1_,comdat
	.protected	_ZN7rocprim17ROCPRIM_400000_NS6detail17trampoline_kernelINS0_14default_configENS1_27scan_by_key_config_selectorIifEEZZNS1_16scan_by_key_implILNS1_25lookback_scan_determinismE0ELb0ES3_N6thrust23THRUST_200600_302600_NS6detail15normal_iteratorINS9_10device_ptrIiEEEENSB_INSC_IfEEEESG_fNS9_4plusIvEENS9_8equal_toIvEEfEE10hipError_tPvRmT2_T3_T4_T5_mT6_T7_P12ihipStream_tbENKUlT_T0_E_clISt17integral_constantIbLb1EES10_IbLb0EEEEDaSW_SX_EUlSW_E_NS1_11comp_targetILNS1_3genE8ELNS1_11target_archE1030ELNS1_3gpuE2ELNS1_3repE0EEENS1_30default_config_static_selectorELNS0_4arch9wavefront6targetE1EEEvT1_ ; -- Begin function _ZN7rocprim17ROCPRIM_400000_NS6detail17trampoline_kernelINS0_14default_configENS1_27scan_by_key_config_selectorIifEEZZNS1_16scan_by_key_implILNS1_25lookback_scan_determinismE0ELb0ES3_N6thrust23THRUST_200600_302600_NS6detail15normal_iteratorINS9_10device_ptrIiEEEENSB_INSC_IfEEEESG_fNS9_4plusIvEENS9_8equal_toIvEEfEE10hipError_tPvRmT2_T3_T4_T5_mT6_T7_P12ihipStream_tbENKUlT_T0_E_clISt17integral_constantIbLb1EES10_IbLb0EEEEDaSW_SX_EUlSW_E_NS1_11comp_targetILNS1_3genE8ELNS1_11target_archE1030ELNS1_3gpuE2ELNS1_3repE0EEENS1_30default_config_static_selectorELNS0_4arch9wavefront6targetE1EEEvT1_
	.globl	_ZN7rocprim17ROCPRIM_400000_NS6detail17trampoline_kernelINS0_14default_configENS1_27scan_by_key_config_selectorIifEEZZNS1_16scan_by_key_implILNS1_25lookback_scan_determinismE0ELb0ES3_N6thrust23THRUST_200600_302600_NS6detail15normal_iteratorINS9_10device_ptrIiEEEENSB_INSC_IfEEEESG_fNS9_4plusIvEENS9_8equal_toIvEEfEE10hipError_tPvRmT2_T3_T4_T5_mT6_T7_P12ihipStream_tbENKUlT_T0_E_clISt17integral_constantIbLb1EES10_IbLb0EEEEDaSW_SX_EUlSW_E_NS1_11comp_targetILNS1_3genE8ELNS1_11target_archE1030ELNS1_3gpuE2ELNS1_3repE0EEENS1_30default_config_static_selectorELNS0_4arch9wavefront6targetE1EEEvT1_
	.p2align	8
	.type	_ZN7rocprim17ROCPRIM_400000_NS6detail17trampoline_kernelINS0_14default_configENS1_27scan_by_key_config_selectorIifEEZZNS1_16scan_by_key_implILNS1_25lookback_scan_determinismE0ELb0ES3_N6thrust23THRUST_200600_302600_NS6detail15normal_iteratorINS9_10device_ptrIiEEEENSB_INSC_IfEEEESG_fNS9_4plusIvEENS9_8equal_toIvEEfEE10hipError_tPvRmT2_T3_T4_T5_mT6_T7_P12ihipStream_tbENKUlT_T0_E_clISt17integral_constantIbLb1EES10_IbLb0EEEEDaSW_SX_EUlSW_E_NS1_11comp_targetILNS1_3genE8ELNS1_11target_archE1030ELNS1_3gpuE2ELNS1_3repE0EEENS1_30default_config_static_selectorELNS0_4arch9wavefront6targetE1EEEvT1_,@function
_ZN7rocprim17ROCPRIM_400000_NS6detail17trampoline_kernelINS0_14default_configENS1_27scan_by_key_config_selectorIifEEZZNS1_16scan_by_key_implILNS1_25lookback_scan_determinismE0ELb0ES3_N6thrust23THRUST_200600_302600_NS6detail15normal_iteratorINS9_10device_ptrIiEEEENSB_INSC_IfEEEESG_fNS9_4plusIvEENS9_8equal_toIvEEfEE10hipError_tPvRmT2_T3_T4_T5_mT6_T7_P12ihipStream_tbENKUlT_T0_E_clISt17integral_constantIbLb1EES10_IbLb0EEEEDaSW_SX_EUlSW_E_NS1_11comp_targetILNS1_3genE8ELNS1_11target_archE1030ELNS1_3gpuE2ELNS1_3repE0EEENS1_30default_config_static_selectorELNS0_4arch9wavefront6targetE1EEEvT1_: ; @_ZN7rocprim17ROCPRIM_400000_NS6detail17trampoline_kernelINS0_14default_configENS1_27scan_by_key_config_selectorIifEEZZNS1_16scan_by_key_implILNS1_25lookback_scan_determinismE0ELb0ES3_N6thrust23THRUST_200600_302600_NS6detail15normal_iteratorINS9_10device_ptrIiEEEENSB_INSC_IfEEEESG_fNS9_4plusIvEENS9_8equal_toIvEEfEE10hipError_tPvRmT2_T3_T4_T5_mT6_T7_P12ihipStream_tbENKUlT_T0_E_clISt17integral_constantIbLb1EES10_IbLb0EEEEDaSW_SX_EUlSW_E_NS1_11comp_targetILNS1_3genE8ELNS1_11target_archE1030ELNS1_3gpuE2ELNS1_3repE0EEENS1_30default_config_static_selectorELNS0_4arch9wavefront6targetE1EEEvT1_
; %bb.0:
	.section	.rodata,"a",@progbits
	.p2align	6, 0x0
	.amdhsa_kernel _ZN7rocprim17ROCPRIM_400000_NS6detail17trampoline_kernelINS0_14default_configENS1_27scan_by_key_config_selectorIifEEZZNS1_16scan_by_key_implILNS1_25lookback_scan_determinismE0ELb0ES3_N6thrust23THRUST_200600_302600_NS6detail15normal_iteratorINS9_10device_ptrIiEEEENSB_INSC_IfEEEESG_fNS9_4plusIvEENS9_8equal_toIvEEfEE10hipError_tPvRmT2_T3_T4_T5_mT6_T7_P12ihipStream_tbENKUlT_T0_E_clISt17integral_constantIbLb1EES10_IbLb0EEEEDaSW_SX_EUlSW_E_NS1_11comp_targetILNS1_3genE8ELNS1_11target_archE1030ELNS1_3gpuE2ELNS1_3repE0EEENS1_30default_config_static_selectorELNS0_4arch9wavefront6targetE1EEEvT1_
		.amdhsa_group_segment_fixed_size 0
		.amdhsa_private_segment_fixed_size 0
		.amdhsa_kernarg_size 112
		.amdhsa_user_sgpr_count 6
		.amdhsa_user_sgpr_private_segment_buffer 1
		.amdhsa_user_sgpr_dispatch_ptr 0
		.amdhsa_user_sgpr_queue_ptr 0
		.amdhsa_user_sgpr_kernarg_segment_ptr 1
		.amdhsa_user_sgpr_dispatch_id 0
		.amdhsa_user_sgpr_flat_scratch_init 0
		.amdhsa_user_sgpr_kernarg_preload_length 0
		.amdhsa_user_sgpr_kernarg_preload_offset 0
		.amdhsa_user_sgpr_private_segment_size 0
		.amdhsa_uses_dynamic_stack 0
		.amdhsa_system_sgpr_private_segment_wavefront_offset 0
		.amdhsa_system_sgpr_workgroup_id_x 1
		.amdhsa_system_sgpr_workgroup_id_y 0
		.amdhsa_system_sgpr_workgroup_id_z 0
		.amdhsa_system_sgpr_workgroup_info 0
		.amdhsa_system_vgpr_workitem_id 0
		.amdhsa_next_free_vgpr 1
		.amdhsa_next_free_sgpr 0
		.amdhsa_accum_offset 4
		.amdhsa_reserve_vcc 0
		.amdhsa_reserve_flat_scratch 0
		.amdhsa_float_round_mode_32 0
		.amdhsa_float_round_mode_16_64 0
		.amdhsa_float_denorm_mode_32 3
		.amdhsa_float_denorm_mode_16_64 3
		.amdhsa_dx10_clamp 1
		.amdhsa_ieee_mode 1
		.amdhsa_fp16_overflow 0
		.amdhsa_tg_split 0
		.amdhsa_exception_fp_ieee_invalid_op 0
		.amdhsa_exception_fp_denorm_src 0
		.amdhsa_exception_fp_ieee_div_zero 0
		.amdhsa_exception_fp_ieee_overflow 0
		.amdhsa_exception_fp_ieee_underflow 0
		.amdhsa_exception_fp_ieee_inexact 0
		.amdhsa_exception_int_div_zero 0
	.end_amdhsa_kernel
	.section	.text._ZN7rocprim17ROCPRIM_400000_NS6detail17trampoline_kernelINS0_14default_configENS1_27scan_by_key_config_selectorIifEEZZNS1_16scan_by_key_implILNS1_25lookback_scan_determinismE0ELb0ES3_N6thrust23THRUST_200600_302600_NS6detail15normal_iteratorINS9_10device_ptrIiEEEENSB_INSC_IfEEEESG_fNS9_4plusIvEENS9_8equal_toIvEEfEE10hipError_tPvRmT2_T3_T4_T5_mT6_T7_P12ihipStream_tbENKUlT_T0_E_clISt17integral_constantIbLb1EES10_IbLb0EEEEDaSW_SX_EUlSW_E_NS1_11comp_targetILNS1_3genE8ELNS1_11target_archE1030ELNS1_3gpuE2ELNS1_3repE0EEENS1_30default_config_static_selectorELNS0_4arch9wavefront6targetE1EEEvT1_,"axG",@progbits,_ZN7rocprim17ROCPRIM_400000_NS6detail17trampoline_kernelINS0_14default_configENS1_27scan_by_key_config_selectorIifEEZZNS1_16scan_by_key_implILNS1_25lookback_scan_determinismE0ELb0ES3_N6thrust23THRUST_200600_302600_NS6detail15normal_iteratorINS9_10device_ptrIiEEEENSB_INSC_IfEEEESG_fNS9_4plusIvEENS9_8equal_toIvEEfEE10hipError_tPvRmT2_T3_T4_T5_mT6_T7_P12ihipStream_tbENKUlT_T0_E_clISt17integral_constantIbLb1EES10_IbLb0EEEEDaSW_SX_EUlSW_E_NS1_11comp_targetILNS1_3genE8ELNS1_11target_archE1030ELNS1_3gpuE2ELNS1_3repE0EEENS1_30default_config_static_selectorELNS0_4arch9wavefront6targetE1EEEvT1_,comdat
.Lfunc_end1160:
	.size	_ZN7rocprim17ROCPRIM_400000_NS6detail17trampoline_kernelINS0_14default_configENS1_27scan_by_key_config_selectorIifEEZZNS1_16scan_by_key_implILNS1_25lookback_scan_determinismE0ELb0ES3_N6thrust23THRUST_200600_302600_NS6detail15normal_iteratorINS9_10device_ptrIiEEEENSB_INSC_IfEEEESG_fNS9_4plusIvEENS9_8equal_toIvEEfEE10hipError_tPvRmT2_T3_T4_T5_mT6_T7_P12ihipStream_tbENKUlT_T0_E_clISt17integral_constantIbLb1EES10_IbLb0EEEEDaSW_SX_EUlSW_E_NS1_11comp_targetILNS1_3genE8ELNS1_11target_archE1030ELNS1_3gpuE2ELNS1_3repE0EEENS1_30default_config_static_selectorELNS0_4arch9wavefront6targetE1EEEvT1_, .Lfunc_end1160-_ZN7rocprim17ROCPRIM_400000_NS6detail17trampoline_kernelINS0_14default_configENS1_27scan_by_key_config_selectorIifEEZZNS1_16scan_by_key_implILNS1_25lookback_scan_determinismE0ELb0ES3_N6thrust23THRUST_200600_302600_NS6detail15normal_iteratorINS9_10device_ptrIiEEEENSB_INSC_IfEEEESG_fNS9_4plusIvEENS9_8equal_toIvEEfEE10hipError_tPvRmT2_T3_T4_T5_mT6_T7_P12ihipStream_tbENKUlT_T0_E_clISt17integral_constantIbLb1EES10_IbLb0EEEEDaSW_SX_EUlSW_E_NS1_11comp_targetILNS1_3genE8ELNS1_11target_archE1030ELNS1_3gpuE2ELNS1_3repE0EEENS1_30default_config_static_selectorELNS0_4arch9wavefront6targetE1EEEvT1_
                                        ; -- End function
	.section	.AMDGPU.csdata,"",@progbits
; Kernel info:
; codeLenInByte = 0
; NumSgprs: 4
; NumVgprs: 0
; NumAgprs: 0
; TotalNumVgprs: 0
; ScratchSize: 0
; MemoryBound: 0
; FloatMode: 240
; IeeeMode: 1
; LDSByteSize: 0 bytes/workgroup (compile time only)
; SGPRBlocks: 0
; VGPRBlocks: 0
; NumSGPRsForWavesPerEU: 4
; NumVGPRsForWavesPerEU: 1
; AccumOffset: 4
; Occupancy: 8
; WaveLimiterHint : 0
; COMPUTE_PGM_RSRC2:SCRATCH_EN: 0
; COMPUTE_PGM_RSRC2:USER_SGPR: 6
; COMPUTE_PGM_RSRC2:TRAP_HANDLER: 0
; COMPUTE_PGM_RSRC2:TGID_X_EN: 1
; COMPUTE_PGM_RSRC2:TGID_Y_EN: 0
; COMPUTE_PGM_RSRC2:TGID_Z_EN: 0
; COMPUTE_PGM_RSRC2:TIDIG_COMP_CNT: 0
; COMPUTE_PGM_RSRC3_GFX90A:ACCUM_OFFSET: 0
; COMPUTE_PGM_RSRC3_GFX90A:TG_SPLIT: 0
	.section	.text._ZN7rocprim17ROCPRIM_400000_NS6detail30init_device_scan_by_key_kernelINS1_19lookback_scan_stateINS0_5tupleIJfbEEELb0ELb1EEEN6thrust23THRUST_200600_302600_NS6detail15normal_iteratorINS8_10device_ptrIiEEEEjNS1_16block_id_wrapperIjLb1EEEEEvT_jjPNSG_10value_typeET0_PNSt15iterator_traitsISJ_E10value_typeEmT1_T2_,"axG",@progbits,_ZN7rocprim17ROCPRIM_400000_NS6detail30init_device_scan_by_key_kernelINS1_19lookback_scan_stateINS0_5tupleIJfbEEELb0ELb1EEEN6thrust23THRUST_200600_302600_NS6detail15normal_iteratorINS8_10device_ptrIiEEEEjNS1_16block_id_wrapperIjLb1EEEEEvT_jjPNSG_10value_typeET0_PNSt15iterator_traitsISJ_E10value_typeEmT1_T2_,comdat
	.protected	_ZN7rocprim17ROCPRIM_400000_NS6detail30init_device_scan_by_key_kernelINS1_19lookback_scan_stateINS0_5tupleIJfbEEELb0ELb1EEEN6thrust23THRUST_200600_302600_NS6detail15normal_iteratorINS8_10device_ptrIiEEEEjNS1_16block_id_wrapperIjLb1EEEEEvT_jjPNSG_10value_typeET0_PNSt15iterator_traitsISJ_E10value_typeEmT1_T2_ ; -- Begin function _ZN7rocprim17ROCPRIM_400000_NS6detail30init_device_scan_by_key_kernelINS1_19lookback_scan_stateINS0_5tupleIJfbEEELb0ELb1EEEN6thrust23THRUST_200600_302600_NS6detail15normal_iteratorINS8_10device_ptrIiEEEEjNS1_16block_id_wrapperIjLb1EEEEEvT_jjPNSG_10value_typeET0_PNSt15iterator_traitsISJ_E10value_typeEmT1_T2_
	.globl	_ZN7rocprim17ROCPRIM_400000_NS6detail30init_device_scan_by_key_kernelINS1_19lookback_scan_stateINS0_5tupleIJfbEEELb0ELb1EEEN6thrust23THRUST_200600_302600_NS6detail15normal_iteratorINS8_10device_ptrIiEEEEjNS1_16block_id_wrapperIjLb1EEEEEvT_jjPNSG_10value_typeET0_PNSt15iterator_traitsISJ_E10value_typeEmT1_T2_
	.p2align	8
	.type	_ZN7rocprim17ROCPRIM_400000_NS6detail30init_device_scan_by_key_kernelINS1_19lookback_scan_stateINS0_5tupleIJfbEEELb0ELb1EEEN6thrust23THRUST_200600_302600_NS6detail15normal_iteratorINS8_10device_ptrIiEEEEjNS1_16block_id_wrapperIjLb1EEEEEvT_jjPNSG_10value_typeET0_PNSt15iterator_traitsISJ_E10value_typeEmT1_T2_,@function
_ZN7rocprim17ROCPRIM_400000_NS6detail30init_device_scan_by_key_kernelINS1_19lookback_scan_stateINS0_5tupleIJfbEEELb0ELb1EEEN6thrust23THRUST_200600_302600_NS6detail15normal_iteratorINS8_10device_ptrIiEEEEjNS1_16block_id_wrapperIjLb1EEEEEvT_jjPNSG_10value_typeET0_PNSt15iterator_traitsISJ_E10value_typeEmT1_T2_: ; @_ZN7rocprim17ROCPRIM_400000_NS6detail30init_device_scan_by_key_kernelINS1_19lookback_scan_stateINS0_5tupleIJfbEEELb0ELb1EEEN6thrust23THRUST_200600_302600_NS6detail15normal_iteratorINS8_10device_ptrIiEEEEjNS1_16block_id_wrapperIjLb1EEEEEvT_jjPNSG_10value_typeET0_PNSt15iterator_traitsISJ_E10value_typeEmT1_T2_
; %bb.0:
	s_load_dword s0, s[4:5], 0x4c
	s_load_dwordx8 s[8:15], s[4:5], 0x0
	s_load_dword s18, s[4:5], 0x40
	s_waitcnt lgkmcnt(0)
	s_and_b32 s19, s0, 0xffff
	s_mul_i32 s6, s6, s19
	s_cmp_eq_u64 s[12:13], 0
	v_add_u32_e32 v4, s6, v0
	s_cbranch_scc1 .LBB1161_8
; %bb.1:
	s_cmp_lt_u32 s11, s10
	s_cselect_b32 s0, s11, 0
	s_mov_b32 s3, 0
	v_cmp_eq_u32_e32 vcc, s0, v4
	s_and_saveexec_b64 s[0:1], vcc
	s_cbranch_execz .LBB1161_7
; %bb.2:
	s_add_i32 s2, s11, 64
	s_lshl_b64 s[2:3], s[2:3], 4
	s_add_u32 s16, s8, s2
	s_addc_u32 s17, s9, s3
	v_pk_mov_b32 v[0:1], s[16:17], s[16:17] op_sel:[0,1]
	;;#ASMSTART
	global_load_dwordx4 v[0:3], v[0:1] off glc	
s_waitcnt vmcnt(0)
	;;#ASMEND
	v_mov_b32_e32 v7, 0
	v_and_b32_e32 v6, 0xff, v2
	s_mov_b64 s[6:7], 0
	v_cmp_eq_u64_e32 vcc, 0, v[6:7]
	s_and_saveexec_b64 s[2:3], vcc
	s_cbranch_execz .LBB1161_6
; %bb.3:
	v_pk_mov_b32 v[8:9], s[16:17], s[16:17] op_sel:[0,1]
.LBB1161_4:                             ; =>This Inner Loop Header: Depth=1
	;;#ASMSTART
	global_load_dwordx4 v[0:3], v[8:9] off glc	
s_waitcnt vmcnt(0)
	;;#ASMEND
	v_and_b32_e32 v6, 0xff, v2
	v_cmp_ne_u64_e32 vcc, 0, v[6:7]
	s_or_b64 s[6:7], vcc, s[6:7]
	s_andn2_b64 exec, exec, s[6:7]
	s_cbranch_execnz .LBB1161_4
; %bb.5:
	s_or_b64 exec, exec, s[6:7]
.LBB1161_6:
	s_or_b64 exec, exec, s[2:3]
	v_mov_b32_e32 v2, 0
	global_store_dword v2, v0, s[12:13]
	global_store_byte v2, v1, s[12:13] offset:4
.LBB1161_7:
	s_or_b64 exec, exec, s[0:1]
.LBB1161_8:
	v_cmp_eq_u32_e32 vcc, 0, v4
	s_and_saveexec_b64 s[0:1], vcc
	s_cbranch_execz .LBB1161_10
; %bb.9:
	s_load_dwordx2 s[2:3], s[4:5], 0x38
	v_mov_b32_e32 v0, 0
	s_waitcnt lgkmcnt(0)
	global_store_dword v0, v0, s[2:3]
.LBB1161_10:
	s_or_b64 exec, exec, s[0:1]
	v_cmp_gt_u32_e32 vcc, s10, v4
	s_and_saveexec_b64 s[0:1], vcc
	s_cbranch_execz .LBB1161_12
; %bb.11:
	v_add_u32_e32 v0, 64, v4
	v_mov_b32_e32 v1, 0
	v_lshlrev_b64 v[2:3], 4, v[0:1]
	v_mov_b32_e32 v0, s9
	v_add_co_u32_e32 v6, vcc, s8, v2
	v_addc_co_u32_e32 v7, vcc, v0, v3, vcc
	v_mov_b32_e32 v0, v1
	v_mov_b32_e32 v2, v1
	;; [unrolled: 1-line block ×3, first 2 shown]
	global_store_dwordx4 v[6:7], v[0:3], off
.LBB1161_12:
	s_or_b64 exec, exec, s[0:1]
	v_cmp_gt_u32_e32 vcc, 64, v4
	v_mov_b32_e32 v5, 0
	s_and_saveexec_b64 s[0:1], vcc
	s_cbranch_execz .LBB1161_14
; %bb.13:
	v_lshlrev_b64 v[0:1], 4, v[4:5]
	v_mov_b32_e32 v2, s9
	v_add_co_u32_e32 v6, vcc, s8, v0
	v_addc_co_u32_e32 v7, vcc, v2, v1, vcc
	v_mov_b32_e32 v2, 0xff
	v_mov_b32_e32 v0, v5
	;; [unrolled: 1-line block ×4, first 2 shown]
	global_store_dwordx4 v[6:7], v[0:3], off
.LBB1161_14:
	s_or_b64 exec, exec, s[0:1]
	s_load_dwordx2 s[0:1], s[4:5], 0x28
	s_waitcnt lgkmcnt(0)
	v_cmp_gt_u64_e32 vcc, s[0:1], v[4:5]
	s_and_saveexec_b64 s[2:3], vcc
	s_cbranch_execz .LBB1161_17
; %bb.15:
	s_load_dword s10, s[4:5], 0x30
	s_load_dwordx2 s[6:7], s[4:5], 0x20
	s_mov_b32 s5, 0
	s_mov_b32 s3, s5
	s_mul_i32 s2, s18, s19
	s_waitcnt lgkmcnt(0)
	s_add_i32 s4, s10, -1
	s_lshl_b64 s[4:5], s[4:5], 2
	v_mad_u64_u32 v[0:1], s[8:9], s10, v4, 0
	s_add_u32 s4, s14, s4
	v_lshlrev_b64 v[0:1], 2, v[0:1]
	s_addc_u32 s5, s15, s5
	v_mov_b32_e32 v2, s5
	v_add_co_u32_e32 v0, vcc, s4, v0
	v_addc_co_u32_e32 v1, vcc, v2, v1, vcc
	s_mul_hi_u32 s5, s10, s2
	s_mul_i32 s4, s10, s2
	v_lshlrev_b64 v[2:3], 2, v[4:5]
	s_lshl_b64 s[4:5], s[4:5], 2
	v_mov_b32_e32 v6, s7
	v_add_co_u32_e32 v2, vcc, s6, v2
	s_lshl_b64 s[6:7], s[2:3], 2
	v_addc_co_u32_e32 v3, vcc, v6, v3, vcc
	s_mov_b64 s[8:9], 0
	v_mov_b32_e32 v6, s3
	v_mov_b32_e32 v7, s5
	;; [unrolled: 1-line block ×3, first 2 shown]
.LBB1161_16:                            ; =>This Inner Loop Header: Depth=1
	global_load_dword v9, v[0:1], off
	v_add_co_u32_e32 v4, vcc, s2, v4
	v_addc_co_u32_e32 v5, vcc, v5, v6, vcc
	v_add_co_u32_e32 v0, vcc, s4, v0
	v_addc_co_u32_e32 v1, vcc, v1, v7, vcc
	v_cmp_le_u64_e32 vcc, s[0:1], v[4:5]
	s_or_b64 s[8:9], vcc, s[8:9]
	s_waitcnt vmcnt(0)
	global_store_dword v[2:3], v9, off
	v_add_co_u32_e32 v2, vcc, s6, v2
	v_addc_co_u32_e32 v3, vcc, v3, v8, vcc
	s_andn2_b64 exec, exec, s[8:9]
	s_cbranch_execnz .LBB1161_16
.LBB1161_17:
	s_endpgm
	.section	.rodata,"a",@progbits
	.p2align	6, 0x0
	.amdhsa_kernel _ZN7rocprim17ROCPRIM_400000_NS6detail30init_device_scan_by_key_kernelINS1_19lookback_scan_stateINS0_5tupleIJfbEEELb0ELb1EEEN6thrust23THRUST_200600_302600_NS6detail15normal_iteratorINS8_10device_ptrIiEEEEjNS1_16block_id_wrapperIjLb1EEEEEvT_jjPNSG_10value_typeET0_PNSt15iterator_traitsISJ_E10value_typeEmT1_T2_
		.amdhsa_group_segment_fixed_size 0
		.amdhsa_private_segment_fixed_size 0
		.amdhsa_kernarg_size 320
		.amdhsa_user_sgpr_count 6
		.amdhsa_user_sgpr_private_segment_buffer 1
		.amdhsa_user_sgpr_dispatch_ptr 0
		.amdhsa_user_sgpr_queue_ptr 0
		.amdhsa_user_sgpr_kernarg_segment_ptr 1
		.amdhsa_user_sgpr_dispatch_id 0
		.amdhsa_user_sgpr_flat_scratch_init 0
		.amdhsa_user_sgpr_kernarg_preload_length 0
		.amdhsa_user_sgpr_kernarg_preload_offset 0
		.amdhsa_user_sgpr_private_segment_size 0
		.amdhsa_uses_dynamic_stack 0
		.amdhsa_system_sgpr_private_segment_wavefront_offset 0
		.amdhsa_system_sgpr_workgroup_id_x 1
		.amdhsa_system_sgpr_workgroup_id_y 0
		.amdhsa_system_sgpr_workgroup_id_z 0
		.amdhsa_system_sgpr_workgroup_info 0
		.amdhsa_system_vgpr_workitem_id 0
		.amdhsa_next_free_vgpr 10
		.amdhsa_next_free_sgpr 20
		.amdhsa_accum_offset 12
		.amdhsa_reserve_vcc 1
		.amdhsa_reserve_flat_scratch 0
		.amdhsa_float_round_mode_32 0
		.amdhsa_float_round_mode_16_64 0
		.amdhsa_float_denorm_mode_32 3
		.amdhsa_float_denorm_mode_16_64 3
		.amdhsa_dx10_clamp 1
		.amdhsa_ieee_mode 1
		.amdhsa_fp16_overflow 0
		.amdhsa_tg_split 0
		.amdhsa_exception_fp_ieee_invalid_op 0
		.amdhsa_exception_fp_denorm_src 0
		.amdhsa_exception_fp_ieee_div_zero 0
		.amdhsa_exception_fp_ieee_overflow 0
		.amdhsa_exception_fp_ieee_underflow 0
		.amdhsa_exception_fp_ieee_inexact 0
		.amdhsa_exception_int_div_zero 0
	.end_amdhsa_kernel
	.section	.text._ZN7rocprim17ROCPRIM_400000_NS6detail30init_device_scan_by_key_kernelINS1_19lookback_scan_stateINS0_5tupleIJfbEEELb0ELb1EEEN6thrust23THRUST_200600_302600_NS6detail15normal_iteratorINS8_10device_ptrIiEEEEjNS1_16block_id_wrapperIjLb1EEEEEvT_jjPNSG_10value_typeET0_PNSt15iterator_traitsISJ_E10value_typeEmT1_T2_,"axG",@progbits,_ZN7rocprim17ROCPRIM_400000_NS6detail30init_device_scan_by_key_kernelINS1_19lookback_scan_stateINS0_5tupleIJfbEEELb0ELb1EEEN6thrust23THRUST_200600_302600_NS6detail15normal_iteratorINS8_10device_ptrIiEEEEjNS1_16block_id_wrapperIjLb1EEEEEvT_jjPNSG_10value_typeET0_PNSt15iterator_traitsISJ_E10value_typeEmT1_T2_,comdat
.Lfunc_end1161:
	.size	_ZN7rocprim17ROCPRIM_400000_NS6detail30init_device_scan_by_key_kernelINS1_19lookback_scan_stateINS0_5tupleIJfbEEELb0ELb1EEEN6thrust23THRUST_200600_302600_NS6detail15normal_iteratorINS8_10device_ptrIiEEEEjNS1_16block_id_wrapperIjLb1EEEEEvT_jjPNSG_10value_typeET0_PNSt15iterator_traitsISJ_E10value_typeEmT1_T2_, .Lfunc_end1161-_ZN7rocprim17ROCPRIM_400000_NS6detail30init_device_scan_by_key_kernelINS1_19lookback_scan_stateINS0_5tupleIJfbEEELb0ELb1EEEN6thrust23THRUST_200600_302600_NS6detail15normal_iteratorINS8_10device_ptrIiEEEEjNS1_16block_id_wrapperIjLb1EEEEEvT_jjPNSG_10value_typeET0_PNSt15iterator_traitsISJ_E10value_typeEmT1_T2_
                                        ; -- End function
	.section	.AMDGPU.csdata,"",@progbits
; Kernel info:
; codeLenInByte = 612
; NumSgprs: 24
; NumVgprs: 10
; NumAgprs: 0
; TotalNumVgprs: 10
; ScratchSize: 0
; MemoryBound: 0
; FloatMode: 240
; IeeeMode: 1
; LDSByteSize: 0 bytes/workgroup (compile time only)
; SGPRBlocks: 2
; VGPRBlocks: 1
; NumSGPRsForWavesPerEU: 24
; NumVGPRsForWavesPerEU: 10
; AccumOffset: 12
; Occupancy: 8
; WaveLimiterHint : 0
; COMPUTE_PGM_RSRC2:SCRATCH_EN: 0
; COMPUTE_PGM_RSRC2:USER_SGPR: 6
; COMPUTE_PGM_RSRC2:TRAP_HANDLER: 0
; COMPUTE_PGM_RSRC2:TGID_X_EN: 1
; COMPUTE_PGM_RSRC2:TGID_Y_EN: 0
; COMPUTE_PGM_RSRC2:TGID_Z_EN: 0
; COMPUTE_PGM_RSRC2:TIDIG_COMP_CNT: 0
; COMPUTE_PGM_RSRC3_GFX90A:ACCUM_OFFSET: 2
; COMPUTE_PGM_RSRC3_GFX90A:TG_SPLIT: 0
	.section	.text._ZN7rocprim17ROCPRIM_400000_NS6detail30init_device_scan_by_key_kernelINS1_19lookback_scan_stateINS0_5tupleIJfbEEELb0ELb1EEENS1_16block_id_wrapperIjLb1EEEEEvT_jjPNS9_10value_typeET0_,"axG",@progbits,_ZN7rocprim17ROCPRIM_400000_NS6detail30init_device_scan_by_key_kernelINS1_19lookback_scan_stateINS0_5tupleIJfbEEELb0ELb1EEENS1_16block_id_wrapperIjLb1EEEEEvT_jjPNS9_10value_typeET0_,comdat
	.protected	_ZN7rocprim17ROCPRIM_400000_NS6detail30init_device_scan_by_key_kernelINS1_19lookback_scan_stateINS0_5tupleIJfbEEELb0ELb1EEENS1_16block_id_wrapperIjLb1EEEEEvT_jjPNS9_10value_typeET0_ ; -- Begin function _ZN7rocprim17ROCPRIM_400000_NS6detail30init_device_scan_by_key_kernelINS1_19lookback_scan_stateINS0_5tupleIJfbEEELb0ELb1EEENS1_16block_id_wrapperIjLb1EEEEEvT_jjPNS9_10value_typeET0_
	.globl	_ZN7rocprim17ROCPRIM_400000_NS6detail30init_device_scan_by_key_kernelINS1_19lookback_scan_stateINS0_5tupleIJfbEEELb0ELb1EEENS1_16block_id_wrapperIjLb1EEEEEvT_jjPNS9_10value_typeET0_
	.p2align	8
	.type	_ZN7rocprim17ROCPRIM_400000_NS6detail30init_device_scan_by_key_kernelINS1_19lookback_scan_stateINS0_5tupleIJfbEEELb0ELb1EEENS1_16block_id_wrapperIjLb1EEEEEvT_jjPNS9_10value_typeET0_,@function
_ZN7rocprim17ROCPRIM_400000_NS6detail30init_device_scan_by_key_kernelINS1_19lookback_scan_stateINS0_5tupleIJfbEEELb0ELb1EEENS1_16block_id_wrapperIjLb1EEEEEvT_jjPNS9_10value_typeET0_: ; @_ZN7rocprim17ROCPRIM_400000_NS6detail30init_device_scan_by_key_kernelINS1_19lookback_scan_stateINS0_5tupleIJfbEEELb0ELb1EEENS1_16block_id_wrapperIjLb1EEEEEvT_jjPNS9_10value_typeET0_
; %bb.0:
	s_load_dword s0, s[4:5], 0x2c
	s_load_dwordx8 s[8:15], s[4:5], 0x0
	s_waitcnt lgkmcnt(0)
	s_and_b32 s0, s0, 0xffff
	s_mul_i32 s6, s6, s0
	s_cmp_eq_u64 s[12:13], 0
	v_add_u32_e32 v0, s6, v0
	s_cbranch_scc1 .LBB1162_8
; %bb.1:
	s_cmp_lt_u32 s11, s10
	s_cselect_b32 s0, s11, 0
	s_mov_b32 s3, 0
	v_cmp_eq_u32_e32 vcc, s0, v0
	s_and_saveexec_b64 s[0:1], vcc
	s_cbranch_execz .LBB1162_7
; %bb.2:
	s_add_i32 s2, s11, 64
	s_lshl_b64 s[2:3], s[2:3], 4
	s_add_u32 s6, s8, s2
	s_addc_u32 s7, s9, s3
	v_pk_mov_b32 v[2:3], s[6:7], s[6:7] op_sel:[0,1]
	;;#ASMSTART
	global_load_dwordx4 v[2:5], v[2:3] off glc	
s_waitcnt vmcnt(0)
	;;#ASMEND
	v_mov_b32_e32 v7, 0
	v_and_b32_e32 v6, 0xff, v4
	s_mov_b64 s[4:5], 0
	v_cmp_eq_u64_e32 vcc, 0, v[6:7]
	s_and_saveexec_b64 s[2:3], vcc
	s_cbranch_execz .LBB1162_6
; %bb.3:
	v_pk_mov_b32 v[8:9], s[6:7], s[6:7] op_sel:[0,1]
.LBB1162_4:                             ; =>This Inner Loop Header: Depth=1
	;;#ASMSTART
	global_load_dwordx4 v[2:5], v[8:9] off glc	
s_waitcnt vmcnt(0)
	;;#ASMEND
	v_and_b32_e32 v6, 0xff, v4
	v_cmp_ne_u64_e32 vcc, 0, v[6:7]
	s_or_b64 s[4:5], vcc, s[4:5]
	s_andn2_b64 exec, exec, s[4:5]
	s_cbranch_execnz .LBB1162_4
; %bb.5:
	s_or_b64 exec, exec, s[4:5]
.LBB1162_6:
	s_or_b64 exec, exec, s[2:3]
	v_mov_b32_e32 v1, 0
	global_store_dword v1, v2, s[12:13]
	global_store_byte v1, v3, s[12:13] offset:4
.LBB1162_7:
	s_or_b64 exec, exec, s[0:1]
.LBB1162_8:
	v_cmp_eq_u32_e32 vcc, 0, v0
	s_and_saveexec_b64 s[0:1], vcc
	s_cbranch_execnz .LBB1162_12
; %bb.9:
	s_or_b64 exec, exec, s[0:1]
	v_cmp_gt_u32_e32 vcc, s10, v0
	s_and_saveexec_b64 s[0:1], vcc
	s_cbranch_execnz .LBB1162_13
.LBB1162_10:
	s_or_b64 exec, exec, s[0:1]
	v_cmp_gt_u32_e32 vcc, 64, v0
	s_and_saveexec_b64 s[0:1], vcc
	s_cbranch_execnz .LBB1162_14
.LBB1162_11:
	s_endpgm
.LBB1162_12:
	v_mov_b32_e32 v1, 0
	global_store_dword v1, v1, s[14:15]
	s_or_b64 exec, exec, s[0:1]
	v_cmp_gt_u32_e32 vcc, s10, v0
	s_and_saveexec_b64 s[0:1], vcc
	s_cbranch_execz .LBB1162_10
.LBB1162_13:
	v_add_u32_e32 v2, 64, v0
	v_mov_b32_e32 v3, 0
	v_lshlrev_b64 v[4:5], 4, v[2:3]
	v_mov_b32_e32 v1, s9
	v_add_co_u32_e32 v6, vcc, s8, v4
	v_addc_co_u32_e32 v7, vcc, v1, v5, vcc
	v_mov_b32_e32 v2, v3
	v_mov_b32_e32 v4, v3
	;; [unrolled: 1-line block ×3, first 2 shown]
	global_store_dwordx4 v[6:7], v[2:5], off
	s_or_b64 exec, exec, s[0:1]
	v_cmp_gt_u32_e32 vcc, 64, v0
	s_and_saveexec_b64 s[0:1], vcc
	s_cbranch_execz .LBB1162_11
.LBB1162_14:
	v_mov_b32_e32 v1, 0
	v_lshlrev_b64 v[2:3], 4, v[0:1]
	v_mov_b32_e32 v0, s9
	v_add_co_u32_e32 v4, vcc, s8, v2
	v_addc_co_u32_e32 v5, vcc, v0, v3, vcc
	v_mov_b32_e32 v2, 0xff
	v_mov_b32_e32 v0, v1
	v_mov_b32_e32 v3, v1
	global_store_dwordx4 v[4:5], v[0:3], off
	s_endpgm
	.section	.rodata,"a",@progbits
	.p2align	6, 0x0
	.amdhsa_kernel _ZN7rocprim17ROCPRIM_400000_NS6detail30init_device_scan_by_key_kernelINS1_19lookback_scan_stateINS0_5tupleIJfbEEELb0ELb1EEENS1_16block_id_wrapperIjLb1EEEEEvT_jjPNS9_10value_typeET0_
		.amdhsa_group_segment_fixed_size 0
		.amdhsa_private_segment_fixed_size 0
		.amdhsa_kernarg_size 288
		.amdhsa_user_sgpr_count 6
		.amdhsa_user_sgpr_private_segment_buffer 1
		.amdhsa_user_sgpr_dispatch_ptr 0
		.amdhsa_user_sgpr_queue_ptr 0
		.amdhsa_user_sgpr_kernarg_segment_ptr 1
		.amdhsa_user_sgpr_dispatch_id 0
		.amdhsa_user_sgpr_flat_scratch_init 0
		.amdhsa_user_sgpr_kernarg_preload_length 0
		.amdhsa_user_sgpr_kernarg_preload_offset 0
		.amdhsa_user_sgpr_private_segment_size 0
		.amdhsa_uses_dynamic_stack 0
		.amdhsa_system_sgpr_private_segment_wavefront_offset 0
		.amdhsa_system_sgpr_workgroup_id_x 1
		.amdhsa_system_sgpr_workgroup_id_y 0
		.amdhsa_system_sgpr_workgroup_id_z 0
		.amdhsa_system_sgpr_workgroup_info 0
		.amdhsa_system_vgpr_workitem_id 0
		.amdhsa_next_free_vgpr 10
		.amdhsa_next_free_sgpr 16
		.amdhsa_accum_offset 12
		.amdhsa_reserve_vcc 1
		.amdhsa_reserve_flat_scratch 0
		.amdhsa_float_round_mode_32 0
		.amdhsa_float_round_mode_16_64 0
		.amdhsa_float_denorm_mode_32 3
		.amdhsa_float_denorm_mode_16_64 3
		.amdhsa_dx10_clamp 1
		.amdhsa_ieee_mode 1
		.amdhsa_fp16_overflow 0
		.amdhsa_tg_split 0
		.amdhsa_exception_fp_ieee_invalid_op 0
		.amdhsa_exception_fp_denorm_src 0
		.amdhsa_exception_fp_ieee_div_zero 0
		.amdhsa_exception_fp_ieee_overflow 0
		.amdhsa_exception_fp_ieee_underflow 0
		.amdhsa_exception_fp_ieee_inexact 0
		.amdhsa_exception_int_div_zero 0
	.end_amdhsa_kernel
	.section	.text._ZN7rocprim17ROCPRIM_400000_NS6detail30init_device_scan_by_key_kernelINS1_19lookback_scan_stateINS0_5tupleIJfbEEELb0ELb1EEENS1_16block_id_wrapperIjLb1EEEEEvT_jjPNS9_10value_typeET0_,"axG",@progbits,_ZN7rocprim17ROCPRIM_400000_NS6detail30init_device_scan_by_key_kernelINS1_19lookback_scan_stateINS0_5tupleIJfbEEELb0ELb1EEENS1_16block_id_wrapperIjLb1EEEEEvT_jjPNS9_10value_typeET0_,comdat
.Lfunc_end1162:
	.size	_ZN7rocprim17ROCPRIM_400000_NS6detail30init_device_scan_by_key_kernelINS1_19lookback_scan_stateINS0_5tupleIJfbEEELb0ELb1EEENS1_16block_id_wrapperIjLb1EEEEEvT_jjPNS9_10value_typeET0_, .Lfunc_end1162-_ZN7rocprim17ROCPRIM_400000_NS6detail30init_device_scan_by_key_kernelINS1_19lookback_scan_stateINS0_5tupleIJfbEEELb0ELb1EEENS1_16block_id_wrapperIjLb1EEEEEvT_jjPNS9_10value_typeET0_
                                        ; -- End function
	.section	.AMDGPU.csdata,"",@progbits
; Kernel info:
; codeLenInByte = 408
; NumSgprs: 20
; NumVgprs: 10
; NumAgprs: 0
; TotalNumVgprs: 10
; ScratchSize: 0
; MemoryBound: 0
; FloatMode: 240
; IeeeMode: 1
; LDSByteSize: 0 bytes/workgroup (compile time only)
; SGPRBlocks: 2
; VGPRBlocks: 1
; NumSGPRsForWavesPerEU: 20
; NumVGPRsForWavesPerEU: 10
; AccumOffset: 12
; Occupancy: 8
; WaveLimiterHint : 0
; COMPUTE_PGM_RSRC2:SCRATCH_EN: 0
; COMPUTE_PGM_RSRC2:USER_SGPR: 6
; COMPUTE_PGM_RSRC2:TRAP_HANDLER: 0
; COMPUTE_PGM_RSRC2:TGID_X_EN: 1
; COMPUTE_PGM_RSRC2:TGID_Y_EN: 0
; COMPUTE_PGM_RSRC2:TGID_Z_EN: 0
; COMPUTE_PGM_RSRC2:TIDIG_COMP_CNT: 0
; COMPUTE_PGM_RSRC3_GFX90A:ACCUM_OFFSET: 2
; COMPUTE_PGM_RSRC3_GFX90A:TG_SPLIT: 0
	.section	.text._ZN7rocprim17ROCPRIM_400000_NS6detail17trampoline_kernelINS0_14default_configENS1_27scan_by_key_config_selectorIifEEZZNS1_16scan_by_key_implILNS1_25lookback_scan_determinismE0ELb0ES3_N6thrust23THRUST_200600_302600_NS6detail15normal_iteratorINS9_10device_ptrIiEEEENSB_INSC_IfEEEESG_fNS9_4plusIvEENS9_8equal_toIvEEfEE10hipError_tPvRmT2_T3_T4_T5_mT6_T7_P12ihipStream_tbENKUlT_T0_E_clISt17integral_constantIbLb0EES10_IbLb1EEEEDaSW_SX_EUlSW_E_NS1_11comp_targetILNS1_3genE0ELNS1_11target_archE4294967295ELNS1_3gpuE0ELNS1_3repE0EEENS1_30default_config_static_selectorELNS0_4arch9wavefront6targetE1EEEvT1_,"axG",@progbits,_ZN7rocprim17ROCPRIM_400000_NS6detail17trampoline_kernelINS0_14default_configENS1_27scan_by_key_config_selectorIifEEZZNS1_16scan_by_key_implILNS1_25lookback_scan_determinismE0ELb0ES3_N6thrust23THRUST_200600_302600_NS6detail15normal_iteratorINS9_10device_ptrIiEEEENSB_INSC_IfEEEESG_fNS9_4plusIvEENS9_8equal_toIvEEfEE10hipError_tPvRmT2_T3_T4_T5_mT6_T7_P12ihipStream_tbENKUlT_T0_E_clISt17integral_constantIbLb0EES10_IbLb1EEEEDaSW_SX_EUlSW_E_NS1_11comp_targetILNS1_3genE0ELNS1_11target_archE4294967295ELNS1_3gpuE0ELNS1_3repE0EEENS1_30default_config_static_selectorELNS0_4arch9wavefront6targetE1EEEvT1_,comdat
	.protected	_ZN7rocprim17ROCPRIM_400000_NS6detail17trampoline_kernelINS0_14default_configENS1_27scan_by_key_config_selectorIifEEZZNS1_16scan_by_key_implILNS1_25lookback_scan_determinismE0ELb0ES3_N6thrust23THRUST_200600_302600_NS6detail15normal_iteratorINS9_10device_ptrIiEEEENSB_INSC_IfEEEESG_fNS9_4plusIvEENS9_8equal_toIvEEfEE10hipError_tPvRmT2_T3_T4_T5_mT6_T7_P12ihipStream_tbENKUlT_T0_E_clISt17integral_constantIbLb0EES10_IbLb1EEEEDaSW_SX_EUlSW_E_NS1_11comp_targetILNS1_3genE0ELNS1_11target_archE4294967295ELNS1_3gpuE0ELNS1_3repE0EEENS1_30default_config_static_selectorELNS0_4arch9wavefront6targetE1EEEvT1_ ; -- Begin function _ZN7rocprim17ROCPRIM_400000_NS6detail17trampoline_kernelINS0_14default_configENS1_27scan_by_key_config_selectorIifEEZZNS1_16scan_by_key_implILNS1_25lookback_scan_determinismE0ELb0ES3_N6thrust23THRUST_200600_302600_NS6detail15normal_iteratorINS9_10device_ptrIiEEEENSB_INSC_IfEEEESG_fNS9_4plusIvEENS9_8equal_toIvEEfEE10hipError_tPvRmT2_T3_T4_T5_mT6_T7_P12ihipStream_tbENKUlT_T0_E_clISt17integral_constantIbLb0EES10_IbLb1EEEEDaSW_SX_EUlSW_E_NS1_11comp_targetILNS1_3genE0ELNS1_11target_archE4294967295ELNS1_3gpuE0ELNS1_3repE0EEENS1_30default_config_static_selectorELNS0_4arch9wavefront6targetE1EEEvT1_
	.globl	_ZN7rocprim17ROCPRIM_400000_NS6detail17trampoline_kernelINS0_14default_configENS1_27scan_by_key_config_selectorIifEEZZNS1_16scan_by_key_implILNS1_25lookback_scan_determinismE0ELb0ES3_N6thrust23THRUST_200600_302600_NS6detail15normal_iteratorINS9_10device_ptrIiEEEENSB_INSC_IfEEEESG_fNS9_4plusIvEENS9_8equal_toIvEEfEE10hipError_tPvRmT2_T3_T4_T5_mT6_T7_P12ihipStream_tbENKUlT_T0_E_clISt17integral_constantIbLb0EES10_IbLb1EEEEDaSW_SX_EUlSW_E_NS1_11comp_targetILNS1_3genE0ELNS1_11target_archE4294967295ELNS1_3gpuE0ELNS1_3repE0EEENS1_30default_config_static_selectorELNS0_4arch9wavefront6targetE1EEEvT1_
	.p2align	8
	.type	_ZN7rocprim17ROCPRIM_400000_NS6detail17trampoline_kernelINS0_14default_configENS1_27scan_by_key_config_selectorIifEEZZNS1_16scan_by_key_implILNS1_25lookback_scan_determinismE0ELb0ES3_N6thrust23THRUST_200600_302600_NS6detail15normal_iteratorINS9_10device_ptrIiEEEENSB_INSC_IfEEEESG_fNS9_4plusIvEENS9_8equal_toIvEEfEE10hipError_tPvRmT2_T3_T4_T5_mT6_T7_P12ihipStream_tbENKUlT_T0_E_clISt17integral_constantIbLb0EES10_IbLb1EEEEDaSW_SX_EUlSW_E_NS1_11comp_targetILNS1_3genE0ELNS1_11target_archE4294967295ELNS1_3gpuE0ELNS1_3repE0EEENS1_30default_config_static_selectorELNS0_4arch9wavefront6targetE1EEEvT1_,@function
_ZN7rocprim17ROCPRIM_400000_NS6detail17trampoline_kernelINS0_14default_configENS1_27scan_by_key_config_selectorIifEEZZNS1_16scan_by_key_implILNS1_25lookback_scan_determinismE0ELb0ES3_N6thrust23THRUST_200600_302600_NS6detail15normal_iteratorINS9_10device_ptrIiEEEENSB_INSC_IfEEEESG_fNS9_4plusIvEENS9_8equal_toIvEEfEE10hipError_tPvRmT2_T3_T4_T5_mT6_T7_P12ihipStream_tbENKUlT_T0_E_clISt17integral_constantIbLb0EES10_IbLb1EEEEDaSW_SX_EUlSW_E_NS1_11comp_targetILNS1_3genE0ELNS1_11target_archE4294967295ELNS1_3gpuE0ELNS1_3repE0EEENS1_30default_config_static_selectorELNS0_4arch9wavefront6targetE1EEEvT1_: ; @_ZN7rocprim17ROCPRIM_400000_NS6detail17trampoline_kernelINS0_14default_configENS1_27scan_by_key_config_selectorIifEEZZNS1_16scan_by_key_implILNS1_25lookback_scan_determinismE0ELb0ES3_N6thrust23THRUST_200600_302600_NS6detail15normal_iteratorINS9_10device_ptrIiEEEENSB_INSC_IfEEEESG_fNS9_4plusIvEENS9_8equal_toIvEEfEE10hipError_tPvRmT2_T3_T4_T5_mT6_T7_P12ihipStream_tbENKUlT_T0_E_clISt17integral_constantIbLb0EES10_IbLb1EEEEDaSW_SX_EUlSW_E_NS1_11comp_targetILNS1_3genE0ELNS1_11target_archE4294967295ELNS1_3gpuE0ELNS1_3repE0EEENS1_30default_config_static_selectorELNS0_4arch9wavefront6targetE1EEEvT1_
; %bb.0:
	.section	.rodata,"a",@progbits
	.p2align	6, 0x0
	.amdhsa_kernel _ZN7rocprim17ROCPRIM_400000_NS6detail17trampoline_kernelINS0_14default_configENS1_27scan_by_key_config_selectorIifEEZZNS1_16scan_by_key_implILNS1_25lookback_scan_determinismE0ELb0ES3_N6thrust23THRUST_200600_302600_NS6detail15normal_iteratorINS9_10device_ptrIiEEEENSB_INSC_IfEEEESG_fNS9_4plusIvEENS9_8equal_toIvEEfEE10hipError_tPvRmT2_T3_T4_T5_mT6_T7_P12ihipStream_tbENKUlT_T0_E_clISt17integral_constantIbLb0EES10_IbLb1EEEEDaSW_SX_EUlSW_E_NS1_11comp_targetILNS1_3genE0ELNS1_11target_archE4294967295ELNS1_3gpuE0ELNS1_3repE0EEENS1_30default_config_static_selectorELNS0_4arch9wavefront6targetE1EEEvT1_
		.amdhsa_group_segment_fixed_size 0
		.amdhsa_private_segment_fixed_size 0
		.amdhsa_kernarg_size 112
		.amdhsa_user_sgpr_count 6
		.amdhsa_user_sgpr_private_segment_buffer 1
		.amdhsa_user_sgpr_dispatch_ptr 0
		.amdhsa_user_sgpr_queue_ptr 0
		.amdhsa_user_sgpr_kernarg_segment_ptr 1
		.amdhsa_user_sgpr_dispatch_id 0
		.amdhsa_user_sgpr_flat_scratch_init 0
		.amdhsa_user_sgpr_kernarg_preload_length 0
		.amdhsa_user_sgpr_kernarg_preload_offset 0
		.amdhsa_user_sgpr_private_segment_size 0
		.amdhsa_uses_dynamic_stack 0
		.amdhsa_system_sgpr_private_segment_wavefront_offset 0
		.amdhsa_system_sgpr_workgroup_id_x 1
		.amdhsa_system_sgpr_workgroup_id_y 0
		.amdhsa_system_sgpr_workgroup_id_z 0
		.amdhsa_system_sgpr_workgroup_info 0
		.amdhsa_system_vgpr_workitem_id 0
		.amdhsa_next_free_vgpr 1
		.amdhsa_next_free_sgpr 0
		.amdhsa_accum_offset 4
		.amdhsa_reserve_vcc 0
		.amdhsa_reserve_flat_scratch 0
		.amdhsa_float_round_mode_32 0
		.amdhsa_float_round_mode_16_64 0
		.amdhsa_float_denorm_mode_32 3
		.amdhsa_float_denorm_mode_16_64 3
		.amdhsa_dx10_clamp 1
		.amdhsa_ieee_mode 1
		.amdhsa_fp16_overflow 0
		.amdhsa_tg_split 0
		.amdhsa_exception_fp_ieee_invalid_op 0
		.amdhsa_exception_fp_denorm_src 0
		.amdhsa_exception_fp_ieee_div_zero 0
		.amdhsa_exception_fp_ieee_overflow 0
		.amdhsa_exception_fp_ieee_underflow 0
		.amdhsa_exception_fp_ieee_inexact 0
		.amdhsa_exception_int_div_zero 0
	.end_amdhsa_kernel
	.section	.text._ZN7rocprim17ROCPRIM_400000_NS6detail17trampoline_kernelINS0_14default_configENS1_27scan_by_key_config_selectorIifEEZZNS1_16scan_by_key_implILNS1_25lookback_scan_determinismE0ELb0ES3_N6thrust23THRUST_200600_302600_NS6detail15normal_iteratorINS9_10device_ptrIiEEEENSB_INSC_IfEEEESG_fNS9_4plusIvEENS9_8equal_toIvEEfEE10hipError_tPvRmT2_T3_T4_T5_mT6_T7_P12ihipStream_tbENKUlT_T0_E_clISt17integral_constantIbLb0EES10_IbLb1EEEEDaSW_SX_EUlSW_E_NS1_11comp_targetILNS1_3genE0ELNS1_11target_archE4294967295ELNS1_3gpuE0ELNS1_3repE0EEENS1_30default_config_static_selectorELNS0_4arch9wavefront6targetE1EEEvT1_,"axG",@progbits,_ZN7rocprim17ROCPRIM_400000_NS6detail17trampoline_kernelINS0_14default_configENS1_27scan_by_key_config_selectorIifEEZZNS1_16scan_by_key_implILNS1_25lookback_scan_determinismE0ELb0ES3_N6thrust23THRUST_200600_302600_NS6detail15normal_iteratorINS9_10device_ptrIiEEEENSB_INSC_IfEEEESG_fNS9_4plusIvEENS9_8equal_toIvEEfEE10hipError_tPvRmT2_T3_T4_T5_mT6_T7_P12ihipStream_tbENKUlT_T0_E_clISt17integral_constantIbLb0EES10_IbLb1EEEEDaSW_SX_EUlSW_E_NS1_11comp_targetILNS1_3genE0ELNS1_11target_archE4294967295ELNS1_3gpuE0ELNS1_3repE0EEENS1_30default_config_static_selectorELNS0_4arch9wavefront6targetE1EEEvT1_,comdat
.Lfunc_end1163:
	.size	_ZN7rocprim17ROCPRIM_400000_NS6detail17trampoline_kernelINS0_14default_configENS1_27scan_by_key_config_selectorIifEEZZNS1_16scan_by_key_implILNS1_25lookback_scan_determinismE0ELb0ES3_N6thrust23THRUST_200600_302600_NS6detail15normal_iteratorINS9_10device_ptrIiEEEENSB_INSC_IfEEEESG_fNS9_4plusIvEENS9_8equal_toIvEEfEE10hipError_tPvRmT2_T3_T4_T5_mT6_T7_P12ihipStream_tbENKUlT_T0_E_clISt17integral_constantIbLb0EES10_IbLb1EEEEDaSW_SX_EUlSW_E_NS1_11comp_targetILNS1_3genE0ELNS1_11target_archE4294967295ELNS1_3gpuE0ELNS1_3repE0EEENS1_30default_config_static_selectorELNS0_4arch9wavefront6targetE1EEEvT1_, .Lfunc_end1163-_ZN7rocprim17ROCPRIM_400000_NS6detail17trampoline_kernelINS0_14default_configENS1_27scan_by_key_config_selectorIifEEZZNS1_16scan_by_key_implILNS1_25lookback_scan_determinismE0ELb0ES3_N6thrust23THRUST_200600_302600_NS6detail15normal_iteratorINS9_10device_ptrIiEEEENSB_INSC_IfEEEESG_fNS9_4plusIvEENS9_8equal_toIvEEfEE10hipError_tPvRmT2_T3_T4_T5_mT6_T7_P12ihipStream_tbENKUlT_T0_E_clISt17integral_constantIbLb0EES10_IbLb1EEEEDaSW_SX_EUlSW_E_NS1_11comp_targetILNS1_3genE0ELNS1_11target_archE4294967295ELNS1_3gpuE0ELNS1_3repE0EEENS1_30default_config_static_selectorELNS0_4arch9wavefront6targetE1EEEvT1_
                                        ; -- End function
	.section	.AMDGPU.csdata,"",@progbits
; Kernel info:
; codeLenInByte = 0
; NumSgprs: 4
; NumVgprs: 0
; NumAgprs: 0
; TotalNumVgprs: 0
; ScratchSize: 0
; MemoryBound: 0
; FloatMode: 240
; IeeeMode: 1
; LDSByteSize: 0 bytes/workgroup (compile time only)
; SGPRBlocks: 0
; VGPRBlocks: 0
; NumSGPRsForWavesPerEU: 4
; NumVGPRsForWavesPerEU: 1
; AccumOffset: 4
; Occupancy: 8
; WaveLimiterHint : 0
; COMPUTE_PGM_RSRC2:SCRATCH_EN: 0
; COMPUTE_PGM_RSRC2:USER_SGPR: 6
; COMPUTE_PGM_RSRC2:TRAP_HANDLER: 0
; COMPUTE_PGM_RSRC2:TGID_X_EN: 1
; COMPUTE_PGM_RSRC2:TGID_Y_EN: 0
; COMPUTE_PGM_RSRC2:TGID_Z_EN: 0
; COMPUTE_PGM_RSRC2:TIDIG_COMP_CNT: 0
; COMPUTE_PGM_RSRC3_GFX90A:ACCUM_OFFSET: 0
; COMPUTE_PGM_RSRC3_GFX90A:TG_SPLIT: 0
	.section	.text._ZN7rocprim17ROCPRIM_400000_NS6detail17trampoline_kernelINS0_14default_configENS1_27scan_by_key_config_selectorIifEEZZNS1_16scan_by_key_implILNS1_25lookback_scan_determinismE0ELb0ES3_N6thrust23THRUST_200600_302600_NS6detail15normal_iteratorINS9_10device_ptrIiEEEENSB_INSC_IfEEEESG_fNS9_4plusIvEENS9_8equal_toIvEEfEE10hipError_tPvRmT2_T3_T4_T5_mT6_T7_P12ihipStream_tbENKUlT_T0_E_clISt17integral_constantIbLb0EES10_IbLb1EEEEDaSW_SX_EUlSW_E_NS1_11comp_targetILNS1_3genE10ELNS1_11target_archE1201ELNS1_3gpuE5ELNS1_3repE0EEENS1_30default_config_static_selectorELNS0_4arch9wavefront6targetE1EEEvT1_,"axG",@progbits,_ZN7rocprim17ROCPRIM_400000_NS6detail17trampoline_kernelINS0_14default_configENS1_27scan_by_key_config_selectorIifEEZZNS1_16scan_by_key_implILNS1_25lookback_scan_determinismE0ELb0ES3_N6thrust23THRUST_200600_302600_NS6detail15normal_iteratorINS9_10device_ptrIiEEEENSB_INSC_IfEEEESG_fNS9_4plusIvEENS9_8equal_toIvEEfEE10hipError_tPvRmT2_T3_T4_T5_mT6_T7_P12ihipStream_tbENKUlT_T0_E_clISt17integral_constantIbLb0EES10_IbLb1EEEEDaSW_SX_EUlSW_E_NS1_11comp_targetILNS1_3genE10ELNS1_11target_archE1201ELNS1_3gpuE5ELNS1_3repE0EEENS1_30default_config_static_selectorELNS0_4arch9wavefront6targetE1EEEvT1_,comdat
	.protected	_ZN7rocprim17ROCPRIM_400000_NS6detail17trampoline_kernelINS0_14default_configENS1_27scan_by_key_config_selectorIifEEZZNS1_16scan_by_key_implILNS1_25lookback_scan_determinismE0ELb0ES3_N6thrust23THRUST_200600_302600_NS6detail15normal_iteratorINS9_10device_ptrIiEEEENSB_INSC_IfEEEESG_fNS9_4plusIvEENS9_8equal_toIvEEfEE10hipError_tPvRmT2_T3_T4_T5_mT6_T7_P12ihipStream_tbENKUlT_T0_E_clISt17integral_constantIbLb0EES10_IbLb1EEEEDaSW_SX_EUlSW_E_NS1_11comp_targetILNS1_3genE10ELNS1_11target_archE1201ELNS1_3gpuE5ELNS1_3repE0EEENS1_30default_config_static_selectorELNS0_4arch9wavefront6targetE1EEEvT1_ ; -- Begin function _ZN7rocprim17ROCPRIM_400000_NS6detail17trampoline_kernelINS0_14default_configENS1_27scan_by_key_config_selectorIifEEZZNS1_16scan_by_key_implILNS1_25lookback_scan_determinismE0ELb0ES3_N6thrust23THRUST_200600_302600_NS6detail15normal_iteratorINS9_10device_ptrIiEEEENSB_INSC_IfEEEESG_fNS9_4plusIvEENS9_8equal_toIvEEfEE10hipError_tPvRmT2_T3_T4_T5_mT6_T7_P12ihipStream_tbENKUlT_T0_E_clISt17integral_constantIbLb0EES10_IbLb1EEEEDaSW_SX_EUlSW_E_NS1_11comp_targetILNS1_3genE10ELNS1_11target_archE1201ELNS1_3gpuE5ELNS1_3repE0EEENS1_30default_config_static_selectorELNS0_4arch9wavefront6targetE1EEEvT1_
	.globl	_ZN7rocprim17ROCPRIM_400000_NS6detail17trampoline_kernelINS0_14default_configENS1_27scan_by_key_config_selectorIifEEZZNS1_16scan_by_key_implILNS1_25lookback_scan_determinismE0ELb0ES3_N6thrust23THRUST_200600_302600_NS6detail15normal_iteratorINS9_10device_ptrIiEEEENSB_INSC_IfEEEESG_fNS9_4plusIvEENS9_8equal_toIvEEfEE10hipError_tPvRmT2_T3_T4_T5_mT6_T7_P12ihipStream_tbENKUlT_T0_E_clISt17integral_constantIbLb0EES10_IbLb1EEEEDaSW_SX_EUlSW_E_NS1_11comp_targetILNS1_3genE10ELNS1_11target_archE1201ELNS1_3gpuE5ELNS1_3repE0EEENS1_30default_config_static_selectorELNS0_4arch9wavefront6targetE1EEEvT1_
	.p2align	8
	.type	_ZN7rocprim17ROCPRIM_400000_NS6detail17trampoline_kernelINS0_14default_configENS1_27scan_by_key_config_selectorIifEEZZNS1_16scan_by_key_implILNS1_25lookback_scan_determinismE0ELb0ES3_N6thrust23THRUST_200600_302600_NS6detail15normal_iteratorINS9_10device_ptrIiEEEENSB_INSC_IfEEEESG_fNS9_4plusIvEENS9_8equal_toIvEEfEE10hipError_tPvRmT2_T3_T4_T5_mT6_T7_P12ihipStream_tbENKUlT_T0_E_clISt17integral_constantIbLb0EES10_IbLb1EEEEDaSW_SX_EUlSW_E_NS1_11comp_targetILNS1_3genE10ELNS1_11target_archE1201ELNS1_3gpuE5ELNS1_3repE0EEENS1_30default_config_static_selectorELNS0_4arch9wavefront6targetE1EEEvT1_,@function
_ZN7rocprim17ROCPRIM_400000_NS6detail17trampoline_kernelINS0_14default_configENS1_27scan_by_key_config_selectorIifEEZZNS1_16scan_by_key_implILNS1_25lookback_scan_determinismE0ELb0ES3_N6thrust23THRUST_200600_302600_NS6detail15normal_iteratorINS9_10device_ptrIiEEEENSB_INSC_IfEEEESG_fNS9_4plusIvEENS9_8equal_toIvEEfEE10hipError_tPvRmT2_T3_T4_T5_mT6_T7_P12ihipStream_tbENKUlT_T0_E_clISt17integral_constantIbLb0EES10_IbLb1EEEEDaSW_SX_EUlSW_E_NS1_11comp_targetILNS1_3genE10ELNS1_11target_archE1201ELNS1_3gpuE5ELNS1_3repE0EEENS1_30default_config_static_selectorELNS0_4arch9wavefront6targetE1EEEvT1_: ; @_ZN7rocprim17ROCPRIM_400000_NS6detail17trampoline_kernelINS0_14default_configENS1_27scan_by_key_config_selectorIifEEZZNS1_16scan_by_key_implILNS1_25lookback_scan_determinismE0ELb0ES3_N6thrust23THRUST_200600_302600_NS6detail15normal_iteratorINS9_10device_ptrIiEEEENSB_INSC_IfEEEESG_fNS9_4plusIvEENS9_8equal_toIvEEfEE10hipError_tPvRmT2_T3_T4_T5_mT6_T7_P12ihipStream_tbENKUlT_T0_E_clISt17integral_constantIbLb0EES10_IbLb1EEEEDaSW_SX_EUlSW_E_NS1_11comp_targetILNS1_3genE10ELNS1_11target_archE1201ELNS1_3gpuE5ELNS1_3repE0EEENS1_30default_config_static_selectorELNS0_4arch9wavefront6targetE1EEEvT1_
; %bb.0:
	.section	.rodata,"a",@progbits
	.p2align	6, 0x0
	.amdhsa_kernel _ZN7rocprim17ROCPRIM_400000_NS6detail17trampoline_kernelINS0_14default_configENS1_27scan_by_key_config_selectorIifEEZZNS1_16scan_by_key_implILNS1_25lookback_scan_determinismE0ELb0ES3_N6thrust23THRUST_200600_302600_NS6detail15normal_iteratorINS9_10device_ptrIiEEEENSB_INSC_IfEEEESG_fNS9_4plusIvEENS9_8equal_toIvEEfEE10hipError_tPvRmT2_T3_T4_T5_mT6_T7_P12ihipStream_tbENKUlT_T0_E_clISt17integral_constantIbLb0EES10_IbLb1EEEEDaSW_SX_EUlSW_E_NS1_11comp_targetILNS1_3genE10ELNS1_11target_archE1201ELNS1_3gpuE5ELNS1_3repE0EEENS1_30default_config_static_selectorELNS0_4arch9wavefront6targetE1EEEvT1_
		.amdhsa_group_segment_fixed_size 0
		.amdhsa_private_segment_fixed_size 0
		.amdhsa_kernarg_size 112
		.amdhsa_user_sgpr_count 6
		.amdhsa_user_sgpr_private_segment_buffer 1
		.amdhsa_user_sgpr_dispatch_ptr 0
		.amdhsa_user_sgpr_queue_ptr 0
		.amdhsa_user_sgpr_kernarg_segment_ptr 1
		.amdhsa_user_sgpr_dispatch_id 0
		.amdhsa_user_sgpr_flat_scratch_init 0
		.amdhsa_user_sgpr_kernarg_preload_length 0
		.amdhsa_user_sgpr_kernarg_preload_offset 0
		.amdhsa_user_sgpr_private_segment_size 0
		.amdhsa_uses_dynamic_stack 0
		.amdhsa_system_sgpr_private_segment_wavefront_offset 0
		.amdhsa_system_sgpr_workgroup_id_x 1
		.amdhsa_system_sgpr_workgroup_id_y 0
		.amdhsa_system_sgpr_workgroup_id_z 0
		.amdhsa_system_sgpr_workgroup_info 0
		.amdhsa_system_vgpr_workitem_id 0
		.amdhsa_next_free_vgpr 1
		.amdhsa_next_free_sgpr 0
		.amdhsa_accum_offset 4
		.amdhsa_reserve_vcc 0
		.amdhsa_reserve_flat_scratch 0
		.amdhsa_float_round_mode_32 0
		.amdhsa_float_round_mode_16_64 0
		.amdhsa_float_denorm_mode_32 3
		.amdhsa_float_denorm_mode_16_64 3
		.amdhsa_dx10_clamp 1
		.amdhsa_ieee_mode 1
		.amdhsa_fp16_overflow 0
		.amdhsa_tg_split 0
		.amdhsa_exception_fp_ieee_invalid_op 0
		.amdhsa_exception_fp_denorm_src 0
		.amdhsa_exception_fp_ieee_div_zero 0
		.amdhsa_exception_fp_ieee_overflow 0
		.amdhsa_exception_fp_ieee_underflow 0
		.amdhsa_exception_fp_ieee_inexact 0
		.amdhsa_exception_int_div_zero 0
	.end_amdhsa_kernel
	.section	.text._ZN7rocprim17ROCPRIM_400000_NS6detail17trampoline_kernelINS0_14default_configENS1_27scan_by_key_config_selectorIifEEZZNS1_16scan_by_key_implILNS1_25lookback_scan_determinismE0ELb0ES3_N6thrust23THRUST_200600_302600_NS6detail15normal_iteratorINS9_10device_ptrIiEEEENSB_INSC_IfEEEESG_fNS9_4plusIvEENS9_8equal_toIvEEfEE10hipError_tPvRmT2_T3_T4_T5_mT6_T7_P12ihipStream_tbENKUlT_T0_E_clISt17integral_constantIbLb0EES10_IbLb1EEEEDaSW_SX_EUlSW_E_NS1_11comp_targetILNS1_3genE10ELNS1_11target_archE1201ELNS1_3gpuE5ELNS1_3repE0EEENS1_30default_config_static_selectorELNS0_4arch9wavefront6targetE1EEEvT1_,"axG",@progbits,_ZN7rocprim17ROCPRIM_400000_NS6detail17trampoline_kernelINS0_14default_configENS1_27scan_by_key_config_selectorIifEEZZNS1_16scan_by_key_implILNS1_25lookback_scan_determinismE0ELb0ES3_N6thrust23THRUST_200600_302600_NS6detail15normal_iteratorINS9_10device_ptrIiEEEENSB_INSC_IfEEEESG_fNS9_4plusIvEENS9_8equal_toIvEEfEE10hipError_tPvRmT2_T3_T4_T5_mT6_T7_P12ihipStream_tbENKUlT_T0_E_clISt17integral_constantIbLb0EES10_IbLb1EEEEDaSW_SX_EUlSW_E_NS1_11comp_targetILNS1_3genE10ELNS1_11target_archE1201ELNS1_3gpuE5ELNS1_3repE0EEENS1_30default_config_static_selectorELNS0_4arch9wavefront6targetE1EEEvT1_,comdat
.Lfunc_end1164:
	.size	_ZN7rocprim17ROCPRIM_400000_NS6detail17trampoline_kernelINS0_14default_configENS1_27scan_by_key_config_selectorIifEEZZNS1_16scan_by_key_implILNS1_25lookback_scan_determinismE0ELb0ES3_N6thrust23THRUST_200600_302600_NS6detail15normal_iteratorINS9_10device_ptrIiEEEENSB_INSC_IfEEEESG_fNS9_4plusIvEENS9_8equal_toIvEEfEE10hipError_tPvRmT2_T3_T4_T5_mT6_T7_P12ihipStream_tbENKUlT_T0_E_clISt17integral_constantIbLb0EES10_IbLb1EEEEDaSW_SX_EUlSW_E_NS1_11comp_targetILNS1_3genE10ELNS1_11target_archE1201ELNS1_3gpuE5ELNS1_3repE0EEENS1_30default_config_static_selectorELNS0_4arch9wavefront6targetE1EEEvT1_, .Lfunc_end1164-_ZN7rocprim17ROCPRIM_400000_NS6detail17trampoline_kernelINS0_14default_configENS1_27scan_by_key_config_selectorIifEEZZNS1_16scan_by_key_implILNS1_25lookback_scan_determinismE0ELb0ES3_N6thrust23THRUST_200600_302600_NS6detail15normal_iteratorINS9_10device_ptrIiEEEENSB_INSC_IfEEEESG_fNS9_4plusIvEENS9_8equal_toIvEEfEE10hipError_tPvRmT2_T3_T4_T5_mT6_T7_P12ihipStream_tbENKUlT_T0_E_clISt17integral_constantIbLb0EES10_IbLb1EEEEDaSW_SX_EUlSW_E_NS1_11comp_targetILNS1_3genE10ELNS1_11target_archE1201ELNS1_3gpuE5ELNS1_3repE0EEENS1_30default_config_static_selectorELNS0_4arch9wavefront6targetE1EEEvT1_
                                        ; -- End function
	.section	.AMDGPU.csdata,"",@progbits
; Kernel info:
; codeLenInByte = 0
; NumSgprs: 4
; NumVgprs: 0
; NumAgprs: 0
; TotalNumVgprs: 0
; ScratchSize: 0
; MemoryBound: 0
; FloatMode: 240
; IeeeMode: 1
; LDSByteSize: 0 bytes/workgroup (compile time only)
; SGPRBlocks: 0
; VGPRBlocks: 0
; NumSGPRsForWavesPerEU: 4
; NumVGPRsForWavesPerEU: 1
; AccumOffset: 4
; Occupancy: 8
; WaveLimiterHint : 0
; COMPUTE_PGM_RSRC2:SCRATCH_EN: 0
; COMPUTE_PGM_RSRC2:USER_SGPR: 6
; COMPUTE_PGM_RSRC2:TRAP_HANDLER: 0
; COMPUTE_PGM_RSRC2:TGID_X_EN: 1
; COMPUTE_PGM_RSRC2:TGID_Y_EN: 0
; COMPUTE_PGM_RSRC2:TGID_Z_EN: 0
; COMPUTE_PGM_RSRC2:TIDIG_COMP_CNT: 0
; COMPUTE_PGM_RSRC3_GFX90A:ACCUM_OFFSET: 0
; COMPUTE_PGM_RSRC3_GFX90A:TG_SPLIT: 0
	.section	.text._ZN7rocprim17ROCPRIM_400000_NS6detail17trampoline_kernelINS0_14default_configENS1_27scan_by_key_config_selectorIifEEZZNS1_16scan_by_key_implILNS1_25lookback_scan_determinismE0ELb0ES3_N6thrust23THRUST_200600_302600_NS6detail15normal_iteratorINS9_10device_ptrIiEEEENSB_INSC_IfEEEESG_fNS9_4plusIvEENS9_8equal_toIvEEfEE10hipError_tPvRmT2_T3_T4_T5_mT6_T7_P12ihipStream_tbENKUlT_T0_E_clISt17integral_constantIbLb0EES10_IbLb1EEEEDaSW_SX_EUlSW_E_NS1_11comp_targetILNS1_3genE5ELNS1_11target_archE942ELNS1_3gpuE9ELNS1_3repE0EEENS1_30default_config_static_selectorELNS0_4arch9wavefront6targetE1EEEvT1_,"axG",@progbits,_ZN7rocprim17ROCPRIM_400000_NS6detail17trampoline_kernelINS0_14default_configENS1_27scan_by_key_config_selectorIifEEZZNS1_16scan_by_key_implILNS1_25lookback_scan_determinismE0ELb0ES3_N6thrust23THRUST_200600_302600_NS6detail15normal_iteratorINS9_10device_ptrIiEEEENSB_INSC_IfEEEESG_fNS9_4plusIvEENS9_8equal_toIvEEfEE10hipError_tPvRmT2_T3_T4_T5_mT6_T7_P12ihipStream_tbENKUlT_T0_E_clISt17integral_constantIbLb0EES10_IbLb1EEEEDaSW_SX_EUlSW_E_NS1_11comp_targetILNS1_3genE5ELNS1_11target_archE942ELNS1_3gpuE9ELNS1_3repE0EEENS1_30default_config_static_selectorELNS0_4arch9wavefront6targetE1EEEvT1_,comdat
	.protected	_ZN7rocprim17ROCPRIM_400000_NS6detail17trampoline_kernelINS0_14default_configENS1_27scan_by_key_config_selectorIifEEZZNS1_16scan_by_key_implILNS1_25lookback_scan_determinismE0ELb0ES3_N6thrust23THRUST_200600_302600_NS6detail15normal_iteratorINS9_10device_ptrIiEEEENSB_INSC_IfEEEESG_fNS9_4plusIvEENS9_8equal_toIvEEfEE10hipError_tPvRmT2_T3_T4_T5_mT6_T7_P12ihipStream_tbENKUlT_T0_E_clISt17integral_constantIbLb0EES10_IbLb1EEEEDaSW_SX_EUlSW_E_NS1_11comp_targetILNS1_3genE5ELNS1_11target_archE942ELNS1_3gpuE9ELNS1_3repE0EEENS1_30default_config_static_selectorELNS0_4arch9wavefront6targetE1EEEvT1_ ; -- Begin function _ZN7rocprim17ROCPRIM_400000_NS6detail17trampoline_kernelINS0_14default_configENS1_27scan_by_key_config_selectorIifEEZZNS1_16scan_by_key_implILNS1_25lookback_scan_determinismE0ELb0ES3_N6thrust23THRUST_200600_302600_NS6detail15normal_iteratorINS9_10device_ptrIiEEEENSB_INSC_IfEEEESG_fNS9_4plusIvEENS9_8equal_toIvEEfEE10hipError_tPvRmT2_T3_T4_T5_mT6_T7_P12ihipStream_tbENKUlT_T0_E_clISt17integral_constantIbLb0EES10_IbLb1EEEEDaSW_SX_EUlSW_E_NS1_11comp_targetILNS1_3genE5ELNS1_11target_archE942ELNS1_3gpuE9ELNS1_3repE0EEENS1_30default_config_static_selectorELNS0_4arch9wavefront6targetE1EEEvT1_
	.globl	_ZN7rocprim17ROCPRIM_400000_NS6detail17trampoline_kernelINS0_14default_configENS1_27scan_by_key_config_selectorIifEEZZNS1_16scan_by_key_implILNS1_25lookback_scan_determinismE0ELb0ES3_N6thrust23THRUST_200600_302600_NS6detail15normal_iteratorINS9_10device_ptrIiEEEENSB_INSC_IfEEEESG_fNS9_4plusIvEENS9_8equal_toIvEEfEE10hipError_tPvRmT2_T3_T4_T5_mT6_T7_P12ihipStream_tbENKUlT_T0_E_clISt17integral_constantIbLb0EES10_IbLb1EEEEDaSW_SX_EUlSW_E_NS1_11comp_targetILNS1_3genE5ELNS1_11target_archE942ELNS1_3gpuE9ELNS1_3repE0EEENS1_30default_config_static_selectorELNS0_4arch9wavefront6targetE1EEEvT1_
	.p2align	8
	.type	_ZN7rocprim17ROCPRIM_400000_NS6detail17trampoline_kernelINS0_14default_configENS1_27scan_by_key_config_selectorIifEEZZNS1_16scan_by_key_implILNS1_25lookback_scan_determinismE0ELb0ES3_N6thrust23THRUST_200600_302600_NS6detail15normal_iteratorINS9_10device_ptrIiEEEENSB_INSC_IfEEEESG_fNS9_4plusIvEENS9_8equal_toIvEEfEE10hipError_tPvRmT2_T3_T4_T5_mT6_T7_P12ihipStream_tbENKUlT_T0_E_clISt17integral_constantIbLb0EES10_IbLb1EEEEDaSW_SX_EUlSW_E_NS1_11comp_targetILNS1_3genE5ELNS1_11target_archE942ELNS1_3gpuE9ELNS1_3repE0EEENS1_30default_config_static_selectorELNS0_4arch9wavefront6targetE1EEEvT1_,@function
_ZN7rocprim17ROCPRIM_400000_NS6detail17trampoline_kernelINS0_14default_configENS1_27scan_by_key_config_selectorIifEEZZNS1_16scan_by_key_implILNS1_25lookback_scan_determinismE0ELb0ES3_N6thrust23THRUST_200600_302600_NS6detail15normal_iteratorINS9_10device_ptrIiEEEENSB_INSC_IfEEEESG_fNS9_4plusIvEENS9_8equal_toIvEEfEE10hipError_tPvRmT2_T3_T4_T5_mT6_T7_P12ihipStream_tbENKUlT_T0_E_clISt17integral_constantIbLb0EES10_IbLb1EEEEDaSW_SX_EUlSW_E_NS1_11comp_targetILNS1_3genE5ELNS1_11target_archE942ELNS1_3gpuE9ELNS1_3repE0EEENS1_30default_config_static_selectorELNS0_4arch9wavefront6targetE1EEEvT1_: ; @_ZN7rocprim17ROCPRIM_400000_NS6detail17trampoline_kernelINS0_14default_configENS1_27scan_by_key_config_selectorIifEEZZNS1_16scan_by_key_implILNS1_25lookback_scan_determinismE0ELb0ES3_N6thrust23THRUST_200600_302600_NS6detail15normal_iteratorINS9_10device_ptrIiEEEENSB_INSC_IfEEEESG_fNS9_4plusIvEENS9_8equal_toIvEEfEE10hipError_tPvRmT2_T3_T4_T5_mT6_T7_P12ihipStream_tbENKUlT_T0_E_clISt17integral_constantIbLb0EES10_IbLb1EEEEDaSW_SX_EUlSW_E_NS1_11comp_targetILNS1_3genE5ELNS1_11target_archE942ELNS1_3gpuE9ELNS1_3repE0EEENS1_30default_config_static_selectorELNS0_4arch9wavefront6targetE1EEEvT1_
; %bb.0:
	.section	.rodata,"a",@progbits
	.p2align	6, 0x0
	.amdhsa_kernel _ZN7rocprim17ROCPRIM_400000_NS6detail17trampoline_kernelINS0_14default_configENS1_27scan_by_key_config_selectorIifEEZZNS1_16scan_by_key_implILNS1_25lookback_scan_determinismE0ELb0ES3_N6thrust23THRUST_200600_302600_NS6detail15normal_iteratorINS9_10device_ptrIiEEEENSB_INSC_IfEEEESG_fNS9_4plusIvEENS9_8equal_toIvEEfEE10hipError_tPvRmT2_T3_T4_T5_mT6_T7_P12ihipStream_tbENKUlT_T0_E_clISt17integral_constantIbLb0EES10_IbLb1EEEEDaSW_SX_EUlSW_E_NS1_11comp_targetILNS1_3genE5ELNS1_11target_archE942ELNS1_3gpuE9ELNS1_3repE0EEENS1_30default_config_static_selectorELNS0_4arch9wavefront6targetE1EEEvT1_
		.amdhsa_group_segment_fixed_size 0
		.amdhsa_private_segment_fixed_size 0
		.amdhsa_kernarg_size 112
		.amdhsa_user_sgpr_count 6
		.amdhsa_user_sgpr_private_segment_buffer 1
		.amdhsa_user_sgpr_dispatch_ptr 0
		.amdhsa_user_sgpr_queue_ptr 0
		.amdhsa_user_sgpr_kernarg_segment_ptr 1
		.amdhsa_user_sgpr_dispatch_id 0
		.amdhsa_user_sgpr_flat_scratch_init 0
		.amdhsa_user_sgpr_kernarg_preload_length 0
		.amdhsa_user_sgpr_kernarg_preload_offset 0
		.amdhsa_user_sgpr_private_segment_size 0
		.amdhsa_uses_dynamic_stack 0
		.amdhsa_system_sgpr_private_segment_wavefront_offset 0
		.amdhsa_system_sgpr_workgroup_id_x 1
		.amdhsa_system_sgpr_workgroup_id_y 0
		.amdhsa_system_sgpr_workgroup_id_z 0
		.amdhsa_system_sgpr_workgroup_info 0
		.amdhsa_system_vgpr_workitem_id 0
		.amdhsa_next_free_vgpr 1
		.amdhsa_next_free_sgpr 0
		.amdhsa_accum_offset 4
		.amdhsa_reserve_vcc 0
		.amdhsa_reserve_flat_scratch 0
		.amdhsa_float_round_mode_32 0
		.amdhsa_float_round_mode_16_64 0
		.amdhsa_float_denorm_mode_32 3
		.amdhsa_float_denorm_mode_16_64 3
		.amdhsa_dx10_clamp 1
		.amdhsa_ieee_mode 1
		.amdhsa_fp16_overflow 0
		.amdhsa_tg_split 0
		.amdhsa_exception_fp_ieee_invalid_op 0
		.amdhsa_exception_fp_denorm_src 0
		.amdhsa_exception_fp_ieee_div_zero 0
		.amdhsa_exception_fp_ieee_overflow 0
		.amdhsa_exception_fp_ieee_underflow 0
		.amdhsa_exception_fp_ieee_inexact 0
		.amdhsa_exception_int_div_zero 0
	.end_amdhsa_kernel
	.section	.text._ZN7rocprim17ROCPRIM_400000_NS6detail17trampoline_kernelINS0_14default_configENS1_27scan_by_key_config_selectorIifEEZZNS1_16scan_by_key_implILNS1_25lookback_scan_determinismE0ELb0ES3_N6thrust23THRUST_200600_302600_NS6detail15normal_iteratorINS9_10device_ptrIiEEEENSB_INSC_IfEEEESG_fNS9_4plusIvEENS9_8equal_toIvEEfEE10hipError_tPvRmT2_T3_T4_T5_mT6_T7_P12ihipStream_tbENKUlT_T0_E_clISt17integral_constantIbLb0EES10_IbLb1EEEEDaSW_SX_EUlSW_E_NS1_11comp_targetILNS1_3genE5ELNS1_11target_archE942ELNS1_3gpuE9ELNS1_3repE0EEENS1_30default_config_static_selectorELNS0_4arch9wavefront6targetE1EEEvT1_,"axG",@progbits,_ZN7rocprim17ROCPRIM_400000_NS6detail17trampoline_kernelINS0_14default_configENS1_27scan_by_key_config_selectorIifEEZZNS1_16scan_by_key_implILNS1_25lookback_scan_determinismE0ELb0ES3_N6thrust23THRUST_200600_302600_NS6detail15normal_iteratorINS9_10device_ptrIiEEEENSB_INSC_IfEEEESG_fNS9_4plusIvEENS9_8equal_toIvEEfEE10hipError_tPvRmT2_T3_T4_T5_mT6_T7_P12ihipStream_tbENKUlT_T0_E_clISt17integral_constantIbLb0EES10_IbLb1EEEEDaSW_SX_EUlSW_E_NS1_11comp_targetILNS1_3genE5ELNS1_11target_archE942ELNS1_3gpuE9ELNS1_3repE0EEENS1_30default_config_static_selectorELNS0_4arch9wavefront6targetE1EEEvT1_,comdat
.Lfunc_end1165:
	.size	_ZN7rocprim17ROCPRIM_400000_NS6detail17trampoline_kernelINS0_14default_configENS1_27scan_by_key_config_selectorIifEEZZNS1_16scan_by_key_implILNS1_25lookback_scan_determinismE0ELb0ES3_N6thrust23THRUST_200600_302600_NS6detail15normal_iteratorINS9_10device_ptrIiEEEENSB_INSC_IfEEEESG_fNS9_4plusIvEENS9_8equal_toIvEEfEE10hipError_tPvRmT2_T3_T4_T5_mT6_T7_P12ihipStream_tbENKUlT_T0_E_clISt17integral_constantIbLb0EES10_IbLb1EEEEDaSW_SX_EUlSW_E_NS1_11comp_targetILNS1_3genE5ELNS1_11target_archE942ELNS1_3gpuE9ELNS1_3repE0EEENS1_30default_config_static_selectorELNS0_4arch9wavefront6targetE1EEEvT1_, .Lfunc_end1165-_ZN7rocprim17ROCPRIM_400000_NS6detail17trampoline_kernelINS0_14default_configENS1_27scan_by_key_config_selectorIifEEZZNS1_16scan_by_key_implILNS1_25lookback_scan_determinismE0ELb0ES3_N6thrust23THRUST_200600_302600_NS6detail15normal_iteratorINS9_10device_ptrIiEEEENSB_INSC_IfEEEESG_fNS9_4plusIvEENS9_8equal_toIvEEfEE10hipError_tPvRmT2_T3_T4_T5_mT6_T7_P12ihipStream_tbENKUlT_T0_E_clISt17integral_constantIbLb0EES10_IbLb1EEEEDaSW_SX_EUlSW_E_NS1_11comp_targetILNS1_3genE5ELNS1_11target_archE942ELNS1_3gpuE9ELNS1_3repE0EEENS1_30default_config_static_selectorELNS0_4arch9wavefront6targetE1EEEvT1_
                                        ; -- End function
	.section	.AMDGPU.csdata,"",@progbits
; Kernel info:
; codeLenInByte = 0
; NumSgprs: 4
; NumVgprs: 0
; NumAgprs: 0
; TotalNumVgprs: 0
; ScratchSize: 0
; MemoryBound: 0
; FloatMode: 240
; IeeeMode: 1
; LDSByteSize: 0 bytes/workgroup (compile time only)
; SGPRBlocks: 0
; VGPRBlocks: 0
; NumSGPRsForWavesPerEU: 4
; NumVGPRsForWavesPerEU: 1
; AccumOffset: 4
; Occupancy: 8
; WaveLimiterHint : 0
; COMPUTE_PGM_RSRC2:SCRATCH_EN: 0
; COMPUTE_PGM_RSRC2:USER_SGPR: 6
; COMPUTE_PGM_RSRC2:TRAP_HANDLER: 0
; COMPUTE_PGM_RSRC2:TGID_X_EN: 1
; COMPUTE_PGM_RSRC2:TGID_Y_EN: 0
; COMPUTE_PGM_RSRC2:TGID_Z_EN: 0
; COMPUTE_PGM_RSRC2:TIDIG_COMP_CNT: 0
; COMPUTE_PGM_RSRC3_GFX90A:ACCUM_OFFSET: 0
; COMPUTE_PGM_RSRC3_GFX90A:TG_SPLIT: 0
	.section	.text._ZN7rocprim17ROCPRIM_400000_NS6detail17trampoline_kernelINS0_14default_configENS1_27scan_by_key_config_selectorIifEEZZNS1_16scan_by_key_implILNS1_25lookback_scan_determinismE0ELb0ES3_N6thrust23THRUST_200600_302600_NS6detail15normal_iteratorINS9_10device_ptrIiEEEENSB_INSC_IfEEEESG_fNS9_4plusIvEENS9_8equal_toIvEEfEE10hipError_tPvRmT2_T3_T4_T5_mT6_T7_P12ihipStream_tbENKUlT_T0_E_clISt17integral_constantIbLb0EES10_IbLb1EEEEDaSW_SX_EUlSW_E_NS1_11comp_targetILNS1_3genE4ELNS1_11target_archE910ELNS1_3gpuE8ELNS1_3repE0EEENS1_30default_config_static_selectorELNS0_4arch9wavefront6targetE1EEEvT1_,"axG",@progbits,_ZN7rocprim17ROCPRIM_400000_NS6detail17trampoline_kernelINS0_14default_configENS1_27scan_by_key_config_selectorIifEEZZNS1_16scan_by_key_implILNS1_25lookback_scan_determinismE0ELb0ES3_N6thrust23THRUST_200600_302600_NS6detail15normal_iteratorINS9_10device_ptrIiEEEENSB_INSC_IfEEEESG_fNS9_4plusIvEENS9_8equal_toIvEEfEE10hipError_tPvRmT2_T3_T4_T5_mT6_T7_P12ihipStream_tbENKUlT_T0_E_clISt17integral_constantIbLb0EES10_IbLb1EEEEDaSW_SX_EUlSW_E_NS1_11comp_targetILNS1_3genE4ELNS1_11target_archE910ELNS1_3gpuE8ELNS1_3repE0EEENS1_30default_config_static_selectorELNS0_4arch9wavefront6targetE1EEEvT1_,comdat
	.protected	_ZN7rocprim17ROCPRIM_400000_NS6detail17trampoline_kernelINS0_14default_configENS1_27scan_by_key_config_selectorIifEEZZNS1_16scan_by_key_implILNS1_25lookback_scan_determinismE0ELb0ES3_N6thrust23THRUST_200600_302600_NS6detail15normal_iteratorINS9_10device_ptrIiEEEENSB_INSC_IfEEEESG_fNS9_4plusIvEENS9_8equal_toIvEEfEE10hipError_tPvRmT2_T3_T4_T5_mT6_T7_P12ihipStream_tbENKUlT_T0_E_clISt17integral_constantIbLb0EES10_IbLb1EEEEDaSW_SX_EUlSW_E_NS1_11comp_targetILNS1_3genE4ELNS1_11target_archE910ELNS1_3gpuE8ELNS1_3repE0EEENS1_30default_config_static_selectorELNS0_4arch9wavefront6targetE1EEEvT1_ ; -- Begin function _ZN7rocprim17ROCPRIM_400000_NS6detail17trampoline_kernelINS0_14default_configENS1_27scan_by_key_config_selectorIifEEZZNS1_16scan_by_key_implILNS1_25lookback_scan_determinismE0ELb0ES3_N6thrust23THRUST_200600_302600_NS6detail15normal_iteratorINS9_10device_ptrIiEEEENSB_INSC_IfEEEESG_fNS9_4plusIvEENS9_8equal_toIvEEfEE10hipError_tPvRmT2_T3_T4_T5_mT6_T7_P12ihipStream_tbENKUlT_T0_E_clISt17integral_constantIbLb0EES10_IbLb1EEEEDaSW_SX_EUlSW_E_NS1_11comp_targetILNS1_3genE4ELNS1_11target_archE910ELNS1_3gpuE8ELNS1_3repE0EEENS1_30default_config_static_selectorELNS0_4arch9wavefront6targetE1EEEvT1_
	.globl	_ZN7rocprim17ROCPRIM_400000_NS6detail17trampoline_kernelINS0_14default_configENS1_27scan_by_key_config_selectorIifEEZZNS1_16scan_by_key_implILNS1_25lookback_scan_determinismE0ELb0ES3_N6thrust23THRUST_200600_302600_NS6detail15normal_iteratorINS9_10device_ptrIiEEEENSB_INSC_IfEEEESG_fNS9_4plusIvEENS9_8equal_toIvEEfEE10hipError_tPvRmT2_T3_T4_T5_mT6_T7_P12ihipStream_tbENKUlT_T0_E_clISt17integral_constantIbLb0EES10_IbLb1EEEEDaSW_SX_EUlSW_E_NS1_11comp_targetILNS1_3genE4ELNS1_11target_archE910ELNS1_3gpuE8ELNS1_3repE0EEENS1_30default_config_static_selectorELNS0_4arch9wavefront6targetE1EEEvT1_
	.p2align	8
	.type	_ZN7rocprim17ROCPRIM_400000_NS6detail17trampoline_kernelINS0_14default_configENS1_27scan_by_key_config_selectorIifEEZZNS1_16scan_by_key_implILNS1_25lookback_scan_determinismE0ELb0ES3_N6thrust23THRUST_200600_302600_NS6detail15normal_iteratorINS9_10device_ptrIiEEEENSB_INSC_IfEEEESG_fNS9_4plusIvEENS9_8equal_toIvEEfEE10hipError_tPvRmT2_T3_T4_T5_mT6_T7_P12ihipStream_tbENKUlT_T0_E_clISt17integral_constantIbLb0EES10_IbLb1EEEEDaSW_SX_EUlSW_E_NS1_11comp_targetILNS1_3genE4ELNS1_11target_archE910ELNS1_3gpuE8ELNS1_3repE0EEENS1_30default_config_static_selectorELNS0_4arch9wavefront6targetE1EEEvT1_,@function
_ZN7rocprim17ROCPRIM_400000_NS6detail17trampoline_kernelINS0_14default_configENS1_27scan_by_key_config_selectorIifEEZZNS1_16scan_by_key_implILNS1_25lookback_scan_determinismE0ELb0ES3_N6thrust23THRUST_200600_302600_NS6detail15normal_iteratorINS9_10device_ptrIiEEEENSB_INSC_IfEEEESG_fNS9_4plusIvEENS9_8equal_toIvEEfEE10hipError_tPvRmT2_T3_T4_T5_mT6_T7_P12ihipStream_tbENKUlT_T0_E_clISt17integral_constantIbLb0EES10_IbLb1EEEEDaSW_SX_EUlSW_E_NS1_11comp_targetILNS1_3genE4ELNS1_11target_archE910ELNS1_3gpuE8ELNS1_3repE0EEENS1_30default_config_static_selectorELNS0_4arch9wavefront6targetE1EEEvT1_: ; @_ZN7rocprim17ROCPRIM_400000_NS6detail17trampoline_kernelINS0_14default_configENS1_27scan_by_key_config_selectorIifEEZZNS1_16scan_by_key_implILNS1_25lookback_scan_determinismE0ELb0ES3_N6thrust23THRUST_200600_302600_NS6detail15normal_iteratorINS9_10device_ptrIiEEEENSB_INSC_IfEEEESG_fNS9_4plusIvEENS9_8equal_toIvEEfEE10hipError_tPvRmT2_T3_T4_T5_mT6_T7_P12ihipStream_tbENKUlT_T0_E_clISt17integral_constantIbLb0EES10_IbLb1EEEEDaSW_SX_EUlSW_E_NS1_11comp_targetILNS1_3genE4ELNS1_11target_archE910ELNS1_3gpuE8ELNS1_3repE0EEENS1_30default_config_static_selectorELNS0_4arch9wavefront6targetE1EEEvT1_
; %bb.0:
	s_load_dwordx4 s[56:59], s[4:5], 0x28
	s_load_dwordx2 s[60:61], s[4:5], 0x38
	v_cmp_ne_u32_e64 s[36:37], 0, v0
	v_cmp_eq_u32_e64 s[0:1], 0, v0
	s_and_saveexec_b64 s[2:3], s[0:1]
	s_cbranch_execz .LBB1166_4
; %bb.1:
	s_mov_b64 s[8:9], exec
	v_mbcnt_lo_u32_b32 v1, s8, 0
	v_mbcnt_hi_u32_b32 v1, s9, v1
	v_cmp_eq_u32_e32 vcc, 0, v1
                                        ; implicit-def: $vgpr2
	s_and_saveexec_b64 s[6:7], vcc
	s_cbranch_execz .LBB1166_3
; %bb.2:
	s_load_dwordx2 s[10:11], s[4:5], 0x68
	s_bcnt1_i32_b64 s8, s[8:9]
	v_mov_b32_e32 v2, 0
	v_mov_b32_e32 v3, s8
	s_waitcnt lgkmcnt(0)
	global_atomic_add v2, v2, v3, s[10:11] glc
.LBB1166_3:
	s_or_b64 exec, exec, s[6:7]
	s_waitcnt vmcnt(0)
	v_readfirstlane_b32 s6, v2
	v_add_u32_e32 v1, s6, v1
	v_mov_b32_e32 v2, 0
	ds_write_b32 v2, v1
.LBB1166_4:
	s_or_b64 exec, exec, s[2:3]
	s_load_dwordx8 s[40:47], s[4:5], 0x0
	s_load_dword s2, s[4:5], 0x40
	s_load_dwordx8 s[48:55], s[4:5], 0x48
	v_mov_b32_e32 v1, 0
	s_waitcnt lgkmcnt(0)
	s_barrier
	ds_read_b32 v1, v1
	s_lshl_b64 s[38:39], s[42:43], 2
	s_add_u32 s4, s40, s38
	s_addc_u32 s5, s41, s39
	s_add_u32 s6, s44, s38
	s_mul_i32 s3, s61, s2
	s_mul_hi_u32 s8, s60, s2
	s_addc_u32 s7, s45, s39
	s_add_i32 s8, s8, s3
	s_waitcnt lgkmcnt(0)
	v_readfirstlane_b32 s59, v1
	s_mul_i32 s9, s60, s2
	s_cmp_lg_u64 s[52:53], 0
	s_mov_b32 s3, 0
	s_mul_i32 s2, s59, 0xe00
	s_cselect_b64 s[44:45], -1, 0
	s_lshl_b64 s[40:41], s[2:3], 2
	s_add_u32 s42, s4, s40
	s_addc_u32 s43, s5, s41
	s_add_u32 s64, s6, s40
	s_addc_u32 s65, s7, s41
	;; [unrolled: 2-line block ×3, first 2 shown]
	s_add_u32 s4, s48, -1
	s_addc_u32 s5, s49, -1
	v_pk_mov_b32 v[2:3], s[4:5], s[4:5] op_sel:[0,1]
	v_cmp_ge_u64_e64 s[2:3], s[52:53], v[2:3]
	s_mov_b64 s[12:13], 0
	s_mov_b64 s[8:9], -1
	s_and_b64 vcc, exec, s[2:3]
	s_mul_i32 s33, s4, 0xfffff200
	s_barrier
	s_barrier
	s_cbranch_vccz .LBB1166_81
; %bb.5:
	v_pk_mov_b32 v[2:3], s[42:43], s[42:43] op_sel:[0,1]
	flat_load_dword v2, v[2:3]
	s_add_i32 s66, s33, s58
	v_cmp_gt_u32_e64 s[6:7], s66, v0
	s_waitcnt vmcnt(0) lgkmcnt(0)
	v_mov_b32_e32 v3, v2
	s_and_saveexec_b64 s[4:5], s[6:7]
	s_cbranch_execz .LBB1166_7
; %bb.6:
	v_lshlrev_b32_e32 v1, 2, v0
	v_mov_b32_e32 v3, s43
	v_add_co_u32_e32 v4, vcc, s42, v1
	v_addc_co_u32_e32 v5, vcc, 0, v3, vcc
	flat_load_dword v3, v[4:5]
.LBB1166_7:
	s_or_b64 exec, exec, s[4:5]
	v_or_b32_e32 v1, 0x100, v0
	v_cmp_gt_u32_e64 s[8:9], s66, v1
	v_mov_b32_e32 v4, v2
	s_and_saveexec_b64 s[4:5], s[8:9]
	s_cbranch_execz .LBB1166_9
; %bb.8:
	v_lshlrev_b32_e32 v1, 2, v0
	v_mov_b32_e32 v5, s43
	v_add_co_u32_e32 v4, vcc, s42, v1
	v_addc_co_u32_e32 v5, vcc, 0, v5, vcc
	flat_load_dword v4, v[4:5] offset:1024
.LBB1166_9:
	s_or_b64 exec, exec, s[4:5]
	v_or_b32_e32 v1, 0x200, v0
	v_cmp_gt_u32_e64 s[10:11], s66, v1
	v_mov_b32_e32 v5, v2
	s_and_saveexec_b64 s[4:5], s[10:11]
	s_cbranch_execz .LBB1166_11
; %bb.10:
	v_lshlrev_b32_e32 v1, 2, v0
	v_mov_b32_e32 v5, s43
	v_add_co_u32_e32 v6, vcc, s42, v1
	v_addc_co_u32_e32 v7, vcc, 0, v5, vcc
	flat_load_dword v5, v[6:7] offset:2048
.LBB1166_11:
	;; [unrolled: 13-line block ×3, first 2 shown]
	s_or_b64 exec, exec, s[4:5]
	v_or_b32_e32 v1, 0x400, v0
	v_cmp_gt_u32_e64 s[14:15], s66, v1
	v_lshlrev_b32_e32 v1, 2, v1
	v_mov_b32_e32 v7, v2
	s_and_saveexec_b64 s[4:5], s[14:15]
	s_cbranch_execz .LBB1166_15
; %bb.14:
	v_mov_b32_e32 v7, s43
	v_add_co_u32_e32 v8, vcc, s42, v1
	v_addc_co_u32_e32 v9, vcc, 0, v7, vcc
	flat_load_dword v7, v[8:9]
.LBB1166_15:
	s_or_b64 exec, exec, s[4:5]
	v_or_b32_e32 v8, 0x500, v0
	v_cmp_gt_u32_e64 s[16:17], s66, v8
	v_lshlrev_b32_e32 v14, 2, v8
	v_mov_b32_e32 v8, v2
	s_and_saveexec_b64 s[4:5], s[16:17]
	s_cbranch_execz .LBB1166_17
; %bb.16:
	v_mov_b32_e32 v9, s43
	v_add_co_u32_e32 v8, vcc, s42, v14
	v_addc_co_u32_e32 v9, vcc, 0, v9, vcc
	flat_load_dword v8, v[8:9]
.LBB1166_17:
	;; [unrolled: 13-line block ×9, first 2 shown]
	s_or_b64 exec, exec, s[4:5]
	v_or_b32_e32 v23, 0xd00, v0
	v_cmp_gt_u32_e64 s[34:35], s66, v23
	v_lshlrev_b32_e32 v23, 2, v23
	s_and_saveexec_b64 s[4:5], s[34:35]
	s_cbranch_execz .LBB1166_33
; %bb.32:
	v_mov_b32_e32 v2, s43
	v_add_co_u32_e32 v26, vcc, s42, v23
	v_addc_co_u32_e32 v27, vcc, 0, v2, vcc
	flat_load_dword v2, v[26:27]
.LBB1166_33:
	s_or_b64 exec, exec, s[4:5]
	v_lshlrev_b32_e32 v24, 2, v0
	s_waitcnt vmcnt(0) lgkmcnt(0)
	ds_write2st64_b32 v24, v3, v4 offset1:4
	ds_write2st64_b32 v24, v5, v6 offset0:8 offset1:12
	ds_write2st64_b32 v24, v7, v8 offset0:16 offset1:20
	;; [unrolled: 1-line block ×6, first 2 shown]
	v_mad_u32_u24 v15, v0, 52, v24
	s_waitcnt lgkmcnt(0)
	s_barrier
	ds_read2_b64 v[10:13], v15 offset1:1
	ds_read2_b64 v[6:9], v15 offset0:2 offset1:3
	ds_read2_b64 v[2:5], v15 offset0:4 offset1:5
	ds_read_b64 v[40:41], v15 offset:48
	s_cmp_eq_u64 s[52:53], 0
	s_mov_b64 s[4:5], s[42:43]
	s_cbranch_scc1 .LBB1166_37
; %bb.34:
	s_andn2_b64 vcc, exec, s[44:45]
	s_cbranch_vccnz .LBB1166_229
; %bb.35:
	s_lshl_b64 s[4:5], s[52:53], 2
	s_add_u32 s4, s54, s4
	s_addc_u32 s5, s55, s5
	s_add_u32 s4, s4, -4
	s_addc_u32 s5, s5, -1
	s_cbranch_execnz .LBB1166_37
.LBB1166_36:
	s_add_u32 s4, s42, -4
	s_addc_u32 s5, s43, -1
.LBB1166_37:
	v_pk_mov_b32 v[26:27], s[4:5], s[4:5] op_sel:[0,1]
	flat_load_dword v55, v[26:27]
	s_movk_i32 s4, 0xffcc
	v_mad_i32_i24 v25, v0, s4, v15
	s_waitcnt lgkmcnt(0)
	ds_write_b32 v25, v41 offset:14336
	s_waitcnt lgkmcnt(0)
	s_barrier
	s_and_saveexec_b64 s[4:5], s[36:37]
	s_cbranch_execz .LBB1166_39
; %bb.38:
	v_mul_i32_i24_e32 v25, 0xffffffcc, v0
	v_add_u32_e32 v25, v15, v25
	s_waitcnt vmcnt(0)
	ds_read_b32 v55, v25 offset:14332
.LBB1166_39:
	s_or_b64 exec, exec, s[4:5]
	s_waitcnt lgkmcnt(0)
	s_barrier
	s_waitcnt lgkmcnt(0)
                                        ; implicit-def: $vgpr25
	s_and_saveexec_b64 s[4:5], s[6:7]
	s_cbranch_execnz .LBB1166_216
; %bb.40:
	s_or_b64 exec, exec, s[4:5]
                                        ; implicit-def: $vgpr26
	s_and_saveexec_b64 s[4:5], s[8:9]
	s_cbranch_execnz .LBB1166_217
.LBB1166_41:
	s_or_b64 exec, exec, s[4:5]
                                        ; implicit-def: $vgpr27
	s_and_saveexec_b64 s[4:5], s[10:11]
	s_cbranch_execnz .LBB1166_218
.LBB1166_42:
	s_or_b64 exec, exec, s[4:5]
                                        ; implicit-def: $vgpr28
	s_and_saveexec_b64 s[4:5], s[12:13]
	s_cbranch_execnz .LBB1166_219
.LBB1166_43:
	s_or_b64 exec, exec, s[4:5]
                                        ; implicit-def: $vgpr29
	s_and_saveexec_b64 s[4:5], s[14:15]
	s_cbranch_execnz .LBB1166_220
.LBB1166_44:
	s_or_b64 exec, exec, s[4:5]
                                        ; implicit-def: $vgpr1
	s_and_saveexec_b64 s[4:5], s[16:17]
	s_cbranch_execnz .LBB1166_221
.LBB1166_45:
	s_or_b64 exec, exec, s[4:5]
                                        ; implicit-def: $vgpr14
	s_and_saveexec_b64 s[4:5], s[18:19]
	s_cbranch_execnz .LBB1166_222
.LBB1166_46:
	s_or_b64 exec, exec, s[4:5]
                                        ; implicit-def: $vgpr16
	s_and_saveexec_b64 s[4:5], s[20:21]
	s_cbranch_execnz .LBB1166_223
.LBB1166_47:
	s_or_b64 exec, exec, s[4:5]
                                        ; implicit-def: $vgpr17
	s_and_saveexec_b64 s[4:5], s[22:23]
	s_cbranch_execnz .LBB1166_224
.LBB1166_48:
	s_or_b64 exec, exec, s[4:5]
                                        ; implicit-def: $vgpr18
	s_and_saveexec_b64 s[4:5], s[24:25]
	s_cbranch_execnz .LBB1166_225
.LBB1166_49:
	s_or_b64 exec, exec, s[4:5]
                                        ; implicit-def: $vgpr19
	s_and_saveexec_b64 s[4:5], s[26:27]
	s_cbranch_execnz .LBB1166_226
.LBB1166_50:
	s_or_b64 exec, exec, s[4:5]
                                        ; implicit-def: $vgpr20
	s_and_saveexec_b64 s[4:5], s[28:29]
	s_cbranch_execnz .LBB1166_227
.LBB1166_51:
	s_or_b64 exec, exec, s[4:5]
                                        ; implicit-def: $vgpr21
	s_and_saveexec_b64 s[4:5], s[30:31]
	s_cbranch_execnz .LBB1166_228
.LBB1166_52:
	s_or_b64 exec, exec, s[4:5]
                                        ; implicit-def: $vgpr22
	s_and_saveexec_b64 s[4:5], s[34:35]
	s_cbranch_execz .LBB1166_54
.LBB1166_53:
	v_mov_b32_e32 v30, s65
	v_add_co_u32_e32 v22, vcc, s64, v23
	v_addc_co_u32_e32 v23, vcc, 0, v30, vcc
	flat_load_dword v22, v[22:23]
.LBB1166_54:
	s_or_b64 exec, exec, s[4:5]
	s_mov_b32 s6, 0
	v_mul_u32_u24_e32 v54, 14, v0
	s_mov_b32 s7, s6
	s_waitcnt vmcnt(0) lgkmcnt(0)
	ds_write2st64_b32 v24, v25, v26 offset1:4
	ds_write2st64_b32 v24, v27, v28 offset0:8 offset1:12
	ds_write2st64_b32 v24, v29, v1 offset0:16 offset1:20
	;; [unrolled: 1-line block ×6, first 2 shown]
	v_cmp_gt_u32_e32 vcc, s66, v54
	s_mov_b64 s[8:9], 0
	v_pk_mov_b32 v[16:17], s[6:7], s[6:7] op_sel:[0,1]
	v_mov_b32_e32 v1, 0
	v_mov_b32_e32 v14, 0
	s_mov_b64 s[12:13], 0
	v_pk_mov_b32 v[18:19], s[6:7], s[6:7] op_sel:[0,1]
	v_pk_mov_b32 v[20:21], s[6:7], s[6:7] op_sel:[0,1]
	;; [unrolled: 1-line block ×5, first 2 shown]
	v_mov_b32_e32 v47, 0
	v_mov_b32_e32 v53, 0
	;; [unrolled: 1-line block ×12, first 2 shown]
	s_waitcnt lgkmcnt(0)
	s_barrier
	s_waitcnt lgkmcnt(0)
                                        ; implicit-def: $sgpr4_sgpr5
                                        ; implicit-def: $vgpr38_vgpr39
                                        ; implicit-def: $vgpr36_vgpr37
                                        ; implicit-def: $vgpr34_vgpr35
                                        ; implicit-def: $vgpr32_vgpr33
                                        ; implicit-def: $vgpr30_vgpr31
                                        ; implicit-def: $vgpr28_vgpr29
	s_and_saveexec_b64 s[10:11], vcc
	s_cbranch_execz .LBB1166_80
; %bb.55:
	ds_read_b32 v14, v15
	s_mov_b32 s20, 0
	v_cmp_ne_u32_e32 vcc, v55, v10
	v_or_b32_e32 v16, 1, v54
	s_mov_b32 s21, s20
	v_cndmask_b32_e64 v1, 0, 1, vcc
	v_cmp_gt_u32_e32 vcc, s66, v16
	s_mov_b64 s[14:15], 0
	v_pk_mov_b32 v[16:17], s[20:21], s[20:21] op_sel:[0,1]
	v_mov_b32_e32 v47, 0
	v_pk_mov_b32 v[18:19], s[20:21], s[20:21] op_sel:[0,1]
	v_pk_mov_b32 v[20:21], s[20:21], s[20:21] op_sel:[0,1]
	;; [unrolled: 1-line block ×5, first 2 shown]
	v_mov_b32_e32 v53, 0
	v_mov_b32_e32 v42, 0
	;; [unrolled: 1-line block ×11, first 2 shown]
                                        ; implicit-def: $sgpr4_sgpr5
                                        ; implicit-def: $vgpr38_vgpr39
                                        ; implicit-def: $vgpr36_vgpr37
                                        ; implicit-def: $vgpr34_vgpr35
                                        ; implicit-def: $vgpr32_vgpr33
                                        ; implicit-def: $vgpr30_vgpr31
                                        ; implicit-def: $vgpr28_vgpr29
	s_and_saveexec_b64 s[12:13], vcc
	s_cbranch_execz .LBB1166_79
; %bb.56:
	ds_read2_b32 v[28:29], v15 offset0:1 offset1:2
	v_cmp_ne_u32_e32 vcc, v10, v11
	v_add_u32_e32 v10, 2, v54
	v_mov_b32_e32 v27, 0
	v_cndmask_b32_e64 v42, 0, 1, vcc
	v_cmp_gt_u32_e32 vcc, s66, v10
	s_waitcnt lgkmcnt(0)
	v_mov_b32_e32 v26, v28
	s_mov_b64 s[16:17], 0
	v_pk_mov_b32 v[16:17], s[20:21], s[20:21] op_sel:[0,1]
	v_pk_mov_b32 v[18:19], s[20:21], s[20:21] op_sel:[0,1]
	;; [unrolled: 1-line block ×5, first 2 shown]
	v_mov_b32_e32 v47, v27
	v_mov_b32_e32 v53, v27
	;; [unrolled: 1-line block ×11, first 2 shown]
                                        ; implicit-def: $sgpr4_sgpr5
                                        ; implicit-def: $vgpr38_vgpr39
                                        ; implicit-def: $vgpr36_vgpr37
                                        ; implicit-def: $vgpr34_vgpr35
                                        ; implicit-def: $vgpr32_vgpr33
                                        ; implicit-def: $vgpr30_vgpr31
	s_and_saveexec_b64 s[14:15], vcc
	s_cbranch_execz .LBB1166_78
; %bb.57:
	v_cmp_ne_u32_e32 vcc, v11, v12
	v_add_u32_e32 v10, 3, v54
	s_mov_b32 s21, s20
	v_cndmask_b32_e64 v43, 0, 1, vcc
	v_cmp_gt_u32_e32 vcc, s66, v10
	s_mov_b64 s[18:19], 0
	s_mov_b32 s24, 0
	v_pk_mov_b32 v[16:17], s[20:21], s[20:21] op_sel:[0,1]
	v_mov_b32_e32 v47, 0
	v_pk_mov_b32 v[18:19], s[20:21], s[20:21] op_sel:[0,1]
	v_pk_mov_b32 v[20:21], s[20:21], s[20:21] op_sel:[0,1]
	;; [unrolled: 1-line block ×4, first 2 shown]
	v_mov_b32_e32 v53, 0
	v_mov_b32_e32 v52, 0
	;; [unrolled: 1-line block ×9, first 2 shown]
                                        ; implicit-def: $sgpr4_sgpr5
                                        ; implicit-def: $vgpr38_vgpr39
                                        ; implicit-def: $vgpr36_vgpr37
                                        ; implicit-def: $vgpr34_vgpr35
                                        ; implicit-def: $vgpr32_vgpr33
                                        ; implicit-def: $vgpr30_vgpr31
	s_and_saveexec_b64 s[16:17], vcc
	s_cbranch_execz .LBB1166_77
; %bb.58:
	ds_read2_b32 v[30:31], v15 offset0:3 offset1:4
	v_cmp_ne_u32_e32 vcc, v12, v13
	v_add_u32_e32 v10, 4, v54
	v_mov_b32_e32 v25, 0
	s_mov_b32 s25, s24
	v_cndmask_b32_e64 v44, 0, 1, vcc
	v_cmp_gt_u32_e32 vcc, s66, v10
	s_waitcnt lgkmcnt(0)
	v_mov_b32_e32 v24, v30
	s_mov_b64 s[20:21], 0
	v_pk_mov_b32 v[16:17], s[24:25], s[24:25] op_sel:[0,1]
	v_pk_mov_b32 v[18:19], s[24:25], s[24:25] op_sel:[0,1]
	;; [unrolled: 1-line block ×4, first 2 shown]
	v_mov_b32_e32 v47, v25
	v_mov_b32_e32 v53, v25
	;; [unrolled: 1-line block ×9, first 2 shown]
                                        ; implicit-def: $sgpr4_sgpr5
                                        ; implicit-def: $vgpr38_vgpr39
                                        ; implicit-def: $vgpr36_vgpr37
                                        ; implicit-def: $vgpr34_vgpr35
                                        ; implicit-def: $vgpr32_vgpr33
	s_and_saveexec_b64 s[18:19], vcc
	s_cbranch_execz .LBB1166_76
; %bb.59:
	v_cmp_ne_u32_e32 vcc, v13, v6
	v_add_u32_e32 v10, 5, v54
	v_cndmask_b32_e64 v45, 0, 1, vcc
	v_cmp_gt_u32_e32 vcc, s66, v10
	s_mov_b64 s[22:23], 0
	s_mov_b32 s28, 0
	v_pk_mov_b32 v[16:17], s[24:25], s[24:25] op_sel:[0,1]
	v_mov_b32_e32 v47, 0
	v_pk_mov_b32 v[18:19], s[24:25], s[24:25] op_sel:[0,1]
	v_pk_mov_b32 v[20:21], s[24:25], s[24:25] op_sel:[0,1]
	;; [unrolled: 1-line block ×3, first 2 shown]
	v_mov_b32_e32 v53, 0
	v_mov_b32_e32 v52, 0
	;; [unrolled: 1-line block ×7, first 2 shown]
                                        ; implicit-def: $sgpr4_sgpr5
                                        ; implicit-def: $vgpr38_vgpr39
                                        ; implicit-def: $vgpr36_vgpr37
                                        ; implicit-def: $vgpr34_vgpr35
                                        ; implicit-def: $vgpr32_vgpr33
	s_and_saveexec_b64 s[20:21], vcc
	s_cbranch_execz .LBB1166_75
; %bb.60:
	ds_read2_b32 v[32:33], v15 offset0:5 offset1:6
	v_cmp_ne_u32_e32 vcc, v6, v7
	v_add_u32_e32 v6, 6, v54
	v_mov_b32_e32 v23, 0
	s_mov_b32 s29, s28
	v_cndmask_b32_e64 v46, 0, 1, vcc
	v_cmp_gt_u32_e32 vcc, s66, v6
	s_waitcnt lgkmcnt(0)
	v_mov_b32_e32 v22, v32
	s_mov_b64 s[24:25], 0
	v_pk_mov_b32 v[16:17], s[28:29], s[28:29] op_sel:[0,1]
	v_pk_mov_b32 v[18:19], s[28:29], s[28:29] op_sel:[0,1]
	v_pk_mov_b32 v[20:21], s[28:29], s[28:29] op_sel:[0,1]
	v_mov_b32_e32 v47, v23
	v_mov_b32_e32 v53, v23
	;; [unrolled: 1-line block ×7, first 2 shown]
                                        ; implicit-def: $sgpr4_sgpr5
                                        ; implicit-def: $vgpr38_vgpr39
                                        ; implicit-def: $vgpr36_vgpr37
                                        ; implicit-def: $vgpr34_vgpr35
	s_and_saveexec_b64 s[22:23], vcc
	s_cbranch_execz .LBB1166_74
; %bb.61:
	v_cmp_ne_u32_e32 vcc, v7, v8
	v_add_u32_e32 v6, 7, v54
	v_cndmask_b32_e64 v48, 0, 1, vcc
	v_cmp_gt_u32_e32 vcc, s66, v6
	s_mov_b64 s[26:27], 0
	s_mov_b32 s34, 0
	v_pk_mov_b32 v[16:17], s[28:29], s[28:29] op_sel:[0,1]
	v_mov_b32_e32 v47, 0
	v_pk_mov_b32 v[18:19], s[28:29], s[28:29] op_sel:[0,1]
	v_pk_mov_b32 v[20:21], s[28:29], s[28:29] op_sel:[0,1]
	v_mov_b32_e32 v53, 0
	v_mov_b32_e32 v52, 0
	;; [unrolled: 1-line block ×5, first 2 shown]
                                        ; implicit-def: $sgpr4_sgpr5
                                        ; implicit-def: $vgpr38_vgpr39
                                        ; implicit-def: $vgpr36_vgpr37
                                        ; implicit-def: $vgpr34_vgpr35
	s_and_saveexec_b64 s[24:25], vcc
	s_cbranch_execz .LBB1166_73
; %bb.62:
	ds_read2_b32 v[34:35], v15 offset0:7 offset1:8
	v_cmp_ne_u32_e32 vcc, v8, v9
	v_add_u32_e32 v6, 8, v54
	v_mov_b32_e32 v21, 0
	s_mov_b32 s35, s34
	v_cndmask_b32_e64 v49, 0, 1, vcc
	v_cmp_gt_u32_e32 vcc, s66, v6
	s_waitcnt lgkmcnt(0)
	v_mov_b32_e32 v20, v34
	s_mov_b64 s[28:29], 0
	v_pk_mov_b32 v[16:17], s[34:35], s[34:35] op_sel:[0,1]
	v_pk_mov_b32 v[18:19], s[34:35], s[34:35] op_sel:[0,1]
	v_mov_b32_e32 v47, v21
	v_mov_b32_e32 v53, v21
	;; [unrolled: 1-line block ×5, first 2 shown]
                                        ; implicit-def: $sgpr4_sgpr5
                                        ; implicit-def: $vgpr38_vgpr39
                                        ; implicit-def: $vgpr36_vgpr37
	s_and_saveexec_b64 s[26:27], vcc
	s_cbranch_execz .LBB1166_72
; %bb.63:
	v_cmp_ne_u32_e32 vcc, v9, v2
	v_add_u32_e32 v6, 9, v54
	v_cndmask_b32_e64 v50, 0, 1, vcc
	v_cmp_gt_u32_e32 vcc, s66, v6
	s_mov_b64 s[30:31], 0
	s_mov_b32 s62, 0
	v_pk_mov_b32 v[16:17], s[34:35], s[34:35] op_sel:[0,1]
	v_mov_b32_e32 v47, 0
	v_pk_mov_b32 v[18:19], s[34:35], s[34:35] op_sel:[0,1]
	v_mov_b32_e32 v53, 0
	v_mov_b32_e32 v52, 0
	;; [unrolled: 1-line block ×3, first 2 shown]
                                        ; implicit-def: $sgpr4_sgpr5
                                        ; implicit-def: $vgpr38_vgpr39
                                        ; implicit-def: $vgpr36_vgpr37
	s_and_saveexec_b64 s[28:29], vcc
	s_cbranch_execz .LBB1166_71
; %bb.64:
	ds_read2_b32 v[36:37], v15 offset0:9 offset1:10
	v_cmp_ne_u32_e32 vcc, v2, v3
	v_add_u32_e32 v2, 10, v54
	v_mov_b32_e32 v19, 0
	s_mov_b32 s63, s62
	v_cndmask_b32_e64 v51, 0, 1, vcc
	v_cmp_gt_u32_e32 vcc, s66, v2
	s_waitcnt lgkmcnt(0)
	v_mov_b32_e32 v18, v36
	s_mov_b64 s[34:35], 0
	v_pk_mov_b32 v[16:17], s[62:63], s[62:63] op_sel:[0,1]
	v_mov_b32_e32 v47, v19
	v_mov_b32_e32 v53, v19
	;; [unrolled: 1-line block ×3, first 2 shown]
                                        ; implicit-def: $sgpr4_sgpr5
                                        ; implicit-def: $vgpr38_vgpr39
	s_and_saveexec_b64 s[30:31], vcc
	s_cbranch_execz .LBB1166_70
; %bb.65:
	v_cmp_ne_u32_e32 vcc, v3, v4
	v_add_u32_e32 v2, 11, v54
	v_cndmask_b32_e64 v52, 0, 1, vcc
	v_cmp_gt_u32_e32 vcc, s66, v2
	s_mov_b64 s[48:49], 0
	v_pk_mov_b32 v[16:17], s[62:63], s[62:63] op_sel:[0,1]
	v_mov_b32_e32 v47, 0
	v_mov_b32_e32 v53, 0
                                        ; implicit-def: $sgpr62_sgpr63
                                        ; implicit-def: $vgpr38_vgpr39
	s_and_saveexec_b64 s[34:35], vcc
	s_cbranch_execz .LBB1166_69
; %bb.66:
	ds_read2_b32 v[38:39], v15 offset0:11 offset1:12
	v_cmp_ne_u32_e32 vcc, v4, v5
	v_add_u32_e32 v2, 12, v54
	v_mov_b32_e32 v17, 0
	v_cndmask_b32_e64 v53, 0, 1, vcc
	v_cmp_gt_u32_e32 vcc, s66, v2
	s_waitcnt lgkmcnt(0)
	v_mov_b32_e32 v16, v38
	s_mov_b64 s[4:5], 0
	v_mov_b32_e32 v47, v17
                                        ; implicit-def: $sgpr48_sgpr49
	s_and_saveexec_b64 s[62:63], vcc
	s_xor_b64 s[62:63], exec, s[62:63]
	s_cbranch_execz .LBB1166_68
; %bb.67:
	ds_read_b32 v15, v15 offset:52
	v_cmp_ne_u32_e64 s[4:5], v5, v40
	v_add_u32_e32 v2, 13, v54
	v_cmp_ne_u32_e32 vcc, v40, v41
	v_cndmask_b32_e64 v47, 0, 1, s[4:5]
	v_cmp_gt_u32_e64 s[4:5], s66, v2
	s_and_b64 s[48:49], vcc, exec
	s_and_b64 s[4:5], s[4:5], exec
	v_pk_mov_b32 v[16:17], v[38:39], v[38:39] op_sel:[0,1]
.LBB1166_68:
	s_or_b64 exec, exec, s[62:63]
	s_and_b64 s[62:63], s[48:49], exec
	s_and_b64 s[48:49], s[4:5], exec
.LBB1166_69:
	s_or_b64 exec, exec, s[34:35]
	s_and_b64 s[4:5], s[62:63], exec
	s_and_b64 s[34:35], s[48:49], exec
	v_pk_mov_b32 v[18:19], v[36:37], v[36:37] op_sel:[0,1]
.LBB1166_70:
	s_or_b64 exec, exec, s[30:31]
	s_and_b64 s[4:5], s[4:5], exec
	s_and_b64 s[30:31], s[34:35], exec
.LBB1166_71:
	s_or_b64 exec, exec, s[28:29]
	s_and_b64 s[4:5], s[4:5], exec
	s_and_b64 s[28:29], s[30:31], exec
	v_pk_mov_b32 v[20:21], v[34:35], v[34:35] op_sel:[0,1]
.LBB1166_72:
	s_or_b64 exec, exec, s[26:27]
	s_and_b64 s[4:5], s[4:5], exec
	s_and_b64 s[26:27], s[28:29], exec
.LBB1166_73:
	s_or_b64 exec, exec, s[24:25]
	s_and_b64 s[4:5], s[4:5], exec
	s_and_b64 s[24:25], s[26:27], exec
	v_pk_mov_b32 v[22:23], v[32:33], v[32:33] op_sel:[0,1]
.LBB1166_74:
	s_or_b64 exec, exec, s[22:23]
	s_and_b64 s[4:5], s[4:5], exec
	s_and_b64 s[22:23], s[24:25], exec
.LBB1166_75:
	s_or_b64 exec, exec, s[20:21]
	s_and_b64 s[4:5], s[4:5], exec
	s_and_b64 s[20:21], s[22:23], exec
	v_pk_mov_b32 v[24:25], v[30:31], v[30:31] op_sel:[0,1]
.LBB1166_76:
	s_or_b64 exec, exec, s[18:19]
	s_and_b64 s[4:5], s[4:5], exec
	s_and_b64 s[18:19], s[20:21], exec
.LBB1166_77:
	s_or_b64 exec, exec, s[16:17]
	s_and_b64 s[4:5], s[4:5], exec
	s_and_b64 s[16:17], s[18:19], exec
	v_pk_mov_b32 v[26:27], v[28:29], v[28:29] op_sel:[0,1]
.LBB1166_78:
	s_or_b64 exec, exec, s[14:15]
	s_and_b64 s[4:5], s[4:5], exec
	s_and_b64 s[14:15], s[16:17], exec
.LBB1166_79:
	s_or_b64 exec, exec, s[12:13]
	s_and_b64 s[4:5], s[4:5], exec
	s_and_b64 s[12:13], s[14:15], exec
.LBB1166_80:
	s_or_b64 exec, exec, s[10:11]
	s_mov_b32 s7, 0
	s_and_b64 vcc, exec, s[8:9]
	v_lshlrev_b32_e32 v40, 2, v0
	s_cbranch_vccnz .LBB1166_82
	s_branch .LBB1166_90
.LBB1166_81:
                                        ; implicit-def: $sgpr4_sgpr5
                                        ; implicit-def: $vgpr38_vgpr39
                                        ; implicit-def: $vgpr36_vgpr37
                                        ; implicit-def: $vgpr34_vgpr35
                                        ; implicit-def: $vgpr32_vgpr33
                                        ; implicit-def: $vgpr30_vgpr31
                                        ; implicit-def: $vgpr28_vgpr29
                                        ; implicit-def: $vgpr15
                                        ; implicit-def: $vgpr1
                                        ; implicit-def: $vgpr47
                                        ; implicit-def: $vgpr53
                                        ; implicit-def: $vgpr42
                                        ; implicit-def: $vgpr52
                                        ; implicit-def: $vgpr51
                                        ; implicit-def: $vgpr43
                                        ; implicit-def: $vgpr50
                                        ; implicit-def: $vgpr49
                                        ; implicit-def: $vgpr44
                                        ; implicit-def: $vgpr48
                                        ; implicit-def: $vgpr46
                                        ; implicit-def: $vgpr45
                                        ; implicit-def: $vgpr16_vgpr17
                                        ; implicit-def: $vgpr18_vgpr19
                                        ; implicit-def: $vgpr20_vgpr21
                                        ; implicit-def: $vgpr22_vgpr23
                                        ; implicit-def: $vgpr24_vgpr25
                                        ; implicit-def: $vgpr26_vgpr27
                                        ; implicit-def: $sgpr7
                                        ; implicit-def: $sgpr6
	s_and_b64 vcc, exec, s[8:9]
	v_lshlrev_b32_e32 v40, 2, v0
	s_cbranch_vccz .LBB1166_90
.LBB1166_82:
	v_mov_b32_e32 v1, s43
	v_add_co_u32_e32 v2, vcc, s42, v40
	v_addc_co_u32_e32 v3, vcc, 0, v1, vcc
	v_add_co_u32_e32 v4, vcc, 0x1000, v2
	v_addc_co_u32_e32 v5, vcc, 0, v3, vcc
	flat_load_dword v6, v[2:3]
	flat_load_dword v7, v[2:3] offset:1024
	flat_load_dword v8, v[2:3] offset:2048
	;; [unrolled: 1-line block ×3, first 2 shown]
	flat_load_dword v10, v[4:5]
	flat_load_dword v11, v[4:5] offset:1024
	flat_load_dword v12, v[4:5] offset:2048
	;; [unrolled: 1-line block ×3, first 2 shown]
	v_add_co_u32_e32 v4, vcc, 0x2000, v2
	v_addc_co_u32_e32 v5, vcc, 0, v3, vcc
	v_add_co_u32_e32 v2, vcc, 0x3000, v2
	v_addc_co_u32_e32 v3, vcc, 0, v3, vcc
	s_waitcnt lgkmcnt(0)
	flat_load_dword v14, v[4:5]
	flat_load_dword v15, v[4:5] offset:1024
	flat_load_dword v16, v[4:5] offset:2048
	;; [unrolled: 1-line block ×3, first 2 shown]
	flat_load_dword v18, v[2:3]
	flat_load_dword v19, v[2:3] offset:1024
	v_mad_u32_u24 v1, v0, 52, v40
	s_cmp_eq_u64 s[52:53], 0
	s_waitcnt vmcnt(0)
	ds_write2st64_b32 v40, v6, v7 offset1:4
	ds_write2st64_b32 v40, v8, v9 offset0:8 offset1:12
	ds_write2st64_b32 v40, v10, v11 offset0:16 offset1:20
	ds_write2st64_b32 v40, v12, v13 offset0:24 offset1:28
	s_waitcnt lgkmcnt(0)
	ds_write2st64_b32 v40, v14, v15 offset0:32 offset1:36
	ds_write2st64_b32 v40, v16, v17 offset0:40 offset1:44
	;; [unrolled: 1-line block ×3, first 2 shown]
	s_waitcnt lgkmcnt(0)
	s_barrier
	ds_read2_b64 v[2:5], v1 offset1:1
	ds_read2_b64 v[6:9], v1 offset0:2 offset1:3
	ds_read2_b64 v[10:13], v1 offset0:4 offset1:5
	ds_read_b64 v[14:15], v1 offset:48
	s_cbranch_scc1 .LBB1166_87
; %bb.83:
	s_andn2_b64 vcc, exec, s[44:45]
	s_cbranch_vccnz .LBB1166_230
; %bb.84:
	s_lshl_b64 s[4:5], s[52:53], 2
	s_add_u32 s4, s54, s4
	s_addc_u32 s5, s55, s5
	s_add_u32 s4, s4, -4
	s_addc_u32 s5, s5, -1
	s_cbranch_execnz .LBB1166_86
.LBB1166_85:
	s_add_u32 s4, s42, -4
	s_addc_u32 s5, s43, -1
.LBB1166_86:
	s_mov_b64 s[42:43], s[4:5]
.LBB1166_87:
	v_pk_mov_b32 v[16:17], s[42:43], s[42:43] op_sel:[0,1]
	flat_load_dword v16, v[16:17]
	s_movk_i32 s4, 0xffcc
	v_mad_i32_i24 v17, v0, s4, v1
	s_waitcnt lgkmcnt(0)
	ds_write_b32 v17, v15 offset:14336
	s_waitcnt lgkmcnt(0)
	s_barrier
	s_and_saveexec_b64 s[4:5], s[36:37]
	s_cbranch_execz .LBB1166_89
; %bb.88:
	s_waitcnt vmcnt(0)
	v_mul_i32_i24_e32 v16, 0xffffffcc, v0
	v_add_u32_e32 v16, v1, v16
	ds_read_b32 v16, v16 offset:14332
.LBB1166_89:
	s_or_b64 exec, exec, s[4:5]
	v_mov_b32_e32 v17, s65
	v_add_co_u32_e32 v18, vcc, s64, v40
	v_addc_co_u32_e32 v19, vcc, 0, v17, vcc
	s_movk_i32 s4, 0x1000
	v_add_co_u32_e32 v20, vcc, s4, v18
	v_addc_co_u32_e32 v21, vcc, 0, v19, vcc
	s_movk_i32 s4, 0x2000
	s_waitcnt lgkmcnt(0)
	s_barrier
	flat_load_dword v17, v[18:19]
	flat_load_dword v22, v[18:19] offset:1024
	flat_load_dword v23, v[18:19] offset:2048
	;; [unrolled: 1-line block ×3, first 2 shown]
	flat_load_dword v25, v[20:21]
	flat_load_dword v26, v[20:21] offset:1024
	flat_load_dword v27, v[20:21] offset:2048
	;; [unrolled: 1-line block ×3, first 2 shown]
	v_add_co_u32_e32 v20, vcc, s4, v18
	v_addc_co_u32_e32 v21, vcc, 0, v19, vcc
	s_movk_i32 s4, 0x3000
	v_add_co_u32_e32 v18, vcc, s4, v18
	v_addc_co_u32_e32 v19, vcc, 0, v19, vcc
	flat_load_dword v29, v[20:21]
	flat_load_dword v30, v[20:21] offset:1024
	flat_load_dword v31, v[20:21] offset:2048
	;; [unrolled: 1-line block ×3, first 2 shown]
	flat_load_dword v33, v[18:19]
	flat_load_dword v34, v[18:19] offset:1024
	v_cmp_ne_u32_e32 vcc, v13, v14
	v_cndmask_b32_e64 v47, 0, 1, vcc
	v_cmp_ne_u32_e32 vcc, v12, v13
	v_cndmask_b32_e64 v53, 0, 1, vcc
	;; [unrolled: 2-line block ×3, first 2 shown]
	v_cmp_ne_u32_e32 vcc, v10, v11
	v_cmp_ne_u32_e64 s[4:5], v14, v15
	v_cndmask_b32_e64 v51, 0, 1, vcc
	v_cmp_ne_u32_e32 vcc, v9, v10
	v_cndmask_b32_e64 v50, 0, 1, vcc
	v_cmp_ne_u32_e32 vcc, v8, v9
	;; [unrolled: 2-line block ×8, first 2 shown]
	v_cndmask_b32_e64 v42, 0, 1, vcc
	s_waitcnt vmcnt(0)
	v_cmp_ne_u32_e32 vcc, v16, v2
	s_mov_b64 s[12:13], -1
                                        ; implicit-def: $vgpr18_vgpr19
                                        ; implicit-def: $vgpr20_vgpr21
                                        ; implicit-def: $sgpr7
                                        ; implicit-def: $sgpr6
	s_waitcnt lgkmcnt(0)
	ds_write2st64_b32 v40, v17, v22 offset1:4
	ds_write2st64_b32 v40, v23, v24 offset0:8 offset1:12
	ds_write2st64_b32 v40, v25, v26 offset0:16 offset1:20
	;; [unrolled: 1-line block ×6, first 2 shown]
	s_waitcnt lgkmcnt(0)
	s_barrier
	ds_read2_b32 v[14:15], v1 offset1:13
	ds_read2_b32 v[28:29], v1 offset0:1 offset1:2
	ds_read2_b32 v[30:31], v1 offset0:3 offset1:4
	;; [unrolled: 1-line block ×6, first 2 shown]
	v_cndmask_b32_e64 v1, 0, 1, vcc
                                        ; implicit-def: $vgpr16_vgpr17
                                        ; implicit-def: $vgpr22_vgpr23
                                        ; implicit-def: $vgpr24_vgpr25
                                        ; implicit-def: $vgpr26_vgpr27
.LBB1166_90:
	v_mov_b32_e32 v54, s6
	v_mov_b32_e32 v41, s7
	s_and_saveexec_b64 s[6:7], s[12:13]
	s_cbranch_execz .LBB1166_92
; %bb.91:
	v_cndmask_b32_e64 v54, 0, 1, s[4:5]
	s_waitcnt lgkmcnt(0)
	v_mov_b32_e32 v41, v15
	v_pk_mov_b32 v[26:27], v[28:29], v[28:29] op_sel:[0,1]
	v_pk_mov_b32 v[24:25], v[30:31], v[30:31] op_sel:[0,1]
	;; [unrolled: 1-line block ×6, first 2 shown]
.LBB1166_92:
	s_or_b64 exec, exec, s[6:7]
	v_or_b32_e32 v2, v54, v47
	s_cmp_lg_u32 s59, 0
	s_waitcnt lgkmcnt(1)
	v_or_b32_e32 v36, v2, v53
	s_waitcnt lgkmcnt(0)
	v_mbcnt_lo_u32_b32 v15, -1, 0
	s_barrier
	s_cbranch_scc0 .LBB1166_155
; %bb.93:
	v_mov_b32_e32 v2, 0
	v_add_f32_e32 v3, v26, v14
	v_cmp_eq_u16_sdwa s[6:7], v42, v2 src0_sel:BYTE_0 src1_sel:DWORD
	v_cndmask_b32_e64 v3, v26, v3, s[6:7]
	v_add_f32_e32 v3, v27, v3
	v_cmp_eq_u16_sdwa s[8:9], v43, v2 src0_sel:BYTE_0 src1_sel:DWORD
	v_cndmask_b32_e64 v3, v27, v3, s[8:9]
	;; [unrolled: 3-line block ×7, first 2 shown]
	v_add_f32_e32 v3, v21, v3
	v_cmp_eq_u16_sdwa s[20:21], v50, v2 src0_sel:BYTE_0 src1_sel:DWORD
	v_cmp_eq_u16_sdwa s[22:23], v51, v2 src0_sel:BYTE_0 src1_sel:DWORD
	v_cmp_eq_u16_sdwa s[24:25], v52, v2 src0_sel:BYTE_0 src1_sel:DWORD
	v_cmp_eq_u16_sdwa s[26:27], v53, v2 src0_sel:BYTE_0 src1_sel:DWORD
	v_cmp_eq_u16_sdwa s[28:29], v47, v2 src0_sel:BYTE_0 src1_sel:DWORD
	v_cmp_eq_u16_sdwa s[30:31], v54, v2 src0_sel:BYTE_0 src1_sel:DWORD
	v_or_b32_e32 v2, v36, v52
	v_cndmask_b32_e64 v3, v21, v3, s[20:21]
	v_or_b32_e32 v2, v2, v51
	v_add_f32_e32 v3, v18, v3
	v_or_b32_e32 v2, v2, v50
	v_cndmask_b32_e64 v3, v18, v3, s[22:23]
	v_or_b32_e32 v2, v2, v49
	v_add_f32_e32 v3, v19, v3
	;; [unrolled: 4-line block ×5, first 2 shown]
	v_and_b32_e32 v2, 1, v2
	v_cndmask_b32_e64 v4, v41, v3, s[30:31]
	v_and_b32_e32 v3, 0xff, v1
	v_cmp_eq_u32_e32 vcc, 1, v2
	v_mbcnt_hi_u32_b32 v11, -1, v15
	v_cndmask_b32_e64 v5, v3, 1, vcc
	v_and_b32_e32 v2, 15, v11
	v_mov_b32_dpp v6, v4 row_shr:1 row_mask:0xf bank_mask:0xf
	v_mov_b32_dpp v3, v5 row_shr:1 row_mask:0xf bank_mask:0xf
	v_cmp_ne_u32_e32 vcc, 0, v2
	s_and_saveexec_b64 s[4:5], vcc
; %bb.94:
	v_add_f32_e32 v6, v4, v6
	v_cmp_eq_u32_e32 vcc, 0, v5
	v_and_b32_e32 v5, 1, v5
	v_cndmask_b32_e32 v4, v4, v6, vcc
	v_and_b32_e32 v3, 1, v3
	v_cmp_eq_u32_e32 vcc, 1, v5
	v_cndmask_b32_e64 v5, v3, 1, vcc
; %bb.95:
	s_or_b64 exec, exec, s[4:5]
	v_mov_b32_dpp v6, v4 row_shr:2 row_mask:0xf bank_mask:0xf
	v_mov_b32_dpp v3, v5 row_shr:2 row_mask:0xf bank_mask:0xf
	v_cmp_lt_u32_e32 vcc, 1, v2
	s_and_saveexec_b64 s[4:5], vcc
; %bb.96:
	v_add_f32_e32 v6, v4, v6
	v_cmp_eq_u32_e32 vcc, 0, v5
	v_and_b32_e32 v5, 1, v5
	v_cndmask_b32_e32 v4, v4, v6, vcc
	v_and_b32_e32 v3, 1, v3
	v_cmp_eq_u32_e32 vcc, 1, v5
	v_cndmask_b32_e64 v5, v3, 1, vcc
; %bb.97:
	s_or_b64 exec, exec, s[4:5]
	v_mov_b32_dpp v6, v4 row_shr:4 row_mask:0xf bank_mask:0xf
	v_mov_b32_dpp v3, v5 row_shr:4 row_mask:0xf bank_mask:0xf
	v_cmp_lt_u32_e32 vcc, 3, v2
	;; [unrolled: 14-line block ×3, first 2 shown]
	s_and_saveexec_b64 s[4:5], vcc
; %bb.100:
	v_add_f32_e32 v2, v4, v6
	v_cmp_eq_u32_e32 vcc, 0, v5
	v_cndmask_b32_e32 v4, v4, v2, vcc
	v_and_b32_e32 v2, 1, v5
	v_and_b32_e32 v3, 1, v3
	v_cmp_eq_u32_e32 vcc, 1, v2
	v_cndmask_b32_e64 v5, v3, 1, vcc
; %bb.101:
	s_or_b64 exec, exec, s[4:5]
	v_and_b32_e32 v6, 16, v11
	v_mov_b32_dpp v3, v4 row_bcast:15 row_mask:0xf bank_mask:0xf
	v_mov_b32_dpp v2, v5 row_bcast:15 row_mask:0xf bank_mask:0xf
	v_cmp_ne_u32_e32 vcc, 0, v6
	s_and_saveexec_b64 s[4:5], vcc
; %bb.102:
	v_add_f32_e32 v3, v4, v3
	v_cmp_eq_u32_e32 vcc, 0, v5
	v_cndmask_b32_e32 v4, v4, v3, vcc
	v_and_b32_e32 v3, 1, v5
	v_and_b32_e32 v2, 1, v2
	v_cmp_eq_u32_e32 vcc, 1, v3
	v_cndmask_b32_e64 v5, v2, 1, vcc
; %bb.103:
	s_or_b64 exec, exec, s[4:5]
	v_mov_b32_dpp v3, v4 row_bcast:31 row_mask:0xf bank_mask:0xf
	v_mov_b32_dpp v2, v5 row_bcast:31 row_mask:0xf bank_mask:0xf
	v_cmp_lt_u32_e32 vcc, 31, v11
	s_and_saveexec_b64 s[4:5], vcc
; %bb.104:
	v_add_f32_e32 v3, v4, v3
	v_cmp_eq_u32_e32 vcc, 0, v5
	v_cndmask_b32_e32 v4, v4, v3, vcc
	v_and_b32_e32 v3, 1, v5
	v_and_b32_e32 v2, 1, v2
	v_cmp_eq_u32_e32 vcc, 1, v3
	v_cndmask_b32_e64 v5, v2, 1, vcc
; %bb.105:
	s_or_b64 exec, exec, s[4:5]
	v_or_b32_e32 v2, 63, v0
	v_lshrrev_b32_e32 v6, 6, v0
	v_cmp_eq_u32_e32 vcc, v2, v0
	s_and_saveexec_b64 s[4:5], vcc
	s_cbranch_execz .LBB1166_107
; %bb.106:
	v_lshlrev_b32_e32 v2, 3, v6
	ds_write_b32 v2, v4
	ds_write_b8 v2, v5 offset:4
.LBB1166_107:
	s_or_b64 exec, exec, s[4:5]
	v_cmp_gt_u32_e32 vcc, 4, v0
	s_waitcnt lgkmcnt(0)
	s_barrier
	s_and_saveexec_b64 s[4:5], vcc
	s_cbranch_execz .LBB1166_111
; %bb.108:
	v_lshlrev_b32_e32 v7, 3, v0
	ds_read_b64 v[2:3], v7
	v_and_b32_e32 v8, 3, v11
	v_cmp_ne_u32_e32 vcc, 0, v8
	s_waitcnt lgkmcnt(0)
	v_mov_b32_dpp v12, v2 row_shr:1 row_mask:0xf bank_mask:0xf
	v_mov_b32_dpp v10, v3 row_shr:1 row_mask:0xf bank_mask:0xf
	v_mov_b32_e32 v9, v3
	s_and_saveexec_b64 s[34:35], vcc
; %bb.109:
	v_mov_b32_e32 v9, 0
	v_add_f32_e32 v12, v2, v12
	v_cmp_eq_u16_sdwa vcc, v3, v9 src0_sel:BYTE_0 src1_sel:DWORD
	v_and_b32_e32 v9, 1, v3
	v_cndmask_b32_e32 v2, v2, v12, vcc
	v_and_b32_e32 v10, 1, v10
	v_cmp_eq_u32_e32 vcc, 1, v9
	v_cndmask_b32_e64 v9, v10, 1, vcc
	s_movk_i32 s42, 0xff00
	v_and_or_b32 v3, v3, s42, v9
; %bb.110:
	s_or_b64 exec, exec, s[34:35]
	v_mov_b32_e32 v13, 0
	v_mov_b32_dpp v12, v3 row_shr:2 row_mask:0xf bank_mask:0xf
	v_cmp_eq_u16_sdwa s[34:35], v9, v13 src0_sel:BYTE_0 src1_sel:DWORD
	v_and_b32_e32 v9, 1, v9
	v_and_b32_e32 v12, 1, v12
	v_cmp_eq_u32_e32 vcc, 1, v9
	v_mov_b32_dpp v10, v2 row_shr:2 row_mask:0xf bank_mask:0xf
	v_cndmask_b32_e64 v9, v12, 1, vcc
	v_cmp_lt_u32_e32 vcc, 1, v8
	v_add_f32_e32 v10, v2, v10
	v_cndmask_b32_e32 v3, v3, v9, vcc
	s_and_b64 vcc, vcc, s[34:35]
	v_cndmask_b32_e32 v2, v2, v10, vcc
	ds_write_b32 v7, v2
	ds_write_b8 v7, v3 offset:4
.LBB1166_111:
	s_or_b64 exec, exec, s[4:5]
	v_cmp_gt_u32_e32 vcc, 64, v0
	v_cmp_lt_u32_e64 s[4:5], 63, v0
	v_mov_b32_e32 v28, 0
	v_mov_b32_e32 v29, 0
	s_waitcnt lgkmcnt(0)
	s_barrier
	s_and_saveexec_b64 s[34:35], s[4:5]
	s_cbranch_execz .LBB1166_113
; %bb.112:
	v_lshl_add_u32 v2, v6, 3, -8
	ds_read_b32 v28, v2
	ds_read_u8 v29, v2 offset:4
	v_and_b32_e32 v2, 1, v5
	v_cmp_eq_u32_e64 s[4:5], 0, v5
	s_waitcnt lgkmcnt(1)
	v_add_f32_e32 v3, v4, v28
	s_waitcnt lgkmcnt(0)
	v_and_b32_e32 v6, 1, v29
	v_cndmask_b32_e64 v4, v4, v3, s[4:5]
	v_cmp_eq_u32_e64 s[4:5], 1, v2
	v_cndmask_b32_e64 v5, v6, 1, s[4:5]
.LBB1166_113:
	s_or_b64 exec, exec, s[34:35]
	v_add_u32_e32 v2, -1, v11
	v_and_b32_e32 v3, 64, v11
	v_cmp_lt_i32_e64 s[4:5], v2, v3
	v_cndmask_b32_e64 v2, v2, v11, s[4:5]
	v_lshlrev_b32_e32 v2, 2, v2
	ds_bpermute_b32 v30, v2, v4
	ds_bpermute_b32 v31, v2, v5
	v_cmp_eq_u32_e64 s[34:35], 0, v11
	s_and_saveexec_b64 s[4:5], vcc
	s_cbranch_execz .LBB1166_154
; %bb.114:
	v_mov_b32_e32 v5, 0
	ds_read_b64 v[2:3], v5 offset:24
	s_waitcnt lgkmcnt(0)
	v_readfirstlane_b32 s48, v3
	s_and_saveexec_b64 s[42:43], s[34:35]
	s_cbranch_execz .LBB1166_116
; %bb.115:
	s_add_i32 s44, s59, 64
	s_mov_b32 s45, 0
	s_lshl_b64 s[52:53], s[44:45], 4
	s_add_u32 s52, s56, s52
	s_addc_u32 s53, s57, s53
	s_and_b32 s55, s48, 0xff000000
	s_mov_b32 s54, s45
	s_and_b32 s63, s48, 0xff0000
	s_mov_b32 s62, s45
	s_or_b64 s[54:55], s[62:63], s[54:55]
	s_and_b32 s63, s48, 0xff00
	s_or_b64 s[54:55], s[54:55], s[62:63]
	s_and_b32 s63, s48, 0xff
	s_or_b64 s[44:45], s[54:55], s[62:63]
	v_mov_b32_e32 v3, s45
	v_mov_b32_e32 v4, 1
	v_pk_mov_b32 v[6:7], s[52:53], s[52:53] op_sel:[0,1]
	;;#ASMSTART
	global_store_dwordx4 v[6:7], v[2:5] off	
s_waitcnt vmcnt(0)
	;;#ASMEND
.LBB1166_116:
	s_or_b64 exec, exec, s[42:43]
	v_xad_u32 v10, v11, -1, s59
	v_add_u32_e32 v4, 64, v10
	v_lshlrev_b64 v[6:7], 4, v[4:5]
	v_mov_b32_e32 v3, s57
	v_add_co_u32_e32 v12, vcc, s56, v6
	v_addc_co_u32_e32 v13, vcc, v3, v7, vcc
	;;#ASMSTART
	global_load_dwordx4 v[6:9], v[12:13] off glc	
s_waitcnt vmcnt(0)
	;;#ASMEND
	v_cmp_eq_u16_sdwa s[44:45], v8, v5 src0_sel:BYTE_0 src1_sel:DWORD
	s_and_saveexec_b64 s[42:43], s[44:45]
	s_cbranch_execz .LBB1166_120
; %bb.117:
	s_mov_b64 s[44:45], 0
	v_mov_b32_e32 v3, 0
.LBB1166_118:                           ; =>This Inner Loop Header: Depth=1
	;;#ASMSTART
	global_load_dwordx4 v[6:9], v[12:13] off glc	
s_waitcnt vmcnt(0)
	;;#ASMEND
	v_cmp_ne_u16_sdwa s[52:53], v8, v3 src0_sel:BYTE_0 src1_sel:DWORD
	s_or_b64 s[44:45], s[52:53], s[44:45]
	s_andn2_b64 exec, exec, s[44:45]
	s_cbranch_execnz .LBB1166_118
; %bb.119:
	s_or_b64 exec, exec, s[44:45]
.LBB1166_120:
	s_or_b64 exec, exec, s[42:43]
	v_mov_b32_e32 v3, 2
	v_cmp_eq_u16_sdwa s[42:43], v8, v3 src0_sel:BYTE_0 src1_sel:DWORD
	v_lshlrev_b64 v[4:5], v11, -1
	v_and_b32_e32 v3, s43, v5
	v_or_b32_e32 v3, 0x80000000, v3
	v_ffbl_b32_e32 v34, v3
	v_and_b32_e32 v3, 63, v11
	v_cmp_ne_u32_e32 vcc, 63, v3
	v_addc_co_u32_e32 v13, vcc, 0, v11, vcc
	v_and_b32_e32 v12, 0xff, v7
	v_lshlrev_b32_e32 v32, 2, v13
	ds_bpermute_b32 v33, v32, v6
	ds_bpermute_b32 v13, v32, v12
	v_and_b32_e32 v9, s42, v4
	v_add_u32_e32 v34, 32, v34
	v_ffbl_b32_e32 v9, v9
	v_min_u32_e32 v9, v9, v34
	v_cmp_lt_u32_e32 vcc, v3, v9
	s_and_saveexec_b64 s[42:43], vcc
	s_cbranch_execz .LBB1166_122
; %bb.121:
	v_mov_b32_e32 v12, 0
	s_waitcnt lgkmcnt(1)
	v_add_f32_e32 v33, v6, v33
	v_cmp_eq_u16_sdwa vcc, v7, v12 src0_sel:BYTE_0 src1_sel:DWORD
	v_and_b32_e32 v7, 1, v7
	v_cndmask_b32_e32 v6, v6, v33, vcc
	s_waitcnt lgkmcnt(0)
	v_and_b32_e32 v12, 1, v13
	v_cmp_eq_u32_e32 vcc, 1, v7
	v_cndmask_b32_e64 v7, v12, 1, vcc
	v_and_b32_e32 v12, 0xffff, v7
.LBB1166_122:
	s_or_b64 exec, exec, s[42:43]
	v_cmp_gt_u32_e32 vcc, 62, v3
	s_waitcnt lgkmcnt(0)
	v_cndmask_b32_e64 v13, 0, 1, vcc
	v_lshlrev_b32_e32 v13, 1, v13
	v_add_lshl_u32 v33, v13, v11, 2
	ds_bpermute_b32 v35, v33, v6
	ds_bpermute_b32 v13, v33, v12
	v_add_u32_e32 v34, 2, v3
	v_cmp_le_u32_e32 vcc, v34, v9
	s_and_saveexec_b64 s[42:43], vcc
	s_cbranch_execz .LBB1166_124
; %bb.123:
	v_mov_b32_e32 v12, 0
	s_waitcnt lgkmcnt(1)
	v_add_f32_e32 v35, v6, v35
	v_cmp_eq_u16_sdwa vcc, v7, v12 src0_sel:BYTE_0 src1_sel:DWORD
	v_and_b32_e32 v7, 1, v7
	v_cndmask_b32_e32 v6, v6, v35, vcc
	s_waitcnt lgkmcnt(0)
	v_and_b32_e32 v12, 1, v13
	v_cmp_eq_u32_e32 vcc, 1, v7
	v_cndmask_b32_e64 v7, v12, 1, vcc
	v_and_b32_e32 v12, 0xffff, v7
.LBB1166_124:
	s_or_b64 exec, exec, s[42:43]
	v_cmp_gt_u32_e32 vcc, 60, v3
	s_waitcnt lgkmcnt(0)
	v_cndmask_b32_e64 v13, 0, 1, vcc
	v_lshlrev_b32_e32 v13, 2, v13
	v_add_lshl_u32 v35, v13, v11, 2
	ds_bpermute_b32 v38, v35, v6
	ds_bpermute_b32 v13, v35, v12
	v_add_u32_e32 v37, 4, v3
	v_cmp_le_u32_e32 vcc, v37, v9
	;; [unrolled: 25-line block ×5, first 2 shown]
	s_and_saveexec_b64 s[42:43], vcc
	s_cbranch_execz .LBB1166_132
; %bb.131:
	v_mov_b32_e32 v9, 0
	s_waitcnt lgkmcnt(1)
	v_add_f32_e32 v12, v6, v13
	v_cmp_eq_u16_sdwa vcc, v7, v9 src0_sel:BYTE_0 src1_sel:DWORD
	v_and_b32_e32 v7, 1, v7
	v_cndmask_b32_e32 v6, v6, v12, vcc
	s_waitcnt lgkmcnt(0)
	v_and_b32_e32 v9, 1, v11
	v_cmp_eq_u32_e32 vcc, 1, v7
	v_cndmask_b32_e64 v7, v9, 1, vcc
.LBB1166_132:
	s_or_b64 exec, exec, s[42:43]
	s_waitcnt lgkmcnt(0)
	v_mov_b32_e32 v11, 0
	v_mov_b32_e32 v61, 2
	s_branch .LBB1166_134
.LBB1166_133:                           ;   in Loop: Header=BB1166_134 Depth=1
	s_or_b64 exec, exec, s[42:43]
	s_waitcnt lgkmcnt(0)
	ds_bpermute_b32 v13, v58, v6
	ds_bpermute_b32 v12, v58, v12
	v_and_b32_e32 v62, 1, v7
	v_cmp_eq_u16_sdwa vcc, v7, v11 src0_sel:BYTE_0 src1_sel:DWORD
	v_subrev_u32_e32 v10, 64, v10
	s_waitcnt lgkmcnt(1)
	v_add_f32_e32 v13, v6, v13
	v_cndmask_b32_e32 v13, v6, v13, vcc
	v_cmp_eq_u32_e32 vcc, 1, v62
	s_waitcnt lgkmcnt(0)
	v_cndmask_b32_e64 v12, v12, 1, vcc
	v_cmp_gt_u32_e32 vcc, v60, v9
	v_cndmask_b32_e32 v6, v13, v6, vcc
	v_cndmask_b32_e32 v7, v12, v7, vcc
	v_add_f32_e32 v6, v59, v6
	v_cmp_eq_u16_sdwa vcc, v57, v11 src0_sel:BYTE_0 src1_sel:DWORD
	v_and_b32_e32 v9, 1, v57
	v_cndmask_b32_e32 v6, v59, v6, vcc
	v_and_b32_e32 v7, 1, v7
	v_cmp_eq_u32_e32 vcc, 1, v9
	v_cndmask_b32_e64 v7, v7, 1, vcc
.LBB1166_134:                           ; =>This Loop Header: Depth=1
                                        ;     Child Loop BB1166_137 Depth 2
	v_cmp_ne_u16_sdwa s[42:43], v8, v61 src0_sel:BYTE_0 src1_sel:DWORD
	v_mov_b32_e32 v57, v7
	v_cndmask_b32_e64 v7, 0, 1, s[42:43]
	;;#ASMSTART
	;;#ASMEND
	v_cmp_ne_u32_e32 vcc, 0, v7
	s_cmp_lg_u64 vcc, exec
	v_mov_b32_e32 v59, v6
	s_cbranch_scc1 .LBB1166_149
; %bb.135:                              ;   in Loop: Header=BB1166_134 Depth=1
	v_lshlrev_b64 v[6:7], 4, v[10:11]
	v_mov_b32_e32 v8, s57
	v_add_co_u32_e32 v12, vcc, s56, v6
	v_addc_co_u32_e32 v13, vcc, v8, v7, vcc
	;;#ASMSTART
	global_load_dwordx4 v[6:9], v[12:13] off glc	
s_waitcnt vmcnt(0)
	;;#ASMEND
	v_cmp_eq_u16_sdwa s[44:45], v8, v11 src0_sel:BYTE_0 src1_sel:DWORD
	s_and_saveexec_b64 s[42:43], s[44:45]
	s_cbranch_execz .LBB1166_139
; %bb.136:                              ;   in Loop: Header=BB1166_134 Depth=1
	s_mov_b64 s[44:45], 0
.LBB1166_137:                           ;   Parent Loop BB1166_134 Depth=1
                                        ; =>  This Inner Loop Header: Depth=2
	;;#ASMSTART
	global_load_dwordx4 v[6:9], v[12:13] off glc	
s_waitcnt vmcnt(0)
	;;#ASMEND
	v_cmp_ne_u16_sdwa s[52:53], v8, v11 src0_sel:BYTE_0 src1_sel:DWORD
	s_or_b64 s[44:45], s[52:53], s[44:45]
	s_andn2_b64 exec, exec, s[44:45]
	s_cbranch_execnz .LBB1166_137
; %bb.138:                              ;   in Loop: Header=BB1166_134 Depth=1
	s_or_b64 exec, exec, s[44:45]
.LBB1166_139:                           ;   in Loop: Header=BB1166_134 Depth=1
	s_or_b64 exec, exec, s[42:43]
	v_cmp_eq_u16_sdwa s[42:43], v8, v61 src0_sel:BYTE_0 src1_sel:DWORD
	v_and_b32_e32 v9, s43, v5
	v_and_b32_e32 v12, 0xff, v7
	v_or_b32_e32 v9, 0x80000000, v9
	ds_bpermute_b32 v62, v32, v6
	ds_bpermute_b32 v13, v32, v12
	v_and_b32_e32 v63, s42, v4
	v_ffbl_b32_e32 v9, v9
	v_add_u32_e32 v9, 32, v9
	v_ffbl_b32_e32 v63, v63
	v_min_u32_e32 v9, v63, v9
	v_cmp_lt_u32_e32 vcc, v3, v9
	s_and_saveexec_b64 s[42:43], vcc
	s_cbranch_execz .LBB1166_141
; %bb.140:                              ;   in Loop: Header=BB1166_134 Depth=1
	s_waitcnt lgkmcnt(1)
	v_add_f32_e32 v12, v6, v62
	v_cmp_eq_u16_sdwa vcc, v7, v11 src0_sel:BYTE_0 src1_sel:DWORD
	v_and_b32_e32 v7, 1, v7
	v_cndmask_b32_e32 v6, v6, v12, vcc
	s_waitcnt lgkmcnt(0)
	v_and_b32_e32 v12, 1, v13
	v_cmp_eq_u32_e32 vcc, 1, v7
	v_cndmask_b32_e64 v7, v12, 1, vcc
	v_and_b32_e32 v12, 0xffff, v7
.LBB1166_141:                           ;   in Loop: Header=BB1166_134 Depth=1
	s_or_b64 exec, exec, s[42:43]
	s_waitcnt lgkmcnt(1)
	ds_bpermute_b32 v62, v33, v6
	s_waitcnt lgkmcnt(1)
	ds_bpermute_b32 v13, v33, v12
	v_cmp_le_u32_e32 vcc, v34, v9
	s_and_saveexec_b64 s[42:43], vcc
	s_cbranch_execz .LBB1166_143
; %bb.142:                              ;   in Loop: Header=BB1166_134 Depth=1
	s_waitcnt lgkmcnt(1)
	v_add_f32_e32 v12, v6, v62
	v_cmp_eq_u16_sdwa vcc, v7, v11 src0_sel:BYTE_0 src1_sel:DWORD
	v_and_b32_e32 v7, 1, v7
	v_cndmask_b32_e32 v6, v6, v12, vcc
	s_waitcnt lgkmcnt(0)
	v_and_b32_e32 v12, 1, v13
	v_cmp_eq_u32_e32 vcc, 1, v7
	v_cndmask_b32_e64 v7, v12, 1, vcc
	v_and_b32_e32 v12, 0xffff, v7
.LBB1166_143:                           ;   in Loop: Header=BB1166_134 Depth=1
	s_or_b64 exec, exec, s[42:43]
	s_waitcnt lgkmcnt(1)
	ds_bpermute_b32 v62, v35, v6
	s_waitcnt lgkmcnt(1)
	ds_bpermute_b32 v13, v35, v12
	v_cmp_le_u32_e32 vcc, v37, v9
	;; [unrolled: 20-line block ×4, first 2 shown]
	s_and_saveexec_b64 s[42:43], vcc
	s_cbranch_execz .LBB1166_133
; %bb.148:                              ;   in Loop: Header=BB1166_134 Depth=1
	s_waitcnt lgkmcnt(1)
	v_add_f32_e32 v12, v6, v62
	v_cmp_eq_u16_sdwa vcc, v7, v11 src0_sel:BYTE_0 src1_sel:DWORD
	v_and_b32_e32 v7, 1, v7
	v_cndmask_b32_e32 v6, v6, v12, vcc
	s_waitcnt lgkmcnt(0)
	v_and_b32_e32 v12, 1, v13
	v_cmp_eq_u32_e32 vcc, 1, v7
	v_cndmask_b32_e64 v7, v12, 1, vcc
	v_and_b32_e32 v12, 0xffff, v7
	s_branch .LBB1166_133
.LBB1166_149:                           ;   in Loop: Header=BB1166_134 Depth=1
                                        ; implicit-def: $vgpr7
	s_cbranch_execz .LBB1166_134
; %bb.150:
	s_and_saveexec_b64 s[42:43], s[34:35]
	s_cbranch_execz .LBB1166_152
; %bb.151:
	s_and_b32 s44, s48, 0xff
	s_cmp_eq_u32 s44, 0
	s_cselect_b64 vcc, -1, 0
	s_bitcmp1_b32 s48, 0
	s_mov_b32 s45, 0
	s_cselect_b64 s[48:49], -1, 0
	s_add_i32 s44, s59, 64
	s_lshl_b64 s[44:45], s[44:45], 4
	v_add_f32_e32 v3, v59, v2
	s_add_u32 s44, s56, s44
	v_cndmask_b32_e32 v2, v2, v3, vcc
	v_and_b32_e32 v3, 1, v57
	s_addc_u32 s45, s57, s45
	v_cndmask_b32_e64 v3, v3, 1, s[48:49]
	v_mov_b32_e32 v4, 2
	v_mov_b32_e32 v5, 0
	v_pk_mov_b32 v[6:7], s[44:45], s[44:45] op_sel:[0,1]
	;;#ASMSTART
	global_store_dwordx4 v[6:7], v[2:5] off	
s_waitcnt vmcnt(0)
	;;#ASMEND
.LBB1166_152:
	s_or_b64 exec, exec, s[42:43]
	s_and_b64 exec, exec, s[0:1]
	s_cbranch_execz .LBB1166_154
; %bb.153:
	v_mov_b32_e32 v2, 0
	ds_write_b32 v2, v59 offset:24
	ds_write_b8 v2, v57 offset:28
.LBB1166_154:
	s_or_b64 exec, exec, s[4:5]
	v_mov_b32_e32 v4, 0
	s_waitcnt lgkmcnt(0)
	v_cndmask_b32_e64 v2, v31, v29, s[34:35]
	s_barrier
	ds_read_b32 v5, v4 offset:24
	v_and_b32_e32 v6, 1, v1
	v_cndmask_b32_e64 v3, v30, v28, s[34:35]
	v_and_b32_e32 v2, 1, v2
	v_cmp_eq_u32_e32 vcc, 1, v6
	v_cndmask_b32_e64 v2, v2, 1, vcc
	v_add_f32_e32 v3, v14, v3
	v_cmp_eq_u16_sdwa vcc, v1, v4 src0_sel:BYTE_0 src1_sel:DWORD
	v_cndmask_b32_e32 v3, v14, v3, vcc
	v_cndmask_b32_e64 v2, v2, v1, s[0:1]
	v_cndmask_b32_e64 v3, v3, v14, s[0:1]
	s_waitcnt lgkmcnt(0)
	v_add_f32_e32 v5, v3, v5
	v_cmp_eq_u16_sdwa vcc, v2, v4 src0_sel:BYTE_0 src1_sel:DWORD
	v_cndmask_b32_e32 v2, v3, v5, vcc
	v_add_f32_e32 v3, v26, v2
	v_cndmask_b32_e64 v3, v26, v3, s[6:7]
	v_add_f32_e32 v4, v27, v3
	v_cndmask_b32_e64 v28, v27, v4, s[8:9]
	;; [unrolled: 2-line block ×13, first 2 shown]
	s_branch .LBB1166_183
.LBB1166_155:
                                        ; implicit-def: $vgpr35
                                        ; implicit-def: $vgpr33
                                        ; implicit-def: $vgpr31
                                        ; implicit-def: $vgpr29
                                        ; implicit-def: $vgpr10_vgpr11_vgpr12_vgpr13
                                        ; implicit-def: $vgpr6_vgpr7_vgpr8_vgpr9
                                        ; implicit-def: $vgpr2_vgpr3_vgpr4_vgpr5
	s_cbranch_execz .LBB1166_183
; %bb.156:
	s_cmp_lg_u64 s[60:61], 0
	s_cselect_b32 s7, s51, 0
	s_cselect_b32 s6, s50, 0
	s_cmp_lg_u64 s[6:7], 0
	s_cselect_b64 s[4:5], -1, 0
	s_and_b64 s[8:9], s[0:1], s[4:5]
	s_and_saveexec_b64 s[4:5], s[8:9]
	s_cbranch_execz .LBB1166_158
; %bb.157:
	v_mov_b32_e32 v2, 0
	global_load_dword v3, v2, s[6:7]
	global_load_ubyte v4, v2, s[6:7] offset:4
	v_and_b32_e32 v5, 1, v1
	v_cmp_eq_u16_sdwa vcc, v1, v2 src0_sel:BYTE_0 src1_sel:DWORD
	s_waitcnt vmcnt(1)
	v_add_f32_e32 v3, v14, v3
	s_waitcnt vmcnt(0)
	v_and_b32_e32 v4, 1, v4
	v_cndmask_b32_e32 v14, v14, v3, vcc
	v_cmp_eq_u32_e32 vcc, 1, v5
	v_cndmask_b32_e64 v1, v4, 1, vcc
.LBB1166_158:
	s_or_b64 exec, exec, s[4:5]
	v_mov_b32_e32 v2, 0
	v_add_f32_e32 v3, v26, v14
	v_cmp_eq_u16_sdwa vcc, v42, v2 src0_sel:BYTE_0 src1_sel:DWORD
	v_cndmask_b32_e32 v3, v26, v3, vcc
	v_add_f32_e32 v4, v27, v3
	v_cmp_eq_u16_sdwa s[6:7], v43, v2 src0_sel:BYTE_0 src1_sel:DWORD
	v_cndmask_b32_e64 v28, v27, v4, s[6:7]
	v_add_f32_e32 v4, v24, v28
	v_cmp_eq_u16_sdwa s[8:9], v44, v2 src0_sel:BYTE_0 src1_sel:DWORD
	v_cndmask_b32_e64 v29, v24, v4, s[8:9]
	;; [unrolled: 3-line block ×6, first 2 shown]
	v_add_f32_e32 v4, v21, v31
	v_cmp_eq_u16_sdwa s[18:19], v50, v2 src0_sel:BYTE_0 src1_sel:DWORD
	v_cmp_eq_u16_sdwa s[20:21], v51, v2 src0_sel:BYTE_0 src1_sel:DWORD
	v_cmp_eq_u16_sdwa s[22:23], v52, v2 src0_sel:BYTE_0 src1_sel:DWORD
	v_cmp_eq_u16_sdwa s[24:25], v53, v2 src0_sel:BYTE_0 src1_sel:DWORD
	v_cmp_eq_u16_sdwa s[26:27], v47, v2 src0_sel:BYTE_0 src1_sel:DWORD
	v_cmp_eq_u16_sdwa s[28:29], v54, v2 src0_sel:BYTE_0 src1_sel:DWORD
	v_or_b32_e32 v2, v36, v52
	v_cndmask_b32_e64 v10, v21, v4, s[18:19]
	v_or_b32_e32 v2, v2, v51
	v_add_f32_e32 v4, v18, v10
	v_or_b32_e32 v2, v2, v50
	v_cndmask_b32_e64 v11, v18, v4, s[20:21]
	v_or_b32_e32 v2, v2, v49
	v_add_f32_e32 v4, v19, v11
	;; [unrolled: 4-line block ×5, first 2 shown]
	v_and_b32_e32 v2, 1, v2
	v_cndmask_b32_e64 v35, v41, v4, s[28:29]
	v_and_b32_e32 v4, 0xff, v1
	v_cmp_eq_u32_e64 s[4:5], 1, v2
	v_mbcnt_hi_u32_b32 v2, -1, v15
	v_cndmask_b32_e64 v9, v4, 1, s[4:5]
	v_and_b32_e32 v5, 15, v2
	v_mov_b32_dpp v13, v35 row_shr:1 row_mask:0xf bank_mask:0xf
	v_mov_b32_dpp v12, v9 row_shr:1 row_mask:0xf bank_mask:0xf
	v_cmp_ne_u32_e64 s[4:5], 0, v5
	v_mov_b32_e32 v8, v35
	v_mov_b32_e32 v4, v35
	s_and_saveexec_b64 s[30:31], s[4:5]
; %bb.159:
	v_add_f32_e32 v4, v35, v13
	v_cmp_eq_u32_e64 s[4:5], 0, v9
	v_cndmask_b32_e64 v8, v35, v4, s[4:5]
	v_and_b32_e32 v4, 1, v9
	v_and_b32_e32 v9, 1, v12
	v_cmp_eq_u32_e64 s[4:5], 1, v4
	v_cndmask_b32_e64 v9, v9, 1, s[4:5]
	v_mov_b32_e32 v4, v8
; %bb.160:
	s_or_b64 exec, exec, s[30:31]
	s_nop 0
	v_mov_b32_dpp v13, v4 row_shr:2 row_mask:0xf bank_mask:0xf
	v_mov_b32_dpp v12, v9 row_shr:2 row_mask:0xf bank_mask:0xf
	v_cmp_lt_u32_e64 s[4:5], 1, v5
	s_and_saveexec_b64 s[30:31], s[4:5]
; %bb.161:
	v_add_f32_e32 v4, v8, v13
	v_cmp_eq_u32_e64 s[4:5], 0, v9
	v_cndmask_b32_e64 v4, v8, v4, s[4:5]
	v_and_b32_e32 v8, 1, v9
	v_and_b32_e32 v9, 1, v12
	v_cmp_eq_u32_e64 s[4:5], 1, v8
	v_cndmask_b32_e64 v9, v9, 1, s[4:5]
	v_mov_b32_e32 v8, v4
; %bb.162:
	s_or_b64 exec, exec, s[30:31]
	v_mov_b32_dpp v13, v4 row_shr:4 row_mask:0xf bank_mask:0xf
	v_mov_b32_dpp v12, v9 row_shr:4 row_mask:0xf bank_mask:0xf
	v_cmp_lt_u32_e64 s[4:5], 3, v5
	s_and_saveexec_b64 s[30:31], s[4:5]
; %bb.163:
	v_add_f32_e32 v4, v8, v13
	v_cmp_eq_u32_e64 s[4:5], 0, v9
	v_cndmask_b32_e64 v4, v8, v4, s[4:5]
	v_and_b32_e32 v8, 1, v9
	v_and_b32_e32 v9, 1, v12
	v_cmp_eq_u32_e64 s[4:5], 1, v8
	v_cndmask_b32_e64 v9, v9, 1, s[4:5]
	v_mov_b32_e32 v8, v4
; %bb.164:
	s_or_b64 exec, exec, s[30:31]
	v_mov_b32_dpp v13, v4 row_shr:8 row_mask:0xf bank_mask:0xf
	v_mov_b32_dpp v12, v9 row_shr:8 row_mask:0xf bank_mask:0xf
	v_cmp_lt_u32_e64 s[4:5], 7, v5
	s_and_saveexec_b64 s[30:31], s[4:5]
; %bb.165:
	v_add_f32_e32 v4, v8, v13
	v_cmp_eq_u32_e64 s[4:5], 0, v9
	v_and_b32_e32 v5, 1, v9
	v_cndmask_b32_e64 v4, v8, v4, s[4:5]
	v_and_b32_e32 v8, 1, v12
	v_cmp_eq_u32_e64 s[4:5], 1, v5
	v_cndmask_b32_e64 v9, v8, 1, s[4:5]
	v_mov_b32_e32 v8, v4
; %bb.166:
	s_or_b64 exec, exec, s[30:31]
	v_and_b32_e32 v13, 16, v2
	v_mov_b32_dpp v12, v4 row_bcast:15 row_mask:0xf bank_mask:0xf
	v_mov_b32_dpp v5, v9 row_bcast:15 row_mask:0xf bank_mask:0xf
	v_cmp_ne_u32_e64 s[4:5], 0, v13
	s_and_saveexec_b64 s[30:31], s[4:5]
; %bb.167:
	v_add_f32_e32 v4, v8, v12
	v_cmp_eq_u32_e64 s[4:5], 0, v9
	v_cndmask_b32_e64 v8, v8, v4, s[4:5]
	v_and_b32_e32 v4, 1, v9
	v_and_b32_e32 v5, 1, v5
	v_cmp_eq_u32_e64 s[4:5], 1, v4
	v_cndmask_b32_e64 v9, v5, 1, s[4:5]
	v_mov_b32_e32 v4, v8
; %bb.168:
	s_or_b64 exec, exec, s[30:31]
	s_nop 0
	v_mov_b32_dpp v12, v4 row_bcast:31 row_mask:0xf bank_mask:0xf
	v_mov_b32_dpp v5, v9 row_bcast:31 row_mask:0xf bank_mask:0xf
	v_cmp_lt_u32_e64 s[4:5], 31, v2
	s_and_saveexec_b64 s[30:31], s[4:5]
; %bb.169:
	v_add_f32_e32 v4, v8, v12
	v_cmp_eq_u32_e64 s[4:5], 0, v9
	v_cndmask_b32_e64 v8, v8, v4, s[4:5]
	v_and_b32_e32 v4, 1, v9
	v_and_b32_e32 v5, 1, v5
	v_cmp_eq_u32_e64 s[4:5], 1, v4
	v_cndmask_b32_e64 v9, v5, 1, s[4:5]
	v_mov_b32_e32 v4, v8
; %bb.170:
	s_or_b64 exec, exec, s[30:31]
	v_or_b32_e32 v5, 63, v0
	v_lshrrev_b32_e32 v12, 6, v0
	v_cmp_eq_u32_e64 s[4:5], v5, v0
	s_and_saveexec_b64 s[30:31], s[4:5]
	s_cbranch_execz .LBB1166_172
; %bb.171:
	v_lshlrev_b32_e32 v5, 3, v12
	ds_write_b32 v5, v4
	ds_write_b8 v5, v9 offset:4
.LBB1166_172:
	s_or_b64 exec, exec, s[30:31]
	v_cmp_gt_u32_e64 s[4:5], 4, v0
	s_waitcnt lgkmcnt(0)
	s_barrier
	s_and_saveexec_b64 s[30:31], s[4:5]
	s_cbranch_execz .LBB1166_176
; %bb.173:
	v_lshlrev_b32_e32 v13, 3, v0
	ds_read_b64 v[4:5], v13
	v_and_b32_e32 v15, 3, v2
	v_cmp_ne_u32_e64 s[4:5], 0, v15
	s_waitcnt lgkmcnt(0)
	v_mov_b32_dpp v38, v4 row_shr:1 row_mask:0xf bank_mask:0xf
	v_mov_b32_dpp v37, v5 row_shr:1 row_mask:0xf bank_mask:0xf
	v_mov_b32_e32 v36, v5
	s_and_saveexec_b64 s[34:35], s[4:5]
; %bb.174:
	v_mov_b32_e32 v36, 0
	v_add_f32_e32 v38, v4, v38
	v_cmp_eq_u16_sdwa s[4:5], v5, v36 src0_sel:BYTE_0 src1_sel:DWORD
	v_and_b32_e32 v36, 1, v5
	v_cndmask_b32_e64 v4, v4, v38, s[4:5]
	v_and_b32_e32 v37, 1, v37
	v_cmp_eq_u32_e64 s[4:5], 1, v36
	v_cndmask_b32_e64 v36, v37, 1, s[4:5]
	s_movk_i32 s4, 0xff00
	v_and_or_b32 v5, v5, s4, v36
; %bb.175:
	s_or_b64 exec, exec, s[34:35]
	v_mov_b32_e32 v39, 0
	v_mov_b32_dpp v38, v5 row_shr:2 row_mask:0xf bank_mask:0xf
	v_cmp_eq_u16_sdwa s[34:35], v36, v39 src0_sel:BYTE_0 src1_sel:DWORD
	v_and_b32_e32 v36, 1, v36
	v_and_b32_e32 v38, 1, v38
	v_cmp_eq_u32_e64 s[4:5], 1, v36
	v_mov_b32_dpp v37, v4 row_shr:2 row_mask:0xf bank_mask:0xf
	v_cndmask_b32_e64 v36, v38, 1, s[4:5]
	v_cmp_lt_u32_e64 s[4:5], 1, v15
	v_add_f32_e32 v37, v4, v37
	v_cndmask_b32_e64 v5, v5, v36, s[4:5]
	s_and_b64 s[4:5], s[4:5], s[34:35]
	v_cndmask_b32_e64 v4, v4, v37, s[4:5]
	ds_write_b32 v13, v4
	ds_write_b8 v13, v5 offset:4
.LBB1166_176:
	s_or_b64 exec, exec, s[30:31]
	v_cmp_lt_u32_e64 s[4:5], 63, v0
	v_mov_b32_e32 v4, 0
	s_waitcnt lgkmcnt(0)
	s_barrier
	s_and_saveexec_b64 s[30:31], s[4:5]
	s_cbranch_execz .LBB1166_178
; %bb.177:
	v_lshl_add_u32 v4, v12, 3, -8
	ds_read_b32 v4, v4
	v_cmp_eq_u32_e64 s[4:5], 0, v9
	s_waitcnt lgkmcnt(0)
	v_add_f32_e32 v5, v8, v4
	v_cndmask_b32_e64 v8, v8, v5, s[4:5]
.LBB1166_178:
	s_or_b64 exec, exec, s[30:31]
	v_add_u32_e32 v5, -1, v2
	v_and_b32_e32 v9, 64, v2
	v_cmp_lt_i32_e64 s[4:5], v5, v9
	v_cndmask_b32_e64 v5, v5, v2, s[4:5]
	v_lshlrev_b32_e32 v5, 2, v5
	ds_bpermute_b32 v5, v5, v8
	s_and_saveexec_b64 s[30:31], s[36:37]
	s_cbranch_execz .LBB1166_180
; %bb.179:
	v_cmp_eq_u32_e64 s[4:5], 0, v2
	s_waitcnt lgkmcnt(0)
	v_cndmask_b32_e64 v2, v5, v4, s[4:5]
	v_mov_b32_e32 v3, 0
	v_add_f32_e32 v2, v14, v2
	v_cmp_eq_u16_sdwa s[4:5], v1, v3 src0_sel:BYTE_0 src1_sel:DWORD
	v_cndmask_b32_e64 v14, v14, v2, s[4:5]
	v_add_f32_e32 v1, v26, v14
	v_cndmask_b32_e32 v3, v26, v1, vcc
	v_add_f32_e32 v1, v27, v3
	v_cndmask_b32_e64 v28, v27, v1, s[6:7]
	v_add_f32_e32 v1, v24, v28
	v_cndmask_b32_e64 v29, v24, v1, s[8:9]
	;; [unrolled: 2-line block ×12, first 2 shown]
	;;#ASMSTART
	;;#ASMEND
.LBB1166_180:
	s_or_b64 exec, exec, s[30:31]
	s_and_saveexec_b64 s[4:5], s[0:1]
	s_cbranch_execz .LBB1166_182
; %bb.181:
	v_mov_b32_e32 v19, 0
	ds_read_b32 v16, v19 offset:24
	ds_read_u8 v17, v19 offset:28
	s_add_u32 s0, s56, 0x400
	s_addc_u32 s1, s57, 0
	v_mov_b32_e32 v18, 2
	s_waitcnt lgkmcnt(2)
	v_pk_mov_b32 v[4:5], s[0:1], s[0:1] op_sel:[0,1]
	s_waitcnt lgkmcnt(0)
	;;#ASMSTART
	global_store_dwordx4 v[4:5], v[16:19] off	
s_waitcnt vmcnt(0)
	;;#ASMEND
.LBB1166_182:
	s_or_b64 exec, exec, s[4:5]
	v_mov_b32_e32 v2, v14
.LBB1166_183:
	s_add_u32 s0, s46, s38
	s_addc_u32 s1, s47, s39
	s_add_u32 s4, s0, s40
	v_mul_u32_u24_e32 v1, 14, v0
	s_addc_u32 s5, s1, s41
	s_and_b64 vcc, exec, s[2:3]
	v_lshlrev_b32_e32 v4, 2, v1
	s_cbranch_vccz .LBB1166_211
; %bb.184:
	s_movk_i32 s0, 0xffcc
	s_waitcnt lgkmcnt(0)
	v_mad_i32_i24 v5, v0, s0, v4
	s_barrier
	ds_write2_b64 v4, v[2:3], v[28:29] offset1:1
	ds_write2_b64 v4, v[6:7], v[30:31] offset0:2 offset1:3
	ds_write2_b64 v4, v[10:11], v[32:33] offset0:4 offset1:5
	ds_write_b64 v4, v[34:35] offset:48
	s_waitcnt lgkmcnt(0)
	s_barrier
	ds_read2st64_b32 v[22:23], v5 offset0:4 offset1:8
	ds_read2st64_b32 v[20:21], v5 offset0:12 offset1:16
	ds_read2st64_b32 v[18:19], v5 offset0:20 offset1:24
	ds_read2st64_b32 v[16:17], v5 offset0:28 offset1:32
	ds_read2st64_b32 v[14:15], v5 offset0:36 offset1:40
	ds_read2st64_b32 v[8:9], v5 offset0:44 offset1:48
	ds_read_b32 v5, v5 offset:13312
	v_mov_b32_e32 v13, s5
	v_add_co_u32_e32 v12, vcc, s4, v40
	s_add_i32 s33, s33, s58
	v_addc_co_u32_e32 v13, vcc, 0, v13, vcc
	v_mov_b32_e32 v1, 0
	v_cmp_gt_u32_e32 vcc, s33, v0
	s_and_saveexec_b64 s[0:1], vcc
	s_cbranch_execz .LBB1166_186
; %bb.185:
	v_mul_i32_i24_e32 v24, 0xffffffcc, v0
	v_add_u32_e32 v24, v4, v24
	ds_read_b32 v24, v24
	s_waitcnt lgkmcnt(0)
	flat_store_dword v[12:13], v24
.LBB1166_186:
	s_or_b64 exec, exec, s[0:1]
	v_or_b32_e32 v24, 0x100, v0
	v_cmp_gt_u32_e32 vcc, s33, v24
	s_and_saveexec_b64 s[0:1], vcc
	s_cbranch_execz .LBB1166_188
; %bb.187:
	s_waitcnt lgkmcnt(0)
	flat_store_dword v[12:13], v22 offset:1024
.LBB1166_188:
	s_or_b64 exec, exec, s[0:1]
	s_waitcnt lgkmcnt(0)
	v_or_b32_e32 v22, 0x200, v0
	v_cmp_gt_u32_e32 vcc, s33, v22
	s_and_saveexec_b64 s[0:1], vcc
	s_cbranch_execz .LBB1166_190
; %bb.189:
	flat_store_dword v[12:13], v23 offset:2048
.LBB1166_190:
	s_or_b64 exec, exec, s[0:1]
	v_or_b32_e32 v22, 0x300, v0
	v_cmp_gt_u32_e32 vcc, s33, v22
	s_and_saveexec_b64 s[0:1], vcc
	s_cbranch_execz .LBB1166_192
; %bb.191:
	flat_store_dword v[12:13], v20 offset:3072
.LBB1166_192:
	s_or_b64 exec, exec, s[0:1]
	v_or_b32_e32 v20, 0x400, v0
	v_cmp_gt_u32_e32 vcc, s33, v20
	s_and_saveexec_b64 s[0:1], vcc
	s_cbranch_execz .LBB1166_194
; %bb.193:
	v_add_co_u32_e32 v22, vcc, 0x1000, v12
	v_addc_co_u32_e32 v23, vcc, 0, v13, vcc
	flat_store_dword v[22:23], v21
.LBB1166_194:
	s_or_b64 exec, exec, s[0:1]
	v_or_b32_e32 v20, 0x500, v0
	v_cmp_gt_u32_e32 vcc, s33, v20
	s_and_saveexec_b64 s[0:1], vcc
	s_cbranch_execz .LBB1166_196
; %bb.195:
	v_add_co_u32_e32 v20, vcc, 0x1000, v12
	v_addc_co_u32_e32 v21, vcc, 0, v13, vcc
	flat_store_dword v[20:21], v18 offset:1024
.LBB1166_196:
	s_or_b64 exec, exec, s[0:1]
	v_or_b32_e32 v18, 0x600, v0
	v_cmp_gt_u32_e32 vcc, s33, v18
	s_and_saveexec_b64 s[0:1], vcc
	s_cbranch_execz .LBB1166_198
; %bb.197:
	v_add_co_u32_e32 v20, vcc, 0x1000, v12
	v_addc_co_u32_e32 v21, vcc, 0, v13, vcc
	flat_store_dword v[20:21], v19 offset:2048
.LBB1166_198:
	;; [unrolled: 10-line block ×3, first 2 shown]
	s_or_b64 exec, exec, s[0:1]
	v_or_b32_e32 v16, 0x800, v0
	v_cmp_gt_u32_e32 vcc, s33, v16
	s_and_saveexec_b64 s[0:1], vcc
	s_cbranch_execz .LBB1166_202
; %bb.201:
	v_add_co_u32_e32 v18, vcc, 0x2000, v12
	v_addc_co_u32_e32 v19, vcc, 0, v13, vcc
	flat_store_dword v[18:19], v17
.LBB1166_202:
	s_or_b64 exec, exec, s[0:1]
	v_or_b32_e32 v16, 0x900, v0
	v_cmp_gt_u32_e32 vcc, s33, v16
	s_and_saveexec_b64 s[0:1], vcc
	s_cbranch_execz .LBB1166_204
; %bb.203:
	v_add_co_u32_e32 v16, vcc, 0x2000, v12
	v_addc_co_u32_e32 v17, vcc, 0, v13, vcc
	flat_store_dword v[16:17], v14 offset:1024
.LBB1166_204:
	s_or_b64 exec, exec, s[0:1]
	v_or_b32_e32 v14, 0xa00, v0
	v_cmp_gt_u32_e32 vcc, s33, v14
	s_and_saveexec_b64 s[0:1], vcc
	s_cbranch_execz .LBB1166_206
; %bb.205:
	v_add_co_u32_e32 v16, vcc, 0x2000, v12
	v_addc_co_u32_e32 v17, vcc, 0, v13, vcc
	flat_store_dword v[16:17], v15 offset:2048
.LBB1166_206:
	;; [unrolled: 10-line block ×3, first 2 shown]
	s_or_b64 exec, exec, s[0:1]
	v_or_b32_e32 v8, 0xc00, v0
	v_cmp_gt_u32_e32 vcc, s33, v8
	s_and_saveexec_b64 s[0:1], vcc
	s_cbranch_execz .LBB1166_210
; %bb.209:
	v_add_co_u32_e32 v12, vcc, 0x3000, v12
	v_addc_co_u32_e32 v13, vcc, 0, v13, vcc
	flat_store_dword v[12:13], v9
.LBB1166_210:
	s_or_b64 exec, exec, s[0:1]
	v_or_b32_e32 v8, 0xd00, v0
	v_cmp_gt_u32_e64 s[0:1], s33, v8
	s_branch .LBB1166_213
.LBB1166_211:
	s_mov_b64 s[0:1], 0
                                        ; implicit-def: $vgpr5
	s_cbranch_execz .LBB1166_213
; %bb.212:
	s_movk_i32 s2, 0xffcc
	s_waitcnt lgkmcnt(0)
	s_barrier
	ds_write2_b64 v4, v[2:3], v[28:29] offset1:1
	ds_write2_b64 v4, v[6:7], v[30:31] offset0:2 offset1:3
	ds_write2_b64 v4, v[10:11], v[32:33] offset0:4 offset1:5
	ds_write_b64 v4, v[34:35] offset:48
	v_mad_i32_i24 v4, v0, s2, v4
	v_mov_b32_e32 v17, s5
	v_add_co_u32_e32 v16, vcc, s4, v40
	s_waitcnt lgkmcnt(0)
	s_barrier
	ds_read2st64_b32 v[2:3], v4 offset1:4
	ds_read2st64_b32 v[6:7], v4 offset0:8 offset1:12
	ds_read2st64_b32 v[8:9], v4 offset0:16 offset1:20
	;; [unrolled: 1-line block ×6, first 2 shown]
	v_addc_co_u32_e32 v17, vcc, 0, v17, vcc
	s_movk_i32 s2, 0x1000
	s_waitcnt lgkmcnt(0)
	flat_store_dword v[16:17], v2
	flat_store_dword v[16:17], v3 offset:1024
	flat_store_dword v[16:17], v6 offset:2048
	;; [unrolled: 1-line block ×3, first 2 shown]
	v_add_co_u32_e32 v2, vcc, s2, v16
	v_addc_co_u32_e32 v3, vcc, 0, v17, vcc
	flat_store_dword v[2:3], v8
	flat_store_dword v[2:3], v9 offset:1024
	flat_store_dword v[2:3], v10 offset:2048
	;; [unrolled: 1-line block ×3, first 2 shown]
	v_add_co_u32_e32 v2, vcc, 0x2000, v16
	v_addc_co_u32_e32 v3, vcc, 0, v17, vcc
	flat_store_dword v[2:3], v12
	flat_store_dword v[2:3], v13 offset:1024
	flat_store_dword v[2:3], v14 offset:2048
	;; [unrolled: 1-line block ×3, first 2 shown]
	v_add_co_u32_e32 v2, vcc, 0x3000, v16
	v_mov_b32_e32 v1, 0
	v_addc_co_u32_e32 v3, vcc, 0, v17, vcc
	s_or_b64 s[0:1], s[0:1], exec
	flat_store_dword v[2:3], v4
.LBB1166_213:
	s_and_saveexec_b64 s[2:3], s[0:1]
	s_cbranch_execnz .LBB1166_215
; %bb.214:
	s_endpgm
.LBB1166_215:
	v_lshlrev_b64 v[0:1], 2, v[0:1]
	v_mov_b32_e32 v2, s5
	v_add_co_u32_e32 v0, vcc, s4, v0
	v_addc_co_u32_e32 v1, vcc, v2, v1, vcc
	v_add_co_u32_e32 v0, vcc, 0x3000, v0
	v_addc_co_u32_e32 v1, vcc, 0, v1, vcc
	s_waitcnt lgkmcnt(0)
	flat_store_dword v[0:1], v5 offset:1024
	s_endpgm
.LBB1166_216:
	v_mov_b32_e32 v25, s65
	v_add_co_u32_e32 v26, vcc, s64, v24
	v_addc_co_u32_e32 v27, vcc, 0, v25, vcc
	flat_load_dword v25, v[26:27]
	s_or_b64 exec, exec, s[4:5]
                                        ; implicit-def: $vgpr26
	s_and_saveexec_b64 s[4:5], s[8:9]
	s_cbranch_execz .LBB1166_41
.LBB1166_217:
	v_mov_b32_e32 v27, s65
	v_add_co_u32_e32 v26, vcc, s64, v24
	v_addc_co_u32_e32 v27, vcc, 0, v27, vcc
	flat_load_dword v26, v[26:27] offset:1024
	s_or_b64 exec, exec, s[4:5]
                                        ; implicit-def: $vgpr27
	s_and_saveexec_b64 s[4:5], s[10:11]
	s_cbranch_execz .LBB1166_42
.LBB1166_218:
	v_mov_b32_e32 v27, s65
	v_add_co_u32_e32 v28, vcc, s64, v24
	v_addc_co_u32_e32 v29, vcc, 0, v27, vcc
	flat_load_dword v27, v[28:29] offset:2048
	s_or_b64 exec, exec, s[4:5]
                                        ; implicit-def: $vgpr28
	s_and_saveexec_b64 s[4:5], s[12:13]
	s_cbranch_execz .LBB1166_43
.LBB1166_219:
	v_mov_b32_e32 v29, s65
	v_add_co_u32_e32 v28, vcc, s64, v24
	v_addc_co_u32_e32 v29, vcc, 0, v29, vcc
	flat_load_dword v28, v[28:29] offset:3072
	s_or_b64 exec, exec, s[4:5]
                                        ; implicit-def: $vgpr29
	s_and_saveexec_b64 s[4:5], s[14:15]
	s_cbranch_execz .LBB1166_44
.LBB1166_220:
	v_mov_b32_e32 v29, s65
	v_add_co_u32_e32 v30, vcc, s64, v1
	v_addc_co_u32_e32 v31, vcc, 0, v29, vcc
	flat_load_dword v29, v[30:31]
	s_or_b64 exec, exec, s[4:5]
                                        ; implicit-def: $vgpr1
	s_and_saveexec_b64 s[4:5], s[16:17]
	s_cbranch_execz .LBB1166_45
.LBB1166_221:
	v_mov_b32_e32 v1, s65
	v_add_co_u32_e32 v30, vcc, s64, v14
	v_addc_co_u32_e32 v31, vcc, 0, v1, vcc
	flat_load_dword v1, v[30:31]
	s_or_b64 exec, exec, s[4:5]
                                        ; implicit-def: $vgpr14
	s_and_saveexec_b64 s[4:5], s[18:19]
	s_cbranch_execz .LBB1166_46
.LBB1166_222:
	v_mov_b32_e32 v14, s65
	v_add_co_u32_e32 v30, vcc, s64, v16
	v_addc_co_u32_e32 v31, vcc, 0, v14, vcc
	flat_load_dword v14, v[30:31]
	s_or_b64 exec, exec, s[4:5]
                                        ; implicit-def: $vgpr16
	s_and_saveexec_b64 s[4:5], s[20:21]
	s_cbranch_execz .LBB1166_47
.LBB1166_223:
	v_mov_b32_e32 v30, s65
	v_add_co_u32_e32 v16, vcc, s64, v17
	v_addc_co_u32_e32 v17, vcc, 0, v30, vcc
	flat_load_dword v16, v[16:17]
	s_or_b64 exec, exec, s[4:5]
                                        ; implicit-def: $vgpr17
	s_and_saveexec_b64 s[4:5], s[22:23]
	s_cbranch_execz .LBB1166_48
.LBB1166_224:
	v_mov_b32_e32 v17, s65
	v_add_co_u32_e32 v30, vcc, s64, v18
	v_addc_co_u32_e32 v31, vcc, 0, v17, vcc
	flat_load_dword v17, v[30:31]
	s_or_b64 exec, exec, s[4:5]
                                        ; implicit-def: $vgpr18
	s_and_saveexec_b64 s[4:5], s[24:25]
	s_cbranch_execz .LBB1166_49
.LBB1166_225:
	v_mov_b32_e32 v30, s65
	v_add_co_u32_e32 v18, vcc, s64, v19
	v_addc_co_u32_e32 v19, vcc, 0, v30, vcc
	flat_load_dword v18, v[18:19]
	s_or_b64 exec, exec, s[4:5]
                                        ; implicit-def: $vgpr19
	s_and_saveexec_b64 s[4:5], s[26:27]
	s_cbranch_execz .LBB1166_50
.LBB1166_226:
	v_mov_b32_e32 v19, s65
	v_add_co_u32_e32 v30, vcc, s64, v20
	v_addc_co_u32_e32 v31, vcc, 0, v19, vcc
	flat_load_dword v19, v[30:31]
	s_or_b64 exec, exec, s[4:5]
                                        ; implicit-def: $vgpr20
	s_and_saveexec_b64 s[4:5], s[28:29]
	s_cbranch_execz .LBB1166_51
.LBB1166_227:
	v_mov_b32_e32 v30, s65
	v_add_co_u32_e32 v20, vcc, s64, v21
	v_addc_co_u32_e32 v21, vcc, 0, v30, vcc
	flat_load_dword v20, v[20:21]
	s_or_b64 exec, exec, s[4:5]
                                        ; implicit-def: $vgpr21
	s_and_saveexec_b64 s[4:5], s[30:31]
	s_cbranch_execz .LBB1166_52
.LBB1166_228:
	v_mov_b32_e32 v21, s65
	v_add_co_u32_e32 v30, vcc, s64, v22
	v_addc_co_u32_e32 v31, vcc, 0, v21, vcc
	flat_load_dword v21, v[30:31]
	s_or_b64 exec, exec, s[4:5]
                                        ; implicit-def: $vgpr22
	s_and_saveexec_b64 s[4:5], s[34:35]
	s_cbranch_execnz .LBB1166_53
	s_branch .LBB1166_54
.LBB1166_229:
                                        ; implicit-def: $sgpr4_sgpr5
	s_branch .LBB1166_36
.LBB1166_230:
                                        ; implicit-def: $sgpr4_sgpr5
	s_branch .LBB1166_85
	.section	.rodata,"a",@progbits
	.p2align	6, 0x0
	.amdhsa_kernel _ZN7rocprim17ROCPRIM_400000_NS6detail17trampoline_kernelINS0_14default_configENS1_27scan_by_key_config_selectorIifEEZZNS1_16scan_by_key_implILNS1_25lookback_scan_determinismE0ELb0ES3_N6thrust23THRUST_200600_302600_NS6detail15normal_iteratorINS9_10device_ptrIiEEEENSB_INSC_IfEEEESG_fNS9_4plusIvEENS9_8equal_toIvEEfEE10hipError_tPvRmT2_T3_T4_T5_mT6_T7_P12ihipStream_tbENKUlT_T0_E_clISt17integral_constantIbLb0EES10_IbLb1EEEEDaSW_SX_EUlSW_E_NS1_11comp_targetILNS1_3genE4ELNS1_11target_archE910ELNS1_3gpuE8ELNS1_3repE0EEENS1_30default_config_static_selectorELNS0_4arch9wavefront6targetE1EEEvT1_
		.amdhsa_group_segment_fixed_size 16384
		.amdhsa_private_segment_fixed_size 0
		.amdhsa_kernarg_size 112
		.amdhsa_user_sgpr_count 6
		.amdhsa_user_sgpr_private_segment_buffer 1
		.amdhsa_user_sgpr_dispatch_ptr 0
		.amdhsa_user_sgpr_queue_ptr 0
		.amdhsa_user_sgpr_kernarg_segment_ptr 1
		.amdhsa_user_sgpr_dispatch_id 0
		.amdhsa_user_sgpr_flat_scratch_init 0
		.amdhsa_user_sgpr_kernarg_preload_length 0
		.amdhsa_user_sgpr_kernarg_preload_offset 0
		.amdhsa_user_sgpr_private_segment_size 0
		.amdhsa_uses_dynamic_stack 0
		.amdhsa_system_sgpr_private_segment_wavefront_offset 0
		.amdhsa_system_sgpr_workgroup_id_x 1
		.amdhsa_system_sgpr_workgroup_id_y 0
		.amdhsa_system_sgpr_workgroup_id_z 0
		.amdhsa_system_sgpr_workgroup_info 0
		.amdhsa_system_vgpr_workitem_id 0
		.amdhsa_next_free_vgpr 64
		.amdhsa_next_free_sgpr 67
		.amdhsa_accum_offset 64
		.amdhsa_reserve_vcc 1
		.amdhsa_reserve_flat_scratch 0
		.amdhsa_float_round_mode_32 0
		.amdhsa_float_round_mode_16_64 0
		.amdhsa_float_denorm_mode_32 3
		.amdhsa_float_denorm_mode_16_64 3
		.amdhsa_dx10_clamp 1
		.amdhsa_ieee_mode 1
		.amdhsa_fp16_overflow 0
		.amdhsa_tg_split 0
		.amdhsa_exception_fp_ieee_invalid_op 0
		.amdhsa_exception_fp_denorm_src 0
		.amdhsa_exception_fp_ieee_div_zero 0
		.amdhsa_exception_fp_ieee_overflow 0
		.amdhsa_exception_fp_ieee_underflow 0
		.amdhsa_exception_fp_ieee_inexact 0
		.amdhsa_exception_int_div_zero 0
	.end_amdhsa_kernel
	.section	.text._ZN7rocprim17ROCPRIM_400000_NS6detail17trampoline_kernelINS0_14default_configENS1_27scan_by_key_config_selectorIifEEZZNS1_16scan_by_key_implILNS1_25lookback_scan_determinismE0ELb0ES3_N6thrust23THRUST_200600_302600_NS6detail15normal_iteratorINS9_10device_ptrIiEEEENSB_INSC_IfEEEESG_fNS9_4plusIvEENS9_8equal_toIvEEfEE10hipError_tPvRmT2_T3_T4_T5_mT6_T7_P12ihipStream_tbENKUlT_T0_E_clISt17integral_constantIbLb0EES10_IbLb1EEEEDaSW_SX_EUlSW_E_NS1_11comp_targetILNS1_3genE4ELNS1_11target_archE910ELNS1_3gpuE8ELNS1_3repE0EEENS1_30default_config_static_selectorELNS0_4arch9wavefront6targetE1EEEvT1_,"axG",@progbits,_ZN7rocprim17ROCPRIM_400000_NS6detail17trampoline_kernelINS0_14default_configENS1_27scan_by_key_config_selectorIifEEZZNS1_16scan_by_key_implILNS1_25lookback_scan_determinismE0ELb0ES3_N6thrust23THRUST_200600_302600_NS6detail15normal_iteratorINS9_10device_ptrIiEEEENSB_INSC_IfEEEESG_fNS9_4plusIvEENS9_8equal_toIvEEfEE10hipError_tPvRmT2_T3_T4_T5_mT6_T7_P12ihipStream_tbENKUlT_T0_E_clISt17integral_constantIbLb0EES10_IbLb1EEEEDaSW_SX_EUlSW_E_NS1_11comp_targetILNS1_3genE4ELNS1_11target_archE910ELNS1_3gpuE8ELNS1_3repE0EEENS1_30default_config_static_selectorELNS0_4arch9wavefront6targetE1EEEvT1_,comdat
.Lfunc_end1166:
	.size	_ZN7rocprim17ROCPRIM_400000_NS6detail17trampoline_kernelINS0_14default_configENS1_27scan_by_key_config_selectorIifEEZZNS1_16scan_by_key_implILNS1_25lookback_scan_determinismE0ELb0ES3_N6thrust23THRUST_200600_302600_NS6detail15normal_iteratorINS9_10device_ptrIiEEEENSB_INSC_IfEEEESG_fNS9_4plusIvEENS9_8equal_toIvEEfEE10hipError_tPvRmT2_T3_T4_T5_mT6_T7_P12ihipStream_tbENKUlT_T0_E_clISt17integral_constantIbLb0EES10_IbLb1EEEEDaSW_SX_EUlSW_E_NS1_11comp_targetILNS1_3genE4ELNS1_11target_archE910ELNS1_3gpuE8ELNS1_3repE0EEENS1_30default_config_static_selectorELNS0_4arch9wavefront6targetE1EEEvT1_, .Lfunc_end1166-_ZN7rocprim17ROCPRIM_400000_NS6detail17trampoline_kernelINS0_14default_configENS1_27scan_by_key_config_selectorIifEEZZNS1_16scan_by_key_implILNS1_25lookback_scan_determinismE0ELb0ES3_N6thrust23THRUST_200600_302600_NS6detail15normal_iteratorINS9_10device_ptrIiEEEENSB_INSC_IfEEEESG_fNS9_4plusIvEENS9_8equal_toIvEEfEE10hipError_tPvRmT2_T3_T4_T5_mT6_T7_P12ihipStream_tbENKUlT_T0_E_clISt17integral_constantIbLb0EES10_IbLb1EEEEDaSW_SX_EUlSW_E_NS1_11comp_targetILNS1_3genE4ELNS1_11target_archE910ELNS1_3gpuE8ELNS1_3repE0EEENS1_30default_config_static_selectorELNS0_4arch9wavefront6targetE1EEEvT1_
                                        ; -- End function
	.section	.AMDGPU.csdata,"",@progbits
; Kernel info:
; codeLenInByte = 10684
; NumSgprs: 71
; NumVgprs: 64
; NumAgprs: 0
; TotalNumVgprs: 64
; ScratchSize: 0
; MemoryBound: 0
; FloatMode: 240
; IeeeMode: 1
; LDSByteSize: 16384 bytes/workgroup (compile time only)
; SGPRBlocks: 8
; VGPRBlocks: 7
; NumSGPRsForWavesPerEU: 71
; NumVGPRsForWavesPerEU: 64
; AccumOffset: 64
; Occupancy: 4
; WaveLimiterHint : 1
; COMPUTE_PGM_RSRC2:SCRATCH_EN: 0
; COMPUTE_PGM_RSRC2:USER_SGPR: 6
; COMPUTE_PGM_RSRC2:TRAP_HANDLER: 0
; COMPUTE_PGM_RSRC2:TGID_X_EN: 1
; COMPUTE_PGM_RSRC2:TGID_Y_EN: 0
; COMPUTE_PGM_RSRC2:TGID_Z_EN: 0
; COMPUTE_PGM_RSRC2:TIDIG_COMP_CNT: 0
; COMPUTE_PGM_RSRC3_GFX90A:ACCUM_OFFSET: 15
; COMPUTE_PGM_RSRC3_GFX90A:TG_SPLIT: 0
	.section	.text._ZN7rocprim17ROCPRIM_400000_NS6detail17trampoline_kernelINS0_14default_configENS1_27scan_by_key_config_selectorIifEEZZNS1_16scan_by_key_implILNS1_25lookback_scan_determinismE0ELb0ES3_N6thrust23THRUST_200600_302600_NS6detail15normal_iteratorINS9_10device_ptrIiEEEENSB_INSC_IfEEEESG_fNS9_4plusIvEENS9_8equal_toIvEEfEE10hipError_tPvRmT2_T3_T4_T5_mT6_T7_P12ihipStream_tbENKUlT_T0_E_clISt17integral_constantIbLb0EES10_IbLb1EEEEDaSW_SX_EUlSW_E_NS1_11comp_targetILNS1_3genE3ELNS1_11target_archE908ELNS1_3gpuE7ELNS1_3repE0EEENS1_30default_config_static_selectorELNS0_4arch9wavefront6targetE1EEEvT1_,"axG",@progbits,_ZN7rocprim17ROCPRIM_400000_NS6detail17trampoline_kernelINS0_14default_configENS1_27scan_by_key_config_selectorIifEEZZNS1_16scan_by_key_implILNS1_25lookback_scan_determinismE0ELb0ES3_N6thrust23THRUST_200600_302600_NS6detail15normal_iteratorINS9_10device_ptrIiEEEENSB_INSC_IfEEEESG_fNS9_4plusIvEENS9_8equal_toIvEEfEE10hipError_tPvRmT2_T3_T4_T5_mT6_T7_P12ihipStream_tbENKUlT_T0_E_clISt17integral_constantIbLb0EES10_IbLb1EEEEDaSW_SX_EUlSW_E_NS1_11comp_targetILNS1_3genE3ELNS1_11target_archE908ELNS1_3gpuE7ELNS1_3repE0EEENS1_30default_config_static_selectorELNS0_4arch9wavefront6targetE1EEEvT1_,comdat
	.protected	_ZN7rocprim17ROCPRIM_400000_NS6detail17trampoline_kernelINS0_14default_configENS1_27scan_by_key_config_selectorIifEEZZNS1_16scan_by_key_implILNS1_25lookback_scan_determinismE0ELb0ES3_N6thrust23THRUST_200600_302600_NS6detail15normal_iteratorINS9_10device_ptrIiEEEENSB_INSC_IfEEEESG_fNS9_4plusIvEENS9_8equal_toIvEEfEE10hipError_tPvRmT2_T3_T4_T5_mT6_T7_P12ihipStream_tbENKUlT_T0_E_clISt17integral_constantIbLb0EES10_IbLb1EEEEDaSW_SX_EUlSW_E_NS1_11comp_targetILNS1_3genE3ELNS1_11target_archE908ELNS1_3gpuE7ELNS1_3repE0EEENS1_30default_config_static_selectorELNS0_4arch9wavefront6targetE1EEEvT1_ ; -- Begin function _ZN7rocprim17ROCPRIM_400000_NS6detail17trampoline_kernelINS0_14default_configENS1_27scan_by_key_config_selectorIifEEZZNS1_16scan_by_key_implILNS1_25lookback_scan_determinismE0ELb0ES3_N6thrust23THRUST_200600_302600_NS6detail15normal_iteratorINS9_10device_ptrIiEEEENSB_INSC_IfEEEESG_fNS9_4plusIvEENS9_8equal_toIvEEfEE10hipError_tPvRmT2_T3_T4_T5_mT6_T7_P12ihipStream_tbENKUlT_T0_E_clISt17integral_constantIbLb0EES10_IbLb1EEEEDaSW_SX_EUlSW_E_NS1_11comp_targetILNS1_3genE3ELNS1_11target_archE908ELNS1_3gpuE7ELNS1_3repE0EEENS1_30default_config_static_selectorELNS0_4arch9wavefront6targetE1EEEvT1_
	.globl	_ZN7rocprim17ROCPRIM_400000_NS6detail17trampoline_kernelINS0_14default_configENS1_27scan_by_key_config_selectorIifEEZZNS1_16scan_by_key_implILNS1_25lookback_scan_determinismE0ELb0ES3_N6thrust23THRUST_200600_302600_NS6detail15normal_iteratorINS9_10device_ptrIiEEEENSB_INSC_IfEEEESG_fNS9_4plusIvEENS9_8equal_toIvEEfEE10hipError_tPvRmT2_T3_T4_T5_mT6_T7_P12ihipStream_tbENKUlT_T0_E_clISt17integral_constantIbLb0EES10_IbLb1EEEEDaSW_SX_EUlSW_E_NS1_11comp_targetILNS1_3genE3ELNS1_11target_archE908ELNS1_3gpuE7ELNS1_3repE0EEENS1_30default_config_static_selectorELNS0_4arch9wavefront6targetE1EEEvT1_
	.p2align	8
	.type	_ZN7rocprim17ROCPRIM_400000_NS6detail17trampoline_kernelINS0_14default_configENS1_27scan_by_key_config_selectorIifEEZZNS1_16scan_by_key_implILNS1_25lookback_scan_determinismE0ELb0ES3_N6thrust23THRUST_200600_302600_NS6detail15normal_iteratorINS9_10device_ptrIiEEEENSB_INSC_IfEEEESG_fNS9_4plusIvEENS9_8equal_toIvEEfEE10hipError_tPvRmT2_T3_T4_T5_mT6_T7_P12ihipStream_tbENKUlT_T0_E_clISt17integral_constantIbLb0EES10_IbLb1EEEEDaSW_SX_EUlSW_E_NS1_11comp_targetILNS1_3genE3ELNS1_11target_archE908ELNS1_3gpuE7ELNS1_3repE0EEENS1_30default_config_static_selectorELNS0_4arch9wavefront6targetE1EEEvT1_,@function
_ZN7rocprim17ROCPRIM_400000_NS6detail17trampoline_kernelINS0_14default_configENS1_27scan_by_key_config_selectorIifEEZZNS1_16scan_by_key_implILNS1_25lookback_scan_determinismE0ELb0ES3_N6thrust23THRUST_200600_302600_NS6detail15normal_iteratorINS9_10device_ptrIiEEEENSB_INSC_IfEEEESG_fNS9_4plusIvEENS9_8equal_toIvEEfEE10hipError_tPvRmT2_T3_T4_T5_mT6_T7_P12ihipStream_tbENKUlT_T0_E_clISt17integral_constantIbLb0EES10_IbLb1EEEEDaSW_SX_EUlSW_E_NS1_11comp_targetILNS1_3genE3ELNS1_11target_archE908ELNS1_3gpuE7ELNS1_3repE0EEENS1_30default_config_static_selectorELNS0_4arch9wavefront6targetE1EEEvT1_: ; @_ZN7rocprim17ROCPRIM_400000_NS6detail17trampoline_kernelINS0_14default_configENS1_27scan_by_key_config_selectorIifEEZZNS1_16scan_by_key_implILNS1_25lookback_scan_determinismE0ELb0ES3_N6thrust23THRUST_200600_302600_NS6detail15normal_iteratorINS9_10device_ptrIiEEEENSB_INSC_IfEEEESG_fNS9_4plusIvEENS9_8equal_toIvEEfEE10hipError_tPvRmT2_T3_T4_T5_mT6_T7_P12ihipStream_tbENKUlT_T0_E_clISt17integral_constantIbLb0EES10_IbLb1EEEEDaSW_SX_EUlSW_E_NS1_11comp_targetILNS1_3genE3ELNS1_11target_archE908ELNS1_3gpuE7ELNS1_3repE0EEENS1_30default_config_static_selectorELNS0_4arch9wavefront6targetE1EEEvT1_
; %bb.0:
	.section	.rodata,"a",@progbits
	.p2align	6, 0x0
	.amdhsa_kernel _ZN7rocprim17ROCPRIM_400000_NS6detail17trampoline_kernelINS0_14default_configENS1_27scan_by_key_config_selectorIifEEZZNS1_16scan_by_key_implILNS1_25lookback_scan_determinismE0ELb0ES3_N6thrust23THRUST_200600_302600_NS6detail15normal_iteratorINS9_10device_ptrIiEEEENSB_INSC_IfEEEESG_fNS9_4plusIvEENS9_8equal_toIvEEfEE10hipError_tPvRmT2_T3_T4_T5_mT6_T7_P12ihipStream_tbENKUlT_T0_E_clISt17integral_constantIbLb0EES10_IbLb1EEEEDaSW_SX_EUlSW_E_NS1_11comp_targetILNS1_3genE3ELNS1_11target_archE908ELNS1_3gpuE7ELNS1_3repE0EEENS1_30default_config_static_selectorELNS0_4arch9wavefront6targetE1EEEvT1_
		.amdhsa_group_segment_fixed_size 0
		.amdhsa_private_segment_fixed_size 0
		.amdhsa_kernarg_size 112
		.amdhsa_user_sgpr_count 6
		.amdhsa_user_sgpr_private_segment_buffer 1
		.amdhsa_user_sgpr_dispatch_ptr 0
		.amdhsa_user_sgpr_queue_ptr 0
		.amdhsa_user_sgpr_kernarg_segment_ptr 1
		.amdhsa_user_sgpr_dispatch_id 0
		.amdhsa_user_sgpr_flat_scratch_init 0
		.amdhsa_user_sgpr_kernarg_preload_length 0
		.amdhsa_user_sgpr_kernarg_preload_offset 0
		.amdhsa_user_sgpr_private_segment_size 0
		.amdhsa_uses_dynamic_stack 0
		.amdhsa_system_sgpr_private_segment_wavefront_offset 0
		.amdhsa_system_sgpr_workgroup_id_x 1
		.amdhsa_system_sgpr_workgroup_id_y 0
		.amdhsa_system_sgpr_workgroup_id_z 0
		.amdhsa_system_sgpr_workgroup_info 0
		.amdhsa_system_vgpr_workitem_id 0
		.amdhsa_next_free_vgpr 1
		.amdhsa_next_free_sgpr 0
		.amdhsa_accum_offset 4
		.amdhsa_reserve_vcc 0
		.amdhsa_reserve_flat_scratch 0
		.amdhsa_float_round_mode_32 0
		.amdhsa_float_round_mode_16_64 0
		.amdhsa_float_denorm_mode_32 3
		.amdhsa_float_denorm_mode_16_64 3
		.amdhsa_dx10_clamp 1
		.amdhsa_ieee_mode 1
		.amdhsa_fp16_overflow 0
		.amdhsa_tg_split 0
		.amdhsa_exception_fp_ieee_invalid_op 0
		.amdhsa_exception_fp_denorm_src 0
		.amdhsa_exception_fp_ieee_div_zero 0
		.amdhsa_exception_fp_ieee_overflow 0
		.amdhsa_exception_fp_ieee_underflow 0
		.amdhsa_exception_fp_ieee_inexact 0
		.amdhsa_exception_int_div_zero 0
	.end_amdhsa_kernel
	.section	.text._ZN7rocprim17ROCPRIM_400000_NS6detail17trampoline_kernelINS0_14default_configENS1_27scan_by_key_config_selectorIifEEZZNS1_16scan_by_key_implILNS1_25lookback_scan_determinismE0ELb0ES3_N6thrust23THRUST_200600_302600_NS6detail15normal_iteratorINS9_10device_ptrIiEEEENSB_INSC_IfEEEESG_fNS9_4plusIvEENS9_8equal_toIvEEfEE10hipError_tPvRmT2_T3_T4_T5_mT6_T7_P12ihipStream_tbENKUlT_T0_E_clISt17integral_constantIbLb0EES10_IbLb1EEEEDaSW_SX_EUlSW_E_NS1_11comp_targetILNS1_3genE3ELNS1_11target_archE908ELNS1_3gpuE7ELNS1_3repE0EEENS1_30default_config_static_selectorELNS0_4arch9wavefront6targetE1EEEvT1_,"axG",@progbits,_ZN7rocprim17ROCPRIM_400000_NS6detail17trampoline_kernelINS0_14default_configENS1_27scan_by_key_config_selectorIifEEZZNS1_16scan_by_key_implILNS1_25lookback_scan_determinismE0ELb0ES3_N6thrust23THRUST_200600_302600_NS6detail15normal_iteratorINS9_10device_ptrIiEEEENSB_INSC_IfEEEESG_fNS9_4plusIvEENS9_8equal_toIvEEfEE10hipError_tPvRmT2_T3_T4_T5_mT6_T7_P12ihipStream_tbENKUlT_T0_E_clISt17integral_constantIbLb0EES10_IbLb1EEEEDaSW_SX_EUlSW_E_NS1_11comp_targetILNS1_3genE3ELNS1_11target_archE908ELNS1_3gpuE7ELNS1_3repE0EEENS1_30default_config_static_selectorELNS0_4arch9wavefront6targetE1EEEvT1_,comdat
.Lfunc_end1167:
	.size	_ZN7rocprim17ROCPRIM_400000_NS6detail17trampoline_kernelINS0_14default_configENS1_27scan_by_key_config_selectorIifEEZZNS1_16scan_by_key_implILNS1_25lookback_scan_determinismE0ELb0ES3_N6thrust23THRUST_200600_302600_NS6detail15normal_iteratorINS9_10device_ptrIiEEEENSB_INSC_IfEEEESG_fNS9_4plusIvEENS9_8equal_toIvEEfEE10hipError_tPvRmT2_T3_T4_T5_mT6_T7_P12ihipStream_tbENKUlT_T0_E_clISt17integral_constantIbLb0EES10_IbLb1EEEEDaSW_SX_EUlSW_E_NS1_11comp_targetILNS1_3genE3ELNS1_11target_archE908ELNS1_3gpuE7ELNS1_3repE0EEENS1_30default_config_static_selectorELNS0_4arch9wavefront6targetE1EEEvT1_, .Lfunc_end1167-_ZN7rocprim17ROCPRIM_400000_NS6detail17trampoline_kernelINS0_14default_configENS1_27scan_by_key_config_selectorIifEEZZNS1_16scan_by_key_implILNS1_25lookback_scan_determinismE0ELb0ES3_N6thrust23THRUST_200600_302600_NS6detail15normal_iteratorINS9_10device_ptrIiEEEENSB_INSC_IfEEEESG_fNS9_4plusIvEENS9_8equal_toIvEEfEE10hipError_tPvRmT2_T3_T4_T5_mT6_T7_P12ihipStream_tbENKUlT_T0_E_clISt17integral_constantIbLb0EES10_IbLb1EEEEDaSW_SX_EUlSW_E_NS1_11comp_targetILNS1_3genE3ELNS1_11target_archE908ELNS1_3gpuE7ELNS1_3repE0EEENS1_30default_config_static_selectorELNS0_4arch9wavefront6targetE1EEEvT1_
                                        ; -- End function
	.section	.AMDGPU.csdata,"",@progbits
; Kernel info:
; codeLenInByte = 0
; NumSgprs: 4
; NumVgprs: 0
; NumAgprs: 0
; TotalNumVgprs: 0
; ScratchSize: 0
; MemoryBound: 0
; FloatMode: 240
; IeeeMode: 1
; LDSByteSize: 0 bytes/workgroup (compile time only)
; SGPRBlocks: 0
; VGPRBlocks: 0
; NumSGPRsForWavesPerEU: 4
; NumVGPRsForWavesPerEU: 1
; AccumOffset: 4
; Occupancy: 8
; WaveLimiterHint : 0
; COMPUTE_PGM_RSRC2:SCRATCH_EN: 0
; COMPUTE_PGM_RSRC2:USER_SGPR: 6
; COMPUTE_PGM_RSRC2:TRAP_HANDLER: 0
; COMPUTE_PGM_RSRC2:TGID_X_EN: 1
; COMPUTE_PGM_RSRC2:TGID_Y_EN: 0
; COMPUTE_PGM_RSRC2:TGID_Z_EN: 0
; COMPUTE_PGM_RSRC2:TIDIG_COMP_CNT: 0
; COMPUTE_PGM_RSRC3_GFX90A:ACCUM_OFFSET: 0
; COMPUTE_PGM_RSRC3_GFX90A:TG_SPLIT: 0
	.section	.text._ZN7rocprim17ROCPRIM_400000_NS6detail17trampoline_kernelINS0_14default_configENS1_27scan_by_key_config_selectorIifEEZZNS1_16scan_by_key_implILNS1_25lookback_scan_determinismE0ELb0ES3_N6thrust23THRUST_200600_302600_NS6detail15normal_iteratorINS9_10device_ptrIiEEEENSB_INSC_IfEEEESG_fNS9_4plusIvEENS9_8equal_toIvEEfEE10hipError_tPvRmT2_T3_T4_T5_mT6_T7_P12ihipStream_tbENKUlT_T0_E_clISt17integral_constantIbLb0EES10_IbLb1EEEEDaSW_SX_EUlSW_E_NS1_11comp_targetILNS1_3genE2ELNS1_11target_archE906ELNS1_3gpuE6ELNS1_3repE0EEENS1_30default_config_static_selectorELNS0_4arch9wavefront6targetE1EEEvT1_,"axG",@progbits,_ZN7rocprim17ROCPRIM_400000_NS6detail17trampoline_kernelINS0_14default_configENS1_27scan_by_key_config_selectorIifEEZZNS1_16scan_by_key_implILNS1_25lookback_scan_determinismE0ELb0ES3_N6thrust23THRUST_200600_302600_NS6detail15normal_iteratorINS9_10device_ptrIiEEEENSB_INSC_IfEEEESG_fNS9_4plusIvEENS9_8equal_toIvEEfEE10hipError_tPvRmT2_T3_T4_T5_mT6_T7_P12ihipStream_tbENKUlT_T0_E_clISt17integral_constantIbLb0EES10_IbLb1EEEEDaSW_SX_EUlSW_E_NS1_11comp_targetILNS1_3genE2ELNS1_11target_archE906ELNS1_3gpuE6ELNS1_3repE0EEENS1_30default_config_static_selectorELNS0_4arch9wavefront6targetE1EEEvT1_,comdat
	.protected	_ZN7rocprim17ROCPRIM_400000_NS6detail17trampoline_kernelINS0_14default_configENS1_27scan_by_key_config_selectorIifEEZZNS1_16scan_by_key_implILNS1_25lookback_scan_determinismE0ELb0ES3_N6thrust23THRUST_200600_302600_NS6detail15normal_iteratorINS9_10device_ptrIiEEEENSB_INSC_IfEEEESG_fNS9_4plusIvEENS9_8equal_toIvEEfEE10hipError_tPvRmT2_T3_T4_T5_mT6_T7_P12ihipStream_tbENKUlT_T0_E_clISt17integral_constantIbLb0EES10_IbLb1EEEEDaSW_SX_EUlSW_E_NS1_11comp_targetILNS1_3genE2ELNS1_11target_archE906ELNS1_3gpuE6ELNS1_3repE0EEENS1_30default_config_static_selectorELNS0_4arch9wavefront6targetE1EEEvT1_ ; -- Begin function _ZN7rocprim17ROCPRIM_400000_NS6detail17trampoline_kernelINS0_14default_configENS1_27scan_by_key_config_selectorIifEEZZNS1_16scan_by_key_implILNS1_25lookback_scan_determinismE0ELb0ES3_N6thrust23THRUST_200600_302600_NS6detail15normal_iteratorINS9_10device_ptrIiEEEENSB_INSC_IfEEEESG_fNS9_4plusIvEENS9_8equal_toIvEEfEE10hipError_tPvRmT2_T3_T4_T5_mT6_T7_P12ihipStream_tbENKUlT_T0_E_clISt17integral_constantIbLb0EES10_IbLb1EEEEDaSW_SX_EUlSW_E_NS1_11comp_targetILNS1_3genE2ELNS1_11target_archE906ELNS1_3gpuE6ELNS1_3repE0EEENS1_30default_config_static_selectorELNS0_4arch9wavefront6targetE1EEEvT1_
	.globl	_ZN7rocprim17ROCPRIM_400000_NS6detail17trampoline_kernelINS0_14default_configENS1_27scan_by_key_config_selectorIifEEZZNS1_16scan_by_key_implILNS1_25lookback_scan_determinismE0ELb0ES3_N6thrust23THRUST_200600_302600_NS6detail15normal_iteratorINS9_10device_ptrIiEEEENSB_INSC_IfEEEESG_fNS9_4plusIvEENS9_8equal_toIvEEfEE10hipError_tPvRmT2_T3_T4_T5_mT6_T7_P12ihipStream_tbENKUlT_T0_E_clISt17integral_constantIbLb0EES10_IbLb1EEEEDaSW_SX_EUlSW_E_NS1_11comp_targetILNS1_3genE2ELNS1_11target_archE906ELNS1_3gpuE6ELNS1_3repE0EEENS1_30default_config_static_selectorELNS0_4arch9wavefront6targetE1EEEvT1_
	.p2align	8
	.type	_ZN7rocprim17ROCPRIM_400000_NS6detail17trampoline_kernelINS0_14default_configENS1_27scan_by_key_config_selectorIifEEZZNS1_16scan_by_key_implILNS1_25lookback_scan_determinismE0ELb0ES3_N6thrust23THRUST_200600_302600_NS6detail15normal_iteratorINS9_10device_ptrIiEEEENSB_INSC_IfEEEESG_fNS9_4plusIvEENS9_8equal_toIvEEfEE10hipError_tPvRmT2_T3_T4_T5_mT6_T7_P12ihipStream_tbENKUlT_T0_E_clISt17integral_constantIbLb0EES10_IbLb1EEEEDaSW_SX_EUlSW_E_NS1_11comp_targetILNS1_3genE2ELNS1_11target_archE906ELNS1_3gpuE6ELNS1_3repE0EEENS1_30default_config_static_selectorELNS0_4arch9wavefront6targetE1EEEvT1_,@function
_ZN7rocprim17ROCPRIM_400000_NS6detail17trampoline_kernelINS0_14default_configENS1_27scan_by_key_config_selectorIifEEZZNS1_16scan_by_key_implILNS1_25lookback_scan_determinismE0ELb0ES3_N6thrust23THRUST_200600_302600_NS6detail15normal_iteratorINS9_10device_ptrIiEEEENSB_INSC_IfEEEESG_fNS9_4plusIvEENS9_8equal_toIvEEfEE10hipError_tPvRmT2_T3_T4_T5_mT6_T7_P12ihipStream_tbENKUlT_T0_E_clISt17integral_constantIbLb0EES10_IbLb1EEEEDaSW_SX_EUlSW_E_NS1_11comp_targetILNS1_3genE2ELNS1_11target_archE906ELNS1_3gpuE6ELNS1_3repE0EEENS1_30default_config_static_selectorELNS0_4arch9wavefront6targetE1EEEvT1_: ; @_ZN7rocprim17ROCPRIM_400000_NS6detail17trampoline_kernelINS0_14default_configENS1_27scan_by_key_config_selectorIifEEZZNS1_16scan_by_key_implILNS1_25lookback_scan_determinismE0ELb0ES3_N6thrust23THRUST_200600_302600_NS6detail15normal_iteratorINS9_10device_ptrIiEEEENSB_INSC_IfEEEESG_fNS9_4plusIvEENS9_8equal_toIvEEfEE10hipError_tPvRmT2_T3_T4_T5_mT6_T7_P12ihipStream_tbENKUlT_T0_E_clISt17integral_constantIbLb0EES10_IbLb1EEEEDaSW_SX_EUlSW_E_NS1_11comp_targetILNS1_3genE2ELNS1_11target_archE906ELNS1_3gpuE6ELNS1_3repE0EEENS1_30default_config_static_selectorELNS0_4arch9wavefront6targetE1EEEvT1_
; %bb.0:
	.section	.rodata,"a",@progbits
	.p2align	6, 0x0
	.amdhsa_kernel _ZN7rocprim17ROCPRIM_400000_NS6detail17trampoline_kernelINS0_14default_configENS1_27scan_by_key_config_selectorIifEEZZNS1_16scan_by_key_implILNS1_25lookback_scan_determinismE0ELb0ES3_N6thrust23THRUST_200600_302600_NS6detail15normal_iteratorINS9_10device_ptrIiEEEENSB_INSC_IfEEEESG_fNS9_4plusIvEENS9_8equal_toIvEEfEE10hipError_tPvRmT2_T3_T4_T5_mT6_T7_P12ihipStream_tbENKUlT_T0_E_clISt17integral_constantIbLb0EES10_IbLb1EEEEDaSW_SX_EUlSW_E_NS1_11comp_targetILNS1_3genE2ELNS1_11target_archE906ELNS1_3gpuE6ELNS1_3repE0EEENS1_30default_config_static_selectorELNS0_4arch9wavefront6targetE1EEEvT1_
		.amdhsa_group_segment_fixed_size 0
		.amdhsa_private_segment_fixed_size 0
		.amdhsa_kernarg_size 112
		.amdhsa_user_sgpr_count 6
		.amdhsa_user_sgpr_private_segment_buffer 1
		.amdhsa_user_sgpr_dispatch_ptr 0
		.amdhsa_user_sgpr_queue_ptr 0
		.amdhsa_user_sgpr_kernarg_segment_ptr 1
		.amdhsa_user_sgpr_dispatch_id 0
		.amdhsa_user_sgpr_flat_scratch_init 0
		.amdhsa_user_sgpr_kernarg_preload_length 0
		.amdhsa_user_sgpr_kernarg_preload_offset 0
		.amdhsa_user_sgpr_private_segment_size 0
		.amdhsa_uses_dynamic_stack 0
		.amdhsa_system_sgpr_private_segment_wavefront_offset 0
		.amdhsa_system_sgpr_workgroup_id_x 1
		.amdhsa_system_sgpr_workgroup_id_y 0
		.amdhsa_system_sgpr_workgroup_id_z 0
		.amdhsa_system_sgpr_workgroup_info 0
		.amdhsa_system_vgpr_workitem_id 0
		.amdhsa_next_free_vgpr 1
		.amdhsa_next_free_sgpr 0
		.amdhsa_accum_offset 4
		.amdhsa_reserve_vcc 0
		.amdhsa_reserve_flat_scratch 0
		.amdhsa_float_round_mode_32 0
		.amdhsa_float_round_mode_16_64 0
		.amdhsa_float_denorm_mode_32 3
		.amdhsa_float_denorm_mode_16_64 3
		.amdhsa_dx10_clamp 1
		.amdhsa_ieee_mode 1
		.amdhsa_fp16_overflow 0
		.amdhsa_tg_split 0
		.amdhsa_exception_fp_ieee_invalid_op 0
		.amdhsa_exception_fp_denorm_src 0
		.amdhsa_exception_fp_ieee_div_zero 0
		.amdhsa_exception_fp_ieee_overflow 0
		.amdhsa_exception_fp_ieee_underflow 0
		.amdhsa_exception_fp_ieee_inexact 0
		.amdhsa_exception_int_div_zero 0
	.end_amdhsa_kernel
	.section	.text._ZN7rocprim17ROCPRIM_400000_NS6detail17trampoline_kernelINS0_14default_configENS1_27scan_by_key_config_selectorIifEEZZNS1_16scan_by_key_implILNS1_25lookback_scan_determinismE0ELb0ES3_N6thrust23THRUST_200600_302600_NS6detail15normal_iteratorINS9_10device_ptrIiEEEENSB_INSC_IfEEEESG_fNS9_4plusIvEENS9_8equal_toIvEEfEE10hipError_tPvRmT2_T3_T4_T5_mT6_T7_P12ihipStream_tbENKUlT_T0_E_clISt17integral_constantIbLb0EES10_IbLb1EEEEDaSW_SX_EUlSW_E_NS1_11comp_targetILNS1_3genE2ELNS1_11target_archE906ELNS1_3gpuE6ELNS1_3repE0EEENS1_30default_config_static_selectorELNS0_4arch9wavefront6targetE1EEEvT1_,"axG",@progbits,_ZN7rocprim17ROCPRIM_400000_NS6detail17trampoline_kernelINS0_14default_configENS1_27scan_by_key_config_selectorIifEEZZNS1_16scan_by_key_implILNS1_25lookback_scan_determinismE0ELb0ES3_N6thrust23THRUST_200600_302600_NS6detail15normal_iteratorINS9_10device_ptrIiEEEENSB_INSC_IfEEEESG_fNS9_4plusIvEENS9_8equal_toIvEEfEE10hipError_tPvRmT2_T3_T4_T5_mT6_T7_P12ihipStream_tbENKUlT_T0_E_clISt17integral_constantIbLb0EES10_IbLb1EEEEDaSW_SX_EUlSW_E_NS1_11comp_targetILNS1_3genE2ELNS1_11target_archE906ELNS1_3gpuE6ELNS1_3repE0EEENS1_30default_config_static_selectorELNS0_4arch9wavefront6targetE1EEEvT1_,comdat
.Lfunc_end1168:
	.size	_ZN7rocprim17ROCPRIM_400000_NS6detail17trampoline_kernelINS0_14default_configENS1_27scan_by_key_config_selectorIifEEZZNS1_16scan_by_key_implILNS1_25lookback_scan_determinismE0ELb0ES3_N6thrust23THRUST_200600_302600_NS6detail15normal_iteratorINS9_10device_ptrIiEEEENSB_INSC_IfEEEESG_fNS9_4plusIvEENS9_8equal_toIvEEfEE10hipError_tPvRmT2_T3_T4_T5_mT6_T7_P12ihipStream_tbENKUlT_T0_E_clISt17integral_constantIbLb0EES10_IbLb1EEEEDaSW_SX_EUlSW_E_NS1_11comp_targetILNS1_3genE2ELNS1_11target_archE906ELNS1_3gpuE6ELNS1_3repE0EEENS1_30default_config_static_selectorELNS0_4arch9wavefront6targetE1EEEvT1_, .Lfunc_end1168-_ZN7rocprim17ROCPRIM_400000_NS6detail17trampoline_kernelINS0_14default_configENS1_27scan_by_key_config_selectorIifEEZZNS1_16scan_by_key_implILNS1_25lookback_scan_determinismE0ELb0ES3_N6thrust23THRUST_200600_302600_NS6detail15normal_iteratorINS9_10device_ptrIiEEEENSB_INSC_IfEEEESG_fNS9_4plusIvEENS9_8equal_toIvEEfEE10hipError_tPvRmT2_T3_T4_T5_mT6_T7_P12ihipStream_tbENKUlT_T0_E_clISt17integral_constantIbLb0EES10_IbLb1EEEEDaSW_SX_EUlSW_E_NS1_11comp_targetILNS1_3genE2ELNS1_11target_archE906ELNS1_3gpuE6ELNS1_3repE0EEENS1_30default_config_static_selectorELNS0_4arch9wavefront6targetE1EEEvT1_
                                        ; -- End function
	.section	.AMDGPU.csdata,"",@progbits
; Kernel info:
; codeLenInByte = 0
; NumSgprs: 4
; NumVgprs: 0
; NumAgprs: 0
; TotalNumVgprs: 0
; ScratchSize: 0
; MemoryBound: 0
; FloatMode: 240
; IeeeMode: 1
; LDSByteSize: 0 bytes/workgroup (compile time only)
; SGPRBlocks: 0
; VGPRBlocks: 0
; NumSGPRsForWavesPerEU: 4
; NumVGPRsForWavesPerEU: 1
; AccumOffset: 4
; Occupancy: 8
; WaveLimiterHint : 0
; COMPUTE_PGM_RSRC2:SCRATCH_EN: 0
; COMPUTE_PGM_RSRC2:USER_SGPR: 6
; COMPUTE_PGM_RSRC2:TRAP_HANDLER: 0
; COMPUTE_PGM_RSRC2:TGID_X_EN: 1
; COMPUTE_PGM_RSRC2:TGID_Y_EN: 0
; COMPUTE_PGM_RSRC2:TGID_Z_EN: 0
; COMPUTE_PGM_RSRC2:TIDIG_COMP_CNT: 0
; COMPUTE_PGM_RSRC3_GFX90A:ACCUM_OFFSET: 0
; COMPUTE_PGM_RSRC3_GFX90A:TG_SPLIT: 0
	.section	.text._ZN7rocprim17ROCPRIM_400000_NS6detail17trampoline_kernelINS0_14default_configENS1_27scan_by_key_config_selectorIifEEZZNS1_16scan_by_key_implILNS1_25lookback_scan_determinismE0ELb0ES3_N6thrust23THRUST_200600_302600_NS6detail15normal_iteratorINS9_10device_ptrIiEEEENSB_INSC_IfEEEESG_fNS9_4plusIvEENS9_8equal_toIvEEfEE10hipError_tPvRmT2_T3_T4_T5_mT6_T7_P12ihipStream_tbENKUlT_T0_E_clISt17integral_constantIbLb0EES10_IbLb1EEEEDaSW_SX_EUlSW_E_NS1_11comp_targetILNS1_3genE10ELNS1_11target_archE1200ELNS1_3gpuE4ELNS1_3repE0EEENS1_30default_config_static_selectorELNS0_4arch9wavefront6targetE1EEEvT1_,"axG",@progbits,_ZN7rocprim17ROCPRIM_400000_NS6detail17trampoline_kernelINS0_14default_configENS1_27scan_by_key_config_selectorIifEEZZNS1_16scan_by_key_implILNS1_25lookback_scan_determinismE0ELb0ES3_N6thrust23THRUST_200600_302600_NS6detail15normal_iteratorINS9_10device_ptrIiEEEENSB_INSC_IfEEEESG_fNS9_4plusIvEENS9_8equal_toIvEEfEE10hipError_tPvRmT2_T3_T4_T5_mT6_T7_P12ihipStream_tbENKUlT_T0_E_clISt17integral_constantIbLb0EES10_IbLb1EEEEDaSW_SX_EUlSW_E_NS1_11comp_targetILNS1_3genE10ELNS1_11target_archE1200ELNS1_3gpuE4ELNS1_3repE0EEENS1_30default_config_static_selectorELNS0_4arch9wavefront6targetE1EEEvT1_,comdat
	.protected	_ZN7rocprim17ROCPRIM_400000_NS6detail17trampoline_kernelINS0_14default_configENS1_27scan_by_key_config_selectorIifEEZZNS1_16scan_by_key_implILNS1_25lookback_scan_determinismE0ELb0ES3_N6thrust23THRUST_200600_302600_NS6detail15normal_iteratorINS9_10device_ptrIiEEEENSB_INSC_IfEEEESG_fNS9_4plusIvEENS9_8equal_toIvEEfEE10hipError_tPvRmT2_T3_T4_T5_mT6_T7_P12ihipStream_tbENKUlT_T0_E_clISt17integral_constantIbLb0EES10_IbLb1EEEEDaSW_SX_EUlSW_E_NS1_11comp_targetILNS1_3genE10ELNS1_11target_archE1200ELNS1_3gpuE4ELNS1_3repE0EEENS1_30default_config_static_selectorELNS0_4arch9wavefront6targetE1EEEvT1_ ; -- Begin function _ZN7rocprim17ROCPRIM_400000_NS6detail17trampoline_kernelINS0_14default_configENS1_27scan_by_key_config_selectorIifEEZZNS1_16scan_by_key_implILNS1_25lookback_scan_determinismE0ELb0ES3_N6thrust23THRUST_200600_302600_NS6detail15normal_iteratorINS9_10device_ptrIiEEEENSB_INSC_IfEEEESG_fNS9_4plusIvEENS9_8equal_toIvEEfEE10hipError_tPvRmT2_T3_T4_T5_mT6_T7_P12ihipStream_tbENKUlT_T0_E_clISt17integral_constantIbLb0EES10_IbLb1EEEEDaSW_SX_EUlSW_E_NS1_11comp_targetILNS1_3genE10ELNS1_11target_archE1200ELNS1_3gpuE4ELNS1_3repE0EEENS1_30default_config_static_selectorELNS0_4arch9wavefront6targetE1EEEvT1_
	.globl	_ZN7rocprim17ROCPRIM_400000_NS6detail17trampoline_kernelINS0_14default_configENS1_27scan_by_key_config_selectorIifEEZZNS1_16scan_by_key_implILNS1_25lookback_scan_determinismE0ELb0ES3_N6thrust23THRUST_200600_302600_NS6detail15normal_iteratorINS9_10device_ptrIiEEEENSB_INSC_IfEEEESG_fNS9_4plusIvEENS9_8equal_toIvEEfEE10hipError_tPvRmT2_T3_T4_T5_mT6_T7_P12ihipStream_tbENKUlT_T0_E_clISt17integral_constantIbLb0EES10_IbLb1EEEEDaSW_SX_EUlSW_E_NS1_11comp_targetILNS1_3genE10ELNS1_11target_archE1200ELNS1_3gpuE4ELNS1_3repE0EEENS1_30default_config_static_selectorELNS0_4arch9wavefront6targetE1EEEvT1_
	.p2align	8
	.type	_ZN7rocprim17ROCPRIM_400000_NS6detail17trampoline_kernelINS0_14default_configENS1_27scan_by_key_config_selectorIifEEZZNS1_16scan_by_key_implILNS1_25lookback_scan_determinismE0ELb0ES3_N6thrust23THRUST_200600_302600_NS6detail15normal_iteratorINS9_10device_ptrIiEEEENSB_INSC_IfEEEESG_fNS9_4plusIvEENS9_8equal_toIvEEfEE10hipError_tPvRmT2_T3_T4_T5_mT6_T7_P12ihipStream_tbENKUlT_T0_E_clISt17integral_constantIbLb0EES10_IbLb1EEEEDaSW_SX_EUlSW_E_NS1_11comp_targetILNS1_3genE10ELNS1_11target_archE1200ELNS1_3gpuE4ELNS1_3repE0EEENS1_30default_config_static_selectorELNS0_4arch9wavefront6targetE1EEEvT1_,@function
_ZN7rocprim17ROCPRIM_400000_NS6detail17trampoline_kernelINS0_14default_configENS1_27scan_by_key_config_selectorIifEEZZNS1_16scan_by_key_implILNS1_25lookback_scan_determinismE0ELb0ES3_N6thrust23THRUST_200600_302600_NS6detail15normal_iteratorINS9_10device_ptrIiEEEENSB_INSC_IfEEEESG_fNS9_4plusIvEENS9_8equal_toIvEEfEE10hipError_tPvRmT2_T3_T4_T5_mT6_T7_P12ihipStream_tbENKUlT_T0_E_clISt17integral_constantIbLb0EES10_IbLb1EEEEDaSW_SX_EUlSW_E_NS1_11comp_targetILNS1_3genE10ELNS1_11target_archE1200ELNS1_3gpuE4ELNS1_3repE0EEENS1_30default_config_static_selectorELNS0_4arch9wavefront6targetE1EEEvT1_: ; @_ZN7rocprim17ROCPRIM_400000_NS6detail17trampoline_kernelINS0_14default_configENS1_27scan_by_key_config_selectorIifEEZZNS1_16scan_by_key_implILNS1_25lookback_scan_determinismE0ELb0ES3_N6thrust23THRUST_200600_302600_NS6detail15normal_iteratorINS9_10device_ptrIiEEEENSB_INSC_IfEEEESG_fNS9_4plusIvEENS9_8equal_toIvEEfEE10hipError_tPvRmT2_T3_T4_T5_mT6_T7_P12ihipStream_tbENKUlT_T0_E_clISt17integral_constantIbLb0EES10_IbLb1EEEEDaSW_SX_EUlSW_E_NS1_11comp_targetILNS1_3genE10ELNS1_11target_archE1200ELNS1_3gpuE4ELNS1_3repE0EEENS1_30default_config_static_selectorELNS0_4arch9wavefront6targetE1EEEvT1_
; %bb.0:
	.section	.rodata,"a",@progbits
	.p2align	6, 0x0
	.amdhsa_kernel _ZN7rocprim17ROCPRIM_400000_NS6detail17trampoline_kernelINS0_14default_configENS1_27scan_by_key_config_selectorIifEEZZNS1_16scan_by_key_implILNS1_25lookback_scan_determinismE0ELb0ES3_N6thrust23THRUST_200600_302600_NS6detail15normal_iteratorINS9_10device_ptrIiEEEENSB_INSC_IfEEEESG_fNS9_4plusIvEENS9_8equal_toIvEEfEE10hipError_tPvRmT2_T3_T4_T5_mT6_T7_P12ihipStream_tbENKUlT_T0_E_clISt17integral_constantIbLb0EES10_IbLb1EEEEDaSW_SX_EUlSW_E_NS1_11comp_targetILNS1_3genE10ELNS1_11target_archE1200ELNS1_3gpuE4ELNS1_3repE0EEENS1_30default_config_static_selectorELNS0_4arch9wavefront6targetE1EEEvT1_
		.amdhsa_group_segment_fixed_size 0
		.amdhsa_private_segment_fixed_size 0
		.amdhsa_kernarg_size 112
		.amdhsa_user_sgpr_count 6
		.amdhsa_user_sgpr_private_segment_buffer 1
		.amdhsa_user_sgpr_dispatch_ptr 0
		.amdhsa_user_sgpr_queue_ptr 0
		.amdhsa_user_sgpr_kernarg_segment_ptr 1
		.amdhsa_user_sgpr_dispatch_id 0
		.amdhsa_user_sgpr_flat_scratch_init 0
		.amdhsa_user_sgpr_kernarg_preload_length 0
		.amdhsa_user_sgpr_kernarg_preload_offset 0
		.amdhsa_user_sgpr_private_segment_size 0
		.amdhsa_uses_dynamic_stack 0
		.amdhsa_system_sgpr_private_segment_wavefront_offset 0
		.amdhsa_system_sgpr_workgroup_id_x 1
		.amdhsa_system_sgpr_workgroup_id_y 0
		.amdhsa_system_sgpr_workgroup_id_z 0
		.amdhsa_system_sgpr_workgroup_info 0
		.amdhsa_system_vgpr_workitem_id 0
		.amdhsa_next_free_vgpr 1
		.amdhsa_next_free_sgpr 0
		.amdhsa_accum_offset 4
		.amdhsa_reserve_vcc 0
		.amdhsa_reserve_flat_scratch 0
		.amdhsa_float_round_mode_32 0
		.amdhsa_float_round_mode_16_64 0
		.amdhsa_float_denorm_mode_32 3
		.amdhsa_float_denorm_mode_16_64 3
		.amdhsa_dx10_clamp 1
		.amdhsa_ieee_mode 1
		.amdhsa_fp16_overflow 0
		.amdhsa_tg_split 0
		.amdhsa_exception_fp_ieee_invalid_op 0
		.amdhsa_exception_fp_denorm_src 0
		.amdhsa_exception_fp_ieee_div_zero 0
		.amdhsa_exception_fp_ieee_overflow 0
		.amdhsa_exception_fp_ieee_underflow 0
		.amdhsa_exception_fp_ieee_inexact 0
		.amdhsa_exception_int_div_zero 0
	.end_amdhsa_kernel
	.section	.text._ZN7rocprim17ROCPRIM_400000_NS6detail17trampoline_kernelINS0_14default_configENS1_27scan_by_key_config_selectorIifEEZZNS1_16scan_by_key_implILNS1_25lookback_scan_determinismE0ELb0ES3_N6thrust23THRUST_200600_302600_NS6detail15normal_iteratorINS9_10device_ptrIiEEEENSB_INSC_IfEEEESG_fNS9_4plusIvEENS9_8equal_toIvEEfEE10hipError_tPvRmT2_T3_T4_T5_mT6_T7_P12ihipStream_tbENKUlT_T0_E_clISt17integral_constantIbLb0EES10_IbLb1EEEEDaSW_SX_EUlSW_E_NS1_11comp_targetILNS1_3genE10ELNS1_11target_archE1200ELNS1_3gpuE4ELNS1_3repE0EEENS1_30default_config_static_selectorELNS0_4arch9wavefront6targetE1EEEvT1_,"axG",@progbits,_ZN7rocprim17ROCPRIM_400000_NS6detail17trampoline_kernelINS0_14default_configENS1_27scan_by_key_config_selectorIifEEZZNS1_16scan_by_key_implILNS1_25lookback_scan_determinismE0ELb0ES3_N6thrust23THRUST_200600_302600_NS6detail15normal_iteratorINS9_10device_ptrIiEEEENSB_INSC_IfEEEESG_fNS9_4plusIvEENS9_8equal_toIvEEfEE10hipError_tPvRmT2_T3_T4_T5_mT6_T7_P12ihipStream_tbENKUlT_T0_E_clISt17integral_constantIbLb0EES10_IbLb1EEEEDaSW_SX_EUlSW_E_NS1_11comp_targetILNS1_3genE10ELNS1_11target_archE1200ELNS1_3gpuE4ELNS1_3repE0EEENS1_30default_config_static_selectorELNS0_4arch9wavefront6targetE1EEEvT1_,comdat
.Lfunc_end1169:
	.size	_ZN7rocprim17ROCPRIM_400000_NS6detail17trampoline_kernelINS0_14default_configENS1_27scan_by_key_config_selectorIifEEZZNS1_16scan_by_key_implILNS1_25lookback_scan_determinismE0ELb0ES3_N6thrust23THRUST_200600_302600_NS6detail15normal_iteratorINS9_10device_ptrIiEEEENSB_INSC_IfEEEESG_fNS9_4plusIvEENS9_8equal_toIvEEfEE10hipError_tPvRmT2_T3_T4_T5_mT6_T7_P12ihipStream_tbENKUlT_T0_E_clISt17integral_constantIbLb0EES10_IbLb1EEEEDaSW_SX_EUlSW_E_NS1_11comp_targetILNS1_3genE10ELNS1_11target_archE1200ELNS1_3gpuE4ELNS1_3repE0EEENS1_30default_config_static_selectorELNS0_4arch9wavefront6targetE1EEEvT1_, .Lfunc_end1169-_ZN7rocprim17ROCPRIM_400000_NS6detail17trampoline_kernelINS0_14default_configENS1_27scan_by_key_config_selectorIifEEZZNS1_16scan_by_key_implILNS1_25lookback_scan_determinismE0ELb0ES3_N6thrust23THRUST_200600_302600_NS6detail15normal_iteratorINS9_10device_ptrIiEEEENSB_INSC_IfEEEESG_fNS9_4plusIvEENS9_8equal_toIvEEfEE10hipError_tPvRmT2_T3_T4_T5_mT6_T7_P12ihipStream_tbENKUlT_T0_E_clISt17integral_constantIbLb0EES10_IbLb1EEEEDaSW_SX_EUlSW_E_NS1_11comp_targetILNS1_3genE10ELNS1_11target_archE1200ELNS1_3gpuE4ELNS1_3repE0EEENS1_30default_config_static_selectorELNS0_4arch9wavefront6targetE1EEEvT1_
                                        ; -- End function
	.section	.AMDGPU.csdata,"",@progbits
; Kernel info:
; codeLenInByte = 0
; NumSgprs: 4
; NumVgprs: 0
; NumAgprs: 0
; TotalNumVgprs: 0
; ScratchSize: 0
; MemoryBound: 0
; FloatMode: 240
; IeeeMode: 1
; LDSByteSize: 0 bytes/workgroup (compile time only)
; SGPRBlocks: 0
; VGPRBlocks: 0
; NumSGPRsForWavesPerEU: 4
; NumVGPRsForWavesPerEU: 1
; AccumOffset: 4
; Occupancy: 8
; WaveLimiterHint : 0
; COMPUTE_PGM_RSRC2:SCRATCH_EN: 0
; COMPUTE_PGM_RSRC2:USER_SGPR: 6
; COMPUTE_PGM_RSRC2:TRAP_HANDLER: 0
; COMPUTE_PGM_RSRC2:TGID_X_EN: 1
; COMPUTE_PGM_RSRC2:TGID_Y_EN: 0
; COMPUTE_PGM_RSRC2:TGID_Z_EN: 0
; COMPUTE_PGM_RSRC2:TIDIG_COMP_CNT: 0
; COMPUTE_PGM_RSRC3_GFX90A:ACCUM_OFFSET: 0
; COMPUTE_PGM_RSRC3_GFX90A:TG_SPLIT: 0
	.section	.text._ZN7rocprim17ROCPRIM_400000_NS6detail17trampoline_kernelINS0_14default_configENS1_27scan_by_key_config_selectorIifEEZZNS1_16scan_by_key_implILNS1_25lookback_scan_determinismE0ELb0ES3_N6thrust23THRUST_200600_302600_NS6detail15normal_iteratorINS9_10device_ptrIiEEEENSB_INSC_IfEEEESG_fNS9_4plusIvEENS9_8equal_toIvEEfEE10hipError_tPvRmT2_T3_T4_T5_mT6_T7_P12ihipStream_tbENKUlT_T0_E_clISt17integral_constantIbLb0EES10_IbLb1EEEEDaSW_SX_EUlSW_E_NS1_11comp_targetILNS1_3genE9ELNS1_11target_archE1100ELNS1_3gpuE3ELNS1_3repE0EEENS1_30default_config_static_selectorELNS0_4arch9wavefront6targetE1EEEvT1_,"axG",@progbits,_ZN7rocprim17ROCPRIM_400000_NS6detail17trampoline_kernelINS0_14default_configENS1_27scan_by_key_config_selectorIifEEZZNS1_16scan_by_key_implILNS1_25lookback_scan_determinismE0ELb0ES3_N6thrust23THRUST_200600_302600_NS6detail15normal_iteratorINS9_10device_ptrIiEEEENSB_INSC_IfEEEESG_fNS9_4plusIvEENS9_8equal_toIvEEfEE10hipError_tPvRmT2_T3_T4_T5_mT6_T7_P12ihipStream_tbENKUlT_T0_E_clISt17integral_constantIbLb0EES10_IbLb1EEEEDaSW_SX_EUlSW_E_NS1_11comp_targetILNS1_3genE9ELNS1_11target_archE1100ELNS1_3gpuE3ELNS1_3repE0EEENS1_30default_config_static_selectorELNS0_4arch9wavefront6targetE1EEEvT1_,comdat
	.protected	_ZN7rocprim17ROCPRIM_400000_NS6detail17trampoline_kernelINS0_14default_configENS1_27scan_by_key_config_selectorIifEEZZNS1_16scan_by_key_implILNS1_25lookback_scan_determinismE0ELb0ES3_N6thrust23THRUST_200600_302600_NS6detail15normal_iteratorINS9_10device_ptrIiEEEENSB_INSC_IfEEEESG_fNS9_4plusIvEENS9_8equal_toIvEEfEE10hipError_tPvRmT2_T3_T4_T5_mT6_T7_P12ihipStream_tbENKUlT_T0_E_clISt17integral_constantIbLb0EES10_IbLb1EEEEDaSW_SX_EUlSW_E_NS1_11comp_targetILNS1_3genE9ELNS1_11target_archE1100ELNS1_3gpuE3ELNS1_3repE0EEENS1_30default_config_static_selectorELNS0_4arch9wavefront6targetE1EEEvT1_ ; -- Begin function _ZN7rocprim17ROCPRIM_400000_NS6detail17trampoline_kernelINS0_14default_configENS1_27scan_by_key_config_selectorIifEEZZNS1_16scan_by_key_implILNS1_25lookback_scan_determinismE0ELb0ES3_N6thrust23THRUST_200600_302600_NS6detail15normal_iteratorINS9_10device_ptrIiEEEENSB_INSC_IfEEEESG_fNS9_4plusIvEENS9_8equal_toIvEEfEE10hipError_tPvRmT2_T3_T4_T5_mT6_T7_P12ihipStream_tbENKUlT_T0_E_clISt17integral_constantIbLb0EES10_IbLb1EEEEDaSW_SX_EUlSW_E_NS1_11comp_targetILNS1_3genE9ELNS1_11target_archE1100ELNS1_3gpuE3ELNS1_3repE0EEENS1_30default_config_static_selectorELNS0_4arch9wavefront6targetE1EEEvT1_
	.globl	_ZN7rocprim17ROCPRIM_400000_NS6detail17trampoline_kernelINS0_14default_configENS1_27scan_by_key_config_selectorIifEEZZNS1_16scan_by_key_implILNS1_25lookback_scan_determinismE0ELb0ES3_N6thrust23THRUST_200600_302600_NS6detail15normal_iteratorINS9_10device_ptrIiEEEENSB_INSC_IfEEEESG_fNS9_4plusIvEENS9_8equal_toIvEEfEE10hipError_tPvRmT2_T3_T4_T5_mT6_T7_P12ihipStream_tbENKUlT_T0_E_clISt17integral_constantIbLb0EES10_IbLb1EEEEDaSW_SX_EUlSW_E_NS1_11comp_targetILNS1_3genE9ELNS1_11target_archE1100ELNS1_3gpuE3ELNS1_3repE0EEENS1_30default_config_static_selectorELNS0_4arch9wavefront6targetE1EEEvT1_
	.p2align	8
	.type	_ZN7rocprim17ROCPRIM_400000_NS6detail17trampoline_kernelINS0_14default_configENS1_27scan_by_key_config_selectorIifEEZZNS1_16scan_by_key_implILNS1_25lookback_scan_determinismE0ELb0ES3_N6thrust23THRUST_200600_302600_NS6detail15normal_iteratorINS9_10device_ptrIiEEEENSB_INSC_IfEEEESG_fNS9_4plusIvEENS9_8equal_toIvEEfEE10hipError_tPvRmT2_T3_T4_T5_mT6_T7_P12ihipStream_tbENKUlT_T0_E_clISt17integral_constantIbLb0EES10_IbLb1EEEEDaSW_SX_EUlSW_E_NS1_11comp_targetILNS1_3genE9ELNS1_11target_archE1100ELNS1_3gpuE3ELNS1_3repE0EEENS1_30default_config_static_selectorELNS0_4arch9wavefront6targetE1EEEvT1_,@function
_ZN7rocprim17ROCPRIM_400000_NS6detail17trampoline_kernelINS0_14default_configENS1_27scan_by_key_config_selectorIifEEZZNS1_16scan_by_key_implILNS1_25lookback_scan_determinismE0ELb0ES3_N6thrust23THRUST_200600_302600_NS6detail15normal_iteratorINS9_10device_ptrIiEEEENSB_INSC_IfEEEESG_fNS9_4plusIvEENS9_8equal_toIvEEfEE10hipError_tPvRmT2_T3_T4_T5_mT6_T7_P12ihipStream_tbENKUlT_T0_E_clISt17integral_constantIbLb0EES10_IbLb1EEEEDaSW_SX_EUlSW_E_NS1_11comp_targetILNS1_3genE9ELNS1_11target_archE1100ELNS1_3gpuE3ELNS1_3repE0EEENS1_30default_config_static_selectorELNS0_4arch9wavefront6targetE1EEEvT1_: ; @_ZN7rocprim17ROCPRIM_400000_NS6detail17trampoline_kernelINS0_14default_configENS1_27scan_by_key_config_selectorIifEEZZNS1_16scan_by_key_implILNS1_25lookback_scan_determinismE0ELb0ES3_N6thrust23THRUST_200600_302600_NS6detail15normal_iteratorINS9_10device_ptrIiEEEENSB_INSC_IfEEEESG_fNS9_4plusIvEENS9_8equal_toIvEEfEE10hipError_tPvRmT2_T3_T4_T5_mT6_T7_P12ihipStream_tbENKUlT_T0_E_clISt17integral_constantIbLb0EES10_IbLb1EEEEDaSW_SX_EUlSW_E_NS1_11comp_targetILNS1_3genE9ELNS1_11target_archE1100ELNS1_3gpuE3ELNS1_3repE0EEENS1_30default_config_static_selectorELNS0_4arch9wavefront6targetE1EEEvT1_
; %bb.0:
	.section	.rodata,"a",@progbits
	.p2align	6, 0x0
	.amdhsa_kernel _ZN7rocprim17ROCPRIM_400000_NS6detail17trampoline_kernelINS0_14default_configENS1_27scan_by_key_config_selectorIifEEZZNS1_16scan_by_key_implILNS1_25lookback_scan_determinismE0ELb0ES3_N6thrust23THRUST_200600_302600_NS6detail15normal_iteratorINS9_10device_ptrIiEEEENSB_INSC_IfEEEESG_fNS9_4plusIvEENS9_8equal_toIvEEfEE10hipError_tPvRmT2_T3_T4_T5_mT6_T7_P12ihipStream_tbENKUlT_T0_E_clISt17integral_constantIbLb0EES10_IbLb1EEEEDaSW_SX_EUlSW_E_NS1_11comp_targetILNS1_3genE9ELNS1_11target_archE1100ELNS1_3gpuE3ELNS1_3repE0EEENS1_30default_config_static_selectorELNS0_4arch9wavefront6targetE1EEEvT1_
		.amdhsa_group_segment_fixed_size 0
		.amdhsa_private_segment_fixed_size 0
		.amdhsa_kernarg_size 112
		.amdhsa_user_sgpr_count 6
		.amdhsa_user_sgpr_private_segment_buffer 1
		.amdhsa_user_sgpr_dispatch_ptr 0
		.amdhsa_user_sgpr_queue_ptr 0
		.amdhsa_user_sgpr_kernarg_segment_ptr 1
		.amdhsa_user_sgpr_dispatch_id 0
		.amdhsa_user_sgpr_flat_scratch_init 0
		.amdhsa_user_sgpr_kernarg_preload_length 0
		.amdhsa_user_sgpr_kernarg_preload_offset 0
		.amdhsa_user_sgpr_private_segment_size 0
		.amdhsa_uses_dynamic_stack 0
		.amdhsa_system_sgpr_private_segment_wavefront_offset 0
		.amdhsa_system_sgpr_workgroup_id_x 1
		.amdhsa_system_sgpr_workgroup_id_y 0
		.amdhsa_system_sgpr_workgroup_id_z 0
		.amdhsa_system_sgpr_workgroup_info 0
		.amdhsa_system_vgpr_workitem_id 0
		.amdhsa_next_free_vgpr 1
		.amdhsa_next_free_sgpr 0
		.amdhsa_accum_offset 4
		.amdhsa_reserve_vcc 0
		.amdhsa_reserve_flat_scratch 0
		.amdhsa_float_round_mode_32 0
		.amdhsa_float_round_mode_16_64 0
		.amdhsa_float_denorm_mode_32 3
		.amdhsa_float_denorm_mode_16_64 3
		.amdhsa_dx10_clamp 1
		.amdhsa_ieee_mode 1
		.amdhsa_fp16_overflow 0
		.amdhsa_tg_split 0
		.amdhsa_exception_fp_ieee_invalid_op 0
		.amdhsa_exception_fp_denorm_src 0
		.amdhsa_exception_fp_ieee_div_zero 0
		.amdhsa_exception_fp_ieee_overflow 0
		.amdhsa_exception_fp_ieee_underflow 0
		.amdhsa_exception_fp_ieee_inexact 0
		.amdhsa_exception_int_div_zero 0
	.end_amdhsa_kernel
	.section	.text._ZN7rocprim17ROCPRIM_400000_NS6detail17trampoline_kernelINS0_14default_configENS1_27scan_by_key_config_selectorIifEEZZNS1_16scan_by_key_implILNS1_25lookback_scan_determinismE0ELb0ES3_N6thrust23THRUST_200600_302600_NS6detail15normal_iteratorINS9_10device_ptrIiEEEENSB_INSC_IfEEEESG_fNS9_4plusIvEENS9_8equal_toIvEEfEE10hipError_tPvRmT2_T3_T4_T5_mT6_T7_P12ihipStream_tbENKUlT_T0_E_clISt17integral_constantIbLb0EES10_IbLb1EEEEDaSW_SX_EUlSW_E_NS1_11comp_targetILNS1_3genE9ELNS1_11target_archE1100ELNS1_3gpuE3ELNS1_3repE0EEENS1_30default_config_static_selectorELNS0_4arch9wavefront6targetE1EEEvT1_,"axG",@progbits,_ZN7rocprim17ROCPRIM_400000_NS6detail17trampoline_kernelINS0_14default_configENS1_27scan_by_key_config_selectorIifEEZZNS1_16scan_by_key_implILNS1_25lookback_scan_determinismE0ELb0ES3_N6thrust23THRUST_200600_302600_NS6detail15normal_iteratorINS9_10device_ptrIiEEEENSB_INSC_IfEEEESG_fNS9_4plusIvEENS9_8equal_toIvEEfEE10hipError_tPvRmT2_T3_T4_T5_mT6_T7_P12ihipStream_tbENKUlT_T0_E_clISt17integral_constantIbLb0EES10_IbLb1EEEEDaSW_SX_EUlSW_E_NS1_11comp_targetILNS1_3genE9ELNS1_11target_archE1100ELNS1_3gpuE3ELNS1_3repE0EEENS1_30default_config_static_selectorELNS0_4arch9wavefront6targetE1EEEvT1_,comdat
.Lfunc_end1170:
	.size	_ZN7rocprim17ROCPRIM_400000_NS6detail17trampoline_kernelINS0_14default_configENS1_27scan_by_key_config_selectorIifEEZZNS1_16scan_by_key_implILNS1_25lookback_scan_determinismE0ELb0ES3_N6thrust23THRUST_200600_302600_NS6detail15normal_iteratorINS9_10device_ptrIiEEEENSB_INSC_IfEEEESG_fNS9_4plusIvEENS9_8equal_toIvEEfEE10hipError_tPvRmT2_T3_T4_T5_mT6_T7_P12ihipStream_tbENKUlT_T0_E_clISt17integral_constantIbLb0EES10_IbLb1EEEEDaSW_SX_EUlSW_E_NS1_11comp_targetILNS1_3genE9ELNS1_11target_archE1100ELNS1_3gpuE3ELNS1_3repE0EEENS1_30default_config_static_selectorELNS0_4arch9wavefront6targetE1EEEvT1_, .Lfunc_end1170-_ZN7rocprim17ROCPRIM_400000_NS6detail17trampoline_kernelINS0_14default_configENS1_27scan_by_key_config_selectorIifEEZZNS1_16scan_by_key_implILNS1_25lookback_scan_determinismE0ELb0ES3_N6thrust23THRUST_200600_302600_NS6detail15normal_iteratorINS9_10device_ptrIiEEEENSB_INSC_IfEEEESG_fNS9_4plusIvEENS9_8equal_toIvEEfEE10hipError_tPvRmT2_T3_T4_T5_mT6_T7_P12ihipStream_tbENKUlT_T0_E_clISt17integral_constantIbLb0EES10_IbLb1EEEEDaSW_SX_EUlSW_E_NS1_11comp_targetILNS1_3genE9ELNS1_11target_archE1100ELNS1_3gpuE3ELNS1_3repE0EEENS1_30default_config_static_selectorELNS0_4arch9wavefront6targetE1EEEvT1_
                                        ; -- End function
	.section	.AMDGPU.csdata,"",@progbits
; Kernel info:
; codeLenInByte = 0
; NumSgprs: 4
; NumVgprs: 0
; NumAgprs: 0
; TotalNumVgprs: 0
; ScratchSize: 0
; MemoryBound: 0
; FloatMode: 240
; IeeeMode: 1
; LDSByteSize: 0 bytes/workgroup (compile time only)
; SGPRBlocks: 0
; VGPRBlocks: 0
; NumSGPRsForWavesPerEU: 4
; NumVGPRsForWavesPerEU: 1
; AccumOffset: 4
; Occupancy: 8
; WaveLimiterHint : 0
; COMPUTE_PGM_RSRC2:SCRATCH_EN: 0
; COMPUTE_PGM_RSRC2:USER_SGPR: 6
; COMPUTE_PGM_RSRC2:TRAP_HANDLER: 0
; COMPUTE_PGM_RSRC2:TGID_X_EN: 1
; COMPUTE_PGM_RSRC2:TGID_Y_EN: 0
; COMPUTE_PGM_RSRC2:TGID_Z_EN: 0
; COMPUTE_PGM_RSRC2:TIDIG_COMP_CNT: 0
; COMPUTE_PGM_RSRC3_GFX90A:ACCUM_OFFSET: 0
; COMPUTE_PGM_RSRC3_GFX90A:TG_SPLIT: 0
	.section	.text._ZN7rocprim17ROCPRIM_400000_NS6detail17trampoline_kernelINS0_14default_configENS1_27scan_by_key_config_selectorIifEEZZNS1_16scan_by_key_implILNS1_25lookback_scan_determinismE0ELb0ES3_N6thrust23THRUST_200600_302600_NS6detail15normal_iteratorINS9_10device_ptrIiEEEENSB_INSC_IfEEEESG_fNS9_4plusIvEENS9_8equal_toIvEEfEE10hipError_tPvRmT2_T3_T4_T5_mT6_T7_P12ihipStream_tbENKUlT_T0_E_clISt17integral_constantIbLb0EES10_IbLb1EEEEDaSW_SX_EUlSW_E_NS1_11comp_targetILNS1_3genE8ELNS1_11target_archE1030ELNS1_3gpuE2ELNS1_3repE0EEENS1_30default_config_static_selectorELNS0_4arch9wavefront6targetE1EEEvT1_,"axG",@progbits,_ZN7rocprim17ROCPRIM_400000_NS6detail17trampoline_kernelINS0_14default_configENS1_27scan_by_key_config_selectorIifEEZZNS1_16scan_by_key_implILNS1_25lookback_scan_determinismE0ELb0ES3_N6thrust23THRUST_200600_302600_NS6detail15normal_iteratorINS9_10device_ptrIiEEEENSB_INSC_IfEEEESG_fNS9_4plusIvEENS9_8equal_toIvEEfEE10hipError_tPvRmT2_T3_T4_T5_mT6_T7_P12ihipStream_tbENKUlT_T0_E_clISt17integral_constantIbLb0EES10_IbLb1EEEEDaSW_SX_EUlSW_E_NS1_11comp_targetILNS1_3genE8ELNS1_11target_archE1030ELNS1_3gpuE2ELNS1_3repE0EEENS1_30default_config_static_selectorELNS0_4arch9wavefront6targetE1EEEvT1_,comdat
	.protected	_ZN7rocprim17ROCPRIM_400000_NS6detail17trampoline_kernelINS0_14default_configENS1_27scan_by_key_config_selectorIifEEZZNS1_16scan_by_key_implILNS1_25lookback_scan_determinismE0ELb0ES3_N6thrust23THRUST_200600_302600_NS6detail15normal_iteratorINS9_10device_ptrIiEEEENSB_INSC_IfEEEESG_fNS9_4plusIvEENS9_8equal_toIvEEfEE10hipError_tPvRmT2_T3_T4_T5_mT6_T7_P12ihipStream_tbENKUlT_T0_E_clISt17integral_constantIbLb0EES10_IbLb1EEEEDaSW_SX_EUlSW_E_NS1_11comp_targetILNS1_3genE8ELNS1_11target_archE1030ELNS1_3gpuE2ELNS1_3repE0EEENS1_30default_config_static_selectorELNS0_4arch9wavefront6targetE1EEEvT1_ ; -- Begin function _ZN7rocprim17ROCPRIM_400000_NS6detail17trampoline_kernelINS0_14default_configENS1_27scan_by_key_config_selectorIifEEZZNS1_16scan_by_key_implILNS1_25lookback_scan_determinismE0ELb0ES3_N6thrust23THRUST_200600_302600_NS6detail15normal_iteratorINS9_10device_ptrIiEEEENSB_INSC_IfEEEESG_fNS9_4plusIvEENS9_8equal_toIvEEfEE10hipError_tPvRmT2_T3_T4_T5_mT6_T7_P12ihipStream_tbENKUlT_T0_E_clISt17integral_constantIbLb0EES10_IbLb1EEEEDaSW_SX_EUlSW_E_NS1_11comp_targetILNS1_3genE8ELNS1_11target_archE1030ELNS1_3gpuE2ELNS1_3repE0EEENS1_30default_config_static_selectorELNS0_4arch9wavefront6targetE1EEEvT1_
	.globl	_ZN7rocprim17ROCPRIM_400000_NS6detail17trampoline_kernelINS0_14default_configENS1_27scan_by_key_config_selectorIifEEZZNS1_16scan_by_key_implILNS1_25lookback_scan_determinismE0ELb0ES3_N6thrust23THRUST_200600_302600_NS6detail15normal_iteratorINS9_10device_ptrIiEEEENSB_INSC_IfEEEESG_fNS9_4plusIvEENS9_8equal_toIvEEfEE10hipError_tPvRmT2_T3_T4_T5_mT6_T7_P12ihipStream_tbENKUlT_T0_E_clISt17integral_constantIbLb0EES10_IbLb1EEEEDaSW_SX_EUlSW_E_NS1_11comp_targetILNS1_3genE8ELNS1_11target_archE1030ELNS1_3gpuE2ELNS1_3repE0EEENS1_30default_config_static_selectorELNS0_4arch9wavefront6targetE1EEEvT1_
	.p2align	8
	.type	_ZN7rocprim17ROCPRIM_400000_NS6detail17trampoline_kernelINS0_14default_configENS1_27scan_by_key_config_selectorIifEEZZNS1_16scan_by_key_implILNS1_25lookback_scan_determinismE0ELb0ES3_N6thrust23THRUST_200600_302600_NS6detail15normal_iteratorINS9_10device_ptrIiEEEENSB_INSC_IfEEEESG_fNS9_4plusIvEENS9_8equal_toIvEEfEE10hipError_tPvRmT2_T3_T4_T5_mT6_T7_P12ihipStream_tbENKUlT_T0_E_clISt17integral_constantIbLb0EES10_IbLb1EEEEDaSW_SX_EUlSW_E_NS1_11comp_targetILNS1_3genE8ELNS1_11target_archE1030ELNS1_3gpuE2ELNS1_3repE0EEENS1_30default_config_static_selectorELNS0_4arch9wavefront6targetE1EEEvT1_,@function
_ZN7rocprim17ROCPRIM_400000_NS6detail17trampoline_kernelINS0_14default_configENS1_27scan_by_key_config_selectorIifEEZZNS1_16scan_by_key_implILNS1_25lookback_scan_determinismE0ELb0ES3_N6thrust23THRUST_200600_302600_NS6detail15normal_iteratorINS9_10device_ptrIiEEEENSB_INSC_IfEEEESG_fNS9_4plusIvEENS9_8equal_toIvEEfEE10hipError_tPvRmT2_T3_T4_T5_mT6_T7_P12ihipStream_tbENKUlT_T0_E_clISt17integral_constantIbLb0EES10_IbLb1EEEEDaSW_SX_EUlSW_E_NS1_11comp_targetILNS1_3genE8ELNS1_11target_archE1030ELNS1_3gpuE2ELNS1_3repE0EEENS1_30default_config_static_selectorELNS0_4arch9wavefront6targetE1EEEvT1_: ; @_ZN7rocprim17ROCPRIM_400000_NS6detail17trampoline_kernelINS0_14default_configENS1_27scan_by_key_config_selectorIifEEZZNS1_16scan_by_key_implILNS1_25lookback_scan_determinismE0ELb0ES3_N6thrust23THRUST_200600_302600_NS6detail15normal_iteratorINS9_10device_ptrIiEEEENSB_INSC_IfEEEESG_fNS9_4plusIvEENS9_8equal_toIvEEfEE10hipError_tPvRmT2_T3_T4_T5_mT6_T7_P12ihipStream_tbENKUlT_T0_E_clISt17integral_constantIbLb0EES10_IbLb1EEEEDaSW_SX_EUlSW_E_NS1_11comp_targetILNS1_3genE8ELNS1_11target_archE1030ELNS1_3gpuE2ELNS1_3repE0EEENS1_30default_config_static_selectorELNS0_4arch9wavefront6targetE1EEEvT1_
; %bb.0:
	.section	.rodata,"a",@progbits
	.p2align	6, 0x0
	.amdhsa_kernel _ZN7rocprim17ROCPRIM_400000_NS6detail17trampoline_kernelINS0_14default_configENS1_27scan_by_key_config_selectorIifEEZZNS1_16scan_by_key_implILNS1_25lookback_scan_determinismE0ELb0ES3_N6thrust23THRUST_200600_302600_NS6detail15normal_iteratorINS9_10device_ptrIiEEEENSB_INSC_IfEEEESG_fNS9_4plusIvEENS9_8equal_toIvEEfEE10hipError_tPvRmT2_T3_T4_T5_mT6_T7_P12ihipStream_tbENKUlT_T0_E_clISt17integral_constantIbLb0EES10_IbLb1EEEEDaSW_SX_EUlSW_E_NS1_11comp_targetILNS1_3genE8ELNS1_11target_archE1030ELNS1_3gpuE2ELNS1_3repE0EEENS1_30default_config_static_selectorELNS0_4arch9wavefront6targetE1EEEvT1_
		.amdhsa_group_segment_fixed_size 0
		.amdhsa_private_segment_fixed_size 0
		.amdhsa_kernarg_size 112
		.amdhsa_user_sgpr_count 6
		.amdhsa_user_sgpr_private_segment_buffer 1
		.amdhsa_user_sgpr_dispatch_ptr 0
		.amdhsa_user_sgpr_queue_ptr 0
		.amdhsa_user_sgpr_kernarg_segment_ptr 1
		.amdhsa_user_sgpr_dispatch_id 0
		.amdhsa_user_sgpr_flat_scratch_init 0
		.amdhsa_user_sgpr_kernarg_preload_length 0
		.amdhsa_user_sgpr_kernarg_preload_offset 0
		.amdhsa_user_sgpr_private_segment_size 0
		.amdhsa_uses_dynamic_stack 0
		.amdhsa_system_sgpr_private_segment_wavefront_offset 0
		.amdhsa_system_sgpr_workgroup_id_x 1
		.amdhsa_system_sgpr_workgroup_id_y 0
		.amdhsa_system_sgpr_workgroup_id_z 0
		.amdhsa_system_sgpr_workgroup_info 0
		.amdhsa_system_vgpr_workitem_id 0
		.amdhsa_next_free_vgpr 1
		.amdhsa_next_free_sgpr 0
		.amdhsa_accum_offset 4
		.amdhsa_reserve_vcc 0
		.amdhsa_reserve_flat_scratch 0
		.amdhsa_float_round_mode_32 0
		.amdhsa_float_round_mode_16_64 0
		.amdhsa_float_denorm_mode_32 3
		.amdhsa_float_denorm_mode_16_64 3
		.amdhsa_dx10_clamp 1
		.amdhsa_ieee_mode 1
		.amdhsa_fp16_overflow 0
		.amdhsa_tg_split 0
		.amdhsa_exception_fp_ieee_invalid_op 0
		.amdhsa_exception_fp_denorm_src 0
		.amdhsa_exception_fp_ieee_div_zero 0
		.amdhsa_exception_fp_ieee_overflow 0
		.amdhsa_exception_fp_ieee_underflow 0
		.amdhsa_exception_fp_ieee_inexact 0
		.amdhsa_exception_int_div_zero 0
	.end_amdhsa_kernel
	.section	.text._ZN7rocprim17ROCPRIM_400000_NS6detail17trampoline_kernelINS0_14default_configENS1_27scan_by_key_config_selectorIifEEZZNS1_16scan_by_key_implILNS1_25lookback_scan_determinismE0ELb0ES3_N6thrust23THRUST_200600_302600_NS6detail15normal_iteratorINS9_10device_ptrIiEEEENSB_INSC_IfEEEESG_fNS9_4plusIvEENS9_8equal_toIvEEfEE10hipError_tPvRmT2_T3_T4_T5_mT6_T7_P12ihipStream_tbENKUlT_T0_E_clISt17integral_constantIbLb0EES10_IbLb1EEEEDaSW_SX_EUlSW_E_NS1_11comp_targetILNS1_3genE8ELNS1_11target_archE1030ELNS1_3gpuE2ELNS1_3repE0EEENS1_30default_config_static_selectorELNS0_4arch9wavefront6targetE1EEEvT1_,"axG",@progbits,_ZN7rocprim17ROCPRIM_400000_NS6detail17trampoline_kernelINS0_14default_configENS1_27scan_by_key_config_selectorIifEEZZNS1_16scan_by_key_implILNS1_25lookback_scan_determinismE0ELb0ES3_N6thrust23THRUST_200600_302600_NS6detail15normal_iteratorINS9_10device_ptrIiEEEENSB_INSC_IfEEEESG_fNS9_4plusIvEENS9_8equal_toIvEEfEE10hipError_tPvRmT2_T3_T4_T5_mT6_T7_P12ihipStream_tbENKUlT_T0_E_clISt17integral_constantIbLb0EES10_IbLb1EEEEDaSW_SX_EUlSW_E_NS1_11comp_targetILNS1_3genE8ELNS1_11target_archE1030ELNS1_3gpuE2ELNS1_3repE0EEENS1_30default_config_static_selectorELNS0_4arch9wavefront6targetE1EEEvT1_,comdat
.Lfunc_end1171:
	.size	_ZN7rocprim17ROCPRIM_400000_NS6detail17trampoline_kernelINS0_14default_configENS1_27scan_by_key_config_selectorIifEEZZNS1_16scan_by_key_implILNS1_25lookback_scan_determinismE0ELb0ES3_N6thrust23THRUST_200600_302600_NS6detail15normal_iteratorINS9_10device_ptrIiEEEENSB_INSC_IfEEEESG_fNS9_4plusIvEENS9_8equal_toIvEEfEE10hipError_tPvRmT2_T3_T4_T5_mT6_T7_P12ihipStream_tbENKUlT_T0_E_clISt17integral_constantIbLb0EES10_IbLb1EEEEDaSW_SX_EUlSW_E_NS1_11comp_targetILNS1_3genE8ELNS1_11target_archE1030ELNS1_3gpuE2ELNS1_3repE0EEENS1_30default_config_static_selectorELNS0_4arch9wavefront6targetE1EEEvT1_, .Lfunc_end1171-_ZN7rocprim17ROCPRIM_400000_NS6detail17trampoline_kernelINS0_14default_configENS1_27scan_by_key_config_selectorIifEEZZNS1_16scan_by_key_implILNS1_25lookback_scan_determinismE0ELb0ES3_N6thrust23THRUST_200600_302600_NS6detail15normal_iteratorINS9_10device_ptrIiEEEENSB_INSC_IfEEEESG_fNS9_4plusIvEENS9_8equal_toIvEEfEE10hipError_tPvRmT2_T3_T4_T5_mT6_T7_P12ihipStream_tbENKUlT_T0_E_clISt17integral_constantIbLb0EES10_IbLb1EEEEDaSW_SX_EUlSW_E_NS1_11comp_targetILNS1_3genE8ELNS1_11target_archE1030ELNS1_3gpuE2ELNS1_3repE0EEENS1_30default_config_static_selectorELNS0_4arch9wavefront6targetE1EEEvT1_
                                        ; -- End function
	.section	.AMDGPU.csdata,"",@progbits
; Kernel info:
; codeLenInByte = 0
; NumSgprs: 4
; NumVgprs: 0
; NumAgprs: 0
; TotalNumVgprs: 0
; ScratchSize: 0
; MemoryBound: 0
; FloatMode: 240
; IeeeMode: 1
; LDSByteSize: 0 bytes/workgroup (compile time only)
; SGPRBlocks: 0
; VGPRBlocks: 0
; NumSGPRsForWavesPerEU: 4
; NumVGPRsForWavesPerEU: 1
; AccumOffset: 4
; Occupancy: 8
; WaveLimiterHint : 0
; COMPUTE_PGM_RSRC2:SCRATCH_EN: 0
; COMPUTE_PGM_RSRC2:USER_SGPR: 6
; COMPUTE_PGM_RSRC2:TRAP_HANDLER: 0
; COMPUTE_PGM_RSRC2:TGID_X_EN: 1
; COMPUTE_PGM_RSRC2:TGID_Y_EN: 0
; COMPUTE_PGM_RSRC2:TGID_Z_EN: 0
; COMPUTE_PGM_RSRC2:TIDIG_COMP_CNT: 0
; COMPUTE_PGM_RSRC3_GFX90A:ACCUM_OFFSET: 0
; COMPUTE_PGM_RSRC3_GFX90A:TG_SPLIT: 0
	.section	.text._ZN6thrust23THRUST_200600_302600_NS11hip_rocprim14__parallel_for6kernelILj256ENS1_11__transform17unary_transform_fINS0_7pointerIiNS1_3tagENS0_11use_defaultES8_EENS0_10device_ptrIyEENS4_14no_stencil_tagENS0_8identityIiEENS4_21always_true_predicateEEElLj1EEEvT0_T1_SI_,"axG",@progbits,_ZN6thrust23THRUST_200600_302600_NS11hip_rocprim14__parallel_for6kernelILj256ENS1_11__transform17unary_transform_fINS0_7pointerIiNS1_3tagENS0_11use_defaultES8_EENS0_10device_ptrIyEENS4_14no_stencil_tagENS0_8identityIiEENS4_21always_true_predicateEEElLj1EEEvT0_T1_SI_,comdat
	.protected	_ZN6thrust23THRUST_200600_302600_NS11hip_rocprim14__parallel_for6kernelILj256ENS1_11__transform17unary_transform_fINS0_7pointerIiNS1_3tagENS0_11use_defaultES8_EENS0_10device_ptrIyEENS4_14no_stencil_tagENS0_8identityIiEENS4_21always_true_predicateEEElLj1EEEvT0_T1_SI_ ; -- Begin function _ZN6thrust23THRUST_200600_302600_NS11hip_rocprim14__parallel_for6kernelILj256ENS1_11__transform17unary_transform_fINS0_7pointerIiNS1_3tagENS0_11use_defaultES8_EENS0_10device_ptrIyEENS4_14no_stencil_tagENS0_8identityIiEENS4_21always_true_predicateEEElLj1EEEvT0_T1_SI_
	.globl	_ZN6thrust23THRUST_200600_302600_NS11hip_rocprim14__parallel_for6kernelILj256ENS1_11__transform17unary_transform_fINS0_7pointerIiNS1_3tagENS0_11use_defaultES8_EENS0_10device_ptrIyEENS4_14no_stencil_tagENS0_8identityIiEENS4_21always_true_predicateEEElLj1EEEvT0_T1_SI_
	.p2align	8
	.type	_ZN6thrust23THRUST_200600_302600_NS11hip_rocprim14__parallel_for6kernelILj256ENS1_11__transform17unary_transform_fINS0_7pointerIiNS1_3tagENS0_11use_defaultES8_EENS0_10device_ptrIyEENS4_14no_stencil_tagENS0_8identityIiEENS4_21always_true_predicateEEElLj1EEEvT0_T1_SI_,@function
_ZN6thrust23THRUST_200600_302600_NS11hip_rocprim14__parallel_for6kernelILj256ENS1_11__transform17unary_transform_fINS0_7pointerIiNS1_3tagENS0_11use_defaultES8_EENS0_10device_ptrIyEENS4_14no_stencil_tagENS0_8identityIiEENS4_21always_true_predicateEEElLj1EEEvT0_T1_SI_: ; @_ZN6thrust23THRUST_200600_302600_NS11hip_rocprim14__parallel_for6kernelILj256ENS1_11__transform17unary_transform_fINS0_7pointerIiNS1_3tagENS0_11use_defaultES8_EENS0_10device_ptrIyEENS4_14no_stencil_tagENS0_8identityIiEENS4_21always_true_predicateEEElLj1EEEvT0_T1_SI_
; %bb.0:
	s_load_dwordx4 s[8:11], s[4:5], 0x18
	s_load_dwordx4 s[0:3], s[4:5], 0x0
	s_lshl_b32 s4, s6, 8
	v_mov_b32_e32 v2, 0x100
	v_mov_b32_e32 v3, 0
	s_waitcnt lgkmcnt(0)
	s_add_u32 s6, s4, s10
	s_addc_u32 s7, 0, s11
	s_sub_u32 s4, s8, s6
	s_subb_u32 s5, s9, s7
	v_cmp_lt_i64_e32 vcc, s[4:5], v[2:3]
	s_and_b64 s[8:9], vcc, exec
	s_cselect_b32 s8, s4, 0x100
	s_cmpk_lg_i32 s8, 0x100
	s_mov_b64 s[4:5], -1
	s_cbranch_scc1 .LBB1172_3
; %bb.1:
	s_andn2_b64 vcc, exec, s[4:5]
	s_cbranch_vccz .LBB1172_6
.LBB1172_2:
	s_endpgm
.LBB1172_3:
	v_cmp_gt_u32_e32 vcc, s8, v0
	s_and_saveexec_b64 s[4:5], vcc
	s_cbranch_execz .LBB1172_5
; %bb.4:
	v_mov_b32_e32 v1, s7
	v_add_co_u32_e32 v2, vcc, s6, v0
	v_addc_co_u32_e32 v3, vcc, 0, v1, vcc
	v_lshlrev_b64 v[4:5], 2, v[2:3]
	v_mov_b32_e32 v1, s1
	v_add_co_u32_e32 v4, vcc, s0, v4
	v_addc_co_u32_e32 v5, vcc, v1, v5, vcc
	flat_load_dword v4, v[4:5]
	v_lshlrev_b64 v[2:3], 3, v[2:3]
	v_mov_b32_e32 v1, s3
	v_add_co_u32_e32 v2, vcc, s2, v2
	v_addc_co_u32_e32 v3, vcc, v1, v3, vcc
	s_waitcnt vmcnt(0) lgkmcnt(0)
	v_ashrrev_i32_e32 v5, 31, v4
	flat_store_dwordx2 v[2:3], v[4:5]
.LBB1172_5:
	s_or_b64 exec, exec, s[4:5]
	s_cbranch_execnz .LBB1172_2
.LBB1172_6:
	v_mov_b32_e32 v1, s7
	v_add_co_u32_e32 v0, vcc, s6, v0
	v_addc_co_u32_e32 v1, vcc, 0, v1, vcc
	v_lshlrev_b64 v[2:3], 2, v[0:1]
	v_mov_b32_e32 v4, s1
	v_add_co_u32_e32 v2, vcc, s0, v2
	v_addc_co_u32_e32 v3, vcc, v4, v3, vcc
	flat_load_dword v2, v[2:3]
	v_lshlrev_b64 v[0:1], 3, v[0:1]
	v_mov_b32_e32 v4, s3
	v_add_co_u32_e32 v0, vcc, s2, v0
	v_addc_co_u32_e32 v1, vcc, v4, v1, vcc
	s_waitcnt vmcnt(0) lgkmcnt(0)
	v_ashrrev_i32_e32 v3, 31, v2
	flat_store_dwordx2 v[0:1], v[2:3]
	s_endpgm
	.section	.rodata,"a",@progbits
	.p2align	6, 0x0
	.amdhsa_kernel _ZN6thrust23THRUST_200600_302600_NS11hip_rocprim14__parallel_for6kernelILj256ENS1_11__transform17unary_transform_fINS0_7pointerIiNS1_3tagENS0_11use_defaultES8_EENS0_10device_ptrIyEENS4_14no_stencil_tagENS0_8identityIiEENS4_21always_true_predicateEEElLj1EEEvT0_T1_SI_
		.amdhsa_group_segment_fixed_size 0
		.amdhsa_private_segment_fixed_size 0
		.amdhsa_kernarg_size 40
		.amdhsa_user_sgpr_count 6
		.amdhsa_user_sgpr_private_segment_buffer 1
		.amdhsa_user_sgpr_dispatch_ptr 0
		.amdhsa_user_sgpr_queue_ptr 0
		.amdhsa_user_sgpr_kernarg_segment_ptr 1
		.amdhsa_user_sgpr_dispatch_id 0
		.amdhsa_user_sgpr_flat_scratch_init 0
		.amdhsa_user_sgpr_kernarg_preload_length 0
		.amdhsa_user_sgpr_kernarg_preload_offset 0
		.amdhsa_user_sgpr_private_segment_size 0
		.amdhsa_uses_dynamic_stack 0
		.amdhsa_system_sgpr_private_segment_wavefront_offset 0
		.amdhsa_system_sgpr_workgroup_id_x 1
		.amdhsa_system_sgpr_workgroup_id_y 0
		.amdhsa_system_sgpr_workgroup_id_z 0
		.amdhsa_system_sgpr_workgroup_info 0
		.amdhsa_system_vgpr_workitem_id 0
		.amdhsa_next_free_vgpr 6
		.amdhsa_next_free_sgpr 12
		.amdhsa_accum_offset 8
		.amdhsa_reserve_vcc 1
		.amdhsa_reserve_flat_scratch 0
		.amdhsa_float_round_mode_32 0
		.amdhsa_float_round_mode_16_64 0
		.amdhsa_float_denorm_mode_32 3
		.amdhsa_float_denorm_mode_16_64 3
		.amdhsa_dx10_clamp 1
		.amdhsa_ieee_mode 1
		.amdhsa_fp16_overflow 0
		.amdhsa_tg_split 0
		.amdhsa_exception_fp_ieee_invalid_op 0
		.amdhsa_exception_fp_denorm_src 0
		.amdhsa_exception_fp_ieee_div_zero 0
		.amdhsa_exception_fp_ieee_overflow 0
		.amdhsa_exception_fp_ieee_underflow 0
		.amdhsa_exception_fp_ieee_inexact 0
		.amdhsa_exception_int_div_zero 0
	.end_amdhsa_kernel
	.section	.text._ZN6thrust23THRUST_200600_302600_NS11hip_rocprim14__parallel_for6kernelILj256ENS1_11__transform17unary_transform_fINS0_7pointerIiNS1_3tagENS0_11use_defaultES8_EENS0_10device_ptrIyEENS4_14no_stencil_tagENS0_8identityIiEENS4_21always_true_predicateEEElLj1EEEvT0_T1_SI_,"axG",@progbits,_ZN6thrust23THRUST_200600_302600_NS11hip_rocprim14__parallel_for6kernelILj256ENS1_11__transform17unary_transform_fINS0_7pointerIiNS1_3tagENS0_11use_defaultES8_EENS0_10device_ptrIyEENS4_14no_stencil_tagENS0_8identityIiEENS4_21always_true_predicateEEElLj1EEEvT0_T1_SI_,comdat
.Lfunc_end1172:
	.size	_ZN6thrust23THRUST_200600_302600_NS11hip_rocprim14__parallel_for6kernelILj256ENS1_11__transform17unary_transform_fINS0_7pointerIiNS1_3tagENS0_11use_defaultES8_EENS0_10device_ptrIyEENS4_14no_stencil_tagENS0_8identityIiEENS4_21always_true_predicateEEElLj1EEEvT0_T1_SI_, .Lfunc_end1172-_ZN6thrust23THRUST_200600_302600_NS11hip_rocprim14__parallel_for6kernelILj256ENS1_11__transform17unary_transform_fINS0_7pointerIiNS1_3tagENS0_11use_defaultES8_EENS0_10device_ptrIyEENS4_14no_stencil_tagENS0_8identityIiEENS4_21always_true_predicateEEElLj1EEEvT0_T1_SI_
                                        ; -- End function
	.section	.AMDGPU.csdata,"",@progbits
; Kernel info:
; codeLenInByte = 268
; NumSgprs: 16
; NumVgprs: 6
; NumAgprs: 0
; TotalNumVgprs: 6
; ScratchSize: 0
; MemoryBound: 0
; FloatMode: 240
; IeeeMode: 1
; LDSByteSize: 0 bytes/workgroup (compile time only)
; SGPRBlocks: 1
; VGPRBlocks: 0
; NumSGPRsForWavesPerEU: 16
; NumVGPRsForWavesPerEU: 6
; AccumOffset: 8
; Occupancy: 8
; WaveLimiterHint : 0
; COMPUTE_PGM_RSRC2:SCRATCH_EN: 0
; COMPUTE_PGM_RSRC2:USER_SGPR: 6
; COMPUTE_PGM_RSRC2:TRAP_HANDLER: 0
; COMPUTE_PGM_RSRC2:TGID_X_EN: 1
; COMPUTE_PGM_RSRC2:TGID_Y_EN: 0
; COMPUTE_PGM_RSRC2:TGID_Z_EN: 0
; COMPUTE_PGM_RSRC2:TIDIG_COMP_CNT: 0
; COMPUTE_PGM_RSRC3_GFX90A:ACCUM_OFFSET: 1
; COMPUTE_PGM_RSRC3_GFX90A:TG_SPLIT: 0
	.section	.text._ZN6thrust23THRUST_200600_302600_NS11hip_rocprim14__parallel_for6kernelILj256ENS1_20__uninitialized_fill7functorINS0_10device_ptrIyEEyEEmLj1EEEvT0_T1_SA_,"axG",@progbits,_ZN6thrust23THRUST_200600_302600_NS11hip_rocprim14__parallel_for6kernelILj256ENS1_20__uninitialized_fill7functorINS0_10device_ptrIyEEyEEmLj1EEEvT0_T1_SA_,comdat
	.protected	_ZN6thrust23THRUST_200600_302600_NS11hip_rocprim14__parallel_for6kernelILj256ENS1_20__uninitialized_fill7functorINS0_10device_ptrIyEEyEEmLj1EEEvT0_T1_SA_ ; -- Begin function _ZN6thrust23THRUST_200600_302600_NS11hip_rocprim14__parallel_for6kernelILj256ENS1_20__uninitialized_fill7functorINS0_10device_ptrIyEEyEEmLj1EEEvT0_T1_SA_
	.globl	_ZN6thrust23THRUST_200600_302600_NS11hip_rocprim14__parallel_for6kernelILj256ENS1_20__uninitialized_fill7functorINS0_10device_ptrIyEEyEEmLj1EEEvT0_T1_SA_
	.p2align	8
	.type	_ZN6thrust23THRUST_200600_302600_NS11hip_rocprim14__parallel_for6kernelILj256ENS1_20__uninitialized_fill7functorINS0_10device_ptrIyEEyEEmLj1EEEvT0_T1_SA_,@function
_ZN6thrust23THRUST_200600_302600_NS11hip_rocprim14__parallel_for6kernelILj256ENS1_20__uninitialized_fill7functorINS0_10device_ptrIyEEyEEmLj1EEEvT0_T1_SA_: ; @_ZN6thrust23THRUST_200600_302600_NS11hip_rocprim14__parallel_for6kernelILj256ENS1_20__uninitialized_fill7functorINS0_10device_ptrIyEEyEEmLj1EEEvT0_T1_SA_
; %bb.0:
	s_load_dwordx8 s[8:15], s[4:5], 0x0
	s_lshl_b32 s0, s6, 8
	v_mov_b32_e32 v2, 0x100
	v_mov_b32_e32 v3, 0
	s_waitcnt lgkmcnt(0)
	s_add_u32 s0, s0, s14
	s_addc_u32 s1, 0, s15
	s_sub_u32 s2, s12, s0
	s_subb_u32 s3, s13, s1
	v_cmp_lt_u64_e32 vcc, s[2:3], v[2:3]
	s_cbranch_vccz .LBB1173_2
; %bb.1:
	v_cmp_gt_u32_e32 vcc, s2, v0
	s_and_b64 s[2:3], vcc, exec
	s_cbranch_execz .LBB1173_3
	s_branch .LBB1173_4
.LBB1173_2:
	s_mov_b64 s[2:3], 0
.LBB1173_3:
	s_or_b64 s[2:3], s[2:3], exec
.LBB1173_4:
	s_and_saveexec_b64 s[4:5], s[2:3]
	s_cbranch_execnz .LBB1173_6
; %bb.5:
	s_endpgm
.LBB1173_6:
	s_lshl_b64 s[0:1], s[0:1], 3
	v_mov_b32_e32 v1, 0
	s_add_u32 s0, s8, s0
	s_addc_u32 s1, s9, s1
	v_lshlrev_b64 v[0:1], 3, v[0:1]
	v_mov_b32_e32 v4, s1
	v_add_co_u32_e32 v0, vcc, s0, v0
	v_mov_b32_e32 v2, s10
	v_mov_b32_e32 v3, s11
	v_addc_co_u32_e32 v1, vcc, v4, v1, vcc
	flat_store_dwordx2 v[0:1], v[2:3]
	s_endpgm
	.section	.rodata,"a",@progbits
	.p2align	6, 0x0
	.amdhsa_kernel _ZN6thrust23THRUST_200600_302600_NS11hip_rocprim14__parallel_for6kernelILj256ENS1_20__uninitialized_fill7functorINS0_10device_ptrIyEEyEEmLj1EEEvT0_T1_SA_
		.amdhsa_group_segment_fixed_size 0
		.amdhsa_private_segment_fixed_size 0
		.amdhsa_kernarg_size 32
		.amdhsa_user_sgpr_count 6
		.amdhsa_user_sgpr_private_segment_buffer 1
		.amdhsa_user_sgpr_dispatch_ptr 0
		.amdhsa_user_sgpr_queue_ptr 0
		.amdhsa_user_sgpr_kernarg_segment_ptr 1
		.amdhsa_user_sgpr_dispatch_id 0
		.amdhsa_user_sgpr_flat_scratch_init 0
		.amdhsa_user_sgpr_kernarg_preload_length 0
		.amdhsa_user_sgpr_kernarg_preload_offset 0
		.amdhsa_user_sgpr_private_segment_size 0
		.amdhsa_uses_dynamic_stack 0
		.amdhsa_system_sgpr_private_segment_wavefront_offset 0
		.amdhsa_system_sgpr_workgroup_id_x 1
		.amdhsa_system_sgpr_workgroup_id_y 0
		.amdhsa_system_sgpr_workgroup_id_z 0
		.amdhsa_system_sgpr_workgroup_info 0
		.amdhsa_system_vgpr_workitem_id 0
		.amdhsa_next_free_vgpr 5
		.amdhsa_next_free_sgpr 16
		.amdhsa_accum_offset 8
		.amdhsa_reserve_vcc 1
		.amdhsa_reserve_flat_scratch 0
		.amdhsa_float_round_mode_32 0
		.amdhsa_float_round_mode_16_64 0
		.amdhsa_float_denorm_mode_32 3
		.amdhsa_float_denorm_mode_16_64 3
		.amdhsa_dx10_clamp 1
		.amdhsa_ieee_mode 1
		.amdhsa_fp16_overflow 0
		.amdhsa_tg_split 0
		.amdhsa_exception_fp_ieee_invalid_op 0
		.amdhsa_exception_fp_denorm_src 0
		.amdhsa_exception_fp_ieee_div_zero 0
		.amdhsa_exception_fp_ieee_overflow 0
		.amdhsa_exception_fp_ieee_underflow 0
		.amdhsa_exception_fp_ieee_inexact 0
		.amdhsa_exception_int_div_zero 0
	.end_amdhsa_kernel
	.section	.text._ZN6thrust23THRUST_200600_302600_NS11hip_rocprim14__parallel_for6kernelILj256ENS1_20__uninitialized_fill7functorINS0_10device_ptrIyEEyEEmLj1EEEvT0_T1_SA_,"axG",@progbits,_ZN6thrust23THRUST_200600_302600_NS11hip_rocprim14__parallel_for6kernelILj256ENS1_20__uninitialized_fill7functorINS0_10device_ptrIyEEyEEmLj1EEEvT0_T1_SA_,comdat
.Lfunc_end1173:
	.size	_ZN6thrust23THRUST_200600_302600_NS11hip_rocprim14__parallel_for6kernelILj256ENS1_20__uninitialized_fill7functorINS0_10device_ptrIyEEyEEmLj1EEEvT0_T1_SA_, .Lfunc_end1173-_ZN6thrust23THRUST_200600_302600_NS11hip_rocprim14__parallel_for6kernelILj256ENS1_20__uninitialized_fill7functorINS0_10device_ptrIyEEyEEmLj1EEEvT0_T1_SA_
                                        ; -- End function
	.section	.AMDGPU.csdata,"",@progbits
; Kernel info:
; codeLenInByte = 144
; NumSgprs: 20
; NumVgprs: 5
; NumAgprs: 0
; TotalNumVgprs: 5
; ScratchSize: 0
; MemoryBound: 0
; FloatMode: 240
; IeeeMode: 1
; LDSByteSize: 0 bytes/workgroup (compile time only)
; SGPRBlocks: 2
; VGPRBlocks: 0
; NumSGPRsForWavesPerEU: 20
; NumVGPRsForWavesPerEU: 5
; AccumOffset: 8
; Occupancy: 8
; WaveLimiterHint : 0
; COMPUTE_PGM_RSRC2:SCRATCH_EN: 0
; COMPUTE_PGM_RSRC2:USER_SGPR: 6
; COMPUTE_PGM_RSRC2:TRAP_HANDLER: 0
; COMPUTE_PGM_RSRC2:TGID_X_EN: 1
; COMPUTE_PGM_RSRC2:TGID_Y_EN: 0
; COMPUTE_PGM_RSRC2:TGID_Z_EN: 0
; COMPUTE_PGM_RSRC2:TIDIG_COMP_CNT: 0
; COMPUTE_PGM_RSRC3_GFX90A:ACCUM_OFFSET: 1
; COMPUTE_PGM_RSRC3_GFX90A:TG_SPLIT: 0
	.section	.text._ZN7rocprim17ROCPRIM_400000_NS6detail30init_device_scan_by_key_kernelINS1_19lookback_scan_stateINS0_5tupleIJybEEELb0ELb0EEEN6thrust23THRUST_200600_302600_NS6detail15normal_iteratorINS8_10device_ptrIiEEEEjNS1_16block_id_wrapperIjLb0EEEEEvT_jjPNSG_10value_typeET0_PNSt15iterator_traitsISJ_E10value_typeEmT1_T2_,"axG",@progbits,_ZN7rocprim17ROCPRIM_400000_NS6detail30init_device_scan_by_key_kernelINS1_19lookback_scan_stateINS0_5tupleIJybEEELb0ELb0EEEN6thrust23THRUST_200600_302600_NS6detail15normal_iteratorINS8_10device_ptrIiEEEEjNS1_16block_id_wrapperIjLb0EEEEEvT_jjPNSG_10value_typeET0_PNSt15iterator_traitsISJ_E10value_typeEmT1_T2_,comdat
	.protected	_ZN7rocprim17ROCPRIM_400000_NS6detail30init_device_scan_by_key_kernelINS1_19lookback_scan_stateINS0_5tupleIJybEEELb0ELb0EEEN6thrust23THRUST_200600_302600_NS6detail15normal_iteratorINS8_10device_ptrIiEEEEjNS1_16block_id_wrapperIjLb0EEEEEvT_jjPNSG_10value_typeET0_PNSt15iterator_traitsISJ_E10value_typeEmT1_T2_ ; -- Begin function _ZN7rocprim17ROCPRIM_400000_NS6detail30init_device_scan_by_key_kernelINS1_19lookback_scan_stateINS0_5tupleIJybEEELb0ELb0EEEN6thrust23THRUST_200600_302600_NS6detail15normal_iteratorINS8_10device_ptrIiEEEEjNS1_16block_id_wrapperIjLb0EEEEEvT_jjPNSG_10value_typeET0_PNSt15iterator_traitsISJ_E10value_typeEmT1_T2_
	.globl	_ZN7rocprim17ROCPRIM_400000_NS6detail30init_device_scan_by_key_kernelINS1_19lookback_scan_stateINS0_5tupleIJybEEELb0ELb0EEEN6thrust23THRUST_200600_302600_NS6detail15normal_iteratorINS8_10device_ptrIiEEEEjNS1_16block_id_wrapperIjLb0EEEEEvT_jjPNSG_10value_typeET0_PNSt15iterator_traitsISJ_E10value_typeEmT1_T2_
	.p2align	8
	.type	_ZN7rocprim17ROCPRIM_400000_NS6detail30init_device_scan_by_key_kernelINS1_19lookback_scan_stateINS0_5tupleIJybEEELb0ELb0EEEN6thrust23THRUST_200600_302600_NS6detail15normal_iteratorINS8_10device_ptrIiEEEEjNS1_16block_id_wrapperIjLb0EEEEEvT_jjPNSG_10value_typeET0_PNSt15iterator_traitsISJ_E10value_typeEmT1_T2_,@function
_ZN7rocprim17ROCPRIM_400000_NS6detail30init_device_scan_by_key_kernelINS1_19lookback_scan_stateINS0_5tupleIJybEEELb0ELb0EEEN6thrust23THRUST_200600_302600_NS6detail15normal_iteratorINS8_10device_ptrIiEEEEjNS1_16block_id_wrapperIjLb0EEEEEvT_jjPNSG_10value_typeET0_PNSt15iterator_traitsISJ_E10value_typeEmT1_T2_: ; @_ZN7rocprim17ROCPRIM_400000_NS6detail30init_device_scan_by_key_kernelINS1_19lookback_scan_stateINS0_5tupleIJybEEELb0ELb0EEEN6thrust23THRUST_200600_302600_NS6detail15normal_iteratorINS8_10device_ptrIiEEEEjNS1_16block_id_wrapperIjLb0EEEEEvT_jjPNSG_10value_typeET0_PNSt15iterator_traitsISJ_E10value_typeEmT1_T2_
; %bb.0:
	s_load_dword s0, s[4:5], 0x54
	s_load_dwordx8 s[8:15], s[4:5], 0x10
	s_load_dword s20, s[4:5], 0x48
	s_waitcnt lgkmcnt(0)
	s_and_b32 s21, s0, 0xffff
	s_mul_i32 s6, s6, s21
	s_cmp_eq_u64 s[12:13], 0
	v_add_u32_e32 v0, s6, v0
	s_cbranch_scc1 .LBB1174_7
; %bb.1:
	s_cmp_lt_u32 s11, s10
	s_cselect_b32 s0, s11, 0
	s_mov_b32 s17, 0
	v_cmp_eq_u32_e32 vcc, s0, v0
	s_and_saveexec_b64 s[6:7], vcc
	s_cbranch_execz .LBB1174_6
; %bb.2:
	s_add_i32 s16, s11, 64
	v_mov_b32_e32 v1, s16
	global_load_ubyte v1, v1, s[8:9] glc
	s_load_dwordx4 s[0:3], s[4:5], 0x0
	s_add_u32 s18, s8, s16
	s_addc_u32 s19, s9, 0
	s_waitcnt vmcnt(0)
	v_cmp_ne_u16_e32 vcc, 0, v1
	v_readfirstlane_b32 s11, v1
	s_cbranch_vccnz .LBB1174_5
; %bb.3:
	v_mov_b32_e32 v1, 0
.LBB1174_4:                             ; =>This Inner Loop Header: Depth=1
	global_load_ubyte v2, v1, s[18:19] glc
	s_waitcnt vmcnt(0)
	v_cmp_eq_u16_e32 vcc, 0, v2
	v_readfirstlane_b32 s11, v2
	s_cbranch_vccnz .LBB1174_4
.LBB1174_5:
	s_and_b32 s11, 0xffff, s11
	s_cmp_eq_u32 s11, 1
	s_waitcnt lgkmcnt(0)
	s_cselect_b32 s3, s1, s3
	s_cselect_b32 s2, s0, s2
	s_lshl_b64 s[0:1], s[16:17], 4
	s_add_u32 s0, s2, s0
	s_addc_u32 s1, s3, s1
	v_mov_b32_e32 v1, 0
	buffer_wbinvl1_vol
	global_load_dwordx2 v[2:3], v1, s[0:1]
	global_load_ubyte v4, v1, s[0:1] offset:8
	s_waitcnt vmcnt(1)
	global_store_dwordx2 v1, v[2:3], s[12:13]
	s_waitcnt vmcnt(1)
	global_store_byte v1, v4, s[12:13] offset:8
.LBB1174_6:
	s_or_b64 exec, exec, s[6:7]
.LBB1174_7:
	v_cmp_gt_u32_e32 vcc, s10, v0
	s_and_saveexec_b64 s[0:1], vcc
	s_cbranch_execz .LBB1174_9
; %bb.8:
	v_add_u32_e32 v1, 64, v0
	v_mov_b32_e32 v2, 0
	global_store_byte v1, v2, s[8:9]
.LBB1174_9:
	s_or_b64 exec, exec, s[0:1]
	v_cmp_gt_u32_e32 vcc, 64, v0
	v_mov_b32_e32 v1, 0
	s_and_saveexec_b64 s[0:1], vcc
	s_cbranch_execz .LBB1174_11
; %bb.10:
	v_mov_b32_e32 v3, s9
	v_add_co_u32_e32 v2, vcc, s8, v0
	v_addc_co_u32_e32 v3, vcc, 0, v3, vcc
	v_mov_b32_e32 v4, 0xff
	global_store_byte v[2:3], v4, off
.LBB1174_11:
	s_or_b64 exec, exec, s[0:1]
	s_load_dwordx2 s[0:1], s[4:5], 0x38
	s_waitcnt lgkmcnt(0)
	v_cmp_gt_u64_e32 vcc, s[0:1], v[0:1]
	s_and_saveexec_b64 s[2:3], vcc
	s_cbranch_execz .LBB1174_14
; %bb.12:
	s_load_dword s10, s[4:5], 0x40
	s_load_dwordx2 s[6:7], s[4:5], 0x30
	s_mov_b32 s5, 0
	s_mov_b32 s3, s5
	s_mul_i32 s2, s20, s21
	s_waitcnt lgkmcnt(0)
	s_add_i32 s4, s10, -1
	s_lshl_b64 s[4:5], s[4:5], 2
	v_mad_u64_u32 v[2:3], s[8:9], s10, v0, 0
	s_add_u32 s4, s14, s4
	v_lshlrev_b64 v[2:3], 2, v[2:3]
	s_addc_u32 s5, s15, s5
	v_mov_b32_e32 v4, s5
	v_add_co_u32_e32 v2, vcc, s4, v2
	v_addc_co_u32_e32 v3, vcc, v4, v3, vcc
	s_mul_hi_u32 s5, s10, s2
	s_mul_i32 s4, s10, s2
	v_lshlrev_b64 v[4:5], 2, v[0:1]
	s_lshl_b64 s[4:5], s[4:5], 2
	v_mov_b32_e32 v6, s7
	v_add_co_u32_e32 v4, vcc, s6, v4
	s_lshl_b64 s[6:7], s[2:3], 2
	v_addc_co_u32_e32 v5, vcc, v6, v5, vcc
	s_mov_b64 s[8:9], 0
	v_mov_b32_e32 v6, s3
	v_mov_b32_e32 v7, s5
	;; [unrolled: 1-line block ×3, first 2 shown]
.LBB1174_13:                            ; =>This Inner Loop Header: Depth=1
	global_load_dword v9, v[2:3], off
	v_add_co_u32_e32 v0, vcc, s2, v0
	v_addc_co_u32_e32 v1, vcc, v1, v6, vcc
	v_add_co_u32_e32 v2, vcc, s4, v2
	v_addc_co_u32_e32 v3, vcc, v3, v7, vcc
	v_cmp_le_u64_e32 vcc, s[0:1], v[0:1]
	s_or_b64 s[8:9], vcc, s[8:9]
	s_waitcnt vmcnt(0)
	global_store_dword v[4:5], v9, off
	v_add_co_u32_e32 v4, vcc, s6, v4
	v_addc_co_u32_e32 v5, vcc, v5, v8, vcc
	s_andn2_b64 exec, exec, s[8:9]
	s_cbranch_execnz .LBB1174_13
.LBB1174_14:
	s_endpgm
	.section	.rodata,"a",@progbits
	.p2align	6, 0x0
	.amdhsa_kernel _ZN7rocprim17ROCPRIM_400000_NS6detail30init_device_scan_by_key_kernelINS1_19lookback_scan_stateINS0_5tupleIJybEEELb0ELb0EEEN6thrust23THRUST_200600_302600_NS6detail15normal_iteratorINS8_10device_ptrIiEEEEjNS1_16block_id_wrapperIjLb0EEEEEvT_jjPNSG_10value_typeET0_PNSt15iterator_traitsISJ_E10value_typeEmT1_T2_
		.amdhsa_group_segment_fixed_size 0
		.amdhsa_private_segment_fixed_size 0
		.amdhsa_kernarg_size 328
		.amdhsa_user_sgpr_count 6
		.amdhsa_user_sgpr_private_segment_buffer 1
		.amdhsa_user_sgpr_dispatch_ptr 0
		.amdhsa_user_sgpr_queue_ptr 0
		.amdhsa_user_sgpr_kernarg_segment_ptr 1
		.amdhsa_user_sgpr_dispatch_id 0
		.amdhsa_user_sgpr_flat_scratch_init 0
		.amdhsa_user_sgpr_kernarg_preload_length 0
		.amdhsa_user_sgpr_kernarg_preload_offset 0
		.amdhsa_user_sgpr_private_segment_size 0
		.amdhsa_uses_dynamic_stack 0
		.amdhsa_system_sgpr_private_segment_wavefront_offset 0
		.amdhsa_system_sgpr_workgroup_id_x 1
		.amdhsa_system_sgpr_workgroup_id_y 0
		.amdhsa_system_sgpr_workgroup_id_z 0
		.amdhsa_system_sgpr_workgroup_info 0
		.amdhsa_system_vgpr_workitem_id 0
		.amdhsa_next_free_vgpr 10
		.amdhsa_next_free_sgpr 22
		.amdhsa_accum_offset 12
		.amdhsa_reserve_vcc 1
		.amdhsa_reserve_flat_scratch 0
		.amdhsa_float_round_mode_32 0
		.amdhsa_float_round_mode_16_64 0
		.amdhsa_float_denorm_mode_32 3
		.amdhsa_float_denorm_mode_16_64 3
		.amdhsa_dx10_clamp 1
		.amdhsa_ieee_mode 1
		.amdhsa_fp16_overflow 0
		.amdhsa_tg_split 0
		.amdhsa_exception_fp_ieee_invalid_op 0
		.amdhsa_exception_fp_denorm_src 0
		.amdhsa_exception_fp_ieee_div_zero 0
		.amdhsa_exception_fp_ieee_overflow 0
		.amdhsa_exception_fp_ieee_underflow 0
		.amdhsa_exception_fp_ieee_inexact 0
		.amdhsa_exception_int_div_zero 0
	.end_amdhsa_kernel
	.section	.text._ZN7rocprim17ROCPRIM_400000_NS6detail30init_device_scan_by_key_kernelINS1_19lookback_scan_stateINS0_5tupleIJybEEELb0ELb0EEEN6thrust23THRUST_200600_302600_NS6detail15normal_iteratorINS8_10device_ptrIiEEEEjNS1_16block_id_wrapperIjLb0EEEEEvT_jjPNSG_10value_typeET0_PNSt15iterator_traitsISJ_E10value_typeEmT1_T2_,"axG",@progbits,_ZN7rocprim17ROCPRIM_400000_NS6detail30init_device_scan_by_key_kernelINS1_19lookback_scan_stateINS0_5tupleIJybEEELb0ELb0EEEN6thrust23THRUST_200600_302600_NS6detail15normal_iteratorINS8_10device_ptrIiEEEEjNS1_16block_id_wrapperIjLb0EEEEEvT_jjPNSG_10value_typeET0_PNSt15iterator_traitsISJ_E10value_typeEmT1_T2_,comdat
.Lfunc_end1174:
	.size	_ZN7rocprim17ROCPRIM_400000_NS6detail30init_device_scan_by_key_kernelINS1_19lookback_scan_stateINS0_5tupleIJybEEELb0ELb0EEEN6thrust23THRUST_200600_302600_NS6detail15normal_iteratorINS8_10device_ptrIiEEEEjNS1_16block_id_wrapperIjLb0EEEEEvT_jjPNSG_10value_typeET0_PNSt15iterator_traitsISJ_E10value_typeEmT1_T2_, .Lfunc_end1174-_ZN7rocprim17ROCPRIM_400000_NS6detail30init_device_scan_by_key_kernelINS1_19lookback_scan_stateINS0_5tupleIJybEEELb0ELb0EEEN6thrust23THRUST_200600_302600_NS6detail15normal_iteratorINS8_10device_ptrIiEEEEjNS1_16block_id_wrapperIjLb0EEEEEvT_jjPNSG_10value_typeET0_PNSt15iterator_traitsISJ_E10value_typeEmT1_T2_
                                        ; -- End function
	.section	.AMDGPU.csdata,"",@progbits
; Kernel info:
; codeLenInByte = 540
; NumSgprs: 26
; NumVgprs: 10
; NumAgprs: 0
; TotalNumVgprs: 10
; ScratchSize: 0
; MemoryBound: 0
; FloatMode: 240
; IeeeMode: 1
; LDSByteSize: 0 bytes/workgroup (compile time only)
; SGPRBlocks: 3
; VGPRBlocks: 1
; NumSGPRsForWavesPerEU: 26
; NumVGPRsForWavesPerEU: 10
; AccumOffset: 12
; Occupancy: 8
; WaveLimiterHint : 0
; COMPUTE_PGM_RSRC2:SCRATCH_EN: 0
; COMPUTE_PGM_RSRC2:USER_SGPR: 6
; COMPUTE_PGM_RSRC2:TRAP_HANDLER: 0
; COMPUTE_PGM_RSRC2:TGID_X_EN: 1
; COMPUTE_PGM_RSRC2:TGID_Y_EN: 0
; COMPUTE_PGM_RSRC2:TGID_Z_EN: 0
; COMPUTE_PGM_RSRC2:TIDIG_COMP_CNT: 0
; COMPUTE_PGM_RSRC3_GFX90A:ACCUM_OFFSET: 2
; COMPUTE_PGM_RSRC3_GFX90A:TG_SPLIT: 0
	.section	.text._ZN7rocprim17ROCPRIM_400000_NS6detail30init_device_scan_by_key_kernelINS1_19lookback_scan_stateINS0_5tupleIJybEEELb0ELb0EEENS1_16block_id_wrapperIjLb0EEEEEvT_jjPNS9_10value_typeET0_,"axG",@progbits,_ZN7rocprim17ROCPRIM_400000_NS6detail30init_device_scan_by_key_kernelINS1_19lookback_scan_stateINS0_5tupleIJybEEELb0ELb0EEENS1_16block_id_wrapperIjLb0EEEEEvT_jjPNS9_10value_typeET0_,comdat
	.protected	_ZN7rocprim17ROCPRIM_400000_NS6detail30init_device_scan_by_key_kernelINS1_19lookback_scan_stateINS0_5tupleIJybEEELb0ELb0EEENS1_16block_id_wrapperIjLb0EEEEEvT_jjPNS9_10value_typeET0_ ; -- Begin function _ZN7rocprim17ROCPRIM_400000_NS6detail30init_device_scan_by_key_kernelINS1_19lookback_scan_stateINS0_5tupleIJybEEELb0ELb0EEENS1_16block_id_wrapperIjLb0EEEEEvT_jjPNS9_10value_typeET0_
	.globl	_ZN7rocprim17ROCPRIM_400000_NS6detail30init_device_scan_by_key_kernelINS1_19lookback_scan_stateINS0_5tupleIJybEEELb0ELb0EEENS1_16block_id_wrapperIjLb0EEEEEvT_jjPNS9_10value_typeET0_
	.p2align	8
	.type	_ZN7rocprim17ROCPRIM_400000_NS6detail30init_device_scan_by_key_kernelINS1_19lookback_scan_stateINS0_5tupleIJybEEELb0ELb0EEENS1_16block_id_wrapperIjLb0EEEEEvT_jjPNS9_10value_typeET0_,@function
_ZN7rocprim17ROCPRIM_400000_NS6detail30init_device_scan_by_key_kernelINS1_19lookback_scan_stateINS0_5tupleIJybEEELb0ELb0EEENS1_16block_id_wrapperIjLb0EEEEEvT_jjPNS9_10value_typeET0_: ; @_ZN7rocprim17ROCPRIM_400000_NS6detail30init_device_scan_by_key_kernelINS1_19lookback_scan_stateINS0_5tupleIJybEEELb0ELb0EEENS1_16block_id_wrapperIjLb0EEEEEvT_jjPNS9_10value_typeET0_
; %bb.0:
	s_load_dword s7, s[4:5], 0x3c
	s_load_dwordx2 s[8:9], s[4:5], 0x20
	s_load_dwordx4 s[0:3], s[4:5], 0x10
	s_waitcnt lgkmcnt(0)
	s_and_b32 s7, s7, 0xffff
	s_mul_i32 s6, s6, s7
	s_cmp_eq_u64 s[8:9], 0
	v_add_u32_e32 v0, s6, v0
	s_cbranch_scc1 .LBB1175_7
; %bb.1:
	s_cmp_lt_u32 s3, s2
	s_cselect_b32 s6, s3, 0
	s_mov_b32 s13, 0
	v_cmp_eq_u32_e32 vcc, s6, v0
	s_and_saveexec_b64 s[10:11], vcc
	s_cbranch_execz .LBB1175_6
; %bb.2:
	s_add_i32 s12, s3, 64
	v_mov_b32_e32 v1, s12
	global_load_ubyte v1, v1, s[0:1] glc
	s_load_dwordx4 s[4:7], s[4:5], 0x0
	s_add_u32 s14, s0, s12
	s_addc_u32 s15, s1, 0
	s_waitcnt vmcnt(0)
	v_cmp_ne_u16_e32 vcc, 0, v1
	v_readfirstlane_b32 s3, v1
	s_cbranch_vccnz .LBB1175_5
; %bb.3:
	v_mov_b32_e32 v1, 0
.LBB1175_4:                             ; =>This Inner Loop Header: Depth=1
	global_load_ubyte v2, v1, s[14:15] glc
	s_waitcnt vmcnt(0)
	v_cmp_eq_u16_e32 vcc, 0, v2
	v_readfirstlane_b32 s3, v2
	s_cbranch_vccnz .LBB1175_4
.LBB1175_5:
	s_and_b32 s3, 0xffff, s3
	s_cmp_eq_u32 s3, 1
	s_waitcnt lgkmcnt(0)
	s_cselect_b32 s3, s5, s7
	s_cselect_b32 s6, s4, s6
	s_lshl_b64 s[4:5], s[12:13], 4
	s_add_u32 s4, s6, s4
	s_addc_u32 s5, s3, s5
	v_mov_b32_e32 v1, 0
	buffer_wbinvl1_vol
	global_load_dwordx2 v[2:3], v1, s[4:5]
	global_load_ubyte v4, v1, s[4:5] offset:8
	s_waitcnt vmcnt(1)
	global_store_dwordx2 v1, v[2:3], s[8:9]
	s_waitcnt vmcnt(1)
	global_store_byte v1, v4, s[8:9] offset:8
.LBB1175_6:
	s_or_b64 exec, exec, s[10:11]
.LBB1175_7:
	v_cmp_gt_u32_e32 vcc, s2, v0
	s_and_saveexec_b64 s[2:3], vcc
	s_cbranch_execnz .LBB1175_10
; %bb.8:
	s_or_b64 exec, exec, s[2:3]
	v_cmp_gt_u32_e32 vcc, 64, v0
	s_and_saveexec_b64 s[2:3], vcc
	s_cbranch_execnz .LBB1175_11
.LBB1175_9:
	s_endpgm
.LBB1175_10:
	v_add_u32_e32 v1, 64, v0
	v_mov_b32_e32 v2, 0
	global_store_byte v1, v2, s[0:1]
	s_or_b64 exec, exec, s[2:3]
	v_cmp_gt_u32_e32 vcc, 64, v0
	s_and_saveexec_b64 s[2:3], vcc
	s_cbranch_execz .LBB1175_9
.LBB1175_11:
	v_mov_b32_e32 v1, 0xff
	global_store_byte v0, v1, s[0:1]
	s_endpgm
	.section	.rodata,"a",@progbits
	.p2align	6, 0x0
	.amdhsa_kernel _ZN7rocprim17ROCPRIM_400000_NS6detail30init_device_scan_by_key_kernelINS1_19lookback_scan_stateINS0_5tupleIJybEEELb0ELb0EEENS1_16block_id_wrapperIjLb0EEEEEvT_jjPNS9_10value_typeET0_
		.amdhsa_group_segment_fixed_size 0
		.amdhsa_private_segment_fixed_size 0
		.amdhsa_kernarg_size 304
		.amdhsa_user_sgpr_count 6
		.amdhsa_user_sgpr_private_segment_buffer 1
		.amdhsa_user_sgpr_dispatch_ptr 0
		.amdhsa_user_sgpr_queue_ptr 0
		.amdhsa_user_sgpr_kernarg_segment_ptr 1
		.amdhsa_user_sgpr_dispatch_id 0
		.amdhsa_user_sgpr_flat_scratch_init 0
		.amdhsa_user_sgpr_kernarg_preload_length 0
		.amdhsa_user_sgpr_kernarg_preload_offset 0
		.amdhsa_user_sgpr_private_segment_size 0
		.amdhsa_uses_dynamic_stack 0
		.amdhsa_system_sgpr_private_segment_wavefront_offset 0
		.amdhsa_system_sgpr_workgroup_id_x 1
		.amdhsa_system_sgpr_workgroup_id_y 0
		.amdhsa_system_sgpr_workgroup_id_z 0
		.amdhsa_system_sgpr_workgroup_info 0
		.amdhsa_system_vgpr_workitem_id 0
		.amdhsa_next_free_vgpr 5
		.amdhsa_next_free_sgpr 16
		.amdhsa_accum_offset 8
		.amdhsa_reserve_vcc 1
		.amdhsa_reserve_flat_scratch 0
		.amdhsa_float_round_mode_32 0
		.amdhsa_float_round_mode_16_64 0
		.amdhsa_float_denorm_mode_32 3
		.amdhsa_float_denorm_mode_16_64 3
		.amdhsa_dx10_clamp 1
		.amdhsa_ieee_mode 1
		.amdhsa_fp16_overflow 0
		.amdhsa_tg_split 0
		.amdhsa_exception_fp_ieee_invalid_op 0
		.amdhsa_exception_fp_denorm_src 0
		.amdhsa_exception_fp_ieee_div_zero 0
		.amdhsa_exception_fp_ieee_overflow 0
		.amdhsa_exception_fp_ieee_underflow 0
		.amdhsa_exception_fp_ieee_inexact 0
		.amdhsa_exception_int_div_zero 0
	.end_amdhsa_kernel
	.section	.text._ZN7rocprim17ROCPRIM_400000_NS6detail30init_device_scan_by_key_kernelINS1_19lookback_scan_stateINS0_5tupleIJybEEELb0ELb0EEENS1_16block_id_wrapperIjLb0EEEEEvT_jjPNS9_10value_typeET0_,"axG",@progbits,_ZN7rocprim17ROCPRIM_400000_NS6detail30init_device_scan_by_key_kernelINS1_19lookback_scan_stateINS0_5tupleIJybEEELb0ELb0EEENS1_16block_id_wrapperIjLb0EEEEEvT_jjPNS9_10value_typeET0_,comdat
.Lfunc_end1175:
	.size	_ZN7rocprim17ROCPRIM_400000_NS6detail30init_device_scan_by_key_kernelINS1_19lookback_scan_stateINS0_5tupleIJybEEELb0ELb0EEENS1_16block_id_wrapperIjLb0EEEEEvT_jjPNS9_10value_typeET0_, .Lfunc_end1175-_ZN7rocprim17ROCPRIM_400000_NS6detail30init_device_scan_by_key_kernelINS1_19lookback_scan_stateINS0_5tupleIJybEEELb0ELb0EEENS1_16block_id_wrapperIjLb0EEEEEvT_jjPNS9_10value_typeET0_
                                        ; -- End function
	.section	.AMDGPU.csdata,"",@progbits
; Kernel info:
; codeLenInByte = 328
; NumSgprs: 20
; NumVgprs: 5
; NumAgprs: 0
; TotalNumVgprs: 5
; ScratchSize: 0
; MemoryBound: 0
; FloatMode: 240
; IeeeMode: 1
; LDSByteSize: 0 bytes/workgroup (compile time only)
; SGPRBlocks: 2
; VGPRBlocks: 0
; NumSGPRsForWavesPerEU: 20
; NumVGPRsForWavesPerEU: 5
; AccumOffset: 8
; Occupancy: 8
; WaveLimiterHint : 0
; COMPUTE_PGM_RSRC2:SCRATCH_EN: 0
; COMPUTE_PGM_RSRC2:USER_SGPR: 6
; COMPUTE_PGM_RSRC2:TRAP_HANDLER: 0
; COMPUTE_PGM_RSRC2:TGID_X_EN: 1
; COMPUTE_PGM_RSRC2:TGID_Y_EN: 0
; COMPUTE_PGM_RSRC2:TGID_Z_EN: 0
; COMPUTE_PGM_RSRC2:TIDIG_COMP_CNT: 0
; COMPUTE_PGM_RSRC3_GFX90A:ACCUM_OFFSET: 1
; COMPUTE_PGM_RSRC3_GFX90A:TG_SPLIT: 0
	.section	.text._ZN7rocprim17ROCPRIM_400000_NS6detail17trampoline_kernelINS0_14default_configENS1_27scan_by_key_config_selectorIiyEEZZNS1_16scan_by_key_implILNS1_25lookback_scan_determinismE0ELb0ES3_N6thrust23THRUST_200600_302600_NS6detail15normal_iteratorINS9_10device_ptrIiEEEENSB_INSC_IyEEEESG_yNS9_4plusIvEENS9_8equal_toIvEEyEE10hipError_tPvRmT2_T3_T4_T5_mT6_T7_P12ihipStream_tbENKUlT_T0_E_clISt17integral_constantIbLb0EES11_EEDaSW_SX_EUlSW_E_NS1_11comp_targetILNS1_3genE0ELNS1_11target_archE4294967295ELNS1_3gpuE0ELNS1_3repE0EEENS1_30default_config_static_selectorELNS0_4arch9wavefront6targetE1EEEvT1_,"axG",@progbits,_ZN7rocprim17ROCPRIM_400000_NS6detail17trampoline_kernelINS0_14default_configENS1_27scan_by_key_config_selectorIiyEEZZNS1_16scan_by_key_implILNS1_25lookback_scan_determinismE0ELb0ES3_N6thrust23THRUST_200600_302600_NS6detail15normal_iteratorINS9_10device_ptrIiEEEENSB_INSC_IyEEEESG_yNS9_4plusIvEENS9_8equal_toIvEEyEE10hipError_tPvRmT2_T3_T4_T5_mT6_T7_P12ihipStream_tbENKUlT_T0_E_clISt17integral_constantIbLb0EES11_EEDaSW_SX_EUlSW_E_NS1_11comp_targetILNS1_3genE0ELNS1_11target_archE4294967295ELNS1_3gpuE0ELNS1_3repE0EEENS1_30default_config_static_selectorELNS0_4arch9wavefront6targetE1EEEvT1_,comdat
	.protected	_ZN7rocprim17ROCPRIM_400000_NS6detail17trampoline_kernelINS0_14default_configENS1_27scan_by_key_config_selectorIiyEEZZNS1_16scan_by_key_implILNS1_25lookback_scan_determinismE0ELb0ES3_N6thrust23THRUST_200600_302600_NS6detail15normal_iteratorINS9_10device_ptrIiEEEENSB_INSC_IyEEEESG_yNS9_4plusIvEENS9_8equal_toIvEEyEE10hipError_tPvRmT2_T3_T4_T5_mT6_T7_P12ihipStream_tbENKUlT_T0_E_clISt17integral_constantIbLb0EES11_EEDaSW_SX_EUlSW_E_NS1_11comp_targetILNS1_3genE0ELNS1_11target_archE4294967295ELNS1_3gpuE0ELNS1_3repE0EEENS1_30default_config_static_selectorELNS0_4arch9wavefront6targetE1EEEvT1_ ; -- Begin function _ZN7rocprim17ROCPRIM_400000_NS6detail17trampoline_kernelINS0_14default_configENS1_27scan_by_key_config_selectorIiyEEZZNS1_16scan_by_key_implILNS1_25lookback_scan_determinismE0ELb0ES3_N6thrust23THRUST_200600_302600_NS6detail15normal_iteratorINS9_10device_ptrIiEEEENSB_INSC_IyEEEESG_yNS9_4plusIvEENS9_8equal_toIvEEyEE10hipError_tPvRmT2_T3_T4_T5_mT6_T7_P12ihipStream_tbENKUlT_T0_E_clISt17integral_constantIbLb0EES11_EEDaSW_SX_EUlSW_E_NS1_11comp_targetILNS1_3genE0ELNS1_11target_archE4294967295ELNS1_3gpuE0ELNS1_3repE0EEENS1_30default_config_static_selectorELNS0_4arch9wavefront6targetE1EEEvT1_
	.globl	_ZN7rocprim17ROCPRIM_400000_NS6detail17trampoline_kernelINS0_14default_configENS1_27scan_by_key_config_selectorIiyEEZZNS1_16scan_by_key_implILNS1_25lookback_scan_determinismE0ELb0ES3_N6thrust23THRUST_200600_302600_NS6detail15normal_iteratorINS9_10device_ptrIiEEEENSB_INSC_IyEEEESG_yNS9_4plusIvEENS9_8equal_toIvEEyEE10hipError_tPvRmT2_T3_T4_T5_mT6_T7_P12ihipStream_tbENKUlT_T0_E_clISt17integral_constantIbLb0EES11_EEDaSW_SX_EUlSW_E_NS1_11comp_targetILNS1_3genE0ELNS1_11target_archE4294967295ELNS1_3gpuE0ELNS1_3repE0EEENS1_30default_config_static_selectorELNS0_4arch9wavefront6targetE1EEEvT1_
	.p2align	8
	.type	_ZN7rocprim17ROCPRIM_400000_NS6detail17trampoline_kernelINS0_14default_configENS1_27scan_by_key_config_selectorIiyEEZZNS1_16scan_by_key_implILNS1_25lookback_scan_determinismE0ELb0ES3_N6thrust23THRUST_200600_302600_NS6detail15normal_iteratorINS9_10device_ptrIiEEEENSB_INSC_IyEEEESG_yNS9_4plusIvEENS9_8equal_toIvEEyEE10hipError_tPvRmT2_T3_T4_T5_mT6_T7_P12ihipStream_tbENKUlT_T0_E_clISt17integral_constantIbLb0EES11_EEDaSW_SX_EUlSW_E_NS1_11comp_targetILNS1_3genE0ELNS1_11target_archE4294967295ELNS1_3gpuE0ELNS1_3repE0EEENS1_30default_config_static_selectorELNS0_4arch9wavefront6targetE1EEEvT1_,@function
_ZN7rocprim17ROCPRIM_400000_NS6detail17trampoline_kernelINS0_14default_configENS1_27scan_by_key_config_selectorIiyEEZZNS1_16scan_by_key_implILNS1_25lookback_scan_determinismE0ELb0ES3_N6thrust23THRUST_200600_302600_NS6detail15normal_iteratorINS9_10device_ptrIiEEEENSB_INSC_IyEEEESG_yNS9_4plusIvEENS9_8equal_toIvEEyEE10hipError_tPvRmT2_T3_T4_T5_mT6_T7_P12ihipStream_tbENKUlT_T0_E_clISt17integral_constantIbLb0EES11_EEDaSW_SX_EUlSW_E_NS1_11comp_targetILNS1_3genE0ELNS1_11target_archE4294967295ELNS1_3gpuE0ELNS1_3repE0EEENS1_30default_config_static_selectorELNS0_4arch9wavefront6targetE1EEEvT1_: ; @_ZN7rocprim17ROCPRIM_400000_NS6detail17trampoline_kernelINS0_14default_configENS1_27scan_by_key_config_selectorIiyEEZZNS1_16scan_by_key_implILNS1_25lookback_scan_determinismE0ELb0ES3_N6thrust23THRUST_200600_302600_NS6detail15normal_iteratorINS9_10device_ptrIiEEEENSB_INSC_IyEEEESG_yNS9_4plusIvEENS9_8equal_toIvEEyEE10hipError_tPvRmT2_T3_T4_T5_mT6_T7_P12ihipStream_tbENKUlT_T0_E_clISt17integral_constantIbLb0EES11_EEDaSW_SX_EUlSW_E_NS1_11comp_targetILNS1_3genE0ELNS1_11target_archE4294967295ELNS1_3gpuE0ELNS1_3repE0EEENS1_30default_config_static_selectorELNS0_4arch9wavefront6targetE1EEEvT1_
; %bb.0:
	.section	.rodata,"a",@progbits
	.p2align	6, 0x0
	.amdhsa_kernel _ZN7rocprim17ROCPRIM_400000_NS6detail17trampoline_kernelINS0_14default_configENS1_27scan_by_key_config_selectorIiyEEZZNS1_16scan_by_key_implILNS1_25lookback_scan_determinismE0ELb0ES3_N6thrust23THRUST_200600_302600_NS6detail15normal_iteratorINS9_10device_ptrIiEEEENSB_INSC_IyEEEESG_yNS9_4plusIvEENS9_8equal_toIvEEyEE10hipError_tPvRmT2_T3_T4_T5_mT6_T7_P12ihipStream_tbENKUlT_T0_E_clISt17integral_constantIbLb0EES11_EEDaSW_SX_EUlSW_E_NS1_11comp_targetILNS1_3genE0ELNS1_11target_archE4294967295ELNS1_3gpuE0ELNS1_3repE0EEENS1_30default_config_static_selectorELNS0_4arch9wavefront6targetE1EEEvT1_
		.amdhsa_group_segment_fixed_size 0
		.amdhsa_private_segment_fixed_size 0
		.amdhsa_kernarg_size 136
		.amdhsa_user_sgpr_count 6
		.amdhsa_user_sgpr_private_segment_buffer 1
		.amdhsa_user_sgpr_dispatch_ptr 0
		.amdhsa_user_sgpr_queue_ptr 0
		.amdhsa_user_sgpr_kernarg_segment_ptr 1
		.amdhsa_user_sgpr_dispatch_id 0
		.amdhsa_user_sgpr_flat_scratch_init 0
		.amdhsa_user_sgpr_kernarg_preload_length 0
		.amdhsa_user_sgpr_kernarg_preload_offset 0
		.amdhsa_user_sgpr_private_segment_size 0
		.amdhsa_uses_dynamic_stack 0
		.amdhsa_system_sgpr_private_segment_wavefront_offset 0
		.amdhsa_system_sgpr_workgroup_id_x 1
		.amdhsa_system_sgpr_workgroup_id_y 0
		.amdhsa_system_sgpr_workgroup_id_z 0
		.amdhsa_system_sgpr_workgroup_info 0
		.amdhsa_system_vgpr_workitem_id 0
		.amdhsa_next_free_vgpr 1
		.amdhsa_next_free_sgpr 0
		.amdhsa_accum_offset 4
		.amdhsa_reserve_vcc 0
		.amdhsa_reserve_flat_scratch 0
		.amdhsa_float_round_mode_32 0
		.amdhsa_float_round_mode_16_64 0
		.amdhsa_float_denorm_mode_32 3
		.amdhsa_float_denorm_mode_16_64 3
		.amdhsa_dx10_clamp 1
		.amdhsa_ieee_mode 1
		.amdhsa_fp16_overflow 0
		.amdhsa_tg_split 0
		.amdhsa_exception_fp_ieee_invalid_op 0
		.amdhsa_exception_fp_denorm_src 0
		.amdhsa_exception_fp_ieee_div_zero 0
		.amdhsa_exception_fp_ieee_overflow 0
		.amdhsa_exception_fp_ieee_underflow 0
		.amdhsa_exception_fp_ieee_inexact 0
		.amdhsa_exception_int_div_zero 0
	.end_amdhsa_kernel
	.section	.text._ZN7rocprim17ROCPRIM_400000_NS6detail17trampoline_kernelINS0_14default_configENS1_27scan_by_key_config_selectorIiyEEZZNS1_16scan_by_key_implILNS1_25lookback_scan_determinismE0ELb0ES3_N6thrust23THRUST_200600_302600_NS6detail15normal_iteratorINS9_10device_ptrIiEEEENSB_INSC_IyEEEESG_yNS9_4plusIvEENS9_8equal_toIvEEyEE10hipError_tPvRmT2_T3_T4_T5_mT6_T7_P12ihipStream_tbENKUlT_T0_E_clISt17integral_constantIbLb0EES11_EEDaSW_SX_EUlSW_E_NS1_11comp_targetILNS1_3genE0ELNS1_11target_archE4294967295ELNS1_3gpuE0ELNS1_3repE0EEENS1_30default_config_static_selectorELNS0_4arch9wavefront6targetE1EEEvT1_,"axG",@progbits,_ZN7rocprim17ROCPRIM_400000_NS6detail17trampoline_kernelINS0_14default_configENS1_27scan_by_key_config_selectorIiyEEZZNS1_16scan_by_key_implILNS1_25lookback_scan_determinismE0ELb0ES3_N6thrust23THRUST_200600_302600_NS6detail15normal_iteratorINS9_10device_ptrIiEEEENSB_INSC_IyEEEESG_yNS9_4plusIvEENS9_8equal_toIvEEyEE10hipError_tPvRmT2_T3_T4_T5_mT6_T7_P12ihipStream_tbENKUlT_T0_E_clISt17integral_constantIbLb0EES11_EEDaSW_SX_EUlSW_E_NS1_11comp_targetILNS1_3genE0ELNS1_11target_archE4294967295ELNS1_3gpuE0ELNS1_3repE0EEENS1_30default_config_static_selectorELNS0_4arch9wavefront6targetE1EEEvT1_,comdat
.Lfunc_end1176:
	.size	_ZN7rocprim17ROCPRIM_400000_NS6detail17trampoline_kernelINS0_14default_configENS1_27scan_by_key_config_selectorIiyEEZZNS1_16scan_by_key_implILNS1_25lookback_scan_determinismE0ELb0ES3_N6thrust23THRUST_200600_302600_NS6detail15normal_iteratorINS9_10device_ptrIiEEEENSB_INSC_IyEEEESG_yNS9_4plusIvEENS9_8equal_toIvEEyEE10hipError_tPvRmT2_T3_T4_T5_mT6_T7_P12ihipStream_tbENKUlT_T0_E_clISt17integral_constantIbLb0EES11_EEDaSW_SX_EUlSW_E_NS1_11comp_targetILNS1_3genE0ELNS1_11target_archE4294967295ELNS1_3gpuE0ELNS1_3repE0EEENS1_30default_config_static_selectorELNS0_4arch9wavefront6targetE1EEEvT1_, .Lfunc_end1176-_ZN7rocprim17ROCPRIM_400000_NS6detail17trampoline_kernelINS0_14default_configENS1_27scan_by_key_config_selectorIiyEEZZNS1_16scan_by_key_implILNS1_25lookback_scan_determinismE0ELb0ES3_N6thrust23THRUST_200600_302600_NS6detail15normal_iteratorINS9_10device_ptrIiEEEENSB_INSC_IyEEEESG_yNS9_4plusIvEENS9_8equal_toIvEEyEE10hipError_tPvRmT2_T3_T4_T5_mT6_T7_P12ihipStream_tbENKUlT_T0_E_clISt17integral_constantIbLb0EES11_EEDaSW_SX_EUlSW_E_NS1_11comp_targetILNS1_3genE0ELNS1_11target_archE4294967295ELNS1_3gpuE0ELNS1_3repE0EEENS1_30default_config_static_selectorELNS0_4arch9wavefront6targetE1EEEvT1_
                                        ; -- End function
	.section	.AMDGPU.csdata,"",@progbits
; Kernel info:
; codeLenInByte = 0
; NumSgprs: 4
; NumVgprs: 0
; NumAgprs: 0
; TotalNumVgprs: 0
; ScratchSize: 0
; MemoryBound: 0
; FloatMode: 240
; IeeeMode: 1
; LDSByteSize: 0 bytes/workgroup (compile time only)
; SGPRBlocks: 0
; VGPRBlocks: 0
; NumSGPRsForWavesPerEU: 4
; NumVGPRsForWavesPerEU: 1
; AccumOffset: 4
; Occupancy: 8
; WaveLimiterHint : 0
; COMPUTE_PGM_RSRC2:SCRATCH_EN: 0
; COMPUTE_PGM_RSRC2:USER_SGPR: 6
; COMPUTE_PGM_RSRC2:TRAP_HANDLER: 0
; COMPUTE_PGM_RSRC2:TGID_X_EN: 1
; COMPUTE_PGM_RSRC2:TGID_Y_EN: 0
; COMPUTE_PGM_RSRC2:TGID_Z_EN: 0
; COMPUTE_PGM_RSRC2:TIDIG_COMP_CNT: 0
; COMPUTE_PGM_RSRC3_GFX90A:ACCUM_OFFSET: 0
; COMPUTE_PGM_RSRC3_GFX90A:TG_SPLIT: 0
	.section	.text._ZN7rocprim17ROCPRIM_400000_NS6detail17trampoline_kernelINS0_14default_configENS1_27scan_by_key_config_selectorIiyEEZZNS1_16scan_by_key_implILNS1_25lookback_scan_determinismE0ELb0ES3_N6thrust23THRUST_200600_302600_NS6detail15normal_iteratorINS9_10device_ptrIiEEEENSB_INSC_IyEEEESG_yNS9_4plusIvEENS9_8equal_toIvEEyEE10hipError_tPvRmT2_T3_T4_T5_mT6_T7_P12ihipStream_tbENKUlT_T0_E_clISt17integral_constantIbLb0EES11_EEDaSW_SX_EUlSW_E_NS1_11comp_targetILNS1_3genE10ELNS1_11target_archE1201ELNS1_3gpuE5ELNS1_3repE0EEENS1_30default_config_static_selectorELNS0_4arch9wavefront6targetE1EEEvT1_,"axG",@progbits,_ZN7rocprim17ROCPRIM_400000_NS6detail17trampoline_kernelINS0_14default_configENS1_27scan_by_key_config_selectorIiyEEZZNS1_16scan_by_key_implILNS1_25lookback_scan_determinismE0ELb0ES3_N6thrust23THRUST_200600_302600_NS6detail15normal_iteratorINS9_10device_ptrIiEEEENSB_INSC_IyEEEESG_yNS9_4plusIvEENS9_8equal_toIvEEyEE10hipError_tPvRmT2_T3_T4_T5_mT6_T7_P12ihipStream_tbENKUlT_T0_E_clISt17integral_constantIbLb0EES11_EEDaSW_SX_EUlSW_E_NS1_11comp_targetILNS1_3genE10ELNS1_11target_archE1201ELNS1_3gpuE5ELNS1_3repE0EEENS1_30default_config_static_selectorELNS0_4arch9wavefront6targetE1EEEvT1_,comdat
	.protected	_ZN7rocprim17ROCPRIM_400000_NS6detail17trampoline_kernelINS0_14default_configENS1_27scan_by_key_config_selectorIiyEEZZNS1_16scan_by_key_implILNS1_25lookback_scan_determinismE0ELb0ES3_N6thrust23THRUST_200600_302600_NS6detail15normal_iteratorINS9_10device_ptrIiEEEENSB_INSC_IyEEEESG_yNS9_4plusIvEENS9_8equal_toIvEEyEE10hipError_tPvRmT2_T3_T4_T5_mT6_T7_P12ihipStream_tbENKUlT_T0_E_clISt17integral_constantIbLb0EES11_EEDaSW_SX_EUlSW_E_NS1_11comp_targetILNS1_3genE10ELNS1_11target_archE1201ELNS1_3gpuE5ELNS1_3repE0EEENS1_30default_config_static_selectorELNS0_4arch9wavefront6targetE1EEEvT1_ ; -- Begin function _ZN7rocprim17ROCPRIM_400000_NS6detail17trampoline_kernelINS0_14default_configENS1_27scan_by_key_config_selectorIiyEEZZNS1_16scan_by_key_implILNS1_25lookback_scan_determinismE0ELb0ES3_N6thrust23THRUST_200600_302600_NS6detail15normal_iteratorINS9_10device_ptrIiEEEENSB_INSC_IyEEEESG_yNS9_4plusIvEENS9_8equal_toIvEEyEE10hipError_tPvRmT2_T3_T4_T5_mT6_T7_P12ihipStream_tbENKUlT_T0_E_clISt17integral_constantIbLb0EES11_EEDaSW_SX_EUlSW_E_NS1_11comp_targetILNS1_3genE10ELNS1_11target_archE1201ELNS1_3gpuE5ELNS1_3repE0EEENS1_30default_config_static_selectorELNS0_4arch9wavefront6targetE1EEEvT1_
	.globl	_ZN7rocprim17ROCPRIM_400000_NS6detail17trampoline_kernelINS0_14default_configENS1_27scan_by_key_config_selectorIiyEEZZNS1_16scan_by_key_implILNS1_25lookback_scan_determinismE0ELb0ES3_N6thrust23THRUST_200600_302600_NS6detail15normal_iteratorINS9_10device_ptrIiEEEENSB_INSC_IyEEEESG_yNS9_4plusIvEENS9_8equal_toIvEEyEE10hipError_tPvRmT2_T3_T4_T5_mT6_T7_P12ihipStream_tbENKUlT_T0_E_clISt17integral_constantIbLb0EES11_EEDaSW_SX_EUlSW_E_NS1_11comp_targetILNS1_3genE10ELNS1_11target_archE1201ELNS1_3gpuE5ELNS1_3repE0EEENS1_30default_config_static_selectorELNS0_4arch9wavefront6targetE1EEEvT1_
	.p2align	8
	.type	_ZN7rocprim17ROCPRIM_400000_NS6detail17trampoline_kernelINS0_14default_configENS1_27scan_by_key_config_selectorIiyEEZZNS1_16scan_by_key_implILNS1_25lookback_scan_determinismE0ELb0ES3_N6thrust23THRUST_200600_302600_NS6detail15normal_iteratorINS9_10device_ptrIiEEEENSB_INSC_IyEEEESG_yNS9_4plusIvEENS9_8equal_toIvEEyEE10hipError_tPvRmT2_T3_T4_T5_mT6_T7_P12ihipStream_tbENKUlT_T0_E_clISt17integral_constantIbLb0EES11_EEDaSW_SX_EUlSW_E_NS1_11comp_targetILNS1_3genE10ELNS1_11target_archE1201ELNS1_3gpuE5ELNS1_3repE0EEENS1_30default_config_static_selectorELNS0_4arch9wavefront6targetE1EEEvT1_,@function
_ZN7rocprim17ROCPRIM_400000_NS6detail17trampoline_kernelINS0_14default_configENS1_27scan_by_key_config_selectorIiyEEZZNS1_16scan_by_key_implILNS1_25lookback_scan_determinismE0ELb0ES3_N6thrust23THRUST_200600_302600_NS6detail15normal_iteratorINS9_10device_ptrIiEEEENSB_INSC_IyEEEESG_yNS9_4plusIvEENS9_8equal_toIvEEyEE10hipError_tPvRmT2_T3_T4_T5_mT6_T7_P12ihipStream_tbENKUlT_T0_E_clISt17integral_constantIbLb0EES11_EEDaSW_SX_EUlSW_E_NS1_11comp_targetILNS1_3genE10ELNS1_11target_archE1201ELNS1_3gpuE5ELNS1_3repE0EEENS1_30default_config_static_selectorELNS0_4arch9wavefront6targetE1EEEvT1_: ; @_ZN7rocprim17ROCPRIM_400000_NS6detail17trampoline_kernelINS0_14default_configENS1_27scan_by_key_config_selectorIiyEEZZNS1_16scan_by_key_implILNS1_25lookback_scan_determinismE0ELb0ES3_N6thrust23THRUST_200600_302600_NS6detail15normal_iteratorINS9_10device_ptrIiEEEENSB_INSC_IyEEEESG_yNS9_4plusIvEENS9_8equal_toIvEEyEE10hipError_tPvRmT2_T3_T4_T5_mT6_T7_P12ihipStream_tbENKUlT_T0_E_clISt17integral_constantIbLb0EES11_EEDaSW_SX_EUlSW_E_NS1_11comp_targetILNS1_3genE10ELNS1_11target_archE1201ELNS1_3gpuE5ELNS1_3repE0EEENS1_30default_config_static_selectorELNS0_4arch9wavefront6targetE1EEEvT1_
; %bb.0:
	.section	.rodata,"a",@progbits
	.p2align	6, 0x0
	.amdhsa_kernel _ZN7rocprim17ROCPRIM_400000_NS6detail17trampoline_kernelINS0_14default_configENS1_27scan_by_key_config_selectorIiyEEZZNS1_16scan_by_key_implILNS1_25lookback_scan_determinismE0ELb0ES3_N6thrust23THRUST_200600_302600_NS6detail15normal_iteratorINS9_10device_ptrIiEEEENSB_INSC_IyEEEESG_yNS9_4plusIvEENS9_8equal_toIvEEyEE10hipError_tPvRmT2_T3_T4_T5_mT6_T7_P12ihipStream_tbENKUlT_T0_E_clISt17integral_constantIbLb0EES11_EEDaSW_SX_EUlSW_E_NS1_11comp_targetILNS1_3genE10ELNS1_11target_archE1201ELNS1_3gpuE5ELNS1_3repE0EEENS1_30default_config_static_selectorELNS0_4arch9wavefront6targetE1EEEvT1_
		.amdhsa_group_segment_fixed_size 0
		.amdhsa_private_segment_fixed_size 0
		.amdhsa_kernarg_size 136
		.amdhsa_user_sgpr_count 6
		.amdhsa_user_sgpr_private_segment_buffer 1
		.amdhsa_user_sgpr_dispatch_ptr 0
		.amdhsa_user_sgpr_queue_ptr 0
		.amdhsa_user_sgpr_kernarg_segment_ptr 1
		.amdhsa_user_sgpr_dispatch_id 0
		.amdhsa_user_sgpr_flat_scratch_init 0
		.amdhsa_user_sgpr_kernarg_preload_length 0
		.amdhsa_user_sgpr_kernarg_preload_offset 0
		.amdhsa_user_sgpr_private_segment_size 0
		.amdhsa_uses_dynamic_stack 0
		.amdhsa_system_sgpr_private_segment_wavefront_offset 0
		.amdhsa_system_sgpr_workgroup_id_x 1
		.amdhsa_system_sgpr_workgroup_id_y 0
		.amdhsa_system_sgpr_workgroup_id_z 0
		.amdhsa_system_sgpr_workgroup_info 0
		.amdhsa_system_vgpr_workitem_id 0
		.amdhsa_next_free_vgpr 1
		.amdhsa_next_free_sgpr 0
		.amdhsa_accum_offset 4
		.amdhsa_reserve_vcc 0
		.amdhsa_reserve_flat_scratch 0
		.amdhsa_float_round_mode_32 0
		.amdhsa_float_round_mode_16_64 0
		.amdhsa_float_denorm_mode_32 3
		.amdhsa_float_denorm_mode_16_64 3
		.amdhsa_dx10_clamp 1
		.amdhsa_ieee_mode 1
		.amdhsa_fp16_overflow 0
		.amdhsa_tg_split 0
		.amdhsa_exception_fp_ieee_invalid_op 0
		.amdhsa_exception_fp_denorm_src 0
		.amdhsa_exception_fp_ieee_div_zero 0
		.amdhsa_exception_fp_ieee_overflow 0
		.amdhsa_exception_fp_ieee_underflow 0
		.amdhsa_exception_fp_ieee_inexact 0
		.amdhsa_exception_int_div_zero 0
	.end_amdhsa_kernel
	.section	.text._ZN7rocprim17ROCPRIM_400000_NS6detail17trampoline_kernelINS0_14default_configENS1_27scan_by_key_config_selectorIiyEEZZNS1_16scan_by_key_implILNS1_25lookback_scan_determinismE0ELb0ES3_N6thrust23THRUST_200600_302600_NS6detail15normal_iteratorINS9_10device_ptrIiEEEENSB_INSC_IyEEEESG_yNS9_4plusIvEENS9_8equal_toIvEEyEE10hipError_tPvRmT2_T3_T4_T5_mT6_T7_P12ihipStream_tbENKUlT_T0_E_clISt17integral_constantIbLb0EES11_EEDaSW_SX_EUlSW_E_NS1_11comp_targetILNS1_3genE10ELNS1_11target_archE1201ELNS1_3gpuE5ELNS1_3repE0EEENS1_30default_config_static_selectorELNS0_4arch9wavefront6targetE1EEEvT1_,"axG",@progbits,_ZN7rocprim17ROCPRIM_400000_NS6detail17trampoline_kernelINS0_14default_configENS1_27scan_by_key_config_selectorIiyEEZZNS1_16scan_by_key_implILNS1_25lookback_scan_determinismE0ELb0ES3_N6thrust23THRUST_200600_302600_NS6detail15normal_iteratorINS9_10device_ptrIiEEEENSB_INSC_IyEEEESG_yNS9_4plusIvEENS9_8equal_toIvEEyEE10hipError_tPvRmT2_T3_T4_T5_mT6_T7_P12ihipStream_tbENKUlT_T0_E_clISt17integral_constantIbLb0EES11_EEDaSW_SX_EUlSW_E_NS1_11comp_targetILNS1_3genE10ELNS1_11target_archE1201ELNS1_3gpuE5ELNS1_3repE0EEENS1_30default_config_static_selectorELNS0_4arch9wavefront6targetE1EEEvT1_,comdat
.Lfunc_end1177:
	.size	_ZN7rocprim17ROCPRIM_400000_NS6detail17trampoline_kernelINS0_14default_configENS1_27scan_by_key_config_selectorIiyEEZZNS1_16scan_by_key_implILNS1_25lookback_scan_determinismE0ELb0ES3_N6thrust23THRUST_200600_302600_NS6detail15normal_iteratorINS9_10device_ptrIiEEEENSB_INSC_IyEEEESG_yNS9_4plusIvEENS9_8equal_toIvEEyEE10hipError_tPvRmT2_T3_T4_T5_mT6_T7_P12ihipStream_tbENKUlT_T0_E_clISt17integral_constantIbLb0EES11_EEDaSW_SX_EUlSW_E_NS1_11comp_targetILNS1_3genE10ELNS1_11target_archE1201ELNS1_3gpuE5ELNS1_3repE0EEENS1_30default_config_static_selectorELNS0_4arch9wavefront6targetE1EEEvT1_, .Lfunc_end1177-_ZN7rocprim17ROCPRIM_400000_NS6detail17trampoline_kernelINS0_14default_configENS1_27scan_by_key_config_selectorIiyEEZZNS1_16scan_by_key_implILNS1_25lookback_scan_determinismE0ELb0ES3_N6thrust23THRUST_200600_302600_NS6detail15normal_iteratorINS9_10device_ptrIiEEEENSB_INSC_IyEEEESG_yNS9_4plusIvEENS9_8equal_toIvEEyEE10hipError_tPvRmT2_T3_T4_T5_mT6_T7_P12ihipStream_tbENKUlT_T0_E_clISt17integral_constantIbLb0EES11_EEDaSW_SX_EUlSW_E_NS1_11comp_targetILNS1_3genE10ELNS1_11target_archE1201ELNS1_3gpuE5ELNS1_3repE0EEENS1_30default_config_static_selectorELNS0_4arch9wavefront6targetE1EEEvT1_
                                        ; -- End function
	.section	.AMDGPU.csdata,"",@progbits
; Kernel info:
; codeLenInByte = 0
; NumSgprs: 4
; NumVgprs: 0
; NumAgprs: 0
; TotalNumVgprs: 0
; ScratchSize: 0
; MemoryBound: 0
; FloatMode: 240
; IeeeMode: 1
; LDSByteSize: 0 bytes/workgroup (compile time only)
; SGPRBlocks: 0
; VGPRBlocks: 0
; NumSGPRsForWavesPerEU: 4
; NumVGPRsForWavesPerEU: 1
; AccumOffset: 4
; Occupancy: 8
; WaveLimiterHint : 0
; COMPUTE_PGM_RSRC2:SCRATCH_EN: 0
; COMPUTE_PGM_RSRC2:USER_SGPR: 6
; COMPUTE_PGM_RSRC2:TRAP_HANDLER: 0
; COMPUTE_PGM_RSRC2:TGID_X_EN: 1
; COMPUTE_PGM_RSRC2:TGID_Y_EN: 0
; COMPUTE_PGM_RSRC2:TGID_Z_EN: 0
; COMPUTE_PGM_RSRC2:TIDIG_COMP_CNT: 0
; COMPUTE_PGM_RSRC3_GFX90A:ACCUM_OFFSET: 0
; COMPUTE_PGM_RSRC3_GFX90A:TG_SPLIT: 0
	.section	.text._ZN7rocprim17ROCPRIM_400000_NS6detail17trampoline_kernelINS0_14default_configENS1_27scan_by_key_config_selectorIiyEEZZNS1_16scan_by_key_implILNS1_25lookback_scan_determinismE0ELb0ES3_N6thrust23THRUST_200600_302600_NS6detail15normal_iteratorINS9_10device_ptrIiEEEENSB_INSC_IyEEEESG_yNS9_4plusIvEENS9_8equal_toIvEEyEE10hipError_tPvRmT2_T3_T4_T5_mT6_T7_P12ihipStream_tbENKUlT_T0_E_clISt17integral_constantIbLb0EES11_EEDaSW_SX_EUlSW_E_NS1_11comp_targetILNS1_3genE5ELNS1_11target_archE942ELNS1_3gpuE9ELNS1_3repE0EEENS1_30default_config_static_selectorELNS0_4arch9wavefront6targetE1EEEvT1_,"axG",@progbits,_ZN7rocprim17ROCPRIM_400000_NS6detail17trampoline_kernelINS0_14default_configENS1_27scan_by_key_config_selectorIiyEEZZNS1_16scan_by_key_implILNS1_25lookback_scan_determinismE0ELb0ES3_N6thrust23THRUST_200600_302600_NS6detail15normal_iteratorINS9_10device_ptrIiEEEENSB_INSC_IyEEEESG_yNS9_4plusIvEENS9_8equal_toIvEEyEE10hipError_tPvRmT2_T3_T4_T5_mT6_T7_P12ihipStream_tbENKUlT_T0_E_clISt17integral_constantIbLb0EES11_EEDaSW_SX_EUlSW_E_NS1_11comp_targetILNS1_3genE5ELNS1_11target_archE942ELNS1_3gpuE9ELNS1_3repE0EEENS1_30default_config_static_selectorELNS0_4arch9wavefront6targetE1EEEvT1_,comdat
	.protected	_ZN7rocprim17ROCPRIM_400000_NS6detail17trampoline_kernelINS0_14default_configENS1_27scan_by_key_config_selectorIiyEEZZNS1_16scan_by_key_implILNS1_25lookback_scan_determinismE0ELb0ES3_N6thrust23THRUST_200600_302600_NS6detail15normal_iteratorINS9_10device_ptrIiEEEENSB_INSC_IyEEEESG_yNS9_4plusIvEENS9_8equal_toIvEEyEE10hipError_tPvRmT2_T3_T4_T5_mT6_T7_P12ihipStream_tbENKUlT_T0_E_clISt17integral_constantIbLb0EES11_EEDaSW_SX_EUlSW_E_NS1_11comp_targetILNS1_3genE5ELNS1_11target_archE942ELNS1_3gpuE9ELNS1_3repE0EEENS1_30default_config_static_selectorELNS0_4arch9wavefront6targetE1EEEvT1_ ; -- Begin function _ZN7rocprim17ROCPRIM_400000_NS6detail17trampoline_kernelINS0_14default_configENS1_27scan_by_key_config_selectorIiyEEZZNS1_16scan_by_key_implILNS1_25lookback_scan_determinismE0ELb0ES3_N6thrust23THRUST_200600_302600_NS6detail15normal_iteratorINS9_10device_ptrIiEEEENSB_INSC_IyEEEESG_yNS9_4plusIvEENS9_8equal_toIvEEyEE10hipError_tPvRmT2_T3_T4_T5_mT6_T7_P12ihipStream_tbENKUlT_T0_E_clISt17integral_constantIbLb0EES11_EEDaSW_SX_EUlSW_E_NS1_11comp_targetILNS1_3genE5ELNS1_11target_archE942ELNS1_3gpuE9ELNS1_3repE0EEENS1_30default_config_static_selectorELNS0_4arch9wavefront6targetE1EEEvT1_
	.globl	_ZN7rocprim17ROCPRIM_400000_NS6detail17trampoline_kernelINS0_14default_configENS1_27scan_by_key_config_selectorIiyEEZZNS1_16scan_by_key_implILNS1_25lookback_scan_determinismE0ELb0ES3_N6thrust23THRUST_200600_302600_NS6detail15normal_iteratorINS9_10device_ptrIiEEEENSB_INSC_IyEEEESG_yNS9_4plusIvEENS9_8equal_toIvEEyEE10hipError_tPvRmT2_T3_T4_T5_mT6_T7_P12ihipStream_tbENKUlT_T0_E_clISt17integral_constantIbLb0EES11_EEDaSW_SX_EUlSW_E_NS1_11comp_targetILNS1_3genE5ELNS1_11target_archE942ELNS1_3gpuE9ELNS1_3repE0EEENS1_30default_config_static_selectorELNS0_4arch9wavefront6targetE1EEEvT1_
	.p2align	8
	.type	_ZN7rocprim17ROCPRIM_400000_NS6detail17trampoline_kernelINS0_14default_configENS1_27scan_by_key_config_selectorIiyEEZZNS1_16scan_by_key_implILNS1_25lookback_scan_determinismE0ELb0ES3_N6thrust23THRUST_200600_302600_NS6detail15normal_iteratorINS9_10device_ptrIiEEEENSB_INSC_IyEEEESG_yNS9_4plusIvEENS9_8equal_toIvEEyEE10hipError_tPvRmT2_T3_T4_T5_mT6_T7_P12ihipStream_tbENKUlT_T0_E_clISt17integral_constantIbLb0EES11_EEDaSW_SX_EUlSW_E_NS1_11comp_targetILNS1_3genE5ELNS1_11target_archE942ELNS1_3gpuE9ELNS1_3repE0EEENS1_30default_config_static_selectorELNS0_4arch9wavefront6targetE1EEEvT1_,@function
_ZN7rocprim17ROCPRIM_400000_NS6detail17trampoline_kernelINS0_14default_configENS1_27scan_by_key_config_selectorIiyEEZZNS1_16scan_by_key_implILNS1_25lookback_scan_determinismE0ELb0ES3_N6thrust23THRUST_200600_302600_NS6detail15normal_iteratorINS9_10device_ptrIiEEEENSB_INSC_IyEEEESG_yNS9_4plusIvEENS9_8equal_toIvEEyEE10hipError_tPvRmT2_T3_T4_T5_mT6_T7_P12ihipStream_tbENKUlT_T0_E_clISt17integral_constantIbLb0EES11_EEDaSW_SX_EUlSW_E_NS1_11comp_targetILNS1_3genE5ELNS1_11target_archE942ELNS1_3gpuE9ELNS1_3repE0EEENS1_30default_config_static_selectorELNS0_4arch9wavefront6targetE1EEEvT1_: ; @_ZN7rocprim17ROCPRIM_400000_NS6detail17trampoline_kernelINS0_14default_configENS1_27scan_by_key_config_selectorIiyEEZZNS1_16scan_by_key_implILNS1_25lookback_scan_determinismE0ELb0ES3_N6thrust23THRUST_200600_302600_NS6detail15normal_iteratorINS9_10device_ptrIiEEEENSB_INSC_IyEEEESG_yNS9_4plusIvEENS9_8equal_toIvEEyEE10hipError_tPvRmT2_T3_T4_T5_mT6_T7_P12ihipStream_tbENKUlT_T0_E_clISt17integral_constantIbLb0EES11_EEDaSW_SX_EUlSW_E_NS1_11comp_targetILNS1_3genE5ELNS1_11target_archE942ELNS1_3gpuE9ELNS1_3repE0EEENS1_30default_config_static_selectorELNS0_4arch9wavefront6targetE1EEEvT1_
; %bb.0:
	.section	.rodata,"a",@progbits
	.p2align	6, 0x0
	.amdhsa_kernel _ZN7rocprim17ROCPRIM_400000_NS6detail17trampoline_kernelINS0_14default_configENS1_27scan_by_key_config_selectorIiyEEZZNS1_16scan_by_key_implILNS1_25lookback_scan_determinismE0ELb0ES3_N6thrust23THRUST_200600_302600_NS6detail15normal_iteratorINS9_10device_ptrIiEEEENSB_INSC_IyEEEESG_yNS9_4plusIvEENS9_8equal_toIvEEyEE10hipError_tPvRmT2_T3_T4_T5_mT6_T7_P12ihipStream_tbENKUlT_T0_E_clISt17integral_constantIbLb0EES11_EEDaSW_SX_EUlSW_E_NS1_11comp_targetILNS1_3genE5ELNS1_11target_archE942ELNS1_3gpuE9ELNS1_3repE0EEENS1_30default_config_static_selectorELNS0_4arch9wavefront6targetE1EEEvT1_
		.amdhsa_group_segment_fixed_size 0
		.amdhsa_private_segment_fixed_size 0
		.amdhsa_kernarg_size 136
		.amdhsa_user_sgpr_count 6
		.amdhsa_user_sgpr_private_segment_buffer 1
		.amdhsa_user_sgpr_dispatch_ptr 0
		.amdhsa_user_sgpr_queue_ptr 0
		.amdhsa_user_sgpr_kernarg_segment_ptr 1
		.amdhsa_user_sgpr_dispatch_id 0
		.amdhsa_user_sgpr_flat_scratch_init 0
		.amdhsa_user_sgpr_kernarg_preload_length 0
		.amdhsa_user_sgpr_kernarg_preload_offset 0
		.amdhsa_user_sgpr_private_segment_size 0
		.amdhsa_uses_dynamic_stack 0
		.amdhsa_system_sgpr_private_segment_wavefront_offset 0
		.amdhsa_system_sgpr_workgroup_id_x 1
		.amdhsa_system_sgpr_workgroup_id_y 0
		.amdhsa_system_sgpr_workgroup_id_z 0
		.amdhsa_system_sgpr_workgroup_info 0
		.amdhsa_system_vgpr_workitem_id 0
		.amdhsa_next_free_vgpr 1
		.amdhsa_next_free_sgpr 0
		.amdhsa_accum_offset 4
		.amdhsa_reserve_vcc 0
		.amdhsa_reserve_flat_scratch 0
		.amdhsa_float_round_mode_32 0
		.amdhsa_float_round_mode_16_64 0
		.amdhsa_float_denorm_mode_32 3
		.amdhsa_float_denorm_mode_16_64 3
		.amdhsa_dx10_clamp 1
		.amdhsa_ieee_mode 1
		.amdhsa_fp16_overflow 0
		.amdhsa_tg_split 0
		.amdhsa_exception_fp_ieee_invalid_op 0
		.amdhsa_exception_fp_denorm_src 0
		.amdhsa_exception_fp_ieee_div_zero 0
		.amdhsa_exception_fp_ieee_overflow 0
		.amdhsa_exception_fp_ieee_underflow 0
		.amdhsa_exception_fp_ieee_inexact 0
		.amdhsa_exception_int_div_zero 0
	.end_amdhsa_kernel
	.section	.text._ZN7rocprim17ROCPRIM_400000_NS6detail17trampoline_kernelINS0_14default_configENS1_27scan_by_key_config_selectorIiyEEZZNS1_16scan_by_key_implILNS1_25lookback_scan_determinismE0ELb0ES3_N6thrust23THRUST_200600_302600_NS6detail15normal_iteratorINS9_10device_ptrIiEEEENSB_INSC_IyEEEESG_yNS9_4plusIvEENS9_8equal_toIvEEyEE10hipError_tPvRmT2_T3_T4_T5_mT6_T7_P12ihipStream_tbENKUlT_T0_E_clISt17integral_constantIbLb0EES11_EEDaSW_SX_EUlSW_E_NS1_11comp_targetILNS1_3genE5ELNS1_11target_archE942ELNS1_3gpuE9ELNS1_3repE0EEENS1_30default_config_static_selectorELNS0_4arch9wavefront6targetE1EEEvT1_,"axG",@progbits,_ZN7rocprim17ROCPRIM_400000_NS6detail17trampoline_kernelINS0_14default_configENS1_27scan_by_key_config_selectorIiyEEZZNS1_16scan_by_key_implILNS1_25lookback_scan_determinismE0ELb0ES3_N6thrust23THRUST_200600_302600_NS6detail15normal_iteratorINS9_10device_ptrIiEEEENSB_INSC_IyEEEESG_yNS9_4plusIvEENS9_8equal_toIvEEyEE10hipError_tPvRmT2_T3_T4_T5_mT6_T7_P12ihipStream_tbENKUlT_T0_E_clISt17integral_constantIbLb0EES11_EEDaSW_SX_EUlSW_E_NS1_11comp_targetILNS1_3genE5ELNS1_11target_archE942ELNS1_3gpuE9ELNS1_3repE0EEENS1_30default_config_static_selectorELNS0_4arch9wavefront6targetE1EEEvT1_,comdat
.Lfunc_end1178:
	.size	_ZN7rocprim17ROCPRIM_400000_NS6detail17trampoline_kernelINS0_14default_configENS1_27scan_by_key_config_selectorIiyEEZZNS1_16scan_by_key_implILNS1_25lookback_scan_determinismE0ELb0ES3_N6thrust23THRUST_200600_302600_NS6detail15normal_iteratorINS9_10device_ptrIiEEEENSB_INSC_IyEEEESG_yNS9_4plusIvEENS9_8equal_toIvEEyEE10hipError_tPvRmT2_T3_T4_T5_mT6_T7_P12ihipStream_tbENKUlT_T0_E_clISt17integral_constantIbLb0EES11_EEDaSW_SX_EUlSW_E_NS1_11comp_targetILNS1_3genE5ELNS1_11target_archE942ELNS1_3gpuE9ELNS1_3repE0EEENS1_30default_config_static_selectorELNS0_4arch9wavefront6targetE1EEEvT1_, .Lfunc_end1178-_ZN7rocprim17ROCPRIM_400000_NS6detail17trampoline_kernelINS0_14default_configENS1_27scan_by_key_config_selectorIiyEEZZNS1_16scan_by_key_implILNS1_25lookback_scan_determinismE0ELb0ES3_N6thrust23THRUST_200600_302600_NS6detail15normal_iteratorINS9_10device_ptrIiEEEENSB_INSC_IyEEEESG_yNS9_4plusIvEENS9_8equal_toIvEEyEE10hipError_tPvRmT2_T3_T4_T5_mT6_T7_P12ihipStream_tbENKUlT_T0_E_clISt17integral_constantIbLb0EES11_EEDaSW_SX_EUlSW_E_NS1_11comp_targetILNS1_3genE5ELNS1_11target_archE942ELNS1_3gpuE9ELNS1_3repE0EEENS1_30default_config_static_selectorELNS0_4arch9wavefront6targetE1EEEvT1_
                                        ; -- End function
	.section	.AMDGPU.csdata,"",@progbits
; Kernel info:
; codeLenInByte = 0
; NumSgprs: 4
; NumVgprs: 0
; NumAgprs: 0
; TotalNumVgprs: 0
; ScratchSize: 0
; MemoryBound: 0
; FloatMode: 240
; IeeeMode: 1
; LDSByteSize: 0 bytes/workgroup (compile time only)
; SGPRBlocks: 0
; VGPRBlocks: 0
; NumSGPRsForWavesPerEU: 4
; NumVGPRsForWavesPerEU: 1
; AccumOffset: 4
; Occupancy: 8
; WaveLimiterHint : 0
; COMPUTE_PGM_RSRC2:SCRATCH_EN: 0
; COMPUTE_PGM_RSRC2:USER_SGPR: 6
; COMPUTE_PGM_RSRC2:TRAP_HANDLER: 0
; COMPUTE_PGM_RSRC2:TGID_X_EN: 1
; COMPUTE_PGM_RSRC2:TGID_Y_EN: 0
; COMPUTE_PGM_RSRC2:TGID_Z_EN: 0
; COMPUTE_PGM_RSRC2:TIDIG_COMP_CNT: 0
; COMPUTE_PGM_RSRC3_GFX90A:ACCUM_OFFSET: 0
; COMPUTE_PGM_RSRC3_GFX90A:TG_SPLIT: 0
	.section	.text._ZN7rocprim17ROCPRIM_400000_NS6detail17trampoline_kernelINS0_14default_configENS1_27scan_by_key_config_selectorIiyEEZZNS1_16scan_by_key_implILNS1_25lookback_scan_determinismE0ELb0ES3_N6thrust23THRUST_200600_302600_NS6detail15normal_iteratorINS9_10device_ptrIiEEEENSB_INSC_IyEEEESG_yNS9_4plusIvEENS9_8equal_toIvEEyEE10hipError_tPvRmT2_T3_T4_T5_mT6_T7_P12ihipStream_tbENKUlT_T0_E_clISt17integral_constantIbLb0EES11_EEDaSW_SX_EUlSW_E_NS1_11comp_targetILNS1_3genE4ELNS1_11target_archE910ELNS1_3gpuE8ELNS1_3repE0EEENS1_30default_config_static_selectorELNS0_4arch9wavefront6targetE1EEEvT1_,"axG",@progbits,_ZN7rocprim17ROCPRIM_400000_NS6detail17trampoline_kernelINS0_14default_configENS1_27scan_by_key_config_selectorIiyEEZZNS1_16scan_by_key_implILNS1_25lookback_scan_determinismE0ELb0ES3_N6thrust23THRUST_200600_302600_NS6detail15normal_iteratorINS9_10device_ptrIiEEEENSB_INSC_IyEEEESG_yNS9_4plusIvEENS9_8equal_toIvEEyEE10hipError_tPvRmT2_T3_T4_T5_mT6_T7_P12ihipStream_tbENKUlT_T0_E_clISt17integral_constantIbLb0EES11_EEDaSW_SX_EUlSW_E_NS1_11comp_targetILNS1_3genE4ELNS1_11target_archE910ELNS1_3gpuE8ELNS1_3repE0EEENS1_30default_config_static_selectorELNS0_4arch9wavefront6targetE1EEEvT1_,comdat
	.protected	_ZN7rocprim17ROCPRIM_400000_NS6detail17trampoline_kernelINS0_14default_configENS1_27scan_by_key_config_selectorIiyEEZZNS1_16scan_by_key_implILNS1_25lookback_scan_determinismE0ELb0ES3_N6thrust23THRUST_200600_302600_NS6detail15normal_iteratorINS9_10device_ptrIiEEEENSB_INSC_IyEEEESG_yNS9_4plusIvEENS9_8equal_toIvEEyEE10hipError_tPvRmT2_T3_T4_T5_mT6_T7_P12ihipStream_tbENKUlT_T0_E_clISt17integral_constantIbLb0EES11_EEDaSW_SX_EUlSW_E_NS1_11comp_targetILNS1_3genE4ELNS1_11target_archE910ELNS1_3gpuE8ELNS1_3repE0EEENS1_30default_config_static_selectorELNS0_4arch9wavefront6targetE1EEEvT1_ ; -- Begin function _ZN7rocprim17ROCPRIM_400000_NS6detail17trampoline_kernelINS0_14default_configENS1_27scan_by_key_config_selectorIiyEEZZNS1_16scan_by_key_implILNS1_25lookback_scan_determinismE0ELb0ES3_N6thrust23THRUST_200600_302600_NS6detail15normal_iteratorINS9_10device_ptrIiEEEENSB_INSC_IyEEEESG_yNS9_4plusIvEENS9_8equal_toIvEEyEE10hipError_tPvRmT2_T3_T4_T5_mT6_T7_P12ihipStream_tbENKUlT_T0_E_clISt17integral_constantIbLb0EES11_EEDaSW_SX_EUlSW_E_NS1_11comp_targetILNS1_3genE4ELNS1_11target_archE910ELNS1_3gpuE8ELNS1_3repE0EEENS1_30default_config_static_selectorELNS0_4arch9wavefront6targetE1EEEvT1_
	.globl	_ZN7rocprim17ROCPRIM_400000_NS6detail17trampoline_kernelINS0_14default_configENS1_27scan_by_key_config_selectorIiyEEZZNS1_16scan_by_key_implILNS1_25lookback_scan_determinismE0ELb0ES3_N6thrust23THRUST_200600_302600_NS6detail15normal_iteratorINS9_10device_ptrIiEEEENSB_INSC_IyEEEESG_yNS9_4plusIvEENS9_8equal_toIvEEyEE10hipError_tPvRmT2_T3_T4_T5_mT6_T7_P12ihipStream_tbENKUlT_T0_E_clISt17integral_constantIbLb0EES11_EEDaSW_SX_EUlSW_E_NS1_11comp_targetILNS1_3genE4ELNS1_11target_archE910ELNS1_3gpuE8ELNS1_3repE0EEENS1_30default_config_static_selectorELNS0_4arch9wavefront6targetE1EEEvT1_
	.p2align	8
	.type	_ZN7rocprim17ROCPRIM_400000_NS6detail17trampoline_kernelINS0_14default_configENS1_27scan_by_key_config_selectorIiyEEZZNS1_16scan_by_key_implILNS1_25lookback_scan_determinismE0ELb0ES3_N6thrust23THRUST_200600_302600_NS6detail15normal_iteratorINS9_10device_ptrIiEEEENSB_INSC_IyEEEESG_yNS9_4plusIvEENS9_8equal_toIvEEyEE10hipError_tPvRmT2_T3_T4_T5_mT6_T7_P12ihipStream_tbENKUlT_T0_E_clISt17integral_constantIbLb0EES11_EEDaSW_SX_EUlSW_E_NS1_11comp_targetILNS1_3genE4ELNS1_11target_archE910ELNS1_3gpuE8ELNS1_3repE0EEENS1_30default_config_static_selectorELNS0_4arch9wavefront6targetE1EEEvT1_,@function
_ZN7rocprim17ROCPRIM_400000_NS6detail17trampoline_kernelINS0_14default_configENS1_27scan_by_key_config_selectorIiyEEZZNS1_16scan_by_key_implILNS1_25lookback_scan_determinismE0ELb0ES3_N6thrust23THRUST_200600_302600_NS6detail15normal_iteratorINS9_10device_ptrIiEEEENSB_INSC_IyEEEESG_yNS9_4plusIvEENS9_8equal_toIvEEyEE10hipError_tPvRmT2_T3_T4_T5_mT6_T7_P12ihipStream_tbENKUlT_T0_E_clISt17integral_constantIbLb0EES11_EEDaSW_SX_EUlSW_E_NS1_11comp_targetILNS1_3genE4ELNS1_11target_archE910ELNS1_3gpuE8ELNS1_3repE0EEENS1_30default_config_static_selectorELNS0_4arch9wavefront6targetE1EEEvT1_: ; @_ZN7rocprim17ROCPRIM_400000_NS6detail17trampoline_kernelINS0_14default_configENS1_27scan_by_key_config_selectorIiyEEZZNS1_16scan_by_key_implILNS1_25lookback_scan_determinismE0ELb0ES3_N6thrust23THRUST_200600_302600_NS6detail15normal_iteratorINS9_10device_ptrIiEEEENSB_INSC_IyEEEESG_yNS9_4plusIvEENS9_8equal_toIvEEyEE10hipError_tPvRmT2_T3_T4_T5_mT6_T7_P12ihipStream_tbENKUlT_T0_E_clISt17integral_constantIbLb0EES11_EEDaSW_SX_EUlSW_E_NS1_11comp_targetILNS1_3genE4ELNS1_11target_archE910ELNS1_3gpuE8ELNS1_3repE0EEENS1_30default_config_static_selectorELNS0_4arch9wavefront6targetE1EEEvT1_
; %bb.0:
	s_load_dwordx8 s[52:59], s[4:5], 0x0
	s_load_dwordx8 s[68:75], s[4:5], 0x30
	s_load_dwordx2 s[8:9], s[4:5], 0x50
	s_load_dword s2, s[4:5], 0x58
	s_load_dwordx8 s[88:95], s[4:5], 0x60
	s_waitcnt lgkmcnt(0)
	s_lshl_b64 s[0:1], s[54:55], 2
	s_add_u32 s7, s52, s0
	s_addc_u32 s10, s53, s1
	s_lshl_b64 s[0:1], s[54:55], 3
	s_add_u32 s11, s56, s0
	s_mul_i32 s3, s9, s2
	s_mul_hi_u32 s4, s8, s2
	s_addc_u32 s12, s57, s1
	s_add_i32 s13, s4, s3
                                        ; implicit-def: $vgpr131 : SGPR spill to VGPR lane
	s_cmp_lg_u64 s[92:93], 0
	v_writelane_b32 v131, s8, 0
	s_mul_i32 s14, s8, s2
	s_mul_i32 s2, s6, 0x540
	s_mov_b32 s3, 0
	v_writelane_b32 v131, s9, 1
	s_cselect_b64 s[50:51], -1, 0
	s_lshl_b64 s[8:9], s[2:3], 2
	s_add_u32 s48, s7, s8
	s_addc_u32 s49, s10, s9
	s_lshl_b64 s[86:87], s[2:3], 3
	s_add_u32 s7, s11, s86
	s_addc_u32 s62, s12, s87
	s_add_u32 s52, s14, s6
	s_addc_u32 s53, s13, 0
	s_add_u32 s2, s88, -1
	s_addc_u32 s3, s89, -1
	v_pk_mov_b32 v[2:3], s[2:3], s[2:3] op_sel:[0,1]
	v_cmp_ge_u64_e64 s[88:89], s[52:53], v[2:3]
	s_mov_b64 s[4:5], 0
	s_mov_b64 s[10:11], -1
	s_and_b64 vcc, exec, s[88:89]
	s_mul_i32 s33, s2, 0xfffffac0
	s_waitcnt lgkmcnt(0)
	; wave barrier
	s_cbranch_vccz .LBB1179_112
; %bb.1:
	v_pk_mov_b32 v[2:3], s[48:49], s[48:49] op_sel:[0,1]
	flat_load_dword v2, v[2:3]
	s_add_i32 s64, s33, s74
	v_cmp_gt_u32_e64 s[2:3], s64, v0
	s_waitcnt vmcnt(0) lgkmcnt(0)
	v_mov_b32_e32 v3, v2
	s_and_saveexec_b64 s[4:5], s[2:3]
	s_cbranch_execz .LBB1179_3
; %bb.2:
	v_lshlrev_b32_e32 v1, 2, v0
	v_mov_b32_e32 v3, s49
	v_add_co_u32_e32 v4, vcc, s48, v1
	v_addc_co_u32_e32 v5, vcc, 0, v3, vcc
	flat_load_dword v3, v[4:5]
.LBB1179_3:
	s_or_b64 exec, exec, s[4:5]
	v_or_b32_e32 v1, 64, v0
	v_cmp_gt_u32_e64 s[4:5], s64, v1
	v_mov_b32_e32 v4, v2
	s_and_saveexec_b64 s[8:9], s[4:5]
	s_cbranch_execz .LBB1179_5
; %bb.4:
	v_lshlrev_b32_e32 v1, 2, v0
	v_mov_b32_e32 v5, s49
	v_add_co_u32_e32 v4, vcc, s48, v1
	v_addc_co_u32_e32 v5, vcc, 0, v5, vcc
	flat_load_dword v4, v[4:5] offset:256
.LBB1179_5:
	s_or_b64 exec, exec, s[8:9]
	v_or_b32_e32 v1, 0x80, v0
	v_cmp_gt_u32_e64 s[46:47], s64, v1
	v_mov_b32_e32 v5, v2
	s_and_saveexec_b64 s[8:9], s[46:47]
	s_cbranch_execz .LBB1179_7
; %bb.6:
	v_lshlrev_b32_e32 v1, 2, v0
	v_mov_b32_e32 v5, s49
	v_add_co_u32_e32 v6, vcc, s48, v1
	v_addc_co_u32_e32 v7, vcc, 0, v5, vcc
	flat_load_dword v5, v[6:7] offset:512
.LBB1179_7:
	;; [unrolled: 13-line block ×15, first 2 shown]
	s_or_b64 exec, exec, s[36:37]
	v_or_b32_e32 v56, 0x400, v0
	v_cmp_gt_u32_e64 s[36:37], s64, v56
	v_mov_b32_e32 v19, v2
	s_and_saveexec_b64 s[38:39], s[36:37]
	s_cbranch_execz .LBB1179_35
; %bb.34:
	v_lshlrev_b32_e32 v19, 2, v56
	v_mov_b32_e32 v21, s49
	v_add_co_u32_e32 v20, vcc, s48, v19
	v_addc_co_u32_e32 v21, vcc, 0, v21, vcc
	flat_load_dword v19, v[20:21]
.LBB1179_35:
	s_or_b64 exec, exec, s[38:39]
	v_or_b32_e32 v58, 0x440, v0
	v_cmp_gt_u32_e64 s[38:39], s64, v58
	v_mov_b32_e32 v20, v2
	s_and_saveexec_b64 s[40:41], s[38:39]
	s_cbranch_execz .LBB1179_37
; %bb.36:
	v_lshlrev_b32_e32 v20, 2, v58
	v_mov_b32_e32 v21, s49
	v_add_co_u32_e32 v20, vcc, s48, v20
	v_addc_co_u32_e32 v21, vcc, 0, v21, vcc
	flat_load_dword v20, v[20:21]
.LBB1179_37:
	;; [unrolled: 13-line block ×4, first 2 shown]
	s_or_b64 exec, exec, s[44:45]
	v_or_b32_e32 v65, 0x500, v0
	v_cmp_gt_u32_e64 s[44:45], s64, v65
	s_and_saveexec_b64 s[54:55], s[44:45]
	s_cbranch_execz .LBB1179_43
; %bb.42:
	v_lshlrev_b32_e32 v2, 2, v65
	v_mov_b32_e32 v23, s49
	v_add_co_u32_e32 v24, vcc, s48, v2
	v_addc_co_u32_e32 v25, vcc, 0, v23, vcc
	flat_load_dword v2, v[24:25]
.LBB1179_43:
	s_or_b64 exec, exec, s[54:55]
	v_lshlrev_b32_e32 v23, 2, v0
	s_movk_i32 s54, 0x50
	s_waitcnt vmcnt(0) lgkmcnt(0)
	ds_write2st64_b32 v23, v3, v4 offset1:1
	ds_write2st64_b32 v23, v5, v6 offset0:2 offset1:3
	ds_write2st64_b32 v23, v7, v8 offset0:4 offset1:5
	;; [unrolled: 1-line block ×9, first 2 shown]
	ds_write_b32 v23, v2 offset:5120
	v_mad_u32_u24 v2, v0, s54, v23
	s_waitcnt lgkmcnt(0)
	; wave barrier
	s_waitcnt lgkmcnt(0)
	ds_read2_b32 v[40:41], v2 offset0:7 offset1:8
	ds_read2_b32 v[44:45], v2 offset0:5 offset1:6
	;; [unrolled: 1-line block ×3, first 2 shown]
	ds_read2_b32 v[36:37], v2 offset1:1
	ds_read2_b32 v[32:33], v2 offset0:4 offset1:9
	ds_read2_b32 v[8:9], v2 offset0:15 offset1:16
	ds_read_b32 v64, v2 offset:56
	ds_read2_b32 v[16:17], v2 offset0:12 offset1:13
	ds_read2_b32 v[24:25], v2 offset0:10 offset1:11
	;; [unrolled: 1-line block ×4, first 2 shown]
	s_cmp_eq_u64 s[52:53], 0
	s_mov_b64 s[54:55], s[48:49]
	s_cbranch_scc1 .LBB1179_47
; %bb.44:
	s_andn2_b64 vcc, exec, s[50:51]
	s_cbranch_vccnz .LBB1179_271
; %bb.45:
	s_lshl_b64 s[54:55], s[52:53], 2
	s_add_u32 s54, s94, s54
	s_addc_u32 s55, s95, s55
	s_add_u32 s54, s54, -4
	s_addc_u32 s55, s55, -1
	s_cbranch_execnz .LBB1179_47
.LBB1179_46:
	s_add_u32 s54, s48, -4
	s_addc_u32 s55, s49, -1
.LBB1179_47:
	v_pk_mov_b32 v[6:7], s[54:55], s[54:55] op_sel:[0,1]
	flat_load_dword v68, v[6:7]
	s_movk_i32 s54, 0xffb0
	v_mad_i32_i24 v66, v0, s54, v2
	v_cmp_ne_u32_e32 vcc, 0, v0
	s_waitcnt lgkmcnt(0)
	ds_write_b32 v66, v5 offset:5376
	s_waitcnt lgkmcnt(0)
	; wave barrier
	s_waitcnt lgkmcnt(0)
	s_and_saveexec_b64 s[54:55], vcc
	s_cbranch_execz .LBB1179_49
; %bb.48:
	s_waitcnt vmcnt(0)
	ds_read_b32 v68, v66 offset:5372
.LBB1179_49:
	s_or_b64 exec, exec, s[54:55]
	s_waitcnt lgkmcnt(0)
	; wave barrier
	s_waitcnt lgkmcnt(0)
                                        ; implicit-def: $vgpr2_vgpr3
	s_and_saveexec_b64 s[54:55], s[2:3]
	s_cbranch_execnz .LBB1179_251
; %bb.50:
	s_or_b64 exec, exec, s[54:55]
                                        ; implicit-def: $vgpr6_vgpr7
	s_and_saveexec_b64 s[2:3], s[4:5]
	s_cbranch_execnz .LBB1179_252
.LBB1179_51:
	s_or_b64 exec, exec, s[2:3]
                                        ; implicit-def: $vgpr10_vgpr11
	s_and_saveexec_b64 s[2:3], s[46:47]
	s_cbranch_execnz .LBB1179_253
.LBB1179_52:
	s_or_b64 exec, exec, s[2:3]
                                        ; implicit-def: $vgpr14_vgpr15
	s_and_saveexec_b64 s[2:3], s[8:9]
	s_cbranch_execnz .LBB1179_254
.LBB1179_53:
	s_or_b64 exec, exec, s[2:3]
                                        ; implicit-def: $vgpr18_vgpr19
	s_and_saveexec_b64 s[2:3], s[10:11]
	s_cbranch_execnz .LBB1179_255
.LBB1179_54:
	s_or_b64 exec, exec, s[2:3]
                                        ; implicit-def: $vgpr20_vgpr21
	s_and_saveexec_b64 s[2:3], s[12:13]
	s_cbranch_execnz .LBB1179_256
.LBB1179_55:
	s_or_b64 exec, exec, s[2:3]
                                        ; implicit-def: $vgpr22_vgpr23
	s_and_saveexec_b64 s[2:3], s[14:15]
	s_cbranch_execnz .LBB1179_257
.LBB1179_56:
	s_or_b64 exec, exec, s[2:3]
                                        ; implicit-def: $vgpr26_vgpr27
	s_and_saveexec_b64 s[2:3], s[16:17]
	s_cbranch_execnz .LBB1179_258
.LBB1179_57:
	s_or_b64 exec, exec, s[2:3]
                                        ; implicit-def: $vgpr30_vgpr31
	s_and_saveexec_b64 s[2:3], s[18:19]
	s_cbranch_execnz .LBB1179_259
.LBB1179_58:
	s_or_b64 exec, exec, s[2:3]
                                        ; implicit-def: $vgpr34_vgpr35
	s_and_saveexec_b64 s[2:3], s[20:21]
	s_cbranch_execnz .LBB1179_260
.LBB1179_59:
	s_or_b64 exec, exec, s[2:3]
                                        ; implicit-def: $vgpr38_vgpr39
	s_and_saveexec_b64 s[2:3], s[22:23]
	s_cbranch_execnz .LBB1179_261
.LBB1179_60:
	s_or_b64 exec, exec, s[2:3]
                                        ; implicit-def: $vgpr42_vgpr43
	s_and_saveexec_b64 s[2:3], s[24:25]
	s_cbranch_execnz .LBB1179_262
.LBB1179_61:
	s_or_b64 exec, exec, s[2:3]
                                        ; implicit-def: $vgpr46_vgpr47
	s_and_saveexec_b64 s[2:3], s[26:27]
	s_cbranch_execnz .LBB1179_263
.LBB1179_62:
	s_or_b64 exec, exec, s[2:3]
                                        ; implicit-def: $vgpr48_vgpr49
	s_and_saveexec_b64 s[2:3], s[28:29]
	s_cbranch_execnz .LBB1179_264
.LBB1179_63:
	s_or_b64 exec, exec, s[2:3]
                                        ; implicit-def: $vgpr50_vgpr51
	s_and_saveexec_b64 s[2:3], s[30:31]
	s_cbranch_execnz .LBB1179_265
.LBB1179_64:
	s_or_b64 exec, exec, s[2:3]
                                        ; implicit-def: $vgpr52_vgpr53
	s_and_saveexec_b64 s[2:3], s[34:35]
	s_cbranch_execnz .LBB1179_266
.LBB1179_65:
	s_or_b64 exec, exec, s[2:3]
                                        ; implicit-def: $vgpr54_vgpr55
	s_and_saveexec_b64 s[2:3], s[36:37]
	s_cbranch_execnz .LBB1179_267
.LBB1179_66:
	s_or_b64 exec, exec, s[2:3]
                                        ; implicit-def: $vgpr56_vgpr57
	s_and_saveexec_b64 s[2:3], s[38:39]
	s_cbranch_execnz .LBB1179_268
.LBB1179_67:
	s_or_b64 exec, exec, s[2:3]
                                        ; implicit-def: $vgpr58_vgpr59
	s_and_saveexec_b64 s[2:3], s[40:41]
	s_cbranch_execnz .LBB1179_269
.LBB1179_68:
	s_or_b64 exec, exec, s[2:3]
                                        ; implicit-def: $vgpr60_vgpr61
	s_and_saveexec_b64 s[2:3], s[42:43]
	s_cbranch_execnz .LBB1179_270
.LBB1179_69:
	s_or_b64 exec, exec, s[2:3]
                                        ; implicit-def: $vgpr62_vgpr63
	s_and_saveexec_b64 s[2:3], s[44:45]
	s_cbranch_execz .LBB1179_71
.LBB1179_70:
	v_lshlrev_b32_e32 v1, 3, v65
	v_mov_b32_e32 v63, s62
	v_add_co_u32_e32 v62, vcc, s7, v1
	v_addc_co_u32_e32 v63, vcc, 0, v63, vcc
	flat_load_dwordx2 v[62:63], v[62:63]
.LBB1179_71:
	s_or_b64 exec, exec, s[2:3]
	v_lshl_add_u32 v69, v0, 2, v66
	v_mul_u32_u24_e32 v65, 21, v0
	s_waitcnt vmcnt(0) lgkmcnt(0)
	ds_write2st64_b64 v69, v[2:3], v[6:7] offset1:1
	ds_write2st64_b64 v69, v[10:11], v[14:15] offset0:2 offset1:3
	ds_write2st64_b64 v69, v[18:19], v[20:21] offset0:4 offset1:5
	;; [unrolled: 1-line block ×9, first 2 shown]
	ds_write_b64 v69, v[62:63] offset:10240
	v_pk_mov_b32 v[10:11], 0, 0
	v_cmp_gt_u32_e32 vcc, s64, v65
	s_mov_b64 s[4:5], 0
	s_mov_b64 s[10:11], 0
	s_mov_b32 s63, 0
	v_mov_b32_e32 v128, 0
	v_mov_b32_e32 v122, 0
	;; [unrolled: 1-line block ×5, first 2 shown]
	v_pk_mov_b32 v[70:71], v[10:11], v[10:11] op_sel:[0,1]
	v_pk_mov_b32 v[78:79], v[10:11], v[10:11] op_sel:[0,1]
	;; [unrolled: 1-line block ×8, first 2 shown]
	v_mov_b32_e32 v124, 0
	v_pk_mov_b32 v[38:39], v[10:11], v[10:11] op_sel:[0,1]
	v_pk_mov_b32 v[50:51], v[10:11], v[10:11] op_sel:[0,1]
	;; [unrolled: 1-line block ×5, first 2 shown]
	v_mov_b32_e32 v123, 0
	v_pk_mov_b32 v[34:35], v[10:11], v[10:11] op_sel:[0,1]
	v_pk_mov_b32 v[14:15], v[10:11], v[10:11] op_sel:[0,1]
	;; [unrolled: 1-line block ×5, first 2 shown]
	v_mov_b32_e32 v1, 0
	v_pk_mov_b32 v[2:3], v[10:11], v[10:11] op_sel:[0,1]
	s_waitcnt lgkmcnt(0)
	; wave barrier
	s_waitcnt lgkmcnt(0)
                                        ; implicit-def: $sgpr2_sgpr3
                                        ; implicit-def: $vgpr83
                                        ; implicit-def: $vgpr82
                                        ; implicit-def: $vgpr84
                                        ; implicit-def: $vgpr85
	s_and_saveexec_b64 s[12:13], vcc
	s_cbranch_execz .LBB1179_111
; %bb.72:
	s_movk_i32 s2, 0xa0
	v_mad_u32_u24 v2, v0, s2, v69
	ds_read_b64 v[2:3], v2
	v_cmp_ne_u32_e32 vcc, v68, v36
	v_add_u32_e32 v6, 1, v65
	v_pk_mov_b32 v[10:11], 0, 0
	v_cndmask_b32_e64 v1, 0, 1, vcc
	v_cmp_gt_u32_e32 vcc, s64, v6
	s_mov_b64 s[18:19], 0
	v_mov_b32_e32 v128, 0
	v_mov_b32_e32 v122, 0
	;; [unrolled: 1-line block ×5, first 2 shown]
	v_pk_mov_b32 v[70:71], v[10:11], v[10:11] op_sel:[0,1]
	v_pk_mov_b32 v[78:79], v[10:11], v[10:11] op_sel:[0,1]
	;; [unrolled: 1-line block ×8, first 2 shown]
	v_mov_b32_e32 v124, 0
	v_pk_mov_b32 v[38:39], v[10:11], v[10:11] op_sel:[0,1]
	v_pk_mov_b32 v[50:51], v[10:11], v[10:11] op_sel:[0,1]
	;; [unrolled: 1-line block ×5, first 2 shown]
	v_mov_b32_e32 v123, 0
	v_pk_mov_b32 v[34:35], v[10:11], v[10:11] op_sel:[0,1]
	v_pk_mov_b32 v[14:15], v[10:11], v[10:11] op_sel:[0,1]
	v_pk_mov_b32 v[26:27], v[10:11], v[10:11] op_sel:[0,1]
	v_pk_mov_b32 v[6:7], v[10:11], v[10:11] op_sel:[0,1]
	v_pk_mov_b32 v[18:19], v[10:11], v[10:11] op_sel:[0,1]
                                        ; implicit-def: $sgpr2_sgpr3
                                        ; implicit-def: $vgpr83
                                        ; implicit-def: $vgpr82
                                        ; implicit-def: $vgpr84
                                        ; implicit-def: $vgpr85
	s_and_saveexec_b64 s[14:15], vcc
	s_cbranch_execz .LBB1179_110
; %bb.73:
	v_mul_u32_u24_e32 v6, 0xa0, v0
	v_add_u32_e32 v48, v69, v6
	ds_read2_b64 v[18:21], v48 offset0:1 offset1:2
	v_cmp_ne_u32_e64 s[8:9], v36, v37
	v_add_u32_e32 v6, 2, v65
	v_pk_mov_b32 v[10:11], 0, 0
	v_cmp_ne_u32_e32 vcc, v28, v29
	v_cmp_ne_u32_e64 s[2:3], v29, v32
	v_cmp_ne_u32_e64 s[4:5], v37, v28
	v_cndmask_b32_e64 v128, 0, 1, s[8:9]
	v_cmp_gt_u32_e64 s[8:9], s64, v6
	s_mov_b64 s[20:21], 0
	v_mov_b32_e32 v127, 0
	v_mov_b32_e32 v122, 0
	;; [unrolled: 1-line block ×4, first 2 shown]
	v_pk_mov_b32 v[70:71], v[10:11], v[10:11] op_sel:[0,1]
	v_pk_mov_b32 v[78:79], v[10:11], v[10:11] op_sel:[0,1]
	v_pk_mov_b32 v[62:63], v[10:11], v[10:11] op_sel:[0,1]
	v_pk_mov_b32 v[74:75], v[10:11], v[10:11] op_sel:[0,1]
	v_pk_mov_b32 v[54:55], v[10:11], v[10:11] op_sel:[0,1]
	v_pk_mov_b32 v[66:67], v[10:11], v[10:11] op_sel:[0,1]
	v_pk_mov_b32 v[46:47], v[10:11], v[10:11] op_sel:[0,1]
	v_pk_mov_b32 v[58:59], v[10:11], v[10:11] op_sel:[0,1]
	v_mov_b32_e32 v124, 0
	v_pk_mov_b32 v[38:39], v[10:11], v[10:11] op_sel:[0,1]
	v_pk_mov_b32 v[50:51], v[10:11], v[10:11] op_sel:[0,1]
	;; [unrolled: 1-line block ×5, first 2 shown]
	v_mov_b32_e32 v123, 0
	v_pk_mov_b32 v[34:35], v[10:11], v[10:11] op_sel:[0,1]
	v_pk_mov_b32 v[14:15], v[10:11], v[10:11] op_sel:[0,1]
	;; [unrolled: 1-line block ×4, first 2 shown]
                                        ; implicit-def: $sgpr22_sgpr23
                                        ; implicit-def: $vgpr83
                                        ; implicit-def: $vgpr82
                                        ; implicit-def: $vgpr84
                                        ; implicit-def: $vgpr85
	s_and_saveexec_b64 s[16:17], s[8:9]
	s_cbranch_execz .LBB1179_109
; %bb.74:
	v_cndmask_b32_e64 v6, 0, 1, s[4:5]
	v_cndmask_b32_e64 v7, 0, 1, s[2:3]
	v_lshlrev_b16_e32 v6, 8, v6
	v_lshlrev_b16_e32 v7, 8, v7
	v_cndmask_b32_e64 v10, 0, 1, vcc
	v_or_b32_e32 v6, v128, v6
	v_or_b32_sdwa v7, v10, v7 dst_sel:WORD_1 dst_unused:UNUSED_PAD src0_sel:DWORD src1_sel:DWORD
	v_add_u32_e32 v10, 3, v65
	v_or_b32_sdwa v83, v6, v7 dst_sel:DWORD dst_unused:UNUSED_PAD src0_sel:WORD_0 src1_sel:DWORD
	v_cmp_gt_u32_e32 vcc, s64, v10
	v_pk_mov_b32 v[10:11], 0, 0
	v_and_b32_e32 v128, 0xffff, v83
	s_waitcnt lgkmcnt(0)
	v_mov_b32_e32 v6, v20
	v_mov_b32_e32 v7, v21
	s_mov_b64 s[2:3], 0
	v_mov_b32_e32 v127, 0
	v_mov_b32_e32 v122, 0
	;; [unrolled: 1-line block ×4, first 2 shown]
	v_pk_mov_b32 v[70:71], v[10:11], v[10:11] op_sel:[0,1]
	v_pk_mov_b32 v[78:79], v[10:11], v[10:11] op_sel:[0,1]
	;; [unrolled: 1-line block ×8, first 2 shown]
	v_mov_b32_e32 v124, 0
	v_pk_mov_b32 v[38:39], v[10:11], v[10:11] op_sel:[0,1]
	v_pk_mov_b32 v[50:51], v[10:11], v[10:11] op_sel:[0,1]
	;; [unrolled: 1-line block ×5, first 2 shown]
	v_mov_b32_e32 v123, 0
	v_pk_mov_b32 v[34:35], v[10:11], v[10:11] op_sel:[0,1]
	v_pk_mov_b32 v[14:15], v[10:11], v[10:11] op_sel:[0,1]
	v_pk_mov_b32 v[26:27], v[10:11], v[10:11] op_sel:[0,1]
                                        ; implicit-def: $sgpr4_sgpr5
                                        ; implicit-def: $vgpr82
                                        ; implicit-def: $vgpr84
                                        ; implicit-def: $vgpr85
	s_and_saveexec_b64 s[18:19], vcc
	s_cbranch_execz .LBB1179_108
; %bb.75:
	ds_read2_b64 v[26:29], v48 offset0:3 offset1:4
	v_add_u32_e32 v10, 4, v65
	v_cmp_gt_u32_e32 vcc, s64, v10
	v_pk_mov_b32 v[10:11], 0, 0
	v_and_b32_e32 v128, 0xffffff, v83
	s_mov_b64 s[4:5], 0
	v_mov_b32_e32 v127, 0
	v_mov_b32_e32 v122, 0
	;; [unrolled: 1-line block ×4, first 2 shown]
	v_pk_mov_b32 v[70:71], v[10:11], v[10:11] op_sel:[0,1]
	v_pk_mov_b32 v[78:79], v[10:11], v[10:11] op_sel:[0,1]
	;; [unrolled: 1-line block ×8, first 2 shown]
	v_mov_b32_e32 v124, 0
	v_pk_mov_b32 v[38:39], v[10:11], v[10:11] op_sel:[0,1]
	v_pk_mov_b32 v[50:51], v[10:11], v[10:11] op_sel:[0,1]
	;; [unrolled: 1-line block ×5, first 2 shown]
	v_mov_b32_e32 v123, 0
	v_pk_mov_b32 v[34:35], v[10:11], v[10:11] op_sel:[0,1]
	v_pk_mov_b32 v[14:15], v[10:11], v[10:11] op_sel:[0,1]
                                        ; implicit-def: $sgpr8_sgpr9
                                        ; implicit-def: $vgpr82
                                        ; implicit-def: $vgpr84
                                        ; implicit-def: $vgpr85
	s_and_saveexec_b64 s[20:21], vcc
	s_cbranch_execz .LBB1179_107
; %bb.76:
	v_add_u32_e32 v10, 5, v65
	v_cmp_gt_u32_e32 vcc, s64, v10
	v_pk_mov_b32 v[10:11], 0, 0
	s_waitcnt lgkmcnt(0)
	v_mov_b32_e32 v14, v28
	v_mov_b32_e32 v15, v29
	;; [unrolled: 1-line block ×6, first 2 shown]
	v_pk_mov_b32 v[70:71], v[10:11], v[10:11] op_sel:[0,1]
	v_pk_mov_b32 v[78:79], v[10:11], v[10:11] op_sel:[0,1]
	;; [unrolled: 1-line block ×8, first 2 shown]
	v_mov_b32_e32 v124, 0
	v_pk_mov_b32 v[38:39], v[10:11], v[10:11] op_sel:[0,1]
	v_pk_mov_b32 v[50:51], v[10:11], v[10:11] op_sel:[0,1]
	;; [unrolled: 1-line block ×5, first 2 shown]
	v_mov_b32_e32 v123, 0
	v_pk_mov_b32 v[34:35], v[10:11], v[10:11] op_sel:[0,1]
                                        ; implicit-def: $sgpr8_sgpr9
                                        ; implicit-def: $vgpr82
                                        ; implicit-def: $vgpr84
                                        ; implicit-def: $vgpr85
	s_and_saveexec_b64 s[22:23], vcc
	s_cbranch_execz .LBB1179_106
; %bb.77:
	ds_read2_b64 v[34:37], v48 offset0:5 offset1:6
	v_cmp_ne_u32_e32 vcc, v32, v44
	v_add_u32_e32 v10, 6, v65
	v_cndmask_b32_e64 v123, 0, 1, vcc
	v_cmp_gt_u32_e32 vcc, s64, v10
	v_pk_mov_b32 v[10:11], 0, 0
	s_mov_b64 s[28:29], 0
	v_mov_b32_e32 v127, 0
	v_mov_b32_e32 v122, 0
	;; [unrolled: 1-line block ×4, first 2 shown]
	v_pk_mov_b32 v[70:71], v[10:11], v[10:11] op_sel:[0,1]
	v_pk_mov_b32 v[78:79], v[10:11], v[10:11] op_sel:[0,1]
	;; [unrolled: 1-line block ×8, first 2 shown]
	v_mov_b32_e32 v124, 0
	v_pk_mov_b32 v[38:39], v[10:11], v[10:11] op_sel:[0,1]
	v_pk_mov_b32 v[50:51], v[10:11], v[10:11] op_sel:[0,1]
	;; [unrolled: 1-line block ×5, first 2 shown]
                                        ; implicit-def: $sgpr4_sgpr5
                                        ; implicit-def: $vgpr82
                                        ; implicit-def: $vgpr84
                                        ; implicit-def: $vgpr85
	s_and_saveexec_b64 s[24:25], vcc
	s_cbranch_execz .LBB1179_105
; %bb.78:
	v_cmp_ne_u32_e64 s[8:9], v44, v45
	v_add_u32_e32 v10, 7, v65
	v_cndmask_b32_e64 v127, 0, 1, s[8:9]
	v_cmp_gt_u32_e64 s[8:9], s64, v10
	v_pk_mov_b32 v[10:11], 0, 0
	s_waitcnt lgkmcnt(0)
	v_mov_b32_e32 v22, v36
	v_mov_b32_e32 v23, v37
	v_cmp_ne_u32_e32 vcc, v40, v41
	v_cmp_ne_u32_e64 s[2:3], v41, v33
	v_cmp_ne_u32_e64 s[4:5], v45, v40
	s_mov_b64 s[30:31], 0
	v_mov_b32_e32 v126, 0
	v_mov_b32_e32 v122, 0
	;; [unrolled: 1-line block ×3, first 2 shown]
	v_pk_mov_b32 v[70:71], v[10:11], v[10:11] op_sel:[0,1]
	v_pk_mov_b32 v[78:79], v[10:11], v[10:11] op_sel:[0,1]
	;; [unrolled: 1-line block ×8, first 2 shown]
	v_mov_b32_e32 v124, 0
	v_pk_mov_b32 v[38:39], v[10:11], v[10:11] op_sel:[0,1]
	v_pk_mov_b32 v[50:51], v[10:11], v[10:11] op_sel:[0,1]
	;; [unrolled: 1-line block ×4, first 2 shown]
                                        ; implicit-def: $sgpr34_sgpr35
                                        ; implicit-def: $vgpr82
                                        ; implicit-def: $vgpr84
                                        ; implicit-def: $vgpr85
	s_and_saveexec_b64 s[26:27], s[8:9]
	s_cbranch_execz .LBB1179_104
; %bb.79:
	v_cndmask_b32_e64 v10, 0, 1, s[4:5]
	v_cndmask_b32_e64 v11, 0, 1, s[2:3]
	v_lshlrev_b16_e32 v10, 8, v10
	v_lshlrev_b16_e32 v11, 8, v11
	v_cndmask_b32_e64 v20, 0, 1, vcc
	ds_read2_b64 v[42:45], v48 offset0:7 offset1:8
	v_or_b32_e32 v10, v127, v10
	v_or_b32_sdwa v11, v20, v11 dst_sel:WORD_1 dst_unused:UNUSED_PAD src0_sel:DWORD src1_sel:DWORD
	v_or_b32_sdwa v82, v10, v11 dst_sel:DWORD dst_unused:UNUSED_PAD src0_sel:WORD_0 src1_sel:DWORD
	v_add_u32_e32 v10, 8, v65
	v_cmp_gt_u32_e32 vcc, s64, v10
	v_pk_mov_b32 v[10:11], 0, 0
	v_and_b32_e32 v127, 0xffff, v82
	s_mov_b64 s[2:3], 0
	v_mov_b32_e32 v126, 0
	v_mov_b32_e32 v122, 0
	;; [unrolled: 1-line block ×3, first 2 shown]
	v_pk_mov_b32 v[70:71], v[10:11], v[10:11] op_sel:[0,1]
	v_pk_mov_b32 v[78:79], v[10:11], v[10:11] op_sel:[0,1]
	;; [unrolled: 1-line block ×8, first 2 shown]
	v_mov_b32_e32 v124, 0
	v_pk_mov_b32 v[38:39], v[10:11], v[10:11] op_sel:[0,1]
	v_pk_mov_b32 v[50:51], v[10:11], v[10:11] op_sel:[0,1]
	v_pk_mov_b32 v[30:31], v[10:11], v[10:11] op_sel:[0,1]
                                        ; implicit-def: $sgpr4_sgpr5
                                        ; implicit-def: $vgpr84
                                        ; implicit-def: $vgpr85
	s_and_saveexec_b64 s[28:29], vcc
	s_cbranch_execz .LBB1179_103
; %bb.80:
	v_add_u32_e32 v10, 9, v65
	v_cmp_gt_u32_e32 vcc, s64, v10
	v_pk_mov_b32 v[10:11], 0, 0
	s_waitcnt lgkmcnt(0)
	v_mov_b32_e32 v30, v44
	v_mov_b32_e32 v31, v45
	v_and_b32_e32 v127, 0xffffff, v82
	s_mov_b64 s[4:5], 0
	v_mov_b32_e32 v126, 0
	v_mov_b32_e32 v122, 0
	v_mov_b32_e32 v125, 0
	v_pk_mov_b32 v[70:71], v[10:11], v[10:11] op_sel:[0,1]
	v_pk_mov_b32 v[78:79], v[10:11], v[10:11] op_sel:[0,1]
	v_pk_mov_b32 v[62:63], v[10:11], v[10:11] op_sel:[0,1]
	v_pk_mov_b32 v[74:75], v[10:11], v[10:11] op_sel:[0,1]
	v_pk_mov_b32 v[54:55], v[10:11], v[10:11] op_sel:[0,1]
	v_pk_mov_b32 v[66:67], v[10:11], v[10:11] op_sel:[0,1]
	v_pk_mov_b32 v[46:47], v[10:11], v[10:11] op_sel:[0,1]
	v_pk_mov_b32 v[58:59], v[10:11], v[10:11] op_sel:[0,1]
	v_mov_b32_e32 v124, 0
	v_pk_mov_b32 v[38:39], v[10:11], v[10:11] op_sel:[0,1]
	v_pk_mov_b32 v[50:51], v[10:11], v[10:11] op_sel:[0,1]
                                        ; implicit-def: $sgpr8_sgpr9
                                        ; implicit-def: $vgpr84
                                        ; implicit-def: $vgpr85
	s_and_saveexec_b64 s[30:31], vcc
	s_cbranch_execz .LBB1179_102
; %bb.81:
	ds_read2_b64 v[50:53], v48 offset0:9 offset1:10
	v_add_u32_e32 v10, 10, v65
	v_cmp_gt_u32_e32 vcc, s64, v10
	v_pk_mov_b32 v[10:11], 0, 0
	v_mov_b32_e32 v126, 0
	v_mov_b32_e32 v122, 0
	;; [unrolled: 1-line block ×3, first 2 shown]
	v_pk_mov_b32 v[70:71], v[10:11], v[10:11] op_sel:[0,1]
	v_pk_mov_b32 v[78:79], v[10:11], v[10:11] op_sel:[0,1]
	;; [unrolled: 1-line block ×8, first 2 shown]
	v_mov_b32_e32 v124, 0
	v_pk_mov_b32 v[38:39], v[10:11], v[10:11] op_sel:[0,1]
                                        ; implicit-def: $sgpr8_sgpr9
                                        ; implicit-def: $vgpr84
                                        ; implicit-def: $vgpr85
	s_and_saveexec_b64 s[34:35], vcc
	s_cbranch_execz .LBB1179_101
; %bb.82:
	v_cmp_ne_u32_e32 vcc, v33, v24
	v_add_u32_e32 v10, 11, v65
	v_cndmask_b32_e64 v124, 0, 1, vcc
	v_cmp_gt_u32_e32 vcc, s64, v10
	v_pk_mov_b32 v[10:11], 0, 0
	s_waitcnt lgkmcnt(0)
	v_mov_b32_e32 v38, v52
	v_mov_b32_e32 v39, v53
	s_mov_b64 s[40:41], 0
	v_mov_b32_e32 v126, 0
	v_mov_b32_e32 v122, 0
	;; [unrolled: 1-line block ×3, first 2 shown]
	v_pk_mov_b32 v[70:71], v[10:11], v[10:11] op_sel:[0,1]
	v_pk_mov_b32 v[78:79], v[10:11], v[10:11] op_sel:[0,1]
	v_pk_mov_b32 v[62:63], v[10:11], v[10:11] op_sel:[0,1]
	v_pk_mov_b32 v[74:75], v[10:11], v[10:11] op_sel:[0,1]
	v_pk_mov_b32 v[54:55], v[10:11], v[10:11] op_sel:[0,1]
	v_pk_mov_b32 v[66:67], v[10:11], v[10:11] op_sel:[0,1]
	v_pk_mov_b32 v[46:47], v[10:11], v[10:11] op_sel:[0,1]
	v_pk_mov_b32 v[58:59], v[10:11], v[10:11] op_sel:[0,1]
                                        ; implicit-def: $sgpr4_sgpr5
                                        ; implicit-def: $vgpr84
                                        ; implicit-def: $vgpr85
	s_and_saveexec_b64 s[36:37], vcc
	s_cbranch_execz .LBB1179_100
; %bb.83:
	ds_read2_b64 v[58:61], v48 offset0:11 offset1:12
	v_cmp_ne_u32_e64 s[8:9], v24, v25
	v_add_u32_e32 v10, 12, v65
	v_cndmask_b32_e64 v126, 0, 1, s[8:9]
	v_cmp_gt_u32_e64 s[8:9], s64, v10
	v_pk_mov_b32 v[10:11], 0, 0
	v_cmp_ne_u32_e32 vcc, v16, v17
	v_cmp_ne_u32_e64 s[2:3], v17, v64
	v_cmp_ne_u32_e64 s[4:5], v25, v16
	s_mov_b64 s[42:43], 0
	v_mov_b32_e32 v125, 0
	v_mov_b32_e32 v122, 0
	v_pk_mov_b32 v[70:71], v[10:11], v[10:11] op_sel:[0,1]
	v_pk_mov_b32 v[78:79], v[10:11], v[10:11] op_sel:[0,1]
	;; [unrolled: 1-line block ×7, first 2 shown]
                                        ; implicit-def: $sgpr44_sgpr45
                                        ; implicit-def: $vgpr84
                                        ; implicit-def: $vgpr85
	s_and_saveexec_b64 s[38:39], s[8:9]
	s_cbranch_execz .LBB1179_99
; %bb.84:
	v_cndmask_b32_e64 v10, 0, 1, s[4:5]
	v_cndmask_b32_e64 v11, 0, 1, s[2:3]
	v_lshlrev_b16_e32 v10, 8, v10
	v_lshlrev_b16_e32 v11, 8, v11
	v_cndmask_b32_e64 v16, 0, 1, vcc
	v_or_b32_e32 v10, v126, v10
	v_or_b32_sdwa v11, v16, v11 dst_sel:WORD_1 dst_unused:UNUSED_PAD src0_sel:DWORD src1_sel:DWORD
	v_or_b32_sdwa v84, v10, v11 dst_sel:DWORD dst_unused:UNUSED_PAD src0_sel:WORD_0 src1_sel:DWORD
	v_add_u32_e32 v10, 13, v65
	v_cmp_gt_u32_e32 vcc, s64, v10
	v_pk_mov_b32 v[10:11], 0, 0
	v_and_b32_e32 v126, 0xffff, v84
	s_waitcnt lgkmcnt(0)
	v_mov_b32_e32 v46, v60
	v_mov_b32_e32 v47, v61
	s_mov_b64 s[2:3], 0
	v_mov_b32_e32 v125, 0
	v_mov_b32_e32 v122, 0
	v_pk_mov_b32 v[70:71], v[10:11], v[10:11] op_sel:[0,1]
	v_pk_mov_b32 v[78:79], v[10:11], v[10:11] op_sel:[0,1]
	;; [unrolled: 1-line block ×6, first 2 shown]
                                        ; implicit-def: $sgpr4_sgpr5
                                        ; implicit-def: $vgpr85
	s_and_saveexec_b64 s[40:41], vcc
	s_cbranch_execz .LBB1179_98
; %bb.85:
	ds_read2_b64 v[66:69], v48 offset0:13 offset1:14
	v_add_u32_e32 v10, 14, v65
	v_cmp_gt_u32_e32 vcc, s64, v10
	v_pk_mov_b32 v[10:11], 0, 0
	s_mov_b64 s[66:67], s[58:59]
	v_and_b32_e32 v126, 0xffffff, v84
	s_mov_b64 s[4:5], 0
	v_mov_b32_e32 v125, 0
	v_mov_b32_e32 v122, 0
	v_pk_mov_b32 v[70:71], v[10:11], v[10:11] op_sel:[0,1]
	v_pk_mov_b32 v[78:79], v[10:11], v[10:11] op_sel:[0,1]
	;; [unrolled: 1-line block ×5, first 2 shown]
                                        ; implicit-def: $sgpr8_sgpr9
                                        ; implicit-def: $vgpr85
	s_and_saveexec_b64 s[42:43], vcc
	s_cbranch_execz .LBB1179_97
; %bb.86:
	v_add_u32_e32 v10, 15, v65
	v_cmp_gt_u32_e32 vcc, s64, v10
	v_pk_mov_b32 v[10:11], 0, 0
	s_waitcnt lgkmcnt(0)
	v_mov_b32_e32 v54, v68
	v_mov_b32_e32 v55, v69
	;; [unrolled: 1-line block ×4, first 2 shown]
	v_pk_mov_b32 v[70:71], v[10:11], v[10:11] op_sel:[0,1]
	v_pk_mov_b32 v[78:79], v[10:11], v[10:11] op_sel:[0,1]
	v_pk_mov_b32 v[62:63], v[10:11], v[10:11] op_sel:[0,1]
	v_pk_mov_b32 v[74:75], v[10:11], v[10:11] op_sel:[0,1]
                                        ; implicit-def: $sgpr8_sgpr9
                                        ; implicit-def: $vgpr85
	s_and_saveexec_b64 s[44:45], vcc
	s_cbranch_execz .LBB1179_96
; %bb.87:
	ds_read2_b64 v[74:77], v48 offset0:15 offset1:16
	v_cmp_ne_u32_e32 vcc, v64, v8
	v_add_u32_e32 v10, 16, v65
	v_cndmask_b32_e64 v122, 0, 1, vcc
	v_cmp_gt_u32_e32 vcc, s64, v10
	v_pk_mov_b32 v[10:11], 0, 0
	s_mov_b64 s[56:57], 0
	v_mov_b32_e32 v125, 0
	v_pk_mov_b32 v[70:71], v[10:11], v[10:11] op_sel:[0,1]
	v_pk_mov_b32 v[78:79], v[10:11], v[10:11] op_sel:[0,1]
	;; [unrolled: 1-line block ×3, first 2 shown]
                                        ; implicit-def: $sgpr4_sgpr5
                                        ; implicit-def: $vgpr85
	s_and_saveexec_b64 s[46:47], vcc
	s_cbranch_execz .LBB1179_95
; %bb.88:
	v_cmp_ne_u32_e64 s[8:9], v8, v9
	v_add_u32_e32 v8, 17, v65
	v_pk_mov_b32 v[10:11], 0, 0
	s_waitcnt lgkmcnt(0)
	v_mov_b32_e32 v62, v76
	v_mov_b32_e32 v63, v77
	v_cmp_ne_u32_e32 vcc, v12, v13
	v_cmp_ne_u32_e64 s[2:3], v13, v4
	v_cmp_ne_u32_e64 s[4:5], v9, v12
	v_cndmask_b32_e64 v125, 0, 1, s[8:9]
	v_cmp_gt_u32_e64 s[8:9], s64, v8
	s_mov_b64 s[58:59], 0
	v_pk_mov_b32 v[70:71], v[10:11], v[10:11] op_sel:[0,1]
	v_pk_mov_b32 v[78:79], v[10:11], v[10:11] op_sel:[0,1]
                                        ; implicit-def: $sgpr60_sgpr61
                                        ; implicit-def: $vgpr85
	s_and_saveexec_b64 s[54:55], s[8:9]
	s_cbranch_execz .LBB1179_94
; %bb.89:
	v_cndmask_b32_e64 v8, 0, 1, s[4:5]
	v_cndmask_b32_e64 v9, 0, 1, s[2:3]
	ds_read2_b64 v[78:81], v48 offset0:17 offset1:18
	v_lshlrev_b16_e32 v8, 8, v8
	v_lshlrev_b16_e32 v9, 8, v9
	v_cndmask_b32_e64 v10, 0, 1, vcc
	v_or_b32_e32 v8, v125, v8
	v_or_b32_sdwa v9, v10, v9 dst_sel:WORD_1 dst_unused:UNUSED_PAD src0_sel:DWORD src1_sel:DWORD
	v_or_b32_sdwa v85, v8, v9 dst_sel:DWORD dst_unused:UNUSED_PAD src0_sel:WORD_0 src1_sel:DWORD
	v_add_u32_e32 v8, 18, v65
	v_pk_mov_b32 v[10:11], 0, 0
	v_and_b32_e32 v125, 0xffff, v85
	v_cmp_gt_u32_e32 vcc, s64, v8
	s_mov_b64 s[2:3], 0
	v_pk_mov_b32 v[70:71], v[10:11], v[10:11] op_sel:[0,1]
                                        ; implicit-def: $sgpr8_sgpr9
	s_and_saveexec_b64 s[4:5], vcc
	s_cbranch_execz .LBB1179_93
; %bb.90:
	v_add_u32_e32 v8, 19, v65
	s_waitcnt lgkmcnt(0)
	v_mov_b32_e32 v70, v80
	v_mov_b32_e32 v71, v81
	v_cmp_gt_u32_e32 vcc, s64, v8
	v_and_b32_e32 v125, 0xffffff, v85
	v_pk_mov_b32 v[10:11], 0, 0
                                        ; implicit-def: $sgpr8_sgpr9
	s_and_saveexec_b64 s[56:57], vcc
	s_xor_b64 s[56:57], exec, s[56:57]
	s_cbranch_execz .LBB1179_92
; %bb.91:
	ds_read2_b64 v[10:13], v48 offset0:19 offset1:20
	v_cmp_ne_u32_e32 vcc, v4, v5
	v_add_u32_e32 v4, 20, v65
	v_cmp_gt_u32_e64 s[2:3], s64, v4
	s_and_b64 s[8:9], vcc, exec
	s_and_b64 s[2:3], s[2:3], exec
	s_waitcnt lgkmcnt(0)
	v_pk_mov_b32 v[72:73], v[10:11], v[10:11] op_sel:[0,1]
	v_mov_b32_e32 v125, v85
.LBB1179_92:
	s_or_b64 exec, exec, s[56:57]
	s_and_b64 s[8:9], s[8:9], exec
	s_and_b64 s[58:59], s[2:3], exec
.LBB1179_93:
	s_or_b64 exec, exec, s[4:5]
	s_and_b64 s[60:61], s[8:9], exec
	s_and_b64 s[56:57], s[58:59], exec
	s_waitcnt lgkmcnt(0)
	v_pk_mov_b32 v[64:65], v[78:79], v[78:79] op_sel:[0,1]
	v_pk_mov_b32 v[56:57], v[74:75], v[74:75] op_sel:[0,1]
	;; [unrolled: 1-line block ×9, first 2 shown]
.LBB1179_94:
	s_or_b64 exec, exec, s[54:55]
	s_and_b64 s[4:5], s[60:61], exec
	s_and_b64 s[2:3], s[56:57], exec
.LBB1179_95:
	s_or_b64 exec, exec, s[46:47]
	s_and_b64 s[8:9], s[4:5], exec
	s_and_b64 s[4:5], s[2:3], exec
.LBB1179_96:
	s_or_b64 exec, exec, s[44:45]
	s_and_b64 s[8:9], s[8:9], exec
	s_and_b64 s[2:3], s[4:5], exec
	v_mov_b32_e32 v126, v84
.LBB1179_97:
	s_or_b64 exec, exec, s[42:43]
	s_and_b64 s[4:5], s[8:9], exec
	s_and_b64 s[42:43], s[2:3], exec
	s_mov_b64 s[58:59], s[66:67]
.LBB1179_98:
	s_or_b64 exec, exec, s[40:41]
	s_and_b64 s[44:45], s[4:5], exec
	s_and_b64 s[40:41], s[42:43], exec
.LBB1179_99:
	s_or_b64 exec, exec, s[38:39]
	s_and_b64 s[4:5], s[44:45], exec
	s_and_b64 s[2:3], s[40:41], exec
.LBB1179_100:
	s_or_b64 exec, exec, s[36:37]
	s_and_b64 s[8:9], s[4:5], exec
	s_and_b64 s[4:5], s[2:3], exec
.LBB1179_101:
	s_or_b64 exec, exec, s[34:35]
	s_and_b64 s[8:9], s[8:9], exec
	s_and_b64 s[2:3], s[4:5], exec
	v_mov_b32_e32 v127, v82
.LBB1179_102:
	s_or_b64 exec, exec, s[30:31]
	s_and_b64 s[4:5], s[8:9], exec
	s_and_b64 s[30:31], s[2:3], exec
.LBB1179_103:
	s_or_b64 exec, exec, s[28:29]
	s_and_b64 s[34:35], s[4:5], exec
	s_and_b64 s[28:29], s[30:31], exec
.LBB1179_104:
	s_or_b64 exec, exec, s[26:27]
	s_and_b64 s[4:5], s[34:35], exec
	s_and_b64 s[2:3], s[28:29], exec
.LBB1179_105:
	s_or_b64 exec, exec, s[24:25]
	s_and_b64 s[8:9], s[4:5], exec
	s_and_b64 s[4:5], s[2:3], exec
.LBB1179_106:
	s_or_b64 exec, exec, s[22:23]
	s_and_b64 s[8:9], s[8:9], exec
	s_and_b64 s[2:3], s[4:5], exec
	v_mov_b32_e32 v128, v83
.LBB1179_107:
	s_or_b64 exec, exec, s[20:21]
	s_and_b64 s[4:5], s[8:9], exec
	s_and_b64 s[20:21], s[2:3], exec
.LBB1179_108:
	s_or_b64 exec, exec, s[18:19]
	s_and_b64 s[22:23], s[4:5], exec
	s_and_b64 s[18:19], s[20:21], exec
.LBB1179_109:
	s_or_b64 exec, exec, s[16:17]
	s_and_b64 s[2:3], s[22:23], exec
	s_and_b64 s[4:5], s[18:19], exec
.LBB1179_110:
	s_or_b64 exec, exec, s[14:15]
	s_and_b64 s[2:3], s[2:3], exec
	s_and_b64 s[4:5], s[4:5], exec
.LBB1179_111:
	s_or_b64 exec, exec, s[12:13]
	s_mov_b64 s[8:9], 0
	s_and_b64 vcc, exec, s[10:11]
	s_cbranch_vccnz .LBB1179_113
	s_branch .LBB1179_121
.LBB1179_112:
                                        ; implicit-def: $sgpr2_sgpr3
                                        ; implicit-def: $vgpr83
                                        ; implicit-def: $vgpr82
                                        ; implicit-def: $vgpr84
                                        ; implicit-def: $vgpr85
                                        ; implicit-def: $vgpr12_vgpr13
                                        ; implicit-def: $vgpr72_vgpr73
                                        ; implicit-def: $vgpr64_vgpr65
                                        ; implicit-def: $vgpr122
                                        ; implicit-def: $vgpr56_vgpr57
                                        ; implicit-def: $vgpr48_vgpr49
                                        ; implicit-def: $vgpr40_vgpr41
                                        ; implicit-def: $vgpr124
                                        ; implicit-def: $vgpr32_vgpr33
                                        ; implicit-def: $vgpr24_vgpr25
                                        ; implicit-def: $vgpr123
                                        ; implicit-def: $vgpr16_vgpr17
                                        ; implicit-def: $vgpr8_vgpr9
                                        ; implicit-def: $vgpr4_vgpr5
                                        ; implicit-def: $vgpr1
                                        ; implicit-def: $vgpr128
                                        ; implicit-def: $vgpr127
                                        ; implicit-def: $vgpr126
                                        ; implicit-def: $vgpr125
                                        ; implicit-def: $sgpr63
                                        ; implicit-def: $sgpr8_sgpr9
                                        ; implicit-def: $vgpr78_vgpr79
                                        ; implicit-def: $vgpr74_vgpr75
                                        ; implicit-def: $vgpr66_vgpr67
                                        ; implicit-def: $vgpr58_vgpr59
                                        ; implicit-def: $vgpr50_vgpr51
                                        ; implicit-def: $vgpr42_vgpr43
                                        ; implicit-def: $vgpr34_vgpr35
                                        ; implicit-def: $vgpr26_vgpr27
                                        ; implicit-def: $vgpr18_vgpr19
	s_and_b64 vcc, exec, s[10:11]
	s_cbranch_vccz .LBB1179_121
.LBB1179_113:
	v_lshlrev_b32_e32 v1, 2, v0
	s_waitcnt lgkmcnt(0)
	v_mov_b32_e32 v3, s49
	v_add_co_u32_e32 v2, vcc, s48, v1
	v_addc_co_u32_e32 v3, vcc, 0, v3, vcc
	s_movk_i32 s2, 0x1000
	flat_load_dword v4, v[2:3]
	flat_load_dword v5, v[2:3] offset:256
	flat_load_dword v6, v[2:3] offset:512
	;; [unrolled: 1-line block ×15, first 2 shown]
	v_add_co_u32_e32 v2, vcc, s2, v2
	v_addc_co_u32_e32 v3, vcc, 0, v3, vcc
	flat_load_dword v20, v[2:3]
	flat_load_dword v21, v[2:3] offset:256
	flat_load_dword v22, v[2:3] offset:512
	flat_load_dword v24, v[2:3] offset:768
	flat_load_dword v25, v[2:3] offset:1024
	s_movk_i32 s2, 0x50
	v_mad_u32_u24 v23, v0, s2, v1
	s_cmp_eq_u64 s[52:53], 0
	s_waitcnt vmcnt(0) lgkmcnt(0)
	ds_write2st64_b32 v1, v4, v5 offset1:1
	ds_write2st64_b32 v1, v6, v7 offset0:2 offset1:3
	ds_write2st64_b32 v1, v8, v9 offset0:4 offset1:5
	;; [unrolled: 1-line block ×9, first 2 shown]
	ds_write_b32 v1, v25 offset:5120
	s_waitcnt lgkmcnt(0)
	; wave barrier
	s_waitcnt lgkmcnt(0)
	ds_read2_b32 v[8:9], v23 offset0:7 offset1:8
	ds_read2_b32 v[6:7], v23 offset0:5 offset1:6
	;; [unrolled: 1-line block ×3, first 2 shown]
	ds_read2_b32 v[10:11], v23 offset1:1
	ds_read2_b32 v[4:5], v23 offset0:4 offset1:9
	ds_read2_b32 v[16:17], v23 offset0:15 offset1:16
	ds_read_b32 v22, v23 offset:56
	ds_read2_b32 v[14:15], v23 offset0:12 offset1:13
	ds_read2_b32 v[12:13], v23 offset0:10 offset1:11
	;; [unrolled: 1-line block ×4, first 2 shown]
	s_cbranch_scc1 .LBB1179_118
; %bb.114:
	s_andn2_b64 vcc, exec, s[50:51]
	s_cbranch_vccnz .LBB1179_272
; %bb.115:
	s_lshl_b64 s[2:3], s[52:53], 2
	s_add_u32 s2, s94, s2
	s_addc_u32 s3, s95, s3
	s_add_u32 s2, s2, -4
	s_addc_u32 s3, s3, -1
	s_cbranch_execnz .LBB1179_117
.LBB1179_116:
	s_add_u32 s2, s48, -4
	s_addc_u32 s3, s49, -1
.LBB1179_117:
	s_mov_b64 s[48:49], s[2:3]
.LBB1179_118:
	v_pk_mov_b32 v[24:25], s[48:49], s[48:49] op_sel:[0,1]
	flat_load_dword v1, v[24:25]
	s_movk_i32 s2, 0xffb0
	v_mad_i32_i24 v23, v0, s2, v23
	v_cmp_ne_u32_e32 vcc, 0, v0
	s_waitcnt lgkmcnt(0)
	ds_write_b32 v23, v21 offset:5376
	s_waitcnt lgkmcnt(0)
	; wave barrier
	s_waitcnt lgkmcnt(0)
	s_and_saveexec_b64 s[2:3], vcc
	s_cbranch_execz .LBB1179_120
; %bb.119:
	s_waitcnt vmcnt(0)
	ds_read_b32 v1, v23 offset:5372
.LBB1179_120:
	s_or_b64 exec, exec, s[2:3]
	v_lshlrev_b32_e32 v24, 3, v0
	v_mov_b32_e32 v25, s62
	v_add_co_u32_e32 v24, vcc, s7, v24
	v_addc_co_u32_e32 v25, vcc, 0, v25, vcc
	s_movk_i32 s2, 0x1000
	v_add_co_u32_e32 v42, vcc, s2, v24
	v_addc_co_u32_e32 v43, vcc, 0, v25, vcc
	s_movk_i32 s2, 0x2000
	s_waitcnt lgkmcnt(0)
	; wave barrier
	s_waitcnt lgkmcnt(0)
	flat_load_dwordx2 v[26:27], v[24:25]
	flat_load_dwordx2 v[28:29], v[24:25] offset:512
	flat_load_dwordx2 v[30:31], v[24:25] offset:1024
	;; [unrolled: 1-line block ×7, first 2 shown]
	v_add_co_u32_e32 v24, vcc, s2, v24
	v_addc_co_u32_e32 v25, vcc, 0, v25, vcc
	flat_load_dwordx2 v[44:45], v[42:43]
	flat_load_dwordx2 v[46:47], v[42:43] offset:512
	flat_load_dwordx2 v[48:49], v[42:43] offset:1024
	;; [unrolled: 1-line block ×7, first 2 shown]
	s_nop 0
	flat_load_dwordx2 v[42:43], v[24:25]
	flat_load_dwordx2 v[60:61], v[24:25] offset:512
	flat_load_dwordx2 v[62:63], v[24:25] offset:1024
	;; [unrolled: 1-line block ×4, first 2 shown]
	v_cmp_ne_u32_e32 vcc, v17, v18
	v_cmp_ne_u32_e64 s[2:3], v20, v21
	v_cndmask_b32_e64 v21, 0, 1, vcc
	v_cmp_ne_u32_e32 vcc, v16, v17
	v_cndmask_b32_e64 v17, 0, 1, vcc
	v_cmp_ne_u32_e32 vcc, v19, v20
	;; [unrolled: 2-line block ×6, first 2 shown]
	v_lshlrev_b16_e32 v16, 8, v16
	v_cndmask_b32_e64 v13, 0, 1, vcc
	v_cmp_ne_u32_e32 vcc, v15, v22
	v_or_b32_e32 v13, v13, v16
	v_cndmask_b32_e64 v16, 0, 1, vcc
	v_cmp_ne_u32_e32 vcc, v14, v15
	v_cndmask_b32_e64 v14, 0, 1, vcc
	v_cmp_ne_u32_e32 vcc, v5, v12
	;; [unrolled: 2-line block ×6, first 2 shown]
	v_lshlrev_b16_e32 v12, 8, v12
	v_lshlrev_b16_e32 v5, 8, v5
	v_cndmask_b32_e64 v8, 0, 1, vcc
	v_cmp_ne_u32_e32 vcc, v4, v6
	v_or_b32_e32 v7, v7, v12
	v_or_b32_sdwa v5, v8, v5 dst_sel:WORD_1 dst_unused:UNUSED_PAD src0_sel:DWORD src1_sel:DWORD
	v_cndmask_b32_e64 v123, 0, 1, vcc
	v_cmp_ne_u32_e32 vcc, v11, v2
	v_or_b32_sdwa v82, v7, v5 dst_sel:DWORD dst_unused:UNUSED_PAD src0_sel:WORD_0 src1_sel:DWORD
	v_cndmask_b32_e64 v5, 0, 1, vcc
	v_cmp_ne_u32_e32 vcc, v10, v11
	v_cndmask_b32_e64 v6, 0, 1, vcc
	v_cmp_ne_u32_e32 vcc, v3, v4
	v_lshlrev_b16_e32 v21, 8, v21
	v_lshlrev_b16_e32 v20, 8, v20
	v_cndmask_b32_e64 v4, 0, 1, vcc
	v_cmp_ne_u32_e32 vcc, v2, v3
	v_or_b32_e32 v17, v17, v21
	v_or_b32_sdwa v18, v18, v20 dst_sel:WORD_1 dst_unused:UNUSED_PAD src0_sel:DWORD src1_sel:DWORD
	v_lshlrev_b16_e32 v4, 8, v4
	v_cndmask_b32_e64 v2, 0, 1, vcc
	v_or_b32_sdwa v85, v17, v18 dst_sel:DWORD dst_unused:UNUSED_PAD src0_sel:WORD_0 src1_sel:DWORD
	v_lshlrev_b16_e32 v16, 8, v16
	v_or_b32_sdwa v18, v2, v4 dst_sel:WORD_1 dst_unused:UNUSED_PAD src0_sel:DWORD src1_sel:DWORD
	v_lshl_add_u32 v2, v0, 2, v23
	s_movk_i32 s4, 0xa0
	v_or_b32_sdwa v14, v14, v16 dst_sel:WORD_1 dst_unused:UNUSED_PAD src0_sel:DWORD src1_sel:DWORD
	v_lshlrev_b16_e32 v5, 8, v5
	v_mad_u32_u24 v12, v0, s4, v2
	v_or_b32_sdwa v84, v13, v14 dst_sel:DWORD dst_unused:UNUSED_PAD src0_sel:WORD_0 src1_sel:DWORD
	v_or_b32_e32 v11, v6, v5
	s_waitcnt vmcnt(0)
	v_cmp_ne_u32_e32 vcc, v1, v10
	v_or_b32_sdwa v83, v11, v18 dst_sel:DWORD dst_unused:UNUSED_PAD src0_sel:WORD_0 src1_sel:DWORD
	v_cndmask_b32_e64 v1, 0, 1, vcc
	s_mov_b64 s[4:5], -1
                                        ; implicit-def: $vgpr128
                                        ; implicit-def: $vgpr127
                                        ; implicit-def: $vgpr126
                                        ; implicit-def: $vgpr125
                                        ; implicit-def: $sgpr63
                                        ; implicit-def: $sgpr8_sgpr9
                                        ; implicit-def: $vgpr78_vgpr79
                                        ; implicit-def: $vgpr74_vgpr75
                                        ; implicit-def: $vgpr18_vgpr19
	s_waitcnt lgkmcnt(0)
	ds_write2st64_b64 v2, v[26:27], v[28:29] offset1:1
	ds_write2st64_b64 v2, v[30:31], v[32:33] offset0:2 offset1:3
	ds_write2st64_b64 v2, v[34:35], v[36:37] offset0:4 offset1:5
	;; [unrolled: 1-line block ×9, first 2 shown]
	ds_write_b64 v2, v[66:67] offset:10240
	s_waitcnt lgkmcnt(0)
	; wave barrier
	s_waitcnt lgkmcnt(0)
	ds_read2_b64 v[2:5], v12 offset1:1
	ds_read2_b64 v[6:9], v12 offset0:2 offset1:3
	ds_read2_b64 v[14:17], v12 offset0:4 offset1:5
	ds_read2_b64 v[22:25], v12 offset0:6 offset1:7
	ds_read2_b64 v[30:33], v12 offset0:8 offset1:9
	ds_read2_b64 v[38:41], v12 offset0:10 offset1:11
	ds_read2_b64 v[46:49], v12 offset0:12 offset1:13
	ds_read2_b64 v[54:57], v12 offset0:14 offset1:15
	ds_read2_b64 v[62:65], v12 offset0:16 offset1:17
	ds_read2_b64 v[70:73], v12 offset0:18 offset1:19
	ds_read_b64 v[12:13], v12 offset:160
                                        ; implicit-def: $vgpr66_vgpr67
                                        ; implicit-def: $vgpr58_vgpr59
                                        ; implicit-def: $vgpr50_vgpr51
                                        ; implicit-def: $vgpr42_vgpr43
                                        ; implicit-def: $vgpr34_vgpr35
                                        ; implicit-def: $vgpr26_vgpr27
.LBB1179_121:
	s_waitcnt lgkmcnt(0)
	v_pk_mov_b32 v[20:21], s[8:9], s[8:9] op_sel:[0,1]
	v_mov_b32_e32 v28, s63
	s_and_saveexec_b64 s[8:9], s[4:5]
	s_cbranch_execz .LBB1179_123
; %bb.122:
	v_cndmask_b32_e64 v28, 0, 1, s[2:3]
	v_pk_mov_b32 v[18:19], v[4:5], v[4:5] op_sel:[0,1]
	v_pk_mov_b32 v[26:27], v[8:9], v[8:9] op_sel:[0,1]
	;; [unrolled: 1-line block ×11, first 2 shown]
	v_mov_b32_e32 v125, v85
	v_mov_b32_e32 v126, v84
	;; [unrolled: 1-line block ×4, first 2 shown]
.LBB1179_123:
	s_or_b64 exec, exec, s[8:9]
	v_and_b32_e32 v129, 1, v123
	v_and_b32_e32 v40, 1, v124
	;; [unrolled: 1-line block ×4, first 2 shown]
	s_cmp_lg_u32 s6, 0
	v_lshrrev_b32_e32 v130, 8, v128
	v_cmp_eq_u32_e32 vcc, 1, v129
	v_lshrrev_b32_e32 v41, 8, v127
	v_cmp_eq_u32_e64 s[44:45], 1, v40
	v_lshrrev_b32_e32 v37, 8, v126
	v_cmp_eq_u32_e64 s[46:47], 1, v33
	v_lshrrev_b32_e32 v36, 8, v125
	v_cmp_eq_u32_e64 s[50:51], 1, v32
	v_mbcnt_lo_u32_b32 v29, -1, 0
	s_waitcnt lgkmcnt(0)
	; wave barrier
	s_cbranch_scc0 .LBB1179_182
; %bb.124:
	v_mov_b32_e32 v4, 0
	v_cmp_eq_u16_sdwa s[2:3], v128, v4 src0_sel:BYTE_0 src1_sel:DWORD
	v_cndmask_b32_e64 v9, 0, v2, s[2:3]
	v_cndmask_b32_e64 v5, 0, v3, s[2:3]
	v_add_co_u32_e64 v9, s[4:5], v9, v18
	v_addc_co_u32_e64 v5, s[4:5], v5, v19, s[4:5]
	v_and_b32_e32 v12, 1, v128
	s_movk_i32 s7, 0xff
	v_cmp_eq_u32_e64 s[48:49], 1, v12
	v_cmp_eq_u16_sdwa s[4:5], v130, v4 src0_sel:BYTE_0 src1_sel:DWORD
	v_and_b32_e32 v12, 0x100, v128
	v_cndmask_b32_e64 v9, 0, v9, s[4:5]
	v_cmp_ne_u32_e64 s[52:53], 0, v12
	v_and_b32_sdwa v12, v128, s7 dst_sel:DWORD dst_unused:UNUSED_PAD src0_sel:WORD_1 src1_sel:DWORD
	v_cndmask_b32_e64 v5, 0, v5, s[4:5]
	v_add_co_u32_e64 v9, s[8:9], v9, v6
	v_cmp_eq_u16_e64 s[62:63], 0, v12
	v_addc_co_u32_e64 v5, s[8:9], v5, v7, s[8:9]
	v_cndmask_b32_e64 v9, 0, v9, s[62:63]
	v_cndmask_b32_e64 v5, 0, v5, s[62:63]
	v_add_co_u32_e64 v9, s[8:9], v9, v26
	v_addc_co_u32_e64 v5, s[8:9], v5, v27, s[8:9]
	v_cmp_eq_u16_sdwa s[8:9], v128, v4 src0_sel:BYTE_3 src1_sel:DWORD
	v_cndmask_b32_e64 v9, 0, v9, s[8:9]
	v_cndmask_b32_e64 v5, 0, v5, s[8:9]
	v_add_co_u32_e64 v9, s[10:11], v9, v14
	v_cmp_eq_u16_sdwa s[12:13], v123, v4 src0_sel:BYTE_0 src1_sel:DWORD
	v_addc_co_u32_e64 v5, s[10:11], v5, v15, s[10:11]
	v_cndmask_b32_e64 v9, 0, v9, s[12:13]
	v_cndmask_b32_e64 v5, 0, v5, s[12:13]
	v_add_co_u32_e64 v9, s[10:11], v9, v34
	v_addc_co_u32_e64 v5, s[10:11], v5, v35, s[10:11]
	v_cmp_eq_u16_sdwa s[10:11], v127, v4 src0_sel:BYTE_0 src1_sel:DWORD
	v_cndmask_b32_e64 v9, 0, v9, s[10:11]
	v_cndmask_b32_e64 v5, 0, v5, s[10:11]
	v_add_co_u32_e64 v9, s[14:15], v9, v22
	v_and_b32_e32 v12, 0x10000, v128
	v_addc_co_u32_e64 v5, s[14:15], v5, v23, s[14:15]
	v_cmp_ne_u32_e64 s[54:55], 0, v12
	v_and_b32_e32 v12, 0x1000000, v128
	v_cmp_eq_u16_sdwa s[14:15], v41, v4 src0_sel:BYTE_0 src1_sel:DWORD
	v_cmp_ne_u32_e64 s[56:57], 0, v12
	v_and_b32_e32 v12, 1, v127
	v_cndmask_b32_e64 v9, 0, v9, s[14:15]
	s_mov_b64 s[94:95], s[58:59]
	v_cmp_eq_u32_e64 s[58:59], 1, v12
	v_cndmask_b32_e64 v5, 0, v5, s[14:15]
	v_add_co_u32_e64 v9, s[16:17], v9, v42
	v_and_b32_e32 v12, 0x100, v127
	v_addc_co_u32_e64 v5, s[16:17], v5, v43, s[16:17]
	v_cmp_ne_u32_e64 s[60:61], 0, v12
	v_and_b32_sdwa v12, v127, s7 dst_sel:DWORD dst_unused:UNUSED_PAD src0_sel:WORD_1 src1_sel:DWORD
	v_cmp_eq_u16_e64 s[16:17], 0, v12
	v_cndmask_b32_e64 v9, 0, v9, s[16:17]
	v_cndmask_b32_e64 v5, 0, v5, s[16:17]
	v_add_co_u32_e64 v9, s[18:19], v9, v30
	v_addc_co_u32_e64 v5, s[18:19], v5, v31, s[18:19]
	v_cmp_eq_u16_sdwa s[18:19], v127, v4 src0_sel:BYTE_3 src1_sel:DWORD
	v_cndmask_b32_e64 v9, 0, v9, s[18:19]
	v_cndmask_b32_e64 v5, 0, v5, s[18:19]
	v_add_co_u32_e64 v9, s[20:21], v9, v50
	v_cmp_eq_u16_sdwa s[22:23], v124, v4 src0_sel:BYTE_0 src1_sel:DWORD
	v_addc_co_u32_e64 v5, s[20:21], v5, v51, s[20:21]
	v_cndmask_b32_e64 v9, 0, v9, s[22:23]
	v_cndmask_b32_e64 v5, 0, v5, s[22:23]
	v_add_co_u32_e64 v9, s[20:21], v9, v38
	v_writelane_b32 v131, s68, 2
	v_addc_co_u32_e64 v5, s[20:21], v5, v39, s[20:21]
	v_writelane_b32 v131, s69, 3
	v_cmp_eq_u16_sdwa s[20:21], v126, v4 src0_sel:BYTE_0 src1_sel:DWORD
	v_writelane_b32 v131, s70, 4
	v_cndmask_b32_e64 v9, 0, v9, s[20:21]
	v_writelane_b32 v131, s71, 5
	v_cndmask_b32_e64 v5, 0, v5, s[20:21]
	v_add_co_u32_e64 v9, s[24:25], v9, v58
	v_writelane_b32 v131, s72, 6
	v_and_b32_e32 v12, 0x10000, v127
	v_addc_co_u32_e64 v5, s[24:25], v5, v59, s[24:25]
	v_writelane_b32 v131, s73, 7
	v_cmp_ne_u32_e64 s[64:65], 0, v12
	v_and_b32_e32 v12, 0x1000000, v127
	v_cmp_eq_u16_sdwa s[24:25], v37, v4 src0_sel:BYTE_0 src1_sel:DWORD
	v_writelane_b32 v131, s74, 8
	v_cmp_ne_u32_e64 s[66:67], 0, v12
	v_and_b32_e32 v12, 1, v126
	v_cndmask_b32_e64 v9, 0, v9, s[24:25]
	v_writelane_b32 v131, s75, 9
	v_cmp_eq_u32_e64 s[68:69], 1, v12
	v_cndmask_b32_e64 v5, 0, v5, s[24:25]
	v_add_co_u32_e64 v9, s[26:27], v9, v46
	v_and_b32_e32 v12, 0x100, v126
	v_addc_co_u32_e64 v5, s[26:27], v5, v47, s[26:27]
	v_cmp_ne_u32_e64 s[70:71], 0, v12
	v_and_b32_sdwa v12, v126, s7 dst_sel:DWORD dst_unused:UNUSED_PAD src0_sel:WORD_1 src1_sel:DWORD
	v_cmp_eq_u16_e64 s[26:27], 0, v12
	v_cndmask_b32_e64 v9, 0, v9, s[26:27]
	v_cndmask_b32_e64 v5, 0, v5, s[26:27]
	v_add_co_u32_e64 v9, s[28:29], v9, v66
	v_addc_co_u32_e64 v5, s[28:29], v5, v67, s[28:29]
	v_cmp_eq_u16_sdwa s[28:29], v126, v4 src0_sel:BYTE_3 src1_sel:DWORD
	v_cndmask_b32_e64 v9, 0, v9, s[28:29]
	v_cndmask_b32_e64 v5, 0, v5, s[28:29]
	v_add_co_u32_e64 v9, s[30:31], v9, v54
	v_cmp_eq_u16_sdwa s[34:35], v122, v4 src0_sel:BYTE_0 src1_sel:DWORD
	v_addc_co_u32_e64 v5, s[30:31], v5, v55, s[30:31]
	v_cndmask_b32_e64 v9, 0, v9, s[34:35]
	v_cndmask_b32_e64 v5, 0, v5, s[34:35]
	v_add_co_u32_e64 v9, s[30:31], v9, v74
	v_addc_co_u32_e64 v5, s[30:31], v5, v75, s[30:31]
	v_cmp_eq_u16_sdwa s[30:31], v125, v4 src0_sel:BYTE_0 src1_sel:DWORD
	v_cndmask_b32_e64 v9, 0, v9, s[30:31]
	v_cndmask_b32_e64 v5, 0, v5, s[30:31]
	v_add_co_u32_e64 v9, s[36:37], v9, v62
	v_and_b32_e32 v12, 0x10000, v126
	v_addc_co_u32_e64 v5, s[36:37], v5, v63, s[36:37]
	v_cmp_ne_u32_e64 s[72:73], 0, v12
	v_and_b32_e32 v12, 0x1000000, v126
	v_cmp_eq_u16_sdwa s[36:37], v36, v4 src0_sel:BYTE_0 src1_sel:DWORD
	v_cmp_ne_u32_e64 s[74:75], 0, v12
	v_and_b32_e32 v12, 1, v125
	v_cndmask_b32_e64 v9, 0, v9, s[36:37]
	v_cmp_eq_u32_e64 s[76:77], 1, v12
	v_cndmask_b32_e64 v5, 0, v5, s[36:37]
	v_add_co_u32_e64 v9, s[38:39], v9, v78
	v_and_b32_e32 v12, 0x100, v125
	v_addc_co_u32_e64 v5, s[38:39], v5, v79, s[38:39]
	v_cmp_ne_u32_e64 s[78:79], 0, v12
	v_and_b32_sdwa v12, v125, s7 dst_sel:DWORD dst_unused:UNUSED_PAD src0_sel:WORD_1 src1_sel:DWORD
	v_cmp_eq_u16_e64 s[38:39], 0, v12
	v_and_b32_e32 v12, 0x10000, v125
	v_cmp_ne_u32_e64 s[80:81], 0, v12
	v_and_b32_e32 v12, 0x1000000, v125
	v_cmp_ne_u32_e64 s[82:83], 0, v12
	s_or_b64 s[50:51], s[50:51], s[82:83]
	s_or_b64 s[50:51], s[50:51], s[80:81]
	;; [unrolled: 1-line block ×9, first 2 shown]
	v_cndmask_b32_e64 v9, 0, v9, s[38:39]
	s_or_b64 s[44:45], s[46:47], s[44:45]
	v_cndmask_b32_e64 v5, 0, v5, s[38:39]
	v_add_co_u32_e64 v9, s[40:41], v9, v70
	s_or_b64 s[44:45], s[44:45], s[66:67]
	v_addc_co_u32_e64 v5, s[40:41], v5, v71, s[40:41]
	s_or_b64 s[44:45], s[44:45], s[64:65]
	v_cmp_eq_u16_sdwa s[40:41], v125, v4 src0_sel:BYTE_3 src1_sel:DWORD
	s_or_b64 s[44:45], s[44:45], s[60:61]
	v_cndmask_b32_e64 v9, 0, v9, s[40:41]
	s_or_b64 s[44:45], s[44:45], s[58:59]
	v_cndmask_b32_e64 v5, 0, v5, s[40:41]
	v_add_co_u32_e64 v9, s[42:43], v9, v10
	s_or_b64 s[44:45], s[44:45], vcc
	v_addc_co_u32_e64 v5, s[42:43], v5, v11, s[42:43]
	s_or_b64 s[44:45], s[44:45], s[56:57]
	v_cmp_eq_u16_sdwa s[42:43], v28, v4 src0_sel:BYTE_0 src1_sel:DWORD
	s_or_b64 s[44:45], s[44:45], s[54:55]
	v_cndmask_b32_e64 v4, 0, v9, s[42:43]
	s_or_b64 s[44:45], s[44:45], s[52:53]
	v_and_b32_e32 v8, 0xff, v1
	v_cndmask_b32_e64 v5, 0, v5, s[42:43]
	v_add_co_u32_e64 v4, s[84:85], v4, v20
	s_or_b64 s[44:45], s[44:45], s[48:49]
	v_mbcnt_hi_u32_b32 v9, -1, v29
	v_addc_co_u32_e64 v5, s[84:85], v5, v21, s[84:85]
	v_cndmask_b32_e64 v8, v8, 1, s[44:45]
	v_and_b32_e32 v12, 15, v9
	v_mov_b32_dpp v16, v4 row_shr:1 row_mask:0xf bank_mask:0xf
	v_mov_b32_dpp v17, v5 row_shr:1 row_mask:0xf bank_mask:0xf
	v_mov_b32_dpp v13, v8 row_shr:1 row_mask:0xf bank_mask:0xf
	v_cmp_ne_u32_e32 vcc, 0, v12
	s_and_saveexec_b64 s[44:45], vcc
; %bb.125:
	v_cmp_eq_u32_e32 vcc, 0, v8
	v_cndmask_b32_e32 v16, 0, v16, vcc
	v_cndmask_b32_e32 v17, 0, v17, vcc
	v_add_co_u32_e32 v4, vcc, v16, v4
	v_addc_co_u32_e32 v5, vcc, v17, v5, vcc
	v_and_or_b32 v8, v13, 1, v8
; %bb.126:
	s_or_b64 exec, exec, s[44:45]
	v_mov_b32_dpp v16, v4 row_shr:2 row_mask:0xf bank_mask:0xf
	v_mov_b32_dpp v17, v5 row_shr:2 row_mask:0xf bank_mask:0xf
	;; [unrolled: 1-line block ×3, first 2 shown]
	v_cmp_lt_u32_e32 vcc, 1, v12
	s_and_saveexec_b64 s[44:45], vcc
; %bb.127:
	v_cmp_eq_u32_e32 vcc, 0, v8
	v_cndmask_b32_e32 v16, 0, v16, vcc
	v_cndmask_b32_e32 v17, 0, v17, vcc
	v_add_co_u32_e32 v4, vcc, v16, v4
	v_or_b32_e32 v8, v13, v8
	v_addc_co_u32_e32 v5, vcc, v17, v5, vcc
	v_and_b32_e32 v8, 1, v8
; %bb.128:
	s_or_b64 exec, exec, s[44:45]
	v_mov_b32_dpp v16, v4 row_shr:4 row_mask:0xf bank_mask:0xf
	v_mov_b32_dpp v17, v5 row_shr:4 row_mask:0xf bank_mask:0xf
	;; [unrolled: 1-line block ×3, first 2 shown]
	v_cmp_lt_u32_e32 vcc, 3, v12
	s_and_saveexec_b64 s[44:45], vcc
	v_readlane_b32 s68, v131, 2
	s_mov_b64 s[58:59], s[94:95]
	v_readlane_b32 s69, v131, 3
	v_readlane_b32 s70, v131, 4
	;; [unrolled: 1-line block ×7, first 2 shown]
; %bb.129:
	v_cmp_eq_u32_e32 vcc, 0, v8
	v_cndmask_b32_e32 v16, 0, v16, vcc
	v_cndmask_b32_e32 v17, 0, v17, vcc
	v_add_co_u32_e32 v4, vcc, v16, v4
	v_or_b32_e32 v8, v13, v8
	v_addc_co_u32_e32 v5, vcc, v17, v5, vcc
	v_and_b32_e32 v8, 1, v8
; %bb.130:
	s_or_b64 exec, exec, s[44:45]
	v_mov_b32_dpp v16, v4 row_shr:8 row_mask:0xf bank_mask:0xf
	v_mov_b32_dpp v17, v5 row_shr:8 row_mask:0xf bank_mask:0xf
	;; [unrolled: 1-line block ×3, first 2 shown]
	v_cmp_lt_u32_e32 vcc, 7, v12
	s_and_saveexec_b64 s[44:45], vcc
; %bb.131:
	v_cmp_eq_u32_e32 vcc, 0, v8
	v_cndmask_b32_e32 v16, 0, v16, vcc
	v_cndmask_b32_e32 v12, 0, v17, vcc
	v_add_co_u32_e32 v4, vcc, v16, v4
	v_or_b32_e32 v8, v13, v8
	v_addc_co_u32_e32 v5, vcc, v12, v5, vcc
	v_and_b32_e32 v8, 1, v8
; %bb.132:
	s_or_b64 exec, exec, s[44:45]
	v_and_b32_e32 v17, 16, v9
	v_mov_b32_dpp v13, v4 row_bcast:15 row_mask:0xf bank_mask:0xf
	v_mov_b32_dpp v16, v5 row_bcast:15 row_mask:0xf bank_mask:0xf
	;; [unrolled: 1-line block ×3, first 2 shown]
	v_cmp_ne_u32_e32 vcc, 0, v17
	s_and_saveexec_b64 s[44:45], vcc
; %bb.133:
	v_cmp_eq_u32_e32 vcc, 0, v8
	v_cndmask_b32_e32 v13, 0, v13, vcc
	v_cndmask_b32_e32 v16, 0, v16, vcc
	v_add_co_u32_e32 v4, vcc, v13, v4
	v_or_b32_e32 v8, v12, v8
	v_addc_co_u32_e32 v5, vcc, v16, v5, vcc
	v_and_b32_e32 v8, 1, v8
; %bb.134:
	s_or_b64 exec, exec, s[44:45]
	v_mov_b32_dpp v16, v4 row_bcast:31 row_mask:0xf bank_mask:0xf
	v_mov_b32_dpp v17, v5 row_bcast:31 row_mask:0xf bank_mask:0xf
	;; [unrolled: 1-line block ×3, first 2 shown]
	v_cmp_lt_u32_e32 vcc, 31, v9
	v_mov_b32_e32 v12, v8
	s_and_saveexec_b64 s[44:45], vcc
; %bb.135:
	v_cmp_eq_u32_e32 vcc, 0, v8
	v_cndmask_b32_e32 v16, 0, v16, vcc
	v_cndmask_b32_e32 v12, 0, v17, vcc
	v_add_co_u32_e32 v4, vcc, v16, v4
	v_or_b32_e32 v8, v13, v8
	v_addc_co_u32_e32 v5, vcc, v12, v5, vcc
	v_and_b32_e32 v12, 1, v8
	v_and_b32_e32 v8, 1, v8
; %bb.136:
	s_or_b64 exec, exec, s[44:45]
	v_cmp_eq_u32_e32 vcc, 63, v0
	s_and_saveexec_b64 s[44:45], vcc
	s_cbranch_execz .LBB1179_138
; %bb.137:
	v_mov_b32_e32 v13, 0
	ds_write_b64 v13, v[4:5]
	ds_write_b8 v13, v12 offset:8
.LBB1179_138:
	s_or_b64 exec, exec, s[44:45]
	v_add_u32_e32 v12, -1, v9
	v_and_b32_e32 v13, 64, v9
	v_cmp_lt_i32_e32 vcc, v12, v13
	v_cndmask_b32_e32 v12, v12, v9, vcc
	v_lshlrev_b32_e32 v12, 2, v12
	ds_bpermute_b32 v45, v12, v4
	ds_bpermute_b32 v48, v12, v5
	;; [unrolled: 1-line block ×3, first 2 shown]
	v_cmp_gt_u32_e32 vcc, 64, v0
	s_waitcnt lgkmcnt(0)
	; wave barrier
	s_waitcnt lgkmcnt(0)
	s_and_saveexec_b64 s[48:49], vcc
	s_cbranch_execz .LBB1179_181
; %bb.139:
	v_mov_b32_e32 v13, 0
	ds_read_b64 v[4:5], v13
	ds_read_u8 v49, v13 offset:8
	s_mov_b32 s51, 0
	v_cmp_eq_u32_e64 s[44:45], 0, v9
	s_and_saveexec_b64 s[46:47], s[44:45]
	s_cbranch_execz .LBB1179_141
; %bb.140:
	s_add_i32 s50, s6, 64
	s_lshl_b64 s[52:53], s[50:51], 4
	s_add_u32 s52, s68, s52
	s_addc_u32 s53, s69, s53
	v_mov_b32_e32 v8, s50
	v_mov_b32_e32 v12, 1
	s_waitcnt lgkmcnt(1)
	global_store_dwordx2 v13, v[4:5], s[52:53]
	s_waitcnt lgkmcnt(0)
	global_store_byte v13, v49, s[52:53] offset:8
	s_waitcnt vmcnt(0)
	buffer_wbinvl1_vol
	global_store_byte v8, v12, s[72:73]
.LBB1179_141:
	s_or_b64 exec, exec, s[46:47]
	v_xad_u32 v8, v9, -1, s6
	v_add_u32_e32 v12, 64, v8
	global_load_ubyte v52, v12, s[72:73] glc
	s_waitcnt vmcnt(0)
	v_cmp_eq_u16_e32 vcc, 0, v52
	s_and_saveexec_b64 s[46:47], vcc
	s_cbranch_execz .LBB1179_145
; %bb.142:
	v_mov_b32_e32 v17, s73
	v_add_co_u32_e32 v16, vcc, s72, v12
	v_addc_co_u32_e32 v17, vcc, 0, v17, vcc
	s_mov_b64 s[50:51], 0
.LBB1179_143:                           ; =>This Inner Loop Header: Depth=1
	global_load_ubyte v52, v[16:17], off glc
	s_waitcnt vmcnt(0)
	v_cmp_ne_u16_e32 vcc, 0, v52
	s_or_b64 s[50:51], vcc, s[50:51]
	s_andn2_b64 exec, exec, s[50:51]
	s_cbranch_execnz .LBB1179_143
; %bb.144:
	s_or_b64 exec, exec, s[50:51]
.LBB1179_145:
	s_or_b64 exec, exec, s[46:47]
	v_mov_b32_e32 v16, s71
	v_mov_b32_e32 v17, s69
	v_cmp_eq_u16_e32 vcc, 1, v52
	v_cndmask_b32_e32 v16, v16, v17, vcc
	v_mov_b32_e32 v17, s70
	v_mov_b32_e32 v24, s68
	v_cndmask_b32_e32 v17, v17, v24, vcc
	v_lshlrev_b64 v[12:13], 4, v[12:13]
	v_add_co_u32_e32 v12, vcc, v17, v12
	v_addc_co_u32_e32 v13, vcc, v16, v13, vcc
	s_waitcnt lgkmcnt(0)
	buffer_wbinvl1_vol
	global_load_dwordx2 v[24:25], v[12:13], off
	global_load_ubyte v81, v[12:13], off offset:8
	v_cmp_eq_u16_e32 vcc, 2, v52
	v_lshlrev_b64 v[12:13], v9, -1
	v_and_b32_e32 v53, 63, v9
	v_and_b32_e32 v16, vcc_hi, v13
	v_and_b32_e32 v64, vcc_lo, v12
	v_cmp_ne_u32_e32 vcc, 63, v53
	v_addc_co_u32_e32 v17, vcc, 0, v9, vcc
	v_lshlrev_b32_e32 v56, 2, v17
	v_or_b32_e32 v16, 0x80000000, v16
	v_ffbl_b32_e32 v16, v16
	v_add_u32_e32 v16, 32, v16
	v_ffbl_b32_e32 v64, v64
	v_min_u32_e32 v16, v64, v16
	v_cmp_lt_u32_e32 vcc, v53, v16
	s_waitcnt vmcnt(1)
	ds_bpermute_b32 v60, v56, v24
	s_waitcnt vmcnt(0)
	v_and_b32_e32 v17, 1, v81
	ds_bpermute_b32 v61, v56, v25
	ds_bpermute_b32 v57, v56, v17
	s_and_saveexec_b64 s[46:47], vcc
	s_cbranch_execz .LBB1179_147
; %bb.146:
	v_mov_b32_e32 v17, 0
	v_cmp_eq_u16_sdwa vcc, v81, v17 src0_sel:BYTE_0 src1_sel:DWORD
	s_waitcnt lgkmcnt(2)
	v_cndmask_b32_e32 v60, 0, v60, vcc
	s_waitcnt lgkmcnt(1)
	v_cndmask_b32_e32 v17, 0, v61, vcc
	v_add_co_u32_e32 v24, vcc, v60, v24
	v_addc_co_u32_e32 v25, vcc, v17, v25, vcc
	s_waitcnt lgkmcnt(0)
	v_and_b32_e32 v17, 1, v57
	v_or_b32_e32 v81, v17, v81
	v_and_b32_e32 v17, 0xff, v81
.LBB1179_147:
	s_or_b64 exec, exec, s[46:47]
	v_cmp_gt_u32_e32 vcc, 62, v53
	s_waitcnt lgkmcnt(0)
	v_cndmask_b32_e64 v57, 0, 1, vcc
	v_lshlrev_b32_e32 v57, 1, v57
	v_add_lshl_u32 v57, v57, v9, 2
	ds_bpermute_b32 v64, v57, v24
	ds_bpermute_b32 v65, v57, v25
	ds_bpermute_b32 v61, v57, v17
	v_add_u32_e32 v60, 2, v53
	v_cmp_le_u32_e32 vcc, v60, v16
	s_and_saveexec_b64 s[50:51], vcc
	s_cbranch_execz .LBB1179_149
; %bb.148:
	v_mov_b32_e32 v17, 0
	v_cmp_eq_u16_sdwa vcc, v81, v17 src0_sel:BYTE_0 src1_sel:DWORD
	s_waitcnt lgkmcnt(2)
	v_cndmask_b32_e32 v64, 0, v64, vcc
	s_waitcnt lgkmcnt(1)
	v_cndmask_b32_e32 v17, 0, v65, vcc
	v_add_co_u32_e32 v24, vcc, v64, v24
	v_addc_co_u32_e32 v25, vcc, v17, v25, vcc
	v_and_b32_e32 v17, 1, v81
	v_cmp_eq_u32_e32 vcc, 1, v17
	s_waitcnt lgkmcnt(0)
	v_and_b32_e32 v17, 1, v61
	v_cmp_eq_u32_e64 s[46:47], 1, v17
	s_or_b64 s[46:47], vcc, s[46:47]
	v_cndmask_b32_e64 v81, 0, 1, s[46:47]
	v_cndmask_b32_e64 v17, 0, 1, s[46:47]
.LBB1179_149:
	s_or_b64 exec, exec, s[50:51]
	v_cmp_gt_u32_e32 vcc, 60, v53
	s_waitcnt lgkmcnt(0)
	v_cndmask_b32_e64 v61, 0, 1, vcc
	v_lshlrev_b32_e32 v61, 2, v61
	v_add_lshl_u32 v61, v61, v9, 2
	ds_bpermute_b32 v68, v61, v24
	ds_bpermute_b32 v69, v61, v25
	ds_bpermute_b32 v65, v61, v17
	v_add_u32_e32 v64, 4, v53
	v_cmp_le_u32_e32 vcc, v64, v16
	s_and_saveexec_b64 s[50:51], vcc
	s_cbranch_execz .LBB1179_151
; %bb.150:
	v_mov_b32_e32 v17, 0
	v_cmp_eq_u16_sdwa vcc, v81, v17 src0_sel:BYTE_0 src1_sel:DWORD
	s_waitcnt lgkmcnt(2)
	v_cndmask_b32_e32 v68, 0, v68, vcc
	s_waitcnt lgkmcnt(1)
	v_cndmask_b32_e32 v17, 0, v69, vcc
	v_add_co_u32_e32 v24, vcc, v68, v24
	v_addc_co_u32_e32 v25, vcc, v17, v25, vcc
	v_and_b32_e32 v17, 1, v81
	v_cmp_eq_u32_e32 vcc, 1, v17
	s_waitcnt lgkmcnt(0)
	v_and_b32_e32 v17, 1, v65
	v_cmp_eq_u32_e64 s[46:47], 1, v17
	s_or_b64 s[46:47], vcc, s[46:47]
	v_cndmask_b32_e64 v81, 0, 1, s[46:47]
	v_cndmask_b32_e64 v17, 0, 1, s[46:47]
.LBB1179_151:
	s_or_b64 exec, exec, s[50:51]
	v_cmp_gt_u32_e32 vcc, 56, v53
	s_waitcnt lgkmcnt(0)
	v_cndmask_b32_e64 v65, 0, 1, vcc
	v_lshlrev_b32_e32 v65, 3, v65
	v_add_lshl_u32 v65, v65, v9, 2
	ds_bpermute_b32 v72, v65, v24
	ds_bpermute_b32 v73, v65, v25
	ds_bpermute_b32 v69, v65, v17
	v_add_u32_e32 v68, 8, v53
	v_cmp_le_u32_e32 vcc, v68, v16
	s_and_saveexec_b64 s[50:51], vcc
	s_cbranch_execz .LBB1179_153
; %bb.152:
	v_mov_b32_e32 v17, 0
	v_cmp_eq_u16_sdwa vcc, v81, v17 src0_sel:BYTE_0 src1_sel:DWORD
	s_waitcnt lgkmcnt(2)
	v_cndmask_b32_e32 v72, 0, v72, vcc
	s_waitcnt lgkmcnt(1)
	v_cndmask_b32_e32 v17, 0, v73, vcc
	v_add_co_u32_e32 v24, vcc, v72, v24
	v_addc_co_u32_e32 v25, vcc, v17, v25, vcc
	v_and_b32_e32 v17, 1, v81
	v_cmp_eq_u32_e32 vcc, 1, v17
	s_waitcnt lgkmcnt(0)
	v_and_b32_e32 v17, 1, v69
	v_cmp_eq_u32_e64 s[46:47], 1, v17
	s_or_b64 s[46:47], vcc, s[46:47]
	v_cndmask_b32_e64 v81, 0, 1, s[46:47]
	v_cndmask_b32_e64 v17, 0, 1, s[46:47]
.LBB1179_153:
	s_or_b64 exec, exec, s[50:51]
	v_cmp_gt_u32_e32 vcc, 48, v53
	s_waitcnt lgkmcnt(0)
	v_cndmask_b32_e64 v69, 0, 1, vcc
	v_lshlrev_b32_e32 v69, 4, v69
	v_add_lshl_u32 v69, v69, v9, 2
	ds_bpermute_b32 v76, v69, v24
	ds_bpermute_b32 v77, v69, v25
	ds_bpermute_b32 v73, v69, v17
	v_add_u32_e32 v72, 16, v53
	v_cmp_le_u32_e32 vcc, v72, v16
	s_and_saveexec_b64 s[50:51], vcc
	s_cbranch_execz .LBB1179_155
; %bb.154:
	v_mov_b32_e32 v17, 0
	v_cmp_eq_u16_sdwa vcc, v81, v17 src0_sel:BYTE_0 src1_sel:DWORD
	s_waitcnt lgkmcnt(2)
	v_cndmask_b32_e32 v76, 0, v76, vcc
	s_waitcnt lgkmcnt(1)
	v_cndmask_b32_e32 v17, 0, v77, vcc
	v_add_co_u32_e32 v24, vcc, v76, v24
	v_addc_co_u32_e32 v25, vcc, v17, v25, vcc
	v_and_b32_e32 v17, 1, v81
	v_cmp_eq_u32_e32 vcc, 1, v17
	s_waitcnt lgkmcnt(0)
	v_and_b32_e32 v17, 1, v73
	v_cmp_eq_u32_e64 s[46:47], 1, v17
	s_or_b64 s[46:47], vcc, s[46:47]
	v_cndmask_b32_e64 v81, 0, 1, s[46:47]
	v_cndmask_b32_e64 v17, 0, 1, s[46:47]
.LBB1179_155:
	s_or_b64 exec, exec, s[50:51]
	v_cmp_gt_u32_e32 vcc, 32, v53
	s_waitcnt lgkmcnt(0)
	v_cndmask_b32_e64 v73, 0, 1, vcc
	v_lshlrev_b32_e32 v73, 5, v73
	v_add_lshl_u32 v76, v73, v9, 2
	ds_bpermute_b32 v73, v76, v24
	ds_bpermute_b32 v80, v76, v25
	;; [unrolled: 1-line block ×3, first 2 shown]
	v_add_u32_e32 v77, 32, v53
	v_cmp_le_u32_e32 vcc, v77, v16
	s_and_saveexec_b64 s[50:51], vcc
	s_cbranch_execz .LBB1179_157
; %bb.156:
	v_mov_b32_e32 v16, 0
	v_cmp_eq_u16_sdwa vcc, v81, v16 src0_sel:BYTE_0 src1_sel:DWORD
	s_waitcnt lgkmcnt(2)
	v_cndmask_b32_e32 v17, 0, v73, vcc
	s_waitcnt lgkmcnt(1)
	v_cndmask_b32_e32 v16, 0, v80, vcc
	v_add_co_u32_e32 v24, vcc, v17, v24
	v_addc_co_u32_e32 v25, vcc, v16, v25, vcc
	v_and_b32_e32 v16, 1, v81
	s_waitcnt lgkmcnt(0)
	v_and_b32_e32 v9, 1, v9
	v_cmp_eq_u32_e32 vcc, 1, v16
	v_cmp_eq_u32_e64 s[46:47], 1, v9
	s_or_b64 s[46:47], vcc, s[46:47]
	v_cndmask_b32_e64 v81, 0, 1, s[46:47]
.LBB1179_157:
	s_or_b64 exec, exec, s[50:51]
	s_waitcnt lgkmcnt(0)
	v_mov_b32_e32 v9, 0
	v_mov_b32_e32 v80, 2
	s_branch .LBB1179_159
.LBB1179_158:                           ;   in Loop: Header=BB1179_159 Depth=1
	s_or_b64 exec, exec, s[52:53]
	v_cmp_eq_u16_sdwa vcc, v73, v9 src0_sel:BYTE_0 src1_sel:DWORD
	v_cndmask_b32_e32 v24, 0, v24, vcc
	v_cndmask_b32_e32 v25, 0, v25, vcc
	v_add_co_u32_e32 v24, vcc, v24, v16
	v_addc_co_u32_e32 v25, vcc, v25, v17, vcc
	v_and_b32_e32 v81, 1, v73
	v_cmp_eq_u32_e32 vcc, 1, v81
	s_or_b64 s[46:47], vcc, s[50:51]
	v_subrev_u32_e32 v8, 64, v8
	v_cndmask_b32_e64 v81, 0, 1, s[46:47]
.LBB1179_159:                           ; =>This Loop Header: Depth=1
                                        ;     Child Loop BB1179_162 Depth 2
	v_cmp_ne_u16_sdwa s[46:47], v52, v80 src0_sel:BYTE_0 src1_sel:DWORD
	v_cndmask_b32_e64 v16, 0, 1, s[46:47]
	;;#ASMSTART
	;;#ASMEND
	v_cmp_ne_u32_e32 vcc, 0, v16
	v_mov_b32_e32 v73, v81
	s_cmp_lg_u64 vcc, exec
	v_pk_mov_b32 v[16:17], v[24:25], v[24:25] op_sel:[0,1]
	s_cbranch_scc1 .LBB1179_176
; %bb.160:                              ;   in Loop: Header=BB1179_159 Depth=1
	global_load_ubyte v52, v8, s[72:73] glc
	s_waitcnt vmcnt(0)
	v_cmp_eq_u16_e32 vcc, 0, v52
	s_and_saveexec_b64 s[46:47], vcc
	s_cbranch_execz .LBB1179_164
; %bb.161:                              ;   in Loop: Header=BB1179_159 Depth=1
	v_mov_b32_e32 v25, s73
	v_add_co_u32_e32 v24, vcc, s72, v8
	v_addc_co_u32_e32 v25, vcc, 0, v25, vcc
	s_mov_b64 s[50:51], 0
.LBB1179_162:                           ;   Parent Loop BB1179_159 Depth=1
                                        ; =>  This Inner Loop Header: Depth=2
	global_load_ubyte v52, v[24:25], off glc
	s_waitcnt vmcnt(0)
	v_cmp_ne_u16_e32 vcc, 0, v52
	s_or_b64 s[50:51], vcc, s[50:51]
	s_andn2_b64 exec, exec, s[50:51]
	s_cbranch_execnz .LBB1179_162
; %bb.163:                              ;   in Loop: Header=BB1179_159 Depth=1
	s_or_b64 exec, exec, s[50:51]
.LBB1179_164:                           ;   in Loop: Header=BB1179_159 Depth=1
	s_or_b64 exec, exec, s[46:47]
	v_mov_b32_e32 v24, s71
	v_mov_b32_e32 v25, s69
	v_cmp_eq_u16_e32 vcc, 1, v52
	v_cndmask_b32_e32 v81, v24, v25, vcc
	v_mov_b32_e32 v24, s70
	v_mov_b32_e32 v25, s68
	v_cndmask_b32_e32 v82, v24, v25, vcc
	v_lshlrev_b64 v[24:25], 4, v[8:9]
	v_add_co_u32_e32 v82, vcc, v82, v24
	s_waitcnt lgkmcnt(0)
	v_addc_co_u32_e32 v83, vcc, v81, v25, vcc
	buffer_wbinvl1_vol
	global_load_dwordx2 v[24:25], v[82:83], off
	global_load_ubyte v81, v[82:83], off offset:8
	v_cmp_eq_u16_e32 vcc, 2, v52
	v_and_b32_e32 v82, vcc_hi, v13
	v_or_b32_e32 v82, 0x80000000, v82
	v_and_b32_e32 v87, vcc_lo, v12
	v_ffbl_b32_e32 v82, v82
	v_add_u32_e32 v82, 32, v82
	v_ffbl_b32_e32 v87, v87
	v_min_u32_e32 v82, v87, v82
	v_cmp_lt_u32_e32 vcc, v53, v82
	s_waitcnt vmcnt(1)
	ds_bpermute_b32 v85, v56, v24
	s_waitcnt vmcnt(0)
	v_and_b32_e32 v83, 1, v81
	ds_bpermute_b32 v86, v56, v25
	ds_bpermute_b32 v84, v56, v83
	s_and_saveexec_b64 s[46:47], vcc
	s_cbranch_execz .LBB1179_166
; %bb.165:                              ;   in Loop: Header=BB1179_159 Depth=1
	v_cmp_eq_u16_sdwa vcc, v81, v9 src0_sel:BYTE_0 src1_sel:DWORD
	s_waitcnt lgkmcnt(2)
	v_cndmask_b32_e32 v85, 0, v85, vcc
	s_waitcnt lgkmcnt(1)
	v_cndmask_b32_e32 v83, 0, v86, vcc
	v_add_co_u32_e32 v24, vcc, v85, v24
	v_addc_co_u32_e32 v25, vcc, v83, v25, vcc
	s_waitcnt lgkmcnt(0)
	v_and_b32_e32 v83, 1, v84
	v_or_b32_e32 v81, v83, v81
	v_and_b32_e32 v83, 0xff, v81
.LBB1179_166:                           ;   in Loop: Header=BB1179_159 Depth=1
	s_or_b64 exec, exec, s[46:47]
	s_waitcnt lgkmcnt(2)
	ds_bpermute_b32 v85, v57, v24
	s_waitcnt lgkmcnt(2)
	ds_bpermute_b32 v86, v57, v25
	;; [unrolled: 2-line block ×3, first 2 shown]
	v_and_b32_e32 v87, 1, v81
	v_cmp_le_u32_e32 vcc, v60, v82
	v_cmp_eq_u32_e64 s[50:51], 1, v87
	s_and_saveexec_b64 s[46:47], vcc
	s_cbranch_execz .LBB1179_168
; %bb.167:                              ;   in Loop: Header=BB1179_159 Depth=1
	v_cmp_eq_u16_sdwa vcc, v81, v9 src0_sel:BYTE_0 src1_sel:DWORD
	s_waitcnt lgkmcnt(2)
	v_cndmask_b32_e32 v83, 0, v85, vcc
	s_waitcnt lgkmcnt(1)
	v_cndmask_b32_e32 v81, 0, v86, vcc
	v_add_co_u32_e32 v24, vcc, v83, v24
	v_addc_co_u32_e32 v25, vcc, v81, v25, vcc
	s_waitcnt lgkmcnt(0)
	v_and_b32_e32 v81, 1, v84
	v_cmp_eq_u32_e32 vcc, 1, v81
	s_or_b64 s[52:53], s[50:51], vcc
	v_cndmask_b32_e64 v81, 0, 1, s[52:53]
	v_cndmask_b32_e64 v83, 0, 1, s[52:53]
	s_andn2_b64 s[50:51], s[50:51], exec
	s_and_b64 s[52:53], s[52:53], exec
	s_or_b64 s[50:51], s[50:51], s[52:53]
.LBB1179_168:                           ;   in Loop: Header=BB1179_159 Depth=1
	s_or_b64 exec, exec, s[46:47]
	s_waitcnt lgkmcnt(2)
	ds_bpermute_b32 v85, v61, v24
	s_waitcnt lgkmcnt(2)
	ds_bpermute_b32 v86, v61, v25
	s_waitcnt lgkmcnt(2)
	ds_bpermute_b32 v84, v61, v83
	v_cmp_le_u32_e32 vcc, v64, v82
	s_and_saveexec_b64 s[52:53], vcc
	s_cbranch_execz .LBB1179_170
; %bb.169:                              ;   in Loop: Header=BB1179_159 Depth=1
	v_cmp_eq_u16_sdwa vcc, v81, v9 src0_sel:BYTE_0 src1_sel:DWORD
	s_waitcnt lgkmcnt(2)
	v_cndmask_b32_e32 v85, 0, v85, vcc
	s_waitcnt lgkmcnt(1)
	v_cndmask_b32_e32 v83, 0, v86, vcc
	v_add_co_u32_e32 v24, vcc, v85, v24
	v_addc_co_u32_e32 v25, vcc, v83, v25, vcc
	v_and_b32_e32 v81, 1, v81
	v_cmp_eq_u32_e32 vcc, 1, v81
	s_waitcnt lgkmcnt(0)
	v_and_b32_e32 v81, 1, v84
	v_cmp_eq_u32_e64 s[46:47], 1, v81
	s_or_b64 s[46:47], vcc, s[46:47]
	v_cndmask_b32_e64 v81, 0, 1, s[46:47]
	v_cndmask_b32_e64 v83, 0, 1, s[46:47]
	s_andn2_b64 s[50:51], s[50:51], exec
	s_and_b64 s[46:47], s[46:47], exec
	s_or_b64 s[50:51], s[50:51], s[46:47]
.LBB1179_170:                           ;   in Loop: Header=BB1179_159 Depth=1
	s_or_b64 exec, exec, s[52:53]
	s_waitcnt lgkmcnt(2)
	ds_bpermute_b32 v85, v65, v24
	s_waitcnt lgkmcnt(2)
	ds_bpermute_b32 v86, v65, v25
	s_waitcnt lgkmcnt(2)
	ds_bpermute_b32 v84, v65, v83
	v_cmp_le_u32_e32 vcc, v68, v82
	s_and_saveexec_b64 s[52:53], vcc
	s_cbranch_execz .LBB1179_172
; %bb.171:                              ;   in Loop: Header=BB1179_159 Depth=1
	v_cmp_eq_u16_sdwa vcc, v81, v9 src0_sel:BYTE_0 src1_sel:DWORD
	s_waitcnt lgkmcnt(2)
	v_cndmask_b32_e32 v85, 0, v85, vcc
	s_waitcnt lgkmcnt(1)
	v_cndmask_b32_e32 v83, 0, v86, vcc
	v_add_co_u32_e32 v24, vcc, v85, v24
	v_addc_co_u32_e32 v25, vcc, v83, v25, vcc
	v_and_b32_e32 v81, 1, v81
	v_cmp_eq_u32_e32 vcc, 1, v81
	s_waitcnt lgkmcnt(0)
	v_and_b32_e32 v81, 1, v84
	v_cmp_eq_u32_e64 s[46:47], 1, v81
	s_or_b64 s[46:47], vcc, s[46:47]
	v_cndmask_b32_e64 v81, 0, 1, s[46:47]
	v_cndmask_b32_e64 v83, 0, 1, s[46:47]
	s_andn2_b64 s[50:51], s[50:51], exec
	s_and_b64 s[46:47], s[46:47], exec
	s_or_b64 s[50:51], s[50:51], s[46:47]
.LBB1179_172:                           ;   in Loop: Header=BB1179_159 Depth=1
	;; [unrolled: 30-line block ×3, first 2 shown]
	s_or_b64 exec, exec, s[52:53]
	s_waitcnt lgkmcnt(0)
	ds_bpermute_b32 v84, v76, v24
	ds_bpermute_b32 v85, v76, v25
	;; [unrolled: 1-line block ×3, first 2 shown]
	v_cmp_le_u32_e32 vcc, v77, v82
	s_and_saveexec_b64 s[52:53], vcc
	s_cbranch_execz .LBB1179_158
; %bb.175:                              ;   in Loop: Header=BB1179_159 Depth=1
	v_cmp_eq_u16_sdwa vcc, v81, v9 src0_sel:BYTE_0 src1_sel:DWORD
	s_waitcnt lgkmcnt(2)
	v_cndmask_b32_e32 v84, 0, v84, vcc
	s_waitcnt lgkmcnt(1)
	v_cndmask_b32_e32 v82, 0, v85, vcc
	v_add_co_u32_e32 v24, vcc, v84, v24
	v_addc_co_u32_e32 v25, vcc, v82, v25, vcc
	v_and_b32_e32 v81, 1, v81
	v_cmp_eq_u32_e32 vcc, 1, v81
	s_waitcnt lgkmcnt(0)
	v_and_b32_e32 v81, 1, v83
	v_cmp_eq_u32_e64 s[46:47], 1, v81
	s_or_b64 s[46:47], vcc, s[46:47]
	s_andn2_b64 s[50:51], s[50:51], exec
	s_and_b64 s[46:47], s[46:47], exec
	s_or_b64 s[50:51], s[50:51], s[46:47]
	s_branch .LBB1179_158
.LBB1179_176:                           ;   in Loop: Header=BB1179_159 Depth=1
                                        ; implicit-def: $vgpr81
                                        ; implicit-def: $vgpr24_vgpr25
                                        ; implicit-def: $vgpr52
	s_cbranch_execz .LBB1179_159
; %bb.177:
	s_and_saveexec_b64 s[46:47], s[44:45]
	s_cbranch_execz .LBB1179_179
; %bb.178:
	v_mov_b32_e32 v8, 0
	s_mov_b32 s7, 0
	v_cmp_eq_u16_sdwa vcc, v49, v8 src0_sel:BYTE_0 src1_sel:DWORD
	s_add_i32 s6, s6, 64
	v_cndmask_b32_e32 v12, 0, v16, vcc
	s_lshl_b64 s[44:45], s[6:7], 4
	v_cndmask_b32_e32 v9, 0, v17, vcc
	v_add_co_u32_e32 v4, vcc, v12, v4
	s_add_u32 s44, s70, s44
	v_addc_co_u32_e32 v5, vcc, v9, v5, vcc
	v_or_b32_e32 v9, v49, v73
	s_addc_u32 s45, s71, s45
	v_and_b32_e32 v9, 1, v9
	global_store_dwordx2 v8, v[4:5], s[44:45]
	global_store_byte v8, v9, s[44:45] offset:8
	v_mov_b32_e32 v4, s6
	v_mov_b32_e32 v5, 2
	s_waitcnt vmcnt(0) lgkmcnt(0)
	buffer_wbinvl1_vol
	global_store_byte v4, v5, s[72:73]
.LBB1179_179:
	s_or_b64 exec, exec, s[46:47]
	v_cmp_eq_u32_e32 vcc, 0, v0
	s_and_b64 exec, exec, vcc
	s_cbranch_execz .LBB1179_181
; %bb.180:
	v_mov_b32_e32 v4, 0
	ds_write_b64 v4, v[16:17]
	ds_write_b8 v4, v73 offset:8
.LBB1179_181:
	s_or_b64 exec, exec, s[48:49]
	v_mov_b32_e32 v8, 0
	v_cmp_eq_u16_sdwa vcc, v1, v8 src0_sel:BYTE_0 src1_sel:DWORD
	v_and_b32_e32 v13, 1, v1
	v_cndmask_b32_e32 v9, 0, v45, vcc
	v_cndmask_b32_e32 v12, 0, v48, vcc
	v_cmp_eq_u32_e32 vcc, 1, v13
	v_and_b32_e32 v13, 1, v44
	v_cmp_eq_u32_e64 s[6:7], 1, v13
	s_waitcnt lgkmcnt(0)
	; wave barrier
	s_waitcnt lgkmcnt(0)
	ds_read_b64 v[4:5], v8
	s_or_b64 s[6:7], vcc, s[6:7]
	v_cmp_eq_u32_e32 vcc, 0, v0
	v_cndmask_b32_e64 v13, 0, 1, s[6:7]
	v_cndmask_b32_e64 v9, v9, 0, vcc
	v_cndmask_b32_e32 v13, v13, v1, vcc
	v_cndmask_b32_e64 v12, v12, 0, vcc
	v_add_co_u32_e32 v9, vcc, v9, v2
	v_addc_co_u32_e32 v12, vcc, v12, v3, vcc
	v_cmp_eq_u16_sdwa vcc, v13, v8 src0_sel:BYTE_0 src1_sel:DWORD
	s_waitcnt lgkmcnt(0)
	v_cndmask_b32_e32 v4, 0, v4, vcc
	v_cndmask_b32_e32 v5, 0, v5, vcc
	v_add_co_u32_e32 v114, vcc, v9, v4
	v_addc_co_u32_e32 v115, vcc, v12, v5, vcc
	v_cndmask_b32_e64 v5, 0, v114, s[2:3]
	v_cndmask_b32_e64 v4, 0, v115, s[2:3]
	v_add_co_u32_e32 v44, vcc, v5, v18
	v_addc_co_u32_e32 v45, vcc, v4, v19, vcc
	v_cndmask_b32_e64 v5, 0, v44, s[4:5]
	v_cndmask_b32_e64 v4, 0, v45, s[4:5]
	;; [unrolled: 4-line block ×20, first 2 shown]
	v_add_co_u32_e32 v120, vcc, v5, v20
	v_addc_co_u32_e32 v121, vcc, v4, v21, vcc
	s_branch .LBB1179_204
.LBB1179_182:
                                        ; implicit-def: $vgpr112_vgpr113_vgpr114_vgpr115
                                        ; implicit-def: $vgpr120_vgpr121
                                        ; implicit-def: $vgpr118_vgpr119
                                        ; implicit-def: $vgpr76_vgpr77
                                        ; implicit-def: $vgpr72_vgpr73
                                        ; implicit-def: $vgpr68_vgpr69
                                        ; implicit-def: $vgpr64_vgpr65
                                        ; implicit-def: $vgpr60_vgpr61
                                        ; implicit-def: $vgpr56_vgpr57
                                        ; implicit-def: $vgpr52_vgpr53
                                        ; implicit-def: $vgpr48_vgpr49
                                        ; implicit-def: $vgpr44_vgpr45
                                        ; implicit-def: $vgpr108_vgpr109_vgpr110_vgpr111
                                        ; implicit-def: $vgpr104_vgpr105_vgpr106_vgpr107
                                        ; implicit-def: $vgpr100_vgpr101_vgpr102_vgpr103
                                        ; implicit-def: $vgpr96_vgpr97_vgpr98_vgpr99
                                        ; implicit-def: $vgpr92_vgpr93_vgpr94_vgpr95
                                        ; implicit-def: $vgpr88_vgpr89_vgpr90_vgpr91
                                        ; implicit-def: $vgpr84_vgpr85_vgpr86_vgpr87
                                        ; implicit-def: $vgpr80_vgpr81_vgpr82_vgpr83
                                        ; implicit-def: $vgpr114_vgpr115_vgpr116_vgpr117
	s_cbranch_execz .LBB1179_204
; %bb.183:
	v_readlane_b32 s2, v131, 0
	v_readlane_b32 s3, v131, 1
	s_cmp_lg_u64 s[2:3], 0
	s_cselect_b32 s5, s91, 0
	s_cselect_b32 s4, s90, 0
	s_cmp_lg_u64 s[4:5], 0
	s_cselect_b64 s[6:7], -1, 0
	v_cmp_eq_u32_e32 vcc, 0, v0
	v_cmp_ne_u32_e64 s[2:3], 0, v0
	s_and_b64 s[8:9], vcc, s[6:7]
	s_and_saveexec_b64 s[6:7], s[8:9]
	s_cbranch_execz .LBB1179_185
; %bb.184:
	v_mov_b32_e32 v8, 0
	global_load_dwordx2 v[4:5], v8, s[4:5]
	global_load_ubyte v9, v8, s[4:5] offset:8
	v_cmp_eq_u16_sdwa s[4:5], v1, v8 src0_sel:BYTE_0 src1_sel:DWORD
	s_waitcnt vmcnt(1)
	v_cndmask_b32_e64 v4, 0, v4, s[4:5]
	v_cndmask_b32_e64 v5, 0, v5, s[4:5]
	s_waitcnt vmcnt(0)
	v_or_b32_e32 v1, v1, v9
	v_add_co_u32_e64 v2, s[4:5], v4, v2
	v_addc_co_u32_e64 v3, s[4:5], v5, v3, s[4:5]
	v_and_b32_e32 v1, 1, v1
.LBB1179_185:
	s_or_b64 exec, exec, s[6:7]
	v_mov_b32_e32 v5, 0
	v_cmp_eq_u16_sdwa s[4:5], v128, v5 src0_sel:BYTE_0 src1_sel:DWORD
	v_cndmask_b32_e64 v9, 0, v2, s[4:5]
	v_cndmask_b32_e64 v8, 0, v3, s[4:5]
	v_add_co_u32_e64 v44, s[6:7], v9, v18
	v_addc_co_u32_e64 v45, s[6:7], v8, v19, s[6:7]
	v_cmp_eq_u16_sdwa s[6:7], v130, v5 src0_sel:BYTE_0 src1_sel:DWORD
	v_cndmask_b32_e64 v9, 0, v44, s[6:7]
	s_movk_i32 s42, 0xff
	v_cndmask_b32_e64 v8, 0, v45, s[6:7]
	v_add_co_u32_e64 v80, s[8:9], v9, v6
	v_addc_co_u32_e64 v81, s[8:9], v8, v7, s[8:9]
	v_and_b32_sdwa v8, v128, s42 dst_sel:DWORD dst_unused:UNUSED_PAD src0_sel:WORD_1 src1_sel:DWORD
	v_cmp_eq_u16_e64 s[8:9], 0, v8
	v_cndmask_b32_e64 v9, 0, v80, s[8:9]
	v_cndmask_b32_e64 v8, 0, v81, s[8:9]
	v_add_co_u32_e64 v48, s[10:11], v9, v26
	v_addc_co_u32_e64 v49, s[10:11], v8, v27, s[10:11]
	v_cmp_eq_u16_sdwa s[10:11], v128, v5 src0_sel:BYTE_3 src1_sel:DWORD
	v_cndmask_b32_e64 v9, 0, v48, s[10:11]
	v_cndmask_b32_e64 v8, 0, v49, s[10:11]
	v_add_co_u32_e64 v84, s[12:13], v9, v14
	v_addc_co_u32_e64 v85, s[12:13], v8, v15, s[12:13]
	v_cmp_eq_u16_sdwa s[12:13], v123, v5 src0_sel:BYTE_0 src1_sel:DWORD
	v_cndmask_b32_e64 v9, 0, v84, s[12:13]
	v_cndmask_b32_e64 v8, 0, v85, s[12:13]
	v_add_co_u32_e64 v52, s[14:15], v9, v34
	v_addc_co_u32_e64 v53, s[14:15], v8, v35, s[14:15]
	v_cmp_eq_u16_sdwa s[14:15], v127, v5 src0_sel:BYTE_0 src1_sel:DWORD
	v_cndmask_b32_e64 v9, 0, v52, s[14:15]
	v_cndmask_b32_e64 v8, 0, v53, s[14:15]
	v_add_co_u32_e64 v88, s[16:17], v9, v22
	v_addc_co_u32_e64 v89, s[16:17], v8, v23, s[16:17]
	v_cmp_eq_u16_sdwa s[16:17], v41, v5 src0_sel:BYTE_0 src1_sel:DWORD
	v_cndmask_b32_e64 v9, 0, v88, s[16:17]
	v_cndmask_b32_e64 v8, 0, v89, s[16:17]
	v_add_co_u32_e64 v56, s[18:19], v9, v42
	v_addc_co_u32_e64 v57, s[18:19], v8, v43, s[18:19]
	v_and_b32_sdwa v8, v127, s42 dst_sel:DWORD dst_unused:UNUSED_PAD src0_sel:WORD_1 src1_sel:DWORD
	v_cmp_eq_u16_e64 s[18:19], 0, v8
	v_cndmask_b32_e64 v9, 0, v56, s[18:19]
	v_cndmask_b32_e64 v8, 0, v57, s[18:19]
	v_add_co_u32_e64 v92, s[20:21], v9, v30
	v_addc_co_u32_e64 v93, s[20:21], v8, v31, s[20:21]
	v_cmp_eq_u16_sdwa s[20:21], v127, v5 src0_sel:BYTE_3 src1_sel:DWORD
	v_cndmask_b32_e64 v9, 0, v92, s[20:21]
	v_cndmask_b32_e64 v8, 0, v93, s[20:21]
	v_add_co_u32_e64 v60, s[22:23], v9, v50
	v_addc_co_u32_e64 v61, s[22:23], v8, v51, s[22:23]
	v_cmp_eq_u16_sdwa s[22:23], v124, v5 src0_sel:BYTE_0 src1_sel:DWORD
	v_cndmask_b32_e64 v9, 0, v60, s[22:23]
	v_cndmask_b32_e64 v8, 0, v61, s[22:23]
	v_add_co_u32_e64 v96, s[24:25], v9, v38
	v_addc_co_u32_e64 v97, s[24:25], v8, v39, s[24:25]
	v_cmp_eq_u16_sdwa s[24:25], v126, v5 src0_sel:BYTE_0 src1_sel:DWORD
	v_cndmask_b32_e64 v9, 0, v96, s[24:25]
	v_cndmask_b32_e64 v8, 0, v97, s[24:25]
	v_add_co_u32_e64 v64, s[26:27], v9, v58
	v_addc_co_u32_e64 v65, s[26:27], v8, v59, s[26:27]
	v_cmp_eq_u16_sdwa s[26:27], v37, v5 src0_sel:BYTE_0 src1_sel:DWORD
	v_cndmask_b32_e64 v9, 0, v64, s[26:27]
	;; [unrolled: 26-line block ×3, first 2 shown]
	v_cndmask_b32_e64 v8, 0, v109, s[38:39]
	v_add_co_u32_e64 v76, s[40:41], v9, v78
	v_addc_co_u32_e64 v77, s[40:41], v8, v79, s[40:41]
	v_and_b32_sdwa v8, v125, s42 dst_sel:DWORD dst_unused:UNUSED_PAD src0_sel:WORD_1 src1_sel:DWORD
	v_cmp_eq_u16_e64 s[40:41], 0, v8
	v_cndmask_b32_e64 v9, 0, v76, s[40:41]
	v_cndmask_b32_e64 v8, 0, v77, s[40:41]
	v_add_co_u32_e64 v112, s[42:43], v9, v70
	v_addc_co_u32_e64 v113, s[42:43], v8, v71, s[42:43]
	v_cmp_eq_u16_sdwa s[42:43], v125, v5 src0_sel:BYTE_3 src1_sel:DWORD
	v_cndmask_b32_e64 v9, 0, v112, s[42:43]
	v_cndmask_b32_e64 v8, 0, v113, s[42:43]
	v_add_co_u32_e64 v118, s[44:45], v9, v10
	v_addc_co_u32_e64 v119, s[44:45], v8, v11, s[44:45]
	v_cmp_eq_u16_sdwa s[44:45], v28, v5 src0_sel:BYTE_0 src1_sel:DWORD
	v_cndmask_b32_e64 v8, 0, v118, s[44:45]
	v_cndmask_b32_e64 v5, 0, v119, s[44:45]
	v_add_co_u32_e64 v120, s[52:53], v8, v20
	v_addc_co_u32_e64 v121, s[52:53], v5, v21, s[52:53]
	v_or_b32_e32 v5, v125, v126
	v_or3_b32 v5, v5, v127, v128
	v_lshrrev_b16_e32 v9, 7, v5
	v_and_b32_e32 v8, 1, v5
	v_and_b32_e32 v9, 2, v9
	v_or_b32_e32 v8, v8, v9
	v_lshrrev_b32_e32 v9, 23, v5
	v_mov_b32_e32 v12, 1
	v_and_b32_e32 v9, 2, v9
	v_and_b32_sdwa v5, v5, v12 dst_sel:DWORD dst_unused:UNUSED_PAD src0_sel:WORD_1 src1_sel:DWORD
	v_or_b32_e32 v5, v5, v9
	v_lshlrev_b16_e32 v5, 2, v5
	v_or_b32_e32 v5, v8, v5
	v_cmp_eq_u32_e64 s[52:53], 1, v32
	v_cmp_ne_u16_e64 s[54:55], 0, v5
	v_cmp_eq_u32_e64 s[50:51], 1, v33
	s_or_b64 s[52:53], s[54:55], s[52:53]
	v_cmp_eq_u32_e64 s[48:49], 1, v40
	s_or_b64 s[50:51], s[52:53], s[50:51]
	;; [unrolled: 2-line block ×3, first 2 shown]
	v_and_b32_e32 v4, 0xff, v1
	s_or_b64 s[46:47], s[48:49], s[46:47]
	v_mbcnt_hi_u32_b32 v12, -1, v29
	v_cndmask_b32_e64 v13, v4, 1, s[46:47]
	v_and_b32_e32 v16, 15, v12
	v_mov_b32_dpp v24, v120 row_shr:1 row_mask:0xf bank_mask:0xf
	v_mov_b32_dpp v25, v121 row_shr:1 row_mask:0xf bank_mask:0xf
	;; [unrolled: 1-line block ×3, first 2 shown]
	v_cmp_ne_u32_e64 s[46:47], 0, v16
	v_pk_mov_b32 v[4:5], v[120:121], v[120:121] op_sel:[0,1]
	v_mov_b32_e32 v9, v121
	v_mov_b32_e32 v8, v120
	s_and_saveexec_b64 s[48:49], s[46:47]
; %bb.186:
	v_cmp_eq_u32_e64 s[46:47], 0, v13
	v_cndmask_b32_e64 v4, 0, v24, s[46:47]
	v_cndmask_b32_e64 v5, 0, v25, s[46:47]
	v_add_co_u32_e64 v4, s[46:47], v120, v4
	v_addc_co_u32_e64 v5, s[46:47], v121, v5, s[46:47]
	v_and_or_b32 v13, v17, 1, v13
	v_mov_b32_e32 v9, v5
	v_mov_b32_e32 v8, v4
; %bb.187:
	s_or_b64 exec, exec, s[48:49]
	s_nop 0
	v_mov_b32_dpp v24, v8 row_shr:2 row_mask:0xf bank_mask:0xf
	v_mov_b32_dpp v25, v9 row_shr:2 row_mask:0xf bank_mask:0xf
	v_mov_b32_dpp v17, v13 row_shr:2 row_mask:0xf bank_mask:0xf
	v_cmp_lt_u32_e64 s[46:47], 1, v16
	s_and_saveexec_b64 s[48:49], s[46:47]
; %bb.188:
	v_cmp_eq_u32_e64 s[46:47], 0, v13
	v_cndmask_b32_e64 v8, 0, v24, s[46:47]
	v_cndmask_b32_e64 v9, 0, v25, s[46:47]
	v_add_co_u32_e64 v8, s[46:47], v8, v4
	v_addc_co_u32_e64 v9, s[46:47], v9, v5, s[46:47]
	v_or_b32_e32 v4, v17, v13
	v_and_b32_e32 v13, 1, v4
	v_pk_mov_b32 v[4:5], v[8:9], v[8:9] op_sel:[0,1]
; %bb.189:
	s_or_b64 exec, exec, s[48:49]
	v_mov_b32_dpp v24, v8 row_shr:4 row_mask:0xf bank_mask:0xf
	v_mov_b32_dpp v25, v9 row_shr:4 row_mask:0xf bank_mask:0xf
	v_mov_b32_dpp v17, v13 row_shr:4 row_mask:0xf bank_mask:0xf
	v_cmp_lt_u32_e64 s[46:47], 3, v16
	s_and_saveexec_b64 s[48:49], s[46:47]
; %bb.190:
	v_cmp_eq_u32_e64 s[46:47], 0, v13
	v_cndmask_b32_e64 v8, 0, v24, s[46:47]
	v_cndmask_b32_e64 v9, 0, v25, s[46:47]
	v_add_co_u32_e64 v8, s[46:47], v8, v4
	v_addc_co_u32_e64 v9, s[46:47], v9, v5, s[46:47]
	v_or_b32_e32 v4, v17, v13
	v_and_b32_e32 v13, 1, v4
	v_pk_mov_b32 v[4:5], v[8:9], v[8:9] op_sel:[0,1]
; %bb.191:
	s_or_b64 exec, exec, s[48:49]
	;; [unrolled: 16-line block ×3, first 2 shown]
	v_and_b32_e32 v25, 16, v12
	v_mov_b32_dpp v17, v8 row_bcast:15 row_mask:0xf bank_mask:0xf
	v_mov_b32_dpp v24, v9 row_bcast:15 row_mask:0xf bank_mask:0xf
	;; [unrolled: 1-line block ×3, first 2 shown]
	v_cmp_ne_u32_e64 s[46:47], 0, v25
	s_and_saveexec_b64 s[48:49], s[46:47]
; %bb.194:
	v_cmp_eq_u32_e64 s[46:47], 0, v13
	v_cndmask_b32_e64 v9, 0, v17, s[46:47]
	v_cndmask_b32_e64 v8, 0, v24, s[46:47]
	v_add_co_u32_e64 v4, s[46:47], v9, v4
	v_addc_co_u32_e64 v5, s[46:47], v8, v5, s[46:47]
	v_or_b32_e32 v8, v16, v13
	v_and_b32_e32 v13, 1, v8
	v_mov_b32_e32 v9, v5
	v_mov_b32_e32 v8, v4
; %bb.195:
	s_or_b64 exec, exec, s[48:49]
	s_nop 0
	v_mov_b32_dpp v16, v8 row_bcast:31 row_mask:0xf bank_mask:0xf
	v_mov_b32_dpp v9, v9 row_bcast:31 row_mask:0xf bank_mask:0xf
	;; [unrolled: 1-line block ×3, first 2 shown]
	v_cmp_lt_u32_e64 s[46:47], 31, v12
	s_and_saveexec_b64 s[48:49], s[46:47]
; %bb.196:
	v_cmp_eq_u32_e64 s[46:47], 0, v13
	v_cndmask_b32_e64 v16, 0, v16, s[46:47]
	v_cndmask_b32_e64 v9, 0, v9, s[46:47]
	v_add_co_u32_e64 v4, s[46:47], v16, v4
	v_or_b32_e32 v8, v8, v13
	v_addc_co_u32_e64 v5, s[46:47], v9, v5, s[46:47]
	v_and_b32_e32 v13, 1, v8
; %bb.197:
	s_or_b64 exec, exec, s[48:49]
	v_cmp_eq_u32_e64 s[46:47], 63, v0
	s_and_saveexec_b64 s[48:49], s[46:47]
	s_cbranch_execz .LBB1179_199
; %bb.198:
	v_mov_b32_e32 v8, 0
	ds_write_b64 v8, v[4:5]
	ds_write_b8 v8, v13 offset:8
.LBB1179_199:
	s_or_b64 exec, exec, s[48:49]
	v_add_u32_e32 v8, -1, v12
	v_and_b32_e32 v9, 64, v12
	v_cmp_lt_i32_e64 s[46:47], v8, v9
	v_cndmask_b32_e64 v8, v8, v12, s[46:47]
	v_lshlrev_b32_e32 v8, 2, v8
	ds_bpermute_b32 v4, v8, v4
	ds_bpermute_b32 v5, v8, v5
	s_waitcnt lgkmcnt(0)
	; wave barrier
	s_waitcnt lgkmcnt(0)
	s_and_saveexec_b64 s[46:47], s[2:3]
	s_cbranch_execz .LBB1179_201
; %bb.200:
	v_mov_b32_e32 v8, 0
	v_cmp_eq_u16_sdwa s[2:3], v1, v8 src0_sel:BYTE_0 src1_sel:DWORD
	v_cndmask_b32_e64 v4, 0, v4, s[2:3]
	v_cndmask_b32_e64 v1, 0, v5, s[2:3]
	v_add_co_u32_e64 v2, s[2:3], v4, v2
	v_addc_co_u32_e64 v3, s[2:3], v1, v3, s[2:3]
	v_cndmask_b32_e64 v4, 0, v2, s[4:5]
	v_cndmask_b32_e64 v1, 0, v3, s[4:5]
	v_add_co_u32_e64 v44, s[2:3], v4, v18
	v_addc_co_u32_e64 v45, s[2:3], v1, v19, s[2:3]
	;; [unrolled: 4-line block ×21, first 2 shown]
	;;#ASMSTART
	;;#ASMEND
.LBB1179_201:
	s_or_b64 exec, exec, s[46:47]
	s_and_saveexec_b64 s[2:3], vcc
	s_cbranch_execz .LBB1179_203
; %bb.202:
	v_mov_b32_e32 v1, 0
	ds_read_b64 v[4:5], v1
	ds_read_u8 v6, v1 offset:8
	v_mov_b32_e32 v7, 2
	s_waitcnt lgkmcnt(1)
	global_store_dwordx2 v1, v[4:5], s[70:71] offset:1024
	s_waitcnt lgkmcnt(0)
	global_store_byte v1, v6, s[70:71] offset:1032
	s_waitcnt vmcnt(0)
	buffer_wbinvl1_vol
	global_store_byte v1, v7, s[72:73] offset:64
.LBB1179_203:
	s_or_b64 exec, exec, s[2:3]
	v_pk_mov_b32 v[114:115], v[2:3], v[2:3] op_sel:[0,1]
.LBB1179_204:
	s_add_u32 s0, s58, s0
	s_addc_u32 s1, s59, s1
	s_add_u32 s4, s0, s86
	s_addc_u32 s5, s1, s87
	s_and_b64 vcc, exec, s[88:89]
	v_lshlrev_b32_e32 v46, 3, v0
	s_cbranch_vccz .LBB1179_246
; %bb.205:
	s_movk_i32 s0, 0xa8
	v_mul_i32_i24_e32 v50, 0xffffff60, v0
	v_mul_u32_u24_e32 v47, 0xa8, v0
	v_mad_u32_u24 v2, v0, s0, v50
	s_waitcnt lgkmcnt(0)
	; wave barrier
	ds_write2_b64 v47, v[114:115], v[44:45] offset1:1
	ds_write2_b64 v47, v[80:81], v[48:49] offset0:2 offset1:3
	ds_write2_b64 v47, v[84:85], v[52:53] offset0:4 offset1:5
	;; [unrolled: 1-line block ×9, first 2 shown]
	ds_write_b64 v47, v[120:121] offset:160
	s_waitcnt lgkmcnt(0)
	; wave barrier
	s_waitcnt lgkmcnt(0)
	ds_read2st64_b64 v[38:41], v2 offset0:1 offset1:2
	ds_read2st64_b64 v[34:37], v2 offset0:3 offset1:4
	;; [unrolled: 1-line block ×10, first 2 shown]
	v_mov_b32_e32 v43, s5
	v_add_co_u32_e32 v42, vcc, s4, v46
	s_add_i32 s33, s33, s74
	v_addc_co_u32_e32 v43, vcc, 0, v43, vcc
	v_mov_b32_e32 v1, 0
	v_cmp_gt_u32_e32 vcc, s33, v0
	s_and_saveexec_b64 s[0:1], vcc
	s_cbranch_execz .LBB1179_207
; %bb.206:
	v_add_u32_e32 v47, v47, v50
	ds_read_b64 v[50:51], v47
	s_waitcnt lgkmcnt(0)
	flat_store_dwordx2 v[42:43], v[50:51]
.LBB1179_207:
	s_or_b64 exec, exec, s[0:1]
	v_or_b32_e32 v47, 64, v0
	v_cmp_gt_u32_e32 vcc, s33, v47
	s_and_saveexec_b64 s[0:1], vcc
	s_cbranch_execz .LBB1179_209
; %bb.208:
	s_waitcnt lgkmcnt(0)
	flat_store_dwordx2 v[42:43], v[38:39] offset:512
.LBB1179_209:
	s_or_b64 exec, exec, s[0:1]
	s_waitcnt lgkmcnt(0)
	v_or_b32_e32 v38, 0x80, v0
	v_cmp_gt_u32_e32 vcc, s33, v38
	s_and_saveexec_b64 s[0:1], vcc
	s_cbranch_execz .LBB1179_211
; %bb.210:
	flat_store_dwordx2 v[42:43], v[40:41] offset:1024
.LBB1179_211:
	s_or_b64 exec, exec, s[0:1]
	v_or_b32_e32 v38, 0xc0, v0
	v_cmp_gt_u32_e32 vcc, s33, v38
	s_and_saveexec_b64 s[0:1], vcc
	s_cbranch_execz .LBB1179_213
; %bb.212:
	flat_store_dwordx2 v[42:43], v[34:35] offset:1536
.LBB1179_213:
	s_or_b64 exec, exec, s[0:1]
	;; [unrolled: 8-line block ×6, first 2 shown]
	v_or_b32_e32 v26, 0x200, v0
	v_cmp_gt_u32_e32 vcc, s33, v26
	s_and_saveexec_b64 s[0:1], vcc
	s_cbranch_execz .LBB1179_223
; %bb.222:
	v_add_co_u32_e32 v26, vcc, 0x1000, v42
	v_addc_co_u32_e32 v27, vcc, 0, v43, vcc
	flat_store_dwordx2 v[26:27], v[28:29]
.LBB1179_223:
	s_or_b64 exec, exec, s[0:1]
	v_or_b32_e32 v26, 0x240, v0
	v_cmp_gt_u32_e32 vcc, s33, v26
	s_and_saveexec_b64 s[0:1], vcc
	s_cbranch_execz .LBB1179_225
; %bb.224:
	v_add_co_u32_e32 v26, vcc, 0x1000, v42
	v_addc_co_u32_e32 v27, vcc, 0, v43, vcc
	flat_store_dwordx2 v[26:27], v[22:23] offset:512
.LBB1179_225:
	s_or_b64 exec, exec, s[0:1]
	v_or_b32_e32 v22, 0x280, v0
	v_cmp_gt_u32_e32 vcc, s33, v22
	s_and_saveexec_b64 s[0:1], vcc
	s_cbranch_execz .LBB1179_227
; %bb.226:
	v_add_co_u32_e32 v22, vcc, 0x1000, v42
	v_addc_co_u32_e32 v23, vcc, 0, v43, vcc
	flat_store_dwordx2 v[22:23], v[24:25] offset:1024
.LBB1179_227:
	;; [unrolled: 10-line block ×7, first 2 shown]
	s_or_b64 exec, exec, s[0:1]
	v_or_b32_e32 v10, 0x400, v0
	v_cmp_gt_u32_e32 vcc, s33, v10
	s_and_saveexec_b64 s[0:1], vcc
	s_cbranch_execz .LBB1179_239
; %bb.238:
	v_add_co_u32_e32 v10, vcc, 0x2000, v42
	v_addc_co_u32_e32 v11, vcc, 0, v43, vcc
	flat_store_dwordx2 v[10:11], v[12:13]
.LBB1179_239:
	s_or_b64 exec, exec, s[0:1]
	v_or_b32_e32 v10, 0x440, v0
	v_cmp_gt_u32_e32 vcc, s33, v10
	s_and_saveexec_b64 s[0:1], vcc
	s_cbranch_execz .LBB1179_241
; %bb.240:
	v_add_co_u32_e32 v10, vcc, 0x2000, v42
	v_addc_co_u32_e32 v11, vcc, 0, v43, vcc
	flat_store_dwordx2 v[10:11], v[6:7] offset:512
.LBB1179_241:
	s_or_b64 exec, exec, s[0:1]
	v_or_b32_e32 v6, 0x480, v0
	v_cmp_gt_u32_e32 vcc, s33, v6
	s_and_saveexec_b64 s[0:1], vcc
	s_cbranch_execz .LBB1179_243
; %bb.242:
	v_add_co_u32_e32 v6, vcc, 0x2000, v42
	v_addc_co_u32_e32 v7, vcc, 0, v43, vcc
	flat_store_dwordx2 v[6:7], v[8:9] offset:1024
.LBB1179_243:
	;; [unrolled: 10-line block ×3, first 2 shown]
	s_or_b64 exec, exec, s[0:1]
	v_or_b32_e32 v2, 0x500, v0
	v_cmp_gt_u32_e64 s[0:1], s33, v2
	s_branch .LBB1179_248
.LBB1179_246:
	s_mov_b64 s[0:1], 0
                                        ; implicit-def: $vgpr4_vgpr5
	s_cbranch_execz .LBB1179_248
; %bb.247:
	s_movk_i32 s2, 0xa8
	v_mul_i32_i24_e32 v2, 0xffffff60, v0
	v_mul_u32_u24_e32 v1, 0xa8, v0
	v_mad_u32_u24 v2, v0, s2, v2
	s_waitcnt lgkmcnt(0)
	; wave barrier
	s_waitcnt lgkmcnt(0)
	ds_write2_b64 v1, v[114:115], v[44:45] offset1:1
	ds_write2_b64 v1, v[80:81], v[48:49] offset0:2 offset1:3
	ds_write2_b64 v1, v[84:85], v[52:53] offset0:4 offset1:5
	ds_write2_b64 v1, v[88:89], v[56:57] offset0:6 offset1:7
	ds_write2_b64 v1, v[92:93], v[60:61] offset0:8 offset1:9
	ds_write2_b64 v1, v[96:97], v[64:65] offset0:10 offset1:11
	ds_write2_b64 v1, v[100:101], v[68:69] offset0:12 offset1:13
	ds_write2_b64 v1, v[104:105], v[72:73] offset0:14 offset1:15
	ds_write2_b64 v1, v[108:109], v[76:77] offset0:16 offset1:17
	ds_write2_b64 v1, v[112:113], v[118:119] offset0:18 offset1:19
	ds_write_b64 v1, v[120:121] offset:160
	s_waitcnt lgkmcnt(0)
	; wave barrier
	s_waitcnt lgkmcnt(0)
	ds_read2st64_b64 v[6:9], v2 offset1:1
	ds_read2st64_b64 v[10:13], v2 offset0:2 offset1:3
	ds_read2st64_b64 v[14:17], v2 offset0:4 offset1:5
	;; [unrolled: 1-line block ×9, first 2 shown]
	ds_read_b64 v[4:5], v2 offset:10240
	v_mov_b32_e32 v3, s5
	v_add_co_u32_e32 v2, vcc, s4, v46
	v_addc_co_u32_e32 v3, vcc, 0, v3, vcc
	s_movk_i32 s2, 0x1000
	s_waitcnt lgkmcnt(0)
	flat_store_dwordx2 v[2:3], v[6:7]
	flat_store_dwordx2 v[2:3], v[8:9] offset:512
	flat_store_dwordx2 v[2:3], v[10:11] offset:1024
	;; [unrolled: 1-line block ×7, first 2 shown]
	v_add_co_u32_e32 v6, vcc, s2, v2
	v_addc_co_u32_e32 v7, vcc, 0, v3, vcc
	v_add_co_u32_e32 v2, vcc, 0x2000, v2
	v_mov_b32_e32 v1, 0
	v_addc_co_u32_e32 v3, vcc, 0, v3, vcc
	s_or_b64 s[0:1], s[0:1], exec
	flat_store_dwordx2 v[6:7], v[22:23]
	flat_store_dwordx2 v[6:7], v[24:25] offset:512
	flat_store_dwordx2 v[6:7], v[26:27] offset:1024
	;; [unrolled: 1-line block ×7, first 2 shown]
	flat_store_dwordx2 v[2:3], v[38:39]
	flat_store_dwordx2 v[2:3], v[40:41] offset:512
	flat_store_dwordx2 v[2:3], v[42:43] offset:1024
	;; [unrolled: 1-line block ×3, first 2 shown]
.LBB1179_248:
	s_and_saveexec_b64 s[2:3], s[0:1]
	s_cbranch_execnz .LBB1179_250
; %bb.249:
	s_endpgm
.LBB1179_250:
	v_lshlrev_b64 v[0:1], 3, v[0:1]
	v_mov_b32_e32 v2, s5
	v_add_co_u32_e32 v0, vcc, s4, v0
	v_addc_co_u32_e32 v1, vcc, v2, v1, vcc
	v_add_co_u32_e32 v0, vcc, 0x2000, v0
	v_addc_co_u32_e32 v1, vcc, 0, v1, vcc
	flat_store_dwordx2 v[0:1], v[4:5] offset:2048
	s_endpgm
.LBB1179_251:
	v_lshlrev_b32_e32 v2, 3, v0
	v_mov_b32_e32 v3, s62
	v_add_co_u32_e32 v2, vcc, s7, v2
	v_addc_co_u32_e32 v3, vcc, 0, v3, vcc
	flat_load_dwordx2 v[2:3], v[2:3]
	s_or_b64 exec, exec, s[54:55]
                                        ; implicit-def: $vgpr6_vgpr7
	s_and_saveexec_b64 s[2:3], s[4:5]
	s_cbranch_execz .LBB1179_51
.LBB1179_252:
	v_lshlrev_b32_e32 v6, 3, v0
	v_mov_b32_e32 v7, s62
	v_add_co_u32_e32 v6, vcc, s7, v6
	v_addc_co_u32_e32 v7, vcc, 0, v7, vcc
	flat_load_dwordx2 v[6:7], v[6:7] offset:512
	s_or_b64 exec, exec, s[2:3]
                                        ; implicit-def: $vgpr10_vgpr11
	s_and_saveexec_b64 s[2:3], s[46:47]
	s_cbranch_execz .LBB1179_52
.LBB1179_253:
	v_lshlrev_b32_e32 v10, 3, v0
	v_mov_b32_e32 v11, s62
	v_add_co_u32_e32 v10, vcc, s7, v10
	v_addc_co_u32_e32 v11, vcc, 0, v11, vcc
	flat_load_dwordx2 v[10:11], v[10:11] offset:1024
	s_or_b64 exec, exec, s[2:3]
                                        ; implicit-def: $vgpr14_vgpr15
	s_and_saveexec_b64 s[2:3], s[8:9]
	s_cbranch_execz .LBB1179_53
.LBB1179_254:
	v_lshlrev_b32_e32 v14, 3, v0
	v_mov_b32_e32 v15, s62
	v_add_co_u32_e32 v14, vcc, s7, v14
	v_addc_co_u32_e32 v15, vcc, 0, v15, vcc
	flat_load_dwordx2 v[14:15], v[14:15] offset:1536
	s_or_b64 exec, exec, s[2:3]
                                        ; implicit-def: $vgpr18_vgpr19
	s_and_saveexec_b64 s[2:3], s[10:11]
	s_cbranch_execz .LBB1179_54
.LBB1179_255:
	v_lshlrev_b32_e32 v18, 3, v0
	v_mov_b32_e32 v19, s62
	v_add_co_u32_e32 v18, vcc, s7, v18
	v_addc_co_u32_e32 v19, vcc, 0, v19, vcc
	flat_load_dwordx2 v[18:19], v[18:19] offset:2048
	s_or_b64 exec, exec, s[2:3]
                                        ; implicit-def: $vgpr20_vgpr21
	s_and_saveexec_b64 s[2:3], s[12:13]
	s_cbranch_execz .LBB1179_55
.LBB1179_256:
	v_lshlrev_b32_e32 v20, 3, v0
	v_mov_b32_e32 v21, s62
	v_add_co_u32_e32 v20, vcc, s7, v20
	v_addc_co_u32_e32 v21, vcc, 0, v21, vcc
	flat_load_dwordx2 v[20:21], v[20:21] offset:2560
	s_or_b64 exec, exec, s[2:3]
                                        ; implicit-def: $vgpr22_vgpr23
	s_and_saveexec_b64 s[2:3], s[14:15]
	s_cbranch_execz .LBB1179_56
.LBB1179_257:
	v_lshlrev_b32_e32 v22, 3, v0
	v_mov_b32_e32 v23, s62
	v_add_co_u32_e32 v22, vcc, s7, v22
	v_addc_co_u32_e32 v23, vcc, 0, v23, vcc
	flat_load_dwordx2 v[22:23], v[22:23] offset:3072
	s_or_b64 exec, exec, s[2:3]
                                        ; implicit-def: $vgpr26_vgpr27
	s_and_saveexec_b64 s[2:3], s[16:17]
	s_cbranch_execz .LBB1179_57
.LBB1179_258:
	v_lshlrev_b32_e32 v26, 3, v0
	v_mov_b32_e32 v27, s62
	v_add_co_u32_e32 v26, vcc, s7, v26
	v_addc_co_u32_e32 v27, vcc, 0, v27, vcc
	flat_load_dwordx2 v[26:27], v[26:27] offset:3584
	s_or_b64 exec, exec, s[2:3]
                                        ; implicit-def: $vgpr30_vgpr31
	s_and_saveexec_b64 s[2:3], s[18:19]
	s_cbranch_execz .LBB1179_58
.LBB1179_259:
	v_lshlrev_b32_e32 v1, 3, v1
	v_mov_b32_e32 v31, s62
	v_add_co_u32_e32 v30, vcc, s7, v1
	v_addc_co_u32_e32 v31, vcc, 0, v31, vcc
	flat_load_dwordx2 v[30:31], v[30:31]
	s_or_b64 exec, exec, s[2:3]
                                        ; implicit-def: $vgpr34_vgpr35
	s_and_saveexec_b64 s[2:3], s[20:21]
	s_cbranch_execz .LBB1179_59
.LBB1179_260:
	v_lshlrev_b32_e32 v1, 3, v38
	v_mov_b32_e32 v35, s62
	v_add_co_u32_e32 v34, vcc, s7, v1
	v_addc_co_u32_e32 v35, vcc, 0, v35, vcc
	flat_load_dwordx2 v[34:35], v[34:35]
	s_or_b64 exec, exec, s[2:3]
                                        ; implicit-def: $vgpr38_vgpr39
	s_and_saveexec_b64 s[2:3], s[22:23]
	s_cbranch_execz .LBB1179_60
.LBB1179_261:
	v_lshlrev_b32_e32 v1, 3, v42
	v_mov_b32_e32 v39, s62
	v_add_co_u32_e32 v38, vcc, s7, v1
	v_addc_co_u32_e32 v39, vcc, 0, v39, vcc
	flat_load_dwordx2 v[38:39], v[38:39]
	s_or_b64 exec, exec, s[2:3]
                                        ; implicit-def: $vgpr42_vgpr43
	s_and_saveexec_b64 s[2:3], s[24:25]
	s_cbranch_execz .LBB1179_61
.LBB1179_262:
	v_lshlrev_b32_e32 v1, 3, v46
	v_mov_b32_e32 v43, s62
	v_add_co_u32_e32 v42, vcc, s7, v1
	v_addc_co_u32_e32 v43, vcc, 0, v43, vcc
	flat_load_dwordx2 v[42:43], v[42:43]
	s_or_b64 exec, exec, s[2:3]
                                        ; implicit-def: $vgpr46_vgpr47
	s_and_saveexec_b64 s[2:3], s[26:27]
	s_cbranch_execz .LBB1179_62
.LBB1179_263:
	v_lshlrev_b32_e32 v1, 3, v48
	v_mov_b32_e32 v47, s62
	v_add_co_u32_e32 v46, vcc, s7, v1
	v_addc_co_u32_e32 v47, vcc, 0, v47, vcc
	flat_load_dwordx2 v[46:47], v[46:47]
	s_or_b64 exec, exec, s[2:3]
                                        ; implicit-def: $vgpr48_vgpr49
	s_and_saveexec_b64 s[2:3], s[28:29]
	s_cbranch_execz .LBB1179_63
.LBB1179_264:
	v_lshlrev_b32_e32 v1, 3, v50
	v_mov_b32_e32 v49, s62
	v_add_co_u32_e32 v48, vcc, s7, v1
	v_addc_co_u32_e32 v49, vcc, 0, v49, vcc
	flat_load_dwordx2 v[48:49], v[48:49]
	s_or_b64 exec, exec, s[2:3]
                                        ; implicit-def: $vgpr50_vgpr51
	s_and_saveexec_b64 s[2:3], s[30:31]
	s_cbranch_execz .LBB1179_64
.LBB1179_265:
	v_lshlrev_b32_e32 v1, 3, v52
	v_mov_b32_e32 v51, s62
	v_add_co_u32_e32 v50, vcc, s7, v1
	v_addc_co_u32_e32 v51, vcc, 0, v51, vcc
	flat_load_dwordx2 v[50:51], v[50:51]
	s_or_b64 exec, exec, s[2:3]
                                        ; implicit-def: $vgpr52_vgpr53
	s_and_saveexec_b64 s[2:3], s[34:35]
	s_cbranch_execz .LBB1179_65
.LBB1179_266:
	v_lshlrev_b32_e32 v1, 3, v54
	v_mov_b32_e32 v53, s62
	v_add_co_u32_e32 v52, vcc, s7, v1
	v_addc_co_u32_e32 v53, vcc, 0, v53, vcc
	flat_load_dwordx2 v[52:53], v[52:53]
	s_or_b64 exec, exec, s[2:3]
                                        ; implicit-def: $vgpr54_vgpr55
	s_and_saveexec_b64 s[2:3], s[36:37]
	s_cbranch_execz .LBB1179_66
.LBB1179_267:
	v_lshlrev_b32_e32 v1, 3, v56
	v_mov_b32_e32 v55, s62
	v_add_co_u32_e32 v54, vcc, s7, v1
	v_addc_co_u32_e32 v55, vcc, 0, v55, vcc
	flat_load_dwordx2 v[54:55], v[54:55]
	s_or_b64 exec, exec, s[2:3]
                                        ; implicit-def: $vgpr56_vgpr57
	s_and_saveexec_b64 s[2:3], s[38:39]
	s_cbranch_execz .LBB1179_67
.LBB1179_268:
	v_lshlrev_b32_e32 v1, 3, v58
	v_mov_b32_e32 v57, s62
	v_add_co_u32_e32 v56, vcc, s7, v1
	v_addc_co_u32_e32 v57, vcc, 0, v57, vcc
	flat_load_dwordx2 v[56:57], v[56:57]
	s_or_b64 exec, exec, s[2:3]
                                        ; implicit-def: $vgpr58_vgpr59
	s_and_saveexec_b64 s[2:3], s[40:41]
	s_cbranch_execz .LBB1179_68
.LBB1179_269:
	v_lshlrev_b32_e32 v1, 3, v60
	v_mov_b32_e32 v59, s62
	v_add_co_u32_e32 v58, vcc, s7, v1
	v_addc_co_u32_e32 v59, vcc, 0, v59, vcc
	flat_load_dwordx2 v[58:59], v[58:59]
	s_or_b64 exec, exec, s[2:3]
                                        ; implicit-def: $vgpr60_vgpr61
	s_and_saveexec_b64 s[2:3], s[42:43]
	s_cbranch_execz .LBB1179_69
.LBB1179_270:
	v_lshlrev_b32_e32 v1, 3, v62
	v_mov_b32_e32 v61, s62
	v_add_co_u32_e32 v60, vcc, s7, v1
	v_addc_co_u32_e32 v61, vcc, 0, v61, vcc
	flat_load_dwordx2 v[60:61], v[60:61]
	s_or_b64 exec, exec, s[2:3]
                                        ; implicit-def: $vgpr62_vgpr63
	s_and_saveexec_b64 s[2:3], s[44:45]
	s_cbranch_execnz .LBB1179_70
	s_branch .LBB1179_71
.LBB1179_271:
                                        ; implicit-def: $sgpr54_sgpr55
	s_branch .LBB1179_46
.LBB1179_272:
                                        ; implicit-def: $sgpr2_sgpr3
	s_branch .LBB1179_116
	.section	.rodata,"a",@progbits
	.p2align	6, 0x0
	.amdhsa_kernel _ZN7rocprim17ROCPRIM_400000_NS6detail17trampoline_kernelINS0_14default_configENS1_27scan_by_key_config_selectorIiyEEZZNS1_16scan_by_key_implILNS1_25lookback_scan_determinismE0ELb0ES3_N6thrust23THRUST_200600_302600_NS6detail15normal_iteratorINS9_10device_ptrIiEEEENSB_INSC_IyEEEESG_yNS9_4plusIvEENS9_8equal_toIvEEyEE10hipError_tPvRmT2_T3_T4_T5_mT6_T7_P12ihipStream_tbENKUlT_T0_E_clISt17integral_constantIbLb0EES11_EEDaSW_SX_EUlSW_E_NS1_11comp_targetILNS1_3genE4ELNS1_11target_archE910ELNS1_3gpuE8ELNS1_3repE0EEENS1_30default_config_static_selectorELNS0_4arch9wavefront6targetE1EEEvT1_
		.amdhsa_group_segment_fixed_size 10752
		.amdhsa_private_segment_fixed_size 0
		.amdhsa_kernarg_size 136
		.amdhsa_user_sgpr_count 6
		.amdhsa_user_sgpr_private_segment_buffer 1
		.amdhsa_user_sgpr_dispatch_ptr 0
		.amdhsa_user_sgpr_queue_ptr 0
		.amdhsa_user_sgpr_kernarg_segment_ptr 1
		.amdhsa_user_sgpr_dispatch_id 0
		.amdhsa_user_sgpr_flat_scratch_init 0
		.amdhsa_user_sgpr_kernarg_preload_length 0
		.amdhsa_user_sgpr_kernarg_preload_offset 0
		.amdhsa_user_sgpr_private_segment_size 0
		.amdhsa_uses_dynamic_stack 0
		.amdhsa_system_sgpr_private_segment_wavefront_offset 0
		.amdhsa_system_sgpr_workgroup_id_x 1
		.amdhsa_system_sgpr_workgroup_id_y 0
		.amdhsa_system_sgpr_workgroup_id_z 0
		.amdhsa_system_sgpr_workgroup_info 0
		.amdhsa_system_vgpr_workitem_id 0
		.amdhsa_next_free_vgpr 132
		.amdhsa_next_free_sgpr 96
		.amdhsa_accum_offset 132
		.amdhsa_reserve_vcc 1
		.amdhsa_reserve_flat_scratch 0
		.amdhsa_float_round_mode_32 0
		.amdhsa_float_round_mode_16_64 0
		.amdhsa_float_denorm_mode_32 3
		.amdhsa_float_denorm_mode_16_64 3
		.amdhsa_dx10_clamp 1
		.amdhsa_ieee_mode 1
		.amdhsa_fp16_overflow 0
		.amdhsa_tg_split 0
		.amdhsa_exception_fp_ieee_invalid_op 0
		.amdhsa_exception_fp_denorm_src 0
		.amdhsa_exception_fp_ieee_div_zero 0
		.amdhsa_exception_fp_ieee_overflow 0
		.amdhsa_exception_fp_ieee_underflow 0
		.amdhsa_exception_fp_ieee_inexact 0
		.amdhsa_exception_int_div_zero 0
	.end_amdhsa_kernel
	.section	.text._ZN7rocprim17ROCPRIM_400000_NS6detail17trampoline_kernelINS0_14default_configENS1_27scan_by_key_config_selectorIiyEEZZNS1_16scan_by_key_implILNS1_25lookback_scan_determinismE0ELb0ES3_N6thrust23THRUST_200600_302600_NS6detail15normal_iteratorINS9_10device_ptrIiEEEENSB_INSC_IyEEEESG_yNS9_4plusIvEENS9_8equal_toIvEEyEE10hipError_tPvRmT2_T3_T4_T5_mT6_T7_P12ihipStream_tbENKUlT_T0_E_clISt17integral_constantIbLb0EES11_EEDaSW_SX_EUlSW_E_NS1_11comp_targetILNS1_3genE4ELNS1_11target_archE910ELNS1_3gpuE8ELNS1_3repE0EEENS1_30default_config_static_selectorELNS0_4arch9wavefront6targetE1EEEvT1_,"axG",@progbits,_ZN7rocprim17ROCPRIM_400000_NS6detail17trampoline_kernelINS0_14default_configENS1_27scan_by_key_config_selectorIiyEEZZNS1_16scan_by_key_implILNS1_25lookback_scan_determinismE0ELb0ES3_N6thrust23THRUST_200600_302600_NS6detail15normal_iteratorINS9_10device_ptrIiEEEENSB_INSC_IyEEEESG_yNS9_4plusIvEENS9_8equal_toIvEEyEE10hipError_tPvRmT2_T3_T4_T5_mT6_T7_P12ihipStream_tbENKUlT_T0_E_clISt17integral_constantIbLb0EES11_EEDaSW_SX_EUlSW_E_NS1_11comp_targetILNS1_3genE4ELNS1_11target_archE910ELNS1_3gpuE8ELNS1_3repE0EEENS1_30default_config_static_selectorELNS0_4arch9wavefront6targetE1EEEvT1_,comdat
.Lfunc_end1179:
	.size	_ZN7rocprim17ROCPRIM_400000_NS6detail17trampoline_kernelINS0_14default_configENS1_27scan_by_key_config_selectorIiyEEZZNS1_16scan_by_key_implILNS1_25lookback_scan_determinismE0ELb0ES3_N6thrust23THRUST_200600_302600_NS6detail15normal_iteratorINS9_10device_ptrIiEEEENSB_INSC_IyEEEESG_yNS9_4plusIvEENS9_8equal_toIvEEyEE10hipError_tPvRmT2_T3_T4_T5_mT6_T7_P12ihipStream_tbENKUlT_T0_E_clISt17integral_constantIbLb0EES11_EEDaSW_SX_EUlSW_E_NS1_11comp_targetILNS1_3genE4ELNS1_11target_archE910ELNS1_3gpuE8ELNS1_3repE0EEENS1_30default_config_static_selectorELNS0_4arch9wavefront6targetE1EEEvT1_, .Lfunc_end1179-_ZN7rocprim17ROCPRIM_400000_NS6detail17trampoline_kernelINS0_14default_configENS1_27scan_by_key_config_selectorIiyEEZZNS1_16scan_by_key_implILNS1_25lookback_scan_determinismE0ELb0ES3_N6thrust23THRUST_200600_302600_NS6detail15normal_iteratorINS9_10device_ptrIiEEEENSB_INSC_IyEEEESG_yNS9_4plusIvEENS9_8equal_toIvEEyEE10hipError_tPvRmT2_T3_T4_T5_mT6_T7_P12ihipStream_tbENKUlT_T0_E_clISt17integral_constantIbLb0EES11_EEDaSW_SX_EUlSW_E_NS1_11comp_targetILNS1_3genE4ELNS1_11target_archE910ELNS1_3gpuE8ELNS1_3repE0EEENS1_30default_config_static_selectorELNS0_4arch9wavefront6targetE1EEEvT1_
                                        ; -- End function
	.section	.AMDGPU.csdata,"",@progbits
; Kernel info:
; codeLenInByte = 16852
; NumSgprs: 100
; NumVgprs: 132
; NumAgprs: 0
; TotalNumVgprs: 132
; ScratchSize: 0
; MemoryBound: 0
; FloatMode: 240
; IeeeMode: 1
; LDSByteSize: 10752 bytes/workgroup (compile time only)
; SGPRBlocks: 12
; VGPRBlocks: 16
; NumSGPRsForWavesPerEU: 100
; NumVGPRsForWavesPerEU: 132
; AccumOffset: 132
; Occupancy: 2
; WaveLimiterHint : 1
; COMPUTE_PGM_RSRC2:SCRATCH_EN: 0
; COMPUTE_PGM_RSRC2:USER_SGPR: 6
; COMPUTE_PGM_RSRC2:TRAP_HANDLER: 0
; COMPUTE_PGM_RSRC2:TGID_X_EN: 1
; COMPUTE_PGM_RSRC2:TGID_Y_EN: 0
; COMPUTE_PGM_RSRC2:TGID_Z_EN: 0
; COMPUTE_PGM_RSRC2:TIDIG_COMP_CNT: 0
; COMPUTE_PGM_RSRC3_GFX90A:ACCUM_OFFSET: 32
; COMPUTE_PGM_RSRC3_GFX90A:TG_SPLIT: 0
	.section	.text._ZN7rocprim17ROCPRIM_400000_NS6detail17trampoline_kernelINS0_14default_configENS1_27scan_by_key_config_selectorIiyEEZZNS1_16scan_by_key_implILNS1_25lookback_scan_determinismE0ELb0ES3_N6thrust23THRUST_200600_302600_NS6detail15normal_iteratorINS9_10device_ptrIiEEEENSB_INSC_IyEEEESG_yNS9_4plusIvEENS9_8equal_toIvEEyEE10hipError_tPvRmT2_T3_T4_T5_mT6_T7_P12ihipStream_tbENKUlT_T0_E_clISt17integral_constantIbLb0EES11_EEDaSW_SX_EUlSW_E_NS1_11comp_targetILNS1_3genE3ELNS1_11target_archE908ELNS1_3gpuE7ELNS1_3repE0EEENS1_30default_config_static_selectorELNS0_4arch9wavefront6targetE1EEEvT1_,"axG",@progbits,_ZN7rocprim17ROCPRIM_400000_NS6detail17trampoline_kernelINS0_14default_configENS1_27scan_by_key_config_selectorIiyEEZZNS1_16scan_by_key_implILNS1_25lookback_scan_determinismE0ELb0ES3_N6thrust23THRUST_200600_302600_NS6detail15normal_iteratorINS9_10device_ptrIiEEEENSB_INSC_IyEEEESG_yNS9_4plusIvEENS9_8equal_toIvEEyEE10hipError_tPvRmT2_T3_T4_T5_mT6_T7_P12ihipStream_tbENKUlT_T0_E_clISt17integral_constantIbLb0EES11_EEDaSW_SX_EUlSW_E_NS1_11comp_targetILNS1_3genE3ELNS1_11target_archE908ELNS1_3gpuE7ELNS1_3repE0EEENS1_30default_config_static_selectorELNS0_4arch9wavefront6targetE1EEEvT1_,comdat
	.protected	_ZN7rocprim17ROCPRIM_400000_NS6detail17trampoline_kernelINS0_14default_configENS1_27scan_by_key_config_selectorIiyEEZZNS1_16scan_by_key_implILNS1_25lookback_scan_determinismE0ELb0ES3_N6thrust23THRUST_200600_302600_NS6detail15normal_iteratorINS9_10device_ptrIiEEEENSB_INSC_IyEEEESG_yNS9_4plusIvEENS9_8equal_toIvEEyEE10hipError_tPvRmT2_T3_T4_T5_mT6_T7_P12ihipStream_tbENKUlT_T0_E_clISt17integral_constantIbLb0EES11_EEDaSW_SX_EUlSW_E_NS1_11comp_targetILNS1_3genE3ELNS1_11target_archE908ELNS1_3gpuE7ELNS1_3repE0EEENS1_30default_config_static_selectorELNS0_4arch9wavefront6targetE1EEEvT1_ ; -- Begin function _ZN7rocprim17ROCPRIM_400000_NS6detail17trampoline_kernelINS0_14default_configENS1_27scan_by_key_config_selectorIiyEEZZNS1_16scan_by_key_implILNS1_25lookback_scan_determinismE0ELb0ES3_N6thrust23THRUST_200600_302600_NS6detail15normal_iteratorINS9_10device_ptrIiEEEENSB_INSC_IyEEEESG_yNS9_4plusIvEENS9_8equal_toIvEEyEE10hipError_tPvRmT2_T3_T4_T5_mT6_T7_P12ihipStream_tbENKUlT_T0_E_clISt17integral_constantIbLb0EES11_EEDaSW_SX_EUlSW_E_NS1_11comp_targetILNS1_3genE3ELNS1_11target_archE908ELNS1_3gpuE7ELNS1_3repE0EEENS1_30default_config_static_selectorELNS0_4arch9wavefront6targetE1EEEvT1_
	.globl	_ZN7rocprim17ROCPRIM_400000_NS6detail17trampoline_kernelINS0_14default_configENS1_27scan_by_key_config_selectorIiyEEZZNS1_16scan_by_key_implILNS1_25lookback_scan_determinismE0ELb0ES3_N6thrust23THRUST_200600_302600_NS6detail15normal_iteratorINS9_10device_ptrIiEEEENSB_INSC_IyEEEESG_yNS9_4plusIvEENS9_8equal_toIvEEyEE10hipError_tPvRmT2_T3_T4_T5_mT6_T7_P12ihipStream_tbENKUlT_T0_E_clISt17integral_constantIbLb0EES11_EEDaSW_SX_EUlSW_E_NS1_11comp_targetILNS1_3genE3ELNS1_11target_archE908ELNS1_3gpuE7ELNS1_3repE0EEENS1_30default_config_static_selectorELNS0_4arch9wavefront6targetE1EEEvT1_
	.p2align	8
	.type	_ZN7rocprim17ROCPRIM_400000_NS6detail17trampoline_kernelINS0_14default_configENS1_27scan_by_key_config_selectorIiyEEZZNS1_16scan_by_key_implILNS1_25lookback_scan_determinismE0ELb0ES3_N6thrust23THRUST_200600_302600_NS6detail15normal_iteratorINS9_10device_ptrIiEEEENSB_INSC_IyEEEESG_yNS9_4plusIvEENS9_8equal_toIvEEyEE10hipError_tPvRmT2_T3_T4_T5_mT6_T7_P12ihipStream_tbENKUlT_T0_E_clISt17integral_constantIbLb0EES11_EEDaSW_SX_EUlSW_E_NS1_11comp_targetILNS1_3genE3ELNS1_11target_archE908ELNS1_3gpuE7ELNS1_3repE0EEENS1_30default_config_static_selectorELNS0_4arch9wavefront6targetE1EEEvT1_,@function
_ZN7rocprim17ROCPRIM_400000_NS6detail17trampoline_kernelINS0_14default_configENS1_27scan_by_key_config_selectorIiyEEZZNS1_16scan_by_key_implILNS1_25lookback_scan_determinismE0ELb0ES3_N6thrust23THRUST_200600_302600_NS6detail15normal_iteratorINS9_10device_ptrIiEEEENSB_INSC_IyEEEESG_yNS9_4plusIvEENS9_8equal_toIvEEyEE10hipError_tPvRmT2_T3_T4_T5_mT6_T7_P12ihipStream_tbENKUlT_T0_E_clISt17integral_constantIbLb0EES11_EEDaSW_SX_EUlSW_E_NS1_11comp_targetILNS1_3genE3ELNS1_11target_archE908ELNS1_3gpuE7ELNS1_3repE0EEENS1_30default_config_static_selectorELNS0_4arch9wavefront6targetE1EEEvT1_: ; @_ZN7rocprim17ROCPRIM_400000_NS6detail17trampoline_kernelINS0_14default_configENS1_27scan_by_key_config_selectorIiyEEZZNS1_16scan_by_key_implILNS1_25lookback_scan_determinismE0ELb0ES3_N6thrust23THRUST_200600_302600_NS6detail15normal_iteratorINS9_10device_ptrIiEEEENSB_INSC_IyEEEESG_yNS9_4plusIvEENS9_8equal_toIvEEyEE10hipError_tPvRmT2_T3_T4_T5_mT6_T7_P12ihipStream_tbENKUlT_T0_E_clISt17integral_constantIbLb0EES11_EEDaSW_SX_EUlSW_E_NS1_11comp_targetILNS1_3genE3ELNS1_11target_archE908ELNS1_3gpuE7ELNS1_3repE0EEENS1_30default_config_static_selectorELNS0_4arch9wavefront6targetE1EEEvT1_
; %bb.0:
	.section	.rodata,"a",@progbits
	.p2align	6, 0x0
	.amdhsa_kernel _ZN7rocprim17ROCPRIM_400000_NS6detail17trampoline_kernelINS0_14default_configENS1_27scan_by_key_config_selectorIiyEEZZNS1_16scan_by_key_implILNS1_25lookback_scan_determinismE0ELb0ES3_N6thrust23THRUST_200600_302600_NS6detail15normal_iteratorINS9_10device_ptrIiEEEENSB_INSC_IyEEEESG_yNS9_4plusIvEENS9_8equal_toIvEEyEE10hipError_tPvRmT2_T3_T4_T5_mT6_T7_P12ihipStream_tbENKUlT_T0_E_clISt17integral_constantIbLb0EES11_EEDaSW_SX_EUlSW_E_NS1_11comp_targetILNS1_3genE3ELNS1_11target_archE908ELNS1_3gpuE7ELNS1_3repE0EEENS1_30default_config_static_selectorELNS0_4arch9wavefront6targetE1EEEvT1_
		.amdhsa_group_segment_fixed_size 0
		.amdhsa_private_segment_fixed_size 0
		.amdhsa_kernarg_size 136
		.amdhsa_user_sgpr_count 6
		.amdhsa_user_sgpr_private_segment_buffer 1
		.amdhsa_user_sgpr_dispatch_ptr 0
		.amdhsa_user_sgpr_queue_ptr 0
		.amdhsa_user_sgpr_kernarg_segment_ptr 1
		.amdhsa_user_sgpr_dispatch_id 0
		.amdhsa_user_sgpr_flat_scratch_init 0
		.amdhsa_user_sgpr_kernarg_preload_length 0
		.amdhsa_user_sgpr_kernarg_preload_offset 0
		.amdhsa_user_sgpr_private_segment_size 0
		.amdhsa_uses_dynamic_stack 0
		.amdhsa_system_sgpr_private_segment_wavefront_offset 0
		.amdhsa_system_sgpr_workgroup_id_x 1
		.amdhsa_system_sgpr_workgroup_id_y 0
		.amdhsa_system_sgpr_workgroup_id_z 0
		.amdhsa_system_sgpr_workgroup_info 0
		.amdhsa_system_vgpr_workitem_id 0
		.amdhsa_next_free_vgpr 1
		.amdhsa_next_free_sgpr 0
		.amdhsa_accum_offset 4
		.amdhsa_reserve_vcc 0
		.amdhsa_reserve_flat_scratch 0
		.amdhsa_float_round_mode_32 0
		.amdhsa_float_round_mode_16_64 0
		.amdhsa_float_denorm_mode_32 3
		.amdhsa_float_denorm_mode_16_64 3
		.amdhsa_dx10_clamp 1
		.amdhsa_ieee_mode 1
		.amdhsa_fp16_overflow 0
		.amdhsa_tg_split 0
		.amdhsa_exception_fp_ieee_invalid_op 0
		.amdhsa_exception_fp_denorm_src 0
		.amdhsa_exception_fp_ieee_div_zero 0
		.amdhsa_exception_fp_ieee_overflow 0
		.amdhsa_exception_fp_ieee_underflow 0
		.amdhsa_exception_fp_ieee_inexact 0
		.amdhsa_exception_int_div_zero 0
	.end_amdhsa_kernel
	.section	.text._ZN7rocprim17ROCPRIM_400000_NS6detail17trampoline_kernelINS0_14default_configENS1_27scan_by_key_config_selectorIiyEEZZNS1_16scan_by_key_implILNS1_25lookback_scan_determinismE0ELb0ES3_N6thrust23THRUST_200600_302600_NS6detail15normal_iteratorINS9_10device_ptrIiEEEENSB_INSC_IyEEEESG_yNS9_4plusIvEENS9_8equal_toIvEEyEE10hipError_tPvRmT2_T3_T4_T5_mT6_T7_P12ihipStream_tbENKUlT_T0_E_clISt17integral_constantIbLb0EES11_EEDaSW_SX_EUlSW_E_NS1_11comp_targetILNS1_3genE3ELNS1_11target_archE908ELNS1_3gpuE7ELNS1_3repE0EEENS1_30default_config_static_selectorELNS0_4arch9wavefront6targetE1EEEvT1_,"axG",@progbits,_ZN7rocprim17ROCPRIM_400000_NS6detail17trampoline_kernelINS0_14default_configENS1_27scan_by_key_config_selectorIiyEEZZNS1_16scan_by_key_implILNS1_25lookback_scan_determinismE0ELb0ES3_N6thrust23THRUST_200600_302600_NS6detail15normal_iteratorINS9_10device_ptrIiEEEENSB_INSC_IyEEEESG_yNS9_4plusIvEENS9_8equal_toIvEEyEE10hipError_tPvRmT2_T3_T4_T5_mT6_T7_P12ihipStream_tbENKUlT_T0_E_clISt17integral_constantIbLb0EES11_EEDaSW_SX_EUlSW_E_NS1_11comp_targetILNS1_3genE3ELNS1_11target_archE908ELNS1_3gpuE7ELNS1_3repE0EEENS1_30default_config_static_selectorELNS0_4arch9wavefront6targetE1EEEvT1_,comdat
.Lfunc_end1180:
	.size	_ZN7rocprim17ROCPRIM_400000_NS6detail17trampoline_kernelINS0_14default_configENS1_27scan_by_key_config_selectorIiyEEZZNS1_16scan_by_key_implILNS1_25lookback_scan_determinismE0ELb0ES3_N6thrust23THRUST_200600_302600_NS6detail15normal_iteratorINS9_10device_ptrIiEEEENSB_INSC_IyEEEESG_yNS9_4plusIvEENS9_8equal_toIvEEyEE10hipError_tPvRmT2_T3_T4_T5_mT6_T7_P12ihipStream_tbENKUlT_T0_E_clISt17integral_constantIbLb0EES11_EEDaSW_SX_EUlSW_E_NS1_11comp_targetILNS1_3genE3ELNS1_11target_archE908ELNS1_3gpuE7ELNS1_3repE0EEENS1_30default_config_static_selectorELNS0_4arch9wavefront6targetE1EEEvT1_, .Lfunc_end1180-_ZN7rocprim17ROCPRIM_400000_NS6detail17trampoline_kernelINS0_14default_configENS1_27scan_by_key_config_selectorIiyEEZZNS1_16scan_by_key_implILNS1_25lookback_scan_determinismE0ELb0ES3_N6thrust23THRUST_200600_302600_NS6detail15normal_iteratorINS9_10device_ptrIiEEEENSB_INSC_IyEEEESG_yNS9_4plusIvEENS9_8equal_toIvEEyEE10hipError_tPvRmT2_T3_T4_T5_mT6_T7_P12ihipStream_tbENKUlT_T0_E_clISt17integral_constantIbLb0EES11_EEDaSW_SX_EUlSW_E_NS1_11comp_targetILNS1_3genE3ELNS1_11target_archE908ELNS1_3gpuE7ELNS1_3repE0EEENS1_30default_config_static_selectorELNS0_4arch9wavefront6targetE1EEEvT1_
                                        ; -- End function
	.section	.AMDGPU.csdata,"",@progbits
; Kernel info:
; codeLenInByte = 0
; NumSgprs: 4
; NumVgprs: 0
; NumAgprs: 0
; TotalNumVgprs: 0
; ScratchSize: 0
; MemoryBound: 0
; FloatMode: 240
; IeeeMode: 1
; LDSByteSize: 0 bytes/workgroup (compile time only)
; SGPRBlocks: 0
; VGPRBlocks: 0
; NumSGPRsForWavesPerEU: 4
; NumVGPRsForWavesPerEU: 1
; AccumOffset: 4
; Occupancy: 8
; WaveLimiterHint : 0
; COMPUTE_PGM_RSRC2:SCRATCH_EN: 0
; COMPUTE_PGM_RSRC2:USER_SGPR: 6
; COMPUTE_PGM_RSRC2:TRAP_HANDLER: 0
; COMPUTE_PGM_RSRC2:TGID_X_EN: 1
; COMPUTE_PGM_RSRC2:TGID_Y_EN: 0
; COMPUTE_PGM_RSRC2:TGID_Z_EN: 0
; COMPUTE_PGM_RSRC2:TIDIG_COMP_CNT: 0
; COMPUTE_PGM_RSRC3_GFX90A:ACCUM_OFFSET: 0
; COMPUTE_PGM_RSRC3_GFX90A:TG_SPLIT: 0
	.section	.text._ZN7rocprim17ROCPRIM_400000_NS6detail17trampoline_kernelINS0_14default_configENS1_27scan_by_key_config_selectorIiyEEZZNS1_16scan_by_key_implILNS1_25lookback_scan_determinismE0ELb0ES3_N6thrust23THRUST_200600_302600_NS6detail15normal_iteratorINS9_10device_ptrIiEEEENSB_INSC_IyEEEESG_yNS9_4plusIvEENS9_8equal_toIvEEyEE10hipError_tPvRmT2_T3_T4_T5_mT6_T7_P12ihipStream_tbENKUlT_T0_E_clISt17integral_constantIbLb0EES11_EEDaSW_SX_EUlSW_E_NS1_11comp_targetILNS1_3genE2ELNS1_11target_archE906ELNS1_3gpuE6ELNS1_3repE0EEENS1_30default_config_static_selectorELNS0_4arch9wavefront6targetE1EEEvT1_,"axG",@progbits,_ZN7rocprim17ROCPRIM_400000_NS6detail17trampoline_kernelINS0_14default_configENS1_27scan_by_key_config_selectorIiyEEZZNS1_16scan_by_key_implILNS1_25lookback_scan_determinismE0ELb0ES3_N6thrust23THRUST_200600_302600_NS6detail15normal_iteratorINS9_10device_ptrIiEEEENSB_INSC_IyEEEESG_yNS9_4plusIvEENS9_8equal_toIvEEyEE10hipError_tPvRmT2_T3_T4_T5_mT6_T7_P12ihipStream_tbENKUlT_T0_E_clISt17integral_constantIbLb0EES11_EEDaSW_SX_EUlSW_E_NS1_11comp_targetILNS1_3genE2ELNS1_11target_archE906ELNS1_3gpuE6ELNS1_3repE0EEENS1_30default_config_static_selectorELNS0_4arch9wavefront6targetE1EEEvT1_,comdat
	.protected	_ZN7rocprim17ROCPRIM_400000_NS6detail17trampoline_kernelINS0_14default_configENS1_27scan_by_key_config_selectorIiyEEZZNS1_16scan_by_key_implILNS1_25lookback_scan_determinismE0ELb0ES3_N6thrust23THRUST_200600_302600_NS6detail15normal_iteratorINS9_10device_ptrIiEEEENSB_INSC_IyEEEESG_yNS9_4plusIvEENS9_8equal_toIvEEyEE10hipError_tPvRmT2_T3_T4_T5_mT6_T7_P12ihipStream_tbENKUlT_T0_E_clISt17integral_constantIbLb0EES11_EEDaSW_SX_EUlSW_E_NS1_11comp_targetILNS1_3genE2ELNS1_11target_archE906ELNS1_3gpuE6ELNS1_3repE0EEENS1_30default_config_static_selectorELNS0_4arch9wavefront6targetE1EEEvT1_ ; -- Begin function _ZN7rocprim17ROCPRIM_400000_NS6detail17trampoline_kernelINS0_14default_configENS1_27scan_by_key_config_selectorIiyEEZZNS1_16scan_by_key_implILNS1_25lookback_scan_determinismE0ELb0ES3_N6thrust23THRUST_200600_302600_NS6detail15normal_iteratorINS9_10device_ptrIiEEEENSB_INSC_IyEEEESG_yNS9_4plusIvEENS9_8equal_toIvEEyEE10hipError_tPvRmT2_T3_T4_T5_mT6_T7_P12ihipStream_tbENKUlT_T0_E_clISt17integral_constantIbLb0EES11_EEDaSW_SX_EUlSW_E_NS1_11comp_targetILNS1_3genE2ELNS1_11target_archE906ELNS1_3gpuE6ELNS1_3repE0EEENS1_30default_config_static_selectorELNS0_4arch9wavefront6targetE1EEEvT1_
	.globl	_ZN7rocprim17ROCPRIM_400000_NS6detail17trampoline_kernelINS0_14default_configENS1_27scan_by_key_config_selectorIiyEEZZNS1_16scan_by_key_implILNS1_25lookback_scan_determinismE0ELb0ES3_N6thrust23THRUST_200600_302600_NS6detail15normal_iteratorINS9_10device_ptrIiEEEENSB_INSC_IyEEEESG_yNS9_4plusIvEENS9_8equal_toIvEEyEE10hipError_tPvRmT2_T3_T4_T5_mT6_T7_P12ihipStream_tbENKUlT_T0_E_clISt17integral_constantIbLb0EES11_EEDaSW_SX_EUlSW_E_NS1_11comp_targetILNS1_3genE2ELNS1_11target_archE906ELNS1_3gpuE6ELNS1_3repE0EEENS1_30default_config_static_selectorELNS0_4arch9wavefront6targetE1EEEvT1_
	.p2align	8
	.type	_ZN7rocprim17ROCPRIM_400000_NS6detail17trampoline_kernelINS0_14default_configENS1_27scan_by_key_config_selectorIiyEEZZNS1_16scan_by_key_implILNS1_25lookback_scan_determinismE0ELb0ES3_N6thrust23THRUST_200600_302600_NS6detail15normal_iteratorINS9_10device_ptrIiEEEENSB_INSC_IyEEEESG_yNS9_4plusIvEENS9_8equal_toIvEEyEE10hipError_tPvRmT2_T3_T4_T5_mT6_T7_P12ihipStream_tbENKUlT_T0_E_clISt17integral_constantIbLb0EES11_EEDaSW_SX_EUlSW_E_NS1_11comp_targetILNS1_3genE2ELNS1_11target_archE906ELNS1_3gpuE6ELNS1_3repE0EEENS1_30default_config_static_selectorELNS0_4arch9wavefront6targetE1EEEvT1_,@function
_ZN7rocprim17ROCPRIM_400000_NS6detail17trampoline_kernelINS0_14default_configENS1_27scan_by_key_config_selectorIiyEEZZNS1_16scan_by_key_implILNS1_25lookback_scan_determinismE0ELb0ES3_N6thrust23THRUST_200600_302600_NS6detail15normal_iteratorINS9_10device_ptrIiEEEENSB_INSC_IyEEEESG_yNS9_4plusIvEENS9_8equal_toIvEEyEE10hipError_tPvRmT2_T3_T4_T5_mT6_T7_P12ihipStream_tbENKUlT_T0_E_clISt17integral_constantIbLb0EES11_EEDaSW_SX_EUlSW_E_NS1_11comp_targetILNS1_3genE2ELNS1_11target_archE906ELNS1_3gpuE6ELNS1_3repE0EEENS1_30default_config_static_selectorELNS0_4arch9wavefront6targetE1EEEvT1_: ; @_ZN7rocprim17ROCPRIM_400000_NS6detail17trampoline_kernelINS0_14default_configENS1_27scan_by_key_config_selectorIiyEEZZNS1_16scan_by_key_implILNS1_25lookback_scan_determinismE0ELb0ES3_N6thrust23THRUST_200600_302600_NS6detail15normal_iteratorINS9_10device_ptrIiEEEENSB_INSC_IyEEEESG_yNS9_4plusIvEENS9_8equal_toIvEEyEE10hipError_tPvRmT2_T3_T4_T5_mT6_T7_P12ihipStream_tbENKUlT_T0_E_clISt17integral_constantIbLb0EES11_EEDaSW_SX_EUlSW_E_NS1_11comp_targetILNS1_3genE2ELNS1_11target_archE906ELNS1_3gpuE6ELNS1_3repE0EEENS1_30default_config_static_selectorELNS0_4arch9wavefront6targetE1EEEvT1_
; %bb.0:
	.section	.rodata,"a",@progbits
	.p2align	6, 0x0
	.amdhsa_kernel _ZN7rocprim17ROCPRIM_400000_NS6detail17trampoline_kernelINS0_14default_configENS1_27scan_by_key_config_selectorIiyEEZZNS1_16scan_by_key_implILNS1_25lookback_scan_determinismE0ELb0ES3_N6thrust23THRUST_200600_302600_NS6detail15normal_iteratorINS9_10device_ptrIiEEEENSB_INSC_IyEEEESG_yNS9_4plusIvEENS9_8equal_toIvEEyEE10hipError_tPvRmT2_T3_T4_T5_mT6_T7_P12ihipStream_tbENKUlT_T0_E_clISt17integral_constantIbLb0EES11_EEDaSW_SX_EUlSW_E_NS1_11comp_targetILNS1_3genE2ELNS1_11target_archE906ELNS1_3gpuE6ELNS1_3repE0EEENS1_30default_config_static_selectorELNS0_4arch9wavefront6targetE1EEEvT1_
		.amdhsa_group_segment_fixed_size 0
		.amdhsa_private_segment_fixed_size 0
		.amdhsa_kernarg_size 136
		.amdhsa_user_sgpr_count 6
		.amdhsa_user_sgpr_private_segment_buffer 1
		.amdhsa_user_sgpr_dispatch_ptr 0
		.amdhsa_user_sgpr_queue_ptr 0
		.amdhsa_user_sgpr_kernarg_segment_ptr 1
		.amdhsa_user_sgpr_dispatch_id 0
		.amdhsa_user_sgpr_flat_scratch_init 0
		.amdhsa_user_sgpr_kernarg_preload_length 0
		.amdhsa_user_sgpr_kernarg_preload_offset 0
		.amdhsa_user_sgpr_private_segment_size 0
		.amdhsa_uses_dynamic_stack 0
		.amdhsa_system_sgpr_private_segment_wavefront_offset 0
		.amdhsa_system_sgpr_workgroup_id_x 1
		.amdhsa_system_sgpr_workgroup_id_y 0
		.amdhsa_system_sgpr_workgroup_id_z 0
		.amdhsa_system_sgpr_workgroup_info 0
		.amdhsa_system_vgpr_workitem_id 0
		.amdhsa_next_free_vgpr 1
		.amdhsa_next_free_sgpr 0
		.amdhsa_accum_offset 4
		.amdhsa_reserve_vcc 0
		.amdhsa_reserve_flat_scratch 0
		.amdhsa_float_round_mode_32 0
		.amdhsa_float_round_mode_16_64 0
		.amdhsa_float_denorm_mode_32 3
		.amdhsa_float_denorm_mode_16_64 3
		.amdhsa_dx10_clamp 1
		.amdhsa_ieee_mode 1
		.amdhsa_fp16_overflow 0
		.amdhsa_tg_split 0
		.amdhsa_exception_fp_ieee_invalid_op 0
		.amdhsa_exception_fp_denorm_src 0
		.amdhsa_exception_fp_ieee_div_zero 0
		.amdhsa_exception_fp_ieee_overflow 0
		.amdhsa_exception_fp_ieee_underflow 0
		.amdhsa_exception_fp_ieee_inexact 0
		.amdhsa_exception_int_div_zero 0
	.end_amdhsa_kernel
	.section	.text._ZN7rocprim17ROCPRIM_400000_NS6detail17trampoline_kernelINS0_14default_configENS1_27scan_by_key_config_selectorIiyEEZZNS1_16scan_by_key_implILNS1_25lookback_scan_determinismE0ELb0ES3_N6thrust23THRUST_200600_302600_NS6detail15normal_iteratorINS9_10device_ptrIiEEEENSB_INSC_IyEEEESG_yNS9_4plusIvEENS9_8equal_toIvEEyEE10hipError_tPvRmT2_T3_T4_T5_mT6_T7_P12ihipStream_tbENKUlT_T0_E_clISt17integral_constantIbLb0EES11_EEDaSW_SX_EUlSW_E_NS1_11comp_targetILNS1_3genE2ELNS1_11target_archE906ELNS1_3gpuE6ELNS1_3repE0EEENS1_30default_config_static_selectorELNS0_4arch9wavefront6targetE1EEEvT1_,"axG",@progbits,_ZN7rocprim17ROCPRIM_400000_NS6detail17trampoline_kernelINS0_14default_configENS1_27scan_by_key_config_selectorIiyEEZZNS1_16scan_by_key_implILNS1_25lookback_scan_determinismE0ELb0ES3_N6thrust23THRUST_200600_302600_NS6detail15normal_iteratorINS9_10device_ptrIiEEEENSB_INSC_IyEEEESG_yNS9_4plusIvEENS9_8equal_toIvEEyEE10hipError_tPvRmT2_T3_T4_T5_mT6_T7_P12ihipStream_tbENKUlT_T0_E_clISt17integral_constantIbLb0EES11_EEDaSW_SX_EUlSW_E_NS1_11comp_targetILNS1_3genE2ELNS1_11target_archE906ELNS1_3gpuE6ELNS1_3repE0EEENS1_30default_config_static_selectorELNS0_4arch9wavefront6targetE1EEEvT1_,comdat
.Lfunc_end1181:
	.size	_ZN7rocprim17ROCPRIM_400000_NS6detail17trampoline_kernelINS0_14default_configENS1_27scan_by_key_config_selectorIiyEEZZNS1_16scan_by_key_implILNS1_25lookback_scan_determinismE0ELb0ES3_N6thrust23THRUST_200600_302600_NS6detail15normal_iteratorINS9_10device_ptrIiEEEENSB_INSC_IyEEEESG_yNS9_4plusIvEENS9_8equal_toIvEEyEE10hipError_tPvRmT2_T3_T4_T5_mT6_T7_P12ihipStream_tbENKUlT_T0_E_clISt17integral_constantIbLb0EES11_EEDaSW_SX_EUlSW_E_NS1_11comp_targetILNS1_3genE2ELNS1_11target_archE906ELNS1_3gpuE6ELNS1_3repE0EEENS1_30default_config_static_selectorELNS0_4arch9wavefront6targetE1EEEvT1_, .Lfunc_end1181-_ZN7rocprim17ROCPRIM_400000_NS6detail17trampoline_kernelINS0_14default_configENS1_27scan_by_key_config_selectorIiyEEZZNS1_16scan_by_key_implILNS1_25lookback_scan_determinismE0ELb0ES3_N6thrust23THRUST_200600_302600_NS6detail15normal_iteratorINS9_10device_ptrIiEEEENSB_INSC_IyEEEESG_yNS9_4plusIvEENS9_8equal_toIvEEyEE10hipError_tPvRmT2_T3_T4_T5_mT6_T7_P12ihipStream_tbENKUlT_T0_E_clISt17integral_constantIbLb0EES11_EEDaSW_SX_EUlSW_E_NS1_11comp_targetILNS1_3genE2ELNS1_11target_archE906ELNS1_3gpuE6ELNS1_3repE0EEENS1_30default_config_static_selectorELNS0_4arch9wavefront6targetE1EEEvT1_
                                        ; -- End function
	.section	.AMDGPU.csdata,"",@progbits
; Kernel info:
; codeLenInByte = 0
; NumSgprs: 4
; NumVgprs: 0
; NumAgprs: 0
; TotalNumVgprs: 0
; ScratchSize: 0
; MemoryBound: 0
; FloatMode: 240
; IeeeMode: 1
; LDSByteSize: 0 bytes/workgroup (compile time only)
; SGPRBlocks: 0
; VGPRBlocks: 0
; NumSGPRsForWavesPerEU: 4
; NumVGPRsForWavesPerEU: 1
; AccumOffset: 4
; Occupancy: 8
; WaveLimiterHint : 0
; COMPUTE_PGM_RSRC2:SCRATCH_EN: 0
; COMPUTE_PGM_RSRC2:USER_SGPR: 6
; COMPUTE_PGM_RSRC2:TRAP_HANDLER: 0
; COMPUTE_PGM_RSRC2:TGID_X_EN: 1
; COMPUTE_PGM_RSRC2:TGID_Y_EN: 0
; COMPUTE_PGM_RSRC2:TGID_Z_EN: 0
; COMPUTE_PGM_RSRC2:TIDIG_COMP_CNT: 0
; COMPUTE_PGM_RSRC3_GFX90A:ACCUM_OFFSET: 0
; COMPUTE_PGM_RSRC3_GFX90A:TG_SPLIT: 0
	.section	.text._ZN7rocprim17ROCPRIM_400000_NS6detail17trampoline_kernelINS0_14default_configENS1_27scan_by_key_config_selectorIiyEEZZNS1_16scan_by_key_implILNS1_25lookback_scan_determinismE0ELb0ES3_N6thrust23THRUST_200600_302600_NS6detail15normal_iteratorINS9_10device_ptrIiEEEENSB_INSC_IyEEEESG_yNS9_4plusIvEENS9_8equal_toIvEEyEE10hipError_tPvRmT2_T3_T4_T5_mT6_T7_P12ihipStream_tbENKUlT_T0_E_clISt17integral_constantIbLb0EES11_EEDaSW_SX_EUlSW_E_NS1_11comp_targetILNS1_3genE10ELNS1_11target_archE1200ELNS1_3gpuE4ELNS1_3repE0EEENS1_30default_config_static_selectorELNS0_4arch9wavefront6targetE1EEEvT1_,"axG",@progbits,_ZN7rocprim17ROCPRIM_400000_NS6detail17trampoline_kernelINS0_14default_configENS1_27scan_by_key_config_selectorIiyEEZZNS1_16scan_by_key_implILNS1_25lookback_scan_determinismE0ELb0ES3_N6thrust23THRUST_200600_302600_NS6detail15normal_iteratorINS9_10device_ptrIiEEEENSB_INSC_IyEEEESG_yNS9_4plusIvEENS9_8equal_toIvEEyEE10hipError_tPvRmT2_T3_T4_T5_mT6_T7_P12ihipStream_tbENKUlT_T0_E_clISt17integral_constantIbLb0EES11_EEDaSW_SX_EUlSW_E_NS1_11comp_targetILNS1_3genE10ELNS1_11target_archE1200ELNS1_3gpuE4ELNS1_3repE0EEENS1_30default_config_static_selectorELNS0_4arch9wavefront6targetE1EEEvT1_,comdat
	.protected	_ZN7rocprim17ROCPRIM_400000_NS6detail17trampoline_kernelINS0_14default_configENS1_27scan_by_key_config_selectorIiyEEZZNS1_16scan_by_key_implILNS1_25lookback_scan_determinismE0ELb0ES3_N6thrust23THRUST_200600_302600_NS6detail15normal_iteratorINS9_10device_ptrIiEEEENSB_INSC_IyEEEESG_yNS9_4plusIvEENS9_8equal_toIvEEyEE10hipError_tPvRmT2_T3_T4_T5_mT6_T7_P12ihipStream_tbENKUlT_T0_E_clISt17integral_constantIbLb0EES11_EEDaSW_SX_EUlSW_E_NS1_11comp_targetILNS1_3genE10ELNS1_11target_archE1200ELNS1_3gpuE4ELNS1_3repE0EEENS1_30default_config_static_selectorELNS0_4arch9wavefront6targetE1EEEvT1_ ; -- Begin function _ZN7rocprim17ROCPRIM_400000_NS6detail17trampoline_kernelINS0_14default_configENS1_27scan_by_key_config_selectorIiyEEZZNS1_16scan_by_key_implILNS1_25lookback_scan_determinismE0ELb0ES3_N6thrust23THRUST_200600_302600_NS6detail15normal_iteratorINS9_10device_ptrIiEEEENSB_INSC_IyEEEESG_yNS9_4plusIvEENS9_8equal_toIvEEyEE10hipError_tPvRmT2_T3_T4_T5_mT6_T7_P12ihipStream_tbENKUlT_T0_E_clISt17integral_constantIbLb0EES11_EEDaSW_SX_EUlSW_E_NS1_11comp_targetILNS1_3genE10ELNS1_11target_archE1200ELNS1_3gpuE4ELNS1_3repE0EEENS1_30default_config_static_selectorELNS0_4arch9wavefront6targetE1EEEvT1_
	.globl	_ZN7rocprim17ROCPRIM_400000_NS6detail17trampoline_kernelINS0_14default_configENS1_27scan_by_key_config_selectorIiyEEZZNS1_16scan_by_key_implILNS1_25lookback_scan_determinismE0ELb0ES3_N6thrust23THRUST_200600_302600_NS6detail15normal_iteratorINS9_10device_ptrIiEEEENSB_INSC_IyEEEESG_yNS9_4plusIvEENS9_8equal_toIvEEyEE10hipError_tPvRmT2_T3_T4_T5_mT6_T7_P12ihipStream_tbENKUlT_T0_E_clISt17integral_constantIbLb0EES11_EEDaSW_SX_EUlSW_E_NS1_11comp_targetILNS1_3genE10ELNS1_11target_archE1200ELNS1_3gpuE4ELNS1_3repE0EEENS1_30default_config_static_selectorELNS0_4arch9wavefront6targetE1EEEvT1_
	.p2align	8
	.type	_ZN7rocprim17ROCPRIM_400000_NS6detail17trampoline_kernelINS0_14default_configENS1_27scan_by_key_config_selectorIiyEEZZNS1_16scan_by_key_implILNS1_25lookback_scan_determinismE0ELb0ES3_N6thrust23THRUST_200600_302600_NS6detail15normal_iteratorINS9_10device_ptrIiEEEENSB_INSC_IyEEEESG_yNS9_4plusIvEENS9_8equal_toIvEEyEE10hipError_tPvRmT2_T3_T4_T5_mT6_T7_P12ihipStream_tbENKUlT_T0_E_clISt17integral_constantIbLb0EES11_EEDaSW_SX_EUlSW_E_NS1_11comp_targetILNS1_3genE10ELNS1_11target_archE1200ELNS1_3gpuE4ELNS1_3repE0EEENS1_30default_config_static_selectorELNS0_4arch9wavefront6targetE1EEEvT1_,@function
_ZN7rocprim17ROCPRIM_400000_NS6detail17trampoline_kernelINS0_14default_configENS1_27scan_by_key_config_selectorIiyEEZZNS1_16scan_by_key_implILNS1_25lookback_scan_determinismE0ELb0ES3_N6thrust23THRUST_200600_302600_NS6detail15normal_iteratorINS9_10device_ptrIiEEEENSB_INSC_IyEEEESG_yNS9_4plusIvEENS9_8equal_toIvEEyEE10hipError_tPvRmT2_T3_T4_T5_mT6_T7_P12ihipStream_tbENKUlT_T0_E_clISt17integral_constantIbLb0EES11_EEDaSW_SX_EUlSW_E_NS1_11comp_targetILNS1_3genE10ELNS1_11target_archE1200ELNS1_3gpuE4ELNS1_3repE0EEENS1_30default_config_static_selectorELNS0_4arch9wavefront6targetE1EEEvT1_: ; @_ZN7rocprim17ROCPRIM_400000_NS6detail17trampoline_kernelINS0_14default_configENS1_27scan_by_key_config_selectorIiyEEZZNS1_16scan_by_key_implILNS1_25lookback_scan_determinismE0ELb0ES3_N6thrust23THRUST_200600_302600_NS6detail15normal_iteratorINS9_10device_ptrIiEEEENSB_INSC_IyEEEESG_yNS9_4plusIvEENS9_8equal_toIvEEyEE10hipError_tPvRmT2_T3_T4_T5_mT6_T7_P12ihipStream_tbENKUlT_T0_E_clISt17integral_constantIbLb0EES11_EEDaSW_SX_EUlSW_E_NS1_11comp_targetILNS1_3genE10ELNS1_11target_archE1200ELNS1_3gpuE4ELNS1_3repE0EEENS1_30default_config_static_selectorELNS0_4arch9wavefront6targetE1EEEvT1_
; %bb.0:
	.section	.rodata,"a",@progbits
	.p2align	6, 0x0
	.amdhsa_kernel _ZN7rocprim17ROCPRIM_400000_NS6detail17trampoline_kernelINS0_14default_configENS1_27scan_by_key_config_selectorIiyEEZZNS1_16scan_by_key_implILNS1_25lookback_scan_determinismE0ELb0ES3_N6thrust23THRUST_200600_302600_NS6detail15normal_iteratorINS9_10device_ptrIiEEEENSB_INSC_IyEEEESG_yNS9_4plusIvEENS9_8equal_toIvEEyEE10hipError_tPvRmT2_T3_T4_T5_mT6_T7_P12ihipStream_tbENKUlT_T0_E_clISt17integral_constantIbLb0EES11_EEDaSW_SX_EUlSW_E_NS1_11comp_targetILNS1_3genE10ELNS1_11target_archE1200ELNS1_3gpuE4ELNS1_3repE0EEENS1_30default_config_static_selectorELNS0_4arch9wavefront6targetE1EEEvT1_
		.amdhsa_group_segment_fixed_size 0
		.amdhsa_private_segment_fixed_size 0
		.amdhsa_kernarg_size 136
		.amdhsa_user_sgpr_count 6
		.amdhsa_user_sgpr_private_segment_buffer 1
		.amdhsa_user_sgpr_dispatch_ptr 0
		.amdhsa_user_sgpr_queue_ptr 0
		.amdhsa_user_sgpr_kernarg_segment_ptr 1
		.amdhsa_user_sgpr_dispatch_id 0
		.amdhsa_user_sgpr_flat_scratch_init 0
		.amdhsa_user_sgpr_kernarg_preload_length 0
		.amdhsa_user_sgpr_kernarg_preload_offset 0
		.amdhsa_user_sgpr_private_segment_size 0
		.amdhsa_uses_dynamic_stack 0
		.amdhsa_system_sgpr_private_segment_wavefront_offset 0
		.amdhsa_system_sgpr_workgroup_id_x 1
		.amdhsa_system_sgpr_workgroup_id_y 0
		.amdhsa_system_sgpr_workgroup_id_z 0
		.amdhsa_system_sgpr_workgroup_info 0
		.amdhsa_system_vgpr_workitem_id 0
		.amdhsa_next_free_vgpr 1
		.amdhsa_next_free_sgpr 0
		.amdhsa_accum_offset 4
		.amdhsa_reserve_vcc 0
		.amdhsa_reserve_flat_scratch 0
		.amdhsa_float_round_mode_32 0
		.amdhsa_float_round_mode_16_64 0
		.amdhsa_float_denorm_mode_32 3
		.amdhsa_float_denorm_mode_16_64 3
		.amdhsa_dx10_clamp 1
		.amdhsa_ieee_mode 1
		.amdhsa_fp16_overflow 0
		.amdhsa_tg_split 0
		.amdhsa_exception_fp_ieee_invalid_op 0
		.amdhsa_exception_fp_denorm_src 0
		.amdhsa_exception_fp_ieee_div_zero 0
		.amdhsa_exception_fp_ieee_overflow 0
		.amdhsa_exception_fp_ieee_underflow 0
		.amdhsa_exception_fp_ieee_inexact 0
		.amdhsa_exception_int_div_zero 0
	.end_amdhsa_kernel
	.section	.text._ZN7rocprim17ROCPRIM_400000_NS6detail17trampoline_kernelINS0_14default_configENS1_27scan_by_key_config_selectorIiyEEZZNS1_16scan_by_key_implILNS1_25lookback_scan_determinismE0ELb0ES3_N6thrust23THRUST_200600_302600_NS6detail15normal_iteratorINS9_10device_ptrIiEEEENSB_INSC_IyEEEESG_yNS9_4plusIvEENS9_8equal_toIvEEyEE10hipError_tPvRmT2_T3_T4_T5_mT6_T7_P12ihipStream_tbENKUlT_T0_E_clISt17integral_constantIbLb0EES11_EEDaSW_SX_EUlSW_E_NS1_11comp_targetILNS1_3genE10ELNS1_11target_archE1200ELNS1_3gpuE4ELNS1_3repE0EEENS1_30default_config_static_selectorELNS0_4arch9wavefront6targetE1EEEvT1_,"axG",@progbits,_ZN7rocprim17ROCPRIM_400000_NS6detail17trampoline_kernelINS0_14default_configENS1_27scan_by_key_config_selectorIiyEEZZNS1_16scan_by_key_implILNS1_25lookback_scan_determinismE0ELb0ES3_N6thrust23THRUST_200600_302600_NS6detail15normal_iteratorINS9_10device_ptrIiEEEENSB_INSC_IyEEEESG_yNS9_4plusIvEENS9_8equal_toIvEEyEE10hipError_tPvRmT2_T3_T4_T5_mT6_T7_P12ihipStream_tbENKUlT_T0_E_clISt17integral_constantIbLb0EES11_EEDaSW_SX_EUlSW_E_NS1_11comp_targetILNS1_3genE10ELNS1_11target_archE1200ELNS1_3gpuE4ELNS1_3repE0EEENS1_30default_config_static_selectorELNS0_4arch9wavefront6targetE1EEEvT1_,comdat
.Lfunc_end1182:
	.size	_ZN7rocprim17ROCPRIM_400000_NS6detail17trampoline_kernelINS0_14default_configENS1_27scan_by_key_config_selectorIiyEEZZNS1_16scan_by_key_implILNS1_25lookback_scan_determinismE0ELb0ES3_N6thrust23THRUST_200600_302600_NS6detail15normal_iteratorINS9_10device_ptrIiEEEENSB_INSC_IyEEEESG_yNS9_4plusIvEENS9_8equal_toIvEEyEE10hipError_tPvRmT2_T3_T4_T5_mT6_T7_P12ihipStream_tbENKUlT_T0_E_clISt17integral_constantIbLb0EES11_EEDaSW_SX_EUlSW_E_NS1_11comp_targetILNS1_3genE10ELNS1_11target_archE1200ELNS1_3gpuE4ELNS1_3repE0EEENS1_30default_config_static_selectorELNS0_4arch9wavefront6targetE1EEEvT1_, .Lfunc_end1182-_ZN7rocprim17ROCPRIM_400000_NS6detail17trampoline_kernelINS0_14default_configENS1_27scan_by_key_config_selectorIiyEEZZNS1_16scan_by_key_implILNS1_25lookback_scan_determinismE0ELb0ES3_N6thrust23THRUST_200600_302600_NS6detail15normal_iteratorINS9_10device_ptrIiEEEENSB_INSC_IyEEEESG_yNS9_4plusIvEENS9_8equal_toIvEEyEE10hipError_tPvRmT2_T3_T4_T5_mT6_T7_P12ihipStream_tbENKUlT_T0_E_clISt17integral_constantIbLb0EES11_EEDaSW_SX_EUlSW_E_NS1_11comp_targetILNS1_3genE10ELNS1_11target_archE1200ELNS1_3gpuE4ELNS1_3repE0EEENS1_30default_config_static_selectorELNS0_4arch9wavefront6targetE1EEEvT1_
                                        ; -- End function
	.section	.AMDGPU.csdata,"",@progbits
; Kernel info:
; codeLenInByte = 0
; NumSgprs: 4
; NumVgprs: 0
; NumAgprs: 0
; TotalNumVgprs: 0
; ScratchSize: 0
; MemoryBound: 0
; FloatMode: 240
; IeeeMode: 1
; LDSByteSize: 0 bytes/workgroup (compile time only)
; SGPRBlocks: 0
; VGPRBlocks: 0
; NumSGPRsForWavesPerEU: 4
; NumVGPRsForWavesPerEU: 1
; AccumOffset: 4
; Occupancy: 8
; WaveLimiterHint : 0
; COMPUTE_PGM_RSRC2:SCRATCH_EN: 0
; COMPUTE_PGM_RSRC2:USER_SGPR: 6
; COMPUTE_PGM_RSRC2:TRAP_HANDLER: 0
; COMPUTE_PGM_RSRC2:TGID_X_EN: 1
; COMPUTE_PGM_RSRC2:TGID_Y_EN: 0
; COMPUTE_PGM_RSRC2:TGID_Z_EN: 0
; COMPUTE_PGM_RSRC2:TIDIG_COMP_CNT: 0
; COMPUTE_PGM_RSRC3_GFX90A:ACCUM_OFFSET: 0
; COMPUTE_PGM_RSRC3_GFX90A:TG_SPLIT: 0
	.section	.text._ZN7rocprim17ROCPRIM_400000_NS6detail17trampoline_kernelINS0_14default_configENS1_27scan_by_key_config_selectorIiyEEZZNS1_16scan_by_key_implILNS1_25lookback_scan_determinismE0ELb0ES3_N6thrust23THRUST_200600_302600_NS6detail15normal_iteratorINS9_10device_ptrIiEEEENSB_INSC_IyEEEESG_yNS9_4plusIvEENS9_8equal_toIvEEyEE10hipError_tPvRmT2_T3_T4_T5_mT6_T7_P12ihipStream_tbENKUlT_T0_E_clISt17integral_constantIbLb0EES11_EEDaSW_SX_EUlSW_E_NS1_11comp_targetILNS1_3genE9ELNS1_11target_archE1100ELNS1_3gpuE3ELNS1_3repE0EEENS1_30default_config_static_selectorELNS0_4arch9wavefront6targetE1EEEvT1_,"axG",@progbits,_ZN7rocprim17ROCPRIM_400000_NS6detail17trampoline_kernelINS0_14default_configENS1_27scan_by_key_config_selectorIiyEEZZNS1_16scan_by_key_implILNS1_25lookback_scan_determinismE0ELb0ES3_N6thrust23THRUST_200600_302600_NS6detail15normal_iteratorINS9_10device_ptrIiEEEENSB_INSC_IyEEEESG_yNS9_4plusIvEENS9_8equal_toIvEEyEE10hipError_tPvRmT2_T3_T4_T5_mT6_T7_P12ihipStream_tbENKUlT_T0_E_clISt17integral_constantIbLb0EES11_EEDaSW_SX_EUlSW_E_NS1_11comp_targetILNS1_3genE9ELNS1_11target_archE1100ELNS1_3gpuE3ELNS1_3repE0EEENS1_30default_config_static_selectorELNS0_4arch9wavefront6targetE1EEEvT1_,comdat
	.protected	_ZN7rocprim17ROCPRIM_400000_NS6detail17trampoline_kernelINS0_14default_configENS1_27scan_by_key_config_selectorIiyEEZZNS1_16scan_by_key_implILNS1_25lookback_scan_determinismE0ELb0ES3_N6thrust23THRUST_200600_302600_NS6detail15normal_iteratorINS9_10device_ptrIiEEEENSB_INSC_IyEEEESG_yNS9_4plusIvEENS9_8equal_toIvEEyEE10hipError_tPvRmT2_T3_T4_T5_mT6_T7_P12ihipStream_tbENKUlT_T0_E_clISt17integral_constantIbLb0EES11_EEDaSW_SX_EUlSW_E_NS1_11comp_targetILNS1_3genE9ELNS1_11target_archE1100ELNS1_3gpuE3ELNS1_3repE0EEENS1_30default_config_static_selectorELNS0_4arch9wavefront6targetE1EEEvT1_ ; -- Begin function _ZN7rocprim17ROCPRIM_400000_NS6detail17trampoline_kernelINS0_14default_configENS1_27scan_by_key_config_selectorIiyEEZZNS1_16scan_by_key_implILNS1_25lookback_scan_determinismE0ELb0ES3_N6thrust23THRUST_200600_302600_NS6detail15normal_iteratorINS9_10device_ptrIiEEEENSB_INSC_IyEEEESG_yNS9_4plusIvEENS9_8equal_toIvEEyEE10hipError_tPvRmT2_T3_T4_T5_mT6_T7_P12ihipStream_tbENKUlT_T0_E_clISt17integral_constantIbLb0EES11_EEDaSW_SX_EUlSW_E_NS1_11comp_targetILNS1_3genE9ELNS1_11target_archE1100ELNS1_3gpuE3ELNS1_3repE0EEENS1_30default_config_static_selectorELNS0_4arch9wavefront6targetE1EEEvT1_
	.globl	_ZN7rocprim17ROCPRIM_400000_NS6detail17trampoline_kernelINS0_14default_configENS1_27scan_by_key_config_selectorIiyEEZZNS1_16scan_by_key_implILNS1_25lookback_scan_determinismE0ELb0ES3_N6thrust23THRUST_200600_302600_NS6detail15normal_iteratorINS9_10device_ptrIiEEEENSB_INSC_IyEEEESG_yNS9_4plusIvEENS9_8equal_toIvEEyEE10hipError_tPvRmT2_T3_T4_T5_mT6_T7_P12ihipStream_tbENKUlT_T0_E_clISt17integral_constantIbLb0EES11_EEDaSW_SX_EUlSW_E_NS1_11comp_targetILNS1_3genE9ELNS1_11target_archE1100ELNS1_3gpuE3ELNS1_3repE0EEENS1_30default_config_static_selectorELNS0_4arch9wavefront6targetE1EEEvT1_
	.p2align	8
	.type	_ZN7rocprim17ROCPRIM_400000_NS6detail17trampoline_kernelINS0_14default_configENS1_27scan_by_key_config_selectorIiyEEZZNS1_16scan_by_key_implILNS1_25lookback_scan_determinismE0ELb0ES3_N6thrust23THRUST_200600_302600_NS6detail15normal_iteratorINS9_10device_ptrIiEEEENSB_INSC_IyEEEESG_yNS9_4plusIvEENS9_8equal_toIvEEyEE10hipError_tPvRmT2_T3_T4_T5_mT6_T7_P12ihipStream_tbENKUlT_T0_E_clISt17integral_constantIbLb0EES11_EEDaSW_SX_EUlSW_E_NS1_11comp_targetILNS1_3genE9ELNS1_11target_archE1100ELNS1_3gpuE3ELNS1_3repE0EEENS1_30default_config_static_selectorELNS0_4arch9wavefront6targetE1EEEvT1_,@function
_ZN7rocprim17ROCPRIM_400000_NS6detail17trampoline_kernelINS0_14default_configENS1_27scan_by_key_config_selectorIiyEEZZNS1_16scan_by_key_implILNS1_25lookback_scan_determinismE0ELb0ES3_N6thrust23THRUST_200600_302600_NS6detail15normal_iteratorINS9_10device_ptrIiEEEENSB_INSC_IyEEEESG_yNS9_4plusIvEENS9_8equal_toIvEEyEE10hipError_tPvRmT2_T3_T4_T5_mT6_T7_P12ihipStream_tbENKUlT_T0_E_clISt17integral_constantIbLb0EES11_EEDaSW_SX_EUlSW_E_NS1_11comp_targetILNS1_3genE9ELNS1_11target_archE1100ELNS1_3gpuE3ELNS1_3repE0EEENS1_30default_config_static_selectorELNS0_4arch9wavefront6targetE1EEEvT1_: ; @_ZN7rocprim17ROCPRIM_400000_NS6detail17trampoline_kernelINS0_14default_configENS1_27scan_by_key_config_selectorIiyEEZZNS1_16scan_by_key_implILNS1_25lookback_scan_determinismE0ELb0ES3_N6thrust23THRUST_200600_302600_NS6detail15normal_iteratorINS9_10device_ptrIiEEEENSB_INSC_IyEEEESG_yNS9_4plusIvEENS9_8equal_toIvEEyEE10hipError_tPvRmT2_T3_T4_T5_mT6_T7_P12ihipStream_tbENKUlT_T0_E_clISt17integral_constantIbLb0EES11_EEDaSW_SX_EUlSW_E_NS1_11comp_targetILNS1_3genE9ELNS1_11target_archE1100ELNS1_3gpuE3ELNS1_3repE0EEENS1_30default_config_static_selectorELNS0_4arch9wavefront6targetE1EEEvT1_
; %bb.0:
	.section	.rodata,"a",@progbits
	.p2align	6, 0x0
	.amdhsa_kernel _ZN7rocprim17ROCPRIM_400000_NS6detail17trampoline_kernelINS0_14default_configENS1_27scan_by_key_config_selectorIiyEEZZNS1_16scan_by_key_implILNS1_25lookback_scan_determinismE0ELb0ES3_N6thrust23THRUST_200600_302600_NS6detail15normal_iteratorINS9_10device_ptrIiEEEENSB_INSC_IyEEEESG_yNS9_4plusIvEENS9_8equal_toIvEEyEE10hipError_tPvRmT2_T3_T4_T5_mT6_T7_P12ihipStream_tbENKUlT_T0_E_clISt17integral_constantIbLb0EES11_EEDaSW_SX_EUlSW_E_NS1_11comp_targetILNS1_3genE9ELNS1_11target_archE1100ELNS1_3gpuE3ELNS1_3repE0EEENS1_30default_config_static_selectorELNS0_4arch9wavefront6targetE1EEEvT1_
		.amdhsa_group_segment_fixed_size 0
		.amdhsa_private_segment_fixed_size 0
		.amdhsa_kernarg_size 136
		.amdhsa_user_sgpr_count 6
		.amdhsa_user_sgpr_private_segment_buffer 1
		.amdhsa_user_sgpr_dispatch_ptr 0
		.amdhsa_user_sgpr_queue_ptr 0
		.amdhsa_user_sgpr_kernarg_segment_ptr 1
		.amdhsa_user_sgpr_dispatch_id 0
		.amdhsa_user_sgpr_flat_scratch_init 0
		.amdhsa_user_sgpr_kernarg_preload_length 0
		.amdhsa_user_sgpr_kernarg_preload_offset 0
		.amdhsa_user_sgpr_private_segment_size 0
		.amdhsa_uses_dynamic_stack 0
		.amdhsa_system_sgpr_private_segment_wavefront_offset 0
		.amdhsa_system_sgpr_workgroup_id_x 1
		.amdhsa_system_sgpr_workgroup_id_y 0
		.amdhsa_system_sgpr_workgroup_id_z 0
		.amdhsa_system_sgpr_workgroup_info 0
		.amdhsa_system_vgpr_workitem_id 0
		.amdhsa_next_free_vgpr 1
		.amdhsa_next_free_sgpr 0
		.amdhsa_accum_offset 4
		.amdhsa_reserve_vcc 0
		.amdhsa_reserve_flat_scratch 0
		.amdhsa_float_round_mode_32 0
		.amdhsa_float_round_mode_16_64 0
		.amdhsa_float_denorm_mode_32 3
		.amdhsa_float_denorm_mode_16_64 3
		.amdhsa_dx10_clamp 1
		.amdhsa_ieee_mode 1
		.amdhsa_fp16_overflow 0
		.amdhsa_tg_split 0
		.amdhsa_exception_fp_ieee_invalid_op 0
		.amdhsa_exception_fp_denorm_src 0
		.amdhsa_exception_fp_ieee_div_zero 0
		.amdhsa_exception_fp_ieee_overflow 0
		.amdhsa_exception_fp_ieee_underflow 0
		.amdhsa_exception_fp_ieee_inexact 0
		.amdhsa_exception_int_div_zero 0
	.end_amdhsa_kernel
	.section	.text._ZN7rocprim17ROCPRIM_400000_NS6detail17trampoline_kernelINS0_14default_configENS1_27scan_by_key_config_selectorIiyEEZZNS1_16scan_by_key_implILNS1_25lookback_scan_determinismE0ELb0ES3_N6thrust23THRUST_200600_302600_NS6detail15normal_iteratorINS9_10device_ptrIiEEEENSB_INSC_IyEEEESG_yNS9_4plusIvEENS9_8equal_toIvEEyEE10hipError_tPvRmT2_T3_T4_T5_mT6_T7_P12ihipStream_tbENKUlT_T0_E_clISt17integral_constantIbLb0EES11_EEDaSW_SX_EUlSW_E_NS1_11comp_targetILNS1_3genE9ELNS1_11target_archE1100ELNS1_3gpuE3ELNS1_3repE0EEENS1_30default_config_static_selectorELNS0_4arch9wavefront6targetE1EEEvT1_,"axG",@progbits,_ZN7rocprim17ROCPRIM_400000_NS6detail17trampoline_kernelINS0_14default_configENS1_27scan_by_key_config_selectorIiyEEZZNS1_16scan_by_key_implILNS1_25lookback_scan_determinismE0ELb0ES3_N6thrust23THRUST_200600_302600_NS6detail15normal_iteratorINS9_10device_ptrIiEEEENSB_INSC_IyEEEESG_yNS9_4plusIvEENS9_8equal_toIvEEyEE10hipError_tPvRmT2_T3_T4_T5_mT6_T7_P12ihipStream_tbENKUlT_T0_E_clISt17integral_constantIbLb0EES11_EEDaSW_SX_EUlSW_E_NS1_11comp_targetILNS1_3genE9ELNS1_11target_archE1100ELNS1_3gpuE3ELNS1_3repE0EEENS1_30default_config_static_selectorELNS0_4arch9wavefront6targetE1EEEvT1_,comdat
.Lfunc_end1183:
	.size	_ZN7rocprim17ROCPRIM_400000_NS6detail17trampoline_kernelINS0_14default_configENS1_27scan_by_key_config_selectorIiyEEZZNS1_16scan_by_key_implILNS1_25lookback_scan_determinismE0ELb0ES3_N6thrust23THRUST_200600_302600_NS6detail15normal_iteratorINS9_10device_ptrIiEEEENSB_INSC_IyEEEESG_yNS9_4plusIvEENS9_8equal_toIvEEyEE10hipError_tPvRmT2_T3_T4_T5_mT6_T7_P12ihipStream_tbENKUlT_T0_E_clISt17integral_constantIbLb0EES11_EEDaSW_SX_EUlSW_E_NS1_11comp_targetILNS1_3genE9ELNS1_11target_archE1100ELNS1_3gpuE3ELNS1_3repE0EEENS1_30default_config_static_selectorELNS0_4arch9wavefront6targetE1EEEvT1_, .Lfunc_end1183-_ZN7rocprim17ROCPRIM_400000_NS6detail17trampoline_kernelINS0_14default_configENS1_27scan_by_key_config_selectorIiyEEZZNS1_16scan_by_key_implILNS1_25lookback_scan_determinismE0ELb0ES3_N6thrust23THRUST_200600_302600_NS6detail15normal_iteratorINS9_10device_ptrIiEEEENSB_INSC_IyEEEESG_yNS9_4plusIvEENS9_8equal_toIvEEyEE10hipError_tPvRmT2_T3_T4_T5_mT6_T7_P12ihipStream_tbENKUlT_T0_E_clISt17integral_constantIbLb0EES11_EEDaSW_SX_EUlSW_E_NS1_11comp_targetILNS1_3genE9ELNS1_11target_archE1100ELNS1_3gpuE3ELNS1_3repE0EEENS1_30default_config_static_selectorELNS0_4arch9wavefront6targetE1EEEvT1_
                                        ; -- End function
	.section	.AMDGPU.csdata,"",@progbits
; Kernel info:
; codeLenInByte = 0
; NumSgprs: 4
; NumVgprs: 0
; NumAgprs: 0
; TotalNumVgprs: 0
; ScratchSize: 0
; MemoryBound: 0
; FloatMode: 240
; IeeeMode: 1
; LDSByteSize: 0 bytes/workgroup (compile time only)
; SGPRBlocks: 0
; VGPRBlocks: 0
; NumSGPRsForWavesPerEU: 4
; NumVGPRsForWavesPerEU: 1
; AccumOffset: 4
; Occupancy: 8
; WaveLimiterHint : 0
; COMPUTE_PGM_RSRC2:SCRATCH_EN: 0
; COMPUTE_PGM_RSRC2:USER_SGPR: 6
; COMPUTE_PGM_RSRC2:TRAP_HANDLER: 0
; COMPUTE_PGM_RSRC2:TGID_X_EN: 1
; COMPUTE_PGM_RSRC2:TGID_Y_EN: 0
; COMPUTE_PGM_RSRC2:TGID_Z_EN: 0
; COMPUTE_PGM_RSRC2:TIDIG_COMP_CNT: 0
; COMPUTE_PGM_RSRC3_GFX90A:ACCUM_OFFSET: 0
; COMPUTE_PGM_RSRC3_GFX90A:TG_SPLIT: 0
	.section	.text._ZN7rocprim17ROCPRIM_400000_NS6detail17trampoline_kernelINS0_14default_configENS1_27scan_by_key_config_selectorIiyEEZZNS1_16scan_by_key_implILNS1_25lookback_scan_determinismE0ELb0ES3_N6thrust23THRUST_200600_302600_NS6detail15normal_iteratorINS9_10device_ptrIiEEEENSB_INSC_IyEEEESG_yNS9_4plusIvEENS9_8equal_toIvEEyEE10hipError_tPvRmT2_T3_T4_T5_mT6_T7_P12ihipStream_tbENKUlT_T0_E_clISt17integral_constantIbLb0EES11_EEDaSW_SX_EUlSW_E_NS1_11comp_targetILNS1_3genE8ELNS1_11target_archE1030ELNS1_3gpuE2ELNS1_3repE0EEENS1_30default_config_static_selectorELNS0_4arch9wavefront6targetE1EEEvT1_,"axG",@progbits,_ZN7rocprim17ROCPRIM_400000_NS6detail17trampoline_kernelINS0_14default_configENS1_27scan_by_key_config_selectorIiyEEZZNS1_16scan_by_key_implILNS1_25lookback_scan_determinismE0ELb0ES3_N6thrust23THRUST_200600_302600_NS6detail15normal_iteratorINS9_10device_ptrIiEEEENSB_INSC_IyEEEESG_yNS9_4plusIvEENS9_8equal_toIvEEyEE10hipError_tPvRmT2_T3_T4_T5_mT6_T7_P12ihipStream_tbENKUlT_T0_E_clISt17integral_constantIbLb0EES11_EEDaSW_SX_EUlSW_E_NS1_11comp_targetILNS1_3genE8ELNS1_11target_archE1030ELNS1_3gpuE2ELNS1_3repE0EEENS1_30default_config_static_selectorELNS0_4arch9wavefront6targetE1EEEvT1_,comdat
	.protected	_ZN7rocprim17ROCPRIM_400000_NS6detail17trampoline_kernelINS0_14default_configENS1_27scan_by_key_config_selectorIiyEEZZNS1_16scan_by_key_implILNS1_25lookback_scan_determinismE0ELb0ES3_N6thrust23THRUST_200600_302600_NS6detail15normal_iteratorINS9_10device_ptrIiEEEENSB_INSC_IyEEEESG_yNS9_4plusIvEENS9_8equal_toIvEEyEE10hipError_tPvRmT2_T3_T4_T5_mT6_T7_P12ihipStream_tbENKUlT_T0_E_clISt17integral_constantIbLb0EES11_EEDaSW_SX_EUlSW_E_NS1_11comp_targetILNS1_3genE8ELNS1_11target_archE1030ELNS1_3gpuE2ELNS1_3repE0EEENS1_30default_config_static_selectorELNS0_4arch9wavefront6targetE1EEEvT1_ ; -- Begin function _ZN7rocprim17ROCPRIM_400000_NS6detail17trampoline_kernelINS0_14default_configENS1_27scan_by_key_config_selectorIiyEEZZNS1_16scan_by_key_implILNS1_25lookback_scan_determinismE0ELb0ES3_N6thrust23THRUST_200600_302600_NS6detail15normal_iteratorINS9_10device_ptrIiEEEENSB_INSC_IyEEEESG_yNS9_4plusIvEENS9_8equal_toIvEEyEE10hipError_tPvRmT2_T3_T4_T5_mT6_T7_P12ihipStream_tbENKUlT_T0_E_clISt17integral_constantIbLb0EES11_EEDaSW_SX_EUlSW_E_NS1_11comp_targetILNS1_3genE8ELNS1_11target_archE1030ELNS1_3gpuE2ELNS1_3repE0EEENS1_30default_config_static_selectorELNS0_4arch9wavefront6targetE1EEEvT1_
	.globl	_ZN7rocprim17ROCPRIM_400000_NS6detail17trampoline_kernelINS0_14default_configENS1_27scan_by_key_config_selectorIiyEEZZNS1_16scan_by_key_implILNS1_25lookback_scan_determinismE0ELb0ES3_N6thrust23THRUST_200600_302600_NS6detail15normal_iteratorINS9_10device_ptrIiEEEENSB_INSC_IyEEEESG_yNS9_4plusIvEENS9_8equal_toIvEEyEE10hipError_tPvRmT2_T3_T4_T5_mT6_T7_P12ihipStream_tbENKUlT_T0_E_clISt17integral_constantIbLb0EES11_EEDaSW_SX_EUlSW_E_NS1_11comp_targetILNS1_3genE8ELNS1_11target_archE1030ELNS1_3gpuE2ELNS1_3repE0EEENS1_30default_config_static_selectorELNS0_4arch9wavefront6targetE1EEEvT1_
	.p2align	8
	.type	_ZN7rocprim17ROCPRIM_400000_NS6detail17trampoline_kernelINS0_14default_configENS1_27scan_by_key_config_selectorIiyEEZZNS1_16scan_by_key_implILNS1_25lookback_scan_determinismE0ELb0ES3_N6thrust23THRUST_200600_302600_NS6detail15normal_iteratorINS9_10device_ptrIiEEEENSB_INSC_IyEEEESG_yNS9_4plusIvEENS9_8equal_toIvEEyEE10hipError_tPvRmT2_T3_T4_T5_mT6_T7_P12ihipStream_tbENKUlT_T0_E_clISt17integral_constantIbLb0EES11_EEDaSW_SX_EUlSW_E_NS1_11comp_targetILNS1_3genE8ELNS1_11target_archE1030ELNS1_3gpuE2ELNS1_3repE0EEENS1_30default_config_static_selectorELNS0_4arch9wavefront6targetE1EEEvT1_,@function
_ZN7rocprim17ROCPRIM_400000_NS6detail17trampoline_kernelINS0_14default_configENS1_27scan_by_key_config_selectorIiyEEZZNS1_16scan_by_key_implILNS1_25lookback_scan_determinismE0ELb0ES3_N6thrust23THRUST_200600_302600_NS6detail15normal_iteratorINS9_10device_ptrIiEEEENSB_INSC_IyEEEESG_yNS9_4plusIvEENS9_8equal_toIvEEyEE10hipError_tPvRmT2_T3_T4_T5_mT6_T7_P12ihipStream_tbENKUlT_T0_E_clISt17integral_constantIbLb0EES11_EEDaSW_SX_EUlSW_E_NS1_11comp_targetILNS1_3genE8ELNS1_11target_archE1030ELNS1_3gpuE2ELNS1_3repE0EEENS1_30default_config_static_selectorELNS0_4arch9wavefront6targetE1EEEvT1_: ; @_ZN7rocprim17ROCPRIM_400000_NS6detail17trampoline_kernelINS0_14default_configENS1_27scan_by_key_config_selectorIiyEEZZNS1_16scan_by_key_implILNS1_25lookback_scan_determinismE0ELb0ES3_N6thrust23THRUST_200600_302600_NS6detail15normal_iteratorINS9_10device_ptrIiEEEENSB_INSC_IyEEEESG_yNS9_4plusIvEENS9_8equal_toIvEEyEE10hipError_tPvRmT2_T3_T4_T5_mT6_T7_P12ihipStream_tbENKUlT_T0_E_clISt17integral_constantIbLb0EES11_EEDaSW_SX_EUlSW_E_NS1_11comp_targetILNS1_3genE8ELNS1_11target_archE1030ELNS1_3gpuE2ELNS1_3repE0EEENS1_30default_config_static_selectorELNS0_4arch9wavefront6targetE1EEEvT1_
; %bb.0:
	.section	.rodata,"a",@progbits
	.p2align	6, 0x0
	.amdhsa_kernel _ZN7rocprim17ROCPRIM_400000_NS6detail17trampoline_kernelINS0_14default_configENS1_27scan_by_key_config_selectorIiyEEZZNS1_16scan_by_key_implILNS1_25lookback_scan_determinismE0ELb0ES3_N6thrust23THRUST_200600_302600_NS6detail15normal_iteratorINS9_10device_ptrIiEEEENSB_INSC_IyEEEESG_yNS9_4plusIvEENS9_8equal_toIvEEyEE10hipError_tPvRmT2_T3_T4_T5_mT6_T7_P12ihipStream_tbENKUlT_T0_E_clISt17integral_constantIbLb0EES11_EEDaSW_SX_EUlSW_E_NS1_11comp_targetILNS1_3genE8ELNS1_11target_archE1030ELNS1_3gpuE2ELNS1_3repE0EEENS1_30default_config_static_selectorELNS0_4arch9wavefront6targetE1EEEvT1_
		.amdhsa_group_segment_fixed_size 0
		.amdhsa_private_segment_fixed_size 0
		.amdhsa_kernarg_size 136
		.amdhsa_user_sgpr_count 6
		.amdhsa_user_sgpr_private_segment_buffer 1
		.amdhsa_user_sgpr_dispatch_ptr 0
		.amdhsa_user_sgpr_queue_ptr 0
		.amdhsa_user_sgpr_kernarg_segment_ptr 1
		.amdhsa_user_sgpr_dispatch_id 0
		.amdhsa_user_sgpr_flat_scratch_init 0
		.amdhsa_user_sgpr_kernarg_preload_length 0
		.amdhsa_user_sgpr_kernarg_preload_offset 0
		.amdhsa_user_sgpr_private_segment_size 0
		.amdhsa_uses_dynamic_stack 0
		.amdhsa_system_sgpr_private_segment_wavefront_offset 0
		.amdhsa_system_sgpr_workgroup_id_x 1
		.amdhsa_system_sgpr_workgroup_id_y 0
		.amdhsa_system_sgpr_workgroup_id_z 0
		.amdhsa_system_sgpr_workgroup_info 0
		.amdhsa_system_vgpr_workitem_id 0
		.amdhsa_next_free_vgpr 1
		.amdhsa_next_free_sgpr 0
		.amdhsa_accum_offset 4
		.amdhsa_reserve_vcc 0
		.amdhsa_reserve_flat_scratch 0
		.amdhsa_float_round_mode_32 0
		.amdhsa_float_round_mode_16_64 0
		.amdhsa_float_denorm_mode_32 3
		.amdhsa_float_denorm_mode_16_64 3
		.amdhsa_dx10_clamp 1
		.amdhsa_ieee_mode 1
		.amdhsa_fp16_overflow 0
		.amdhsa_tg_split 0
		.amdhsa_exception_fp_ieee_invalid_op 0
		.amdhsa_exception_fp_denorm_src 0
		.amdhsa_exception_fp_ieee_div_zero 0
		.amdhsa_exception_fp_ieee_overflow 0
		.amdhsa_exception_fp_ieee_underflow 0
		.amdhsa_exception_fp_ieee_inexact 0
		.amdhsa_exception_int_div_zero 0
	.end_amdhsa_kernel
	.section	.text._ZN7rocprim17ROCPRIM_400000_NS6detail17trampoline_kernelINS0_14default_configENS1_27scan_by_key_config_selectorIiyEEZZNS1_16scan_by_key_implILNS1_25lookback_scan_determinismE0ELb0ES3_N6thrust23THRUST_200600_302600_NS6detail15normal_iteratorINS9_10device_ptrIiEEEENSB_INSC_IyEEEESG_yNS9_4plusIvEENS9_8equal_toIvEEyEE10hipError_tPvRmT2_T3_T4_T5_mT6_T7_P12ihipStream_tbENKUlT_T0_E_clISt17integral_constantIbLb0EES11_EEDaSW_SX_EUlSW_E_NS1_11comp_targetILNS1_3genE8ELNS1_11target_archE1030ELNS1_3gpuE2ELNS1_3repE0EEENS1_30default_config_static_selectorELNS0_4arch9wavefront6targetE1EEEvT1_,"axG",@progbits,_ZN7rocprim17ROCPRIM_400000_NS6detail17trampoline_kernelINS0_14default_configENS1_27scan_by_key_config_selectorIiyEEZZNS1_16scan_by_key_implILNS1_25lookback_scan_determinismE0ELb0ES3_N6thrust23THRUST_200600_302600_NS6detail15normal_iteratorINS9_10device_ptrIiEEEENSB_INSC_IyEEEESG_yNS9_4plusIvEENS9_8equal_toIvEEyEE10hipError_tPvRmT2_T3_T4_T5_mT6_T7_P12ihipStream_tbENKUlT_T0_E_clISt17integral_constantIbLb0EES11_EEDaSW_SX_EUlSW_E_NS1_11comp_targetILNS1_3genE8ELNS1_11target_archE1030ELNS1_3gpuE2ELNS1_3repE0EEENS1_30default_config_static_selectorELNS0_4arch9wavefront6targetE1EEEvT1_,comdat
.Lfunc_end1184:
	.size	_ZN7rocprim17ROCPRIM_400000_NS6detail17trampoline_kernelINS0_14default_configENS1_27scan_by_key_config_selectorIiyEEZZNS1_16scan_by_key_implILNS1_25lookback_scan_determinismE0ELb0ES3_N6thrust23THRUST_200600_302600_NS6detail15normal_iteratorINS9_10device_ptrIiEEEENSB_INSC_IyEEEESG_yNS9_4plusIvEENS9_8equal_toIvEEyEE10hipError_tPvRmT2_T3_T4_T5_mT6_T7_P12ihipStream_tbENKUlT_T0_E_clISt17integral_constantIbLb0EES11_EEDaSW_SX_EUlSW_E_NS1_11comp_targetILNS1_3genE8ELNS1_11target_archE1030ELNS1_3gpuE2ELNS1_3repE0EEENS1_30default_config_static_selectorELNS0_4arch9wavefront6targetE1EEEvT1_, .Lfunc_end1184-_ZN7rocprim17ROCPRIM_400000_NS6detail17trampoline_kernelINS0_14default_configENS1_27scan_by_key_config_selectorIiyEEZZNS1_16scan_by_key_implILNS1_25lookback_scan_determinismE0ELb0ES3_N6thrust23THRUST_200600_302600_NS6detail15normal_iteratorINS9_10device_ptrIiEEEENSB_INSC_IyEEEESG_yNS9_4plusIvEENS9_8equal_toIvEEyEE10hipError_tPvRmT2_T3_T4_T5_mT6_T7_P12ihipStream_tbENKUlT_T0_E_clISt17integral_constantIbLb0EES11_EEDaSW_SX_EUlSW_E_NS1_11comp_targetILNS1_3genE8ELNS1_11target_archE1030ELNS1_3gpuE2ELNS1_3repE0EEENS1_30default_config_static_selectorELNS0_4arch9wavefront6targetE1EEEvT1_
                                        ; -- End function
	.section	.AMDGPU.csdata,"",@progbits
; Kernel info:
; codeLenInByte = 0
; NumSgprs: 4
; NumVgprs: 0
; NumAgprs: 0
; TotalNumVgprs: 0
; ScratchSize: 0
; MemoryBound: 0
; FloatMode: 240
; IeeeMode: 1
; LDSByteSize: 0 bytes/workgroup (compile time only)
; SGPRBlocks: 0
; VGPRBlocks: 0
; NumSGPRsForWavesPerEU: 4
; NumVGPRsForWavesPerEU: 1
; AccumOffset: 4
; Occupancy: 8
; WaveLimiterHint : 0
; COMPUTE_PGM_RSRC2:SCRATCH_EN: 0
; COMPUTE_PGM_RSRC2:USER_SGPR: 6
; COMPUTE_PGM_RSRC2:TRAP_HANDLER: 0
; COMPUTE_PGM_RSRC2:TGID_X_EN: 1
; COMPUTE_PGM_RSRC2:TGID_Y_EN: 0
; COMPUTE_PGM_RSRC2:TGID_Z_EN: 0
; COMPUTE_PGM_RSRC2:TIDIG_COMP_CNT: 0
; COMPUTE_PGM_RSRC3_GFX90A:ACCUM_OFFSET: 0
; COMPUTE_PGM_RSRC3_GFX90A:TG_SPLIT: 0
	.section	.text._ZN7rocprim17ROCPRIM_400000_NS6detail30init_device_scan_by_key_kernelINS1_19lookback_scan_stateINS0_5tupleIJybEEELb1ELb0EEEN6thrust23THRUST_200600_302600_NS6detail15normal_iteratorINS8_10device_ptrIiEEEEjNS1_16block_id_wrapperIjLb1EEEEEvT_jjPNSG_10value_typeET0_PNSt15iterator_traitsISJ_E10value_typeEmT1_T2_,"axG",@progbits,_ZN7rocprim17ROCPRIM_400000_NS6detail30init_device_scan_by_key_kernelINS1_19lookback_scan_stateINS0_5tupleIJybEEELb1ELb0EEEN6thrust23THRUST_200600_302600_NS6detail15normal_iteratorINS8_10device_ptrIiEEEEjNS1_16block_id_wrapperIjLb1EEEEEvT_jjPNSG_10value_typeET0_PNSt15iterator_traitsISJ_E10value_typeEmT1_T2_,comdat
	.protected	_ZN7rocprim17ROCPRIM_400000_NS6detail30init_device_scan_by_key_kernelINS1_19lookback_scan_stateINS0_5tupleIJybEEELb1ELb0EEEN6thrust23THRUST_200600_302600_NS6detail15normal_iteratorINS8_10device_ptrIiEEEEjNS1_16block_id_wrapperIjLb1EEEEEvT_jjPNSG_10value_typeET0_PNSt15iterator_traitsISJ_E10value_typeEmT1_T2_ ; -- Begin function _ZN7rocprim17ROCPRIM_400000_NS6detail30init_device_scan_by_key_kernelINS1_19lookback_scan_stateINS0_5tupleIJybEEELb1ELb0EEEN6thrust23THRUST_200600_302600_NS6detail15normal_iteratorINS8_10device_ptrIiEEEEjNS1_16block_id_wrapperIjLb1EEEEEvT_jjPNSG_10value_typeET0_PNSt15iterator_traitsISJ_E10value_typeEmT1_T2_
	.globl	_ZN7rocprim17ROCPRIM_400000_NS6detail30init_device_scan_by_key_kernelINS1_19lookback_scan_stateINS0_5tupleIJybEEELb1ELb0EEEN6thrust23THRUST_200600_302600_NS6detail15normal_iteratorINS8_10device_ptrIiEEEEjNS1_16block_id_wrapperIjLb1EEEEEvT_jjPNSG_10value_typeET0_PNSt15iterator_traitsISJ_E10value_typeEmT1_T2_
	.p2align	8
	.type	_ZN7rocprim17ROCPRIM_400000_NS6detail30init_device_scan_by_key_kernelINS1_19lookback_scan_stateINS0_5tupleIJybEEELb1ELb0EEEN6thrust23THRUST_200600_302600_NS6detail15normal_iteratorINS8_10device_ptrIiEEEEjNS1_16block_id_wrapperIjLb1EEEEEvT_jjPNSG_10value_typeET0_PNSt15iterator_traitsISJ_E10value_typeEmT1_T2_,@function
_ZN7rocprim17ROCPRIM_400000_NS6detail30init_device_scan_by_key_kernelINS1_19lookback_scan_stateINS0_5tupleIJybEEELb1ELb0EEEN6thrust23THRUST_200600_302600_NS6detail15normal_iteratorINS8_10device_ptrIiEEEEjNS1_16block_id_wrapperIjLb1EEEEEvT_jjPNSG_10value_typeET0_PNSt15iterator_traitsISJ_E10value_typeEmT1_T2_: ; @_ZN7rocprim17ROCPRIM_400000_NS6detail30init_device_scan_by_key_kernelINS1_19lookback_scan_stateINS0_5tupleIJybEEELb1ELb0EEEN6thrust23THRUST_200600_302600_NS6detail15normal_iteratorINS8_10device_ptrIiEEEEjNS1_16block_id_wrapperIjLb1EEEEEvT_jjPNSG_10value_typeET0_PNSt15iterator_traitsISJ_E10value_typeEmT1_T2_
; %bb.0:
	s_load_dword s0, s[4:5], 0x5c
	s_load_dwordx8 s[8:15], s[4:5], 0x10
	s_load_dword s20, s[4:5], 0x50
	s_waitcnt lgkmcnt(0)
	s_and_b32 s21, s0, 0xffff
	s_mul_i32 s6, s6, s21
	s_cmp_eq_u64 s[12:13], 0
	v_add_u32_e32 v0, s6, v0
	s_cbranch_scc1 .LBB1185_11
; %bb.1:
	s_cmp_lt_u32 s11, s10
	s_cselect_b32 s0, s11, 0
	s_mov_b32 s17, 0
	v_cmp_eq_u32_e32 vcc, s0, v0
	s_and_saveexec_b64 s[6:7], vcc
	s_cbranch_execz .LBB1185_10
; %bb.2:
	s_add_i32 s16, s11, 64
	v_mov_b32_e32 v1, s16
	global_load_ubyte v1, v1, s[8:9] glc
	s_load_dwordx4 s[0:3], s[4:5], 0x0
	s_add_u32 s18, s8, s16
	s_addc_u32 s19, s9, 0
	s_waitcnt vmcnt(0)
	v_cmp_ne_u16_e32 vcc, 0, v1
	v_readfirstlane_b32 s11, v1
	s_cbranch_vccz .LBB1185_4
; %bb.3:
	s_and_b32 s11, 0xffff, s11
	s_branch .LBB1185_9
.LBB1185_4:
	s_mov_b32 s11, 1
	v_mov_b32_e32 v1, 0
.LBB1185_5:                             ; =>This Loop Header: Depth=1
                                        ;     Child Loop BB1185_6 Depth 2
	s_max_u32 s22, s11, 1
.LBB1185_6:                             ;   Parent Loop BB1185_5 Depth=1
                                        ; =>  This Inner Loop Header: Depth=2
	s_add_i32 s22, s22, -1
	s_cmp_eq_u32 s22, 0
	s_sleep 1
	s_cbranch_scc0 .LBB1185_6
; %bb.7:                                ;   in Loop: Header=BB1185_5 Depth=1
	global_load_ubyte v2, v1, s[18:19] glc
	s_cmp_lt_u32 s11, 32
	s_cselect_b64 s[22:23], -1, 0
	s_cmp_lg_u64 s[22:23], 0
	s_addc_u32 s11, s11, 0
	s_waitcnt vmcnt(0)
	v_cmp_ne_u16_e32 vcc, 0, v2
	v_readfirstlane_b32 s22, v2
	s_cbranch_vccz .LBB1185_5
; %bb.8:
	s_and_b32 s11, 0xffff, s22
.LBB1185_9:
	s_cmp_eq_u32 s11, 1
	s_waitcnt lgkmcnt(0)
	s_cselect_b32 s3, s1, s3
	s_cselect_b32 s2, s0, s2
	s_lshl_b64 s[0:1], s[16:17], 4
	s_add_u32 s0, s2, s0
	s_addc_u32 s1, s3, s1
	v_mov_b32_e32 v1, 0
	buffer_wbinvl1_vol
	global_load_dwordx2 v[2:3], v1, s[0:1]
	global_load_ubyte v4, v1, s[0:1] offset:8
	s_waitcnt vmcnt(1)
	global_store_dwordx2 v1, v[2:3], s[12:13]
	s_waitcnt vmcnt(1)
	global_store_byte v1, v4, s[12:13] offset:8
.LBB1185_10:
	s_or_b64 exec, exec, s[6:7]
.LBB1185_11:
	v_cmp_eq_u32_e32 vcc, 0, v0
	s_and_saveexec_b64 s[0:1], vcc
	s_cbranch_execz .LBB1185_13
; %bb.12:
	s_load_dwordx2 s[2:3], s[4:5], 0x48
	v_mov_b32_e32 v1, 0
	s_waitcnt lgkmcnt(0)
	global_store_dword v1, v1, s[2:3]
.LBB1185_13:
	s_or_b64 exec, exec, s[0:1]
	v_cmp_gt_u32_e32 vcc, s10, v0
	s_and_saveexec_b64 s[0:1], vcc
	s_cbranch_execz .LBB1185_15
; %bb.14:
	v_add_u32_e32 v1, 64, v0
	v_mov_b32_e32 v2, 0
	global_store_byte v1, v2, s[8:9]
.LBB1185_15:
	s_or_b64 exec, exec, s[0:1]
	v_cmp_gt_u32_e32 vcc, 64, v0
	v_mov_b32_e32 v1, 0
	s_and_saveexec_b64 s[0:1], vcc
	s_cbranch_execz .LBB1185_17
; %bb.16:
	v_mov_b32_e32 v3, s9
	v_add_co_u32_e32 v2, vcc, s8, v0
	v_addc_co_u32_e32 v3, vcc, 0, v3, vcc
	v_mov_b32_e32 v4, 0xff
	global_store_byte v[2:3], v4, off
.LBB1185_17:
	s_or_b64 exec, exec, s[0:1]
	s_load_dwordx2 s[0:1], s[4:5], 0x38
	s_waitcnt lgkmcnt(0)
	v_cmp_gt_u64_e32 vcc, s[0:1], v[0:1]
	s_and_saveexec_b64 s[2:3], vcc
	s_cbranch_execz .LBB1185_20
; %bb.18:
	s_load_dword s10, s[4:5], 0x40
	s_load_dwordx2 s[6:7], s[4:5], 0x30
	s_mov_b32 s5, 0
	s_mov_b32 s3, s5
	s_mul_i32 s2, s20, s21
	s_waitcnt lgkmcnt(0)
	s_add_i32 s4, s10, -1
	s_lshl_b64 s[4:5], s[4:5], 2
	v_mad_u64_u32 v[2:3], s[8:9], s10, v0, 0
	s_add_u32 s4, s14, s4
	v_lshlrev_b64 v[2:3], 2, v[2:3]
	s_addc_u32 s5, s15, s5
	v_mov_b32_e32 v4, s5
	v_add_co_u32_e32 v2, vcc, s4, v2
	v_addc_co_u32_e32 v3, vcc, v4, v3, vcc
	s_mul_hi_u32 s5, s10, s2
	s_mul_i32 s4, s10, s2
	v_lshlrev_b64 v[4:5], 2, v[0:1]
	s_lshl_b64 s[4:5], s[4:5], 2
	v_mov_b32_e32 v6, s7
	v_add_co_u32_e32 v4, vcc, s6, v4
	s_lshl_b64 s[6:7], s[2:3], 2
	v_addc_co_u32_e32 v5, vcc, v6, v5, vcc
	s_mov_b64 s[8:9], 0
	v_mov_b32_e32 v6, s3
	v_mov_b32_e32 v7, s5
	;; [unrolled: 1-line block ×3, first 2 shown]
.LBB1185_19:                            ; =>This Inner Loop Header: Depth=1
	global_load_dword v9, v[2:3], off
	v_add_co_u32_e32 v0, vcc, s2, v0
	v_addc_co_u32_e32 v1, vcc, v1, v6, vcc
	v_add_co_u32_e32 v2, vcc, s4, v2
	v_addc_co_u32_e32 v3, vcc, v3, v7, vcc
	v_cmp_le_u64_e32 vcc, s[0:1], v[0:1]
	s_or_b64 s[8:9], vcc, s[8:9]
	s_waitcnt vmcnt(0)
	global_store_dword v[4:5], v9, off
	v_add_co_u32_e32 v4, vcc, s6, v4
	v_addc_co_u32_e32 v5, vcc, v5, v8, vcc
	s_andn2_b64 exec, exec, s[8:9]
	s_cbranch_execnz .LBB1185_19
.LBB1185_20:
	s_endpgm
	.section	.rodata,"a",@progbits
	.p2align	6, 0x0
	.amdhsa_kernel _ZN7rocprim17ROCPRIM_400000_NS6detail30init_device_scan_by_key_kernelINS1_19lookback_scan_stateINS0_5tupleIJybEEELb1ELb0EEEN6thrust23THRUST_200600_302600_NS6detail15normal_iteratorINS8_10device_ptrIiEEEEjNS1_16block_id_wrapperIjLb1EEEEEvT_jjPNSG_10value_typeET0_PNSt15iterator_traitsISJ_E10value_typeEmT1_T2_
		.amdhsa_group_segment_fixed_size 0
		.amdhsa_private_segment_fixed_size 0
		.amdhsa_kernarg_size 336
		.amdhsa_user_sgpr_count 6
		.amdhsa_user_sgpr_private_segment_buffer 1
		.amdhsa_user_sgpr_dispatch_ptr 0
		.amdhsa_user_sgpr_queue_ptr 0
		.amdhsa_user_sgpr_kernarg_segment_ptr 1
		.amdhsa_user_sgpr_dispatch_id 0
		.amdhsa_user_sgpr_flat_scratch_init 0
		.amdhsa_user_sgpr_kernarg_preload_length 0
		.amdhsa_user_sgpr_kernarg_preload_offset 0
		.amdhsa_user_sgpr_private_segment_size 0
		.amdhsa_uses_dynamic_stack 0
		.amdhsa_system_sgpr_private_segment_wavefront_offset 0
		.amdhsa_system_sgpr_workgroup_id_x 1
		.amdhsa_system_sgpr_workgroup_id_y 0
		.amdhsa_system_sgpr_workgroup_id_z 0
		.amdhsa_system_sgpr_workgroup_info 0
		.amdhsa_system_vgpr_workitem_id 0
		.amdhsa_next_free_vgpr 10
		.amdhsa_next_free_sgpr 24
		.amdhsa_accum_offset 12
		.amdhsa_reserve_vcc 1
		.amdhsa_reserve_flat_scratch 0
		.amdhsa_float_round_mode_32 0
		.amdhsa_float_round_mode_16_64 0
		.amdhsa_float_denorm_mode_32 3
		.amdhsa_float_denorm_mode_16_64 3
		.amdhsa_dx10_clamp 1
		.amdhsa_ieee_mode 1
		.amdhsa_fp16_overflow 0
		.amdhsa_tg_split 0
		.amdhsa_exception_fp_ieee_invalid_op 0
		.amdhsa_exception_fp_denorm_src 0
		.amdhsa_exception_fp_ieee_div_zero 0
		.amdhsa_exception_fp_ieee_overflow 0
		.amdhsa_exception_fp_ieee_underflow 0
		.amdhsa_exception_fp_ieee_inexact 0
		.amdhsa_exception_int_div_zero 0
	.end_amdhsa_kernel
	.section	.text._ZN7rocprim17ROCPRIM_400000_NS6detail30init_device_scan_by_key_kernelINS1_19lookback_scan_stateINS0_5tupleIJybEEELb1ELb0EEEN6thrust23THRUST_200600_302600_NS6detail15normal_iteratorINS8_10device_ptrIiEEEEjNS1_16block_id_wrapperIjLb1EEEEEvT_jjPNSG_10value_typeET0_PNSt15iterator_traitsISJ_E10value_typeEmT1_T2_,"axG",@progbits,_ZN7rocprim17ROCPRIM_400000_NS6detail30init_device_scan_by_key_kernelINS1_19lookback_scan_stateINS0_5tupleIJybEEELb1ELb0EEEN6thrust23THRUST_200600_302600_NS6detail15normal_iteratorINS8_10device_ptrIiEEEEjNS1_16block_id_wrapperIjLb1EEEEEvT_jjPNSG_10value_typeET0_PNSt15iterator_traitsISJ_E10value_typeEmT1_T2_,comdat
.Lfunc_end1185:
	.size	_ZN7rocprim17ROCPRIM_400000_NS6detail30init_device_scan_by_key_kernelINS1_19lookback_scan_stateINS0_5tupleIJybEEELb1ELb0EEEN6thrust23THRUST_200600_302600_NS6detail15normal_iteratorINS8_10device_ptrIiEEEEjNS1_16block_id_wrapperIjLb1EEEEEvT_jjPNSG_10value_typeET0_PNSt15iterator_traitsISJ_E10value_typeEmT1_T2_, .Lfunc_end1185-_ZN7rocprim17ROCPRIM_400000_NS6detail30init_device_scan_by_key_kernelINS1_19lookback_scan_stateINS0_5tupleIJybEEELb1ELb0EEEN6thrust23THRUST_200600_302600_NS6detail15normal_iteratorINS8_10device_ptrIiEEEEjNS1_16block_id_wrapperIjLb1EEEEEvT_jjPNSG_10value_typeET0_PNSt15iterator_traitsISJ_E10value_typeEmT1_T2_
                                        ; -- End function
	.section	.AMDGPU.csdata,"",@progbits
; Kernel info:
; codeLenInByte = 632
; NumSgprs: 28
; NumVgprs: 10
; NumAgprs: 0
; TotalNumVgprs: 10
; ScratchSize: 0
; MemoryBound: 0
; FloatMode: 240
; IeeeMode: 1
; LDSByteSize: 0 bytes/workgroup (compile time only)
; SGPRBlocks: 3
; VGPRBlocks: 1
; NumSGPRsForWavesPerEU: 28
; NumVGPRsForWavesPerEU: 10
; AccumOffset: 12
; Occupancy: 8
; WaveLimiterHint : 0
; COMPUTE_PGM_RSRC2:SCRATCH_EN: 0
; COMPUTE_PGM_RSRC2:USER_SGPR: 6
; COMPUTE_PGM_RSRC2:TRAP_HANDLER: 0
; COMPUTE_PGM_RSRC2:TGID_X_EN: 1
; COMPUTE_PGM_RSRC2:TGID_Y_EN: 0
; COMPUTE_PGM_RSRC2:TGID_Z_EN: 0
; COMPUTE_PGM_RSRC2:TIDIG_COMP_CNT: 0
; COMPUTE_PGM_RSRC3_GFX90A:ACCUM_OFFSET: 2
; COMPUTE_PGM_RSRC3_GFX90A:TG_SPLIT: 0
	.section	.text._ZN7rocprim17ROCPRIM_400000_NS6detail30init_device_scan_by_key_kernelINS1_19lookback_scan_stateINS0_5tupleIJybEEELb1ELb0EEENS1_16block_id_wrapperIjLb1EEEEEvT_jjPNS9_10value_typeET0_,"axG",@progbits,_ZN7rocprim17ROCPRIM_400000_NS6detail30init_device_scan_by_key_kernelINS1_19lookback_scan_stateINS0_5tupleIJybEEELb1ELb0EEENS1_16block_id_wrapperIjLb1EEEEEvT_jjPNS9_10value_typeET0_,comdat
	.protected	_ZN7rocprim17ROCPRIM_400000_NS6detail30init_device_scan_by_key_kernelINS1_19lookback_scan_stateINS0_5tupleIJybEEELb1ELb0EEENS1_16block_id_wrapperIjLb1EEEEEvT_jjPNS9_10value_typeET0_ ; -- Begin function _ZN7rocprim17ROCPRIM_400000_NS6detail30init_device_scan_by_key_kernelINS1_19lookback_scan_stateINS0_5tupleIJybEEELb1ELb0EEENS1_16block_id_wrapperIjLb1EEEEEvT_jjPNS9_10value_typeET0_
	.globl	_ZN7rocprim17ROCPRIM_400000_NS6detail30init_device_scan_by_key_kernelINS1_19lookback_scan_stateINS0_5tupleIJybEEELb1ELb0EEENS1_16block_id_wrapperIjLb1EEEEEvT_jjPNS9_10value_typeET0_
	.p2align	8
	.type	_ZN7rocprim17ROCPRIM_400000_NS6detail30init_device_scan_by_key_kernelINS1_19lookback_scan_stateINS0_5tupleIJybEEELb1ELb0EEENS1_16block_id_wrapperIjLb1EEEEEvT_jjPNS9_10value_typeET0_,@function
_ZN7rocprim17ROCPRIM_400000_NS6detail30init_device_scan_by_key_kernelINS1_19lookback_scan_stateINS0_5tupleIJybEEELb1ELb0EEENS1_16block_id_wrapperIjLb1EEEEEvT_jjPNS9_10value_typeET0_: ; @_ZN7rocprim17ROCPRIM_400000_NS6detail30init_device_scan_by_key_kernelINS1_19lookback_scan_stateINS0_5tupleIJybEEELb1ELb0EEENS1_16block_id_wrapperIjLb1EEEEEvT_jjPNS9_10value_typeET0_
; %bb.0:
	s_load_dword s0, s[4:5], 0x3c
	s_load_dwordx8 s[8:15], s[4:5], 0x10
	s_waitcnt lgkmcnt(0)
	s_and_b32 s0, s0, 0xffff
	s_mul_i32 s6, s6, s0
	s_cmp_eq_u64 s[12:13], 0
	v_add_u32_e32 v0, s6, v0
	s_cbranch_scc1 .LBB1186_11
; %bb.1:
	s_cmp_lt_u32 s11, s10
	s_cselect_b32 s0, s11, 0
	s_mov_b32 s17, 0
	v_cmp_eq_u32_e32 vcc, s0, v0
	s_and_saveexec_b64 s[6:7], vcc
	s_cbranch_execz .LBB1186_10
; %bb.2:
	s_add_i32 s16, s11, 64
	v_mov_b32_e32 v1, s16
	global_load_ubyte v1, v1, s[8:9] glc
	s_load_dwordx4 s[0:3], s[4:5], 0x0
	s_add_u32 s4, s8, s16
	s_addc_u32 s5, s9, 0
	s_waitcnt vmcnt(0)
	v_cmp_ne_u16_e32 vcc, 0, v1
	v_readfirstlane_b32 s11, v1
	s_cbranch_vccz .LBB1186_4
; %bb.3:
	s_and_b32 s4, 0xffff, s11
	s_branch .LBB1186_9
.LBB1186_4:
	s_mov_b32 s11, 1
	v_mov_b32_e32 v1, 0
.LBB1186_5:                             ; =>This Loop Header: Depth=1
                                        ;     Child Loop BB1186_6 Depth 2
	s_max_u32 s18, s11, 1
.LBB1186_6:                             ;   Parent Loop BB1186_5 Depth=1
                                        ; =>  This Inner Loop Header: Depth=2
	s_add_i32 s18, s18, -1
	s_cmp_eq_u32 s18, 0
	s_sleep 1
	s_cbranch_scc0 .LBB1186_6
; %bb.7:                                ;   in Loop: Header=BB1186_5 Depth=1
	global_load_ubyte v2, v1, s[4:5] glc
	s_cmp_lt_u32 s11, 32
	s_cselect_b64 s[18:19], -1, 0
	s_cmp_lg_u64 s[18:19], 0
	s_addc_u32 s11, s11, 0
	s_waitcnt vmcnt(0)
	v_cmp_ne_u16_e32 vcc, 0, v2
	v_readfirstlane_b32 s18, v2
	s_cbranch_vccz .LBB1186_5
; %bb.8:
	s_and_b32 s4, 0xffff, s18
.LBB1186_9:
	s_cmp_eq_u32 s4, 1
	s_waitcnt lgkmcnt(0)
	s_cselect_b32 s3, s1, s3
	s_cselect_b32 s2, s0, s2
	s_lshl_b64 s[0:1], s[16:17], 4
	s_add_u32 s0, s2, s0
	s_addc_u32 s1, s3, s1
	v_mov_b32_e32 v1, 0
	buffer_wbinvl1_vol
	global_load_dwordx2 v[2:3], v1, s[0:1]
	global_load_ubyte v4, v1, s[0:1] offset:8
	s_waitcnt vmcnt(1)
	global_store_dwordx2 v1, v[2:3], s[12:13]
	s_waitcnt vmcnt(1)
	global_store_byte v1, v4, s[12:13] offset:8
.LBB1186_10:
	s_or_b64 exec, exec, s[6:7]
.LBB1186_11:
	v_cmp_eq_u32_e32 vcc, 0, v0
	s_and_saveexec_b64 s[0:1], vcc
	s_cbranch_execnz .LBB1186_15
; %bb.12:
	s_or_b64 exec, exec, s[0:1]
	v_cmp_gt_u32_e32 vcc, s10, v0
	s_and_saveexec_b64 s[0:1], vcc
	s_cbranch_execnz .LBB1186_16
.LBB1186_13:
	s_or_b64 exec, exec, s[0:1]
	v_cmp_gt_u32_e32 vcc, 64, v0
	s_and_saveexec_b64 s[0:1], vcc
	s_cbranch_execnz .LBB1186_17
.LBB1186_14:
	s_endpgm
.LBB1186_15:
	v_mov_b32_e32 v1, 0
	global_store_dword v1, v1, s[14:15]
	s_or_b64 exec, exec, s[0:1]
	v_cmp_gt_u32_e32 vcc, s10, v0
	s_and_saveexec_b64 s[0:1], vcc
	s_cbranch_execz .LBB1186_13
.LBB1186_16:
	v_add_u32_e32 v1, 64, v0
	v_mov_b32_e32 v2, 0
	global_store_byte v1, v2, s[8:9]
	s_or_b64 exec, exec, s[0:1]
	v_cmp_gt_u32_e32 vcc, 64, v0
	s_and_saveexec_b64 s[0:1], vcc
	s_cbranch_execz .LBB1186_14
.LBB1186_17:
	v_mov_b32_e32 v1, 0xff
	global_store_byte v0, v1, s[8:9]
	s_endpgm
	.section	.rodata,"a",@progbits
	.p2align	6, 0x0
	.amdhsa_kernel _ZN7rocprim17ROCPRIM_400000_NS6detail30init_device_scan_by_key_kernelINS1_19lookback_scan_stateINS0_5tupleIJybEEELb1ELb0EEENS1_16block_id_wrapperIjLb1EEEEEvT_jjPNS9_10value_typeET0_
		.amdhsa_group_segment_fixed_size 0
		.amdhsa_private_segment_fixed_size 0
		.amdhsa_kernarg_size 304
		.amdhsa_user_sgpr_count 6
		.amdhsa_user_sgpr_private_segment_buffer 1
		.amdhsa_user_sgpr_dispatch_ptr 0
		.amdhsa_user_sgpr_queue_ptr 0
		.amdhsa_user_sgpr_kernarg_segment_ptr 1
		.amdhsa_user_sgpr_dispatch_id 0
		.amdhsa_user_sgpr_flat_scratch_init 0
		.amdhsa_user_sgpr_kernarg_preload_length 0
		.amdhsa_user_sgpr_kernarg_preload_offset 0
		.amdhsa_user_sgpr_private_segment_size 0
		.amdhsa_uses_dynamic_stack 0
		.amdhsa_system_sgpr_private_segment_wavefront_offset 0
		.amdhsa_system_sgpr_workgroup_id_x 1
		.amdhsa_system_sgpr_workgroup_id_y 0
		.amdhsa_system_sgpr_workgroup_id_z 0
		.amdhsa_system_sgpr_workgroup_info 0
		.amdhsa_system_vgpr_workitem_id 0
		.amdhsa_next_free_vgpr 5
		.amdhsa_next_free_sgpr 20
		.amdhsa_accum_offset 8
		.amdhsa_reserve_vcc 1
		.amdhsa_reserve_flat_scratch 0
		.amdhsa_float_round_mode_32 0
		.amdhsa_float_round_mode_16_64 0
		.amdhsa_float_denorm_mode_32 3
		.amdhsa_float_denorm_mode_16_64 3
		.amdhsa_dx10_clamp 1
		.amdhsa_ieee_mode 1
		.amdhsa_fp16_overflow 0
		.amdhsa_tg_split 0
		.amdhsa_exception_fp_ieee_invalid_op 0
		.amdhsa_exception_fp_denorm_src 0
		.amdhsa_exception_fp_ieee_div_zero 0
		.amdhsa_exception_fp_ieee_overflow 0
		.amdhsa_exception_fp_ieee_underflow 0
		.amdhsa_exception_fp_ieee_inexact 0
		.amdhsa_exception_int_div_zero 0
	.end_amdhsa_kernel
	.section	.text._ZN7rocprim17ROCPRIM_400000_NS6detail30init_device_scan_by_key_kernelINS1_19lookback_scan_stateINS0_5tupleIJybEEELb1ELb0EEENS1_16block_id_wrapperIjLb1EEEEEvT_jjPNS9_10value_typeET0_,"axG",@progbits,_ZN7rocprim17ROCPRIM_400000_NS6detail30init_device_scan_by_key_kernelINS1_19lookback_scan_stateINS0_5tupleIJybEEELb1ELb0EEENS1_16block_id_wrapperIjLb1EEEEEvT_jjPNS9_10value_typeET0_,comdat
.Lfunc_end1186:
	.size	_ZN7rocprim17ROCPRIM_400000_NS6detail30init_device_scan_by_key_kernelINS1_19lookback_scan_stateINS0_5tupleIJybEEELb1ELb0EEENS1_16block_id_wrapperIjLb1EEEEEvT_jjPNS9_10value_typeET0_, .Lfunc_end1186-_ZN7rocprim17ROCPRIM_400000_NS6detail30init_device_scan_by_key_kernelINS1_19lookback_scan_stateINS0_5tupleIJybEEELb1ELb0EEENS1_16block_id_wrapperIjLb1EEEEEvT_jjPNS9_10value_typeET0_
                                        ; -- End function
	.section	.AMDGPU.csdata,"",@progbits
; Kernel info:
; codeLenInByte = 416
; NumSgprs: 24
; NumVgprs: 5
; NumAgprs: 0
; TotalNumVgprs: 5
; ScratchSize: 0
; MemoryBound: 0
; FloatMode: 240
; IeeeMode: 1
; LDSByteSize: 0 bytes/workgroup (compile time only)
; SGPRBlocks: 2
; VGPRBlocks: 0
; NumSGPRsForWavesPerEU: 24
; NumVGPRsForWavesPerEU: 5
; AccumOffset: 8
; Occupancy: 8
; WaveLimiterHint : 0
; COMPUTE_PGM_RSRC2:SCRATCH_EN: 0
; COMPUTE_PGM_RSRC2:USER_SGPR: 6
; COMPUTE_PGM_RSRC2:TRAP_HANDLER: 0
; COMPUTE_PGM_RSRC2:TGID_X_EN: 1
; COMPUTE_PGM_RSRC2:TGID_Y_EN: 0
; COMPUTE_PGM_RSRC2:TGID_Z_EN: 0
; COMPUTE_PGM_RSRC2:TIDIG_COMP_CNT: 0
; COMPUTE_PGM_RSRC3_GFX90A:ACCUM_OFFSET: 1
; COMPUTE_PGM_RSRC3_GFX90A:TG_SPLIT: 0
	.section	.text._ZN7rocprim17ROCPRIM_400000_NS6detail17trampoline_kernelINS0_14default_configENS1_27scan_by_key_config_selectorIiyEEZZNS1_16scan_by_key_implILNS1_25lookback_scan_determinismE0ELb0ES3_N6thrust23THRUST_200600_302600_NS6detail15normal_iteratorINS9_10device_ptrIiEEEENSB_INSC_IyEEEESG_yNS9_4plusIvEENS9_8equal_toIvEEyEE10hipError_tPvRmT2_T3_T4_T5_mT6_T7_P12ihipStream_tbENKUlT_T0_E_clISt17integral_constantIbLb1EES11_EEDaSW_SX_EUlSW_E_NS1_11comp_targetILNS1_3genE0ELNS1_11target_archE4294967295ELNS1_3gpuE0ELNS1_3repE0EEENS1_30default_config_static_selectorELNS0_4arch9wavefront6targetE1EEEvT1_,"axG",@progbits,_ZN7rocprim17ROCPRIM_400000_NS6detail17trampoline_kernelINS0_14default_configENS1_27scan_by_key_config_selectorIiyEEZZNS1_16scan_by_key_implILNS1_25lookback_scan_determinismE0ELb0ES3_N6thrust23THRUST_200600_302600_NS6detail15normal_iteratorINS9_10device_ptrIiEEEENSB_INSC_IyEEEESG_yNS9_4plusIvEENS9_8equal_toIvEEyEE10hipError_tPvRmT2_T3_T4_T5_mT6_T7_P12ihipStream_tbENKUlT_T0_E_clISt17integral_constantIbLb1EES11_EEDaSW_SX_EUlSW_E_NS1_11comp_targetILNS1_3genE0ELNS1_11target_archE4294967295ELNS1_3gpuE0ELNS1_3repE0EEENS1_30default_config_static_selectorELNS0_4arch9wavefront6targetE1EEEvT1_,comdat
	.protected	_ZN7rocprim17ROCPRIM_400000_NS6detail17trampoline_kernelINS0_14default_configENS1_27scan_by_key_config_selectorIiyEEZZNS1_16scan_by_key_implILNS1_25lookback_scan_determinismE0ELb0ES3_N6thrust23THRUST_200600_302600_NS6detail15normal_iteratorINS9_10device_ptrIiEEEENSB_INSC_IyEEEESG_yNS9_4plusIvEENS9_8equal_toIvEEyEE10hipError_tPvRmT2_T3_T4_T5_mT6_T7_P12ihipStream_tbENKUlT_T0_E_clISt17integral_constantIbLb1EES11_EEDaSW_SX_EUlSW_E_NS1_11comp_targetILNS1_3genE0ELNS1_11target_archE4294967295ELNS1_3gpuE0ELNS1_3repE0EEENS1_30default_config_static_selectorELNS0_4arch9wavefront6targetE1EEEvT1_ ; -- Begin function _ZN7rocprim17ROCPRIM_400000_NS6detail17trampoline_kernelINS0_14default_configENS1_27scan_by_key_config_selectorIiyEEZZNS1_16scan_by_key_implILNS1_25lookback_scan_determinismE0ELb0ES3_N6thrust23THRUST_200600_302600_NS6detail15normal_iteratorINS9_10device_ptrIiEEEENSB_INSC_IyEEEESG_yNS9_4plusIvEENS9_8equal_toIvEEyEE10hipError_tPvRmT2_T3_T4_T5_mT6_T7_P12ihipStream_tbENKUlT_T0_E_clISt17integral_constantIbLb1EES11_EEDaSW_SX_EUlSW_E_NS1_11comp_targetILNS1_3genE0ELNS1_11target_archE4294967295ELNS1_3gpuE0ELNS1_3repE0EEENS1_30default_config_static_selectorELNS0_4arch9wavefront6targetE1EEEvT1_
	.globl	_ZN7rocprim17ROCPRIM_400000_NS6detail17trampoline_kernelINS0_14default_configENS1_27scan_by_key_config_selectorIiyEEZZNS1_16scan_by_key_implILNS1_25lookback_scan_determinismE0ELb0ES3_N6thrust23THRUST_200600_302600_NS6detail15normal_iteratorINS9_10device_ptrIiEEEENSB_INSC_IyEEEESG_yNS9_4plusIvEENS9_8equal_toIvEEyEE10hipError_tPvRmT2_T3_T4_T5_mT6_T7_P12ihipStream_tbENKUlT_T0_E_clISt17integral_constantIbLb1EES11_EEDaSW_SX_EUlSW_E_NS1_11comp_targetILNS1_3genE0ELNS1_11target_archE4294967295ELNS1_3gpuE0ELNS1_3repE0EEENS1_30default_config_static_selectorELNS0_4arch9wavefront6targetE1EEEvT1_
	.p2align	8
	.type	_ZN7rocprim17ROCPRIM_400000_NS6detail17trampoline_kernelINS0_14default_configENS1_27scan_by_key_config_selectorIiyEEZZNS1_16scan_by_key_implILNS1_25lookback_scan_determinismE0ELb0ES3_N6thrust23THRUST_200600_302600_NS6detail15normal_iteratorINS9_10device_ptrIiEEEENSB_INSC_IyEEEESG_yNS9_4plusIvEENS9_8equal_toIvEEyEE10hipError_tPvRmT2_T3_T4_T5_mT6_T7_P12ihipStream_tbENKUlT_T0_E_clISt17integral_constantIbLb1EES11_EEDaSW_SX_EUlSW_E_NS1_11comp_targetILNS1_3genE0ELNS1_11target_archE4294967295ELNS1_3gpuE0ELNS1_3repE0EEENS1_30default_config_static_selectorELNS0_4arch9wavefront6targetE1EEEvT1_,@function
_ZN7rocprim17ROCPRIM_400000_NS6detail17trampoline_kernelINS0_14default_configENS1_27scan_by_key_config_selectorIiyEEZZNS1_16scan_by_key_implILNS1_25lookback_scan_determinismE0ELb0ES3_N6thrust23THRUST_200600_302600_NS6detail15normal_iteratorINS9_10device_ptrIiEEEENSB_INSC_IyEEEESG_yNS9_4plusIvEENS9_8equal_toIvEEyEE10hipError_tPvRmT2_T3_T4_T5_mT6_T7_P12ihipStream_tbENKUlT_T0_E_clISt17integral_constantIbLb1EES11_EEDaSW_SX_EUlSW_E_NS1_11comp_targetILNS1_3genE0ELNS1_11target_archE4294967295ELNS1_3gpuE0ELNS1_3repE0EEENS1_30default_config_static_selectorELNS0_4arch9wavefront6targetE1EEEvT1_: ; @_ZN7rocprim17ROCPRIM_400000_NS6detail17trampoline_kernelINS0_14default_configENS1_27scan_by_key_config_selectorIiyEEZZNS1_16scan_by_key_implILNS1_25lookback_scan_determinismE0ELb0ES3_N6thrust23THRUST_200600_302600_NS6detail15normal_iteratorINS9_10device_ptrIiEEEENSB_INSC_IyEEEESG_yNS9_4plusIvEENS9_8equal_toIvEEyEE10hipError_tPvRmT2_T3_T4_T5_mT6_T7_P12ihipStream_tbENKUlT_T0_E_clISt17integral_constantIbLb1EES11_EEDaSW_SX_EUlSW_E_NS1_11comp_targetILNS1_3genE0ELNS1_11target_archE4294967295ELNS1_3gpuE0ELNS1_3repE0EEENS1_30default_config_static_selectorELNS0_4arch9wavefront6targetE1EEEvT1_
; %bb.0:
	.section	.rodata,"a",@progbits
	.p2align	6, 0x0
	.amdhsa_kernel _ZN7rocprim17ROCPRIM_400000_NS6detail17trampoline_kernelINS0_14default_configENS1_27scan_by_key_config_selectorIiyEEZZNS1_16scan_by_key_implILNS1_25lookback_scan_determinismE0ELb0ES3_N6thrust23THRUST_200600_302600_NS6detail15normal_iteratorINS9_10device_ptrIiEEEENSB_INSC_IyEEEESG_yNS9_4plusIvEENS9_8equal_toIvEEyEE10hipError_tPvRmT2_T3_T4_T5_mT6_T7_P12ihipStream_tbENKUlT_T0_E_clISt17integral_constantIbLb1EES11_EEDaSW_SX_EUlSW_E_NS1_11comp_targetILNS1_3genE0ELNS1_11target_archE4294967295ELNS1_3gpuE0ELNS1_3repE0EEENS1_30default_config_static_selectorELNS0_4arch9wavefront6targetE1EEEvT1_
		.amdhsa_group_segment_fixed_size 0
		.amdhsa_private_segment_fixed_size 0
		.amdhsa_kernarg_size 136
		.amdhsa_user_sgpr_count 6
		.amdhsa_user_sgpr_private_segment_buffer 1
		.amdhsa_user_sgpr_dispatch_ptr 0
		.amdhsa_user_sgpr_queue_ptr 0
		.amdhsa_user_sgpr_kernarg_segment_ptr 1
		.amdhsa_user_sgpr_dispatch_id 0
		.amdhsa_user_sgpr_flat_scratch_init 0
		.amdhsa_user_sgpr_kernarg_preload_length 0
		.amdhsa_user_sgpr_kernarg_preload_offset 0
		.amdhsa_user_sgpr_private_segment_size 0
		.amdhsa_uses_dynamic_stack 0
		.amdhsa_system_sgpr_private_segment_wavefront_offset 0
		.amdhsa_system_sgpr_workgroup_id_x 1
		.amdhsa_system_sgpr_workgroup_id_y 0
		.amdhsa_system_sgpr_workgroup_id_z 0
		.amdhsa_system_sgpr_workgroup_info 0
		.amdhsa_system_vgpr_workitem_id 0
		.amdhsa_next_free_vgpr 1
		.amdhsa_next_free_sgpr 0
		.amdhsa_accum_offset 4
		.amdhsa_reserve_vcc 0
		.amdhsa_reserve_flat_scratch 0
		.amdhsa_float_round_mode_32 0
		.amdhsa_float_round_mode_16_64 0
		.amdhsa_float_denorm_mode_32 3
		.amdhsa_float_denorm_mode_16_64 3
		.amdhsa_dx10_clamp 1
		.amdhsa_ieee_mode 1
		.amdhsa_fp16_overflow 0
		.amdhsa_tg_split 0
		.amdhsa_exception_fp_ieee_invalid_op 0
		.amdhsa_exception_fp_denorm_src 0
		.amdhsa_exception_fp_ieee_div_zero 0
		.amdhsa_exception_fp_ieee_overflow 0
		.amdhsa_exception_fp_ieee_underflow 0
		.amdhsa_exception_fp_ieee_inexact 0
		.amdhsa_exception_int_div_zero 0
	.end_amdhsa_kernel
	.section	.text._ZN7rocprim17ROCPRIM_400000_NS6detail17trampoline_kernelINS0_14default_configENS1_27scan_by_key_config_selectorIiyEEZZNS1_16scan_by_key_implILNS1_25lookback_scan_determinismE0ELb0ES3_N6thrust23THRUST_200600_302600_NS6detail15normal_iteratorINS9_10device_ptrIiEEEENSB_INSC_IyEEEESG_yNS9_4plusIvEENS9_8equal_toIvEEyEE10hipError_tPvRmT2_T3_T4_T5_mT6_T7_P12ihipStream_tbENKUlT_T0_E_clISt17integral_constantIbLb1EES11_EEDaSW_SX_EUlSW_E_NS1_11comp_targetILNS1_3genE0ELNS1_11target_archE4294967295ELNS1_3gpuE0ELNS1_3repE0EEENS1_30default_config_static_selectorELNS0_4arch9wavefront6targetE1EEEvT1_,"axG",@progbits,_ZN7rocprim17ROCPRIM_400000_NS6detail17trampoline_kernelINS0_14default_configENS1_27scan_by_key_config_selectorIiyEEZZNS1_16scan_by_key_implILNS1_25lookback_scan_determinismE0ELb0ES3_N6thrust23THRUST_200600_302600_NS6detail15normal_iteratorINS9_10device_ptrIiEEEENSB_INSC_IyEEEESG_yNS9_4plusIvEENS9_8equal_toIvEEyEE10hipError_tPvRmT2_T3_T4_T5_mT6_T7_P12ihipStream_tbENKUlT_T0_E_clISt17integral_constantIbLb1EES11_EEDaSW_SX_EUlSW_E_NS1_11comp_targetILNS1_3genE0ELNS1_11target_archE4294967295ELNS1_3gpuE0ELNS1_3repE0EEENS1_30default_config_static_selectorELNS0_4arch9wavefront6targetE1EEEvT1_,comdat
.Lfunc_end1187:
	.size	_ZN7rocprim17ROCPRIM_400000_NS6detail17trampoline_kernelINS0_14default_configENS1_27scan_by_key_config_selectorIiyEEZZNS1_16scan_by_key_implILNS1_25lookback_scan_determinismE0ELb0ES3_N6thrust23THRUST_200600_302600_NS6detail15normal_iteratorINS9_10device_ptrIiEEEENSB_INSC_IyEEEESG_yNS9_4plusIvEENS9_8equal_toIvEEyEE10hipError_tPvRmT2_T3_T4_T5_mT6_T7_P12ihipStream_tbENKUlT_T0_E_clISt17integral_constantIbLb1EES11_EEDaSW_SX_EUlSW_E_NS1_11comp_targetILNS1_3genE0ELNS1_11target_archE4294967295ELNS1_3gpuE0ELNS1_3repE0EEENS1_30default_config_static_selectorELNS0_4arch9wavefront6targetE1EEEvT1_, .Lfunc_end1187-_ZN7rocprim17ROCPRIM_400000_NS6detail17trampoline_kernelINS0_14default_configENS1_27scan_by_key_config_selectorIiyEEZZNS1_16scan_by_key_implILNS1_25lookback_scan_determinismE0ELb0ES3_N6thrust23THRUST_200600_302600_NS6detail15normal_iteratorINS9_10device_ptrIiEEEENSB_INSC_IyEEEESG_yNS9_4plusIvEENS9_8equal_toIvEEyEE10hipError_tPvRmT2_T3_T4_T5_mT6_T7_P12ihipStream_tbENKUlT_T0_E_clISt17integral_constantIbLb1EES11_EEDaSW_SX_EUlSW_E_NS1_11comp_targetILNS1_3genE0ELNS1_11target_archE4294967295ELNS1_3gpuE0ELNS1_3repE0EEENS1_30default_config_static_selectorELNS0_4arch9wavefront6targetE1EEEvT1_
                                        ; -- End function
	.section	.AMDGPU.csdata,"",@progbits
; Kernel info:
; codeLenInByte = 0
; NumSgprs: 4
; NumVgprs: 0
; NumAgprs: 0
; TotalNumVgprs: 0
; ScratchSize: 0
; MemoryBound: 0
; FloatMode: 240
; IeeeMode: 1
; LDSByteSize: 0 bytes/workgroup (compile time only)
; SGPRBlocks: 0
; VGPRBlocks: 0
; NumSGPRsForWavesPerEU: 4
; NumVGPRsForWavesPerEU: 1
; AccumOffset: 4
; Occupancy: 8
; WaveLimiterHint : 0
; COMPUTE_PGM_RSRC2:SCRATCH_EN: 0
; COMPUTE_PGM_RSRC2:USER_SGPR: 6
; COMPUTE_PGM_RSRC2:TRAP_HANDLER: 0
; COMPUTE_PGM_RSRC2:TGID_X_EN: 1
; COMPUTE_PGM_RSRC2:TGID_Y_EN: 0
; COMPUTE_PGM_RSRC2:TGID_Z_EN: 0
; COMPUTE_PGM_RSRC2:TIDIG_COMP_CNT: 0
; COMPUTE_PGM_RSRC3_GFX90A:ACCUM_OFFSET: 0
; COMPUTE_PGM_RSRC3_GFX90A:TG_SPLIT: 0
	.section	.text._ZN7rocprim17ROCPRIM_400000_NS6detail17trampoline_kernelINS0_14default_configENS1_27scan_by_key_config_selectorIiyEEZZNS1_16scan_by_key_implILNS1_25lookback_scan_determinismE0ELb0ES3_N6thrust23THRUST_200600_302600_NS6detail15normal_iteratorINS9_10device_ptrIiEEEENSB_INSC_IyEEEESG_yNS9_4plusIvEENS9_8equal_toIvEEyEE10hipError_tPvRmT2_T3_T4_T5_mT6_T7_P12ihipStream_tbENKUlT_T0_E_clISt17integral_constantIbLb1EES11_EEDaSW_SX_EUlSW_E_NS1_11comp_targetILNS1_3genE10ELNS1_11target_archE1201ELNS1_3gpuE5ELNS1_3repE0EEENS1_30default_config_static_selectorELNS0_4arch9wavefront6targetE1EEEvT1_,"axG",@progbits,_ZN7rocprim17ROCPRIM_400000_NS6detail17trampoline_kernelINS0_14default_configENS1_27scan_by_key_config_selectorIiyEEZZNS1_16scan_by_key_implILNS1_25lookback_scan_determinismE0ELb0ES3_N6thrust23THRUST_200600_302600_NS6detail15normal_iteratorINS9_10device_ptrIiEEEENSB_INSC_IyEEEESG_yNS9_4plusIvEENS9_8equal_toIvEEyEE10hipError_tPvRmT2_T3_T4_T5_mT6_T7_P12ihipStream_tbENKUlT_T0_E_clISt17integral_constantIbLb1EES11_EEDaSW_SX_EUlSW_E_NS1_11comp_targetILNS1_3genE10ELNS1_11target_archE1201ELNS1_3gpuE5ELNS1_3repE0EEENS1_30default_config_static_selectorELNS0_4arch9wavefront6targetE1EEEvT1_,comdat
	.protected	_ZN7rocprim17ROCPRIM_400000_NS6detail17trampoline_kernelINS0_14default_configENS1_27scan_by_key_config_selectorIiyEEZZNS1_16scan_by_key_implILNS1_25lookback_scan_determinismE0ELb0ES3_N6thrust23THRUST_200600_302600_NS6detail15normal_iteratorINS9_10device_ptrIiEEEENSB_INSC_IyEEEESG_yNS9_4plusIvEENS9_8equal_toIvEEyEE10hipError_tPvRmT2_T3_T4_T5_mT6_T7_P12ihipStream_tbENKUlT_T0_E_clISt17integral_constantIbLb1EES11_EEDaSW_SX_EUlSW_E_NS1_11comp_targetILNS1_3genE10ELNS1_11target_archE1201ELNS1_3gpuE5ELNS1_3repE0EEENS1_30default_config_static_selectorELNS0_4arch9wavefront6targetE1EEEvT1_ ; -- Begin function _ZN7rocprim17ROCPRIM_400000_NS6detail17trampoline_kernelINS0_14default_configENS1_27scan_by_key_config_selectorIiyEEZZNS1_16scan_by_key_implILNS1_25lookback_scan_determinismE0ELb0ES3_N6thrust23THRUST_200600_302600_NS6detail15normal_iteratorINS9_10device_ptrIiEEEENSB_INSC_IyEEEESG_yNS9_4plusIvEENS9_8equal_toIvEEyEE10hipError_tPvRmT2_T3_T4_T5_mT6_T7_P12ihipStream_tbENKUlT_T0_E_clISt17integral_constantIbLb1EES11_EEDaSW_SX_EUlSW_E_NS1_11comp_targetILNS1_3genE10ELNS1_11target_archE1201ELNS1_3gpuE5ELNS1_3repE0EEENS1_30default_config_static_selectorELNS0_4arch9wavefront6targetE1EEEvT1_
	.globl	_ZN7rocprim17ROCPRIM_400000_NS6detail17trampoline_kernelINS0_14default_configENS1_27scan_by_key_config_selectorIiyEEZZNS1_16scan_by_key_implILNS1_25lookback_scan_determinismE0ELb0ES3_N6thrust23THRUST_200600_302600_NS6detail15normal_iteratorINS9_10device_ptrIiEEEENSB_INSC_IyEEEESG_yNS9_4plusIvEENS9_8equal_toIvEEyEE10hipError_tPvRmT2_T3_T4_T5_mT6_T7_P12ihipStream_tbENKUlT_T0_E_clISt17integral_constantIbLb1EES11_EEDaSW_SX_EUlSW_E_NS1_11comp_targetILNS1_3genE10ELNS1_11target_archE1201ELNS1_3gpuE5ELNS1_3repE0EEENS1_30default_config_static_selectorELNS0_4arch9wavefront6targetE1EEEvT1_
	.p2align	8
	.type	_ZN7rocprim17ROCPRIM_400000_NS6detail17trampoline_kernelINS0_14default_configENS1_27scan_by_key_config_selectorIiyEEZZNS1_16scan_by_key_implILNS1_25lookback_scan_determinismE0ELb0ES3_N6thrust23THRUST_200600_302600_NS6detail15normal_iteratorINS9_10device_ptrIiEEEENSB_INSC_IyEEEESG_yNS9_4plusIvEENS9_8equal_toIvEEyEE10hipError_tPvRmT2_T3_T4_T5_mT6_T7_P12ihipStream_tbENKUlT_T0_E_clISt17integral_constantIbLb1EES11_EEDaSW_SX_EUlSW_E_NS1_11comp_targetILNS1_3genE10ELNS1_11target_archE1201ELNS1_3gpuE5ELNS1_3repE0EEENS1_30default_config_static_selectorELNS0_4arch9wavefront6targetE1EEEvT1_,@function
_ZN7rocprim17ROCPRIM_400000_NS6detail17trampoline_kernelINS0_14default_configENS1_27scan_by_key_config_selectorIiyEEZZNS1_16scan_by_key_implILNS1_25lookback_scan_determinismE0ELb0ES3_N6thrust23THRUST_200600_302600_NS6detail15normal_iteratorINS9_10device_ptrIiEEEENSB_INSC_IyEEEESG_yNS9_4plusIvEENS9_8equal_toIvEEyEE10hipError_tPvRmT2_T3_T4_T5_mT6_T7_P12ihipStream_tbENKUlT_T0_E_clISt17integral_constantIbLb1EES11_EEDaSW_SX_EUlSW_E_NS1_11comp_targetILNS1_3genE10ELNS1_11target_archE1201ELNS1_3gpuE5ELNS1_3repE0EEENS1_30default_config_static_selectorELNS0_4arch9wavefront6targetE1EEEvT1_: ; @_ZN7rocprim17ROCPRIM_400000_NS6detail17trampoline_kernelINS0_14default_configENS1_27scan_by_key_config_selectorIiyEEZZNS1_16scan_by_key_implILNS1_25lookback_scan_determinismE0ELb0ES3_N6thrust23THRUST_200600_302600_NS6detail15normal_iteratorINS9_10device_ptrIiEEEENSB_INSC_IyEEEESG_yNS9_4plusIvEENS9_8equal_toIvEEyEE10hipError_tPvRmT2_T3_T4_T5_mT6_T7_P12ihipStream_tbENKUlT_T0_E_clISt17integral_constantIbLb1EES11_EEDaSW_SX_EUlSW_E_NS1_11comp_targetILNS1_3genE10ELNS1_11target_archE1201ELNS1_3gpuE5ELNS1_3repE0EEENS1_30default_config_static_selectorELNS0_4arch9wavefront6targetE1EEEvT1_
; %bb.0:
	.section	.rodata,"a",@progbits
	.p2align	6, 0x0
	.amdhsa_kernel _ZN7rocprim17ROCPRIM_400000_NS6detail17trampoline_kernelINS0_14default_configENS1_27scan_by_key_config_selectorIiyEEZZNS1_16scan_by_key_implILNS1_25lookback_scan_determinismE0ELb0ES3_N6thrust23THRUST_200600_302600_NS6detail15normal_iteratorINS9_10device_ptrIiEEEENSB_INSC_IyEEEESG_yNS9_4plusIvEENS9_8equal_toIvEEyEE10hipError_tPvRmT2_T3_T4_T5_mT6_T7_P12ihipStream_tbENKUlT_T0_E_clISt17integral_constantIbLb1EES11_EEDaSW_SX_EUlSW_E_NS1_11comp_targetILNS1_3genE10ELNS1_11target_archE1201ELNS1_3gpuE5ELNS1_3repE0EEENS1_30default_config_static_selectorELNS0_4arch9wavefront6targetE1EEEvT1_
		.amdhsa_group_segment_fixed_size 0
		.amdhsa_private_segment_fixed_size 0
		.amdhsa_kernarg_size 136
		.amdhsa_user_sgpr_count 6
		.amdhsa_user_sgpr_private_segment_buffer 1
		.amdhsa_user_sgpr_dispatch_ptr 0
		.amdhsa_user_sgpr_queue_ptr 0
		.amdhsa_user_sgpr_kernarg_segment_ptr 1
		.amdhsa_user_sgpr_dispatch_id 0
		.amdhsa_user_sgpr_flat_scratch_init 0
		.amdhsa_user_sgpr_kernarg_preload_length 0
		.amdhsa_user_sgpr_kernarg_preload_offset 0
		.amdhsa_user_sgpr_private_segment_size 0
		.amdhsa_uses_dynamic_stack 0
		.amdhsa_system_sgpr_private_segment_wavefront_offset 0
		.amdhsa_system_sgpr_workgroup_id_x 1
		.amdhsa_system_sgpr_workgroup_id_y 0
		.amdhsa_system_sgpr_workgroup_id_z 0
		.amdhsa_system_sgpr_workgroup_info 0
		.amdhsa_system_vgpr_workitem_id 0
		.amdhsa_next_free_vgpr 1
		.amdhsa_next_free_sgpr 0
		.amdhsa_accum_offset 4
		.amdhsa_reserve_vcc 0
		.amdhsa_reserve_flat_scratch 0
		.amdhsa_float_round_mode_32 0
		.amdhsa_float_round_mode_16_64 0
		.amdhsa_float_denorm_mode_32 3
		.amdhsa_float_denorm_mode_16_64 3
		.amdhsa_dx10_clamp 1
		.amdhsa_ieee_mode 1
		.amdhsa_fp16_overflow 0
		.amdhsa_tg_split 0
		.amdhsa_exception_fp_ieee_invalid_op 0
		.amdhsa_exception_fp_denorm_src 0
		.amdhsa_exception_fp_ieee_div_zero 0
		.amdhsa_exception_fp_ieee_overflow 0
		.amdhsa_exception_fp_ieee_underflow 0
		.amdhsa_exception_fp_ieee_inexact 0
		.amdhsa_exception_int_div_zero 0
	.end_amdhsa_kernel
	.section	.text._ZN7rocprim17ROCPRIM_400000_NS6detail17trampoline_kernelINS0_14default_configENS1_27scan_by_key_config_selectorIiyEEZZNS1_16scan_by_key_implILNS1_25lookback_scan_determinismE0ELb0ES3_N6thrust23THRUST_200600_302600_NS6detail15normal_iteratorINS9_10device_ptrIiEEEENSB_INSC_IyEEEESG_yNS9_4plusIvEENS9_8equal_toIvEEyEE10hipError_tPvRmT2_T3_T4_T5_mT6_T7_P12ihipStream_tbENKUlT_T0_E_clISt17integral_constantIbLb1EES11_EEDaSW_SX_EUlSW_E_NS1_11comp_targetILNS1_3genE10ELNS1_11target_archE1201ELNS1_3gpuE5ELNS1_3repE0EEENS1_30default_config_static_selectorELNS0_4arch9wavefront6targetE1EEEvT1_,"axG",@progbits,_ZN7rocprim17ROCPRIM_400000_NS6detail17trampoline_kernelINS0_14default_configENS1_27scan_by_key_config_selectorIiyEEZZNS1_16scan_by_key_implILNS1_25lookback_scan_determinismE0ELb0ES3_N6thrust23THRUST_200600_302600_NS6detail15normal_iteratorINS9_10device_ptrIiEEEENSB_INSC_IyEEEESG_yNS9_4plusIvEENS9_8equal_toIvEEyEE10hipError_tPvRmT2_T3_T4_T5_mT6_T7_P12ihipStream_tbENKUlT_T0_E_clISt17integral_constantIbLb1EES11_EEDaSW_SX_EUlSW_E_NS1_11comp_targetILNS1_3genE10ELNS1_11target_archE1201ELNS1_3gpuE5ELNS1_3repE0EEENS1_30default_config_static_selectorELNS0_4arch9wavefront6targetE1EEEvT1_,comdat
.Lfunc_end1188:
	.size	_ZN7rocprim17ROCPRIM_400000_NS6detail17trampoline_kernelINS0_14default_configENS1_27scan_by_key_config_selectorIiyEEZZNS1_16scan_by_key_implILNS1_25lookback_scan_determinismE0ELb0ES3_N6thrust23THRUST_200600_302600_NS6detail15normal_iteratorINS9_10device_ptrIiEEEENSB_INSC_IyEEEESG_yNS9_4plusIvEENS9_8equal_toIvEEyEE10hipError_tPvRmT2_T3_T4_T5_mT6_T7_P12ihipStream_tbENKUlT_T0_E_clISt17integral_constantIbLb1EES11_EEDaSW_SX_EUlSW_E_NS1_11comp_targetILNS1_3genE10ELNS1_11target_archE1201ELNS1_3gpuE5ELNS1_3repE0EEENS1_30default_config_static_selectorELNS0_4arch9wavefront6targetE1EEEvT1_, .Lfunc_end1188-_ZN7rocprim17ROCPRIM_400000_NS6detail17trampoline_kernelINS0_14default_configENS1_27scan_by_key_config_selectorIiyEEZZNS1_16scan_by_key_implILNS1_25lookback_scan_determinismE0ELb0ES3_N6thrust23THRUST_200600_302600_NS6detail15normal_iteratorINS9_10device_ptrIiEEEENSB_INSC_IyEEEESG_yNS9_4plusIvEENS9_8equal_toIvEEyEE10hipError_tPvRmT2_T3_T4_T5_mT6_T7_P12ihipStream_tbENKUlT_T0_E_clISt17integral_constantIbLb1EES11_EEDaSW_SX_EUlSW_E_NS1_11comp_targetILNS1_3genE10ELNS1_11target_archE1201ELNS1_3gpuE5ELNS1_3repE0EEENS1_30default_config_static_selectorELNS0_4arch9wavefront6targetE1EEEvT1_
                                        ; -- End function
	.section	.AMDGPU.csdata,"",@progbits
; Kernel info:
; codeLenInByte = 0
; NumSgprs: 4
; NumVgprs: 0
; NumAgprs: 0
; TotalNumVgprs: 0
; ScratchSize: 0
; MemoryBound: 0
; FloatMode: 240
; IeeeMode: 1
; LDSByteSize: 0 bytes/workgroup (compile time only)
; SGPRBlocks: 0
; VGPRBlocks: 0
; NumSGPRsForWavesPerEU: 4
; NumVGPRsForWavesPerEU: 1
; AccumOffset: 4
; Occupancy: 8
; WaveLimiterHint : 0
; COMPUTE_PGM_RSRC2:SCRATCH_EN: 0
; COMPUTE_PGM_RSRC2:USER_SGPR: 6
; COMPUTE_PGM_RSRC2:TRAP_HANDLER: 0
; COMPUTE_PGM_RSRC2:TGID_X_EN: 1
; COMPUTE_PGM_RSRC2:TGID_Y_EN: 0
; COMPUTE_PGM_RSRC2:TGID_Z_EN: 0
; COMPUTE_PGM_RSRC2:TIDIG_COMP_CNT: 0
; COMPUTE_PGM_RSRC3_GFX90A:ACCUM_OFFSET: 0
; COMPUTE_PGM_RSRC3_GFX90A:TG_SPLIT: 0
	.section	.text._ZN7rocprim17ROCPRIM_400000_NS6detail17trampoline_kernelINS0_14default_configENS1_27scan_by_key_config_selectorIiyEEZZNS1_16scan_by_key_implILNS1_25lookback_scan_determinismE0ELb0ES3_N6thrust23THRUST_200600_302600_NS6detail15normal_iteratorINS9_10device_ptrIiEEEENSB_INSC_IyEEEESG_yNS9_4plusIvEENS9_8equal_toIvEEyEE10hipError_tPvRmT2_T3_T4_T5_mT6_T7_P12ihipStream_tbENKUlT_T0_E_clISt17integral_constantIbLb1EES11_EEDaSW_SX_EUlSW_E_NS1_11comp_targetILNS1_3genE5ELNS1_11target_archE942ELNS1_3gpuE9ELNS1_3repE0EEENS1_30default_config_static_selectorELNS0_4arch9wavefront6targetE1EEEvT1_,"axG",@progbits,_ZN7rocprim17ROCPRIM_400000_NS6detail17trampoline_kernelINS0_14default_configENS1_27scan_by_key_config_selectorIiyEEZZNS1_16scan_by_key_implILNS1_25lookback_scan_determinismE0ELb0ES3_N6thrust23THRUST_200600_302600_NS6detail15normal_iteratorINS9_10device_ptrIiEEEENSB_INSC_IyEEEESG_yNS9_4plusIvEENS9_8equal_toIvEEyEE10hipError_tPvRmT2_T3_T4_T5_mT6_T7_P12ihipStream_tbENKUlT_T0_E_clISt17integral_constantIbLb1EES11_EEDaSW_SX_EUlSW_E_NS1_11comp_targetILNS1_3genE5ELNS1_11target_archE942ELNS1_3gpuE9ELNS1_3repE0EEENS1_30default_config_static_selectorELNS0_4arch9wavefront6targetE1EEEvT1_,comdat
	.protected	_ZN7rocprim17ROCPRIM_400000_NS6detail17trampoline_kernelINS0_14default_configENS1_27scan_by_key_config_selectorIiyEEZZNS1_16scan_by_key_implILNS1_25lookback_scan_determinismE0ELb0ES3_N6thrust23THRUST_200600_302600_NS6detail15normal_iteratorINS9_10device_ptrIiEEEENSB_INSC_IyEEEESG_yNS9_4plusIvEENS9_8equal_toIvEEyEE10hipError_tPvRmT2_T3_T4_T5_mT6_T7_P12ihipStream_tbENKUlT_T0_E_clISt17integral_constantIbLb1EES11_EEDaSW_SX_EUlSW_E_NS1_11comp_targetILNS1_3genE5ELNS1_11target_archE942ELNS1_3gpuE9ELNS1_3repE0EEENS1_30default_config_static_selectorELNS0_4arch9wavefront6targetE1EEEvT1_ ; -- Begin function _ZN7rocprim17ROCPRIM_400000_NS6detail17trampoline_kernelINS0_14default_configENS1_27scan_by_key_config_selectorIiyEEZZNS1_16scan_by_key_implILNS1_25lookback_scan_determinismE0ELb0ES3_N6thrust23THRUST_200600_302600_NS6detail15normal_iteratorINS9_10device_ptrIiEEEENSB_INSC_IyEEEESG_yNS9_4plusIvEENS9_8equal_toIvEEyEE10hipError_tPvRmT2_T3_T4_T5_mT6_T7_P12ihipStream_tbENKUlT_T0_E_clISt17integral_constantIbLb1EES11_EEDaSW_SX_EUlSW_E_NS1_11comp_targetILNS1_3genE5ELNS1_11target_archE942ELNS1_3gpuE9ELNS1_3repE0EEENS1_30default_config_static_selectorELNS0_4arch9wavefront6targetE1EEEvT1_
	.globl	_ZN7rocprim17ROCPRIM_400000_NS6detail17trampoline_kernelINS0_14default_configENS1_27scan_by_key_config_selectorIiyEEZZNS1_16scan_by_key_implILNS1_25lookback_scan_determinismE0ELb0ES3_N6thrust23THRUST_200600_302600_NS6detail15normal_iteratorINS9_10device_ptrIiEEEENSB_INSC_IyEEEESG_yNS9_4plusIvEENS9_8equal_toIvEEyEE10hipError_tPvRmT2_T3_T4_T5_mT6_T7_P12ihipStream_tbENKUlT_T0_E_clISt17integral_constantIbLb1EES11_EEDaSW_SX_EUlSW_E_NS1_11comp_targetILNS1_3genE5ELNS1_11target_archE942ELNS1_3gpuE9ELNS1_3repE0EEENS1_30default_config_static_selectorELNS0_4arch9wavefront6targetE1EEEvT1_
	.p2align	8
	.type	_ZN7rocprim17ROCPRIM_400000_NS6detail17trampoline_kernelINS0_14default_configENS1_27scan_by_key_config_selectorIiyEEZZNS1_16scan_by_key_implILNS1_25lookback_scan_determinismE0ELb0ES3_N6thrust23THRUST_200600_302600_NS6detail15normal_iteratorINS9_10device_ptrIiEEEENSB_INSC_IyEEEESG_yNS9_4plusIvEENS9_8equal_toIvEEyEE10hipError_tPvRmT2_T3_T4_T5_mT6_T7_P12ihipStream_tbENKUlT_T0_E_clISt17integral_constantIbLb1EES11_EEDaSW_SX_EUlSW_E_NS1_11comp_targetILNS1_3genE5ELNS1_11target_archE942ELNS1_3gpuE9ELNS1_3repE0EEENS1_30default_config_static_selectorELNS0_4arch9wavefront6targetE1EEEvT1_,@function
_ZN7rocprim17ROCPRIM_400000_NS6detail17trampoline_kernelINS0_14default_configENS1_27scan_by_key_config_selectorIiyEEZZNS1_16scan_by_key_implILNS1_25lookback_scan_determinismE0ELb0ES3_N6thrust23THRUST_200600_302600_NS6detail15normal_iteratorINS9_10device_ptrIiEEEENSB_INSC_IyEEEESG_yNS9_4plusIvEENS9_8equal_toIvEEyEE10hipError_tPvRmT2_T3_T4_T5_mT6_T7_P12ihipStream_tbENKUlT_T0_E_clISt17integral_constantIbLb1EES11_EEDaSW_SX_EUlSW_E_NS1_11comp_targetILNS1_3genE5ELNS1_11target_archE942ELNS1_3gpuE9ELNS1_3repE0EEENS1_30default_config_static_selectorELNS0_4arch9wavefront6targetE1EEEvT1_: ; @_ZN7rocprim17ROCPRIM_400000_NS6detail17trampoline_kernelINS0_14default_configENS1_27scan_by_key_config_selectorIiyEEZZNS1_16scan_by_key_implILNS1_25lookback_scan_determinismE0ELb0ES3_N6thrust23THRUST_200600_302600_NS6detail15normal_iteratorINS9_10device_ptrIiEEEENSB_INSC_IyEEEESG_yNS9_4plusIvEENS9_8equal_toIvEEyEE10hipError_tPvRmT2_T3_T4_T5_mT6_T7_P12ihipStream_tbENKUlT_T0_E_clISt17integral_constantIbLb1EES11_EEDaSW_SX_EUlSW_E_NS1_11comp_targetILNS1_3genE5ELNS1_11target_archE942ELNS1_3gpuE9ELNS1_3repE0EEENS1_30default_config_static_selectorELNS0_4arch9wavefront6targetE1EEEvT1_
; %bb.0:
	.section	.rodata,"a",@progbits
	.p2align	6, 0x0
	.amdhsa_kernel _ZN7rocprim17ROCPRIM_400000_NS6detail17trampoline_kernelINS0_14default_configENS1_27scan_by_key_config_selectorIiyEEZZNS1_16scan_by_key_implILNS1_25lookback_scan_determinismE0ELb0ES3_N6thrust23THRUST_200600_302600_NS6detail15normal_iteratorINS9_10device_ptrIiEEEENSB_INSC_IyEEEESG_yNS9_4plusIvEENS9_8equal_toIvEEyEE10hipError_tPvRmT2_T3_T4_T5_mT6_T7_P12ihipStream_tbENKUlT_T0_E_clISt17integral_constantIbLb1EES11_EEDaSW_SX_EUlSW_E_NS1_11comp_targetILNS1_3genE5ELNS1_11target_archE942ELNS1_3gpuE9ELNS1_3repE0EEENS1_30default_config_static_selectorELNS0_4arch9wavefront6targetE1EEEvT1_
		.amdhsa_group_segment_fixed_size 0
		.amdhsa_private_segment_fixed_size 0
		.amdhsa_kernarg_size 136
		.amdhsa_user_sgpr_count 6
		.amdhsa_user_sgpr_private_segment_buffer 1
		.amdhsa_user_sgpr_dispatch_ptr 0
		.amdhsa_user_sgpr_queue_ptr 0
		.amdhsa_user_sgpr_kernarg_segment_ptr 1
		.amdhsa_user_sgpr_dispatch_id 0
		.amdhsa_user_sgpr_flat_scratch_init 0
		.amdhsa_user_sgpr_kernarg_preload_length 0
		.amdhsa_user_sgpr_kernarg_preload_offset 0
		.amdhsa_user_sgpr_private_segment_size 0
		.amdhsa_uses_dynamic_stack 0
		.amdhsa_system_sgpr_private_segment_wavefront_offset 0
		.amdhsa_system_sgpr_workgroup_id_x 1
		.amdhsa_system_sgpr_workgroup_id_y 0
		.amdhsa_system_sgpr_workgroup_id_z 0
		.amdhsa_system_sgpr_workgroup_info 0
		.amdhsa_system_vgpr_workitem_id 0
		.amdhsa_next_free_vgpr 1
		.amdhsa_next_free_sgpr 0
		.amdhsa_accum_offset 4
		.amdhsa_reserve_vcc 0
		.amdhsa_reserve_flat_scratch 0
		.amdhsa_float_round_mode_32 0
		.amdhsa_float_round_mode_16_64 0
		.amdhsa_float_denorm_mode_32 3
		.amdhsa_float_denorm_mode_16_64 3
		.amdhsa_dx10_clamp 1
		.amdhsa_ieee_mode 1
		.amdhsa_fp16_overflow 0
		.amdhsa_tg_split 0
		.amdhsa_exception_fp_ieee_invalid_op 0
		.amdhsa_exception_fp_denorm_src 0
		.amdhsa_exception_fp_ieee_div_zero 0
		.amdhsa_exception_fp_ieee_overflow 0
		.amdhsa_exception_fp_ieee_underflow 0
		.amdhsa_exception_fp_ieee_inexact 0
		.amdhsa_exception_int_div_zero 0
	.end_amdhsa_kernel
	.section	.text._ZN7rocprim17ROCPRIM_400000_NS6detail17trampoline_kernelINS0_14default_configENS1_27scan_by_key_config_selectorIiyEEZZNS1_16scan_by_key_implILNS1_25lookback_scan_determinismE0ELb0ES3_N6thrust23THRUST_200600_302600_NS6detail15normal_iteratorINS9_10device_ptrIiEEEENSB_INSC_IyEEEESG_yNS9_4plusIvEENS9_8equal_toIvEEyEE10hipError_tPvRmT2_T3_T4_T5_mT6_T7_P12ihipStream_tbENKUlT_T0_E_clISt17integral_constantIbLb1EES11_EEDaSW_SX_EUlSW_E_NS1_11comp_targetILNS1_3genE5ELNS1_11target_archE942ELNS1_3gpuE9ELNS1_3repE0EEENS1_30default_config_static_selectorELNS0_4arch9wavefront6targetE1EEEvT1_,"axG",@progbits,_ZN7rocprim17ROCPRIM_400000_NS6detail17trampoline_kernelINS0_14default_configENS1_27scan_by_key_config_selectorIiyEEZZNS1_16scan_by_key_implILNS1_25lookback_scan_determinismE0ELb0ES3_N6thrust23THRUST_200600_302600_NS6detail15normal_iteratorINS9_10device_ptrIiEEEENSB_INSC_IyEEEESG_yNS9_4plusIvEENS9_8equal_toIvEEyEE10hipError_tPvRmT2_T3_T4_T5_mT6_T7_P12ihipStream_tbENKUlT_T0_E_clISt17integral_constantIbLb1EES11_EEDaSW_SX_EUlSW_E_NS1_11comp_targetILNS1_3genE5ELNS1_11target_archE942ELNS1_3gpuE9ELNS1_3repE0EEENS1_30default_config_static_selectorELNS0_4arch9wavefront6targetE1EEEvT1_,comdat
.Lfunc_end1189:
	.size	_ZN7rocprim17ROCPRIM_400000_NS6detail17trampoline_kernelINS0_14default_configENS1_27scan_by_key_config_selectorIiyEEZZNS1_16scan_by_key_implILNS1_25lookback_scan_determinismE0ELb0ES3_N6thrust23THRUST_200600_302600_NS6detail15normal_iteratorINS9_10device_ptrIiEEEENSB_INSC_IyEEEESG_yNS9_4plusIvEENS9_8equal_toIvEEyEE10hipError_tPvRmT2_T3_T4_T5_mT6_T7_P12ihipStream_tbENKUlT_T0_E_clISt17integral_constantIbLb1EES11_EEDaSW_SX_EUlSW_E_NS1_11comp_targetILNS1_3genE5ELNS1_11target_archE942ELNS1_3gpuE9ELNS1_3repE0EEENS1_30default_config_static_selectorELNS0_4arch9wavefront6targetE1EEEvT1_, .Lfunc_end1189-_ZN7rocprim17ROCPRIM_400000_NS6detail17trampoline_kernelINS0_14default_configENS1_27scan_by_key_config_selectorIiyEEZZNS1_16scan_by_key_implILNS1_25lookback_scan_determinismE0ELb0ES3_N6thrust23THRUST_200600_302600_NS6detail15normal_iteratorINS9_10device_ptrIiEEEENSB_INSC_IyEEEESG_yNS9_4plusIvEENS9_8equal_toIvEEyEE10hipError_tPvRmT2_T3_T4_T5_mT6_T7_P12ihipStream_tbENKUlT_T0_E_clISt17integral_constantIbLb1EES11_EEDaSW_SX_EUlSW_E_NS1_11comp_targetILNS1_3genE5ELNS1_11target_archE942ELNS1_3gpuE9ELNS1_3repE0EEENS1_30default_config_static_selectorELNS0_4arch9wavefront6targetE1EEEvT1_
                                        ; -- End function
	.section	.AMDGPU.csdata,"",@progbits
; Kernel info:
; codeLenInByte = 0
; NumSgprs: 4
; NumVgprs: 0
; NumAgprs: 0
; TotalNumVgprs: 0
; ScratchSize: 0
; MemoryBound: 0
; FloatMode: 240
; IeeeMode: 1
; LDSByteSize: 0 bytes/workgroup (compile time only)
; SGPRBlocks: 0
; VGPRBlocks: 0
; NumSGPRsForWavesPerEU: 4
; NumVGPRsForWavesPerEU: 1
; AccumOffset: 4
; Occupancy: 8
; WaveLimiterHint : 0
; COMPUTE_PGM_RSRC2:SCRATCH_EN: 0
; COMPUTE_PGM_RSRC2:USER_SGPR: 6
; COMPUTE_PGM_RSRC2:TRAP_HANDLER: 0
; COMPUTE_PGM_RSRC2:TGID_X_EN: 1
; COMPUTE_PGM_RSRC2:TGID_Y_EN: 0
; COMPUTE_PGM_RSRC2:TGID_Z_EN: 0
; COMPUTE_PGM_RSRC2:TIDIG_COMP_CNT: 0
; COMPUTE_PGM_RSRC3_GFX90A:ACCUM_OFFSET: 0
; COMPUTE_PGM_RSRC3_GFX90A:TG_SPLIT: 0
	.section	.text._ZN7rocprim17ROCPRIM_400000_NS6detail17trampoline_kernelINS0_14default_configENS1_27scan_by_key_config_selectorIiyEEZZNS1_16scan_by_key_implILNS1_25lookback_scan_determinismE0ELb0ES3_N6thrust23THRUST_200600_302600_NS6detail15normal_iteratorINS9_10device_ptrIiEEEENSB_INSC_IyEEEESG_yNS9_4plusIvEENS9_8equal_toIvEEyEE10hipError_tPvRmT2_T3_T4_T5_mT6_T7_P12ihipStream_tbENKUlT_T0_E_clISt17integral_constantIbLb1EES11_EEDaSW_SX_EUlSW_E_NS1_11comp_targetILNS1_3genE4ELNS1_11target_archE910ELNS1_3gpuE8ELNS1_3repE0EEENS1_30default_config_static_selectorELNS0_4arch9wavefront6targetE1EEEvT1_,"axG",@progbits,_ZN7rocprim17ROCPRIM_400000_NS6detail17trampoline_kernelINS0_14default_configENS1_27scan_by_key_config_selectorIiyEEZZNS1_16scan_by_key_implILNS1_25lookback_scan_determinismE0ELb0ES3_N6thrust23THRUST_200600_302600_NS6detail15normal_iteratorINS9_10device_ptrIiEEEENSB_INSC_IyEEEESG_yNS9_4plusIvEENS9_8equal_toIvEEyEE10hipError_tPvRmT2_T3_T4_T5_mT6_T7_P12ihipStream_tbENKUlT_T0_E_clISt17integral_constantIbLb1EES11_EEDaSW_SX_EUlSW_E_NS1_11comp_targetILNS1_3genE4ELNS1_11target_archE910ELNS1_3gpuE8ELNS1_3repE0EEENS1_30default_config_static_selectorELNS0_4arch9wavefront6targetE1EEEvT1_,comdat
	.protected	_ZN7rocprim17ROCPRIM_400000_NS6detail17trampoline_kernelINS0_14default_configENS1_27scan_by_key_config_selectorIiyEEZZNS1_16scan_by_key_implILNS1_25lookback_scan_determinismE0ELb0ES3_N6thrust23THRUST_200600_302600_NS6detail15normal_iteratorINS9_10device_ptrIiEEEENSB_INSC_IyEEEESG_yNS9_4plusIvEENS9_8equal_toIvEEyEE10hipError_tPvRmT2_T3_T4_T5_mT6_T7_P12ihipStream_tbENKUlT_T0_E_clISt17integral_constantIbLb1EES11_EEDaSW_SX_EUlSW_E_NS1_11comp_targetILNS1_3genE4ELNS1_11target_archE910ELNS1_3gpuE8ELNS1_3repE0EEENS1_30default_config_static_selectorELNS0_4arch9wavefront6targetE1EEEvT1_ ; -- Begin function _ZN7rocprim17ROCPRIM_400000_NS6detail17trampoline_kernelINS0_14default_configENS1_27scan_by_key_config_selectorIiyEEZZNS1_16scan_by_key_implILNS1_25lookback_scan_determinismE0ELb0ES3_N6thrust23THRUST_200600_302600_NS6detail15normal_iteratorINS9_10device_ptrIiEEEENSB_INSC_IyEEEESG_yNS9_4plusIvEENS9_8equal_toIvEEyEE10hipError_tPvRmT2_T3_T4_T5_mT6_T7_P12ihipStream_tbENKUlT_T0_E_clISt17integral_constantIbLb1EES11_EEDaSW_SX_EUlSW_E_NS1_11comp_targetILNS1_3genE4ELNS1_11target_archE910ELNS1_3gpuE8ELNS1_3repE0EEENS1_30default_config_static_selectorELNS0_4arch9wavefront6targetE1EEEvT1_
	.globl	_ZN7rocprim17ROCPRIM_400000_NS6detail17trampoline_kernelINS0_14default_configENS1_27scan_by_key_config_selectorIiyEEZZNS1_16scan_by_key_implILNS1_25lookback_scan_determinismE0ELb0ES3_N6thrust23THRUST_200600_302600_NS6detail15normal_iteratorINS9_10device_ptrIiEEEENSB_INSC_IyEEEESG_yNS9_4plusIvEENS9_8equal_toIvEEyEE10hipError_tPvRmT2_T3_T4_T5_mT6_T7_P12ihipStream_tbENKUlT_T0_E_clISt17integral_constantIbLb1EES11_EEDaSW_SX_EUlSW_E_NS1_11comp_targetILNS1_3genE4ELNS1_11target_archE910ELNS1_3gpuE8ELNS1_3repE0EEENS1_30default_config_static_selectorELNS0_4arch9wavefront6targetE1EEEvT1_
	.p2align	8
	.type	_ZN7rocprim17ROCPRIM_400000_NS6detail17trampoline_kernelINS0_14default_configENS1_27scan_by_key_config_selectorIiyEEZZNS1_16scan_by_key_implILNS1_25lookback_scan_determinismE0ELb0ES3_N6thrust23THRUST_200600_302600_NS6detail15normal_iteratorINS9_10device_ptrIiEEEENSB_INSC_IyEEEESG_yNS9_4plusIvEENS9_8equal_toIvEEyEE10hipError_tPvRmT2_T3_T4_T5_mT6_T7_P12ihipStream_tbENKUlT_T0_E_clISt17integral_constantIbLb1EES11_EEDaSW_SX_EUlSW_E_NS1_11comp_targetILNS1_3genE4ELNS1_11target_archE910ELNS1_3gpuE8ELNS1_3repE0EEENS1_30default_config_static_selectorELNS0_4arch9wavefront6targetE1EEEvT1_,@function
_ZN7rocprim17ROCPRIM_400000_NS6detail17trampoline_kernelINS0_14default_configENS1_27scan_by_key_config_selectorIiyEEZZNS1_16scan_by_key_implILNS1_25lookback_scan_determinismE0ELb0ES3_N6thrust23THRUST_200600_302600_NS6detail15normal_iteratorINS9_10device_ptrIiEEEENSB_INSC_IyEEEESG_yNS9_4plusIvEENS9_8equal_toIvEEyEE10hipError_tPvRmT2_T3_T4_T5_mT6_T7_P12ihipStream_tbENKUlT_T0_E_clISt17integral_constantIbLb1EES11_EEDaSW_SX_EUlSW_E_NS1_11comp_targetILNS1_3genE4ELNS1_11target_archE910ELNS1_3gpuE8ELNS1_3repE0EEENS1_30default_config_static_selectorELNS0_4arch9wavefront6targetE1EEEvT1_: ; @_ZN7rocprim17ROCPRIM_400000_NS6detail17trampoline_kernelINS0_14default_configENS1_27scan_by_key_config_selectorIiyEEZZNS1_16scan_by_key_implILNS1_25lookback_scan_determinismE0ELb0ES3_N6thrust23THRUST_200600_302600_NS6detail15normal_iteratorINS9_10device_ptrIiEEEENSB_INSC_IyEEEESG_yNS9_4plusIvEENS9_8equal_toIvEEyEE10hipError_tPvRmT2_T3_T4_T5_mT6_T7_P12ihipStream_tbENKUlT_T0_E_clISt17integral_constantIbLb1EES11_EEDaSW_SX_EUlSW_E_NS1_11comp_targetILNS1_3genE4ELNS1_11target_archE910ELNS1_3gpuE8ELNS1_3repE0EEENS1_30default_config_static_selectorELNS0_4arch9wavefront6targetE1EEEvT1_
; %bb.0:
	s_load_dwordx8 s[68:75], s[4:5], 0x30
	s_load_dwordx2 s[0:1], s[4:5], 0x50
                                        ; implicit-def: $vgpr131 : SGPR spill to VGPR lane
	v_cmp_eq_u32_e64 s[88:89], 0, v0
	s_waitcnt lgkmcnt(0)
	v_writelane_b32 v131, s0, 0
	v_writelane_b32 v131, s1, 1
	v_cmp_ne_u32_e64 s[0:1], 0, v0
	v_writelane_b32 v131, s0, 2
	v_writelane_b32 v131, s1, 3
	s_and_saveexec_b64 s[2:3], s[88:89]
	s_cbranch_execz .LBB1190_4
; %bb.1:
	s_mov_b64 s[8:9], exec
	v_mbcnt_lo_u32_b32 v1, s8, 0
	v_mbcnt_hi_u32_b32 v1, s9, v1
	v_cmp_eq_u32_e32 vcc, 0, v1
                                        ; implicit-def: $vgpr2
	s_and_saveexec_b64 s[6:7], vcc
	s_cbranch_execz .LBB1190_3
; %bb.2:
	s_load_dwordx2 s[10:11], s[4:5], 0x80
	s_bcnt1_i32_b64 s8, s[8:9]
	v_mov_b32_e32 v2, 0
	v_mov_b32_e32 v3, s8
	s_waitcnt lgkmcnt(0)
	global_atomic_add v2, v2, v3, s[10:11] glc
.LBB1190_3:
	s_or_b64 exec, exec, s[6:7]
	s_waitcnt vmcnt(0)
	v_readfirstlane_b32 s6, v2
	v_add_u32_e32 v1, s6, v1
	v_mov_b32_e32 v2, 0
	ds_write_b32 v2, v1
.LBB1190_4:
	s_or_b64 exec, exec, s[2:3]
	s_load_dwordx8 s[52:59], s[4:5], 0x0
	s_load_dword s2, s[4:5], 0x58
	s_load_dwordx8 s[16:23], s[4:5], 0x60
	v_mov_b32_e32 v1, 0
	s_waitcnt lgkmcnt(0)
	; wave barrier
	s_waitcnt lgkmcnt(0)
	ds_read_b32 v1, v1
	s_lshl_b64 s[4:5], s[54:55], 2
	s_add_u32 s8, s52, s4
	v_readlane_b32 s6, v131, 0
	s_addc_u32 s9, s53, s5
	s_lshl_b64 s[60:61], s[54:55], 3
	v_readlane_b32 s7, v131, 1
	s_add_u32 s10, s56, s60
	s_mul_i32 s3, s7, s2
	s_mul_hi_u32 s4, s6, s2
	s_addc_u32 s11, s57, s61
	s_add_i32 s12, s4, s3
	s_waitcnt lgkmcnt(0)
	v_readfirstlane_b32 s33, v1
	s_mul_i32 s13, s6, s2
	s_cmp_lg_u64 s[20:21], 0
	s_mov_b32 s3, 0
	s_mul_i32 s2, s33, 0x540
	s_cselect_b64 s[52:53], -1, 0
	s_lshl_b64 s[4:5], s[2:3], 2
	s_add_u32 s50, s8, s4
	s_addc_u32 s51, s9, s5
	s_lshl_b64 s[2:3], s[2:3], 3
	s_add_u32 s62, s10, s2
	s_addc_u32 s63, s11, s3
	s_add_u32 s54, s13, s33
	s_addc_u32 s55, s12, 0
	s_add_u32 s4, s16, -1
	v_writelane_b32 v131, s16, 4
	v_writelane_b32 v131, s17, 5
	;; [unrolled: 1-line block ×6, first 2 shown]
	s_addc_u32 s5, s17, -1
	v_writelane_b32 v131, s22, 10
	v_pk_mov_b32 v[2:3], s[4:5], s[4:5] op_sel:[0,1]
	v_writelane_b32 v131, s23, 11
	v_cmp_ge_u64_e64 s[8:9], s[54:55], v[2:3]
	v_writelane_b32 v131, s8, 12
	s_mov_b64 s[6:7], 0
	s_mov_b64 s[10:11], -1
	v_writelane_b32 v131, s9, 13
	s_and_b64 vcc, exec, s[8:9]
	s_mulk_i32 s4, 0xfac0
	s_waitcnt lgkmcnt(0)
	; wave barrier
	s_waitcnt lgkmcnt(0)
	s_waitcnt lgkmcnt(0)
	; wave barrier
	v_writelane_b32 v131, s4, 14
	s_cbranch_vccz .LBB1190_116
; %bb.5:
	v_pk_mov_b32 v[2:3], s[50:51], s[50:51] op_sel:[0,1]
	flat_load_dword v2, v[2:3]
	s_add_i32 s65, s4, s74
	v_cmp_gt_u32_e64 s[6:7], s65, v0
	s_waitcnt vmcnt(0) lgkmcnt(0)
	v_mov_b32_e32 v3, v2
	s_and_saveexec_b64 s[4:5], s[6:7]
	s_cbranch_execz .LBB1190_7
; %bb.6:
	v_lshlrev_b32_e32 v1, 2, v0
	v_mov_b32_e32 v3, s51
	v_add_co_u32_e32 v4, vcc, s50, v1
	v_addc_co_u32_e32 v5, vcc, 0, v3, vcc
	flat_load_dword v3, v[4:5]
.LBB1190_7:
	s_or_b64 exec, exec, s[4:5]
	v_or_b32_e32 v1, 64, v0
	v_cmp_gt_u32_e64 s[8:9], s65, v1
	v_mov_b32_e32 v4, v2
	s_and_saveexec_b64 s[4:5], s[8:9]
	s_cbranch_execz .LBB1190_9
; %bb.8:
	v_lshlrev_b32_e32 v1, 2, v0
	v_mov_b32_e32 v5, s51
	v_add_co_u32_e32 v4, vcc, s50, v1
	v_addc_co_u32_e32 v5, vcc, 0, v5, vcc
	flat_load_dword v4, v[4:5] offset:256
.LBB1190_9:
	s_or_b64 exec, exec, s[4:5]
	v_or_b32_e32 v1, 0x80, v0
	v_cmp_gt_u32_e64 s[10:11], s65, v1
	v_mov_b32_e32 v5, v2
	s_and_saveexec_b64 s[4:5], s[10:11]
	s_cbranch_execz .LBB1190_11
; %bb.10:
	v_lshlrev_b32_e32 v1, 2, v0
	v_mov_b32_e32 v5, s51
	v_add_co_u32_e32 v6, vcc, s50, v1
	v_addc_co_u32_e32 v7, vcc, 0, v5, vcc
	flat_load_dword v5, v[6:7] offset:512
.LBB1190_11:
	;; [unrolled: 13-line block ×15, first 2 shown]
	s_or_b64 exec, exec, s[4:5]
	v_or_b32_e32 v56, 0x400, v0
	v_cmp_gt_u32_e64 s[40:41], s65, v56
	v_mov_b32_e32 v19, v2
	s_and_saveexec_b64 s[4:5], s[40:41]
	s_cbranch_execz .LBB1190_39
; %bb.38:
	v_lshlrev_b32_e32 v19, 2, v56
	v_mov_b32_e32 v21, s51
	v_add_co_u32_e32 v20, vcc, s50, v19
	v_addc_co_u32_e32 v21, vcc, 0, v21, vcc
	flat_load_dword v19, v[20:21]
.LBB1190_39:
	s_or_b64 exec, exec, s[4:5]
	v_or_b32_e32 v58, 0x440, v0
	v_cmp_gt_u32_e64 s[42:43], s65, v58
	v_mov_b32_e32 v20, v2
	s_and_saveexec_b64 s[4:5], s[42:43]
	s_cbranch_execz .LBB1190_41
; %bb.40:
	v_lshlrev_b32_e32 v20, 2, v58
	v_mov_b32_e32 v21, s51
	v_add_co_u32_e32 v20, vcc, s50, v20
	v_addc_co_u32_e32 v21, vcc, 0, v21, vcc
	flat_load_dword v20, v[20:21]
.LBB1190_41:
	;; [unrolled: 13-line block ×4, first 2 shown]
	s_or_b64 exec, exec, s[4:5]
	v_or_b32_e32 v65, 0x500, v0
	v_cmp_gt_u32_e64 s[48:49], s65, v65
	s_and_saveexec_b64 s[4:5], s[48:49]
	s_cbranch_execz .LBB1190_47
; %bb.46:
	v_lshlrev_b32_e32 v2, 2, v65
	v_mov_b32_e32 v23, s51
	v_add_co_u32_e32 v24, vcc, s50, v2
	v_addc_co_u32_e32 v25, vcc, 0, v23, vcc
	flat_load_dword v2, v[24:25]
.LBB1190_47:
	s_or_b64 exec, exec, s[4:5]
	v_lshlrev_b32_e32 v23, 2, v0
	s_movk_i32 s4, 0x50
	s_waitcnt vmcnt(0) lgkmcnt(0)
	ds_write2st64_b32 v23, v3, v4 offset1:1
	ds_write2st64_b32 v23, v5, v6 offset0:2 offset1:3
	ds_write2st64_b32 v23, v7, v8 offset0:4 offset1:5
	;; [unrolled: 1-line block ×9, first 2 shown]
	ds_write_b32 v23, v2 offset:5120
	v_mad_u32_u24 v2, v0, s4, v23
	s_waitcnt lgkmcnt(0)
	; wave barrier
	s_waitcnt lgkmcnt(0)
	ds_read2_b32 v[40:41], v2 offset0:7 offset1:8
	ds_read2_b32 v[44:45], v2 offset0:5 offset1:6
	;; [unrolled: 1-line block ×3, first 2 shown]
	ds_read2_b32 v[36:37], v2 offset1:1
	ds_read2_b32 v[32:33], v2 offset0:4 offset1:9
	ds_read2_b32 v[8:9], v2 offset0:15 offset1:16
	ds_read_b32 v64, v2 offset:56
	ds_read2_b32 v[16:17], v2 offset0:12 offset1:13
	ds_read2_b32 v[24:25], v2 offset0:10 offset1:11
	;; [unrolled: 1-line block ×4, first 2 shown]
	s_cmp_eq_u64 s[54:55], 0
	s_mov_b64 s[4:5], s[50:51]
	s_cbranch_scc1 .LBB1190_51
; %bb.48:
	s_andn2_b64 vcc, exec, s[52:53]
	s_cbranch_vccnz .LBB1190_279
; %bb.49:
	v_readlane_b32 s76, v131, 4
	s_lshl_b64 s[4:5], s[54:55], 2
	v_readlane_b32 s82, v131, 10
	v_readlane_b32 s83, v131, 11
	s_add_u32 s4, s82, s4
	s_addc_u32 s5, s83, s5
	s_add_u32 s4, s4, -4
	s_addc_u32 s5, s5, -1
	v_readlane_b32 s77, v131, 5
	v_readlane_b32 s78, v131, 6
	;; [unrolled: 1-line block ×5, first 2 shown]
	s_cbranch_execnz .LBB1190_51
.LBB1190_50:
	s_add_u32 s4, s50, -4
	s_addc_u32 s5, s51, -1
.LBB1190_51:
	v_pk_mov_b32 v[6:7], s[4:5], s[4:5] op_sel:[0,1]
	flat_load_dword v68, v[6:7]
	s_movk_i32 s4, 0xffb0
	v_mad_i32_i24 v66, v0, s4, v2
	s_waitcnt lgkmcnt(0)
	ds_write_b32 v66, v5 offset:5376
	s_waitcnt lgkmcnt(0)
	; wave barrier
	s_waitcnt lgkmcnt(0)
	s_mov_b64 s[4:5], exec
	v_readlane_b32 s56, v131, 2
	v_readlane_b32 s57, v131, 3
	s_and_b64 s[56:57], s[4:5], s[56:57]
	s_mov_b64 exec, s[56:57]
	s_cbranch_execz .LBB1190_53
; %bb.52:
	s_waitcnt vmcnt(0)
	ds_read_b32 v68, v66 offset:5372
.LBB1190_53:
	s_or_b64 exec, exec, s[4:5]
	s_waitcnt lgkmcnt(0)
	; wave barrier
	s_waitcnt lgkmcnt(0)
                                        ; implicit-def: $vgpr2_vgpr3
	s_and_saveexec_b64 s[4:5], s[6:7]
	s_cbranch_execnz .LBB1190_259
; %bb.54:
	s_or_b64 exec, exec, s[4:5]
                                        ; implicit-def: $vgpr6_vgpr7
	s_and_saveexec_b64 s[4:5], s[8:9]
	s_cbranch_execnz .LBB1190_260
.LBB1190_55:
	s_or_b64 exec, exec, s[4:5]
                                        ; implicit-def: $vgpr10_vgpr11
	s_and_saveexec_b64 s[4:5], s[10:11]
	s_cbranch_execnz .LBB1190_261
.LBB1190_56:
	s_or_b64 exec, exec, s[4:5]
                                        ; implicit-def: $vgpr14_vgpr15
	s_and_saveexec_b64 s[4:5], s[12:13]
	s_cbranch_execnz .LBB1190_262
.LBB1190_57:
	s_or_b64 exec, exec, s[4:5]
                                        ; implicit-def: $vgpr18_vgpr19
	s_and_saveexec_b64 s[4:5], s[14:15]
	s_cbranch_execnz .LBB1190_263
.LBB1190_58:
	s_or_b64 exec, exec, s[4:5]
                                        ; implicit-def: $vgpr20_vgpr21
	s_and_saveexec_b64 s[4:5], s[16:17]
	s_cbranch_execnz .LBB1190_264
.LBB1190_59:
	s_or_b64 exec, exec, s[4:5]
                                        ; implicit-def: $vgpr22_vgpr23
	s_and_saveexec_b64 s[4:5], s[18:19]
	s_cbranch_execnz .LBB1190_265
.LBB1190_60:
	s_or_b64 exec, exec, s[4:5]
                                        ; implicit-def: $vgpr26_vgpr27
	s_and_saveexec_b64 s[4:5], s[20:21]
	s_cbranch_execnz .LBB1190_266
.LBB1190_61:
	s_or_b64 exec, exec, s[4:5]
                                        ; implicit-def: $vgpr30_vgpr31
	s_and_saveexec_b64 s[4:5], s[22:23]
	s_cbranch_execnz .LBB1190_267
.LBB1190_62:
	s_or_b64 exec, exec, s[4:5]
                                        ; implicit-def: $vgpr34_vgpr35
	s_and_saveexec_b64 s[4:5], s[24:25]
	s_cbranch_execnz .LBB1190_268
.LBB1190_63:
	s_or_b64 exec, exec, s[4:5]
                                        ; implicit-def: $vgpr38_vgpr39
	s_and_saveexec_b64 s[4:5], s[26:27]
	s_cbranch_execnz .LBB1190_269
.LBB1190_64:
	s_or_b64 exec, exec, s[4:5]
                                        ; implicit-def: $vgpr42_vgpr43
	s_and_saveexec_b64 s[4:5], s[28:29]
	s_cbranch_execnz .LBB1190_270
.LBB1190_65:
	s_or_b64 exec, exec, s[4:5]
                                        ; implicit-def: $vgpr46_vgpr47
	s_and_saveexec_b64 s[4:5], s[30:31]
	s_cbranch_execnz .LBB1190_271
.LBB1190_66:
	s_or_b64 exec, exec, s[4:5]
                                        ; implicit-def: $vgpr48_vgpr49
	s_and_saveexec_b64 s[4:5], s[34:35]
	s_cbranch_execnz .LBB1190_272
.LBB1190_67:
	s_or_b64 exec, exec, s[4:5]
                                        ; implicit-def: $vgpr50_vgpr51
	s_and_saveexec_b64 s[4:5], s[36:37]
	s_cbranch_execnz .LBB1190_273
.LBB1190_68:
	s_or_b64 exec, exec, s[4:5]
                                        ; implicit-def: $vgpr52_vgpr53
	s_and_saveexec_b64 s[4:5], s[38:39]
	s_cbranch_execnz .LBB1190_274
.LBB1190_69:
	s_or_b64 exec, exec, s[4:5]
                                        ; implicit-def: $vgpr54_vgpr55
	s_and_saveexec_b64 s[4:5], s[40:41]
	s_cbranch_execnz .LBB1190_275
.LBB1190_70:
	s_or_b64 exec, exec, s[4:5]
                                        ; implicit-def: $vgpr56_vgpr57
	s_and_saveexec_b64 s[4:5], s[42:43]
	s_cbranch_execnz .LBB1190_276
.LBB1190_71:
	s_or_b64 exec, exec, s[4:5]
                                        ; implicit-def: $vgpr58_vgpr59
	s_and_saveexec_b64 s[4:5], s[44:45]
	s_cbranch_execnz .LBB1190_277
.LBB1190_72:
	s_or_b64 exec, exec, s[4:5]
                                        ; implicit-def: $vgpr60_vgpr61
	s_and_saveexec_b64 s[4:5], s[46:47]
	s_cbranch_execnz .LBB1190_278
.LBB1190_73:
	s_or_b64 exec, exec, s[4:5]
                                        ; implicit-def: $vgpr62_vgpr63
	s_and_saveexec_b64 s[4:5], s[48:49]
	s_cbranch_execz .LBB1190_75
.LBB1190_74:
	v_lshlrev_b32_e32 v1, 3, v65
	v_mov_b32_e32 v63, s63
	v_add_co_u32_e32 v62, vcc, s62, v1
	v_addc_co_u32_e32 v63, vcc, 0, v63, vcc
	flat_load_dwordx2 v[62:63], v[62:63]
.LBB1190_75:
	s_or_b64 exec, exec, s[4:5]
	v_lshl_add_u32 v69, v0, 2, v66
	v_mul_u32_u24_e32 v65, 21, v0
	s_waitcnt vmcnt(0) lgkmcnt(0)
	ds_write2st64_b64 v69, v[2:3], v[6:7] offset1:1
	ds_write2st64_b64 v69, v[10:11], v[14:15] offset0:2 offset1:3
	ds_write2st64_b64 v69, v[18:19], v[20:21] offset0:4 offset1:5
	;; [unrolled: 1-line block ×9, first 2 shown]
	ds_write_b64 v69, v[62:63] offset:10240
	v_pk_mov_b32 v[10:11], 0, 0
	v_cmp_gt_u32_e32 vcc, s65, v65
	s_mov_b64 s[6:7], 0
	s_mov_b64 s[10:11], 0
	s_mov_b32 s64, 0
	v_mov_b32_e32 v128, 0
	v_mov_b32_e32 v122, 0
	v_mov_b32_e32 v127, 0
	v_mov_b32_e32 v126, 0
	v_mov_b32_e32 v125, 0
	v_pk_mov_b32 v[70:71], v[10:11], v[10:11] op_sel:[0,1]
	v_pk_mov_b32 v[78:79], v[10:11], v[10:11] op_sel:[0,1]
	;; [unrolled: 1-line block ×8, first 2 shown]
	v_mov_b32_e32 v124, 0
	v_pk_mov_b32 v[38:39], v[10:11], v[10:11] op_sel:[0,1]
	v_pk_mov_b32 v[50:51], v[10:11], v[10:11] op_sel:[0,1]
	;; [unrolled: 1-line block ×5, first 2 shown]
	v_mov_b32_e32 v123, 0
	v_pk_mov_b32 v[34:35], v[10:11], v[10:11] op_sel:[0,1]
	v_pk_mov_b32 v[14:15], v[10:11], v[10:11] op_sel:[0,1]
	;; [unrolled: 1-line block ×5, first 2 shown]
	v_mov_b32_e32 v1, 0
	v_pk_mov_b32 v[2:3], v[10:11], v[10:11] op_sel:[0,1]
	s_waitcnt lgkmcnt(0)
	; wave barrier
	s_waitcnt lgkmcnt(0)
                                        ; implicit-def: $sgpr4_sgpr5
                                        ; implicit-def: $vgpr83
                                        ; implicit-def: $vgpr82
                                        ; implicit-def: $vgpr84
                                        ; implicit-def: $vgpr85
	s_and_saveexec_b64 s[12:13], vcc
	s_cbranch_execz .LBB1190_115
; %bb.76:
	s_movk_i32 s4, 0xa0
	v_mad_u32_u24 v2, v0, s4, v69
	ds_read_b64 v[2:3], v2
	v_cmp_ne_u32_e32 vcc, v68, v36
	v_add_u32_e32 v6, 1, v65
	v_pk_mov_b32 v[10:11], 0, 0
	v_cndmask_b32_e64 v1, 0, 1, vcc
	v_cmp_gt_u32_e32 vcc, s65, v6
	s_mov_b64 s[18:19], 0
	v_mov_b32_e32 v128, 0
	v_mov_b32_e32 v122, 0
	;; [unrolled: 1-line block ×5, first 2 shown]
	v_pk_mov_b32 v[70:71], v[10:11], v[10:11] op_sel:[0,1]
	v_pk_mov_b32 v[78:79], v[10:11], v[10:11] op_sel:[0,1]
	;; [unrolled: 1-line block ×8, first 2 shown]
	v_mov_b32_e32 v124, 0
	v_pk_mov_b32 v[38:39], v[10:11], v[10:11] op_sel:[0,1]
	v_pk_mov_b32 v[50:51], v[10:11], v[10:11] op_sel:[0,1]
	;; [unrolled: 1-line block ×5, first 2 shown]
	v_mov_b32_e32 v123, 0
	v_pk_mov_b32 v[34:35], v[10:11], v[10:11] op_sel:[0,1]
	v_pk_mov_b32 v[14:15], v[10:11], v[10:11] op_sel:[0,1]
	;; [unrolled: 1-line block ×5, first 2 shown]
                                        ; implicit-def: $sgpr4_sgpr5
                                        ; implicit-def: $vgpr83
                                        ; implicit-def: $vgpr82
                                        ; implicit-def: $vgpr84
                                        ; implicit-def: $vgpr85
	s_and_saveexec_b64 s[14:15], vcc
	s_cbranch_execz .LBB1190_114
; %bb.77:
	v_mul_u32_u24_e32 v6, 0xa0, v0
	v_add_u32_e32 v48, v69, v6
	ds_read2_b64 v[18:21], v48 offset0:1 offset1:2
	v_cmp_ne_u32_e64 s[4:5], v36, v37
	v_add_u32_e32 v6, 2, v65
	v_pk_mov_b32 v[10:11], 0, 0
	v_cmp_ne_u32_e32 vcc, v28, v29
	v_cmp_ne_u32_e64 s[6:7], v29, v32
	v_cmp_ne_u32_e64 s[8:9], v37, v28
	v_cndmask_b32_e64 v128, 0, 1, s[4:5]
	v_cmp_gt_u32_e64 s[4:5], s65, v6
	s_mov_b64 s[20:21], 0
	v_mov_b32_e32 v127, 0
	v_mov_b32_e32 v122, 0
	;; [unrolled: 1-line block ×4, first 2 shown]
	v_pk_mov_b32 v[70:71], v[10:11], v[10:11] op_sel:[0,1]
	v_pk_mov_b32 v[78:79], v[10:11], v[10:11] op_sel:[0,1]
	;; [unrolled: 1-line block ×8, first 2 shown]
	v_mov_b32_e32 v124, 0
	v_pk_mov_b32 v[38:39], v[10:11], v[10:11] op_sel:[0,1]
	v_pk_mov_b32 v[50:51], v[10:11], v[10:11] op_sel:[0,1]
	;; [unrolled: 1-line block ×5, first 2 shown]
	v_mov_b32_e32 v123, 0
	v_pk_mov_b32 v[34:35], v[10:11], v[10:11] op_sel:[0,1]
	v_pk_mov_b32 v[14:15], v[10:11], v[10:11] op_sel:[0,1]
	;; [unrolled: 1-line block ×4, first 2 shown]
                                        ; implicit-def: $sgpr22_sgpr23
                                        ; implicit-def: $vgpr83
                                        ; implicit-def: $vgpr82
                                        ; implicit-def: $vgpr84
                                        ; implicit-def: $vgpr85
	s_and_saveexec_b64 s[16:17], s[4:5]
	s_cbranch_execz .LBB1190_113
; %bb.78:
	v_cndmask_b32_e64 v6, 0, 1, s[8:9]
	v_cndmask_b32_e64 v7, 0, 1, s[6:7]
	v_lshlrev_b16_e32 v6, 8, v6
	v_lshlrev_b16_e32 v7, 8, v7
	v_cndmask_b32_e64 v10, 0, 1, vcc
	v_or_b32_e32 v6, v128, v6
	v_or_b32_sdwa v7, v10, v7 dst_sel:WORD_1 dst_unused:UNUSED_PAD src0_sel:DWORD src1_sel:DWORD
	v_add_u32_e32 v10, 3, v65
	v_or_b32_sdwa v83, v6, v7 dst_sel:DWORD dst_unused:UNUSED_PAD src0_sel:WORD_0 src1_sel:DWORD
	v_cmp_gt_u32_e32 vcc, s65, v10
	v_pk_mov_b32 v[10:11], 0, 0
	v_and_b32_e32 v128, 0xffff, v83
	s_waitcnt lgkmcnt(0)
	v_mov_b32_e32 v6, v20
	v_mov_b32_e32 v7, v21
	s_mov_b64 s[4:5], 0
	v_mov_b32_e32 v127, 0
	v_mov_b32_e32 v122, 0
	;; [unrolled: 1-line block ×4, first 2 shown]
	v_pk_mov_b32 v[70:71], v[10:11], v[10:11] op_sel:[0,1]
	v_pk_mov_b32 v[78:79], v[10:11], v[10:11] op_sel:[0,1]
	;; [unrolled: 1-line block ×8, first 2 shown]
	v_mov_b32_e32 v124, 0
	v_pk_mov_b32 v[38:39], v[10:11], v[10:11] op_sel:[0,1]
	v_pk_mov_b32 v[50:51], v[10:11], v[10:11] op_sel:[0,1]
	;; [unrolled: 1-line block ×5, first 2 shown]
	v_mov_b32_e32 v123, 0
	v_pk_mov_b32 v[34:35], v[10:11], v[10:11] op_sel:[0,1]
	v_pk_mov_b32 v[14:15], v[10:11], v[10:11] op_sel:[0,1]
	;; [unrolled: 1-line block ×3, first 2 shown]
                                        ; implicit-def: $sgpr6_sgpr7
                                        ; implicit-def: $vgpr82
                                        ; implicit-def: $vgpr84
                                        ; implicit-def: $vgpr85
	s_and_saveexec_b64 s[18:19], vcc
	s_cbranch_execz .LBB1190_112
; %bb.79:
	ds_read2_b64 v[26:29], v48 offset0:3 offset1:4
	v_add_u32_e32 v10, 4, v65
	v_cmp_gt_u32_e32 vcc, s65, v10
	v_pk_mov_b32 v[10:11], 0, 0
	v_and_b32_e32 v128, 0xffffff, v83
	s_mov_b64 s[6:7], 0
	v_mov_b32_e32 v127, 0
	v_mov_b32_e32 v122, 0
	;; [unrolled: 1-line block ×4, first 2 shown]
	v_pk_mov_b32 v[70:71], v[10:11], v[10:11] op_sel:[0,1]
	v_pk_mov_b32 v[78:79], v[10:11], v[10:11] op_sel:[0,1]
	;; [unrolled: 1-line block ×8, first 2 shown]
	v_mov_b32_e32 v124, 0
	v_pk_mov_b32 v[38:39], v[10:11], v[10:11] op_sel:[0,1]
	v_pk_mov_b32 v[50:51], v[10:11], v[10:11] op_sel:[0,1]
	;; [unrolled: 1-line block ×5, first 2 shown]
	v_mov_b32_e32 v123, 0
	v_pk_mov_b32 v[34:35], v[10:11], v[10:11] op_sel:[0,1]
	v_pk_mov_b32 v[14:15], v[10:11], v[10:11] op_sel:[0,1]
                                        ; implicit-def: $sgpr8_sgpr9
                                        ; implicit-def: $vgpr82
                                        ; implicit-def: $vgpr84
                                        ; implicit-def: $vgpr85
	s_and_saveexec_b64 s[20:21], vcc
	s_cbranch_execz .LBB1190_111
; %bb.80:
	v_add_u32_e32 v10, 5, v65
	v_cmp_gt_u32_e32 vcc, s65, v10
	v_pk_mov_b32 v[10:11], 0, 0
	s_waitcnt lgkmcnt(0)
	v_mov_b32_e32 v14, v28
	v_mov_b32_e32 v15, v29
	;; [unrolled: 1-line block ×6, first 2 shown]
	v_pk_mov_b32 v[70:71], v[10:11], v[10:11] op_sel:[0,1]
	v_pk_mov_b32 v[78:79], v[10:11], v[10:11] op_sel:[0,1]
	;; [unrolled: 1-line block ×8, first 2 shown]
	v_mov_b32_e32 v124, 0
	v_pk_mov_b32 v[38:39], v[10:11], v[10:11] op_sel:[0,1]
	v_pk_mov_b32 v[50:51], v[10:11], v[10:11] op_sel:[0,1]
	;; [unrolled: 1-line block ×5, first 2 shown]
	v_mov_b32_e32 v123, 0
	v_pk_mov_b32 v[34:35], v[10:11], v[10:11] op_sel:[0,1]
                                        ; implicit-def: $sgpr8_sgpr9
                                        ; implicit-def: $vgpr82
                                        ; implicit-def: $vgpr84
                                        ; implicit-def: $vgpr85
	s_and_saveexec_b64 s[22:23], vcc
	s_cbranch_execz .LBB1190_110
; %bb.81:
	ds_read2_b64 v[34:37], v48 offset0:5 offset1:6
	v_cmp_ne_u32_e32 vcc, v32, v44
	v_add_u32_e32 v10, 6, v65
	v_cndmask_b32_e64 v123, 0, 1, vcc
	v_cmp_gt_u32_e32 vcc, s65, v10
	v_pk_mov_b32 v[10:11], 0, 0
	s_mov_b64 s[28:29], 0
	v_mov_b32_e32 v127, 0
	v_mov_b32_e32 v122, 0
	;; [unrolled: 1-line block ×4, first 2 shown]
	v_pk_mov_b32 v[70:71], v[10:11], v[10:11] op_sel:[0,1]
	v_pk_mov_b32 v[78:79], v[10:11], v[10:11] op_sel:[0,1]
	;; [unrolled: 1-line block ×8, first 2 shown]
	v_mov_b32_e32 v124, 0
	v_pk_mov_b32 v[38:39], v[10:11], v[10:11] op_sel:[0,1]
	v_pk_mov_b32 v[50:51], v[10:11], v[10:11] op_sel:[0,1]
	;; [unrolled: 1-line block ×5, first 2 shown]
                                        ; implicit-def: $sgpr6_sgpr7
                                        ; implicit-def: $vgpr82
                                        ; implicit-def: $vgpr84
                                        ; implicit-def: $vgpr85
	s_and_saveexec_b64 s[24:25], vcc
	s_cbranch_execz .LBB1190_109
; %bb.82:
	v_cmp_ne_u32_e64 s[4:5], v44, v45
	v_add_u32_e32 v10, 7, v65
	v_cndmask_b32_e64 v127, 0, 1, s[4:5]
	v_cmp_gt_u32_e64 s[4:5], s65, v10
	v_pk_mov_b32 v[10:11], 0, 0
	s_waitcnt lgkmcnt(0)
	v_mov_b32_e32 v22, v36
	v_mov_b32_e32 v23, v37
	v_cmp_ne_u32_e32 vcc, v40, v41
	v_cmp_ne_u32_e64 s[6:7], v41, v33
	v_cmp_ne_u32_e64 s[8:9], v45, v40
	s_mov_b64 s[30:31], 0
	v_mov_b32_e32 v126, 0
	v_mov_b32_e32 v122, 0
	;; [unrolled: 1-line block ×3, first 2 shown]
	v_pk_mov_b32 v[70:71], v[10:11], v[10:11] op_sel:[0,1]
	v_pk_mov_b32 v[78:79], v[10:11], v[10:11] op_sel:[0,1]
	;; [unrolled: 1-line block ×8, first 2 shown]
	v_mov_b32_e32 v124, 0
	v_pk_mov_b32 v[38:39], v[10:11], v[10:11] op_sel:[0,1]
	v_pk_mov_b32 v[50:51], v[10:11], v[10:11] op_sel:[0,1]
	;; [unrolled: 1-line block ×4, first 2 shown]
                                        ; implicit-def: $sgpr34_sgpr35
                                        ; implicit-def: $vgpr82
                                        ; implicit-def: $vgpr84
                                        ; implicit-def: $vgpr85
	s_and_saveexec_b64 s[26:27], s[4:5]
	s_cbranch_execz .LBB1190_108
; %bb.83:
	v_cndmask_b32_e64 v10, 0, 1, s[8:9]
	v_cndmask_b32_e64 v11, 0, 1, s[6:7]
	v_lshlrev_b16_e32 v10, 8, v10
	v_lshlrev_b16_e32 v11, 8, v11
	v_cndmask_b32_e64 v20, 0, 1, vcc
	ds_read2_b64 v[42:45], v48 offset0:7 offset1:8
	v_or_b32_e32 v10, v127, v10
	v_or_b32_sdwa v11, v20, v11 dst_sel:WORD_1 dst_unused:UNUSED_PAD src0_sel:DWORD src1_sel:DWORD
	v_or_b32_sdwa v82, v10, v11 dst_sel:DWORD dst_unused:UNUSED_PAD src0_sel:WORD_0 src1_sel:DWORD
	v_add_u32_e32 v10, 8, v65
	v_cmp_gt_u32_e32 vcc, s65, v10
	v_pk_mov_b32 v[10:11], 0, 0
	v_and_b32_e32 v127, 0xffff, v82
	s_mov_b64 s[4:5], 0
	v_mov_b32_e32 v126, 0
	v_mov_b32_e32 v122, 0
	;; [unrolled: 1-line block ×3, first 2 shown]
	v_pk_mov_b32 v[70:71], v[10:11], v[10:11] op_sel:[0,1]
	v_pk_mov_b32 v[78:79], v[10:11], v[10:11] op_sel:[0,1]
	;; [unrolled: 1-line block ×8, first 2 shown]
	v_mov_b32_e32 v124, 0
	v_pk_mov_b32 v[38:39], v[10:11], v[10:11] op_sel:[0,1]
	v_pk_mov_b32 v[50:51], v[10:11], v[10:11] op_sel:[0,1]
	;; [unrolled: 1-line block ×3, first 2 shown]
                                        ; implicit-def: $sgpr6_sgpr7
                                        ; implicit-def: $vgpr84
                                        ; implicit-def: $vgpr85
	s_and_saveexec_b64 s[28:29], vcc
	s_cbranch_execz .LBB1190_107
; %bb.84:
	v_add_u32_e32 v10, 9, v65
	v_cmp_gt_u32_e32 vcc, s65, v10
	v_pk_mov_b32 v[10:11], 0, 0
	s_waitcnt lgkmcnt(0)
	v_mov_b32_e32 v30, v44
	v_mov_b32_e32 v31, v45
	v_and_b32_e32 v127, 0xffffff, v82
	s_mov_b64 s[6:7], 0
	v_mov_b32_e32 v126, 0
	v_mov_b32_e32 v122, 0
	;; [unrolled: 1-line block ×3, first 2 shown]
	v_pk_mov_b32 v[70:71], v[10:11], v[10:11] op_sel:[0,1]
	v_pk_mov_b32 v[78:79], v[10:11], v[10:11] op_sel:[0,1]
	;; [unrolled: 1-line block ×8, first 2 shown]
	v_mov_b32_e32 v124, 0
	v_pk_mov_b32 v[38:39], v[10:11], v[10:11] op_sel:[0,1]
	v_pk_mov_b32 v[50:51], v[10:11], v[10:11] op_sel:[0,1]
                                        ; implicit-def: $sgpr8_sgpr9
                                        ; implicit-def: $vgpr84
                                        ; implicit-def: $vgpr85
	s_and_saveexec_b64 s[30:31], vcc
	s_cbranch_execz .LBB1190_106
; %bb.85:
	ds_read2_b64 v[50:53], v48 offset0:9 offset1:10
	v_add_u32_e32 v10, 10, v65
	v_cmp_gt_u32_e32 vcc, s65, v10
	v_pk_mov_b32 v[10:11], 0, 0
	v_mov_b32_e32 v126, 0
	v_mov_b32_e32 v122, 0
	;; [unrolled: 1-line block ×3, first 2 shown]
	v_pk_mov_b32 v[70:71], v[10:11], v[10:11] op_sel:[0,1]
	v_pk_mov_b32 v[78:79], v[10:11], v[10:11] op_sel:[0,1]
	;; [unrolled: 1-line block ×8, first 2 shown]
	v_mov_b32_e32 v124, 0
	v_pk_mov_b32 v[38:39], v[10:11], v[10:11] op_sel:[0,1]
                                        ; implicit-def: $sgpr8_sgpr9
                                        ; implicit-def: $vgpr84
                                        ; implicit-def: $vgpr85
	s_and_saveexec_b64 s[34:35], vcc
	s_cbranch_execz .LBB1190_105
; %bb.86:
	v_cmp_ne_u32_e32 vcc, v33, v24
	v_add_u32_e32 v10, 11, v65
	v_cndmask_b32_e64 v124, 0, 1, vcc
	v_cmp_gt_u32_e32 vcc, s65, v10
	v_pk_mov_b32 v[10:11], 0, 0
	s_waitcnt lgkmcnt(0)
	v_mov_b32_e32 v38, v52
	v_mov_b32_e32 v39, v53
	s_mov_b64 s[40:41], 0
	v_mov_b32_e32 v126, 0
	v_mov_b32_e32 v122, 0
	;; [unrolled: 1-line block ×3, first 2 shown]
	v_pk_mov_b32 v[70:71], v[10:11], v[10:11] op_sel:[0,1]
	v_pk_mov_b32 v[78:79], v[10:11], v[10:11] op_sel:[0,1]
	v_pk_mov_b32 v[62:63], v[10:11], v[10:11] op_sel:[0,1]
	v_pk_mov_b32 v[74:75], v[10:11], v[10:11] op_sel:[0,1]
	v_pk_mov_b32 v[54:55], v[10:11], v[10:11] op_sel:[0,1]
	v_pk_mov_b32 v[66:67], v[10:11], v[10:11] op_sel:[0,1]
	v_pk_mov_b32 v[46:47], v[10:11], v[10:11] op_sel:[0,1]
	v_pk_mov_b32 v[58:59], v[10:11], v[10:11] op_sel:[0,1]
                                        ; implicit-def: $sgpr6_sgpr7
                                        ; implicit-def: $vgpr84
                                        ; implicit-def: $vgpr85
	s_and_saveexec_b64 s[36:37], vcc
	s_cbranch_execz .LBB1190_104
; %bb.87:
	ds_read2_b64 v[58:61], v48 offset0:11 offset1:12
	v_cmp_ne_u32_e64 s[4:5], v24, v25
	v_add_u32_e32 v10, 12, v65
	v_cndmask_b32_e64 v126, 0, 1, s[4:5]
	v_cmp_gt_u32_e64 s[4:5], s65, v10
	v_pk_mov_b32 v[10:11], 0, 0
	v_cmp_ne_u32_e32 vcc, v16, v17
	v_cmp_ne_u32_e64 s[6:7], v17, v64
	v_cmp_ne_u32_e64 s[8:9], v25, v16
	s_mov_b64 s[42:43], 0
	v_mov_b32_e32 v125, 0
	v_mov_b32_e32 v122, 0
	v_pk_mov_b32 v[70:71], v[10:11], v[10:11] op_sel:[0,1]
	v_pk_mov_b32 v[78:79], v[10:11], v[10:11] op_sel:[0,1]
	;; [unrolled: 1-line block ×7, first 2 shown]
                                        ; implicit-def: $sgpr44_sgpr45
                                        ; implicit-def: $vgpr84
                                        ; implicit-def: $vgpr85
	s_and_saveexec_b64 s[38:39], s[4:5]
	s_cbranch_execz .LBB1190_103
; %bb.88:
	v_cndmask_b32_e64 v10, 0, 1, s[8:9]
	v_cndmask_b32_e64 v11, 0, 1, s[6:7]
	v_lshlrev_b16_e32 v10, 8, v10
	v_lshlrev_b16_e32 v11, 8, v11
	v_cndmask_b32_e64 v16, 0, 1, vcc
	v_or_b32_e32 v10, v126, v10
	v_or_b32_sdwa v11, v16, v11 dst_sel:WORD_1 dst_unused:UNUSED_PAD src0_sel:DWORD src1_sel:DWORD
	v_or_b32_sdwa v84, v10, v11 dst_sel:DWORD dst_unused:UNUSED_PAD src0_sel:WORD_0 src1_sel:DWORD
	v_add_u32_e32 v10, 13, v65
	s_mov_b32 s78, s74
	v_cmp_gt_u32_e32 vcc, s65, v10
	v_pk_mov_b32 v[10:11], 0, 0
	s_mov_b64 s[66:67], s[2:3]
	s_mov_b64 s[2:3], s[60:61]
	;; [unrolled: 1-line block ×6, first 2 shown]
	v_and_b32_e32 v126, 0xffff, v84
	s_waitcnt lgkmcnt(0)
	v_mov_b32_e32 v46, v60
	v_mov_b32_e32 v47, v61
	s_mov_b64 s[4:5], 0
	v_mov_b32_e32 v125, 0
	v_mov_b32_e32 v122, 0
	v_pk_mov_b32 v[70:71], v[10:11], v[10:11] op_sel:[0,1]
	v_pk_mov_b32 v[78:79], v[10:11], v[10:11] op_sel:[0,1]
	;; [unrolled: 1-line block ×6, first 2 shown]
                                        ; implicit-def: $sgpr6_sgpr7
                                        ; implicit-def: $vgpr85
	s_and_saveexec_b64 s[40:41], vcc
	s_cbranch_execz .LBB1190_102
; %bb.89:
	ds_read2_b64 v[66:69], v48 offset0:13 offset1:14
	v_add_u32_e32 v10, 14, v65
	v_cmp_gt_u32_e32 vcc, s65, v10
	v_pk_mov_b32 v[10:11], 0, 0
	v_and_b32_e32 v126, 0xffffff, v84
	s_mov_b64 s[6:7], 0
	v_mov_b32_e32 v125, 0
	v_mov_b32_e32 v122, 0
	v_pk_mov_b32 v[70:71], v[10:11], v[10:11] op_sel:[0,1]
	v_pk_mov_b32 v[78:79], v[10:11], v[10:11] op_sel:[0,1]
	;; [unrolled: 1-line block ×5, first 2 shown]
                                        ; implicit-def: $sgpr8_sgpr9
                                        ; implicit-def: $vgpr85
	s_and_saveexec_b64 s[42:43], vcc
	s_cbranch_execz .LBB1190_101
; %bb.90:
	v_add_u32_e32 v10, 15, v65
	v_cmp_gt_u32_e32 vcc, s65, v10
	v_pk_mov_b32 v[10:11], 0, 0
	s_waitcnt lgkmcnt(0)
	v_mov_b32_e32 v54, v68
	v_mov_b32_e32 v55, v69
	;; [unrolled: 1-line block ×4, first 2 shown]
	v_pk_mov_b32 v[70:71], v[10:11], v[10:11] op_sel:[0,1]
	v_pk_mov_b32 v[78:79], v[10:11], v[10:11] op_sel:[0,1]
	;; [unrolled: 1-line block ×4, first 2 shown]
                                        ; implicit-def: $sgpr8_sgpr9
                                        ; implicit-def: $vgpr85
	s_and_saveexec_b64 s[44:45], vcc
	s_cbranch_execz .LBB1190_100
; %bb.91:
	ds_read2_b64 v[74:77], v48 offset0:15 offset1:16
	v_cmp_ne_u32_e32 vcc, v64, v8
	v_add_u32_e32 v10, 16, v65
	v_cndmask_b32_e64 v122, 0, 1, vcc
	v_cmp_gt_u32_e32 vcc, s65, v10
	v_pk_mov_b32 v[10:11], 0, 0
	s_mov_b64 s[56:57], 0
	v_mov_b32_e32 v125, 0
	v_pk_mov_b32 v[70:71], v[10:11], v[10:11] op_sel:[0,1]
	v_pk_mov_b32 v[78:79], v[10:11], v[10:11] op_sel:[0,1]
	;; [unrolled: 1-line block ×3, first 2 shown]
                                        ; implicit-def: $sgpr6_sgpr7
                                        ; implicit-def: $vgpr85
	s_and_saveexec_b64 s[46:47], vcc
	s_cbranch_execz .LBB1190_99
; %bb.92:
	v_cmp_ne_u32_e64 s[4:5], v8, v9
	v_add_u32_e32 v8, 17, v65
	v_pk_mov_b32 v[10:11], 0, 0
	s_waitcnt lgkmcnt(0)
	v_mov_b32_e32 v62, v76
	v_mov_b32_e32 v63, v77
	v_cmp_ne_u32_e32 vcc, v12, v13
	v_cmp_ne_u32_e64 s[6:7], v13, v4
	v_cmp_ne_u32_e64 s[8:9], v9, v12
	v_cndmask_b32_e64 v125, 0, 1, s[4:5]
	v_cmp_gt_u32_e64 s[4:5], s65, v8
	s_mov_b64 s[58:59], 0
	v_pk_mov_b32 v[70:71], v[10:11], v[10:11] op_sel:[0,1]
	v_pk_mov_b32 v[78:79], v[10:11], v[10:11] op_sel:[0,1]
                                        ; implicit-def: $sgpr60_sgpr61
                                        ; implicit-def: $vgpr85
	s_and_saveexec_b64 s[48:49], s[4:5]
	s_cbranch_execz .LBB1190_98
; %bb.93:
	v_cndmask_b32_e64 v8, 0, 1, s[8:9]
	v_cndmask_b32_e64 v9, 0, 1, s[6:7]
	ds_read2_b64 v[78:81], v48 offset0:17 offset1:18
	v_lshlrev_b16_e32 v8, 8, v8
	v_lshlrev_b16_e32 v9, 8, v9
	v_cndmask_b32_e64 v10, 0, 1, vcc
	v_or_b32_e32 v8, v125, v8
	v_or_b32_sdwa v9, v10, v9 dst_sel:WORD_1 dst_unused:UNUSED_PAD src0_sel:DWORD src1_sel:DWORD
	v_or_b32_sdwa v85, v8, v9 dst_sel:DWORD dst_unused:UNUSED_PAD src0_sel:WORD_0 src1_sel:DWORD
	v_add_u32_e32 v8, 18, v65
	v_pk_mov_b32 v[10:11], 0, 0
	v_and_b32_e32 v125, 0xffff, v85
	v_cmp_gt_u32_e32 vcc, s65, v8
	s_mov_b64 s[4:5], 0
	v_pk_mov_b32 v[70:71], v[10:11], v[10:11] op_sel:[0,1]
                                        ; implicit-def: $sgpr8_sgpr9
	s_and_saveexec_b64 s[6:7], vcc
	s_cbranch_execz .LBB1190_97
; %bb.94:
	v_add_u32_e32 v8, 19, v65
	s_waitcnt lgkmcnt(0)
	v_mov_b32_e32 v70, v80
	v_mov_b32_e32 v71, v81
	v_cmp_gt_u32_e32 vcc, s65, v8
	v_and_b32_e32 v125, 0xffffff, v85
	v_pk_mov_b32 v[10:11], 0, 0
                                        ; implicit-def: $sgpr8_sgpr9
	s_and_saveexec_b64 s[56:57], vcc
	s_xor_b64 s[56:57], exec, s[56:57]
	s_cbranch_execz .LBB1190_96
; %bb.95:
	ds_read2_b64 v[10:13], v48 offset0:19 offset1:20
	v_cmp_ne_u32_e32 vcc, v4, v5
	v_add_u32_e32 v4, 20, v65
	v_cmp_gt_u32_e64 s[4:5], s65, v4
	s_and_b64 s[8:9], vcc, exec
	s_and_b64 s[4:5], s[4:5], exec
	s_waitcnt lgkmcnt(0)
	v_pk_mov_b32 v[72:73], v[10:11], v[10:11] op_sel:[0,1]
	v_mov_b32_e32 v125, v85
.LBB1190_96:
	s_or_b64 exec, exec, s[56:57]
	s_and_b64 s[8:9], s[8:9], exec
	s_and_b64 s[58:59], s[4:5], exec
.LBB1190_97:
	s_or_b64 exec, exec, s[6:7]
	s_and_b64 s[60:61], s[8:9], exec
	s_and_b64 s[56:57], s[58:59], exec
	s_waitcnt lgkmcnt(0)
	v_pk_mov_b32 v[64:65], v[78:79], v[78:79] op_sel:[0,1]
	v_pk_mov_b32 v[56:57], v[74:75], v[74:75] op_sel:[0,1]
	;; [unrolled: 1-line block ×9, first 2 shown]
.LBB1190_98:
	s_or_b64 exec, exec, s[48:49]
	s_and_b64 s[6:7], s[60:61], exec
	s_and_b64 s[4:5], s[56:57], exec
.LBB1190_99:
	s_or_b64 exec, exec, s[46:47]
	s_and_b64 s[8:9], s[6:7], exec
	s_and_b64 s[6:7], s[4:5], exec
.LBB1190_100:
	s_or_b64 exec, exec, s[44:45]
	s_and_b64 s[8:9], s[8:9], exec
	s_and_b64 s[4:5], s[6:7], exec
	v_mov_b32_e32 v126, v84
.LBB1190_101:
	s_or_b64 exec, exec, s[42:43]
	s_and_b64 s[6:7], s[8:9], exec
	s_and_b64 s[42:43], s[4:5], exec
.LBB1190_102:
	s_or_b64 exec, exec, s[40:41]
	s_mov_b64 s[58:59], s[70:71]
	s_mov_b64 s[68:69], s[72:73]
	s_and_b64 s[44:45], s[6:7], exec
	s_and_b64 s[40:41], s[42:43], exec
	s_mov_b64 s[70:71], s[74:75]
	s_mov_b64 s[72:73], s[76:77]
	s_mov_b32 s74, s78
	s_mov_b64 s[60:61], s[2:3]
	s_mov_b64 s[2:3], s[66:67]
.LBB1190_103:
	s_or_b64 exec, exec, s[38:39]
	s_and_b64 s[6:7], s[44:45], exec
	s_and_b64 s[4:5], s[40:41], exec
.LBB1190_104:
	s_or_b64 exec, exec, s[36:37]
	s_and_b64 s[8:9], s[6:7], exec
	s_and_b64 s[6:7], s[4:5], exec
.LBB1190_105:
	s_or_b64 exec, exec, s[34:35]
	s_and_b64 s[8:9], s[8:9], exec
	s_and_b64 s[4:5], s[6:7], exec
	v_mov_b32_e32 v127, v82
.LBB1190_106:
	s_or_b64 exec, exec, s[30:31]
	s_and_b64 s[6:7], s[8:9], exec
	s_and_b64 s[30:31], s[4:5], exec
.LBB1190_107:
	s_or_b64 exec, exec, s[28:29]
	s_and_b64 s[34:35], s[6:7], exec
	s_and_b64 s[28:29], s[30:31], exec
.LBB1190_108:
	s_or_b64 exec, exec, s[26:27]
	s_and_b64 s[6:7], s[34:35], exec
	s_and_b64 s[4:5], s[28:29], exec
.LBB1190_109:
	s_or_b64 exec, exec, s[24:25]
	s_and_b64 s[8:9], s[6:7], exec
	s_and_b64 s[6:7], s[4:5], exec
.LBB1190_110:
	s_or_b64 exec, exec, s[22:23]
	s_and_b64 s[8:9], s[8:9], exec
	s_and_b64 s[4:5], s[6:7], exec
	v_mov_b32_e32 v128, v83
.LBB1190_111:
	s_or_b64 exec, exec, s[20:21]
	s_and_b64 s[6:7], s[8:9], exec
	s_and_b64 s[20:21], s[4:5], exec
.LBB1190_112:
	s_or_b64 exec, exec, s[18:19]
	s_and_b64 s[22:23], s[6:7], exec
	s_and_b64 s[18:19], s[20:21], exec
.LBB1190_113:
	s_or_b64 exec, exec, s[16:17]
	s_and_b64 s[4:5], s[22:23], exec
	s_and_b64 s[6:7], s[18:19], exec
.LBB1190_114:
	s_or_b64 exec, exec, s[14:15]
	s_and_b64 s[4:5], s[4:5], exec
	s_and_b64 s[6:7], s[6:7], exec
.LBB1190_115:
	s_or_b64 exec, exec, s[12:13]
	s_mov_b64 s[8:9], 0
	s_and_b64 vcc, exec, s[10:11]
	s_cbranch_vccnz .LBB1190_117
	s_branch .LBB1190_125
.LBB1190_116:
                                        ; implicit-def: $sgpr4_sgpr5
                                        ; implicit-def: $vgpr83
                                        ; implicit-def: $vgpr82
                                        ; implicit-def: $vgpr84
                                        ; implicit-def: $vgpr85
                                        ; implicit-def: $vgpr12_vgpr13
                                        ; implicit-def: $vgpr72_vgpr73
                                        ; implicit-def: $vgpr64_vgpr65
                                        ; implicit-def: $vgpr122
                                        ; implicit-def: $vgpr56_vgpr57
                                        ; implicit-def: $vgpr48_vgpr49
                                        ; implicit-def: $vgpr40_vgpr41
                                        ; implicit-def: $vgpr124
                                        ; implicit-def: $vgpr32_vgpr33
                                        ; implicit-def: $vgpr24_vgpr25
                                        ; implicit-def: $vgpr123
                                        ; implicit-def: $vgpr16_vgpr17
                                        ; implicit-def: $vgpr8_vgpr9
                                        ; implicit-def: $vgpr4_vgpr5
                                        ; implicit-def: $vgpr1
                                        ; implicit-def: $vgpr128
                                        ; implicit-def: $vgpr127
                                        ; implicit-def: $vgpr126
                                        ; implicit-def: $vgpr125
                                        ; implicit-def: $sgpr64
                                        ; implicit-def: $sgpr8_sgpr9
                                        ; implicit-def: $vgpr78_vgpr79
                                        ; implicit-def: $vgpr74_vgpr75
                                        ; implicit-def: $vgpr66_vgpr67
                                        ; implicit-def: $vgpr58_vgpr59
                                        ; implicit-def: $vgpr50_vgpr51
                                        ; implicit-def: $vgpr42_vgpr43
                                        ; implicit-def: $vgpr34_vgpr35
                                        ; implicit-def: $vgpr26_vgpr27
                                        ; implicit-def: $vgpr18_vgpr19
	s_and_b64 vcc, exec, s[10:11]
	s_cbranch_vccz .LBB1190_125
.LBB1190_117:
	v_lshlrev_b32_e32 v1, 2, v0
	s_waitcnt lgkmcnt(0)
	v_mov_b32_e32 v3, s51
	v_add_co_u32_e32 v2, vcc, s50, v1
	v_addc_co_u32_e32 v3, vcc, 0, v3, vcc
	s_movk_i32 s4, 0x1000
	flat_load_dword v4, v[2:3]
	flat_load_dword v5, v[2:3] offset:256
	flat_load_dword v6, v[2:3] offset:512
	;; [unrolled: 1-line block ×15, first 2 shown]
	v_add_co_u32_e32 v2, vcc, s4, v2
	v_addc_co_u32_e32 v3, vcc, 0, v3, vcc
	flat_load_dword v20, v[2:3]
	flat_load_dword v21, v[2:3] offset:256
	flat_load_dword v22, v[2:3] offset:512
	;; [unrolled: 1-line block ×4, first 2 shown]
	s_movk_i32 s4, 0x50
	v_mad_u32_u24 v23, v0, s4, v1
	s_cmp_eq_u64 s[54:55], 0
	s_waitcnt vmcnt(0) lgkmcnt(0)
	ds_write2st64_b32 v1, v4, v5 offset1:1
	ds_write2st64_b32 v1, v6, v7 offset0:2 offset1:3
	ds_write2st64_b32 v1, v8, v9 offset0:4 offset1:5
	;; [unrolled: 1-line block ×9, first 2 shown]
	ds_write_b32 v1, v25 offset:5120
	s_waitcnt lgkmcnt(0)
	; wave barrier
	s_waitcnt lgkmcnt(0)
	ds_read2_b32 v[8:9], v23 offset0:7 offset1:8
	ds_read2_b32 v[6:7], v23 offset0:5 offset1:6
	ds_read2_b32 v[2:3], v23 offset0:2 offset1:3
	ds_read2_b32 v[10:11], v23 offset1:1
	ds_read2_b32 v[4:5], v23 offset0:4 offset1:9
	ds_read2_b32 v[16:17], v23 offset0:15 offset1:16
	ds_read_b32 v22, v23 offset:56
	ds_read2_b32 v[14:15], v23 offset0:12 offset1:13
	ds_read2_b32 v[12:13], v23 offset0:10 offset1:11
	;; [unrolled: 1-line block ×4, first 2 shown]
	s_cbranch_scc1 .LBB1190_122
; %bb.118:
	s_andn2_b64 vcc, exec, s[52:53]
	s_cbranch_vccnz .LBB1190_280
; %bb.119:
	v_readlane_b32 s8, v131, 4
	v_readlane_b32 s10, v131, 6
	;; [unrolled: 1-line block ×5, first 2 shown]
	s_lshl_b64 s[4:5], s[54:55], 2
	s_mov_b64 s[10:11], s[14:15]
	s_add_u32 s4, s10, s4
	s_addc_u32 s5, s11, s5
	s_add_u32 s4, s4, -4
	s_addc_u32 s5, s5, -1
	v_readlane_b32 s9, v131, 5
	v_readlane_b32 s12, v131, 8
	;; [unrolled: 1-line block ×3, first 2 shown]
	s_cbranch_execnz .LBB1190_121
.LBB1190_120:
	s_add_u32 s4, s50, -4
	s_addc_u32 s5, s51, -1
.LBB1190_121:
	s_mov_b64 s[50:51], s[4:5]
.LBB1190_122:
	v_pk_mov_b32 v[24:25], s[50:51], s[50:51] op_sel:[0,1]
	flat_load_dword v1, v[24:25]
	s_movk_i32 s4, 0xffb0
	v_mad_i32_i24 v23, v0, s4, v23
	s_waitcnt lgkmcnt(0)
	ds_write_b32 v23, v21 offset:5376
	s_waitcnt lgkmcnt(0)
	; wave barrier
	s_waitcnt lgkmcnt(0)
	s_mov_b64 s[4:5], exec
	v_readlane_b32 s6, v131, 2
	v_readlane_b32 s7, v131, 3
	s_and_b64 s[6:7], s[4:5], s[6:7]
	s_mov_b64 exec, s[6:7]
	s_cbranch_execz .LBB1190_124
; %bb.123:
	s_waitcnt vmcnt(0)
	ds_read_b32 v1, v23 offset:5372
.LBB1190_124:
	s_or_b64 exec, exec, s[4:5]
	v_lshlrev_b32_e32 v24, 3, v0
	v_mov_b32_e32 v25, s63
	v_add_co_u32_e32 v24, vcc, s62, v24
	v_addc_co_u32_e32 v25, vcc, 0, v25, vcc
	s_movk_i32 s4, 0x1000
	v_add_co_u32_e32 v42, vcc, s4, v24
	v_addc_co_u32_e32 v43, vcc, 0, v25, vcc
	s_movk_i32 s4, 0x2000
	s_waitcnt lgkmcnt(0)
	; wave barrier
	s_waitcnt lgkmcnt(0)
	flat_load_dwordx2 v[26:27], v[24:25]
	flat_load_dwordx2 v[28:29], v[24:25] offset:512
	flat_load_dwordx2 v[30:31], v[24:25] offset:1024
	;; [unrolled: 1-line block ×7, first 2 shown]
	v_add_co_u32_e32 v24, vcc, s4, v24
	v_addc_co_u32_e32 v25, vcc, 0, v25, vcc
	flat_load_dwordx2 v[44:45], v[42:43]
	flat_load_dwordx2 v[46:47], v[42:43] offset:512
	flat_load_dwordx2 v[48:49], v[42:43] offset:1024
	;; [unrolled: 1-line block ×7, first 2 shown]
	s_nop 0
	flat_load_dwordx2 v[42:43], v[24:25]
	flat_load_dwordx2 v[60:61], v[24:25] offset:512
	flat_load_dwordx2 v[62:63], v[24:25] offset:1024
	;; [unrolled: 1-line block ×4, first 2 shown]
	v_cmp_ne_u32_e32 vcc, v17, v18
	v_cmp_ne_u32_e64 s[4:5], v20, v21
	v_cndmask_b32_e64 v21, 0, 1, vcc
	v_cmp_ne_u32_e32 vcc, v16, v17
	v_cndmask_b32_e64 v17, 0, 1, vcc
	v_cmp_ne_u32_e32 vcc, v19, v20
	;; [unrolled: 2-line block ×6, first 2 shown]
	v_lshlrev_b16_e32 v16, 8, v16
	v_cndmask_b32_e64 v13, 0, 1, vcc
	v_cmp_ne_u32_e32 vcc, v15, v22
	v_or_b32_e32 v13, v13, v16
	v_cndmask_b32_e64 v16, 0, 1, vcc
	v_cmp_ne_u32_e32 vcc, v14, v15
	v_cndmask_b32_e64 v14, 0, 1, vcc
	v_cmp_ne_u32_e32 vcc, v5, v12
	;; [unrolled: 2-line block ×6, first 2 shown]
	v_lshlrev_b16_e32 v12, 8, v12
	v_lshlrev_b16_e32 v5, 8, v5
	v_cndmask_b32_e64 v8, 0, 1, vcc
	v_cmp_ne_u32_e32 vcc, v4, v6
	v_or_b32_e32 v7, v7, v12
	v_or_b32_sdwa v5, v8, v5 dst_sel:WORD_1 dst_unused:UNUSED_PAD src0_sel:DWORD src1_sel:DWORD
	v_cndmask_b32_e64 v123, 0, 1, vcc
	v_cmp_ne_u32_e32 vcc, v11, v2
	v_or_b32_sdwa v82, v7, v5 dst_sel:DWORD dst_unused:UNUSED_PAD src0_sel:WORD_0 src1_sel:DWORD
	v_cndmask_b32_e64 v5, 0, 1, vcc
	v_cmp_ne_u32_e32 vcc, v10, v11
	v_cndmask_b32_e64 v6, 0, 1, vcc
	v_cmp_ne_u32_e32 vcc, v3, v4
	v_lshlrev_b16_e32 v21, 8, v21
	v_lshlrev_b16_e32 v20, 8, v20
	v_cndmask_b32_e64 v4, 0, 1, vcc
	v_cmp_ne_u32_e32 vcc, v2, v3
	v_or_b32_e32 v17, v17, v21
	v_or_b32_sdwa v18, v18, v20 dst_sel:WORD_1 dst_unused:UNUSED_PAD src0_sel:DWORD src1_sel:DWORD
	v_lshlrev_b16_e32 v4, 8, v4
	v_cndmask_b32_e64 v2, 0, 1, vcc
	v_or_b32_sdwa v85, v17, v18 dst_sel:DWORD dst_unused:UNUSED_PAD src0_sel:WORD_0 src1_sel:DWORD
	v_lshlrev_b16_e32 v16, 8, v16
	v_or_b32_sdwa v18, v2, v4 dst_sel:WORD_1 dst_unused:UNUSED_PAD src0_sel:DWORD src1_sel:DWORD
	v_lshl_add_u32 v2, v0, 2, v23
	s_movk_i32 s6, 0xa0
	v_or_b32_sdwa v14, v14, v16 dst_sel:WORD_1 dst_unused:UNUSED_PAD src0_sel:DWORD src1_sel:DWORD
	v_lshlrev_b16_e32 v5, 8, v5
	v_mad_u32_u24 v12, v0, s6, v2
	v_or_b32_sdwa v84, v13, v14 dst_sel:DWORD dst_unused:UNUSED_PAD src0_sel:WORD_0 src1_sel:DWORD
	v_or_b32_e32 v11, v6, v5
	s_waitcnt vmcnt(0)
	v_cmp_ne_u32_e32 vcc, v1, v10
	v_or_b32_sdwa v83, v11, v18 dst_sel:DWORD dst_unused:UNUSED_PAD src0_sel:WORD_0 src1_sel:DWORD
	v_cndmask_b32_e64 v1, 0, 1, vcc
	s_mov_b64 s[6:7], -1
                                        ; implicit-def: $vgpr128
                                        ; implicit-def: $vgpr127
                                        ; implicit-def: $vgpr126
                                        ; implicit-def: $vgpr125
                                        ; implicit-def: $sgpr64
                                        ; implicit-def: $sgpr8_sgpr9
                                        ; implicit-def: $vgpr78_vgpr79
                                        ; implicit-def: $vgpr74_vgpr75
                                        ; implicit-def: $vgpr18_vgpr19
	s_waitcnt lgkmcnt(0)
	ds_write2st64_b64 v2, v[26:27], v[28:29] offset1:1
	ds_write2st64_b64 v2, v[30:31], v[32:33] offset0:2 offset1:3
	ds_write2st64_b64 v2, v[34:35], v[36:37] offset0:4 offset1:5
	ds_write2st64_b64 v2, v[38:39], v[40:41] offset0:6 offset1:7
	ds_write2st64_b64 v2, v[44:45], v[46:47] offset0:8 offset1:9
	ds_write2st64_b64 v2, v[48:49], v[50:51] offset0:10 offset1:11
	ds_write2st64_b64 v2, v[52:53], v[54:55] offset0:12 offset1:13
	ds_write2st64_b64 v2, v[56:57], v[58:59] offset0:14 offset1:15
	ds_write2st64_b64 v2, v[42:43], v[60:61] offset0:16 offset1:17
	ds_write2st64_b64 v2, v[62:63], v[64:65] offset0:18 offset1:19
	ds_write_b64 v2, v[66:67] offset:10240
	s_waitcnt lgkmcnt(0)
	; wave barrier
	s_waitcnt lgkmcnt(0)
	ds_read2_b64 v[2:5], v12 offset1:1
	ds_read2_b64 v[6:9], v12 offset0:2 offset1:3
	ds_read2_b64 v[14:17], v12 offset0:4 offset1:5
	;; [unrolled: 1-line block ×9, first 2 shown]
	ds_read_b64 v[12:13], v12 offset:160
                                        ; implicit-def: $vgpr66_vgpr67
                                        ; implicit-def: $vgpr58_vgpr59
                                        ; implicit-def: $vgpr50_vgpr51
                                        ; implicit-def: $vgpr42_vgpr43
                                        ; implicit-def: $vgpr34_vgpr35
                                        ; implicit-def: $vgpr26_vgpr27
.LBB1190_125:
	s_waitcnt lgkmcnt(0)
	v_pk_mov_b32 v[20:21], s[8:9], s[8:9] op_sel:[0,1]
	v_mov_b32_e32 v28, s64
	s_and_saveexec_b64 s[8:9], s[6:7]
	s_cbranch_execz .LBB1190_127
; %bb.126:
	v_cndmask_b32_e64 v28, 0, 1, s[4:5]
	v_pk_mov_b32 v[18:19], v[4:5], v[4:5] op_sel:[0,1]
	v_pk_mov_b32 v[26:27], v[8:9], v[8:9] op_sel:[0,1]
	;; [unrolled: 1-line block ×11, first 2 shown]
	v_mov_b32_e32 v125, v85
	v_mov_b32_e32 v126, v84
	;; [unrolled: 1-line block ×4, first 2 shown]
.LBB1190_127:
	s_or_b64 exec, exec, s[8:9]
	v_and_b32_e32 v129, 1, v123
	v_and_b32_e32 v40, 1, v124
	v_and_b32_e32 v33, 1, v122
	v_and_b32_e32 v32, 1, v28
	s_cmp_lg_u32 s33, 0
	v_lshrrev_b32_e32 v130, 8, v128
	v_cmp_eq_u32_e32 vcc, 1, v129
	v_lshrrev_b32_e32 v41, 8, v127
	v_cmp_eq_u32_e64 s[48:49], 1, v40
	v_lshrrev_b32_e32 v37, 8, v126
	v_cmp_eq_u32_e64 s[50:51], 1, v33
	;; [unrolled: 2-line block ×3, first 2 shown]
	v_mbcnt_lo_u32_b32 v29, -1, 0
	s_waitcnt lgkmcnt(0)
	; wave barrier
	s_cbranch_scc0 .LBB1190_190
; %bb.128:
	v_mov_b32_e32 v4, 0
	v_cmp_eq_u16_sdwa s[6:7], v128, v4 src0_sel:BYTE_0 src1_sel:DWORD
	v_cndmask_b32_e64 v9, 0, v2, s[6:7]
	v_and_b32_e32 v12, 1, v128
	s_movk_i32 s44, 0xff
	v_cndmask_b32_e64 v5, 0, v3, s[6:7]
	v_add_co_u32_e64 v9, s[4:5], v9, v18
	v_cmp_eq_u32_e64 s[52:53], 1, v12
	v_cmp_eq_u16_sdwa s[90:91], v130, v4 src0_sel:BYTE_0 src1_sel:DWORD
	v_and_b32_e32 v12, 0x100, v128
	v_addc_co_u32_e64 v5, s[4:5], v5, v19, s[4:5]
	v_cndmask_b32_e64 v9, 0, v9, s[90:91]
	v_cmp_ne_u32_e64 s[56:57], 0, v12
	v_and_b32_sdwa v12, v128, s44 dst_sel:DWORD dst_unused:UNUSED_PAD src0_sel:WORD_1 src1_sel:DWORD
	v_cndmask_b32_e64 v5, 0, v5, s[90:91]
	v_add_co_u32_e64 v9, s[4:5], v9, v6
	v_cmp_eq_u16_e64 s[92:93], 0, v12
	v_addc_co_u32_e64 v5, s[4:5], v5, v7, s[4:5]
	v_cndmask_b32_e64 v9, 0, v9, s[92:93]
	v_cndmask_b32_e64 v5, 0, v5, s[92:93]
	v_add_co_u32_e64 v9, s[4:5], v9, v26
	v_cmp_eq_u16_sdwa s[66:67], v128, v4 src0_sel:BYTE_3 src1_sel:DWORD
	v_addc_co_u32_e64 v5, s[4:5], v5, v27, s[4:5]
	v_cndmask_b32_e64 v9, 0, v9, s[66:67]
	v_cndmask_b32_e64 v5, 0, v5, s[66:67]
	v_add_co_u32_e64 v9, s[4:5], v9, v14
	v_cmp_eq_u16_sdwa s[16:17], v123, v4 src0_sel:BYTE_0 src1_sel:DWORD
	v_writelane_b32 v131, s2, 15
	v_and_b32_e32 v12, 0x10000, v128
	v_addc_co_u32_e64 v5, s[4:5], v5, v15, s[4:5]
	v_cndmask_b32_e64 v9, 0, v9, s[16:17]
	v_writelane_b32 v131, s3, 16
	s_mov_b64 s[94:95], s[58:59]
	v_cmp_ne_u32_e64 s[58:59], 0, v12
	v_and_b32_e32 v12, 0x1000000, v128
	v_cndmask_b32_e64 v5, 0, v5, s[16:17]
	v_add_co_u32_e64 v9, s[4:5], v9, v34
	v_cmp_eq_u16_sdwa s[2:3], v127, v4 src0_sel:BYTE_0 src1_sel:DWORD
	s_mov_b64 s[0:1], s[60:61]
	v_cmp_ne_u32_e64 s[60:61], 0, v12
	v_addc_co_u32_e64 v5, s[4:5], v5, v35, s[4:5]
	v_cndmask_b32_e64 v9, 0, v9, s[2:3]
	v_and_b32_e32 v12, 1, v127
	v_cndmask_b32_e64 v5, 0, v5, s[2:3]
	v_add_co_u32_e64 v9, s[4:5], v9, v22
	v_cmp_eq_u32_e64 s[62:63], 1, v12
	v_cmp_eq_u16_sdwa s[18:19], v41, v4 src0_sel:BYTE_0 src1_sel:DWORD
	v_and_b32_e32 v12, 0x100, v127
	v_addc_co_u32_e64 v5, s[4:5], v5, v23, s[4:5]
	v_cndmask_b32_e64 v9, 0, v9, s[18:19]
	v_cmp_ne_u32_e64 s[64:65], 0, v12
	v_and_b32_sdwa v12, v127, s44 dst_sel:DWORD dst_unused:UNUSED_PAD src0_sel:WORD_1 src1_sel:DWORD
	v_cndmask_b32_e64 v5, 0, v5, s[18:19]
	v_add_co_u32_e64 v9, s[4:5], v9, v42
	v_cmp_eq_u16_e64 s[20:21], 0, v12
	v_addc_co_u32_e64 v5, s[4:5], v5, v43, s[4:5]
	v_cndmask_b32_e64 v9, 0, v9, s[20:21]
	v_cndmask_b32_e64 v5, 0, v5, s[20:21]
	v_add_co_u32_e64 v9, s[4:5], v9, v30
	v_cmp_eq_u16_sdwa s[22:23], v127, v4 src0_sel:BYTE_3 src1_sel:DWORD
	v_addc_co_u32_e64 v5, s[4:5], v5, v31, s[4:5]
	v_cndmask_b32_e64 v9, 0, v9, s[22:23]
	v_cndmask_b32_e64 v5, 0, v5, s[22:23]
	v_add_co_u32_e64 v9, s[24:25], v9, v50
	v_cmp_eq_u16_sdwa s[26:27], v124, v4 src0_sel:BYTE_0 src1_sel:DWORD
	v_addc_co_u32_e64 v5, s[24:25], v5, v51, s[24:25]
	v_cndmask_b32_e64 v9, 0, v9, s[26:27]
	v_cndmask_b32_e64 v5, 0, v5, s[26:27]
	v_add_co_u32_e64 v9, s[24:25], v9, v38
	v_addc_co_u32_e64 v5, s[24:25], v5, v39, s[24:25]
	v_cmp_eq_u16_sdwa s[24:25], v126, v4 src0_sel:BYTE_0 src1_sel:DWORD
	v_cndmask_b32_e64 v9, 0, v9, s[24:25]
	v_cndmask_b32_e64 v5, 0, v5, s[24:25]
	v_add_co_u32_e64 v9, s[28:29], v9, v58
	v_and_b32_e32 v12, 0x10000, v127
	v_addc_co_u32_e64 v5, s[28:29], v5, v59, s[28:29]
	s_mov_b64 s[8:9], s[68:69]
	v_cmp_ne_u32_e64 s[4:5], 0, v12
	v_and_b32_e32 v12, 0x1000000, v127
	v_cmp_eq_u16_sdwa s[28:29], v37, v4 src0_sel:BYTE_0 src1_sel:DWORD
	s_mov_b64 s[10:11], s[70:71]
	s_mov_b64 s[12:13], s[72:73]
	s_mov_b32 s14, s74
	v_cmp_ne_u32_e64 s[68:69], 0, v12
	v_and_b32_e32 v12, 1, v126
	v_cndmask_b32_e64 v9, 0, v9, s[28:29]
	v_cmp_eq_u32_e64 s[70:71], 1, v12
	v_cndmask_b32_e64 v5, 0, v5, s[28:29]
	v_add_co_u32_e64 v9, s[30:31], v9, v46
	v_and_b32_e32 v12, 0x100, v126
	v_addc_co_u32_e64 v5, s[30:31], v5, v47, s[30:31]
	v_cmp_ne_u32_e64 s[72:73], 0, v12
	v_and_b32_sdwa v12, v126, s44 dst_sel:DWORD dst_unused:UNUSED_PAD src0_sel:WORD_1 src1_sel:DWORD
	v_cmp_eq_u16_e64 s[30:31], 0, v12
	v_cndmask_b32_e64 v9, 0, v9, s[30:31]
	v_cndmask_b32_e64 v5, 0, v5, s[30:31]
	v_add_co_u32_e64 v9, s[34:35], v9, v66
	v_addc_co_u32_e64 v5, s[34:35], v5, v67, s[34:35]
	v_cmp_eq_u16_sdwa s[34:35], v126, v4 src0_sel:BYTE_3 src1_sel:DWORD
	v_cndmask_b32_e64 v9, 0, v9, s[34:35]
	v_cndmask_b32_e64 v5, 0, v5, s[34:35]
	v_add_co_u32_e64 v9, s[36:37], v9, v54
	v_cmp_eq_u16_sdwa s[38:39], v122, v4 src0_sel:BYTE_0 src1_sel:DWORD
	v_addc_co_u32_e64 v5, s[36:37], v5, v55, s[36:37]
	v_cndmask_b32_e64 v9, 0, v9, s[38:39]
	v_cndmask_b32_e64 v5, 0, v5, s[38:39]
	v_add_co_u32_e64 v9, s[36:37], v9, v74
	v_addc_co_u32_e64 v5, s[36:37], v5, v75, s[36:37]
	v_cmp_eq_u16_sdwa s[36:37], v125, v4 src0_sel:BYTE_0 src1_sel:DWORD
	v_cndmask_b32_e64 v9, 0, v9, s[36:37]
	v_cndmask_b32_e64 v5, 0, v5, s[36:37]
	v_add_co_u32_e64 v9, s[40:41], v9, v62
	v_and_b32_e32 v12, 0x10000, v126
	v_addc_co_u32_e64 v5, s[40:41], v5, v63, s[40:41]
	v_cmp_ne_u32_e64 s[74:75], 0, v12
	v_and_b32_e32 v12, 0x1000000, v126
	v_cmp_eq_u16_sdwa s[40:41], v36, v4 src0_sel:BYTE_0 src1_sel:DWORD
	v_cmp_ne_u32_e64 s[76:77], 0, v12
	v_and_b32_e32 v12, 1, v125
	v_cndmask_b32_e64 v9, 0, v9, s[40:41]
	v_cmp_eq_u32_e64 s[78:79], 1, v12
	v_cndmask_b32_e64 v5, 0, v5, s[40:41]
	v_add_co_u32_e64 v9, s[42:43], v9, v78
	v_and_b32_e32 v12, 0x100, v125
	v_addc_co_u32_e64 v5, s[42:43], v5, v79, s[42:43]
	v_cmp_ne_u32_e64 s[80:81], 0, v12
	v_and_b32_sdwa v12, v125, s44 dst_sel:DWORD dst_unused:UNUSED_PAD src0_sel:WORD_1 src1_sel:DWORD
	v_cmp_eq_u16_e64 s[42:43], 0, v12
	v_and_b32_e32 v12, 0x10000, v125
	v_cmp_ne_u32_e64 s[82:83], 0, v12
	v_and_b32_e32 v12, 0x1000000, v125
	v_cmp_ne_u32_e64 s[84:85], 0, v12
	s_or_b64 s[54:55], s[54:55], s[84:85]
	s_or_b64 s[54:55], s[54:55], s[82:83]
	;; [unrolled: 1-line block ×9, first 2 shown]
	v_cndmask_b32_e64 v9, 0, v9, s[42:43]
	s_or_b64 s[48:49], s[50:51], s[48:49]
	v_cndmask_b32_e64 v5, 0, v5, s[42:43]
	v_add_co_u32_e64 v9, s[44:45], v9, v70
	s_or_b64 s[48:49], s[48:49], s[68:69]
	v_addc_co_u32_e64 v5, s[44:45], v5, v71, s[44:45]
	s_or_b64 s[4:5], s[48:49], s[4:5]
	v_cmp_eq_u16_sdwa s[44:45], v125, v4 src0_sel:BYTE_3 src1_sel:DWORD
	s_or_b64 s[4:5], s[4:5], s[64:65]
	v_cndmask_b32_e64 v9, 0, v9, s[44:45]
	s_or_b64 s[4:5], s[4:5], s[62:63]
	v_cndmask_b32_e64 v5, 0, v5, s[44:45]
	v_add_co_u32_e64 v9, s[46:47], v9, v10
	s_or_b64 s[4:5], s[4:5], vcc
	v_addc_co_u32_e64 v5, s[46:47], v5, v11, s[46:47]
	s_or_b64 s[4:5], s[4:5], s[60:61]
	v_cmp_eq_u16_sdwa s[46:47], v28, v4 src0_sel:BYTE_0 src1_sel:DWORD
	s_or_b64 s[4:5], s[4:5], s[58:59]
	v_cndmask_b32_e64 v4, 0, v9, s[46:47]
	s_or_b64 s[4:5], s[4:5], s[56:57]
	v_and_b32_e32 v8, 0xff, v1
	v_cndmask_b32_e64 v5, 0, v5, s[46:47]
	v_add_co_u32_e64 v4, s[86:87], v4, v20
	s_or_b64 s[4:5], s[4:5], s[52:53]
	v_mbcnt_hi_u32_b32 v9, -1, v29
	v_addc_co_u32_e64 v5, s[86:87], v5, v21, s[86:87]
	v_cndmask_b32_e64 v8, v8, 1, s[4:5]
	v_and_b32_e32 v12, 15, v9
	v_mov_b32_dpp v16, v4 row_shr:1 row_mask:0xf bank_mask:0xf
	v_mov_b32_dpp v17, v5 row_shr:1 row_mask:0xf bank_mask:0xf
	;; [unrolled: 1-line block ×3, first 2 shown]
	v_cmp_ne_u32_e32 vcc, 0, v12
	s_and_saveexec_b64 s[4:5], vcc
; %bb.129:
	v_cmp_eq_u32_e32 vcc, 0, v8
	v_cndmask_b32_e32 v16, 0, v16, vcc
	v_cndmask_b32_e32 v17, 0, v17, vcc
	v_add_co_u32_e32 v4, vcc, v16, v4
	v_addc_co_u32_e32 v5, vcc, v17, v5, vcc
	v_and_or_b32 v8, v13, 1, v8
; %bb.130:
	s_or_b64 exec, exec, s[4:5]
	v_mov_b32_dpp v16, v4 row_shr:2 row_mask:0xf bank_mask:0xf
	v_mov_b32_dpp v17, v5 row_shr:2 row_mask:0xf bank_mask:0xf
	;; [unrolled: 1-line block ×3, first 2 shown]
	v_cmp_lt_u32_e32 vcc, 1, v12
	s_and_saveexec_b64 s[4:5], vcc
; %bb.131:
	v_cmp_eq_u32_e32 vcc, 0, v8
	v_cndmask_b32_e32 v16, 0, v16, vcc
	v_cndmask_b32_e32 v17, 0, v17, vcc
	v_add_co_u32_e32 v4, vcc, v16, v4
	v_or_b32_e32 v8, v13, v8
	v_addc_co_u32_e32 v5, vcc, v17, v5, vcc
	v_and_b32_e32 v8, 1, v8
; %bb.132:
	s_or_b64 exec, exec, s[4:5]
	v_mov_b32_dpp v16, v4 row_shr:4 row_mask:0xf bank_mask:0xf
	v_mov_b32_dpp v17, v5 row_shr:4 row_mask:0xf bank_mask:0xf
	;; [unrolled: 1-line block ×3, first 2 shown]
	v_cmp_lt_u32_e32 vcc, 3, v12
	s_and_saveexec_b64 s[4:5], vcc
	s_mov_b32 s74, s14
	s_mov_b64 s[58:59], s[94:95]
	s_mov_b64 s[72:73], s[12:13]
	;; [unrolled: 1-line block ×5, first 2 shown]
; %bb.133:
	v_cmp_eq_u32_e32 vcc, 0, v8
	v_cndmask_b32_e32 v16, 0, v16, vcc
	v_cndmask_b32_e32 v17, 0, v17, vcc
	v_add_co_u32_e32 v4, vcc, v16, v4
	v_or_b32_e32 v8, v13, v8
	v_addc_co_u32_e32 v5, vcc, v17, v5, vcc
	v_and_b32_e32 v8, 1, v8
; %bb.134:
	s_or_b64 exec, exec, s[4:5]
	v_mov_b32_dpp v16, v4 row_shr:8 row_mask:0xf bank_mask:0xf
	v_mov_b32_dpp v17, v5 row_shr:8 row_mask:0xf bank_mask:0xf
	v_mov_b32_dpp v13, v8 row_shr:8 row_mask:0xf bank_mask:0xf
	v_cmp_lt_u32_e32 vcc, 7, v12
	s_and_saveexec_b64 s[4:5], vcc
; %bb.135:
	v_cmp_eq_u32_e32 vcc, 0, v8
	v_cndmask_b32_e32 v16, 0, v16, vcc
	v_cndmask_b32_e32 v12, 0, v17, vcc
	v_add_co_u32_e32 v4, vcc, v16, v4
	v_or_b32_e32 v8, v13, v8
	v_addc_co_u32_e32 v5, vcc, v12, v5, vcc
	v_and_b32_e32 v8, 1, v8
; %bb.136:
	s_or_b64 exec, exec, s[4:5]
	v_and_b32_e32 v17, 16, v9
	v_mov_b32_dpp v13, v4 row_bcast:15 row_mask:0xf bank_mask:0xf
	v_mov_b32_dpp v16, v5 row_bcast:15 row_mask:0xf bank_mask:0xf
	;; [unrolled: 1-line block ×3, first 2 shown]
	v_cmp_ne_u32_e32 vcc, 0, v17
	s_and_saveexec_b64 s[4:5], vcc
; %bb.137:
	v_cmp_eq_u32_e32 vcc, 0, v8
	v_cndmask_b32_e32 v13, 0, v13, vcc
	v_cndmask_b32_e32 v16, 0, v16, vcc
	v_add_co_u32_e32 v4, vcc, v13, v4
	v_or_b32_e32 v8, v12, v8
	v_addc_co_u32_e32 v5, vcc, v16, v5, vcc
	v_and_b32_e32 v8, 1, v8
; %bb.138:
	s_or_b64 exec, exec, s[4:5]
	v_mov_b32_dpp v16, v4 row_bcast:31 row_mask:0xf bank_mask:0xf
	v_mov_b32_dpp v17, v5 row_bcast:31 row_mask:0xf bank_mask:0xf
	;; [unrolled: 1-line block ×3, first 2 shown]
	v_cmp_lt_u32_e32 vcc, 31, v9
	v_mov_b32_e32 v12, v8
	s_and_saveexec_b64 s[4:5], vcc
; %bb.139:
	v_cmp_eq_u32_e32 vcc, 0, v8
	v_cndmask_b32_e32 v16, 0, v16, vcc
	v_cndmask_b32_e32 v12, 0, v17, vcc
	v_add_co_u32_e32 v4, vcc, v16, v4
	v_or_b32_e32 v8, v13, v8
	v_addc_co_u32_e32 v5, vcc, v12, v5, vcc
	v_and_b32_e32 v12, 1, v8
	v_and_b32_e32 v8, 1, v8
; %bb.140:
	s_or_b64 exec, exec, s[4:5]
	v_cmp_eq_u32_e32 vcc, 63, v0
	s_and_saveexec_b64 s[4:5], vcc
	s_cbranch_execz .LBB1190_142
; %bb.141:
	v_mov_b32_e32 v13, 0
	ds_write_b64 v13, v[4:5]
	ds_write_b8 v13, v12 offset:8
.LBB1190_142:
	s_or_b64 exec, exec, s[4:5]
	v_add_u32_e32 v12, -1, v9
	v_and_b32_e32 v13, 64, v9
	v_cmp_lt_i32_e32 vcc, v12, v13
	v_cndmask_b32_e32 v12, v12, v9, vcc
	v_lshlrev_b32_e32 v12, 2, v12
	ds_bpermute_b32 v45, v12, v4
	ds_bpermute_b32 v48, v12, v5
	;; [unrolled: 1-line block ×3, first 2 shown]
	v_cmp_gt_u32_e32 vcc, 64, v0
	s_waitcnt lgkmcnt(0)
	; wave barrier
	s_waitcnt lgkmcnt(0)
	s_and_saveexec_b64 s[50:51], vcc
	s_cbranch_execz .LBB1190_189
; %bb.143:
	v_mov_b32_e32 v13, 0
	ds_read_b64 v[4:5], v13
	ds_read_u8 v49, v13 offset:8
	s_mov_b32 s53, 0
	v_cmp_eq_u32_e64 s[48:49], 0, v9
	s_and_saveexec_b64 s[4:5], s[48:49]
	s_cbranch_execz .LBB1190_145
; %bb.144:
	s_add_i32 s52, s33, 64
	s_lshl_b64 s[54:55], s[52:53], 4
	s_add_u32 s54, s68, s54
	s_addc_u32 s55, s69, s55
	v_mov_b32_e32 v8, s52
	v_mov_b32_e32 v12, 1
	s_waitcnt lgkmcnt(1)
	global_store_dwordx2 v13, v[4:5], s[54:55]
	s_waitcnt lgkmcnt(0)
	global_store_byte v13, v49, s[54:55] offset:8
	s_waitcnt vmcnt(0)
	buffer_wbinvl1_vol
	global_store_byte v8, v12, s[72:73]
.LBB1190_145:
	s_or_b64 exec, exec, s[4:5]
	v_xad_u32 v8, v9, -1, s33
	v_add_u32_e32 v12, 64, v8
	global_load_ubyte v52, v12, s[72:73] glc
	s_waitcnt vmcnt(0)
	v_cmp_eq_u16_e32 vcc, 0, v52
	s_and_saveexec_b64 s[4:5], vcc
	s_cbranch_execz .LBB1190_151
; %bb.146:
	v_mov_b32_e32 v17, s73
	v_add_co_u32_e32 v16, vcc, s72, v12
	v_addc_co_u32_e32 v17, vcc, 0, v17, vcc
	s_mov_b32 s54, 1
	s_mov_b64 s[52:53], 0
.LBB1190_147:                           ; =>This Loop Header: Depth=1
                                        ;     Child Loop BB1190_148 Depth 2
	s_max_u32 s55, s54, 1
.LBB1190_148:                           ;   Parent Loop BB1190_147 Depth=1
                                        ; =>  This Inner Loop Header: Depth=2
	s_add_i32 s55, s55, -1
	s_cmp_eq_u32 s55, 0
	s_sleep 1
	s_cbranch_scc0 .LBB1190_148
; %bb.149:                              ;   in Loop: Header=BB1190_147 Depth=1
	global_load_ubyte v52, v[16:17], off glc
	s_cmp_lt_u32 s54, 32
	s_cselect_b64 s[56:57], -1, 0
	s_cmp_lg_u64 s[56:57], 0
	s_addc_u32 s54, s54, 0
	s_waitcnt vmcnt(0)
	v_cmp_ne_u16_e32 vcc, 0, v52
	s_or_b64 s[52:53], vcc, s[52:53]
	s_andn2_b64 exec, exec, s[52:53]
	s_cbranch_execnz .LBB1190_147
; %bb.150:
	s_or_b64 exec, exec, s[52:53]
.LBB1190_151:
	s_or_b64 exec, exec, s[4:5]
	v_mov_b32_e32 v16, s71
	v_mov_b32_e32 v17, s69
	v_cmp_eq_u16_e32 vcc, 1, v52
	v_cndmask_b32_e32 v16, v16, v17, vcc
	v_mov_b32_e32 v17, s70
	v_mov_b32_e32 v24, s68
	v_cndmask_b32_e32 v17, v17, v24, vcc
	v_lshlrev_b64 v[12:13], 4, v[12:13]
	v_add_co_u32_e32 v12, vcc, v17, v12
	v_addc_co_u32_e32 v13, vcc, v16, v13, vcc
	s_waitcnt lgkmcnt(0)
	buffer_wbinvl1_vol
	global_load_dwordx2 v[24:25], v[12:13], off
	global_load_ubyte v81, v[12:13], off offset:8
	v_cmp_eq_u16_e32 vcc, 2, v52
	v_lshlrev_b64 v[12:13], v9, -1
	v_and_b32_e32 v53, 63, v9
	v_and_b32_e32 v16, vcc_hi, v13
	v_and_b32_e32 v64, vcc_lo, v12
	v_cmp_ne_u32_e32 vcc, 63, v53
	v_addc_co_u32_e32 v17, vcc, 0, v9, vcc
	v_lshlrev_b32_e32 v56, 2, v17
	v_or_b32_e32 v16, 0x80000000, v16
	v_ffbl_b32_e32 v16, v16
	v_add_u32_e32 v16, 32, v16
	v_ffbl_b32_e32 v64, v64
	v_min_u32_e32 v16, v64, v16
	v_cmp_lt_u32_e32 vcc, v53, v16
	s_waitcnt vmcnt(1)
	ds_bpermute_b32 v60, v56, v24
	s_waitcnt vmcnt(0)
	v_and_b32_e32 v17, 1, v81
	ds_bpermute_b32 v61, v56, v25
	ds_bpermute_b32 v57, v56, v17
	s_and_saveexec_b64 s[4:5], vcc
	s_cbranch_execz .LBB1190_153
; %bb.152:
	v_mov_b32_e32 v17, 0
	v_cmp_eq_u16_sdwa vcc, v81, v17 src0_sel:BYTE_0 src1_sel:DWORD
	s_waitcnt lgkmcnt(2)
	v_cndmask_b32_e32 v60, 0, v60, vcc
	s_waitcnt lgkmcnt(1)
	v_cndmask_b32_e32 v17, 0, v61, vcc
	v_add_co_u32_e32 v24, vcc, v60, v24
	v_addc_co_u32_e32 v25, vcc, v17, v25, vcc
	s_waitcnt lgkmcnt(0)
	v_and_b32_e32 v17, 1, v57
	v_or_b32_e32 v81, v17, v81
	v_and_b32_e32 v17, 0xff, v81
.LBB1190_153:
	s_or_b64 exec, exec, s[4:5]
	v_cmp_gt_u32_e32 vcc, 62, v53
	s_waitcnt lgkmcnt(0)
	v_cndmask_b32_e64 v57, 0, 1, vcc
	v_lshlrev_b32_e32 v57, 1, v57
	v_add_lshl_u32 v57, v57, v9, 2
	ds_bpermute_b32 v64, v57, v24
	ds_bpermute_b32 v65, v57, v25
	ds_bpermute_b32 v61, v57, v17
	v_add_u32_e32 v60, 2, v53
	v_cmp_le_u32_e32 vcc, v60, v16
	s_and_saveexec_b64 s[52:53], vcc
	s_cbranch_execz .LBB1190_155
; %bb.154:
	v_mov_b32_e32 v17, 0
	v_cmp_eq_u16_sdwa vcc, v81, v17 src0_sel:BYTE_0 src1_sel:DWORD
	s_waitcnt lgkmcnt(2)
	v_cndmask_b32_e32 v64, 0, v64, vcc
	s_waitcnt lgkmcnt(1)
	v_cndmask_b32_e32 v17, 0, v65, vcc
	v_add_co_u32_e32 v24, vcc, v64, v24
	v_addc_co_u32_e32 v25, vcc, v17, v25, vcc
	v_and_b32_e32 v17, 1, v81
	v_cmp_eq_u32_e32 vcc, 1, v17
	s_waitcnt lgkmcnt(0)
	v_and_b32_e32 v17, 1, v61
	v_cmp_eq_u32_e64 s[4:5], 1, v17
	s_or_b64 s[4:5], vcc, s[4:5]
	v_cndmask_b32_e64 v81, 0, 1, s[4:5]
	v_cndmask_b32_e64 v17, 0, 1, s[4:5]
.LBB1190_155:
	s_or_b64 exec, exec, s[52:53]
	v_cmp_gt_u32_e32 vcc, 60, v53
	s_waitcnt lgkmcnt(0)
	v_cndmask_b32_e64 v61, 0, 1, vcc
	v_lshlrev_b32_e32 v61, 2, v61
	v_add_lshl_u32 v61, v61, v9, 2
	ds_bpermute_b32 v68, v61, v24
	ds_bpermute_b32 v69, v61, v25
	ds_bpermute_b32 v65, v61, v17
	v_add_u32_e32 v64, 4, v53
	v_cmp_le_u32_e32 vcc, v64, v16
	s_and_saveexec_b64 s[52:53], vcc
	s_cbranch_execz .LBB1190_157
; %bb.156:
	v_mov_b32_e32 v17, 0
	v_cmp_eq_u16_sdwa vcc, v81, v17 src0_sel:BYTE_0 src1_sel:DWORD
	s_waitcnt lgkmcnt(2)
	v_cndmask_b32_e32 v68, 0, v68, vcc
	s_waitcnt lgkmcnt(1)
	v_cndmask_b32_e32 v17, 0, v69, vcc
	v_add_co_u32_e32 v24, vcc, v68, v24
	v_addc_co_u32_e32 v25, vcc, v17, v25, vcc
	v_and_b32_e32 v17, 1, v81
	v_cmp_eq_u32_e32 vcc, 1, v17
	s_waitcnt lgkmcnt(0)
	v_and_b32_e32 v17, 1, v65
	v_cmp_eq_u32_e64 s[4:5], 1, v17
	s_or_b64 s[4:5], vcc, s[4:5]
	v_cndmask_b32_e64 v81, 0, 1, s[4:5]
	v_cndmask_b32_e64 v17, 0, 1, s[4:5]
.LBB1190_157:
	;; [unrolled: 31-line block ×4, first 2 shown]
	s_or_b64 exec, exec, s[52:53]
	v_cmp_gt_u32_e32 vcc, 32, v53
	s_waitcnt lgkmcnt(0)
	v_cndmask_b32_e64 v73, 0, 1, vcc
	v_lshlrev_b32_e32 v73, 5, v73
	v_add_lshl_u32 v76, v73, v9, 2
	ds_bpermute_b32 v73, v76, v24
	ds_bpermute_b32 v80, v76, v25
	;; [unrolled: 1-line block ×3, first 2 shown]
	v_add_u32_e32 v77, 32, v53
	v_cmp_le_u32_e32 vcc, v77, v16
	s_and_saveexec_b64 s[52:53], vcc
	s_cbranch_execz .LBB1190_163
; %bb.162:
	v_mov_b32_e32 v16, 0
	v_cmp_eq_u16_sdwa vcc, v81, v16 src0_sel:BYTE_0 src1_sel:DWORD
	s_waitcnt lgkmcnt(2)
	v_cndmask_b32_e32 v17, 0, v73, vcc
	s_waitcnt lgkmcnt(1)
	v_cndmask_b32_e32 v16, 0, v80, vcc
	v_add_co_u32_e32 v24, vcc, v17, v24
	v_addc_co_u32_e32 v25, vcc, v16, v25, vcc
	v_and_b32_e32 v16, 1, v81
	s_waitcnt lgkmcnt(0)
	v_and_b32_e32 v9, 1, v9
	v_cmp_eq_u32_e32 vcc, 1, v16
	v_cmp_eq_u32_e64 s[4:5], 1, v9
	s_or_b64 s[4:5], vcc, s[4:5]
	v_cndmask_b32_e64 v81, 0, 1, s[4:5]
.LBB1190_163:
	s_or_b64 exec, exec, s[52:53]
	s_waitcnt lgkmcnt(0)
	v_mov_b32_e32 v9, 0
	v_mov_b32_e32 v80, 2
	s_branch .LBB1190_165
.LBB1190_164:                           ;   in Loop: Header=BB1190_165 Depth=1
	s_or_b64 exec, exec, s[54:55]
	v_cmp_eq_u16_sdwa vcc, v73, v9 src0_sel:BYTE_0 src1_sel:DWORD
	v_cndmask_b32_e32 v24, 0, v24, vcc
	v_cndmask_b32_e32 v25, 0, v25, vcc
	v_add_co_u32_e32 v24, vcc, v24, v16
	v_addc_co_u32_e32 v25, vcc, v25, v17, vcc
	v_and_b32_e32 v81, 1, v73
	v_cmp_eq_u32_e32 vcc, 1, v81
	s_or_b64 s[4:5], vcc, s[52:53]
	v_subrev_u32_e32 v8, 64, v8
	v_cndmask_b32_e64 v81, 0, 1, s[4:5]
.LBB1190_165:                           ; =>This Loop Header: Depth=1
                                        ;     Child Loop BB1190_168 Depth 2
                                        ;       Child Loop BB1190_169 Depth 3
	v_cmp_ne_u16_sdwa s[4:5], v52, v80 src0_sel:BYTE_0 src1_sel:DWORD
	v_cndmask_b32_e64 v16, 0, 1, s[4:5]
	;;#ASMSTART
	;;#ASMEND
	v_cmp_ne_u32_e32 vcc, 0, v16
	v_mov_b32_e32 v73, v81
	s_cmp_lg_u64 vcc, exec
	v_pk_mov_b32 v[16:17], v[24:25], v[24:25] op_sel:[0,1]
	s_cbranch_scc1 .LBB1190_184
; %bb.166:                              ;   in Loop: Header=BB1190_165 Depth=1
	global_load_ubyte v52, v8, s[72:73] glc
	s_waitcnt vmcnt(0)
	v_cmp_eq_u16_e32 vcc, 0, v52
	s_and_saveexec_b64 s[4:5], vcc
	s_cbranch_execz .LBB1190_172
; %bb.167:                              ;   in Loop: Header=BB1190_165 Depth=1
	v_mov_b32_e32 v25, s73
	v_add_co_u32_e32 v24, vcc, s72, v8
	v_addc_co_u32_e32 v25, vcc, 0, v25, vcc
	s_mov_b32 s54, 1
	s_mov_b64 s[52:53], 0
.LBB1190_168:                           ;   Parent Loop BB1190_165 Depth=1
                                        ; =>  This Loop Header: Depth=2
                                        ;       Child Loop BB1190_169 Depth 3
	s_max_u32 s55, s54, 1
.LBB1190_169:                           ;   Parent Loop BB1190_165 Depth=1
                                        ;     Parent Loop BB1190_168 Depth=2
                                        ; =>    This Inner Loop Header: Depth=3
	s_add_i32 s55, s55, -1
	s_cmp_eq_u32 s55, 0
	s_sleep 1
	s_cbranch_scc0 .LBB1190_169
; %bb.170:                              ;   in Loop: Header=BB1190_168 Depth=2
	global_load_ubyte v52, v[24:25], off glc
	s_cmp_lt_u32 s54, 32
	s_cselect_b64 s[56:57], -1, 0
	s_cmp_lg_u64 s[56:57], 0
	s_addc_u32 s54, s54, 0
	s_waitcnt vmcnt(0)
	v_cmp_ne_u16_e32 vcc, 0, v52
	s_or_b64 s[52:53], vcc, s[52:53]
	s_andn2_b64 exec, exec, s[52:53]
	s_cbranch_execnz .LBB1190_168
; %bb.171:                              ;   in Loop: Header=BB1190_165 Depth=1
	s_or_b64 exec, exec, s[52:53]
.LBB1190_172:                           ;   in Loop: Header=BB1190_165 Depth=1
	s_or_b64 exec, exec, s[4:5]
	v_mov_b32_e32 v24, s71
	v_mov_b32_e32 v25, s69
	v_cmp_eq_u16_e32 vcc, 1, v52
	v_cndmask_b32_e32 v81, v24, v25, vcc
	v_mov_b32_e32 v24, s70
	v_mov_b32_e32 v25, s68
	v_cndmask_b32_e32 v82, v24, v25, vcc
	v_lshlrev_b64 v[24:25], 4, v[8:9]
	v_add_co_u32_e32 v82, vcc, v82, v24
	s_waitcnt lgkmcnt(0)
	v_addc_co_u32_e32 v83, vcc, v81, v25, vcc
	buffer_wbinvl1_vol
	global_load_dwordx2 v[24:25], v[82:83], off
	global_load_ubyte v81, v[82:83], off offset:8
	v_cmp_eq_u16_e32 vcc, 2, v52
	v_and_b32_e32 v82, vcc_hi, v13
	v_or_b32_e32 v82, 0x80000000, v82
	v_and_b32_e32 v87, vcc_lo, v12
	v_ffbl_b32_e32 v82, v82
	v_add_u32_e32 v82, 32, v82
	v_ffbl_b32_e32 v87, v87
	v_min_u32_e32 v82, v87, v82
	v_cmp_lt_u32_e32 vcc, v53, v82
	s_waitcnt vmcnt(1)
	ds_bpermute_b32 v85, v56, v24
	s_waitcnt vmcnt(0)
	v_and_b32_e32 v83, 1, v81
	ds_bpermute_b32 v86, v56, v25
	ds_bpermute_b32 v84, v56, v83
	s_and_saveexec_b64 s[4:5], vcc
	s_cbranch_execz .LBB1190_174
; %bb.173:                              ;   in Loop: Header=BB1190_165 Depth=1
	v_cmp_eq_u16_sdwa vcc, v81, v9 src0_sel:BYTE_0 src1_sel:DWORD
	s_waitcnt lgkmcnt(2)
	v_cndmask_b32_e32 v85, 0, v85, vcc
	s_waitcnt lgkmcnt(1)
	v_cndmask_b32_e32 v83, 0, v86, vcc
	v_add_co_u32_e32 v24, vcc, v85, v24
	v_addc_co_u32_e32 v25, vcc, v83, v25, vcc
	s_waitcnt lgkmcnt(0)
	v_and_b32_e32 v83, 1, v84
	v_or_b32_e32 v81, v83, v81
	v_and_b32_e32 v83, 0xff, v81
.LBB1190_174:                           ;   in Loop: Header=BB1190_165 Depth=1
	s_or_b64 exec, exec, s[4:5]
	s_waitcnt lgkmcnt(2)
	ds_bpermute_b32 v85, v57, v24
	s_waitcnt lgkmcnt(2)
	ds_bpermute_b32 v86, v57, v25
	;; [unrolled: 2-line block ×3, first 2 shown]
	v_and_b32_e32 v87, 1, v81
	v_cmp_le_u32_e32 vcc, v60, v82
	v_cmp_eq_u32_e64 s[52:53], 1, v87
	s_and_saveexec_b64 s[4:5], vcc
	s_cbranch_execz .LBB1190_176
; %bb.175:                              ;   in Loop: Header=BB1190_165 Depth=1
	v_cmp_eq_u16_sdwa vcc, v81, v9 src0_sel:BYTE_0 src1_sel:DWORD
	s_waitcnt lgkmcnt(2)
	v_cndmask_b32_e32 v83, 0, v85, vcc
	s_waitcnt lgkmcnt(1)
	v_cndmask_b32_e32 v81, 0, v86, vcc
	v_add_co_u32_e32 v24, vcc, v83, v24
	v_addc_co_u32_e32 v25, vcc, v81, v25, vcc
	s_waitcnt lgkmcnt(0)
	v_and_b32_e32 v81, 1, v84
	v_cmp_eq_u32_e32 vcc, 1, v81
	s_or_b64 s[54:55], s[52:53], vcc
	v_cndmask_b32_e64 v81, 0, 1, s[54:55]
	v_cndmask_b32_e64 v83, 0, 1, s[54:55]
	s_andn2_b64 s[52:53], s[52:53], exec
	s_and_b64 s[54:55], s[54:55], exec
	s_or_b64 s[52:53], s[52:53], s[54:55]
.LBB1190_176:                           ;   in Loop: Header=BB1190_165 Depth=1
	s_or_b64 exec, exec, s[4:5]
	s_waitcnt lgkmcnt(2)
	ds_bpermute_b32 v85, v61, v24
	s_waitcnt lgkmcnt(2)
	ds_bpermute_b32 v86, v61, v25
	s_waitcnt lgkmcnt(2)
	ds_bpermute_b32 v84, v61, v83
	v_cmp_le_u32_e32 vcc, v64, v82
	s_and_saveexec_b64 s[54:55], vcc
	s_cbranch_execz .LBB1190_178
; %bb.177:                              ;   in Loop: Header=BB1190_165 Depth=1
	v_cmp_eq_u16_sdwa vcc, v81, v9 src0_sel:BYTE_0 src1_sel:DWORD
	s_waitcnt lgkmcnt(2)
	v_cndmask_b32_e32 v85, 0, v85, vcc
	s_waitcnt lgkmcnt(1)
	v_cndmask_b32_e32 v83, 0, v86, vcc
	v_add_co_u32_e32 v24, vcc, v85, v24
	v_addc_co_u32_e32 v25, vcc, v83, v25, vcc
	v_and_b32_e32 v81, 1, v81
	v_cmp_eq_u32_e32 vcc, 1, v81
	s_waitcnt lgkmcnt(0)
	v_and_b32_e32 v81, 1, v84
	v_cmp_eq_u32_e64 s[4:5], 1, v81
	s_or_b64 s[4:5], vcc, s[4:5]
	v_cndmask_b32_e64 v81, 0, 1, s[4:5]
	v_cndmask_b32_e64 v83, 0, 1, s[4:5]
	s_andn2_b64 s[52:53], s[52:53], exec
	s_and_b64 s[4:5], s[4:5], exec
	s_or_b64 s[52:53], s[52:53], s[4:5]
.LBB1190_178:                           ;   in Loop: Header=BB1190_165 Depth=1
	s_or_b64 exec, exec, s[54:55]
	s_waitcnt lgkmcnt(2)
	ds_bpermute_b32 v85, v65, v24
	s_waitcnt lgkmcnt(2)
	ds_bpermute_b32 v86, v65, v25
	s_waitcnt lgkmcnt(2)
	ds_bpermute_b32 v84, v65, v83
	v_cmp_le_u32_e32 vcc, v68, v82
	s_and_saveexec_b64 s[54:55], vcc
	s_cbranch_execz .LBB1190_180
; %bb.179:                              ;   in Loop: Header=BB1190_165 Depth=1
	v_cmp_eq_u16_sdwa vcc, v81, v9 src0_sel:BYTE_0 src1_sel:DWORD
	s_waitcnt lgkmcnt(2)
	v_cndmask_b32_e32 v85, 0, v85, vcc
	s_waitcnt lgkmcnt(1)
	v_cndmask_b32_e32 v83, 0, v86, vcc
	v_add_co_u32_e32 v24, vcc, v85, v24
	v_addc_co_u32_e32 v25, vcc, v83, v25, vcc
	v_and_b32_e32 v81, 1, v81
	v_cmp_eq_u32_e32 vcc, 1, v81
	s_waitcnt lgkmcnt(0)
	v_and_b32_e32 v81, 1, v84
	v_cmp_eq_u32_e64 s[4:5], 1, v81
	s_or_b64 s[4:5], vcc, s[4:5]
	v_cndmask_b32_e64 v81, 0, 1, s[4:5]
	v_cndmask_b32_e64 v83, 0, 1, s[4:5]
	s_andn2_b64 s[52:53], s[52:53], exec
	s_and_b64 s[4:5], s[4:5], exec
	s_or_b64 s[52:53], s[52:53], s[4:5]
.LBB1190_180:                           ;   in Loop: Header=BB1190_165 Depth=1
	;; [unrolled: 30-line block ×3, first 2 shown]
	s_or_b64 exec, exec, s[54:55]
	s_waitcnt lgkmcnt(0)
	ds_bpermute_b32 v84, v76, v24
	ds_bpermute_b32 v85, v76, v25
	;; [unrolled: 1-line block ×3, first 2 shown]
	v_cmp_le_u32_e32 vcc, v77, v82
	s_and_saveexec_b64 s[54:55], vcc
	s_cbranch_execz .LBB1190_164
; %bb.183:                              ;   in Loop: Header=BB1190_165 Depth=1
	v_cmp_eq_u16_sdwa vcc, v81, v9 src0_sel:BYTE_0 src1_sel:DWORD
	s_waitcnt lgkmcnt(2)
	v_cndmask_b32_e32 v84, 0, v84, vcc
	s_waitcnt lgkmcnt(1)
	v_cndmask_b32_e32 v82, 0, v85, vcc
	v_add_co_u32_e32 v24, vcc, v84, v24
	v_addc_co_u32_e32 v25, vcc, v82, v25, vcc
	v_and_b32_e32 v81, 1, v81
	v_cmp_eq_u32_e32 vcc, 1, v81
	s_waitcnt lgkmcnt(0)
	v_and_b32_e32 v81, 1, v83
	v_cmp_eq_u32_e64 s[4:5], 1, v81
	s_or_b64 s[4:5], vcc, s[4:5]
	s_andn2_b64 s[52:53], s[52:53], exec
	s_and_b64 s[4:5], s[4:5], exec
	s_or_b64 s[52:53], s[52:53], s[4:5]
	s_branch .LBB1190_164
.LBB1190_184:                           ;   in Loop: Header=BB1190_165 Depth=1
                                        ; implicit-def: $vgpr81
                                        ; implicit-def: $vgpr24_vgpr25
                                        ; implicit-def: $vgpr52
	s_cbranch_execz .LBB1190_165
; %bb.185:
	s_and_saveexec_b64 s[4:5], s[48:49]
	s_cbranch_execz .LBB1190_187
; %bb.186:
	v_mov_b32_e32 v8, 0
	s_mov_b32 s49, 0
	v_cmp_eq_u16_sdwa vcc, v49, v8 src0_sel:BYTE_0 src1_sel:DWORD
	s_add_i32 s48, s33, 64
	v_cndmask_b32_e32 v12, 0, v16, vcc
	s_lshl_b64 s[52:53], s[48:49], 4
	v_cndmask_b32_e32 v9, 0, v17, vcc
	v_add_co_u32_e32 v4, vcc, v12, v4
	s_add_u32 s52, s70, s52
	v_addc_co_u32_e32 v5, vcc, v9, v5, vcc
	v_or_b32_e32 v9, v49, v73
	s_addc_u32 s53, s71, s53
	v_and_b32_e32 v9, 1, v9
	global_store_dwordx2 v8, v[4:5], s[52:53]
	global_store_byte v8, v9, s[52:53] offset:8
	v_mov_b32_e32 v4, s48
	v_mov_b32_e32 v5, 2
	s_waitcnt vmcnt(0) lgkmcnt(0)
	buffer_wbinvl1_vol
	global_store_byte v4, v5, s[72:73]
.LBB1190_187:
	s_or_b64 exec, exec, s[4:5]
	s_and_b64 exec, exec, s[88:89]
	s_cbranch_execz .LBB1190_189
; %bb.188:
	v_mov_b32_e32 v4, 0
	ds_write_b64 v4, v[16:17]
	ds_write_b8 v4, v73 offset:8
.LBB1190_189:
	s_or_b64 exec, exec, s[50:51]
	v_mov_b32_e32 v8, 0
	v_cmp_eq_u16_sdwa vcc, v1, v8 src0_sel:BYTE_0 src1_sel:DWORD
	v_and_b32_e32 v13, 1, v1
	v_cndmask_b32_e32 v9, 0, v45, vcc
	v_cndmask_b32_e32 v12, 0, v48, vcc
	v_cmp_eq_u32_e32 vcc, 1, v13
	v_and_b32_e32 v13, 1, v44
	s_waitcnt lgkmcnt(0)
	; wave barrier
	s_waitcnt lgkmcnt(0)
	ds_read_b64 v[4:5], v8
	v_cmp_eq_u32_e64 s[4:5], 1, v13
	s_or_b64 s[4:5], vcc, s[4:5]
	v_cndmask_b32_e64 v9, v9, 0, s[88:89]
	v_cndmask_b32_e64 v13, 0, 1, s[4:5]
	;; [unrolled: 1-line block ×3, first 2 shown]
	v_add_co_u32_e32 v9, vcc, v9, v2
	v_cndmask_b32_e64 v13, v13, v1, s[88:89]
	v_addc_co_u32_e32 v12, vcc, v12, v3, vcc
	v_cmp_eq_u16_sdwa vcc, v13, v8 src0_sel:BYTE_0 src1_sel:DWORD
	s_waitcnt lgkmcnt(0)
	v_cndmask_b32_e32 v4, 0, v4, vcc
	v_cndmask_b32_e32 v5, 0, v5, vcc
	v_add_co_u32_e32 v114, vcc, v9, v4
	v_addc_co_u32_e32 v115, vcc, v12, v5, vcc
	v_cndmask_b32_e64 v5, 0, v114, s[6:7]
	v_cndmask_b32_e64 v4, 0, v115, s[6:7]
	v_add_co_u32_e32 v44, vcc, v5, v18
	v_addc_co_u32_e32 v45, vcc, v4, v19, vcc
	v_cndmask_b32_e64 v5, 0, v44, s[90:91]
	v_cndmask_b32_e64 v4, 0, v45, s[90:91]
	;; [unrolled: 4-line block ×20, first 2 shown]
	v_add_co_u32_e32 v120, vcc, v5, v20
	v_readlane_b32 s2, v131, 15
	v_addc_co_u32_e32 v121, vcc, v4, v21, vcc
	v_readlane_b32 s3, v131, 16
	s_branch .LBB1190_212
.LBB1190_190:
                                        ; implicit-def: $vgpr112_vgpr113_vgpr114_vgpr115
                                        ; implicit-def: $vgpr120_vgpr121
                                        ; implicit-def: $vgpr118_vgpr119
                                        ; implicit-def: $vgpr76_vgpr77
                                        ; implicit-def: $vgpr72_vgpr73
                                        ; implicit-def: $vgpr68_vgpr69
                                        ; implicit-def: $vgpr64_vgpr65
                                        ; implicit-def: $vgpr60_vgpr61
                                        ; implicit-def: $vgpr56_vgpr57
                                        ; implicit-def: $vgpr52_vgpr53
                                        ; implicit-def: $vgpr48_vgpr49
                                        ; implicit-def: $vgpr44_vgpr45
                                        ; implicit-def: $vgpr108_vgpr109_vgpr110_vgpr111
                                        ; implicit-def: $vgpr104_vgpr105_vgpr106_vgpr107
                                        ; implicit-def: $vgpr100_vgpr101_vgpr102_vgpr103
                                        ; implicit-def: $vgpr96_vgpr97_vgpr98_vgpr99
                                        ; implicit-def: $vgpr92_vgpr93_vgpr94_vgpr95
                                        ; implicit-def: $vgpr88_vgpr89_vgpr90_vgpr91
                                        ; implicit-def: $vgpr84_vgpr85_vgpr86_vgpr87
                                        ; implicit-def: $vgpr80_vgpr81_vgpr82_vgpr83
                                        ; implicit-def: $vgpr114_vgpr115_vgpr116_vgpr117
	s_cbranch_execz .LBB1190_212
; %bb.191:
	v_readlane_b32 s4, v131, 0
	v_readlane_b32 s5, v131, 1
	s_cmp_lg_u64 s[4:5], 0
	v_readlane_b32 s4, v131, 4
	v_readlane_b32 s6, v131, 6
	;; [unrolled: 1-line block ×3, first 2 shown]
	s_cselect_b32 s7, s7, 0
	s_cselect_b32 s6, s6, 0
	v_readlane_b32 s5, v131, 5
	s_cmp_lg_u64 s[6:7], 0
	v_readlane_b32 s8, v131, 8
	v_readlane_b32 s9, v131, 9
	s_cselect_b64 s[4:5], -1, 0
	s_and_b64 s[8:9], s[88:89], s[4:5]
	v_readlane_b32 s10, v131, 10
	v_readlane_b32 s11, v131, 11
	s_and_saveexec_b64 s[4:5], s[8:9]
	s_cbranch_execz .LBB1190_193
; %bb.192:
	v_mov_b32_e32 v8, 0
	global_load_dwordx2 v[4:5], v8, s[6:7]
	global_load_ubyte v9, v8, s[6:7] offset:8
	v_cmp_eq_u16_sdwa vcc, v1, v8 src0_sel:BYTE_0 src1_sel:DWORD
	s_waitcnt vmcnt(1)
	v_cndmask_b32_e32 v4, 0, v4, vcc
	v_cndmask_b32_e32 v5, 0, v5, vcc
	s_waitcnt vmcnt(0)
	v_or_b32_e32 v1, v1, v9
	v_add_co_u32_e32 v2, vcc, v4, v2
	v_addc_co_u32_e32 v3, vcc, v5, v3, vcc
	v_and_b32_e32 v1, 1, v1
.LBB1190_193:
	s_or_b64 exec, exec, s[4:5]
	v_mov_b32_e32 v5, 0
	v_cmp_eq_u16_sdwa vcc, v128, v5 src0_sel:BYTE_0 src1_sel:DWORD
	v_cndmask_b32_e32 v9, 0, v2, vcc
	v_cndmask_b32_e32 v8, 0, v3, vcc
	v_add_co_u32_e64 v44, s[4:5], v9, v18
	v_cmp_eq_u16_sdwa s[6:7], v130, v5 src0_sel:BYTE_0 src1_sel:DWORD
	v_addc_co_u32_e64 v45, s[4:5], v8, v19, s[4:5]
	v_cndmask_b32_e64 v9, 0, v44, s[6:7]
	s_movk_i32 s42, 0xff
	v_cndmask_b32_e64 v8, 0, v45, s[6:7]
	v_add_co_u32_e64 v80, s[4:5], v9, v6
	v_addc_co_u32_e64 v81, s[4:5], v8, v7, s[4:5]
	v_and_b32_sdwa v8, v128, s42 dst_sel:DWORD dst_unused:UNUSED_PAD src0_sel:WORD_1 src1_sel:DWORD
	v_cmp_eq_u16_e64 s[8:9], 0, v8
	v_cndmask_b32_e64 v9, 0, v80, s[8:9]
	v_cndmask_b32_e64 v8, 0, v81, s[8:9]
	v_add_co_u32_e64 v48, s[4:5], v9, v26
	v_cmp_eq_u16_sdwa s[10:11], v128, v5 src0_sel:BYTE_3 src1_sel:DWORD
	v_addc_co_u32_e64 v49, s[4:5], v8, v27, s[4:5]
	v_cndmask_b32_e64 v9, 0, v48, s[10:11]
	v_cndmask_b32_e64 v8, 0, v49, s[10:11]
	v_add_co_u32_e64 v84, s[4:5], v9, v14
	v_cmp_eq_u16_sdwa s[12:13], v123, v5 src0_sel:BYTE_0 src1_sel:DWORD
	v_addc_co_u32_e64 v85, s[4:5], v8, v15, s[4:5]
	v_cndmask_b32_e64 v9, 0, v84, s[12:13]
	v_cndmask_b32_e64 v8, 0, v85, s[12:13]
	v_add_co_u32_e64 v52, s[4:5], v9, v34
	v_cmp_eq_u16_sdwa s[14:15], v127, v5 src0_sel:BYTE_0 src1_sel:DWORD
	v_addc_co_u32_e64 v53, s[4:5], v8, v35, s[4:5]
	v_cndmask_b32_e64 v9, 0, v52, s[14:15]
	v_cndmask_b32_e64 v8, 0, v53, s[14:15]
	v_add_co_u32_e64 v88, s[4:5], v9, v22
	v_cmp_eq_u16_sdwa s[16:17], v41, v5 src0_sel:BYTE_0 src1_sel:DWORD
	v_addc_co_u32_e64 v89, s[4:5], v8, v23, s[4:5]
	v_cndmask_b32_e64 v9, 0, v88, s[16:17]
	v_cndmask_b32_e64 v8, 0, v89, s[16:17]
	v_add_co_u32_e64 v56, s[4:5], v9, v42
	v_addc_co_u32_e64 v57, s[4:5], v8, v43, s[4:5]
	v_and_b32_sdwa v8, v127, s42 dst_sel:DWORD dst_unused:UNUSED_PAD src0_sel:WORD_1 src1_sel:DWORD
	v_cmp_eq_u16_e64 s[18:19], 0, v8
	v_cndmask_b32_e64 v9, 0, v56, s[18:19]
	v_cndmask_b32_e64 v8, 0, v57, s[18:19]
	v_add_co_u32_e64 v92, s[4:5], v9, v30
	v_cmp_eq_u16_sdwa s[20:21], v127, v5 src0_sel:BYTE_3 src1_sel:DWORD
	v_addc_co_u32_e64 v93, s[4:5], v8, v31, s[4:5]
	v_cndmask_b32_e64 v9, 0, v92, s[20:21]
	v_cndmask_b32_e64 v8, 0, v93, s[20:21]
	v_add_co_u32_e64 v60, s[4:5], v9, v50
	v_cmp_eq_u16_sdwa s[22:23], v124, v5 src0_sel:BYTE_0 src1_sel:DWORD
	v_addc_co_u32_e64 v61, s[4:5], v8, v51, s[4:5]
	v_cndmask_b32_e64 v9, 0, v60, s[22:23]
	v_cndmask_b32_e64 v8, 0, v61, s[22:23]
	v_add_co_u32_e64 v96, s[4:5], v9, v38
	v_cmp_eq_u16_sdwa s[24:25], v126, v5 src0_sel:BYTE_0 src1_sel:DWORD
	v_addc_co_u32_e64 v97, s[4:5], v8, v39, s[4:5]
	v_cndmask_b32_e64 v9, 0, v96, s[24:25]
	v_cndmask_b32_e64 v8, 0, v97, s[24:25]
	v_add_co_u32_e64 v64, s[26:27], v9, v58
	v_addc_co_u32_e64 v65, s[26:27], v8, v59, s[26:27]
	v_cmp_eq_u16_sdwa s[26:27], v37, v5 src0_sel:BYTE_0 src1_sel:DWORD
	v_cndmask_b32_e64 v9, 0, v64, s[26:27]
	v_cndmask_b32_e64 v8, 0, v65, s[26:27]
	v_add_co_u32_e64 v100, s[28:29], v9, v46
	v_addc_co_u32_e64 v101, s[28:29], v8, v47, s[28:29]
	v_and_b32_sdwa v8, v126, s42 dst_sel:DWORD dst_unused:UNUSED_PAD src0_sel:WORD_1 src1_sel:DWORD
	v_cmp_eq_u16_e64 s[28:29], 0, v8
	v_cndmask_b32_e64 v9, 0, v100, s[28:29]
	v_cndmask_b32_e64 v8, 0, v101, s[28:29]
	v_add_co_u32_e64 v68, s[30:31], v9, v66
	v_addc_co_u32_e64 v69, s[30:31], v8, v67, s[30:31]
	v_cmp_eq_u16_sdwa s[30:31], v126, v5 src0_sel:BYTE_3 src1_sel:DWORD
	v_cndmask_b32_e64 v9, 0, v68, s[30:31]
	v_cndmask_b32_e64 v8, 0, v69, s[30:31]
	v_add_co_u32_e64 v104, s[34:35], v9, v54
	v_addc_co_u32_e64 v105, s[34:35], v8, v55, s[34:35]
	v_cmp_eq_u16_sdwa s[34:35], v122, v5 src0_sel:BYTE_0 src1_sel:DWORD
	v_cndmask_b32_e64 v9, 0, v104, s[34:35]
	v_cndmask_b32_e64 v8, 0, v105, s[34:35]
	v_add_co_u32_e64 v72, s[36:37], v9, v74
	v_addc_co_u32_e64 v73, s[36:37], v8, v75, s[36:37]
	v_cmp_eq_u16_sdwa s[36:37], v125, v5 src0_sel:BYTE_0 src1_sel:DWORD
	;; [unrolled: 5-line block ×3, first 2 shown]
	v_cndmask_b32_e64 v9, 0, v108, s[38:39]
	v_cndmask_b32_e64 v8, 0, v109, s[38:39]
	v_add_co_u32_e64 v76, s[40:41], v9, v78
	v_addc_co_u32_e64 v77, s[40:41], v8, v79, s[40:41]
	v_and_b32_sdwa v8, v125, s42 dst_sel:DWORD dst_unused:UNUSED_PAD src0_sel:WORD_1 src1_sel:DWORD
	v_cmp_eq_u16_e64 s[40:41], 0, v8
	v_cndmask_b32_e64 v9, 0, v76, s[40:41]
	v_cndmask_b32_e64 v8, 0, v77, s[40:41]
	v_add_co_u32_e64 v112, s[42:43], v9, v70
	v_addc_co_u32_e64 v113, s[42:43], v8, v71, s[42:43]
	v_cmp_eq_u16_sdwa s[42:43], v125, v5 src0_sel:BYTE_3 src1_sel:DWORD
	v_cndmask_b32_e64 v9, 0, v112, s[42:43]
	v_cndmask_b32_e64 v8, 0, v113, s[42:43]
	v_add_co_u32_e64 v118, s[44:45], v9, v10
	v_addc_co_u32_e64 v119, s[44:45], v8, v11, s[44:45]
	v_cmp_eq_u16_sdwa s[44:45], v28, v5 src0_sel:BYTE_0 src1_sel:DWORD
	v_cndmask_b32_e64 v8, 0, v118, s[44:45]
	v_cndmask_b32_e64 v5, 0, v119, s[44:45]
	v_add_co_u32_e64 v120, s[50:51], v8, v20
	v_addc_co_u32_e64 v121, s[50:51], v5, v21, s[50:51]
	v_or_b32_e32 v5, v125, v126
	v_or3_b32 v5, v5, v127, v128
	v_lshrrev_b16_e32 v9, 7, v5
	v_and_b32_e32 v8, 1, v5
	v_and_b32_e32 v9, 2, v9
	v_or_b32_e32 v8, v8, v9
	v_lshrrev_b32_e32 v9, 23, v5
	v_mov_b32_e32 v12, 1
	v_and_b32_e32 v9, 2, v9
	v_and_b32_sdwa v5, v5, v12 dst_sel:DWORD dst_unused:UNUSED_PAD src0_sel:WORD_1 src1_sel:DWORD
	v_or_b32_e32 v5, v5, v9
	v_lshlrev_b16_e32 v5, 2, v5
	v_or_b32_e32 v5, v8, v5
	v_cmp_eq_u32_e64 s[50:51], 1, v32
	v_cmp_ne_u16_e64 s[52:53], 0, v5
	v_cmp_eq_u32_e64 s[48:49], 1, v33
	s_or_b64 s[50:51], s[52:53], s[50:51]
	v_cmp_eq_u32_e64 s[4:5], 1, v40
	s_or_b64 s[48:49], s[50:51], s[48:49]
	;; [unrolled: 2-line block ×3, first 2 shown]
	v_and_b32_e32 v4, 0xff, v1
	s_or_b64 s[4:5], s[4:5], s[46:47]
	v_mbcnt_hi_u32_b32 v12, -1, v29
	v_cndmask_b32_e64 v13, v4, 1, s[4:5]
	v_and_b32_e32 v16, 15, v12
	v_mov_b32_dpp v24, v120 row_shr:1 row_mask:0xf bank_mask:0xf
	v_mov_b32_dpp v25, v121 row_shr:1 row_mask:0xf bank_mask:0xf
	;; [unrolled: 1-line block ×3, first 2 shown]
	v_cmp_ne_u32_e64 s[4:5], 0, v16
	v_pk_mov_b32 v[4:5], v[120:121], v[120:121] op_sel:[0,1]
	v_mov_b32_e32 v9, v121
	v_mov_b32_e32 v8, v120
	s_and_saveexec_b64 s[46:47], s[4:5]
; %bb.194:
	v_cmp_eq_u32_e64 s[4:5], 0, v13
	v_cndmask_b32_e64 v4, 0, v24, s[4:5]
	v_cndmask_b32_e64 v5, 0, v25, s[4:5]
	v_add_co_u32_e64 v4, s[4:5], v120, v4
	v_addc_co_u32_e64 v5, s[4:5], v121, v5, s[4:5]
	v_and_or_b32 v13, v17, 1, v13
	v_mov_b32_e32 v9, v5
	v_mov_b32_e32 v8, v4
; %bb.195:
	s_or_b64 exec, exec, s[46:47]
	s_nop 0
	v_mov_b32_dpp v24, v8 row_shr:2 row_mask:0xf bank_mask:0xf
	v_mov_b32_dpp v25, v9 row_shr:2 row_mask:0xf bank_mask:0xf
	v_mov_b32_dpp v17, v13 row_shr:2 row_mask:0xf bank_mask:0xf
	v_cmp_lt_u32_e64 s[4:5], 1, v16
	s_and_saveexec_b64 s[46:47], s[4:5]
; %bb.196:
	v_cmp_eq_u32_e64 s[4:5], 0, v13
	v_cndmask_b32_e64 v8, 0, v24, s[4:5]
	v_cndmask_b32_e64 v9, 0, v25, s[4:5]
	v_add_co_u32_e64 v8, s[4:5], v8, v4
	v_addc_co_u32_e64 v9, s[4:5], v9, v5, s[4:5]
	v_or_b32_e32 v4, v17, v13
	v_and_b32_e32 v13, 1, v4
	v_pk_mov_b32 v[4:5], v[8:9], v[8:9] op_sel:[0,1]
; %bb.197:
	s_or_b64 exec, exec, s[46:47]
	v_mov_b32_dpp v24, v8 row_shr:4 row_mask:0xf bank_mask:0xf
	v_mov_b32_dpp v25, v9 row_shr:4 row_mask:0xf bank_mask:0xf
	v_mov_b32_dpp v17, v13 row_shr:4 row_mask:0xf bank_mask:0xf
	v_cmp_lt_u32_e64 s[4:5], 3, v16
	s_and_saveexec_b64 s[46:47], s[4:5]
; %bb.198:
	v_cmp_eq_u32_e64 s[4:5], 0, v13
	v_cndmask_b32_e64 v8, 0, v24, s[4:5]
	v_cndmask_b32_e64 v9, 0, v25, s[4:5]
	v_add_co_u32_e64 v8, s[4:5], v8, v4
	v_addc_co_u32_e64 v9, s[4:5], v9, v5, s[4:5]
	v_or_b32_e32 v4, v17, v13
	v_and_b32_e32 v13, 1, v4
	v_pk_mov_b32 v[4:5], v[8:9], v[8:9] op_sel:[0,1]
; %bb.199:
	s_or_b64 exec, exec, s[46:47]
	;; [unrolled: 16-line block ×3, first 2 shown]
	v_and_b32_e32 v25, 16, v12
	v_mov_b32_dpp v17, v8 row_bcast:15 row_mask:0xf bank_mask:0xf
	v_mov_b32_dpp v24, v9 row_bcast:15 row_mask:0xf bank_mask:0xf
	;; [unrolled: 1-line block ×3, first 2 shown]
	v_cmp_ne_u32_e64 s[4:5], 0, v25
	s_and_saveexec_b64 s[46:47], s[4:5]
; %bb.202:
	v_cmp_eq_u32_e64 s[4:5], 0, v13
	v_cndmask_b32_e64 v9, 0, v17, s[4:5]
	v_cndmask_b32_e64 v8, 0, v24, s[4:5]
	v_add_co_u32_e64 v4, s[4:5], v9, v4
	v_addc_co_u32_e64 v5, s[4:5], v8, v5, s[4:5]
	v_or_b32_e32 v8, v16, v13
	v_and_b32_e32 v13, 1, v8
	v_mov_b32_e32 v9, v5
	v_mov_b32_e32 v8, v4
; %bb.203:
	s_or_b64 exec, exec, s[46:47]
	s_nop 0
	v_mov_b32_dpp v16, v8 row_bcast:31 row_mask:0xf bank_mask:0xf
	v_mov_b32_dpp v9, v9 row_bcast:31 row_mask:0xf bank_mask:0xf
	v_mov_b32_dpp v8, v13 row_bcast:31 row_mask:0xf bank_mask:0xf
	v_cmp_lt_u32_e64 s[4:5], 31, v12
	s_and_saveexec_b64 s[46:47], s[4:5]
; %bb.204:
	v_cmp_eq_u32_e64 s[4:5], 0, v13
	v_cndmask_b32_e64 v16, 0, v16, s[4:5]
	v_cndmask_b32_e64 v9, 0, v9, s[4:5]
	v_add_co_u32_e64 v4, s[4:5], v16, v4
	v_or_b32_e32 v8, v8, v13
	v_addc_co_u32_e64 v5, s[4:5], v9, v5, s[4:5]
	v_and_b32_e32 v13, 1, v8
; %bb.205:
	s_or_b64 exec, exec, s[46:47]
	v_cmp_eq_u32_e64 s[4:5], 63, v0
	s_and_saveexec_b64 s[46:47], s[4:5]
	s_cbranch_execz .LBB1190_207
; %bb.206:
	v_mov_b32_e32 v8, 0
	ds_write_b64 v8, v[4:5]
	ds_write_b8 v8, v13 offset:8
.LBB1190_207:
	s_or_b64 exec, exec, s[46:47]
	v_add_u32_e32 v8, -1, v12
	v_and_b32_e32 v9, 64, v12
	v_cmp_lt_i32_e64 s[4:5], v8, v9
	v_cndmask_b32_e64 v8, v8, v12, s[4:5]
	v_lshlrev_b32_e32 v8, 2, v8
	ds_bpermute_b32 v4, v8, v4
	ds_bpermute_b32 v5, v8, v5
	s_waitcnt lgkmcnt(0)
	; wave barrier
	s_waitcnt lgkmcnt(0)
	s_mov_b64 s[46:47], exec
	v_readlane_b32 s4, v131, 2
	v_readlane_b32 s5, v131, 3
	s_and_b64 s[4:5], s[46:47], s[4:5]
	s_mov_b64 exec, s[4:5]
	s_cbranch_execz .LBB1190_209
; %bb.208:
	v_mov_b32_e32 v8, 0
	v_cmp_eq_u16_sdwa s[4:5], v1, v8 src0_sel:BYTE_0 src1_sel:DWORD
	v_cndmask_b32_e64 v4, 0, v4, s[4:5]
	v_cndmask_b32_e64 v1, 0, v5, s[4:5]
	v_add_co_u32_e64 v2, s[4:5], v4, v2
	v_addc_co_u32_e64 v3, s[4:5], v1, v3, s[4:5]
	v_cndmask_b32_e32 v4, 0, v2, vcc
	v_cndmask_b32_e32 v1, 0, v3, vcc
	v_add_co_u32_e32 v44, vcc, v4, v18
	v_addc_co_u32_e32 v45, vcc, v1, v19, vcc
	v_cndmask_b32_e64 v4, 0, v44, s[6:7]
	v_cndmask_b32_e64 v1, 0, v45, s[6:7]
	v_add_co_u32_e32 v80, vcc, v4, v6
	v_addc_co_u32_e32 v81, vcc, v1, v7, vcc
	v_cndmask_b32_e64 v4, 0, v80, s[8:9]
	v_cndmask_b32_e64 v1, 0, v81, s[8:9]
	;; [unrolled: 4-line block ×19, first 2 shown]
	v_add_co_u32_e32 v120, vcc, v4, v20
	v_addc_co_u32_e32 v121, vcc, v1, v21, vcc
	;;#ASMSTART
	;;#ASMEND
.LBB1190_209:
	s_or_b64 exec, exec, s[46:47]
	s_and_saveexec_b64 s[4:5], s[88:89]
	s_cbranch_execz .LBB1190_211
; %bb.210:
	v_mov_b32_e32 v1, 0
	ds_read_b64 v[4:5], v1
	ds_read_u8 v6, v1 offset:8
	v_mov_b32_e32 v7, 2
	s_waitcnt lgkmcnt(1)
	global_store_dwordx2 v1, v[4:5], s[70:71] offset:1024
	s_waitcnt lgkmcnt(0)
	global_store_byte v1, v6, s[70:71] offset:1032
	s_waitcnt vmcnt(0)
	buffer_wbinvl1_vol
	global_store_byte v1, v7, s[72:73] offset:64
.LBB1190_211:
	s_or_b64 exec, exec, s[4:5]
	v_pk_mov_b32 v[114:115], v[2:3], v[2:3] op_sel:[0,1]
.LBB1190_212:
	s_add_u32 s0, s58, s60
	s_addc_u32 s1, s59, s61
	s_add_u32 s4, s0, s2
	s_addc_u32 s5, s1, s3
	v_readlane_b32 s0, v131, 12
	v_readlane_b32 s1, v131, 13
	s_and_b64 vcc, exec, s[0:1]
	v_lshlrev_b32_e32 v46, 3, v0
	s_cbranch_vccz .LBB1190_254
; %bb.213:
	v_readlane_b32 s0, v131, 14
	s_add_i32 s33, s0, s74
	s_movk_i32 s0, 0xa8
	v_mul_i32_i24_e32 v50, 0xffffff60, v0
	v_mul_u32_u24_e32 v47, 0xa8, v0
	v_mad_u32_u24 v2, v0, s0, v50
	s_waitcnt lgkmcnt(0)
	; wave barrier
	ds_write2_b64 v47, v[114:115], v[44:45] offset1:1
	ds_write2_b64 v47, v[80:81], v[48:49] offset0:2 offset1:3
	ds_write2_b64 v47, v[84:85], v[52:53] offset0:4 offset1:5
	;; [unrolled: 1-line block ×9, first 2 shown]
	ds_write_b64 v47, v[120:121] offset:160
	s_waitcnt lgkmcnt(0)
	; wave barrier
	s_waitcnt lgkmcnt(0)
	ds_read2st64_b64 v[38:41], v2 offset0:1 offset1:2
	ds_read2st64_b64 v[34:37], v2 offset0:3 offset1:4
	;; [unrolled: 1-line block ×10, first 2 shown]
	v_mov_b32_e32 v43, s5
	v_add_co_u32_e32 v42, vcc, s4, v46
	v_addc_co_u32_e32 v43, vcc, 0, v43, vcc
	v_mov_b32_e32 v1, 0
	v_cmp_gt_u32_e32 vcc, s33, v0
	s_and_saveexec_b64 s[0:1], vcc
	s_cbranch_execz .LBB1190_215
; %bb.214:
	v_add_u32_e32 v47, v47, v50
	ds_read_b64 v[50:51], v47
	s_waitcnt lgkmcnt(0)
	flat_store_dwordx2 v[42:43], v[50:51]
.LBB1190_215:
	s_or_b64 exec, exec, s[0:1]
	v_or_b32_e32 v47, 64, v0
	v_cmp_gt_u32_e32 vcc, s33, v47
	s_and_saveexec_b64 s[0:1], vcc
	s_cbranch_execz .LBB1190_217
; %bb.216:
	s_waitcnt lgkmcnt(0)
	flat_store_dwordx2 v[42:43], v[38:39] offset:512
.LBB1190_217:
	s_or_b64 exec, exec, s[0:1]
	s_waitcnt lgkmcnt(0)
	v_or_b32_e32 v38, 0x80, v0
	v_cmp_gt_u32_e32 vcc, s33, v38
	s_and_saveexec_b64 s[0:1], vcc
	s_cbranch_execz .LBB1190_219
; %bb.218:
	flat_store_dwordx2 v[42:43], v[40:41] offset:1024
.LBB1190_219:
	s_or_b64 exec, exec, s[0:1]
	v_or_b32_e32 v38, 0xc0, v0
	v_cmp_gt_u32_e32 vcc, s33, v38
	s_and_saveexec_b64 s[0:1], vcc
	s_cbranch_execz .LBB1190_221
; %bb.220:
	flat_store_dwordx2 v[42:43], v[34:35] offset:1536
.LBB1190_221:
	s_or_b64 exec, exec, s[0:1]
	;; [unrolled: 8-line block ×6, first 2 shown]
	v_or_b32_e32 v26, 0x200, v0
	v_cmp_gt_u32_e32 vcc, s33, v26
	s_and_saveexec_b64 s[0:1], vcc
	s_cbranch_execz .LBB1190_231
; %bb.230:
	v_add_co_u32_e32 v26, vcc, 0x1000, v42
	v_addc_co_u32_e32 v27, vcc, 0, v43, vcc
	flat_store_dwordx2 v[26:27], v[28:29]
.LBB1190_231:
	s_or_b64 exec, exec, s[0:1]
	v_or_b32_e32 v26, 0x240, v0
	v_cmp_gt_u32_e32 vcc, s33, v26
	s_and_saveexec_b64 s[0:1], vcc
	s_cbranch_execz .LBB1190_233
; %bb.232:
	v_add_co_u32_e32 v26, vcc, 0x1000, v42
	v_addc_co_u32_e32 v27, vcc, 0, v43, vcc
	flat_store_dwordx2 v[26:27], v[22:23] offset:512
.LBB1190_233:
	s_or_b64 exec, exec, s[0:1]
	v_or_b32_e32 v22, 0x280, v0
	v_cmp_gt_u32_e32 vcc, s33, v22
	s_and_saveexec_b64 s[0:1], vcc
	s_cbranch_execz .LBB1190_235
; %bb.234:
	v_add_co_u32_e32 v22, vcc, 0x1000, v42
	v_addc_co_u32_e32 v23, vcc, 0, v43, vcc
	flat_store_dwordx2 v[22:23], v[24:25] offset:1024
.LBB1190_235:
	;; [unrolled: 10-line block ×7, first 2 shown]
	s_or_b64 exec, exec, s[0:1]
	v_or_b32_e32 v10, 0x400, v0
	v_cmp_gt_u32_e32 vcc, s33, v10
	s_and_saveexec_b64 s[0:1], vcc
	s_cbranch_execz .LBB1190_247
; %bb.246:
	v_add_co_u32_e32 v10, vcc, 0x2000, v42
	v_addc_co_u32_e32 v11, vcc, 0, v43, vcc
	flat_store_dwordx2 v[10:11], v[12:13]
.LBB1190_247:
	s_or_b64 exec, exec, s[0:1]
	v_or_b32_e32 v10, 0x440, v0
	v_cmp_gt_u32_e32 vcc, s33, v10
	s_and_saveexec_b64 s[0:1], vcc
	s_cbranch_execz .LBB1190_249
; %bb.248:
	v_add_co_u32_e32 v10, vcc, 0x2000, v42
	v_addc_co_u32_e32 v11, vcc, 0, v43, vcc
	flat_store_dwordx2 v[10:11], v[6:7] offset:512
.LBB1190_249:
	s_or_b64 exec, exec, s[0:1]
	v_or_b32_e32 v6, 0x480, v0
	v_cmp_gt_u32_e32 vcc, s33, v6
	s_and_saveexec_b64 s[0:1], vcc
	s_cbranch_execz .LBB1190_251
; %bb.250:
	v_add_co_u32_e32 v6, vcc, 0x2000, v42
	v_addc_co_u32_e32 v7, vcc, 0, v43, vcc
	flat_store_dwordx2 v[6:7], v[8:9] offset:1024
.LBB1190_251:
	;; [unrolled: 10-line block ×3, first 2 shown]
	s_or_b64 exec, exec, s[0:1]
	v_or_b32_e32 v2, 0x500, v0
	v_cmp_gt_u32_e64 s[0:1], s33, v2
	s_branch .LBB1190_256
.LBB1190_254:
	s_mov_b64 s[0:1], 0
                                        ; implicit-def: $vgpr4_vgpr5
	s_cbranch_execz .LBB1190_256
; %bb.255:
	s_movk_i32 s2, 0xa8
	v_mul_i32_i24_e32 v2, 0xffffff60, v0
	v_mul_u32_u24_e32 v1, 0xa8, v0
	v_mad_u32_u24 v2, v0, s2, v2
	s_waitcnt lgkmcnt(0)
	; wave barrier
	s_waitcnt lgkmcnt(0)
	ds_write2_b64 v1, v[114:115], v[44:45] offset1:1
	ds_write2_b64 v1, v[80:81], v[48:49] offset0:2 offset1:3
	ds_write2_b64 v1, v[84:85], v[52:53] offset0:4 offset1:5
	ds_write2_b64 v1, v[88:89], v[56:57] offset0:6 offset1:7
	ds_write2_b64 v1, v[92:93], v[60:61] offset0:8 offset1:9
	ds_write2_b64 v1, v[96:97], v[64:65] offset0:10 offset1:11
	ds_write2_b64 v1, v[100:101], v[68:69] offset0:12 offset1:13
	ds_write2_b64 v1, v[104:105], v[72:73] offset0:14 offset1:15
	ds_write2_b64 v1, v[108:109], v[76:77] offset0:16 offset1:17
	ds_write2_b64 v1, v[112:113], v[118:119] offset0:18 offset1:19
	ds_write_b64 v1, v[120:121] offset:160
	s_waitcnt lgkmcnt(0)
	; wave barrier
	s_waitcnt lgkmcnt(0)
	ds_read2st64_b64 v[6:9], v2 offset1:1
	ds_read2st64_b64 v[10:13], v2 offset0:2 offset1:3
	ds_read2st64_b64 v[14:17], v2 offset0:4 offset1:5
	;; [unrolled: 1-line block ×9, first 2 shown]
	ds_read_b64 v[4:5], v2 offset:10240
	v_mov_b32_e32 v3, s5
	v_add_co_u32_e32 v2, vcc, s4, v46
	v_addc_co_u32_e32 v3, vcc, 0, v3, vcc
	s_movk_i32 s2, 0x1000
	s_waitcnt lgkmcnt(0)
	flat_store_dwordx2 v[2:3], v[6:7]
	flat_store_dwordx2 v[2:3], v[8:9] offset:512
	flat_store_dwordx2 v[2:3], v[10:11] offset:1024
	;; [unrolled: 1-line block ×7, first 2 shown]
	v_add_co_u32_e32 v6, vcc, s2, v2
	v_addc_co_u32_e32 v7, vcc, 0, v3, vcc
	v_add_co_u32_e32 v2, vcc, 0x2000, v2
	v_mov_b32_e32 v1, 0
	v_addc_co_u32_e32 v3, vcc, 0, v3, vcc
	s_or_b64 s[0:1], s[0:1], exec
	flat_store_dwordx2 v[6:7], v[22:23]
	flat_store_dwordx2 v[6:7], v[24:25] offset:512
	flat_store_dwordx2 v[6:7], v[26:27] offset:1024
	;; [unrolled: 1-line block ×7, first 2 shown]
	flat_store_dwordx2 v[2:3], v[38:39]
	flat_store_dwordx2 v[2:3], v[40:41] offset:512
	flat_store_dwordx2 v[2:3], v[42:43] offset:1024
	flat_store_dwordx2 v[2:3], v[44:45] offset:1536
.LBB1190_256:
	s_and_saveexec_b64 s[2:3], s[0:1]
	s_cbranch_execnz .LBB1190_258
; %bb.257:
	s_endpgm
.LBB1190_258:
	v_lshlrev_b64 v[0:1], 3, v[0:1]
	v_mov_b32_e32 v2, s5
	v_add_co_u32_e32 v0, vcc, s4, v0
	v_addc_co_u32_e32 v1, vcc, v2, v1, vcc
	v_add_co_u32_e32 v0, vcc, 0x2000, v0
	v_addc_co_u32_e32 v1, vcc, 0, v1, vcc
	flat_store_dwordx2 v[0:1], v[4:5] offset:2048
	s_endpgm
.LBB1190_259:
	v_lshlrev_b32_e32 v2, 3, v0
	v_mov_b32_e32 v3, s63
	v_add_co_u32_e32 v2, vcc, s62, v2
	v_addc_co_u32_e32 v3, vcc, 0, v3, vcc
	flat_load_dwordx2 v[2:3], v[2:3]
	s_or_b64 exec, exec, s[4:5]
                                        ; implicit-def: $vgpr6_vgpr7
	s_and_saveexec_b64 s[4:5], s[8:9]
	s_cbranch_execz .LBB1190_55
.LBB1190_260:
	v_lshlrev_b32_e32 v6, 3, v0
	v_mov_b32_e32 v7, s63
	v_add_co_u32_e32 v6, vcc, s62, v6
	v_addc_co_u32_e32 v7, vcc, 0, v7, vcc
	flat_load_dwordx2 v[6:7], v[6:7] offset:512
	s_or_b64 exec, exec, s[4:5]
                                        ; implicit-def: $vgpr10_vgpr11
	s_and_saveexec_b64 s[4:5], s[10:11]
	s_cbranch_execz .LBB1190_56
.LBB1190_261:
	v_lshlrev_b32_e32 v10, 3, v0
	v_mov_b32_e32 v11, s63
	v_add_co_u32_e32 v10, vcc, s62, v10
	v_addc_co_u32_e32 v11, vcc, 0, v11, vcc
	flat_load_dwordx2 v[10:11], v[10:11] offset:1024
	s_or_b64 exec, exec, s[4:5]
                                        ; implicit-def: $vgpr14_vgpr15
	s_and_saveexec_b64 s[4:5], s[12:13]
	s_cbranch_execz .LBB1190_57
.LBB1190_262:
	v_lshlrev_b32_e32 v14, 3, v0
	v_mov_b32_e32 v15, s63
	v_add_co_u32_e32 v14, vcc, s62, v14
	v_addc_co_u32_e32 v15, vcc, 0, v15, vcc
	flat_load_dwordx2 v[14:15], v[14:15] offset:1536
	s_or_b64 exec, exec, s[4:5]
                                        ; implicit-def: $vgpr18_vgpr19
	s_and_saveexec_b64 s[4:5], s[14:15]
	s_cbranch_execz .LBB1190_58
.LBB1190_263:
	v_lshlrev_b32_e32 v18, 3, v0
	v_mov_b32_e32 v19, s63
	v_add_co_u32_e32 v18, vcc, s62, v18
	v_addc_co_u32_e32 v19, vcc, 0, v19, vcc
	flat_load_dwordx2 v[18:19], v[18:19] offset:2048
	s_or_b64 exec, exec, s[4:5]
                                        ; implicit-def: $vgpr20_vgpr21
	s_and_saveexec_b64 s[4:5], s[16:17]
	s_cbranch_execz .LBB1190_59
.LBB1190_264:
	v_lshlrev_b32_e32 v20, 3, v0
	v_mov_b32_e32 v21, s63
	v_add_co_u32_e32 v20, vcc, s62, v20
	v_addc_co_u32_e32 v21, vcc, 0, v21, vcc
	flat_load_dwordx2 v[20:21], v[20:21] offset:2560
	s_or_b64 exec, exec, s[4:5]
                                        ; implicit-def: $vgpr22_vgpr23
	s_and_saveexec_b64 s[4:5], s[18:19]
	s_cbranch_execz .LBB1190_60
.LBB1190_265:
	v_lshlrev_b32_e32 v22, 3, v0
	v_mov_b32_e32 v23, s63
	v_add_co_u32_e32 v22, vcc, s62, v22
	v_addc_co_u32_e32 v23, vcc, 0, v23, vcc
	flat_load_dwordx2 v[22:23], v[22:23] offset:3072
	s_or_b64 exec, exec, s[4:5]
                                        ; implicit-def: $vgpr26_vgpr27
	s_and_saveexec_b64 s[4:5], s[20:21]
	s_cbranch_execz .LBB1190_61
.LBB1190_266:
	v_lshlrev_b32_e32 v26, 3, v0
	v_mov_b32_e32 v27, s63
	v_add_co_u32_e32 v26, vcc, s62, v26
	v_addc_co_u32_e32 v27, vcc, 0, v27, vcc
	flat_load_dwordx2 v[26:27], v[26:27] offset:3584
	s_or_b64 exec, exec, s[4:5]
                                        ; implicit-def: $vgpr30_vgpr31
	s_and_saveexec_b64 s[4:5], s[22:23]
	s_cbranch_execz .LBB1190_62
.LBB1190_267:
	v_lshlrev_b32_e32 v1, 3, v1
	v_mov_b32_e32 v31, s63
	v_add_co_u32_e32 v30, vcc, s62, v1
	v_addc_co_u32_e32 v31, vcc, 0, v31, vcc
	flat_load_dwordx2 v[30:31], v[30:31]
	s_or_b64 exec, exec, s[4:5]
                                        ; implicit-def: $vgpr34_vgpr35
	s_and_saveexec_b64 s[4:5], s[24:25]
	s_cbranch_execz .LBB1190_63
.LBB1190_268:
	v_lshlrev_b32_e32 v1, 3, v38
	v_mov_b32_e32 v35, s63
	v_add_co_u32_e32 v34, vcc, s62, v1
	v_addc_co_u32_e32 v35, vcc, 0, v35, vcc
	flat_load_dwordx2 v[34:35], v[34:35]
	s_or_b64 exec, exec, s[4:5]
                                        ; implicit-def: $vgpr38_vgpr39
	s_and_saveexec_b64 s[4:5], s[26:27]
	s_cbranch_execz .LBB1190_64
.LBB1190_269:
	v_lshlrev_b32_e32 v1, 3, v42
	v_mov_b32_e32 v39, s63
	v_add_co_u32_e32 v38, vcc, s62, v1
	v_addc_co_u32_e32 v39, vcc, 0, v39, vcc
	flat_load_dwordx2 v[38:39], v[38:39]
	s_or_b64 exec, exec, s[4:5]
                                        ; implicit-def: $vgpr42_vgpr43
	s_and_saveexec_b64 s[4:5], s[28:29]
	s_cbranch_execz .LBB1190_65
.LBB1190_270:
	v_lshlrev_b32_e32 v1, 3, v46
	v_mov_b32_e32 v43, s63
	v_add_co_u32_e32 v42, vcc, s62, v1
	v_addc_co_u32_e32 v43, vcc, 0, v43, vcc
	flat_load_dwordx2 v[42:43], v[42:43]
	s_or_b64 exec, exec, s[4:5]
                                        ; implicit-def: $vgpr46_vgpr47
	s_and_saveexec_b64 s[4:5], s[30:31]
	s_cbranch_execz .LBB1190_66
.LBB1190_271:
	v_lshlrev_b32_e32 v1, 3, v48
	v_mov_b32_e32 v47, s63
	v_add_co_u32_e32 v46, vcc, s62, v1
	v_addc_co_u32_e32 v47, vcc, 0, v47, vcc
	flat_load_dwordx2 v[46:47], v[46:47]
	s_or_b64 exec, exec, s[4:5]
                                        ; implicit-def: $vgpr48_vgpr49
	s_and_saveexec_b64 s[4:5], s[34:35]
	s_cbranch_execz .LBB1190_67
.LBB1190_272:
	v_lshlrev_b32_e32 v1, 3, v50
	v_mov_b32_e32 v49, s63
	v_add_co_u32_e32 v48, vcc, s62, v1
	v_addc_co_u32_e32 v49, vcc, 0, v49, vcc
	flat_load_dwordx2 v[48:49], v[48:49]
	s_or_b64 exec, exec, s[4:5]
                                        ; implicit-def: $vgpr50_vgpr51
	s_and_saveexec_b64 s[4:5], s[36:37]
	s_cbranch_execz .LBB1190_68
.LBB1190_273:
	v_lshlrev_b32_e32 v1, 3, v52
	v_mov_b32_e32 v51, s63
	v_add_co_u32_e32 v50, vcc, s62, v1
	v_addc_co_u32_e32 v51, vcc, 0, v51, vcc
	flat_load_dwordx2 v[50:51], v[50:51]
	s_or_b64 exec, exec, s[4:5]
                                        ; implicit-def: $vgpr52_vgpr53
	s_and_saveexec_b64 s[4:5], s[38:39]
	s_cbranch_execz .LBB1190_69
.LBB1190_274:
	v_lshlrev_b32_e32 v1, 3, v54
	v_mov_b32_e32 v53, s63
	v_add_co_u32_e32 v52, vcc, s62, v1
	v_addc_co_u32_e32 v53, vcc, 0, v53, vcc
	flat_load_dwordx2 v[52:53], v[52:53]
	s_or_b64 exec, exec, s[4:5]
                                        ; implicit-def: $vgpr54_vgpr55
	s_and_saveexec_b64 s[4:5], s[40:41]
	s_cbranch_execz .LBB1190_70
.LBB1190_275:
	v_lshlrev_b32_e32 v1, 3, v56
	v_mov_b32_e32 v55, s63
	v_add_co_u32_e32 v54, vcc, s62, v1
	v_addc_co_u32_e32 v55, vcc, 0, v55, vcc
	flat_load_dwordx2 v[54:55], v[54:55]
	s_or_b64 exec, exec, s[4:5]
                                        ; implicit-def: $vgpr56_vgpr57
	s_and_saveexec_b64 s[4:5], s[42:43]
	s_cbranch_execz .LBB1190_71
.LBB1190_276:
	v_lshlrev_b32_e32 v1, 3, v58
	v_mov_b32_e32 v57, s63
	v_add_co_u32_e32 v56, vcc, s62, v1
	v_addc_co_u32_e32 v57, vcc, 0, v57, vcc
	flat_load_dwordx2 v[56:57], v[56:57]
	s_or_b64 exec, exec, s[4:5]
                                        ; implicit-def: $vgpr58_vgpr59
	s_and_saveexec_b64 s[4:5], s[44:45]
	s_cbranch_execz .LBB1190_72
.LBB1190_277:
	v_lshlrev_b32_e32 v1, 3, v60
	v_mov_b32_e32 v59, s63
	v_add_co_u32_e32 v58, vcc, s62, v1
	v_addc_co_u32_e32 v59, vcc, 0, v59, vcc
	flat_load_dwordx2 v[58:59], v[58:59]
	s_or_b64 exec, exec, s[4:5]
                                        ; implicit-def: $vgpr60_vgpr61
	s_and_saveexec_b64 s[4:5], s[46:47]
	s_cbranch_execz .LBB1190_73
.LBB1190_278:
	v_lshlrev_b32_e32 v1, 3, v62
	v_mov_b32_e32 v61, s63
	v_add_co_u32_e32 v60, vcc, s62, v1
	v_addc_co_u32_e32 v61, vcc, 0, v61, vcc
	flat_load_dwordx2 v[60:61], v[60:61]
	s_or_b64 exec, exec, s[4:5]
                                        ; implicit-def: $vgpr62_vgpr63
	s_and_saveexec_b64 s[4:5], s[48:49]
	s_cbranch_execnz .LBB1190_74
	s_branch .LBB1190_75
.LBB1190_279:
                                        ; implicit-def: $sgpr4_sgpr5
	s_branch .LBB1190_50
.LBB1190_280:
                                        ; implicit-def: $sgpr4_sgpr5
	s_branch .LBB1190_120
	.section	.rodata,"a",@progbits
	.p2align	6, 0x0
	.amdhsa_kernel _ZN7rocprim17ROCPRIM_400000_NS6detail17trampoline_kernelINS0_14default_configENS1_27scan_by_key_config_selectorIiyEEZZNS1_16scan_by_key_implILNS1_25lookback_scan_determinismE0ELb0ES3_N6thrust23THRUST_200600_302600_NS6detail15normal_iteratorINS9_10device_ptrIiEEEENSB_INSC_IyEEEESG_yNS9_4plusIvEENS9_8equal_toIvEEyEE10hipError_tPvRmT2_T3_T4_T5_mT6_T7_P12ihipStream_tbENKUlT_T0_E_clISt17integral_constantIbLb1EES11_EEDaSW_SX_EUlSW_E_NS1_11comp_targetILNS1_3genE4ELNS1_11target_archE910ELNS1_3gpuE8ELNS1_3repE0EEENS1_30default_config_static_selectorELNS0_4arch9wavefront6targetE1EEEvT1_
		.amdhsa_group_segment_fixed_size 10752
		.amdhsa_private_segment_fixed_size 0
		.amdhsa_kernarg_size 136
		.amdhsa_user_sgpr_count 6
		.amdhsa_user_sgpr_private_segment_buffer 1
		.amdhsa_user_sgpr_dispatch_ptr 0
		.amdhsa_user_sgpr_queue_ptr 0
		.amdhsa_user_sgpr_kernarg_segment_ptr 1
		.amdhsa_user_sgpr_dispatch_id 0
		.amdhsa_user_sgpr_flat_scratch_init 0
		.amdhsa_user_sgpr_kernarg_preload_length 0
		.amdhsa_user_sgpr_kernarg_preload_offset 0
		.amdhsa_user_sgpr_private_segment_size 0
		.amdhsa_uses_dynamic_stack 0
		.amdhsa_system_sgpr_private_segment_wavefront_offset 0
		.amdhsa_system_sgpr_workgroup_id_x 1
		.amdhsa_system_sgpr_workgroup_id_y 0
		.amdhsa_system_sgpr_workgroup_id_z 0
		.amdhsa_system_sgpr_workgroup_info 0
		.amdhsa_system_vgpr_workitem_id 0
		.amdhsa_next_free_vgpr 132
		.amdhsa_next_free_sgpr 96
		.amdhsa_accum_offset 132
		.amdhsa_reserve_vcc 1
		.amdhsa_reserve_flat_scratch 0
		.amdhsa_float_round_mode_32 0
		.amdhsa_float_round_mode_16_64 0
		.amdhsa_float_denorm_mode_32 3
		.amdhsa_float_denorm_mode_16_64 3
		.amdhsa_dx10_clamp 1
		.amdhsa_ieee_mode 1
		.amdhsa_fp16_overflow 0
		.amdhsa_tg_split 0
		.amdhsa_exception_fp_ieee_invalid_op 0
		.amdhsa_exception_fp_denorm_src 0
		.amdhsa_exception_fp_ieee_div_zero 0
		.amdhsa_exception_fp_ieee_overflow 0
		.amdhsa_exception_fp_ieee_underflow 0
		.amdhsa_exception_fp_ieee_inexact 0
		.amdhsa_exception_int_div_zero 0
	.end_amdhsa_kernel
	.section	.text._ZN7rocprim17ROCPRIM_400000_NS6detail17trampoline_kernelINS0_14default_configENS1_27scan_by_key_config_selectorIiyEEZZNS1_16scan_by_key_implILNS1_25lookback_scan_determinismE0ELb0ES3_N6thrust23THRUST_200600_302600_NS6detail15normal_iteratorINS9_10device_ptrIiEEEENSB_INSC_IyEEEESG_yNS9_4plusIvEENS9_8equal_toIvEEyEE10hipError_tPvRmT2_T3_T4_T5_mT6_T7_P12ihipStream_tbENKUlT_T0_E_clISt17integral_constantIbLb1EES11_EEDaSW_SX_EUlSW_E_NS1_11comp_targetILNS1_3genE4ELNS1_11target_archE910ELNS1_3gpuE8ELNS1_3repE0EEENS1_30default_config_static_selectorELNS0_4arch9wavefront6targetE1EEEvT1_,"axG",@progbits,_ZN7rocprim17ROCPRIM_400000_NS6detail17trampoline_kernelINS0_14default_configENS1_27scan_by_key_config_selectorIiyEEZZNS1_16scan_by_key_implILNS1_25lookback_scan_determinismE0ELb0ES3_N6thrust23THRUST_200600_302600_NS6detail15normal_iteratorINS9_10device_ptrIiEEEENSB_INSC_IyEEEESG_yNS9_4plusIvEENS9_8equal_toIvEEyEE10hipError_tPvRmT2_T3_T4_T5_mT6_T7_P12ihipStream_tbENKUlT_T0_E_clISt17integral_constantIbLb1EES11_EEDaSW_SX_EUlSW_E_NS1_11comp_targetILNS1_3genE4ELNS1_11target_archE910ELNS1_3gpuE8ELNS1_3repE0EEENS1_30default_config_static_selectorELNS0_4arch9wavefront6targetE1EEEvT1_,comdat
.Lfunc_end1190:
	.size	_ZN7rocprim17ROCPRIM_400000_NS6detail17trampoline_kernelINS0_14default_configENS1_27scan_by_key_config_selectorIiyEEZZNS1_16scan_by_key_implILNS1_25lookback_scan_determinismE0ELb0ES3_N6thrust23THRUST_200600_302600_NS6detail15normal_iteratorINS9_10device_ptrIiEEEENSB_INSC_IyEEEESG_yNS9_4plusIvEENS9_8equal_toIvEEyEE10hipError_tPvRmT2_T3_T4_T5_mT6_T7_P12ihipStream_tbENKUlT_T0_E_clISt17integral_constantIbLb1EES11_EEDaSW_SX_EUlSW_E_NS1_11comp_targetILNS1_3genE4ELNS1_11target_archE910ELNS1_3gpuE8ELNS1_3repE0EEENS1_30default_config_static_selectorELNS0_4arch9wavefront6targetE1EEEvT1_, .Lfunc_end1190-_ZN7rocprim17ROCPRIM_400000_NS6detail17trampoline_kernelINS0_14default_configENS1_27scan_by_key_config_selectorIiyEEZZNS1_16scan_by_key_implILNS1_25lookback_scan_determinismE0ELb0ES3_N6thrust23THRUST_200600_302600_NS6detail15normal_iteratorINS9_10device_ptrIiEEEENSB_INSC_IyEEEESG_yNS9_4plusIvEENS9_8equal_toIvEEyEE10hipError_tPvRmT2_T3_T4_T5_mT6_T7_P12ihipStream_tbENKUlT_T0_E_clISt17integral_constantIbLb1EES11_EEDaSW_SX_EUlSW_E_NS1_11comp_targetILNS1_3genE4ELNS1_11target_archE910ELNS1_3gpuE8ELNS1_3repE0EEENS1_30default_config_static_selectorELNS0_4arch9wavefront6targetE1EEEvT1_
                                        ; -- End function
	.section	.AMDGPU.csdata,"",@progbits
; Kernel info:
; codeLenInByte = 17272
; NumSgprs: 100
; NumVgprs: 132
; NumAgprs: 0
; TotalNumVgprs: 132
; ScratchSize: 0
; MemoryBound: 0
; FloatMode: 240
; IeeeMode: 1
; LDSByteSize: 10752 bytes/workgroup (compile time only)
; SGPRBlocks: 12
; VGPRBlocks: 16
; NumSGPRsForWavesPerEU: 100
; NumVGPRsForWavesPerEU: 132
; AccumOffset: 132
; Occupancy: 2
; WaveLimiterHint : 1
; COMPUTE_PGM_RSRC2:SCRATCH_EN: 0
; COMPUTE_PGM_RSRC2:USER_SGPR: 6
; COMPUTE_PGM_RSRC2:TRAP_HANDLER: 0
; COMPUTE_PGM_RSRC2:TGID_X_EN: 1
; COMPUTE_PGM_RSRC2:TGID_Y_EN: 0
; COMPUTE_PGM_RSRC2:TGID_Z_EN: 0
; COMPUTE_PGM_RSRC2:TIDIG_COMP_CNT: 0
; COMPUTE_PGM_RSRC3_GFX90A:ACCUM_OFFSET: 32
; COMPUTE_PGM_RSRC3_GFX90A:TG_SPLIT: 0
	.section	.text._ZN7rocprim17ROCPRIM_400000_NS6detail17trampoline_kernelINS0_14default_configENS1_27scan_by_key_config_selectorIiyEEZZNS1_16scan_by_key_implILNS1_25lookback_scan_determinismE0ELb0ES3_N6thrust23THRUST_200600_302600_NS6detail15normal_iteratorINS9_10device_ptrIiEEEENSB_INSC_IyEEEESG_yNS9_4plusIvEENS9_8equal_toIvEEyEE10hipError_tPvRmT2_T3_T4_T5_mT6_T7_P12ihipStream_tbENKUlT_T0_E_clISt17integral_constantIbLb1EES11_EEDaSW_SX_EUlSW_E_NS1_11comp_targetILNS1_3genE3ELNS1_11target_archE908ELNS1_3gpuE7ELNS1_3repE0EEENS1_30default_config_static_selectorELNS0_4arch9wavefront6targetE1EEEvT1_,"axG",@progbits,_ZN7rocprim17ROCPRIM_400000_NS6detail17trampoline_kernelINS0_14default_configENS1_27scan_by_key_config_selectorIiyEEZZNS1_16scan_by_key_implILNS1_25lookback_scan_determinismE0ELb0ES3_N6thrust23THRUST_200600_302600_NS6detail15normal_iteratorINS9_10device_ptrIiEEEENSB_INSC_IyEEEESG_yNS9_4plusIvEENS9_8equal_toIvEEyEE10hipError_tPvRmT2_T3_T4_T5_mT6_T7_P12ihipStream_tbENKUlT_T0_E_clISt17integral_constantIbLb1EES11_EEDaSW_SX_EUlSW_E_NS1_11comp_targetILNS1_3genE3ELNS1_11target_archE908ELNS1_3gpuE7ELNS1_3repE0EEENS1_30default_config_static_selectorELNS0_4arch9wavefront6targetE1EEEvT1_,comdat
	.protected	_ZN7rocprim17ROCPRIM_400000_NS6detail17trampoline_kernelINS0_14default_configENS1_27scan_by_key_config_selectorIiyEEZZNS1_16scan_by_key_implILNS1_25lookback_scan_determinismE0ELb0ES3_N6thrust23THRUST_200600_302600_NS6detail15normal_iteratorINS9_10device_ptrIiEEEENSB_INSC_IyEEEESG_yNS9_4plusIvEENS9_8equal_toIvEEyEE10hipError_tPvRmT2_T3_T4_T5_mT6_T7_P12ihipStream_tbENKUlT_T0_E_clISt17integral_constantIbLb1EES11_EEDaSW_SX_EUlSW_E_NS1_11comp_targetILNS1_3genE3ELNS1_11target_archE908ELNS1_3gpuE7ELNS1_3repE0EEENS1_30default_config_static_selectorELNS0_4arch9wavefront6targetE1EEEvT1_ ; -- Begin function _ZN7rocprim17ROCPRIM_400000_NS6detail17trampoline_kernelINS0_14default_configENS1_27scan_by_key_config_selectorIiyEEZZNS1_16scan_by_key_implILNS1_25lookback_scan_determinismE0ELb0ES3_N6thrust23THRUST_200600_302600_NS6detail15normal_iteratorINS9_10device_ptrIiEEEENSB_INSC_IyEEEESG_yNS9_4plusIvEENS9_8equal_toIvEEyEE10hipError_tPvRmT2_T3_T4_T5_mT6_T7_P12ihipStream_tbENKUlT_T0_E_clISt17integral_constantIbLb1EES11_EEDaSW_SX_EUlSW_E_NS1_11comp_targetILNS1_3genE3ELNS1_11target_archE908ELNS1_3gpuE7ELNS1_3repE0EEENS1_30default_config_static_selectorELNS0_4arch9wavefront6targetE1EEEvT1_
	.globl	_ZN7rocprim17ROCPRIM_400000_NS6detail17trampoline_kernelINS0_14default_configENS1_27scan_by_key_config_selectorIiyEEZZNS1_16scan_by_key_implILNS1_25lookback_scan_determinismE0ELb0ES3_N6thrust23THRUST_200600_302600_NS6detail15normal_iteratorINS9_10device_ptrIiEEEENSB_INSC_IyEEEESG_yNS9_4plusIvEENS9_8equal_toIvEEyEE10hipError_tPvRmT2_T3_T4_T5_mT6_T7_P12ihipStream_tbENKUlT_T0_E_clISt17integral_constantIbLb1EES11_EEDaSW_SX_EUlSW_E_NS1_11comp_targetILNS1_3genE3ELNS1_11target_archE908ELNS1_3gpuE7ELNS1_3repE0EEENS1_30default_config_static_selectorELNS0_4arch9wavefront6targetE1EEEvT1_
	.p2align	8
	.type	_ZN7rocprim17ROCPRIM_400000_NS6detail17trampoline_kernelINS0_14default_configENS1_27scan_by_key_config_selectorIiyEEZZNS1_16scan_by_key_implILNS1_25lookback_scan_determinismE0ELb0ES3_N6thrust23THRUST_200600_302600_NS6detail15normal_iteratorINS9_10device_ptrIiEEEENSB_INSC_IyEEEESG_yNS9_4plusIvEENS9_8equal_toIvEEyEE10hipError_tPvRmT2_T3_T4_T5_mT6_T7_P12ihipStream_tbENKUlT_T0_E_clISt17integral_constantIbLb1EES11_EEDaSW_SX_EUlSW_E_NS1_11comp_targetILNS1_3genE3ELNS1_11target_archE908ELNS1_3gpuE7ELNS1_3repE0EEENS1_30default_config_static_selectorELNS0_4arch9wavefront6targetE1EEEvT1_,@function
_ZN7rocprim17ROCPRIM_400000_NS6detail17trampoline_kernelINS0_14default_configENS1_27scan_by_key_config_selectorIiyEEZZNS1_16scan_by_key_implILNS1_25lookback_scan_determinismE0ELb0ES3_N6thrust23THRUST_200600_302600_NS6detail15normal_iteratorINS9_10device_ptrIiEEEENSB_INSC_IyEEEESG_yNS9_4plusIvEENS9_8equal_toIvEEyEE10hipError_tPvRmT2_T3_T4_T5_mT6_T7_P12ihipStream_tbENKUlT_T0_E_clISt17integral_constantIbLb1EES11_EEDaSW_SX_EUlSW_E_NS1_11comp_targetILNS1_3genE3ELNS1_11target_archE908ELNS1_3gpuE7ELNS1_3repE0EEENS1_30default_config_static_selectorELNS0_4arch9wavefront6targetE1EEEvT1_: ; @_ZN7rocprim17ROCPRIM_400000_NS6detail17trampoline_kernelINS0_14default_configENS1_27scan_by_key_config_selectorIiyEEZZNS1_16scan_by_key_implILNS1_25lookback_scan_determinismE0ELb0ES3_N6thrust23THRUST_200600_302600_NS6detail15normal_iteratorINS9_10device_ptrIiEEEENSB_INSC_IyEEEESG_yNS9_4plusIvEENS9_8equal_toIvEEyEE10hipError_tPvRmT2_T3_T4_T5_mT6_T7_P12ihipStream_tbENKUlT_T0_E_clISt17integral_constantIbLb1EES11_EEDaSW_SX_EUlSW_E_NS1_11comp_targetILNS1_3genE3ELNS1_11target_archE908ELNS1_3gpuE7ELNS1_3repE0EEENS1_30default_config_static_selectorELNS0_4arch9wavefront6targetE1EEEvT1_
; %bb.0:
	.section	.rodata,"a",@progbits
	.p2align	6, 0x0
	.amdhsa_kernel _ZN7rocprim17ROCPRIM_400000_NS6detail17trampoline_kernelINS0_14default_configENS1_27scan_by_key_config_selectorIiyEEZZNS1_16scan_by_key_implILNS1_25lookback_scan_determinismE0ELb0ES3_N6thrust23THRUST_200600_302600_NS6detail15normal_iteratorINS9_10device_ptrIiEEEENSB_INSC_IyEEEESG_yNS9_4plusIvEENS9_8equal_toIvEEyEE10hipError_tPvRmT2_T3_T4_T5_mT6_T7_P12ihipStream_tbENKUlT_T0_E_clISt17integral_constantIbLb1EES11_EEDaSW_SX_EUlSW_E_NS1_11comp_targetILNS1_3genE3ELNS1_11target_archE908ELNS1_3gpuE7ELNS1_3repE0EEENS1_30default_config_static_selectorELNS0_4arch9wavefront6targetE1EEEvT1_
		.amdhsa_group_segment_fixed_size 0
		.amdhsa_private_segment_fixed_size 0
		.amdhsa_kernarg_size 136
		.amdhsa_user_sgpr_count 6
		.amdhsa_user_sgpr_private_segment_buffer 1
		.amdhsa_user_sgpr_dispatch_ptr 0
		.amdhsa_user_sgpr_queue_ptr 0
		.amdhsa_user_sgpr_kernarg_segment_ptr 1
		.amdhsa_user_sgpr_dispatch_id 0
		.amdhsa_user_sgpr_flat_scratch_init 0
		.amdhsa_user_sgpr_kernarg_preload_length 0
		.amdhsa_user_sgpr_kernarg_preload_offset 0
		.amdhsa_user_sgpr_private_segment_size 0
		.amdhsa_uses_dynamic_stack 0
		.amdhsa_system_sgpr_private_segment_wavefront_offset 0
		.amdhsa_system_sgpr_workgroup_id_x 1
		.amdhsa_system_sgpr_workgroup_id_y 0
		.amdhsa_system_sgpr_workgroup_id_z 0
		.amdhsa_system_sgpr_workgroup_info 0
		.amdhsa_system_vgpr_workitem_id 0
		.amdhsa_next_free_vgpr 1
		.amdhsa_next_free_sgpr 0
		.amdhsa_accum_offset 4
		.amdhsa_reserve_vcc 0
		.amdhsa_reserve_flat_scratch 0
		.amdhsa_float_round_mode_32 0
		.amdhsa_float_round_mode_16_64 0
		.amdhsa_float_denorm_mode_32 3
		.amdhsa_float_denorm_mode_16_64 3
		.amdhsa_dx10_clamp 1
		.amdhsa_ieee_mode 1
		.amdhsa_fp16_overflow 0
		.amdhsa_tg_split 0
		.amdhsa_exception_fp_ieee_invalid_op 0
		.amdhsa_exception_fp_denorm_src 0
		.amdhsa_exception_fp_ieee_div_zero 0
		.amdhsa_exception_fp_ieee_overflow 0
		.amdhsa_exception_fp_ieee_underflow 0
		.amdhsa_exception_fp_ieee_inexact 0
		.amdhsa_exception_int_div_zero 0
	.end_amdhsa_kernel
	.section	.text._ZN7rocprim17ROCPRIM_400000_NS6detail17trampoline_kernelINS0_14default_configENS1_27scan_by_key_config_selectorIiyEEZZNS1_16scan_by_key_implILNS1_25lookback_scan_determinismE0ELb0ES3_N6thrust23THRUST_200600_302600_NS6detail15normal_iteratorINS9_10device_ptrIiEEEENSB_INSC_IyEEEESG_yNS9_4plusIvEENS9_8equal_toIvEEyEE10hipError_tPvRmT2_T3_T4_T5_mT6_T7_P12ihipStream_tbENKUlT_T0_E_clISt17integral_constantIbLb1EES11_EEDaSW_SX_EUlSW_E_NS1_11comp_targetILNS1_3genE3ELNS1_11target_archE908ELNS1_3gpuE7ELNS1_3repE0EEENS1_30default_config_static_selectorELNS0_4arch9wavefront6targetE1EEEvT1_,"axG",@progbits,_ZN7rocprim17ROCPRIM_400000_NS6detail17trampoline_kernelINS0_14default_configENS1_27scan_by_key_config_selectorIiyEEZZNS1_16scan_by_key_implILNS1_25lookback_scan_determinismE0ELb0ES3_N6thrust23THRUST_200600_302600_NS6detail15normal_iteratorINS9_10device_ptrIiEEEENSB_INSC_IyEEEESG_yNS9_4plusIvEENS9_8equal_toIvEEyEE10hipError_tPvRmT2_T3_T4_T5_mT6_T7_P12ihipStream_tbENKUlT_T0_E_clISt17integral_constantIbLb1EES11_EEDaSW_SX_EUlSW_E_NS1_11comp_targetILNS1_3genE3ELNS1_11target_archE908ELNS1_3gpuE7ELNS1_3repE0EEENS1_30default_config_static_selectorELNS0_4arch9wavefront6targetE1EEEvT1_,comdat
.Lfunc_end1191:
	.size	_ZN7rocprim17ROCPRIM_400000_NS6detail17trampoline_kernelINS0_14default_configENS1_27scan_by_key_config_selectorIiyEEZZNS1_16scan_by_key_implILNS1_25lookback_scan_determinismE0ELb0ES3_N6thrust23THRUST_200600_302600_NS6detail15normal_iteratorINS9_10device_ptrIiEEEENSB_INSC_IyEEEESG_yNS9_4plusIvEENS9_8equal_toIvEEyEE10hipError_tPvRmT2_T3_T4_T5_mT6_T7_P12ihipStream_tbENKUlT_T0_E_clISt17integral_constantIbLb1EES11_EEDaSW_SX_EUlSW_E_NS1_11comp_targetILNS1_3genE3ELNS1_11target_archE908ELNS1_3gpuE7ELNS1_3repE0EEENS1_30default_config_static_selectorELNS0_4arch9wavefront6targetE1EEEvT1_, .Lfunc_end1191-_ZN7rocprim17ROCPRIM_400000_NS6detail17trampoline_kernelINS0_14default_configENS1_27scan_by_key_config_selectorIiyEEZZNS1_16scan_by_key_implILNS1_25lookback_scan_determinismE0ELb0ES3_N6thrust23THRUST_200600_302600_NS6detail15normal_iteratorINS9_10device_ptrIiEEEENSB_INSC_IyEEEESG_yNS9_4plusIvEENS9_8equal_toIvEEyEE10hipError_tPvRmT2_T3_T4_T5_mT6_T7_P12ihipStream_tbENKUlT_T0_E_clISt17integral_constantIbLb1EES11_EEDaSW_SX_EUlSW_E_NS1_11comp_targetILNS1_3genE3ELNS1_11target_archE908ELNS1_3gpuE7ELNS1_3repE0EEENS1_30default_config_static_selectorELNS0_4arch9wavefront6targetE1EEEvT1_
                                        ; -- End function
	.section	.AMDGPU.csdata,"",@progbits
; Kernel info:
; codeLenInByte = 0
; NumSgprs: 4
; NumVgprs: 0
; NumAgprs: 0
; TotalNumVgprs: 0
; ScratchSize: 0
; MemoryBound: 0
; FloatMode: 240
; IeeeMode: 1
; LDSByteSize: 0 bytes/workgroup (compile time only)
; SGPRBlocks: 0
; VGPRBlocks: 0
; NumSGPRsForWavesPerEU: 4
; NumVGPRsForWavesPerEU: 1
; AccumOffset: 4
; Occupancy: 8
; WaveLimiterHint : 0
; COMPUTE_PGM_RSRC2:SCRATCH_EN: 0
; COMPUTE_PGM_RSRC2:USER_SGPR: 6
; COMPUTE_PGM_RSRC2:TRAP_HANDLER: 0
; COMPUTE_PGM_RSRC2:TGID_X_EN: 1
; COMPUTE_PGM_RSRC2:TGID_Y_EN: 0
; COMPUTE_PGM_RSRC2:TGID_Z_EN: 0
; COMPUTE_PGM_RSRC2:TIDIG_COMP_CNT: 0
; COMPUTE_PGM_RSRC3_GFX90A:ACCUM_OFFSET: 0
; COMPUTE_PGM_RSRC3_GFX90A:TG_SPLIT: 0
	.section	.text._ZN7rocprim17ROCPRIM_400000_NS6detail17trampoline_kernelINS0_14default_configENS1_27scan_by_key_config_selectorIiyEEZZNS1_16scan_by_key_implILNS1_25lookback_scan_determinismE0ELb0ES3_N6thrust23THRUST_200600_302600_NS6detail15normal_iteratorINS9_10device_ptrIiEEEENSB_INSC_IyEEEESG_yNS9_4plusIvEENS9_8equal_toIvEEyEE10hipError_tPvRmT2_T3_T4_T5_mT6_T7_P12ihipStream_tbENKUlT_T0_E_clISt17integral_constantIbLb1EES11_EEDaSW_SX_EUlSW_E_NS1_11comp_targetILNS1_3genE2ELNS1_11target_archE906ELNS1_3gpuE6ELNS1_3repE0EEENS1_30default_config_static_selectorELNS0_4arch9wavefront6targetE1EEEvT1_,"axG",@progbits,_ZN7rocprim17ROCPRIM_400000_NS6detail17trampoline_kernelINS0_14default_configENS1_27scan_by_key_config_selectorIiyEEZZNS1_16scan_by_key_implILNS1_25lookback_scan_determinismE0ELb0ES3_N6thrust23THRUST_200600_302600_NS6detail15normal_iteratorINS9_10device_ptrIiEEEENSB_INSC_IyEEEESG_yNS9_4plusIvEENS9_8equal_toIvEEyEE10hipError_tPvRmT2_T3_T4_T5_mT6_T7_P12ihipStream_tbENKUlT_T0_E_clISt17integral_constantIbLb1EES11_EEDaSW_SX_EUlSW_E_NS1_11comp_targetILNS1_3genE2ELNS1_11target_archE906ELNS1_3gpuE6ELNS1_3repE0EEENS1_30default_config_static_selectorELNS0_4arch9wavefront6targetE1EEEvT1_,comdat
	.protected	_ZN7rocprim17ROCPRIM_400000_NS6detail17trampoline_kernelINS0_14default_configENS1_27scan_by_key_config_selectorIiyEEZZNS1_16scan_by_key_implILNS1_25lookback_scan_determinismE0ELb0ES3_N6thrust23THRUST_200600_302600_NS6detail15normal_iteratorINS9_10device_ptrIiEEEENSB_INSC_IyEEEESG_yNS9_4plusIvEENS9_8equal_toIvEEyEE10hipError_tPvRmT2_T3_T4_T5_mT6_T7_P12ihipStream_tbENKUlT_T0_E_clISt17integral_constantIbLb1EES11_EEDaSW_SX_EUlSW_E_NS1_11comp_targetILNS1_3genE2ELNS1_11target_archE906ELNS1_3gpuE6ELNS1_3repE0EEENS1_30default_config_static_selectorELNS0_4arch9wavefront6targetE1EEEvT1_ ; -- Begin function _ZN7rocprim17ROCPRIM_400000_NS6detail17trampoline_kernelINS0_14default_configENS1_27scan_by_key_config_selectorIiyEEZZNS1_16scan_by_key_implILNS1_25lookback_scan_determinismE0ELb0ES3_N6thrust23THRUST_200600_302600_NS6detail15normal_iteratorINS9_10device_ptrIiEEEENSB_INSC_IyEEEESG_yNS9_4plusIvEENS9_8equal_toIvEEyEE10hipError_tPvRmT2_T3_T4_T5_mT6_T7_P12ihipStream_tbENKUlT_T0_E_clISt17integral_constantIbLb1EES11_EEDaSW_SX_EUlSW_E_NS1_11comp_targetILNS1_3genE2ELNS1_11target_archE906ELNS1_3gpuE6ELNS1_3repE0EEENS1_30default_config_static_selectorELNS0_4arch9wavefront6targetE1EEEvT1_
	.globl	_ZN7rocprim17ROCPRIM_400000_NS6detail17trampoline_kernelINS0_14default_configENS1_27scan_by_key_config_selectorIiyEEZZNS1_16scan_by_key_implILNS1_25lookback_scan_determinismE0ELb0ES3_N6thrust23THRUST_200600_302600_NS6detail15normal_iteratorINS9_10device_ptrIiEEEENSB_INSC_IyEEEESG_yNS9_4plusIvEENS9_8equal_toIvEEyEE10hipError_tPvRmT2_T3_T4_T5_mT6_T7_P12ihipStream_tbENKUlT_T0_E_clISt17integral_constantIbLb1EES11_EEDaSW_SX_EUlSW_E_NS1_11comp_targetILNS1_3genE2ELNS1_11target_archE906ELNS1_3gpuE6ELNS1_3repE0EEENS1_30default_config_static_selectorELNS0_4arch9wavefront6targetE1EEEvT1_
	.p2align	8
	.type	_ZN7rocprim17ROCPRIM_400000_NS6detail17trampoline_kernelINS0_14default_configENS1_27scan_by_key_config_selectorIiyEEZZNS1_16scan_by_key_implILNS1_25lookback_scan_determinismE0ELb0ES3_N6thrust23THRUST_200600_302600_NS6detail15normal_iteratorINS9_10device_ptrIiEEEENSB_INSC_IyEEEESG_yNS9_4plusIvEENS9_8equal_toIvEEyEE10hipError_tPvRmT2_T3_T4_T5_mT6_T7_P12ihipStream_tbENKUlT_T0_E_clISt17integral_constantIbLb1EES11_EEDaSW_SX_EUlSW_E_NS1_11comp_targetILNS1_3genE2ELNS1_11target_archE906ELNS1_3gpuE6ELNS1_3repE0EEENS1_30default_config_static_selectorELNS0_4arch9wavefront6targetE1EEEvT1_,@function
_ZN7rocprim17ROCPRIM_400000_NS6detail17trampoline_kernelINS0_14default_configENS1_27scan_by_key_config_selectorIiyEEZZNS1_16scan_by_key_implILNS1_25lookback_scan_determinismE0ELb0ES3_N6thrust23THRUST_200600_302600_NS6detail15normal_iteratorINS9_10device_ptrIiEEEENSB_INSC_IyEEEESG_yNS9_4plusIvEENS9_8equal_toIvEEyEE10hipError_tPvRmT2_T3_T4_T5_mT6_T7_P12ihipStream_tbENKUlT_T0_E_clISt17integral_constantIbLb1EES11_EEDaSW_SX_EUlSW_E_NS1_11comp_targetILNS1_3genE2ELNS1_11target_archE906ELNS1_3gpuE6ELNS1_3repE0EEENS1_30default_config_static_selectorELNS0_4arch9wavefront6targetE1EEEvT1_: ; @_ZN7rocprim17ROCPRIM_400000_NS6detail17trampoline_kernelINS0_14default_configENS1_27scan_by_key_config_selectorIiyEEZZNS1_16scan_by_key_implILNS1_25lookback_scan_determinismE0ELb0ES3_N6thrust23THRUST_200600_302600_NS6detail15normal_iteratorINS9_10device_ptrIiEEEENSB_INSC_IyEEEESG_yNS9_4plusIvEENS9_8equal_toIvEEyEE10hipError_tPvRmT2_T3_T4_T5_mT6_T7_P12ihipStream_tbENKUlT_T0_E_clISt17integral_constantIbLb1EES11_EEDaSW_SX_EUlSW_E_NS1_11comp_targetILNS1_3genE2ELNS1_11target_archE906ELNS1_3gpuE6ELNS1_3repE0EEENS1_30default_config_static_selectorELNS0_4arch9wavefront6targetE1EEEvT1_
; %bb.0:
	.section	.rodata,"a",@progbits
	.p2align	6, 0x0
	.amdhsa_kernel _ZN7rocprim17ROCPRIM_400000_NS6detail17trampoline_kernelINS0_14default_configENS1_27scan_by_key_config_selectorIiyEEZZNS1_16scan_by_key_implILNS1_25lookback_scan_determinismE0ELb0ES3_N6thrust23THRUST_200600_302600_NS6detail15normal_iteratorINS9_10device_ptrIiEEEENSB_INSC_IyEEEESG_yNS9_4plusIvEENS9_8equal_toIvEEyEE10hipError_tPvRmT2_T3_T4_T5_mT6_T7_P12ihipStream_tbENKUlT_T0_E_clISt17integral_constantIbLb1EES11_EEDaSW_SX_EUlSW_E_NS1_11comp_targetILNS1_3genE2ELNS1_11target_archE906ELNS1_3gpuE6ELNS1_3repE0EEENS1_30default_config_static_selectorELNS0_4arch9wavefront6targetE1EEEvT1_
		.amdhsa_group_segment_fixed_size 0
		.amdhsa_private_segment_fixed_size 0
		.amdhsa_kernarg_size 136
		.amdhsa_user_sgpr_count 6
		.amdhsa_user_sgpr_private_segment_buffer 1
		.amdhsa_user_sgpr_dispatch_ptr 0
		.amdhsa_user_sgpr_queue_ptr 0
		.amdhsa_user_sgpr_kernarg_segment_ptr 1
		.amdhsa_user_sgpr_dispatch_id 0
		.amdhsa_user_sgpr_flat_scratch_init 0
		.amdhsa_user_sgpr_kernarg_preload_length 0
		.amdhsa_user_sgpr_kernarg_preload_offset 0
		.amdhsa_user_sgpr_private_segment_size 0
		.amdhsa_uses_dynamic_stack 0
		.amdhsa_system_sgpr_private_segment_wavefront_offset 0
		.amdhsa_system_sgpr_workgroup_id_x 1
		.amdhsa_system_sgpr_workgroup_id_y 0
		.amdhsa_system_sgpr_workgroup_id_z 0
		.amdhsa_system_sgpr_workgroup_info 0
		.amdhsa_system_vgpr_workitem_id 0
		.amdhsa_next_free_vgpr 1
		.amdhsa_next_free_sgpr 0
		.amdhsa_accum_offset 4
		.amdhsa_reserve_vcc 0
		.amdhsa_reserve_flat_scratch 0
		.amdhsa_float_round_mode_32 0
		.amdhsa_float_round_mode_16_64 0
		.amdhsa_float_denorm_mode_32 3
		.amdhsa_float_denorm_mode_16_64 3
		.amdhsa_dx10_clamp 1
		.amdhsa_ieee_mode 1
		.amdhsa_fp16_overflow 0
		.amdhsa_tg_split 0
		.amdhsa_exception_fp_ieee_invalid_op 0
		.amdhsa_exception_fp_denorm_src 0
		.amdhsa_exception_fp_ieee_div_zero 0
		.amdhsa_exception_fp_ieee_overflow 0
		.amdhsa_exception_fp_ieee_underflow 0
		.amdhsa_exception_fp_ieee_inexact 0
		.amdhsa_exception_int_div_zero 0
	.end_amdhsa_kernel
	.section	.text._ZN7rocprim17ROCPRIM_400000_NS6detail17trampoline_kernelINS0_14default_configENS1_27scan_by_key_config_selectorIiyEEZZNS1_16scan_by_key_implILNS1_25lookback_scan_determinismE0ELb0ES3_N6thrust23THRUST_200600_302600_NS6detail15normal_iteratorINS9_10device_ptrIiEEEENSB_INSC_IyEEEESG_yNS9_4plusIvEENS9_8equal_toIvEEyEE10hipError_tPvRmT2_T3_T4_T5_mT6_T7_P12ihipStream_tbENKUlT_T0_E_clISt17integral_constantIbLb1EES11_EEDaSW_SX_EUlSW_E_NS1_11comp_targetILNS1_3genE2ELNS1_11target_archE906ELNS1_3gpuE6ELNS1_3repE0EEENS1_30default_config_static_selectorELNS0_4arch9wavefront6targetE1EEEvT1_,"axG",@progbits,_ZN7rocprim17ROCPRIM_400000_NS6detail17trampoline_kernelINS0_14default_configENS1_27scan_by_key_config_selectorIiyEEZZNS1_16scan_by_key_implILNS1_25lookback_scan_determinismE0ELb0ES3_N6thrust23THRUST_200600_302600_NS6detail15normal_iteratorINS9_10device_ptrIiEEEENSB_INSC_IyEEEESG_yNS9_4plusIvEENS9_8equal_toIvEEyEE10hipError_tPvRmT2_T3_T4_T5_mT6_T7_P12ihipStream_tbENKUlT_T0_E_clISt17integral_constantIbLb1EES11_EEDaSW_SX_EUlSW_E_NS1_11comp_targetILNS1_3genE2ELNS1_11target_archE906ELNS1_3gpuE6ELNS1_3repE0EEENS1_30default_config_static_selectorELNS0_4arch9wavefront6targetE1EEEvT1_,comdat
.Lfunc_end1192:
	.size	_ZN7rocprim17ROCPRIM_400000_NS6detail17trampoline_kernelINS0_14default_configENS1_27scan_by_key_config_selectorIiyEEZZNS1_16scan_by_key_implILNS1_25lookback_scan_determinismE0ELb0ES3_N6thrust23THRUST_200600_302600_NS6detail15normal_iteratorINS9_10device_ptrIiEEEENSB_INSC_IyEEEESG_yNS9_4plusIvEENS9_8equal_toIvEEyEE10hipError_tPvRmT2_T3_T4_T5_mT6_T7_P12ihipStream_tbENKUlT_T0_E_clISt17integral_constantIbLb1EES11_EEDaSW_SX_EUlSW_E_NS1_11comp_targetILNS1_3genE2ELNS1_11target_archE906ELNS1_3gpuE6ELNS1_3repE0EEENS1_30default_config_static_selectorELNS0_4arch9wavefront6targetE1EEEvT1_, .Lfunc_end1192-_ZN7rocprim17ROCPRIM_400000_NS6detail17trampoline_kernelINS0_14default_configENS1_27scan_by_key_config_selectorIiyEEZZNS1_16scan_by_key_implILNS1_25lookback_scan_determinismE0ELb0ES3_N6thrust23THRUST_200600_302600_NS6detail15normal_iteratorINS9_10device_ptrIiEEEENSB_INSC_IyEEEESG_yNS9_4plusIvEENS9_8equal_toIvEEyEE10hipError_tPvRmT2_T3_T4_T5_mT6_T7_P12ihipStream_tbENKUlT_T0_E_clISt17integral_constantIbLb1EES11_EEDaSW_SX_EUlSW_E_NS1_11comp_targetILNS1_3genE2ELNS1_11target_archE906ELNS1_3gpuE6ELNS1_3repE0EEENS1_30default_config_static_selectorELNS0_4arch9wavefront6targetE1EEEvT1_
                                        ; -- End function
	.section	.AMDGPU.csdata,"",@progbits
; Kernel info:
; codeLenInByte = 0
; NumSgprs: 4
; NumVgprs: 0
; NumAgprs: 0
; TotalNumVgprs: 0
; ScratchSize: 0
; MemoryBound: 0
; FloatMode: 240
; IeeeMode: 1
; LDSByteSize: 0 bytes/workgroup (compile time only)
; SGPRBlocks: 0
; VGPRBlocks: 0
; NumSGPRsForWavesPerEU: 4
; NumVGPRsForWavesPerEU: 1
; AccumOffset: 4
; Occupancy: 8
; WaveLimiterHint : 0
; COMPUTE_PGM_RSRC2:SCRATCH_EN: 0
; COMPUTE_PGM_RSRC2:USER_SGPR: 6
; COMPUTE_PGM_RSRC2:TRAP_HANDLER: 0
; COMPUTE_PGM_RSRC2:TGID_X_EN: 1
; COMPUTE_PGM_RSRC2:TGID_Y_EN: 0
; COMPUTE_PGM_RSRC2:TGID_Z_EN: 0
; COMPUTE_PGM_RSRC2:TIDIG_COMP_CNT: 0
; COMPUTE_PGM_RSRC3_GFX90A:ACCUM_OFFSET: 0
; COMPUTE_PGM_RSRC3_GFX90A:TG_SPLIT: 0
	.section	.text._ZN7rocprim17ROCPRIM_400000_NS6detail17trampoline_kernelINS0_14default_configENS1_27scan_by_key_config_selectorIiyEEZZNS1_16scan_by_key_implILNS1_25lookback_scan_determinismE0ELb0ES3_N6thrust23THRUST_200600_302600_NS6detail15normal_iteratorINS9_10device_ptrIiEEEENSB_INSC_IyEEEESG_yNS9_4plusIvEENS9_8equal_toIvEEyEE10hipError_tPvRmT2_T3_T4_T5_mT6_T7_P12ihipStream_tbENKUlT_T0_E_clISt17integral_constantIbLb1EES11_EEDaSW_SX_EUlSW_E_NS1_11comp_targetILNS1_3genE10ELNS1_11target_archE1200ELNS1_3gpuE4ELNS1_3repE0EEENS1_30default_config_static_selectorELNS0_4arch9wavefront6targetE1EEEvT1_,"axG",@progbits,_ZN7rocprim17ROCPRIM_400000_NS6detail17trampoline_kernelINS0_14default_configENS1_27scan_by_key_config_selectorIiyEEZZNS1_16scan_by_key_implILNS1_25lookback_scan_determinismE0ELb0ES3_N6thrust23THRUST_200600_302600_NS6detail15normal_iteratorINS9_10device_ptrIiEEEENSB_INSC_IyEEEESG_yNS9_4plusIvEENS9_8equal_toIvEEyEE10hipError_tPvRmT2_T3_T4_T5_mT6_T7_P12ihipStream_tbENKUlT_T0_E_clISt17integral_constantIbLb1EES11_EEDaSW_SX_EUlSW_E_NS1_11comp_targetILNS1_3genE10ELNS1_11target_archE1200ELNS1_3gpuE4ELNS1_3repE0EEENS1_30default_config_static_selectorELNS0_4arch9wavefront6targetE1EEEvT1_,comdat
	.protected	_ZN7rocprim17ROCPRIM_400000_NS6detail17trampoline_kernelINS0_14default_configENS1_27scan_by_key_config_selectorIiyEEZZNS1_16scan_by_key_implILNS1_25lookback_scan_determinismE0ELb0ES3_N6thrust23THRUST_200600_302600_NS6detail15normal_iteratorINS9_10device_ptrIiEEEENSB_INSC_IyEEEESG_yNS9_4plusIvEENS9_8equal_toIvEEyEE10hipError_tPvRmT2_T3_T4_T5_mT6_T7_P12ihipStream_tbENKUlT_T0_E_clISt17integral_constantIbLb1EES11_EEDaSW_SX_EUlSW_E_NS1_11comp_targetILNS1_3genE10ELNS1_11target_archE1200ELNS1_3gpuE4ELNS1_3repE0EEENS1_30default_config_static_selectorELNS0_4arch9wavefront6targetE1EEEvT1_ ; -- Begin function _ZN7rocprim17ROCPRIM_400000_NS6detail17trampoline_kernelINS0_14default_configENS1_27scan_by_key_config_selectorIiyEEZZNS1_16scan_by_key_implILNS1_25lookback_scan_determinismE0ELb0ES3_N6thrust23THRUST_200600_302600_NS6detail15normal_iteratorINS9_10device_ptrIiEEEENSB_INSC_IyEEEESG_yNS9_4plusIvEENS9_8equal_toIvEEyEE10hipError_tPvRmT2_T3_T4_T5_mT6_T7_P12ihipStream_tbENKUlT_T0_E_clISt17integral_constantIbLb1EES11_EEDaSW_SX_EUlSW_E_NS1_11comp_targetILNS1_3genE10ELNS1_11target_archE1200ELNS1_3gpuE4ELNS1_3repE0EEENS1_30default_config_static_selectorELNS0_4arch9wavefront6targetE1EEEvT1_
	.globl	_ZN7rocprim17ROCPRIM_400000_NS6detail17trampoline_kernelINS0_14default_configENS1_27scan_by_key_config_selectorIiyEEZZNS1_16scan_by_key_implILNS1_25lookback_scan_determinismE0ELb0ES3_N6thrust23THRUST_200600_302600_NS6detail15normal_iteratorINS9_10device_ptrIiEEEENSB_INSC_IyEEEESG_yNS9_4plusIvEENS9_8equal_toIvEEyEE10hipError_tPvRmT2_T3_T4_T5_mT6_T7_P12ihipStream_tbENKUlT_T0_E_clISt17integral_constantIbLb1EES11_EEDaSW_SX_EUlSW_E_NS1_11comp_targetILNS1_3genE10ELNS1_11target_archE1200ELNS1_3gpuE4ELNS1_3repE0EEENS1_30default_config_static_selectorELNS0_4arch9wavefront6targetE1EEEvT1_
	.p2align	8
	.type	_ZN7rocprim17ROCPRIM_400000_NS6detail17trampoline_kernelINS0_14default_configENS1_27scan_by_key_config_selectorIiyEEZZNS1_16scan_by_key_implILNS1_25lookback_scan_determinismE0ELb0ES3_N6thrust23THRUST_200600_302600_NS6detail15normal_iteratorINS9_10device_ptrIiEEEENSB_INSC_IyEEEESG_yNS9_4plusIvEENS9_8equal_toIvEEyEE10hipError_tPvRmT2_T3_T4_T5_mT6_T7_P12ihipStream_tbENKUlT_T0_E_clISt17integral_constantIbLb1EES11_EEDaSW_SX_EUlSW_E_NS1_11comp_targetILNS1_3genE10ELNS1_11target_archE1200ELNS1_3gpuE4ELNS1_3repE0EEENS1_30default_config_static_selectorELNS0_4arch9wavefront6targetE1EEEvT1_,@function
_ZN7rocprim17ROCPRIM_400000_NS6detail17trampoline_kernelINS0_14default_configENS1_27scan_by_key_config_selectorIiyEEZZNS1_16scan_by_key_implILNS1_25lookback_scan_determinismE0ELb0ES3_N6thrust23THRUST_200600_302600_NS6detail15normal_iteratorINS9_10device_ptrIiEEEENSB_INSC_IyEEEESG_yNS9_4plusIvEENS9_8equal_toIvEEyEE10hipError_tPvRmT2_T3_T4_T5_mT6_T7_P12ihipStream_tbENKUlT_T0_E_clISt17integral_constantIbLb1EES11_EEDaSW_SX_EUlSW_E_NS1_11comp_targetILNS1_3genE10ELNS1_11target_archE1200ELNS1_3gpuE4ELNS1_3repE0EEENS1_30default_config_static_selectorELNS0_4arch9wavefront6targetE1EEEvT1_: ; @_ZN7rocprim17ROCPRIM_400000_NS6detail17trampoline_kernelINS0_14default_configENS1_27scan_by_key_config_selectorIiyEEZZNS1_16scan_by_key_implILNS1_25lookback_scan_determinismE0ELb0ES3_N6thrust23THRUST_200600_302600_NS6detail15normal_iteratorINS9_10device_ptrIiEEEENSB_INSC_IyEEEESG_yNS9_4plusIvEENS9_8equal_toIvEEyEE10hipError_tPvRmT2_T3_T4_T5_mT6_T7_P12ihipStream_tbENKUlT_T0_E_clISt17integral_constantIbLb1EES11_EEDaSW_SX_EUlSW_E_NS1_11comp_targetILNS1_3genE10ELNS1_11target_archE1200ELNS1_3gpuE4ELNS1_3repE0EEENS1_30default_config_static_selectorELNS0_4arch9wavefront6targetE1EEEvT1_
; %bb.0:
	.section	.rodata,"a",@progbits
	.p2align	6, 0x0
	.amdhsa_kernel _ZN7rocprim17ROCPRIM_400000_NS6detail17trampoline_kernelINS0_14default_configENS1_27scan_by_key_config_selectorIiyEEZZNS1_16scan_by_key_implILNS1_25lookback_scan_determinismE0ELb0ES3_N6thrust23THRUST_200600_302600_NS6detail15normal_iteratorINS9_10device_ptrIiEEEENSB_INSC_IyEEEESG_yNS9_4plusIvEENS9_8equal_toIvEEyEE10hipError_tPvRmT2_T3_T4_T5_mT6_T7_P12ihipStream_tbENKUlT_T0_E_clISt17integral_constantIbLb1EES11_EEDaSW_SX_EUlSW_E_NS1_11comp_targetILNS1_3genE10ELNS1_11target_archE1200ELNS1_3gpuE4ELNS1_3repE0EEENS1_30default_config_static_selectorELNS0_4arch9wavefront6targetE1EEEvT1_
		.amdhsa_group_segment_fixed_size 0
		.amdhsa_private_segment_fixed_size 0
		.amdhsa_kernarg_size 136
		.amdhsa_user_sgpr_count 6
		.amdhsa_user_sgpr_private_segment_buffer 1
		.amdhsa_user_sgpr_dispatch_ptr 0
		.amdhsa_user_sgpr_queue_ptr 0
		.amdhsa_user_sgpr_kernarg_segment_ptr 1
		.amdhsa_user_sgpr_dispatch_id 0
		.amdhsa_user_sgpr_flat_scratch_init 0
		.amdhsa_user_sgpr_kernarg_preload_length 0
		.amdhsa_user_sgpr_kernarg_preload_offset 0
		.amdhsa_user_sgpr_private_segment_size 0
		.amdhsa_uses_dynamic_stack 0
		.amdhsa_system_sgpr_private_segment_wavefront_offset 0
		.amdhsa_system_sgpr_workgroup_id_x 1
		.amdhsa_system_sgpr_workgroup_id_y 0
		.amdhsa_system_sgpr_workgroup_id_z 0
		.amdhsa_system_sgpr_workgroup_info 0
		.amdhsa_system_vgpr_workitem_id 0
		.amdhsa_next_free_vgpr 1
		.amdhsa_next_free_sgpr 0
		.amdhsa_accum_offset 4
		.amdhsa_reserve_vcc 0
		.amdhsa_reserve_flat_scratch 0
		.amdhsa_float_round_mode_32 0
		.amdhsa_float_round_mode_16_64 0
		.amdhsa_float_denorm_mode_32 3
		.amdhsa_float_denorm_mode_16_64 3
		.amdhsa_dx10_clamp 1
		.amdhsa_ieee_mode 1
		.amdhsa_fp16_overflow 0
		.amdhsa_tg_split 0
		.amdhsa_exception_fp_ieee_invalid_op 0
		.amdhsa_exception_fp_denorm_src 0
		.amdhsa_exception_fp_ieee_div_zero 0
		.amdhsa_exception_fp_ieee_overflow 0
		.amdhsa_exception_fp_ieee_underflow 0
		.amdhsa_exception_fp_ieee_inexact 0
		.amdhsa_exception_int_div_zero 0
	.end_amdhsa_kernel
	.section	.text._ZN7rocprim17ROCPRIM_400000_NS6detail17trampoline_kernelINS0_14default_configENS1_27scan_by_key_config_selectorIiyEEZZNS1_16scan_by_key_implILNS1_25lookback_scan_determinismE0ELb0ES3_N6thrust23THRUST_200600_302600_NS6detail15normal_iteratorINS9_10device_ptrIiEEEENSB_INSC_IyEEEESG_yNS9_4plusIvEENS9_8equal_toIvEEyEE10hipError_tPvRmT2_T3_T4_T5_mT6_T7_P12ihipStream_tbENKUlT_T0_E_clISt17integral_constantIbLb1EES11_EEDaSW_SX_EUlSW_E_NS1_11comp_targetILNS1_3genE10ELNS1_11target_archE1200ELNS1_3gpuE4ELNS1_3repE0EEENS1_30default_config_static_selectorELNS0_4arch9wavefront6targetE1EEEvT1_,"axG",@progbits,_ZN7rocprim17ROCPRIM_400000_NS6detail17trampoline_kernelINS0_14default_configENS1_27scan_by_key_config_selectorIiyEEZZNS1_16scan_by_key_implILNS1_25lookback_scan_determinismE0ELb0ES3_N6thrust23THRUST_200600_302600_NS6detail15normal_iteratorINS9_10device_ptrIiEEEENSB_INSC_IyEEEESG_yNS9_4plusIvEENS9_8equal_toIvEEyEE10hipError_tPvRmT2_T3_T4_T5_mT6_T7_P12ihipStream_tbENKUlT_T0_E_clISt17integral_constantIbLb1EES11_EEDaSW_SX_EUlSW_E_NS1_11comp_targetILNS1_3genE10ELNS1_11target_archE1200ELNS1_3gpuE4ELNS1_3repE0EEENS1_30default_config_static_selectorELNS0_4arch9wavefront6targetE1EEEvT1_,comdat
.Lfunc_end1193:
	.size	_ZN7rocprim17ROCPRIM_400000_NS6detail17trampoline_kernelINS0_14default_configENS1_27scan_by_key_config_selectorIiyEEZZNS1_16scan_by_key_implILNS1_25lookback_scan_determinismE0ELb0ES3_N6thrust23THRUST_200600_302600_NS6detail15normal_iteratorINS9_10device_ptrIiEEEENSB_INSC_IyEEEESG_yNS9_4plusIvEENS9_8equal_toIvEEyEE10hipError_tPvRmT2_T3_T4_T5_mT6_T7_P12ihipStream_tbENKUlT_T0_E_clISt17integral_constantIbLb1EES11_EEDaSW_SX_EUlSW_E_NS1_11comp_targetILNS1_3genE10ELNS1_11target_archE1200ELNS1_3gpuE4ELNS1_3repE0EEENS1_30default_config_static_selectorELNS0_4arch9wavefront6targetE1EEEvT1_, .Lfunc_end1193-_ZN7rocprim17ROCPRIM_400000_NS6detail17trampoline_kernelINS0_14default_configENS1_27scan_by_key_config_selectorIiyEEZZNS1_16scan_by_key_implILNS1_25lookback_scan_determinismE0ELb0ES3_N6thrust23THRUST_200600_302600_NS6detail15normal_iteratorINS9_10device_ptrIiEEEENSB_INSC_IyEEEESG_yNS9_4plusIvEENS9_8equal_toIvEEyEE10hipError_tPvRmT2_T3_T4_T5_mT6_T7_P12ihipStream_tbENKUlT_T0_E_clISt17integral_constantIbLb1EES11_EEDaSW_SX_EUlSW_E_NS1_11comp_targetILNS1_3genE10ELNS1_11target_archE1200ELNS1_3gpuE4ELNS1_3repE0EEENS1_30default_config_static_selectorELNS0_4arch9wavefront6targetE1EEEvT1_
                                        ; -- End function
	.section	.AMDGPU.csdata,"",@progbits
; Kernel info:
; codeLenInByte = 0
; NumSgprs: 4
; NumVgprs: 0
; NumAgprs: 0
; TotalNumVgprs: 0
; ScratchSize: 0
; MemoryBound: 0
; FloatMode: 240
; IeeeMode: 1
; LDSByteSize: 0 bytes/workgroup (compile time only)
; SGPRBlocks: 0
; VGPRBlocks: 0
; NumSGPRsForWavesPerEU: 4
; NumVGPRsForWavesPerEU: 1
; AccumOffset: 4
; Occupancy: 8
; WaveLimiterHint : 0
; COMPUTE_PGM_RSRC2:SCRATCH_EN: 0
; COMPUTE_PGM_RSRC2:USER_SGPR: 6
; COMPUTE_PGM_RSRC2:TRAP_HANDLER: 0
; COMPUTE_PGM_RSRC2:TGID_X_EN: 1
; COMPUTE_PGM_RSRC2:TGID_Y_EN: 0
; COMPUTE_PGM_RSRC2:TGID_Z_EN: 0
; COMPUTE_PGM_RSRC2:TIDIG_COMP_CNT: 0
; COMPUTE_PGM_RSRC3_GFX90A:ACCUM_OFFSET: 0
; COMPUTE_PGM_RSRC3_GFX90A:TG_SPLIT: 0
	.section	.text._ZN7rocprim17ROCPRIM_400000_NS6detail17trampoline_kernelINS0_14default_configENS1_27scan_by_key_config_selectorIiyEEZZNS1_16scan_by_key_implILNS1_25lookback_scan_determinismE0ELb0ES3_N6thrust23THRUST_200600_302600_NS6detail15normal_iteratorINS9_10device_ptrIiEEEENSB_INSC_IyEEEESG_yNS9_4plusIvEENS9_8equal_toIvEEyEE10hipError_tPvRmT2_T3_T4_T5_mT6_T7_P12ihipStream_tbENKUlT_T0_E_clISt17integral_constantIbLb1EES11_EEDaSW_SX_EUlSW_E_NS1_11comp_targetILNS1_3genE9ELNS1_11target_archE1100ELNS1_3gpuE3ELNS1_3repE0EEENS1_30default_config_static_selectorELNS0_4arch9wavefront6targetE1EEEvT1_,"axG",@progbits,_ZN7rocprim17ROCPRIM_400000_NS6detail17trampoline_kernelINS0_14default_configENS1_27scan_by_key_config_selectorIiyEEZZNS1_16scan_by_key_implILNS1_25lookback_scan_determinismE0ELb0ES3_N6thrust23THRUST_200600_302600_NS6detail15normal_iteratorINS9_10device_ptrIiEEEENSB_INSC_IyEEEESG_yNS9_4plusIvEENS9_8equal_toIvEEyEE10hipError_tPvRmT2_T3_T4_T5_mT6_T7_P12ihipStream_tbENKUlT_T0_E_clISt17integral_constantIbLb1EES11_EEDaSW_SX_EUlSW_E_NS1_11comp_targetILNS1_3genE9ELNS1_11target_archE1100ELNS1_3gpuE3ELNS1_3repE0EEENS1_30default_config_static_selectorELNS0_4arch9wavefront6targetE1EEEvT1_,comdat
	.protected	_ZN7rocprim17ROCPRIM_400000_NS6detail17trampoline_kernelINS0_14default_configENS1_27scan_by_key_config_selectorIiyEEZZNS1_16scan_by_key_implILNS1_25lookback_scan_determinismE0ELb0ES3_N6thrust23THRUST_200600_302600_NS6detail15normal_iteratorINS9_10device_ptrIiEEEENSB_INSC_IyEEEESG_yNS9_4plusIvEENS9_8equal_toIvEEyEE10hipError_tPvRmT2_T3_T4_T5_mT6_T7_P12ihipStream_tbENKUlT_T0_E_clISt17integral_constantIbLb1EES11_EEDaSW_SX_EUlSW_E_NS1_11comp_targetILNS1_3genE9ELNS1_11target_archE1100ELNS1_3gpuE3ELNS1_3repE0EEENS1_30default_config_static_selectorELNS0_4arch9wavefront6targetE1EEEvT1_ ; -- Begin function _ZN7rocprim17ROCPRIM_400000_NS6detail17trampoline_kernelINS0_14default_configENS1_27scan_by_key_config_selectorIiyEEZZNS1_16scan_by_key_implILNS1_25lookback_scan_determinismE0ELb0ES3_N6thrust23THRUST_200600_302600_NS6detail15normal_iteratorINS9_10device_ptrIiEEEENSB_INSC_IyEEEESG_yNS9_4plusIvEENS9_8equal_toIvEEyEE10hipError_tPvRmT2_T3_T4_T5_mT6_T7_P12ihipStream_tbENKUlT_T0_E_clISt17integral_constantIbLb1EES11_EEDaSW_SX_EUlSW_E_NS1_11comp_targetILNS1_3genE9ELNS1_11target_archE1100ELNS1_3gpuE3ELNS1_3repE0EEENS1_30default_config_static_selectorELNS0_4arch9wavefront6targetE1EEEvT1_
	.globl	_ZN7rocprim17ROCPRIM_400000_NS6detail17trampoline_kernelINS0_14default_configENS1_27scan_by_key_config_selectorIiyEEZZNS1_16scan_by_key_implILNS1_25lookback_scan_determinismE0ELb0ES3_N6thrust23THRUST_200600_302600_NS6detail15normal_iteratorINS9_10device_ptrIiEEEENSB_INSC_IyEEEESG_yNS9_4plusIvEENS9_8equal_toIvEEyEE10hipError_tPvRmT2_T3_T4_T5_mT6_T7_P12ihipStream_tbENKUlT_T0_E_clISt17integral_constantIbLb1EES11_EEDaSW_SX_EUlSW_E_NS1_11comp_targetILNS1_3genE9ELNS1_11target_archE1100ELNS1_3gpuE3ELNS1_3repE0EEENS1_30default_config_static_selectorELNS0_4arch9wavefront6targetE1EEEvT1_
	.p2align	8
	.type	_ZN7rocprim17ROCPRIM_400000_NS6detail17trampoline_kernelINS0_14default_configENS1_27scan_by_key_config_selectorIiyEEZZNS1_16scan_by_key_implILNS1_25lookback_scan_determinismE0ELb0ES3_N6thrust23THRUST_200600_302600_NS6detail15normal_iteratorINS9_10device_ptrIiEEEENSB_INSC_IyEEEESG_yNS9_4plusIvEENS9_8equal_toIvEEyEE10hipError_tPvRmT2_T3_T4_T5_mT6_T7_P12ihipStream_tbENKUlT_T0_E_clISt17integral_constantIbLb1EES11_EEDaSW_SX_EUlSW_E_NS1_11comp_targetILNS1_3genE9ELNS1_11target_archE1100ELNS1_3gpuE3ELNS1_3repE0EEENS1_30default_config_static_selectorELNS0_4arch9wavefront6targetE1EEEvT1_,@function
_ZN7rocprim17ROCPRIM_400000_NS6detail17trampoline_kernelINS0_14default_configENS1_27scan_by_key_config_selectorIiyEEZZNS1_16scan_by_key_implILNS1_25lookback_scan_determinismE0ELb0ES3_N6thrust23THRUST_200600_302600_NS6detail15normal_iteratorINS9_10device_ptrIiEEEENSB_INSC_IyEEEESG_yNS9_4plusIvEENS9_8equal_toIvEEyEE10hipError_tPvRmT2_T3_T4_T5_mT6_T7_P12ihipStream_tbENKUlT_T0_E_clISt17integral_constantIbLb1EES11_EEDaSW_SX_EUlSW_E_NS1_11comp_targetILNS1_3genE9ELNS1_11target_archE1100ELNS1_3gpuE3ELNS1_3repE0EEENS1_30default_config_static_selectorELNS0_4arch9wavefront6targetE1EEEvT1_: ; @_ZN7rocprim17ROCPRIM_400000_NS6detail17trampoline_kernelINS0_14default_configENS1_27scan_by_key_config_selectorIiyEEZZNS1_16scan_by_key_implILNS1_25lookback_scan_determinismE0ELb0ES3_N6thrust23THRUST_200600_302600_NS6detail15normal_iteratorINS9_10device_ptrIiEEEENSB_INSC_IyEEEESG_yNS9_4plusIvEENS9_8equal_toIvEEyEE10hipError_tPvRmT2_T3_T4_T5_mT6_T7_P12ihipStream_tbENKUlT_T0_E_clISt17integral_constantIbLb1EES11_EEDaSW_SX_EUlSW_E_NS1_11comp_targetILNS1_3genE9ELNS1_11target_archE1100ELNS1_3gpuE3ELNS1_3repE0EEENS1_30default_config_static_selectorELNS0_4arch9wavefront6targetE1EEEvT1_
; %bb.0:
	.section	.rodata,"a",@progbits
	.p2align	6, 0x0
	.amdhsa_kernel _ZN7rocprim17ROCPRIM_400000_NS6detail17trampoline_kernelINS0_14default_configENS1_27scan_by_key_config_selectorIiyEEZZNS1_16scan_by_key_implILNS1_25lookback_scan_determinismE0ELb0ES3_N6thrust23THRUST_200600_302600_NS6detail15normal_iteratorINS9_10device_ptrIiEEEENSB_INSC_IyEEEESG_yNS9_4plusIvEENS9_8equal_toIvEEyEE10hipError_tPvRmT2_T3_T4_T5_mT6_T7_P12ihipStream_tbENKUlT_T0_E_clISt17integral_constantIbLb1EES11_EEDaSW_SX_EUlSW_E_NS1_11comp_targetILNS1_3genE9ELNS1_11target_archE1100ELNS1_3gpuE3ELNS1_3repE0EEENS1_30default_config_static_selectorELNS0_4arch9wavefront6targetE1EEEvT1_
		.amdhsa_group_segment_fixed_size 0
		.amdhsa_private_segment_fixed_size 0
		.amdhsa_kernarg_size 136
		.amdhsa_user_sgpr_count 6
		.amdhsa_user_sgpr_private_segment_buffer 1
		.amdhsa_user_sgpr_dispatch_ptr 0
		.amdhsa_user_sgpr_queue_ptr 0
		.amdhsa_user_sgpr_kernarg_segment_ptr 1
		.amdhsa_user_sgpr_dispatch_id 0
		.amdhsa_user_sgpr_flat_scratch_init 0
		.amdhsa_user_sgpr_kernarg_preload_length 0
		.amdhsa_user_sgpr_kernarg_preload_offset 0
		.amdhsa_user_sgpr_private_segment_size 0
		.amdhsa_uses_dynamic_stack 0
		.amdhsa_system_sgpr_private_segment_wavefront_offset 0
		.amdhsa_system_sgpr_workgroup_id_x 1
		.amdhsa_system_sgpr_workgroup_id_y 0
		.amdhsa_system_sgpr_workgroup_id_z 0
		.amdhsa_system_sgpr_workgroup_info 0
		.amdhsa_system_vgpr_workitem_id 0
		.amdhsa_next_free_vgpr 1
		.amdhsa_next_free_sgpr 0
		.amdhsa_accum_offset 4
		.amdhsa_reserve_vcc 0
		.amdhsa_reserve_flat_scratch 0
		.amdhsa_float_round_mode_32 0
		.amdhsa_float_round_mode_16_64 0
		.amdhsa_float_denorm_mode_32 3
		.amdhsa_float_denorm_mode_16_64 3
		.amdhsa_dx10_clamp 1
		.amdhsa_ieee_mode 1
		.amdhsa_fp16_overflow 0
		.amdhsa_tg_split 0
		.amdhsa_exception_fp_ieee_invalid_op 0
		.amdhsa_exception_fp_denorm_src 0
		.amdhsa_exception_fp_ieee_div_zero 0
		.amdhsa_exception_fp_ieee_overflow 0
		.amdhsa_exception_fp_ieee_underflow 0
		.amdhsa_exception_fp_ieee_inexact 0
		.amdhsa_exception_int_div_zero 0
	.end_amdhsa_kernel
	.section	.text._ZN7rocprim17ROCPRIM_400000_NS6detail17trampoline_kernelINS0_14default_configENS1_27scan_by_key_config_selectorIiyEEZZNS1_16scan_by_key_implILNS1_25lookback_scan_determinismE0ELb0ES3_N6thrust23THRUST_200600_302600_NS6detail15normal_iteratorINS9_10device_ptrIiEEEENSB_INSC_IyEEEESG_yNS9_4plusIvEENS9_8equal_toIvEEyEE10hipError_tPvRmT2_T3_T4_T5_mT6_T7_P12ihipStream_tbENKUlT_T0_E_clISt17integral_constantIbLb1EES11_EEDaSW_SX_EUlSW_E_NS1_11comp_targetILNS1_3genE9ELNS1_11target_archE1100ELNS1_3gpuE3ELNS1_3repE0EEENS1_30default_config_static_selectorELNS0_4arch9wavefront6targetE1EEEvT1_,"axG",@progbits,_ZN7rocprim17ROCPRIM_400000_NS6detail17trampoline_kernelINS0_14default_configENS1_27scan_by_key_config_selectorIiyEEZZNS1_16scan_by_key_implILNS1_25lookback_scan_determinismE0ELb0ES3_N6thrust23THRUST_200600_302600_NS6detail15normal_iteratorINS9_10device_ptrIiEEEENSB_INSC_IyEEEESG_yNS9_4plusIvEENS9_8equal_toIvEEyEE10hipError_tPvRmT2_T3_T4_T5_mT6_T7_P12ihipStream_tbENKUlT_T0_E_clISt17integral_constantIbLb1EES11_EEDaSW_SX_EUlSW_E_NS1_11comp_targetILNS1_3genE9ELNS1_11target_archE1100ELNS1_3gpuE3ELNS1_3repE0EEENS1_30default_config_static_selectorELNS0_4arch9wavefront6targetE1EEEvT1_,comdat
.Lfunc_end1194:
	.size	_ZN7rocprim17ROCPRIM_400000_NS6detail17trampoline_kernelINS0_14default_configENS1_27scan_by_key_config_selectorIiyEEZZNS1_16scan_by_key_implILNS1_25lookback_scan_determinismE0ELb0ES3_N6thrust23THRUST_200600_302600_NS6detail15normal_iteratorINS9_10device_ptrIiEEEENSB_INSC_IyEEEESG_yNS9_4plusIvEENS9_8equal_toIvEEyEE10hipError_tPvRmT2_T3_T4_T5_mT6_T7_P12ihipStream_tbENKUlT_T0_E_clISt17integral_constantIbLb1EES11_EEDaSW_SX_EUlSW_E_NS1_11comp_targetILNS1_3genE9ELNS1_11target_archE1100ELNS1_3gpuE3ELNS1_3repE0EEENS1_30default_config_static_selectorELNS0_4arch9wavefront6targetE1EEEvT1_, .Lfunc_end1194-_ZN7rocprim17ROCPRIM_400000_NS6detail17trampoline_kernelINS0_14default_configENS1_27scan_by_key_config_selectorIiyEEZZNS1_16scan_by_key_implILNS1_25lookback_scan_determinismE0ELb0ES3_N6thrust23THRUST_200600_302600_NS6detail15normal_iteratorINS9_10device_ptrIiEEEENSB_INSC_IyEEEESG_yNS9_4plusIvEENS9_8equal_toIvEEyEE10hipError_tPvRmT2_T3_T4_T5_mT6_T7_P12ihipStream_tbENKUlT_T0_E_clISt17integral_constantIbLb1EES11_EEDaSW_SX_EUlSW_E_NS1_11comp_targetILNS1_3genE9ELNS1_11target_archE1100ELNS1_3gpuE3ELNS1_3repE0EEENS1_30default_config_static_selectorELNS0_4arch9wavefront6targetE1EEEvT1_
                                        ; -- End function
	.section	.AMDGPU.csdata,"",@progbits
; Kernel info:
; codeLenInByte = 0
; NumSgprs: 4
; NumVgprs: 0
; NumAgprs: 0
; TotalNumVgprs: 0
; ScratchSize: 0
; MemoryBound: 0
; FloatMode: 240
; IeeeMode: 1
; LDSByteSize: 0 bytes/workgroup (compile time only)
; SGPRBlocks: 0
; VGPRBlocks: 0
; NumSGPRsForWavesPerEU: 4
; NumVGPRsForWavesPerEU: 1
; AccumOffset: 4
; Occupancy: 8
; WaveLimiterHint : 0
; COMPUTE_PGM_RSRC2:SCRATCH_EN: 0
; COMPUTE_PGM_RSRC2:USER_SGPR: 6
; COMPUTE_PGM_RSRC2:TRAP_HANDLER: 0
; COMPUTE_PGM_RSRC2:TGID_X_EN: 1
; COMPUTE_PGM_RSRC2:TGID_Y_EN: 0
; COMPUTE_PGM_RSRC2:TGID_Z_EN: 0
; COMPUTE_PGM_RSRC2:TIDIG_COMP_CNT: 0
; COMPUTE_PGM_RSRC3_GFX90A:ACCUM_OFFSET: 0
; COMPUTE_PGM_RSRC3_GFX90A:TG_SPLIT: 0
	.section	.text._ZN7rocprim17ROCPRIM_400000_NS6detail17trampoline_kernelINS0_14default_configENS1_27scan_by_key_config_selectorIiyEEZZNS1_16scan_by_key_implILNS1_25lookback_scan_determinismE0ELb0ES3_N6thrust23THRUST_200600_302600_NS6detail15normal_iteratorINS9_10device_ptrIiEEEENSB_INSC_IyEEEESG_yNS9_4plusIvEENS9_8equal_toIvEEyEE10hipError_tPvRmT2_T3_T4_T5_mT6_T7_P12ihipStream_tbENKUlT_T0_E_clISt17integral_constantIbLb1EES11_EEDaSW_SX_EUlSW_E_NS1_11comp_targetILNS1_3genE8ELNS1_11target_archE1030ELNS1_3gpuE2ELNS1_3repE0EEENS1_30default_config_static_selectorELNS0_4arch9wavefront6targetE1EEEvT1_,"axG",@progbits,_ZN7rocprim17ROCPRIM_400000_NS6detail17trampoline_kernelINS0_14default_configENS1_27scan_by_key_config_selectorIiyEEZZNS1_16scan_by_key_implILNS1_25lookback_scan_determinismE0ELb0ES3_N6thrust23THRUST_200600_302600_NS6detail15normal_iteratorINS9_10device_ptrIiEEEENSB_INSC_IyEEEESG_yNS9_4plusIvEENS9_8equal_toIvEEyEE10hipError_tPvRmT2_T3_T4_T5_mT6_T7_P12ihipStream_tbENKUlT_T0_E_clISt17integral_constantIbLb1EES11_EEDaSW_SX_EUlSW_E_NS1_11comp_targetILNS1_3genE8ELNS1_11target_archE1030ELNS1_3gpuE2ELNS1_3repE0EEENS1_30default_config_static_selectorELNS0_4arch9wavefront6targetE1EEEvT1_,comdat
	.protected	_ZN7rocprim17ROCPRIM_400000_NS6detail17trampoline_kernelINS0_14default_configENS1_27scan_by_key_config_selectorIiyEEZZNS1_16scan_by_key_implILNS1_25lookback_scan_determinismE0ELb0ES3_N6thrust23THRUST_200600_302600_NS6detail15normal_iteratorINS9_10device_ptrIiEEEENSB_INSC_IyEEEESG_yNS9_4plusIvEENS9_8equal_toIvEEyEE10hipError_tPvRmT2_T3_T4_T5_mT6_T7_P12ihipStream_tbENKUlT_T0_E_clISt17integral_constantIbLb1EES11_EEDaSW_SX_EUlSW_E_NS1_11comp_targetILNS1_3genE8ELNS1_11target_archE1030ELNS1_3gpuE2ELNS1_3repE0EEENS1_30default_config_static_selectorELNS0_4arch9wavefront6targetE1EEEvT1_ ; -- Begin function _ZN7rocprim17ROCPRIM_400000_NS6detail17trampoline_kernelINS0_14default_configENS1_27scan_by_key_config_selectorIiyEEZZNS1_16scan_by_key_implILNS1_25lookback_scan_determinismE0ELb0ES3_N6thrust23THRUST_200600_302600_NS6detail15normal_iteratorINS9_10device_ptrIiEEEENSB_INSC_IyEEEESG_yNS9_4plusIvEENS9_8equal_toIvEEyEE10hipError_tPvRmT2_T3_T4_T5_mT6_T7_P12ihipStream_tbENKUlT_T0_E_clISt17integral_constantIbLb1EES11_EEDaSW_SX_EUlSW_E_NS1_11comp_targetILNS1_3genE8ELNS1_11target_archE1030ELNS1_3gpuE2ELNS1_3repE0EEENS1_30default_config_static_selectorELNS0_4arch9wavefront6targetE1EEEvT1_
	.globl	_ZN7rocprim17ROCPRIM_400000_NS6detail17trampoline_kernelINS0_14default_configENS1_27scan_by_key_config_selectorIiyEEZZNS1_16scan_by_key_implILNS1_25lookback_scan_determinismE0ELb0ES3_N6thrust23THRUST_200600_302600_NS6detail15normal_iteratorINS9_10device_ptrIiEEEENSB_INSC_IyEEEESG_yNS9_4plusIvEENS9_8equal_toIvEEyEE10hipError_tPvRmT2_T3_T4_T5_mT6_T7_P12ihipStream_tbENKUlT_T0_E_clISt17integral_constantIbLb1EES11_EEDaSW_SX_EUlSW_E_NS1_11comp_targetILNS1_3genE8ELNS1_11target_archE1030ELNS1_3gpuE2ELNS1_3repE0EEENS1_30default_config_static_selectorELNS0_4arch9wavefront6targetE1EEEvT1_
	.p2align	8
	.type	_ZN7rocprim17ROCPRIM_400000_NS6detail17trampoline_kernelINS0_14default_configENS1_27scan_by_key_config_selectorIiyEEZZNS1_16scan_by_key_implILNS1_25lookback_scan_determinismE0ELb0ES3_N6thrust23THRUST_200600_302600_NS6detail15normal_iteratorINS9_10device_ptrIiEEEENSB_INSC_IyEEEESG_yNS9_4plusIvEENS9_8equal_toIvEEyEE10hipError_tPvRmT2_T3_T4_T5_mT6_T7_P12ihipStream_tbENKUlT_T0_E_clISt17integral_constantIbLb1EES11_EEDaSW_SX_EUlSW_E_NS1_11comp_targetILNS1_3genE8ELNS1_11target_archE1030ELNS1_3gpuE2ELNS1_3repE0EEENS1_30default_config_static_selectorELNS0_4arch9wavefront6targetE1EEEvT1_,@function
_ZN7rocprim17ROCPRIM_400000_NS6detail17trampoline_kernelINS0_14default_configENS1_27scan_by_key_config_selectorIiyEEZZNS1_16scan_by_key_implILNS1_25lookback_scan_determinismE0ELb0ES3_N6thrust23THRUST_200600_302600_NS6detail15normal_iteratorINS9_10device_ptrIiEEEENSB_INSC_IyEEEESG_yNS9_4plusIvEENS9_8equal_toIvEEyEE10hipError_tPvRmT2_T3_T4_T5_mT6_T7_P12ihipStream_tbENKUlT_T0_E_clISt17integral_constantIbLb1EES11_EEDaSW_SX_EUlSW_E_NS1_11comp_targetILNS1_3genE8ELNS1_11target_archE1030ELNS1_3gpuE2ELNS1_3repE0EEENS1_30default_config_static_selectorELNS0_4arch9wavefront6targetE1EEEvT1_: ; @_ZN7rocprim17ROCPRIM_400000_NS6detail17trampoline_kernelINS0_14default_configENS1_27scan_by_key_config_selectorIiyEEZZNS1_16scan_by_key_implILNS1_25lookback_scan_determinismE0ELb0ES3_N6thrust23THRUST_200600_302600_NS6detail15normal_iteratorINS9_10device_ptrIiEEEENSB_INSC_IyEEEESG_yNS9_4plusIvEENS9_8equal_toIvEEyEE10hipError_tPvRmT2_T3_T4_T5_mT6_T7_P12ihipStream_tbENKUlT_T0_E_clISt17integral_constantIbLb1EES11_EEDaSW_SX_EUlSW_E_NS1_11comp_targetILNS1_3genE8ELNS1_11target_archE1030ELNS1_3gpuE2ELNS1_3repE0EEENS1_30default_config_static_selectorELNS0_4arch9wavefront6targetE1EEEvT1_
; %bb.0:
	.section	.rodata,"a",@progbits
	.p2align	6, 0x0
	.amdhsa_kernel _ZN7rocprim17ROCPRIM_400000_NS6detail17trampoline_kernelINS0_14default_configENS1_27scan_by_key_config_selectorIiyEEZZNS1_16scan_by_key_implILNS1_25lookback_scan_determinismE0ELb0ES3_N6thrust23THRUST_200600_302600_NS6detail15normal_iteratorINS9_10device_ptrIiEEEENSB_INSC_IyEEEESG_yNS9_4plusIvEENS9_8equal_toIvEEyEE10hipError_tPvRmT2_T3_T4_T5_mT6_T7_P12ihipStream_tbENKUlT_T0_E_clISt17integral_constantIbLb1EES11_EEDaSW_SX_EUlSW_E_NS1_11comp_targetILNS1_3genE8ELNS1_11target_archE1030ELNS1_3gpuE2ELNS1_3repE0EEENS1_30default_config_static_selectorELNS0_4arch9wavefront6targetE1EEEvT1_
		.amdhsa_group_segment_fixed_size 0
		.amdhsa_private_segment_fixed_size 0
		.amdhsa_kernarg_size 136
		.amdhsa_user_sgpr_count 6
		.amdhsa_user_sgpr_private_segment_buffer 1
		.amdhsa_user_sgpr_dispatch_ptr 0
		.amdhsa_user_sgpr_queue_ptr 0
		.amdhsa_user_sgpr_kernarg_segment_ptr 1
		.amdhsa_user_sgpr_dispatch_id 0
		.amdhsa_user_sgpr_flat_scratch_init 0
		.amdhsa_user_sgpr_kernarg_preload_length 0
		.amdhsa_user_sgpr_kernarg_preload_offset 0
		.amdhsa_user_sgpr_private_segment_size 0
		.amdhsa_uses_dynamic_stack 0
		.amdhsa_system_sgpr_private_segment_wavefront_offset 0
		.amdhsa_system_sgpr_workgroup_id_x 1
		.amdhsa_system_sgpr_workgroup_id_y 0
		.amdhsa_system_sgpr_workgroup_id_z 0
		.amdhsa_system_sgpr_workgroup_info 0
		.amdhsa_system_vgpr_workitem_id 0
		.amdhsa_next_free_vgpr 1
		.amdhsa_next_free_sgpr 0
		.amdhsa_accum_offset 4
		.amdhsa_reserve_vcc 0
		.amdhsa_reserve_flat_scratch 0
		.amdhsa_float_round_mode_32 0
		.amdhsa_float_round_mode_16_64 0
		.amdhsa_float_denorm_mode_32 3
		.amdhsa_float_denorm_mode_16_64 3
		.amdhsa_dx10_clamp 1
		.amdhsa_ieee_mode 1
		.amdhsa_fp16_overflow 0
		.amdhsa_tg_split 0
		.amdhsa_exception_fp_ieee_invalid_op 0
		.amdhsa_exception_fp_denorm_src 0
		.amdhsa_exception_fp_ieee_div_zero 0
		.amdhsa_exception_fp_ieee_overflow 0
		.amdhsa_exception_fp_ieee_underflow 0
		.amdhsa_exception_fp_ieee_inexact 0
		.amdhsa_exception_int_div_zero 0
	.end_amdhsa_kernel
	.section	.text._ZN7rocprim17ROCPRIM_400000_NS6detail17trampoline_kernelINS0_14default_configENS1_27scan_by_key_config_selectorIiyEEZZNS1_16scan_by_key_implILNS1_25lookback_scan_determinismE0ELb0ES3_N6thrust23THRUST_200600_302600_NS6detail15normal_iteratorINS9_10device_ptrIiEEEENSB_INSC_IyEEEESG_yNS9_4plusIvEENS9_8equal_toIvEEyEE10hipError_tPvRmT2_T3_T4_T5_mT6_T7_P12ihipStream_tbENKUlT_T0_E_clISt17integral_constantIbLb1EES11_EEDaSW_SX_EUlSW_E_NS1_11comp_targetILNS1_3genE8ELNS1_11target_archE1030ELNS1_3gpuE2ELNS1_3repE0EEENS1_30default_config_static_selectorELNS0_4arch9wavefront6targetE1EEEvT1_,"axG",@progbits,_ZN7rocprim17ROCPRIM_400000_NS6detail17trampoline_kernelINS0_14default_configENS1_27scan_by_key_config_selectorIiyEEZZNS1_16scan_by_key_implILNS1_25lookback_scan_determinismE0ELb0ES3_N6thrust23THRUST_200600_302600_NS6detail15normal_iteratorINS9_10device_ptrIiEEEENSB_INSC_IyEEEESG_yNS9_4plusIvEENS9_8equal_toIvEEyEE10hipError_tPvRmT2_T3_T4_T5_mT6_T7_P12ihipStream_tbENKUlT_T0_E_clISt17integral_constantIbLb1EES11_EEDaSW_SX_EUlSW_E_NS1_11comp_targetILNS1_3genE8ELNS1_11target_archE1030ELNS1_3gpuE2ELNS1_3repE0EEENS1_30default_config_static_selectorELNS0_4arch9wavefront6targetE1EEEvT1_,comdat
.Lfunc_end1195:
	.size	_ZN7rocprim17ROCPRIM_400000_NS6detail17trampoline_kernelINS0_14default_configENS1_27scan_by_key_config_selectorIiyEEZZNS1_16scan_by_key_implILNS1_25lookback_scan_determinismE0ELb0ES3_N6thrust23THRUST_200600_302600_NS6detail15normal_iteratorINS9_10device_ptrIiEEEENSB_INSC_IyEEEESG_yNS9_4plusIvEENS9_8equal_toIvEEyEE10hipError_tPvRmT2_T3_T4_T5_mT6_T7_P12ihipStream_tbENKUlT_T0_E_clISt17integral_constantIbLb1EES11_EEDaSW_SX_EUlSW_E_NS1_11comp_targetILNS1_3genE8ELNS1_11target_archE1030ELNS1_3gpuE2ELNS1_3repE0EEENS1_30default_config_static_selectorELNS0_4arch9wavefront6targetE1EEEvT1_, .Lfunc_end1195-_ZN7rocprim17ROCPRIM_400000_NS6detail17trampoline_kernelINS0_14default_configENS1_27scan_by_key_config_selectorIiyEEZZNS1_16scan_by_key_implILNS1_25lookback_scan_determinismE0ELb0ES3_N6thrust23THRUST_200600_302600_NS6detail15normal_iteratorINS9_10device_ptrIiEEEENSB_INSC_IyEEEESG_yNS9_4plusIvEENS9_8equal_toIvEEyEE10hipError_tPvRmT2_T3_T4_T5_mT6_T7_P12ihipStream_tbENKUlT_T0_E_clISt17integral_constantIbLb1EES11_EEDaSW_SX_EUlSW_E_NS1_11comp_targetILNS1_3genE8ELNS1_11target_archE1030ELNS1_3gpuE2ELNS1_3repE0EEENS1_30default_config_static_selectorELNS0_4arch9wavefront6targetE1EEEvT1_
                                        ; -- End function
	.section	.AMDGPU.csdata,"",@progbits
; Kernel info:
; codeLenInByte = 0
; NumSgprs: 4
; NumVgprs: 0
; NumAgprs: 0
; TotalNumVgprs: 0
; ScratchSize: 0
; MemoryBound: 0
; FloatMode: 240
; IeeeMode: 1
; LDSByteSize: 0 bytes/workgroup (compile time only)
; SGPRBlocks: 0
; VGPRBlocks: 0
; NumSGPRsForWavesPerEU: 4
; NumVGPRsForWavesPerEU: 1
; AccumOffset: 4
; Occupancy: 8
; WaveLimiterHint : 0
; COMPUTE_PGM_RSRC2:SCRATCH_EN: 0
; COMPUTE_PGM_RSRC2:USER_SGPR: 6
; COMPUTE_PGM_RSRC2:TRAP_HANDLER: 0
; COMPUTE_PGM_RSRC2:TGID_X_EN: 1
; COMPUTE_PGM_RSRC2:TGID_Y_EN: 0
; COMPUTE_PGM_RSRC2:TGID_Z_EN: 0
; COMPUTE_PGM_RSRC2:TIDIG_COMP_CNT: 0
; COMPUTE_PGM_RSRC3_GFX90A:ACCUM_OFFSET: 0
; COMPUTE_PGM_RSRC3_GFX90A:TG_SPLIT: 0
	.section	.text._ZN7rocprim17ROCPRIM_400000_NS6detail30init_device_scan_by_key_kernelINS1_19lookback_scan_stateINS0_5tupleIJybEEELb1ELb0EEEN6thrust23THRUST_200600_302600_NS6detail15normal_iteratorINS8_10device_ptrIiEEEEjNS1_16block_id_wrapperIjLb0EEEEEvT_jjPNSG_10value_typeET0_PNSt15iterator_traitsISJ_E10value_typeEmT1_T2_,"axG",@progbits,_ZN7rocprim17ROCPRIM_400000_NS6detail30init_device_scan_by_key_kernelINS1_19lookback_scan_stateINS0_5tupleIJybEEELb1ELb0EEEN6thrust23THRUST_200600_302600_NS6detail15normal_iteratorINS8_10device_ptrIiEEEEjNS1_16block_id_wrapperIjLb0EEEEEvT_jjPNSG_10value_typeET0_PNSt15iterator_traitsISJ_E10value_typeEmT1_T2_,comdat
	.protected	_ZN7rocprim17ROCPRIM_400000_NS6detail30init_device_scan_by_key_kernelINS1_19lookback_scan_stateINS0_5tupleIJybEEELb1ELb0EEEN6thrust23THRUST_200600_302600_NS6detail15normal_iteratorINS8_10device_ptrIiEEEEjNS1_16block_id_wrapperIjLb0EEEEEvT_jjPNSG_10value_typeET0_PNSt15iterator_traitsISJ_E10value_typeEmT1_T2_ ; -- Begin function _ZN7rocprim17ROCPRIM_400000_NS6detail30init_device_scan_by_key_kernelINS1_19lookback_scan_stateINS0_5tupleIJybEEELb1ELb0EEEN6thrust23THRUST_200600_302600_NS6detail15normal_iteratorINS8_10device_ptrIiEEEEjNS1_16block_id_wrapperIjLb0EEEEEvT_jjPNSG_10value_typeET0_PNSt15iterator_traitsISJ_E10value_typeEmT1_T2_
	.globl	_ZN7rocprim17ROCPRIM_400000_NS6detail30init_device_scan_by_key_kernelINS1_19lookback_scan_stateINS0_5tupleIJybEEELb1ELb0EEEN6thrust23THRUST_200600_302600_NS6detail15normal_iteratorINS8_10device_ptrIiEEEEjNS1_16block_id_wrapperIjLb0EEEEEvT_jjPNSG_10value_typeET0_PNSt15iterator_traitsISJ_E10value_typeEmT1_T2_
	.p2align	8
	.type	_ZN7rocprim17ROCPRIM_400000_NS6detail30init_device_scan_by_key_kernelINS1_19lookback_scan_stateINS0_5tupleIJybEEELb1ELb0EEEN6thrust23THRUST_200600_302600_NS6detail15normal_iteratorINS8_10device_ptrIiEEEEjNS1_16block_id_wrapperIjLb0EEEEEvT_jjPNSG_10value_typeET0_PNSt15iterator_traitsISJ_E10value_typeEmT1_T2_,@function
_ZN7rocprim17ROCPRIM_400000_NS6detail30init_device_scan_by_key_kernelINS1_19lookback_scan_stateINS0_5tupleIJybEEELb1ELb0EEEN6thrust23THRUST_200600_302600_NS6detail15normal_iteratorINS8_10device_ptrIiEEEEjNS1_16block_id_wrapperIjLb0EEEEEvT_jjPNSG_10value_typeET0_PNSt15iterator_traitsISJ_E10value_typeEmT1_T2_: ; @_ZN7rocprim17ROCPRIM_400000_NS6detail30init_device_scan_by_key_kernelINS1_19lookback_scan_stateINS0_5tupleIJybEEELb1ELb0EEEN6thrust23THRUST_200600_302600_NS6detail15normal_iteratorINS8_10device_ptrIiEEEEjNS1_16block_id_wrapperIjLb0EEEEEvT_jjPNSG_10value_typeET0_PNSt15iterator_traitsISJ_E10value_typeEmT1_T2_
; %bb.0:
	s_load_dword s0, s[4:5], 0x54
	s_load_dwordx8 s[8:15], s[4:5], 0x10
	s_load_dword s20, s[4:5], 0x48
	s_waitcnt lgkmcnt(0)
	s_and_b32 s21, s0, 0xffff
	s_mul_i32 s6, s6, s21
	s_cmp_eq_u64 s[12:13], 0
	v_add_u32_e32 v0, s6, v0
	s_cbranch_scc1 .LBB1196_11
; %bb.1:
	s_cmp_lt_u32 s11, s10
	s_cselect_b32 s0, s11, 0
	s_mov_b32 s17, 0
	v_cmp_eq_u32_e32 vcc, s0, v0
	s_and_saveexec_b64 s[6:7], vcc
	s_cbranch_execz .LBB1196_10
; %bb.2:
	s_add_i32 s16, s11, 64
	v_mov_b32_e32 v1, s16
	global_load_ubyte v1, v1, s[8:9] glc
	s_load_dwordx4 s[0:3], s[4:5], 0x0
	s_add_u32 s18, s8, s16
	s_addc_u32 s19, s9, 0
	s_waitcnt vmcnt(0)
	v_cmp_ne_u16_e32 vcc, 0, v1
	v_readfirstlane_b32 s11, v1
	s_cbranch_vccz .LBB1196_4
; %bb.3:
	s_and_b32 s11, 0xffff, s11
	s_branch .LBB1196_9
.LBB1196_4:
	s_mov_b32 s11, 1
	v_mov_b32_e32 v1, 0
.LBB1196_5:                             ; =>This Loop Header: Depth=1
                                        ;     Child Loop BB1196_6 Depth 2
	s_max_u32 s22, s11, 1
.LBB1196_6:                             ;   Parent Loop BB1196_5 Depth=1
                                        ; =>  This Inner Loop Header: Depth=2
	s_add_i32 s22, s22, -1
	s_cmp_eq_u32 s22, 0
	s_sleep 1
	s_cbranch_scc0 .LBB1196_6
; %bb.7:                                ;   in Loop: Header=BB1196_5 Depth=1
	global_load_ubyte v2, v1, s[18:19] glc
	s_cmp_lt_u32 s11, 32
	s_cselect_b64 s[22:23], -1, 0
	s_cmp_lg_u64 s[22:23], 0
	s_addc_u32 s11, s11, 0
	s_waitcnt vmcnt(0)
	v_cmp_ne_u16_e32 vcc, 0, v2
	v_readfirstlane_b32 s22, v2
	s_cbranch_vccz .LBB1196_5
; %bb.8:
	s_and_b32 s11, 0xffff, s22
.LBB1196_9:
	s_cmp_eq_u32 s11, 1
	s_waitcnt lgkmcnt(0)
	s_cselect_b32 s3, s1, s3
	s_cselect_b32 s2, s0, s2
	s_lshl_b64 s[0:1], s[16:17], 4
	s_add_u32 s0, s2, s0
	s_addc_u32 s1, s3, s1
	v_mov_b32_e32 v1, 0
	buffer_wbinvl1_vol
	global_load_dwordx2 v[2:3], v1, s[0:1]
	global_load_ubyte v4, v1, s[0:1] offset:8
	s_waitcnt vmcnt(1)
	global_store_dwordx2 v1, v[2:3], s[12:13]
	s_waitcnt vmcnt(1)
	global_store_byte v1, v4, s[12:13] offset:8
.LBB1196_10:
	s_or_b64 exec, exec, s[6:7]
.LBB1196_11:
	v_cmp_gt_u32_e32 vcc, s10, v0
	s_and_saveexec_b64 s[0:1], vcc
	s_cbranch_execz .LBB1196_13
; %bb.12:
	v_add_u32_e32 v1, 64, v0
	v_mov_b32_e32 v2, 0
	global_store_byte v1, v2, s[8:9]
.LBB1196_13:
	s_or_b64 exec, exec, s[0:1]
	v_cmp_gt_u32_e32 vcc, 64, v0
	v_mov_b32_e32 v1, 0
	s_and_saveexec_b64 s[0:1], vcc
	s_cbranch_execz .LBB1196_15
; %bb.14:
	v_mov_b32_e32 v3, s9
	v_add_co_u32_e32 v2, vcc, s8, v0
	v_addc_co_u32_e32 v3, vcc, 0, v3, vcc
	v_mov_b32_e32 v4, 0xff
	global_store_byte v[2:3], v4, off
.LBB1196_15:
	s_or_b64 exec, exec, s[0:1]
	s_load_dwordx2 s[0:1], s[4:5], 0x38
	s_waitcnt lgkmcnt(0)
	v_cmp_gt_u64_e32 vcc, s[0:1], v[0:1]
	s_and_saveexec_b64 s[2:3], vcc
	s_cbranch_execz .LBB1196_18
; %bb.16:
	s_load_dword s10, s[4:5], 0x40
	s_load_dwordx2 s[6:7], s[4:5], 0x30
	s_mov_b32 s5, 0
	s_mov_b32 s3, s5
	s_mul_i32 s2, s20, s21
	s_waitcnt lgkmcnt(0)
	s_add_i32 s4, s10, -1
	s_lshl_b64 s[4:5], s[4:5], 2
	v_mad_u64_u32 v[2:3], s[8:9], s10, v0, 0
	s_add_u32 s4, s14, s4
	v_lshlrev_b64 v[2:3], 2, v[2:3]
	s_addc_u32 s5, s15, s5
	v_mov_b32_e32 v4, s5
	v_add_co_u32_e32 v2, vcc, s4, v2
	v_addc_co_u32_e32 v3, vcc, v4, v3, vcc
	s_mul_hi_u32 s5, s10, s2
	s_mul_i32 s4, s10, s2
	v_lshlrev_b64 v[4:5], 2, v[0:1]
	s_lshl_b64 s[4:5], s[4:5], 2
	v_mov_b32_e32 v6, s7
	v_add_co_u32_e32 v4, vcc, s6, v4
	s_lshl_b64 s[6:7], s[2:3], 2
	v_addc_co_u32_e32 v5, vcc, v6, v5, vcc
	s_mov_b64 s[8:9], 0
	v_mov_b32_e32 v6, s3
	v_mov_b32_e32 v7, s5
	;; [unrolled: 1-line block ×3, first 2 shown]
.LBB1196_17:                            ; =>This Inner Loop Header: Depth=1
	global_load_dword v9, v[2:3], off
	v_add_co_u32_e32 v0, vcc, s2, v0
	v_addc_co_u32_e32 v1, vcc, v1, v6, vcc
	v_add_co_u32_e32 v2, vcc, s4, v2
	v_addc_co_u32_e32 v3, vcc, v3, v7, vcc
	v_cmp_le_u64_e32 vcc, s[0:1], v[0:1]
	s_or_b64 s[8:9], vcc, s[8:9]
	s_waitcnt vmcnt(0)
	global_store_dword v[4:5], v9, off
	v_add_co_u32_e32 v4, vcc, s6, v4
	v_addc_co_u32_e32 v5, vcc, v5, v8, vcc
	s_andn2_b64 exec, exec, s[8:9]
	s_cbranch_execnz .LBB1196_17
.LBB1196_18:
	s_endpgm
	.section	.rodata,"a",@progbits
	.p2align	6, 0x0
	.amdhsa_kernel _ZN7rocprim17ROCPRIM_400000_NS6detail30init_device_scan_by_key_kernelINS1_19lookback_scan_stateINS0_5tupleIJybEEELb1ELb0EEEN6thrust23THRUST_200600_302600_NS6detail15normal_iteratorINS8_10device_ptrIiEEEEjNS1_16block_id_wrapperIjLb0EEEEEvT_jjPNSG_10value_typeET0_PNSt15iterator_traitsISJ_E10value_typeEmT1_T2_
		.amdhsa_group_segment_fixed_size 0
		.amdhsa_private_segment_fixed_size 0
		.amdhsa_kernarg_size 328
		.amdhsa_user_sgpr_count 6
		.amdhsa_user_sgpr_private_segment_buffer 1
		.amdhsa_user_sgpr_dispatch_ptr 0
		.amdhsa_user_sgpr_queue_ptr 0
		.amdhsa_user_sgpr_kernarg_segment_ptr 1
		.amdhsa_user_sgpr_dispatch_id 0
		.amdhsa_user_sgpr_flat_scratch_init 0
		.amdhsa_user_sgpr_kernarg_preload_length 0
		.amdhsa_user_sgpr_kernarg_preload_offset 0
		.amdhsa_user_sgpr_private_segment_size 0
		.amdhsa_uses_dynamic_stack 0
		.amdhsa_system_sgpr_private_segment_wavefront_offset 0
		.amdhsa_system_sgpr_workgroup_id_x 1
		.amdhsa_system_sgpr_workgroup_id_y 0
		.amdhsa_system_sgpr_workgroup_id_z 0
		.amdhsa_system_sgpr_workgroup_info 0
		.amdhsa_system_vgpr_workitem_id 0
		.amdhsa_next_free_vgpr 10
		.amdhsa_next_free_sgpr 24
		.amdhsa_accum_offset 12
		.amdhsa_reserve_vcc 1
		.amdhsa_reserve_flat_scratch 0
		.amdhsa_float_round_mode_32 0
		.amdhsa_float_round_mode_16_64 0
		.amdhsa_float_denorm_mode_32 3
		.amdhsa_float_denorm_mode_16_64 3
		.amdhsa_dx10_clamp 1
		.amdhsa_ieee_mode 1
		.amdhsa_fp16_overflow 0
		.amdhsa_tg_split 0
		.amdhsa_exception_fp_ieee_invalid_op 0
		.amdhsa_exception_fp_denorm_src 0
		.amdhsa_exception_fp_ieee_div_zero 0
		.amdhsa_exception_fp_ieee_overflow 0
		.amdhsa_exception_fp_ieee_underflow 0
		.amdhsa_exception_fp_ieee_inexact 0
		.amdhsa_exception_int_div_zero 0
	.end_amdhsa_kernel
	.section	.text._ZN7rocprim17ROCPRIM_400000_NS6detail30init_device_scan_by_key_kernelINS1_19lookback_scan_stateINS0_5tupleIJybEEELb1ELb0EEEN6thrust23THRUST_200600_302600_NS6detail15normal_iteratorINS8_10device_ptrIiEEEEjNS1_16block_id_wrapperIjLb0EEEEEvT_jjPNSG_10value_typeET0_PNSt15iterator_traitsISJ_E10value_typeEmT1_T2_,"axG",@progbits,_ZN7rocprim17ROCPRIM_400000_NS6detail30init_device_scan_by_key_kernelINS1_19lookback_scan_stateINS0_5tupleIJybEEELb1ELb0EEEN6thrust23THRUST_200600_302600_NS6detail15normal_iteratorINS8_10device_ptrIiEEEEjNS1_16block_id_wrapperIjLb0EEEEEvT_jjPNSG_10value_typeET0_PNSt15iterator_traitsISJ_E10value_typeEmT1_T2_,comdat
.Lfunc_end1196:
	.size	_ZN7rocprim17ROCPRIM_400000_NS6detail30init_device_scan_by_key_kernelINS1_19lookback_scan_stateINS0_5tupleIJybEEELb1ELb0EEEN6thrust23THRUST_200600_302600_NS6detail15normal_iteratorINS8_10device_ptrIiEEEEjNS1_16block_id_wrapperIjLb0EEEEEvT_jjPNSG_10value_typeET0_PNSt15iterator_traitsISJ_E10value_typeEmT1_T2_, .Lfunc_end1196-_ZN7rocprim17ROCPRIM_400000_NS6detail30init_device_scan_by_key_kernelINS1_19lookback_scan_stateINS0_5tupleIJybEEELb1ELb0EEEN6thrust23THRUST_200600_302600_NS6detail15normal_iteratorINS8_10device_ptrIiEEEEjNS1_16block_id_wrapperIjLb0EEEEEvT_jjPNSG_10value_typeET0_PNSt15iterator_traitsISJ_E10value_typeEmT1_T2_
                                        ; -- End function
	.section	.AMDGPU.csdata,"",@progbits
; Kernel info:
; codeLenInByte = 592
; NumSgprs: 28
; NumVgprs: 10
; NumAgprs: 0
; TotalNumVgprs: 10
; ScratchSize: 0
; MemoryBound: 0
; FloatMode: 240
; IeeeMode: 1
; LDSByteSize: 0 bytes/workgroup (compile time only)
; SGPRBlocks: 3
; VGPRBlocks: 1
; NumSGPRsForWavesPerEU: 28
; NumVGPRsForWavesPerEU: 10
; AccumOffset: 12
; Occupancy: 8
; WaveLimiterHint : 0
; COMPUTE_PGM_RSRC2:SCRATCH_EN: 0
; COMPUTE_PGM_RSRC2:USER_SGPR: 6
; COMPUTE_PGM_RSRC2:TRAP_HANDLER: 0
; COMPUTE_PGM_RSRC2:TGID_X_EN: 1
; COMPUTE_PGM_RSRC2:TGID_Y_EN: 0
; COMPUTE_PGM_RSRC2:TGID_Z_EN: 0
; COMPUTE_PGM_RSRC2:TIDIG_COMP_CNT: 0
; COMPUTE_PGM_RSRC3_GFX90A:ACCUM_OFFSET: 2
; COMPUTE_PGM_RSRC3_GFX90A:TG_SPLIT: 0
	.section	.text._ZN7rocprim17ROCPRIM_400000_NS6detail30init_device_scan_by_key_kernelINS1_19lookback_scan_stateINS0_5tupleIJybEEELb1ELb0EEENS1_16block_id_wrapperIjLb0EEEEEvT_jjPNS9_10value_typeET0_,"axG",@progbits,_ZN7rocprim17ROCPRIM_400000_NS6detail30init_device_scan_by_key_kernelINS1_19lookback_scan_stateINS0_5tupleIJybEEELb1ELb0EEENS1_16block_id_wrapperIjLb0EEEEEvT_jjPNS9_10value_typeET0_,comdat
	.protected	_ZN7rocprim17ROCPRIM_400000_NS6detail30init_device_scan_by_key_kernelINS1_19lookback_scan_stateINS0_5tupleIJybEEELb1ELb0EEENS1_16block_id_wrapperIjLb0EEEEEvT_jjPNS9_10value_typeET0_ ; -- Begin function _ZN7rocprim17ROCPRIM_400000_NS6detail30init_device_scan_by_key_kernelINS1_19lookback_scan_stateINS0_5tupleIJybEEELb1ELb0EEENS1_16block_id_wrapperIjLb0EEEEEvT_jjPNS9_10value_typeET0_
	.globl	_ZN7rocprim17ROCPRIM_400000_NS6detail30init_device_scan_by_key_kernelINS1_19lookback_scan_stateINS0_5tupleIJybEEELb1ELb0EEENS1_16block_id_wrapperIjLb0EEEEEvT_jjPNS9_10value_typeET0_
	.p2align	8
	.type	_ZN7rocprim17ROCPRIM_400000_NS6detail30init_device_scan_by_key_kernelINS1_19lookback_scan_stateINS0_5tupleIJybEEELb1ELb0EEENS1_16block_id_wrapperIjLb0EEEEEvT_jjPNS9_10value_typeET0_,@function
_ZN7rocprim17ROCPRIM_400000_NS6detail30init_device_scan_by_key_kernelINS1_19lookback_scan_stateINS0_5tupleIJybEEELb1ELb0EEENS1_16block_id_wrapperIjLb0EEEEEvT_jjPNS9_10value_typeET0_: ; @_ZN7rocprim17ROCPRIM_400000_NS6detail30init_device_scan_by_key_kernelINS1_19lookback_scan_stateINS0_5tupleIJybEEELb1ELb0EEENS1_16block_id_wrapperIjLb0EEEEEvT_jjPNS9_10value_typeET0_
; %bb.0:
	s_load_dword s7, s[4:5], 0x3c
	s_load_dwordx2 s[8:9], s[4:5], 0x20
	s_load_dwordx4 s[0:3], s[4:5], 0x10
	s_waitcnt lgkmcnt(0)
	s_and_b32 s7, s7, 0xffff
	s_mul_i32 s6, s6, s7
	s_cmp_eq_u64 s[8:9], 0
	v_add_u32_e32 v0, s6, v0
	s_cbranch_scc1 .LBB1197_11
; %bb.1:
	s_cmp_lt_u32 s3, s2
	s_cselect_b32 s6, s3, 0
	s_mov_b32 s13, 0
	v_cmp_eq_u32_e32 vcc, s6, v0
	s_and_saveexec_b64 s[10:11], vcc
	s_cbranch_execz .LBB1197_10
; %bb.2:
	s_add_i32 s12, s3, 64
	v_mov_b32_e32 v1, s12
	global_load_ubyte v1, v1, s[0:1] glc
	s_load_dwordx4 s[4:7], s[4:5], 0x0
	s_add_u32 s14, s0, s12
	s_addc_u32 s15, s1, 0
	s_waitcnt vmcnt(0)
	v_cmp_ne_u16_e32 vcc, 0, v1
	v_readfirstlane_b32 s3, v1
	s_cbranch_vccz .LBB1197_4
; %bb.3:
	s_and_b32 s3, 0xffff, s3
	s_branch .LBB1197_9
.LBB1197_4:
	s_mov_b32 s3, 1
	v_mov_b32_e32 v1, 0
.LBB1197_5:                             ; =>This Loop Header: Depth=1
                                        ;     Child Loop BB1197_6 Depth 2
	s_max_u32 s16, s3, 1
.LBB1197_6:                             ;   Parent Loop BB1197_5 Depth=1
                                        ; =>  This Inner Loop Header: Depth=2
	s_add_i32 s16, s16, -1
	s_cmp_eq_u32 s16, 0
	s_sleep 1
	s_cbranch_scc0 .LBB1197_6
; %bb.7:                                ;   in Loop: Header=BB1197_5 Depth=1
	global_load_ubyte v2, v1, s[14:15] glc
	s_cmp_lt_u32 s3, 32
	s_cselect_b64 s[16:17], -1, 0
	s_cmp_lg_u64 s[16:17], 0
	s_addc_u32 s3, s3, 0
	s_waitcnt vmcnt(0)
	v_cmp_ne_u16_e32 vcc, 0, v2
	v_readfirstlane_b32 s16, v2
	s_cbranch_vccz .LBB1197_5
; %bb.8:
	s_and_b32 s3, 0xffff, s16
.LBB1197_9:
	s_cmp_eq_u32 s3, 1
	s_waitcnt lgkmcnt(0)
	s_cselect_b32 s3, s5, s7
	s_cselect_b32 s6, s4, s6
	s_lshl_b64 s[4:5], s[12:13], 4
	s_add_u32 s4, s6, s4
	s_addc_u32 s5, s3, s5
	v_mov_b32_e32 v1, 0
	buffer_wbinvl1_vol
	global_load_dwordx2 v[2:3], v1, s[4:5]
	global_load_ubyte v4, v1, s[4:5] offset:8
	s_waitcnt vmcnt(1)
	global_store_dwordx2 v1, v[2:3], s[8:9]
	s_waitcnt vmcnt(1)
	global_store_byte v1, v4, s[8:9] offset:8
.LBB1197_10:
	s_or_b64 exec, exec, s[10:11]
.LBB1197_11:
	v_cmp_gt_u32_e32 vcc, s2, v0
	s_and_saveexec_b64 s[2:3], vcc
	s_cbranch_execnz .LBB1197_14
; %bb.12:
	s_or_b64 exec, exec, s[2:3]
	v_cmp_gt_u32_e32 vcc, 64, v0
	s_and_saveexec_b64 s[2:3], vcc
	s_cbranch_execnz .LBB1197_15
.LBB1197_13:
	s_endpgm
.LBB1197_14:
	v_add_u32_e32 v1, 64, v0
	v_mov_b32_e32 v2, 0
	global_store_byte v1, v2, s[0:1]
	s_or_b64 exec, exec, s[2:3]
	v_cmp_gt_u32_e32 vcc, 64, v0
	s_and_saveexec_b64 s[2:3], vcc
	s_cbranch_execz .LBB1197_13
.LBB1197_15:
	v_mov_b32_e32 v1, 0xff
	global_store_byte v0, v1, s[0:1]
	s_endpgm
	.section	.rodata,"a",@progbits
	.p2align	6, 0x0
	.amdhsa_kernel _ZN7rocprim17ROCPRIM_400000_NS6detail30init_device_scan_by_key_kernelINS1_19lookback_scan_stateINS0_5tupleIJybEEELb1ELb0EEENS1_16block_id_wrapperIjLb0EEEEEvT_jjPNS9_10value_typeET0_
		.amdhsa_group_segment_fixed_size 0
		.amdhsa_private_segment_fixed_size 0
		.amdhsa_kernarg_size 304
		.amdhsa_user_sgpr_count 6
		.amdhsa_user_sgpr_private_segment_buffer 1
		.amdhsa_user_sgpr_dispatch_ptr 0
		.amdhsa_user_sgpr_queue_ptr 0
		.amdhsa_user_sgpr_kernarg_segment_ptr 1
		.amdhsa_user_sgpr_dispatch_id 0
		.amdhsa_user_sgpr_flat_scratch_init 0
		.amdhsa_user_sgpr_kernarg_preload_length 0
		.amdhsa_user_sgpr_kernarg_preload_offset 0
		.amdhsa_user_sgpr_private_segment_size 0
		.amdhsa_uses_dynamic_stack 0
		.amdhsa_system_sgpr_private_segment_wavefront_offset 0
		.amdhsa_system_sgpr_workgroup_id_x 1
		.amdhsa_system_sgpr_workgroup_id_y 0
		.amdhsa_system_sgpr_workgroup_id_z 0
		.amdhsa_system_sgpr_workgroup_info 0
		.amdhsa_system_vgpr_workitem_id 0
		.amdhsa_next_free_vgpr 5
		.amdhsa_next_free_sgpr 18
		.amdhsa_accum_offset 8
		.amdhsa_reserve_vcc 1
		.amdhsa_reserve_flat_scratch 0
		.amdhsa_float_round_mode_32 0
		.amdhsa_float_round_mode_16_64 0
		.amdhsa_float_denorm_mode_32 3
		.amdhsa_float_denorm_mode_16_64 3
		.amdhsa_dx10_clamp 1
		.amdhsa_ieee_mode 1
		.amdhsa_fp16_overflow 0
		.amdhsa_tg_split 0
		.amdhsa_exception_fp_ieee_invalid_op 0
		.amdhsa_exception_fp_denorm_src 0
		.amdhsa_exception_fp_ieee_div_zero 0
		.amdhsa_exception_fp_ieee_overflow 0
		.amdhsa_exception_fp_ieee_underflow 0
		.amdhsa_exception_fp_ieee_inexact 0
		.amdhsa_exception_int_div_zero 0
	.end_amdhsa_kernel
	.section	.text._ZN7rocprim17ROCPRIM_400000_NS6detail30init_device_scan_by_key_kernelINS1_19lookback_scan_stateINS0_5tupleIJybEEELb1ELb0EEENS1_16block_id_wrapperIjLb0EEEEEvT_jjPNS9_10value_typeET0_,"axG",@progbits,_ZN7rocprim17ROCPRIM_400000_NS6detail30init_device_scan_by_key_kernelINS1_19lookback_scan_stateINS0_5tupleIJybEEELb1ELb0EEENS1_16block_id_wrapperIjLb0EEEEEvT_jjPNS9_10value_typeET0_,comdat
.Lfunc_end1197:
	.size	_ZN7rocprim17ROCPRIM_400000_NS6detail30init_device_scan_by_key_kernelINS1_19lookback_scan_stateINS0_5tupleIJybEEELb1ELb0EEENS1_16block_id_wrapperIjLb0EEEEEvT_jjPNS9_10value_typeET0_, .Lfunc_end1197-_ZN7rocprim17ROCPRIM_400000_NS6detail30init_device_scan_by_key_kernelINS1_19lookback_scan_stateINS0_5tupleIJybEEELb1ELb0EEENS1_16block_id_wrapperIjLb0EEEEEvT_jjPNS9_10value_typeET0_
                                        ; -- End function
	.section	.AMDGPU.csdata,"",@progbits
; Kernel info:
; codeLenInByte = 380
; NumSgprs: 22
; NumVgprs: 5
; NumAgprs: 0
; TotalNumVgprs: 5
; ScratchSize: 0
; MemoryBound: 0
; FloatMode: 240
; IeeeMode: 1
; LDSByteSize: 0 bytes/workgroup (compile time only)
; SGPRBlocks: 2
; VGPRBlocks: 0
; NumSGPRsForWavesPerEU: 22
; NumVGPRsForWavesPerEU: 5
; AccumOffset: 8
; Occupancy: 8
; WaveLimiterHint : 0
; COMPUTE_PGM_RSRC2:SCRATCH_EN: 0
; COMPUTE_PGM_RSRC2:USER_SGPR: 6
; COMPUTE_PGM_RSRC2:TRAP_HANDLER: 0
; COMPUTE_PGM_RSRC2:TGID_X_EN: 1
; COMPUTE_PGM_RSRC2:TGID_Y_EN: 0
; COMPUTE_PGM_RSRC2:TGID_Z_EN: 0
; COMPUTE_PGM_RSRC2:TIDIG_COMP_CNT: 0
; COMPUTE_PGM_RSRC3_GFX90A:ACCUM_OFFSET: 1
; COMPUTE_PGM_RSRC3_GFX90A:TG_SPLIT: 0
	.section	.text._ZN7rocprim17ROCPRIM_400000_NS6detail17trampoline_kernelINS0_14default_configENS1_27scan_by_key_config_selectorIiyEEZZNS1_16scan_by_key_implILNS1_25lookback_scan_determinismE0ELb0ES3_N6thrust23THRUST_200600_302600_NS6detail15normal_iteratorINS9_10device_ptrIiEEEENSB_INSC_IyEEEESG_yNS9_4plusIvEENS9_8equal_toIvEEyEE10hipError_tPvRmT2_T3_T4_T5_mT6_T7_P12ihipStream_tbENKUlT_T0_E_clISt17integral_constantIbLb1EES10_IbLb0EEEEDaSW_SX_EUlSW_E_NS1_11comp_targetILNS1_3genE0ELNS1_11target_archE4294967295ELNS1_3gpuE0ELNS1_3repE0EEENS1_30default_config_static_selectorELNS0_4arch9wavefront6targetE1EEEvT1_,"axG",@progbits,_ZN7rocprim17ROCPRIM_400000_NS6detail17trampoline_kernelINS0_14default_configENS1_27scan_by_key_config_selectorIiyEEZZNS1_16scan_by_key_implILNS1_25lookback_scan_determinismE0ELb0ES3_N6thrust23THRUST_200600_302600_NS6detail15normal_iteratorINS9_10device_ptrIiEEEENSB_INSC_IyEEEESG_yNS9_4plusIvEENS9_8equal_toIvEEyEE10hipError_tPvRmT2_T3_T4_T5_mT6_T7_P12ihipStream_tbENKUlT_T0_E_clISt17integral_constantIbLb1EES10_IbLb0EEEEDaSW_SX_EUlSW_E_NS1_11comp_targetILNS1_3genE0ELNS1_11target_archE4294967295ELNS1_3gpuE0ELNS1_3repE0EEENS1_30default_config_static_selectorELNS0_4arch9wavefront6targetE1EEEvT1_,comdat
	.protected	_ZN7rocprim17ROCPRIM_400000_NS6detail17trampoline_kernelINS0_14default_configENS1_27scan_by_key_config_selectorIiyEEZZNS1_16scan_by_key_implILNS1_25lookback_scan_determinismE0ELb0ES3_N6thrust23THRUST_200600_302600_NS6detail15normal_iteratorINS9_10device_ptrIiEEEENSB_INSC_IyEEEESG_yNS9_4plusIvEENS9_8equal_toIvEEyEE10hipError_tPvRmT2_T3_T4_T5_mT6_T7_P12ihipStream_tbENKUlT_T0_E_clISt17integral_constantIbLb1EES10_IbLb0EEEEDaSW_SX_EUlSW_E_NS1_11comp_targetILNS1_3genE0ELNS1_11target_archE4294967295ELNS1_3gpuE0ELNS1_3repE0EEENS1_30default_config_static_selectorELNS0_4arch9wavefront6targetE1EEEvT1_ ; -- Begin function _ZN7rocprim17ROCPRIM_400000_NS6detail17trampoline_kernelINS0_14default_configENS1_27scan_by_key_config_selectorIiyEEZZNS1_16scan_by_key_implILNS1_25lookback_scan_determinismE0ELb0ES3_N6thrust23THRUST_200600_302600_NS6detail15normal_iteratorINS9_10device_ptrIiEEEENSB_INSC_IyEEEESG_yNS9_4plusIvEENS9_8equal_toIvEEyEE10hipError_tPvRmT2_T3_T4_T5_mT6_T7_P12ihipStream_tbENKUlT_T0_E_clISt17integral_constantIbLb1EES10_IbLb0EEEEDaSW_SX_EUlSW_E_NS1_11comp_targetILNS1_3genE0ELNS1_11target_archE4294967295ELNS1_3gpuE0ELNS1_3repE0EEENS1_30default_config_static_selectorELNS0_4arch9wavefront6targetE1EEEvT1_
	.globl	_ZN7rocprim17ROCPRIM_400000_NS6detail17trampoline_kernelINS0_14default_configENS1_27scan_by_key_config_selectorIiyEEZZNS1_16scan_by_key_implILNS1_25lookback_scan_determinismE0ELb0ES3_N6thrust23THRUST_200600_302600_NS6detail15normal_iteratorINS9_10device_ptrIiEEEENSB_INSC_IyEEEESG_yNS9_4plusIvEENS9_8equal_toIvEEyEE10hipError_tPvRmT2_T3_T4_T5_mT6_T7_P12ihipStream_tbENKUlT_T0_E_clISt17integral_constantIbLb1EES10_IbLb0EEEEDaSW_SX_EUlSW_E_NS1_11comp_targetILNS1_3genE0ELNS1_11target_archE4294967295ELNS1_3gpuE0ELNS1_3repE0EEENS1_30default_config_static_selectorELNS0_4arch9wavefront6targetE1EEEvT1_
	.p2align	8
	.type	_ZN7rocprim17ROCPRIM_400000_NS6detail17trampoline_kernelINS0_14default_configENS1_27scan_by_key_config_selectorIiyEEZZNS1_16scan_by_key_implILNS1_25lookback_scan_determinismE0ELb0ES3_N6thrust23THRUST_200600_302600_NS6detail15normal_iteratorINS9_10device_ptrIiEEEENSB_INSC_IyEEEESG_yNS9_4plusIvEENS9_8equal_toIvEEyEE10hipError_tPvRmT2_T3_T4_T5_mT6_T7_P12ihipStream_tbENKUlT_T0_E_clISt17integral_constantIbLb1EES10_IbLb0EEEEDaSW_SX_EUlSW_E_NS1_11comp_targetILNS1_3genE0ELNS1_11target_archE4294967295ELNS1_3gpuE0ELNS1_3repE0EEENS1_30default_config_static_selectorELNS0_4arch9wavefront6targetE1EEEvT1_,@function
_ZN7rocprim17ROCPRIM_400000_NS6detail17trampoline_kernelINS0_14default_configENS1_27scan_by_key_config_selectorIiyEEZZNS1_16scan_by_key_implILNS1_25lookback_scan_determinismE0ELb0ES3_N6thrust23THRUST_200600_302600_NS6detail15normal_iteratorINS9_10device_ptrIiEEEENSB_INSC_IyEEEESG_yNS9_4plusIvEENS9_8equal_toIvEEyEE10hipError_tPvRmT2_T3_T4_T5_mT6_T7_P12ihipStream_tbENKUlT_T0_E_clISt17integral_constantIbLb1EES10_IbLb0EEEEDaSW_SX_EUlSW_E_NS1_11comp_targetILNS1_3genE0ELNS1_11target_archE4294967295ELNS1_3gpuE0ELNS1_3repE0EEENS1_30default_config_static_selectorELNS0_4arch9wavefront6targetE1EEEvT1_: ; @_ZN7rocprim17ROCPRIM_400000_NS6detail17trampoline_kernelINS0_14default_configENS1_27scan_by_key_config_selectorIiyEEZZNS1_16scan_by_key_implILNS1_25lookback_scan_determinismE0ELb0ES3_N6thrust23THRUST_200600_302600_NS6detail15normal_iteratorINS9_10device_ptrIiEEEENSB_INSC_IyEEEESG_yNS9_4plusIvEENS9_8equal_toIvEEyEE10hipError_tPvRmT2_T3_T4_T5_mT6_T7_P12ihipStream_tbENKUlT_T0_E_clISt17integral_constantIbLb1EES10_IbLb0EEEEDaSW_SX_EUlSW_E_NS1_11comp_targetILNS1_3genE0ELNS1_11target_archE4294967295ELNS1_3gpuE0ELNS1_3repE0EEENS1_30default_config_static_selectorELNS0_4arch9wavefront6targetE1EEEvT1_
; %bb.0:
	.section	.rodata,"a",@progbits
	.p2align	6, 0x0
	.amdhsa_kernel _ZN7rocprim17ROCPRIM_400000_NS6detail17trampoline_kernelINS0_14default_configENS1_27scan_by_key_config_selectorIiyEEZZNS1_16scan_by_key_implILNS1_25lookback_scan_determinismE0ELb0ES3_N6thrust23THRUST_200600_302600_NS6detail15normal_iteratorINS9_10device_ptrIiEEEENSB_INSC_IyEEEESG_yNS9_4plusIvEENS9_8equal_toIvEEyEE10hipError_tPvRmT2_T3_T4_T5_mT6_T7_P12ihipStream_tbENKUlT_T0_E_clISt17integral_constantIbLb1EES10_IbLb0EEEEDaSW_SX_EUlSW_E_NS1_11comp_targetILNS1_3genE0ELNS1_11target_archE4294967295ELNS1_3gpuE0ELNS1_3repE0EEENS1_30default_config_static_selectorELNS0_4arch9wavefront6targetE1EEEvT1_
		.amdhsa_group_segment_fixed_size 0
		.amdhsa_private_segment_fixed_size 0
		.amdhsa_kernarg_size 136
		.amdhsa_user_sgpr_count 6
		.amdhsa_user_sgpr_private_segment_buffer 1
		.amdhsa_user_sgpr_dispatch_ptr 0
		.amdhsa_user_sgpr_queue_ptr 0
		.amdhsa_user_sgpr_kernarg_segment_ptr 1
		.amdhsa_user_sgpr_dispatch_id 0
		.amdhsa_user_sgpr_flat_scratch_init 0
		.amdhsa_user_sgpr_kernarg_preload_length 0
		.amdhsa_user_sgpr_kernarg_preload_offset 0
		.amdhsa_user_sgpr_private_segment_size 0
		.amdhsa_uses_dynamic_stack 0
		.amdhsa_system_sgpr_private_segment_wavefront_offset 0
		.amdhsa_system_sgpr_workgroup_id_x 1
		.amdhsa_system_sgpr_workgroup_id_y 0
		.amdhsa_system_sgpr_workgroup_id_z 0
		.amdhsa_system_sgpr_workgroup_info 0
		.amdhsa_system_vgpr_workitem_id 0
		.amdhsa_next_free_vgpr 1
		.amdhsa_next_free_sgpr 0
		.amdhsa_accum_offset 4
		.amdhsa_reserve_vcc 0
		.amdhsa_reserve_flat_scratch 0
		.amdhsa_float_round_mode_32 0
		.amdhsa_float_round_mode_16_64 0
		.amdhsa_float_denorm_mode_32 3
		.amdhsa_float_denorm_mode_16_64 3
		.amdhsa_dx10_clamp 1
		.amdhsa_ieee_mode 1
		.amdhsa_fp16_overflow 0
		.amdhsa_tg_split 0
		.amdhsa_exception_fp_ieee_invalid_op 0
		.amdhsa_exception_fp_denorm_src 0
		.amdhsa_exception_fp_ieee_div_zero 0
		.amdhsa_exception_fp_ieee_overflow 0
		.amdhsa_exception_fp_ieee_underflow 0
		.amdhsa_exception_fp_ieee_inexact 0
		.amdhsa_exception_int_div_zero 0
	.end_amdhsa_kernel
	.section	.text._ZN7rocprim17ROCPRIM_400000_NS6detail17trampoline_kernelINS0_14default_configENS1_27scan_by_key_config_selectorIiyEEZZNS1_16scan_by_key_implILNS1_25lookback_scan_determinismE0ELb0ES3_N6thrust23THRUST_200600_302600_NS6detail15normal_iteratorINS9_10device_ptrIiEEEENSB_INSC_IyEEEESG_yNS9_4plusIvEENS9_8equal_toIvEEyEE10hipError_tPvRmT2_T3_T4_T5_mT6_T7_P12ihipStream_tbENKUlT_T0_E_clISt17integral_constantIbLb1EES10_IbLb0EEEEDaSW_SX_EUlSW_E_NS1_11comp_targetILNS1_3genE0ELNS1_11target_archE4294967295ELNS1_3gpuE0ELNS1_3repE0EEENS1_30default_config_static_selectorELNS0_4arch9wavefront6targetE1EEEvT1_,"axG",@progbits,_ZN7rocprim17ROCPRIM_400000_NS6detail17trampoline_kernelINS0_14default_configENS1_27scan_by_key_config_selectorIiyEEZZNS1_16scan_by_key_implILNS1_25lookback_scan_determinismE0ELb0ES3_N6thrust23THRUST_200600_302600_NS6detail15normal_iteratorINS9_10device_ptrIiEEEENSB_INSC_IyEEEESG_yNS9_4plusIvEENS9_8equal_toIvEEyEE10hipError_tPvRmT2_T3_T4_T5_mT6_T7_P12ihipStream_tbENKUlT_T0_E_clISt17integral_constantIbLb1EES10_IbLb0EEEEDaSW_SX_EUlSW_E_NS1_11comp_targetILNS1_3genE0ELNS1_11target_archE4294967295ELNS1_3gpuE0ELNS1_3repE0EEENS1_30default_config_static_selectorELNS0_4arch9wavefront6targetE1EEEvT1_,comdat
.Lfunc_end1198:
	.size	_ZN7rocprim17ROCPRIM_400000_NS6detail17trampoline_kernelINS0_14default_configENS1_27scan_by_key_config_selectorIiyEEZZNS1_16scan_by_key_implILNS1_25lookback_scan_determinismE0ELb0ES3_N6thrust23THRUST_200600_302600_NS6detail15normal_iteratorINS9_10device_ptrIiEEEENSB_INSC_IyEEEESG_yNS9_4plusIvEENS9_8equal_toIvEEyEE10hipError_tPvRmT2_T3_T4_T5_mT6_T7_P12ihipStream_tbENKUlT_T0_E_clISt17integral_constantIbLb1EES10_IbLb0EEEEDaSW_SX_EUlSW_E_NS1_11comp_targetILNS1_3genE0ELNS1_11target_archE4294967295ELNS1_3gpuE0ELNS1_3repE0EEENS1_30default_config_static_selectorELNS0_4arch9wavefront6targetE1EEEvT1_, .Lfunc_end1198-_ZN7rocprim17ROCPRIM_400000_NS6detail17trampoline_kernelINS0_14default_configENS1_27scan_by_key_config_selectorIiyEEZZNS1_16scan_by_key_implILNS1_25lookback_scan_determinismE0ELb0ES3_N6thrust23THRUST_200600_302600_NS6detail15normal_iteratorINS9_10device_ptrIiEEEENSB_INSC_IyEEEESG_yNS9_4plusIvEENS9_8equal_toIvEEyEE10hipError_tPvRmT2_T3_T4_T5_mT6_T7_P12ihipStream_tbENKUlT_T0_E_clISt17integral_constantIbLb1EES10_IbLb0EEEEDaSW_SX_EUlSW_E_NS1_11comp_targetILNS1_3genE0ELNS1_11target_archE4294967295ELNS1_3gpuE0ELNS1_3repE0EEENS1_30default_config_static_selectorELNS0_4arch9wavefront6targetE1EEEvT1_
                                        ; -- End function
	.section	.AMDGPU.csdata,"",@progbits
; Kernel info:
; codeLenInByte = 0
; NumSgprs: 4
; NumVgprs: 0
; NumAgprs: 0
; TotalNumVgprs: 0
; ScratchSize: 0
; MemoryBound: 0
; FloatMode: 240
; IeeeMode: 1
; LDSByteSize: 0 bytes/workgroup (compile time only)
; SGPRBlocks: 0
; VGPRBlocks: 0
; NumSGPRsForWavesPerEU: 4
; NumVGPRsForWavesPerEU: 1
; AccumOffset: 4
; Occupancy: 8
; WaveLimiterHint : 0
; COMPUTE_PGM_RSRC2:SCRATCH_EN: 0
; COMPUTE_PGM_RSRC2:USER_SGPR: 6
; COMPUTE_PGM_RSRC2:TRAP_HANDLER: 0
; COMPUTE_PGM_RSRC2:TGID_X_EN: 1
; COMPUTE_PGM_RSRC2:TGID_Y_EN: 0
; COMPUTE_PGM_RSRC2:TGID_Z_EN: 0
; COMPUTE_PGM_RSRC2:TIDIG_COMP_CNT: 0
; COMPUTE_PGM_RSRC3_GFX90A:ACCUM_OFFSET: 0
; COMPUTE_PGM_RSRC3_GFX90A:TG_SPLIT: 0
	.section	.text._ZN7rocprim17ROCPRIM_400000_NS6detail17trampoline_kernelINS0_14default_configENS1_27scan_by_key_config_selectorIiyEEZZNS1_16scan_by_key_implILNS1_25lookback_scan_determinismE0ELb0ES3_N6thrust23THRUST_200600_302600_NS6detail15normal_iteratorINS9_10device_ptrIiEEEENSB_INSC_IyEEEESG_yNS9_4plusIvEENS9_8equal_toIvEEyEE10hipError_tPvRmT2_T3_T4_T5_mT6_T7_P12ihipStream_tbENKUlT_T0_E_clISt17integral_constantIbLb1EES10_IbLb0EEEEDaSW_SX_EUlSW_E_NS1_11comp_targetILNS1_3genE10ELNS1_11target_archE1201ELNS1_3gpuE5ELNS1_3repE0EEENS1_30default_config_static_selectorELNS0_4arch9wavefront6targetE1EEEvT1_,"axG",@progbits,_ZN7rocprim17ROCPRIM_400000_NS6detail17trampoline_kernelINS0_14default_configENS1_27scan_by_key_config_selectorIiyEEZZNS1_16scan_by_key_implILNS1_25lookback_scan_determinismE0ELb0ES3_N6thrust23THRUST_200600_302600_NS6detail15normal_iteratorINS9_10device_ptrIiEEEENSB_INSC_IyEEEESG_yNS9_4plusIvEENS9_8equal_toIvEEyEE10hipError_tPvRmT2_T3_T4_T5_mT6_T7_P12ihipStream_tbENKUlT_T0_E_clISt17integral_constantIbLb1EES10_IbLb0EEEEDaSW_SX_EUlSW_E_NS1_11comp_targetILNS1_3genE10ELNS1_11target_archE1201ELNS1_3gpuE5ELNS1_3repE0EEENS1_30default_config_static_selectorELNS0_4arch9wavefront6targetE1EEEvT1_,comdat
	.protected	_ZN7rocprim17ROCPRIM_400000_NS6detail17trampoline_kernelINS0_14default_configENS1_27scan_by_key_config_selectorIiyEEZZNS1_16scan_by_key_implILNS1_25lookback_scan_determinismE0ELb0ES3_N6thrust23THRUST_200600_302600_NS6detail15normal_iteratorINS9_10device_ptrIiEEEENSB_INSC_IyEEEESG_yNS9_4plusIvEENS9_8equal_toIvEEyEE10hipError_tPvRmT2_T3_T4_T5_mT6_T7_P12ihipStream_tbENKUlT_T0_E_clISt17integral_constantIbLb1EES10_IbLb0EEEEDaSW_SX_EUlSW_E_NS1_11comp_targetILNS1_3genE10ELNS1_11target_archE1201ELNS1_3gpuE5ELNS1_3repE0EEENS1_30default_config_static_selectorELNS0_4arch9wavefront6targetE1EEEvT1_ ; -- Begin function _ZN7rocprim17ROCPRIM_400000_NS6detail17trampoline_kernelINS0_14default_configENS1_27scan_by_key_config_selectorIiyEEZZNS1_16scan_by_key_implILNS1_25lookback_scan_determinismE0ELb0ES3_N6thrust23THRUST_200600_302600_NS6detail15normal_iteratorINS9_10device_ptrIiEEEENSB_INSC_IyEEEESG_yNS9_4plusIvEENS9_8equal_toIvEEyEE10hipError_tPvRmT2_T3_T4_T5_mT6_T7_P12ihipStream_tbENKUlT_T0_E_clISt17integral_constantIbLb1EES10_IbLb0EEEEDaSW_SX_EUlSW_E_NS1_11comp_targetILNS1_3genE10ELNS1_11target_archE1201ELNS1_3gpuE5ELNS1_3repE0EEENS1_30default_config_static_selectorELNS0_4arch9wavefront6targetE1EEEvT1_
	.globl	_ZN7rocprim17ROCPRIM_400000_NS6detail17trampoline_kernelINS0_14default_configENS1_27scan_by_key_config_selectorIiyEEZZNS1_16scan_by_key_implILNS1_25lookback_scan_determinismE0ELb0ES3_N6thrust23THRUST_200600_302600_NS6detail15normal_iteratorINS9_10device_ptrIiEEEENSB_INSC_IyEEEESG_yNS9_4plusIvEENS9_8equal_toIvEEyEE10hipError_tPvRmT2_T3_T4_T5_mT6_T7_P12ihipStream_tbENKUlT_T0_E_clISt17integral_constantIbLb1EES10_IbLb0EEEEDaSW_SX_EUlSW_E_NS1_11comp_targetILNS1_3genE10ELNS1_11target_archE1201ELNS1_3gpuE5ELNS1_3repE0EEENS1_30default_config_static_selectorELNS0_4arch9wavefront6targetE1EEEvT1_
	.p2align	8
	.type	_ZN7rocprim17ROCPRIM_400000_NS6detail17trampoline_kernelINS0_14default_configENS1_27scan_by_key_config_selectorIiyEEZZNS1_16scan_by_key_implILNS1_25lookback_scan_determinismE0ELb0ES3_N6thrust23THRUST_200600_302600_NS6detail15normal_iteratorINS9_10device_ptrIiEEEENSB_INSC_IyEEEESG_yNS9_4plusIvEENS9_8equal_toIvEEyEE10hipError_tPvRmT2_T3_T4_T5_mT6_T7_P12ihipStream_tbENKUlT_T0_E_clISt17integral_constantIbLb1EES10_IbLb0EEEEDaSW_SX_EUlSW_E_NS1_11comp_targetILNS1_3genE10ELNS1_11target_archE1201ELNS1_3gpuE5ELNS1_3repE0EEENS1_30default_config_static_selectorELNS0_4arch9wavefront6targetE1EEEvT1_,@function
_ZN7rocprim17ROCPRIM_400000_NS6detail17trampoline_kernelINS0_14default_configENS1_27scan_by_key_config_selectorIiyEEZZNS1_16scan_by_key_implILNS1_25lookback_scan_determinismE0ELb0ES3_N6thrust23THRUST_200600_302600_NS6detail15normal_iteratorINS9_10device_ptrIiEEEENSB_INSC_IyEEEESG_yNS9_4plusIvEENS9_8equal_toIvEEyEE10hipError_tPvRmT2_T3_T4_T5_mT6_T7_P12ihipStream_tbENKUlT_T0_E_clISt17integral_constantIbLb1EES10_IbLb0EEEEDaSW_SX_EUlSW_E_NS1_11comp_targetILNS1_3genE10ELNS1_11target_archE1201ELNS1_3gpuE5ELNS1_3repE0EEENS1_30default_config_static_selectorELNS0_4arch9wavefront6targetE1EEEvT1_: ; @_ZN7rocprim17ROCPRIM_400000_NS6detail17trampoline_kernelINS0_14default_configENS1_27scan_by_key_config_selectorIiyEEZZNS1_16scan_by_key_implILNS1_25lookback_scan_determinismE0ELb0ES3_N6thrust23THRUST_200600_302600_NS6detail15normal_iteratorINS9_10device_ptrIiEEEENSB_INSC_IyEEEESG_yNS9_4plusIvEENS9_8equal_toIvEEyEE10hipError_tPvRmT2_T3_T4_T5_mT6_T7_P12ihipStream_tbENKUlT_T0_E_clISt17integral_constantIbLb1EES10_IbLb0EEEEDaSW_SX_EUlSW_E_NS1_11comp_targetILNS1_3genE10ELNS1_11target_archE1201ELNS1_3gpuE5ELNS1_3repE0EEENS1_30default_config_static_selectorELNS0_4arch9wavefront6targetE1EEEvT1_
; %bb.0:
	.section	.rodata,"a",@progbits
	.p2align	6, 0x0
	.amdhsa_kernel _ZN7rocprim17ROCPRIM_400000_NS6detail17trampoline_kernelINS0_14default_configENS1_27scan_by_key_config_selectorIiyEEZZNS1_16scan_by_key_implILNS1_25lookback_scan_determinismE0ELb0ES3_N6thrust23THRUST_200600_302600_NS6detail15normal_iteratorINS9_10device_ptrIiEEEENSB_INSC_IyEEEESG_yNS9_4plusIvEENS9_8equal_toIvEEyEE10hipError_tPvRmT2_T3_T4_T5_mT6_T7_P12ihipStream_tbENKUlT_T0_E_clISt17integral_constantIbLb1EES10_IbLb0EEEEDaSW_SX_EUlSW_E_NS1_11comp_targetILNS1_3genE10ELNS1_11target_archE1201ELNS1_3gpuE5ELNS1_3repE0EEENS1_30default_config_static_selectorELNS0_4arch9wavefront6targetE1EEEvT1_
		.amdhsa_group_segment_fixed_size 0
		.amdhsa_private_segment_fixed_size 0
		.amdhsa_kernarg_size 136
		.amdhsa_user_sgpr_count 6
		.amdhsa_user_sgpr_private_segment_buffer 1
		.amdhsa_user_sgpr_dispatch_ptr 0
		.amdhsa_user_sgpr_queue_ptr 0
		.amdhsa_user_sgpr_kernarg_segment_ptr 1
		.amdhsa_user_sgpr_dispatch_id 0
		.amdhsa_user_sgpr_flat_scratch_init 0
		.amdhsa_user_sgpr_kernarg_preload_length 0
		.amdhsa_user_sgpr_kernarg_preload_offset 0
		.amdhsa_user_sgpr_private_segment_size 0
		.amdhsa_uses_dynamic_stack 0
		.amdhsa_system_sgpr_private_segment_wavefront_offset 0
		.amdhsa_system_sgpr_workgroup_id_x 1
		.amdhsa_system_sgpr_workgroup_id_y 0
		.amdhsa_system_sgpr_workgroup_id_z 0
		.amdhsa_system_sgpr_workgroup_info 0
		.amdhsa_system_vgpr_workitem_id 0
		.amdhsa_next_free_vgpr 1
		.amdhsa_next_free_sgpr 0
		.amdhsa_accum_offset 4
		.amdhsa_reserve_vcc 0
		.amdhsa_reserve_flat_scratch 0
		.amdhsa_float_round_mode_32 0
		.amdhsa_float_round_mode_16_64 0
		.amdhsa_float_denorm_mode_32 3
		.amdhsa_float_denorm_mode_16_64 3
		.amdhsa_dx10_clamp 1
		.amdhsa_ieee_mode 1
		.amdhsa_fp16_overflow 0
		.amdhsa_tg_split 0
		.amdhsa_exception_fp_ieee_invalid_op 0
		.amdhsa_exception_fp_denorm_src 0
		.amdhsa_exception_fp_ieee_div_zero 0
		.amdhsa_exception_fp_ieee_overflow 0
		.amdhsa_exception_fp_ieee_underflow 0
		.amdhsa_exception_fp_ieee_inexact 0
		.amdhsa_exception_int_div_zero 0
	.end_amdhsa_kernel
	.section	.text._ZN7rocprim17ROCPRIM_400000_NS6detail17trampoline_kernelINS0_14default_configENS1_27scan_by_key_config_selectorIiyEEZZNS1_16scan_by_key_implILNS1_25lookback_scan_determinismE0ELb0ES3_N6thrust23THRUST_200600_302600_NS6detail15normal_iteratorINS9_10device_ptrIiEEEENSB_INSC_IyEEEESG_yNS9_4plusIvEENS9_8equal_toIvEEyEE10hipError_tPvRmT2_T3_T4_T5_mT6_T7_P12ihipStream_tbENKUlT_T0_E_clISt17integral_constantIbLb1EES10_IbLb0EEEEDaSW_SX_EUlSW_E_NS1_11comp_targetILNS1_3genE10ELNS1_11target_archE1201ELNS1_3gpuE5ELNS1_3repE0EEENS1_30default_config_static_selectorELNS0_4arch9wavefront6targetE1EEEvT1_,"axG",@progbits,_ZN7rocprim17ROCPRIM_400000_NS6detail17trampoline_kernelINS0_14default_configENS1_27scan_by_key_config_selectorIiyEEZZNS1_16scan_by_key_implILNS1_25lookback_scan_determinismE0ELb0ES3_N6thrust23THRUST_200600_302600_NS6detail15normal_iteratorINS9_10device_ptrIiEEEENSB_INSC_IyEEEESG_yNS9_4plusIvEENS9_8equal_toIvEEyEE10hipError_tPvRmT2_T3_T4_T5_mT6_T7_P12ihipStream_tbENKUlT_T0_E_clISt17integral_constantIbLb1EES10_IbLb0EEEEDaSW_SX_EUlSW_E_NS1_11comp_targetILNS1_3genE10ELNS1_11target_archE1201ELNS1_3gpuE5ELNS1_3repE0EEENS1_30default_config_static_selectorELNS0_4arch9wavefront6targetE1EEEvT1_,comdat
.Lfunc_end1199:
	.size	_ZN7rocprim17ROCPRIM_400000_NS6detail17trampoline_kernelINS0_14default_configENS1_27scan_by_key_config_selectorIiyEEZZNS1_16scan_by_key_implILNS1_25lookback_scan_determinismE0ELb0ES3_N6thrust23THRUST_200600_302600_NS6detail15normal_iteratorINS9_10device_ptrIiEEEENSB_INSC_IyEEEESG_yNS9_4plusIvEENS9_8equal_toIvEEyEE10hipError_tPvRmT2_T3_T4_T5_mT6_T7_P12ihipStream_tbENKUlT_T0_E_clISt17integral_constantIbLb1EES10_IbLb0EEEEDaSW_SX_EUlSW_E_NS1_11comp_targetILNS1_3genE10ELNS1_11target_archE1201ELNS1_3gpuE5ELNS1_3repE0EEENS1_30default_config_static_selectorELNS0_4arch9wavefront6targetE1EEEvT1_, .Lfunc_end1199-_ZN7rocprim17ROCPRIM_400000_NS6detail17trampoline_kernelINS0_14default_configENS1_27scan_by_key_config_selectorIiyEEZZNS1_16scan_by_key_implILNS1_25lookback_scan_determinismE0ELb0ES3_N6thrust23THRUST_200600_302600_NS6detail15normal_iteratorINS9_10device_ptrIiEEEENSB_INSC_IyEEEESG_yNS9_4plusIvEENS9_8equal_toIvEEyEE10hipError_tPvRmT2_T3_T4_T5_mT6_T7_P12ihipStream_tbENKUlT_T0_E_clISt17integral_constantIbLb1EES10_IbLb0EEEEDaSW_SX_EUlSW_E_NS1_11comp_targetILNS1_3genE10ELNS1_11target_archE1201ELNS1_3gpuE5ELNS1_3repE0EEENS1_30default_config_static_selectorELNS0_4arch9wavefront6targetE1EEEvT1_
                                        ; -- End function
	.section	.AMDGPU.csdata,"",@progbits
; Kernel info:
; codeLenInByte = 0
; NumSgprs: 4
; NumVgprs: 0
; NumAgprs: 0
; TotalNumVgprs: 0
; ScratchSize: 0
; MemoryBound: 0
; FloatMode: 240
; IeeeMode: 1
; LDSByteSize: 0 bytes/workgroup (compile time only)
; SGPRBlocks: 0
; VGPRBlocks: 0
; NumSGPRsForWavesPerEU: 4
; NumVGPRsForWavesPerEU: 1
; AccumOffset: 4
; Occupancy: 8
; WaveLimiterHint : 0
; COMPUTE_PGM_RSRC2:SCRATCH_EN: 0
; COMPUTE_PGM_RSRC2:USER_SGPR: 6
; COMPUTE_PGM_RSRC2:TRAP_HANDLER: 0
; COMPUTE_PGM_RSRC2:TGID_X_EN: 1
; COMPUTE_PGM_RSRC2:TGID_Y_EN: 0
; COMPUTE_PGM_RSRC2:TGID_Z_EN: 0
; COMPUTE_PGM_RSRC2:TIDIG_COMP_CNT: 0
; COMPUTE_PGM_RSRC3_GFX90A:ACCUM_OFFSET: 0
; COMPUTE_PGM_RSRC3_GFX90A:TG_SPLIT: 0
	.section	.text._ZN7rocprim17ROCPRIM_400000_NS6detail17trampoline_kernelINS0_14default_configENS1_27scan_by_key_config_selectorIiyEEZZNS1_16scan_by_key_implILNS1_25lookback_scan_determinismE0ELb0ES3_N6thrust23THRUST_200600_302600_NS6detail15normal_iteratorINS9_10device_ptrIiEEEENSB_INSC_IyEEEESG_yNS9_4plusIvEENS9_8equal_toIvEEyEE10hipError_tPvRmT2_T3_T4_T5_mT6_T7_P12ihipStream_tbENKUlT_T0_E_clISt17integral_constantIbLb1EES10_IbLb0EEEEDaSW_SX_EUlSW_E_NS1_11comp_targetILNS1_3genE5ELNS1_11target_archE942ELNS1_3gpuE9ELNS1_3repE0EEENS1_30default_config_static_selectorELNS0_4arch9wavefront6targetE1EEEvT1_,"axG",@progbits,_ZN7rocprim17ROCPRIM_400000_NS6detail17trampoline_kernelINS0_14default_configENS1_27scan_by_key_config_selectorIiyEEZZNS1_16scan_by_key_implILNS1_25lookback_scan_determinismE0ELb0ES3_N6thrust23THRUST_200600_302600_NS6detail15normal_iteratorINS9_10device_ptrIiEEEENSB_INSC_IyEEEESG_yNS9_4plusIvEENS9_8equal_toIvEEyEE10hipError_tPvRmT2_T3_T4_T5_mT6_T7_P12ihipStream_tbENKUlT_T0_E_clISt17integral_constantIbLb1EES10_IbLb0EEEEDaSW_SX_EUlSW_E_NS1_11comp_targetILNS1_3genE5ELNS1_11target_archE942ELNS1_3gpuE9ELNS1_3repE0EEENS1_30default_config_static_selectorELNS0_4arch9wavefront6targetE1EEEvT1_,comdat
	.protected	_ZN7rocprim17ROCPRIM_400000_NS6detail17trampoline_kernelINS0_14default_configENS1_27scan_by_key_config_selectorIiyEEZZNS1_16scan_by_key_implILNS1_25lookback_scan_determinismE0ELb0ES3_N6thrust23THRUST_200600_302600_NS6detail15normal_iteratorINS9_10device_ptrIiEEEENSB_INSC_IyEEEESG_yNS9_4plusIvEENS9_8equal_toIvEEyEE10hipError_tPvRmT2_T3_T4_T5_mT6_T7_P12ihipStream_tbENKUlT_T0_E_clISt17integral_constantIbLb1EES10_IbLb0EEEEDaSW_SX_EUlSW_E_NS1_11comp_targetILNS1_3genE5ELNS1_11target_archE942ELNS1_3gpuE9ELNS1_3repE0EEENS1_30default_config_static_selectorELNS0_4arch9wavefront6targetE1EEEvT1_ ; -- Begin function _ZN7rocprim17ROCPRIM_400000_NS6detail17trampoline_kernelINS0_14default_configENS1_27scan_by_key_config_selectorIiyEEZZNS1_16scan_by_key_implILNS1_25lookback_scan_determinismE0ELb0ES3_N6thrust23THRUST_200600_302600_NS6detail15normal_iteratorINS9_10device_ptrIiEEEENSB_INSC_IyEEEESG_yNS9_4plusIvEENS9_8equal_toIvEEyEE10hipError_tPvRmT2_T3_T4_T5_mT6_T7_P12ihipStream_tbENKUlT_T0_E_clISt17integral_constantIbLb1EES10_IbLb0EEEEDaSW_SX_EUlSW_E_NS1_11comp_targetILNS1_3genE5ELNS1_11target_archE942ELNS1_3gpuE9ELNS1_3repE0EEENS1_30default_config_static_selectorELNS0_4arch9wavefront6targetE1EEEvT1_
	.globl	_ZN7rocprim17ROCPRIM_400000_NS6detail17trampoline_kernelINS0_14default_configENS1_27scan_by_key_config_selectorIiyEEZZNS1_16scan_by_key_implILNS1_25lookback_scan_determinismE0ELb0ES3_N6thrust23THRUST_200600_302600_NS6detail15normal_iteratorINS9_10device_ptrIiEEEENSB_INSC_IyEEEESG_yNS9_4plusIvEENS9_8equal_toIvEEyEE10hipError_tPvRmT2_T3_T4_T5_mT6_T7_P12ihipStream_tbENKUlT_T0_E_clISt17integral_constantIbLb1EES10_IbLb0EEEEDaSW_SX_EUlSW_E_NS1_11comp_targetILNS1_3genE5ELNS1_11target_archE942ELNS1_3gpuE9ELNS1_3repE0EEENS1_30default_config_static_selectorELNS0_4arch9wavefront6targetE1EEEvT1_
	.p2align	8
	.type	_ZN7rocprim17ROCPRIM_400000_NS6detail17trampoline_kernelINS0_14default_configENS1_27scan_by_key_config_selectorIiyEEZZNS1_16scan_by_key_implILNS1_25lookback_scan_determinismE0ELb0ES3_N6thrust23THRUST_200600_302600_NS6detail15normal_iteratorINS9_10device_ptrIiEEEENSB_INSC_IyEEEESG_yNS9_4plusIvEENS9_8equal_toIvEEyEE10hipError_tPvRmT2_T3_T4_T5_mT6_T7_P12ihipStream_tbENKUlT_T0_E_clISt17integral_constantIbLb1EES10_IbLb0EEEEDaSW_SX_EUlSW_E_NS1_11comp_targetILNS1_3genE5ELNS1_11target_archE942ELNS1_3gpuE9ELNS1_3repE0EEENS1_30default_config_static_selectorELNS0_4arch9wavefront6targetE1EEEvT1_,@function
_ZN7rocprim17ROCPRIM_400000_NS6detail17trampoline_kernelINS0_14default_configENS1_27scan_by_key_config_selectorIiyEEZZNS1_16scan_by_key_implILNS1_25lookback_scan_determinismE0ELb0ES3_N6thrust23THRUST_200600_302600_NS6detail15normal_iteratorINS9_10device_ptrIiEEEENSB_INSC_IyEEEESG_yNS9_4plusIvEENS9_8equal_toIvEEyEE10hipError_tPvRmT2_T3_T4_T5_mT6_T7_P12ihipStream_tbENKUlT_T0_E_clISt17integral_constantIbLb1EES10_IbLb0EEEEDaSW_SX_EUlSW_E_NS1_11comp_targetILNS1_3genE5ELNS1_11target_archE942ELNS1_3gpuE9ELNS1_3repE0EEENS1_30default_config_static_selectorELNS0_4arch9wavefront6targetE1EEEvT1_: ; @_ZN7rocprim17ROCPRIM_400000_NS6detail17trampoline_kernelINS0_14default_configENS1_27scan_by_key_config_selectorIiyEEZZNS1_16scan_by_key_implILNS1_25lookback_scan_determinismE0ELb0ES3_N6thrust23THRUST_200600_302600_NS6detail15normal_iteratorINS9_10device_ptrIiEEEENSB_INSC_IyEEEESG_yNS9_4plusIvEENS9_8equal_toIvEEyEE10hipError_tPvRmT2_T3_T4_T5_mT6_T7_P12ihipStream_tbENKUlT_T0_E_clISt17integral_constantIbLb1EES10_IbLb0EEEEDaSW_SX_EUlSW_E_NS1_11comp_targetILNS1_3genE5ELNS1_11target_archE942ELNS1_3gpuE9ELNS1_3repE0EEENS1_30default_config_static_selectorELNS0_4arch9wavefront6targetE1EEEvT1_
; %bb.0:
	.section	.rodata,"a",@progbits
	.p2align	6, 0x0
	.amdhsa_kernel _ZN7rocprim17ROCPRIM_400000_NS6detail17trampoline_kernelINS0_14default_configENS1_27scan_by_key_config_selectorIiyEEZZNS1_16scan_by_key_implILNS1_25lookback_scan_determinismE0ELb0ES3_N6thrust23THRUST_200600_302600_NS6detail15normal_iteratorINS9_10device_ptrIiEEEENSB_INSC_IyEEEESG_yNS9_4plusIvEENS9_8equal_toIvEEyEE10hipError_tPvRmT2_T3_T4_T5_mT6_T7_P12ihipStream_tbENKUlT_T0_E_clISt17integral_constantIbLb1EES10_IbLb0EEEEDaSW_SX_EUlSW_E_NS1_11comp_targetILNS1_3genE5ELNS1_11target_archE942ELNS1_3gpuE9ELNS1_3repE0EEENS1_30default_config_static_selectorELNS0_4arch9wavefront6targetE1EEEvT1_
		.amdhsa_group_segment_fixed_size 0
		.amdhsa_private_segment_fixed_size 0
		.amdhsa_kernarg_size 136
		.amdhsa_user_sgpr_count 6
		.amdhsa_user_sgpr_private_segment_buffer 1
		.amdhsa_user_sgpr_dispatch_ptr 0
		.amdhsa_user_sgpr_queue_ptr 0
		.amdhsa_user_sgpr_kernarg_segment_ptr 1
		.amdhsa_user_sgpr_dispatch_id 0
		.amdhsa_user_sgpr_flat_scratch_init 0
		.amdhsa_user_sgpr_kernarg_preload_length 0
		.amdhsa_user_sgpr_kernarg_preload_offset 0
		.amdhsa_user_sgpr_private_segment_size 0
		.amdhsa_uses_dynamic_stack 0
		.amdhsa_system_sgpr_private_segment_wavefront_offset 0
		.amdhsa_system_sgpr_workgroup_id_x 1
		.amdhsa_system_sgpr_workgroup_id_y 0
		.amdhsa_system_sgpr_workgroup_id_z 0
		.amdhsa_system_sgpr_workgroup_info 0
		.amdhsa_system_vgpr_workitem_id 0
		.amdhsa_next_free_vgpr 1
		.amdhsa_next_free_sgpr 0
		.amdhsa_accum_offset 4
		.amdhsa_reserve_vcc 0
		.amdhsa_reserve_flat_scratch 0
		.amdhsa_float_round_mode_32 0
		.amdhsa_float_round_mode_16_64 0
		.amdhsa_float_denorm_mode_32 3
		.amdhsa_float_denorm_mode_16_64 3
		.amdhsa_dx10_clamp 1
		.amdhsa_ieee_mode 1
		.amdhsa_fp16_overflow 0
		.amdhsa_tg_split 0
		.amdhsa_exception_fp_ieee_invalid_op 0
		.amdhsa_exception_fp_denorm_src 0
		.amdhsa_exception_fp_ieee_div_zero 0
		.amdhsa_exception_fp_ieee_overflow 0
		.amdhsa_exception_fp_ieee_underflow 0
		.amdhsa_exception_fp_ieee_inexact 0
		.amdhsa_exception_int_div_zero 0
	.end_amdhsa_kernel
	.section	.text._ZN7rocprim17ROCPRIM_400000_NS6detail17trampoline_kernelINS0_14default_configENS1_27scan_by_key_config_selectorIiyEEZZNS1_16scan_by_key_implILNS1_25lookback_scan_determinismE0ELb0ES3_N6thrust23THRUST_200600_302600_NS6detail15normal_iteratorINS9_10device_ptrIiEEEENSB_INSC_IyEEEESG_yNS9_4plusIvEENS9_8equal_toIvEEyEE10hipError_tPvRmT2_T3_T4_T5_mT6_T7_P12ihipStream_tbENKUlT_T0_E_clISt17integral_constantIbLb1EES10_IbLb0EEEEDaSW_SX_EUlSW_E_NS1_11comp_targetILNS1_3genE5ELNS1_11target_archE942ELNS1_3gpuE9ELNS1_3repE0EEENS1_30default_config_static_selectorELNS0_4arch9wavefront6targetE1EEEvT1_,"axG",@progbits,_ZN7rocprim17ROCPRIM_400000_NS6detail17trampoline_kernelINS0_14default_configENS1_27scan_by_key_config_selectorIiyEEZZNS1_16scan_by_key_implILNS1_25lookback_scan_determinismE0ELb0ES3_N6thrust23THRUST_200600_302600_NS6detail15normal_iteratorINS9_10device_ptrIiEEEENSB_INSC_IyEEEESG_yNS9_4plusIvEENS9_8equal_toIvEEyEE10hipError_tPvRmT2_T3_T4_T5_mT6_T7_P12ihipStream_tbENKUlT_T0_E_clISt17integral_constantIbLb1EES10_IbLb0EEEEDaSW_SX_EUlSW_E_NS1_11comp_targetILNS1_3genE5ELNS1_11target_archE942ELNS1_3gpuE9ELNS1_3repE0EEENS1_30default_config_static_selectorELNS0_4arch9wavefront6targetE1EEEvT1_,comdat
.Lfunc_end1200:
	.size	_ZN7rocprim17ROCPRIM_400000_NS6detail17trampoline_kernelINS0_14default_configENS1_27scan_by_key_config_selectorIiyEEZZNS1_16scan_by_key_implILNS1_25lookback_scan_determinismE0ELb0ES3_N6thrust23THRUST_200600_302600_NS6detail15normal_iteratorINS9_10device_ptrIiEEEENSB_INSC_IyEEEESG_yNS9_4plusIvEENS9_8equal_toIvEEyEE10hipError_tPvRmT2_T3_T4_T5_mT6_T7_P12ihipStream_tbENKUlT_T0_E_clISt17integral_constantIbLb1EES10_IbLb0EEEEDaSW_SX_EUlSW_E_NS1_11comp_targetILNS1_3genE5ELNS1_11target_archE942ELNS1_3gpuE9ELNS1_3repE0EEENS1_30default_config_static_selectorELNS0_4arch9wavefront6targetE1EEEvT1_, .Lfunc_end1200-_ZN7rocprim17ROCPRIM_400000_NS6detail17trampoline_kernelINS0_14default_configENS1_27scan_by_key_config_selectorIiyEEZZNS1_16scan_by_key_implILNS1_25lookback_scan_determinismE0ELb0ES3_N6thrust23THRUST_200600_302600_NS6detail15normal_iteratorINS9_10device_ptrIiEEEENSB_INSC_IyEEEESG_yNS9_4plusIvEENS9_8equal_toIvEEyEE10hipError_tPvRmT2_T3_T4_T5_mT6_T7_P12ihipStream_tbENKUlT_T0_E_clISt17integral_constantIbLb1EES10_IbLb0EEEEDaSW_SX_EUlSW_E_NS1_11comp_targetILNS1_3genE5ELNS1_11target_archE942ELNS1_3gpuE9ELNS1_3repE0EEENS1_30default_config_static_selectorELNS0_4arch9wavefront6targetE1EEEvT1_
                                        ; -- End function
	.section	.AMDGPU.csdata,"",@progbits
; Kernel info:
; codeLenInByte = 0
; NumSgprs: 4
; NumVgprs: 0
; NumAgprs: 0
; TotalNumVgprs: 0
; ScratchSize: 0
; MemoryBound: 0
; FloatMode: 240
; IeeeMode: 1
; LDSByteSize: 0 bytes/workgroup (compile time only)
; SGPRBlocks: 0
; VGPRBlocks: 0
; NumSGPRsForWavesPerEU: 4
; NumVGPRsForWavesPerEU: 1
; AccumOffset: 4
; Occupancy: 8
; WaveLimiterHint : 0
; COMPUTE_PGM_RSRC2:SCRATCH_EN: 0
; COMPUTE_PGM_RSRC2:USER_SGPR: 6
; COMPUTE_PGM_RSRC2:TRAP_HANDLER: 0
; COMPUTE_PGM_RSRC2:TGID_X_EN: 1
; COMPUTE_PGM_RSRC2:TGID_Y_EN: 0
; COMPUTE_PGM_RSRC2:TGID_Z_EN: 0
; COMPUTE_PGM_RSRC2:TIDIG_COMP_CNT: 0
; COMPUTE_PGM_RSRC3_GFX90A:ACCUM_OFFSET: 0
; COMPUTE_PGM_RSRC3_GFX90A:TG_SPLIT: 0
	.section	.text._ZN7rocprim17ROCPRIM_400000_NS6detail17trampoline_kernelINS0_14default_configENS1_27scan_by_key_config_selectorIiyEEZZNS1_16scan_by_key_implILNS1_25lookback_scan_determinismE0ELb0ES3_N6thrust23THRUST_200600_302600_NS6detail15normal_iteratorINS9_10device_ptrIiEEEENSB_INSC_IyEEEESG_yNS9_4plusIvEENS9_8equal_toIvEEyEE10hipError_tPvRmT2_T3_T4_T5_mT6_T7_P12ihipStream_tbENKUlT_T0_E_clISt17integral_constantIbLb1EES10_IbLb0EEEEDaSW_SX_EUlSW_E_NS1_11comp_targetILNS1_3genE4ELNS1_11target_archE910ELNS1_3gpuE8ELNS1_3repE0EEENS1_30default_config_static_selectorELNS0_4arch9wavefront6targetE1EEEvT1_,"axG",@progbits,_ZN7rocprim17ROCPRIM_400000_NS6detail17trampoline_kernelINS0_14default_configENS1_27scan_by_key_config_selectorIiyEEZZNS1_16scan_by_key_implILNS1_25lookback_scan_determinismE0ELb0ES3_N6thrust23THRUST_200600_302600_NS6detail15normal_iteratorINS9_10device_ptrIiEEEENSB_INSC_IyEEEESG_yNS9_4plusIvEENS9_8equal_toIvEEyEE10hipError_tPvRmT2_T3_T4_T5_mT6_T7_P12ihipStream_tbENKUlT_T0_E_clISt17integral_constantIbLb1EES10_IbLb0EEEEDaSW_SX_EUlSW_E_NS1_11comp_targetILNS1_3genE4ELNS1_11target_archE910ELNS1_3gpuE8ELNS1_3repE0EEENS1_30default_config_static_selectorELNS0_4arch9wavefront6targetE1EEEvT1_,comdat
	.protected	_ZN7rocprim17ROCPRIM_400000_NS6detail17trampoline_kernelINS0_14default_configENS1_27scan_by_key_config_selectorIiyEEZZNS1_16scan_by_key_implILNS1_25lookback_scan_determinismE0ELb0ES3_N6thrust23THRUST_200600_302600_NS6detail15normal_iteratorINS9_10device_ptrIiEEEENSB_INSC_IyEEEESG_yNS9_4plusIvEENS9_8equal_toIvEEyEE10hipError_tPvRmT2_T3_T4_T5_mT6_T7_P12ihipStream_tbENKUlT_T0_E_clISt17integral_constantIbLb1EES10_IbLb0EEEEDaSW_SX_EUlSW_E_NS1_11comp_targetILNS1_3genE4ELNS1_11target_archE910ELNS1_3gpuE8ELNS1_3repE0EEENS1_30default_config_static_selectorELNS0_4arch9wavefront6targetE1EEEvT1_ ; -- Begin function _ZN7rocprim17ROCPRIM_400000_NS6detail17trampoline_kernelINS0_14default_configENS1_27scan_by_key_config_selectorIiyEEZZNS1_16scan_by_key_implILNS1_25lookback_scan_determinismE0ELb0ES3_N6thrust23THRUST_200600_302600_NS6detail15normal_iteratorINS9_10device_ptrIiEEEENSB_INSC_IyEEEESG_yNS9_4plusIvEENS9_8equal_toIvEEyEE10hipError_tPvRmT2_T3_T4_T5_mT6_T7_P12ihipStream_tbENKUlT_T0_E_clISt17integral_constantIbLb1EES10_IbLb0EEEEDaSW_SX_EUlSW_E_NS1_11comp_targetILNS1_3genE4ELNS1_11target_archE910ELNS1_3gpuE8ELNS1_3repE0EEENS1_30default_config_static_selectorELNS0_4arch9wavefront6targetE1EEEvT1_
	.globl	_ZN7rocprim17ROCPRIM_400000_NS6detail17trampoline_kernelINS0_14default_configENS1_27scan_by_key_config_selectorIiyEEZZNS1_16scan_by_key_implILNS1_25lookback_scan_determinismE0ELb0ES3_N6thrust23THRUST_200600_302600_NS6detail15normal_iteratorINS9_10device_ptrIiEEEENSB_INSC_IyEEEESG_yNS9_4plusIvEENS9_8equal_toIvEEyEE10hipError_tPvRmT2_T3_T4_T5_mT6_T7_P12ihipStream_tbENKUlT_T0_E_clISt17integral_constantIbLb1EES10_IbLb0EEEEDaSW_SX_EUlSW_E_NS1_11comp_targetILNS1_3genE4ELNS1_11target_archE910ELNS1_3gpuE8ELNS1_3repE0EEENS1_30default_config_static_selectorELNS0_4arch9wavefront6targetE1EEEvT1_
	.p2align	8
	.type	_ZN7rocprim17ROCPRIM_400000_NS6detail17trampoline_kernelINS0_14default_configENS1_27scan_by_key_config_selectorIiyEEZZNS1_16scan_by_key_implILNS1_25lookback_scan_determinismE0ELb0ES3_N6thrust23THRUST_200600_302600_NS6detail15normal_iteratorINS9_10device_ptrIiEEEENSB_INSC_IyEEEESG_yNS9_4plusIvEENS9_8equal_toIvEEyEE10hipError_tPvRmT2_T3_T4_T5_mT6_T7_P12ihipStream_tbENKUlT_T0_E_clISt17integral_constantIbLb1EES10_IbLb0EEEEDaSW_SX_EUlSW_E_NS1_11comp_targetILNS1_3genE4ELNS1_11target_archE910ELNS1_3gpuE8ELNS1_3repE0EEENS1_30default_config_static_selectorELNS0_4arch9wavefront6targetE1EEEvT1_,@function
_ZN7rocprim17ROCPRIM_400000_NS6detail17trampoline_kernelINS0_14default_configENS1_27scan_by_key_config_selectorIiyEEZZNS1_16scan_by_key_implILNS1_25lookback_scan_determinismE0ELb0ES3_N6thrust23THRUST_200600_302600_NS6detail15normal_iteratorINS9_10device_ptrIiEEEENSB_INSC_IyEEEESG_yNS9_4plusIvEENS9_8equal_toIvEEyEE10hipError_tPvRmT2_T3_T4_T5_mT6_T7_P12ihipStream_tbENKUlT_T0_E_clISt17integral_constantIbLb1EES10_IbLb0EEEEDaSW_SX_EUlSW_E_NS1_11comp_targetILNS1_3genE4ELNS1_11target_archE910ELNS1_3gpuE8ELNS1_3repE0EEENS1_30default_config_static_selectorELNS0_4arch9wavefront6targetE1EEEvT1_: ; @_ZN7rocprim17ROCPRIM_400000_NS6detail17trampoline_kernelINS0_14default_configENS1_27scan_by_key_config_selectorIiyEEZZNS1_16scan_by_key_implILNS1_25lookback_scan_determinismE0ELb0ES3_N6thrust23THRUST_200600_302600_NS6detail15normal_iteratorINS9_10device_ptrIiEEEENSB_INSC_IyEEEESG_yNS9_4plusIvEENS9_8equal_toIvEEyEE10hipError_tPvRmT2_T3_T4_T5_mT6_T7_P12ihipStream_tbENKUlT_T0_E_clISt17integral_constantIbLb1EES10_IbLb0EEEEDaSW_SX_EUlSW_E_NS1_11comp_targetILNS1_3genE4ELNS1_11target_archE910ELNS1_3gpuE8ELNS1_3repE0EEENS1_30default_config_static_selectorELNS0_4arch9wavefront6targetE1EEEvT1_
; %bb.0:
	s_load_dwordx8 s[52:59], s[4:5], 0x0
	s_load_dwordx8 s[68:75], s[4:5], 0x30
	s_load_dwordx2 s[8:9], s[4:5], 0x50
	s_load_dword s2, s[4:5], 0x58
	s_load_dwordx8 s[88:95], s[4:5], 0x60
	s_waitcnt lgkmcnt(0)
	s_lshl_b64 s[0:1], s[54:55], 2
	s_add_u32 s7, s52, s0
	s_addc_u32 s10, s53, s1
	s_lshl_b64 s[0:1], s[54:55], 3
	s_add_u32 s11, s56, s0
	s_mul_i32 s3, s9, s2
	s_mul_hi_u32 s4, s8, s2
	s_addc_u32 s12, s57, s1
	s_add_i32 s13, s4, s3
                                        ; implicit-def: $vgpr131 : SGPR spill to VGPR lane
	s_cmp_lg_u64 s[92:93], 0
	v_writelane_b32 v131, s8, 0
	s_mul_i32 s14, s8, s2
	s_mul_i32 s2, s6, 0x540
	s_mov_b32 s3, 0
	v_writelane_b32 v131, s9, 1
	s_cselect_b64 s[50:51], -1, 0
	s_lshl_b64 s[8:9], s[2:3], 2
	s_add_u32 s48, s7, s8
	s_addc_u32 s49, s10, s9
	s_lshl_b64 s[86:87], s[2:3], 3
	s_add_u32 s7, s11, s86
	s_addc_u32 s62, s12, s87
	s_add_u32 s52, s14, s6
	s_addc_u32 s53, s13, 0
	s_add_u32 s2, s88, -1
	s_addc_u32 s3, s89, -1
	v_pk_mov_b32 v[2:3], s[2:3], s[2:3] op_sel:[0,1]
	v_cmp_ge_u64_e64 s[88:89], s[52:53], v[2:3]
	s_mov_b64 s[4:5], 0
	s_mov_b64 s[10:11], -1
	s_and_b64 vcc, exec, s[88:89]
	s_mul_i32 s33, s2, 0xfffffac0
	s_waitcnt lgkmcnt(0)
	; wave barrier
	s_cbranch_vccz .LBB1201_112
; %bb.1:
	v_pk_mov_b32 v[2:3], s[48:49], s[48:49] op_sel:[0,1]
	flat_load_dword v2, v[2:3]
	s_add_i32 s64, s33, s74
	v_cmp_gt_u32_e64 s[2:3], s64, v0
	s_waitcnt vmcnt(0) lgkmcnt(0)
	v_mov_b32_e32 v3, v2
	s_and_saveexec_b64 s[4:5], s[2:3]
	s_cbranch_execz .LBB1201_3
; %bb.2:
	v_lshlrev_b32_e32 v1, 2, v0
	v_mov_b32_e32 v3, s49
	v_add_co_u32_e32 v4, vcc, s48, v1
	v_addc_co_u32_e32 v5, vcc, 0, v3, vcc
	flat_load_dword v3, v[4:5]
.LBB1201_3:
	s_or_b64 exec, exec, s[4:5]
	v_or_b32_e32 v1, 64, v0
	v_cmp_gt_u32_e64 s[4:5], s64, v1
	v_mov_b32_e32 v4, v2
	s_and_saveexec_b64 s[8:9], s[4:5]
	s_cbranch_execz .LBB1201_5
; %bb.4:
	v_lshlrev_b32_e32 v1, 2, v0
	v_mov_b32_e32 v5, s49
	v_add_co_u32_e32 v4, vcc, s48, v1
	v_addc_co_u32_e32 v5, vcc, 0, v5, vcc
	flat_load_dword v4, v[4:5] offset:256
.LBB1201_5:
	s_or_b64 exec, exec, s[8:9]
	v_or_b32_e32 v1, 0x80, v0
	v_cmp_gt_u32_e64 s[46:47], s64, v1
	v_mov_b32_e32 v5, v2
	s_and_saveexec_b64 s[8:9], s[46:47]
	s_cbranch_execz .LBB1201_7
; %bb.6:
	v_lshlrev_b32_e32 v1, 2, v0
	v_mov_b32_e32 v5, s49
	v_add_co_u32_e32 v6, vcc, s48, v1
	v_addc_co_u32_e32 v7, vcc, 0, v5, vcc
	flat_load_dword v5, v[6:7] offset:512
.LBB1201_7:
	s_or_b64 exec, exec, s[8:9]
	v_or_b32_e32 v1, 0xc0, v0
	v_cmp_gt_u32_e64 s[8:9], s64, v1
	v_mov_b32_e32 v6, v2
	s_and_saveexec_b64 s[10:11], s[8:9]
	s_cbranch_execz .LBB1201_9
; %bb.8:
	v_lshlrev_b32_e32 v1, 2, v0
	v_mov_b32_e32 v7, s49
	v_add_co_u32_e32 v6, vcc, s48, v1
	v_addc_co_u32_e32 v7, vcc, 0, v7, vcc
	flat_load_dword v6, v[6:7] offset:768
.LBB1201_9:
	s_or_b64 exec, exec, s[10:11]
	v_or_b32_e32 v1, 0x100, v0
	v_cmp_gt_u32_e64 s[10:11], s64, v1
	v_mov_b32_e32 v7, v2
	s_and_saveexec_b64 s[12:13], s[10:11]
	s_cbranch_execz .LBB1201_11
; %bb.10:
	v_lshlrev_b32_e32 v1, 2, v0
	v_mov_b32_e32 v7, s49
	v_add_co_u32_e32 v8, vcc, s48, v1
	v_addc_co_u32_e32 v9, vcc, 0, v7, vcc
	flat_load_dword v7, v[8:9] offset:1024
.LBB1201_11:
	s_or_b64 exec, exec, s[12:13]
	v_or_b32_e32 v1, 0x140, v0
	v_cmp_gt_u32_e64 s[12:13], s64, v1
	v_mov_b32_e32 v8, v2
	s_and_saveexec_b64 s[14:15], s[12:13]
	s_cbranch_execz .LBB1201_13
; %bb.12:
	v_lshlrev_b32_e32 v1, 2, v0
	v_mov_b32_e32 v9, s49
	v_add_co_u32_e32 v8, vcc, s48, v1
	v_addc_co_u32_e32 v9, vcc, 0, v9, vcc
	flat_load_dword v8, v[8:9] offset:1280
.LBB1201_13:
	s_or_b64 exec, exec, s[14:15]
	v_or_b32_e32 v1, 0x180, v0
	v_cmp_gt_u32_e64 s[14:15], s64, v1
	v_mov_b32_e32 v9, v2
	s_and_saveexec_b64 s[16:17], s[14:15]
	s_cbranch_execz .LBB1201_15
; %bb.14:
	v_lshlrev_b32_e32 v1, 2, v0
	v_mov_b32_e32 v9, s49
	v_add_co_u32_e32 v10, vcc, s48, v1
	v_addc_co_u32_e32 v11, vcc, 0, v9, vcc
	flat_load_dword v9, v[10:11] offset:1536
.LBB1201_15:
	s_or_b64 exec, exec, s[16:17]
	v_or_b32_e32 v1, 0x1c0, v0
	v_cmp_gt_u32_e64 s[16:17], s64, v1
	v_mov_b32_e32 v10, v2
	s_and_saveexec_b64 s[18:19], s[16:17]
	s_cbranch_execz .LBB1201_17
; %bb.16:
	v_lshlrev_b32_e32 v1, 2, v0
	v_mov_b32_e32 v11, s49
	v_add_co_u32_e32 v10, vcc, s48, v1
	v_addc_co_u32_e32 v11, vcc, 0, v11, vcc
	flat_load_dword v10, v[10:11] offset:1792
.LBB1201_17:
	s_or_b64 exec, exec, s[18:19]
	v_or_b32_e32 v1, 0x200, v0
	v_cmp_gt_u32_e64 s[18:19], s64, v1
	v_mov_b32_e32 v11, v2
	s_and_saveexec_b64 s[20:21], s[18:19]
	s_cbranch_execz .LBB1201_19
; %bb.18:
	v_lshlrev_b32_e32 v11, 2, v0
	v_mov_b32_e32 v13, s49
	v_add_co_u32_e32 v12, vcc, s48, v11
	v_addc_co_u32_e32 v13, vcc, 0, v13, vcc
	flat_load_dword v11, v[12:13] offset:2048
.LBB1201_19:
	s_or_b64 exec, exec, s[20:21]
	v_or_b32_e32 v38, 0x240, v0
	v_cmp_gt_u32_e64 s[20:21], s64, v38
	v_mov_b32_e32 v12, v2
	s_and_saveexec_b64 s[22:23], s[20:21]
	s_cbranch_execz .LBB1201_21
; %bb.20:
	v_lshlrev_b32_e32 v12, 2, v0
	v_mov_b32_e32 v13, s49
	v_add_co_u32_e32 v12, vcc, s48, v12
	v_addc_co_u32_e32 v13, vcc, 0, v13, vcc
	flat_load_dword v12, v[12:13] offset:2304
.LBB1201_21:
	s_or_b64 exec, exec, s[22:23]
	v_or_b32_e32 v42, 0x280, v0
	v_cmp_gt_u32_e64 s[22:23], s64, v42
	v_mov_b32_e32 v13, v2
	s_and_saveexec_b64 s[24:25], s[22:23]
	s_cbranch_execz .LBB1201_23
; %bb.22:
	v_lshlrev_b32_e32 v13, 2, v0
	v_mov_b32_e32 v15, s49
	v_add_co_u32_e32 v14, vcc, s48, v13
	v_addc_co_u32_e32 v15, vcc, 0, v15, vcc
	flat_load_dword v13, v[14:15] offset:2560
.LBB1201_23:
	s_or_b64 exec, exec, s[24:25]
	v_or_b32_e32 v46, 0x2c0, v0
	v_cmp_gt_u32_e64 s[24:25], s64, v46
	v_mov_b32_e32 v14, v2
	s_and_saveexec_b64 s[26:27], s[24:25]
	s_cbranch_execz .LBB1201_25
; %bb.24:
	v_lshlrev_b32_e32 v14, 2, v0
	v_mov_b32_e32 v15, s49
	v_add_co_u32_e32 v14, vcc, s48, v14
	v_addc_co_u32_e32 v15, vcc, 0, v15, vcc
	flat_load_dword v14, v[14:15] offset:2816
.LBB1201_25:
	s_or_b64 exec, exec, s[26:27]
	v_or_b32_e32 v48, 0x300, v0
	v_cmp_gt_u32_e64 s[26:27], s64, v48
	v_mov_b32_e32 v15, v2
	s_and_saveexec_b64 s[28:29], s[26:27]
	s_cbranch_execz .LBB1201_27
; %bb.26:
	v_lshlrev_b32_e32 v15, 2, v0
	v_mov_b32_e32 v17, s49
	v_add_co_u32_e32 v16, vcc, s48, v15
	v_addc_co_u32_e32 v17, vcc, 0, v17, vcc
	flat_load_dword v15, v[16:17] offset:3072
.LBB1201_27:
	s_or_b64 exec, exec, s[28:29]
	v_or_b32_e32 v50, 0x340, v0
	v_cmp_gt_u32_e64 s[28:29], s64, v50
	v_mov_b32_e32 v16, v2
	s_and_saveexec_b64 s[30:31], s[28:29]
	s_cbranch_execz .LBB1201_29
; %bb.28:
	v_lshlrev_b32_e32 v16, 2, v0
	v_mov_b32_e32 v17, s49
	v_add_co_u32_e32 v16, vcc, s48, v16
	v_addc_co_u32_e32 v17, vcc, 0, v17, vcc
	flat_load_dword v16, v[16:17] offset:3328
.LBB1201_29:
	s_or_b64 exec, exec, s[30:31]
	v_or_b32_e32 v52, 0x380, v0
	v_cmp_gt_u32_e64 s[30:31], s64, v52
	v_mov_b32_e32 v17, v2
	s_and_saveexec_b64 s[34:35], s[30:31]
	s_cbranch_execz .LBB1201_31
; %bb.30:
	v_lshlrev_b32_e32 v17, 2, v0
	v_mov_b32_e32 v19, s49
	v_add_co_u32_e32 v18, vcc, s48, v17
	v_addc_co_u32_e32 v19, vcc, 0, v19, vcc
	flat_load_dword v17, v[18:19] offset:3584
.LBB1201_31:
	s_or_b64 exec, exec, s[34:35]
	v_or_b32_e32 v54, 0x3c0, v0
	v_cmp_gt_u32_e64 s[34:35], s64, v54
	v_mov_b32_e32 v18, v2
	s_and_saveexec_b64 s[36:37], s[34:35]
	s_cbranch_execz .LBB1201_33
; %bb.32:
	v_lshlrev_b32_e32 v18, 2, v0
	v_mov_b32_e32 v19, s49
	v_add_co_u32_e32 v18, vcc, s48, v18
	v_addc_co_u32_e32 v19, vcc, 0, v19, vcc
	flat_load_dword v18, v[18:19] offset:3840
.LBB1201_33:
	s_or_b64 exec, exec, s[36:37]
	v_or_b32_e32 v56, 0x400, v0
	v_cmp_gt_u32_e64 s[36:37], s64, v56
	v_mov_b32_e32 v19, v2
	s_and_saveexec_b64 s[38:39], s[36:37]
	s_cbranch_execz .LBB1201_35
; %bb.34:
	v_lshlrev_b32_e32 v19, 2, v56
	v_mov_b32_e32 v21, s49
	v_add_co_u32_e32 v20, vcc, s48, v19
	v_addc_co_u32_e32 v21, vcc, 0, v21, vcc
	flat_load_dword v19, v[20:21]
.LBB1201_35:
	s_or_b64 exec, exec, s[38:39]
	v_or_b32_e32 v58, 0x440, v0
	v_cmp_gt_u32_e64 s[38:39], s64, v58
	v_mov_b32_e32 v20, v2
	s_and_saveexec_b64 s[40:41], s[38:39]
	s_cbranch_execz .LBB1201_37
; %bb.36:
	v_lshlrev_b32_e32 v20, 2, v58
	v_mov_b32_e32 v21, s49
	v_add_co_u32_e32 v20, vcc, s48, v20
	v_addc_co_u32_e32 v21, vcc, 0, v21, vcc
	flat_load_dword v20, v[20:21]
.LBB1201_37:
	;; [unrolled: 13-line block ×4, first 2 shown]
	s_or_b64 exec, exec, s[44:45]
	v_or_b32_e32 v65, 0x500, v0
	v_cmp_gt_u32_e64 s[44:45], s64, v65
	s_and_saveexec_b64 s[54:55], s[44:45]
	s_cbranch_execz .LBB1201_43
; %bb.42:
	v_lshlrev_b32_e32 v2, 2, v65
	v_mov_b32_e32 v23, s49
	v_add_co_u32_e32 v24, vcc, s48, v2
	v_addc_co_u32_e32 v25, vcc, 0, v23, vcc
	flat_load_dword v2, v[24:25]
.LBB1201_43:
	s_or_b64 exec, exec, s[54:55]
	v_lshlrev_b32_e32 v23, 2, v0
	s_movk_i32 s54, 0x50
	s_waitcnt vmcnt(0) lgkmcnt(0)
	ds_write2st64_b32 v23, v3, v4 offset1:1
	ds_write2st64_b32 v23, v5, v6 offset0:2 offset1:3
	ds_write2st64_b32 v23, v7, v8 offset0:4 offset1:5
	;; [unrolled: 1-line block ×9, first 2 shown]
	ds_write_b32 v23, v2 offset:5120
	v_mad_u32_u24 v2, v0, s54, v23
	s_waitcnt lgkmcnt(0)
	; wave barrier
	s_waitcnt lgkmcnt(0)
	ds_read2_b32 v[40:41], v2 offset0:7 offset1:8
	ds_read2_b32 v[44:45], v2 offset0:5 offset1:6
	;; [unrolled: 1-line block ×3, first 2 shown]
	ds_read2_b32 v[36:37], v2 offset1:1
	ds_read2_b32 v[32:33], v2 offset0:4 offset1:9
	ds_read2_b32 v[8:9], v2 offset0:15 offset1:16
	ds_read_b32 v64, v2 offset:56
	ds_read2_b32 v[16:17], v2 offset0:12 offset1:13
	ds_read2_b32 v[24:25], v2 offset0:10 offset1:11
	;; [unrolled: 1-line block ×4, first 2 shown]
	s_cmp_eq_u64 s[52:53], 0
	s_mov_b64 s[54:55], s[48:49]
	s_cbranch_scc1 .LBB1201_47
; %bb.44:
	s_andn2_b64 vcc, exec, s[50:51]
	s_cbranch_vccnz .LBB1201_275
; %bb.45:
	s_lshl_b64 s[54:55], s[52:53], 2
	s_add_u32 s54, s94, s54
	s_addc_u32 s55, s95, s55
	s_add_u32 s54, s54, -4
	s_addc_u32 s55, s55, -1
	s_cbranch_execnz .LBB1201_47
.LBB1201_46:
	s_add_u32 s54, s48, -4
	s_addc_u32 s55, s49, -1
.LBB1201_47:
	v_pk_mov_b32 v[6:7], s[54:55], s[54:55] op_sel:[0,1]
	flat_load_dword v68, v[6:7]
	s_movk_i32 s54, 0xffb0
	v_mad_i32_i24 v66, v0, s54, v2
	v_cmp_ne_u32_e32 vcc, 0, v0
	s_waitcnt lgkmcnt(0)
	ds_write_b32 v66, v5 offset:5376
	s_waitcnt lgkmcnt(0)
	; wave barrier
	s_waitcnt lgkmcnt(0)
	s_and_saveexec_b64 s[54:55], vcc
	s_cbranch_execz .LBB1201_49
; %bb.48:
	s_waitcnt vmcnt(0)
	ds_read_b32 v68, v66 offset:5372
.LBB1201_49:
	s_or_b64 exec, exec, s[54:55]
	s_waitcnt lgkmcnt(0)
	; wave barrier
	s_waitcnt lgkmcnt(0)
                                        ; implicit-def: $vgpr2_vgpr3
	s_and_saveexec_b64 s[54:55], s[2:3]
	s_cbranch_execnz .LBB1201_255
; %bb.50:
	s_or_b64 exec, exec, s[54:55]
                                        ; implicit-def: $vgpr6_vgpr7
	s_and_saveexec_b64 s[2:3], s[4:5]
	s_cbranch_execnz .LBB1201_256
.LBB1201_51:
	s_or_b64 exec, exec, s[2:3]
                                        ; implicit-def: $vgpr10_vgpr11
	s_and_saveexec_b64 s[2:3], s[46:47]
	s_cbranch_execnz .LBB1201_257
.LBB1201_52:
	s_or_b64 exec, exec, s[2:3]
                                        ; implicit-def: $vgpr14_vgpr15
	s_and_saveexec_b64 s[2:3], s[8:9]
	s_cbranch_execnz .LBB1201_258
.LBB1201_53:
	s_or_b64 exec, exec, s[2:3]
                                        ; implicit-def: $vgpr18_vgpr19
	s_and_saveexec_b64 s[2:3], s[10:11]
	s_cbranch_execnz .LBB1201_259
.LBB1201_54:
	s_or_b64 exec, exec, s[2:3]
                                        ; implicit-def: $vgpr20_vgpr21
	s_and_saveexec_b64 s[2:3], s[12:13]
	s_cbranch_execnz .LBB1201_260
.LBB1201_55:
	s_or_b64 exec, exec, s[2:3]
                                        ; implicit-def: $vgpr22_vgpr23
	s_and_saveexec_b64 s[2:3], s[14:15]
	s_cbranch_execnz .LBB1201_261
.LBB1201_56:
	s_or_b64 exec, exec, s[2:3]
                                        ; implicit-def: $vgpr26_vgpr27
	s_and_saveexec_b64 s[2:3], s[16:17]
	s_cbranch_execnz .LBB1201_262
.LBB1201_57:
	s_or_b64 exec, exec, s[2:3]
                                        ; implicit-def: $vgpr30_vgpr31
	s_and_saveexec_b64 s[2:3], s[18:19]
	s_cbranch_execnz .LBB1201_263
.LBB1201_58:
	s_or_b64 exec, exec, s[2:3]
                                        ; implicit-def: $vgpr34_vgpr35
	s_and_saveexec_b64 s[2:3], s[20:21]
	s_cbranch_execnz .LBB1201_264
.LBB1201_59:
	s_or_b64 exec, exec, s[2:3]
                                        ; implicit-def: $vgpr38_vgpr39
	s_and_saveexec_b64 s[2:3], s[22:23]
	s_cbranch_execnz .LBB1201_265
.LBB1201_60:
	s_or_b64 exec, exec, s[2:3]
                                        ; implicit-def: $vgpr42_vgpr43
	s_and_saveexec_b64 s[2:3], s[24:25]
	s_cbranch_execnz .LBB1201_266
.LBB1201_61:
	s_or_b64 exec, exec, s[2:3]
                                        ; implicit-def: $vgpr46_vgpr47
	s_and_saveexec_b64 s[2:3], s[26:27]
	s_cbranch_execnz .LBB1201_267
.LBB1201_62:
	s_or_b64 exec, exec, s[2:3]
                                        ; implicit-def: $vgpr48_vgpr49
	s_and_saveexec_b64 s[2:3], s[28:29]
	s_cbranch_execnz .LBB1201_268
.LBB1201_63:
	s_or_b64 exec, exec, s[2:3]
                                        ; implicit-def: $vgpr50_vgpr51
	s_and_saveexec_b64 s[2:3], s[30:31]
	s_cbranch_execnz .LBB1201_269
.LBB1201_64:
	s_or_b64 exec, exec, s[2:3]
                                        ; implicit-def: $vgpr52_vgpr53
	s_and_saveexec_b64 s[2:3], s[34:35]
	s_cbranch_execnz .LBB1201_270
.LBB1201_65:
	s_or_b64 exec, exec, s[2:3]
                                        ; implicit-def: $vgpr54_vgpr55
	s_and_saveexec_b64 s[2:3], s[36:37]
	s_cbranch_execnz .LBB1201_271
.LBB1201_66:
	s_or_b64 exec, exec, s[2:3]
                                        ; implicit-def: $vgpr56_vgpr57
	s_and_saveexec_b64 s[2:3], s[38:39]
	s_cbranch_execnz .LBB1201_272
.LBB1201_67:
	s_or_b64 exec, exec, s[2:3]
                                        ; implicit-def: $vgpr58_vgpr59
	s_and_saveexec_b64 s[2:3], s[40:41]
	s_cbranch_execnz .LBB1201_273
.LBB1201_68:
	s_or_b64 exec, exec, s[2:3]
                                        ; implicit-def: $vgpr60_vgpr61
	s_and_saveexec_b64 s[2:3], s[42:43]
	s_cbranch_execnz .LBB1201_274
.LBB1201_69:
	s_or_b64 exec, exec, s[2:3]
                                        ; implicit-def: $vgpr62_vgpr63
	s_and_saveexec_b64 s[2:3], s[44:45]
	s_cbranch_execz .LBB1201_71
.LBB1201_70:
	v_lshlrev_b32_e32 v1, 3, v65
	v_mov_b32_e32 v63, s62
	v_add_co_u32_e32 v62, vcc, s7, v1
	v_addc_co_u32_e32 v63, vcc, 0, v63, vcc
	flat_load_dwordx2 v[62:63], v[62:63]
.LBB1201_71:
	s_or_b64 exec, exec, s[2:3]
	v_lshl_add_u32 v69, v0, 2, v66
	v_mul_u32_u24_e32 v65, 21, v0
	s_waitcnt vmcnt(0) lgkmcnt(0)
	ds_write2st64_b64 v69, v[2:3], v[6:7] offset1:1
	ds_write2st64_b64 v69, v[10:11], v[14:15] offset0:2 offset1:3
	ds_write2st64_b64 v69, v[18:19], v[20:21] offset0:4 offset1:5
	;; [unrolled: 1-line block ×9, first 2 shown]
	ds_write_b64 v69, v[62:63] offset:10240
	v_pk_mov_b32 v[10:11], 0, 0
	v_cmp_gt_u32_e32 vcc, s64, v65
	s_mov_b64 s[4:5], 0
	s_mov_b64 s[10:11], 0
	s_mov_b32 s63, 0
	v_mov_b32_e32 v128, 0
	v_mov_b32_e32 v122, 0
	;; [unrolled: 1-line block ×5, first 2 shown]
	v_pk_mov_b32 v[70:71], v[10:11], v[10:11] op_sel:[0,1]
	v_pk_mov_b32 v[78:79], v[10:11], v[10:11] op_sel:[0,1]
	;; [unrolled: 1-line block ×8, first 2 shown]
	v_mov_b32_e32 v124, 0
	v_pk_mov_b32 v[38:39], v[10:11], v[10:11] op_sel:[0,1]
	v_pk_mov_b32 v[50:51], v[10:11], v[10:11] op_sel:[0,1]
	;; [unrolled: 1-line block ×5, first 2 shown]
	v_mov_b32_e32 v123, 0
	v_pk_mov_b32 v[34:35], v[10:11], v[10:11] op_sel:[0,1]
	v_pk_mov_b32 v[14:15], v[10:11], v[10:11] op_sel:[0,1]
	;; [unrolled: 1-line block ×5, first 2 shown]
	v_mov_b32_e32 v1, 0
	v_pk_mov_b32 v[2:3], v[10:11], v[10:11] op_sel:[0,1]
	s_waitcnt lgkmcnt(0)
	; wave barrier
	s_waitcnt lgkmcnt(0)
                                        ; implicit-def: $sgpr2_sgpr3
                                        ; implicit-def: $vgpr83
                                        ; implicit-def: $vgpr82
                                        ; implicit-def: $vgpr84
                                        ; implicit-def: $vgpr85
	s_and_saveexec_b64 s[12:13], vcc
	s_cbranch_execz .LBB1201_111
; %bb.72:
	s_movk_i32 s2, 0xa0
	v_mad_u32_u24 v2, v0, s2, v69
	ds_read_b64 v[2:3], v2
	v_cmp_ne_u32_e32 vcc, v68, v36
	v_add_u32_e32 v6, 1, v65
	v_pk_mov_b32 v[10:11], 0, 0
	v_cndmask_b32_e64 v1, 0, 1, vcc
	v_cmp_gt_u32_e32 vcc, s64, v6
	s_mov_b64 s[18:19], 0
	v_mov_b32_e32 v128, 0
	v_mov_b32_e32 v122, 0
	;; [unrolled: 1-line block ×5, first 2 shown]
	v_pk_mov_b32 v[70:71], v[10:11], v[10:11] op_sel:[0,1]
	v_pk_mov_b32 v[78:79], v[10:11], v[10:11] op_sel:[0,1]
	;; [unrolled: 1-line block ×8, first 2 shown]
	v_mov_b32_e32 v124, 0
	v_pk_mov_b32 v[38:39], v[10:11], v[10:11] op_sel:[0,1]
	v_pk_mov_b32 v[50:51], v[10:11], v[10:11] op_sel:[0,1]
	;; [unrolled: 1-line block ×5, first 2 shown]
	v_mov_b32_e32 v123, 0
	v_pk_mov_b32 v[34:35], v[10:11], v[10:11] op_sel:[0,1]
	v_pk_mov_b32 v[14:15], v[10:11], v[10:11] op_sel:[0,1]
	;; [unrolled: 1-line block ×5, first 2 shown]
                                        ; implicit-def: $sgpr2_sgpr3
                                        ; implicit-def: $vgpr83
                                        ; implicit-def: $vgpr82
                                        ; implicit-def: $vgpr84
                                        ; implicit-def: $vgpr85
	s_and_saveexec_b64 s[14:15], vcc
	s_cbranch_execz .LBB1201_110
; %bb.73:
	v_mul_u32_u24_e32 v6, 0xa0, v0
	v_add_u32_e32 v48, v69, v6
	ds_read2_b64 v[18:21], v48 offset0:1 offset1:2
	v_cmp_ne_u32_e64 s[8:9], v36, v37
	v_add_u32_e32 v6, 2, v65
	v_pk_mov_b32 v[10:11], 0, 0
	v_cmp_ne_u32_e32 vcc, v28, v29
	v_cmp_ne_u32_e64 s[2:3], v29, v32
	v_cmp_ne_u32_e64 s[4:5], v37, v28
	v_cndmask_b32_e64 v128, 0, 1, s[8:9]
	v_cmp_gt_u32_e64 s[8:9], s64, v6
	s_mov_b64 s[20:21], 0
	v_mov_b32_e32 v127, 0
	v_mov_b32_e32 v122, 0
	;; [unrolled: 1-line block ×4, first 2 shown]
	v_pk_mov_b32 v[70:71], v[10:11], v[10:11] op_sel:[0,1]
	v_pk_mov_b32 v[78:79], v[10:11], v[10:11] op_sel:[0,1]
	;; [unrolled: 1-line block ×8, first 2 shown]
	v_mov_b32_e32 v124, 0
	v_pk_mov_b32 v[38:39], v[10:11], v[10:11] op_sel:[0,1]
	v_pk_mov_b32 v[50:51], v[10:11], v[10:11] op_sel:[0,1]
	;; [unrolled: 1-line block ×5, first 2 shown]
	v_mov_b32_e32 v123, 0
	v_pk_mov_b32 v[34:35], v[10:11], v[10:11] op_sel:[0,1]
	v_pk_mov_b32 v[14:15], v[10:11], v[10:11] op_sel:[0,1]
	;; [unrolled: 1-line block ×4, first 2 shown]
                                        ; implicit-def: $sgpr22_sgpr23
                                        ; implicit-def: $vgpr83
                                        ; implicit-def: $vgpr82
                                        ; implicit-def: $vgpr84
                                        ; implicit-def: $vgpr85
	s_and_saveexec_b64 s[16:17], s[8:9]
	s_cbranch_execz .LBB1201_109
; %bb.74:
	v_cndmask_b32_e64 v6, 0, 1, s[4:5]
	v_cndmask_b32_e64 v7, 0, 1, s[2:3]
	v_lshlrev_b16_e32 v6, 8, v6
	v_lshlrev_b16_e32 v7, 8, v7
	v_cndmask_b32_e64 v10, 0, 1, vcc
	v_or_b32_e32 v6, v128, v6
	v_or_b32_sdwa v7, v10, v7 dst_sel:WORD_1 dst_unused:UNUSED_PAD src0_sel:DWORD src1_sel:DWORD
	v_add_u32_e32 v10, 3, v65
	v_or_b32_sdwa v83, v6, v7 dst_sel:DWORD dst_unused:UNUSED_PAD src0_sel:WORD_0 src1_sel:DWORD
	v_cmp_gt_u32_e32 vcc, s64, v10
	v_pk_mov_b32 v[10:11], 0, 0
	v_and_b32_e32 v128, 0xffff, v83
	s_waitcnt lgkmcnt(0)
	v_mov_b32_e32 v6, v20
	v_mov_b32_e32 v7, v21
	s_mov_b64 s[2:3], 0
	v_mov_b32_e32 v127, 0
	v_mov_b32_e32 v122, 0
	;; [unrolled: 1-line block ×4, first 2 shown]
	v_pk_mov_b32 v[70:71], v[10:11], v[10:11] op_sel:[0,1]
	v_pk_mov_b32 v[78:79], v[10:11], v[10:11] op_sel:[0,1]
	;; [unrolled: 1-line block ×8, first 2 shown]
	v_mov_b32_e32 v124, 0
	v_pk_mov_b32 v[38:39], v[10:11], v[10:11] op_sel:[0,1]
	v_pk_mov_b32 v[50:51], v[10:11], v[10:11] op_sel:[0,1]
	;; [unrolled: 1-line block ×5, first 2 shown]
	v_mov_b32_e32 v123, 0
	v_pk_mov_b32 v[34:35], v[10:11], v[10:11] op_sel:[0,1]
	v_pk_mov_b32 v[14:15], v[10:11], v[10:11] op_sel:[0,1]
	v_pk_mov_b32 v[26:27], v[10:11], v[10:11] op_sel:[0,1]
                                        ; implicit-def: $sgpr4_sgpr5
                                        ; implicit-def: $vgpr82
                                        ; implicit-def: $vgpr84
                                        ; implicit-def: $vgpr85
	s_and_saveexec_b64 s[18:19], vcc
	s_cbranch_execz .LBB1201_108
; %bb.75:
	ds_read2_b64 v[26:29], v48 offset0:3 offset1:4
	v_add_u32_e32 v10, 4, v65
	v_cmp_gt_u32_e32 vcc, s64, v10
	v_pk_mov_b32 v[10:11], 0, 0
	v_and_b32_e32 v128, 0xffffff, v83
	s_mov_b64 s[4:5], 0
	v_mov_b32_e32 v127, 0
	v_mov_b32_e32 v122, 0
	;; [unrolled: 1-line block ×4, first 2 shown]
	v_pk_mov_b32 v[70:71], v[10:11], v[10:11] op_sel:[0,1]
	v_pk_mov_b32 v[78:79], v[10:11], v[10:11] op_sel:[0,1]
	;; [unrolled: 1-line block ×8, first 2 shown]
	v_mov_b32_e32 v124, 0
	v_pk_mov_b32 v[38:39], v[10:11], v[10:11] op_sel:[0,1]
	v_pk_mov_b32 v[50:51], v[10:11], v[10:11] op_sel:[0,1]
	;; [unrolled: 1-line block ×5, first 2 shown]
	v_mov_b32_e32 v123, 0
	v_pk_mov_b32 v[34:35], v[10:11], v[10:11] op_sel:[0,1]
	v_pk_mov_b32 v[14:15], v[10:11], v[10:11] op_sel:[0,1]
                                        ; implicit-def: $sgpr8_sgpr9
                                        ; implicit-def: $vgpr82
                                        ; implicit-def: $vgpr84
                                        ; implicit-def: $vgpr85
	s_and_saveexec_b64 s[20:21], vcc
	s_cbranch_execz .LBB1201_107
; %bb.76:
	v_add_u32_e32 v10, 5, v65
	v_cmp_gt_u32_e32 vcc, s64, v10
	v_pk_mov_b32 v[10:11], 0, 0
	s_waitcnt lgkmcnt(0)
	v_mov_b32_e32 v14, v28
	v_mov_b32_e32 v15, v29
	;; [unrolled: 1-line block ×6, first 2 shown]
	v_pk_mov_b32 v[70:71], v[10:11], v[10:11] op_sel:[0,1]
	v_pk_mov_b32 v[78:79], v[10:11], v[10:11] op_sel:[0,1]
	;; [unrolled: 1-line block ×8, first 2 shown]
	v_mov_b32_e32 v124, 0
	v_pk_mov_b32 v[38:39], v[10:11], v[10:11] op_sel:[0,1]
	v_pk_mov_b32 v[50:51], v[10:11], v[10:11] op_sel:[0,1]
	;; [unrolled: 1-line block ×5, first 2 shown]
	v_mov_b32_e32 v123, 0
	v_pk_mov_b32 v[34:35], v[10:11], v[10:11] op_sel:[0,1]
                                        ; implicit-def: $sgpr8_sgpr9
                                        ; implicit-def: $vgpr82
                                        ; implicit-def: $vgpr84
                                        ; implicit-def: $vgpr85
	s_and_saveexec_b64 s[22:23], vcc
	s_cbranch_execz .LBB1201_106
; %bb.77:
	ds_read2_b64 v[34:37], v48 offset0:5 offset1:6
	v_cmp_ne_u32_e32 vcc, v32, v44
	v_add_u32_e32 v10, 6, v65
	v_cndmask_b32_e64 v123, 0, 1, vcc
	v_cmp_gt_u32_e32 vcc, s64, v10
	v_pk_mov_b32 v[10:11], 0, 0
	s_mov_b64 s[28:29], 0
	v_mov_b32_e32 v127, 0
	v_mov_b32_e32 v122, 0
	;; [unrolled: 1-line block ×4, first 2 shown]
	v_pk_mov_b32 v[70:71], v[10:11], v[10:11] op_sel:[0,1]
	v_pk_mov_b32 v[78:79], v[10:11], v[10:11] op_sel:[0,1]
	v_pk_mov_b32 v[62:63], v[10:11], v[10:11] op_sel:[0,1]
	v_pk_mov_b32 v[74:75], v[10:11], v[10:11] op_sel:[0,1]
	v_pk_mov_b32 v[54:55], v[10:11], v[10:11] op_sel:[0,1]
	v_pk_mov_b32 v[66:67], v[10:11], v[10:11] op_sel:[0,1]
	v_pk_mov_b32 v[46:47], v[10:11], v[10:11] op_sel:[0,1]
	v_pk_mov_b32 v[58:59], v[10:11], v[10:11] op_sel:[0,1]
	v_mov_b32_e32 v124, 0
	v_pk_mov_b32 v[38:39], v[10:11], v[10:11] op_sel:[0,1]
	v_pk_mov_b32 v[50:51], v[10:11], v[10:11] op_sel:[0,1]
	;; [unrolled: 1-line block ×5, first 2 shown]
                                        ; implicit-def: $sgpr4_sgpr5
                                        ; implicit-def: $vgpr82
                                        ; implicit-def: $vgpr84
                                        ; implicit-def: $vgpr85
	s_and_saveexec_b64 s[24:25], vcc
	s_cbranch_execz .LBB1201_105
; %bb.78:
	v_cmp_ne_u32_e64 s[8:9], v44, v45
	v_add_u32_e32 v10, 7, v65
	v_cndmask_b32_e64 v127, 0, 1, s[8:9]
	v_cmp_gt_u32_e64 s[8:9], s64, v10
	v_pk_mov_b32 v[10:11], 0, 0
	s_waitcnt lgkmcnt(0)
	v_mov_b32_e32 v22, v36
	v_mov_b32_e32 v23, v37
	v_cmp_ne_u32_e32 vcc, v40, v41
	v_cmp_ne_u32_e64 s[2:3], v41, v33
	v_cmp_ne_u32_e64 s[4:5], v45, v40
	s_mov_b64 s[30:31], 0
	v_mov_b32_e32 v126, 0
	v_mov_b32_e32 v122, 0
	v_mov_b32_e32 v125, 0
	v_pk_mov_b32 v[70:71], v[10:11], v[10:11] op_sel:[0,1]
	v_pk_mov_b32 v[78:79], v[10:11], v[10:11] op_sel:[0,1]
	;; [unrolled: 1-line block ×8, first 2 shown]
	v_mov_b32_e32 v124, 0
	v_pk_mov_b32 v[38:39], v[10:11], v[10:11] op_sel:[0,1]
	v_pk_mov_b32 v[50:51], v[10:11], v[10:11] op_sel:[0,1]
	v_pk_mov_b32 v[30:31], v[10:11], v[10:11] op_sel:[0,1]
	v_pk_mov_b32 v[42:43], v[10:11], v[10:11] op_sel:[0,1]
                                        ; implicit-def: $sgpr34_sgpr35
                                        ; implicit-def: $vgpr82
                                        ; implicit-def: $vgpr84
                                        ; implicit-def: $vgpr85
	s_and_saveexec_b64 s[26:27], s[8:9]
	s_cbranch_execz .LBB1201_104
; %bb.79:
	v_cndmask_b32_e64 v10, 0, 1, s[4:5]
	v_cndmask_b32_e64 v11, 0, 1, s[2:3]
	v_lshlrev_b16_e32 v10, 8, v10
	v_lshlrev_b16_e32 v11, 8, v11
	v_cndmask_b32_e64 v20, 0, 1, vcc
	ds_read2_b64 v[42:45], v48 offset0:7 offset1:8
	v_or_b32_e32 v10, v127, v10
	v_or_b32_sdwa v11, v20, v11 dst_sel:WORD_1 dst_unused:UNUSED_PAD src0_sel:DWORD src1_sel:DWORD
	v_or_b32_sdwa v82, v10, v11 dst_sel:DWORD dst_unused:UNUSED_PAD src0_sel:WORD_0 src1_sel:DWORD
	v_add_u32_e32 v10, 8, v65
	v_cmp_gt_u32_e32 vcc, s64, v10
	v_pk_mov_b32 v[10:11], 0, 0
	v_and_b32_e32 v127, 0xffff, v82
	s_mov_b64 s[2:3], 0
	v_mov_b32_e32 v126, 0
	v_mov_b32_e32 v122, 0
	;; [unrolled: 1-line block ×3, first 2 shown]
	v_pk_mov_b32 v[70:71], v[10:11], v[10:11] op_sel:[0,1]
	v_pk_mov_b32 v[78:79], v[10:11], v[10:11] op_sel:[0,1]
	;; [unrolled: 1-line block ×8, first 2 shown]
	v_mov_b32_e32 v124, 0
	v_pk_mov_b32 v[38:39], v[10:11], v[10:11] op_sel:[0,1]
	v_pk_mov_b32 v[50:51], v[10:11], v[10:11] op_sel:[0,1]
	;; [unrolled: 1-line block ×3, first 2 shown]
                                        ; implicit-def: $sgpr4_sgpr5
                                        ; implicit-def: $vgpr84
                                        ; implicit-def: $vgpr85
	s_and_saveexec_b64 s[28:29], vcc
	s_cbranch_execz .LBB1201_103
; %bb.80:
	v_add_u32_e32 v10, 9, v65
	v_cmp_gt_u32_e32 vcc, s64, v10
	v_pk_mov_b32 v[10:11], 0, 0
	s_waitcnt lgkmcnt(0)
	v_mov_b32_e32 v30, v44
	v_mov_b32_e32 v31, v45
	v_and_b32_e32 v127, 0xffffff, v82
	s_mov_b64 s[4:5], 0
	v_mov_b32_e32 v126, 0
	v_mov_b32_e32 v122, 0
	;; [unrolled: 1-line block ×3, first 2 shown]
	v_pk_mov_b32 v[70:71], v[10:11], v[10:11] op_sel:[0,1]
	v_pk_mov_b32 v[78:79], v[10:11], v[10:11] op_sel:[0,1]
	;; [unrolled: 1-line block ×8, first 2 shown]
	v_mov_b32_e32 v124, 0
	v_pk_mov_b32 v[38:39], v[10:11], v[10:11] op_sel:[0,1]
	v_pk_mov_b32 v[50:51], v[10:11], v[10:11] op_sel:[0,1]
                                        ; implicit-def: $sgpr8_sgpr9
                                        ; implicit-def: $vgpr84
                                        ; implicit-def: $vgpr85
	s_and_saveexec_b64 s[30:31], vcc
	s_cbranch_execz .LBB1201_102
; %bb.81:
	ds_read2_b64 v[50:53], v48 offset0:9 offset1:10
	v_add_u32_e32 v10, 10, v65
	v_cmp_gt_u32_e32 vcc, s64, v10
	v_pk_mov_b32 v[10:11], 0, 0
	v_mov_b32_e32 v126, 0
	v_mov_b32_e32 v122, 0
	v_mov_b32_e32 v125, 0
	v_pk_mov_b32 v[70:71], v[10:11], v[10:11] op_sel:[0,1]
	v_pk_mov_b32 v[78:79], v[10:11], v[10:11] op_sel:[0,1]
	;; [unrolled: 1-line block ×8, first 2 shown]
	v_mov_b32_e32 v124, 0
	v_pk_mov_b32 v[38:39], v[10:11], v[10:11] op_sel:[0,1]
                                        ; implicit-def: $sgpr8_sgpr9
                                        ; implicit-def: $vgpr84
                                        ; implicit-def: $vgpr85
	s_and_saveexec_b64 s[34:35], vcc
	s_cbranch_execz .LBB1201_101
; %bb.82:
	v_cmp_ne_u32_e32 vcc, v33, v24
	v_add_u32_e32 v10, 11, v65
	v_cndmask_b32_e64 v124, 0, 1, vcc
	v_cmp_gt_u32_e32 vcc, s64, v10
	v_pk_mov_b32 v[10:11], 0, 0
	s_waitcnt lgkmcnt(0)
	v_mov_b32_e32 v38, v52
	v_mov_b32_e32 v39, v53
	s_mov_b64 s[40:41], 0
	v_mov_b32_e32 v126, 0
	v_mov_b32_e32 v122, 0
	;; [unrolled: 1-line block ×3, first 2 shown]
	v_pk_mov_b32 v[70:71], v[10:11], v[10:11] op_sel:[0,1]
	v_pk_mov_b32 v[78:79], v[10:11], v[10:11] op_sel:[0,1]
	;; [unrolled: 1-line block ×8, first 2 shown]
                                        ; implicit-def: $sgpr4_sgpr5
                                        ; implicit-def: $vgpr84
                                        ; implicit-def: $vgpr85
	s_and_saveexec_b64 s[36:37], vcc
	s_cbranch_execz .LBB1201_100
; %bb.83:
	ds_read2_b64 v[58:61], v48 offset0:11 offset1:12
	v_cmp_ne_u32_e64 s[8:9], v24, v25
	v_add_u32_e32 v10, 12, v65
	v_cndmask_b32_e64 v126, 0, 1, s[8:9]
	v_cmp_gt_u32_e64 s[8:9], s64, v10
	v_pk_mov_b32 v[10:11], 0, 0
	v_cmp_ne_u32_e32 vcc, v16, v17
	v_cmp_ne_u32_e64 s[2:3], v17, v64
	v_cmp_ne_u32_e64 s[4:5], v25, v16
	s_mov_b64 s[42:43], 0
	v_mov_b32_e32 v125, 0
	v_mov_b32_e32 v122, 0
	v_pk_mov_b32 v[70:71], v[10:11], v[10:11] op_sel:[0,1]
	v_pk_mov_b32 v[78:79], v[10:11], v[10:11] op_sel:[0,1]
	;; [unrolled: 1-line block ×7, first 2 shown]
                                        ; implicit-def: $sgpr44_sgpr45
                                        ; implicit-def: $vgpr84
                                        ; implicit-def: $vgpr85
	s_and_saveexec_b64 s[38:39], s[8:9]
	s_cbranch_execz .LBB1201_99
; %bb.84:
	v_cndmask_b32_e64 v10, 0, 1, s[4:5]
	v_cndmask_b32_e64 v11, 0, 1, s[2:3]
	v_lshlrev_b16_e32 v10, 8, v10
	v_lshlrev_b16_e32 v11, 8, v11
	v_cndmask_b32_e64 v16, 0, 1, vcc
	v_or_b32_e32 v10, v126, v10
	v_or_b32_sdwa v11, v16, v11 dst_sel:WORD_1 dst_unused:UNUSED_PAD src0_sel:DWORD src1_sel:DWORD
	v_or_b32_sdwa v84, v10, v11 dst_sel:DWORD dst_unused:UNUSED_PAD src0_sel:WORD_0 src1_sel:DWORD
	v_add_u32_e32 v10, 13, v65
	v_cmp_gt_u32_e32 vcc, s64, v10
	v_pk_mov_b32 v[10:11], 0, 0
	s_mov_b64 s[66:67], s[58:59]
	v_and_b32_e32 v126, 0xffff, v84
	s_waitcnt lgkmcnt(0)
	v_mov_b32_e32 v46, v60
	v_mov_b32_e32 v47, v61
	s_mov_b64 s[2:3], 0
	v_mov_b32_e32 v125, 0
	v_mov_b32_e32 v122, 0
	v_pk_mov_b32 v[70:71], v[10:11], v[10:11] op_sel:[0,1]
	v_pk_mov_b32 v[78:79], v[10:11], v[10:11] op_sel:[0,1]
	;; [unrolled: 1-line block ×6, first 2 shown]
                                        ; implicit-def: $sgpr4_sgpr5
                                        ; implicit-def: $vgpr85
	s_and_saveexec_b64 s[40:41], vcc
	s_cbranch_execz .LBB1201_98
; %bb.85:
	ds_read2_b64 v[66:69], v48 offset0:13 offset1:14
	v_add_u32_e32 v10, 14, v65
	v_cmp_gt_u32_e32 vcc, s64, v10
	v_pk_mov_b32 v[10:11], 0, 0
	v_and_b32_e32 v126, 0xffffff, v84
	s_mov_b64 s[4:5], 0
	v_mov_b32_e32 v125, 0
	v_mov_b32_e32 v122, 0
	v_pk_mov_b32 v[70:71], v[10:11], v[10:11] op_sel:[0,1]
	v_pk_mov_b32 v[78:79], v[10:11], v[10:11] op_sel:[0,1]
	;; [unrolled: 1-line block ×5, first 2 shown]
                                        ; implicit-def: $sgpr8_sgpr9
                                        ; implicit-def: $vgpr85
	s_and_saveexec_b64 s[42:43], vcc
	s_cbranch_execz .LBB1201_97
; %bb.86:
	v_add_u32_e32 v10, 15, v65
	v_cmp_gt_u32_e32 vcc, s64, v10
	v_pk_mov_b32 v[10:11], 0, 0
	s_waitcnt lgkmcnt(0)
	v_mov_b32_e32 v54, v68
	v_mov_b32_e32 v55, v69
	;; [unrolled: 1-line block ×4, first 2 shown]
	v_pk_mov_b32 v[70:71], v[10:11], v[10:11] op_sel:[0,1]
	v_pk_mov_b32 v[78:79], v[10:11], v[10:11] op_sel:[0,1]
	;; [unrolled: 1-line block ×4, first 2 shown]
                                        ; implicit-def: $sgpr8_sgpr9
                                        ; implicit-def: $vgpr85
	s_and_saveexec_b64 s[44:45], vcc
	s_cbranch_execz .LBB1201_96
; %bb.87:
	ds_read2_b64 v[74:77], v48 offset0:15 offset1:16
	v_cmp_ne_u32_e32 vcc, v64, v8
	v_add_u32_e32 v10, 16, v65
	v_cndmask_b32_e64 v122, 0, 1, vcc
	v_cmp_gt_u32_e32 vcc, s64, v10
	v_pk_mov_b32 v[10:11], 0, 0
	s_mov_b64 s[56:57], 0
	v_mov_b32_e32 v125, 0
	v_pk_mov_b32 v[70:71], v[10:11], v[10:11] op_sel:[0,1]
	v_pk_mov_b32 v[78:79], v[10:11], v[10:11] op_sel:[0,1]
	;; [unrolled: 1-line block ×3, first 2 shown]
                                        ; implicit-def: $sgpr4_sgpr5
                                        ; implicit-def: $vgpr85
	s_and_saveexec_b64 s[46:47], vcc
	s_cbranch_execz .LBB1201_95
; %bb.88:
	v_cmp_ne_u32_e64 s[8:9], v8, v9
	v_add_u32_e32 v8, 17, v65
	v_pk_mov_b32 v[10:11], 0, 0
	s_waitcnt lgkmcnt(0)
	v_mov_b32_e32 v62, v76
	v_mov_b32_e32 v63, v77
	v_cmp_ne_u32_e32 vcc, v12, v13
	v_cmp_ne_u32_e64 s[2:3], v13, v4
	v_cmp_ne_u32_e64 s[4:5], v9, v12
	v_cndmask_b32_e64 v125, 0, 1, s[8:9]
	v_cmp_gt_u32_e64 s[8:9], s64, v8
	s_mov_b64 s[58:59], 0
	v_pk_mov_b32 v[70:71], v[10:11], v[10:11] op_sel:[0,1]
	v_pk_mov_b32 v[78:79], v[10:11], v[10:11] op_sel:[0,1]
                                        ; implicit-def: $sgpr60_sgpr61
                                        ; implicit-def: $vgpr85
	s_and_saveexec_b64 s[54:55], s[8:9]
	s_cbranch_execz .LBB1201_94
; %bb.89:
	v_cndmask_b32_e64 v8, 0, 1, s[4:5]
	v_cndmask_b32_e64 v9, 0, 1, s[2:3]
	ds_read2_b64 v[78:81], v48 offset0:17 offset1:18
	v_lshlrev_b16_e32 v8, 8, v8
	v_lshlrev_b16_e32 v9, 8, v9
	v_cndmask_b32_e64 v10, 0, 1, vcc
	v_or_b32_e32 v8, v125, v8
	v_or_b32_sdwa v9, v10, v9 dst_sel:WORD_1 dst_unused:UNUSED_PAD src0_sel:DWORD src1_sel:DWORD
	v_or_b32_sdwa v85, v8, v9 dst_sel:DWORD dst_unused:UNUSED_PAD src0_sel:WORD_0 src1_sel:DWORD
	v_add_u32_e32 v8, 18, v65
	v_pk_mov_b32 v[10:11], 0, 0
	v_and_b32_e32 v125, 0xffff, v85
	v_cmp_gt_u32_e32 vcc, s64, v8
	s_mov_b64 s[2:3], 0
	v_pk_mov_b32 v[70:71], v[10:11], v[10:11] op_sel:[0,1]
                                        ; implicit-def: $sgpr8_sgpr9
	s_and_saveexec_b64 s[4:5], vcc
	s_cbranch_execz .LBB1201_93
; %bb.90:
	v_add_u32_e32 v8, 19, v65
	s_waitcnt lgkmcnt(0)
	v_mov_b32_e32 v70, v80
	v_mov_b32_e32 v71, v81
	v_cmp_gt_u32_e32 vcc, s64, v8
	v_and_b32_e32 v125, 0xffffff, v85
	v_pk_mov_b32 v[10:11], 0, 0
                                        ; implicit-def: $sgpr8_sgpr9
	s_and_saveexec_b64 s[56:57], vcc
	s_xor_b64 s[56:57], exec, s[56:57]
	s_cbranch_execz .LBB1201_92
; %bb.91:
	ds_read2_b64 v[10:13], v48 offset0:19 offset1:20
	v_cmp_ne_u32_e32 vcc, v4, v5
	v_add_u32_e32 v4, 20, v65
	v_cmp_gt_u32_e64 s[2:3], s64, v4
	s_and_b64 s[8:9], vcc, exec
	s_and_b64 s[2:3], s[2:3], exec
	s_waitcnt lgkmcnt(0)
	v_pk_mov_b32 v[72:73], v[10:11], v[10:11] op_sel:[0,1]
	v_mov_b32_e32 v125, v85
.LBB1201_92:
	s_or_b64 exec, exec, s[56:57]
	s_and_b64 s[8:9], s[8:9], exec
	s_and_b64 s[58:59], s[2:3], exec
.LBB1201_93:
	s_or_b64 exec, exec, s[4:5]
	s_and_b64 s[60:61], s[8:9], exec
	s_and_b64 s[56:57], s[58:59], exec
	s_waitcnt lgkmcnt(0)
	v_pk_mov_b32 v[64:65], v[78:79], v[78:79] op_sel:[0,1]
	v_pk_mov_b32 v[56:57], v[74:75], v[74:75] op_sel:[0,1]
	;; [unrolled: 1-line block ×9, first 2 shown]
.LBB1201_94:
	s_or_b64 exec, exec, s[54:55]
	s_and_b64 s[4:5], s[60:61], exec
	s_and_b64 s[2:3], s[56:57], exec
.LBB1201_95:
	s_or_b64 exec, exec, s[46:47]
	s_and_b64 s[8:9], s[4:5], exec
	s_and_b64 s[4:5], s[2:3], exec
.LBB1201_96:
	s_or_b64 exec, exec, s[44:45]
	s_and_b64 s[8:9], s[8:9], exec
	s_and_b64 s[2:3], s[4:5], exec
	v_mov_b32_e32 v126, v84
.LBB1201_97:
	s_or_b64 exec, exec, s[42:43]
	s_and_b64 s[4:5], s[8:9], exec
	s_and_b64 s[42:43], s[2:3], exec
.LBB1201_98:
	s_or_b64 exec, exec, s[40:41]
	s_and_b64 s[44:45], s[4:5], exec
	s_and_b64 s[40:41], s[42:43], exec
	s_mov_b64 s[58:59], s[66:67]
.LBB1201_99:
	s_or_b64 exec, exec, s[38:39]
	s_and_b64 s[4:5], s[44:45], exec
	s_and_b64 s[2:3], s[40:41], exec
.LBB1201_100:
	s_or_b64 exec, exec, s[36:37]
	s_and_b64 s[8:9], s[4:5], exec
	s_and_b64 s[4:5], s[2:3], exec
.LBB1201_101:
	s_or_b64 exec, exec, s[34:35]
	s_and_b64 s[8:9], s[8:9], exec
	s_and_b64 s[2:3], s[4:5], exec
	v_mov_b32_e32 v127, v82
.LBB1201_102:
	s_or_b64 exec, exec, s[30:31]
	s_and_b64 s[4:5], s[8:9], exec
	s_and_b64 s[30:31], s[2:3], exec
.LBB1201_103:
	s_or_b64 exec, exec, s[28:29]
	s_and_b64 s[34:35], s[4:5], exec
	s_and_b64 s[28:29], s[30:31], exec
.LBB1201_104:
	s_or_b64 exec, exec, s[26:27]
	s_and_b64 s[4:5], s[34:35], exec
	s_and_b64 s[2:3], s[28:29], exec
.LBB1201_105:
	s_or_b64 exec, exec, s[24:25]
	s_and_b64 s[8:9], s[4:5], exec
	s_and_b64 s[4:5], s[2:3], exec
.LBB1201_106:
	s_or_b64 exec, exec, s[22:23]
	s_and_b64 s[8:9], s[8:9], exec
	s_and_b64 s[2:3], s[4:5], exec
	v_mov_b32_e32 v128, v83
.LBB1201_107:
	s_or_b64 exec, exec, s[20:21]
	s_and_b64 s[4:5], s[8:9], exec
	s_and_b64 s[20:21], s[2:3], exec
.LBB1201_108:
	s_or_b64 exec, exec, s[18:19]
	s_and_b64 s[22:23], s[4:5], exec
	s_and_b64 s[18:19], s[20:21], exec
.LBB1201_109:
	s_or_b64 exec, exec, s[16:17]
	s_and_b64 s[2:3], s[22:23], exec
	s_and_b64 s[4:5], s[18:19], exec
.LBB1201_110:
	s_or_b64 exec, exec, s[14:15]
	s_and_b64 s[2:3], s[2:3], exec
	s_and_b64 s[4:5], s[4:5], exec
.LBB1201_111:
	s_or_b64 exec, exec, s[12:13]
	s_mov_b64 s[8:9], 0
	s_and_b64 vcc, exec, s[10:11]
	s_cbranch_vccnz .LBB1201_113
	s_branch .LBB1201_121
.LBB1201_112:
                                        ; implicit-def: $sgpr2_sgpr3
                                        ; implicit-def: $vgpr83
                                        ; implicit-def: $vgpr82
                                        ; implicit-def: $vgpr84
                                        ; implicit-def: $vgpr85
                                        ; implicit-def: $vgpr12_vgpr13
                                        ; implicit-def: $vgpr72_vgpr73
                                        ; implicit-def: $vgpr64_vgpr65
                                        ; implicit-def: $vgpr122
                                        ; implicit-def: $vgpr56_vgpr57
                                        ; implicit-def: $vgpr48_vgpr49
                                        ; implicit-def: $vgpr40_vgpr41
                                        ; implicit-def: $vgpr124
                                        ; implicit-def: $vgpr32_vgpr33
                                        ; implicit-def: $vgpr24_vgpr25
                                        ; implicit-def: $vgpr123
                                        ; implicit-def: $vgpr16_vgpr17
                                        ; implicit-def: $vgpr8_vgpr9
                                        ; implicit-def: $vgpr4_vgpr5
                                        ; implicit-def: $vgpr1
                                        ; implicit-def: $vgpr128
                                        ; implicit-def: $vgpr127
                                        ; implicit-def: $vgpr126
                                        ; implicit-def: $vgpr125
                                        ; implicit-def: $sgpr63
                                        ; implicit-def: $sgpr8_sgpr9
                                        ; implicit-def: $vgpr78_vgpr79
                                        ; implicit-def: $vgpr74_vgpr75
                                        ; implicit-def: $vgpr66_vgpr67
                                        ; implicit-def: $vgpr58_vgpr59
                                        ; implicit-def: $vgpr50_vgpr51
                                        ; implicit-def: $vgpr42_vgpr43
                                        ; implicit-def: $vgpr34_vgpr35
                                        ; implicit-def: $vgpr26_vgpr27
                                        ; implicit-def: $vgpr18_vgpr19
	s_and_b64 vcc, exec, s[10:11]
	s_cbranch_vccz .LBB1201_121
.LBB1201_113:
	v_lshlrev_b32_e32 v1, 2, v0
	s_waitcnt lgkmcnt(0)
	v_mov_b32_e32 v3, s49
	v_add_co_u32_e32 v2, vcc, s48, v1
	v_addc_co_u32_e32 v3, vcc, 0, v3, vcc
	s_movk_i32 s2, 0x1000
	flat_load_dword v4, v[2:3]
	flat_load_dword v5, v[2:3] offset:256
	flat_load_dword v6, v[2:3] offset:512
	;; [unrolled: 1-line block ×15, first 2 shown]
	v_add_co_u32_e32 v2, vcc, s2, v2
	v_addc_co_u32_e32 v3, vcc, 0, v3, vcc
	flat_load_dword v20, v[2:3]
	flat_load_dword v21, v[2:3] offset:256
	flat_load_dword v22, v[2:3] offset:512
	;; [unrolled: 1-line block ×4, first 2 shown]
	s_movk_i32 s2, 0x50
	v_mad_u32_u24 v23, v0, s2, v1
	s_cmp_eq_u64 s[52:53], 0
	s_waitcnt vmcnt(0) lgkmcnt(0)
	ds_write2st64_b32 v1, v4, v5 offset1:1
	ds_write2st64_b32 v1, v6, v7 offset0:2 offset1:3
	ds_write2st64_b32 v1, v8, v9 offset0:4 offset1:5
	;; [unrolled: 1-line block ×9, first 2 shown]
	ds_write_b32 v1, v25 offset:5120
	s_waitcnt lgkmcnt(0)
	; wave barrier
	s_waitcnt lgkmcnt(0)
	ds_read2_b32 v[8:9], v23 offset0:7 offset1:8
	ds_read2_b32 v[6:7], v23 offset0:5 offset1:6
	;; [unrolled: 1-line block ×3, first 2 shown]
	ds_read2_b32 v[10:11], v23 offset1:1
	ds_read2_b32 v[4:5], v23 offset0:4 offset1:9
	ds_read2_b32 v[16:17], v23 offset0:15 offset1:16
	ds_read_b32 v22, v23 offset:56
	ds_read2_b32 v[14:15], v23 offset0:12 offset1:13
	ds_read2_b32 v[12:13], v23 offset0:10 offset1:11
	;; [unrolled: 1-line block ×4, first 2 shown]
	s_cbranch_scc1 .LBB1201_118
; %bb.114:
	s_andn2_b64 vcc, exec, s[50:51]
	s_cbranch_vccnz .LBB1201_276
; %bb.115:
	s_lshl_b64 s[2:3], s[52:53], 2
	s_add_u32 s2, s94, s2
	s_addc_u32 s3, s95, s3
	s_add_u32 s2, s2, -4
	s_addc_u32 s3, s3, -1
	s_cbranch_execnz .LBB1201_117
.LBB1201_116:
	s_add_u32 s2, s48, -4
	s_addc_u32 s3, s49, -1
.LBB1201_117:
	s_mov_b64 s[48:49], s[2:3]
.LBB1201_118:
	v_pk_mov_b32 v[24:25], s[48:49], s[48:49] op_sel:[0,1]
	flat_load_dword v1, v[24:25]
	s_movk_i32 s2, 0xffb0
	v_mad_i32_i24 v23, v0, s2, v23
	v_cmp_ne_u32_e32 vcc, 0, v0
	s_waitcnt lgkmcnt(0)
	ds_write_b32 v23, v21 offset:5376
	s_waitcnt lgkmcnt(0)
	; wave barrier
	s_waitcnt lgkmcnt(0)
	s_and_saveexec_b64 s[2:3], vcc
	s_cbranch_execz .LBB1201_120
; %bb.119:
	s_waitcnt vmcnt(0)
	ds_read_b32 v1, v23 offset:5372
.LBB1201_120:
	s_or_b64 exec, exec, s[2:3]
	v_lshlrev_b32_e32 v24, 3, v0
	v_mov_b32_e32 v25, s62
	v_add_co_u32_e32 v24, vcc, s7, v24
	v_addc_co_u32_e32 v25, vcc, 0, v25, vcc
	s_movk_i32 s2, 0x1000
	v_add_co_u32_e32 v42, vcc, s2, v24
	v_addc_co_u32_e32 v43, vcc, 0, v25, vcc
	s_movk_i32 s2, 0x2000
	s_waitcnt lgkmcnt(0)
	; wave barrier
	s_waitcnt lgkmcnt(0)
	flat_load_dwordx2 v[26:27], v[24:25]
	flat_load_dwordx2 v[28:29], v[24:25] offset:512
	flat_load_dwordx2 v[30:31], v[24:25] offset:1024
	;; [unrolled: 1-line block ×7, first 2 shown]
	v_add_co_u32_e32 v24, vcc, s2, v24
	v_addc_co_u32_e32 v25, vcc, 0, v25, vcc
	flat_load_dwordx2 v[44:45], v[42:43]
	flat_load_dwordx2 v[46:47], v[42:43] offset:512
	flat_load_dwordx2 v[48:49], v[42:43] offset:1024
	;; [unrolled: 1-line block ×7, first 2 shown]
	s_nop 0
	flat_load_dwordx2 v[42:43], v[24:25]
	flat_load_dwordx2 v[60:61], v[24:25] offset:512
	flat_load_dwordx2 v[62:63], v[24:25] offset:1024
	;; [unrolled: 1-line block ×4, first 2 shown]
	v_cmp_ne_u32_e32 vcc, v17, v18
	v_cmp_ne_u32_e64 s[2:3], v20, v21
	v_cndmask_b32_e64 v21, 0, 1, vcc
	v_cmp_ne_u32_e32 vcc, v16, v17
	v_cndmask_b32_e64 v17, 0, 1, vcc
	v_cmp_ne_u32_e32 vcc, v19, v20
	;; [unrolled: 2-line block ×6, first 2 shown]
	v_lshlrev_b16_e32 v16, 8, v16
	v_cndmask_b32_e64 v13, 0, 1, vcc
	v_cmp_ne_u32_e32 vcc, v15, v22
	v_or_b32_e32 v13, v13, v16
	v_cndmask_b32_e64 v16, 0, 1, vcc
	v_cmp_ne_u32_e32 vcc, v14, v15
	v_cndmask_b32_e64 v14, 0, 1, vcc
	v_cmp_ne_u32_e32 vcc, v5, v12
	;; [unrolled: 2-line block ×6, first 2 shown]
	v_lshlrev_b16_e32 v12, 8, v12
	v_lshlrev_b16_e32 v5, 8, v5
	v_cndmask_b32_e64 v8, 0, 1, vcc
	v_cmp_ne_u32_e32 vcc, v4, v6
	v_or_b32_e32 v7, v7, v12
	v_or_b32_sdwa v5, v8, v5 dst_sel:WORD_1 dst_unused:UNUSED_PAD src0_sel:DWORD src1_sel:DWORD
	v_cndmask_b32_e64 v123, 0, 1, vcc
	v_cmp_ne_u32_e32 vcc, v11, v2
	v_or_b32_sdwa v82, v7, v5 dst_sel:DWORD dst_unused:UNUSED_PAD src0_sel:WORD_0 src1_sel:DWORD
	v_cndmask_b32_e64 v5, 0, 1, vcc
	v_cmp_ne_u32_e32 vcc, v10, v11
	v_cndmask_b32_e64 v6, 0, 1, vcc
	v_cmp_ne_u32_e32 vcc, v3, v4
	v_lshlrev_b16_e32 v21, 8, v21
	v_lshlrev_b16_e32 v20, 8, v20
	v_cndmask_b32_e64 v4, 0, 1, vcc
	v_cmp_ne_u32_e32 vcc, v2, v3
	v_or_b32_e32 v17, v17, v21
	v_or_b32_sdwa v18, v18, v20 dst_sel:WORD_1 dst_unused:UNUSED_PAD src0_sel:DWORD src1_sel:DWORD
	v_lshlrev_b16_e32 v4, 8, v4
	v_cndmask_b32_e64 v2, 0, 1, vcc
	v_or_b32_sdwa v85, v17, v18 dst_sel:DWORD dst_unused:UNUSED_PAD src0_sel:WORD_0 src1_sel:DWORD
	v_lshlrev_b16_e32 v16, 8, v16
	v_or_b32_sdwa v18, v2, v4 dst_sel:WORD_1 dst_unused:UNUSED_PAD src0_sel:DWORD src1_sel:DWORD
	v_lshl_add_u32 v2, v0, 2, v23
	s_movk_i32 s4, 0xa0
	v_or_b32_sdwa v14, v14, v16 dst_sel:WORD_1 dst_unused:UNUSED_PAD src0_sel:DWORD src1_sel:DWORD
	v_lshlrev_b16_e32 v5, 8, v5
	v_mad_u32_u24 v12, v0, s4, v2
	v_or_b32_sdwa v84, v13, v14 dst_sel:DWORD dst_unused:UNUSED_PAD src0_sel:WORD_0 src1_sel:DWORD
	v_or_b32_e32 v11, v6, v5
	s_waitcnt vmcnt(0)
	v_cmp_ne_u32_e32 vcc, v1, v10
	v_or_b32_sdwa v83, v11, v18 dst_sel:DWORD dst_unused:UNUSED_PAD src0_sel:WORD_0 src1_sel:DWORD
	v_cndmask_b32_e64 v1, 0, 1, vcc
	s_mov_b64 s[4:5], -1
                                        ; implicit-def: $vgpr128
                                        ; implicit-def: $vgpr127
                                        ; implicit-def: $vgpr126
                                        ; implicit-def: $vgpr125
                                        ; implicit-def: $sgpr63
                                        ; implicit-def: $sgpr8_sgpr9
                                        ; implicit-def: $vgpr78_vgpr79
                                        ; implicit-def: $vgpr74_vgpr75
                                        ; implicit-def: $vgpr18_vgpr19
	s_waitcnt lgkmcnt(0)
	ds_write2st64_b64 v2, v[26:27], v[28:29] offset1:1
	ds_write2st64_b64 v2, v[30:31], v[32:33] offset0:2 offset1:3
	ds_write2st64_b64 v2, v[34:35], v[36:37] offset0:4 offset1:5
	;; [unrolled: 1-line block ×9, first 2 shown]
	ds_write_b64 v2, v[66:67] offset:10240
	s_waitcnt lgkmcnt(0)
	; wave barrier
	s_waitcnt lgkmcnt(0)
	ds_read2_b64 v[2:5], v12 offset1:1
	ds_read2_b64 v[6:9], v12 offset0:2 offset1:3
	ds_read2_b64 v[14:17], v12 offset0:4 offset1:5
	;; [unrolled: 1-line block ×9, first 2 shown]
	ds_read_b64 v[12:13], v12 offset:160
                                        ; implicit-def: $vgpr66_vgpr67
                                        ; implicit-def: $vgpr58_vgpr59
                                        ; implicit-def: $vgpr50_vgpr51
                                        ; implicit-def: $vgpr42_vgpr43
                                        ; implicit-def: $vgpr34_vgpr35
                                        ; implicit-def: $vgpr26_vgpr27
.LBB1201_121:
	s_waitcnt lgkmcnt(0)
	v_pk_mov_b32 v[20:21], s[8:9], s[8:9] op_sel:[0,1]
	v_mov_b32_e32 v28, s63
	s_and_saveexec_b64 s[8:9], s[4:5]
	s_cbranch_execz .LBB1201_123
; %bb.122:
	v_cndmask_b32_e64 v28, 0, 1, s[2:3]
	v_pk_mov_b32 v[18:19], v[4:5], v[4:5] op_sel:[0,1]
	v_pk_mov_b32 v[26:27], v[8:9], v[8:9] op_sel:[0,1]
	;; [unrolled: 1-line block ×11, first 2 shown]
	v_mov_b32_e32 v125, v85
	v_mov_b32_e32 v126, v84
	;; [unrolled: 1-line block ×4, first 2 shown]
.LBB1201_123:
	s_or_b64 exec, exec, s[8:9]
	v_and_b32_e32 v129, 1, v123
	v_and_b32_e32 v40, 1, v124
	;; [unrolled: 1-line block ×4, first 2 shown]
	s_cmp_lg_u32 s6, 0
	v_lshrrev_b32_e32 v130, 8, v128
	v_cmp_eq_u32_e32 vcc, 1, v129
	v_lshrrev_b32_e32 v41, 8, v127
	v_cmp_eq_u32_e64 s[44:45], 1, v40
	v_lshrrev_b32_e32 v37, 8, v126
	v_cmp_eq_u32_e64 s[46:47], 1, v33
	;; [unrolled: 2-line block ×3, first 2 shown]
	v_mbcnt_lo_u32_b32 v29, -1, 0
	s_waitcnt lgkmcnt(0)
	; wave barrier
	s_cbranch_scc0 .LBB1201_186
; %bb.124:
	v_mov_b32_e32 v4, 0
	v_cmp_eq_u16_sdwa s[2:3], v128, v4 src0_sel:BYTE_0 src1_sel:DWORD
	v_cndmask_b32_e64 v9, 0, v2, s[2:3]
	v_cndmask_b32_e64 v5, 0, v3, s[2:3]
	v_add_co_u32_e64 v9, s[4:5], v9, v18
	v_addc_co_u32_e64 v5, s[4:5], v5, v19, s[4:5]
	v_and_b32_e32 v12, 1, v128
	s_movk_i32 s7, 0xff
	v_cmp_eq_u32_e64 s[48:49], 1, v12
	v_cmp_eq_u16_sdwa s[4:5], v130, v4 src0_sel:BYTE_0 src1_sel:DWORD
	v_and_b32_e32 v12, 0x100, v128
	v_cndmask_b32_e64 v9, 0, v9, s[4:5]
	v_cmp_ne_u32_e64 s[52:53], 0, v12
	v_and_b32_sdwa v12, v128, s7 dst_sel:DWORD dst_unused:UNUSED_PAD src0_sel:WORD_1 src1_sel:DWORD
	v_cndmask_b32_e64 v5, 0, v5, s[4:5]
	v_add_co_u32_e64 v9, s[8:9], v9, v6
	v_cmp_eq_u16_e64 s[62:63], 0, v12
	v_addc_co_u32_e64 v5, s[8:9], v5, v7, s[8:9]
	v_cndmask_b32_e64 v9, 0, v9, s[62:63]
	v_cndmask_b32_e64 v5, 0, v5, s[62:63]
	v_add_co_u32_e64 v9, s[8:9], v9, v26
	v_addc_co_u32_e64 v5, s[8:9], v5, v27, s[8:9]
	v_cmp_eq_u16_sdwa s[8:9], v128, v4 src0_sel:BYTE_3 src1_sel:DWORD
	v_cndmask_b32_e64 v9, 0, v9, s[8:9]
	v_cndmask_b32_e64 v5, 0, v5, s[8:9]
	v_add_co_u32_e64 v9, s[10:11], v9, v14
	v_cmp_eq_u16_sdwa s[12:13], v123, v4 src0_sel:BYTE_0 src1_sel:DWORD
	v_addc_co_u32_e64 v5, s[10:11], v5, v15, s[10:11]
	v_cndmask_b32_e64 v9, 0, v9, s[12:13]
	v_cndmask_b32_e64 v5, 0, v5, s[12:13]
	v_add_co_u32_e64 v9, s[10:11], v9, v34
	v_addc_co_u32_e64 v5, s[10:11], v5, v35, s[10:11]
	v_cmp_eq_u16_sdwa s[10:11], v127, v4 src0_sel:BYTE_0 src1_sel:DWORD
	v_cndmask_b32_e64 v9, 0, v9, s[10:11]
	v_cndmask_b32_e64 v5, 0, v5, s[10:11]
	v_add_co_u32_e64 v9, s[14:15], v9, v22
	v_and_b32_e32 v12, 0x10000, v128
	v_addc_co_u32_e64 v5, s[14:15], v5, v23, s[14:15]
	v_cmp_ne_u32_e64 s[54:55], 0, v12
	v_and_b32_e32 v12, 0x1000000, v128
	v_cmp_eq_u16_sdwa s[14:15], v41, v4 src0_sel:BYTE_0 src1_sel:DWORD
	v_cmp_ne_u32_e64 s[56:57], 0, v12
	v_and_b32_e32 v12, 1, v127
	v_cndmask_b32_e64 v9, 0, v9, s[14:15]
	s_mov_b64 s[94:95], s[58:59]
	v_cmp_eq_u32_e64 s[58:59], 1, v12
	v_cndmask_b32_e64 v5, 0, v5, s[14:15]
	v_add_co_u32_e64 v9, s[16:17], v9, v42
	v_and_b32_e32 v12, 0x100, v127
	v_addc_co_u32_e64 v5, s[16:17], v5, v43, s[16:17]
	v_cmp_ne_u32_e64 s[60:61], 0, v12
	v_and_b32_sdwa v12, v127, s7 dst_sel:DWORD dst_unused:UNUSED_PAD src0_sel:WORD_1 src1_sel:DWORD
	v_cmp_eq_u16_e64 s[16:17], 0, v12
	v_cndmask_b32_e64 v9, 0, v9, s[16:17]
	v_cndmask_b32_e64 v5, 0, v5, s[16:17]
	v_add_co_u32_e64 v9, s[18:19], v9, v30
	v_addc_co_u32_e64 v5, s[18:19], v5, v31, s[18:19]
	v_cmp_eq_u16_sdwa s[18:19], v127, v4 src0_sel:BYTE_3 src1_sel:DWORD
	v_cndmask_b32_e64 v9, 0, v9, s[18:19]
	v_cndmask_b32_e64 v5, 0, v5, s[18:19]
	v_add_co_u32_e64 v9, s[20:21], v9, v50
	v_cmp_eq_u16_sdwa s[22:23], v124, v4 src0_sel:BYTE_0 src1_sel:DWORD
	v_addc_co_u32_e64 v5, s[20:21], v5, v51, s[20:21]
	v_cndmask_b32_e64 v9, 0, v9, s[22:23]
	v_cndmask_b32_e64 v5, 0, v5, s[22:23]
	v_add_co_u32_e64 v9, s[20:21], v9, v38
	v_writelane_b32 v131, s68, 2
	v_addc_co_u32_e64 v5, s[20:21], v5, v39, s[20:21]
	v_writelane_b32 v131, s69, 3
	v_cmp_eq_u16_sdwa s[20:21], v126, v4 src0_sel:BYTE_0 src1_sel:DWORD
	v_writelane_b32 v131, s70, 4
	v_cndmask_b32_e64 v9, 0, v9, s[20:21]
	v_writelane_b32 v131, s71, 5
	v_cndmask_b32_e64 v5, 0, v5, s[20:21]
	v_add_co_u32_e64 v9, s[24:25], v9, v58
	v_writelane_b32 v131, s72, 6
	v_and_b32_e32 v12, 0x10000, v127
	v_addc_co_u32_e64 v5, s[24:25], v5, v59, s[24:25]
	v_writelane_b32 v131, s73, 7
	v_cmp_ne_u32_e64 s[64:65], 0, v12
	v_and_b32_e32 v12, 0x1000000, v127
	v_cmp_eq_u16_sdwa s[24:25], v37, v4 src0_sel:BYTE_0 src1_sel:DWORD
	v_writelane_b32 v131, s74, 8
	v_cmp_ne_u32_e64 s[66:67], 0, v12
	v_and_b32_e32 v12, 1, v126
	v_cndmask_b32_e64 v9, 0, v9, s[24:25]
	v_writelane_b32 v131, s75, 9
	v_cmp_eq_u32_e64 s[68:69], 1, v12
	v_cndmask_b32_e64 v5, 0, v5, s[24:25]
	v_add_co_u32_e64 v9, s[26:27], v9, v46
	v_and_b32_e32 v12, 0x100, v126
	v_addc_co_u32_e64 v5, s[26:27], v5, v47, s[26:27]
	v_cmp_ne_u32_e64 s[70:71], 0, v12
	v_and_b32_sdwa v12, v126, s7 dst_sel:DWORD dst_unused:UNUSED_PAD src0_sel:WORD_1 src1_sel:DWORD
	v_cmp_eq_u16_e64 s[26:27], 0, v12
	v_cndmask_b32_e64 v9, 0, v9, s[26:27]
	v_cndmask_b32_e64 v5, 0, v5, s[26:27]
	v_add_co_u32_e64 v9, s[28:29], v9, v66
	v_addc_co_u32_e64 v5, s[28:29], v5, v67, s[28:29]
	v_cmp_eq_u16_sdwa s[28:29], v126, v4 src0_sel:BYTE_3 src1_sel:DWORD
	v_cndmask_b32_e64 v9, 0, v9, s[28:29]
	v_cndmask_b32_e64 v5, 0, v5, s[28:29]
	v_add_co_u32_e64 v9, s[30:31], v9, v54
	v_cmp_eq_u16_sdwa s[34:35], v122, v4 src0_sel:BYTE_0 src1_sel:DWORD
	v_addc_co_u32_e64 v5, s[30:31], v5, v55, s[30:31]
	v_cndmask_b32_e64 v9, 0, v9, s[34:35]
	v_cndmask_b32_e64 v5, 0, v5, s[34:35]
	v_add_co_u32_e64 v9, s[30:31], v9, v74
	v_addc_co_u32_e64 v5, s[30:31], v5, v75, s[30:31]
	v_cmp_eq_u16_sdwa s[30:31], v125, v4 src0_sel:BYTE_0 src1_sel:DWORD
	v_cndmask_b32_e64 v9, 0, v9, s[30:31]
	v_cndmask_b32_e64 v5, 0, v5, s[30:31]
	v_add_co_u32_e64 v9, s[36:37], v9, v62
	v_and_b32_e32 v12, 0x10000, v126
	v_addc_co_u32_e64 v5, s[36:37], v5, v63, s[36:37]
	v_cmp_ne_u32_e64 s[72:73], 0, v12
	v_and_b32_e32 v12, 0x1000000, v126
	v_cmp_eq_u16_sdwa s[36:37], v36, v4 src0_sel:BYTE_0 src1_sel:DWORD
	v_cmp_ne_u32_e64 s[74:75], 0, v12
	v_and_b32_e32 v12, 1, v125
	v_cndmask_b32_e64 v9, 0, v9, s[36:37]
	v_cmp_eq_u32_e64 s[76:77], 1, v12
	v_cndmask_b32_e64 v5, 0, v5, s[36:37]
	v_add_co_u32_e64 v9, s[38:39], v9, v78
	v_and_b32_e32 v12, 0x100, v125
	v_addc_co_u32_e64 v5, s[38:39], v5, v79, s[38:39]
	v_cmp_ne_u32_e64 s[78:79], 0, v12
	v_and_b32_sdwa v12, v125, s7 dst_sel:DWORD dst_unused:UNUSED_PAD src0_sel:WORD_1 src1_sel:DWORD
	v_cmp_eq_u16_e64 s[38:39], 0, v12
	v_and_b32_e32 v12, 0x10000, v125
	v_cmp_ne_u32_e64 s[80:81], 0, v12
	v_and_b32_e32 v12, 0x1000000, v125
	v_cmp_ne_u32_e64 s[82:83], 0, v12
	s_or_b64 s[50:51], s[50:51], s[82:83]
	s_or_b64 s[50:51], s[50:51], s[80:81]
	;; [unrolled: 1-line block ×9, first 2 shown]
	v_cndmask_b32_e64 v9, 0, v9, s[38:39]
	s_or_b64 s[44:45], s[46:47], s[44:45]
	v_cndmask_b32_e64 v5, 0, v5, s[38:39]
	v_add_co_u32_e64 v9, s[40:41], v9, v70
	s_or_b64 s[44:45], s[44:45], s[66:67]
	v_addc_co_u32_e64 v5, s[40:41], v5, v71, s[40:41]
	s_or_b64 s[44:45], s[44:45], s[64:65]
	v_cmp_eq_u16_sdwa s[40:41], v125, v4 src0_sel:BYTE_3 src1_sel:DWORD
	s_or_b64 s[44:45], s[44:45], s[60:61]
	v_cndmask_b32_e64 v9, 0, v9, s[40:41]
	s_or_b64 s[44:45], s[44:45], s[58:59]
	v_cndmask_b32_e64 v5, 0, v5, s[40:41]
	v_add_co_u32_e64 v9, s[42:43], v9, v10
	s_or_b64 s[44:45], s[44:45], vcc
	v_addc_co_u32_e64 v5, s[42:43], v5, v11, s[42:43]
	s_or_b64 s[44:45], s[44:45], s[56:57]
	v_cmp_eq_u16_sdwa s[42:43], v28, v4 src0_sel:BYTE_0 src1_sel:DWORD
	s_or_b64 s[44:45], s[44:45], s[54:55]
	v_cndmask_b32_e64 v4, 0, v9, s[42:43]
	s_or_b64 s[44:45], s[44:45], s[52:53]
	v_and_b32_e32 v8, 0xff, v1
	v_cndmask_b32_e64 v5, 0, v5, s[42:43]
	v_add_co_u32_e64 v4, s[84:85], v4, v20
	s_or_b64 s[44:45], s[44:45], s[48:49]
	v_mbcnt_hi_u32_b32 v9, -1, v29
	v_addc_co_u32_e64 v5, s[84:85], v5, v21, s[84:85]
	v_cndmask_b32_e64 v8, v8, 1, s[44:45]
	v_and_b32_e32 v12, 15, v9
	v_mov_b32_dpp v16, v4 row_shr:1 row_mask:0xf bank_mask:0xf
	v_mov_b32_dpp v17, v5 row_shr:1 row_mask:0xf bank_mask:0xf
	;; [unrolled: 1-line block ×3, first 2 shown]
	v_cmp_ne_u32_e32 vcc, 0, v12
	s_and_saveexec_b64 s[44:45], vcc
; %bb.125:
	v_cmp_eq_u32_e32 vcc, 0, v8
	v_cndmask_b32_e32 v16, 0, v16, vcc
	v_cndmask_b32_e32 v17, 0, v17, vcc
	v_add_co_u32_e32 v4, vcc, v16, v4
	v_addc_co_u32_e32 v5, vcc, v17, v5, vcc
	v_and_or_b32 v8, v13, 1, v8
; %bb.126:
	s_or_b64 exec, exec, s[44:45]
	v_mov_b32_dpp v16, v4 row_shr:2 row_mask:0xf bank_mask:0xf
	v_mov_b32_dpp v17, v5 row_shr:2 row_mask:0xf bank_mask:0xf
	;; [unrolled: 1-line block ×3, first 2 shown]
	v_cmp_lt_u32_e32 vcc, 1, v12
	s_and_saveexec_b64 s[44:45], vcc
; %bb.127:
	v_cmp_eq_u32_e32 vcc, 0, v8
	v_cndmask_b32_e32 v16, 0, v16, vcc
	v_cndmask_b32_e32 v17, 0, v17, vcc
	v_add_co_u32_e32 v4, vcc, v16, v4
	v_or_b32_e32 v8, v13, v8
	v_addc_co_u32_e32 v5, vcc, v17, v5, vcc
	v_and_b32_e32 v8, 1, v8
; %bb.128:
	s_or_b64 exec, exec, s[44:45]
	v_mov_b32_dpp v16, v4 row_shr:4 row_mask:0xf bank_mask:0xf
	v_mov_b32_dpp v17, v5 row_shr:4 row_mask:0xf bank_mask:0xf
	;; [unrolled: 1-line block ×3, first 2 shown]
	v_cmp_lt_u32_e32 vcc, 3, v12
	s_and_saveexec_b64 s[44:45], vcc
	v_readlane_b32 s68, v131, 2
	s_mov_b64 s[58:59], s[94:95]
	v_readlane_b32 s69, v131, 3
	v_readlane_b32 s70, v131, 4
	;; [unrolled: 1-line block ×7, first 2 shown]
; %bb.129:
	v_cmp_eq_u32_e32 vcc, 0, v8
	v_cndmask_b32_e32 v16, 0, v16, vcc
	v_cndmask_b32_e32 v17, 0, v17, vcc
	v_add_co_u32_e32 v4, vcc, v16, v4
	v_or_b32_e32 v8, v13, v8
	v_addc_co_u32_e32 v5, vcc, v17, v5, vcc
	v_and_b32_e32 v8, 1, v8
; %bb.130:
	s_or_b64 exec, exec, s[44:45]
	v_mov_b32_dpp v16, v4 row_shr:8 row_mask:0xf bank_mask:0xf
	v_mov_b32_dpp v17, v5 row_shr:8 row_mask:0xf bank_mask:0xf
	;; [unrolled: 1-line block ×3, first 2 shown]
	v_cmp_lt_u32_e32 vcc, 7, v12
	s_and_saveexec_b64 s[44:45], vcc
; %bb.131:
	v_cmp_eq_u32_e32 vcc, 0, v8
	v_cndmask_b32_e32 v16, 0, v16, vcc
	v_cndmask_b32_e32 v12, 0, v17, vcc
	v_add_co_u32_e32 v4, vcc, v16, v4
	v_or_b32_e32 v8, v13, v8
	v_addc_co_u32_e32 v5, vcc, v12, v5, vcc
	v_and_b32_e32 v8, 1, v8
; %bb.132:
	s_or_b64 exec, exec, s[44:45]
	v_and_b32_e32 v17, 16, v9
	v_mov_b32_dpp v13, v4 row_bcast:15 row_mask:0xf bank_mask:0xf
	v_mov_b32_dpp v16, v5 row_bcast:15 row_mask:0xf bank_mask:0xf
	;; [unrolled: 1-line block ×3, first 2 shown]
	v_cmp_ne_u32_e32 vcc, 0, v17
	s_and_saveexec_b64 s[44:45], vcc
; %bb.133:
	v_cmp_eq_u32_e32 vcc, 0, v8
	v_cndmask_b32_e32 v13, 0, v13, vcc
	v_cndmask_b32_e32 v16, 0, v16, vcc
	v_add_co_u32_e32 v4, vcc, v13, v4
	v_or_b32_e32 v8, v12, v8
	v_addc_co_u32_e32 v5, vcc, v16, v5, vcc
	v_and_b32_e32 v8, 1, v8
; %bb.134:
	s_or_b64 exec, exec, s[44:45]
	v_mov_b32_dpp v16, v4 row_bcast:31 row_mask:0xf bank_mask:0xf
	v_mov_b32_dpp v17, v5 row_bcast:31 row_mask:0xf bank_mask:0xf
	;; [unrolled: 1-line block ×3, first 2 shown]
	v_cmp_lt_u32_e32 vcc, 31, v9
	v_mov_b32_e32 v12, v8
	s_and_saveexec_b64 s[44:45], vcc
; %bb.135:
	v_cmp_eq_u32_e32 vcc, 0, v8
	v_cndmask_b32_e32 v16, 0, v16, vcc
	v_cndmask_b32_e32 v12, 0, v17, vcc
	v_add_co_u32_e32 v4, vcc, v16, v4
	v_or_b32_e32 v8, v13, v8
	v_addc_co_u32_e32 v5, vcc, v12, v5, vcc
	v_and_b32_e32 v12, 1, v8
	v_and_b32_e32 v8, 1, v8
; %bb.136:
	s_or_b64 exec, exec, s[44:45]
	v_cmp_eq_u32_e32 vcc, 63, v0
	s_and_saveexec_b64 s[44:45], vcc
	s_cbranch_execz .LBB1201_138
; %bb.137:
	v_mov_b32_e32 v13, 0
	ds_write_b64 v13, v[4:5]
	ds_write_b8 v13, v12 offset:8
.LBB1201_138:
	s_or_b64 exec, exec, s[44:45]
	v_add_u32_e32 v12, -1, v9
	v_and_b32_e32 v13, 64, v9
	v_cmp_lt_i32_e32 vcc, v12, v13
	v_cndmask_b32_e32 v12, v12, v9, vcc
	v_lshlrev_b32_e32 v12, 2, v12
	ds_bpermute_b32 v45, v12, v4
	ds_bpermute_b32 v48, v12, v5
	;; [unrolled: 1-line block ×3, first 2 shown]
	v_cmp_gt_u32_e32 vcc, 64, v0
	s_waitcnt lgkmcnt(0)
	; wave barrier
	s_waitcnt lgkmcnt(0)
	s_and_saveexec_b64 s[48:49], vcc
	s_cbranch_execz .LBB1201_185
; %bb.139:
	v_mov_b32_e32 v13, 0
	ds_read_b64 v[4:5], v13
	ds_read_u8 v49, v13 offset:8
	s_mov_b32 s51, 0
	v_cmp_eq_u32_e64 s[44:45], 0, v9
	s_and_saveexec_b64 s[46:47], s[44:45]
	s_cbranch_execz .LBB1201_141
; %bb.140:
	s_add_i32 s50, s6, 64
	s_lshl_b64 s[52:53], s[50:51], 4
	s_add_u32 s52, s68, s52
	s_addc_u32 s53, s69, s53
	v_mov_b32_e32 v8, s50
	v_mov_b32_e32 v12, 1
	s_waitcnt lgkmcnt(1)
	global_store_dwordx2 v13, v[4:5], s[52:53]
	s_waitcnt lgkmcnt(0)
	global_store_byte v13, v49, s[52:53] offset:8
	s_waitcnt vmcnt(0)
	buffer_wbinvl1_vol
	global_store_byte v8, v12, s[72:73]
.LBB1201_141:
	s_or_b64 exec, exec, s[46:47]
	v_xad_u32 v8, v9, -1, s6
	v_add_u32_e32 v12, 64, v8
	global_load_ubyte v52, v12, s[72:73] glc
	s_waitcnt vmcnt(0)
	v_cmp_eq_u16_e32 vcc, 0, v52
	s_and_saveexec_b64 s[46:47], vcc
	s_cbranch_execz .LBB1201_147
; %bb.142:
	v_mov_b32_e32 v17, s73
	v_add_co_u32_e32 v16, vcc, s72, v12
	v_addc_co_u32_e32 v17, vcc, 0, v17, vcc
	s_mov_b32 s7, 1
	s_mov_b64 s[50:51], 0
.LBB1201_143:                           ; =>This Loop Header: Depth=1
                                        ;     Child Loop BB1201_144 Depth 2
	s_max_u32 s52, s7, 1
.LBB1201_144:                           ;   Parent Loop BB1201_143 Depth=1
                                        ; =>  This Inner Loop Header: Depth=2
	s_add_i32 s52, s52, -1
	s_cmp_eq_u32 s52, 0
	s_sleep 1
	s_cbranch_scc0 .LBB1201_144
; %bb.145:                              ;   in Loop: Header=BB1201_143 Depth=1
	global_load_ubyte v52, v[16:17], off glc
	s_cmp_lt_u32 s7, 32
	s_cselect_b64 s[52:53], -1, 0
	s_cmp_lg_u64 s[52:53], 0
	s_addc_u32 s7, s7, 0
	s_waitcnt vmcnt(0)
	v_cmp_ne_u16_e32 vcc, 0, v52
	s_or_b64 s[50:51], vcc, s[50:51]
	s_andn2_b64 exec, exec, s[50:51]
	s_cbranch_execnz .LBB1201_143
; %bb.146:
	s_or_b64 exec, exec, s[50:51]
.LBB1201_147:
	s_or_b64 exec, exec, s[46:47]
	v_mov_b32_e32 v16, s71
	v_mov_b32_e32 v17, s69
	v_cmp_eq_u16_e32 vcc, 1, v52
	v_cndmask_b32_e32 v16, v16, v17, vcc
	v_mov_b32_e32 v17, s70
	v_mov_b32_e32 v24, s68
	v_cndmask_b32_e32 v17, v17, v24, vcc
	v_lshlrev_b64 v[12:13], 4, v[12:13]
	v_add_co_u32_e32 v12, vcc, v17, v12
	v_addc_co_u32_e32 v13, vcc, v16, v13, vcc
	s_waitcnt lgkmcnt(0)
	buffer_wbinvl1_vol
	global_load_dwordx2 v[24:25], v[12:13], off
	global_load_ubyte v81, v[12:13], off offset:8
	v_cmp_eq_u16_e32 vcc, 2, v52
	v_lshlrev_b64 v[12:13], v9, -1
	v_and_b32_e32 v53, 63, v9
	v_and_b32_e32 v16, vcc_hi, v13
	v_and_b32_e32 v64, vcc_lo, v12
	v_cmp_ne_u32_e32 vcc, 63, v53
	v_addc_co_u32_e32 v17, vcc, 0, v9, vcc
	v_lshlrev_b32_e32 v56, 2, v17
	v_or_b32_e32 v16, 0x80000000, v16
	v_ffbl_b32_e32 v16, v16
	v_add_u32_e32 v16, 32, v16
	v_ffbl_b32_e32 v64, v64
	v_min_u32_e32 v16, v64, v16
	v_cmp_lt_u32_e32 vcc, v53, v16
	s_waitcnt vmcnt(1)
	ds_bpermute_b32 v60, v56, v24
	s_waitcnt vmcnt(0)
	v_and_b32_e32 v17, 1, v81
	ds_bpermute_b32 v61, v56, v25
	ds_bpermute_b32 v57, v56, v17
	s_and_saveexec_b64 s[46:47], vcc
	s_cbranch_execz .LBB1201_149
; %bb.148:
	v_mov_b32_e32 v17, 0
	v_cmp_eq_u16_sdwa vcc, v81, v17 src0_sel:BYTE_0 src1_sel:DWORD
	s_waitcnt lgkmcnt(2)
	v_cndmask_b32_e32 v60, 0, v60, vcc
	s_waitcnt lgkmcnt(1)
	v_cndmask_b32_e32 v17, 0, v61, vcc
	v_add_co_u32_e32 v24, vcc, v60, v24
	v_addc_co_u32_e32 v25, vcc, v17, v25, vcc
	s_waitcnt lgkmcnt(0)
	v_and_b32_e32 v17, 1, v57
	v_or_b32_e32 v81, v17, v81
	v_and_b32_e32 v17, 0xff, v81
.LBB1201_149:
	s_or_b64 exec, exec, s[46:47]
	v_cmp_gt_u32_e32 vcc, 62, v53
	s_waitcnt lgkmcnt(0)
	v_cndmask_b32_e64 v57, 0, 1, vcc
	v_lshlrev_b32_e32 v57, 1, v57
	v_add_lshl_u32 v57, v57, v9, 2
	ds_bpermute_b32 v64, v57, v24
	ds_bpermute_b32 v65, v57, v25
	ds_bpermute_b32 v61, v57, v17
	v_add_u32_e32 v60, 2, v53
	v_cmp_le_u32_e32 vcc, v60, v16
	s_and_saveexec_b64 s[50:51], vcc
	s_cbranch_execz .LBB1201_151
; %bb.150:
	v_mov_b32_e32 v17, 0
	v_cmp_eq_u16_sdwa vcc, v81, v17 src0_sel:BYTE_0 src1_sel:DWORD
	s_waitcnt lgkmcnt(2)
	v_cndmask_b32_e32 v64, 0, v64, vcc
	s_waitcnt lgkmcnt(1)
	v_cndmask_b32_e32 v17, 0, v65, vcc
	v_add_co_u32_e32 v24, vcc, v64, v24
	v_addc_co_u32_e32 v25, vcc, v17, v25, vcc
	v_and_b32_e32 v17, 1, v81
	v_cmp_eq_u32_e32 vcc, 1, v17
	s_waitcnt lgkmcnt(0)
	v_and_b32_e32 v17, 1, v61
	v_cmp_eq_u32_e64 s[46:47], 1, v17
	s_or_b64 s[46:47], vcc, s[46:47]
	v_cndmask_b32_e64 v81, 0, 1, s[46:47]
	v_cndmask_b32_e64 v17, 0, 1, s[46:47]
.LBB1201_151:
	s_or_b64 exec, exec, s[50:51]
	v_cmp_gt_u32_e32 vcc, 60, v53
	s_waitcnt lgkmcnt(0)
	v_cndmask_b32_e64 v61, 0, 1, vcc
	v_lshlrev_b32_e32 v61, 2, v61
	v_add_lshl_u32 v61, v61, v9, 2
	ds_bpermute_b32 v68, v61, v24
	ds_bpermute_b32 v69, v61, v25
	ds_bpermute_b32 v65, v61, v17
	v_add_u32_e32 v64, 4, v53
	v_cmp_le_u32_e32 vcc, v64, v16
	s_and_saveexec_b64 s[50:51], vcc
	s_cbranch_execz .LBB1201_153
; %bb.152:
	v_mov_b32_e32 v17, 0
	v_cmp_eq_u16_sdwa vcc, v81, v17 src0_sel:BYTE_0 src1_sel:DWORD
	s_waitcnt lgkmcnt(2)
	v_cndmask_b32_e32 v68, 0, v68, vcc
	s_waitcnt lgkmcnt(1)
	v_cndmask_b32_e32 v17, 0, v69, vcc
	v_add_co_u32_e32 v24, vcc, v68, v24
	v_addc_co_u32_e32 v25, vcc, v17, v25, vcc
	v_and_b32_e32 v17, 1, v81
	v_cmp_eq_u32_e32 vcc, 1, v17
	s_waitcnt lgkmcnt(0)
	v_and_b32_e32 v17, 1, v65
	v_cmp_eq_u32_e64 s[46:47], 1, v17
	s_or_b64 s[46:47], vcc, s[46:47]
	v_cndmask_b32_e64 v81, 0, 1, s[46:47]
	v_cndmask_b32_e64 v17, 0, 1, s[46:47]
.LBB1201_153:
	s_or_b64 exec, exec, s[50:51]
	v_cmp_gt_u32_e32 vcc, 56, v53
	s_waitcnt lgkmcnt(0)
	v_cndmask_b32_e64 v65, 0, 1, vcc
	v_lshlrev_b32_e32 v65, 3, v65
	v_add_lshl_u32 v65, v65, v9, 2
	ds_bpermute_b32 v72, v65, v24
	ds_bpermute_b32 v73, v65, v25
	ds_bpermute_b32 v69, v65, v17
	v_add_u32_e32 v68, 8, v53
	v_cmp_le_u32_e32 vcc, v68, v16
	s_and_saveexec_b64 s[50:51], vcc
	s_cbranch_execz .LBB1201_155
; %bb.154:
	v_mov_b32_e32 v17, 0
	v_cmp_eq_u16_sdwa vcc, v81, v17 src0_sel:BYTE_0 src1_sel:DWORD
	s_waitcnt lgkmcnt(2)
	v_cndmask_b32_e32 v72, 0, v72, vcc
	s_waitcnt lgkmcnt(1)
	v_cndmask_b32_e32 v17, 0, v73, vcc
	v_add_co_u32_e32 v24, vcc, v72, v24
	v_addc_co_u32_e32 v25, vcc, v17, v25, vcc
	v_and_b32_e32 v17, 1, v81
	v_cmp_eq_u32_e32 vcc, 1, v17
	s_waitcnt lgkmcnt(0)
	v_and_b32_e32 v17, 1, v69
	v_cmp_eq_u32_e64 s[46:47], 1, v17
	s_or_b64 s[46:47], vcc, s[46:47]
	v_cndmask_b32_e64 v81, 0, 1, s[46:47]
	v_cndmask_b32_e64 v17, 0, 1, s[46:47]
.LBB1201_155:
	s_or_b64 exec, exec, s[50:51]
	v_cmp_gt_u32_e32 vcc, 48, v53
	s_waitcnt lgkmcnt(0)
	v_cndmask_b32_e64 v69, 0, 1, vcc
	v_lshlrev_b32_e32 v69, 4, v69
	v_add_lshl_u32 v69, v69, v9, 2
	ds_bpermute_b32 v76, v69, v24
	ds_bpermute_b32 v77, v69, v25
	ds_bpermute_b32 v73, v69, v17
	v_add_u32_e32 v72, 16, v53
	v_cmp_le_u32_e32 vcc, v72, v16
	s_and_saveexec_b64 s[50:51], vcc
	s_cbranch_execz .LBB1201_157
; %bb.156:
	v_mov_b32_e32 v17, 0
	v_cmp_eq_u16_sdwa vcc, v81, v17 src0_sel:BYTE_0 src1_sel:DWORD
	s_waitcnt lgkmcnt(2)
	v_cndmask_b32_e32 v76, 0, v76, vcc
	s_waitcnt lgkmcnt(1)
	v_cndmask_b32_e32 v17, 0, v77, vcc
	v_add_co_u32_e32 v24, vcc, v76, v24
	v_addc_co_u32_e32 v25, vcc, v17, v25, vcc
	v_and_b32_e32 v17, 1, v81
	v_cmp_eq_u32_e32 vcc, 1, v17
	s_waitcnt lgkmcnt(0)
	v_and_b32_e32 v17, 1, v73
	v_cmp_eq_u32_e64 s[46:47], 1, v17
	s_or_b64 s[46:47], vcc, s[46:47]
	v_cndmask_b32_e64 v81, 0, 1, s[46:47]
	v_cndmask_b32_e64 v17, 0, 1, s[46:47]
.LBB1201_157:
	s_or_b64 exec, exec, s[50:51]
	v_cmp_gt_u32_e32 vcc, 32, v53
	s_waitcnt lgkmcnt(0)
	v_cndmask_b32_e64 v73, 0, 1, vcc
	v_lshlrev_b32_e32 v73, 5, v73
	v_add_lshl_u32 v76, v73, v9, 2
	ds_bpermute_b32 v73, v76, v24
	ds_bpermute_b32 v80, v76, v25
	;; [unrolled: 1-line block ×3, first 2 shown]
	v_add_u32_e32 v77, 32, v53
	v_cmp_le_u32_e32 vcc, v77, v16
	s_and_saveexec_b64 s[50:51], vcc
	s_cbranch_execz .LBB1201_159
; %bb.158:
	v_mov_b32_e32 v16, 0
	v_cmp_eq_u16_sdwa vcc, v81, v16 src0_sel:BYTE_0 src1_sel:DWORD
	s_waitcnt lgkmcnt(2)
	v_cndmask_b32_e32 v17, 0, v73, vcc
	s_waitcnt lgkmcnt(1)
	v_cndmask_b32_e32 v16, 0, v80, vcc
	v_add_co_u32_e32 v24, vcc, v17, v24
	v_addc_co_u32_e32 v25, vcc, v16, v25, vcc
	v_and_b32_e32 v16, 1, v81
	s_waitcnt lgkmcnt(0)
	v_and_b32_e32 v9, 1, v9
	v_cmp_eq_u32_e32 vcc, 1, v16
	v_cmp_eq_u32_e64 s[46:47], 1, v9
	s_or_b64 s[46:47], vcc, s[46:47]
	v_cndmask_b32_e64 v81, 0, 1, s[46:47]
.LBB1201_159:
	s_or_b64 exec, exec, s[50:51]
	s_waitcnt lgkmcnt(0)
	v_mov_b32_e32 v9, 0
	v_mov_b32_e32 v80, 2
	s_branch .LBB1201_161
.LBB1201_160:                           ;   in Loop: Header=BB1201_161 Depth=1
	s_or_b64 exec, exec, s[52:53]
	v_cmp_eq_u16_sdwa vcc, v73, v9 src0_sel:BYTE_0 src1_sel:DWORD
	v_cndmask_b32_e32 v24, 0, v24, vcc
	v_cndmask_b32_e32 v25, 0, v25, vcc
	v_add_co_u32_e32 v24, vcc, v24, v16
	v_addc_co_u32_e32 v25, vcc, v25, v17, vcc
	v_and_b32_e32 v81, 1, v73
	v_cmp_eq_u32_e32 vcc, 1, v81
	s_or_b64 s[46:47], vcc, s[50:51]
	v_subrev_u32_e32 v8, 64, v8
	v_cndmask_b32_e64 v81, 0, 1, s[46:47]
.LBB1201_161:                           ; =>This Loop Header: Depth=1
                                        ;     Child Loop BB1201_164 Depth 2
                                        ;       Child Loop BB1201_165 Depth 3
	v_cmp_ne_u16_sdwa s[46:47], v52, v80 src0_sel:BYTE_0 src1_sel:DWORD
	v_cndmask_b32_e64 v16, 0, 1, s[46:47]
	;;#ASMSTART
	;;#ASMEND
	v_cmp_ne_u32_e32 vcc, 0, v16
	v_mov_b32_e32 v73, v81
	s_cmp_lg_u64 vcc, exec
	v_pk_mov_b32 v[16:17], v[24:25], v[24:25] op_sel:[0,1]
	s_cbranch_scc1 .LBB1201_180
; %bb.162:                              ;   in Loop: Header=BB1201_161 Depth=1
	global_load_ubyte v52, v8, s[72:73] glc
	s_waitcnt vmcnt(0)
	v_cmp_eq_u16_e32 vcc, 0, v52
	s_and_saveexec_b64 s[46:47], vcc
	s_cbranch_execz .LBB1201_168
; %bb.163:                              ;   in Loop: Header=BB1201_161 Depth=1
	v_mov_b32_e32 v25, s73
	v_add_co_u32_e32 v24, vcc, s72, v8
	v_addc_co_u32_e32 v25, vcc, 0, v25, vcc
	s_mov_b32 s7, 1
	s_mov_b64 s[50:51], 0
.LBB1201_164:                           ;   Parent Loop BB1201_161 Depth=1
                                        ; =>  This Loop Header: Depth=2
                                        ;       Child Loop BB1201_165 Depth 3
	s_max_u32 s52, s7, 1
.LBB1201_165:                           ;   Parent Loop BB1201_161 Depth=1
                                        ;     Parent Loop BB1201_164 Depth=2
                                        ; =>    This Inner Loop Header: Depth=3
	s_add_i32 s52, s52, -1
	s_cmp_eq_u32 s52, 0
	s_sleep 1
	s_cbranch_scc0 .LBB1201_165
; %bb.166:                              ;   in Loop: Header=BB1201_164 Depth=2
	global_load_ubyte v52, v[24:25], off glc
	s_cmp_lt_u32 s7, 32
	s_cselect_b64 s[52:53], -1, 0
	s_cmp_lg_u64 s[52:53], 0
	s_addc_u32 s7, s7, 0
	s_waitcnt vmcnt(0)
	v_cmp_ne_u16_e32 vcc, 0, v52
	s_or_b64 s[50:51], vcc, s[50:51]
	s_andn2_b64 exec, exec, s[50:51]
	s_cbranch_execnz .LBB1201_164
; %bb.167:                              ;   in Loop: Header=BB1201_161 Depth=1
	s_or_b64 exec, exec, s[50:51]
.LBB1201_168:                           ;   in Loop: Header=BB1201_161 Depth=1
	s_or_b64 exec, exec, s[46:47]
	v_mov_b32_e32 v24, s71
	v_mov_b32_e32 v25, s69
	v_cmp_eq_u16_e32 vcc, 1, v52
	v_cndmask_b32_e32 v81, v24, v25, vcc
	v_mov_b32_e32 v24, s70
	v_mov_b32_e32 v25, s68
	v_cndmask_b32_e32 v82, v24, v25, vcc
	v_lshlrev_b64 v[24:25], 4, v[8:9]
	v_add_co_u32_e32 v82, vcc, v82, v24
	s_waitcnt lgkmcnt(0)
	v_addc_co_u32_e32 v83, vcc, v81, v25, vcc
	buffer_wbinvl1_vol
	global_load_dwordx2 v[24:25], v[82:83], off
	global_load_ubyte v81, v[82:83], off offset:8
	v_cmp_eq_u16_e32 vcc, 2, v52
	v_and_b32_e32 v82, vcc_hi, v13
	v_or_b32_e32 v82, 0x80000000, v82
	v_and_b32_e32 v87, vcc_lo, v12
	v_ffbl_b32_e32 v82, v82
	v_add_u32_e32 v82, 32, v82
	v_ffbl_b32_e32 v87, v87
	v_min_u32_e32 v82, v87, v82
	v_cmp_lt_u32_e32 vcc, v53, v82
	s_waitcnt vmcnt(1)
	ds_bpermute_b32 v85, v56, v24
	s_waitcnt vmcnt(0)
	v_and_b32_e32 v83, 1, v81
	ds_bpermute_b32 v86, v56, v25
	ds_bpermute_b32 v84, v56, v83
	s_and_saveexec_b64 s[46:47], vcc
	s_cbranch_execz .LBB1201_170
; %bb.169:                              ;   in Loop: Header=BB1201_161 Depth=1
	v_cmp_eq_u16_sdwa vcc, v81, v9 src0_sel:BYTE_0 src1_sel:DWORD
	s_waitcnt lgkmcnt(2)
	v_cndmask_b32_e32 v85, 0, v85, vcc
	s_waitcnt lgkmcnt(1)
	v_cndmask_b32_e32 v83, 0, v86, vcc
	v_add_co_u32_e32 v24, vcc, v85, v24
	v_addc_co_u32_e32 v25, vcc, v83, v25, vcc
	s_waitcnt lgkmcnt(0)
	v_and_b32_e32 v83, 1, v84
	v_or_b32_e32 v81, v83, v81
	v_and_b32_e32 v83, 0xff, v81
.LBB1201_170:                           ;   in Loop: Header=BB1201_161 Depth=1
	s_or_b64 exec, exec, s[46:47]
	s_waitcnt lgkmcnt(2)
	ds_bpermute_b32 v85, v57, v24
	s_waitcnt lgkmcnt(2)
	ds_bpermute_b32 v86, v57, v25
	s_waitcnt lgkmcnt(2)
	ds_bpermute_b32 v84, v57, v83
	v_and_b32_e32 v87, 1, v81
	v_cmp_le_u32_e32 vcc, v60, v82
	v_cmp_eq_u32_e64 s[50:51], 1, v87
	s_and_saveexec_b64 s[46:47], vcc
	s_cbranch_execz .LBB1201_172
; %bb.171:                              ;   in Loop: Header=BB1201_161 Depth=1
	v_cmp_eq_u16_sdwa vcc, v81, v9 src0_sel:BYTE_0 src1_sel:DWORD
	s_waitcnt lgkmcnt(2)
	v_cndmask_b32_e32 v83, 0, v85, vcc
	s_waitcnt lgkmcnt(1)
	v_cndmask_b32_e32 v81, 0, v86, vcc
	v_add_co_u32_e32 v24, vcc, v83, v24
	v_addc_co_u32_e32 v25, vcc, v81, v25, vcc
	s_waitcnt lgkmcnt(0)
	v_and_b32_e32 v81, 1, v84
	v_cmp_eq_u32_e32 vcc, 1, v81
	s_or_b64 s[52:53], s[50:51], vcc
	v_cndmask_b32_e64 v81, 0, 1, s[52:53]
	v_cndmask_b32_e64 v83, 0, 1, s[52:53]
	s_andn2_b64 s[50:51], s[50:51], exec
	s_and_b64 s[52:53], s[52:53], exec
	s_or_b64 s[50:51], s[50:51], s[52:53]
.LBB1201_172:                           ;   in Loop: Header=BB1201_161 Depth=1
	s_or_b64 exec, exec, s[46:47]
	s_waitcnt lgkmcnt(2)
	ds_bpermute_b32 v85, v61, v24
	s_waitcnt lgkmcnt(2)
	ds_bpermute_b32 v86, v61, v25
	s_waitcnt lgkmcnt(2)
	ds_bpermute_b32 v84, v61, v83
	v_cmp_le_u32_e32 vcc, v64, v82
	s_and_saveexec_b64 s[52:53], vcc
	s_cbranch_execz .LBB1201_174
; %bb.173:                              ;   in Loop: Header=BB1201_161 Depth=1
	v_cmp_eq_u16_sdwa vcc, v81, v9 src0_sel:BYTE_0 src1_sel:DWORD
	s_waitcnt lgkmcnt(2)
	v_cndmask_b32_e32 v85, 0, v85, vcc
	s_waitcnt lgkmcnt(1)
	v_cndmask_b32_e32 v83, 0, v86, vcc
	v_add_co_u32_e32 v24, vcc, v85, v24
	v_addc_co_u32_e32 v25, vcc, v83, v25, vcc
	v_and_b32_e32 v81, 1, v81
	v_cmp_eq_u32_e32 vcc, 1, v81
	s_waitcnt lgkmcnt(0)
	v_and_b32_e32 v81, 1, v84
	v_cmp_eq_u32_e64 s[46:47], 1, v81
	s_or_b64 s[46:47], vcc, s[46:47]
	v_cndmask_b32_e64 v81, 0, 1, s[46:47]
	v_cndmask_b32_e64 v83, 0, 1, s[46:47]
	s_andn2_b64 s[50:51], s[50:51], exec
	s_and_b64 s[46:47], s[46:47], exec
	s_or_b64 s[50:51], s[50:51], s[46:47]
.LBB1201_174:                           ;   in Loop: Header=BB1201_161 Depth=1
	s_or_b64 exec, exec, s[52:53]
	s_waitcnt lgkmcnt(2)
	ds_bpermute_b32 v85, v65, v24
	s_waitcnt lgkmcnt(2)
	ds_bpermute_b32 v86, v65, v25
	s_waitcnt lgkmcnt(2)
	ds_bpermute_b32 v84, v65, v83
	v_cmp_le_u32_e32 vcc, v68, v82
	s_and_saveexec_b64 s[52:53], vcc
	s_cbranch_execz .LBB1201_176
; %bb.175:                              ;   in Loop: Header=BB1201_161 Depth=1
	v_cmp_eq_u16_sdwa vcc, v81, v9 src0_sel:BYTE_0 src1_sel:DWORD
	s_waitcnt lgkmcnt(2)
	v_cndmask_b32_e32 v85, 0, v85, vcc
	s_waitcnt lgkmcnt(1)
	v_cndmask_b32_e32 v83, 0, v86, vcc
	v_add_co_u32_e32 v24, vcc, v85, v24
	v_addc_co_u32_e32 v25, vcc, v83, v25, vcc
	v_and_b32_e32 v81, 1, v81
	v_cmp_eq_u32_e32 vcc, 1, v81
	s_waitcnt lgkmcnt(0)
	v_and_b32_e32 v81, 1, v84
	v_cmp_eq_u32_e64 s[46:47], 1, v81
	s_or_b64 s[46:47], vcc, s[46:47]
	v_cndmask_b32_e64 v81, 0, 1, s[46:47]
	v_cndmask_b32_e64 v83, 0, 1, s[46:47]
	s_andn2_b64 s[50:51], s[50:51], exec
	s_and_b64 s[46:47], s[46:47], exec
	s_or_b64 s[50:51], s[50:51], s[46:47]
.LBB1201_176:                           ;   in Loop: Header=BB1201_161 Depth=1
	;; [unrolled: 30-line block ×3, first 2 shown]
	s_or_b64 exec, exec, s[52:53]
	s_waitcnt lgkmcnt(0)
	ds_bpermute_b32 v84, v76, v24
	ds_bpermute_b32 v85, v76, v25
	;; [unrolled: 1-line block ×3, first 2 shown]
	v_cmp_le_u32_e32 vcc, v77, v82
	s_and_saveexec_b64 s[52:53], vcc
	s_cbranch_execz .LBB1201_160
; %bb.179:                              ;   in Loop: Header=BB1201_161 Depth=1
	v_cmp_eq_u16_sdwa vcc, v81, v9 src0_sel:BYTE_0 src1_sel:DWORD
	s_waitcnt lgkmcnt(2)
	v_cndmask_b32_e32 v84, 0, v84, vcc
	s_waitcnt lgkmcnt(1)
	v_cndmask_b32_e32 v82, 0, v85, vcc
	v_add_co_u32_e32 v24, vcc, v84, v24
	v_addc_co_u32_e32 v25, vcc, v82, v25, vcc
	v_and_b32_e32 v81, 1, v81
	v_cmp_eq_u32_e32 vcc, 1, v81
	s_waitcnt lgkmcnt(0)
	v_and_b32_e32 v81, 1, v83
	v_cmp_eq_u32_e64 s[46:47], 1, v81
	s_or_b64 s[46:47], vcc, s[46:47]
	s_andn2_b64 s[50:51], s[50:51], exec
	s_and_b64 s[46:47], s[46:47], exec
	s_or_b64 s[50:51], s[50:51], s[46:47]
	s_branch .LBB1201_160
.LBB1201_180:                           ;   in Loop: Header=BB1201_161 Depth=1
                                        ; implicit-def: $vgpr81
                                        ; implicit-def: $vgpr24_vgpr25
                                        ; implicit-def: $vgpr52
	s_cbranch_execz .LBB1201_161
; %bb.181:
	s_and_saveexec_b64 s[46:47], s[44:45]
	s_cbranch_execz .LBB1201_183
; %bb.182:
	v_mov_b32_e32 v8, 0
	s_mov_b32 s7, 0
	v_cmp_eq_u16_sdwa vcc, v49, v8 src0_sel:BYTE_0 src1_sel:DWORD
	s_add_i32 s6, s6, 64
	v_cndmask_b32_e32 v12, 0, v16, vcc
	s_lshl_b64 s[44:45], s[6:7], 4
	v_cndmask_b32_e32 v9, 0, v17, vcc
	v_add_co_u32_e32 v4, vcc, v12, v4
	s_add_u32 s44, s70, s44
	v_addc_co_u32_e32 v5, vcc, v9, v5, vcc
	v_or_b32_e32 v9, v49, v73
	s_addc_u32 s45, s71, s45
	v_and_b32_e32 v9, 1, v9
	global_store_dwordx2 v8, v[4:5], s[44:45]
	global_store_byte v8, v9, s[44:45] offset:8
	v_mov_b32_e32 v4, s6
	v_mov_b32_e32 v5, 2
	s_waitcnt vmcnt(0) lgkmcnt(0)
	buffer_wbinvl1_vol
	global_store_byte v4, v5, s[72:73]
.LBB1201_183:
	s_or_b64 exec, exec, s[46:47]
	v_cmp_eq_u32_e32 vcc, 0, v0
	s_and_b64 exec, exec, vcc
	s_cbranch_execz .LBB1201_185
; %bb.184:
	v_mov_b32_e32 v4, 0
	ds_write_b64 v4, v[16:17]
	ds_write_b8 v4, v73 offset:8
.LBB1201_185:
	s_or_b64 exec, exec, s[48:49]
	v_mov_b32_e32 v8, 0
	v_cmp_eq_u16_sdwa vcc, v1, v8 src0_sel:BYTE_0 src1_sel:DWORD
	v_and_b32_e32 v13, 1, v1
	v_cndmask_b32_e32 v9, 0, v45, vcc
	v_cndmask_b32_e32 v12, 0, v48, vcc
	v_cmp_eq_u32_e32 vcc, 1, v13
	v_and_b32_e32 v13, 1, v44
	v_cmp_eq_u32_e64 s[6:7], 1, v13
	s_waitcnt lgkmcnt(0)
	; wave barrier
	s_waitcnt lgkmcnt(0)
	ds_read_b64 v[4:5], v8
	s_or_b64 s[6:7], vcc, s[6:7]
	v_cmp_eq_u32_e32 vcc, 0, v0
	v_cndmask_b32_e64 v13, 0, 1, s[6:7]
	v_cndmask_b32_e64 v9, v9, 0, vcc
	v_cndmask_b32_e32 v13, v13, v1, vcc
	v_cndmask_b32_e64 v12, v12, 0, vcc
	v_add_co_u32_e32 v9, vcc, v9, v2
	v_addc_co_u32_e32 v12, vcc, v12, v3, vcc
	v_cmp_eq_u16_sdwa vcc, v13, v8 src0_sel:BYTE_0 src1_sel:DWORD
	s_waitcnt lgkmcnt(0)
	v_cndmask_b32_e32 v4, 0, v4, vcc
	v_cndmask_b32_e32 v5, 0, v5, vcc
	v_add_co_u32_e32 v114, vcc, v9, v4
	v_addc_co_u32_e32 v115, vcc, v12, v5, vcc
	v_cndmask_b32_e64 v5, 0, v114, s[2:3]
	v_cndmask_b32_e64 v4, 0, v115, s[2:3]
	v_add_co_u32_e32 v44, vcc, v5, v18
	v_addc_co_u32_e32 v45, vcc, v4, v19, vcc
	v_cndmask_b32_e64 v5, 0, v44, s[4:5]
	v_cndmask_b32_e64 v4, 0, v45, s[4:5]
	;; [unrolled: 4-line block ×20, first 2 shown]
	v_add_co_u32_e32 v120, vcc, v5, v20
	v_addc_co_u32_e32 v121, vcc, v4, v21, vcc
	s_branch .LBB1201_208
.LBB1201_186:
                                        ; implicit-def: $vgpr112_vgpr113_vgpr114_vgpr115
                                        ; implicit-def: $vgpr120_vgpr121
                                        ; implicit-def: $vgpr118_vgpr119
                                        ; implicit-def: $vgpr76_vgpr77
                                        ; implicit-def: $vgpr72_vgpr73
                                        ; implicit-def: $vgpr68_vgpr69
                                        ; implicit-def: $vgpr64_vgpr65
                                        ; implicit-def: $vgpr60_vgpr61
                                        ; implicit-def: $vgpr56_vgpr57
                                        ; implicit-def: $vgpr52_vgpr53
                                        ; implicit-def: $vgpr48_vgpr49
                                        ; implicit-def: $vgpr44_vgpr45
                                        ; implicit-def: $vgpr108_vgpr109_vgpr110_vgpr111
                                        ; implicit-def: $vgpr104_vgpr105_vgpr106_vgpr107
                                        ; implicit-def: $vgpr100_vgpr101_vgpr102_vgpr103
                                        ; implicit-def: $vgpr96_vgpr97_vgpr98_vgpr99
                                        ; implicit-def: $vgpr92_vgpr93_vgpr94_vgpr95
                                        ; implicit-def: $vgpr88_vgpr89_vgpr90_vgpr91
                                        ; implicit-def: $vgpr84_vgpr85_vgpr86_vgpr87
                                        ; implicit-def: $vgpr80_vgpr81_vgpr82_vgpr83
                                        ; implicit-def: $vgpr114_vgpr115_vgpr116_vgpr117
	s_cbranch_execz .LBB1201_208
; %bb.187:
	v_readlane_b32 s2, v131, 0
	v_readlane_b32 s3, v131, 1
	s_cmp_lg_u64 s[2:3], 0
	s_cselect_b32 s5, s91, 0
	s_cselect_b32 s4, s90, 0
	s_cmp_lg_u64 s[4:5], 0
	s_cselect_b64 s[6:7], -1, 0
	v_cmp_eq_u32_e32 vcc, 0, v0
	v_cmp_ne_u32_e64 s[2:3], 0, v0
	s_and_b64 s[8:9], vcc, s[6:7]
	s_and_saveexec_b64 s[6:7], s[8:9]
	s_cbranch_execz .LBB1201_189
; %bb.188:
	v_mov_b32_e32 v8, 0
	global_load_dwordx2 v[4:5], v8, s[4:5]
	global_load_ubyte v9, v8, s[4:5] offset:8
	v_cmp_eq_u16_sdwa s[4:5], v1, v8 src0_sel:BYTE_0 src1_sel:DWORD
	s_waitcnt vmcnt(1)
	v_cndmask_b32_e64 v4, 0, v4, s[4:5]
	v_cndmask_b32_e64 v5, 0, v5, s[4:5]
	s_waitcnt vmcnt(0)
	v_or_b32_e32 v1, v1, v9
	v_add_co_u32_e64 v2, s[4:5], v4, v2
	v_addc_co_u32_e64 v3, s[4:5], v5, v3, s[4:5]
	v_and_b32_e32 v1, 1, v1
.LBB1201_189:
	s_or_b64 exec, exec, s[6:7]
	v_mov_b32_e32 v5, 0
	v_cmp_eq_u16_sdwa s[4:5], v128, v5 src0_sel:BYTE_0 src1_sel:DWORD
	v_cndmask_b32_e64 v9, 0, v2, s[4:5]
	v_cndmask_b32_e64 v8, 0, v3, s[4:5]
	v_add_co_u32_e64 v44, s[6:7], v9, v18
	v_addc_co_u32_e64 v45, s[6:7], v8, v19, s[6:7]
	v_cmp_eq_u16_sdwa s[6:7], v130, v5 src0_sel:BYTE_0 src1_sel:DWORD
	v_cndmask_b32_e64 v9, 0, v44, s[6:7]
	s_movk_i32 s42, 0xff
	v_cndmask_b32_e64 v8, 0, v45, s[6:7]
	v_add_co_u32_e64 v80, s[8:9], v9, v6
	v_addc_co_u32_e64 v81, s[8:9], v8, v7, s[8:9]
	v_and_b32_sdwa v8, v128, s42 dst_sel:DWORD dst_unused:UNUSED_PAD src0_sel:WORD_1 src1_sel:DWORD
	v_cmp_eq_u16_e64 s[8:9], 0, v8
	v_cndmask_b32_e64 v9, 0, v80, s[8:9]
	v_cndmask_b32_e64 v8, 0, v81, s[8:9]
	v_add_co_u32_e64 v48, s[10:11], v9, v26
	v_addc_co_u32_e64 v49, s[10:11], v8, v27, s[10:11]
	v_cmp_eq_u16_sdwa s[10:11], v128, v5 src0_sel:BYTE_3 src1_sel:DWORD
	v_cndmask_b32_e64 v9, 0, v48, s[10:11]
	v_cndmask_b32_e64 v8, 0, v49, s[10:11]
	v_add_co_u32_e64 v84, s[12:13], v9, v14
	v_addc_co_u32_e64 v85, s[12:13], v8, v15, s[12:13]
	v_cmp_eq_u16_sdwa s[12:13], v123, v5 src0_sel:BYTE_0 src1_sel:DWORD
	v_cndmask_b32_e64 v9, 0, v84, s[12:13]
	v_cndmask_b32_e64 v8, 0, v85, s[12:13]
	v_add_co_u32_e64 v52, s[14:15], v9, v34
	v_addc_co_u32_e64 v53, s[14:15], v8, v35, s[14:15]
	v_cmp_eq_u16_sdwa s[14:15], v127, v5 src0_sel:BYTE_0 src1_sel:DWORD
	v_cndmask_b32_e64 v9, 0, v52, s[14:15]
	v_cndmask_b32_e64 v8, 0, v53, s[14:15]
	v_add_co_u32_e64 v88, s[16:17], v9, v22
	v_addc_co_u32_e64 v89, s[16:17], v8, v23, s[16:17]
	v_cmp_eq_u16_sdwa s[16:17], v41, v5 src0_sel:BYTE_0 src1_sel:DWORD
	v_cndmask_b32_e64 v9, 0, v88, s[16:17]
	v_cndmask_b32_e64 v8, 0, v89, s[16:17]
	v_add_co_u32_e64 v56, s[18:19], v9, v42
	v_addc_co_u32_e64 v57, s[18:19], v8, v43, s[18:19]
	v_and_b32_sdwa v8, v127, s42 dst_sel:DWORD dst_unused:UNUSED_PAD src0_sel:WORD_1 src1_sel:DWORD
	v_cmp_eq_u16_e64 s[18:19], 0, v8
	v_cndmask_b32_e64 v9, 0, v56, s[18:19]
	v_cndmask_b32_e64 v8, 0, v57, s[18:19]
	v_add_co_u32_e64 v92, s[20:21], v9, v30
	v_addc_co_u32_e64 v93, s[20:21], v8, v31, s[20:21]
	v_cmp_eq_u16_sdwa s[20:21], v127, v5 src0_sel:BYTE_3 src1_sel:DWORD
	v_cndmask_b32_e64 v9, 0, v92, s[20:21]
	v_cndmask_b32_e64 v8, 0, v93, s[20:21]
	v_add_co_u32_e64 v60, s[22:23], v9, v50
	v_addc_co_u32_e64 v61, s[22:23], v8, v51, s[22:23]
	v_cmp_eq_u16_sdwa s[22:23], v124, v5 src0_sel:BYTE_0 src1_sel:DWORD
	v_cndmask_b32_e64 v9, 0, v60, s[22:23]
	v_cndmask_b32_e64 v8, 0, v61, s[22:23]
	v_add_co_u32_e64 v96, s[24:25], v9, v38
	v_addc_co_u32_e64 v97, s[24:25], v8, v39, s[24:25]
	v_cmp_eq_u16_sdwa s[24:25], v126, v5 src0_sel:BYTE_0 src1_sel:DWORD
	v_cndmask_b32_e64 v9, 0, v96, s[24:25]
	v_cndmask_b32_e64 v8, 0, v97, s[24:25]
	v_add_co_u32_e64 v64, s[26:27], v9, v58
	v_addc_co_u32_e64 v65, s[26:27], v8, v59, s[26:27]
	v_cmp_eq_u16_sdwa s[26:27], v37, v5 src0_sel:BYTE_0 src1_sel:DWORD
	v_cndmask_b32_e64 v9, 0, v64, s[26:27]
	v_cndmask_b32_e64 v8, 0, v65, s[26:27]
	v_add_co_u32_e64 v100, s[28:29], v9, v46
	v_addc_co_u32_e64 v101, s[28:29], v8, v47, s[28:29]
	v_and_b32_sdwa v8, v126, s42 dst_sel:DWORD dst_unused:UNUSED_PAD src0_sel:WORD_1 src1_sel:DWORD
	v_cmp_eq_u16_e64 s[28:29], 0, v8
	v_cndmask_b32_e64 v9, 0, v100, s[28:29]
	v_cndmask_b32_e64 v8, 0, v101, s[28:29]
	v_add_co_u32_e64 v68, s[30:31], v9, v66
	v_addc_co_u32_e64 v69, s[30:31], v8, v67, s[30:31]
	v_cmp_eq_u16_sdwa s[30:31], v126, v5 src0_sel:BYTE_3 src1_sel:DWORD
	v_cndmask_b32_e64 v9, 0, v68, s[30:31]
	v_cndmask_b32_e64 v8, 0, v69, s[30:31]
	v_add_co_u32_e64 v104, s[34:35], v9, v54
	v_addc_co_u32_e64 v105, s[34:35], v8, v55, s[34:35]
	v_cmp_eq_u16_sdwa s[34:35], v122, v5 src0_sel:BYTE_0 src1_sel:DWORD
	v_cndmask_b32_e64 v9, 0, v104, s[34:35]
	v_cndmask_b32_e64 v8, 0, v105, s[34:35]
	v_add_co_u32_e64 v72, s[36:37], v9, v74
	v_addc_co_u32_e64 v73, s[36:37], v8, v75, s[36:37]
	v_cmp_eq_u16_sdwa s[36:37], v125, v5 src0_sel:BYTE_0 src1_sel:DWORD
	v_cndmask_b32_e64 v9, 0, v72, s[36:37]
	v_cndmask_b32_e64 v8, 0, v73, s[36:37]
	v_add_co_u32_e64 v108, s[38:39], v9, v62
	v_addc_co_u32_e64 v109, s[38:39], v8, v63, s[38:39]
	v_cmp_eq_u16_sdwa s[38:39], v36, v5 src0_sel:BYTE_0 src1_sel:DWORD
	v_cndmask_b32_e64 v9, 0, v108, s[38:39]
	v_cndmask_b32_e64 v8, 0, v109, s[38:39]
	v_add_co_u32_e64 v76, s[40:41], v9, v78
	v_addc_co_u32_e64 v77, s[40:41], v8, v79, s[40:41]
	v_and_b32_sdwa v8, v125, s42 dst_sel:DWORD dst_unused:UNUSED_PAD src0_sel:WORD_1 src1_sel:DWORD
	v_cmp_eq_u16_e64 s[40:41], 0, v8
	v_cndmask_b32_e64 v9, 0, v76, s[40:41]
	v_cndmask_b32_e64 v8, 0, v77, s[40:41]
	v_add_co_u32_e64 v112, s[42:43], v9, v70
	v_addc_co_u32_e64 v113, s[42:43], v8, v71, s[42:43]
	v_cmp_eq_u16_sdwa s[42:43], v125, v5 src0_sel:BYTE_3 src1_sel:DWORD
	v_cndmask_b32_e64 v9, 0, v112, s[42:43]
	v_cndmask_b32_e64 v8, 0, v113, s[42:43]
	v_add_co_u32_e64 v118, s[44:45], v9, v10
	v_addc_co_u32_e64 v119, s[44:45], v8, v11, s[44:45]
	v_cmp_eq_u16_sdwa s[44:45], v28, v5 src0_sel:BYTE_0 src1_sel:DWORD
	v_cndmask_b32_e64 v8, 0, v118, s[44:45]
	v_cndmask_b32_e64 v5, 0, v119, s[44:45]
	v_add_co_u32_e64 v120, s[52:53], v8, v20
	v_addc_co_u32_e64 v121, s[52:53], v5, v21, s[52:53]
	v_or_b32_e32 v5, v125, v126
	v_or3_b32 v5, v5, v127, v128
	v_lshrrev_b16_e32 v9, 7, v5
	v_and_b32_e32 v8, 1, v5
	v_and_b32_e32 v9, 2, v9
	v_or_b32_e32 v8, v8, v9
	v_lshrrev_b32_e32 v9, 23, v5
	v_mov_b32_e32 v12, 1
	v_and_b32_e32 v9, 2, v9
	v_and_b32_sdwa v5, v5, v12 dst_sel:DWORD dst_unused:UNUSED_PAD src0_sel:WORD_1 src1_sel:DWORD
	v_or_b32_e32 v5, v5, v9
	v_lshlrev_b16_e32 v5, 2, v5
	v_or_b32_e32 v5, v8, v5
	v_cmp_eq_u32_e64 s[52:53], 1, v32
	v_cmp_ne_u16_e64 s[54:55], 0, v5
	v_cmp_eq_u32_e64 s[50:51], 1, v33
	s_or_b64 s[52:53], s[54:55], s[52:53]
	v_cmp_eq_u32_e64 s[48:49], 1, v40
	s_or_b64 s[50:51], s[52:53], s[50:51]
	;; [unrolled: 2-line block ×3, first 2 shown]
	v_and_b32_e32 v4, 0xff, v1
	s_or_b64 s[46:47], s[48:49], s[46:47]
	v_mbcnt_hi_u32_b32 v12, -1, v29
	v_cndmask_b32_e64 v13, v4, 1, s[46:47]
	v_and_b32_e32 v16, 15, v12
	v_mov_b32_dpp v24, v120 row_shr:1 row_mask:0xf bank_mask:0xf
	v_mov_b32_dpp v25, v121 row_shr:1 row_mask:0xf bank_mask:0xf
	;; [unrolled: 1-line block ×3, first 2 shown]
	v_cmp_ne_u32_e64 s[46:47], 0, v16
	v_pk_mov_b32 v[4:5], v[120:121], v[120:121] op_sel:[0,1]
	v_mov_b32_e32 v9, v121
	v_mov_b32_e32 v8, v120
	s_and_saveexec_b64 s[48:49], s[46:47]
; %bb.190:
	v_cmp_eq_u32_e64 s[46:47], 0, v13
	v_cndmask_b32_e64 v4, 0, v24, s[46:47]
	v_cndmask_b32_e64 v5, 0, v25, s[46:47]
	v_add_co_u32_e64 v4, s[46:47], v120, v4
	v_addc_co_u32_e64 v5, s[46:47], v121, v5, s[46:47]
	v_and_or_b32 v13, v17, 1, v13
	v_mov_b32_e32 v9, v5
	v_mov_b32_e32 v8, v4
; %bb.191:
	s_or_b64 exec, exec, s[48:49]
	s_nop 0
	v_mov_b32_dpp v24, v8 row_shr:2 row_mask:0xf bank_mask:0xf
	v_mov_b32_dpp v25, v9 row_shr:2 row_mask:0xf bank_mask:0xf
	v_mov_b32_dpp v17, v13 row_shr:2 row_mask:0xf bank_mask:0xf
	v_cmp_lt_u32_e64 s[46:47], 1, v16
	s_and_saveexec_b64 s[48:49], s[46:47]
; %bb.192:
	v_cmp_eq_u32_e64 s[46:47], 0, v13
	v_cndmask_b32_e64 v8, 0, v24, s[46:47]
	v_cndmask_b32_e64 v9, 0, v25, s[46:47]
	v_add_co_u32_e64 v8, s[46:47], v8, v4
	v_addc_co_u32_e64 v9, s[46:47], v9, v5, s[46:47]
	v_or_b32_e32 v4, v17, v13
	v_and_b32_e32 v13, 1, v4
	v_pk_mov_b32 v[4:5], v[8:9], v[8:9] op_sel:[0,1]
; %bb.193:
	s_or_b64 exec, exec, s[48:49]
	v_mov_b32_dpp v24, v8 row_shr:4 row_mask:0xf bank_mask:0xf
	v_mov_b32_dpp v25, v9 row_shr:4 row_mask:0xf bank_mask:0xf
	v_mov_b32_dpp v17, v13 row_shr:4 row_mask:0xf bank_mask:0xf
	v_cmp_lt_u32_e64 s[46:47], 3, v16
	s_and_saveexec_b64 s[48:49], s[46:47]
; %bb.194:
	v_cmp_eq_u32_e64 s[46:47], 0, v13
	v_cndmask_b32_e64 v8, 0, v24, s[46:47]
	v_cndmask_b32_e64 v9, 0, v25, s[46:47]
	v_add_co_u32_e64 v8, s[46:47], v8, v4
	v_addc_co_u32_e64 v9, s[46:47], v9, v5, s[46:47]
	v_or_b32_e32 v4, v17, v13
	v_and_b32_e32 v13, 1, v4
	v_pk_mov_b32 v[4:5], v[8:9], v[8:9] op_sel:[0,1]
; %bb.195:
	s_or_b64 exec, exec, s[48:49]
	;; [unrolled: 16-line block ×3, first 2 shown]
	v_and_b32_e32 v25, 16, v12
	v_mov_b32_dpp v17, v8 row_bcast:15 row_mask:0xf bank_mask:0xf
	v_mov_b32_dpp v24, v9 row_bcast:15 row_mask:0xf bank_mask:0xf
	;; [unrolled: 1-line block ×3, first 2 shown]
	v_cmp_ne_u32_e64 s[46:47], 0, v25
	s_and_saveexec_b64 s[48:49], s[46:47]
; %bb.198:
	v_cmp_eq_u32_e64 s[46:47], 0, v13
	v_cndmask_b32_e64 v9, 0, v17, s[46:47]
	v_cndmask_b32_e64 v8, 0, v24, s[46:47]
	v_add_co_u32_e64 v4, s[46:47], v9, v4
	v_addc_co_u32_e64 v5, s[46:47], v8, v5, s[46:47]
	v_or_b32_e32 v8, v16, v13
	v_and_b32_e32 v13, 1, v8
	v_mov_b32_e32 v9, v5
	v_mov_b32_e32 v8, v4
; %bb.199:
	s_or_b64 exec, exec, s[48:49]
	s_nop 0
	v_mov_b32_dpp v16, v8 row_bcast:31 row_mask:0xf bank_mask:0xf
	v_mov_b32_dpp v9, v9 row_bcast:31 row_mask:0xf bank_mask:0xf
	v_mov_b32_dpp v8, v13 row_bcast:31 row_mask:0xf bank_mask:0xf
	v_cmp_lt_u32_e64 s[46:47], 31, v12
	s_and_saveexec_b64 s[48:49], s[46:47]
; %bb.200:
	v_cmp_eq_u32_e64 s[46:47], 0, v13
	v_cndmask_b32_e64 v16, 0, v16, s[46:47]
	v_cndmask_b32_e64 v9, 0, v9, s[46:47]
	v_add_co_u32_e64 v4, s[46:47], v16, v4
	v_or_b32_e32 v8, v8, v13
	v_addc_co_u32_e64 v5, s[46:47], v9, v5, s[46:47]
	v_and_b32_e32 v13, 1, v8
; %bb.201:
	s_or_b64 exec, exec, s[48:49]
	v_cmp_eq_u32_e64 s[46:47], 63, v0
	s_and_saveexec_b64 s[48:49], s[46:47]
	s_cbranch_execz .LBB1201_203
; %bb.202:
	v_mov_b32_e32 v8, 0
	ds_write_b64 v8, v[4:5]
	ds_write_b8 v8, v13 offset:8
.LBB1201_203:
	s_or_b64 exec, exec, s[48:49]
	v_add_u32_e32 v8, -1, v12
	v_and_b32_e32 v9, 64, v12
	v_cmp_lt_i32_e64 s[46:47], v8, v9
	v_cndmask_b32_e64 v8, v8, v12, s[46:47]
	v_lshlrev_b32_e32 v8, 2, v8
	ds_bpermute_b32 v4, v8, v4
	ds_bpermute_b32 v5, v8, v5
	s_waitcnt lgkmcnt(0)
	; wave barrier
	s_waitcnt lgkmcnt(0)
	s_and_saveexec_b64 s[46:47], s[2:3]
	s_cbranch_execz .LBB1201_205
; %bb.204:
	v_mov_b32_e32 v8, 0
	v_cmp_eq_u16_sdwa s[2:3], v1, v8 src0_sel:BYTE_0 src1_sel:DWORD
	v_cndmask_b32_e64 v4, 0, v4, s[2:3]
	v_cndmask_b32_e64 v1, 0, v5, s[2:3]
	v_add_co_u32_e64 v2, s[2:3], v4, v2
	v_addc_co_u32_e64 v3, s[2:3], v1, v3, s[2:3]
	v_cndmask_b32_e64 v4, 0, v2, s[4:5]
	v_cndmask_b32_e64 v1, 0, v3, s[4:5]
	v_add_co_u32_e64 v44, s[2:3], v4, v18
	v_addc_co_u32_e64 v45, s[2:3], v1, v19, s[2:3]
	;; [unrolled: 4-line block ×21, first 2 shown]
	;;#ASMSTART
	;;#ASMEND
.LBB1201_205:
	s_or_b64 exec, exec, s[46:47]
	s_and_saveexec_b64 s[2:3], vcc
	s_cbranch_execz .LBB1201_207
; %bb.206:
	v_mov_b32_e32 v1, 0
	ds_read_b64 v[4:5], v1
	ds_read_u8 v6, v1 offset:8
	v_mov_b32_e32 v7, 2
	s_waitcnt lgkmcnt(1)
	global_store_dwordx2 v1, v[4:5], s[70:71] offset:1024
	s_waitcnt lgkmcnt(0)
	global_store_byte v1, v6, s[70:71] offset:1032
	s_waitcnt vmcnt(0)
	buffer_wbinvl1_vol
	global_store_byte v1, v7, s[72:73] offset:64
.LBB1201_207:
	s_or_b64 exec, exec, s[2:3]
	v_pk_mov_b32 v[114:115], v[2:3], v[2:3] op_sel:[0,1]
.LBB1201_208:
	s_add_u32 s0, s58, s0
	s_addc_u32 s1, s59, s1
	s_add_u32 s4, s0, s86
	s_addc_u32 s5, s1, s87
	s_and_b64 vcc, exec, s[88:89]
	v_lshlrev_b32_e32 v46, 3, v0
	s_cbranch_vccz .LBB1201_250
; %bb.209:
	s_movk_i32 s0, 0xa8
	v_mul_i32_i24_e32 v50, 0xffffff60, v0
	v_mul_u32_u24_e32 v47, 0xa8, v0
	v_mad_u32_u24 v2, v0, s0, v50
	s_waitcnt lgkmcnt(0)
	; wave barrier
	ds_write2_b64 v47, v[114:115], v[44:45] offset1:1
	ds_write2_b64 v47, v[80:81], v[48:49] offset0:2 offset1:3
	ds_write2_b64 v47, v[84:85], v[52:53] offset0:4 offset1:5
	;; [unrolled: 1-line block ×9, first 2 shown]
	ds_write_b64 v47, v[120:121] offset:160
	s_waitcnt lgkmcnt(0)
	; wave barrier
	s_waitcnt lgkmcnt(0)
	ds_read2st64_b64 v[38:41], v2 offset0:1 offset1:2
	ds_read2st64_b64 v[34:37], v2 offset0:3 offset1:4
	;; [unrolled: 1-line block ×10, first 2 shown]
	v_mov_b32_e32 v43, s5
	v_add_co_u32_e32 v42, vcc, s4, v46
	s_add_i32 s33, s33, s74
	v_addc_co_u32_e32 v43, vcc, 0, v43, vcc
	v_mov_b32_e32 v1, 0
	v_cmp_gt_u32_e32 vcc, s33, v0
	s_and_saveexec_b64 s[0:1], vcc
	s_cbranch_execz .LBB1201_211
; %bb.210:
	v_add_u32_e32 v47, v47, v50
	ds_read_b64 v[50:51], v47
	s_waitcnt lgkmcnt(0)
	flat_store_dwordx2 v[42:43], v[50:51]
.LBB1201_211:
	s_or_b64 exec, exec, s[0:1]
	v_or_b32_e32 v47, 64, v0
	v_cmp_gt_u32_e32 vcc, s33, v47
	s_and_saveexec_b64 s[0:1], vcc
	s_cbranch_execz .LBB1201_213
; %bb.212:
	s_waitcnt lgkmcnt(0)
	flat_store_dwordx2 v[42:43], v[38:39] offset:512
.LBB1201_213:
	s_or_b64 exec, exec, s[0:1]
	s_waitcnt lgkmcnt(0)
	v_or_b32_e32 v38, 0x80, v0
	v_cmp_gt_u32_e32 vcc, s33, v38
	s_and_saveexec_b64 s[0:1], vcc
	s_cbranch_execz .LBB1201_215
; %bb.214:
	flat_store_dwordx2 v[42:43], v[40:41] offset:1024
.LBB1201_215:
	s_or_b64 exec, exec, s[0:1]
	v_or_b32_e32 v38, 0xc0, v0
	v_cmp_gt_u32_e32 vcc, s33, v38
	s_and_saveexec_b64 s[0:1], vcc
	s_cbranch_execz .LBB1201_217
; %bb.216:
	flat_store_dwordx2 v[42:43], v[34:35] offset:1536
.LBB1201_217:
	s_or_b64 exec, exec, s[0:1]
	;; [unrolled: 8-line block ×6, first 2 shown]
	v_or_b32_e32 v26, 0x200, v0
	v_cmp_gt_u32_e32 vcc, s33, v26
	s_and_saveexec_b64 s[0:1], vcc
	s_cbranch_execz .LBB1201_227
; %bb.226:
	v_add_co_u32_e32 v26, vcc, 0x1000, v42
	v_addc_co_u32_e32 v27, vcc, 0, v43, vcc
	flat_store_dwordx2 v[26:27], v[28:29]
.LBB1201_227:
	s_or_b64 exec, exec, s[0:1]
	v_or_b32_e32 v26, 0x240, v0
	v_cmp_gt_u32_e32 vcc, s33, v26
	s_and_saveexec_b64 s[0:1], vcc
	s_cbranch_execz .LBB1201_229
; %bb.228:
	v_add_co_u32_e32 v26, vcc, 0x1000, v42
	v_addc_co_u32_e32 v27, vcc, 0, v43, vcc
	flat_store_dwordx2 v[26:27], v[22:23] offset:512
.LBB1201_229:
	s_or_b64 exec, exec, s[0:1]
	v_or_b32_e32 v22, 0x280, v0
	v_cmp_gt_u32_e32 vcc, s33, v22
	s_and_saveexec_b64 s[0:1], vcc
	s_cbranch_execz .LBB1201_231
; %bb.230:
	v_add_co_u32_e32 v22, vcc, 0x1000, v42
	v_addc_co_u32_e32 v23, vcc, 0, v43, vcc
	flat_store_dwordx2 v[22:23], v[24:25] offset:1024
.LBB1201_231:
	;; [unrolled: 10-line block ×7, first 2 shown]
	s_or_b64 exec, exec, s[0:1]
	v_or_b32_e32 v10, 0x400, v0
	v_cmp_gt_u32_e32 vcc, s33, v10
	s_and_saveexec_b64 s[0:1], vcc
	s_cbranch_execz .LBB1201_243
; %bb.242:
	v_add_co_u32_e32 v10, vcc, 0x2000, v42
	v_addc_co_u32_e32 v11, vcc, 0, v43, vcc
	flat_store_dwordx2 v[10:11], v[12:13]
.LBB1201_243:
	s_or_b64 exec, exec, s[0:1]
	v_or_b32_e32 v10, 0x440, v0
	v_cmp_gt_u32_e32 vcc, s33, v10
	s_and_saveexec_b64 s[0:1], vcc
	s_cbranch_execz .LBB1201_245
; %bb.244:
	v_add_co_u32_e32 v10, vcc, 0x2000, v42
	v_addc_co_u32_e32 v11, vcc, 0, v43, vcc
	flat_store_dwordx2 v[10:11], v[6:7] offset:512
.LBB1201_245:
	s_or_b64 exec, exec, s[0:1]
	v_or_b32_e32 v6, 0x480, v0
	v_cmp_gt_u32_e32 vcc, s33, v6
	s_and_saveexec_b64 s[0:1], vcc
	s_cbranch_execz .LBB1201_247
; %bb.246:
	v_add_co_u32_e32 v6, vcc, 0x2000, v42
	v_addc_co_u32_e32 v7, vcc, 0, v43, vcc
	flat_store_dwordx2 v[6:7], v[8:9] offset:1024
.LBB1201_247:
	s_or_b64 exec, exec, s[0:1]
	v_or_b32_e32 v6, 0x4c0, v0
	v_cmp_gt_u32_e32 vcc, s33, v6
	s_and_saveexec_b64 s[0:1], vcc
	s_cbranch_execz .LBB1201_249
; %bb.248:
	v_add_co_u32_e32 v6, vcc, 0x2000, v42
	v_addc_co_u32_e32 v7, vcc, 0, v43, vcc
	flat_store_dwordx2 v[6:7], v[2:3] offset:1536
.LBB1201_249:
	s_or_b64 exec, exec, s[0:1]
	v_or_b32_e32 v2, 0x500, v0
	v_cmp_gt_u32_e64 s[0:1], s33, v2
	s_branch .LBB1201_252
.LBB1201_250:
	s_mov_b64 s[0:1], 0
                                        ; implicit-def: $vgpr4_vgpr5
	s_cbranch_execz .LBB1201_252
; %bb.251:
	s_movk_i32 s2, 0xa8
	v_mul_i32_i24_e32 v2, 0xffffff60, v0
	v_mul_u32_u24_e32 v1, 0xa8, v0
	v_mad_u32_u24 v2, v0, s2, v2
	s_waitcnt lgkmcnt(0)
	; wave barrier
	s_waitcnt lgkmcnt(0)
	ds_write2_b64 v1, v[114:115], v[44:45] offset1:1
	ds_write2_b64 v1, v[80:81], v[48:49] offset0:2 offset1:3
	ds_write2_b64 v1, v[84:85], v[52:53] offset0:4 offset1:5
	;; [unrolled: 1-line block ×9, first 2 shown]
	ds_write_b64 v1, v[120:121] offset:160
	s_waitcnt lgkmcnt(0)
	; wave barrier
	s_waitcnt lgkmcnt(0)
	ds_read2st64_b64 v[6:9], v2 offset1:1
	ds_read2st64_b64 v[10:13], v2 offset0:2 offset1:3
	ds_read2st64_b64 v[14:17], v2 offset0:4 offset1:5
	;; [unrolled: 1-line block ×9, first 2 shown]
	ds_read_b64 v[4:5], v2 offset:10240
	v_mov_b32_e32 v3, s5
	v_add_co_u32_e32 v2, vcc, s4, v46
	v_addc_co_u32_e32 v3, vcc, 0, v3, vcc
	s_movk_i32 s2, 0x1000
	s_waitcnt lgkmcnt(0)
	flat_store_dwordx2 v[2:3], v[6:7]
	flat_store_dwordx2 v[2:3], v[8:9] offset:512
	flat_store_dwordx2 v[2:3], v[10:11] offset:1024
	;; [unrolled: 1-line block ×7, first 2 shown]
	v_add_co_u32_e32 v6, vcc, s2, v2
	v_addc_co_u32_e32 v7, vcc, 0, v3, vcc
	v_add_co_u32_e32 v2, vcc, 0x2000, v2
	v_mov_b32_e32 v1, 0
	v_addc_co_u32_e32 v3, vcc, 0, v3, vcc
	s_or_b64 s[0:1], s[0:1], exec
	flat_store_dwordx2 v[6:7], v[22:23]
	flat_store_dwordx2 v[6:7], v[24:25] offset:512
	flat_store_dwordx2 v[6:7], v[26:27] offset:1024
	;; [unrolled: 1-line block ×7, first 2 shown]
	flat_store_dwordx2 v[2:3], v[38:39]
	flat_store_dwordx2 v[2:3], v[40:41] offset:512
	flat_store_dwordx2 v[2:3], v[42:43] offset:1024
	;; [unrolled: 1-line block ×3, first 2 shown]
.LBB1201_252:
	s_and_saveexec_b64 s[2:3], s[0:1]
	s_cbranch_execnz .LBB1201_254
; %bb.253:
	s_endpgm
.LBB1201_254:
	v_lshlrev_b64 v[0:1], 3, v[0:1]
	v_mov_b32_e32 v2, s5
	v_add_co_u32_e32 v0, vcc, s4, v0
	v_addc_co_u32_e32 v1, vcc, v2, v1, vcc
	v_add_co_u32_e32 v0, vcc, 0x2000, v0
	v_addc_co_u32_e32 v1, vcc, 0, v1, vcc
	flat_store_dwordx2 v[0:1], v[4:5] offset:2048
	s_endpgm
.LBB1201_255:
	v_lshlrev_b32_e32 v2, 3, v0
	v_mov_b32_e32 v3, s62
	v_add_co_u32_e32 v2, vcc, s7, v2
	v_addc_co_u32_e32 v3, vcc, 0, v3, vcc
	flat_load_dwordx2 v[2:3], v[2:3]
	s_or_b64 exec, exec, s[54:55]
                                        ; implicit-def: $vgpr6_vgpr7
	s_and_saveexec_b64 s[2:3], s[4:5]
	s_cbranch_execz .LBB1201_51
.LBB1201_256:
	v_lshlrev_b32_e32 v6, 3, v0
	v_mov_b32_e32 v7, s62
	v_add_co_u32_e32 v6, vcc, s7, v6
	v_addc_co_u32_e32 v7, vcc, 0, v7, vcc
	flat_load_dwordx2 v[6:7], v[6:7] offset:512
	s_or_b64 exec, exec, s[2:3]
                                        ; implicit-def: $vgpr10_vgpr11
	s_and_saveexec_b64 s[2:3], s[46:47]
	s_cbranch_execz .LBB1201_52
.LBB1201_257:
	v_lshlrev_b32_e32 v10, 3, v0
	v_mov_b32_e32 v11, s62
	v_add_co_u32_e32 v10, vcc, s7, v10
	v_addc_co_u32_e32 v11, vcc, 0, v11, vcc
	flat_load_dwordx2 v[10:11], v[10:11] offset:1024
	s_or_b64 exec, exec, s[2:3]
                                        ; implicit-def: $vgpr14_vgpr15
	s_and_saveexec_b64 s[2:3], s[8:9]
	s_cbranch_execz .LBB1201_53
.LBB1201_258:
	v_lshlrev_b32_e32 v14, 3, v0
	v_mov_b32_e32 v15, s62
	v_add_co_u32_e32 v14, vcc, s7, v14
	v_addc_co_u32_e32 v15, vcc, 0, v15, vcc
	flat_load_dwordx2 v[14:15], v[14:15] offset:1536
	s_or_b64 exec, exec, s[2:3]
                                        ; implicit-def: $vgpr18_vgpr19
	s_and_saveexec_b64 s[2:3], s[10:11]
	s_cbranch_execz .LBB1201_54
.LBB1201_259:
	v_lshlrev_b32_e32 v18, 3, v0
	v_mov_b32_e32 v19, s62
	v_add_co_u32_e32 v18, vcc, s7, v18
	v_addc_co_u32_e32 v19, vcc, 0, v19, vcc
	flat_load_dwordx2 v[18:19], v[18:19] offset:2048
	s_or_b64 exec, exec, s[2:3]
                                        ; implicit-def: $vgpr20_vgpr21
	s_and_saveexec_b64 s[2:3], s[12:13]
	s_cbranch_execz .LBB1201_55
.LBB1201_260:
	v_lshlrev_b32_e32 v20, 3, v0
	v_mov_b32_e32 v21, s62
	v_add_co_u32_e32 v20, vcc, s7, v20
	v_addc_co_u32_e32 v21, vcc, 0, v21, vcc
	flat_load_dwordx2 v[20:21], v[20:21] offset:2560
	s_or_b64 exec, exec, s[2:3]
                                        ; implicit-def: $vgpr22_vgpr23
	s_and_saveexec_b64 s[2:3], s[14:15]
	s_cbranch_execz .LBB1201_56
.LBB1201_261:
	v_lshlrev_b32_e32 v22, 3, v0
	v_mov_b32_e32 v23, s62
	v_add_co_u32_e32 v22, vcc, s7, v22
	v_addc_co_u32_e32 v23, vcc, 0, v23, vcc
	flat_load_dwordx2 v[22:23], v[22:23] offset:3072
	s_or_b64 exec, exec, s[2:3]
                                        ; implicit-def: $vgpr26_vgpr27
	s_and_saveexec_b64 s[2:3], s[16:17]
	s_cbranch_execz .LBB1201_57
.LBB1201_262:
	v_lshlrev_b32_e32 v26, 3, v0
	v_mov_b32_e32 v27, s62
	v_add_co_u32_e32 v26, vcc, s7, v26
	v_addc_co_u32_e32 v27, vcc, 0, v27, vcc
	flat_load_dwordx2 v[26:27], v[26:27] offset:3584
	s_or_b64 exec, exec, s[2:3]
                                        ; implicit-def: $vgpr30_vgpr31
	s_and_saveexec_b64 s[2:3], s[18:19]
	s_cbranch_execz .LBB1201_58
.LBB1201_263:
	v_lshlrev_b32_e32 v1, 3, v1
	v_mov_b32_e32 v31, s62
	v_add_co_u32_e32 v30, vcc, s7, v1
	v_addc_co_u32_e32 v31, vcc, 0, v31, vcc
	flat_load_dwordx2 v[30:31], v[30:31]
	s_or_b64 exec, exec, s[2:3]
                                        ; implicit-def: $vgpr34_vgpr35
	s_and_saveexec_b64 s[2:3], s[20:21]
	s_cbranch_execz .LBB1201_59
.LBB1201_264:
	v_lshlrev_b32_e32 v1, 3, v38
	v_mov_b32_e32 v35, s62
	v_add_co_u32_e32 v34, vcc, s7, v1
	v_addc_co_u32_e32 v35, vcc, 0, v35, vcc
	flat_load_dwordx2 v[34:35], v[34:35]
	s_or_b64 exec, exec, s[2:3]
                                        ; implicit-def: $vgpr38_vgpr39
	s_and_saveexec_b64 s[2:3], s[22:23]
	s_cbranch_execz .LBB1201_60
.LBB1201_265:
	v_lshlrev_b32_e32 v1, 3, v42
	v_mov_b32_e32 v39, s62
	v_add_co_u32_e32 v38, vcc, s7, v1
	v_addc_co_u32_e32 v39, vcc, 0, v39, vcc
	flat_load_dwordx2 v[38:39], v[38:39]
	s_or_b64 exec, exec, s[2:3]
                                        ; implicit-def: $vgpr42_vgpr43
	s_and_saveexec_b64 s[2:3], s[24:25]
	s_cbranch_execz .LBB1201_61
.LBB1201_266:
	v_lshlrev_b32_e32 v1, 3, v46
	v_mov_b32_e32 v43, s62
	v_add_co_u32_e32 v42, vcc, s7, v1
	v_addc_co_u32_e32 v43, vcc, 0, v43, vcc
	flat_load_dwordx2 v[42:43], v[42:43]
	s_or_b64 exec, exec, s[2:3]
                                        ; implicit-def: $vgpr46_vgpr47
	s_and_saveexec_b64 s[2:3], s[26:27]
	s_cbranch_execz .LBB1201_62
.LBB1201_267:
	v_lshlrev_b32_e32 v1, 3, v48
	v_mov_b32_e32 v47, s62
	v_add_co_u32_e32 v46, vcc, s7, v1
	v_addc_co_u32_e32 v47, vcc, 0, v47, vcc
	flat_load_dwordx2 v[46:47], v[46:47]
	s_or_b64 exec, exec, s[2:3]
                                        ; implicit-def: $vgpr48_vgpr49
	s_and_saveexec_b64 s[2:3], s[28:29]
	s_cbranch_execz .LBB1201_63
.LBB1201_268:
	v_lshlrev_b32_e32 v1, 3, v50
	v_mov_b32_e32 v49, s62
	v_add_co_u32_e32 v48, vcc, s7, v1
	v_addc_co_u32_e32 v49, vcc, 0, v49, vcc
	flat_load_dwordx2 v[48:49], v[48:49]
	s_or_b64 exec, exec, s[2:3]
                                        ; implicit-def: $vgpr50_vgpr51
	s_and_saveexec_b64 s[2:3], s[30:31]
	s_cbranch_execz .LBB1201_64
.LBB1201_269:
	v_lshlrev_b32_e32 v1, 3, v52
	v_mov_b32_e32 v51, s62
	v_add_co_u32_e32 v50, vcc, s7, v1
	v_addc_co_u32_e32 v51, vcc, 0, v51, vcc
	flat_load_dwordx2 v[50:51], v[50:51]
	s_or_b64 exec, exec, s[2:3]
                                        ; implicit-def: $vgpr52_vgpr53
	s_and_saveexec_b64 s[2:3], s[34:35]
	s_cbranch_execz .LBB1201_65
.LBB1201_270:
	v_lshlrev_b32_e32 v1, 3, v54
	v_mov_b32_e32 v53, s62
	v_add_co_u32_e32 v52, vcc, s7, v1
	v_addc_co_u32_e32 v53, vcc, 0, v53, vcc
	flat_load_dwordx2 v[52:53], v[52:53]
	s_or_b64 exec, exec, s[2:3]
                                        ; implicit-def: $vgpr54_vgpr55
	s_and_saveexec_b64 s[2:3], s[36:37]
	s_cbranch_execz .LBB1201_66
.LBB1201_271:
	v_lshlrev_b32_e32 v1, 3, v56
	v_mov_b32_e32 v55, s62
	v_add_co_u32_e32 v54, vcc, s7, v1
	v_addc_co_u32_e32 v55, vcc, 0, v55, vcc
	flat_load_dwordx2 v[54:55], v[54:55]
	s_or_b64 exec, exec, s[2:3]
                                        ; implicit-def: $vgpr56_vgpr57
	s_and_saveexec_b64 s[2:3], s[38:39]
	s_cbranch_execz .LBB1201_67
.LBB1201_272:
	v_lshlrev_b32_e32 v1, 3, v58
	v_mov_b32_e32 v57, s62
	v_add_co_u32_e32 v56, vcc, s7, v1
	v_addc_co_u32_e32 v57, vcc, 0, v57, vcc
	flat_load_dwordx2 v[56:57], v[56:57]
	s_or_b64 exec, exec, s[2:3]
                                        ; implicit-def: $vgpr58_vgpr59
	s_and_saveexec_b64 s[2:3], s[40:41]
	s_cbranch_execz .LBB1201_68
.LBB1201_273:
	v_lshlrev_b32_e32 v1, 3, v60
	v_mov_b32_e32 v59, s62
	v_add_co_u32_e32 v58, vcc, s7, v1
	v_addc_co_u32_e32 v59, vcc, 0, v59, vcc
	flat_load_dwordx2 v[58:59], v[58:59]
	s_or_b64 exec, exec, s[2:3]
                                        ; implicit-def: $vgpr60_vgpr61
	s_and_saveexec_b64 s[2:3], s[42:43]
	s_cbranch_execz .LBB1201_69
.LBB1201_274:
	v_lshlrev_b32_e32 v1, 3, v62
	v_mov_b32_e32 v61, s62
	v_add_co_u32_e32 v60, vcc, s7, v1
	v_addc_co_u32_e32 v61, vcc, 0, v61, vcc
	flat_load_dwordx2 v[60:61], v[60:61]
	s_or_b64 exec, exec, s[2:3]
                                        ; implicit-def: $vgpr62_vgpr63
	s_and_saveexec_b64 s[2:3], s[44:45]
	s_cbranch_execnz .LBB1201_70
	s_branch .LBB1201_71
.LBB1201_275:
                                        ; implicit-def: $sgpr54_sgpr55
	s_branch .LBB1201_46
.LBB1201_276:
                                        ; implicit-def: $sgpr2_sgpr3
	s_branch .LBB1201_116
	.section	.rodata,"a",@progbits
	.p2align	6, 0x0
	.amdhsa_kernel _ZN7rocprim17ROCPRIM_400000_NS6detail17trampoline_kernelINS0_14default_configENS1_27scan_by_key_config_selectorIiyEEZZNS1_16scan_by_key_implILNS1_25lookback_scan_determinismE0ELb0ES3_N6thrust23THRUST_200600_302600_NS6detail15normal_iteratorINS9_10device_ptrIiEEEENSB_INSC_IyEEEESG_yNS9_4plusIvEENS9_8equal_toIvEEyEE10hipError_tPvRmT2_T3_T4_T5_mT6_T7_P12ihipStream_tbENKUlT_T0_E_clISt17integral_constantIbLb1EES10_IbLb0EEEEDaSW_SX_EUlSW_E_NS1_11comp_targetILNS1_3genE4ELNS1_11target_archE910ELNS1_3gpuE8ELNS1_3repE0EEENS1_30default_config_static_selectorELNS0_4arch9wavefront6targetE1EEEvT1_
		.amdhsa_group_segment_fixed_size 10752
		.amdhsa_private_segment_fixed_size 0
		.amdhsa_kernarg_size 136
		.amdhsa_user_sgpr_count 6
		.amdhsa_user_sgpr_private_segment_buffer 1
		.amdhsa_user_sgpr_dispatch_ptr 0
		.amdhsa_user_sgpr_queue_ptr 0
		.amdhsa_user_sgpr_kernarg_segment_ptr 1
		.amdhsa_user_sgpr_dispatch_id 0
		.amdhsa_user_sgpr_flat_scratch_init 0
		.amdhsa_user_sgpr_kernarg_preload_length 0
		.amdhsa_user_sgpr_kernarg_preload_offset 0
		.amdhsa_user_sgpr_private_segment_size 0
		.amdhsa_uses_dynamic_stack 0
		.amdhsa_system_sgpr_private_segment_wavefront_offset 0
		.amdhsa_system_sgpr_workgroup_id_x 1
		.amdhsa_system_sgpr_workgroup_id_y 0
		.amdhsa_system_sgpr_workgroup_id_z 0
		.amdhsa_system_sgpr_workgroup_info 0
		.amdhsa_system_vgpr_workitem_id 0
		.amdhsa_next_free_vgpr 132
		.amdhsa_next_free_sgpr 96
		.amdhsa_accum_offset 132
		.amdhsa_reserve_vcc 1
		.amdhsa_reserve_flat_scratch 0
		.amdhsa_float_round_mode_32 0
		.amdhsa_float_round_mode_16_64 0
		.amdhsa_float_denorm_mode_32 3
		.amdhsa_float_denorm_mode_16_64 3
		.amdhsa_dx10_clamp 1
		.amdhsa_ieee_mode 1
		.amdhsa_fp16_overflow 0
		.amdhsa_tg_split 0
		.amdhsa_exception_fp_ieee_invalid_op 0
		.amdhsa_exception_fp_denorm_src 0
		.amdhsa_exception_fp_ieee_div_zero 0
		.amdhsa_exception_fp_ieee_overflow 0
		.amdhsa_exception_fp_ieee_underflow 0
		.amdhsa_exception_fp_ieee_inexact 0
		.amdhsa_exception_int_div_zero 0
	.end_amdhsa_kernel
	.section	.text._ZN7rocprim17ROCPRIM_400000_NS6detail17trampoline_kernelINS0_14default_configENS1_27scan_by_key_config_selectorIiyEEZZNS1_16scan_by_key_implILNS1_25lookback_scan_determinismE0ELb0ES3_N6thrust23THRUST_200600_302600_NS6detail15normal_iteratorINS9_10device_ptrIiEEEENSB_INSC_IyEEEESG_yNS9_4plusIvEENS9_8equal_toIvEEyEE10hipError_tPvRmT2_T3_T4_T5_mT6_T7_P12ihipStream_tbENKUlT_T0_E_clISt17integral_constantIbLb1EES10_IbLb0EEEEDaSW_SX_EUlSW_E_NS1_11comp_targetILNS1_3genE4ELNS1_11target_archE910ELNS1_3gpuE8ELNS1_3repE0EEENS1_30default_config_static_selectorELNS0_4arch9wavefront6targetE1EEEvT1_,"axG",@progbits,_ZN7rocprim17ROCPRIM_400000_NS6detail17trampoline_kernelINS0_14default_configENS1_27scan_by_key_config_selectorIiyEEZZNS1_16scan_by_key_implILNS1_25lookback_scan_determinismE0ELb0ES3_N6thrust23THRUST_200600_302600_NS6detail15normal_iteratorINS9_10device_ptrIiEEEENSB_INSC_IyEEEESG_yNS9_4plusIvEENS9_8equal_toIvEEyEE10hipError_tPvRmT2_T3_T4_T5_mT6_T7_P12ihipStream_tbENKUlT_T0_E_clISt17integral_constantIbLb1EES10_IbLb0EEEEDaSW_SX_EUlSW_E_NS1_11comp_targetILNS1_3genE4ELNS1_11target_archE910ELNS1_3gpuE8ELNS1_3repE0EEENS1_30default_config_static_selectorELNS0_4arch9wavefront6targetE1EEEvT1_,comdat
.Lfunc_end1201:
	.size	_ZN7rocprim17ROCPRIM_400000_NS6detail17trampoline_kernelINS0_14default_configENS1_27scan_by_key_config_selectorIiyEEZZNS1_16scan_by_key_implILNS1_25lookback_scan_determinismE0ELb0ES3_N6thrust23THRUST_200600_302600_NS6detail15normal_iteratorINS9_10device_ptrIiEEEENSB_INSC_IyEEEESG_yNS9_4plusIvEENS9_8equal_toIvEEyEE10hipError_tPvRmT2_T3_T4_T5_mT6_T7_P12ihipStream_tbENKUlT_T0_E_clISt17integral_constantIbLb1EES10_IbLb0EEEEDaSW_SX_EUlSW_E_NS1_11comp_targetILNS1_3genE4ELNS1_11target_archE910ELNS1_3gpuE8ELNS1_3repE0EEENS1_30default_config_static_selectorELNS0_4arch9wavefront6targetE1EEEvT1_, .Lfunc_end1201-_ZN7rocprim17ROCPRIM_400000_NS6detail17trampoline_kernelINS0_14default_configENS1_27scan_by_key_config_selectorIiyEEZZNS1_16scan_by_key_implILNS1_25lookback_scan_determinismE0ELb0ES3_N6thrust23THRUST_200600_302600_NS6detail15normal_iteratorINS9_10device_ptrIiEEEENSB_INSC_IyEEEESG_yNS9_4plusIvEENS9_8equal_toIvEEyEE10hipError_tPvRmT2_T3_T4_T5_mT6_T7_P12ihipStream_tbENKUlT_T0_E_clISt17integral_constantIbLb1EES10_IbLb0EEEEDaSW_SX_EUlSW_E_NS1_11comp_targetILNS1_3genE4ELNS1_11target_archE910ELNS1_3gpuE8ELNS1_3repE0EEENS1_30default_config_static_selectorELNS0_4arch9wavefront6targetE1EEEvT1_
                                        ; -- End function
	.section	.AMDGPU.csdata,"",@progbits
; Kernel info:
; codeLenInByte = 16932
; NumSgprs: 100
; NumVgprs: 132
; NumAgprs: 0
; TotalNumVgprs: 132
; ScratchSize: 0
; MemoryBound: 0
; FloatMode: 240
; IeeeMode: 1
; LDSByteSize: 10752 bytes/workgroup (compile time only)
; SGPRBlocks: 12
; VGPRBlocks: 16
; NumSGPRsForWavesPerEU: 100
; NumVGPRsForWavesPerEU: 132
; AccumOffset: 132
; Occupancy: 2
; WaveLimiterHint : 1
; COMPUTE_PGM_RSRC2:SCRATCH_EN: 0
; COMPUTE_PGM_RSRC2:USER_SGPR: 6
; COMPUTE_PGM_RSRC2:TRAP_HANDLER: 0
; COMPUTE_PGM_RSRC2:TGID_X_EN: 1
; COMPUTE_PGM_RSRC2:TGID_Y_EN: 0
; COMPUTE_PGM_RSRC2:TGID_Z_EN: 0
; COMPUTE_PGM_RSRC2:TIDIG_COMP_CNT: 0
; COMPUTE_PGM_RSRC3_GFX90A:ACCUM_OFFSET: 32
; COMPUTE_PGM_RSRC3_GFX90A:TG_SPLIT: 0
	.section	.text._ZN7rocprim17ROCPRIM_400000_NS6detail17trampoline_kernelINS0_14default_configENS1_27scan_by_key_config_selectorIiyEEZZNS1_16scan_by_key_implILNS1_25lookback_scan_determinismE0ELb0ES3_N6thrust23THRUST_200600_302600_NS6detail15normal_iteratorINS9_10device_ptrIiEEEENSB_INSC_IyEEEESG_yNS9_4plusIvEENS9_8equal_toIvEEyEE10hipError_tPvRmT2_T3_T4_T5_mT6_T7_P12ihipStream_tbENKUlT_T0_E_clISt17integral_constantIbLb1EES10_IbLb0EEEEDaSW_SX_EUlSW_E_NS1_11comp_targetILNS1_3genE3ELNS1_11target_archE908ELNS1_3gpuE7ELNS1_3repE0EEENS1_30default_config_static_selectorELNS0_4arch9wavefront6targetE1EEEvT1_,"axG",@progbits,_ZN7rocprim17ROCPRIM_400000_NS6detail17trampoline_kernelINS0_14default_configENS1_27scan_by_key_config_selectorIiyEEZZNS1_16scan_by_key_implILNS1_25lookback_scan_determinismE0ELb0ES3_N6thrust23THRUST_200600_302600_NS6detail15normal_iteratorINS9_10device_ptrIiEEEENSB_INSC_IyEEEESG_yNS9_4plusIvEENS9_8equal_toIvEEyEE10hipError_tPvRmT2_T3_T4_T5_mT6_T7_P12ihipStream_tbENKUlT_T0_E_clISt17integral_constantIbLb1EES10_IbLb0EEEEDaSW_SX_EUlSW_E_NS1_11comp_targetILNS1_3genE3ELNS1_11target_archE908ELNS1_3gpuE7ELNS1_3repE0EEENS1_30default_config_static_selectorELNS0_4arch9wavefront6targetE1EEEvT1_,comdat
	.protected	_ZN7rocprim17ROCPRIM_400000_NS6detail17trampoline_kernelINS0_14default_configENS1_27scan_by_key_config_selectorIiyEEZZNS1_16scan_by_key_implILNS1_25lookback_scan_determinismE0ELb0ES3_N6thrust23THRUST_200600_302600_NS6detail15normal_iteratorINS9_10device_ptrIiEEEENSB_INSC_IyEEEESG_yNS9_4plusIvEENS9_8equal_toIvEEyEE10hipError_tPvRmT2_T3_T4_T5_mT6_T7_P12ihipStream_tbENKUlT_T0_E_clISt17integral_constantIbLb1EES10_IbLb0EEEEDaSW_SX_EUlSW_E_NS1_11comp_targetILNS1_3genE3ELNS1_11target_archE908ELNS1_3gpuE7ELNS1_3repE0EEENS1_30default_config_static_selectorELNS0_4arch9wavefront6targetE1EEEvT1_ ; -- Begin function _ZN7rocprim17ROCPRIM_400000_NS6detail17trampoline_kernelINS0_14default_configENS1_27scan_by_key_config_selectorIiyEEZZNS1_16scan_by_key_implILNS1_25lookback_scan_determinismE0ELb0ES3_N6thrust23THRUST_200600_302600_NS6detail15normal_iteratorINS9_10device_ptrIiEEEENSB_INSC_IyEEEESG_yNS9_4plusIvEENS9_8equal_toIvEEyEE10hipError_tPvRmT2_T3_T4_T5_mT6_T7_P12ihipStream_tbENKUlT_T0_E_clISt17integral_constantIbLb1EES10_IbLb0EEEEDaSW_SX_EUlSW_E_NS1_11comp_targetILNS1_3genE3ELNS1_11target_archE908ELNS1_3gpuE7ELNS1_3repE0EEENS1_30default_config_static_selectorELNS0_4arch9wavefront6targetE1EEEvT1_
	.globl	_ZN7rocprim17ROCPRIM_400000_NS6detail17trampoline_kernelINS0_14default_configENS1_27scan_by_key_config_selectorIiyEEZZNS1_16scan_by_key_implILNS1_25lookback_scan_determinismE0ELb0ES3_N6thrust23THRUST_200600_302600_NS6detail15normal_iteratorINS9_10device_ptrIiEEEENSB_INSC_IyEEEESG_yNS9_4plusIvEENS9_8equal_toIvEEyEE10hipError_tPvRmT2_T3_T4_T5_mT6_T7_P12ihipStream_tbENKUlT_T0_E_clISt17integral_constantIbLb1EES10_IbLb0EEEEDaSW_SX_EUlSW_E_NS1_11comp_targetILNS1_3genE3ELNS1_11target_archE908ELNS1_3gpuE7ELNS1_3repE0EEENS1_30default_config_static_selectorELNS0_4arch9wavefront6targetE1EEEvT1_
	.p2align	8
	.type	_ZN7rocprim17ROCPRIM_400000_NS6detail17trampoline_kernelINS0_14default_configENS1_27scan_by_key_config_selectorIiyEEZZNS1_16scan_by_key_implILNS1_25lookback_scan_determinismE0ELb0ES3_N6thrust23THRUST_200600_302600_NS6detail15normal_iteratorINS9_10device_ptrIiEEEENSB_INSC_IyEEEESG_yNS9_4plusIvEENS9_8equal_toIvEEyEE10hipError_tPvRmT2_T3_T4_T5_mT6_T7_P12ihipStream_tbENKUlT_T0_E_clISt17integral_constantIbLb1EES10_IbLb0EEEEDaSW_SX_EUlSW_E_NS1_11comp_targetILNS1_3genE3ELNS1_11target_archE908ELNS1_3gpuE7ELNS1_3repE0EEENS1_30default_config_static_selectorELNS0_4arch9wavefront6targetE1EEEvT1_,@function
_ZN7rocprim17ROCPRIM_400000_NS6detail17trampoline_kernelINS0_14default_configENS1_27scan_by_key_config_selectorIiyEEZZNS1_16scan_by_key_implILNS1_25lookback_scan_determinismE0ELb0ES3_N6thrust23THRUST_200600_302600_NS6detail15normal_iteratorINS9_10device_ptrIiEEEENSB_INSC_IyEEEESG_yNS9_4plusIvEENS9_8equal_toIvEEyEE10hipError_tPvRmT2_T3_T4_T5_mT6_T7_P12ihipStream_tbENKUlT_T0_E_clISt17integral_constantIbLb1EES10_IbLb0EEEEDaSW_SX_EUlSW_E_NS1_11comp_targetILNS1_3genE3ELNS1_11target_archE908ELNS1_3gpuE7ELNS1_3repE0EEENS1_30default_config_static_selectorELNS0_4arch9wavefront6targetE1EEEvT1_: ; @_ZN7rocprim17ROCPRIM_400000_NS6detail17trampoline_kernelINS0_14default_configENS1_27scan_by_key_config_selectorIiyEEZZNS1_16scan_by_key_implILNS1_25lookback_scan_determinismE0ELb0ES3_N6thrust23THRUST_200600_302600_NS6detail15normal_iteratorINS9_10device_ptrIiEEEENSB_INSC_IyEEEESG_yNS9_4plusIvEENS9_8equal_toIvEEyEE10hipError_tPvRmT2_T3_T4_T5_mT6_T7_P12ihipStream_tbENKUlT_T0_E_clISt17integral_constantIbLb1EES10_IbLb0EEEEDaSW_SX_EUlSW_E_NS1_11comp_targetILNS1_3genE3ELNS1_11target_archE908ELNS1_3gpuE7ELNS1_3repE0EEENS1_30default_config_static_selectorELNS0_4arch9wavefront6targetE1EEEvT1_
; %bb.0:
	.section	.rodata,"a",@progbits
	.p2align	6, 0x0
	.amdhsa_kernel _ZN7rocprim17ROCPRIM_400000_NS6detail17trampoline_kernelINS0_14default_configENS1_27scan_by_key_config_selectorIiyEEZZNS1_16scan_by_key_implILNS1_25lookback_scan_determinismE0ELb0ES3_N6thrust23THRUST_200600_302600_NS6detail15normal_iteratorINS9_10device_ptrIiEEEENSB_INSC_IyEEEESG_yNS9_4plusIvEENS9_8equal_toIvEEyEE10hipError_tPvRmT2_T3_T4_T5_mT6_T7_P12ihipStream_tbENKUlT_T0_E_clISt17integral_constantIbLb1EES10_IbLb0EEEEDaSW_SX_EUlSW_E_NS1_11comp_targetILNS1_3genE3ELNS1_11target_archE908ELNS1_3gpuE7ELNS1_3repE0EEENS1_30default_config_static_selectorELNS0_4arch9wavefront6targetE1EEEvT1_
		.amdhsa_group_segment_fixed_size 0
		.amdhsa_private_segment_fixed_size 0
		.amdhsa_kernarg_size 136
		.amdhsa_user_sgpr_count 6
		.amdhsa_user_sgpr_private_segment_buffer 1
		.amdhsa_user_sgpr_dispatch_ptr 0
		.amdhsa_user_sgpr_queue_ptr 0
		.amdhsa_user_sgpr_kernarg_segment_ptr 1
		.amdhsa_user_sgpr_dispatch_id 0
		.amdhsa_user_sgpr_flat_scratch_init 0
		.amdhsa_user_sgpr_kernarg_preload_length 0
		.amdhsa_user_sgpr_kernarg_preload_offset 0
		.amdhsa_user_sgpr_private_segment_size 0
		.amdhsa_uses_dynamic_stack 0
		.amdhsa_system_sgpr_private_segment_wavefront_offset 0
		.amdhsa_system_sgpr_workgroup_id_x 1
		.amdhsa_system_sgpr_workgroup_id_y 0
		.amdhsa_system_sgpr_workgroup_id_z 0
		.amdhsa_system_sgpr_workgroup_info 0
		.amdhsa_system_vgpr_workitem_id 0
		.amdhsa_next_free_vgpr 1
		.amdhsa_next_free_sgpr 0
		.amdhsa_accum_offset 4
		.amdhsa_reserve_vcc 0
		.amdhsa_reserve_flat_scratch 0
		.amdhsa_float_round_mode_32 0
		.amdhsa_float_round_mode_16_64 0
		.amdhsa_float_denorm_mode_32 3
		.amdhsa_float_denorm_mode_16_64 3
		.amdhsa_dx10_clamp 1
		.amdhsa_ieee_mode 1
		.amdhsa_fp16_overflow 0
		.amdhsa_tg_split 0
		.amdhsa_exception_fp_ieee_invalid_op 0
		.amdhsa_exception_fp_denorm_src 0
		.amdhsa_exception_fp_ieee_div_zero 0
		.amdhsa_exception_fp_ieee_overflow 0
		.amdhsa_exception_fp_ieee_underflow 0
		.amdhsa_exception_fp_ieee_inexact 0
		.amdhsa_exception_int_div_zero 0
	.end_amdhsa_kernel
	.section	.text._ZN7rocprim17ROCPRIM_400000_NS6detail17trampoline_kernelINS0_14default_configENS1_27scan_by_key_config_selectorIiyEEZZNS1_16scan_by_key_implILNS1_25lookback_scan_determinismE0ELb0ES3_N6thrust23THRUST_200600_302600_NS6detail15normal_iteratorINS9_10device_ptrIiEEEENSB_INSC_IyEEEESG_yNS9_4plusIvEENS9_8equal_toIvEEyEE10hipError_tPvRmT2_T3_T4_T5_mT6_T7_P12ihipStream_tbENKUlT_T0_E_clISt17integral_constantIbLb1EES10_IbLb0EEEEDaSW_SX_EUlSW_E_NS1_11comp_targetILNS1_3genE3ELNS1_11target_archE908ELNS1_3gpuE7ELNS1_3repE0EEENS1_30default_config_static_selectorELNS0_4arch9wavefront6targetE1EEEvT1_,"axG",@progbits,_ZN7rocprim17ROCPRIM_400000_NS6detail17trampoline_kernelINS0_14default_configENS1_27scan_by_key_config_selectorIiyEEZZNS1_16scan_by_key_implILNS1_25lookback_scan_determinismE0ELb0ES3_N6thrust23THRUST_200600_302600_NS6detail15normal_iteratorINS9_10device_ptrIiEEEENSB_INSC_IyEEEESG_yNS9_4plusIvEENS9_8equal_toIvEEyEE10hipError_tPvRmT2_T3_T4_T5_mT6_T7_P12ihipStream_tbENKUlT_T0_E_clISt17integral_constantIbLb1EES10_IbLb0EEEEDaSW_SX_EUlSW_E_NS1_11comp_targetILNS1_3genE3ELNS1_11target_archE908ELNS1_3gpuE7ELNS1_3repE0EEENS1_30default_config_static_selectorELNS0_4arch9wavefront6targetE1EEEvT1_,comdat
.Lfunc_end1202:
	.size	_ZN7rocprim17ROCPRIM_400000_NS6detail17trampoline_kernelINS0_14default_configENS1_27scan_by_key_config_selectorIiyEEZZNS1_16scan_by_key_implILNS1_25lookback_scan_determinismE0ELb0ES3_N6thrust23THRUST_200600_302600_NS6detail15normal_iteratorINS9_10device_ptrIiEEEENSB_INSC_IyEEEESG_yNS9_4plusIvEENS9_8equal_toIvEEyEE10hipError_tPvRmT2_T3_T4_T5_mT6_T7_P12ihipStream_tbENKUlT_T0_E_clISt17integral_constantIbLb1EES10_IbLb0EEEEDaSW_SX_EUlSW_E_NS1_11comp_targetILNS1_3genE3ELNS1_11target_archE908ELNS1_3gpuE7ELNS1_3repE0EEENS1_30default_config_static_selectorELNS0_4arch9wavefront6targetE1EEEvT1_, .Lfunc_end1202-_ZN7rocprim17ROCPRIM_400000_NS6detail17trampoline_kernelINS0_14default_configENS1_27scan_by_key_config_selectorIiyEEZZNS1_16scan_by_key_implILNS1_25lookback_scan_determinismE0ELb0ES3_N6thrust23THRUST_200600_302600_NS6detail15normal_iteratorINS9_10device_ptrIiEEEENSB_INSC_IyEEEESG_yNS9_4plusIvEENS9_8equal_toIvEEyEE10hipError_tPvRmT2_T3_T4_T5_mT6_T7_P12ihipStream_tbENKUlT_T0_E_clISt17integral_constantIbLb1EES10_IbLb0EEEEDaSW_SX_EUlSW_E_NS1_11comp_targetILNS1_3genE3ELNS1_11target_archE908ELNS1_3gpuE7ELNS1_3repE0EEENS1_30default_config_static_selectorELNS0_4arch9wavefront6targetE1EEEvT1_
                                        ; -- End function
	.section	.AMDGPU.csdata,"",@progbits
; Kernel info:
; codeLenInByte = 0
; NumSgprs: 4
; NumVgprs: 0
; NumAgprs: 0
; TotalNumVgprs: 0
; ScratchSize: 0
; MemoryBound: 0
; FloatMode: 240
; IeeeMode: 1
; LDSByteSize: 0 bytes/workgroup (compile time only)
; SGPRBlocks: 0
; VGPRBlocks: 0
; NumSGPRsForWavesPerEU: 4
; NumVGPRsForWavesPerEU: 1
; AccumOffset: 4
; Occupancy: 8
; WaveLimiterHint : 0
; COMPUTE_PGM_RSRC2:SCRATCH_EN: 0
; COMPUTE_PGM_RSRC2:USER_SGPR: 6
; COMPUTE_PGM_RSRC2:TRAP_HANDLER: 0
; COMPUTE_PGM_RSRC2:TGID_X_EN: 1
; COMPUTE_PGM_RSRC2:TGID_Y_EN: 0
; COMPUTE_PGM_RSRC2:TGID_Z_EN: 0
; COMPUTE_PGM_RSRC2:TIDIG_COMP_CNT: 0
; COMPUTE_PGM_RSRC3_GFX90A:ACCUM_OFFSET: 0
; COMPUTE_PGM_RSRC3_GFX90A:TG_SPLIT: 0
	.section	.text._ZN7rocprim17ROCPRIM_400000_NS6detail17trampoline_kernelINS0_14default_configENS1_27scan_by_key_config_selectorIiyEEZZNS1_16scan_by_key_implILNS1_25lookback_scan_determinismE0ELb0ES3_N6thrust23THRUST_200600_302600_NS6detail15normal_iteratorINS9_10device_ptrIiEEEENSB_INSC_IyEEEESG_yNS9_4plusIvEENS9_8equal_toIvEEyEE10hipError_tPvRmT2_T3_T4_T5_mT6_T7_P12ihipStream_tbENKUlT_T0_E_clISt17integral_constantIbLb1EES10_IbLb0EEEEDaSW_SX_EUlSW_E_NS1_11comp_targetILNS1_3genE2ELNS1_11target_archE906ELNS1_3gpuE6ELNS1_3repE0EEENS1_30default_config_static_selectorELNS0_4arch9wavefront6targetE1EEEvT1_,"axG",@progbits,_ZN7rocprim17ROCPRIM_400000_NS6detail17trampoline_kernelINS0_14default_configENS1_27scan_by_key_config_selectorIiyEEZZNS1_16scan_by_key_implILNS1_25lookback_scan_determinismE0ELb0ES3_N6thrust23THRUST_200600_302600_NS6detail15normal_iteratorINS9_10device_ptrIiEEEENSB_INSC_IyEEEESG_yNS9_4plusIvEENS9_8equal_toIvEEyEE10hipError_tPvRmT2_T3_T4_T5_mT6_T7_P12ihipStream_tbENKUlT_T0_E_clISt17integral_constantIbLb1EES10_IbLb0EEEEDaSW_SX_EUlSW_E_NS1_11comp_targetILNS1_3genE2ELNS1_11target_archE906ELNS1_3gpuE6ELNS1_3repE0EEENS1_30default_config_static_selectorELNS0_4arch9wavefront6targetE1EEEvT1_,comdat
	.protected	_ZN7rocprim17ROCPRIM_400000_NS6detail17trampoline_kernelINS0_14default_configENS1_27scan_by_key_config_selectorIiyEEZZNS1_16scan_by_key_implILNS1_25lookback_scan_determinismE0ELb0ES3_N6thrust23THRUST_200600_302600_NS6detail15normal_iteratorINS9_10device_ptrIiEEEENSB_INSC_IyEEEESG_yNS9_4plusIvEENS9_8equal_toIvEEyEE10hipError_tPvRmT2_T3_T4_T5_mT6_T7_P12ihipStream_tbENKUlT_T0_E_clISt17integral_constantIbLb1EES10_IbLb0EEEEDaSW_SX_EUlSW_E_NS1_11comp_targetILNS1_3genE2ELNS1_11target_archE906ELNS1_3gpuE6ELNS1_3repE0EEENS1_30default_config_static_selectorELNS0_4arch9wavefront6targetE1EEEvT1_ ; -- Begin function _ZN7rocprim17ROCPRIM_400000_NS6detail17trampoline_kernelINS0_14default_configENS1_27scan_by_key_config_selectorIiyEEZZNS1_16scan_by_key_implILNS1_25lookback_scan_determinismE0ELb0ES3_N6thrust23THRUST_200600_302600_NS6detail15normal_iteratorINS9_10device_ptrIiEEEENSB_INSC_IyEEEESG_yNS9_4plusIvEENS9_8equal_toIvEEyEE10hipError_tPvRmT2_T3_T4_T5_mT6_T7_P12ihipStream_tbENKUlT_T0_E_clISt17integral_constantIbLb1EES10_IbLb0EEEEDaSW_SX_EUlSW_E_NS1_11comp_targetILNS1_3genE2ELNS1_11target_archE906ELNS1_3gpuE6ELNS1_3repE0EEENS1_30default_config_static_selectorELNS0_4arch9wavefront6targetE1EEEvT1_
	.globl	_ZN7rocprim17ROCPRIM_400000_NS6detail17trampoline_kernelINS0_14default_configENS1_27scan_by_key_config_selectorIiyEEZZNS1_16scan_by_key_implILNS1_25lookback_scan_determinismE0ELb0ES3_N6thrust23THRUST_200600_302600_NS6detail15normal_iteratorINS9_10device_ptrIiEEEENSB_INSC_IyEEEESG_yNS9_4plusIvEENS9_8equal_toIvEEyEE10hipError_tPvRmT2_T3_T4_T5_mT6_T7_P12ihipStream_tbENKUlT_T0_E_clISt17integral_constantIbLb1EES10_IbLb0EEEEDaSW_SX_EUlSW_E_NS1_11comp_targetILNS1_3genE2ELNS1_11target_archE906ELNS1_3gpuE6ELNS1_3repE0EEENS1_30default_config_static_selectorELNS0_4arch9wavefront6targetE1EEEvT1_
	.p2align	8
	.type	_ZN7rocprim17ROCPRIM_400000_NS6detail17trampoline_kernelINS0_14default_configENS1_27scan_by_key_config_selectorIiyEEZZNS1_16scan_by_key_implILNS1_25lookback_scan_determinismE0ELb0ES3_N6thrust23THRUST_200600_302600_NS6detail15normal_iteratorINS9_10device_ptrIiEEEENSB_INSC_IyEEEESG_yNS9_4plusIvEENS9_8equal_toIvEEyEE10hipError_tPvRmT2_T3_T4_T5_mT6_T7_P12ihipStream_tbENKUlT_T0_E_clISt17integral_constantIbLb1EES10_IbLb0EEEEDaSW_SX_EUlSW_E_NS1_11comp_targetILNS1_3genE2ELNS1_11target_archE906ELNS1_3gpuE6ELNS1_3repE0EEENS1_30default_config_static_selectorELNS0_4arch9wavefront6targetE1EEEvT1_,@function
_ZN7rocprim17ROCPRIM_400000_NS6detail17trampoline_kernelINS0_14default_configENS1_27scan_by_key_config_selectorIiyEEZZNS1_16scan_by_key_implILNS1_25lookback_scan_determinismE0ELb0ES3_N6thrust23THRUST_200600_302600_NS6detail15normal_iteratorINS9_10device_ptrIiEEEENSB_INSC_IyEEEESG_yNS9_4plusIvEENS9_8equal_toIvEEyEE10hipError_tPvRmT2_T3_T4_T5_mT6_T7_P12ihipStream_tbENKUlT_T0_E_clISt17integral_constantIbLb1EES10_IbLb0EEEEDaSW_SX_EUlSW_E_NS1_11comp_targetILNS1_3genE2ELNS1_11target_archE906ELNS1_3gpuE6ELNS1_3repE0EEENS1_30default_config_static_selectorELNS0_4arch9wavefront6targetE1EEEvT1_: ; @_ZN7rocprim17ROCPRIM_400000_NS6detail17trampoline_kernelINS0_14default_configENS1_27scan_by_key_config_selectorIiyEEZZNS1_16scan_by_key_implILNS1_25lookback_scan_determinismE0ELb0ES3_N6thrust23THRUST_200600_302600_NS6detail15normal_iteratorINS9_10device_ptrIiEEEENSB_INSC_IyEEEESG_yNS9_4plusIvEENS9_8equal_toIvEEyEE10hipError_tPvRmT2_T3_T4_T5_mT6_T7_P12ihipStream_tbENKUlT_T0_E_clISt17integral_constantIbLb1EES10_IbLb0EEEEDaSW_SX_EUlSW_E_NS1_11comp_targetILNS1_3genE2ELNS1_11target_archE906ELNS1_3gpuE6ELNS1_3repE0EEENS1_30default_config_static_selectorELNS0_4arch9wavefront6targetE1EEEvT1_
; %bb.0:
	.section	.rodata,"a",@progbits
	.p2align	6, 0x0
	.amdhsa_kernel _ZN7rocprim17ROCPRIM_400000_NS6detail17trampoline_kernelINS0_14default_configENS1_27scan_by_key_config_selectorIiyEEZZNS1_16scan_by_key_implILNS1_25lookback_scan_determinismE0ELb0ES3_N6thrust23THRUST_200600_302600_NS6detail15normal_iteratorINS9_10device_ptrIiEEEENSB_INSC_IyEEEESG_yNS9_4plusIvEENS9_8equal_toIvEEyEE10hipError_tPvRmT2_T3_T4_T5_mT6_T7_P12ihipStream_tbENKUlT_T0_E_clISt17integral_constantIbLb1EES10_IbLb0EEEEDaSW_SX_EUlSW_E_NS1_11comp_targetILNS1_3genE2ELNS1_11target_archE906ELNS1_3gpuE6ELNS1_3repE0EEENS1_30default_config_static_selectorELNS0_4arch9wavefront6targetE1EEEvT1_
		.amdhsa_group_segment_fixed_size 0
		.amdhsa_private_segment_fixed_size 0
		.amdhsa_kernarg_size 136
		.amdhsa_user_sgpr_count 6
		.amdhsa_user_sgpr_private_segment_buffer 1
		.amdhsa_user_sgpr_dispatch_ptr 0
		.amdhsa_user_sgpr_queue_ptr 0
		.amdhsa_user_sgpr_kernarg_segment_ptr 1
		.amdhsa_user_sgpr_dispatch_id 0
		.amdhsa_user_sgpr_flat_scratch_init 0
		.amdhsa_user_sgpr_kernarg_preload_length 0
		.amdhsa_user_sgpr_kernarg_preload_offset 0
		.amdhsa_user_sgpr_private_segment_size 0
		.amdhsa_uses_dynamic_stack 0
		.amdhsa_system_sgpr_private_segment_wavefront_offset 0
		.amdhsa_system_sgpr_workgroup_id_x 1
		.amdhsa_system_sgpr_workgroup_id_y 0
		.amdhsa_system_sgpr_workgroup_id_z 0
		.amdhsa_system_sgpr_workgroup_info 0
		.amdhsa_system_vgpr_workitem_id 0
		.amdhsa_next_free_vgpr 1
		.amdhsa_next_free_sgpr 0
		.amdhsa_accum_offset 4
		.amdhsa_reserve_vcc 0
		.amdhsa_reserve_flat_scratch 0
		.amdhsa_float_round_mode_32 0
		.amdhsa_float_round_mode_16_64 0
		.amdhsa_float_denorm_mode_32 3
		.amdhsa_float_denorm_mode_16_64 3
		.amdhsa_dx10_clamp 1
		.amdhsa_ieee_mode 1
		.amdhsa_fp16_overflow 0
		.amdhsa_tg_split 0
		.amdhsa_exception_fp_ieee_invalid_op 0
		.amdhsa_exception_fp_denorm_src 0
		.amdhsa_exception_fp_ieee_div_zero 0
		.amdhsa_exception_fp_ieee_overflow 0
		.amdhsa_exception_fp_ieee_underflow 0
		.amdhsa_exception_fp_ieee_inexact 0
		.amdhsa_exception_int_div_zero 0
	.end_amdhsa_kernel
	.section	.text._ZN7rocprim17ROCPRIM_400000_NS6detail17trampoline_kernelINS0_14default_configENS1_27scan_by_key_config_selectorIiyEEZZNS1_16scan_by_key_implILNS1_25lookback_scan_determinismE0ELb0ES3_N6thrust23THRUST_200600_302600_NS6detail15normal_iteratorINS9_10device_ptrIiEEEENSB_INSC_IyEEEESG_yNS9_4plusIvEENS9_8equal_toIvEEyEE10hipError_tPvRmT2_T3_T4_T5_mT6_T7_P12ihipStream_tbENKUlT_T0_E_clISt17integral_constantIbLb1EES10_IbLb0EEEEDaSW_SX_EUlSW_E_NS1_11comp_targetILNS1_3genE2ELNS1_11target_archE906ELNS1_3gpuE6ELNS1_3repE0EEENS1_30default_config_static_selectorELNS0_4arch9wavefront6targetE1EEEvT1_,"axG",@progbits,_ZN7rocprim17ROCPRIM_400000_NS6detail17trampoline_kernelINS0_14default_configENS1_27scan_by_key_config_selectorIiyEEZZNS1_16scan_by_key_implILNS1_25lookback_scan_determinismE0ELb0ES3_N6thrust23THRUST_200600_302600_NS6detail15normal_iteratorINS9_10device_ptrIiEEEENSB_INSC_IyEEEESG_yNS9_4plusIvEENS9_8equal_toIvEEyEE10hipError_tPvRmT2_T3_T4_T5_mT6_T7_P12ihipStream_tbENKUlT_T0_E_clISt17integral_constantIbLb1EES10_IbLb0EEEEDaSW_SX_EUlSW_E_NS1_11comp_targetILNS1_3genE2ELNS1_11target_archE906ELNS1_3gpuE6ELNS1_3repE0EEENS1_30default_config_static_selectorELNS0_4arch9wavefront6targetE1EEEvT1_,comdat
.Lfunc_end1203:
	.size	_ZN7rocprim17ROCPRIM_400000_NS6detail17trampoline_kernelINS0_14default_configENS1_27scan_by_key_config_selectorIiyEEZZNS1_16scan_by_key_implILNS1_25lookback_scan_determinismE0ELb0ES3_N6thrust23THRUST_200600_302600_NS6detail15normal_iteratorINS9_10device_ptrIiEEEENSB_INSC_IyEEEESG_yNS9_4plusIvEENS9_8equal_toIvEEyEE10hipError_tPvRmT2_T3_T4_T5_mT6_T7_P12ihipStream_tbENKUlT_T0_E_clISt17integral_constantIbLb1EES10_IbLb0EEEEDaSW_SX_EUlSW_E_NS1_11comp_targetILNS1_3genE2ELNS1_11target_archE906ELNS1_3gpuE6ELNS1_3repE0EEENS1_30default_config_static_selectorELNS0_4arch9wavefront6targetE1EEEvT1_, .Lfunc_end1203-_ZN7rocprim17ROCPRIM_400000_NS6detail17trampoline_kernelINS0_14default_configENS1_27scan_by_key_config_selectorIiyEEZZNS1_16scan_by_key_implILNS1_25lookback_scan_determinismE0ELb0ES3_N6thrust23THRUST_200600_302600_NS6detail15normal_iteratorINS9_10device_ptrIiEEEENSB_INSC_IyEEEESG_yNS9_4plusIvEENS9_8equal_toIvEEyEE10hipError_tPvRmT2_T3_T4_T5_mT6_T7_P12ihipStream_tbENKUlT_T0_E_clISt17integral_constantIbLb1EES10_IbLb0EEEEDaSW_SX_EUlSW_E_NS1_11comp_targetILNS1_3genE2ELNS1_11target_archE906ELNS1_3gpuE6ELNS1_3repE0EEENS1_30default_config_static_selectorELNS0_4arch9wavefront6targetE1EEEvT1_
                                        ; -- End function
	.section	.AMDGPU.csdata,"",@progbits
; Kernel info:
; codeLenInByte = 0
; NumSgprs: 4
; NumVgprs: 0
; NumAgprs: 0
; TotalNumVgprs: 0
; ScratchSize: 0
; MemoryBound: 0
; FloatMode: 240
; IeeeMode: 1
; LDSByteSize: 0 bytes/workgroup (compile time only)
; SGPRBlocks: 0
; VGPRBlocks: 0
; NumSGPRsForWavesPerEU: 4
; NumVGPRsForWavesPerEU: 1
; AccumOffset: 4
; Occupancy: 8
; WaveLimiterHint : 0
; COMPUTE_PGM_RSRC2:SCRATCH_EN: 0
; COMPUTE_PGM_RSRC2:USER_SGPR: 6
; COMPUTE_PGM_RSRC2:TRAP_HANDLER: 0
; COMPUTE_PGM_RSRC2:TGID_X_EN: 1
; COMPUTE_PGM_RSRC2:TGID_Y_EN: 0
; COMPUTE_PGM_RSRC2:TGID_Z_EN: 0
; COMPUTE_PGM_RSRC2:TIDIG_COMP_CNT: 0
; COMPUTE_PGM_RSRC3_GFX90A:ACCUM_OFFSET: 0
; COMPUTE_PGM_RSRC3_GFX90A:TG_SPLIT: 0
	.section	.text._ZN7rocprim17ROCPRIM_400000_NS6detail17trampoline_kernelINS0_14default_configENS1_27scan_by_key_config_selectorIiyEEZZNS1_16scan_by_key_implILNS1_25lookback_scan_determinismE0ELb0ES3_N6thrust23THRUST_200600_302600_NS6detail15normal_iteratorINS9_10device_ptrIiEEEENSB_INSC_IyEEEESG_yNS9_4plusIvEENS9_8equal_toIvEEyEE10hipError_tPvRmT2_T3_T4_T5_mT6_T7_P12ihipStream_tbENKUlT_T0_E_clISt17integral_constantIbLb1EES10_IbLb0EEEEDaSW_SX_EUlSW_E_NS1_11comp_targetILNS1_3genE10ELNS1_11target_archE1200ELNS1_3gpuE4ELNS1_3repE0EEENS1_30default_config_static_selectorELNS0_4arch9wavefront6targetE1EEEvT1_,"axG",@progbits,_ZN7rocprim17ROCPRIM_400000_NS6detail17trampoline_kernelINS0_14default_configENS1_27scan_by_key_config_selectorIiyEEZZNS1_16scan_by_key_implILNS1_25lookback_scan_determinismE0ELb0ES3_N6thrust23THRUST_200600_302600_NS6detail15normal_iteratorINS9_10device_ptrIiEEEENSB_INSC_IyEEEESG_yNS9_4plusIvEENS9_8equal_toIvEEyEE10hipError_tPvRmT2_T3_T4_T5_mT6_T7_P12ihipStream_tbENKUlT_T0_E_clISt17integral_constantIbLb1EES10_IbLb0EEEEDaSW_SX_EUlSW_E_NS1_11comp_targetILNS1_3genE10ELNS1_11target_archE1200ELNS1_3gpuE4ELNS1_3repE0EEENS1_30default_config_static_selectorELNS0_4arch9wavefront6targetE1EEEvT1_,comdat
	.protected	_ZN7rocprim17ROCPRIM_400000_NS6detail17trampoline_kernelINS0_14default_configENS1_27scan_by_key_config_selectorIiyEEZZNS1_16scan_by_key_implILNS1_25lookback_scan_determinismE0ELb0ES3_N6thrust23THRUST_200600_302600_NS6detail15normal_iteratorINS9_10device_ptrIiEEEENSB_INSC_IyEEEESG_yNS9_4plusIvEENS9_8equal_toIvEEyEE10hipError_tPvRmT2_T3_T4_T5_mT6_T7_P12ihipStream_tbENKUlT_T0_E_clISt17integral_constantIbLb1EES10_IbLb0EEEEDaSW_SX_EUlSW_E_NS1_11comp_targetILNS1_3genE10ELNS1_11target_archE1200ELNS1_3gpuE4ELNS1_3repE0EEENS1_30default_config_static_selectorELNS0_4arch9wavefront6targetE1EEEvT1_ ; -- Begin function _ZN7rocprim17ROCPRIM_400000_NS6detail17trampoline_kernelINS0_14default_configENS1_27scan_by_key_config_selectorIiyEEZZNS1_16scan_by_key_implILNS1_25lookback_scan_determinismE0ELb0ES3_N6thrust23THRUST_200600_302600_NS6detail15normal_iteratorINS9_10device_ptrIiEEEENSB_INSC_IyEEEESG_yNS9_4plusIvEENS9_8equal_toIvEEyEE10hipError_tPvRmT2_T3_T4_T5_mT6_T7_P12ihipStream_tbENKUlT_T0_E_clISt17integral_constantIbLb1EES10_IbLb0EEEEDaSW_SX_EUlSW_E_NS1_11comp_targetILNS1_3genE10ELNS1_11target_archE1200ELNS1_3gpuE4ELNS1_3repE0EEENS1_30default_config_static_selectorELNS0_4arch9wavefront6targetE1EEEvT1_
	.globl	_ZN7rocprim17ROCPRIM_400000_NS6detail17trampoline_kernelINS0_14default_configENS1_27scan_by_key_config_selectorIiyEEZZNS1_16scan_by_key_implILNS1_25lookback_scan_determinismE0ELb0ES3_N6thrust23THRUST_200600_302600_NS6detail15normal_iteratorINS9_10device_ptrIiEEEENSB_INSC_IyEEEESG_yNS9_4plusIvEENS9_8equal_toIvEEyEE10hipError_tPvRmT2_T3_T4_T5_mT6_T7_P12ihipStream_tbENKUlT_T0_E_clISt17integral_constantIbLb1EES10_IbLb0EEEEDaSW_SX_EUlSW_E_NS1_11comp_targetILNS1_3genE10ELNS1_11target_archE1200ELNS1_3gpuE4ELNS1_3repE0EEENS1_30default_config_static_selectorELNS0_4arch9wavefront6targetE1EEEvT1_
	.p2align	8
	.type	_ZN7rocprim17ROCPRIM_400000_NS6detail17trampoline_kernelINS0_14default_configENS1_27scan_by_key_config_selectorIiyEEZZNS1_16scan_by_key_implILNS1_25lookback_scan_determinismE0ELb0ES3_N6thrust23THRUST_200600_302600_NS6detail15normal_iteratorINS9_10device_ptrIiEEEENSB_INSC_IyEEEESG_yNS9_4plusIvEENS9_8equal_toIvEEyEE10hipError_tPvRmT2_T3_T4_T5_mT6_T7_P12ihipStream_tbENKUlT_T0_E_clISt17integral_constantIbLb1EES10_IbLb0EEEEDaSW_SX_EUlSW_E_NS1_11comp_targetILNS1_3genE10ELNS1_11target_archE1200ELNS1_3gpuE4ELNS1_3repE0EEENS1_30default_config_static_selectorELNS0_4arch9wavefront6targetE1EEEvT1_,@function
_ZN7rocprim17ROCPRIM_400000_NS6detail17trampoline_kernelINS0_14default_configENS1_27scan_by_key_config_selectorIiyEEZZNS1_16scan_by_key_implILNS1_25lookback_scan_determinismE0ELb0ES3_N6thrust23THRUST_200600_302600_NS6detail15normal_iteratorINS9_10device_ptrIiEEEENSB_INSC_IyEEEESG_yNS9_4plusIvEENS9_8equal_toIvEEyEE10hipError_tPvRmT2_T3_T4_T5_mT6_T7_P12ihipStream_tbENKUlT_T0_E_clISt17integral_constantIbLb1EES10_IbLb0EEEEDaSW_SX_EUlSW_E_NS1_11comp_targetILNS1_3genE10ELNS1_11target_archE1200ELNS1_3gpuE4ELNS1_3repE0EEENS1_30default_config_static_selectorELNS0_4arch9wavefront6targetE1EEEvT1_: ; @_ZN7rocprim17ROCPRIM_400000_NS6detail17trampoline_kernelINS0_14default_configENS1_27scan_by_key_config_selectorIiyEEZZNS1_16scan_by_key_implILNS1_25lookback_scan_determinismE0ELb0ES3_N6thrust23THRUST_200600_302600_NS6detail15normal_iteratorINS9_10device_ptrIiEEEENSB_INSC_IyEEEESG_yNS9_4plusIvEENS9_8equal_toIvEEyEE10hipError_tPvRmT2_T3_T4_T5_mT6_T7_P12ihipStream_tbENKUlT_T0_E_clISt17integral_constantIbLb1EES10_IbLb0EEEEDaSW_SX_EUlSW_E_NS1_11comp_targetILNS1_3genE10ELNS1_11target_archE1200ELNS1_3gpuE4ELNS1_3repE0EEENS1_30default_config_static_selectorELNS0_4arch9wavefront6targetE1EEEvT1_
; %bb.0:
	.section	.rodata,"a",@progbits
	.p2align	6, 0x0
	.amdhsa_kernel _ZN7rocprim17ROCPRIM_400000_NS6detail17trampoline_kernelINS0_14default_configENS1_27scan_by_key_config_selectorIiyEEZZNS1_16scan_by_key_implILNS1_25lookback_scan_determinismE0ELb0ES3_N6thrust23THRUST_200600_302600_NS6detail15normal_iteratorINS9_10device_ptrIiEEEENSB_INSC_IyEEEESG_yNS9_4plusIvEENS9_8equal_toIvEEyEE10hipError_tPvRmT2_T3_T4_T5_mT6_T7_P12ihipStream_tbENKUlT_T0_E_clISt17integral_constantIbLb1EES10_IbLb0EEEEDaSW_SX_EUlSW_E_NS1_11comp_targetILNS1_3genE10ELNS1_11target_archE1200ELNS1_3gpuE4ELNS1_3repE0EEENS1_30default_config_static_selectorELNS0_4arch9wavefront6targetE1EEEvT1_
		.amdhsa_group_segment_fixed_size 0
		.amdhsa_private_segment_fixed_size 0
		.amdhsa_kernarg_size 136
		.amdhsa_user_sgpr_count 6
		.amdhsa_user_sgpr_private_segment_buffer 1
		.amdhsa_user_sgpr_dispatch_ptr 0
		.amdhsa_user_sgpr_queue_ptr 0
		.amdhsa_user_sgpr_kernarg_segment_ptr 1
		.amdhsa_user_sgpr_dispatch_id 0
		.amdhsa_user_sgpr_flat_scratch_init 0
		.amdhsa_user_sgpr_kernarg_preload_length 0
		.amdhsa_user_sgpr_kernarg_preload_offset 0
		.amdhsa_user_sgpr_private_segment_size 0
		.amdhsa_uses_dynamic_stack 0
		.amdhsa_system_sgpr_private_segment_wavefront_offset 0
		.amdhsa_system_sgpr_workgroup_id_x 1
		.amdhsa_system_sgpr_workgroup_id_y 0
		.amdhsa_system_sgpr_workgroup_id_z 0
		.amdhsa_system_sgpr_workgroup_info 0
		.amdhsa_system_vgpr_workitem_id 0
		.amdhsa_next_free_vgpr 1
		.amdhsa_next_free_sgpr 0
		.amdhsa_accum_offset 4
		.amdhsa_reserve_vcc 0
		.amdhsa_reserve_flat_scratch 0
		.amdhsa_float_round_mode_32 0
		.amdhsa_float_round_mode_16_64 0
		.amdhsa_float_denorm_mode_32 3
		.amdhsa_float_denorm_mode_16_64 3
		.amdhsa_dx10_clamp 1
		.amdhsa_ieee_mode 1
		.amdhsa_fp16_overflow 0
		.amdhsa_tg_split 0
		.amdhsa_exception_fp_ieee_invalid_op 0
		.amdhsa_exception_fp_denorm_src 0
		.amdhsa_exception_fp_ieee_div_zero 0
		.amdhsa_exception_fp_ieee_overflow 0
		.amdhsa_exception_fp_ieee_underflow 0
		.amdhsa_exception_fp_ieee_inexact 0
		.amdhsa_exception_int_div_zero 0
	.end_amdhsa_kernel
	.section	.text._ZN7rocprim17ROCPRIM_400000_NS6detail17trampoline_kernelINS0_14default_configENS1_27scan_by_key_config_selectorIiyEEZZNS1_16scan_by_key_implILNS1_25lookback_scan_determinismE0ELb0ES3_N6thrust23THRUST_200600_302600_NS6detail15normal_iteratorINS9_10device_ptrIiEEEENSB_INSC_IyEEEESG_yNS9_4plusIvEENS9_8equal_toIvEEyEE10hipError_tPvRmT2_T3_T4_T5_mT6_T7_P12ihipStream_tbENKUlT_T0_E_clISt17integral_constantIbLb1EES10_IbLb0EEEEDaSW_SX_EUlSW_E_NS1_11comp_targetILNS1_3genE10ELNS1_11target_archE1200ELNS1_3gpuE4ELNS1_3repE0EEENS1_30default_config_static_selectorELNS0_4arch9wavefront6targetE1EEEvT1_,"axG",@progbits,_ZN7rocprim17ROCPRIM_400000_NS6detail17trampoline_kernelINS0_14default_configENS1_27scan_by_key_config_selectorIiyEEZZNS1_16scan_by_key_implILNS1_25lookback_scan_determinismE0ELb0ES3_N6thrust23THRUST_200600_302600_NS6detail15normal_iteratorINS9_10device_ptrIiEEEENSB_INSC_IyEEEESG_yNS9_4plusIvEENS9_8equal_toIvEEyEE10hipError_tPvRmT2_T3_T4_T5_mT6_T7_P12ihipStream_tbENKUlT_T0_E_clISt17integral_constantIbLb1EES10_IbLb0EEEEDaSW_SX_EUlSW_E_NS1_11comp_targetILNS1_3genE10ELNS1_11target_archE1200ELNS1_3gpuE4ELNS1_3repE0EEENS1_30default_config_static_selectorELNS0_4arch9wavefront6targetE1EEEvT1_,comdat
.Lfunc_end1204:
	.size	_ZN7rocprim17ROCPRIM_400000_NS6detail17trampoline_kernelINS0_14default_configENS1_27scan_by_key_config_selectorIiyEEZZNS1_16scan_by_key_implILNS1_25lookback_scan_determinismE0ELb0ES3_N6thrust23THRUST_200600_302600_NS6detail15normal_iteratorINS9_10device_ptrIiEEEENSB_INSC_IyEEEESG_yNS9_4plusIvEENS9_8equal_toIvEEyEE10hipError_tPvRmT2_T3_T4_T5_mT6_T7_P12ihipStream_tbENKUlT_T0_E_clISt17integral_constantIbLb1EES10_IbLb0EEEEDaSW_SX_EUlSW_E_NS1_11comp_targetILNS1_3genE10ELNS1_11target_archE1200ELNS1_3gpuE4ELNS1_3repE0EEENS1_30default_config_static_selectorELNS0_4arch9wavefront6targetE1EEEvT1_, .Lfunc_end1204-_ZN7rocprim17ROCPRIM_400000_NS6detail17trampoline_kernelINS0_14default_configENS1_27scan_by_key_config_selectorIiyEEZZNS1_16scan_by_key_implILNS1_25lookback_scan_determinismE0ELb0ES3_N6thrust23THRUST_200600_302600_NS6detail15normal_iteratorINS9_10device_ptrIiEEEENSB_INSC_IyEEEESG_yNS9_4plusIvEENS9_8equal_toIvEEyEE10hipError_tPvRmT2_T3_T4_T5_mT6_T7_P12ihipStream_tbENKUlT_T0_E_clISt17integral_constantIbLb1EES10_IbLb0EEEEDaSW_SX_EUlSW_E_NS1_11comp_targetILNS1_3genE10ELNS1_11target_archE1200ELNS1_3gpuE4ELNS1_3repE0EEENS1_30default_config_static_selectorELNS0_4arch9wavefront6targetE1EEEvT1_
                                        ; -- End function
	.section	.AMDGPU.csdata,"",@progbits
; Kernel info:
; codeLenInByte = 0
; NumSgprs: 4
; NumVgprs: 0
; NumAgprs: 0
; TotalNumVgprs: 0
; ScratchSize: 0
; MemoryBound: 0
; FloatMode: 240
; IeeeMode: 1
; LDSByteSize: 0 bytes/workgroup (compile time only)
; SGPRBlocks: 0
; VGPRBlocks: 0
; NumSGPRsForWavesPerEU: 4
; NumVGPRsForWavesPerEU: 1
; AccumOffset: 4
; Occupancy: 8
; WaveLimiterHint : 0
; COMPUTE_PGM_RSRC2:SCRATCH_EN: 0
; COMPUTE_PGM_RSRC2:USER_SGPR: 6
; COMPUTE_PGM_RSRC2:TRAP_HANDLER: 0
; COMPUTE_PGM_RSRC2:TGID_X_EN: 1
; COMPUTE_PGM_RSRC2:TGID_Y_EN: 0
; COMPUTE_PGM_RSRC2:TGID_Z_EN: 0
; COMPUTE_PGM_RSRC2:TIDIG_COMP_CNT: 0
; COMPUTE_PGM_RSRC3_GFX90A:ACCUM_OFFSET: 0
; COMPUTE_PGM_RSRC3_GFX90A:TG_SPLIT: 0
	.section	.text._ZN7rocprim17ROCPRIM_400000_NS6detail17trampoline_kernelINS0_14default_configENS1_27scan_by_key_config_selectorIiyEEZZNS1_16scan_by_key_implILNS1_25lookback_scan_determinismE0ELb0ES3_N6thrust23THRUST_200600_302600_NS6detail15normal_iteratorINS9_10device_ptrIiEEEENSB_INSC_IyEEEESG_yNS9_4plusIvEENS9_8equal_toIvEEyEE10hipError_tPvRmT2_T3_T4_T5_mT6_T7_P12ihipStream_tbENKUlT_T0_E_clISt17integral_constantIbLb1EES10_IbLb0EEEEDaSW_SX_EUlSW_E_NS1_11comp_targetILNS1_3genE9ELNS1_11target_archE1100ELNS1_3gpuE3ELNS1_3repE0EEENS1_30default_config_static_selectorELNS0_4arch9wavefront6targetE1EEEvT1_,"axG",@progbits,_ZN7rocprim17ROCPRIM_400000_NS6detail17trampoline_kernelINS0_14default_configENS1_27scan_by_key_config_selectorIiyEEZZNS1_16scan_by_key_implILNS1_25lookback_scan_determinismE0ELb0ES3_N6thrust23THRUST_200600_302600_NS6detail15normal_iteratorINS9_10device_ptrIiEEEENSB_INSC_IyEEEESG_yNS9_4plusIvEENS9_8equal_toIvEEyEE10hipError_tPvRmT2_T3_T4_T5_mT6_T7_P12ihipStream_tbENKUlT_T0_E_clISt17integral_constantIbLb1EES10_IbLb0EEEEDaSW_SX_EUlSW_E_NS1_11comp_targetILNS1_3genE9ELNS1_11target_archE1100ELNS1_3gpuE3ELNS1_3repE0EEENS1_30default_config_static_selectorELNS0_4arch9wavefront6targetE1EEEvT1_,comdat
	.protected	_ZN7rocprim17ROCPRIM_400000_NS6detail17trampoline_kernelINS0_14default_configENS1_27scan_by_key_config_selectorIiyEEZZNS1_16scan_by_key_implILNS1_25lookback_scan_determinismE0ELb0ES3_N6thrust23THRUST_200600_302600_NS6detail15normal_iteratorINS9_10device_ptrIiEEEENSB_INSC_IyEEEESG_yNS9_4plusIvEENS9_8equal_toIvEEyEE10hipError_tPvRmT2_T3_T4_T5_mT6_T7_P12ihipStream_tbENKUlT_T0_E_clISt17integral_constantIbLb1EES10_IbLb0EEEEDaSW_SX_EUlSW_E_NS1_11comp_targetILNS1_3genE9ELNS1_11target_archE1100ELNS1_3gpuE3ELNS1_3repE0EEENS1_30default_config_static_selectorELNS0_4arch9wavefront6targetE1EEEvT1_ ; -- Begin function _ZN7rocprim17ROCPRIM_400000_NS6detail17trampoline_kernelINS0_14default_configENS1_27scan_by_key_config_selectorIiyEEZZNS1_16scan_by_key_implILNS1_25lookback_scan_determinismE0ELb0ES3_N6thrust23THRUST_200600_302600_NS6detail15normal_iteratorINS9_10device_ptrIiEEEENSB_INSC_IyEEEESG_yNS9_4plusIvEENS9_8equal_toIvEEyEE10hipError_tPvRmT2_T3_T4_T5_mT6_T7_P12ihipStream_tbENKUlT_T0_E_clISt17integral_constantIbLb1EES10_IbLb0EEEEDaSW_SX_EUlSW_E_NS1_11comp_targetILNS1_3genE9ELNS1_11target_archE1100ELNS1_3gpuE3ELNS1_3repE0EEENS1_30default_config_static_selectorELNS0_4arch9wavefront6targetE1EEEvT1_
	.globl	_ZN7rocprim17ROCPRIM_400000_NS6detail17trampoline_kernelINS0_14default_configENS1_27scan_by_key_config_selectorIiyEEZZNS1_16scan_by_key_implILNS1_25lookback_scan_determinismE0ELb0ES3_N6thrust23THRUST_200600_302600_NS6detail15normal_iteratorINS9_10device_ptrIiEEEENSB_INSC_IyEEEESG_yNS9_4plusIvEENS9_8equal_toIvEEyEE10hipError_tPvRmT2_T3_T4_T5_mT6_T7_P12ihipStream_tbENKUlT_T0_E_clISt17integral_constantIbLb1EES10_IbLb0EEEEDaSW_SX_EUlSW_E_NS1_11comp_targetILNS1_3genE9ELNS1_11target_archE1100ELNS1_3gpuE3ELNS1_3repE0EEENS1_30default_config_static_selectorELNS0_4arch9wavefront6targetE1EEEvT1_
	.p2align	8
	.type	_ZN7rocprim17ROCPRIM_400000_NS6detail17trampoline_kernelINS0_14default_configENS1_27scan_by_key_config_selectorIiyEEZZNS1_16scan_by_key_implILNS1_25lookback_scan_determinismE0ELb0ES3_N6thrust23THRUST_200600_302600_NS6detail15normal_iteratorINS9_10device_ptrIiEEEENSB_INSC_IyEEEESG_yNS9_4plusIvEENS9_8equal_toIvEEyEE10hipError_tPvRmT2_T3_T4_T5_mT6_T7_P12ihipStream_tbENKUlT_T0_E_clISt17integral_constantIbLb1EES10_IbLb0EEEEDaSW_SX_EUlSW_E_NS1_11comp_targetILNS1_3genE9ELNS1_11target_archE1100ELNS1_3gpuE3ELNS1_3repE0EEENS1_30default_config_static_selectorELNS0_4arch9wavefront6targetE1EEEvT1_,@function
_ZN7rocprim17ROCPRIM_400000_NS6detail17trampoline_kernelINS0_14default_configENS1_27scan_by_key_config_selectorIiyEEZZNS1_16scan_by_key_implILNS1_25lookback_scan_determinismE0ELb0ES3_N6thrust23THRUST_200600_302600_NS6detail15normal_iteratorINS9_10device_ptrIiEEEENSB_INSC_IyEEEESG_yNS9_4plusIvEENS9_8equal_toIvEEyEE10hipError_tPvRmT2_T3_T4_T5_mT6_T7_P12ihipStream_tbENKUlT_T0_E_clISt17integral_constantIbLb1EES10_IbLb0EEEEDaSW_SX_EUlSW_E_NS1_11comp_targetILNS1_3genE9ELNS1_11target_archE1100ELNS1_3gpuE3ELNS1_3repE0EEENS1_30default_config_static_selectorELNS0_4arch9wavefront6targetE1EEEvT1_: ; @_ZN7rocprim17ROCPRIM_400000_NS6detail17trampoline_kernelINS0_14default_configENS1_27scan_by_key_config_selectorIiyEEZZNS1_16scan_by_key_implILNS1_25lookback_scan_determinismE0ELb0ES3_N6thrust23THRUST_200600_302600_NS6detail15normal_iteratorINS9_10device_ptrIiEEEENSB_INSC_IyEEEESG_yNS9_4plusIvEENS9_8equal_toIvEEyEE10hipError_tPvRmT2_T3_T4_T5_mT6_T7_P12ihipStream_tbENKUlT_T0_E_clISt17integral_constantIbLb1EES10_IbLb0EEEEDaSW_SX_EUlSW_E_NS1_11comp_targetILNS1_3genE9ELNS1_11target_archE1100ELNS1_3gpuE3ELNS1_3repE0EEENS1_30default_config_static_selectorELNS0_4arch9wavefront6targetE1EEEvT1_
; %bb.0:
	.section	.rodata,"a",@progbits
	.p2align	6, 0x0
	.amdhsa_kernel _ZN7rocprim17ROCPRIM_400000_NS6detail17trampoline_kernelINS0_14default_configENS1_27scan_by_key_config_selectorIiyEEZZNS1_16scan_by_key_implILNS1_25lookback_scan_determinismE0ELb0ES3_N6thrust23THRUST_200600_302600_NS6detail15normal_iteratorINS9_10device_ptrIiEEEENSB_INSC_IyEEEESG_yNS9_4plusIvEENS9_8equal_toIvEEyEE10hipError_tPvRmT2_T3_T4_T5_mT6_T7_P12ihipStream_tbENKUlT_T0_E_clISt17integral_constantIbLb1EES10_IbLb0EEEEDaSW_SX_EUlSW_E_NS1_11comp_targetILNS1_3genE9ELNS1_11target_archE1100ELNS1_3gpuE3ELNS1_3repE0EEENS1_30default_config_static_selectorELNS0_4arch9wavefront6targetE1EEEvT1_
		.amdhsa_group_segment_fixed_size 0
		.amdhsa_private_segment_fixed_size 0
		.amdhsa_kernarg_size 136
		.amdhsa_user_sgpr_count 6
		.amdhsa_user_sgpr_private_segment_buffer 1
		.amdhsa_user_sgpr_dispatch_ptr 0
		.amdhsa_user_sgpr_queue_ptr 0
		.amdhsa_user_sgpr_kernarg_segment_ptr 1
		.amdhsa_user_sgpr_dispatch_id 0
		.amdhsa_user_sgpr_flat_scratch_init 0
		.amdhsa_user_sgpr_kernarg_preload_length 0
		.amdhsa_user_sgpr_kernarg_preload_offset 0
		.amdhsa_user_sgpr_private_segment_size 0
		.amdhsa_uses_dynamic_stack 0
		.amdhsa_system_sgpr_private_segment_wavefront_offset 0
		.amdhsa_system_sgpr_workgroup_id_x 1
		.amdhsa_system_sgpr_workgroup_id_y 0
		.amdhsa_system_sgpr_workgroup_id_z 0
		.amdhsa_system_sgpr_workgroup_info 0
		.amdhsa_system_vgpr_workitem_id 0
		.amdhsa_next_free_vgpr 1
		.amdhsa_next_free_sgpr 0
		.amdhsa_accum_offset 4
		.amdhsa_reserve_vcc 0
		.amdhsa_reserve_flat_scratch 0
		.amdhsa_float_round_mode_32 0
		.amdhsa_float_round_mode_16_64 0
		.amdhsa_float_denorm_mode_32 3
		.amdhsa_float_denorm_mode_16_64 3
		.amdhsa_dx10_clamp 1
		.amdhsa_ieee_mode 1
		.amdhsa_fp16_overflow 0
		.amdhsa_tg_split 0
		.amdhsa_exception_fp_ieee_invalid_op 0
		.amdhsa_exception_fp_denorm_src 0
		.amdhsa_exception_fp_ieee_div_zero 0
		.amdhsa_exception_fp_ieee_overflow 0
		.amdhsa_exception_fp_ieee_underflow 0
		.amdhsa_exception_fp_ieee_inexact 0
		.amdhsa_exception_int_div_zero 0
	.end_amdhsa_kernel
	.section	.text._ZN7rocprim17ROCPRIM_400000_NS6detail17trampoline_kernelINS0_14default_configENS1_27scan_by_key_config_selectorIiyEEZZNS1_16scan_by_key_implILNS1_25lookback_scan_determinismE0ELb0ES3_N6thrust23THRUST_200600_302600_NS6detail15normal_iteratorINS9_10device_ptrIiEEEENSB_INSC_IyEEEESG_yNS9_4plusIvEENS9_8equal_toIvEEyEE10hipError_tPvRmT2_T3_T4_T5_mT6_T7_P12ihipStream_tbENKUlT_T0_E_clISt17integral_constantIbLb1EES10_IbLb0EEEEDaSW_SX_EUlSW_E_NS1_11comp_targetILNS1_3genE9ELNS1_11target_archE1100ELNS1_3gpuE3ELNS1_3repE0EEENS1_30default_config_static_selectorELNS0_4arch9wavefront6targetE1EEEvT1_,"axG",@progbits,_ZN7rocprim17ROCPRIM_400000_NS6detail17trampoline_kernelINS0_14default_configENS1_27scan_by_key_config_selectorIiyEEZZNS1_16scan_by_key_implILNS1_25lookback_scan_determinismE0ELb0ES3_N6thrust23THRUST_200600_302600_NS6detail15normal_iteratorINS9_10device_ptrIiEEEENSB_INSC_IyEEEESG_yNS9_4plusIvEENS9_8equal_toIvEEyEE10hipError_tPvRmT2_T3_T4_T5_mT6_T7_P12ihipStream_tbENKUlT_T0_E_clISt17integral_constantIbLb1EES10_IbLb0EEEEDaSW_SX_EUlSW_E_NS1_11comp_targetILNS1_3genE9ELNS1_11target_archE1100ELNS1_3gpuE3ELNS1_3repE0EEENS1_30default_config_static_selectorELNS0_4arch9wavefront6targetE1EEEvT1_,comdat
.Lfunc_end1205:
	.size	_ZN7rocprim17ROCPRIM_400000_NS6detail17trampoline_kernelINS0_14default_configENS1_27scan_by_key_config_selectorIiyEEZZNS1_16scan_by_key_implILNS1_25lookback_scan_determinismE0ELb0ES3_N6thrust23THRUST_200600_302600_NS6detail15normal_iteratorINS9_10device_ptrIiEEEENSB_INSC_IyEEEESG_yNS9_4plusIvEENS9_8equal_toIvEEyEE10hipError_tPvRmT2_T3_T4_T5_mT6_T7_P12ihipStream_tbENKUlT_T0_E_clISt17integral_constantIbLb1EES10_IbLb0EEEEDaSW_SX_EUlSW_E_NS1_11comp_targetILNS1_3genE9ELNS1_11target_archE1100ELNS1_3gpuE3ELNS1_3repE0EEENS1_30default_config_static_selectorELNS0_4arch9wavefront6targetE1EEEvT1_, .Lfunc_end1205-_ZN7rocprim17ROCPRIM_400000_NS6detail17trampoline_kernelINS0_14default_configENS1_27scan_by_key_config_selectorIiyEEZZNS1_16scan_by_key_implILNS1_25lookback_scan_determinismE0ELb0ES3_N6thrust23THRUST_200600_302600_NS6detail15normal_iteratorINS9_10device_ptrIiEEEENSB_INSC_IyEEEESG_yNS9_4plusIvEENS9_8equal_toIvEEyEE10hipError_tPvRmT2_T3_T4_T5_mT6_T7_P12ihipStream_tbENKUlT_T0_E_clISt17integral_constantIbLb1EES10_IbLb0EEEEDaSW_SX_EUlSW_E_NS1_11comp_targetILNS1_3genE9ELNS1_11target_archE1100ELNS1_3gpuE3ELNS1_3repE0EEENS1_30default_config_static_selectorELNS0_4arch9wavefront6targetE1EEEvT1_
                                        ; -- End function
	.section	.AMDGPU.csdata,"",@progbits
; Kernel info:
; codeLenInByte = 0
; NumSgprs: 4
; NumVgprs: 0
; NumAgprs: 0
; TotalNumVgprs: 0
; ScratchSize: 0
; MemoryBound: 0
; FloatMode: 240
; IeeeMode: 1
; LDSByteSize: 0 bytes/workgroup (compile time only)
; SGPRBlocks: 0
; VGPRBlocks: 0
; NumSGPRsForWavesPerEU: 4
; NumVGPRsForWavesPerEU: 1
; AccumOffset: 4
; Occupancy: 8
; WaveLimiterHint : 0
; COMPUTE_PGM_RSRC2:SCRATCH_EN: 0
; COMPUTE_PGM_RSRC2:USER_SGPR: 6
; COMPUTE_PGM_RSRC2:TRAP_HANDLER: 0
; COMPUTE_PGM_RSRC2:TGID_X_EN: 1
; COMPUTE_PGM_RSRC2:TGID_Y_EN: 0
; COMPUTE_PGM_RSRC2:TGID_Z_EN: 0
; COMPUTE_PGM_RSRC2:TIDIG_COMP_CNT: 0
; COMPUTE_PGM_RSRC3_GFX90A:ACCUM_OFFSET: 0
; COMPUTE_PGM_RSRC3_GFX90A:TG_SPLIT: 0
	.section	.text._ZN7rocprim17ROCPRIM_400000_NS6detail17trampoline_kernelINS0_14default_configENS1_27scan_by_key_config_selectorIiyEEZZNS1_16scan_by_key_implILNS1_25lookback_scan_determinismE0ELb0ES3_N6thrust23THRUST_200600_302600_NS6detail15normal_iteratorINS9_10device_ptrIiEEEENSB_INSC_IyEEEESG_yNS9_4plusIvEENS9_8equal_toIvEEyEE10hipError_tPvRmT2_T3_T4_T5_mT6_T7_P12ihipStream_tbENKUlT_T0_E_clISt17integral_constantIbLb1EES10_IbLb0EEEEDaSW_SX_EUlSW_E_NS1_11comp_targetILNS1_3genE8ELNS1_11target_archE1030ELNS1_3gpuE2ELNS1_3repE0EEENS1_30default_config_static_selectorELNS0_4arch9wavefront6targetE1EEEvT1_,"axG",@progbits,_ZN7rocprim17ROCPRIM_400000_NS6detail17trampoline_kernelINS0_14default_configENS1_27scan_by_key_config_selectorIiyEEZZNS1_16scan_by_key_implILNS1_25lookback_scan_determinismE0ELb0ES3_N6thrust23THRUST_200600_302600_NS6detail15normal_iteratorINS9_10device_ptrIiEEEENSB_INSC_IyEEEESG_yNS9_4plusIvEENS9_8equal_toIvEEyEE10hipError_tPvRmT2_T3_T4_T5_mT6_T7_P12ihipStream_tbENKUlT_T0_E_clISt17integral_constantIbLb1EES10_IbLb0EEEEDaSW_SX_EUlSW_E_NS1_11comp_targetILNS1_3genE8ELNS1_11target_archE1030ELNS1_3gpuE2ELNS1_3repE0EEENS1_30default_config_static_selectorELNS0_4arch9wavefront6targetE1EEEvT1_,comdat
	.protected	_ZN7rocprim17ROCPRIM_400000_NS6detail17trampoline_kernelINS0_14default_configENS1_27scan_by_key_config_selectorIiyEEZZNS1_16scan_by_key_implILNS1_25lookback_scan_determinismE0ELb0ES3_N6thrust23THRUST_200600_302600_NS6detail15normal_iteratorINS9_10device_ptrIiEEEENSB_INSC_IyEEEESG_yNS9_4plusIvEENS9_8equal_toIvEEyEE10hipError_tPvRmT2_T3_T4_T5_mT6_T7_P12ihipStream_tbENKUlT_T0_E_clISt17integral_constantIbLb1EES10_IbLb0EEEEDaSW_SX_EUlSW_E_NS1_11comp_targetILNS1_3genE8ELNS1_11target_archE1030ELNS1_3gpuE2ELNS1_3repE0EEENS1_30default_config_static_selectorELNS0_4arch9wavefront6targetE1EEEvT1_ ; -- Begin function _ZN7rocprim17ROCPRIM_400000_NS6detail17trampoline_kernelINS0_14default_configENS1_27scan_by_key_config_selectorIiyEEZZNS1_16scan_by_key_implILNS1_25lookback_scan_determinismE0ELb0ES3_N6thrust23THRUST_200600_302600_NS6detail15normal_iteratorINS9_10device_ptrIiEEEENSB_INSC_IyEEEESG_yNS9_4plusIvEENS9_8equal_toIvEEyEE10hipError_tPvRmT2_T3_T4_T5_mT6_T7_P12ihipStream_tbENKUlT_T0_E_clISt17integral_constantIbLb1EES10_IbLb0EEEEDaSW_SX_EUlSW_E_NS1_11comp_targetILNS1_3genE8ELNS1_11target_archE1030ELNS1_3gpuE2ELNS1_3repE0EEENS1_30default_config_static_selectorELNS0_4arch9wavefront6targetE1EEEvT1_
	.globl	_ZN7rocprim17ROCPRIM_400000_NS6detail17trampoline_kernelINS0_14default_configENS1_27scan_by_key_config_selectorIiyEEZZNS1_16scan_by_key_implILNS1_25lookback_scan_determinismE0ELb0ES3_N6thrust23THRUST_200600_302600_NS6detail15normal_iteratorINS9_10device_ptrIiEEEENSB_INSC_IyEEEESG_yNS9_4plusIvEENS9_8equal_toIvEEyEE10hipError_tPvRmT2_T3_T4_T5_mT6_T7_P12ihipStream_tbENKUlT_T0_E_clISt17integral_constantIbLb1EES10_IbLb0EEEEDaSW_SX_EUlSW_E_NS1_11comp_targetILNS1_3genE8ELNS1_11target_archE1030ELNS1_3gpuE2ELNS1_3repE0EEENS1_30default_config_static_selectorELNS0_4arch9wavefront6targetE1EEEvT1_
	.p2align	8
	.type	_ZN7rocprim17ROCPRIM_400000_NS6detail17trampoline_kernelINS0_14default_configENS1_27scan_by_key_config_selectorIiyEEZZNS1_16scan_by_key_implILNS1_25lookback_scan_determinismE0ELb0ES3_N6thrust23THRUST_200600_302600_NS6detail15normal_iteratorINS9_10device_ptrIiEEEENSB_INSC_IyEEEESG_yNS9_4plusIvEENS9_8equal_toIvEEyEE10hipError_tPvRmT2_T3_T4_T5_mT6_T7_P12ihipStream_tbENKUlT_T0_E_clISt17integral_constantIbLb1EES10_IbLb0EEEEDaSW_SX_EUlSW_E_NS1_11comp_targetILNS1_3genE8ELNS1_11target_archE1030ELNS1_3gpuE2ELNS1_3repE0EEENS1_30default_config_static_selectorELNS0_4arch9wavefront6targetE1EEEvT1_,@function
_ZN7rocprim17ROCPRIM_400000_NS6detail17trampoline_kernelINS0_14default_configENS1_27scan_by_key_config_selectorIiyEEZZNS1_16scan_by_key_implILNS1_25lookback_scan_determinismE0ELb0ES3_N6thrust23THRUST_200600_302600_NS6detail15normal_iteratorINS9_10device_ptrIiEEEENSB_INSC_IyEEEESG_yNS9_4plusIvEENS9_8equal_toIvEEyEE10hipError_tPvRmT2_T3_T4_T5_mT6_T7_P12ihipStream_tbENKUlT_T0_E_clISt17integral_constantIbLb1EES10_IbLb0EEEEDaSW_SX_EUlSW_E_NS1_11comp_targetILNS1_3genE8ELNS1_11target_archE1030ELNS1_3gpuE2ELNS1_3repE0EEENS1_30default_config_static_selectorELNS0_4arch9wavefront6targetE1EEEvT1_: ; @_ZN7rocprim17ROCPRIM_400000_NS6detail17trampoline_kernelINS0_14default_configENS1_27scan_by_key_config_selectorIiyEEZZNS1_16scan_by_key_implILNS1_25lookback_scan_determinismE0ELb0ES3_N6thrust23THRUST_200600_302600_NS6detail15normal_iteratorINS9_10device_ptrIiEEEENSB_INSC_IyEEEESG_yNS9_4plusIvEENS9_8equal_toIvEEyEE10hipError_tPvRmT2_T3_T4_T5_mT6_T7_P12ihipStream_tbENKUlT_T0_E_clISt17integral_constantIbLb1EES10_IbLb0EEEEDaSW_SX_EUlSW_E_NS1_11comp_targetILNS1_3genE8ELNS1_11target_archE1030ELNS1_3gpuE2ELNS1_3repE0EEENS1_30default_config_static_selectorELNS0_4arch9wavefront6targetE1EEEvT1_
; %bb.0:
	.section	.rodata,"a",@progbits
	.p2align	6, 0x0
	.amdhsa_kernel _ZN7rocprim17ROCPRIM_400000_NS6detail17trampoline_kernelINS0_14default_configENS1_27scan_by_key_config_selectorIiyEEZZNS1_16scan_by_key_implILNS1_25lookback_scan_determinismE0ELb0ES3_N6thrust23THRUST_200600_302600_NS6detail15normal_iteratorINS9_10device_ptrIiEEEENSB_INSC_IyEEEESG_yNS9_4plusIvEENS9_8equal_toIvEEyEE10hipError_tPvRmT2_T3_T4_T5_mT6_T7_P12ihipStream_tbENKUlT_T0_E_clISt17integral_constantIbLb1EES10_IbLb0EEEEDaSW_SX_EUlSW_E_NS1_11comp_targetILNS1_3genE8ELNS1_11target_archE1030ELNS1_3gpuE2ELNS1_3repE0EEENS1_30default_config_static_selectorELNS0_4arch9wavefront6targetE1EEEvT1_
		.amdhsa_group_segment_fixed_size 0
		.amdhsa_private_segment_fixed_size 0
		.amdhsa_kernarg_size 136
		.amdhsa_user_sgpr_count 6
		.amdhsa_user_sgpr_private_segment_buffer 1
		.amdhsa_user_sgpr_dispatch_ptr 0
		.amdhsa_user_sgpr_queue_ptr 0
		.amdhsa_user_sgpr_kernarg_segment_ptr 1
		.amdhsa_user_sgpr_dispatch_id 0
		.amdhsa_user_sgpr_flat_scratch_init 0
		.amdhsa_user_sgpr_kernarg_preload_length 0
		.amdhsa_user_sgpr_kernarg_preload_offset 0
		.amdhsa_user_sgpr_private_segment_size 0
		.amdhsa_uses_dynamic_stack 0
		.amdhsa_system_sgpr_private_segment_wavefront_offset 0
		.amdhsa_system_sgpr_workgroup_id_x 1
		.amdhsa_system_sgpr_workgroup_id_y 0
		.amdhsa_system_sgpr_workgroup_id_z 0
		.amdhsa_system_sgpr_workgroup_info 0
		.amdhsa_system_vgpr_workitem_id 0
		.amdhsa_next_free_vgpr 1
		.amdhsa_next_free_sgpr 0
		.amdhsa_accum_offset 4
		.amdhsa_reserve_vcc 0
		.amdhsa_reserve_flat_scratch 0
		.amdhsa_float_round_mode_32 0
		.amdhsa_float_round_mode_16_64 0
		.amdhsa_float_denorm_mode_32 3
		.amdhsa_float_denorm_mode_16_64 3
		.amdhsa_dx10_clamp 1
		.amdhsa_ieee_mode 1
		.amdhsa_fp16_overflow 0
		.amdhsa_tg_split 0
		.amdhsa_exception_fp_ieee_invalid_op 0
		.amdhsa_exception_fp_denorm_src 0
		.amdhsa_exception_fp_ieee_div_zero 0
		.amdhsa_exception_fp_ieee_overflow 0
		.amdhsa_exception_fp_ieee_underflow 0
		.amdhsa_exception_fp_ieee_inexact 0
		.amdhsa_exception_int_div_zero 0
	.end_amdhsa_kernel
	.section	.text._ZN7rocprim17ROCPRIM_400000_NS6detail17trampoline_kernelINS0_14default_configENS1_27scan_by_key_config_selectorIiyEEZZNS1_16scan_by_key_implILNS1_25lookback_scan_determinismE0ELb0ES3_N6thrust23THRUST_200600_302600_NS6detail15normal_iteratorINS9_10device_ptrIiEEEENSB_INSC_IyEEEESG_yNS9_4plusIvEENS9_8equal_toIvEEyEE10hipError_tPvRmT2_T3_T4_T5_mT6_T7_P12ihipStream_tbENKUlT_T0_E_clISt17integral_constantIbLb1EES10_IbLb0EEEEDaSW_SX_EUlSW_E_NS1_11comp_targetILNS1_3genE8ELNS1_11target_archE1030ELNS1_3gpuE2ELNS1_3repE0EEENS1_30default_config_static_selectorELNS0_4arch9wavefront6targetE1EEEvT1_,"axG",@progbits,_ZN7rocprim17ROCPRIM_400000_NS6detail17trampoline_kernelINS0_14default_configENS1_27scan_by_key_config_selectorIiyEEZZNS1_16scan_by_key_implILNS1_25lookback_scan_determinismE0ELb0ES3_N6thrust23THRUST_200600_302600_NS6detail15normal_iteratorINS9_10device_ptrIiEEEENSB_INSC_IyEEEESG_yNS9_4plusIvEENS9_8equal_toIvEEyEE10hipError_tPvRmT2_T3_T4_T5_mT6_T7_P12ihipStream_tbENKUlT_T0_E_clISt17integral_constantIbLb1EES10_IbLb0EEEEDaSW_SX_EUlSW_E_NS1_11comp_targetILNS1_3genE8ELNS1_11target_archE1030ELNS1_3gpuE2ELNS1_3repE0EEENS1_30default_config_static_selectorELNS0_4arch9wavefront6targetE1EEEvT1_,comdat
.Lfunc_end1206:
	.size	_ZN7rocprim17ROCPRIM_400000_NS6detail17trampoline_kernelINS0_14default_configENS1_27scan_by_key_config_selectorIiyEEZZNS1_16scan_by_key_implILNS1_25lookback_scan_determinismE0ELb0ES3_N6thrust23THRUST_200600_302600_NS6detail15normal_iteratorINS9_10device_ptrIiEEEENSB_INSC_IyEEEESG_yNS9_4plusIvEENS9_8equal_toIvEEyEE10hipError_tPvRmT2_T3_T4_T5_mT6_T7_P12ihipStream_tbENKUlT_T0_E_clISt17integral_constantIbLb1EES10_IbLb0EEEEDaSW_SX_EUlSW_E_NS1_11comp_targetILNS1_3genE8ELNS1_11target_archE1030ELNS1_3gpuE2ELNS1_3repE0EEENS1_30default_config_static_selectorELNS0_4arch9wavefront6targetE1EEEvT1_, .Lfunc_end1206-_ZN7rocprim17ROCPRIM_400000_NS6detail17trampoline_kernelINS0_14default_configENS1_27scan_by_key_config_selectorIiyEEZZNS1_16scan_by_key_implILNS1_25lookback_scan_determinismE0ELb0ES3_N6thrust23THRUST_200600_302600_NS6detail15normal_iteratorINS9_10device_ptrIiEEEENSB_INSC_IyEEEESG_yNS9_4plusIvEENS9_8equal_toIvEEyEE10hipError_tPvRmT2_T3_T4_T5_mT6_T7_P12ihipStream_tbENKUlT_T0_E_clISt17integral_constantIbLb1EES10_IbLb0EEEEDaSW_SX_EUlSW_E_NS1_11comp_targetILNS1_3genE8ELNS1_11target_archE1030ELNS1_3gpuE2ELNS1_3repE0EEENS1_30default_config_static_selectorELNS0_4arch9wavefront6targetE1EEEvT1_
                                        ; -- End function
	.section	.AMDGPU.csdata,"",@progbits
; Kernel info:
; codeLenInByte = 0
; NumSgprs: 4
; NumVgprs: 0
; NumAgprs: 0
; TotalNumVgprs: 0
; ScratchSize: 0
; MemoryBound: 0
; FloatMode: 240
; IeeeMode: 1
; LDSByteSize: 0 bytes/workgroup (compile time only)
; SGPRBlocks: 0
; VGPRBlocks: 0
; NumSGPRsForWavesPerEU: 4
; NumVGPRsForWavesPerEU: 1
; AccumOffset: 4
; Occupancy: 8
; WaveLimiterHint : 0
; COMPUTE_PGM_RSRC2:SCRATCH_EN: 0
; COMPUTE_PGM_RSRC2:USER_SGPR: 6
; COMPUTE_PGM_RSRC2:TRAP_HANDLER: 0
; COMPUTE_PGM_RSRC2:TGID_X_EN: 1
; COMPUTE_PGM_RSRC2:TGID_Y_EN: 0
; COMPUTE_PGM_RSRC2:TGID_Z_EN: 0
; COMPUTE_PGM_RSRC2:TIDIG_COMP_CNT: 0
; COMPUTE_PGM_RSRC3_GFX90A:ACCUM_OFFSET: 0
; COMPUTE_PGM_RSRC3_GFX90A:TG_SPLIT: 0
	.section	.text._ZN7rocprim17ROCPRIM_400000_NS6detail30init_device_scan_by_key_kernelINS1_19lookback_scan_stateINS0_5tupleIJybEEELb0ELb0EEEN6thrust23THRUST_200600_302600_NS6detail15normal_iteratorINS8_10device_ptrIiEEEEjNS1_16block_id_wrapperIjLb1EEEEEvT_jjPNSG_10value_typeET0_PNSt15iterator_traitsISJ_E10value_typeEmT1_T2_,"axG",@progbits,_ZN7rocprim17ROCPRIM_400000_NS6detail30init_device_scan_by_key_kernelINS1_19lookback_scan_stateINS0_5tupleIJybEEELb0ELb0EEEN6thrust23THRUST_200600_302600_NS6detail15normal_iteratorINS8_10device_ptrIiEEEEjNS1_16block_id_wrapperIjLb1EEEEEvT_jjPNSG_10value_typeET0_PNSt15iterator_traitsISJ_E10value_typeEmT1_T2_,comdat
	.protected	_ZN7rocprim17ROCPRIM_400000_NS6detail30init_device_scan_by_key_kernelINS1_19lookback_scan_stateINS0_5tupleIJybEEELb0ELb0EEEN6thrust23THRUST_200600_302600_NS6detail15normal_iteratorINS8_10device_ptrIiEEEEjNS1_16block_id_wrapperIjLb1EEEEEvT_jjPNSG_10value_typeET0_PNSt15iterator_traitsISJ_E10value_typeEmT1_T2_ ; -- Begin function _ZN7rocprim17ROCPRIM_400000_NS6detail30init_device_scan_by_key_kernelINS1_19lookback_scan_stateINS0_5tupleIJybEEELb0ELb0EEEN6thrust23THRUST_200600_302600_NS6detail15normal_iteratorINS8_10device_ptrIiEEEEjNS1_16block_id_wrapperIjLb1EEEEEvT_jjPNSG_10value_typeET0_PNSt15iterator_traitsISJ_E10value_typeEmT1_T2_
	.globl	_ZN7rocprim17ROCPRIM_400000_NS6detail30init_device_scan_by_key_kernelINS1_19lookback_scan_stateINS0_5tupleIJybEEELb0ELb0EEEN6thrust23THRUST_200600_302600_NS6detail15normal_iteratorINS8_10device_ptrIiEEEEjNS1_16block_id_wrapperIjLb1EEEEEvT_jjPNSG_10value_typeET0_PNSt15iterator_traitsISJ_E10value_typeEmT1_T2_
	.p2align	8
	.type	_ZN7rocprim17ROCPRIM_400000_NS6detail30init_device_scan_by_key_kernelINS1_19lookback_scan_stateINS0_5tupleIJybEEELb0ELb0EEEN6thrust23THRUST_200600_302600_NS6detail15normal_iteratorINS8_10device_ptrIiEEEEjNS1_16block_id_wrapperIjLb1EEEEEvT_jjPNSG_10value_typeET0_PNSt15iterator_traitsISJ_E10value_typeEmT1_T2_,@function
_ZN7rocprim17ROCPRIM_400000_NS6detail30init_device_scan_by_key_kernelINS1_19lookback_scan_stateINS0_5tupleIJybEEELb0ELb0EEEN6thrust23THRUST_200600_302600_NS6detail15normal_iteratorINS8_10device_ptrIiEEEEjNS1_16block_id_wrapperIjLb1EEEEEvT_jjPNSG_10value_typeET0_PNSt15iterator_traitsISJ_E10value_typeEmT1_T2_: ; @_ZN7rocprim17ROCPRIM_400000_NS6detail30init_device_scan_by_key_kernelINS1_19lookback_scan_stateINS0_5tupleIJybEEELb0ELb0EEEN6thrust23THRUST_200600_302600_NS6detail15normal_iteratorINS8_10device_ptrIiEEEEjNS1_16block_id_wrapperIjLb1EEEEEvT_jjPNSG_10value_typeET0_PNSt15iterator_traitsISJ_E10value_typeEmT1_T2_
; %bb.0:
	s_load_dword s0, s[4:5], 0x5c
	s_load_dwordx8 s[8:15], s[4:5], 0x10
	s_load_dword s20, s[4:5], 0x50
	s_waitcnt lgkmcnt(0)
	s_and_b32 s21, s0, 0xffff
	s_mul_i32 s6, s6, s21
	s_cmp_eq_u64 s[12:13], 0
	v_add_u32_e32 v0, s6, v0
	s_cbranch_scc1 .LBB1207_7
; %bb.1:
	s_cmp_lt_u32 s11, s10
	s_cselect_b32 s0, s11, 0
	s_mov_b32 s17, 0
	v_cmp_eq_u32_e32 vcc, s0, v0
	s_and_saveexec_b64 s[6:7], vcc
	s_cbranch_execz .LBB1207_6
; %bb.2:
	s_add_i32 s16, s11, 64
	v_mov_b32_e32 v1, s16
	global_load_ubyte v1, v1, s[8:9] glc
	s_load_dwordx4 s[0:3], s[4:5], 0x0
	s_add_u32 s18, s8, s16
	s_addc_u32 s19, s9, 0
	s_waitcnt vmcnt(0)
	v_cmp_ne_u16_e32 vcc, 0, v1
	v_readfirstlane_b32 s11, v1
	s_cbranch_vccnz .LBB1207_5
; %bb.3:
	v_mov_b32_e32 v1, 0
.LBB1207_4:                             ; =>This Inner Loop Header: Depth=1
	global_load_ubyte v2, v1, s[18:19] glc
	s_waitcnt vmcnt(0)
	v_cmp_eq_u16_e32 vcc, 0, v2
	v_readfirstlane_b32 s11, v2
	s_cbranch_vccnz .LBB1207_4
.LBB1207_5:
	s_and_b32 s11, 0xffff, s11
	s_cmp_eq_u32 s11, 1
	s_waitcnt lgkmcnt(0)
	s_cselect_b32 s3, s1, s3
	s_cselect_b32 s2, s0, s2
	s_lshl_b64 s[0:1], s[16:17], 4
	s_add_u32 s0, s2, s0
	s_addc_u32 s1, s3, s1
	v_mov_b32_e32 v1, 0
	buffer_wbinvl1_vol
	global_load_dwordx2 v[2:3], v1, s[0:1]
	global_load_ubyte v4, v1, s[0:1] offset:8
	s_waitcnt vmcnt(1)
	global_store_dwordx2 v1, v[2:3], s[12:13]
	s_waitcnt vmcnt(1)
	global_store_byte v1, v4, s[12:13] offset:8
.LBB1207_6:
	s_or_b64 exec, exec, s[6:7]
.LBB1207_7:
	v_cmp_eq_u32_e32 vcc, 0, v0
	s_and_saveexec_b64 s[0:1], vcc
	s_cbranch_execz .LBB1207_9
; %bb.8:
	s_load_dwordx2 s[2:3], s[4:5], 0x48
	v_mov_b32_e32 v1, 0
	s_waitcnt lgkmcnt(0)
	global_store_dword v1, v1, s[2:3]
.LBB1207_9:
	s_or_b64 exec, exec, s[0:1]
	v_cmp_gt_u32_e32 vcc, s10, v0
	s_and_saveexec_b64 s[0:1], vcc
	s_cbranch_execz .LBB1207_11
; %bb.10:
	v_add_u32_e32 v1, 64, v0
	v_mov_b32_e32 v2, 0
	global_store_byte v1, v2, s[8:9]
.LBB1207_11:
	s_or_b64 exec, exec, s[0:1]
	v_cmp_gt_u32_e32 vcc, 64, v0
	v_mov_b32_e32 v1, 0
	s_and_saveexec_b64 s[0:1], vcc
	s_cbranch_execz .LBB1207_13
; %bb.12:
	v_mov_b32_e32 v3, s9
	v_add_co_u32_e32 v2, vcc, s8, v0
	v_addc_co_u32_e32 v3, vcc, 0, v3, vcc
	v_mov_b32_e32 v4, 0xff
	global_store_byte v[2:3], v4, off
.LBB1207_13:
	s_or_b64 exec, exec, s[0:1]
	s_load_dwordx2 s[0:1], s[4:5], 0x38
	s_waitcnt lgkmcnt(0)
	v_cmp_gt_u64_e32 vcc, s[0:1], v[0:1]
	s_and_saveexec_b64 s[2:3], vcc
	s_cbranch_execz .LBB1207_16
; %bb.14:
	s_load_dword s10, s[4:5], 0x40
	s_load_dwordx2 s[6:7], s[4:5], 0x30
	s_mov_b32 s5, 0
	s_mov_b32 s3, s5
	s_mul_i32 s2, s20, s21
	s_waitcnt lgkmcnt(0)
	s_add_i32 s4, s10, -1
	s_lshl_b64 s[4:5], s[4:5], 2
	v_mad_u64_u32 v[2:3], s[8:9], s10, v0, 0
	s_add_u32 s4, s14, s4
	v_lshlrev_b64 v[2:3], 2, v[2:3]
	s_addc_u32 s5, s15, s5
	v_mov_b32_e32 v4, s5
	v_add_co_u32_e32 v2, vcc, s4, v2
	v_addc_co_u32_e32 v3, vcc, v4, v3, vcc
	s_mul_hi_u32 s5, s10, s2
	s_mul_i32 s4, s10, s2
	v_lshlrev_b64 v[4:5], 2, v[0:1]
	s_lshl_b64 s[4:5], s[4:5], 2
	v_mov_b32_e32 v6, s7
	v_add_co_u32_e32 v4, vcc, s6, v4
	s_lshl_b64 s[6:7], s[2:3], 2
	v_addc_co_u32_e32 v5, vcc, v6, v5, vcc
	s_mov_b64 s[8:9], 0
	v_mov_b32_e32 v6, s3
	v_mov_b32_e32 v7, s5
	;; [unrolled: 1-line block ×3, first 2 shown]
.LBB1207_15:                            ; =>This Inner Loop Header: Depth=1
	global_load_dword v9, v[2:3], off
	v_add_co_u32_e32 v0, vcc, s2, v0
	v_addc_co_u32_e32 v1, vcc, v1, v6, vcc
	v_add_co_u32_e32 v2, vcc, s4, v2
	v_addc_co_u32_e32 v3, vcc, v3, v7, vcc
	v_cmp_le_u64_e32 vcc, s[0:1], v[0:1]
	s_or_b64 s[8:9], vcc, s[8:9]
	s_waitcnt vmcnt(0)
	global_store_dword v[4:5], v9, off
	v_add_co_u32_e32 v4, vcc, s6, v4
	v_addc_co_u32_e32 v5, vcc, v5, v8, vcc
	s_andn2_b64 exec, exec, s[8:9]
	s_cbranch_execnz .LBB1207_15
.LBB1207_16:
	s_endpgm
	.section	.rodata,"a",@progbits
	.p2align	6, 0x0
	.amdhsa_kernel _ZN7rocprim17ROCPRIM_400000_NS6detail30init_device_scan_by_key_kernelINS1_19lookback_scan_stateINS0_5tupleIJybEEELb0ELb0EEEN6thrust23THRUST_200600_302600_NS6detail15normal_iteratorINS8_10device_ptrIiEEEEjNS1_16block_id_wrapperIjLb1EEEEEvT_jjPNSG_10value_typeET0_PNSt15iterator_traitsISJ_E10value_typeEmT1_T2_
		.amdhsa_group_segment_fixed_size 0
		.amdhsa_private_segment_fixed_size 0
		.amdhsa_kernarg_size 336
		.amdhsa_user_sgpr_count 6
		.amdhsa_user_sgpr_private_segment_buffer 1
		.amdhsa_user_sgpr_dispatch_ptr 0
		.amdhsa_user_sgpr_queue_ptr 0
		.amdhsa_user_sgpr_kernarg_segment_ptr 1
		.amdhsa_user_sgpr_dispatch_id 0
		.amdhsa_user_sgpr_flat_scratch_init 0
		.amdhsa_user_sgpr_kernarg_preload_length 0
		.amdhsa_user_sgpr_kernarg_preload_offset 0
		.amdhsa_user_sgpr_private_segment_size 0
		.amdhsa_uses_dynamic_stack 0
		.amdhsa_system_sgpr_private_segment_wavefront_offset 0
		.amdhsa_system_sgpr_workgroup_id_x 1
		.amdhsa_system_sgpr_workgroup_id_y 0
		.amdhsa_system_sgpr_workgroup_id_z 0
		.amdhsa_system_sgpr_workgroup_info 0
		.amdhsa_system_vgpr_workitem_id 0
		.amdhsa_next_free_vgpr 10
		.amdhsa_next_free_sgpr 22
		.amdhsa_accum_offset 12
		.amdhsa_reserve_vcc 1
		.amdhsa_reserve_flat_scratch 0
		.amdhsa_float_round_mode_32 0
		.amdhsa_float_round_mode_16_64 0
		.amdhsa_float_denorm_mode_32 3
		.amdhsa_float_denorm_mode_16_64 3
		.amdhsa_dx10_clamp 1
		.amdhsa_ieee_mode 1
		.amdhsa_fp16_overflow 0
		.amdhsa_tg_split 0
		.amdhsa_exception_fp_ieee_invalid_op 0
		.amdhsa_exception_fp_denorm_src 0
		.amdhsa_exception_fp_ieee_div_zero 0
		.amdhsa_exception_fp_ieee_overflow 0
		.amdhsa_exception_fp_ieee_underflow 0
		.amdhsa_exception_fp_ieee_inexact 0
		.amdhsa_exception_int_div_zero 0
	.end_amdhsa_kernel
	.section	.text._ZN7rocprim17ROCPRIM_400000_NS6detail30init_device_scan_by_key_kernelINS1_19lookback_scan_stateINS0_5tupleIJybEEELb0ELb0EEEN6thrust23THRUST_200600_302600_NS6detail15normal_iteratorINS8_10device_ptrIiEEEEjNS1_16block_id_wrapperIjLb1EEEEEvT_jjPNSG_10value_typeET0_PNSt15iterator_traitsISJ_E10value_typeEmT1_T2_,"axG",@progbits,_ZN7rocprim17ROCPRIM_400000_NS6detail30init_device_scan_by_key_kernelINS1_19lookback_scan_stateINS0_5tupleIJybEEELb0ELb0EEEN6thrust23THRUST_200600_302600_NS6detail15normal_iteratorINS8_10device_ptrIiEEEEjNS1_16block_id_wrapperIjLb1EEEEEvT_jjPNSG_10value_typeET0_PNSt15iterator_traitsISJ_E10value_typeEmT1_T2_,comdat
.Lfunc_end1207:
	.size	_ZN7rocprim17ROCPRIM_400000_NS6detail30init_device_scan_by_key_kernelINS1_19lookback_scan_stateINS0_5tupleIJybEEELb0ELb0EEEN6thrust23THRUST_200600_302600_NS6detail15normal_iteratorINS8_10device_ptrIiEEEEjNS1_16block_id_wrapperIjLb1EEEEEvT_jjPNSG_10value_typeET0_PNSt15iterator_traitsISJ_E10value_typeEmT1_T2_, .Lfunc_end1207-_ZN7rocprim17ROCPRIM_400000_NS6detail30init_device_scan_by_key_kernelINS1_19lookback_scan_stateINS0_5tupleIJybEEELb0ELb0EEEN6thrust23THRUST_200600_302600_NS6detail15normal_iteratorINS8_10device_ptrIiEEEEjNS1_16block_id_wrapperIjLb1EEEEEvT_jjPNSG_10value_typeET0_PNSt15iterator_traitsISJ_E10value_typeEmT1_T2_
                                        ; -- End function
	.section	.AMDGPU.csdata,"",@progbits
; Kernel info:
; codeLenInByte = 580
; NumSgprs: 26
; NumVgprs: 10
; NumAgprs: 0
; TotalNumVgprs: 10
; ScratchSize: 0
; MemoryBound: 0
; FloatMode: 240
; IeeeMode: 1
; LDSByteSize: 0 bytes/workgroup (compile time only)
; SGPRBlocks: 3
; VGPRBlocks: 1
; NumSGPRsForWavesPerEU: 26
; NumVGPRsForWavesPerEU: 10
; AccumOffset: 12
; Occupancy: 8
; WaveLimiterHint : 0
; COMPUTE_PGM_RSRC2:SCRATCH_EN: 0
; COMPUTE_PGM_RSRC2:USER_SGPR: 6
; COMPUTE_PGM_RSRC2:TRAP_HANDLER: 0
; COMPUTE_PGM_RSRC2:TGID_X_EN: 1
; COMPUTE_PGM_RSRC2:TGID_Y_EN: 0
; COMPUTE_PGM_RSRC2:TGID_Z_EN: 0
; COMPUTE_PGM_RSRC2:TIDIG_COMP_CNT: 0
; COMPUTE_PGM_RSRC3_GFX90A:ACCUM_OFFSET: 2
; COMPUTE_PGM_RSRC3_GFX90A:TG_SPLIT: 0
	.section	.text._ZN7rocprim17ROCPRIM_400000_NS6detail30init_device_scan_by_key_kernelINS1_19lookback_scan_stateINS0_5tupleIJybEEELb0ELb0EEENS1_16block_id_wrapperIjLb1EEEEEvT_jjPNS9_10value_typeET0_,"axG",@progbits,_ZN7rocprim17ROCPRIM_400000_NS6detail30init_device_scan_by_key_kernelINS1_19lookback_scan_stateINS0_5tupleIJybEEELb0ELb0EEENS1_16block_id_wrapperIjLb1EEEEEvT_jjPNS9_10value_typeET0_,comdat
	.protected	_ZN7rocprim17ROCPRIM_400000_NS6detail30init_device_scan_by_key_kernelINS1_19lookback_scan_stateINS0_5tupleIJybEEELb0ELb0EEENS1_16block_id_wrapperIjLb1EEEEEvT_jjPNS9_10value_typeET0_ ; -- Begin function _ZN7rocprim17ROCPRIM_400000_NS6detail30init_device_scan_by_key_kernelINS1_19lookback_scan_stateINS0_5tupleIJybEEELb0ELb0EEENS1_16block_id_wrapperIjLb1EEEEEvT_jjPNS9_10value_typeET0_
	.globl	_ZN7rocprim17ROCPRIM_400000_NS6detail30init_device_scan_by_key_kernelINS1_19lookback_scan_stateINS0_5tupleIJybEEELb0ELb0EEENS1_16block_id_wrapperIjLb1EEEEEvT_jjPNS9_10value_typeET0_
	.p2align	8
	.type	_ZN7rocprim17ROCPRIM_400000_NS6detail30init_device_scan_by_key_kernelINS1_19lookback_scan_stateINS0_5tupleIJybEEELb0ELb0EEENS1_16block_id_wrapperIjLb1EEEEEvT_jjPNS9_10value_typeET0_,@function
_ZN7rocprim17ROCPRIM_400000_NS6detail30init_device_scan_by_key_kernelINS1_19lookback_scan_stateINS0_5tupleIJybEEELb0ELb0EEENS1_16block_id_wrapperIjLb1EEEEEvT_jjPNS9_10value_typeET0_: ; @_ZN7rocprim17ROCPRIM_400000_NS6detail30init_device_scan_by_key_kernelINS1_19lookback_scan_stateINS0_5tupleIJybEEELb0ELb0EEENS1_16block_id_wrapperIjLb1EEEEEvT_jjPNS9_10value_typeET0_
; %bb.0:
	s_load_dword s0, s[4:5], 0x3c
	s_load_dwordx8 s[8:15], s[4:5], 0x10
	s_waitcnt lgkmcnt(0)
	s_and_b32 s0, s0, 0xffff
	s_mul_i32 s6, s6, s0
	s_cmp_eq_u64 s[12:13], 0
	v_add_u32_e32 v0, s6, v0
	s_cbranch_scc1 .LBB1208_7
; %bb.1:
	s_cmp_lt_u32 s11, s10
	s_cselect_b32 s0, s11, 0
	s_mov_b32 s17, 0
	v_cmp_eq_u32_e32 vcc, s0, v0
	s_and_saveexec_b64 s[6:7], vcc
	s_cbranch_execz .LBB1208_6
; %bb.2:
	s_add_i32 s16, s11, 64
	v_mov_b32_e32 v1, s16
	global_load_ubyte v1, v1, s[8:9] glc
	s_load_dwordx4 s[0:3], s[4:5], 0x0
	s_add_u32 s4, s8, s16
	s_addc_u32 s5, s9, 0
	s_waitcnt vmcnt(0)
	v_cmp_ne_u16_e32 vcc, 0, v1
	v_readfirstlane_b32 s11, v1
	s_cbranch_vccnz .LBB1208_5
; %bb.3:
	v_mov_b32_e32 v1, 0
.LBB1208_4:                             ; =>This Inner Loop Header: Depth=1
	global_load_ubyte v2, v1, s[4:5] glc
	s_waitcnt vmcnt(0)
	v_cmp_eq_u16_e32 vcc, 0, v2
	v_readfirstlane_b32 s11, v2
	s_cbranch_vccnz .LBB1208_4
.LBB1208_5:
	s_and_b32 s4, 0xffff, s11
	s_cmp_eq_u32 s4, 1
	s_waitcnt lgkmcnt(0)
	s_cselect_b32 s3, s1, s3
	s_cselect_b32 s2, s0, s2
	s_lshl_b64 s[0:1], s[16:17], 4
	s_add_u32 s0, s2, s0
	s_addc_u32 s1, s3, s1
	v_mov_b32_e32 v1, 0
	buffer_wbinvl1_vol
	global_load_dwordx2 v[2:3], v1, s[0:1]
	global_load_ubyte v4, v1, s[0:1] offset:8
	s_waitcnt vmcnt(1)
	global_store_dwordx2 v1, v[2:3], s[12:13]
	s_waitcnt vmcnt(1)
	global_store_byte v1, v4, s[12:13] offset:8
.LBB1208_6:
	s_or_b64 exec, exec, s[6:7]
.LBB1208_7:
	v_cmp_eq_u32_e32 vcc, 0, v0
	s_and_saveexec_b64 s[0:1], vcc
	s_cbranch_execnz .LBB1208_11
; %bb.8:
	s_or_b64 exec, exec, s[0:1]
	v_cmp_gt_u32_e32 vcc, s10, v0
	s_and_saveexec_b64 s[0:1], vcc
	s_cbranch_execnz .LBB1208_12
.LBB1208_9:
	s_or_b64 exec, exec, s[0:1]
	v_cmp_gt_u32_e32 vcc, 64, v0
	s_and_saveexec_b64 s[0:1], vcc
	s_cbranch_execnz .LBB1208_13
.LBB1208_10:
	s_endpgm
.LBB1208_11:
	v_mov_b32_e32 v1, 0
	global_store_dword v1, v1, s[14:15]
	s_or_b64 exec, exec, s[0:1]
	v_cmp_gt_u32_e32 vcc, s10, v0
	s_and_saveexec_b64 s[0:1], vcc
	s_cbranch_execz .LBB1208_9
.LBB1208_12:
	v_add_u32_e32 v1, 64, v0
	v_mov_b32_e32 v2, 0
	global_store_byte v1, v2, s[8:9]
	s_or_b64 exec, exec, s[0:1]
	v_cmp_gt_u32_e32 vcc, 64, v0
	s_and_saveexec_b64 s[0:1], vcc
	s_cbranch_execz .LBB1208_10
.LBB1208_13:
	v_mov_b32_e32 v1, 0xff
	global_store_byte v0, v1, s[8:9]
	s_endpgm
	.section	.rodata,"a",@progbits
	.p2align	6, 0x0
	.amdhsa_kernel _ZN7rocprim17ROCPRIM_400000_NS6detail30init_device_scan_by_key_kernelINS1_19lookback_scan_stateINS0_5tupleIJybEEELb0ELb0EEENS1_16block_id_wrapperIjLb1EEEEEvT_jjPNS9_10value_typeET0_
		.amdhsa_group_segment_fixed_size 0
		.amdhsa_private_segment_fixed_size 0
		.amdhsa_kernarg_size 304
		.amdhsa_user_sgpr_count 6
		.amdhsa_user_sgpr_private_segment_buffer 1
		.amdhsa_user_sgpr_dispatch_ptr 0
		.amdhsa_user_sgpr_queue_ptr 0
		.amdhsa_user_sgpr_kernarg_segment_ptr 1
		.amdhsa_user_sgpr_dispatch_id 0
		.amdhsa_user_sgpr_flat_scratch_init 0
		.amdhsa_user_sgpr_kernarg_preload_length 0
		.amdhsa_user_sgpr_kernarg_preload_offset 0
		.amdhsa_user_sgpr_private_segment_size 0
		.amdhsa_uses_dynamic_stack 0
		.amdhsa_system_sgpr_private_segment_wavefront_offset 0
		.amdhsa_system_sgpr_workgroup_id_x 1
		.amdhsa_system_sgpr_workgroup_id_y 0
		.amdhsa_system_sgpr_workgroup_id_z 0
		.amdhsa_system_sgpr_workgroup_info 0
		.amdhsa_system_vgpr_workitem_id 0
		.amdhsa_next_free_vgpr 5
		.amdhsa_next_free_sgpr 18
		.amdhsa_accum_offset 8
		.amdhsa_reserve_vcc 1
		.amdhsa_reserve_flat_scratch 0
		.amdhsa_float_round_mode_32 0
		.amdhsa_float_round_mode_16_64 0
		.amdhsa_float_denorm_mode_32 3
		.amdhsa_float_denorm_mode_16_64 3
		.amdhsa_dx10_clamp 1
		.amdhsa_ieee_mode 1
		.amdhsa_fp16_overflow 0
		.amdhsa_tg_split 0
		.amdhsa_exception_fp_ieee_invalid_op 0
		.amdhsa_exception_fp_denorm_src 0
		.amdhsa_exception_fp_ieee_div_zero 0
		.amdhsa_exception_fp_ieee_overflow 0
		.amdhsa_exception_fp_ieee_underflow 0
		.amdhsa_exception_fp_ieee_inexact 0
		.amdhsa_exception_int_div_zero 0
	.end_amdhsa_kernel
	.section	.text._ZN7rocprim17ROCPRIM_400000_NS6detail30init_device_scan_by_key_kernelINS1_19lookback_scan_stateINS0_5tupleIJybEEELb0ELb0EEENS1_16block_id_wrapperIjLb1EEEEEvT_jjPNS9_10value_typeET0_,"axG",@progbits,_ZN7rocprim17ROCPRIM_400000_NS6detail30init_device_scan_by_key_kernelINS1_19lookback_scan_stateINS0_5tupleIJybEEELb0ELb0EEENS1_16block_id_wrapperIjLb1EEEEEvT_jjPNS9_10value_typeET0_,comdat
.Lfunc_end1208:
	.size	_ZN7rocprim17ROCPRIM_400000_NS6detail30init_device_scan_by_key_kernelINS1_19lookback_scan_stateINS0_5tupleIJybEEELb0ELb0EEENS1_16block_id_wrapperIjLb1EEEEEvT_jjPNS9_10value_typeET0_, .Lfunc_end1208-_ZN7rocprim17ROCPRIM_400000_NS6detail30init_device_scan_by_key_kernelINS1_19lookback_scan_stateINS0_5tupleIJybEEELb0ELb0EEENS1_16block_id_wrapperIjLb1EEEEEvT_jjPNS9_10value_typeET0_
                                        ; -- End function
	.section	.AMDGPU.csdata,"",@progbits
; Kernel info:
; codeLenInByte = 364
; NumSgprs: 22
; NumVgprs: 5
; NumAgprs: 0
; TotalNumVgprs: 5
; ScratchSize: 0
; MemoryBound: 0
; FloatMode: 240
; IeeeMode: 1
; LDSByteSize: 0 bytes/workgroup (compile time only)
; SGPRBlocks: 2
; VGPRBlocks: 0
; NumSGPRsForWavesPerEU: 22
; NumVGPRsForWavesPerEU: 5
; AccumOffset: 8
; Occupancy: 8
; WaveLimiterHint : 0
; COMPUTE_PGM_RSRC2:SCRATCH_EN: 0
; COMPUTE_PGM_RSRC2:USER_SGPR: 6
; COMPUTE_PGM_RSRC2:TRAP_HANDLER: 0
; COMPUTE_PGM_RSRC2:TGID_X_EN: 1
; COMPUTE_PGM_RSRC2:TGID_Y_EN: 0
; COMPUTE_PGM_RSRC2:TGID_Z_EN: 0
; COMPUTE_PGM_RSRC2:TIDIG_COMP_CNT: 0
; COMPUTE_PGM_RSRC3_GFX90A:ACCUM_OFFSET: 1
; COMPUTE_PGM_RSRC3_GFX90A:TG_SPLIT: 0
	.section	.text._ZN7rocprim17ROCPRIM_400000_NS6detail17trampoline_kernelINS0_14default_configENS1_27scan_by_key_config_selectorIiyEEZZNS1_16scan_by_key_implILNS1_25lookback_scan_determinismE0ELb0ES3_N6thrust23THRUST_200600_302600_NS6detail15normal_iteratorINS9_10device_ptrIiEEEENSB_INSC_IyEEEESG_yNS9_4plusIvEENS9_8equal_toIvEEyEE10hipError_tPvRmT2_T3_T4_T5_mT6_T7_P12ihipStream_tbENKUlT_T0_E_clISt17integral_constantIbLb0EES10_IbLb1EEEEDaSW_SX_EUlSW_E_NS1_11comp_targetILNS1_3genE0ELNS1_11target_archE4294967295ELNS1_3gpuE0ELNS1_3repE0EEENS1_30default_config_static_selectorELNS0_4arch9wavefront6targetE1EEEvT1_,"axG",@progbits,_ZN7rocprim17ROCPRIM_400000_NS6detail17trampoline_kernelINS0_14default_configENS1_27scan_by_key_config_selectorIiyEEZZNS1_16scan_by_key_implILNS1_25lookback_scan_determinismE0ELb0ES3_N6thrust23THRUST_200600_302600_NS6detail15normal_iteratorINS9_10device_ptrIiEEEENSB_INSC_IyEEEESG_yNS9_4plusIvEENS9_8equal_toIvEEyEE10hipError_tPvRmT2_T3_T4_T5_mT6_T7_P12ihipStream_tbENKUlT_T0_E_clISt17integral_constantIbLb0EES10_IbLb1EEEEDaSW_SX_EUlSW_E_NS1_11comp_targetILNS1_3genE0ELNS1_11target_archE4294967295ELNS1_3gpuE0ELNS1_3repE0EEENS1_30default_config_static_selectorELNS0_4arch9wavefront6targetE1EEEvT1_,comdat
	.protected	_ZN7rocprim17ROCPRIM_400000_NS6detail17trampoline_kernelINS0_14default_configENS1_27scan_by_key_config_selectorIiyEEZZNS1_16scan_by_key_implILNS1_25lookback_scan_determinismE0ELb0ES3_N6thrust23THRUST_200600_302600_NS6detail15normal_iteratorINS9_10device_ptrIiEEEENSB_INSC_IyEEEESG_yNS9_4plusIvEENS9_8equal_toIvEEyEE10hipError_tPvRmT2_T3_T4_T5_mT6_T7_P12ihipStream_tbENKUlT_T0_E_clISt17integral_constantIbLb0EES10_IbLb1EEEEDaSW_SX_EUlSW_E_NS1_11comp_targetILNS1_3genE0ELNS1_11target_archE4294967295ELNS1_3gpuE0ELNS1_3repE0EEENS1_30default_config_static_selectorELNS0_4arch9wavefront6targetE1EEEvT1_ ; -- Begin function _ZN7rocprim17ROCPRIM_400000_NS6detail17trampoline_kernelINS0_14default_configENS1_27scan_by_key_config_selectorIiyEEZZNS1_16scan_by_key_implILNS1_25lookback_scan_determinismE0ELb0ES3_N6thrust23THRUST_200600_302600_NS6detail15normal_iteratorINS9_10device_ptrIiEEEENSB_INSC_IyEEEESG_yNS9_4plusIvEENS9_8equal_toIvEEyEE10hipError_tPvRmT2_T3_T4_T5_mT6_T7_P12ihipStream_tbENKUlT_T0_E_clISt17integral_constantIbLb0EES10_IbLb1EEEEDaSW_SX_EUlSW_E_NS1_11comp_targetILNS1_3genE0ELNS1_11target_archE4294967295ELNS1_3gpuE0ELNS1_3repE0EEENS1_30default_config_static_selectorELNS0_4arch9wavefront6targetE1EEEvT1_
	.globl	_ZN7rocprim17ROCPRIM_400000_NS6detail17trampoline_kernelINS0_14default_configENS1_27scan_by_key_config_selectorIiyEEZZNS1_16scan_by_key_implILNS1_25lookback_scan_determinismE0ELb0ES3_N6thrust23THRUST_200600_302600_NS6detail15normal_iteratorINS9_10device_ptrIiEEEENSB_INSC_IyEEEESG_yNS9_4plusIvEENS9_8equal_toIvEEyEE10hipError_tPvRmT2_T3_T4_T5_mT6_T7_P12ihipStream_tbENKUlT_T0_E_clISt17integral_constantIbLb0EES10_IbLb1EEEEDaSW_SX_EUlSW_E_NS1_11comp_targetILNS1_3genE0ELNS1_11target_archE4294967295ELNS1_3gpuE0ELNS1_3repE0EEENS1_30default_config_static_selectorELNS0_4arch9wavefront6targetE1EEEvT1_
	.p2align	8
	.type	_ZN7rocprim17ROCPRIM_400000_NS6detail17trampoline_kernelINS0_14default_configENS1_27scan_by_key_config_selectorIiyEEZZNS1_16scan_by_key_implILNS1_25lookback_scan_determinismE0ELb0ES3_N6thrust23THRUST_200600_302600_NS6detail15normal_iteratorINS9_10device_ptrIiEEEENSB_INSC_IyEEEESG_yNS9_4plusIvEENS9_8equal_toIvEEyEE10hipError_tPvRmT2_T3_T4_T5_mT6_T7_P12ihipStream_tbENKUlT_T0_E_clISt17integral_constantIbLb0EES10_IbLb1EEEEDaSW_SX_EUlSW_E_NS1_11comp_targetILNS1_3genE0ELNS1_11target_archE4294967295ELNS1_3gpuE0ELNS1_3repE0EEENS1_30default_config_static_selectorELNS0_4arch9wavefront6targetE1EEEvT1_,@function
_ZN7rocprim17ROCPRIM_400000_NS6detail17trampoline_kernelINS0_14default_configENS1_27scan_by_key_config_selectorIiyEEZZNS1_16scan_by_key_implILNS1_25lookback_scan_determinismE0ELb0ES3_N6thrust23THRUST_200600_302600_NS6detail15normal_iteratorINS9_10device_ptrIiEEEENSB_INSC_IyEEEESG_yNS9_4plusIvEENS9_8equal_toIvEEyEE10hipError_tPvRmT2_T3_T4_T5_mT6_T7_P12ihipStream_tbENKUlT_T0_E_clISt17integral_constantIbLb0EES10_IbLb1EEEEDaSW_SX_EUlSW_E_NS1_11comp_targetILNS1_3genE0ELNS1_11target_archE4294967295ELNS1_3gpuE0ELNS1_3repE0EEENS1_30default_config_static_selectorELNS0_4arch9wavefront6targetE1EEEvT1_: ; @_ZN7rocprim17ROCPRIM_400000_NS6detail17trampoline_kernelINS0_14default_configENS1_27scan_by_key_config_selectorIiyEEZZNS1_16scan_by_key_implILNS1_25lookback_scan_determinismE0ELb0ES3_N6thrust23THRUST_200600_302600_NS6detail15normal_iteratorINS9_10device_ptrIiEEEENSB_INSC_IyEEEESG_yNS9_4plusIvEENS9_8equal_toIvEEyEE10hipError_tPvRmT2_T3_T4_T5_mT6_T7_P12ihipStream_tbENKUlT_T0_E_clISt17integral_constantIbLb0EES10_IbLb1EEEEDaSW_SX_EUlSW_E_NS1_11comp_targetILNS1_3genE0ELNS1_11target_archE4294967295ELNS1_3gpuE0ELNS1_3repE0EEENS1_30default_config_static_selectorELNS0_4arch9wavefront6targetE1EEEvT1_
; %bb.0:
	.section	.rodata,"a",@progbits
	.p2align	6, 0x0
	.amdhsa_kernel _ZN7rocprim17ROCPRIM_400000_NS6detail17trampoline_kernelINS0_14default_configENS1_27scan_by_key_config_selectorIiyEEZZNS1_16scan_by_key_implILNS1_25lookback_scan_determinismE0ELb0ES3_N6thrust23THRUST_200600_302600_NS6detail15normal_iteratorINS9_10device_ptrIiEEEENSB_INSC_IyEEEESG_yNS9_4plusIvEENS9_8equal_toIvEEyEE10hipError_tPvRmT2_T3_T4_T5_mT6_T7_P12ihipStream_tbENKUlT_T0_E_clISt17integral_constantIbLb0EES10_IbLb1EEEEDaSW_SX_EUlSW_E_NS1_11comp_targetILNS1_3genE0ELNS1_11target_archE4294967295ELNS1_3gpuE0ELNS1_3repE0EEENS1_30default_config_static_selectorELNS0_4arch9wavefront6targetE1EEEvT1_
		.amdhsa_group_segment_fixed_size 0
		.amdhsa_private_segment_fixed_size 0
		.amdhsa_kernarg_size 136
		.amdhsa_user_sgpr_count 6
		.amdhsa_user_sgpr_private_segment_buffer 1
		.amdhsa_user_sgpr_dispatch_ptr 0
		.amdhsa_user_sgpr_queue_ptr 0
		.amdhsa_user_sgpr_kernarg_segment_ptr 1
		.amdhsa_user_sgpr_dispatch_id 0
		.amdhsa_user_sgpr_flat_scratch_init 0
		.amdhsa_user_sgpr_kernarg_preload_length 0
		.amdhsa_user_sgpr_kernarg_preload_offset 0
		.amdhsa_user_sgpr_private_segment_size 0
		.amdhsa_uses_dynamic_stack 0
		.amdhsa_system_sgpr_private_segment_wavefront_offset 0
		.amdhsa_system_sgpr_workgroup_id_x 1
		.amdhsa_system_sgpr_workgroup_id_y 0
		.amdhsa_system_sgpr_workgroup_id_z 0
		.amdhsa_system_sgpr_workgroup_info 0
		.amdhsa_system_vgpr_workitem_id 0
		.amdhsa_next_free_vgpr 1
		.amdhsa_next_free_sgpr 0
		.amdhsa_accum_offset 4
		.amdhsa_reserve_vcc 0
		.amdhsa_reserve_flat_scratch 0
		.amdhsa_float_round_mode_32 0
		.amdhsa_float_round_mode_16_64 0
		.amdhsa_float_denorm_mode_32 3
		.amdhsa_float_denorm_mode_16_64 3
		.amdhsa_dx10_clamp 1
		.amdhsa_ieee_mode 1
		.amdhsa_fp16_overflow 0
		.amdhsa_tg_split 0
		.amdhsa_exception_fp_ieee_invalid_op 0
		.amdhsa_exception_fp_denorm_src 0
		.amdhsa_exception_fp_ieee_div_zero 0
		.amdhsa_exception_fp_ieee_overflow 0
		.amdhsa_exception_fp_ieee_underflow 0
		.amdhsa_exception_fp_ieee_inexact 0
		.amdhsa_exception_int_div_zero 0
	.end_amdhsa_kernel
	.section	.text._ZN7rocprim17ROCPRIM_400000_NS6detail17trampoline_kernelINS0_14default_configENS1_27scan_by_key_config_selectorIiyEEZZNS1_16scan_by_key_implILNS1_25lookback_scan_determinismE0ELb0ES3_N6thrust23THRUST_200600_302600_NS6detail15normal_iteratorINS9_10device_ptrIiEEEENSB_INSC_IyEEEESG_yNS9_4plusIvEENS9_8equal_toIvEEyEE10hipError_tPvRmT2_T3_T4_T5_mT6_T7_P12ihipStream_tbENKUlT_T0_E_clISt17integral_constantIbLb0EES10_IbLb1EEEEDaSW_SX_EUlSW_E_NS1_11comp_targetILNS1_3genE0ELNS1_11target_archE4294967295ELNS1_3gpuE0ELNS1_3repE0EEENS1_30default_config_static_selectorELNS0_4arch9wavefront6targetE1EEEvT1_,"axG",@progbits,_ZN7rocprim17ROCPRIM_400000_NS6detail17trampoline_kernelINS0_14default_configENS1_27scan_by_key_config_selectorIiyEEZZNS1_16scan_by_key_implILNS1_25lookback_scan_determinismE0ELb0ES3_N6thrust23THRUST_200600_302600_NS6detail15normal_iteratorINS9_10device_ptrIiEEEENSB_INSC_IyEEEESG_yNS9_4plusIvEENS9_8equal_toIvEEyEE10hipError_tPvRmT2_T3_T4_T5_mT6_T7_P12ihipStream_tbENKUlT_T0_E_clISt17integral_constantIbLb0EES10_IbLb1EEEEDaSW_SX_EUlSW_E_NS1_11comp_targetILNS1_3genE0ELNS1_11target_archE4294967295ELNS1_3gpuE0ELNS1_3repE0EEENS1_30default_config_static_selectorELNS0_4arch9wavefront6targetE1EEEvT1_,comdat
.Lfunc_end1209:
	.size	_ZN7rocprim17ROCPRIM_400000_NS6detail17trampoline_kernelINS0_14default_configENS1_27scan_by_key_config_selectorIiyEEZZNS1_16scan_by_key_implILNS1_25lookback_scan_determinismE0ELb0ES3_N6thrust23THRUST_200600_302600_NS6detail15normal_iteratorINS9_10device_ptrIiEEEENSB_INSC_IyEEEESG_yNS9_4plusIvEENS9_8equal_toIvEEyEE10hipError_tPvRmT2_T3_T4_T5_mT6_T7_P12ihipStream_tbENKUlT_T0_E_clISt17integral_constantIbLb0EES10_IbLb1EEEEDaSW_SX_EUlSW_E_NS1_11comp_targetILNS1_3genE0ELNS1_11target_archE4294967295ELNS1_3gpuE0ELNS1_3repE0EEENS1_30default_config_static_selectorELNS0_4arch9wavefront6targetE1EEEvT1_, .Lfunc_end1209-_ZN7rocprim17ROCPRIM_400000_NS6detail17trampoline_kernelINS0_14default_configENS1_27scan_by_key_config_selectorIiyEEZZNS1_16scan_by_key_implILNS1_25lookback_scan_determinismE0ELb0ES3_N6thrust23THRUST_200600_302600_NS6detail15normal_iteratorINS9_10device_ptrIiEEEENSB_INSC_IyEEEESG_yNS9_4plusIvEENS9_8equal_toIvEEyEE10hipError_tPvRmT2_T3_T4_T5_mT6_T7_P12ihipStream_tbENKUlT_T0_E_clISt17integral_constantIbLb0EES10_IbLb1EEEEDaSW_SX_EUlSW_E_NS1_11comp_targetILNS1_3genE0ELNS1_11target_archE4294967295ELNS1_3gpuE0ELNS1_3repE0EEENS1_30default_config_static_selectorELNS0_4arch9wavefront6targetE1EEEvT1_
                                        ; -- End function
	.section	.AMDGPU.csdata,"",@progbits
; Kernel info:
; codeLenInByte = 0
; NumSgprs: 4
; NumVgprs: 0
; NumAgprs: 0
; TotalNumVgprs: 0
; ScratchSize: 0
; MemoryBound: 0
; FloatMode: 240
; IeeeMode: 1
; LDSByteSize: 0 bytes/workgroup (compile time only)
; SGPRBlocks: 0
; VGPRBlocks: 0
; NumSGPRsForWavesPerEU: 4
; NumVGPRsForWavesPerEU: 1
; AccumOffset: 4
; Occupancy: 8
; WaveLimiterHint : 0
; COMPUTE_PGM_RSRC2:SCRATCH_EN: 0
; COMPUTE_PGM_RSRC2:USER_SGPR: 6
; COMPUTE_PGM_RSRC2:TRAP_HANDLER: 0
; COMPUTE_PGM_RSRC2:TGID_X_EN: 1
; COMPUTE_PGM_RSRC2:TGID_Y_EN: 0
; COMPUTE_PGM_RSRC2:TGID_Z_EN: 0
; COMPUTE_PGM_RSRC2:TIDIG_COMP_CNT: 0
; COMPUTE_PGM_RSRC3_GFX90A:ACCUM_OFFSET: 0
; COMPUTE_PGM_RSRC3_GFX90A:TG_SPLIT: 0
	.section	.text._ZN7rocprim17ROCPRIM_400000_NS6detail17trampoline_kernelINS0_14default_configENS1_27scan_by_key_config_selectorIiyEEZZNS1_16scan_by_key_implILNS1_25lookback_scan_determinismE0ELb0ES3_N6thrust23THRUST_200600_302600_NS6detail15normal_iteratorINS9_10device_ptrIiEEEENSB_INSC_IyEEEESG_yNS9_4plusIvEENS9_8equal_toIvEEyEE10hipError_tPvRmT2_T3_T4_T5_mT6_T7_P12ihipStream_tbENKUlT_T0_E_clISt17integral_constantIbLb0EES10_IbLb1EEEEDaSW_SX_EUlSW_E_NS1_11comp_targetILNS1_3genE10ELNS1_11target_archE1201ELNS1_3gpuE5ELNS1_3repE0EEENS1_30default_config_static_selectorELNS0_4arch9wavefront6targetE1EEEvT1_,"axG",@progbits,_ZN7rocprim17ROCPRIM_400000_NS6detail17trampoline_kernelINS0_14default_configENS1_27scan_by_key_config_selectorIiyEEZZNS1_16scan_by_key_implILNS1_25lookback_scan_determinismE0ELb0ES3_N6thrust23THRUST_200600_302600_NS6detail15normal_iteratorINS9_10device_ptrIiEEEENSB_INSC_IyEEEESG_yNS9_4plusIvEENS9_8equal_toIvEEyEE10hipError_tPvRmT2_T3_T4_T5_mT6_T7_P12ihipStream_tbENKUlT_T0_E_clISt17integral_constantIbLb0EES10_IbLb1EEEEDaSW_SX_EUlSW_E_NS1_11comp_targetILNS1_3genE10ELNS1_11target_archE1201ELNS1_3gpuE5ELNS1_3repE0EEENS1_30default_config_static_selectorELNS0_4arch9wavefront6targetE1EEEvT1_,comdat
	.protected	_ZN7rocprim17ROCPRIM_400000_NS6detail17trampoline_kernelINS0_14default_configENS1_27scan_by_key_config_selectorIiyEEZZNS1_16scan_by_key_implILNS1_25lookback_scan_determinismE0ELb0ES3_N6thrust23THRUST_200600_302600_NS6detail15normal_iteratorINS9_10device_ptrIiEEEENSB_INSC_IyEEEESG_yNS9_4plusIvEENS9_8equal_toIvEEyEE10hipError_tPvRmT2_T3_T4_T5_mT6_T7_P12ihipStream_tbENKUlT_T0_E_clISt17integral_constantIbLb0EES10_IbLb1EEEEDaSW_SX_EUlSW_E_NS1_11comp_targetILNS1_3genE10ELNS1_11target_archE1201ELNS1_3gpuE5ELNS1_3repE0EEENS1_30default_config_static_selectorELNS0_4arch9wavefront6targetE1EEEvT1_ ; -- Begin function _ZN7rocprim17ROCPRIM_400000_NS6detail17trampoline_kernelINS0_14default_configENS1_27scan_by_key_config_selectorIiyEEZZNS1_16scan_by_key_implILNS1_25lookback_scan_determinismE0ELb0ES3_N6thrust23THRUST_200600_302600_NS6detail15normal_iteratorINS9_10device_ptrIiEEEENSB_INSC_IyEEEESG_yNS9_4plusIvEENS9_8equal_toIvEEyEE10hipError_tPvRmT2_T3_T4_T5_mT6_T7_P12ihipStream_tbENKUlT_T0_E_clISt17integral_constantIbLb0EES10_IbLb1EEEEDaSW_SX_EUlSW_E_NS1_11comp_targetILNS1_3genE10ELNS1_11target_archE1201ELNS1_3gpuE5ELNS1_3repE0EEENS1_30default_config_static_selectorELNS0_4arch9wavefront6targetE1EEEvT1_
	.globl	_ZN7rocprim17ROCPRIM_400000_NS6detail17trampoline_kernelINS0_14default_configENS1_27scan_by_key_config_selectorIiyEEZZNS1_16scan_by_key_implILNS1_25lookback_scan_determinismE0ELb0ES3_N6thrust23THRUST_200600_302600_NS6detail15normal_iteratorINS9_10device_ptrIiEEEENSB_INSC_IyEEEESG_yNS9_4plusIvEENS9_8equal_toIvEEyEE10hipError_tPvRmT2_T3_T4_T5_mT6_T7_P12ihipStream_tbENKUlT_T0_E_clISt17integral_constantIbLb0EES10_IbLb1EEEEDaSW_SX_EUlSW_E_NS1_11comp_targetILNS1_3genE10ELNS1_11target_archE1201ELNS1_3gpuE5ELNS1_3repE0EEENS1_30default_config_static_selectorELNS0_4arch9wavefront6targetE1EEEvT1_
	.p2align	8
	.type	_ZN7rocprim17ROCPRIM_400000_NS6detail17trampoline_kernelINS0_14default_configENS1_27scan_by_key_config_selectorIiyEEZZNS1_16scan_by_key_implILNS1_25lookback_scan_determinismE0ELb0ES3_N6thrust23THRUST_200600_302600_NS6detail15normal_iteratorINS9_10device_ptrIiEEEENSB_INSC_IyEEEESG_yNS9_4plusIvEENS9_8equal_toIvEEyEE10hipError_tPvRmT2_T3_T4_T5_mT6_T7_P12ihipStream_tbENKUlT_T0_E_clISt17integral_constantIbLb0EES10_IbLb1EEEEDaSW_SX_EUlSW_E_NS1_11comp_targetILNS1_3genE10ELNS1_11target_archE1201ELNS1_3gpuE5ELNS1_3repE0EEENS1_30default_config_static_selectorELNS0_4arch9wavefront6targetE1EEEvT1_,@function
_ZN7rocprim17ROCPRIM_400000_NS6detail17trampoline_kernelINS0_14default_configENS1_27scan_by_key_config_selectorIiyEEZZNS1_16scan_by_key_implILNS1_25lookback_scan_determinismE0ELb0ES3_N6thrust23THRUST_200600_302600_NS6detail15normal_iteratorINS9_10device_ptrIiEEEENSB_INSC_IyEEEESG_yNS9_4plusIvEENS9_8equal_toIvEEyEE10hipError_tPvRmT2_T3_T4_T5_mT6_T7_P12ihipStream_tbENKUlT_T0_E_clISt17integral_constantIbLb0EES10_IbLb1EEEEDaSW_SX_EUlSW_E_NS1_11comp_targetILNS1_3genE10ELNS1_11target_archE1201ELNS1_3gpuE5ELNS1_3repE0EEENS1_30default_config_static_selectorELNS0_4arch9wavefront6targetE1EEEvT1_: ; @_ZN7rocprim17ROCPRIM_400000_NS6detail17trampoline_kernelINS0_14default_configENS1_27scan_by_key_config_selectorIiyEEZZNS1_16scan_by_key_implILNS1_25lookback_scan_determinismE0ELb0ES3_N6thrust23THRUST_200600_302600_NS6detail15normal_iteratorINS9_10device_ptrIiEEEENSB_INSC_IyEEEESG_yNS9_4plusIvEENS9_8equal_toIvEEyEE10hipError_tPvRmT2_T3_T4_T5_mT6_T7_P12ihipStream_tbENKUlT_T0_E_clISt17integral_constantIbLb0EES10_IbLb1EEEEDaSW_SX_EUlSW_E_NS1_11comp_targetILNS1_3genE10ELNS1_11target_archE1201ELNS1_3gpuE5ELNS1_3repE0EEENS1_30default_config_static_selectorELNS0_4arch9wavefront6targetE1EEEvT1_
; %bb.0:
	.section	.rodata,"a",@progbits
	.p2align	6, 0x0
	.amdhsa_kernel _ZN7rocprim17ROCPRIM_400000_NS6detail17trampoline_kernelINS0_14default_configENS1_27scan_by_key_config_selectorIiyEEZZNS1_16scan_by_key_implILNS1_25lookback_scan_determinismE0ELb0ES3_N6thrust23THRUST_200600_302600_NS6detail15normal_iteratorINS9_10device_ptrIiEEEENSB_INSC_IyEEEESG_yNS9_4plusIvEENS9_8equal_toIvEEyEE10hipError_tPvRmT2_T3_T4_T5_mT6_T7_P12ihipStream_tbENKUlT_T0_E_clISt17integral_constantIbLb0EES10_IbLb1EEEEDaSW_SX_EUlSW_E_NS1_11comp_targetILNS1_3genE10ELNS1_11target_archE1201ELNS1_3gpuE5ELNS1_3repE0EEENS1_30default_config_static_selectorELNS0_4arch9wavefront6targetE1EEEvT1_
		.amdhsa_group_segment_fixed_size 0
		.amdhsa_private_segment_fixed_size 0
		.amdhsa_kernarg_size 136
		.amdhsa_user_sgpr_count 6
		.amdhsa_user_sgpr_private_segment_buffer 1
		.amdhsa_user_sgpr_dispatch_ptr 0
		.amdhsa_user_sgpr_queue_ptr 0
		.amdhsa_user_sgpr_kernarg_segment_ptr 1
		.amdhsa_user_sgpr_dispatch_id 0
		.amdhsa_user_sgpr_flat_scratch_init 0
		.amdhsa_user_sgpr_kernarg_preload_length 0
		.amdhsa_user_sgpr_kernarg_preload_offset 0
		.amdhsa_user_sgpr_private_segment_size 0
		.amdhsa_uses_dynamic_stack 0
		.amdhsa_system_sgpr_private_segment_wavefront_offset 0
		.amdhsa_system_sgpr_workgroup_id_x 1
		.amdhsa_system_sgpr_workgroup_id_y 0
		.amdhsa_system_sgpr_workgroup_id_z 0
		.amdhsa_system_sgpr_workgroup_info 0
		.amdhsa_system_vgpr_workitem_id 0
		.amdhsa_next_free_vgpr 1
		.amdhsa_next_free_sgpr 0
		.amdhsa_accum_offset 4
		.amdhsa_reserve_vcc 0
		.amdhsa_reserve_flat_scratch 0
		.amdhsa_float_round_mode_32 0
		.amdhsa_float_round_mode_16_64 0
		.amdhsa_float_denorm_mode_32 3
		.amdhsa_float_denorm_mode_16_64 3
		.amdhsa_dx10_clamp 1
		.amdhsa_ieee_mode 1
		.amdhsa_fp16_overflow 0
		.amdhsa_tg_split 0
		.amdhsa_exception_fp_ieee_invalid_op 0
		.amdhsa_exception_fp_denorm_src 0
		.amdhsa_exception_fp_ieee_div_zero 0
		.amdhsa_exception_fp_ieee_overflow 0
		.amdhsa_exception_fp_ieee_underflow 0
		.amdhsa_exception_fp_ieee_inexact 0
		.amdhsa_exception_int_div_zero 0
	.end_amdhsa_kernel
	.section	.text._ZN7rocprim17ROCPRIM_400000_NS6detail17trampoline_kernelINS0_14default_configENS1_27scan_by_key_config_selectorIiyEEZZNS1_16scan_by_key_implILNS1_25lookback_scan_determinismE0ELb0ES3_N6thrust23THRUST_200600_302600_NS6detail15normal_iteratorINS9_10device_ptrIiEEEENSB_INSC_IyEEEESG_yNS9_4plusIvEENS9_8equal_toIvEEyEE10hipError_tPvRmT2_T3_T4_T5_mT6_T7_P12ihipStream_tbENKUlT_T0_E_clISt17integral_constantIbLb0EES10_IbLb1EEEEDaSW_SX_EUlSW_E_NS1_11comp_targetILNS1_3genE10ELNS1_11target_archE1201ELNS1_3gpuE5ELNS1_3repE0EEENS1_30default_config_static_selectorELNS0_4arch9wavefront6targetE1EEEvT1_,"axG",@progbits,_ZN7rocprim17ROCPRIM_400000_NS6detail17trampoline_kernelINS0_14default_configENS1_27scan_by_key_config_selectorIiyEEZZNS1_16scan_by_key_implILNS1_25lookback_scan_determinismE0ELb0ES3_N6thrust23THRUST_200600_302600_NS6detail15normal_iteratorINS9_10device_ptrIiEEEENSB_INSC_IyEEEESG_yNS9_4plusIvEENS9_8equal_toIvEEyEE10hipError_tPvRmT2_T3_T4_T5_mT6_T7_P12ihipStream_tbENKUlT_T0_E_clISt17integral_constantIbLb0EES10_IbLb1EEEEDaSW_SX_EUlSW_E_NS1_11comp_targetILNS1_3genE10ELNS1_11target_archE1201ELNS1_3gpuE5ELNS1_3repE0EEENS1_30default_config_static_selectorELNS0_4arch9wavefront6targetE1EEEvT1_,comdat
.Lfunc_end1210:
	.size	_ZN7rocprim17ROCPRIM_400000_NS6detail17trampoline_kernelINS0_14default_configENS1_27scan_by_key_config_selectorIiyEEZZNS1_16scan_by_key_implILNS1_25lookback_scan_determinismE0ELb0ES3_N6thrust23THRUST_200600_302600_NS6detail15normal_iteratorINS9_10device_ptrIiEEEENSB_INSC_IyEEEESG_yNS9_4plusIvEENS9_8equal_toIvEEyEE10hipError_tPvRmT2_T3_T4_T5_mT6_T7_P12ihipStream_tbENKUlT_T0_E_clISt17integral_constantIbLb0EES10_IbLb1EEEEDaSW_SX_EUlSW_E_NS1_11comp_targetILNS1_3genE10ELNS1_11target_archE1201ELNS1_3gpuE5ELNS1_3repE0EEENS1_30default_config_static_selectorELNS0_4arch9wavefront6targetE1EEEvT1_, .Lfunc_end1210-_ZN7rocprim17ROCPRIM_400000_NS6detail17trampoline_kernelINS0_14default_configENS1_27scan_by_key_config_selectorIiyEEZZNS1_16scan_by_key_implILNS1_25lookback_scan_determinismE0ELb0ES3_N6thrust23THRUST_200600_302600_NS6detail15normal_iteratorINS9_10device_ptrIiEEEENSB_INSC_IyEEEESG_yNS9_4plusIvEENS9_8equal_toIvEEyEE10hipError_tPvRmT2_T3_T4_T5_mT6_T7_P12ihipStream_tbENKUlT_T0_E_clISt17integral_constantIbLb0EES10_IbLb1EEEEDaSW_SX_EUlSW_E_NS1_11comp_targetILNS1_3genE10ELNS1_11target_archE1201ELNS1_3gpuE5ELNS1_3repE0EEENS1_30default_config_static_selectorELNS0_4arch9wavefront6targetE1EEEvT1_
                                        ; -- End function
	.section	.AMDGPU.csdata,"",@progbits
; Kernel info:
; codeLenInByte = 0
; NumSgprs: 4
; NumVgprs: 0
; NumAgprs: 0
; TotalNumVgprs: 0
; ScratchSize: 0
; MemoryBound: 0
; FloatMode: 240
; IeeeMode: 1
; LDSByteSize: 0 bytes/workgroup (compile time only)
; SGPRBlocks: 0
; VGPRBlocks: 0
; NumSGPRsForWavesPerEU: 4
; NumVGPRsForWavesPerEU: 1
; AccumOffset: 4
; Occupancy: 8
; WaveLimiterHint : 0
; COMPUTE_PGM_RSRC2:SCRATCH_EN: 0
; COMPUTE_PGM_RSRC2:USER_SGPR: 6
; COMPUTE_PGM_RSRC2:TRAP_HANDLER: 0
; COMPUTE_PGM_RSRC2:TGID_X_EN: 1
; COMPUTE_PGM_RSRC2:TGID_Y_EN: 0
; COMPUTE_PGM_RSRC2:TGID_Z_EN: 0
; COMPUTE_PGM_RSRC2:TIDIG_COMP_CNT: 0
; COMPUTE_PGM_RSRC3_GFX90A:ACCUM_OFFSET: 0
; COMPUTE_PGM_RSRC3_GFX90A:TG_SPLIT: 0
	.section	.text._ZN7rocprim17ROCPRIM_400000_NS6detail17trampoline_kernelINS0_14default_configENS1_27scan_by_key_config_selectorIiyEEZZNS1_16scan_by_key_implILNS1_25lookback_scan_determinismE0ELb0ES3_N6thrust23THRUST_200600_302600_NS6detail15normal_iteratorINS9_10device_ptrIiEEEENSB_INSC_IyEEEESG_yNS9_4plusIvEENS9_8equal_toIvEEyEE10hipError_tPvRmT2_T3_T4_T5_mT6_T7_P12ihipStream_tbENKUlT_T0_E_clISt17integral_constantIbLb0EES10_IbLb1EEEEDaSW_SX_EUlSW_E_NS1_11comp_targetILNS1_3genE5ELNS1_11target_archE942ELNS1_3gpuE9ELNS1_3repE0EEENS1_30default_config_static_selectorELNS0_4arch9wavefront6targetE1EEEvT1_,"axG",@progbits,_ZN7rocprim17ROCPRIM_400000_NS6detail17trampoline_kernelINS0_14default_configENS1_27scan_by_key_config_selectorIiyEEZZNS1_16scan_by_key_implILNS1_25lookback_scan_determinismE0ELb0ES3_N6thrust23THRUST_200600_302600_NS6detail15normal_iteratorINS9_10device_ptrIiEEEENSB_INSC_IyEEEESG_yNS9_4plusIvEENS9_8equal_toIvEEyEE10hipError_tPvRmT2_T3_T4_T5_mT6_T7_P12ihipStream_tbENKUlT_T0_E_clISt17integral_constantIbLb0EES10_IbLb1EEEEDaSW_SX_EUlSW_E_NS1_11comp_targetILNS1_3genE5ELNS1_11target_archE942ELNS1_3gpuE9ELNS1_3repE0EEENS1_30default_config_static_selectorELNS0_4arch9wavefront6targetE1EEEvT1_,comdat
	.protected	_ZN7rocprim17ROCPRIM_400000_NS6detail17trampoline_kernelINS0_14default_configENS1_27scan_by_key_config_selectorIiyEEZZNS1_16scan_by_key_implILNS1_25lookback_scan_determinismE0ELb0ES3_N6thrust23THRUST_200600_302600_NS6detail15normal_iteratorINS9_10device_ptrIiEEEENSB_INSC_IyEEEESG_yNS9_4plusIvEENS9_8equal_toIvEEyEE10hipError_tPvRmT2_T3_T4_T5_mT6_T7_P12ihipStream_tbENKUlT_T0_E_clISt17integral_constantIbLb0EES10_IbLb1EEEEDaSW_SX_EUlSW_E_NS1_11comp_targetILNS1_3genE5ELNS1_11target_archE942ELNS1_3gpuE9ELNS1_3repE0EEENS1_30default_config_static_selectorELNS0_4arch9wavefront6targetE1EEEvT1_ ; -- Begin function _ZN7rocprim17ROCPRIM_400000_NS6detail17trampoline_kernelINS0_14default_configENS1_27scan_by_key_config_selectorIiyEEZZNS1_16scan_by_key_implILNS1_25lookback_scan_determinismE0ELb0ES3_N6thrust23THRUST_200600_302600_NS6detail15normal_iteratorINS9_10device_ptrIiEEEENSB_INSC_IyEEEESG_yNS9_4plusIvEENS9_8equal_toIvEEyEE10hipError_tPvRmT2_T3_T4_T5_mT6_T7_P12ihipStream_tbENKUlT_T0_E_clISt17integral_constantIbLb0EES10_IbLb1EEEEDaSW_SX_EUlSW_E_NS1_11comp_targetILNS1_3genE5ELNS1_11target_archE942ELNS1_3gpuE9ELNS1_3repE0EEENS1_30default_config_static_selectorELNS0_4arch9wavefront6targetE1EEEvT1_
	.globl	_ZN7rocprim17ROCPRIM_400000_NS6detail17trampoline_kernelINS0_14default_configENS1_27scan_by_key_config_selectorIiyEEZZNS1_16scan_by_key_implILNS1_25lookback_scan_determinismE0ELb0ES3_N6thrust23THRUST_200600_302600_NS6detail15normal_iteratorINS9_10device_ptrIiEEEENSB_INSC_IyEEEESG_yNS9_4plusIvEENS9_8equal_toIvEEyEE10hipError_tPvRmT2_T3_T4_T5_mT6_T7_P12ihipStream_tbENKUlT_T0_E_clISt17integral_constantIbLb0EES10_IbLb1EEEEDaSW_SX_EUlSW_E_NS1_11comp_targetILNS1_3genE5ELNS1_11target_archE942ELNS1_3gpuE9ELNS1_3repE0EEENS1_30default_config_static_selectorELNS0_4arch9wavefront6targetE1EEEvT1_
	.p2align	8
	.type	_ZN7rocprim17ROCPRIM_400000_NS6detail17trampoline_kernelINS0_14default_configENS1_27scan_by_key_config_selectorIiyEEZZNS1_16scan_by_key_implILNS1_25lookback_scan_determinismE0ELb0ES3_N6thrust23THRUST_200600_302600_NS6detail15normal_iteratorINS9_10device_ptrIiEEEENSB_INSC_IyEEEESG_yNS9_4plusIvEENS9_8equal_toIvEEyEE10hipError_tPvRmT2_T3_T4_T5_mT6_T7_P12ihipStream_tbENKUlT_T0_E_clISt17integral_constantIbLb0EES10_IbLb1EEEEDaSW_SX_EUlSW_E_NS1_11comp_targetILNS1_3genE5ELNS1_11target_archE942ELNS1_3gpuE9ELNS1_3repE0EEENS1_30default_config_static_selectorELNS0_4arch9wavefront6targetE1EEEvT1_,@function
_ZN7rocprim17ROCPRIM_400000_NS6detail17trampoline_kernelINS0_14default_configENS1_27scan_by_key_config_selectorIiyEEZZNS1_16scan_by_key_implILNS1_25lookback_scan_determinismE0ELb0ES3_N6thrust23THRUST_200600_302600_NS6detail15normal_iteratorINS9_10device_ptrIiEEEENSB_INSC_IyEEEESG_yNS9_4plusIvEENS9_8equal_toIvEEyEE10hipError_tPvRmT2_T3_T4_T5_mT6_T7_P12ihipStream_tbENKUlT_T0_E_clISt17integral_constantIbLb0EES10_IbLb1EEEEDaSW_SX_EUlSW_E_NS1_11comp_targetILNS1_3genE5ELNS1_11target_archE942ELNS1_3gpuE9ELNS1_3repE0EEENS1_30default_config_static_selectorELNS0_4arch9wavefront6targetE1EEEvT1_: ; @_ZN7rocprim17ROCPRIM_400000_NS6detail17trampoline_kernelINS0_14default_configENS1_27scan_by_key_config_selectorIiyEEZZNS1_16scan_by_key_implILNS1_25lookback_scan_determinismE0ELb0ES3_N6thrust23THRUST_200600_302600_NS6detail15normal_iteratorINS9_10device_ptrIiEEEENSB_INSC_IyEEEESG_yNS9_4plusIvEENS9_8equal_toIvEEyEE10hipError_tPvRmT2_T3_T4_T5_mT6_T7_P12ihipStream_tbENKUlT_T0_E_clISt17integral_constantIbLb0EES10_IbLb1EEEEDaSW_SX_EUlSW_E_NS1_11comp_targetILNS1_3genE5ELNS1_11target_archE942ELNS1_3gpuE9ELNS1_3repE0EEENS1_30default_config_static_selectorELNS0_4arch9wavefront6targetE1EEEvT1_
; %bb.0:
	.section	.rodata,"a",@progbits
	.p2align	6, 0x0
	.amdhsa_kernel _ZN7rocprim17ROCPRIM_400000_NS6detail17trampoline_kernelINS0_14default_configENS1_27scan_by_key_config_selectorIiyEEZZNS1_16scan_by_key_implILNS1_25lookback_scan_determinismE0ELb0ES3_N6thrust23THRUST_200600_302600_NS6detail15normal_iteratorINS9_10device_ptrIiEEEENSB_INSC_IyEEEESG_yNS9_4plusIvEENS9_8equal_toIvEEyEE10hipError_tPvRmT2_T3_T4_T5_mT6_T7_P12ihipStream_tbENKUlT_T0_E_clISt17integral_constantIbLb0EES10_IbLb1EEEEDaSW_SX_EUlSW_E_NS1_11comp_targetILNS1_3genE5ELNS1_11target_archE942ELNS1_3gpuE9ELNS1_3repE0EEENS1_30default_config_static_selectorELNS0_4arch9wavefront6targetE1EEEvT1_
		.amdhsa_group_segment_fixed_size 0
		.amdhsa_private_segment_fixed_size 0
		.amdhsa_kernarg_size 136
		.amdhsa_user_sgpr_count 6
		.amdhsa_user_sgpr_private_segment_buffer 1
		.amdhsa_user_sgpr_dispatch_ptr 0
		.amdhsa_user_sgpr_queue_ptr 0
		.amdhsa_user_sgpr_kernarg_segment_ptr 1
		.amdhsa_user_sgpr_dispatch_id 0
		.amdhsa_user_sgpr_flat_scratch_init 0
		.amdhsa_user_sgpr_kernarg_preload_length 0
		.amdhsa_user_sgpr_kernarg_preload_offset 0
		.amdhsa_user_sgpr_private_segment_size 0
		.amdhsa_uses_dynamic_stack 0
		.amdhsa_system_sgpr_private_segment_wavefront_offset 0
		.amdhsa_system_sgpr_workgroup_id_x 1
		.amdhsa_system_sgpr_workgroup_id_y 0
		.amdhsa_system_sgpr_workgroup_id_z 0
		.amdhsa_system_sgpr_workgroup_info 0
		.amdhsa_system_vgpr_workitem_id 0
		.amdhsa_next_free_vgpr 1
		.amdhsa_next_free_sgpr 0
		.amdhsa_accum_offset 4
		.amdhsa_reserve_vcc 0
		.amdhsa_reserve_flat_scratch 0
		.amdhsa_float_round_mode_32 0
		.amdhsa_float_round_mode_16_64 0
		.amdhsa_float_denorm_mode_32 3
		.amdhsa_float_denorm_mode_16_64 3
		.amdhsa_dx10_clamp 1
		.amdhsa_ieee_mode 1
		.amdhsa_fp16_overflow 0
		.amdhsa_tg_split 0
		.amdhsa_exception_fp_ieee_invalid_op 0
		.amdhsa_exception_fp_denorm_src 0
		.amdhsa_exception_fp_ieee_div_zero 0
		.amdhsa_exception_fp_ieee_overflow 0
		.amdhsa_exception_fp_ieee_underflow 0
		.amdhsa_exception_fp_ieee_inexact 0
		.amdhsa_exception_int_div_zero 0
	.end_amdhsa_kernel
	.section	.text._ZN7rocprim17ROCPRIM_400000_NS6detail17trampoline_kernelINS0_14default_configENS1_27scan_by_key_config_selectorIiyEEZZNS1_16scan_by_key_implILNS1_25lookback_scan_determinismE0ELb0ES3_N6thrust23THRUST_200600_302600_NS6detail15normal_iteratorINS9_10device_ptrIiEEEENSB_INSC_IyEEEESG_yNS9_4plusIvEENS9_8equal_toIvEEyEE10hipError_tPvRmT2_T3_T4_T5_mT6_T7_P12ihipStream_tbENKUlT_T0_E_clISt17integral_constantIbLb0EES10_IbLb1EEEEDaSW_SX_EUlSW_E_NS1_11comp_targetILNS1_3genE5ELNS1_11target_archE942ELNS1_3gpuE9ELNS1_3repE0EEENS1_30default_config_static_selectorELNS0_4arch9wavefront6targetE1EEEvT1_,"axG",@progbits,_ZN7rocprim17ROCPRIM_400000_NS6detail17trampoline_kernelINS0_14default_configENS1_27scan_by_key_config_selectorIiyEEZZNS1_16scan_by_key_implILNS1_25lookback_scan_determinismE0ELb0ES3_N6thrust23THRUST_200600_302600_NS6detail15normal_iteratorINS9_10device_ptrIiEEEENSB_INSC_IyEEEESG_yNS9_4plusIvEENS9_8equal_toIvEEyEE10hipError_tPvRmT2_T3_T4_T5_mT6_T7_P12ihipStream_tbENKUlT_T0_E_clISt17integral_constantIbLb0EES10_IbLb1EEEEDaSW_SX_EUlSW_E_NS1_11comp_targetILNS1_3genE5ELNS1_11target_archE942ELNS1_3gpuE9ELNS1_3repE0EEENS1_30default_config_static_selectorELNS0_4arch9wavefront6targetE1EEEvT1_,comdat
.Lfunc_end1211:
	.size	_ZN7rocprim17ROCPRIM_400000_NS6detail17trampoline_kernelINS0_14default_configENS1_27scan_by_key_config_selectorIiyEEZZNS1_16scan_by_key_implILNS1_25lookback_scan_determinismE0ELb0ES3_N6thrust23THRUST_200600_302600_NS6detail15normal_iteratorINS9_10device_ptrIiEEEENSB_INSC_IyEEEESG_yNS9_4plusIvEENS9_8equal_toIvEEyEE10hipError_tPvRmT2_T3_T4_T5_mT6_T7_P12ihipStream_tbENKUlT_T0_E_clISt17integral_constantIbLb0EES10_IbLb1EEEEDaSW_SX_EUlSW_E_NS1_11comp_targetILNS1_3genE5ELNS1_11target_archE942ELNS1_3gpuE9ELNS1_3repE0EEENS1_30default_config_static_selectorELNS0_4arch9wavefront6targetE1EEEvT1_, .Lfunc_end1211-_ZN7rocprim17ROCPRIM_400000_NS6detail17trampoline_kernelINS0_14default_configENS1_27scan_by_key_config_selectorIiyEEZZNS1_16scan_by_key_implILNS1_25lookback_scan_determinismE0ELb0ES3_N6thrust23THRUST_200600_302600_NS6detail15normal_iteratorINS9_10device_ptrIiEEEENSB_INSC_IyEEEESG_yNS9_4plusIvEENS9_8equal_toIvEEyEE10hipError_tPvRmT2_T3_T4_T5_mT6_T7_P12ihipStream_tbENKUlT_T0_E_clISt17integral_constantIbLb0EES10_IbLb1EEEEDaSW_SX_EUlSW_E_NS1_11comp_targetILNS1_3genE5ELNS1_11target_archE942ELNS1_3gpuE9ELNS1_3repE0EEENS1_30default_config_static_selectorELNS0_4arch9wavefront6targetE1EEEvT1_
                                        ; -- End function
	.section	.AMDGPU.csdata,"",@progbits
; Kernel info:
; codeLenInByte = 0
; NumSgprs: 4
; NumVgprs: 0
; NumAgprs: 0
; TotalNumVgprs: 0
; ScratchSize: 0
; MemoryBound: 0
; FloatMode: 240
; IeeeMode: 1
; LDSByteSize: 0 bytes/workgroup (compile time only)
; SGPRBlocks: 0
; VGPRBlocks: 0
; NumSGPRsForWavesPerEU: 4
; NumVGPRsForWavesPerEU: 1
; AccumOffset: 4
; Occupancy: 8
; WaveLimiterHint : 0
; COMPUTE_PGM_RSRC2:SCRATCH_EN: 0
; COMPUTE_PGM_RSRC2:USER_SGPR: 6
; COMPUTE_PGM_RSRC2:TRAP_HANDLER: 0
; COMPUTE_PGM_RSRC2:TGID_X_EN: 1
; COMPUTE_PGM_RSRC2:TGID_Y_EN: 0
; COMPUTE_PGM_RSRC2:TGID_Z_EN: 0
; COMPUTE_PGM_RSRC2:TIDIG_COMP_CNT: 0
; COMPUTE_PGM_RSRC3_GFX90A:ACCUM_OFFSET: 0
; COMPUTE_PGM_RSRC3_GFX90A:TG_SPLIT: 0
	.section	.text._ZN7rocprim17ROCPRIM_400000_NS6detail17trampoline_kernelINS0_14default_configENS1_27scan_by_key_config_selectorIiyEEZZNS1_16scan_by_key_implILNS1_25lookback_scan_determinismE0ELb0ES3_N6thrust23THRUST_200600_302600_NS6detail15normal_iteratorINS9_10device_ptrIiEEEENSB_INSC_IyEEEESG_yNS9_4plusIvEENS9_8equal_toIvEEyEE10hipError_tPvRmT2_T3_T4_T5_mT6_T7_P12ihipStream_tbENKUlT_T0_E_clISt17integral_constantIbLb0EES10_IbLb1EEEEDaSW_SX_EUlSW_E_NS1_11comp_targetILNS1_3genE4ELNS1_11target_archE910ELNS1_3gpuE8ELNS1_3repE0EEENS1_30default_config_static_selectorELNS0_4arch9wavefront6targetE1EEEvT1_,"axG",@progbits,_ZN7rocprim17ROCPRIM_400000_NS6detail17trampoline_kernelINS0_14default_configENS1_27scan_by_key_config_selectorIiyEEZZNS1_16scan_by_key_implILNS1_25lookback_scan_determinismE0ELb0ES3_N6thrust23THRUST_200600_302600_NS6detail15normal_iteratorINS9_10device_ptrIiEEEENSB_INSC_IyEEEESG_yNS9_4plusIvEENS9_8equal_toIvEEyEE10hipError_tPvRmT2_T3_T4_T5_mT6_T7_P12ihipStream_tbENKUlT_T0_E_clISt17integral_constantIbLb0EES10_IbLb1EEEEDaSW_SX_EUlSW_E_NS1_11comp_targetILNS1_3genE4ELNS1_11target_archE910ELNS1_3gpuE8ELNS1_3repE0EEENS1_30default_config_static_selectorELNS0_4arch9wavefront6targetE1EEEvT1_,comdat
	.protected	_ZN7rocprim17ROCPRIM_400000_NS6detail17trampoline_kernelINS0_14default_configENS1_27scan_by_key_config_selectorIiyEEZZNS1_16scan_by_key_implILNS1_25lookback_scan_determinismE0ELb0ES3_N6thrust23THRUST_200600_302600_NS6detail15normal_iteratorINS9_10device_ptrIiEEEENSB_INSC_IyEEEESG_yNS9_4plusIvEENS9_8equal_toIvEEyEE10hipError_tPvRmT2_T3_T4_T5_mT6_T7_P12ihipStream_tbENKUlT_T0_E_clISt17integral_constantIbLb0EES10_IbLb1EEEEDaSW_SX_EUlSW_E_NS1_11comp_targetILNS1_3genE4ELNS1_11target_archE910ELNS1_3gpuE8ELNS1_3repE0EEENS1_30default_config_static_selectorELNS0_4arch9wavefront6targetE1EEEvT1_ ; -- Begin function _ZN7rocprim17ROCPRIM_400000_NS6detail17trampoline_kernelINS0_14default_configENS1_27scan_by_key_config_selectorIiyEEZZNS1_16scan_by_key_implILNS1_25lookback_scan_determinismE0ELb0ES3_N6thrust23THRUST_200600_302600_NS6detail15normal_iteratorINS9_10device_ptrIiEEEENSB_INSC_IyEEEESG_yNS9_4plusIvEENS9_8equal_toIvEEyEE10hipError_tPvRmT2_T3_T4_T5_mT6_T7_P12ihipStream_tbENKUlT_T0_E_clISt17integral_constantIbLb0EES10_IbLb1EEEEDaSW_SX_EUlSW_E_NS1_11comp_targetILNS1_3genE4ELNS1_11target_archE910ELNS1_3gpuE8ELNS1_3repE0EEENS1_30default_config_static_selectorELNS0_4arch9wavefront6targetE1EEEvT1_
	.globl	_ZN7rocprim17ROCPRIM_400000_NS6detail17trampoline_kernelINS0_14default_configENS1_27scan_by_key_config_selectorIiyEEZZNS1_16scan_by_key_implILNS1_25lookback_scan_determinismE0ELb0ES3_N6thrust23THRUST_200600_302600_NS6detail15normal_iteratorINS9_10device_ptrIiEEEENSB_INSC_IyEEEESG_yNS9_4plusIvEENS9_8equal_toIvEEyEE10hipError_tPvRmT2_T3_T4_T5_mT6_T7_P12ihipStream_tbENKUlT_T0_E_clISt17integral_constantIbLb0EES10_IbLb1EEEEDaSW_SX_EUlSW_E_NS1_11comp_targetILNS1_3genE4ELNS1_11target_archE910ELNS1_3gpuE8ELNS1_3repE0EEENS1_30default_config_static_selectorELNS0_4arch9wavefront6targetE1EEEvT1_
	.p2align	8
	.type	_ZN7rocprim17ROCPRIM_400000_NS6detail17trampoline_kernelINS0_14default_configENS1_27scan_by_key_config_selectorIiyEEZZNS1_16scan_by_key_implILNS1_25lookback_scan_determinismE0ELb0ES3_N6thrust23THRUST_200600_302600_NS6detail15normal_iteratorINS9_10device_ptrIiEEEENSB_INSC_IyEEEESG_yNS9_4plusIvEENS9_8equal_toIvEEyEE10hipError_tPvRmT2_T3_T4_T5_mT6_T7_P12ihipStream_tbENKUlT_T0_E_clISt17integral_constantIbLb0EES10_IbLb1EEEEDaSW_SX_EUlSW_E_NS1_11comp_targetILNS1_3genE4ELNS1_11target_archE910ELNS1_3gpuE8ELNS1_3repE0EEENS1_30default_config_static_selectorELNS0_4arch9wavefront6targetE1EEEvT1_,@function
_ZN7rocprim17ROCPRIM_400000_NS6detail17trampoline_kernelINS0_14default_configENS1_27scan_by_key_config_selectorIiyEEZZNS1_16scan_by_key_implILNS1_25lookback_scan_determinismE0ELb0ES3_N6thrust23THRUST_200600_302600_NS6detail15normal_iteratorINS9_10device_ptrIiEEEENSB_INSC_IyEEEESG_yNS9_4plusIvEENS9_8equal_toIvEEyEE10hipError_tPvRmT2_T3_T4_T5_mT6_T7_P12ihipStream_tbENKUlT_T0_E_clISt17integral_constantIbLb0EES10_IbLb1EEEEDaSW_SX_EUlSW_E_NS1_11comp_targetILNS1_3genE4ELNS1_11target_archE910ELNS1_3gpuE8ELNS1_3repE0EEENS1_30default_config_static_selectorELNS0_4arch9wavefront6targetE1EEEvT1_: ; @_ZN7rocprim17ROCPRIM_400000_NS6detail17trampoline_kernelINS0_14default_configENS1_27scan_by_key_config_selectorIiyEEZZNS1_16scan_by_key_implILNS1_25lookback_scan_determinismE0ELb0ES3_N6thrust23THRUST_200600_302600_NS6detail15normal_iteratorINS9_10device_ptrIiEEEENSB_INSC_IyEEEESG_yNS9_4plusIvEENS9_8equal_toIvEEyEE10hipError_tPvRmT2_T3_T4_T5_mT6_T7_P12ihipStream_tbENKUlT_T0_E_clISt17integral_constantIbLb0EES10_IbLb1EEEEDaSW_SX_EUlSW_E_NS1_11comp_targetILNS1_3genE4ELNS1_11target_archE910ELNS1_3gpuE8ELNS1_3repE0EEENS1_30default_config_static_selectorELNS0_4arch9wavefront6targetE1EEEvT1_
; %bb.0:
	s_load_dwordx8 s[68:75], s[4:5], 0x30
	s_load_dwordx2 s[0:1], s[4:5], 0x50
                                        ; implicit-def: $vgpr131 : SGPR spill to VGPR lane
	v_cmp_eq_u32_e64 s[88:89], 0, v0
	s_waitcnt lgkmcnt(0)
	v_writelane_b32 v131, s0, 0
	v_writelane_b32 v131, s1, 1
	v_cmp_ne_u32_e64 s[0:1], 0, v0
	v_writelane_b32 v131, s0, 2
	v_writelane_b32 v131, s1, 3
	s_and_saveexec_b64 s[2:3], s[88:89]
	s_cbranch_execz .LBB1212_4
; %bb.1:
	s_mov_b64 s[8:9], exec
	v_mbcnt_lo_u32_b32 v1, s8, 0
	v_mbcnt_hi_u32_b32 v1, s9, v1
	v_cmp_eq_u32_e32 vcc, 0, v1
                                        ; implicit-def: $vgpr2
	s_and_saveexec_b64 s[6:7], vcc
	s_cbranch_execz .LBB1212_3
; %bb.2:
	s_load_dwordx2 s[10:11], s[4:5], 0x80
	s_bcnt1_i32_b64 s8, s[8:9]
	v_mov_b32_e32 v2, 0
	v_mov_b32_e32 v3, s8
	s_waitcnt lgkmcnt(0)
	global_atomic_add v2, v2, v3, s[10:11] glc
.LBB1212_3:
	s_or_b64 exec, exec, s[6:7]
	s_waitcnt vmcnt(0)
	v_readfirstlane_b32 s6, v2
	v_add_u32_e32 v1, s6, v1
	v_mov_b32_e32 v2, 0
	ds_write_b32 v2, v1
.LBB1212_4:
	s_or_b64 exec, exec, s[2:3]
	s_load_dwordx8 s[52:59], s[4:5], 0x0
	s_load_dword s2, s[4:5], 0x58
	s_load_dwordx8 s[16:23], s[4:5], 0x60
	v_mov_b32_e32 v1, 0
	s_waitcnt lgkmcnt(0)
	; wave barrier
	s_waitcnt lgkmcnt(0)
	ds_read_b32 v1, v1
	s_lshl_b64 s[4:5], s[54:55], 2
	s_add_u32 s8, s52, s4
	v_readlane_b32 s6, v131, 0
	s_addc_u32 s9, s53, s5
	s_lshl_b64 s[60:61], s[54:55], 3
	v_readlane_b32 s7, v131, 1
	s_add_u32 s10, s56, s60
	s_mul_i32 s3, s7, s2
	s_mul_hi_u32 s4, s6, s2
	s_addc_u32 s11, s57, s61
	s_add_i32 s12, s4, s3
	s_waitcnt lgkmcnt(0)
	v_readfirstlane_b32 s33, v1
	s_mul_i32 s13, s6, s2
	s_cmp_lg_u64 s[20:21], 0
	s_mov_b32 s3, 0
	s_mul_i32 s2, s33, 0x540
	s_cselect_b64 s[52:53], -1, 0
	s_lshl_b64 s[4:5], s[2:3], 2
	s_add_u32 s50, s8, s4
	s_addc_u32 s51, s9, s5
	s_lshl_b64 s[2:3], s[2:3], 3
	s_add_u32 s62, s10, s2
	s_addc_u32 s63, s11, s3
	s_add_u32 s54, s13, s33
	s_addc_u32 s55, s12, 0
	s_add_u32 s4, s16, -1
	v_writelane_b32 v131, s16, 4
	v_writelane_b32 v131, s17, 5
	;; [unrolled: 1-line block ×6, first 2 shown]
	s_addc_u32 s5, s17, -1
	v_writelane_b32 v131, s22, 10
	v_pk_mov_b32 v[2:3], s[4:5], s[4:5] op_sel:[0,1]
	v_writelane_b32 v131, s23, 11
	v_cmp_ge_u64_e64 s[8:9], s[54:55], v[2:3]
	v_writelane_b32 v131, s8, 12
	s_mov_b64 s[6:7], 0
	s_mov_b64 s[10:11], -1
	v_writelane_b32 v131, s9, 13
	s_and_b64 vcc, exec, s[8:9]
	s_mulk_i32 s4, 0xfac0
	s_waitcnt lgkmcnt(0)
	; wave barrier
	s_waitcnt lgkmcnt(0)
	s_waitcnt lgkmcnt(0)
	; wave barrier
	v_writelane_b32 v131, s4, 14
	s_cbranch_vccz .LBB1212_116
; %bb.5:
	v_pk_mov_b32 v[2:3], s[50:51], s[50:51] op_sel:[0,1]
	flat_load_dword v2, v[2:3]
	s_add_i32 s65, s4, s74
	v_cmp_gt_u32_e64 s[6:7], s65, v0
	s_waitcnt vmcnt(0) lgkmcnt(0)
	v_mov_b32_e32 v3, v2
	s_and_saveexec_b64 s[4:5], s[6:7]
	s_cbranch_execz .LBB1212_7
; %bb.6:
	v_lshlrev_b32_e32 v1, 2, v0
	v_mov_b32_e32 v3, s51
	v_add_co_u32_e32 v4, vcc, s50, v1
	v_addc_co_u32_e32 v5, vcc, 0, v3, vcc
	flat_load_dword v3, v[4:5]
.LBB1212_7:
	s_or_b64 exec, exec, s[4:5]
	v_or_b32_e32 v1, 64, v0
	v_cmp_gt_u32_e64 s[8:9], s65, v1
	v_mov_b32_e32 v4, v2
	s_and_saveexec_b64 s[4:5], s[8:9]
	s_cbranch_execz .LBB1212_9
; %bb.8:
	v_lshlrev_b32_e32 v1, 2, v0
	v_mov_b32_e32 v5, s51
	v_add_co_u32_e32 v4, vcc, s50, v1
	v_addc_co_u32_e32 v5, vcc, 0, v5, vcc
	flat_load_dword v4, v[4:5] offset:256
.LBB1212_9:
	s_or_b64 exec, exec, s[4:5]
	v_or_b32_e32 v1, 0x80, v0
	v_cmp_gt_u32_e64 s[10:11], s65, v1
	v_mov_b32_e32 v5, v2
	s_and_saveexec_b64 s[4:5], s[10:11]
	s_cbranch_execz .LBB1212_11
; %bb.10:
	v_lshlrev_b32_e32 v1, 2, v0
	v_mov_b32_e32 v5, s51
	v_add_co_u32_e32 v6, vcc, s50, v1
	v_addc_co_u32_e32 v7, vcc, 0, v5, vcc
	flat_load_dword v5, v[6:7] offset:512
.LBB1212_11:
	;; [unrolled: 13-line block ×15, first 2 shown]
	s_or_b64 exec, exec, s[4:5]
	v_or_b32_e32 v56, 0x400, v0
	v_cmp_gt_u32_e64 s[40:41], s65, v56
	v_mov_b32_e32 v19, v2
	s_and_saveexec_b64 s[4:5], s[40:41]
	s_cbranch_execz .LBB1212_39
; %bb.38:
	v_lshlrev_b32_e32 v19, 2, v56
	v_mov_b32_e32 v21, s51
	v_add_co_u32_e32 v20, vcc, s50, v19
	v_addc_co_u32_e32 v21, vcc, 0, v21, vcc
	flat_load_dword v19, v[20:21]
.LBB1212_39:
	s_or_b64 exec, exec, s[4:5]
	v_or_b32_e32 v58, 0x440, v0
	v_cmp_gt_u32_e64 s[42:43], s65, v58
	v_mov_b32_e32 v20, v2
	s_and_saveexec_b64 s[4:5], s[42:43]
	s_cbranch_execz .LBB1212_41
; %bb.40:
	v_lshlrev_b32_e32 v20, 2, v58
	v_mov_b32_e32 v21, s51
	v_add_co_u32_e32 v20, vcc, s50, v20
	v_addc_co_u32_e32 v21, vcc, 0, v21, vcc
	flat_load_dword v20, v[20:21]
.LBB1212_41:
	;; [unrolled: 13-line block ×4, first 2 shown]
	s_or_b64 exec, exec, s[4:5]
	v_or_b32_e32 v65, 0x500, v0
	v_cmp_gt_u32_e64 s[48:49], s65, v65
	s_and_saveexec_b64 s[4:5], s[48:49]
	s_cbranch_execz .LBB1212_47
; %bb.46:
	v_lshlrev_b32_e32 v2, 2, v65
	v_mov_b32_e32 v23, s51
	v_add_co_u32_e32 v24, vcc, s50, v2
	v_addc_co_u32_e32 v25, vcc, 0, v23, vcc
	flat_load_dword v2, v[24:25]
.LBB1212_47:
	s_or_b64 exec, exec, s[4:5]
	v_lshlrev_b32_e32 v23, 2, v0
	s_movk_i32 s4, 0x50
	s_waitcnt vmcnt(0) lgkmcnt(0)
	ds_write2st64_b32 v23, v3, v4 offset1:1
	ds_write2st64_b32 v23, v5, v6 offset0:2 offset1:3
	ds_write2st64_b32 v23, v7, v8 offset0:4 offset1:5
	;; [unrolled: 1-line block ×9, first 2 shown]
	ds_write_b32 v23, v2 offset:5120
	v_mad_u32_u24 v2, v0, s4, v23
	s_waitcnt lgkmcnt(0)
	; wave barrier
	s_waitcnt lgkmcnt(0)
	ds_read2_b32 v[40:41], v2 offset0:7 offset1:8
	ds_read2_b32 v[44:45], v2 offset0:5 offset1:6
	;; [unrolled: 1-line block ×3, first 2 shown]
	ds_read2_b32 v[36:37], v2 offset1:1
	ds_read2_b32 v[32:33], v2 offset0:4 offset1:9
	ds_read2_b32 v[8:9], v2 offset0:15 offset1:16
	ds_read_b32 v64, v2 offset:56
	ds_read2_b32 v[16:17], v2 offset0:12 offset1:13
	ds_read2_b32 v[24:25], v2 offset0:10 offset1:11
	;; [unrolled: 1-line block ×4, first 2 shown]
	s_cmp_eq_u64 s[54:55], 0
	s_mov_b64 s[4:5], s[50:51]
	s_cbranch_scc1 .LBB1212_51
; %bb.48:
	s_andn2_b64 vcc, exec, s[52:53]
	s_cbranch_vccnz .LBB1212_275
; %bb.49:
	v_readlane_b32 s76, v131, 4
	s_lshl_b64 s[4:5], s[54:55], 2
	v_readlane_b32 s82, v131, 10
	v_readlane_b32 s83, v131, 11
	s_add_u32 s4, s82, s4
	s_addc_u32 s5, s83, s5
	s_add_u32 s4, s4, -4
	s_addc_u32 s5, s5, -1
	v_readlane_b32 s77, v131, 5
	v_readlane_b32 s78, v131, 6
	v_readlane_b32 s79, v131, 7
	v_readlane_b32 s80, v131, 8
	v_readlane_b32 s81, v131, 9
	s_cbranch_execnz .LBB1212_51
.LBB1212_50:
	s_add_u32 s4, s50, -4
	s_addc_u32 s5, s51, -1
.LBB1212_51:
	v_pk_mov_b32 v[6:7], s[4:5], s[4:5] op_sel:[0,1]
	flat_load_dword v68, v[6:7]
	s_movk_i32 s4, 0xffb0
	v_mad_i32_i24 v66, v0, s4, v2
	s_waitcnt lgkmcnt(0)
	ds_write_b32 v66, v5 offset:5376
	s_waitcnt lgkmcnt(0)
	; wave barrier
	s_waitcnt lgkmcnt(0)
	s_mov_b64 s[4:5], exec
	v_readlane_b32 s56, v131, 2
	v_readlane_b32 s57, v131, 3
	s_and_b64 s[56:57], s[4:5], s[56:57]
	s_mov_b64 exec, s[56:57]
	s_cbranch_execz .LBB1212_53
; %bb.52:
	s_waitcnt vmcnt(0)
	ds_read_b32 v68, v66 offset:5372
.LBB1212_53:
	s_or_b64 exec, exec, s[4:5]
	s_waitcnt lgkmcnt(0)
	; wave barrier
	s_waitcnt lgkmcnt(0)
                                        ; implicit-def: $vgpr2_vgpr3
	s_and_saveexec_b64 s[4:5], s[6:7]
	s_cbranch_execnz .LBB1212_255
; %bb.54:
	s_or_b64 exec, exec, s[4:5]
                                        ; implicit-def: $vgpr6_vgpr7
	s_and_saveexec_b64 s[4:5], s[8:9]
	s_cbranch_execnz .LBB1212_256
.LBB1212_55:
	s_or_b64 exec, exec, s[4:5]
                                        ; implicit-def: $vgpr10_vgpr11
	s_and_saveexec_b64 s[4:5], s[10:11]
	s_cbranch_execnz .LBB1212_257
.LBB1212_56:
	s_or_b64 exec, exec, s[4:5]
                                        ; implicit-def: $vgpr14_vgpr15
	s_and_saveexec_b64 s[4:5], s[12:13]
	s_cbranch_execnz .LBB1212_258
.LBB1212_57:
	s_or_b64 exec, exec, s[4:5]
                                        ; implicit-def: $vgpr18_vgpr19
	s_and_saveexec_b64 s[4:5], s[14:15]
	s_cbranch_execnz .LBB1212_259
.LBB1212_58:
	s_or_b64 exec, exec, s[4:5]
                                        ; implicit-def: $vgpr20_vgpr21
	s_and_saveexec_b64 s[4:5], s[16:17]
	s_cbranch_execnz .LBB1212_260
.LBB1212_59:
	s_or_b64 exec, exec, s[4:5]
                                        ; implicit-def: $vgpr22_vgpr23
	s_and_saveexec_b64 s[4:5], s[18:19]
	s_cbranch_execnz .LBB1212_261
.LBB1212_60:
	s_or_b64 exec, exec, s[4:5]
                                        ; implicit-def: $vgpr26_vgpr27
	s_and_saveexec_b64 s[4:5], s[20:21]
	s_cbranch_execnz .LBB1212_262
.LBB1212_61:
	s_or_b64 exec, exec, s[4:5]
                                        ; implicit-def: $vgpr30_vgpr31
	s_and_saveexec_b64 s[4:5], s[22:23]
	s_cbranch_execnz .LBB1212_263
.LBB1212_62:
	s_or_b64 exec, exec, s[4:5]
                                        ; implicit-def: $vgpr34_vgpr35
	s_and_saveexec_b64 s[4:5], s[24:25]
	s_cbranch_execnz .LBB1212_264
.LBB1212_63:
	s_or_b64 exec, exec, s[4:5]
                                        ; implicit-def: $vgpr38_vgpr39
	s_and_saveexec_b64 s[4:5], s[26:27]
	s_cbranch_execnz .LBB1212_265
.LBB1212_64:
	s_or_b64 exec, exec, s[4:5]
                                        ; implicit-def: $vgpr42_vgpr43
	s_and_saveexec_b64 s[4:5], s[28:29]
	s_cbranch_execnz .LBB1212_266
.LBB1212_65:
	s_or_b64 exec, exec, s[4:5]
                                        ; implicit-def: $vgpr46_vgpr47
	s_and_saveexec_b64 s[4:5], s[30:31]
	s_cbranch_execnz .LBB1212_267
.LBB1212_66:
	s_or_b64 exec, exec, s[4:5]
                                        ; implicit-def: $vgpr48_vgpr49
	s_and_saveexec_b64 s[4:5], s[34:35]
	s_cbranch_execnz .LBB1212_268
.LBB1212_67:
	s_or_b64 exec, exec, s[4:5]
                                        ; implicit-def: $vgpr50_vgpr51
	s_and_saveexec_b64 s[4:5], s[36:37]
	s_cbranch_execnz .LBB1212_269
.LBB1212_68:
	s_or_b64 exec, exec, s[4:5]
                                        ; implicit-def: $vgpr52_vgpr53
	s_and_saveexec_b64 s[4:5], s[38:39]
	s_cbranch_execnz .LBB1212_270
.LBB1212_69:
	s_or_b64 exec, exec, s[4:5]
                                        ; implicit-def: $vgpr54_vgpr55
	s_and_saveexec_b64 s[4:5], s[40:41]
	s_cbranch_execnz .LBB1212_271
.LBB1212_70:
	s_or_b64 exec, exec, s[4:5]
                                        ; implicit-def: $vgpr56_vgpr57
	s_and_saveexec_b64 s[4:5], s[42:43]
	s_cbranch_execnz .LBB1212_272
.LBB1212_71:
	s_or_b64 exec, exec, s[4:5]
                                        ; implicit-def: $vgpr58_vgpr59
	s_and_saveexec_b64 s[4:5], s[44:45]
	s_cbranch_execnz .LBB1212_273
.LBB1212_72:
	s_or_b64 exec, exec, s[4:5]
                                        ; implicit-def: $vgpr60_vgpr61
	s_and_saveexec_b64 s[4:5], s[46:47]
	s_cbranch_execnz .LBB1212_274
.LBB1212_73:
	s_or_b64 exec, exec, s[4:5]
                                        ; implicit-def: $vgpr62_vgpr63
	s_and_saveexec_b64 s[4:5], s[48:49]
	s_cbranch_execz .LBB1212_75
.LBB1212_74:
	v_lshlrev_b32_e32 v1, 3, v65
	v_mov_b32_e32 v63, s63
	v_add_co_u32_e32 v62, vcc, s62, v1
	v_addc_co_u32_e32 v63, vcc, 0, v63, vcc
	flat_load_dwordx2 v[62:63], v[62:63]
.LBB1212_75:
	s_or_b64 exec, exec, s[4:5]
	v_lshl_add_u32 v69, v0, 2, v66
	v_mul_u32_u24_e32 v65, 21, v0
	s_waitcnt vmcnt(0) lgkmcnt(0)
	ds_write2st64_b64 v69, v[2:3], v[6:7] offset1:1
	ds_write2st64_b64 v69, v[10:11], v[14:15] offset0:2 offset1:3
	ds_write2st64_b64 v69, v[18:19], v[20:21] offset0:4 offset1:5
	;; [unrolled: 1-line block ×9, first 2 shown]
	ds_write_b64 v69, v[62:63] offset:10240
	v_pk_mov_b32 v[10:11], 0, 0
	v_cmp_gt_u32_e32 vcc, s65, v65
	s_mov_b64 s[6:7], 0
	s_mov_b64 s[10:11], 0
	s_mov_b32 s64, 0
	v_mov_b32_e32 v128, 0
	v_mov_b32_e32 v122, 0
	;; [unrolled: 1-line block ×5, first 2 shown]
	v_pk_mov_b32 v[70:71], v[10:11], v[10:11] op_sel:[0,1]
	v_pk_mov_b32 v[78:79], v[10:11], v[10:11] op_sel:[0,1]
	;; [unrolled: 1-line block ×8, first 2 shown]
	v_mov_b32_e32 v124, 0
	v_pk_mov_b32 v[38:39], v[10:11], v[10:11] op_sel:[0,1]
	v_pk_mov_b32 v[50:51], v[10:11], v[10:11] op_sel:[0,1]
	;; [unrolled: 1-line block ×5, first 2 shown]
	v_mov_b32_e32 v123, 0
	v_pk_mov_b32 v[34:35], v[10:11], v[10:11] op_sel:[0,1]
	v_pk_mov_b32 v[14:15], v[10:11], v[10:11] op_sel:[0,1]
	;; [unrolled: 1-line block ×5, first 2 shown]
	v_mov_b32_e32 v1, 0
	v_pk_mov_b32 v[2:3], v[10:11], v[10:11] op_sel:[0,1]
	s_waitcnt lgkmcnt(0)
	; wave barrier
	s_waitcnt lgkmcnt(0)
                                        ; implicit-def: $sgpr4_sgpr5
                                        ; implicit-def: $vgpr83
                                        ; implicit-def: $vgpr82
                                        ; implicit-def: $vgpr84
                                        ; implicit-def: $vgpr85
	s_and_saveexec_b64 s[12:13], vcc
	s_cbranch_execz .LBB1212_115
; %bb.76:
	s_movk_i32 s4, 0xa0
	v_mad_u32_u24 v2, v0, s4, v69
	ds_read_b64 v[2:3], v2
	v_cmp_ne_u32_e32 vcc, v68, v36
	v_add_u32_e32 v6, 1, v65
	v_pk_mov_b32 v[10:11], 0, 0
	v_cndmask_b32_e64 v1, 0, 1, vcc
	v_cmp_gt_u32_e32 vcc, s65, v6
	s_mov_b64 s[18:19], 0
	v_mov_b32_e32 v128, 0
	v_mov_b32_e32 v122, 0
	;; [unrolled: 1-line block ×5, first 2 shown]
	v_pk_mov_b32 v[70:71], v[10:11], v[10:11] op_sel:[0,1]
	v_pk_mov_b32 v[78:79], v[10:11], v[10:11] op_sel:[0,1]
	;; [unrolled: 1-line block ×8, first 2 shown]
	v_mov_b32_e32 v124, 0
	v_pk_mov_b32 v[38:39], v[10:11], v[10:11] op_sel:[0,1]
	v_pk_mov_b32 v[50:51], v[10:11], v[10:11] op_sel:[0,1]
	;; [unrolled: 1-line block ×5, first 2 shown]
	v_mov_b32_e32 v123, 0
	v_pk_mov_b32 v[34:35], v[10:11], v[10:11] op_sel:[0,1]
	v_pk_mov_b32 v[14:15], v[10:11], v[10:11] op_sel:[0,1]
	;; [unrolled: 1-line block ×5, first 2 shown]
                                        ; implicit-def: $sgpr4_sgpr5
                                        ; implicit-def: $vgpr83
                                        ; implicit-def: $vgpr82
                                        ; implicit-def: $vgpr84
                                        ; implicit-def: $vgpr85
	s_and_saveexec_b64 s[14:15], vcc
	s_cbranch_execz .LBB1212_114
; %bb.77:
	v_mul_u32_u24_e32 v6, 0xa0, v0
	v_add_u32_e32 v48, v69, v6
	ds_read2_b64 v[18:21], v48 offset0:1 offset1:2
	v_cmp_ne_u32_e64 s[4:5], v36, v37
	v_add_u32_e32 v6, 2, v65
	v_pk_mov_b32 v[10:11], 0, 0
	v_cmp_ne_u32_e32 vcc, v28, v29
	v_cmp_ne_u32_e64 s[6:7], v29, v32
	v_cmp_ne_u32_e64 s[8:9], v37, v28
	v_cndmask_b32_e64 v128, 0, 1, s[4:5]
	v_cmp_gt_u32_e64 s[4:5], s65, v6
	s_mov_b64 s[20:21], 0
	v_mov_b32_e32 v127, 0
	v_mov_b32_e32 v122, 0
	;; [unrolled: 1-line block ×4, first 2 shown]
	v_pk_mov_b32 v[70:71], v[10:11], v[10:11] op_sel:[0,1]
	v_pk_mov_b32 v[78:79], v[10:11], v[10:11] op_sel:[0,1]
	;; [unrolled: 1-line block ×8, first 2 shown]
	v_mov_b32_e32 v124, 0
	v_pk_mov_b32 v[38:39], v[10:11], v[10:11] op_sel:[0,1]
	v_pk_mov_b32 v[50:51], v[10:11], v[10:11] op_sel:[0,1]
	;; [unrolled: 1-line block ×5, first 2 shown]
	v_mov_b32_e32 v123, 0
	v_pk_mov_b32 v[34:35], v[10:11], v[10:11] op_sel:[0,1]
	v_pk_mov_b32 v[14:15], v[10:11], v[10:11] op_sel:[0,1]
	;; [unrolled: 1-line block ×4, first 2 shown]
                                        ; implicit-def: $sgpr22_sgpr23
                                        ; implicit-def: $vgpr83
                                        ; implicit-def: $vgpr82
                                        ; implicit-def: $vgpr84
                                        ; implicit-def: $vgpr85
	s_and_saveexec_b64 s[16:17], s[4:5]
	s_cbranch_execz .LBB1212_113
; %bb.78:
	v_cndmask_b32_e64 v6, 0, 1, s[8:9]
	v_cndmask_b32_e64 v7, 0, 1, s[6:7]
	v_lshlrev_b16_e32 v6, 8, v6
	v_lshlrev_b16_e32 v7, 8, v7
	v_cndmask_b32_e64 v10, 0, 1, vcc
	v_or_b32_e32 v6, v128, v6
	v_or_b32_sdwa v7, v10, v7 dst_sel:WORD_1 dst_unused:UNUSED_PAD src0_sel:DWORD src1_sel:DWORD
	v_add_u32_e32 v10, 3, v65
	v_or_b32_sdwa v83, v6, v7 dst_sel:DWORD dst_unused:UNUSED_PAD src0_sel:WORD_0 src1_sel:DWORD
	v_cmp_gt_u32_e32 vcc, s65, v10
	v_pk_mov_b32 v[10:11], 0, 0
	v_and_b32_e32 v128, 0xffff, v83
	s_waitcnt lgkmcnt(0)
	v_mov_b32_e32 v6, v20
	v_mov_b32_e32 v7, v21
	s_mov_b64 s[4:5], 0
	v_mov_b32_e32 v127, 0
	v_mov_b32_e32 v122, 0
	;; [unrolled: 1-line block ×4, first 2 shown]
	v_pk_mov_b32 v[70:71], v[10:11], v[10:11] op_sel:[0,1]
	v_pk_mov_b32 v[78:79], v[10:11], v[10:11] op_sel:[0,1]
	;; [unrolled: 1-line block ×8, first 2 shown]
	v_mov_b32_e32 v124, 0
	v_pk_mov_b32 v[38:39], v[10:11], v[10:11] op_sel:[0,1]
	v_pk_mov_b32 v[50:51], v[10:11], v[10:11] op_sel:[0,1]
	;; [unrolled: 1-line block ×5, first 2 shown]
	v_mov_b32_e32 v123, 0
	v_pk_mov_b32 v[34:35], v[10:11], v[10:11] op_sel:[0,1]
	v_pk_mov_b32 v[14:15], v[10:11], v[10:11] op_sel:[0,1]
	v_pk_mov_b32 v[26:27], v[10:11], v[10:11] op_sel:[0,1]
                                        ; implicit-def: $sgpr6_sgpr7
                                        ; implicit-def: $vgpr82
                                        ; implicit-def: $vgpr84
                                        ; implicit-def: $vgpr85
	s_and_saveexec_b64 s[18:19], vcc
	s_cbranch_execz .LBB1212_112
; %bb.79:
	ds_read2_b64 v[26:29], v48 offset0:3 offset1:4
	v_add_u32_e32 v10, 4, v65
	v_cmp_gt_u32_e32 vcc, s65, v10
	v_pk_mov_b32 v[10:11], 0, 0
	v_and_b32_e32 v128, 0xffffff, v83
	s_mov_b64 s[6:7], 0
	v_mov_b32_e32 v127, 0
	v_mov_b32_e32 v122, 0
	;; [unrolled: 1-line block ×4, first 2 shown]
	v_pk_mov_b32 v[70:71], v[10:11], v[10:11] op_sel:[0,1]
	v_pk_mov_b32 v[78:79], v[10:11], v[10:11] op_sel:[0,1]
	;; [unrolled: 1-line block ×8, first 2 shown]
	v_mov_b32_e32 v124, 0
	v_pk_mov_b32 v[38:39], v[10:11], v[10:11] op_sel:[0,1]
	v_pk_mov_b32 v[50:51], v[10:11], v[10:11] op_sel:[0,1]
	;; [unrolled: 1-line block ×5, first 2 shown]
	v_mov_b32_e32 v123, 0
	v_pk_mov_b32 v[34:35], v[10:11], v[10:11] op_sel:[0,1]
	v_pk_mov_b32 v[14:15], v[10:11], v[10:11] op_sel:[0,1]
                                        ; implicit-def: $sgpr8_sgpr9
                                        ; implicit-def: $vgpr82
                                        ; implicit-def: $vgpr84
                                        ; implicit-def: $vgpr85
	s_and_saveexec_b64 s[20:21], vcc
	s_cbranch_execz .LBB1212_111
; %bb.80:
	v_add_u32_e32 v10, 5, v65
	v_cmp_gt_u32_e32 vcc, s65, v10
	v_pk_mov_b32 v[10:11], 0, 0
	s_waitcnt lgkmcnt(0)
	v_mov_b32_e32 v14, v28
	v_mov_b32_e32 v15, v29
	;; [unrolled: 1-line block ×6, first 2 shown]
	v_pk_mov_b32 v[70:71], v[10:11], v[10:11] op_sel:[0,1]
	v_pk_mov_b32 v[78:79], v[10:11], v[10:11] op_sel:[0,1]
	;; [unrolled: 1-line block ×8, first 2 shown]
	v_mov_b32_e32 v124, 0
	v_pk_mov_b32 v[38:39], v[10:11], v[10:11] op_sel:[0,1]
	v_pk_mov_b32 v[50:51], v[10:11], v[10:11] op_sel:[0,1]
	;; [unrolled: 1-line block ×5, first 2 shown]
	v_mov_b32_e32 v123, 0
	v_pk_mov_b32 v[34:35], v[10:11], v[10:11] op_sel:[0,1]
                                        ; implicit-def: $sgpr8_sgpr9
                                        ; implicit-def: $vgpr82
                                        ; implicit-def: $vgpr84
                                        ; implicit-def: $vgpr85
	s_and_saveexec_b64 s[22:23], vcc
	s_cbranch_execz .LBB1212_110
; %bb.81:
	ds_read2_b64 v[34:37], v48 offset0:5 offset1:6
	v_cmp_ne_u32_e32 vcc, v32, v44
	v_add_u32_e32 v10, 6, v65
	v_cndmask_b32_e64 v123, 0, 1, vcc
	v_cmp_gt_u32_e32 vcc, s65, v10
	v_pk_mov_b32 v[10:11], 0, 0
	s_mov_b64 s[28:29], 0
	v_mov_b32_e32 v127, 0
	v_mov_b32_e32 v122, 0
	;; [unrolled: 1-line block ×4, first 2 shown]
	v_pk_mov_b32 v[70:71], v[10:11], v[10:11] op_sel:[0,1]
	v_pk_mov_b32 v[78:79], v[10:11], v[10:11] op_sel:[0,1]
	;; [unrolled: 1-line block ×8, first 2 shown]
	v_mov_b32_e32 v124, 0
	v_pk_mov_b32 v[38:39], v[10:11], v[10:11] op_sel:[0,1]
	v_pk_mov_b32 v[50:51], v[10:11], v[10:11] op_sel:[0,1]
	;; [unrolled: 1-line block ×5, first 2 shown]
                                        ; implicit-def: $sgpr6_sgpr7
                                        ; implicit-def: $vgpr82
                                        ; implicit-def: $vgpr84
                                        ; implicit-def: $vgpr85
	s_and_saveexec_b64 s[24:25], vcc
	s_cbranch_execz .LBB1212_109
; %bb.82:
	v_cmp_ne_u32_e64 s[4:5], v44, v45
	v_add_u32_e32 v10, 7, v65
	v_cndmask_b32_e64 v127, 0, 1, s[4:5]
	v_cmp_gt_u32_e64 s[4:5], s65, v10
	v_pk_mov_b32 v[10:11], 0, 0
	s_waitcnt lgkmcnt(0)
	v_mov_b32_e32 v22, v36
	v_mov_b32_e32 v23, v37
	v_cmp_ne_u32_e32 vcc, v40, v41
	v_cmp_ne_u32_e64 s[6:7], v41, v33
	v_cmp_ne_u32_e64 s[8:9], v45, v40
	s_mov_b64 s[30:31], 0
	v_mov_b32_e32 v126, 0
	v_mov_b32_e32 v122, 0
	;; [unrolled: 1-line block ×3, first 2 shown]
	v_pk_mov_b32 v[70:71], v[10:11], v[10:11] op_sel:[0,1]
	v_pk_mov_b32 v[78:79], v[10:11], v[10:11] op_sel:[0,1]
	;; [unrolled: 1-line block ×8, first 2 shown]
	v_mov_b32_e32 v124, 0
	v_pk_mov_b32 v[38:39], v[10:11], v[10:11] op_sel:[0,1]
	v_pk_mov_b32 v[50:51], v[10:11], v[10:11] op_sel:[0,1]
	;; [unrolled: 1-line block ×4, first 2 shown]
                                        ; implicit-def: $sgpr34_sgpr35
                                        ; implicit-def: $vgpr82
                                        ; implicit-def: $vgpr84
                                        ; implicit-def: $vgpr85
	s_and_saveexec_b64 s[26:27], s[4:5]
	s_cbranch_execz .LBB1212_108
; %bb.83:
	v_cndmask_b32_e64 v10, 0, 1, s[8:9]
	v_cndmask_b32_e64 v11, 0, 1, s[6:7]
	v_lshlrev_b16_e32 v10, 8, v10
	v_lshlrev_b16_e32 v11, 8, v11
	v_cndmask_b32_e64 v20, 0, 1, vcc
	ds_read2_b64 v[42:45], v48 offset0:7 offset1:8
	v_or_b32_e32 v10, v127, v10
	v_or_b32_sdwa v11, v20, v11 dst_sel:WORD_1 dst_unused:UNUSED_PAD src0_sel:DWORD src1_sel:DWORD
	v_or_b32_sdwa v82, v10, v11 dst_sel:DWORD dst_unused:UNUSED_PAD src0_sel:WORD_0 src1_sel:DWORD
	v_add_u32_e32 v10, 8, v65
	v_cmp_gt_u32_e32 vcc, s65, v10
	v_pk_mov_b32 v[10:11], 0, 0
	v_and_b32_e32 v127, 0xffff, v82
	s_mov_b64 s[4:5], 0
	v_mov_b32_e32 v126, 0
	v_mov_b32_e32 v122, 0
	;; [unrolled: 1-line block ×3, first 2 shown]
	v_pk_mov_b32 v[70:71], v[10:11], v[10:11] op_sel:[0,1]
	v_pk_mov_b32 v[78:79], v[10:11], v[10:11] op_sel:[0,1]
	;; [unrolled: 1-line block ×8, first 2 shown]
	v_mov_b32_e32 v124, 0
	v_pk_mov_b32 v[38:39], v[10:11], v[10:11] op_sel:[0,1]
	v_pk_mov_b32 v[50:51], v[10:11], v[10:11] op_sel:[0,1]
	;; [unrolled: 1-line block ×3, first 2 shown]
                                        ; implicit-def: $sgpr6_sgpr7
                                        ; implicit-def: $vgpr84
                                        ; implicit-def: $vgpr85
	s_and_saveexec_b64 s[28:29], vcc
	s_cbranch_execz .LBB1212_107
; %bb.84:
	v_add_u32_e32 v10, 9, v65
	v_cmp_gt_u32_e32 vcc, s65, v10
	v_pk_mov_b32 v[10:11], 0, 0
	s_waitcnt lgkmcnt(0)
	v_mov_b32_e32 v30, v44
	v_mov_b32_e32 v31, v45
	v_and_b32_e32 v127, 0xffffff, v82
	s_mov_b64 s[6:7], 0
	v_mov_b32_e32 v126, 0
	v_mov_b32_e32 v122, 0
	;; [unrolled: 1-line block ×3, first 2 shown]
	v_pk_mov_b32 v[70:71], v[10:11], v[10:11] op_sel:[0,1]
	v_pk_mov_b32 v[78:79], v[10:11], v[10:11] op_sel:[0,1]
	;; [unrolled: 1-line block ×8, first 2 shown]
	v_mov_b32_e32 v124, 0
	v_pk_mov_b32 v[38:39], v[10:11], v[10:11] op_sel:[0,1]
	v_pk_mov_b32 v[50:51], v[10:11], v[10:11] op_sel:[0,1]
                                        ; implicit-def: $sgpr8_sgpr9
                                        ; implicit-def: $vgpr84
                                        ; implicit-def: $vgpr85
	s_and_saveexec_b64 s[30:31], vcc
	s_cbranch_execz .LBB1212_106
; %bb.85:
	ds_read2_b64 v[50:53], v48 offset0:9 offset1:10
	v_add_u32_e32 v10, 10, v65
	v_cmp_gt_u32_e32 vcc, s65, v10
	v_pk_mov_b32 v[10:11], 0, 0
	v_mov_b32_e32 v126, 0
	v_mov_b32_e32 v122, 0
	;; [unrolled: 1-line block ×3, first 2 shown]
	v_pk_mov_b32 v[70:71], v[10:11], v[10:11] op_sel:[0,1]
	v_pk_mov_b32 v[78:79], v[10:11], v[10:11] op_sel:[0,1]
	;; [unrolled: 1-line block ×8, first 2 shown]
	v_mov_b32_e32 v124, 0
	v_pk_mov_b32 v[38:39], v[10:11], v[10:11] op_sel:[0,1]
                                        ; implicit-def: $sgpr8_sgpr9
                                        ; implicit-def: $vgpr84
                                        ; implicit-def: $vgpr85
	s_and_saveexec_b64 s[34:35], vcc
	s_cbranch_execz .LBB1212_105
; %bb.86:
	v_cmp_ne_u32_e32 vcc, v33, v24
	v_add_u32_e32 v10, 11, v65
	v_cndmask_b32_e64 v124, 0, 1, vcc
	v_cmp_gt_u32_e32 vcc, s65, v10
	v_pk_mov_b32 v[10:11], 0, 0
	s_waitcnt lgkmcnt(0)
	v_mov_b32_e32 v38, v52
	v_mov_b32_e32 v39, v53
	s_mov_b64 s[40:41], 0
	v_mov_b32_e32 v126, 0
	v_mov_b32_e32 v122, 0
	;; [unrolled: 1-line block ×3, first 2 shown]
	v_pk_mov_b32 v[70:71], v[10:11], v[10:11] op_sel:[0,1]
	v_pk_mov_b32 v[78:79], v[10:11], v[10:11] op_sel:[0,1]
	;; [unrolled: 1-line block ×8, first 2 shown]
                                        ; implicit-def: $sgpr6_sgpr7
                                        ; implicit-def: $vgpr84
                                        ; implicit-def: $vgpr85
	s_and_saveexec_b64 s[36:37], vcc
	s_cbranch_execz .LBB1212_104
; %bb.87:
	ds_read2_b64 v[58:61], v48 offset0:11 offset1:12
	v_cmp_ne_u32_e64 s[4:5], v24, v25
	v_add_u32_e32 v10, 12, v65
	v_cndmask_b32_e64 v126, 0, 1, s[4:5]
	v_cmp_gt_u32_e64 s[4:5], s65, v10
	v_pk_mov_b32 v[10:11], 0, 0
	v_cmp_ne_u32_e32 vcc, v16, v17
	v_cmp_ne_u32_e64 s[6:7], v17, v64
	v_cmp_ne_u32_e64 s[8:9], v25, v16
	s_mov_b64 s[42:43], 0
	v_mov_b32_e32 v125, 0
	v_mov_b32_e32 v122, 0
	v_pk_mov_b32 v[70:71], v[10:11], v[10:11] op_sel:[0,1]
	v_pk_mov_b32 v[78:79], v[10:11], v[10:11] op_sel:[0,1]
	;; [unrolled: 1-line block ×7, first 2 shown]
                                        ; implicit-def: $sgpr44_sgpr45
                                        ; implicit-def: $vgpr84
                                        ; implicit-def: $vgpr85
	s_and_saveexec_b64 s[38:39], s[4:5]
	s_cbranch_execz .LBB1212_103
; %bb.88:
	v_cndmask_b32_e64 v10, 0, 1, s[8:9]
	v_cndmask_b32_e64 v11, 0, 1, s[6:7]
	v_lshlrev_b16_e32 v10, 8, v10
	v_lshlrev_b16_e32 v11, 8, v11
	v_cndmask_b32_e64 v16, 0, 1, vcc
	v_or_b32_e32 v10, v126, v10
	v_or_b32_sdwa v11, v16, v11 dst_sel:WORD_1 dst_unused:UNUSED_PAD src0_sel:DWORD src1_sel:DWORD
	v_or_b32_sdwa v84, v10, v11 dst_sel:DWORD dst_unused:UNUSED_PAD src0_sel:WORD_0 src1_sel:DWORD
	v_add_u32_e32 v10, 13, v65
	v_cmp_gt_u32_e32 vcc, s65, v10
	v_pk_mov_b32 v[10:11], 0, 0
	v_and_b32_e32 v126, 0xffff, v84
	s_waitcnt lgkmcnt(0)
	v_mov_b32_e32 v46, v60
	v_mov_b32_e32 v47, v61
	s_mov_b64 s[4:5], 0
	v_mov_b32_e32 v125, 0
	v_mov_b32_e32 v122, 0
	v_pk_mov_b32 v[70:71], v[10:11], v[10:11] op_sel:[0,1]
	v_pk_mov_b32 v[78:79], v[10:11], v[10:11] op_sel:[0,1]
	;; [unrolled: 1-line block ×6, first 2 shown]
                                        ; implicit-def: $sgpr6_sgpr7
                                        ; implicit-def: $vgpr85
	s_and_saveexec_b64 s[40:41], vcc
	s_cbranch_execz .LBB1212_102
; %bb.89:
	ds_read2_b64 v[66:69], v48 offset0:13 offset1:14
	v_add_u32_e32 v10, 14, v65
	s_mov_b32 s78, s74
	v_cmp_gt_u32_e32 vcc, s65, v10
	v_pk_mov_b32 v[10:11], 0, 0
	s_mov_b64 s[66:67], s[2:3]
	s_mov_b64 s[2:3], s[60:61]
	s_mov_b64 s[76:77], s[72:73]
	s_mov_b64 s[74:75], s[70:71]
	s_mov_b64 s[72:73], s[68:69]
	s_mov_b64 s[70:71], s[58:59]
	v_and_b32_e32 v126, 0xffffff, v84
	s_mov_b64 s[6:7], 0
	v_mov_b32_e32 v125, 0
	v_mov_b32_e32 v122, 0
	v_pk_mov_b32 v[70:71], v[10:11], v[10:11] op_sel:[0,1]
	v_pk_mov_b32 v[78:79], v[10:11], v[10:11] op_sel:[0,1]
	;; [unrolled: 1-line block ×5, first 2 shown]
                                        ; implicit-def: $sgpr8_sgpr9
                                        ; implicit-def: $vgpr85
	s_and_saveexec_b64 s[42:43], vcc
	s_cbranch_execz .LBB1212_101
; %bb.90:
	v_add_u32_e32 v10, 15, v65
	v_cmp_gt_u32_e32 vcc, s65, v10
	v_pk_mov_b32 v[10:11], 0, 0
	s_waitcnt lgkmcnt(0)
	v_mov_b32_e32 v54, v68
	v_mov_b32_e32 v55, v69
	;; [unrolled: 1-line block ×4, first 2 shown]
	v_pk_mov_b32 v[70:71], v[10:11], v[10:11] op_sel:[0,1]
	v_pk_mov_b32 v[78:79], v[10:11], v[10:11] op_sel:[0,1]
	;; [unrolled: 1-line block ×4, first 2 shown]
                                        ; implicit-def: $sgpr8_sgpr9
                                        ; implicit-def: $vgpr85
	s_and_saveexec_b64 s[44:45], vcc
	s_cbranch_execz .LBB1212_100
; %bb.91:
	ds_read2_b64 v[74:77], v48 offset0:15 offset1:16
	v_cmp_ne_u32_e32 vcc, v64, v8
	v_add_u32_e32 v10, 16, v65
	v_cndmask_b32_e64 v122, 0, 1, vcc
	v_cmp_gt_u32_e32 vcc, s65, v10
	v_pk_mov_b32 v[10:11], 0, 0
	s_mov_b64 s[56:57], 0
	v_mov_b32_e32 v125, 0
	v_pk_mov_b32 v[70:71], v[10:11], v[10:11] op_sel:[0,1]
	v_pk_mov_b32 v[78:79], v[10:11], v[10:11] op_sel:[0,1]
	;; [unrolled: 1-line block ×3, first 2 shown]
                                        ; implicit-def: $sgpr6_sgpr7
                                        ; implicit-def: $vgpr85
	s_and_saveexec_b64 s[46:47], vcc
	s_cbranch_execz .LBB1212_99
; %bb.92:
	v_cmp_ne_u32_e64 s[4:5], v8, v9
	v_add_u32_e32 v8, 17, v65
	v_pk_mov_b32 v[10:11], 0, 0
	s_waitcnt lgkmcnt(0)
	v_mov_b32_e32 v62, v76
	v_mov_b32_e32 v63, v77
	v_cmp_ne_u32_e32 vcc, v12, v13
	v_cmp_ne_u32_e64 s[6:7], v13, v4
	v_cmp_ne_u32_e64 s[8:9], v9, v12
	v_cndmask_b32_e64 v125, 0, 1, s[4:5]
	v_cmp_gt_u32_e64 s[4:5], s65, v8
	s_mov_b64 s[58:59], 0
	v_pk_mov_b32 v[70:71], v[10:11], v[10:11] op_sel:[0,1]
	v_pk_mov_b32 v[78:79], v[10:11], v[10:11] op_sel:[0,1]
                                        ; implicit-def: $sgpr60_sgpr61
                                        ; implicit-def: $vgpr85
	s_and_saveexec_b64 s[48:49], s[4:5]
	s_cbranch_execz .LBB1212_98
; %bb.93:
	v_cndmask_b32_e64 v8, 0, 1, s[8:9]
	v_cndmask_b32_e64 v9, 0, 1, s[6:7]
	ds_read2_b64 v[78:81], v48 offset0:17 offset1:18
	v_lshlrev_b16_e32 v8, 8, v8
	v_lshlrev_b16_e32 v9, 8, v9
	v_cndmask_b32_e64 v10, 0, 1, vcc
	v_or_b32_e32 v8, v125, v8
	v_or_b32_sdwa v9, v10, v9 dst_sel:WORD_1 dst_unused:UNUSED_PAD src0_sel:DWORD src1_sel:DWORD
	v_or_b32_sdwa v85, v8, v9 dst_sel:DWORD dst_unused:UNUSED_PAD src0_sel:WORD_0 src1_sel:DWORD
	v_add_u32_e32 v8, 18, v65
	v_pk_mov_b32 v[10:11], 0, 0
	v_and_b32_e32 v125, 0xffff, v85
	v_cmp_gt_u32_e32 vcc, s65, v8
	s_mov_b64 s[4:5], 0
	v_pk_mov_b32 v[70:71], v[10:11], v[10:11] op_sel:[0,1]
                                        ; implicit-def: $sgpr8_sgpr9
	s_and_saveexec_b64 s[6:7], vcc
	s_cbranch_execz .LBB1212_97
; %bb.94:
	v_add_u32_e32 v8, 19, v65
	s_waitcnt lgkmcnt(0)
	v_mov_b32_e32 v70, v80
	v_mov_b32_e32 v71, v81
	v_cmp_gt_u32_e32 vcc, s65, v8
	v_and_b32_e32 v125, 0xffffff, v85
	v_pk_mov_b32 v[10:11], 0, 0
                                        ; implicit-def: $sgpr8_sgpr9
	s_and_saveexec_b64 s[56:57], vcc
	s_xor_b64 s[56:57], exec, s[56:57]
	s_cbranch_execz .LBB1212_96
; %bb.95:
	ds_read2_b64 v[10:13], v48 offset0:19 offset1:20
	v_cmp_ne_u32_e32 vcc, v4, v5
	v_add_u32_e32 v4, 20, v65
	v_cmp_gt_u32_e64 s[4:5], s65, v4
	s_and_b64 s[8:9], vcc, exec
	s_and_b64 s[4:5], s[4:5], exec
	s_waitcnt lgkmcnt(0)
	v_pk_mov_b32 v[72:73], v[10:11], v[10:11] op_sel:[0,1]
	v_mov_b32_e32 v125, v85
.LBB1212_96:
	s_or_b64 exec, exec, s[56:57]
	s_and_b64 s[8:9], s[8:9], exec
	s_and_b64 s[58:59], s[4:5], exec
.LBB1212_97:
	s_or_b64 exec, exec, s[6:7]
	s_and_b64 s[60:61], s[8:9], exec
	s_and_b64 s[56:57], s[58:59], exec
	s_waitcnt lgkmcnt(0)
	v_pk_mov_b32 v[64:65], v[78:79], v[78:79] op_sel:[0,1]
	v_pk_mov_b32 v[56:57], v[74:75], v[74:75] op_sel:[0,1]
	;; [unrolled: 1-line block ×9, first 2 shown]
.LBB1212_98:
	s_or_b64 exec, exec, s[48:49]
	s_and_b64 s[6:7], s[60:61], exec
	s_and_b64 s[4:5], s[56:57], exec
.LBB1212_99:
	s_or_b64 exec, exec, s[46:47]
	s_and_b64 s[8:9], s[6:7], exec
	s_and_b64 s[6:7], s[4:5], exec
.LBB1212_100:
	s_or_b64 exec, exec, s[44:45]
	s_and_b64 s[8:9], s[8:9], exec
	s_and_b64 s[4:5], s[6:7], exec
	v_mov_b32_e32 v126, v84
.LBB1212_101:
	s_or_b64 exec, exec, s[42:43]
	s_mov_b64 s[58:59], s[70:71]
	s_mov_b64 s[68:69], s[72:73]
	s_and_b64 s[6:7], s[8:9], exec
	s_and_b64 s[42:43], s[4:5], exec
	s_mov_b64 s[70:71], s[74:75]
	s_mov_b64 s[72:73], s[76:77]
	s_mov_b32 s74, s78
	s_mov_b64 s[60:61], s[2:3]
	s_mov_b64 s[2:3], s[66:67]
.LBB1212_102:
	s_or_b64 exec, exec, s[40:41]
	s_and_b64 s[44:45], s[6:7], exec
	s_and_b64 s[40:41], s[42:43], exec
.LBB1212_103:
	s_or_b64 exec, exec, s[38:39]
	s_and_b64 s[6:7], s[44:45], exec
	s_and_b64 s[4:5], s[40:41], exec
.LBB1212_104:
	s_or_b64 exec, exec, s[36:37]
	s_and_b64 s[8:9], s[6:7], exec
	s_and_b64 s[6:7], s[4:5], exec
.LBB1212_105:
	s_or_b64 exec, exec, s[34:35]
	s_and_b64 s[8:9], s[8:9], exec
	s_and_b64 s[4:5], s[6:7], exec
	v_mov_b32_e32 v127, v82
.LBB1212_106:
	s_or_b64 exec, exec, s[30:31]
	s_and_b64 s[6:7], s[8:9], exec
	s_and_b64 s[30:31], s[4:5], exec
.LBB1212_107:
	s_or_b64 exec, exec, s[28:29]
	s_and_b64 s[34:35], s[6:7], exec
	s_and_b64 s[28:29], s[30:31], exec
.LBB1212_108:
	s_or_b64 exec, exec, s[26:27]
	s_and_b64 s[6:7], s[34:35], exec
	s_and_b64 s[4:5], s[28:29], exec
.LBB1212_109:
	s_or_b64 exec, exec, s[24:25]
	s_and_b64 s[8:9], s[6:7], exec
	s_and_b64 s[6:7], s[4:5], exec
.LBB1212_110:
	s_or_b64 exec, exec, s[22:23]
	s_and_b64 s[8:9], s[8:9], exec
	s_and_b64 s[4:5], s[6:7], exec
	v_mov_b32_e32 v128, v83
.LBB1212_111:
	s_or_b64 exec, exec, s[20:21]
	s_and_b64 s[6:7], s[8:9], exec
	s_and_b64 s[20:21], s[4:5], exec
.LBB1212_112:
	s_or_b64 exec, exec, s[18:19]
	s_and_b64 s[22:23], s[6:7], exec
	s_and_b64 s[18:19], s[20:21], exec
.LBB1212_113:
	s_or_b64 exec, exec, s[16:17]
	s_and_b64 s[4:5], s[22:23], exec
	s_and_b64 s[6:7], s[18:19], exec
.LBB1212_114:
	s_or_b64 exec, exec, s[14:15]
	s_and_b64 s[4:5], s[4:5], exec
	s_and_b64 s[6:7], s[6:7], exec
.LBB1212_115:
	s_or_b64 exec, exec, s[12:13]
	s_mov_b64 s[8:9], 0
	s_and_b64 vcc, exec, s[10:11]
	s_cbranch_vccnz .LBB1212_117
	s_branch .LBB1212_125
.LBB1212_116:
                                        ; implicit-def: $sgpr4_sgpr5
                                        ; implicit-def: $vgpr83
                                        ; implicit-def: $vgpr82
                                        ; implicit-def: $vgpr84
                                        ; implicit-def: $vgpr85
                                        ; implicit-def: $vgpr12_vgpr13
                                        ; implicit-def: $vgpr72_vgpr73
                                        ; implicit-def: $vgpr64_vgpr65
                                        ; implicit-def: $vgpr122
                                        ; implicit-def: $vgpr56_vgpr57
                                        ; implicit-def: $vgpr48_vgpr49
                                        ; implicit-def: $vgpr40_vgpr41
                                        ; implicit-def: $vgpr124
                                        ; implicit-def: $vgpr32_vgpr33
                                        ; implicit-def: $vgpr24_vgpr25
                                        ; implicit-def: $vgpr123
                                        ; implicit-def: $vgpr16_vgpr17
                                        ; implicit-def: $vgpr8_vgpr9
                                        ; implicit-def: $vgpr4_vgpr5
                                        ; implicit-def: $vgpr1
                                        ; implicit-def: $vgpr128
                                        ; implicit-def: $vgpr127
                                        ; implicit-def: $vgpr126
                                        ; implicit-def: $vgpr125
                                        ; implicit-def: $sgpr64
                                        ; implicit-def: $sgpr8_sgpr9
                                        ; implicit-def: $vgpr78_vgpr79
                                        ; implicit-def: $vgpr74_vgpr75
                                        ; implicit-def: $vgpr66_vgpr67
                                        ; implicit-def: $vgpr58_vgpr59
                                        ; implicit-def: $vgpr50_vgpr51
                                        ; implicit-def: $vgpr42_vgpr43
                                        ; implicit-def: $vgpr34_vgpr35
                                        ; implicit-def: $vgpr26_vgpr27
                                        ; implicit-def: $vgpr18_vgpr19
	s_and_b64 vcc, exec, s[10:11]
	s_cbranch_vccz .LBB1212_125
.LBB1212_117:
	v_lshlrev_b32_e32 v1, 2, v0
	s_waitcnt lgkmcnt(0)
	v_mov_b32_e32 v3, s51
	v_add_co_u32_e32 v2, vcc, s50, v1
	v_addc_co_u32_e32 v3, vcc, 0, v3, vcc
	s_movk_i32 s4, 0x1000
	flat_load_dword v4, v[2:3]
	flat_load_dword v5, v[2:3] offset:256
	flat_load_dword v6, v[2:3] offset:512
	;; [unrolled: 1-line block ×15, first 2 shown]
	v_add_co_u32_e32 v2, vcc, s4, v2
	v_addc_co_u32_e32 v3, vcc, 0, v3, vcc
	flat_load_dword v20, v[2:3]
	flat_load_dword v21, v[2:3] offset:256
	flat_load_dword v22, v[2:3] offset:512
	;; [unrolled: 1-line block ×4, first 2 shown]
	s_movk_i32 s4, 0x50
	v_mad_u32_u24 v23, v0, s4, v1
	s_cmp_eq_u64 s[54:55], 0
	s_waitcnt vmcnt(0) lgkmcnt(0)
	ds_write2st64_b32 v1, v4, v5 offset1:1
	ds_write2st64_b32 v1, v6, v7 offset0:2 offset1:3
	ds_write2st64_b32 v1, v8, v9 offset0:4 offset1:5
	;; [unrolled: 1-line block ×9, first 2 shown]
	ds_write_b32 v1, v25 offset:5120
	s_waitcnt lgkmcnt(0)
	; wave barrier
	s_waitcnt lgkmcnt(0)
	ds_read2_b32 v[8:9], v23 offset0:7 offset1:8
	ds_read2_b32 v[6:7], v23 offset0:5 offset1:6
	;; [unrolled: 1-line block ×3, first 2 shown]
	ds_read2_b32 v[10:11], v23 offset1:1
	ds_read2_b32 v[4:5], v23 offset0:4 offset1:9
	ds_read2_b32 v[16:17], v23 offset0:15 offset1:16
	ds_read_b32 v22, v23 offset:56
	ds_read2_b32 v[14:15], v23 offset0:12 offset1:13
	ds_read2_b32 v[12:13], v23 offset0:10 offset1:11
	;; [unrolled: 1-line block ×4, first 2 shown]
	s_cbranch_scc1 .LBB1212_122
; %bb.118:
	s_andn2_b64 vcc, exec, s[52:53]
	s_cbranch_vccnz .LBB1212_276
; %bb.119:
	v_readlane_b32 s8, v131, 4
	v_readlane_b32 s10, v131, 6
	;; [unrolled: 1-line block ×5, first 2 shown]
	s_lshl_b64 s[4:5], s[54:55], 2
	s_mov_b64 s[10:11], s[14:15]
	s_add_u32 s4, s10, s4
	s_addc_u32 s5, s11, s5
	s_add_u32 s4, s4, -4
	s_addc_u32 s5, s5, -1
	v_readlane_b32 s9, v131, 5
	v_readlane_b32 s12, v131, 8
	;; [unrolled: 1-line block ×3, first 2 shown]
	s_cbranch_execnz .LBB1212_121
.LBB1212_120:
	s_add_u32 s4, s50, -4
	s_addc_u32 s5, s51, -1
.LBB1212_121:
	s_mov_b64 s[50:51], s[4:5]
.LBB1212_122:
	v_pk_mov_b32 v[24:25], s[50:51], s[50:51] op_sel:[0,1]
	flat_load_dword v1, v[24:25]
	s_movk_i32 s4, 0xffb0
	v_mad_i32_i24 v23, v0, s4, v23
	s_waitcnt lgkmcnt(0)
	ds_write_b32 v23, v21 offset:5376
	s_waitcnt lgkmcnt(0)
	; wave barrier
	s_waitcnt lgkmcnt(0)
	s_mov_b64 s[4:5], exec
	v_readlane_b32 s6, v131, 2
	v_readlane_b32 s7, v131, 3
	s_and_b64 s[6:7], s[4:5], s[6:7]
	s_mov_b64 exec, s[6:7]
	s_cbranch_execz .LBB1212_124
; %bb.123:
	s_waitcnt vmcnt(0)
	ds_read_b32 v1, v23 offset:5372
.LBB1212_124:
	s_or_b64 exec, exec, s[4:5]
	v_lshlrev_b32_e32 v24, 3, v0
	v_mov_b32_e32 v25, s63
	v_add_co_u32_e32 v24, vcc, s62, v24
	v_addc_co_u32_e32 v25, vcc, 0, v25, vcc
	s_movk_i32 s4, 0x1000
	v_add_co_u32_e32 v42, vcc, s4, v24
	v_addc_co_u32_e32 v43, vcc, 0, v25, vcc
	s_movk_i32 s4, 0x2000
	s_waitcnt lgkmcnt(0)
	; wave barrier
	s_waitcnt lgkmcnt(0)
	flat_load_dwordx2 v[26:27], v[24:25]
	flat_load_dwordx2 v[28:29], v[24:25] offset:512
	flat_load_dwordx2 v[30:31], v[24:25] offset:1024
	;; [unrolled: 1-line block ×7, first 2 shown]
	v_add_co_u32_e32 v24, vcc, s4, v24
	v_addc_co_u32_e32 v25, vcc, 0, v25, vcc
	flat_load_dwordx2 v[44:45], v[42:43]
	flat_load_dwordx2 v[46:47], v[42:43] offset:512
	flat_load_dwordx2 v[48:49], v[42:43] offset:1024
	;; [unrolled: 1-line block ×7, first 2 shown]
	s_nop 0
	flat_load_dwordx2 v[42:43], v[24:25]
	flat_load_dwordx2 v[60:61], v[24:25] offset:512
	flat_load_dwordx2 v[62:63], v[24:25] offset:1024
	;; [unrolled: 1-line block ×4, first 2 shown]
	v_cmp_ne_u32_e32 vcc, v17, v18
	v_cmp_ne_u32_e64 s[4:5], v20, v21
	v_cndmask_b32_e64 v21, 0, 1, vcc
	v_cmp_ne_u32_e32 vcc, v16, v17
	v_cndmask_b32_e64 v17, 0, 1, vcc
	v_cmp_ne_u32_e32 vcc, v19, v20
	;; [unrolled: 2-line block ×6, first 2 shown]
	v_lshlrev_b16_e32 v16, 8, v16
	v_cndmask_b32_e64 v13, 0, 1, vcc
	v_cmp_ne_u32_e32 vcc, v15, v22
	v_or_b32_e32 v13, v13, v16
	v_cndmask_b32_e64 v16, 0, 1, vcc
	v_cmp_ne_u32_e32 vcc, v14, v15
	v_cndmask_b32_e64 v14, 0, 1, vcc
	v_cmp_ne_u32_e32 vcc, v5, v12
	v_cndmask_b32_e64 v124, 0, 1, vcc
	v_cmp_ne_u32_e32 vcc, v7, v8
	v_cndmask_b32_e64 v12, 0, 1, vcc
	v_cmp_ne_u32_e32 vcc, v6, v7
	v_cndmask_b32_e64 v7, 0, 1, vcc
	v_cmp_ne_u32_e32 vcc, v9, v5
	v_cndmask_b32_e64 v5, 0, 1, vcc
	v_cmp_ne_u32_e32 vcc, v8, v9
	v_lshlrev_b16_e32 v12, 8, v12
	v_lshlrev_b16_e32 v5, 8, v5
	v_cndmask_b32_e64 v8, 0, 1, vcc
	v_cmp_ne_u32_e32 vcc, v4, v6
	v_or_b32_e32 v7, v7, v12
	v_or_b32_sdwa v5, v8, v5 dst_sel:WORD_1 dst_unused:UNUSED_PAD src0_sel:DWORD src1_sel:DWORD
	v_cndmask_b32_e64 v123, 0, 1, vcc
	v_cmp_ne_u32_e32 vcc, v11, v2
	v_or_b32_sdwa v82, v7, v5 dst_sel:DWORD dst_unused:UNUSED_PAD src0_sel:WORD_0 src1_sel:DWORD
	v_cndmask_b32_e64 v5, 0, 1, vcc
	v_cmp_ne_u32_e32 vcc, v10, v11
	v_cndmask_b32_e64 v6, 0, 1, vcc
	v_cmp_ne_u32_e32 vcc, v3, v4
	v_lshlrev_b16_e32 v21, 8, v21
	v_lshlrev_b16_e32 v20, 8, v20
	v_cndmask_b32_e64 v4, 0, 1, vcc
	v_cmp_ne_u32_e32 vcc, v2, v3
	v_or_b32_e32 v17, v17, v21
	v_or_b32_sdwa v18, v18, v20 dst_sel:WORD_1 dst_unused:UNUSED_PAD src0_sel:DWORD src1_sel:DWORD
	v_lshlrev_b16_e32 v4, 8, v4
	v_cndmask_b32_e64 v2, 0, 1, vcc
	v_or_b32_sdwa v85, v17, v18 dst_sel:DWORD dst_unused:UNUSED_PAD src0_sel:WORD_0 src1_sel:DWORD
	v_lshlrev_b16_e32 v16, 8, v16
	v_or_b32_sdwa v18, v2, v4 dst_sel:WORD_1 dst_unused:UNUSED_PAD src0_sel:DWORD src1_sel:DWORD
	v_lshl_add_u32 v2, v0, 2, v23
	s_movk_i32 s6, 0xa0
	v_or_b32_sdwa v14, v14, v16 dst_sel:WORD_1 dst_unused:UNUSED_PAD src0_sel:DWORD src1_sel:DWORD
	v_lshlrev_b16_e32 v5, 8, v5
	v_mad_u32_u24 v12, v0, s6, v2
	v_or_b32_sdwa v84, v13, v14 dst_sel:DWORD dst_unused:UNUSED_PAD src0_sel:WORD_0 src1_sel:DWORD
	v_or_b32_e32 v11, v6, v5
	s_waitcnt vmcnt(0)
	v_cmp_ne_u32_e32 vcc, v1, v10
	v_or_b32_sdwa v83, v11, v18 dst_sel:DWORD dst_unused:UNUSED_PAD src0_sel:WORD_0 src1_sel:DWORD
	v_cndmask_b32_e64 v1, 0, 1, vcc
	s_mov_b64 s[6:7], -1
                                        ; implicit-def: $vgpr128
                                        ; implicit-def: $vgpr127
                                        ; implicit-def: $vgpr126
                                        ; implicit-def: $vgpr125
                                        ; implicit-def: $sgpr64
                                        ; implicit-def: $sgpr8_sgpr9
                                        ; implicit-def: $vgpr78_vgpr79
                                        ; implicit-def: $vgpr74_vgpr75
                                        ; implicit-def: $vgpr18_vgpr19
	s_waitcnt lgkmcnt(0)
	ds_write2st64_b64 v2, v[26:27], v[28:29] offset1:1
	ds_write2st64_b64 v2, v[30:31], v[32:33] offset0:2 offset1:3
	ds_write2st64_b64 v2, v[34:35], v[36:37] offset0:4 offset1:5
	ds_write2st64_b64 v2, v[38:39], v[40:41] offset0:6 offset1:7
	ds_write2st64_b64 v2, v[44:45], v[46:47] offset0:8 offset1:9
	ds_write2st64_b64 v2, v[48:49], v[50:51] offset0:10 offset1:11
	ds_write2st64_b64 v2, v[52:53], v[54:55] offset0:12 offset1:13
	ds_write2st64_b64 v2, v[56:57], v[58:59] offset0:14 offset1:15
	ds_write2st64_b64 v2, v[42:43], v[60:61] offset0:16 offset1:17
	ds_write2st64_b64 v2, v[62:63], v[64:65] offset0:18 offset1:19
	ds_write_b64 v2, v[66:67] offset:10240
	s_waitcnt lgkmcnt(0)
	; wave barrier
	s_waitcnt lgkmcnt(0)
	ds_read2_b64 v[2:5], v12 offset1:1
	ds_read2_b64 v[6:9], v12 offset0:2 offset1:3
	ds_read2_b64 v[14:17], v12 offset0:4 offset1:5
	;; [unrolled: 1-line block ×9, first 2 shown]
	ds_read_b64 v[12:13], v12 offset:160
                                        ; implicit-def: $vgpr66_vgpr67
                                        ; implicit-def: $vgpr58_vgpr59
                                        ; implicit-def: $vgpr50_vgpr51
                                        ; implicit-def: $vgpr42_vgpr43
                                        ; implicit-def: $vgpr34_vgpr35
                                        ; implicit-def: $vgpr26_vgpr27
.LBB1212_125:
	s_waitcnt lgkmcnt(0)
	v_pk_mov_b32 v[20:21], s[8:9], s[8:9] op_sel:[0,1]
	v_mov_b32_e32 v28, s64
	s_and_saveexec_b64 s[8:9], s[6:7]
	s_cbranch_execz .LBB1212_127
; %bb.126:
	v_cndmask_b32_e64 v28, 0, 1, s[4:5]
	v_pk_mov_b32 v[18:19], v[4:5], v[4:5] op_sel:[0,1]
	v_pk_mov_b32 v[26:27], v[8:9], v[8:9] op_sel:[0,1]
	;; [unrolled: 1-line block ×11, first 2 shown]
	v_mov_b32_e32 v125, v85
	v_mov_b32_e32 v126, v84
	;; [unrolled: 1-line block ×4, first 2 shown]
.LBB1212_127:
	s_or_b64 exec, exec, s[8:9]
	v_and_b32_e32 v129, 1, v123
	v_and_b32_e32 v40, 1, v124
	;; [unrolled: 1-line block ×4, first 2 shown]
	s_cmp_lg_u32 s33, 0
	v_lshrrev_b32_e32 v130, 8, v128
	v_cmp_eq_u32_e32 vcc, 1, v129
	v_lshrrev_b32_e32 v41, 8, v127
	v_cmp_eq_u32_e64 s[48:49], 1, v40
	v_lshrrev_b32_e32 v37, 8, v126
	v_cmp_eq_u32_e64 s[50:51], 1, v33
	;; [unrolled: 2-line block ×3, first 2 shown]
	v_mbcnt_lo_u32_b32 v29, -1, 0
	s_waitcnt lgkmcnt(0)
	; wave barrier
	s_cbranch_scc0 .LBB1212_186
; %bb.128:
	v_mov_b32_e32 v4, 0
	v_cmp_eq_u16_sdwa s[6:7], v128, v4 src0_sel:BYTE_0 src1_sel:DWORD
	v_cndmask_b32_e64 v9, 0, v2, s[6:7]
	v_and_b32_e32 v12, 1, v128
	s_movk_i32 s44, 0xff
	v_cndmask_b32_e64 v5, 0, v3, s[6:7]
	v_add_co_u32_e64 v9, s[4:5], v9, v18
	v_cmp_eq_u32_e64 s[52:53], 1, v12
	v_cmp_eq_u16_sdwa s[90:91], v130, v4 src0_sel:BYTE_0 src1_sel:DWORD
	v_and_b32_e32 v12, 0x100, v128
	v_addc_co_u32_e64 v5, s[4:5], v5, v19, s[4:5]
	v_cndmask_b32_e64 v9, 0, v9, s[90:91]
	v_cmp_ne_u32_e64 s[56:57], 0, v12
	v_and_b32_sdwa v12, v128, s44 dst_sel:DWORD dst_unused:UNUSED_PAD src0_sel:WORD_1 src1_sel:DWORD
	v_cndmask_b32_e64 v5, 0, v5, s[90:91]
	v_add_co_u32_e64 v9, s[4:5], v9, v6
	v_cmp_eq_u16_e64 s[92:93], 0, v12
	v_addc_co_u32_e64 v5, s[4:5], v5, v7, s[4:5]
	v_cndmask_b32_e64 v9, 0, v9, s[92:93]
	v_cndmask_b32_e64 v5, 0, v5, s[92:93]
	v_add_co_u32_e64 v9, s[4:5], v9, v26
	v_cmp_eq_u16_sdwa s[66:67], v128, v4 src0_sel:BYTE_3 src1_sel:DWORD
	v_addc_co_u32_e64 v5, s[4:5], v5, v27, s[4:5]
	v_cndmask_b32_e64 v9, 0, v9, s[66:67]
	v_cndmask_b32_e64 v5, 0, v5, s[66:67]
	v_add_co_u32_e64 v9, s[4:5], v9, v14
	v_cmp_eq_u16_sdwa s[16:17], v123, v4 src0_sel:BYTE_0 src1_sel:DWORD
	v_writelane_b32 v131, s2, 15
	v_and_b32_e32 v12, 0x10000, v128
	v_addc_co_u32_e64 v5, s[4:5], v5, v15, s[4:5]
	v_cndmask_b32_e64 v9, 0, v9, s[16:17]
	v_writelane_b32 v131, s3, 16
	s_mov_b64 s[94:95], s[58:59]
	v_cmp_ne_u32_e64 s[58:59], 0, v12
	v_and_b32_e32 v12, 0x1000000, v128
	v_cndmask_b32_e64 v5, 0, v5, s[16:17]
	v_add_co_u32_e64 v9, s[4:5], v9, v34
	v_cmp_eq_u16_sdwa s[2:3], v127, v4 src0_sel:BYTE_0 src1_sel:DWORD
	s_mov_b64 s[0:1], s[60:61]
	v_cmp_ne_u32_e64 s[60:61], 0, v12
	v_addc_co_u32_e64 v5, s[4:5], v5, v35, s[4:5]
	v_cndmask_b32_e64 v9, 0, v9, s[2:3]
	v_and_b32_e32 v12, 1, v127
	v_cndmask_b32_e64 v5, 0, v5, s[2:3]
	v_add_co_u32_e64 v9, s[4:5], v9, v22
	v_cmp_eq_u32_e64 s[62:63], 1, v12
	v_cmp_eq_u16_sdwa s[18:19], v41, v4 src0_sel:BYTE_0 src1_sel:DWORD
	v_and_b32_e32 v12, 0x100, v127
	v_addc_co_u32_e64 v5, s[4:5], v5, v23, s[4:5]
	v_cndmask_b32_e64 v9, 0, v9, s[18:19]
	v_cmp_ne_u32_e64 s[64:65], 0, v12
	v_and_b32_sdwa v12, v127, s44 dst_sel:DWORD dst_unused:UNUSED_PAD src0_sel:WORD_1 src1_sel:DWORD
	v_cndmask_b32_e64 v5, 0, v5, s[18:19]
	v_add_co_u32_e64 v9, s[4:5], v9, v42
	v_cmp_eq_u16_e64 s[20:21], 0, v12
	v_addc_co_u32_e64 v5, s[4:5], v5, v43, s[4:5]
	v_cndmask_b32_e64 v9, 0, v9, s[20:21]
	v_cndmask_b32_e64 v5, 0, v5, s[20:21]
	v_add_co_u32_e64 v9, s[4:5], v9, v30
	v_cmp_eq_u16_sdwa s[22:23], v127, v4 src0_sel:BYTE_3 src1_sel:DWORD
	v_addc_co_u32_e64 v5, s[4:5], v5, v31, s[4:5]
	v_cndmask_b32_e64 v9, 0, v9, s[22:23]
	v_cndmask_b32_e64 v5, 0, v5, s[22:23]
	v_add_co_u32_e64 v9, s[24:25], v9, v50
	v_cmp_eq_u16_sdwa s[26:27], v124, v4 src0_sel:BYTE_0 src1_sel:DWORD
	v_addc_co_u32_e64 v5, s[24:25], v5, v51, s[24:25]
	v_cndmask_b32_e64 v9, 0, v9, s[26:27]
	v_cndmask_b32_e64 v5, 0, v5, s[26:27]
	v_add_co_u32_e64 v9, s[24:25], v9, v38
	v_addc_co_u32_e64 v5, s[24:25], v5, v39, s[24:25]
	v_cmp_eq_u16_sdwa s[24:25], v126, v4 src0_sel:BYTE_0 src1_sel:DWORD
	v_cndmask_b32_e64 v9, 0, v9, s[24:25]
	v_cndmask_b32_e64 v5, 0, v5, s[24:25]
	v_add_co_u32_e64 v9, s[28:29], v9, v58
	v_and_b32_e32 v12, 0x10000, v127
	v_addc_co_u32_e64 v5, s[28:29], v5, v59, s[28:29]
	s_mov_b64 s[8:9], s[68:69]
	v_cmp_ne_u32_e64 s[4:5], 0, v12
	v_and_b32_e32 v12, 0x1000000, v127
	v_cmp_eq_u16_sdwa s[28:29], v37, v4 src0_sel:BYTE_0 src1_sel:DWORD
	s_mov_b64 s[10:11], s[70:71]
	s_mov_b64 s[12:13], s[72:73]
	s_mov_b32 s14, s74
	v_cmp_ne_u32_e64 s[68:69], 0, v12
	v_and_b32_e32 v12, 1, v126
	v_cndmask_b32_e64 v9, 0, v9, s[28:29]
	v_cmp_eq_u32_e64 s[70:71], 1, v12
	v_cndmask_b32_e64 v5, 0, v5, s[28:29]
	v_add_co_u32_e64 v9, s[30:31], v9, v46
	v_and_b32_e32 v12, 0x100, v126
	v_addc_co_u32_e64 v5, s[30:31], v5, v47, s[30:31]
	v_cmp_ne_u32_e64 s[72:73], 0, v12
	v_and_b32_sdwa v12, v126, s44 dst_sel:DWORD dst_unused:UNUSED_PAD src0_sel:WORD_1 src1_sel:DWORD
	v_cmp_eq_u16_e64 s[30:31], 0, v12
	v_cndmask_b32_e64 v9, 0, v9, s[30:31]
	v_cndmask_b32_e64 v5, 0, v5, s[30:31]
	v_add_co_u32_e64 v9, s[34:35], v9, v66
	v_addc_co_u32_e64 v5, s[34:35], v5, v67, s[34:35]
	v_cmp_eq_u16_sdwa s[34:35], v126, v4 src0_sel:BYTE_3 src1_sel:DWORD
	v_cndmask_b32_e64 v9, 0, v9, s[34:35]
	v_cndmask_b32_e64 v5, 0, v5, s[34:35]
	v_add_co_u32_e64 v9, s[36:37], v9, v54
	v_cmp_eq_u16_sdwa s[38:39], v122, v4 src0_sel:BYTE_0 src1_sel:DWORD
	v_addc_co_u32_e64 v5, s[36:37], v5, v55, s[36:37]
	v_cndmask_b32_e64 v9, 0, v9, s[38:39]
	v_cndmask_b32_e64 v5, 0, v5, s[38:39]
	v_add_co_u32_e64 v9, s[36:37], v9, v74
	v_addc_co_u32_e64 v5, s[36:37], v5, v75, s[36:37]
	v_cmp_eq_u16_sdwa s[36:37], v125, v4 src0_sel:BYTE_0 src1_sel:DWORD
	v_cndmask_b32_e64 v9, 0, v9, s[36:37]
	v_cndmask_b32_e64 v5, 0, v5, s[36:37]
	v_add_co_u32_e64 v9, s[40:41], v9, v62
	v_and_b32_e32 v12, 0x10000, v126
	v_addc_co_u32_e64 v5, s[40:41], v5, v63, s[40:41]
	v_cmp_ne_u32_e64 s[74:75], 0, v12
	v_and_b32_e32 v12, 0x1000000, v126
	v_cmp_eq_u16_sdwa s[40:41], v36, v4 src0_sel:BYTE_0 src1_sel:DWORD
	v_cmp_ne_u32_e64 s[76:77], 0, v12
	v_and_b32_e32 v12, 1, v125
	v_cndmask_b32_e64 v9, 0, v9, s[40:41]
	v_cmp_eq_u32_e64 s[78:79], 1, v12
	v_cndmask_b32_e64 v5, 0, v5, s[40:41]
	v_add_co_u32_e64 v9, s[42:43], v9, v78
	v_and_b32_e32 v12, 0x100, v125
	v_addc_co_u32_e64 v5, s[42:43], v5, v79, s[42:43]
	v_cmp_ne_u32_e64 s[80:81], 0, v12
	v_and_b32_sdwa v12, v125, s44 dst_sel:DWORD dst_unused:UNUSED_PAD src0_sel:WORD_1 src1_sel:DWORD
	v_cmp_eq_u16_e64 s[42:43], 0, v12
	v_and_b32_e32 v12, 0x10000, v125
	v_cmp_ne_u32_e64 s[82:83], 0, v12
	v_and_b32_e32 v12, 0x1000000, v125
	v_cmp_ne_u32_e64 s[84:85], 0, v12
	s_or_b64 s[54:55], s[54:55], s[84:85]
	s_or_b64 s[54:55], s[54:55], s[82:83]
	;; [unrolled: 1-line block ×9, first 2 shown]
	v_cndmask_b32_e64 v9, 0, v9, s[42:43]
	s_or_b64 s[48:49], s[50:51], s[48:49]
	v_cndmask_b32_e64 v5, 0, v5, s[42:43]
	v_add_co_u32_e64 v9, s[44:45], v9, v70
	s_or_b64 s[48:49], s[48:49], s[68:69]
	v_addc_co_u32_e64 v5, s[44:45], v5, v71, s[44:45]
	s_or_b64 s[4:5], s[48:49], s[4:5]
	v_cmp_eq_u16_sdwa s[44:45], v125, v4 src0_sel:BYTE_3 src1_sel:DWORD
	s_or_b64 s[4:5], s[4:5], s[64:65]
	v_cndmask_b32_e64 v9, 0, v9, s[44:45]
	s_or_b64 s[4:5], s[4:5], s[62:63]
	v_cndmask_b32_e64 v5, 0, v5, s[44:45]
	v_add_co_u32_e64 v9, s[46:47], v9, v10
	s_or_b64 s[4:5], s[4:5], vcc
	v_addc_co_u32_e64 v5, s[46:47], v5, v11, s[46:47]
	s_or_b64 s[4:5], s[4:5], s[60:61]
	v_cmp_eq_u16_sdwa s[46:47], v28, v4 src0_sel:BYTE_0 src1_sel:DWORD
	s_or_b64 s[4:5], s[4:5], s[58:59]
	v_cndmask_b32_e64 v4, 0, v9, s[46:47]
	s_or_b64 s[4:5], s[4:5], s[56:57]
	v_and_b32_e32 v8, 0xff, v1
	v_cndmask_b32_e64 v5, 0, v5, s[46:47]
	v_add_co_u32_e64 v4, s[86:87], v4, v20
	s_or_b64 s[4:5], s[4:5], s[52:53]
	v_mbcnt_hi_u32_b32 v9, -1, v29
	v_addc_co_u32_e64 v5, s[86:87], v5, v21, s[86:87]
	v_cndmask_b32_e64 v8, v8, 1, s[4:5]
	v_and_b32_e32 v12, 15, v9
	v_mov_b32_dpp v16, v4 row_shr:1 row_mask:0xf bank_mask:0xf
	v_mov_b32_dpp v17, v5 row_shr:1 row_mask:0xf bank_mask:0xf
	;; [unrolled: 1-line block ×3, first 2 shown]
	v_cmp_ne_u32_e32 vcc, 0, v12
	s_and_saveexec_b64 s[4:5], vcc
; %bb.129:
	v_cmp_eq_u32_e32 vcc, 0, v8
	v_cndmask_b32_e32 v16, 0, v16, vcc
	v_cndmask_b32_e32 v17, 0, v17, vcc
	v_add_co_u32_e32 v4, vcc, v16, v4
	v_addc_co_u32_e32 v5, vcc, v17, v5, vcc
	v_and_or_b32 v8, v13, 1, v8
; %bb.130:
	s_or_b64 exec, exec, s[4:5]
	v_mov_b32_dpp v16, v4 row_shr:2 row_mask:0xf bank_mask:0xf
	v_mov_b32_dpp v17, v5 row_shr:2 row_mask:0xf bank_mask:0xf
	;; [unrolled: 1-line block ×3, first 2 shown]
	v_cmp_lt_u32_e32 vcc, 1, v12
	s_and_saveexec_b64 s[4:5], vcc
; %bb.131:
	v_cmp_eq_u32_e32 vcc, 0, v8
	v_cndmask_b32_e32 v16, 0, v16, vcc
	v_cndmask_b32_e32 v17, 0, v17, vcc
	v_add_co_u32_e32 v4, vcc, v16, v4
	v_or_b32_e32 v8, v13, v8
	v_addc_co_u32_e32 v5, vcc, v17, v5, vcc
	v_and_b32_e32 v8, 1, v8
; %bb.132:
	s_or_b64 exec, exec, s[4:5]
	v_mov_b32_dpp v16, v4 row_shr:4 row_mask:0xf bank_mask:0xf
	v_mov_b32_dpp v17, v5 row_shr:4 row_mask:0xf bank_mask:0xf
	;; [unrolled: 1-line block ×3, first 2 shown]
	v_cmp_lt_u32_e32 vcc, 3, v12
	s_and_saveexec_b64 s[4:5], vcc
	s_mov_b32 s74, s14
	s_mov_b64 s[58:59], s[94:95]
	s_mov_b64 s[72:73], s[12:13]
	;; [unrolled: 1-line block ×5, first 2 shown]
; %bb.133:
	v_cmp_eq_u32_e32 vcc, 0, v8
	v_cndmask_b32_e32 v16, 0, v16, vcc
	v_cndmask_b32_e32 v17, 0, v17, vcc
	v_add_co_u32_e32 v4, vcc, v16, v4
	v_or_b32_e32 v8, v13, v8
	v_addc_co_u32_e32 v5, vcc, v17, v5, vcc
	v_and_b32_e32 v8, 1, v8
; %bb.134:
	s_or_b64 exec, exec, s[4:5]
	v_mov_b32_dpp v16, v4 row_shr:8 row_mask:0xf bank_mask:0xf
	v_mov_b32_dpp v17, v5 row_shr:8 row_mask:0xf bank_mask:0xf
	;; [unrolled: 1-line block ×3, first 2 shown]
	v_cmp_lt_u32_e32 vcc, 7, v12
	s_and_saveexec_b64 s[4:5], vcc
; %bb.135:
	v_cmp_eq_u32_e32 vcc, 0, v8
	v_cndmask_b32_e32 v16, 0, v16, vcc
	v_cndmask_b32_e32 v12, 0, v17, vcc
	v_add_co_u32_e32 v4, vcc, v16, v4
	v_or_b32_e32 v8, v13, v8
	v_addc_co_u32_e32 v5, vcc, v12, v5, vcc
	v_and_b32_e32 v8, 1, v8
; %bb.136:
	s_or_b64 exec, exec, s[4:5]
	v_and_b32_e32 v17, 16, v9
	v_mov_b32_dpp v13, v4 row_bcast:15 row_mask:0xf bank_mask:0xf
	v_mov_b32_dpp v16, v5 row_bcast:15 row_mask:0xf bank_mask:0xf
	;; [unrolled: 1-line block ×3, first 2 shown]
	v_cmp_ne_u32_e32 vcc, 0, v17
	s_and_saveexec_b64 s[4:5], vcc
; %bb.137:
	v_cmp_eq_u32_e32 vcc, 0, v8
	v_cndmask_b32_e32 v13, 0, v13, vcc
	v_cndmask_b32_e32 v16, 0, v16, vcc
	v_add_co_u32_e32 v4, vcc, v13, v4
	v_or_b32_e32 v8, v12, v8
	v_addc_co_u32_e32 v5, vcc, v16, v5, vcc
	v_and_b32_e32 v8, 1, v8
; %bb.138:
	s_or_b64 exec, exec, s[4:5]
	v_mov_b32_dpp v16, v4 row_bcast:31 row_mask:0xf bank_mask:0xf
	v_mov_b32_dpp v17, v5 row_bcast:31 row_mask:0xf bank_mask:0xf
	;; [unrolled: 1-line block ×3, first 2 shown]
	v_cmp_lt_u32_e32 vcc, 31, v9
	v_mov_b32_e32 v12, v8
	s_and_saveexec_b64 s[4:5], vcc
; %bb.139:
	v_cmp_eq_u32_e32 vcc, 0, v8
	v_cndmask_b32_e32 v16, 0, v16, vcc
	v_cndmask_b32_e32 v12, 0, v17, vcc
	v_add_co_u32_e32 v4, vcc, v16, v4
	v_or_b32_e32 v8, v13, v8
	v_addc_co_u32_e32 v5, vcc, v12, v5, vcc
	v_and_b32_e32 v12, 1, v8
	v_and_b32_e32 v8, 1, v8
; %bb.140:
	s_or_b64 exec, exec, s[4:5]
	v_cmp_eq_u32_e32 vcc, 63, v0
	s_and_saveexec_b64 s[4:5], vcc
	s_cbranch_execz .LBB1212_142
; %bb.141:
	v_mov_b32_e32 v13, 0
	ds_write_b64 v13, v[4:5]
	ds_write_b8 v13, v12 offset:8
.LBB1212_142:
	s_or_b64 exec, exec, s[4:5]
	v_add_u32_e32 v12, -1, v9
	v_and_b32_e32 v13, 64, v9
	v_cmp_lt_i32_e32 vcc, v12, v13
	v_cndmask_b32_e32 v12, v12, v9, vcc
	v_lshlrev_b32_e32 v12, 2, v12
	ds_bpermute_b32 v45, v12, v4
	ds_bpermute_b32 v48, v12, v5
	;; [unrolled: 1-line block ×3, first 2 shown]
	v_cmp_gt_u32_e32 vcc, 64, v0
	s_waitcnt lgkmcnt(0)
	; wave barrier
	s_waitcnt lgkmcnt(0)
	s_and_saveexec_b64 s[50:51], vcc
	s_cbranch_execz .LBB1212_185
; %bb.143:
	v_mov_b32_e32 v13, 0
	ds_read_b64 v[4:5], v13
	ds_read_u8 v49, v13 offset:8
	s_mov_b32 s53, 0
	v_cmp_eq_u32_e64 s[48:49], 0, v9
	s_and_saveexec_b64 s[4:5], s[48:49]
	s_cbranch_execz .LBB1212_145
; %bb.144:
	s_add_i32 s52, s33, 64
	s_lshl_b64 s[54:55], s[52:53], 4
	s_add_u32 s54, s68, s54
	s_addc_u32 s55, s69, s55
	v_mov_b32_e32 v8, s52
	v_mov_b32_e32 v12, 1
	s_waitcnt lgkmcnt(1)
	global_store_dwordx2 v13, v[4:5], s[54:55]
	s_waitcnt lgkmcnt(0)
	global_store_byte v13, v49, s[54:55] offset:8
	s_waitcnt vmcnt(0)
	buffer_wbinvl1_vol
	global_store_byte v8, v12, s[72:73]
.LBB1212_145:
	s_or_b64 exec, exec, s[4:5]
	v_xad_u32 v8, v9, -1, s33
	v_add_u32_e32 v12, 64, v8
	global_load_ubyte v52, v12, s[72:73] glc
	s_waitcnt vmcnt(0)
	v_cmp_eq_u16_e32 vcc, 0, v52
	s_and_saveexec_b64 s[4:5], vcc
	s_cbranch_execz .LBB1212_149
; %bb.146:
	v_mov_b32_e32 v17, s73
	v_add_co_u32_e32 v16, vcc, s72, v12
	v_addc_co_u32_e32 v17, vcc, 0, v17, vcc
	s_mov_b64 s[52:53], 0
.LBB1212_147:                           ; =>This Inner Loop Header: Depth=1
	global_load_ubyte v52, v[16:17], off glc
	s_waitcnt vmcnt(0)
	v_cmp_ne_u16_e32 vcc, 0, v52
	s_or_b64 s[52:53], vcc, s[52:53]
	s_andn2_b64 exec, exec, s[52:53]
	s_cbranch_execnz .LBB1212_147
; %bb.148:
	s_or_b64 exec, exec, s[52:53]
.LBB1212_149:
	s_or_b64 exec, exec, s[4:5]
	v_mov_b32_e32 v16, s71
	v_mov_b32_e32 v17, s69
	v_cmp_eq_u16_e32 vcc, 1, v52
	v_cndmask_b32_e32 v16, v16, v17, vcc
	v_mov_b32_e32 v17, s70
	v_mov_b32_e32 v24, s68
	v_cndmask_b32_e32 v17, v17, v24, vcc
	v_lshlrev_b64 v[12:13], 4, v[12:13]
	v_add_co_u32_e32 v12, vcc, v17, v12
	v_addc_co_u32_e32 v13, vcc, v16, v13, vcc
	s_waitcnt lgkmcnt(0)
	buffer_wbinvl1_vol
	global_load_dwordx2 v[24:25], v[12:13], off
	global_load_ubyte v81, v[12:13], off offset:8
	v_cmp_eq_u16_e32 vcc, 2, v52
	v_lshlrev_b64 v[12:13], v9, -1
	v_and_b32_e32 v53, 63, v9
	v_and_b32_e32 v16, vcc_hi, v13
	v_and_b32_e32 v64, vcc_lo, v12
	v_cmp_ne_u32_e32 vcc, 63, v53
	v_addc_co_u32_e32 v17, vcc, 0, v9, vcc
	v_lshlrev_b32_e32 v56, 2, v17
	v_or_b32_e32 v16, 0x80000000, v16
	v_ffbl_b32_e32 v16, v16
	v_add_u32_e32 v16, 32, v16
	v_ffbl_b32_e32 v64, v64
	v_min_u32_e32 v16, v64, v16
	v_cmp_lt_u32_e32 vcc, v53, v16
	s_waitcnt vmcnt(1)
	ds_bpermute_b32 v60, v56, v24
	s_waitcnt vmcnt(0)
	v_and_b32_e32 v17, 1, v81
	ds_bpermute_b32 v61, v56, v25
	ds_bpermute_b32 v57, v56, v17
	s_and_saveexec_b64 s[4:5], vcc
	s_cbranch_execz .LBB1212_151
; %bb.150:
	v_mov_b32_e32 v17, 0
	v_cmp_eq_u16_sdwa vcc, v81, v17 src0_sel:BYTE_0 src1_sel:DWORD
	s_waitcnt lgkmcnt(2)
	v_cndmask_b32_e32 v60, 0, v60, vcc
	s_waitcnt lgkmcnt(1)
	v_cndmask_b32_e32 v17, 0, v61, vcc
	v_add_co_u32_e32 v24, vcc, v60, v24
	v_addc_co_u32_e32 v25, vcc, v17, v25, vcc
	s_waitcnt lgkmcnt(0)
	v_and_b32_e32 v17, 1, v57
	v_or_b32_e32 v81, v17, v81
	v_and_b32_e32 v17, 0xff, v81
.LBB1212_151:
	s_or_b64 exec, exec, s[4:5]
	v_cmp_gt_u32_e32 vcc, 62, v53
	s_waitcnt lgkmcnt(0)
	v_cndmask_b32_e64 v57, 0, 1, vcc
	v_lshlrev_b32_e32 v57, 1, v57
	v_add_lshl_u32 v57, v57, v9, 2
	ds_bpermute_b32 v64, v57, v24
	ds_bpermute_b32 v65, v57, v25
	ds_bpermute_b32 v61, v57, v17
	v_add_u32_e32 v60, 2, v53
	v_cmp_le_u32_e32 vcc, v60, v16
	s_and_saveexec_b64 s[52:53], vcc
	s_cbranch_execz .LBB1212_153
; %bb.152:
	v_mov_b32_e32 v17, 0
	v_cmp_eq_u16_sdwa vcc, v81, v17 src0_sel:BYTE_0 src1_sel:DWORD
	s_waitcnt lgkmcnt(2)
	v_cndmask_b32_e32 v64, 0, v64, vcc
	s_waitcnt lgkmcnt(1)
	v_cndmask_b32_e32 v17, 0, v65, vcc
	v_add_co_u32_e32 v24, vcc, v64, v24
	v_addc_co_u32_e32 v25, vcc, v17, v25, vcc
	v_and_b32_e32 v17, 1, v81
	v_cmp_eq_u32_e32 vcc, 1, v17
	s_waitcnt lgkmcnt(0)
	v_and_b32_e32 v17, 1, v61
	v_cmp_eq_u32_e64 s[4:5], 1, v17
	s_or_b64 s[4:5], vcc, s[4:5]
	v_cndmask_b32_e64 v81, 0, 1, s[4:5]
	v_cndmask_b32_e64 v17, 0, 1, s[4:5]
.LBB1212_153:
	s_or_b64 exec, exec, s[52:53]
	v_cmp_gt_u32_e32 vcc, 60, v53
	s_waitcnt lgkmcnt(0)
	v_cndmask_b32_e64 v61, 0, 1, vcc
	v_lshlrev_b32_e32 v61, 2, v61
	v_add_lshl_u32 v61, v61, v9, 2
	ds_bpermute_b32 v68, v61, v24
	ds_bpermute_b32 v69, v61, v25
	ds_bpermute_b32 v65, v61, v17
	v_add_u32_e32 v64, 4, v53
	v_cmp_le_u32_e32 vcc, v64, v16
	s_and_saveexec_b64 s[52:53], vcc
	s_cbranch_execz .LBB1212_155
; %bb.154:
	v_mov_b32_e32 v17, 0
	v_cmp_eq_u16_sdwa vcc, v81, v17 src0_sel:BYTE_0 src1_sel:DWORD
	s_waitcnt lgkmcnt(2)
	v_cndmask_b32_e32 v68, 0, v68, vcc
	s_waitcnt lgkmcnt(1)
	v_cndmask_b32_e32 v17, 0, v69, vcc
	v_add_co_u32_e32 v24, vcc, v68, v24
	v_addc_co_u32_e32 v25, vcc, v17, v25, vcc
	v_and_b32_e32 v17, 1, v81
	v_cmp_eq_u32_e32 vcc, 1, v17
	s_waitcnt lgkmcnt(0)
	v_and_b32_e32 v17, 1, v65
	v_cmp_eq_u32_e64 s[4:5], 1, v17
	s_or_b64 s[4:5], vcc, s[4:5]
	v_cndmask_b32_e64 v81, 0, 1, s[4:5]
	v_cndmask_b32_e64 v17, 0, 1, s[4:5]
.LBB1212_155:
	;; [unrolled: 31-line block ×4, first 2 shown]
	s_or_b64 exec, exec, s[52:53]
	v_cmp_gt_u32_e32 vcc, 32, v53
	s_waitcnt lgkmcnt(0)
	v_cndmask_b32_e64 v73, 0, 1, vcc
	v_lshlrev_b32_e32 v73, 5, v73
	v_add_lshl_u32 v76, v73, v9, 2
	ds_bpermute_b32 v73, v76, v24
	ds_bpermute_b32 v80, v76, v25
	;; [unrolled: 1-line block ×3, first 2 shown]
	v_add_u32_e32 v77, 32, v53
	v_cmp_le_u32_e32 vcc, v77, v16
	s_and_saveexec_b64 s[52:53], vcc
	s_cbranch_execz .LBB1212_161
; %bb.160:
	v_mov_b32_e32 v16, 0
	v_cmp_eq_u16_sdwa vcc, v81, v16 src0_sel:BYTE_0 src1_sel:DWORD
	s_waitcnt lgkmcnt(2)
	v_cndmask_b32_e32 v17, 0, v73, vcc
	s_waitcnt lgkmcnt(1)
	v_cndmask_b32_e32 v16, 0, v80, vcc
	v_add_co_u32_e32 v24, vcc, v17, v24
	v_addc_co_u32_e32 v25, vcc, v16, v25, vcc
	v_and_b32_e32 v16, 1, v81
	s_waitcnt lgkmcnt(0)
	v_and_b32_e32 v9, 1, v9
	v_cmp_eq_u32_e32 vcc, 1, v16
	v_cmp_eq_u32_e64 s[4:5], 1, v9
	s_or_b64 s[4:5], vcc, s[4:5]
	v_cndmask_b32_e64 v81, 0, 1, s[4:5]
.LBB1212_161:
	s_or_b64 exec, exec, s[52:53]
	s_waitcnt lgkmcnt(0)
	v_mov_b32_e32 v9, 0
	v_mov_b32_e32 v80, 2
	s_branch .LBB1212_163
.LBB1212_162:                           ;   in Loop: Header=BB1212_163 Depth=1
	s_or_b64 exec, exec, s[54:55]
	v_cmp_eq_u16_sdwa vcc, v73, v9 src0_sel:BYTE_0 src1_sel:DWORD
	v_cndmask_b32_e32 v24, 0, v24, vcc
	v_cndmask_b32_e32 v25, 0, v25, vcc
	v_add_co_u32_e32 v24, vcc, v24, v16
	v_addc_co_u32_e32 v25, vcc, v25, v17, vcc
	v_and_b32_e32 v81, 1, v73
	v_cmp_eq_u32_e32 vcc, 1, v81
	s_or_b64 s[4:5], vcc, s[52:53]
	v_subrev_u32_e32 v8, 64, v8
	v_cndmask_b32_e64 v81, 0, 1, s[4:5]
.LBB1212_163:                           ; =>This Loop Header: Depth=1
                                        ;     Child Loop BB1212_166 Depth 2
	v_cmp_ne_u16_sdwa s[4:5], v52, v80 src0_sel:BYTE_0 src1_sel:DWORD
	v_cndmask_b32_e64 v16, 0, 1, s[4:5]
	;;#ASMSTART
	;;#ASMEND
	v_cmp_ne_u32_e32 vcc, 0, v16
	v_mov_b32_e32 v73, v81
	s_cmp_lg_u64 vcc, exec
	v_pk_mov_b32 v[16:17], v[24:25], v[24:25] op_sel:[0,1]
	s_cbranch_scc1 .LBB1212_180
; %bb.164:                              ;   in Loop: Header=BB1212_163 Depth=1
	global_load_ubyte v52, v8, s[72:73] glc
	s_waitcnt vmcnt(0)
	v_cmp_eq_u16_e32 vcc, 0, v52
	s_and_saveexec_b64 s[4:5], vcc
	s_cbranch_execz .LBB1212_168
; %bb.165:                              ;   in Loop: Header=BB1212_163 Depth=1
	v_mov_b32_e32 v25, s73
	v_add_co_u32_e32 v24, vcc, s72, v8
	v_addc_co_u32_e32 v25, vcc, 0, v25, vcc
	s_mov_b64 s[52:53], 0
.LBB1212_166:                           ;   Parent Loop BB1212_163 Depth=1
                                        ; =>  This Inner Loop Header: Depth=2
	global_load_ubyte v52, v[24:25], off glc
	s_waitcnt vmcnt(0)
	v_cmp_ne_u16_e32 vcc, 0, v52
	s_or_b64 s[52:53], vcc, s[52:53]
	s_andn2_b64 exec, exec, s[52:53]
	s_cbranch_execnz .LBB1212_166
; %bb.167:                              ;   in Loop: Header=BB1212_163 Depth=1
	s_or_b64 exec, exec, s[52:53]
.LBB1212_168:                           ;   in Loop: Header=BB1212_163 Depth=1
	s_or_b64 exec, exec, s[4:5]
	v_mov_b32_e32 v24, s71
	v_mov_b32_e32 v25, s69
	v_cmp_eq_u16_e32 vcc, 1, v52
	v_cndmask_b32_e32 v81, v24, v25, vcc
	v_mov_b32_e32 v24, s70
	v_mov_b32_e32 v25, s68
	v_cndmask_b32_e32 v82, v24, v25, vcc
	v_lshlrev_b64 v[24:25], 4, v[8:9]
	v_add_co_u32_e32 v82, vcc, v82, v24
	s_waitcnt lgkmcnt(0)
	v_addc_co_u32_e32 v83, vcc, v81, v25, vcc
	buffer_wbinvl1_vol
	global_load_dwordx2 v[24:25], v[82:83], off
	global_load_ubyte v81, v[82:83], off offset:8
	v_cmp_eq_u16_e32 vcc, 2, v52
	v_and_b32_e32 v82, vcc_hi, v13
	v_or_b32_e32 v82, 0x80000000, v82
	v_and_b32_e32 v87, vcc_lo, v12
	v_ffbl_b32_e32 v82, v82
	v_add_u32_e32 v82, 32, v82
	v_ffbl_b32_e32 v87, v87
	v_min_u32_e32 v82, v87, v82
	v_cmp_lt_u32_e32 vcc, v53, v82
	s_waitcnt vmcnt(1)
	ds_bpermute_b32 v85, v56, v24
	s_waitcnt vmcnt(0)
	v_and_b32_e32 v83, 1, v81
	ds_bpermute_b32 v86, v56, v25
	ds_bpermute_b32 v84, v56, v83
	s_and_saveexec_b64 s[4:5], vcc
	s_cbranch_execz .LBB1212_170
; %bb.169:                              ;   in Loop: Header=BB1212_163 Depth=1
	v_cmp_eq_u16_sdwa vcc, v81, v9 src0_sel:BYTE_0 src1_sel:DWORD
	s_waitcnt lgkmcnt(2)
	v_cndmask_b32_e32 v85, 0, v85, vcc
	s_waitcnt lgkmcnt(1)
	v_cndmask_b32_e32 v83, 0, v86, vcc
	v_add_co_u32_e32 v24, vcc, v85, v24
	v_addc_co_u32_e32 v25, vcc, v83, v25, vcc
	s_waitcnt lgkmcnt(0)
	v_and_b32_e32 v83, 1, v84
	v_or_b32_e32 v81, v83, v81
	v_and_b32_e32 v83, 0xff, v81
.LBB1212_170:                           ;   in Loop: Header=BB1212_163 Depth=1
	s_or_b64 exec, exec, s[4:5]
	s_waitcnt lgkmcnt(2)
	ds_bpermute_b32 v85, v57, v24
	s_waitcnt lgkmcnt(2)
	ds_bpermute_b32 v86, v57, v25
	;; [unrolled: 2-line block ×3, first 2 shown]
	v_and_b32_e32 v87, 1, v81
	v_cmp_le_u32_e32 vcc, v60, v82
	v_cmp_eq_u32_e64 s[52:53], 1, v87
	s_and_saveexec_b64 s[4:5], vcc
	s_cbranch_execz .LBB1212_172
; %bb.171:                              ;   in Loop: Header=BB1212_163 Depth=1
	v_cmp_eq_u16_sdwa vcc, v81, v9 src0_sel:BYTE_0 src1_sel:DWORD
	s_waitcnt lgkmcnt(2)
	v_cndmask_b32_e32 v83, 0, v85, vcc
	s_waitcnt lgkmcnt(1)
	v_cndmask_b32_e32 v81, 0, v86, vcc
	v_add_co_u32_e32 v24, vcc, v83, v24
	v_addc_co_u32_e32 v25, vcc, v81, v25, vcc
	s_waitcnt lgkmcnt(0)
	v_and_b32_e32 v81, 1, v84
	v_cmp_eq_u32_e32 vcc, 1, v81
	s_or_b64 s[54:55], s[52:53], vcc
	v_cndmask_b32_e64 v81, 0, 1, s[54:55]
	v_cndmask_b32_e64 v83, 0, 1, s[54:55]
	s_andn2_b64 s[52:53], s[52:53], exec
	s_and_b64 s[54:55], s[54:55], exec
	s_or_b64 s[52:53], s[52:53], s[54:55]
.LBB1212_172:                           ;   in Loop: Header=BB1212_163 Depth=1
	s_or_b64 exec, exec, s[4:5]
	s_waitcnt lgkmcnt(2)
	ds_bpermute_b32 v85, v61, v24
	s_waitcnt lgkmcnt(2)
	ds_bpermute_b32 v86, v61, v25
	s_waitcnt lgkmcnt(2)
	ds_bpermute_b32 v84, v61, v83
	v_cmp_le_u32_e32 vcc, v64, v82
	s_and_saveexec_b64 s[54:55], vcc
	s_cbranch_execz .LBB1212_174
; %bb.173:                              ;   in Loop: Header=BB1212_163 Depth=1
	v_cmp_eq_u16_sdwa vcc, v81, v9 src0_sel:BYTE_0 src1_sel:DWORD
	s_waitcnt lgkmcnt(2)
	v_cndmask_b32_e32 v85, 0, v85, vcc
	s_waitcnt lgkmcnt(1)
	v_cndmask_b32_e32 v83, 0, v86, vcc
	v_add_co_u32_e32 v24, vcc, v85, v24
	v_addc_co_u32_e32 v25, vcc, v83, v25, vcc
	v_and_b32_e32 v81, 1, v81
	v_cmp_eq_u32_e32 vcc, 1, v81
	s_waitcnt lgkmcnt(0)
	v_and_b32_e32 v81, 1, v84
	v_cmp_eq_u32_e64 s[4:5], 1, v81
	s_or_b64 s[4:5], vcc, s[4:5]
	v_cndmask_b32_e64 v81, 0, 1, s[4:5]
	v_cndmask_b32_e64 v83, 0, 1, s[4:5]
	s_andn2_b64 s[52:53], s[52:53], exec
	s_and_b64 s[4:5], s[4:5], exec
	s_or_b64 s[52:53], s[52:53], s[4:5]
.LBB1212_174:                           ;   in Loop: Header=BB1212_163 Depth=1
	s_or_b64 exec, exec, s[54:55]
	s_waitcnt lgkmcnt(2)
	ds_bpermute_b32 v85, v65, v24
	s_waitcnt lgkmcnt(2)
	ds_bpermute_b32 v86, v65, v25
	s_waitcnt lgkmcnt(2)
	ds_bpermute_b32 v84, v65, v83
	v_cmp_le_u32_e32 vcc, v68, v82
	s_and_saveexec_b64 s[54:55], vcc
	s_cbranch_execz .LBB1212_176
; %bb.175:                              ;   in Loop: Header=BB1212_163 Depth=1
	v_cmp_eq_u16_sdwa vcc, v81, v9 src0_sel:BYTE_0 src1_sel:DWORD
	s_waitcnt lgkmcnt(2)
	v_cndmask_b32_e32 v85, 0, v85, vcc
	s_waitcnt lgkmcnt(1)
	v_cndmask_b32_e32 v83, 0, v86, vcc
	v_add_co_u32_e32 v24, vcc, v85, v24
	v_addc_co_u32_e32 v25, vcc, v83, v25, vcc
	v_and_b32_e32 v81, 1, v81
	v_cmp_eq_u32_e32 vcc, 1, v81
	s_waitcnt lgkmcnt(0)
	v_and_b32_e32 v81, 1, v84
	v_cmp_eq_u32_e64 s[4:5], 1, v81
	s_or_b64 s[4:5], vcc, s[4:5]
	v_cndmask_b32_e64 v81, 0, 1, s[4:5]
	v_cndmask_b32_e64 v83, 0, 1, s[4:5]
	s_andn2_b64 s[52:53], s[52:53], exec
	s_and_b64 s[4:5], s[4:5], exec
	s_or_b64 s[52:53], s[52:53], s[4:5]
.LBB1212_176:                           ;   in Loop: Header=BB1212_163 Depth=1
	;; [unrolled: 30-line block ×3, first 2 shown]
	s_or_b64 exec, exec, s[54:55]
	s_waitcnt lgkmcnt(0)
	ds_bpermute_b32 v84, v76, v24
	ds_bpermute_b32 v85, v76, v25
	;; [unrolled: 1-line block ×3, first 2 shown]
	v_cmp_le_u32_e32 vcc, v77, v82
	s_and_saveexec_b64 s[54:55], vcc
	s_cbranch_execz .LBB1212_162
; %bb.179:                              ;   in Loop: Header=BB1212_163 Depth=1
	v_cmp_eq_u16_sdwa vcc, v81, v9 src0_sel:BYTE_0 src1_sel:DWORD
	s_waitcnt lgkmcnt(2)
	v_cndmask_b32_e32 v84, 0, v84, vcc
	s_waitcnt lgkmcnt(1)
	v_cndmask_b32_e32 v82, 0, v85, vcc
	v_add_co_u32_e32 v24, vcc, v84, v24
	v_addc_co_u32_e32 v25, vcc, v82, v25, vcc
	v_and_b32_e32 v81, 1, v81
	v_cmp_eq_u32_e32 vcc, 1, v81
	s_waitcnt lgkmcnt(0)
	v_and_b32_e32 v81, 1, v83
	v_cmp_eq_u32_e64 s[4:5], 1, v81
	s_or_b64 s[4:5], vcc, s[4:5]
	s_andn2_b64 s[52:53], s[52:53], exec
	s_and_b64 s[4:5], s[4:5], exec
	s_or_b64 s[52:53], s[52:53], s[4:5]
	s_branch .LBB1212_162
.LBB1212_180:                           ;   in Loop: Header=BB1212_163 Depth=1
                                        ; implicit-def: $vgpr81
                                        ; implicit-def: $vgpr24_vgpr25
                                        ; implicit-def: $vgpr52
	s_cbranch_execz .LBB1212_163
; %bb.181:
	s_and_saveexec_b64 s[4:5], s[48:49]
	s_cbranch_execz .LBB1212_183
; %bb.182:
	v_mov_b32_e32 v8, 0
	s_mov_b32 s49, 0
	v_cmp_eq_u16_sdwa vcc, v49, v8 src0_sel:BYTE_0 src1_sel:DWORD
	s_add_i32 s48, s33, 64
	v_cndmask_b32_e32 v12, 0, v16, vcc
	s_lshl_b64 s[52:53], s[48:49], 4
	v_cndmask_b32_e32 v9, 0, v17, vcc
	v_add_co_u32_e32 v4, vcc, v12, v4
	s_add_u32 s52, s70, s52
	v_addc_co_u32_e32 v5, vcc, v9, v5, vcc
	v_or_b32_e32 v9, v49, v73
	s_addc_u32 s53, s71, s53
	v_and_b32_e32 v9, 1, v9
	global_store_dwordx2 v8, v[4:5], s[52:53]
	global_store_byte v8, v9, s[52:53] offset:8
	v_mov_b32_e32 v4, s48
	v_mov_b32_e32 v5, 2
	s_waitcnt vmcnt(0) lgkmcnt(0)
	buffer_wbinvl1_vol
	global_store_byte v4, v5, s[72:73]
.LBB1212_183:
	s_or_b64 exec, exec, s[4:5]
	s_and_b64 exec, exec, s[88:89]
	s_cbranch_execz .LBB1212_185
; %bb.184:
	v_mov_b32_e32 v4, 0
	ds_write_b64 v4, v[16:17]
	ds_write_b8 v4, v73 offset:8
.LBB1212_185:
	s_or_b64 exec, exec, s[50:51]
	v_mov_b32_e32 v8, 0
	v_cmp_eq_u16_sdwa vcc, v1, v8 src0_sel:BYTE_0 src1_sel:DWORD
	v_and_b32_e32 v13, 1, v1
	v_cndmask_b32_e32 v9, 0, v45, vcc
	v_cndmask_b32_e32 v12, 0, v48, vcc
	v_cmp_eq_u32_e32 vcc, 1, v13
	v_and_b32_e32 v13, 1, v44
	s_waitcnt lgkmcnt(0)
	; wave barrier
	s_waitcnt lgkmcnt(0)
	ds_read_b64 v[4:5], v8
	v_cmp_eq_u32_e64 s[4:5], 1, v13
	s_or_b64 s[4:5], vcc, s[4:5]
	v_cndmask_b32_e64 v9, v9, 0, s[88:89]
	v_cndmask_b32_e64 v13, 0, 1, s[4:5]
	;; [unrolled: 1-line block ×3, first 2 shown]
	v_add_co_u32_e32 v9, vcc, v9, v2
	v_cndmask_b32_e64 v13, v13, v1, s[88:89]
	v_addc_co_u32_e32 v12, vcc, v12, v3, vcc
	v_cmp_eq_u16_sdwa vcc, v13, v8 src0_sel:BYTE_0 src1_sel:DWORD
	s_waitcnt lgkmcnt(0)
	v_cndmask_b32_e32 v4, 0, v4, vcc
	v_cndmask_b32_e32 v5, 0, v5, vcc
	v_add_co_u32_e32 v114, vcc, v9, v4
	v_addc_co_u32_e32 v115, vcc, v12, v5, vcc
	v_cndmask_b32_e64 v5, 0, v114, s[6:7]
	v_cndmask_b32_e64 v4, 0, v115, s[6:7]
	v_add_co_u32_e32 v44, vcc, v5, v18
	v_addc_co_u32_e32 v45, vcc, v4, v19, vcc
	v_cndmask_b32_e64 v5, 0, v44, s[90:91]
	v_cndmask_b32_e64 v4, 0, v45, s[90:91]
	;; [unrolled: 4-line block ×20, first 2 shown]
	v_add_co_u32_e32 v120, vcc, v5, v20
	v_readlane_b32 s2, v131, 15
	v_addc_co_u32_e32 v121, vcc, v4, v21, vcc
	v_readlane_b32 s3, v131, 16
	s_branch .LBB1212_208
.LBB1212_186:
                                        ; implicit-def: $vgpr112_vgpr113_vgpr114_vgpr115
                                        ; implicit-def: $vgpr120_vgpr121
                                        ; implicit-def: $vgpr118_vgpr119
                                        ; implicit-def: $vgpr76_vgpr77
                                        ; implicit-def: $vgpr72_vgpr73
                                        ; implicit-def: $vgpr68_vgpr69
                                        ; implicit-def: $vgpr64_vgpr65
                                        ; implicit-def: $vgpr60_vgpr61
                                        ; implicit-def: $vgpr56_vgpr57
                                        ; implicit-def: $vgpr52_vgpr53
                                        ; implicit-def: $vgpr48_vgpr49
                                        ; implicit-def: $vgpr44_vgpr45
                                        ; implicit-def: $vgpr108_vgpr109_vgpr110_vgpr111
                                        ; implicit-def: $vgpr104_vgpr105_vgpr106_vgpr107
                                        ; implicit-def: $vgpr100_vgpr101_vgpr102_vgpr103
                                        ; implicit-def: $vgpr96_vgpr97_vgpr98_vgpr99
                                        ; implicit-def: $vgpr92_vgpr93_vgpr94_vgpr95
                                        ; implicit-def: $vgpr88_vgpr89_vgpr90_vgpr91
                                        ; implicit-def: $vgpr84_vgpr85_vgpr86_vgpr87
                                        ; implicit-def: $vgpr80_vgpr81_vgpr82_vgpr83
                                        ; implicit-def: $vgpr114_vgpr115_vgpr116_vgpr117
	s_cbranch_execz .LBB1212_208
; %bb.187:
	v_readlane_b32 s4, v131, 0
	v_readlane_b32 s5, v131, 1
	s_cmp_lg_u64 s[4:5], 0
	v_readlane_b32 s4, v131, 4
	v_readlane_b32 s6, v131, 6
	;; [unrolled: 1-line block ×3, first 2 shown]
	s_cselect_b32 s7, s7, 0
	s_cselect_b32 s6, s6, 0
	v_readlane_b32 s5, v131, 5
	s_cmp_lg_u64 s[6:7], 0
	v_readlane_b32 s8, v131, 8
	v_readlane_b32 s9, v131, 9
	s_cselect_b64 s[4:5], -1, 0
	s_and_b64 s[8:9], s[88:89], s[4:5]
	v_readlane_b32 s10, v131, 10
	v_readlane_b32 s11, v131, 11
	s_and_saveexec_b64 s[4:5], s[8:9]
	s_cbranch_execz .LBB1212_189
; %bb.188:
	v_mov_b32_e32 v8, 0
	global_load_dwordx2 v[4:5], v8, s[6:7]
	global_load_ubyte v9, v8, s[6:7] offset:8
	v_cmp_eq_u16_sdwa vcc, v1, v8 src0_sel:BYTE_0 src1_sel:DWORD
	s_waitcnt vmcnt(1)
	v_cndmask_b32_e32 v4, 0, v4, vcc
	v_cndmask_b32_e32 v5, 0, v5, vcc
	s_waitcnt vmcnt(0)
	v_or_b32_e32 v1, v1, v9
	v_add_co_u32_e32 v2, vcc, v4, v2
	v_addc_co_u32_e32 v3, vcc, v5, v3, vcc
	v_and_b32_e32 v1, 1, v1
.LBB1212_189:
	s_or_b64 exec, exec, s[4:5]
	v_mov_b32_e32 v5, 0
	v_cmp_eq_u16_sdwa vcc, v128, v5 src0_sel:BYTE_0 src1_sel:DWORD
	v_cndmask_b32_e32 v9, 0, v2, vcc
	v_cndmask_b32_e32 v8, 0, v3, vcc
	v_add_co_u32_e64 v44, s[4:5], v9, v18
	v_cmp_eq_u16_sdwa s[6:7], v130, v5 src0_sel:BYTE_0 src1_sel:DWORD
	v_addc_co_u32_e64 v45, s[4:5], v8, v19, s[4:5]
	v_cndmask_b32_e64 v9, 0, v44, s[6:7]
	s_movk_i32 s42, 0xff
	v_cndmask_b32_e64 v8, 0, v45, s[6:7]
	v_add_co_u32_e64 v80, s[4:5], v9, v6
	v_addc_co_u32_e64 v81, s[4:5], v8, v7, s[4:5]
	v_and_b32_sdwa v8, v128, s42 dst_sel:DWORD dst_unused:UNUSED_PAD src0_sel:WORD_1 src1_sel:DWORD
	v_cmp_eq_u16_e64 s[8:9], 0, v8
	v_cndmask_b32_e64 v9, 0, v80, s[8:9]
	v_cndmask_b32_e64 v8, 0, v81, s[8:9]
	v_add_co_u32_e64 v48, s[4:5], v9, v26
	v_cmp_eq_u16_sdwa s[10:11], v128, v5 src0_sel:BYTE_3 src1_sel:DWORD
	v_addc_co_u32_e64 v49, s[4:5], v8, v27, s[4:5]
	v_cndmask_b32_e64 v9, 0, v48, s[10:11]
	v_cndmask_b32_e64 v8, 0, v49, s[10:11]
	v_add_co_u32_e64 v84, s[4:5], v9, v14
	v_cmp_eq_u16_sdwa s[12:13], v123, v5 src0_sel:BYTE_0 src1_sel:DWORD
	v_addc_co_u32_e64 v85, s[4:5], v8, v15, s[4:5]
	v_cndmask_b32_e64 v9, 0, v84, s[12:13]
	v_cndmask_b32_e64 v8, 0, v85, s[12:13]
	v_add_co_u32_e64 v52, s[4:5], v9, v34
	v_cmp_eq_u16_sdwa s[14:15], v127, v5 src0_sel:BYTE_0 src1_sel:DWORD
	;; [unrolled: 5-line block ×3, first 2 shown]
	v_addc_co_u32_e64 v89, s[4:5], v8, v23, s[4:5]
	v_cndmask_b32_e64 v9, 0, v88, s[16:17]
	v_cndmask_b32_e64 v8, 0, v89, s[16:17]
	v_add_co_u32_e64 v56, s[4:5], v9, v42
	v_addc_co_u32_e64 v57, s[4:5], v8, v43, s[4:5]
	v_and_b32_sdwa v8, v127, s42 dst_sel:DWORD dst_unused:UNUSED_PAD src0_sel:WORD_1 src1_sel:DWORD
	v_cmp_eq_u16_e64 s[18:19], 0, v8
	v_cndmask_b32_e64 v9, 0, v56, s[18:19]
	v_cndmask_b32_e64 v8, 0, v57, s[18:19]
	v_add_co_u32_e64 v92, s[4:5], v9, v30
	v_cmp_eq_u16_sdwa s[20:21], v127, v5 src0_sel:BYTE_3 src1_sel:DWORD
	v_addc_co_u32_e64 v93, s[4:5], v8, v31, s[4:5]
	v_cndmask_b32_e64 v9, 0, v92, s[20:21]
	v_cndmask_b32_e64 v8, 0, v93, s[20:21]
	v_add_co_u32_e64 v60, s[4:5], v9, v50
	v_cmp_eq_u16_sdwa s[22:23], v124, v5 src0_sel:BYTE_0 src1_sel:DWORD
	v_addc_co_u32_e64 v61, s[4:5], v8, v51, s[4:5]
	v_cndmask_b32_e64 v9, 0, v60, s[22:23]
	v_cndmask_b32_e64 v8, 0, v61, s[22:23]
	v_add_co_u32_e64 v96, s[4:5], v9, v38
	v_cmp_eq_u16_sdwa s[24:25], v126, v5 src0_sel:BYTE_0 src1_sel:DWORD
	v_addc_co_u32_e64 v97, s[4:5], v8, v39, s[4:5]
	v_cndmask_b32_e64 v9, 0, v96, s[24:25]
	v_cndmask_b32_e64 v8, 0, v97, s[24:25]
	v_add_co_u32_e64 v64, s[26:27], v9, v58
	v_addc_co_u32_e64 v65, s[26:27], v8, v59, s[26:27]
	v_cmp_eq_u16_sdwa s[26:27], v37, v5 src0_sel:BYTE_0 src1_sel:DWORD
	v_cndmask_b32_e64 v9, 0, v64, s[26:27]
	v_cndmask_b32_e64 v8, 0, v65, s[26:27]
	v_add_co_u32_e64 v100, s[28:29], v9, v46
	v_addc_co_u32_e64 v101, s[28:29], v8, v47, s[28:29]
	v_and_b32_sdwa v8, v126, s42 dst_sel:DWORD dst_unused:UNUSED_PAD src0_sel:WORD_1 src1_sel:DWORD
	v_cmp_eq_u16_e64 s[28:29], 0, v8
	v_cndmask_b32_e64 v9, 0, v100, s[28:29]
	v_cndmask_b32_e64 v8, 0, v101, s[28:29]
	v_add_co_u32_e64 v68, s[30:31], v9, v66
	v_addc_co_u32_e64 v69, s[30:31], v8, v67, s[30:31]
	v_cmp_eq_u16_sdwa s[30:31], v126, v5 src0_sel:BYTE_3 src1_sel:DWORD
	v_cndmask_b32_e64 v9, 0, v68, s[30:31]
	v_cndmask_b32_e64 v8, 0, v69, s[30:31]
	v_add_co_u32_e64 v104, s[34:35], v9, v54
	v_addc_co_u32_e64 v105, s[34:35], v8, v55, s[34:35]
	v_cmp_eq_u16_sdwa s[34:35], v122, v5 src0_sel:BYTE_0 src1_sel:DWORD
	v_cndmask_b32_e64 v9, 0, v104, s[34:35]
	v_cndmask_b32_e64 v8, 0, v105, s[34:35]
	v_add_co_u32_e64 v72, s[36:37], v9, v74
	v_addc_co_u32_e64 v73, s[36:37], v8, v75, s[36:37]
	v_cmp_eq_u16_sdwa s[36:37], v125, v5 src0_sel:BYTE_0 src1_sel:DWORD
	;; [unrolled: 5-line block ×3, first 2 shown]
	v_cndmask_b32_e64 v9, 0, v108, s[38:39]
	v_cndmask_b32_e64 v8, 0, v109, s[38:39]
	v_add_co_u32_e64 v76, s[40:41], v9, v78
	v_addc_co_u32_e64 v77, s[40:41], v8, v79, s[40:41]
	v_and_b32_sdwa v8, v125, s42 dst_sel:DWORD dst_unused:UNUSED_PAD src0_sel:WORD_1 src1_sel:DWORD
	v_cmp_eq_u16_e64 s[40:41], 0, v8
	v_cndmask_b32_e64 v9, 0, v76, s[40:41]
	v_cndmask_b32_e64 v8, 0, v77, s[40:41]
	v_add_co_u32_e64 v112, s[42:43], v9, v70
	v_addc_co_u32_e64 v113, s[42:43], v8, v71, s[42:43]
	v_cmp_eq_u16_sdwa s[42:43], v125, v5 src0_sel:BYTE_3 src1_sel:DWORD
	v_cndmask_b32_e64 v9, 0, v112, s[42:43]
	v_cndmask_b32_e64 v8, 0, v113, s[42:43]
	v_add_co_u32_e64 v118, s[44:45], v9, v10
	v_addc_co_u32_e64 v119, s[44:45], v8, v11, s[44:45]
	v_cmp_eq_u16_sdwa s[44:45], v28, v5 src0_sel:BYTE_0 src1_sel:DWORD
	v_cndmask_b32_e64 v8, 0, v118, s[44:45]
	v_cndmask_b32_e64 v5, 0, v119, s[44:45]
	v_add_co_u32_e64 v120, s[50:51], v8, v20
	v_addc_co_u32_e64 v121, s[50:51], v5, v21, s[50:51]
	v_or_b32_e32 v5, v125, v126
	v_or3_b32 v5, v5, v127, v128
	v_lshrrev_b16_e32 v9, 7, v5
	v_and_b32_e32 v8, 1, v5
	v_and_b32_e32 v9, 2, v9
	v_or_b32_e32 v8, v8, v9
	v_lshrrev_b32_e32 v9, 23, v5
	v_mov_b32_e32 v12, 1
	v_and_b32_e32 v9, 2, v9
	v_and_b32_sdwa v5, v5, v12 dst_sel:DWORD dst_unused:UNUSED_PAD src0_sel:WORD_1 src1_sel:DWORD
	v_or_b32_e32 v5, v5, v9
	v_lshlrev_b16_e32 v5, 2, v5
	v_or_b32_e32 v5, v8, v5
	v_cmp_eq_u32_e64 s[50:51], 1, v32
	v_cmp_ne_u16_e64 s[52:53], 0, v5
	v_cmp_eq_u32_e64 s[48:49], 1, v33
	s_or_b64 s[50:51], s[52:53], s[50:51]
	v_cmp_eq_u32_e64 s[4:5], 1, v40
	s_or_b64 s[48:49], s[50:51], s[48:49]
	;; [unrolled: 2-line block ×3, first 2 shown]
	v_and_b32_e32 v4, 0xff, v1
	s_or_b64 s[4:5], s[4:5], s[46:47]
	v_mbcnt_hi_u32_b32 v12, -1, v29
	v_cndmask_b32_e64 v13, v4, 1, s[4:5]
	v_and_b32_e32 v16, 15, v12
	v_mov_b32_dpp v24, v120 row_shr:1 row_mask:0xf bank_mask:0xf
	v_mov_b32_dpp v25, v121 row_shr:1 row_mask:0xf bank_mask:0xf
	;; [unrolled: 1-line block ×3, first 2 shown]
	v_cmp_ne_u32_e64 s[4:5], 0, v16
	v_pk_mov_b32 v[4:5], v[120:121], v[120:121] op_sel:[0,1]
	v_mov_b32_e32 v9, v121
	v_mov_b32_e32 v8, v120
	s_and_saveexec_b64 s[46:47], s[4:5]
; %bb.190:
	v_cmp_eq_u32_e64 s[4:5], 0, v13
	v_cndmask_b32_e64 v4, 0, v24, s[4:5]
	v_cndmask_b32_e64 v5, 0, v25, s[4:5]
	v_add_co_u32_e64 v4, s[4:5], v120, v4
	v_addc_co_u32_e64 v5, s[4:5], v121, v5, s[4:5]
	v_and_or_b32 v13, v17, 1, v13
	v_mov_b32_e32 v9, v5
	v_mov_b32_e32 v8, v4
; %bb.191:
	s_or_b64 exec, exec, s[46:47]
	s_nop 0
	v_mov_b32_dpp v24, v8 row_shr:2 row_mask:0xf bank_mask:0xf
	v_mov_b32_dpp v25, v9 row_shr:2 row_mask:0xf bank_mask:0xf
	v_mov_b32_dpp v17, v13 row_shr:2 row_mask:0xf bank_mask:0xf
	v_cmp_lt_u32_e64 s[4:5], 1, v16
	s_and_saveexec_b64 s[46:47], s[4:5]
; %bb.192:
	v_cmp_eq_u32_e64 s[4:5], 0, v13
	v_cndmask_b32_e64 v8, 0, v24, s[4:5]
	v_cndmask_b32_e64 v9, 0, v25, s[4:5]
	v_add_co_u32_e64 v8, s[4:5], v8, v4
	v_addc_co_u32_e64 v9, s[4:5], v9, v5, s[4:5]
	v_or_b32_e32 v4, v17, v13
	v_and_b32_e32 v13, 1, v4
	v_pk_mov_b32 v[4:5], v[8:9], v[8:9] op_sel:[0,1]
; %bb.193:
	s_or_b64 exec, exec, s[46:47]
	v_mov_b32_dpp v24, v8 row_shr:4 row_mask:0xf bank_mask:0xf
	v_mov_b32_dpp v25, v9 row_shr:4 row_mask:0xf bank_mask:0xf
	v_mov_b32_dpp v17, v13 row_shr:4 row_mask:0xf bank_mask:0xf
	v_cmp_lt_u32_e64 s[4:5], 3, v16
	s_and_saveexec_b64 s[46:47], s[4:5]
; %bb.194:
	v_cmp_eq_u32_e64 s[4:5], 0, v13
	v_cndmask_b32_e64 v8, 0, v24, s[4:5]
	v_cndmask_b32_e64 v9, 0, v25, s[4:5]
	v_add_co_u32_e64 v8, s[4:5], v8, v4
	v_addc_co_u32_e64 v9, s[4:5], v9, v5, s[4:5]
	v_or_b32_e32 v4, v17, v13
	v_and_b32_e32 v13, 1, v4
	v_pk_mov_b32 v[4:5], v[8:9], v[8:9] op_sel:[0,1]
; %bb.195:
	s_or_b64 exec, exec, s[46:47]
	;; [unrolled: 16-line block ×3, first 2 shown]
	v_and_b32_e32 v25, 16, v12
	v_mov_b32_dpp v17, v8 row_bcast:15 row_mask:0xf bank_mask:0xf
	v_mov_b32_dpp v24, v9 row_bcast:15 row_mask:0xf bank_mask:0xf
	;; [unrolled: 1-line block ×3, first 2 shown]
	v_cmp_ne_u32_e64 s[4:5], 0, v25
	s_and_saveexec_b64 s[46:47], s[4:5]
; %bb.198:
	v_cmp_eq_u32_e64 s[4:5], 0, v13
	v_cndmask_b32_e64 v9, 0, v17, s[4:5]
	v_cndmask_b32_e64 v8, 0, v24, s[4:5]
	v_add_co_u32_e64 v4, s[4:5], v9, v4
	v_addc_co_u32_e64 v5, s[4:5], v8, v5, s[4:5]
	v_or_b32_e32 v8, v16, v13
	v_and_b32_e32 v13, 1, v8
	v_mov_b32_e32 v9, v5
	v_mov_b32_e32 v8, v4
; %bb.199:
	s_or_b64 exec, exec, s[46:47]
	s_nop 0
	v_mov_b32_dpp v16, v8 row_bcast:31 row_mask:0xf bank_mask:0xf
	v_mov_b32_dpp v9, v9 row_bcast:31 row_mask:0xf bank_mask:0xf
	;; [unrolled: 1-line block ×3, first 2 shown]
	v_cmp_lt_u32_e64 s[4:5], 31, v12
	s_and_saveexec_b64 s[46:47], s[4:5]
; %bb.200:
	v_cmp_eq_u32_e64 s[4:5], 0, v13
	v_cndmask_b32_e64 v16, 0, v16, s[4:5]
	v_cndmask_b32_e64 v9, 0, v9, s[4:5]
	v_add_co_u32_e64 v4, s[4:5], v16, v4
	v_or_b32_e32 v8, v8, v13
	v_addc_co_u32_e64 v5, s[4:5], v9, v5, s[4:5]
	v_and_b32_e32 v13, 1, v8
; %bb.201:
	s_or_b64 exec, exec, s[46:47]
	v_cmp_eq_u32_e64 s[4:5], 63, v0
	s_and_saveexec_b64 s[46:47], s[4:5]
	s_cbranch_execz .LBB1212_203
; %bb.202:
	v_mov_b32_e32 v8, 0
	ds_write_b64 v8, v[4:5]
	ds_write_b8 v8, v13 offset:8
.LBB1212_203:
	s_or_b64 exec, exec, s[46:47]
	v_add_u32_e32 v8, -1, v12
	v_and_b32_e32 v9, 64, v12
	v_cmp_lt_i32_e64 s[4:5], v8, v9
	v_cndmask_b32_e64 v8, v8, v12, s[4:5]
	v_lshlrev_b32_e32 v8, 2, v8
	ds_bpermute_b32 v4, v8, v4
	ds_bpermute_b32 v5, v8, v5
	s_waitcnt lgkmcnt(0)
	; wave barrier
	s_waitcnt lgkmcnt(0)
	s_mov_b64 s[46:47], exec
	v_readlane_b32 s4, v131, 2
	v_readlane_b32 s5, v131, 3
	s_and_b64 s[4:5], s[46:47], s[4:5]
	s_mov_b64 exec, s[4:5]
	s_cbranch_execz .LBB1212_205
; %bb.204:
	v_mov_b32_e32 v8, 0
	v_cmp_eq_u16_sdwa s[4:5], v1, v8 src0_sel:BYTE_0 src1_sel:DWORD
	v_cndmask_b32_e64 v4, 0, v4, s[4:5]
	v_cndmask_b32_e64 v1, 0, v5, s[4:5]
	v_add_co_u32_e64 v2, s[4:5], v4, v2
	v_addc_co_u32_e64 v3, s[4:5], v1, v3, s[4:5]
	v_cndmask_b32_e32 v4, 0, v2, vcc
	v_cndmask_b32_e32 v1, 0, v3, vcc
	v_add_co_u32_e32 v44, vcc, v4, v18
	v_addc_co_u32_e32 v45, vcc, v1, v19, vcc
	v_cndmask_b32_e64 v4, 0, v44, s[6:7]
	v_cndmask_b32_e64 v1, 0, v45, s[6:7]
	v_add_co_u32_e32 v80, vcc, v4, v6
	v_addc_co_u32_e32 v81, vcc, v1, v7, vcc
	v_cndmask_b32_e64 v4, 0, v80, s[8:9]
	v_cndmask_b32_e64 v1, 0, v81, s[8:9]
	;; [unrolled: 4-line block ×19, first 2 shown]
	v_add_co_u32_e32 v120, vcc, v4, v20
	v_addc_co_u32_e32 v121, vcc, v1, v21, vcc
	;;#ASMSTART
	;;#ASMEND
.LBB1212_205:
	s_or_b64 exec, exec, s[46:47]
	s_and_saveexec_b64 s[4:5], s[88:89]
	s_cbranch_execz .LBB1212_207
; %bb.206:
	v_mov_b32_e32 v1, 0
	ds_read_b64 v[4:5], v1
	ds_read_u8 v6, v1 offset:8
	v_mov_b32_e32 v7, 2
	s_waitcnt lgkmcnt(1)
	global_store_dwordx2 v1, v[4:5], s[70:71] offset:1024
	s_waitcnt lgkmcnt(0)
	global_store_byte v1, v6, s[70:71] offset:1032
	s_waitcnt vmcnt(0)
	buffer_wbinvl1_vol
	global_store_byte v1, v7, s[72:73] offset:64
.LBB1212_207:
	s_or_b64 exec, exec, s[4:5]
	v_pk_mov_b32 v[114:115], v[2:3], v[2:3] op_sel:[0,1]
.LBB1212_208:
	s_add_u32 s0, s58, s60
	s_addc_u32 s1, s59, s61
	s_add_u32 s4, s0, s2
	s_addc_u32 s5, s1, s3
	v_readlane_b32 s0, v131, 12
	v_readlane_b32 s1, v131, 13
	s_and_b64 vcc, exec, s[0:1]
	v_lshlrev_b32_e32 v46, 3, v0
	s_cbranch_vccz .LBB1212_250
; %bb.209:
	v_readlane_b32 s0, v131, 14
	s_add_i32 s33, s0, s74
	s_movk_i32 s0, 0xa8
	v_mul_i32_i24_e32 v50, 0xffffff60, v0
	v_mul_u32_u24_e32 v47, 0xa8, v0
	v_mad_u32_u24 v2, v0, s0, v50
	s_waitcnt lgkmcnt(0)
	; wave barrier
	ds_write2_b64 v47, v[114:115], v[44:45] offset1:1
	ds_write2_b64 v47, v[80:81], v[48:49] offset0:2 offset1:3
	ds_write2_b64 v47, v[84:85], v[52:53] offset0:4 offset1:5
	;; [unrolled: 1-line block ×9, first 2 shown]
	ds_write_b64 v47, v[120:121] offset:160
	s_waitcnt lgkmcnt(0)
	; wave barrier
	s_waitcnt lgkmcnt(0)
	ds_read2st64_b64 v[38:41], v2 offset0:1 offset1:2
	ds_read2st64_b64 v[34:37], v2 offset0:3 offset1:4
	;; [unrolled: 1-line block ×10, first 2 shown]
	v_mov_b32_e32 v43, s5
	v_add_co_u32_e32 v42, vcc, s4, v46
	v_addc_co_u32_e32 v43, vcc, 0, v43, vcc
	v_mov_b32_e32 v1, 0
	v_cmp_gt_u32_e32 vcc, s33, v0
	s_and_saveexec_b64 s[0:1], vcc
	s_cbranch_execz .LBB1212_211
; %bb.210:
	v_add_u32_e32 v47, v47, v50
	ds_read_b64 v[50:51], v47
	s_waitcnt lgkmcnt(0)
	flat_store_dwordx2 v[42:43], v[50:51]
.LBB1212_211:
	s_or_b64 exec, exec, s[0:1]
	v_or_b32_e32 v47, 64, v0
	v_cmp_gt_u32_e32 vcc, s33, v47
	s_and_saveexec_b64 s[0:1], vcc
	s_cbranch_execz .LBB1212_213
; %bb.212:
	s_waitcnt lgkmcnt(0)
	flat_store_dwordx2 v[42:43], v[38:39] offset:512
.LBB1212_213:
	s_or_b64 exec, exec, s[0:1]
	s_waitcnt lgkmcnt(0)
	v_or_b32_e32 v38, 0x80, v0
	v_cmp_gt_u32_e32 vcc, s33, v38
	s_and_saveexec_b64 s[0:1], vcc
	s_cbranch_execz .LBB1212_215
; %bb.214:
	flat_store_dwordx2 v[42:43], v[40:41] offset:1024
.LBB1212_215:
	s_or_b64 exec, exec, s[0:1]
	v_or_b32_e32 v38, 0xc0, v0
	v_cmp_gt_u32_e32 vcc, s33, v38
	s_and_saveexec_b64 s[0:1], vcc
	s_cbranch_execz .LBB1212_217
; %bb.216:
	flat_store_dwordx2 v[42:43], v[34:35] offset:1536
.LBB1212_217:
	s_or_b64 exec, exec, s[0:1]
	;; [unrolled: 8-line block ×6, first 2 shown]
	v_or_b32_e32 v26, 0x200, v0
	v_cmp_gt_u32_e32 vcc, s33, v26
	s_and_saveexec_b64 s[0:1], vcc
	s_cbranch_execz .LBB1212_227
; %bb.226:
	v_add_co_u32_e32 v26, vcc, 0x1000, v42
	v_addc_co_u32_e32 v27, vcc, 0, v43, vcc
	flat_store_dwordx2 v[26:27], v[28:29]
.LBB1212_227:
	s_or_b64 exec, exec, s[0:1]
	v_or_b32_e32 v26, 0x240, v0
	v_cmp_gt_u32_e32 vcc, s33, v26
	s_and_saveexec_b64 s[0:1], vcc
	s_cbranch_execz .LBB1212_229
; %bb.228:
	v_add_co_u32_e32 v26, vcc, 0x1000, v42
	v_addc_co_u32_e32 v27, vcc, 0, v43, vcc
	flat_store_dwordx2 v[26:27], v[22:23] offset:512
.LBB1212_229:
	s_or_b64 exec, exec, s[0:1]
	v_or_b32_e32 v22, 0x280, v0
	v_cmp_gt_u32_e32 vcc, s33, v22
	s_and_saveexec_b64 s[0:1], vcc
	s_cbranch_execz .LBB1212_231
; %bb.230:
	v_add_co_u32_e32 v22, vcc, 0x1000, v42
	v_addc_co_u32_e32 v23, vcc, 0, v43, vcc
	flat_store_dwordx2 v[22:23], v[24:25] offset:1024
.LBB1212_231:
	;; [unrolled: 10-line block ×7, first 2 shown]
	s_or_b64 exec, exec, s[0:1]
	v_or_b32_e32 v10, 0x400, v0
	v_cmp_gt_u32_e32 vcc, s33, v10
	s_and_saveexec_b64 s[0:1], vcc
	s_cbranch_execz .LBB1212_243
; %bb.242:
	v_add_co_u32_e32 v10, vcc, 0x2000, v42
	v_addc_co_u32_e32 v11, vcc, 0, v43, vcc
	flat_store_dwordx2 v[10:11], v[12:13]
.LBB1212_243:
	s_or_b64 exec, exec, s[0:1]
	v_or_b32_e32 v10, 0x440, v0
	v_cmp_gt_u32_e32 vcc, s33, v10
	s_and_saveexec_b64 s[0:1], vcc
	s_cbranch_execz .LBB1212_245
; %bb.244:
	v_add_co_u32_e32 v10, vcc, 0x2000, v42
	v_addc_co_u32_e32 v11, vcc, 0, v43, vcc
	flat_store_dwordx2 v[10:11], v[6:7] offset:512
.LBB1212_245:
	s_or_b64 exec, exec, s[0:1]
	v_or_b32_e32 v6, 0x480, v0
	v_cmp_gt_u32_e32 vcc, s33, v6
	s_and_saveexec_b64 s[0:1], vcc
	s_cbranch_execz .LBB1212_247
; %bb.246:
	v_add_co_u32_e32 v6, vcc, 0x2000, v42
	v_addc_co_u32_e32 v7, vcc, 0, v43, vcc
	flat_store_dwordx2 v[6:7], v[8:9] offset:1024
.LBB1212_247:
	;; [unrolled: 10-line block ×3, first 2 shown]
	s_or_b64 exec, exec, s[0:1]
	v_or_b32_e32 v2, 0x500, v0
	v_cmp_gt_u32_e64 s[0:1], s33, v2
	s_branch .LBB1212_252
.LBB1212_250:
	s_mov_b64 s[0:1], 0
                                        ; implicit-def: $vgpr4_vgpr5
	s_cbranch_execz .LBB1212_252
; %bb.251:
	s_movk_i32 s2, 0xa8
	v_mul_i32_i24_e32 v2, 0xffffff60, v0
	v_mul_u32_u24_e32 v1, 0xa8, v0
	v_mad_u32_u24 v2, v0, s2, v2
	s_waitcnt lgkmcnt(0)
	; wave barrier
	s_waitcnt lgkmcnt(0)
	ds_write2_b64 v1, v[114:115], v[44:45] offset1:1
	ds_write2_b64 v1, v[80:81], v[48:49] offset0:2 offset1:3
	ds_write2_b64 v1, v[84:85], v[52:53] offset0:4 offset1:5
	;; [unrolled: 1-line block ×9, first 2 shown]
	ds_write_b64 v1, v[120:121] offset:160
	s_waitcnt lgkmcnt(0)
	; wave barrier
	s_waitcnt lgkmcnt(0)
	ds_read2st64_b64 v[6:9], v2 offset1:1
	ds_read2st64_b64 v[10:13], v2 offset0:2 offset1:3
	ds_read2st64_b64 v[14:17], v2 offset0:4 offset1:5
	ds_read2st64_b64 v[18:21], v2 offset0:6 offset1:7
	ds_read2st64_b64 v[22:25], v2 offset0:8 offset1:9
	ds_read2st64_b64 v[26:29], v2 offset0:10 offset1:11
	ds_read2st64_b64 v[30:33], v2 offset0:12 offset1:13
	ds_read2st64_b64 v[34:37], v2 offset0:14 offset1:15
	ds_read2st64_b64 v[38:41], v2 offset0:16 offset1:17
	ds_read2st64_b64 v[42:45], v2 offset0:18 offset1:19
	ds_read_b64 v[4:5], v2 offset:10240
	v_mov_b32_e32 v3, s5
	v_add_co_u32_e32 v2, vcc, s4, v46
	v_addc_co_u32_e32 v3, vcc, 0, v3, vcc
	s_movk_i32 s2, 0x1000
	s_waitcnt lgkmcnt(0)
	flat_store_dwordx2 v[2:3], v[6:7]
	flat_store_dwordx2 v[2:3], v[8:9] offset:512
	flat_store_dwordx2 v[2:3], v[10:11] offset:1024
	;; [unrolled: 1-line block ×7, first 2 shown]
	v_add_co_u32_e32 v6, vcc, s2, v2
	v_addc_co_u32_e32 v7, vcc, 0, v3, vcc
	v_add_co_u32_e32 v2, vcc, 0x2000, v2
	v_mov_b32_e32 v1, 0
	v_addc_co_u32_e32 v3, vcc, 0, v3, vcc
	s_or_b64 s[0:1], s[0:1], exec
	flat_store_dwordx2 v[6:7], v[22:23]
	flat_store_dwordx2 v[6:7], v[24:25] offset:512
	flat_store_dwordx2 v[6:7], v[26:27] offset:1024
	;; [unrolled: 1-line block ×7, first 2 shown]
	flat_store_dwordx2 v[2:3], v[38:39]
	flat_store_dwordx2 v[2:3], v[40:41] offset:512
	flat_store_dwordx2 v[2:3], v[42:43] offset:1024
	;; [unrolled: 1-line block ×3, first 2 shown]
.LBB1212_252:
	s_and_saveexec_b64 s[2:3], s[0:1]
	s_cbranch_execnz .LBB1212_254
; %bb.253:
	s_endpgm
.LBB1212_254:
	v_lshlrev_b64 v[0:1], 3, v[0:1]
	v_mov_b32_e32 v2, s5
	v_add_co_u32_e32 v0, vcc, s4, v0
	v_addc_co_u32_e32 v1, vcc, v2, v1, vcc
	v_add_co_u32_e32 v0, vcc, 0x2000, v0
	v_addc_co_u32_e32 v1, vcc, 0, v1, vcc
	flat_store_dwordx2 v[0:1], v[4:5] offset:2048
	s_endpgm
.LBB1212_255:
	v_lshlrev_b32_e32 v2, 3, v0
	v_mov_b32_e32 v3, s63
	v_add_co_u32_e32 v2, vcc, s62, v2
	v_addc_co_u32_e32 v3, vcc, 0, v3, vcc
	flat_load_dwordx2 v[2:3], v[2:3]
	s_or_b64 exec, exec, s[4:5]
                                        ; implicit-def: $vgpr6_vgpr7
	s_and_saveexec_b64 s[4:5], s[8:9]
	s_cbranch_execz .LBB1212_55
.LBB1212_256:
	v_lshlrev_b32_e32 v6, 3, v0
	v_mov_b32_e32 v7, s63
	v_add_co_u32_e32 v6, vcc, s62, v6
	v_addc_co_u32_e32 v7, vcc, 0, v7, vcc
	flat_load_dwordx2 v[6:7], v[6:7] offset:512
	s_or_b64 exec, exec, s[4:5]
                                        ; implicit-def: $vgpr10_vgpr11
	s_and_saveexec_b64 s[4:5], s[10:11]
	s_cbranch_execz .LBB1212_56
.LBB1212_257:
	v_lshlrev_b32_e32 v10, 3, v0
	v_mov_b32_e32 v11, s63
	v_add_co_u32_e32 v10, vcc, s62, v10
	v_addc_co_u32_e32 v11, vcc, 0, v11, vcc
	flat_load_dwordx2 v[10:11], v[10:11] offset:1024
	s_or_b64 exec, exec, s[4:5]
                                        ; implicit-def: $vgpr14_vgpr15
	s_and_saveexec_b64 s[4:5], s[12:13]
	s_cbranch_execz .LBB1212_57
.LBB1212_258:
	v_lshlrev_b32_e32 v14, 3, v0
	v_mov_b32_e32 v15, s63
	v_add_co_u32_e32 v14, vcc, s62, v14
	v_addc_co_u32_e32 v15, vcc, 0, v15, vcc
	flat_load_dwordx2 v[14:15], v[14:15] offset:1536
	s_or_b64 exec, exec, s[4:5]
                                        ; implicit-def: $vgpr18_vgpr19
	s_and_saveexec_b64 s[4:5], s[14:15]
	s_cbranch_execz .LBB1212_58
.LBB1212_259:
	v_lshlrev_b32_e32 v18, 3, v0
	v_mov_b32_e32 v19, s63
	v_add_co_u32_e32 v18, vcc, s62, v18
	v_addc_co_u32_e32 v19, vcc, 0, v19, vcc
	flat_load_dwordx2 v[18:19], v[18:19] offset:2048
	s_or_b64 exec, exec, s[4:5]
                                        ; implicit-def: $vgpr20_vgpr21
	s_and_saveexec_b64 s[4:5], s[16:17]
	s_cbranch_execz .LBB1212_59
.LBB1212_260:
	v_lshlrev_b32_e32 v20, 3, v0
	v_mov_b32_e32 v21, s63
	v_add_co_u32_e32 v20, vcc, s62, v20
	v_addc_co_u32_e32 v21, vcc, 0, v21, vcc
	flat_load_dwordx2 v[20:21], v[20:21] offset:2560
	s_or_b64 exec, exec, s[4:5]
                                        ; implicit-def: $vgpr22_vgpr23
	s_and_saveexec_b64 s[4:5], s[18:19]
	s_cbranch_execz .LBB1212_60
.LBB1212_261:
	v_lshlrev_b32_e32 v22, 3, v0
	v_mov_b32_e32 v23, s63
	v_add_co_u32_e32 v22, vcc, s62, v22
	v_addc_co_u32_e32 v23, vcc, 0, v23, vcc
	flat_load_dwordx2 v[22:23], v[22:23] offset:3072
	s_or_b64 exec, exec, s[4:5]
                                        ; implicit-def: $vgpr26_vgpr27
	s_and_saveexec_b64 s[4:5], s[20:21]
	s_cbranch_execz .LBB1212_61
.LBB1212_262:
	v_lshlrev_b32_e32 v26, 3, v0
	v_mov_b32_e32 v27, s63
	v_add_co_u32_e32 v26, vcc, s62, v26
	v_addc_co_u32_e32 v27, vcc, 0, v27, vcc
	flat_load_dwordx2 v[26:27], v[26:27] offset:3584
	s_or_b64 exec, exec, s[4:5]
                                        ; implicit-def: $vgpr30_vgpr31
	s_and_saveexec_b64 s[4:5], s[22:23]
	s_cbranch_execz .LBB1212_62
.LBB1212_263:
	v_lshlrev_b32_e32 v1, 3, v1
	v_mov_b32_e32 v31, s63
	v_add_co_u32_e32 v30, vcc, s62, v1
	v_addc_co_u32_e32 v31, vcc, 0, v31, vcc
	flat_load_dwordx2 v[30:31], v[30:31]
	s_or_b64 exec, exec, s[4:5]
                                        ; implicit-def: $vgpr34_vgpr35
	s_and_saveexec_b64 s[4:5], s[24:25]
	s_cbranch_execz .LBB1212_63
.LBB1212_264:
	v_lshlrev_b32_e32 v1, 3, v38
	v_mov_b32_e32 v35, s63
	v_add_co_u32_e32 v34, vcc, s62, v1
	v_addc_co_u32_e32 v35, vcc, 0, v35, vcc
	flat_load_dwordx2 v[34:35], v[34:35]
	s_or_b64 exec, exec, s[4:5]
                                        ; implicit-def: $vgpr38_vgpr39
	s_and_saveexec_b64 s[4:5], s[26:27]
	s_cbranch_execz .LBB1212_64
.LBB1212_265:
	v_lshlrev_b32_e32 v1, 3, v42
	v_mov_b32_e32 v39, s63
	v_add_co_u32_e32 v38, vcc, s62, v1
	v_addc_co_u32_e32 v39, vcc, 0, v39, vcc
	flat_load_dwordx2 v[38:39], v[38:39]
	s_or_b64 exec, exec, s[4:5]
                                        ; implicit-def: $vgpr42_vgpr43
	s_and_saveexec_b64 s[4:5], s[28:29]
	s_cbranch_execz .LBB1212_65
.LBB1212_266:
	v_lshlrev_b32_e32 v1, 3, v46
	v_mov_b32_e32 v43, s63
	v_add_co_u32_e32 v42, vcc, s62, v1
	v_addc_co_u32_e32 v43, vcc, 0, v43, vcc
	flat_load_dwordx2 v[42:43], v[42:43]
	s_or_b64 exec, exec, s[4:5]
                                        ; implicit-def: $vgpr46_vgpr47
	s_and_saveexec_b64 s[4:5], s[30:31]
	s_cbranch_execz .LBB1212_66
.LBB1212_267:
	v_lshlrev_b32_e32 v1, 3, v48
	v_mov_b32_e32 v47, s63
	v_add_co_u32_e32 v46, vcc, s62, v1
	v_addc_co_u32_e32 v47, vcc, 0, v47, vcc
	flat_load_dwordx2 v[46:47], v[46:47]
	s_or_b64 exec, exec, s[4:5]
                                        ; implicit-def: $vgpr48_vgpr49
	s_and_saveexec_b64 s[4:5], s[34:35]
	s_cbranch_execz .LBB1212_67
.LBB1212_268:
	v_lshlrev_b32_e32 v1, 3, v50
	v_mov_b32_e32 v49, s63
	v_add_co_u32_e32 v48, vcc, s62, v1
	v_addc_co_u32_e32 v49, vcc, 0, v49, vcc
	flat_load_dwordx2 v[48:49], v[48:49]
	s_or_b64 exec, exec, s[4:5]
                                        ; implicit-def: $vgpr50_vgpr51
	s_and_saveexec_b64 s[4:5], s[36:37]
	s_cbranch_execz .LBB1212_68
.LBB1212_269:
	v_lshlrev_b32_e32 v1, 3, v52
	v_mov_b32_e32 v51, s63
	v_add_co_u32_e32 v50, vcc, s62, v1
	v_addc_co_u32_e32 v51, vcc, 0, v51, vcc
	flat_load_dwordx2 v[50:51], v[50:51]
	s_or_b64 exec, exec, s[4:5]
                                        ; implicit-def: $vgpr52_vgpr53
	s_and_saveexec_b64 s[4:5], s[38:39]
	s_cbranch_execz .LBB1212_69
.LBB1212_270:
	v_lshlrev_b32_e32 v1, 3, v54
	v_mov_b32_e32 v53, s63
	v_add_co_u32_e32 v52, vcc, s62, v1
	v_addc_co_u32_e32 v53, vcc, 0, v53, vcc
	flat_load_dwordx2 v[52:53], v[52:53]
	s_or_b64 exec, exec, s[4:5]
                                        ; implicit-def: $vgpr54_vgpr55
	s_and_saveexec_b64 s[4:5], s[40:41]
	s_cbranch_execz .LBB1212_70
.LBB1212_271:
	v_lshlrev_b32_e32 v1, 3, v56
	v_mov_b32_e32 v55, s63
	v_add_co_u32_e32 v54, vcc, s62, v1
	v_addc_co_u32_e32 v55, vcc, 0, v55, vcc
	flat_load_dwordx2 v[54:55], v[54:55]
	s_or_b64 exec, exec, s[4:5]
                                        ; implicit-def: $vgpr56_vgpr57
	s_and_saveexec_b64 s[4:5], s[42:43]
	s_cbranch_execz .LBB1212_71
.LBB1212_272:
	v_lshlrev_b32_e32 v1, 3, v58
	v_mov_b32_e32 v57, s63
	v_add_co_u32_e32 v56, vcc, s62, v1
	v_addc_co_u32_e32 v57, vcc, 0, v57, vcc
	flat_load_dwordx2 v[56:57], v[56:57]
	s_or_b64 exec, exec, s[4:5]
                                        ; implicit-def: $vgpr58_vgpr59
	s_and_saveexec_b64 s[4:5], s[44:45]
	s_cbranch_execz .LBB1212_72
.LBB1212_273:
	v_lshlrev_b32_e32 v1, 3, v60
	v_mov_b32_e32 v59, s63
	v_add_co_u32_e32 v58, vcc, s62, v1
	v_addc_co_u32_e32 v59, vcc, 0, v59, vcc
	flat_load_dwordx2 v[58:59], v[58:59]
	s_or_b64 exec, exec, s[4:5]
                                        ; implicit-def: $vgpr60_vgpr61
	s_and_saveexec_b64 s[4:5], s[46:47]
	s_cbranch_execz .LBB1212_73
.LBB1212_274:
	v_lshlrev_b32_e32 v1, 3, v62
	v_mov_b32_e32 v61, s63
	v_add_co_u32_e32 v60, vcc, s62, v1
	v_addc_co_u32_e32 v61, vcc, 0, v61, vcc
	flat_load_dwordx2 v[60:61], v[60:61]
	s_or_b64 exec, exec, s[4:5]
                                        ; implicit-def: $vgpr62_vgpr63
	s_and_saveexec_b64 s[4:5], s[48:49]
	s_cbranch_execnz .LBB1212_74
	s_branch .LBB1212_75
.LBB1212_275:
                                        ; implicit-def: $sgpr4_sgpr5
	s_branch .LBB1212_50
.LBB1212_276:
                                        ; implicit-def: $sgpr4_sgpr5
	s_branch .LBB1212_120
	.section	.rodata,"a",@progbits
	.p2align	6, 0x0
	.amdhsa_kernel _ZN7rocprim17ROCPRIM_400000_NS6detail17trampoline_kernelINS0_14default_configENS1_27scan_by_key_config_selectorIiyEEZZNS1_16scan_by_key_implILNS1_25lookback_scan_determinismE0ELb0ES3_N6thrust23THRUST_200600_302600_NS6detail15normal_iteratorINS9_10device_ptrIiEEEENSB_INSC_IyEEEESG_yNS9_4plusIvEENS9_8equal_toIvEEyEE10hipError_tPvRmT2_T3_T4_T5_mT6_T7_P12ihipStream_tbENKUlT_T0_E_clISt17integral_constantIbLb0EES10_IbLb1EEEEDaSW_SX_EUlSW_E_NS1_11comp_targetILNS1_3genE4ELNS1_11target_archE910ELNS1_3gpuE8ELNS1_3repE0EEENS1_30default_config_static_selectorELNS0_4arch9wavefront6targetE1EEEvT1_
		.amdhsa_group_segment_fixed_size 10752
		.amdhsa_private_segment_fixed_size 0
		.amdhsa_kernarg_size 136
		.amdhsa_user_sgpr_count 6
		.amdhsa_user_sgpr_private_segment_buffer 1
		.amdhsa_user_sgpr_dispatch_ptr 0
		.amdhsa_user_sgpr_queue_ptr 0
		.amdhsa_user_sgpr_kernarg_segment_ptr 1
		.amdhsa_user_sgpr_dispatch_id 0
		.amdhsa_user_sgpr_flat_scratch_init 0
		.amdhsa_user_sgpr_kernarg_preload_length 0
		.amdhsa_user_sgpr_kernarg_preload_offset 0
		.amdhsa_user_sgpr_private_segment_size 0
		.amdhsa_uses_dynamic_stack 0
		.amdhsa_system_sgpr_private_segment_wavefront_offset 0
		.amdhsa_system_sgpr_workgroup_id_x 1
		.amdhsa_system_sgpr_workgroup_id_y 0
		.amdhsa_system_sgpr_workgroup_id_z 0
		.amdhsa_system_sgpr_workgroup_info 0
		.amdhsa_system_vgpr_workitem_id 0
		.amdhsa_next_free_vgpr 132
		.amdhsa_next_free_sgpr 96
		.amdhsa_accum_offset 132
		.amdhsa_reserve_vcc 1
		.amdhsa_reserve_flat_scratch 0
		.amdhsa_float_round_mode_32 0
		.amdhsa_float_round_mode_16_64 0
		.amdhsa_float_denorm_mode_32 3
		.amdhsa_float_denorm_mode_16_64 3
		.amdhsa_dx10_clamp 1
		.amdhsa_ieee_mode 1
		.amdhsa_fp16_overflow 0
		.amdhsa_tg_split 0
		.amdhsa_exception_fp_ieee_invalid_op 0
		.amdhsa_exception_fp_denorm_src 0
		.amdhsa_exception_fp_ieee_div_zero 0
		.amdhsa_exception_fp_ieee_overflow 0
		.amdhsa_exception_fp_ieee_underflow 0
		.amdhsa_exception_fp_ieee_inexact 0
		.amdhsa_exception_int_div_zero 0
	.end_amdhsa_kernel
	.section	.text._ZN7rocprim17ROCPRIM_400000_NS6detail17trampoline_kernelINS0_14default_configENS1_27scan_by_key_config_selectorIiyEEZZNS1_16scan_by_key_implILNS1_25lookback_scan_determinismE0ELb0ES3_N6thrust23THRUST_200600_302600_NS6detail15normal_iteratorINS9_10device_ptrIiEEEENSB_INSC_IyEEEESG_yNS9_4plusIvEENS9_8equal_toIvEEyEE10hipError_tPvRmT2_T3_T4_T5_mT6_T7_P12ihipStream_tbENKUlT_T0_E_clISt17integral_constantIbLb0EES10_IbLb1EEEEDaSW_SX_EUlSW_E_NS1_11comp_targetILNS1_3genE4ELNS1_11target_archE910ELNS1_3gpuE8ELNS1_3repE0EEENS1_30default_config_static_selectorELNS0_4arch9wavefront6targetE1EEEvT1_,"axG",@progbits,_ZN7rocprim17ROCPRIM_400000_NS6detail17trampoline_kernelINS0_14default_configENS1_27scan_by_key_config_selectorIiyEEZZNS1_16scan_by_key_implILNS1_25lookback_scan_determinismE0ELb0ES3_N6thrust23THRUST_200600_302600_NS6detail15normal_iteratorINS9_10device_ptrIiEEEENSB_INSC_IyEEEESG_yNS9_4plusIvEENS9_8equal_toIvEEyEE10hipError_tPvRmT2_T3_T4_T5_mT6_T7_P12ihipStream_tbENKUlT_T0_E_clISt17integral_constantIbLb0EES10_IbLb1EEEEDaSW_SX_EUlSW_E_NS1_11comp_targetILNS1_3genE4ELNS1_11target_archE910ELNS1_3gpuE8ELNS1_3repE0EEENS1_30default_config_static_selectorELNS0_4arch9wavefront6targetE1EEEvT1_,comdat
.Lfunc_end1212:
	.size	_ZN7rocprim17ROCPRIM_400000_NS6detail17trampoline_kernelINS0_14default_configENS1_27scan_by_key_config_selectorIiyEEZZNS1_16scan_by_key_implILNS1_25lookback_scan_determinismE0ELb0ES3_N6thrust23THRUST_200600_302600_NS6detail15normal_iteratorINS9_10device_ptrIiEEEENSB_INSC_IyEEEESG_yNS9_4plusIvEENS9_8equal_toIvEEyEE10hipError_tPvRmT2_T3_T4_T5_mT6_T7_P12ihipStream_tbENKUlT_T0_E_clISt17integral_constantIbLb0EES10_IbLb1EEEEDaSW_SX_EUlSW_E_NS1_11comp_targetILNS1_3genE4ELNS1_11target_archE910ELNS1_3gpuE8ELNS1_3repE0EEENS1_30default_config_static_selectorELNS0_4arch9wavefront6targetE1EEEvT1_, .Lfunc_end1212-_ZN7rocprim17ROCPRIM_400000_NS6detail17trampoline_kernelINS0_14default_configENS1_27scan_by_key_config_selectorIiyEEZZNS1_16scan_by_key_implILNS1_25lookback_scan_determinismE0ELb0ES3_N6thrust23THRUST_200600_302600_NS6detail15normal_iteratorINS9_10device_ptrIiEEEENSB_INSC_IyEEEESG_yNS9_4plusIvEENS9_8equal_toIvEEyEE10hipError_tPvRmT2_T3_T4_T5_mT6_T7_P12ihipStream_tbENKUlT_T0_E_clISt17integral_constantIbLb0EES10_IbLb1EEEEDaSW_SX_EUlSW_E_NS1_11comp_targetILNS1_3genE4ELNS1_11target_archE910ELNS1_3gpuE8ELNS1_3repE0EEENS1_30default_config_static_selectorELNS0_4arch9wavefront6targetE1EEEvT1_
                                        ; -- End function
	.section	.AMDGPU.csdata,"",@progbits
; Kernel info:
; codeLenInByte = 17192
; NumSgprs: 100
; NumVgprs: 132
; NumAgprs: 0
; TotalNumVgprs: 132
; ScratchSize: 0
; MemoryBound: 0
; FloatMode: 240
; IeeeMode: 1
; LDSByteSize: 10752 bytes/workgroup (compile time only)
; SGPRBlocks: 12
; VGPRBlocks: 16
; NumSGPRsForWavesPerEU: 100
; NumVGPRsForWavesPerEU: 132
; AccumOffset: 132
; Occupancy: 2
; WaveLimiterHint : 1
; COMPUTE_PGM_RSRC2:SCRATCH_EN: 0
; COMPUTE_PGM_RSRC2:USER_SGPR: 6
; COMPUTE_PGM_RSRC2:TRAP_HANDLER: 0
; COMPUTE_PGM_RSRC2:TGID_X_EN: 1
; COMPUTE_PGM_RSRC2:TGID_Y_EN: 0
; COMPUTE_PGM_RSRC2:TGID_Z_EN: 0
; COMPUTE_PGM_RSRC2:TIDIG_COMP_CNT: 0
; COMPUTE_PGM_RSRC3_GFX90A:ACCUM_OFFSET: 32
; COMPUTE_PGM_RSRC3_GFX90A:TG_SPLIT: 0
	.section	.text._ZN7rocprim17ROCPRIM_400000_NS6detail17trampoline_kernelINS0_14default_configENS1_27scan_by_key_config_selectorIiyEEZZNS1_16scan_by_key_implILNS1_25lookback_scan_determinismE0ELb0ES3_N6thrust23THRUST_200600_302600_NS6detail15normal_iteratorINS9_10device_ptrIiEEEENSB_INSC_IyEEEESG_yNS9_4plusIvEENS9_8equal_toIvEEyEE10hipError_tPvRmT2_T3_T4_T5_mT6_T7_P12ihipStream_tbENKUlT_T0_E_clISt17integral_constantIbLb0EES10_IbLb1EEEEDaSW_SX_EUlSW_E_NS1_11comp_targetILNS1_3genE3ELNS1_11target_archE908ELNS1_3gpuE7ELNS1_3repE0EEENS1_30default_config_static_selectorELNS0_4arch9wavefront6targetE1EEEvT1_,"axG",@progbits,_ZN7rocprim17ROCPRIM_400000_NS6detail17trampoline_kernelINS0_14default_configENS1_27scan_by_key_config_selectorIiyEEZZNS1_16scan_by_key_implILNS1_25lookback_scan_determinismE0ELb0ES3_N6thrust23THRUST_200600_302600_NS6detail15normal_iteratorINS9_10device_ptrIiEEEENSB_INSC_IyEEEESG_yNS9_4plusIvEENS9_8equal_toIvEEyEE10hipError_tPvRmT2_T3_T4_T5_mT6_T7_P12ihipStream_tbENKUlT_T0_E_clISt17integral_constantIbLb0EES10_IbLb1EEEEDaSW_SX_EUlSW_E_NS1_11comp_targetILNS1_3genE3ELNS1_11target_archE908ELNS1_3gpuE7ELNS1_3repE0EEENS1_30default_config_static_selectorELNS0_4arch9wavefront6targetE1EEEvT1_,comdat
	.protected	_ZN7rocprim17ROCPRIM_400000_NS6detail17trampoline_kernelINS0_14default_configENS1_27scan_by_key_config_selectorIiyEEZZNS1_16scan_by_key_implILNS1_25lookback_scan_determinismE0ELb0ES3_N6thrust23THRUST_200600_302600_NS6detail15normal_iteratorINS9_10device_ptrIiEEEENSB_INSC_IyEEEESG_yNS9_4plusIvEENS9_8equal_toIvEEyEE10hipError_tPvRmT2_T3_T4_T5_mT6_T7_P12ihipStream_tbENKUlT_T0_E_clISt17integral_constantIbLb0EES10_IbLb1EEEEDaSW_SX_EUlSW_E_NS1_11comp_targetILNS1_3genE3ELNS1_11target_archE908ELNS1_3gpuE7ELNS1_3repE0EEENS1_30default_config_static_selectorELNS0_4arch9wavefront6targetE1EEEvT1_ ; -- Begin function _ZN7rocprim17ROCPRIM_400000_NS6detail17trampoline_kernelINS0_14default_configENS1_27scan_by_key_config_selectorIiyEEZZNS1_16scan_by_key_implILNS1_25lookback_scan_determinismE0ELb0ES3_N6thrust23THRUST_200600_302600_NS6detail15normal_iteratorINS9_10device_ptrIiEEEENSB_INSC_IyEEEESG_yNS9_4plusIvEENS9_8equal_toIvEEyEE10hipError_tPvRmT2_T3_T4_T5_mT6_T7_P12ihipStream_tbENKUlT_T0_E_clISt17integral_constantIbLb0EES10_IbLb1EEEEDaSW_SX_EUlSW_E_NS1_11comp_targetILNS1_3genE3ELNS1_11target_archE908ELNS1_3gpuE7ELNS1_3repE0EEENS1_30default_config_static_selectorELNS0_4arch9wavefront6targetE1EEEvT1_
	.globl	_ZN7rocprim17ROCPRIM_400000_NS6detail17trampoline_kernelINS0_14default_configENS1_27scan_by_key_config_selectorIiyEEZZNS1_16scan_by_key_implILNS1_25lookback_scan_determinismE0ELb0ES3_N6thrust23THRUST_200600_302600_NS6detail15normal_iteratorINS9_10device_ptrIiEEEENSB_INSC_IyEEEESG_yNS9_4plusIvEENS9_8equal_toIvEEyEE10hipError_tPvRmT2_T3_T4_T5_mT6_T7_P12ihipStream_tbENKUlT_T0_E_clISt17integral_constantIbLb0EES10_IbLb1EEEEDaSW_SX_EUlSW_E_NS1_11comp_targetILNS1_3genE3ELNS1_11target_archE908ELNS1_3gpuE7ELNS1_3repE0EEENS1_30default_config_static_selectorELNS0_4arch9wavefront6targetE1EEEvT1_
	.p2align	8
	.type	_ZN7rocprim17ROCPRIM_400000_NS6detail17trampoline_kernelINS0_14default_configENS1_27scan_by_key_config_selectorIiyEEZZNS1_16scan_by_key_implILNS1_25lookback_scan_determinismE0ELb0ES3_N6thrust23THRUST_200600_302600_NS6detail15normal_iteratorINS9_10device_ptrIiEEEENSB_INSC_IyEEEESG_yNS9_4plusIvEENS9_8equal_toIvEEyEE10hipError_tPvRmT2_T3_T4_T5_mT6_T7_P12ihipStream_tbENKUlT_T0_E_clISt17integral_constantIbLb0EES10_IbLb1EEEEDaSW_SX_EUlSW_E_NS1_11comp_targetILNS1_3genE3ELNS1_11target_archE908ELNS1_3gpuE7ELNS1_3repE0EEENS1_30default_config_static_selectorELNS0_4arch9wavefront6targetE1EEEvT1_,@function
_ZN7rocprim17ROCPRIM_400000_NS6detail17trampoline_kernelINS0_14default_configENS1_27scan_by_key_config_selectorIiyEEZZNS1_16scan_by_key_implILNS1_25lookback_scan_determinismE0ELb0ES3_N6thrust23THRUST_200600_302600_NS6detail15normal_iteratorINS9_10device_ptrIiEEEENSB_INSC_IyEEEESG_yNS9_4plusIvEENS9_8equal_toIvEEyEE10hipError_tPvRmT2_T3_T4_T5_mT6_T7_P12ihipStream_tbENKUlT_T0_E_clISt17integral_constantIbLb0EES10_IbLb1EEEEDaSW_SX_EUlSW_E_NS1_11comp_targetILNS1_3genE3ELNS1_11target_archE908ELNS1_3gpuE7ELNS1_3repE0EEENS1_30default_config_static_selectorELNS0_4arch9wavefront6targetE1EEEvT1_: ; @_ZN7rocprim17ROCPRIM_400000_NS6detail17trampoline_kernelINS0_14default_configENS1_27scan_by_key_config_selectorIiyEEZZNS1_16scan_by_key_implILNS1_25lookback_scan_determinismE0ELb0ES3_N6thrust23THRUST_200600_302600_NS6detail15normal_iteratorINS9_10device_ptrIiEEEENSB_INSC_IyEEEESG_yNS9_4plusIvEENS9_8equal_toIvEEyEE10hipError_tPvRmT2_T3_T4_T5_mT6_T7_P12ihipStream_tbENKUlT_T0_E_clISt17integral_constantIbLb0EES10_IbLb1EEEEDaSW_SX_EUlSW_E_NS1_11comp_targetILNS1_3genE3ELNS1_11target_archE908ELNS1_3gpuE7ELNS1_3repE0EEENS1_30default_config_static_selectorELNS0_4arch9wavefront6targetE1EEEvT1_
; %bb.0:
	.section	.rodata,"a",@progbits
	.p2align	6, 0x0
	.amdhsa_kernel _ZN7rocprim17ROCPRIM_400000_NS6detail17trampoline_kernelINS0_14default_configENS1_27scan_by_key_config_selectorIiyEEZZNS1_16scan_by_key_implILNS1_25lookback_scan_determinismE0ELb0ES3_N6thrust23THRUST_200600_302600_NS6detail15normal_iteratorINS9_10device_ptrIiEEEENSB_INSC_IyEEEESG_yNS9_4plusIvEENS9_8equal_toIvEEyEE10hipError_tPvRmT2_T3_T4_T5_mT6_T7_P12ihipStream_tbENKUlT_T0_E_clISt17integral_constantIbLb0EES10_IbLb1EEEEDaSW_SX_EUlSW_E_NS1_11comp_targetILNS1_3genE3ELNS1_11target_archE908ELNS1_3gpuE7ELNS1_3repE0EEENS1_30default_config_static_selectorELNS0_4arch9wavefront6targetE1EEEvT1_
		.amdhsa_group_segment_fixed_size 0
		.amdhsa_private_segment_fixed_size 0
		.amdhsa_kernarg_size 136
		.amdhsa_user_sgpr_count 6
		.amdhsa_user_sgpr_private_segment_buffer 1
		.amdhsa_user_sgpr_dispatch_ptr 0
		.amdhsa_user_sgpr_queue_ptr 0
		.amdhsa_user_sgpr_kernarg_segment_ptr 1
		.amdhsa_user_sgpr_dispatch_id 0
		.amdhsa_user_sgpr_flat_scratch_init 0
		.amdhsa_user_sgpr_kernarg_preload_length 0
		.amdhsa_user_sgpr_kernarg_preload_offset 0
		.amdhsa_user_sgpr_private_segment_size 0
		.amdhsa_uses_dynamic_stack 0
		.amdhsa_system_sgpr_private_segment_wavefront_offset 0
		.amdhsa_system_sgpr_workgroup_id_x 1
		.amdhsa_system_sgpr_workgroup_id_y 0
		.amdhsa_system_sgpr_workgroup_id_z 0
		.amdhsa_system_sgpr_workgroup_info 0
		.amdhsa_system_vgpr_workitem_id 0
		.amdhsa_next_free_vgpr 1
		.amdhsa_next_free_sgpr 0
		.amdhsa_accum_offset 4
		.amdhsa_reserve_vcc 0
		.amdhsa_reserve_flat_scratch 0
		.amdhsa_float_round_mode_32 0
		.amdhsa_float_round_mode_16_64 0
		.amdhsa_float_denorm_mode_32 3
		.amdhsa_float_denorm_mode_16_64 3
		.amdhsa_dx10_clamp 1
		.amdhsa_ieee_mode 1
		.amdhsa_fp16_overflow 0
		.amdhsa_tg_split 0
		.amdhsa_exception_fp_ieee_invalid_op 0
		.amdhsa_exception_fp_denorm_src 0
		.amdhsa_exception_fp_ieee_div_zero 0
		.amdhsa_exception_fp_ieee_overflow 0
		.amdhsa_exception_fp_ieee_underflow 0
		.amdhsa_exception_fp_ieee_inexact 0
		.amdhsa_exception_int_div_zero 0
	.end_amdhsa_kernel
	.section	.text._ZN7rocprim17ROCPRIM_400000_NS6detail17trampoline_kernelINS0_14default_configENS1_27scan_by_key_config_selectorIiyEEZZNS1_16scan_by_key_implILNS1_25lookback_scan_determinismE0ELb0ES3_N6thrust23THRUST_200600_302600_NS6detail15normal_iteratorINS9_10device_ptrIiEEEENSB_INSC_IyEEEESG_yNS9_4plusIvEENS9_8equal_toIvEEyEE10hipError_tPvRmT2_T3_T4_T5_mT6_T7_P12ihipStream_tbENKUlT_T0_E_clISt17integral_constantIbLb0EES10_IbLb1EEEEDaSW_SX_EUlSW_E_NS1_11comp_targetILNS1_3genE3ELNS1_11target_archE908ELNS1_3gpuE7ELNS1_3repE0EEENS1_30default_config_static_selectorELNS0_4arch9wavefront6targetE1EEEvT1_,"axG",@progbits,_ZN7rocprim17ROCPRIM_400000_NS6detail17trampoline_kernelINS0_14default_configENS1_27scan_by_key_config_selectorIiyEEZZNS1_16scan_by_key_implILNS1_25lookback_scan_determinismE0ELb0ES3_N6thrust23THRUST_200600_302600_NS6detail15normal_iteratorINS9_10device_ptrIiEEEENSB_INSC_IyEEEESG_yNS9_4plusIvEENS9_8equal_toIvEEyEE10hipError_tPvRmT2_T3_T4_T5_mT6_T7_P12ihipStream_tbENKUlT_T0_E_clISt17integral_constantIbLb0EES10_IbLb1EEEEDaSW_SX_EUlSW_E_NS1_11comp_targetILNS1_3genE3ELNS1_11target_archE908ELNS1_3gpuE7ELNS1_3repE0EEENS1_30default_config_static_selectorELNS0_4arch9wavefront6targetE1EEEvT1_,comdat
.Lfunc_end1213:
	.size	_ZN7rocprim17ROCPRIM_400000_NS6detail17trampoline_kernelINS0_14default_configENS1_27scan_by_key_config_selectorIiyEEZZNS1_16scan_by_key_implILNS1_25lookback_scan_determinismE0ELb0ES3_N6thrust23THRUST_200600_302600_NS6detail15normal_iteratorINS9_10device_ptrIiEEEENSB_INSC_IyEEEESG_yNS9_4plusIvEENS9_8equal_toIvEEyEE10hipError_tPvRmT2_T3_T4_T5_mT6_T7_P12ihipStream_tbENKUlT_T0_E_clISt17integral_constantIbLb0EES10_IbLb1EEEEDaSW_SX_EUlSW_E_NS1_11comp_targetILNS1_3genE3ELNS1_11target_archE908ELNS1_3gpuE7ELNS1_3repE0EEENS1_30default_config_static_selectorELNS0_4arch9wavefront6targetE1EEEvT1_, .Lfunc_end1213-_ZN7rocprim17ROCPRIM_400000_NS6detail17trampoline_kernelINS0_14default_configENS1_27scan_by_key_config_selectorIiyEEZZNS1_16scan_by_key_implILNS1_25lookback_scan_determinismE0ELb0ES3_N6thrust23THRUST_200600_302600_NS6detail15normal_iteratorINS9_10device_ptrIiEEEENSB_INSC_IyEEEESG_yNS9_4plusIvEENS9_8equal_toIvEEyEE10hipError_tPvRmT2_T3_T4_T5_mT6_T7_P12ihipStream_tbENKUlT_T0_E_clISt17integral_constantIbLb0EES10_IbLb1EEEEDaSW_SX_EUlSW_E_NS1_11comp_targetILNS1_3genE3ELNS1_11target_archE908ELNS1_3gpuE7ELNS1_3repE0EEENS1_30default_config_static_selectorELNS0_4arch9wavefront6targetE1EEEvT1_
                                        ; -- End function
	.section	.AMDGPU.csdata,"",@progbits
; Kernel info:
; codeLenInByte = 0
; NumSgprs: 4
; NumVgprs: 0
; NumAgprs: 0
; TotalNumVgprs: 0
; ScratchSize: 0
; MemoryBound: 0
; FloatMode: 240
; IeeeMode: 1
; LDSByteSize: 0 bytes/workgroup (compile time only)
; SGPRBlocks: 0
; VGPRBlocks: 0
; NumSGPRsForWavesPerEU: 4
; NumVGPRsForWavesPerEU: 1
; AccumOffset: 4
; Occupancy: 8
; WaveLimiterHint : 0
; COMPUTE_PGM_RSRC2:SCRATCH_EN: 0
; COMPUTE_PGM_RSRC2:USER_SGPR: 6
; COMPUTE_PGM_RSRC2:TRAP_HANDLER: 0
; COMPUTE_PGM_RSRC2:TGID_X_EN: 1
; COMPUTE_PGM_RSRC2:TGID_Y_EN: 0
; COMPUTE_PGM_RSRC2:TGID_Z_EN: 0
; COMPUTE_PGM_RSRC2:TIDIG_COMP_CNT: 0
; COMPUTE_PGM_RSRC3_GFX90A:ACCUM_OFFSET: 0
; COMPUTE_PGM_RSRC3_GFX90A:TG_SPLIT: 0
	.section	.text._ZN7rocprim17ROCPRIM_400000_NS6detail17trampoline_kernelINS0_14default_configENS1_27scan_by_key_config_selectorIiyEEZZNS1_16scan_by_key_implILNS1_25lookback_scan_determinismE0ELb0ES3_N6thrust23THRUST_200600_302600_NS6detail15normal_iteratorINS9_10device_ptrIiEEEENSB_INSC_IyEEEESG_yNS9_4plusIvEENS9_8equal_toIvEEyEE10hipError_tPvRmT2_T3_T4_T5_mT6_T7_P12ihipStream_tbENKUlT_T0_E_clISt17integral_constantIbLb0EES10_IbLb1EEEEDaSW_SX_EUlSW_E_NS1_11comp_targetILNS1_3genE2ELNS1_11target_archE906ELNS1_3gpuE6ELNS1_3repE0EEENS1_30default_config_static_selectorELNS0_4arch9wavefront6targetE1EEEvT1_,"axG",@progbits,_ZN7rocprim17ROCPRIM_400000_NS6detail17trampoline_kernelINS0_14default_configENS1_27scan_by_key_config_selectorIiyEEZZNS1_16scan_by_key_implILNS1_25lookback_scan_determinismE0ELb0ES3_N6thrust23THRUST_200600_302600_NS6detail15normal_iteratorINS9_10device_ptrIiEEEENSB_INSC_IyEEEESG_yNS9_4plusIvEENS9_8equal_toIvEEyEE10hipError_tPvRmT2_T3_T4_T5_mT6_T7_P12ihipStream_tbENKUlT_T0_E_clISt17integral_constantIbLb0EES10_IbLb1EEEEDaSW_SX_EUlSW_E_NS1_11comp_targetILNS1_3genE2ELNS1_11target_archE906ELNS1_3gpuE6ELNS1_3repE0EEENS1_30default_config_static_selectorELNS0_4arch9wavefront6targetE1EEEvT1_,comdat
	.protected	_ZN7rocprim17ROCPRIM_400000_NS6detail17trampoline_kernelINS0_14default_configENS1_27scan_by_key_config_selectorIiyEEZZNS1_16scan_by_key_implILNS1_25lookback_scan_determinismE0ELb0ES3_N6thrust23THRUST_200600_302600_NS6detail15normal_iteratorINS9_10device_ptrIiEEEENSB_INSC_IyEEEESG_yNS9_4plusIvEENS9_8equal_toIvEEyEE10hipError_tPvRmT2_T3_T4_T5_mT6_T7_P12ihipStream_tbENKUlT_T0_E_clISt17integral_constantIbLb0EES10_IbLb1EEEEDaSW_SX_EUlSW_E_NS1_11comp_targetILNS1_3genE2ELNS1_11target_archE906ELNS1_3gpuE6ELNS1_3repE0EEENS1_30default_config_static_selectorELNS0_4arch9wavefront6targetE1EEEvT1_ ; -- Begin function _ZN7rocprim17ROCPRIM_400000_NS6detail17trampoline_kernelINS0_14default_configENS1_27scan_by_key_config_selectorIiyEEZZNS1_16scan_by_key_implILNS1_25lookback_scan_determinismE0ELb0ES3_N6thrust23THRUST_200600_302600_NS6detail15normal_iteratorINS9_10device_ptrIiEEEENSB_INSC_IyEEEESG_yNS9_4plusIvEENS9_8equal_toIvEEyEE10hipError_tPvRmT2_T3_T4_T5_mT6_T7_P12ihipStream_tbENKUlT_T0_E_clISt17integral_constantIbLb0EES10_IbLb1EEEEDaSW_SX_EUlSW_E_NS1_11comp_targetILNS1_3genE2ELNS1_11target_archE906ELNS1_3gpuE6ELNS1_3repE0EEENS1_30default_config_static_selectorELNS0_4arch9wavefront6targetE1EEEvT1_
	.globl	_ZN7rocprim17ROCPRIM_400000_NS6detail17trampoline_kernelINS0_14default_configENS1_27scan_by_key_config_selectorIiyEEZZNS1_16scan_by_key_implILNS1_25lookback_scan_determinismE0ELb0ES3_N6thrust23THRUST_200600_302600_NS6detail15normal_iteratorINS9_10device_ptrIiEEEENSB_INSC_IyEEEESG_yNS9_4plusIvEENS9_8equal_toIvEEyEE10hipError_tPvRmT2_T3_T4_T5_mT6_T7_P12ihipStream_tbENKUlT_T0_E_clISt17integral_constantIbLb0EES10_IbLb1EEEEDaSW_SX_EUlSW_E_NS1_11comp_targetILNS1_3genE2ELNS1_11target_archE906ELNS1_3gpuE6ELNS1_3repE0EEENS1_30default_config_static_selectorELNS0_4arch9wavefront6targetE1EEEvT1_
	.p2align	8
	.type	_ZN7rocprim17ROCPRIM_400000_NS6detail17trampoline_kernelINS0_14default_configENS1_27scan_by_key_config_selectorIiyEEZZNS1_16scan_by_key_implILNS1_25lookback_scan_determinismE0ELb0ES3_N6thrust23THRUST_200600_302600_NS6detail15normal_iteratorINS9_10device_ptrIiEEEENSB_INSC_IyEEEESG_yNS9_4plusIvEENS9_8equal_toIvEEyEE10hipError_tPvRmT2_T3_T4_T5_mT6_T7_P12ihipStream_tbENKUlT_T0_E_clISt17integral_constantIbLb0EES10_IbLb1EEEEDaSW_SX_EUlSW_E_NS1_11comp_targetILNS1_3genE2ELNS1_11target_archE906ELNS1_3gpuE6ELNS1_3repE0EEENS1_30default_config_static_selectorELNS0_4arch9wavefront6targetE1EEEvT1_,@function
_ZN7rocprim17ROCPRIM_400000_NS6detail17trampoline_kernelINS0_14default_configENS1_27scan_by_key_config_selectorIiyEEZZNS1_16scan_by_key_implILNS1_25lookback_scan_determinismE0ELb0ES3_N6thrust23THRUST_200600_302600_NS6detail15normal_iteratorINS9_10device_ptrIiEEEENSB_INSC_IyEEEESG_yNS9_4plusIvEENS9_8equal_toIvEEyEE10hipError_tPvRmT2_T3_T4_T5_mT6_T7_P12ihipStream_tbENKUlT_T0_E_clISt17integral_constantIbLb0EES10_IbLb1EEEEDaSW_SX_EUlSW_E_NS1_11comp_targetILNS1_3genE2ELNS1_11target_archE906ELNS1_3gpuE6ELNS1_3repE0EEENS1_30default_config_static_selectorELNS0_4arch9wavefront6targetE1EEEvT1_: ; @_ZN7rocprim17ROCPRIM_400000_NS6detail17trampoline_kernelINS0_14default_configENS1_27scan_by_key_config_selectorIiyEEZZNS1_16scan_by_key_implILNS1_25lookback_scan_determinismE0ELb0ES3_N6thrust23THRUST_200600_302600_NS6detail15normal_iteratorINS9_10device_ptrIiEEEENSB_INSC_IyEEEESG_yNS9_4plusIvEENS9_8equal_toIvEEyEE10hipError_tPvRmT2_T3_T4_T5_mT6_T7_P12ihipStream_tbENKUlT_T0_E_clISt17integral_constantIbLb0EES10_IbLb1EEEEDaSW_SX_EUlSW_E_NS1_11comp_targetILNS1_3genE2ELNS1_11target_archE906ELNS1_3gpuE6ELNS1_3repE0EEENS1_30default_config_static_selectorELNS0_4arch9wavefront6targetE1EEEvT1_
; %bb.0:
	.section	.rodata,"a",@progbits
	.p2align	6, 0x0
	.amdhsa_kernel _ZN7rocprim17ROCPRIM_400000_NS6detail17trampoline_kernelINS0_14default_configENS1_27scan_by_key_config_selectorIiyEEZZNS1_16scan_by_key_implILNS1_25lookback_scan_determinismE0ELb0ES3_N6thrust23THRUST_200600_302600_NS6detail15normal_iteratorINS9_10device_ptrIiEEEENSB_INSC_IyEEEESG_yNS9_4plusIvEENS9_8equal_toIvEEyEE10hipError_tPvRmT2_T3_T4_T5_mT6_T7_P12ihipStream_tbENKUlT_T0_E_clISt17integral_constantIbLb0EES10_IbLb1EEEEDaSW_SX_EUlSW_E_NS1_11comp_targetILNS1_3genE2ELNS1_11target_archE906ELNS1_3gpuE6ELNS1_3repE0EEENS1_30default_config_static_selectorELNS0_4arch9wavefront6targetE1EEEvT1_
		.amdhsa_group_segment_fixed_size 0
		.amdhsa_private_segment_fixed_size 0
		.amdhsa_kernarg_size 136
		.amdhsa_user_sgpr_count 6
		.amdhsa_user_sgpr_private_segment_buffer 1
		.amdhsa_user_sgpr_dispatch_ptr 0
		.amdhsa_user_sgpr_queue_ptr 0
		.amdhsa_user_sgpr_kernarg_segment_ptr 1
		.amdhsa_user_sgpr_dispatch_id 0
		.amdhsa_user_sgpr_flat_scratch_init 0
		.amdhsa_user_sgpr_kernarg_preload_length 0
		.amdhsa_user_sgpr_kernarg_preload_offset 0
		.amdhsa_user_sgpr_private_segment_size 0
		.amdhsa_uses_dynamic_stack 0
		.amdhsa_system_sgpr_private_segment_wavefront_offset 0
		.amdhsa_system_sgpr_workgroup_id_x 1
		.amdhsa_system_sgpr_workgroup_id_y 0
		.amdhsa_system_sgpr_workgroup_id_z 0
		.amdhsa_system_sgpr_workgroup_info 0
		.amdhsa_system_vgpr_workitem_id 0
		.amdhsa_next_free_vgpr 1
		.amdhsa_next_free_sgpr 0
		.amdhsa_accum_offset 4
		.amdhsa_reserve_vcc 0
		.amdhsa_reserve_flat_scratch 0
		.amdhsa_float_round_mode_32 0
		.amdhsa_float_round_mode_16_64 0
		.amdhsa_float_denorm_mode_32 3
		.amdhsa_float_denorm_mode_16_64 3
		.amdhsa_dx10_clamp 1
		.amdhsa_ieee_mode 1
		.amdhsa_fp16_overflow 0
		.amdhsa_tg_split 0
		.amdhsa_exception_fp_ieee_invalid_op 0
		.amdhsa_exception_fp_denorm_src 0
		.amdhsa_exception_fp_ieee_div_zero 0
		.amdhsa_exception_fp_ieee_overflow 0
		.amdhsa_exception_fp_ieee_underflow 0
		.amdhsa_exception_fp_ieee_inexact 0
		.amdhsa_exception_int_div_zero 0
	.end_amdhsa_kernel
	.section	.text._ZN7rocprim17ROCPRIM_400000_NS6detail17trampoline_kernelINS0_14default_configENS1_27scan_by_key_config_selectorIiyEEZZNS1_16scan_by_key_implILNS1_25lookback_scan_determinismE0ELb0ES3_N6thrust23THRUST_200600_302600_NS6detail15normal_iteratorINS9_10device_ptrIiEEEENSB_INSC_IyEEEESG_yNS9_4plusIvEENS9_8equal_toIvEEyEE10hipError_tPvRmT2_T3_T4_T5_mT6_T7_P12ihipStream_tbENKUlT_T0_E_clISt17integral_constantIbLb0EES10_IbLb1EEEEDaSW_SX_EUlSW_E_NS1_11comp_targetILNS1_3genE2ELNS1_11target_archE906ELNS1_3gpuE6ELNS1_3repE0EEENS1_30default_config_static_selectorELNS0_4arch9wavefront6targetE1EEEvT1_,"axG",@progbits,_ZN7rocprim17ROCPRIM_400000_NS6detail17trampoline_kernelINS0_14default_configENS1_27scan_by_key_config_selectorIiyEEZZNS1_16scan_by_key_implILNS1_25lookback_scan_determinismE0ELb0ES3_N6thrust23THRUST_200600_302600_NS6detail15normal_iteratorINS9_10device_ptrIiEEEENSB_INSC_IyEEEESG_yNS9_4plusIvEENS9_8equal_toIvEEyEE10hipError_tPvRmT2_T3_T4_T5_mT6_T7_P12ihipStream_tbENKUlT_T0_E_clISt17integral_constantIbLb0EES10_IbLb1EEEEDaSW_SX_EUlSW_E_NS1_11comp_targetILNS1_3genE2ELNS1_11target_archE906ELNS1_3gpuE6ELNS1_3repE0EEENS1_30default_config_static_selectorELNS0_4arch9wavefront6targetE1EEEvT1_,comdat
.Lfunc_end1214:
	.size	_ZN7rocprim17ROCPRIM_400000_NS6detail17trampoline_kernelINS0_14default_configENS1_27scan_by_key_config_selectorIiyEEZZNS1_16scan_by_key_implILNS1_25lookback_scan_determinismE0ELb0ES3_N6thrust23THRUST_200600_302600_NS6detail15normal_iteratorINS9_10device_ptrIiEEEENSB_INSC_IyEEEESG_yNS9_4plusIvEENS9_8equal_toIvEEyEE10hipError_tPvRmT2_T3_T4_T5_mT6_T7_P12ihipStream_tbENKUlT_T0_E_clISt17integral_constantIbLb0EES10_IbLb1EEEEDaSW_SX_EUlSW_E_NS1_11comp_targetILNS1_3genE2ELNS1_11target_archE906ELNS1_3gpuE6ELNS1_3repE0EEENS1_30default_config_static_selectorELNS0_4arch9wavefront6targetE1EEEvT1_, .Lfunc_end1214-_ZN7rocprim17ROCPRIM_400000_NS6detail17trampoline_kernelINS0_14default_configENS1_27scan_by_key_config_selectorIiyEEZZNS1_16scan_by_key_implILNS1_25lookback_scan_determinismE0ELb0ES3_N6thrust23THRUST_200600_302600_NS6detail15normal_iteratorINS9_10device_ptrIiEEEENSB_INSC_IyEEEESG_yNS9_4plusIvEENS9_8equal_toIvEEyEE10hipError_tPvRmT2_T3_T4_T5_mT6_T7_P12ihipStream_tbENKUlT_T0_E_clISt17integral_constantIbLb0EES10_IbLb1EEEEDaSW_SX_EUlSW_E_NS1_11comp_targetILNS1_3genE2ELNS1_11target_archE906ELNS1_3gpuE6ELNS1_3repE0EEENS1_30default_config_static_selectorELNS0_4arch9wavefront6targetE1EEEvT1_
                                        ; -- End function
	.section	.AMDGPU.csdata,"",@progbits
; Kernel info:
; codeLenInByte = 0
; NumSgprs: 4
; NumVgprs: 0
; NumAgprs: 0
; TotalNumVgprs: 0
; ScratchSize: 0
; MemoryBound: 0
; FloatMode: 240
; IeeeMode: 1
; LDSByteSize: 0 bytes/workgroup (compile time only)
; SGPRBlocks: 0
; VGPRBlocks: 0
; NumSGPRsForWavesPerEU: 4
; NumVGPRsForWavesPerEU: 1
; AccumOffset: 4
; Occupancy: 8
; WaveLimiterHint : 0
; COMPUTE_PGM_RSRC2:SCRATCH_EN: 0
; COMPUTE_PGM_RSRC2:USER_SGPR: 6
; COMPUTE_PGM_RSRC2:TRAP_HANDLER: 0
; COMPUTE_PGM_RSRC2:TGID_X_EN: 1
; COMPUTE_PGM_RSRC2:TGID_Y_EN: 0
; COMPUTE_PGM_RSRC2:TGID_Z_EN: 0
; COMPUTE_PGM_RSRC2:TIDIG_COMP_CNT: 0
; COMPUTE_PGM_RSRC3_GFX90A:ACCUM_OFFSET: 0
; COMPUTE_PGM_RSRC3_GFX90A:TG_SPLIT: 0
	.section	.text._ZN7rocprim17ROCPRIM_400000_NS6detail17trampoline_kernelINS0_14default_configENS1_27scan_by_key_config_selectorIiyEEZZNS1_16scan_by_key_implILNS1_25lookback_scan_determinismE0ELb0ES3_N6thrust23THRUST_200600_302600_NS6detail15normal_iteratorINS9_10device_ptrIiEEEENSB_INSC_IyEEEESG_yNS9_4plusIvEENS9_8equal_toIvEEyEE10hipError_tPvRmT2_T3_T4_T5_mT6_T7_P12ihipStream_tbENKUlT_T0_E_clISt17integral_constantIbLb0EES10_IbLb1EEEEDaSW_SX_EUlSW_E_NS1_11comp_targetILNS1_3genE10ELNS1_11target_archE1200ELNS1_3gpuE4ELNS1_3repE0EEENS1_30default_config_static_selectorELNS0_4arch9wavefront6targetE1EEEvT1_,"axG",@progbits,_ZN7rocprim17ROCPRIM_400000_NS6detail17trampoline_kernelINS0_14default_configENS1_27scan_by_key_config_selectorIiyEEZZNS1_16scan_by_key_implILNS1_25lookback_scan_determinismE0ELb0ES3_N6thrust23THRUST_200600_302600_NS6detail15normal_iteratorINS9_10device_ptrIiEEEENSB_INSC_IyEEEESG_yNS9_4plusIvEENS9_8equal_toIvEEyEE10hipError_tPvRmT2_T3_T4_T5_mT6_T7_P12ihipStream_tbENKUlT_T0_E_clISt17integral_constantIbLb0EES10_IbLb1EEEEDaSW_SX_EUlSW_E_NS1_11comp_targetILNS1_3genE10ELNS1_11target_archE1200ELNS1_3gpuE4ELNS1_3repE0EEENS1_30default_config_static_selectorELNS0_4arch9wavefront6targetE1EEEvT1_,comdat
	.protected	_ZN7rocprim17ROCPRIM_400000_NS6detail17trampoline_kernelINS0_14default_configENS1_27scan_by_key_config_selectorIiyEEZZNS1_16scan_by_key_implILNS1_25lookback_scan_determinismE0ELb0ES3_N6thrust23THRUST_200600_302600_NS6detail15normal_iteratorINS9_10device_ptrIiEEEENSB_INSC_IyEEEESG_yNS9_4plusIvEENS9_8equal_toIvEEyEE10hipError_tPvRmT2_T3_T4_T5_mT6_T7_P12ihipStream_tbENKUlT_T0_E_clISt17integral_constantIbLb0EES10_IbLb1EEEEDaSW_SX_EUlSW_E_NS1_11comp_targetILNS1_3genE10ELNS1_11target_archE1200ELNS1_3gpuE4ELNS1_3repE0EEENS1_30default_config_static_selectorELNS0_4arch9wavefront6targetE1EEEvT1_ ; -- Begin function _ZN7rocprim17ROCPRIM_400000_NS6detail17trampoline_kernelINS0_14default_configENS1_27scan_by_key_config_selectorIiyEEZZNS1_16scan_by_key_implILNS1_25lookback_scan_determinismE0ELb0ES3_N6thrust23THRUST_200600_302600_NS6detail15normal_iteratorINS9_10device_ptrIiEEEENSB_INSC_IyEEEESG_yNS9_4plusIvEENS9_8equal_toIvEEyEE10hipError_tPvRmT2_T3_T4_T5_mT6_T7_P12ihipStream_tbENKUlT_T0_E_clISt17integral_constantIbLb0EES10_IbLb1EEEEDaSW_SX_EUlSW_E_NS1_11comp_targetILNS1_3genE10ELNS1_11target_archE1200ELNS1_3gpuE4ELNS1_3repE0EEENS1_30default_config_static_selectorELNS0_4arch9wavefront6targetE1EEEvT1_
	.globl	_ZN7rocprim17ROCPRIM_400000_NS6detail17trampoline_kernelINS0_14default_configENS1_27scan_by_key_config_selectorIiyEEZZNS1_16scan_by_key_implILNS1_25lookback_scan_determinismE0ELb0ES3_N6thrust23THRUST_200600_302600_NS6detail15normal_iteratorINS9_10device_ptrIiEEEENSB_INSC_IyEEEESG_yNS9_4plusIvEENS9_8equal_toIvEEyEE10hipError_tPvRmT2_T3_T4_T5_mT6_T7_P12ihipStream_tbENKUlT_T0_E_clISt17integral_constantIbLb0EES10_IbLb1EEEEDaSW_SX_EUlSW_E_NS1_11comp_targetILNS1_3genE10ELNS1_11target_archE1200ELNS1_3gpuE4ELNS1_3repE0EEENS1_30default_config_static_selectorELNS0_4arch9wavefront6targetE1EEEvT1_
	.p2align	8
	.type	_ZN7rocprim17ROCPRIM_400000_NS6detail17trampoline_kernelINS0_14default_configENS1_27scan_by_key_config_selectorIiyEEZZNS1_16scan_by_key_implILNS1_25lookback_scan_determinismE0ELb0ES3_N6thrust23THRUST_200600_302600_NS6detail15normal_iteratorINS9_10device_ptrIiEEEENSB_INSC_IyEEEESG_yNS9_4plusIvEENS9_8equal_toIvEEyEE10hipError_tPvRmT2_T3_T4_T5_mT6_T7_P12ihipStream_tbENKUlT_T0_E_clISt17integral_constantIbLb0EES10_IbLb1EEEEDaSW_SX_EUlSW_E_NS1_11comp_targetILNS1_3genE10ELNS1_11target_archE1200ELNS1_3gpuE4ELNS1_3repE0EEENS1_30default_config_static_selectorELNS0_4arch9wavefront6targetE1EEEvT1_,@function
_ZN7rocprim17ROCPRIM_400000_NS6detail17trampoline_kernelINS0_14default_configENS1_27scan_by_key_config_selectorIiyEEZZNS1_16scan_by_key_implILNS1_25lookback_scan_determinismE0ELb0ES3_N6thrust23THRUST_200600_302600_NS6detail15normal_iteratorINS9_10device_ptrIiEEEENSB_INSC_IyEEEESG_yNS9_4plusIvEENS9_8equal_toIvEEyEE10hipError_tPvRmT2_T3_T4_T5_mT6_T7_P12ihipStream_tbENKUlT_T0_E_clISt17integral_constantIbLb0EES10_IbLb1EEEEDaSW_SX_EUlSW_E_NS1_11comp_targetILNS1_3genE10ELNS1_11target_archE1200ELNS1_3gpuE4ELNS1_3repE0EEENS1_30default_config_static_selectorELNS0_4arch9wavefront6targetE1EEEvT1_: ; @_ZN7rocprim17ROCPRIM_400000_NS6detail17trampoline_kernelINS0_14default_configENS1_27scan_by_key_config_selectorIiyEEZZNS1_16scan_by_key_implILNS1_25lookback_scan_determinismE0ELb0ES3_N6thrust23THRUST_200600_302600_NS6detail15normal_iteratorINS9_10device_ptrIiEEEENSB_INSC_IyEEEESG_yNS9_4plusIvEENS9_8equal_toIvEEyEE10hipError_tPvRmT2_T3_T4_T5_mT6_T7_P12ihipStream_tbENKUlT_T0_E_clISt17integral_constantIbLb0EES10_IbLb1EEEEDaSW_SX_EUlSW_E_NS1_11comp_targetILNS1_3genE10ELNS1_11target_archE1200ELNS1_3gpuE4ELNS1_3repE0EEENS1_30default_config_static_selectorELNS0_4arch9wavefront6targetE1EEEvT1_
; %bb.0:
	.section	.rodata,"a",@progbits
	.p2align	6, 0x0
	.amdhsa_kernel _ZN7rocprim17ROCPRIM_400000_NS6detail17trampoline_kernelINS0_14default_configENS1_27scan_by_key_config_selectorIiyEEZZNS1_16scan_by_key_implILNS1_25lookback_scan_determinismE0ELb0ES3_N6thrust23THRUST_200600_302600_NS6detail15normal_iteratorINS9_10device_ptrIiEEEENSB_INSC_IyEEEESG_yNS9_4plusIvEENS9_8equal_toIvEEyEE10hipError_tPvRmT2_T3_T4_T5_mT6_T7_P12ihipStream_tbENKUlT_T0_E_clISt17integral_constantIbLb0EES10_IbLb1EEEEDaSW_SX_EUlSW_E_NS1_11comp_targetILNS1_3genE10ELNS1_11target_archE1200ELNS1_3gpuE4ELNS1_3repE0EEENS1_30default_config_static_selectorELNS0_4arch9wavefront6targetE1EEEvT1_
		.amdhsa_group_segment_fixed_size 0
		.amdhsa_private_segment_fixed_size 0
		.amdhsa_kernarg_size 136
		.amdhsa_user_sgpr_count 6
		.amdhsa_user_sgpr_private_segment_buffer 1
		.amdhsa_user_sgpr_dispatch_ptr 0
		.amdhsa_user_sgpr_queue_ptr 0
		.amdhsa_user_sgpr_kernarg_segment_ptr 1
		.amdhsa_user_sgpr_dispatch_id 0
		.amdhsa_user_sgpr_flat_scratch_init 0
		.amdhsa_user_sgpr_kernarg_preload_length 0
		.amdhsa_user_sgpr_kernarg_preload_offset 0
		.amdhsa_user_sgpr_private_segment_size 0
		.amdhsa_uses_dynamic_stack 0
		.amdhsa_system_sgpr_private_segment_wavefront_offset 0
		.amdhsa_system_sgpr_workgroup_id_x 1
		.amdhsa_system_sgpr_workgroup_id_y 0
		.amdhsa_system_sgpr_workgroup_id_z 0
		.amdhsa_system_sgpr_workgroup_info 0
		.amdhsa_system_vgpr_workitem_id 0
		.amdhsa_next_free_vgpr 1
		.amdhsa_next_free_sgpr 0
		.amdhsa_accum_offset 4
		.amdhsa_reserve_vcc 0
		.amdhsa_reserve_flat_scratch 0
		.amdhsa_float_round_mode_32 0
		.amdhsa_float_round_mode_16_64 0
		.amdhsa_float_denorm_mode_32 3
		.amdhsa_float_denorm_mode_16_64 3
		.amdhsa_dx10_clamp 1
		.amdhsa_ieee_mode 1
		.amdhsa_fp16_overflow 0
		.amdhsa_tg_split 0
		.amdhsa_exception_fp_ieee_invalid_op 0
		.amdhsa_exception_fp_denorm_src 0
		.amdhsa_exception_fp_ieee_div_zero 0
		.amdhsa_exception_fp_ieee_overflow 0
		.amdhsa_exception_fp_ieee_underflow 0
		.amdhsa_exception_fp_ieee_inexact 0
		.amdhsa_exception_int_div_zero 0
	.end_amdhsa_kernel
	.section	.text._ZN7rocprim17ROCPRIM_400000_NS6detail17trampoline_kernelINS0_14default_configENS1_27scan_by_key_config_selectorIiyEEZZNS1_16scan_by_key_implILNS1_25lookback_scan_determinismE0ELb0ES3_N6thrust23THRUST_200600_302600_NS6detail15normal_iteratorINS9_10device_ptrIiEEEENSB_INSC_IyEEEESG_yNS9_4plusIvEENS9_8equal_toIvEEyEE10hipError_tPvRmT2_T3_T4_T5_mT6_T7_P12ihipStream_tbENKUlT_T0_E_clISt17integral_constantIbLb0EES10_IbLb1EEEEDaSW_SX_EUlSW_E_NS1_11comp_targetILNS1_3genE10ELNS1_11target_archE1200ELNS1_3gpuE4ELNS1_3repE0EEENS1_30default_config_static_selectorELNS0_4arch9wavefront6targetE1EEEvT1_,"axG",@progbits,_ZN7rocprim17ROCPRIM_400000_NS6detail17trampoline_kernelINS0_14default_configENS1_27scan_by_key_config_selectorIiyEEZZNS1_16scan_by_key_implILNS1_25lookback_scan_determinismE0ELb0ES3_N6thrust23THRUST_200600_302600_NS6detail15normal_iteratorINS9_10device_ptrIiEEEENSB_INSC_IyEEEESG_yNS9_4plusIvEENS9_8equal_toIvEEyEE10hipError_tPvRmT2_T3_T4_T5_mT6_T7_P12ihipStream_tbENKUlT_T0_E_clISt17integral_constantIbLb0EES10_IbLb1EEEEDaSW_SX_EUlSW_E_NS1_11comp_targetILNS1_3genE10ELNS1_11target_archE1200ELNS1_3gpuE4ELNS1_3repE0EEENS1_30default_config_static_selectorELNS0_4arch9wavefront6targetE1EEEvT1_,comdat
.Lfunc_end1215:
	.size	_ZN7rocprim17ROCPRIM_400000_NS6detail17trampoline_kernelINS0_14default_configENS1_27scan_by_key_config_selectorIiyEEZZNS1_16scan_by_key_implILNS1_25lookback_scan_determinismE0ELb0ES3_N6thrust23THRUST_200600_302600_NS6detail15normal_iteratorINS9_10device_ptrIiEEEENSB_INSC_IyEEEESG_yNS9_4plusIvEENS9_8equal_toIvEEyEE10hipError_tPvRmT2_T3_T4_T5_mT6_T7_P12ihipStream_tbENKUlT_T0_E_clISt17integral_constantIbLb0EES10_IbLb1EEEEDaSW_SX_EUlSW_E_NS1_11comp_targetILNS1_3genE10ELNS1_11target_archE1200ELNS1_3gpuE4ELNS1_3repE0EEENS1_30default_config_static_selectorELNS0_4arch9wavefront6targetE1EEEvT1_, .Lfunc_end1215-_ZN7rocprim17ROCPRIM_400000_NS6detail17trampoline_kernelINS0_14default_configENS1_27scan_by_key_config_selectorIiyEEZZNS1_16scan_by_key_implILNS1_25lookback_scan_determinismE0ELb0ES3_N6thrust23THRUST_200600_302600_NS6detail15normal_iteratorINS9_10device_ptrIiEEEENSB_INSC_IyEEEESG_yNS9_4plusIvEENS9_8equal_toIvEEyEE10hipError_tPvRmT2_T3_T4_T5_mT6_T7_P12ihipStream_tbENKUlT_T0_E_clISt17integral_constantIbLb0EES10_IbLb1EEEEDaSW_SX_EUlSW_E_NS1_11comp_targetILNS1_3genE10ELNS1_11target_archE1200ELNS1_3gpuE4ELNS1_3repE0EEENS1_30default_config_static_selectorELNS0_4arch9wavefront6targetE1EEEvT1_
                                        ; -- End function
	.section	.AMDGPU.csdata,"",@progbits
; Kernel info:
; codeLenInByte = 0
; NumSgprs: 4
; NumVgprs: 0
; NumAgprs: 0
; TotalNumVgprs: 0
; ScratchSize: 0
; MemoryBound: 0
; FloatMode: 240
; IeeeMode: 1
; LDSByteSize: 0 bytes/workgroup (compile time only)
; SGPRBlocks: 0
; VGPRBlocks: 0
; NumSGPRsForWavesPerEU: 4
; NumVGPRsForWavesPerEU: 1
; AccumOffset: 4
; Occupancy: 8
; WaveLimiterHint : 0
; COMPUTE_PGM_RSRC2:SCRATCH_EN: 0
; COMPUTE_PGM_RSRC2:USER_SGPR: 6
; COMPUTE_PGM_RSRC2:TRAP_HANDLER: 0
; COMPUTE_PGM_RSRC2:TGID_X_EN: 1
; COMPUTE_PGM_RSRC2:TGID_Y_EN: 0
; COMPUTE_PGM_RSRC2:TGID_Z_EN: 0
; COMPUTE_PGM_RSRC2:TIDIG_COMP_CNT: 0
; COMPUTE_PGM_RSRC3_GFX90A:ACCUM_OFFSET: 0
; COMPUTE_PGM_RSRC3_GFX90A:TG_SPLIT: 0
	.section	.text._ZN7rocprim17ROCPRIM_400000_NS6detail17trampoline_kernelINS0_14default_configENS1_27scan_by_key_config_selectorIiyEEZZNS1_16scan_by_key_implILNS1_25lookback_scan_determinismE0ELb0ES3_N6thrust23THRUST_200600_302600_NS6detail15normal_iteratorINS9_10device_ptrIiEEEENSB_INSC_IyEEEESG_yNS9_4plusIvEENS9_8equal_toIvEEyEE10hipError_tPvRmT2_T3_T4_T5_mT6_T7_P12ihipStream_tbENKUlT_T0_E_clISt17integral_constantIbLb0EES10_IbLb1EEEEDaSW_SX_EUlSW_E_NS1_11comp_targetILNS1_3genE9ELNS1_11target_archE1100ELNS1_3gpuE3ELNS1_3repE0EEENS1_30default_config_static_selectorELNS0_4arch9wavefront6targetE1EEEvT1_,"axG",@progbits,_ZN7rocprim17ROCPRIM_400000_NS6detail17trampoline_kernelINS0_14default_configENS1_27scan_by_key_config_selectorIiyEEZZNS1_16scan_by_key_implILNS1_25lookback_scan_determinismE0ELb0ES3_N6thrust23THRUST_200600_302600_NS6detail15normal_iteratorINS9_10device_ptrIiEEEENSB_INSC_IyEEEESG_yNS9_4plusIvEENS9_8equal_toIvEEyEE10hipError_tPvRmT2_T3_T4_T5_mT6_T7_P12ihipStream_tbENKUlT_T0_E_clISt17integral_constantIbLb0EES10_IbLb1EEEEDaSW_SX_EUlSW_E_NS1_11comp_targetILNS1_3genE9ELNS1_11target_archE1100ELNS1_3gpuE3ELNS1_3repE0EEENS1_30default_config_static_selectorELNS0_4arch9wavefront6targetE1EEEvT1_,comdat
	.protected	_ZN7rocprim17ROCPRIM_400000_NS6detail17trampoline_kernelINS0_14default_configENS1_27scan_by_key_config_selectorIiyEEZZNS1_16scan_by_key_implILNS1_25lookback_scan_determinismE0ELb0ES3_N6thrust23THRUST_200600_302600_NS6detail15normal_iteratorINS9_10device_ptrIiEEEENSB_INSC_IyEEEESG_yNS9_4plusIvEENS9_8equal_toIvEEyEE10hipError_tPvRmT2_T3_T4_T5_mT6_T7_P12ihipStream_tbENKUlT_T0_E_clISt17integral_constantIbLb0EES10_IbLb1EEEEDaSW_SX_EUlSW_E_NS1_11comp_targetILNS1_3genE9ELNS1_11target_archE1100ELNS1_3gpuE3ELNS1_3repE0EEENS1_30default_config_static_selectorELNS0_4arch9wavefront6targetE1EEEvT1_ ; -- Begin function _ZN7rocprim17ROCPRIM_400000_NS6detail17trampoline_kernelINS0_14default_configENS1_27scan_by_key_config_selectorIiyEEZZNS1_16scan_by_key_implILNS1_25lookback_scan_determinismE0ELb0ES3_N6thrust23THRUST_200600_302600_NS6detail15normal_iteratorINS9_10device_ptrIiEEEENSB_INSC_IyEEEESG_yNS9_4plusIvEENS9_8equal_toIvEEyEE10hipError_tPvRmT2_T3_T4_T5_mT6_T7_P12ihipStream_tbENKUlT_T0_E_clISt17integral_constantIbLb0EES10_IbLb1EEEEDaSW_SX_EUlSW_E_NS1_11comp_targetILNS1_3genE9ELNS1_11target_archE1100ELNS1_3gpuE3ELNS1_3repE0EEENS1_30default_config_static_selectorELNS0_4arch9wavefront6targetE1EEEvT1_
	.globl	_ZN7rocprim17ROCPRIM_400000_NS6detail17trampoline_kernelINS0_14default_configENS1_27scan_by_key_config_selectorIiyEEZZNS1_16scan_by_key_implILNS1_25lookback_scan_determinismE0ELb0ES3_N6thrust23THRUST_200600_302600_NS6detail15normal_iteratorINS9_10device_ptrIiEEEENSB_INSC_IyEEEESG_yNS9_4plusIvEENS9_8equal_toIvEEyEE10hipError_tPvRmT2_T3_T4_T5_mT6_T7_P12ihipStream_tbENKUlT_T0_E_clISt17integral_constantIbLb0EES10_IbLb1EEEEDaSW_SX_EUlSW_E_NS1_11comp_targetILNS1_3genE9ELNS1_11target_archE1100ELNS1_3gpuE3ELNS1_3repE0EEENS1_30default_config_static_selectorELNS0_4arch9wavefront6targetE1EEEvT1_
	.p2align	8
	.type	_ZN7rocprim17ROCPRIM_400000_NS6detail17trampoline_kernelINS0_14default_configENS1_27scan_by_key_config_selectorIiyEEZZNS1_16scan_by_key_implILNS1_25lookback_scan_determinismE0ELb0ES3_N6thrust23THRUST_200600_302600_NS6detail15normal_iteratorINS9_10device_ptrIiEEEENSB_INSC_IyEEEESG_yNS9_4plusIvEENS9_8equal_toIvEEyEE10hipError_tPvRmT2_T3_T4_T5_mT6_T7_P12ihipStream_tbENKUlT_T0_E_clISt17integral_constantIbLb0EES10_IbLb1EEEEDaSW_SX_EUlSW_E_NS1_11comp_targetILNS1_3genE9ELNS1_11target_archE1100ELNS1_3gpuE3ELNS1_3repE0EEENS1_30default_config_static_selectorELNS0_4arch9wavefront6targetE1EEEvT1_,@function
_ZN7rocprim17ROCPRIM_400000_NS6detail17trampoline_kernelINS0_14default_configENS1_27scan_by_key_config_selectorIiyEEZZNS1_16scan_by_key_implILNS1_25lookback_scan_determinismE0ELb0ES3_N6thrust23THRUST_200600_302600_NS6detail15normal_iteratorINS9_10device_ptrIiEEEENSB_INSC_IyEEEESG_yNS9_4plusIvEENS9_8equal_toIvEEyEE10hipError_tPvRmT2_T3_T4_T5_mT6_T7_P12ihipStream_tbENKUlT_T0_E_clISt17integral_constantIbLb0EES10_IbLb1EEEEDaSW_SX_EUlSW_E_NS1_11comp_targetILNS1_3genE9ELNS1_11target_archE1100ELNS1_3gpuE3ELNS1_3repE0EEENS1_30default_config_static_selectorELNS0_4arch9wavefront6targetE1EEEvT1_: ; @_ZN7rocprim17ROCPRIM_400000_NS6detail17trampoline_kernelINS0_14default_configENS1_27scan_by_key_config_selectorIiyEEZZNS1_16scan_by_key_implILNS1_25lookback_scan_determinismE0ELb0ES3_N6thrust23THRUST_200600_302600_NS6detail15normal_iteratorINS9_10device_ptrIiEEEENSB_INSC_IyEEEESG_yNS9_4plusIvEENS9_8equal_toIvEEyEE10hipError_tPvRmT2_T3_T4_T5_mT6_T7_P12ihipStream_tbENKUlT_T0_E_clISt17integral_constantIbLb0EES10_IbLb1EEEEDaSW_SX_EUlSW_E_NS1_11comp_targetILNS1_3genE9ELNS1_11target_archE1100ELNS1_3gpuE3ELNS1_3repE0EEENS1_30default_config_static_selectorELNS0_4arch9wavefront6targetE1EEEvT1_
; %bb.0:
	.section	.rodata,"a",@progbits
	.p2align	6, 0x0
	.amdhsa_kernel _ZN7rocprim17ROCPRIM_400000_NS6detail17trampoline_kernelINS0_14default_configENS1_27scan_by_key_config_selectorIiyEEZZNS1_16scan_by_key_implILNS1_25lookback_scan_determinismE0ELb0ES3_N6thrust23THRUST_200600_302600_NS6detail15normal_iteratorINS9_10device_ptrIiEEEENSB_INSC_IyEEEESG_yNS9_4plusIvEENS9_8equal_toIvEEyEE10hipError_tPvRmT2_T3_T4_T5_mT6_T7_P12ihipStream_tbENKUlT_T0_E_clISt17integral_constantIbLb0EES10_IbLb1EEEEDaSW_SX_EUlSW_E_NS1_11comp_targetILNS1_3genE9ELNS1_11target_archE1100ELNS1_3gpuE3ELNS1_3repE0EEENS1_30default_config_static_selectorELNS0_4arch9wavefront6targetE1EEEvT1_
		.amdhsa_group_segment_fixed_size 0
		.amdhsa_private_segment_fixed_size 0
		.amdhsa_kernarg_size 136
		.amdhsa_user_sgpr_count 6
		.amdhsa_user_sgpr_private_segment_buffer 1
		.amdhsa_user_sgpr_dispatch_ptr 0
		.amdhsa_user_sgpr_queue_ptr 0
		.amdhsa_user_sgpr_kernarg_segment_ptr 1
		.amdhsa_user_sgpr_dispatch_id 0
		.amdhsa_user_sgpr_flat_scratch_init 0
		.amdhsa_user_sgpr_kernarg_preload_length 0
		.amdhsa_user_sgpr_kernarg_preload_offset 0
		.amdhsa_user_sgpr_private_segment_size 0
		.amdhsa_uses_dynamic_stack 0
		.amdhsa_system_sgpr_private_segment_wavefront_offset 0
		.amdhsa_system_sgpr_workgroup_id_x 1
		.amdhsa_system_sgpr_workgroup_id_y 0
		.amdhsa_system_sgpr_workgroup_id_z 0
		.amdhsa_system_sgpr_workgroup_info 0
		.amdhsa_system_vgpr_workitem_id 0
		.amdhsa_next_free_vgpr 1
		.amdhsa_next_free_sgpr 0
		.amdhsa_accum_offset 4
		.amdhsa_reserve_vcc 0
		.amdhsa_reserve_flat_scratch 0
		.amdhsa_float_round_mode_32 0
		.amdhsa_float_round_mode_16_64 0
		.amdhsa_float_denorm_mode_32 3
		.amdhsa_float_denorm_mode_16_64 3
		.amdhsa_dx10_clamp 1
		.amdhsa_ieee_mode 1
		.amdhsa_fp16_overflow 0
		.amdhsa_tg_split 0
		.amdhsa_exception_fp_ieee_invalid_op 0
		.amdhsa_exception_fp_denorm_src 0
		.amdhsa_exception_fp_ieee_div_zero 0
		.amdhsa_exception_fp_ieee_overflow 0
		.amdhsa_exception_fp_ieee_underflow 0
		.amdhsa_exception_fp_ieee_inexact 0
		.amdhsa_exception_int_div_zero 0
	.end_amdhsa_kernel
	.section	.text._ZN7rocprim17ROCPRIM_400000_NS6detail17trampoline_kernelINS0_14default_configENS1_27scan_by_key_config_selectorIiyEEZZNS1_16scan_by_key_implILNS1_25lookback_scan_determinismE0ELb0ES3_N6thrust23THRUST_200600_302600_NS6detail15normal_iteratorINS9_10device_ptrIiEEEENSB_INSC_IyEEEESG_yNS9_4plusIvEENS9_8equal_toIvEEyEE10hipError_tPvRmT2_T3_T4_T5_mT6_T7_P12ihipStream_tbENKUlT_T0_E_clISt17integral_constantIbLb0EES10_IbLb1EEEEDaSW_SX_EUlSW_E_NS1_11comp_targetILNS1_3genE9ELNS1_11target_archE1100ELNS1_3gpuE3ELNS1_3repE0EEENS1_30default_config_static_selectorELNS0_4arch9wavefront6targetE1EEEvT1_,"axG",@progbits,_ZN7rocprim17ROCPRIM_400000_NS6detail17trampoline_kernelINS0_14default_configENS1_27scan_by_key_config_selectorIiyEEZZNS1_16scan_by_key_implILNS1_25lookback_scan_determinismE0ELb0ES3_N6thrust23THRUST_200600_302600_NS6detail15normal_iteratorINS9_10device_ptrIiEEEENSB_INSC_IyEEEESG_yNS9_4plusIvEENS9_8equal_toIvEEyEE10hipError_tPvRmT2_T3_T4_T5_mT6_T7_P12ihipStream_tbENKUlT_T0_E_clISt17integral_constantIbLb0EES10_IbLb1EEEEDaSW_SX_EUlSW_E_NS1_11comp_targetILNS1_3genE9ELNS1_11target_archE1100ELNS1_3gpuE3ELNS1_3repE0EEENS1_30default_config_static_selectorELNS0_4arch9wavefront6targetE1EEEvT1_,comdat
.Lfunc_end1216:
	.size	_ZN7rocprim17ROCPRIM_400000_NS6detail17trampoline_kernelINS0_14default_configENS1_27scan_by_key_config_selectorIiyEEZZNS1_16scan_by_key_implILNS1_25lookback_scan_determinismE0ELb0ES3_N6thrust23THRUST_200600_302600_NS6detail15normal_iteratorINS9_10device_ptrIiEEEENSB_INSC_IyEEEESG_yNS9_4plusIvEENS9_8equal_toIvEEyEE10hipError_tPvRmT2_T3_T4_T5_mT6_T7_P12ihipStream_tbENKUlT_T0_E_clISt17integral_constantIbLb0EES10_IbLb1EEEEDaSW_SX_EUlSW_E_NS1_11comp_targetILNS1_3genE9ELNS1_11target_archE1100ELNS1_3gpuE3ELNS1_3repE0EEENS1_30default_config_static_selectorELNS0_4arch9wavefront6targetE1EEEvT1_, .Lfunc_end1216-_ZN7rocprim17ROCPRIM_400000_NS6detail17trampoline_kernelINS0_14default_configENS1_27scan_by_key_config_selectorIiyEEZZNS1_16scan_by_key_implILNS1_25lookback_scan_determinismE0ELb0ES3_N6thrust23THRUST_200600_302600_NS6detail15normal_iteratorINS9_10device_ptrIiEEEENSB_INSC_IyEEEESG_yNS9_4plusIvEENS9_8equal_toIvEEyEE10hipError_tPvRmT2_T3_T4_T5_mT6_T7_P12ihipStream_tbENKUlT_T0_E_clISt17integral_constantIbLb0EES10_IbLb1EEEEDaSW_SX_EUlSW_E_NS1_11comp_targetILNS1_3genE9ELNS1_11target_archE1100ELNS1_3gpuE3ELNS1_3repE0EEENS1_30default_config_static_selectorELNS0_4arch9wavefront6targetE1EEEvT1_
                                        ; -- End function
	.section	.AMDGPU.csdata,"",@progbits
; Kernel info:
; codeLenInByte = 0
; NumSgprs: 4
; NumVgprs: 0
; NumAgprs: 0
; TotalNumVgprs: 0
; ScratchSize: 0
; MemoryBound: 0
; FloatMode: 240
; IeeeMode: 1
; LDSByteSize: 0 bytes/workgroup (compile time only)
; SGPRBlocks: 0
; VGPRBlocks: 0
; NumSGPRsForWavesPerEU: 4
; NumVGPRsForWavesPerEU: 1
; AccumOffset: 4
; Occupancy: 8
; WaveLimiterHint : 0
; COMPUTE_PGM_RSRC2:SCRATCH_EN: 0
; COMPUTE_PGM_RSRC2:USER_SGPR: 6
; COMPUTE_PGM_RSRC2:TRAP_HANDLER: 0
; COMPUTE_PGM_RSRC2:TGID_X_EN: 1
; COMPUTE_PGM_RSRC2:TGID_Y_EN: 0
; COMPUTE_PGM_RSRC2:TGID_Z_EN: 0
; COMPUTE_PGM_RSRC2:TIDIG_COMP_CNT: 0
; COMPUTE_PGM_RSRC3_GFX90A:ACCUM_OFFSET: 0
; COMPUTE_PGM_RSRC3_GFX90A:TG_SPLIT: 0
	.section	.text._ZN7rocprim17ROCPRIM_400000_NS6detail17trampoline_kernelINS0_14default_configENS1_27scan_by_key_config_selectorIiyEEZZNS1_16scan_by_key_implILNS1_25lookback_scan_determinismE0ELb0ES3_N6thrust23THRUST_200600_302600_NS6detail15normal_iteratorINS9_10device_ptrIiEEEENSB_INSC_IyEEEESG_yNS9_4plusIvEENS9_8equal_toIvEEyEE10hipError_tPvRmT2_T3_T4_T5_mT6_T7_P12ihipStream_tbENKUlT_T0_E_clISt17integral_constantIbLb0EES10_IbLb1EEEEDaSW_SX_EUlSW_E_NS1_11comp_targetILNS1_3genE8ELNS1_11target_archE1030ELNS1_3gpuE2ELNS1_3repE0EEENS1_30default_config_static_selectorELNS0_4arch9wavefront6targetE1EEEvT1_,"axG",@progbits,_ZN7rocprim17ROCPRIM_400000_NS6detail17trampoline_kernelINS0_14default_configENS1_27scan_by_key_config_selectorIiyEEZZNS1_16scan_by_key_implILNS1_25lookback_scan_determinismE0ELb0ES3_N6thrust23THRUST_200600_302600_NS6detail15normal_iteratorINS9_10device_ptrIiEEEENSB_INSC_IyEEEESG_yNS9_4plusIvEENS9_8equal_toIvEEyEE10hipError_tPvRmT2_T3_T4_T5_mT6_T7_P12ihipStream_tbENKUlT_T0_E_clISt17integral_constantIbLb0EES10_IbLb1EEEEDaSW_SX_EUlSW_E_NS1_11comp_targetILNS1_3genE8ELNS1_11target_archE1030ELNS1_3gpuE2ELNS1_3repE0EEENS1_30default_config_static_selectorELNS0_4arch9wavefront6targetE1EEEvT1_,comdat
	.protected	_ZN7rocprim17ROCPRIM_400000_NS6detail17trampoline_kernelINS0_14default_configENS1_27scan_by_key_config_selectorIiyEEZZNS1_16scan_by_key_implILNS1_25lookback_scan_determinismE0ELb0ES3_N6thrust23THRUST_200600_302600_NS6detail15normal_iteratorINS9_10device_ptrIiEEEENSB_INSC_IyEEEESG_yNS9_4plusIvEENS9_8equal_toIvEEyEE10hipError_tPvRmT2_T3_T4_T5_mT6_T7_P12ihipStream_tbENKUlT_T0_E_clISt17integral_constantIbLb0EES10_IbLb1EEEEDaSW_SX_EUlSW_E_NS1_11comp_targetILNS1_3genE8ELNS1_11target_archE1030ELNS1_3gpuE2ELNS1_3repE0EEENS1_30default_config_static_selectorELNS0_4arch9wavefront6targetE1EEEvT1_ ; -- Begin function _ZN7rocprim17ROCPRIM_400000_NS6detail17trampoline_kernelINS0_14default_configENS1_27scan_by_key_config_selectorIiyEEZZNS1_16scan_by_key_implILNS1_25lookback_scan_determinismE0ELb0ES3_N6thrust23THRUST_200600_302600_NS6detail15normal_iteratorINS9_10device_ptrIiEEEENSB_INSC_IyEEEESG_yNS9_4plusIvEENS9_8equal_toIvEEyEE10hipError_tPvRmT2_T3_T4_T5_mT6_T7_P12ihipStream_tbENKUlT_T0_E_clISt17integral_constantIbLb0EES10_IbLb1EEEEDaSW_SX_EUlSW_E_NS1_11comp_targetILNS1_3genE8ELNS1_11target_archE1030ELNS1_3gpuE2ELNS1_3repE0EEENS1_30default_config_static_selectorELNS0_4arch9wavefront6targetE1EEEvT1_
	.globl	_ZN7rocprim17ROCPRIM_400000_NS6detail17trampoline_kernelINS0_14default_configENS1_27scan_by_key_config_selectorIiyEEZZNS1_16scan_by_key_implILNS1_25lookback_scan_determinismE0ELb0ES3_N6thrust23THRUST_200600_302600_NS6detail15normal_iteratorINS9_10device_ptrIiEEEENSB_INSC_IyEEEESG_yNS9_4plusIvEENS9_8equal_toIvEEyEE10hipError_tPvRmT2_T3_T4_T5_mT6_T7_P12ihipStream_tbENKUlT_T0_E_clISt17integral_constantIbLb0EES10_IbLb1EEEEDaSW_SX_EUlSW_E_NS1_11comp_targetILNS1_3genE8ELNS1_11target_archE1030ELNS1_3gpuE2ELNS1_3repE0EEENS1_30default_config_static_selectorELNS0_4arch9wavefront6targetE1EEEvT1_
	.p2align	8
	.type	_ZN7rocprim17ROCPRIM_400000_NS6detail17trampoline_kernelINS0_14default_configENS1_27scan_by_key_config_selectorIiyEEZZNS1_16scan_by_key_implILNS1_25lookback_scan_determinismE0ELb0ES3_N6thrust23THRUST_200600_302600_NS6detail15normal_iteratorINS9_10device_ptrIiEEEENSB_INSC_IyEEEESG_yNS9_4plusIvEENS9_8equal_toIvEEyEE10hipError_tPvRmT2_T3_T4_T5_mT6_T7_P12ihipStream_tbENKUlT_T0_E_clISt17integral_constantIbLb0EES10_IbLb1EEEEDaSW_SX_EUlSW_E_NS1_11comp_targetILNS1_3genE8ELNS1_11target_archE1030ELNS1_3gpuE2ELNS1_3repE0EEENS1_30default_config_static_selectorELNS0_4arch9wavefront6targetE1EEEvT1_,@function
_ZN7rocprim17ROCPRIM_400000_NS6detail17trampoline_kernelINS0_14default_configENS1_27scan_by_key_config_selectorIiyEEZZNS1_16scan_by_key_implILNS1_25lookback_scan_determinismE0ELb0ES3_N6thrust23THRUST_200600_302600_NS6detail15normal_iteratorINS9_10device_ptrIiEEEENSB_INSC_IyEEEESG_yNS9_4plusIvEENS9_8equal_toIvEEyEE10hipError_tPvRmT2_T3_T4_T5_mT6_T7_P12ihipStream_tbENKUlT_T0_E_clISt17integral_constantIbLb0EES10_IbLb1EEEEDaSW_SX_EUlSW_E_NS1_11comp_targetILNS1_3genE8ELNS1_11target_archE1030ELNS1_3gpuE2ELNS1_3repE0EEENS1_30default_config_static_selectorELNS0_4arch9wavefront6targetE1EEEvT1_: ; @_ZN7rocprim17ROCPRIM_400000_NS6detail17trampoline_kernelINS0_14default_configENS1_27scan_by_key_config_selectorIiyEEZZNS1_16scan_by_key_implILNS1_25lookback_scan_determinismE0ELb0ES3_N6thrust23THRUST_200600_302600_NS6detail15normal_iteratorINS9_10device_ptrIiEEEENSB_INSC_IyEEEESG_yNS9_4plusIvEENS9_8equal_toIvEEyEE10hipError_tPvRmT2_T3_T4_T5_mT6_T7_P12ihipStream_tbENKUlT_T0_E_clISt17integral_constantIbLb0EES10_IbLb1EEEEDaSW_SX_EUlSW_E_NS1_11comp_targetILNS1_3genE8ELNS1_11target_archE1030ELNS1_3gpuE2ELNS1_3repE0EEENS1_30default_config_static_selectorELNS0_4arch9wavefront6targetE1EEEvT1_
; %bb.0:
	.section	.rodata,"a",@progbits
	.p2align	6, 0x0
	.amdhsa_kernel _ZN7rocprim17ROCPRIM_400000_NS6detail17trampoline_kernelINS0_14default_configENS1_27scan_by_key_config_selectorIiyEEZZNS1_16scan_by_key_implILNS1_25lookback_scan_determinismE0ELb0ES3_N6thrust23THRUST_200600_302600_NS6detail15normal_iteratorINS9_10device_ptrIiEEEENSB_INSC_IyEEEESG_yNS9_4plusIvEENS9_8equal_toIvEEyEE10hipError_tPvRmT2_T3_T4_T5_mT6_T7_P12ihipStream_tbENKUlT_T0_E_clISt17integral_constantIbLb0EES10_IbLb1EEEEDaSW_SX_EUlSW_E_NS1_11comp_targetILNS1_3genE8ELNS1_11target_archE1030ELNS1_3gpuE2ELNS1_3repE0EEENS1_30default_config_static_selectorELNS0_4arch9wavefront6targetE1EEEvT1_
		.amdhsa_group_segment_fixed_size 0
		.amdhsa_private_segment_fixed_size 0
		.amdhsa_kernarg_size 136
		.amdhsa_user_sgpr_count 6
		.amdhsa_user_sgpr_private_segment_buffer 1
		.amdhsa_user_sgpr_dispatch_ptr 0
		.amdhsa_user_sgpr_queue_ptr 0
		.amdhsa_user_sgpr_kernarg_segment_ptr 1
		.amdhsa_user_sgpr_dispatch_id 0
		.amdhsa_user_sgpr_flat_scratch_init 0
		.amdhsa_user_sgpr_kernarg_preload_length 0
		.amdhsa_user_sgpr_kernarg_preload_offset 0
		.amdhsa_user_sgpr_private_segment_size 0
		.amdhsa_uses_dynamic_stack 0
		.amdhsa_system_sgpr_private_segment_wavefront_offset 0
		.amdhsa_system_sgpr_workgroup_id_x 1
		.amdhsa_system_sgpr_workgroup_id_y 0
		.amdhsa_system_sgpr_workgroup_id_z 0
		.amdhsa_system_sgpr_workgroup_info 0
		.amdhsa_system_vgpr_workitem_id 0
		.amdhsa_next_free_vgpr 1
		.amdhsa_next_free_sgpr 0
		.amdhsa_accum_offset 4
		.amdhsa_reserve_vcc 0
		.amdhsa_reserve_flat_scratch 0
		.amdhsa_float_round_mode_32 0
		.amdhsa_float_round_mode_16_64 0
		.amdhsa_float_denorm_mode_32 3
		.amdhsa_float_denorm_mode_16_64 3
		.amdhsa_dx10_clamp 1
		.amdhsa_ieee_mode 1
		.amdhsa_fp16_overflow 0
		.amdhsa_tg_split 0
		.amdhsa_exception_fp_ieee_invalid_op 0
		.amdhsa_exception_fp_denorm_src 0
		.amdhsa_exception_fp_ieee_div_zero 0
		.amdhsa_exception_fp_ieee_overflow 0
		.amdhsa_exception_fp_ieee_underflow 0
		.amdhsa_exception_fp_ieee_inexact 0
		.amdhsa_exception_int_div_zero 0
	.end_amdhsa_kernel
	.section	.text._ZN7rocprim17ROCPRIM_400000_NS6detail17trampoline_kernelINS0_14default_configENS1_27scan_by_key_config_selectorIiyEEZZNS1_16scan_by_key_implILNS1_25lookback_scan_determinismE0ELb0ES3_N6thrust23THRUST_200600_302600_NS6detail15normal_iteratorINS9_10device_ptrIiEEEENSB_INSC_IyEEEESG_yNS9_4plusIvEENS9_8equal_toIvEEyEE10hipError_tPvRmT2_T3_T4_T5_mT6_T7_P12ihipStream_tbENKUlT_T0_E_clISt17integral_constantIbLb0EES10_IbLb1EEEEDaSW_SX_EUlSW_E_NS1_11comp_targetILNS1_3genE8ELNS1_11target_archE1030ELNS1_3gpuE2ELNS1_3repE0EEENS1_30default_config_static_selectorELNS0_4arch9wavefront6targetE1EEEvT1_,"axG",@progbits,_ZN7rocprim17ROCPRIM_400000_NS6detail17trampoline_kernelINS0_14default_configENS1_27scan_by_key_config_selectorIiyEEZZNS1_16scan_by_key_implILNS1_25lookback_scan_determinismE0ELb0ES3_N6thrust23THRUST_200600_302600_NS6detail15normal_iteratorINS9_10device_ptrIiEEEENSB_INSC_IyEEEESG_yNS9_4plusIvEENS9_8equal_toIvEEyEE10hipError_tPvRmT2_T3_T4_T5_mT6_T7_P12ihipStream_tbENKUlT_T0_E_clISt17integral_constantIbLb0EES10_IbLb1EEEEDaSW_SX_EUlSW_E_NS1_11comp_targetILNS1_3genE8ELNS1_11target_archE1030ELNS1_3gpuE2ELNS1_3repE0EEENS1_30default_config_static_selectorELNS0_4arch9wavefront6targetE1EEEvT1_,comdat
.Lfunc_end1217:
	.size	_ZN7rocprim17ROCPRIM_400000_NS6detail17trampoline_kernelINS0_14default_configENS1_27scan_by_key_config_selectorIiyEEZZNS1_16scan_by_key_implILNS1_25lookback_scan_determinismE0ELb0ES3_N6thrust23THRUST_200600_302600_NS6detail15normal_iteratorINS9_10device_ptrIiEEEENSB_INSC_IyEEEESG_yNS9_4plusIvEENS9_8equal_toIvEEyEE10hipError_tPvRmT2_T3_T4_T5_mT6_T7_P12ihipStream_tbENKUlT_T0_E_clISt17integral_constantIbLb0EES10_IbLb1EEEEDaSW_SX_EUlSW_E_NS1_11comp_targetILNS1_3genE8ELNS1_11target_archE1030ELNS1_3gpuE2ELNS1_3repE0EEENS1_30default_config_static_selectorELNS0_4arch9wavefront6targetE1EEEvT1_, .Lfunc_end1217-_ZN7rocprim17ROCPRIM_400000_NS6detail17trampoline_kernelINS0_14default_configENS1_27scan_by_key_config_selectorIiyEEZZNS1_16scan_by_key_implILNS1_25lookback_scan_determinismE0ELb0ES3_N6thrust23THRUST_200600_302600_NS6detail15normal_iteratorINS9_10device_ptrIiEEEENSB_INSC_IyEEEESG_yNS9_4plusIvEENS9_8equal_toIvEEyEE10hipError_tPvRmT2_T3_T4_T5_mT6_T7_P12ihipStream_tbENKUlT_T0_E_clISt17integral_constantIbLb0EES10_IbLb1EEEEDaSW_SX_EUlSW_E_NS1_11comp_targetILNS1_3genE8ELNS1_11target_archE1030ELNS1_3gpuE2ELNS1_3repE0EEENS1_30default_config_static_selectorELNS0_4arch9wavefront6targetE1EEEvT1_
                                        ; -- End function
	.section	.AMDGPU.csdata,"",@progbits
; Kernel info:
; codeLenInByte = 0
; NumSgprs: 4
; NumVgprs: 0
; NumAgprs: 0
; TotalNumVgprs: 0
; ScratchSize: 0
; MemoryBound: 0
; FloatMode: 240
; IeeeMode: 1
; LDSByteSize: 0 bytes/workgroup (compile time only)
; SGPRBlocks: 0
; VGPRBlocks: 0
; NumSGPRsForWavesPerEU: 4
; NumVGPRsForWavesPerEU: 1
; AccumOffset: 4
; Occupancy: 8
; WaveLimiterHint : 0
; COMPUTE_PGM_RSRC2:SCRATCH_EN: 0
; COMPUTE_PGM_RSRC2:USER_SGPR: 6
; COMPUTE_PGM_RSRC2:TRAP_HANDLER: 0
; COMPUTE_PGM_RSRC2:TGID_X_EN: 1
; COMPUTE_PGM_RSRC2:TGID_Y_EN: 0
; COMPUTE_PGM_RSRC2:TGID_Z_EN: 0
; COMPUTE_PGM_RSRC2:TIDIG_COMP_CNT: 0
; COMPUTE_PGM_RSRC3_GFX90A:ACCUM_OFFSET: 0
; COMPUTE_PGM_RSRC3_GFX90A:TG_SPLIT: 0
	.section	.text._ZN6thrust23THRUST_200600_302600_NS11hip_rocprim14__parallel_for6kernelILj256ENS1_20__uninitialized_fill7functorINS0_10device_ptrIjEEjEEmLj1EEEvT0_T1_SA_,"axG",@progbits,_ZN6thrust23THRUST_200600_302600_NS11hip_rocprim14__parallel_for6kernelILj256ENS1_20__uninitialized_fill7functorINS0_10device_ptrIjEEjEEmLj1EEEvT0_T1_SA_,comdat
	.protected	_ZN6thrust23THRUST_200600_302600_NS11hip_rocprim14__parallel_for6kernelILj256ENS1_20__uninitialized_fill7functorINS0_10device_ptrIjEEjEEmLj1EEEvT0_T1_SA_ ; -- Begin function _ZN6thrust23THRUST_200600_302600_NS11hip_rocprim14__parallel_for6kernelILj256ENS1_20__uninitialized_fill7functorINS0_10device_ptrIjEEjEEmLj1EEEvT0_T1_SA_
	.globl	_ZN6thrust23THRUST_200600_302600_NS11hip_rocprim14__parallel_for6kernelILj256ENS1_20__uninitialized_fill7functorINS0_10device_ptrIjEEjEEmLj1EEEvT0_T1_SA_
	.p2align	8
	.type	_ZN6thrust23THRUST_200600_302600_NS11hip_rocprim14__parallel_for6kernelILj256ENS1_20__uninitialized_fill7functorINS0_10device_ptrIjEEjEEmLj1EEEvT0_T1_SA_,@function
_ZN6thrust23THRUST_200600_302600_NS11hip_rocprim14__parallel_for6kernelILj256ENS1_20__uninitialized_fill7functorINS0_10device_ptrIjEEjEEmLj1EEEvT0_T1_SA_: ; @_ZN6thrust23THRUST_200600_302600_NS11hip_rocprim14__parallel_for6kernelILj256ENS1_20__uninitialized_fill7functorINS0_10device_ptrIjEEjEEmLj1EEEvT0_T1_SA_
; %bb.0:
	s_load_dwordx4 s[8:11], s[4:5], 0x10
	s_lshl_b32 s0, s6, 8
	v_mov_b32_e32 v2, 0x100
	v_mov_b32_e32 v3, 0
	s_waitcnt lgkmcnt(0)
	s_add_u32 s0, s0, s10
	s_addc_u32 s1, 0, s11
	s_sub_u32 s2, s8, s0
	s_subb_u32 s3, s9, s1
	v_cmp_lt_u64_e32 vcc, s[2:3], v[2:3]
	s_cbranch_vccz .LBB1218_2
; %bb.1:
	v_cmp_gt_u32_e32 vcc, s2, v0
	s_and_b64 s[2:3], vcc, exec
	s_cbranch_execz .LBB1218_3
	s_branch .LBB1218_4
.LBB1218_2:
	s_mov_b64 s[2:3], 0
.LBB1218_3:
	s_or_b64 s[2:3], s[2:3], exec
.LBB1218_4:
	s_and_saveexec_b64 s[6:7], s[2:3]
	s_cbranch_execnz .LBB1218_6
; %bb.5:
	s_endpgm
.LBB1218_6:
	s_load_dwordx2 s[2:3], s[4:5], 0x0
	s_load_dword s6, s[4:5], 0x8
	s_lshl_b64 s[0:1], s[0:1], 2
	v_mov_b32_e32 v1, 0
	v_lshlrev_b64 v[0:1], 2, v[0:1]
	s_waitcnt lgkmcnt(0)
	s_add_u32 s0, s2, s0
	s_addc_u32 s1, s3, s1
	v_mov_b32_e32 v2, s1
	v_add_co_u32_e32 v0, vcc, s0, v0
	v_addc_co_u32_e32 v1, vcc, v2, v1, vcc
	v_mov_b32_e32 v2, s6
	flat_store_dword v[0:1], v2
	s_endpgm
	.section	.rodata,"a",@progbits
	.p2align	6, 0x0
	.amdhsa_kernel _ZN6thrust23THRUST_200600_302600_NS11hip_rocprim14__parallel_for6kernelILj256ENS1_20__uninitialized_fill7functorINS0_10device_ptrIjEEjEEmLj1EEEvT0_T1_SA_
		.amdhsa_group_segment_fixed_size 0
		.amdhsa_private_segment_fixed_size 0
		.amdhsa_kernarg_size 32
		.amdhsa_user_sgpr_count 6
		.amdhsa_user_sgpr_private_segment_buffer 1
		.amdhsa_user_sgpr_dispatch_ptr 0
		.amdhsa_user_sgpr_queue_ptr 0
		.amdhsa_user_sgpr_kernarg_segment_ptr 1
		.amdhsa_user_sgpr_dispatch_id 0
		.amdhsa_user_sgpr_flat_scratch_init 0
		.amdhsa_user_sgpr_kernarg_preload_length 0
		.amdhsa_user_sgpr_kernarg_preload_offset 0
		.amdhsa_user_sgpr_private_segment_size 0
		.amdhsa_uses_dynamic_stack 0
		.amdhsa_system_sgpr_private_segment_wavefront_offset 0
		.amdhsa_system_sgpr_workgroup_id_x 1
		.amdhsa_system_sgpr_workgroup_id_y 0
		.amdhsa_system_sgpr_workgroup_id_z 0
		.amdhsa_system_sgpr_workgroup_info 0
		.amdhsa_system_vgpr_workitem_id 0
		.amdhsa_next_free_vgpr 4
		.amdhsa_next_free_sgpr 12
		.amdhsa_accum_offset 4
		.amdhsa_reserve_vcc 1
		.amdhsa_reserve_flat_scratch 0
		.amdhsa_float_round_mode_32 0
		.amdhsa_float_round_mode_16_64 0
		.amdhsa_float_denorm_mode_32 3
		.amdhsa_float_denorm_mode_16_64 3
		.amdhsa_dx10_clamp 1
		.amdhsa_ieee_mode 1
		.amdhsa_fp16_overflow 0
		.amdhsa_tg_split 0
		.amdhsa_exception_fp_ieee_invalid_op 0
		.amdhsa_exception_fp_denorm_src 0
		.amdhsa_exception_fp_ieee_div_zero 0
		.amdhsa_exception_fp_ieee_overflow 0
		.amdhsa_exception_fp_ieee_underflow 0
		.amdhsa_exception_fp_ieee_inexact 0
		.amdhsa_exception_int_div_zero 0
	.end_amdhsa_kernel
	.section	.text._ZN6thrust23THRUST_200600_302600_NS11hip_rocprim14__parallel_for6kernelILj256ENS1_20__uninitialized_fill7functorINS0_10device_ptrIjEEjEEmLj1EEEvT0_T1_SA_,"axG",@progbits,_ZN6thrust23THRUST_200600_302600_NS11hip_rocprim14__parallel_for6kernelILj256ENS1_20__uninitialized_fill7functorINS0_10device_ptrIjEEjEEmLj1EEEvT0_T1_SA_,comdat
.Lfunc_end1218:
	.size	_ZN6thrust23THRUST_200600_302600_NS11hip_rocprim14__parallel_for6kernelILj256ENS1_20__uninitialized_fill7functorINS0_10device_ptrIjEEjEEmLj1EEEvT0_T1_SA_, .Lfunc_end1218-_ZN6thrust23THRUST_200600_302600_NS11hip_rocprim14__parallel_for6kernelILj256ENS1_20__uninitialized_fill7functorINS0_10device_ptrIjEEjEEmLj1EEEvT0_T1_SA_
                                        ; -- End function
	.section	.AMDGPU.csdata,"",@progbits
; Kernel info:
; codeLenInByte = 160
; NumSgprs: 16
; NumVgprs: 4
; NumAgprs: 0
; TotalNumVgprs: 4
; ScratchSize: 0
; MemoryBound: 0
; FloatMode: 240
; IeeeMode: 1
; LDSByteSize: 0 bytes/workgroup (compile time only)
; SGPRBlocks: 1
; VGPRBlocks: 0
; NumSGPRsForWavesPerEU: 16
; NumVGPRsForWavesPerEU: 4
; AccumOffset: 4
; Occupancy: 8
; WaveLimiterHint : 0
; COMPUTE_PGM_RSRC2:SCRATCH_EN: 0
; COMPUTE_PGM_RSRC2:USER_SGPR: 6
; COMPUTE_PGM_RSRC2:TRAP_HANDLER: 0
; COMPUTE_PGM_RSRC2:TGID_X_EN: 1
; COMPUTE_PGM_RSRC2:TGID_Y_EN: 0
; COMPUTE_PGM_RSRC2:TGID_Z_EN: 0
; COMPUTE_PGM_RSRC2:TIDIG_COMP_CNT: 0
; COMPUTE_PGM_RSRC3_GFX90A:ACCUM_OFFSET: 0
; COMPUTE_PGM_RSRC3_GFX90A:TG_SPLIT: 0
	.section	.text._ZN7rocprim17ROCPRIM_400000_NS6detail30init_device_scan_by_key_kernelINS1_19lookback_scan_stateINS0_5tupleIJjbEEELb0ELb1EEEN6thrust23THRUST_200600_302600_NS6detail15normal_iteratorINS8_10device_ptrIiEEEEjNS1_16block_id_wrapperIjLb0EEEEEvT_jjPNSG_10value_typeET0_PNSt15iterator_traitsISJ_E10value_typeEmT1_T2_,"axG",@progbits,_ZN7rocprim17ROCPRIM_400000_NS6detail30init_device_scan_by_key_kernelINS1_19lookback_scan_stateINS0_5tupleIJjbEEELb0ELb1EEEN6thrust23THRUST_200600_302600_NS6detail15normal_iteratorINS8_10device_ptrIiEEEEjNS1_16block_id_wrapperIjLb0EEEEEvT_jjPNSG_10value_typeET0_PNSt15iterator_traitsISJ_E10value_typeEmT1_T2_,comdat
	.protected	_ZN7rocprim17ROCPRIM_400000_NS6detail30init_device_scan_by_key_kernelINS1_19lookback_scan_stateINS0_5tupleIJjbEEELb0ELb1EEEN6thrust23THRUST_200600_302600_NS6detail15normal_iteratorINS8_10device_ptrIiEEEEjNS1_16block_id_wrapperIjLb0EEEEEvT_jjPNSG_10value_typeET0_PNSt15iterator_traitsISJ_E10value_typeEmT1_T2_ ; -- Begin function _ZN7rocprim17ROCPRIM_400000_NS6detail30init_device_scan_by_key_kernelINS1_19lookback_scan_stateINS0_5tupleIJjbEEELb0ELb1EEEN6thrust23THRUST_200600_302600_NS6detail15normal_iteratorINS8_10device_ptrIiEEEEjNS1_16block_id_wrapperIjLb0EEEEEvT_jjPNSG_10value_typeET0_PNSt15iterator_traitsISJ_E10value_typeEmT1_T2_
	.globl	_ZN7rocprim17ROCPRIM_400000_NS6detail30init_device_scan_by_key_kernelINS1_19lookback_scan_stateINS0_5tupleIJjbEEELb0ELb1EEEN6thrust23THRUST_200600_302600_NS6detail15normal_iteratorINS8_10device_ptrIiEEEEjNS1_16block_id_wrapperIjLb0EEEEEvT_jjPNSG_10value_typeET0_PNSt15iterator_traitsISJ_E10value_typeEmT1_T2_
	.p2align	8
	.type	_ZN7rocprim17ROCPRIM_400000_NS6detail30init_device_scan_by_key_kernelINS1_19lookback_scan_stateINS0_5tupleIJjbEEELb0ELb1EEEN6thrust23THRUST_200600_302600_NS6detail15normal_iteratorINS8_10device_ptrIiEEEEjNS1_16block_id_wrapperIjLb0EEEEEvT_jjPNSG_10value_typeET0_PNSt15iterator_traitsISJ_E10value_typeEmT1_T2_,@function
_ZN7rocprim17ROCPRIM_400000_NS6detail30init_device_scan_by_key_kernelINS1_19lookback_scan_stateINS0_5tupleIJjbEEELb0ELb1EEEN6thrust23THRUST_200600_302600_NS6detail15normal_iteratorINS8_10device_ptrIiEEEEjNS1_16block_id_wrapperIjLb0EEEEEvT_jjPNSG_10value_typeET0_PNSt15iterator_traitsISJ_E10value_typeEmT1_T2_: ; @_ZN7rocprim17ROCPRIM_400000_NS6detail30init_device_scan_by_key_kernelINS1_19lookback_scan_stateINS0_5tupleIJjbEEELb0ELb1EEEN6thrust23THRUST_200600_302600_NS6detail15normal_iteratorINS8_10device_ptrIiEEEEjNS1_16block_id_wrapperIjLb0EEEEEvT_jjPNSG_10value_typeET0_PNSt15iterator_traitsISJ_E10value_typeEmT1_T2_
; %bb.0:
	s_load_dword s0, s[4:5], 0x44
	s_load_dwordx8 s[8:15], s[4:5], 0x0
	s_load_dword s18, s[4:5], 0x38
	s_waitcnt lgkmcnt(0)
	s_and_b32 s19, s0, 0xffff
	s_mul_i32 s6, s6, s19
	s_cmp_eq_u64 s[12:13], 0
	v_add_u32_e32 v4, s6, v0
	s_cbranch_scc1 .LBB1219_8
; %bb.1:
	s_cmp_lt_u32 s11, s10
	s_cselect_b32 s0, s11, 0
	s_mov_b32 s3, 0
	v_cmp_eq_u32_e32 vcc, s0, v4
	s_and_saveexec_b64 s[0:1], vcc
	s_cbranch_execz .LBB1219_7
; %bb.2:
	s_add_i32 s2, s11, 64
	s_lshl_b64 s[2:3], s[2:3], 4
	s_add_u32 s16, s8, s2
	s_addc_u32 s17, s9, s3
	v_pk_mov_b32 v[0:1], s[16:17], s[16:17] op_sel:[0,1]
	;;#ASMSTART
	global_load_dwordx4 v[0:3], v[0:1] off glc	
s_waitcnt vmcnt(0)
	;;#ASMEND
	v_mov_b32_e32 v7, 0
	v_and_b32_e32 v6, 0xff, v2
	s_mov_b64 s[6:7], 0
	v_cmp_eq_u64_e32 vcc, 0, v[6:7]
	s_and_saveexec_b64 s[2:3], vcc
	s_cbranch_execz .LBB1219_6
; %bb.3:
	v_pk_mov_b32 v[8:9], s[16:17], s[16:17] op_sel:[0,1]
.LBB1219_4:                             ; =>This Inner Loop Header: Depth=1
	;;#ASMSTART
	global_load_dwordx4 v[0:3], v[8:9] off glc	
s_waitcnt vmcnt(0)
	;;#ASMEND
	v_and_b32_e32 v6, 0xff, v2
	v_cmp_ne_u64_e32 vcc, 0, v[6:7]
	s_or_b64 s[6:7], vcc, s[6:7]
	s_andn2_b64 exec, exec, s[6:7]
	s_cbranch_execnz .LBB1219_4
; %bb.5:
	s_or_b64 exec, exec, s[6:7]
.LBB1219_6:
	s_or_b64 exec, exec, s[2:3]
	v_mov_b32_e32 v2, 0
	global_store_dword v2, v0, s[12:13]
	global_store_byte v2, v1, s[12:13] offset:4
.LBB1219_7:
	s_or_b64 exec, exec, s[0:1]
.LBB1219_8:
	v_cmp_gt_u32_e32 vcc, s10, v4
	s_and_saveexec_b64 s[0:1], vcc
	s_cbranch_execz .LBB1219_10
; %bb.9:
	v_add_u32_e32 v0, 64, v4
	v_mov_b32_e32 v1, 0
	v_lshlrev_b64 v[2:3], 4, v[0:1]
	v_mov_b32_e32 v0, s9
	v_add_co_u32_e32 v6, vcc, s8, v2
	v_addc_co_u32_e32 v7, vcc, v0, v3, vcc
	v_mov_b32_e32 v0, v1
	v_mov_b32_e32 v2, v1
	;; [unrolled: 1-line block ×3, first 2 shown]
	global_store_dwordx4 v[6:7], v[0:3], off
.LBB1219_10:
	s_or_b64 exec, exec, s[0:1]
	v_cmp_gt_u32_e32 vcc, 64, v4
	v_mov_b32_e32 v5, 0
	s_and_saveexec_b64 s[0:1], vcc
	s_cbranch_execz .LBB1219_12
; %bb.11:
	v_lshlrev_b64 v[0:1], 4, v[4:5]
	v_mov_b32_e32 v2, s9
	v_add_co_u32_e32 v6, vcc, s8, v0
	v_addc_co_u32_e32 v7, vcc, v2, v1, vcc
	v_mov_b32_e32 v2, 0xff
	v_mov_b32_e32 v0, v5
	;; [unrolled: 1-line block ×4, first 2 shown]
	global_store_dwordx4 v[6:7], v[0:3], off
.LBB1219_12:
	s_or_b64 exec, exec, s[0:1]
	s_load_dwordx2 s[0:1], s[4:5], 0x28
	s_waitcnt lgkmcnt(0)
	v_cmp_gt_u64_e32 vcc, s[0:1], v[4:5]
	s_and_saveexec_b64 s[2:3], vcc
	s_cbranch_execz .LBB1219_15
; %bb.13:
	s_load_dword s10, s[4:5], 0x30
	s_load_dwordx2 s[6:7], s[4:5], 0x20
	s_mov_b32 s5, 0
	s_mov_b32 s3, s5
	s_mul_i32 s2, s18, s19
	s_waitcnt lgkmcnt(0)
	s_add_i32 s4, s10, -1
	s_lshl_b64 s[4:5], s[4:5], 2
	v_mad_u64_u32 v[0:1], s[8:9], s10, v4, 0
	s_add_u32 s4, s14, s4
	v_lshlrev_b64 v[0:1], 2, v[0:1]
	s_addc_u32 s5, s15, s5
	v_mov_b32_e32 v2, s5
	v_add_co_u32_e32 v0, vcc, s4, v0
	v_addc_co_u32_e32 v1, vcc, v2, v1, vcc
	s_mul_hi_u32 s5, s10, s2
	s_mul_i32 s4, s10, s2
	v_lshlrev_b64 v[2:3], 2, v[4:5]
	s_lshl_b64 s[4:5], s[4:5], 2
	v_mov_b32_e32 v6, s7
	v_add_co_u32_e32 v2, vcc, s6, v2
	s_lshl_b64 s[6:7], s[2:3], 2
	v_addc_co_u32_e32 v3, vcc, v6, v3, vcc
	s_mov_b64 s[8:9], 0
	v_mov_b32_e32 v6, s3
	v_mov_b32_e32 v7, s5
	;; [unrolled: 1-line block ×3, first 2 shown]
.LBB1219_14:                            ; =>This Inner Loop Header: Depth=1
	global_load_dword v9, v[0:1], off
	v_add_co_u32_e32 v4, vcc, s2, v4
	v_addc_co_u32_e32 v5, vcc, v5, v6, vcc
	v_add_co_u32_e32 v0, vcc, s4, v0
	v_addc_co_u32_e32 v1, vcc, v1, v7, vcc
	v_cmp_le_u64_e32 vcc, s[0:1], v[4:5]
	s_or_b64 s[8:9], vcc, s[8:9]
	s_waitcnt vmcnt(0)
	global_store_dword v[2:3], v9, off
	v_add_co_u32_e32 v2, vcc, s6, v2
	v_addc_co_u32_e32 v3, vcc, v3, v8, vcc
	s_andn2_b64 exec, exec, s[8:9]
	s_cbranch_execnz .LBB1219_14
.LBB1219_15:
	s_endpgm
	.section	.rodata,"a",@progbits
	.p2align	6, 0x0
	.amdhsa_kernel _ZN7rocprim17ROCPRIM_400000_NS6detail30init_device_scan_by_key_kernelINS1_19lookback_scan_stateINS0_5tupleIJjbEEELb0ELb1EEEN6thrust23THRUST_200600_302600_NS6detail15normal_iteratorINS8_10device_ptrIiEEEEjNS1_16block_id_wrapperIjLb0EEEEEvT_jjPNSG_10value_typeET0_PNSt15iterator_traitsISJ_E10value_typeEmT1_T2_
		.amdhsa_group_segment_fixed_size 0
		.amdhsa_private_segment_fixed_size 0
		.amdhsa_kernarg_size 312
		.amdhsa_user_sgpr_count 6
		.amdhsa_user_sgpr_private_segment_buffer 1
		.amdhsa_user_sgpr_dispatch_ptr 0
		.amdhsa_user_sgpr_queue_ptr 0
		.amdhsa_user_sgpr_kernarg_segment_ptr 1
		.amdhsa_user_sgpr_dispatch_id 0
		.amdhsa_user_sgpr_flat_scratch_init 0
		.amdhsa_user_sgpr_kernarg_preload_length 0
		.amdhsa_user_sgpr_kernarg_preload_offset 0
		.amdhsa_user_sgpr_private_segment_size 0
		.amdhsa_uses_dynamic_stack 0
		.amdhsa_system_sgpr_private_segment_wavefront_offset 0
		.amdhsa_system_sgpr_workgroup_id_x 1
		.amdhsa_system_sgpr_workgroup_id_y 0
		.amdhsa_system_sgpr_workgroup_id_z 0
		.amdhsa_system_sgpr_workgroup_info 0
		.amdhsa_system_vgpr_workitem_id 0
		.amdhsa_next_free_vgpr 10
		.amdhsa_next_free_sgpr 20
		.amdhsa_accum_offset 12
		.amdhsa_reserve_vcc 1
		.amdhsa_reserve_flat_scratch 0
		.amdhsa_float_round_mode_32 0
		.amdhsa_float_round_mode_16_64 0
		.amdhsa_float_denorm_mode_32 3
		.amdhsa_float_denorm_mode_16_64 3
		.amdhsa_dx10_clamp 1
		.amdhsa_ieee_mode 1
		.amdhsa_fp16_overflow 0
		.amdhsa_tg_split 0
		.amdhsa_exception_fp_ieee_invalid_op 0
		.amdhsa_exception_fp_denorm_src 0
		.amdhsa_exception_fp_ieee_div_zero 0
		.amdhsa_exception_fp_ieee_overflow 0
		.amdhsa_exception_fp_ieee_underflow 0
		.amdhsa_exception_fp_ieee_inexact 0
		.amdhsa_exception_int_div_zero 0
	.end_amdhsa_kernel
	.section	.text._ZN7rocprim17ROCPRIM_400000_NS6detail30init_device_scan_by_key_kernelINS1_19lookback_scan_stateINS0_5tupleIJjbEEELb0ELb1EEEN6thrust23THRUST_200600_302600_NS6detail15normal_iteratorINS8_10device_ptrIiEEEEjNS1_16block_id_wrapperIjLb0EEEEEvT_jjPNSG_10value_typeET0_PNSt15iterator_traitsISJ_E10value_typeEmT1_T2_,"axG",@progbits,_ZN7rocprim17ROCPRIM_400000_NS6detail30init_device_scan_by_key_kernelINS1_19lookback_scan_stateINS0_5tupleIJjbEEELb0ELb1EEEN6thrust23THRUST_200600_302600_NS6detail15normal_iteratorINS8_10device_ptrIiEEEEjNS1_16block_id_wrapperIjLb0EEEEEvT_jjPNSG_10value_typeET0_PNSt15iterator_traitsISJ_E10value_typeEmT1_T2_,comdat
.Lfunc_end1219:
	.size	_ZN7rocprim17ROCPRIM_400000_NS6detail30init_device_scan_by_key_kernelINS1_19lookback_scan_stateINS0_5tupleIJjbEEELb0ELb1EEEN6thrust23THRUST_200600_302600_NS6detail15normal_iteratorINS8_10device_ptrIiEEEEjNS1_16block_id_wrapperIjLb0EEEEEvT_jjPNSG_10value_typeET0_PNSt15iterator_traitsISJ_E10value_typeEmT1_T2_, .Lfunc_end1219-_ZN7rocprim17ROCPRIM_400000_NS6detail30init_device_scan_by_key_kernelINS1_19lookback_scan_stateINS0_5tupleIJjbEEELb0ELb1EEEN6thrust23THRUST_200600_302600_NS6detail15normal_iteratorINS8_10device_ptrIiEEEEjNS1_16block_id_wrapperIjLb0EEEEEvT_jjPNSG_10value_typeET0_PNSt15iterator_traitsISJ_E10value_typeEmT1_T2_
                                        ; -- End function
	.section	.AMDGPU.csdata,"",@progbits
; Kernel info:
; codeLenInByte = 572
; NumSgprs: 24
; NumVgprs: 10
; NumAgprs: 0
; TotalNumVgprs: 10
; ScratchSize: 0
; MemoryBound: 0
; FloatMode: 240
; IeeeMode: 1
; LDSByteSize: 0 bytes/workgroup (compile time only)
; SGPRBlocks: 2
; VGPRBlocks: 1
; NumSGPRsForWavesPerEU: 24
; NumVGPRsForWavesPerEU: 10
; AccumOffset: 12
; Occupancy: 8
; WaveLimiterHint : 0
; COMPUTE_PGM_RSRC2:SCRATCH_EN: 0
; COMPUTE_PGM_RSRC2:USER_SGPR: 6
; COMPUTE_PGM_RSRC2:TRAP_HANDLER: 0
; COMPUTE_PGM_RSRC2:TGID_X_EN: 1
; COMPUTE_PGM_RSRC2:TGID_Y_EN: 0
; COMPUTE_PGM_RSRC2:TGID_Z_EN: 0
; COMPUTE_PGM_RSRC2:TIDIG_COMP_CNT: 0
; COMPUTE_PGM_RSRC3_GFX90A:ACCUM_OFFSET: 2
; COMPUTE_PGM_RSRC3_GFX90A:TG_SPLIT: 0
	.section	.text._ZN7rocprim17ROCPRIM_400000_NS6detail30init_device_scan_by_key_kernelINS1_19lookback_scan_stateINS0_5tupleIJjbEEELb0ELb1EEENS1_16block_id_wrapperIjLb0EEEEEvT_jjPNS9_10value_typeET0_,"axG",@progbits,_ZN7rocprim17ROCPRIM_400000_NS6detail30init_device_scan_by_key_kernelINS1_19lookback_scan_stateINS0_5tupleIJjbEEELb0ELb1EEENS1_16block_id_wrapperIjLb0EEEEEvT_jjPNS9_10value_typeET0_,comdat
	.protected	_ZN7rocprim17ROCPRIM_400000_NS6detail30init_device_scan_by_key_kernelINS1_19lookback_scan_stateINS0_5tupleIJjbEEELb0ELb1EEENS1_16block_id_wrapperIjLb0EEEEEvT_jjPNS9_10value_typeET0_ ; -- Begin function _ZN7rocprim17ROCPRIM_400000_NS6detail30init_device_scan_by_key_kernelINS1_19lookback_scan_stateINS0_5tupleIJjbEEELb0ELb1EEENS1_16block_id_wrapperIjLb0EEEEEvT_jjPNS9_10value_typeET0_
	.globl	_ZN7rocprim17ROCPRIM_400000_NS6detail30init_device_scan_by_key_kernelINS1_19lookback_scan_stateINS0_5tupleIJjbEEELb0ELb1EEENS1_16block_id_wrapperIjLb0EEEEEvT_jjPNS9_10value_typeET0_
	.p2align	8
	.type	_ZN7rocprim17ROCPRIM_400000_NS6detail30init_device_scan_by_key_kernelINS1_19lookback_scan_stateINS0_5tupleIJjbEEELb0ELb1EEENS1_16block_id_wrapperIjLb0EEEEEvT_jjPNS9_10value_typeET0_,@function
_ZN7rocprim17ROCPRIM_400000_NS6detail30init_device_scan_by_key_kernelINS1_19lookback_scan_stateINS0_5tupleIJjbEEELb0ELb1EEENS1_16block_id_wrapperIjLb0EEEEEvT_jjPNS9_10value_typeET0_: ; @_ZN7rocprim17ROCPRIM_400000_NS6detail30init_device_scan_by_key_kernelINS1_19lookback_scan_stateINS0_5tupleIJjbEEELb0ELb1EEENS1_16block_id_wrapperIjLb0EEEEEvT_jjPNS9_10value_typeET0_
; %bb.0:
	s_load_dword s7, s[4:5], 0x2c
	s_load_dwordx2 s[8:9], s[4:5], 0x10
	s_load_dwordx4 s[0:3], s[4:5], 0x0
	s_waitcnt lgkmcnt(0)
	s_and_b32 s4, s7, 0xffff
	s_mul_i32 s6, s6, s4
	s_cmp_eq_u64 s[8:9], 0
	v_add_u32_e32 v0, s6, v0
	s_cbranch_scc1 .LBB1220_8
; %bb.1:
	s_cmp_lt_u32 s3, s2
	s_cselect_b32 s4, s3, 0
	s_mov_b32 s7, 0
	v_cmp_eq_u32_e32 vcc, s4, v0
	s_and_saveexec_b64 s[4:5], vcc
	s_cbranch_execz .LBB1220_7
; %bb.2:
	s_add_i32 s6, s3, 64
	s_lshl_b64 s[6:7], s[6:7], 4
	s_add_u32 s12, s0, s6
	s_addc_u32 s13, s1, s7
	v_pk_mov_b32 v[2:3], s[12:13], s[12:13] op_sel:[0,1]
	;;#ASMSTART
	global_load_dwordx4 v[2:5], v[2:3] off glc	
s_waitcnt vmcnt(0)
	;;#ASMEND
	v_mov_b32_e32 v7, 0
	v_and_b32_e32 v6, 0xff, v4
	s_mov_b64 s[10:11], 0
	v_cmp_eq_u64_e32 vcc, 0, v[6:7]
	s_and_saveexec_b64 s[6:7], vcc
	s_cbranch_execz .LBB1220_6
; %bb.3:
	v_pk_mov_b32 v[8:9], s[12:13], s[12:13] op_sel:[0,1]
.LBB1220_4:                             ; =>This Inner Loop Header: Depth=1
	;;#ASMSTART
	global_load_dwordx4 v[2:5], v[8:9] off glc	
s_waitcnt vmcnt(0)
	;;#ASMEND
	v_and_b32_e32 v6, 0xff, v4
	v_cmp_ne_u64_e32 vcc, 0, v[6:7]
	s_or_b64 s[10:11], vcc, s[10:11]
	s_andn2_b64 exec, exec, s[10:11]
	s_cbranch_execnz .LBB1220_4
; %bb.5:
	s_or_b64 exec, exec, s[10:11]
.LBB1220_6:
	s_or_b64 exec, exec, s[6:7]
	v_mov_b32_e32 v1, 0
	global_store_dword v1, v2, s[8:9]
	global_store_byte v1, v3, s[8:9] offset:4
.LBB1220_7:
	s_or_b64 exec, exec, s[4:5]
.LBB1220_8:
	v_cmp_gt_u32_e32 vcc, s2, v0
	s_and_saveexec_b64 s[2:3], vcc
	s_cbranch_execnz .LBB1220_11
; %bb.9:
	s_or_b64 exec, exec, s[2:3]
	v_cmp_gt_u32_e32 vcc, 64, v0
	s_and_saveexec_b64 s[2:3], vcc
	s_cbranch_execnz .LBB1220_12
.LBB1220_10:
	s_endpgm
.LBB1220_11:
	v_add_u32_e32 v2, 64, v0
	v_mov_b32_e32 v3, 0
	v_lshlrev_b64 v[4:5], 4, v[2:3]
	v_mov_b32_e32 v1, s1
	v_add_co_u32_e32 v6, vcc, s0, v4
	v_addc_co_u32_e32 v7, vcc, v1, v5, vcc
	v_mov_b32_e32 v2, v3
	v_mov_b32_e32 v4, v3
	;; [unrolled: 1-line block ×3, first 2 shown]
	global_store_dwordx4 v[6:7], v[2:5], off
	s_or_b64 exec, exec, s[2:3]
	v_cmp_gt_u32_e32 vcc, 64, v0
	s_and_saveexec_b64 s[2:3], vcc
	s_cbranch_execz .LBB1220_10
.LBB1220_12:
	v_mov_b32_e32 v1, 0
	v_lshlrev_b64 v[2:3], 4, v[0:1]
	v_mov_b32_e32 v0, s1
	v_add_co_u32_e32 v4, vcc, s0, v2
	v_addc_co_u32_e32 v5, vcc, v0, v3, vcc
	v_mov_b32_e32 v2, 0xff
	v_mov_b32_e32 v0, v1
	v_mov_b32_e32 v3, v1
	global_store_dwordx4 v[4:5], v[0:3], off
	s_endpgm
	.section	.rodata,"a",@progbits
	.p2align	6, 0x0
	.amdhsa_kernel _ZN7rocprim17ROCPRIM_400000_NS6detail30init_device_scan_by_key_kernelINS1_19lookback_scan_stateINS0_5tupleIJjbEEELb0ELb1EEENS1_16block_id_wrapperIjLb0EEEEEvT_jjPNS9_10value_typeET0_
		.amdhsa_group_segment_fixed_size 0
		.amdhsa_private_segment_fixed_size 0
		.amdhsa_kernarg_size 288
		.amdhsa_user_sgpr_count 6
		.amdhsa_user_sgpr_private_segment_buffer 1
		.amdhsa_user_sgpr_dispatch_ptr 0
		.amdhsa_user_sgpr_queue_ptr 0
		.amdhsa_user_sgpr_kernarg_segment_ptr 1
		.amdhsa_user_sgpr_dispatch_id 0
		.amdhsa_user_sgpr_flat_scratch_init 0
		.amdhsa_user_sgpr_kernarg_preload_length 0
		.amdhsa_user_sgpr_kernarg_preload_offset 0
		.amdhsa_user_sgpr_private_segment_size 0
		.amdhsa_uses_dynamic_stack 0
		.amdhsa_system_sgpr_private_segment_wavefront_offset 0
		.amdhsa_system_sgpr_workgroup_id_x 1
		.amdhsa_system_sgpr_workgroup_id_y 0
		.amdhsa_system_sgpr_workgroup_id_z 0
		.amdhsa_system_sgpr_workgroup_info 0
		.amdhsa_system_vgpr_workitem_id 0
		.amdhsa_next_free_vgpr 10
		.amdhsa_next_free_sgpr 14
		.amdhsa_accum_offset 12
		.amdhsa_reserve_vcc 1
		.amdhsa_reserve_flat_scratch 0
		.amdhsa_float_round_mode_32 0
		.amdhsa_float_round_mode_16_64 0
		.amdhsa_float_denorm_mode_32 3
		.amdhsa_float_denorm_mode_16_64 3
		.amdhsa_dx10_clamp 1
		.amdhsa_ieee_mode 1
		.amdhsa_fp16_overflow 0
		.amdhsa_tg_split 0
		.amdhsa_exception_fp_ieee_invalid_op 0
		.amdhsa_exception_fp_denorm_src 0
		.amdhsa_exception_fp_ieee_div_zero 0
		.amdhsa_exception_fp_ieee_overflow 0
		.amdhsa_exception_fp_ieee_underflow 0
		.amdhsa_exception_fp_ieee_inexact 0
		.amdhsa_exception_int_div_zero 0
	.end_amdhsa_kernel
	.section	.text._ZN7rocprim17ROCPRIM_400000_NS6detail30init_device_scan_by_key_kernelINS1_19lookback_scan_stateINS0_5tupleIJjbEEELb0ELb1EEENS1_16block_id_wrapperIjLb0EEEEEvT_jjPNS9_10value_typeET0_,"axG",@progbits,_ZN7rocprim17ROCPRIM_400000_NS6detail30init_device_scan_by_key_kernelINS1_19lookback_scan_stateINS0_5tupleIJjbEEELb0ELb1EEENS1_16block_id_wrapperIjLb0EEEEEvT_jjPNS9_10value_typeET0_,comdat
.Lfunc_end1220:
	.size	_ZN7rocprim17ROCPRIM_400000_NS6detail30init_device_scan_by_key_kernelINS1_19lookback_scan_stateINS0_5tupleIJjbEEELb0ELb1EEENS1_16block_id_wrapperIjLb0EEEEEvT_jjPNS9_10value_typeET0_, .Lfunc_end1220-_ZN7rocprim17ROCPRIM_400000_NS6detail30init_device_scan_by_key_kernelINS1_19lookback_scan_stateINS0_5tupleIJjbEEELb0ELb1EEENS1_16block_id_wrapperIjLb0EEEEEvT_jjPNS9_10value_typeET0_
                                        ; -- End function
	.section	.AMDGPU.csdata,"",@progbits
; Kernel info:
; codeLenInByte = 372
; NumSgprs: 18
; NumVgprs: 10
; NumAgprs: 0
; TotalNumVgprs: 10
; ScratchSize: 0
; MemoryBound: 0
; FloatMode: 240
; IeeeMode: 1
; LDSByteSize: 0 bytes/workgroup (compile time only)
; SGPRBlocks: 2
; VGPRBlocks: 1
; NumSGPRsForWavesPerEU: 18
; NumVGPRsForWavesPerEU: 10
; AccumOffset: 12
; Occupancy: 8
; WaveLimiterHint : 0
; COMPUTE_PGM_RSRC2:SCRATCH_EN: 0
; COMPUTE_PGM_RSRC2:USER_SGPR: 6
; COMPUTE_PGM_RSRC2:TRAP_HANDLER: 0
; COMPUTE_PGM_RSRC2:TGID_X_EN: 1
; COMPUTE_PGM_RSRC2:TGID_Y_EN: 0
; COMPUTE_PGM_RSRC2:TGID_Z_EN: 0
; COMPUTE_PGM_RSRC2:TIDIG_COMP_CNT: 0
; COMPUTE_PGM_RSRC3_GFX90A:ACCUM_OFFSET: 2
; COMPUTE_PGM_RSRC3_GFX90A:TG_SPLIT: 0
	.section	.text._ZN7rocprim17ROCPRIM_400000_NS6detail17trampoline_kernelINS0_14default_configENS1_27scan_by_key_config_selectorIijEEZZNS1_16scan_by_key_implILNS1_25lookback_scan_determinismE0ELb0ES3_N6thrust23THRUST_200600_302600_NS6detail15normal_iteratorINS9_10device_ptrIiEEEENSB_INSC_IjEEEESG_jNS9_4plusIvEENS9_8equal_toIvEEjEE10hipError_tPvRmT2_T3_T4_T5_mT6_T7_P12ihipStream_tbENKUlT_T0_E_clISt17integral_constantIbLb0EES11_EEDaSW_SX_EUlSW_E_NS1_11comp_targetILNS1_3genE0ELNS1_11target_archE4294967295ELNS1_3gpuE0ELNS1_3repE0EEENS1_30default_config_static_selectorELNS0_4arch9wavefront6targetE1EEEvT1_,"axG",@progbits,_ZN7rocprim17ROCPRIM_400000_NS6detail17trampoline_kernelINS0_14default_configENS1_27scan_by_key_config_selectorIijEEZZNS1_16scan_by_key_implILNS1_25lookback_scan_determinismE0ELb0ES3_N6thrust23THRUST_200600_302600_NS6detail15normal_iteratorINS9_10device_ptrIiEEEENSB_INSC_IjEEEESG_jNS9_4plusIvEENS9_8equal_toIvEEjEE10hipError_tPvRmT2_T3_T4_T5_mT6_T7_P12ihipStream_tbENKUlT_T0_E_clISt17integral_constantIbLb0EES11_EEDaSW_SX_EUlSW_E_NS1_11comp_targetILNS1_3genE0ELNS1_11target_archE4294967295ELNS1_3gpuE0ELNS1_3repE0EEENS1_30default_config_static_selectorELNS0_4arch9wavefront6targetE1EEEvT1_,comdat
	.protected	_ZN7rocprim17ROCPRIM_400000_NS6detail17trampoline_kernelINS0_14default_configENS1_27scan_by_key_config_selectorIijEEZZNS1_16scan_by_key_implILNS1_25lookback_scan_determinismE0ELb0ES3_N6thrust23THRUST_200600_302600_NS6detail15normal_iteratorINS9_10device_ptrIiEEEENSB_INSC_IjEEEESG_jNS9_4plusIvEENS9_8equal_toIvEEjEE10hipError_tPvRmT2_T3_T4_T5_mT6_T7_P12ihipStream_tbENKUlT_T0_E_clISt17integral_constantIbLb0EES11_EEDaSW_SX_EUlSW_E_NS1_11comp_targetILNS1_3genE0ELNS1_11target_archE4294967295ELNS1_3gpuE0ELNS1_3repE0EEENS1_30default_config_static_selectorELNS0_4arch9wavefront6targetE1EEEvT1_ ; -- Begin function _ZN7rocprim17ROCPRIM_400000_NS6detail17trampoline_kernelINS0_14default_configENS1_27scan_by_key_config_selectorIijEEZZNS1_16scan_by_key_implILNS1_25lookback_scan_determinismE0ELb0ES3_N6thrust23THRUST_200600_302600_NS6detail15normal_iteratorINS9_10device_ptrIiEEEENSB_INSC_IjEEEESG_jNS9_4plusIvEENS9_8equal_toIvEEjEE10hipError_tPvRmT2_T3_T4_T5_mT6_T7_P12ihipStream_tbENKUlT_T0_E_clISt17integral_constantIbLb0EES11_EEDaSW_SX_EUlSW_E_NS1_11comp_targetILNS1_3genE0ELNS1_11target_archE4294967295ELNS1_3gpuE0ELNS1_3repE0EEENS1_30default_config_static_selectorELNS0_4arch9wavefront6targetE1EEEvT1_
	.globl	_ZN7rocprim17ROCPRIM_400000_NS6detail17trampoline_kernelINS0_14default_configENS1_27scan_by_key_config_selectorIijEEZZNS1_16scan_by_key_implILNS1_25lookback_scan_determinismE0ELb0ES3_N6thrust23THRUST_200600_302600_NS6detail15normal_iteratorINS9_10device_ptrIiEEEENSB_INSC_IjEEEESG_jNS9_4plusIvEENS9_8equal_toIvEEjEE10hipError_tPvRmT2_T3_T4_T5_mT6_T7_P12ihipStream_tbENKUlT_T0_E_clISt17integral_constantIbLb0EES11_EEDaSW_SX_EUlSW_E_NS1_11comp_targetILNS1_3genE0ELNS1_11target_archE4294967295ELNS1_3gpuE0ELNS1_3repE0EEENS1_30default_config_static_selectorELNS0_4arch9wavefront6targetE1EEEvT1_
	.p2align	8
	.type	_ZN7rocprim17ROCPRIM_400000_NS6detail17trampoline_kernelINS0_14default_configENS1_27scan_by_key_config_selectorIijEEZZNS1_16scan_by_key_implILNS1_25lookback_scan_determinismE0ELb0ES3_N6thrust23THRUST_200600_302600_NS6detail15normal_iteratorINS9_10device_ptrIiEEEENSB_INSC_IjEEEESG_jNS9_4plusIvEENS9_8equal_toIvEEjEE10hipError_tPvRmT2_T3_T4_T5_mT6_T7_P12ihipStream_tbENKUlT_T0_E_clISt17integral_constantIbLb0EES11_EEDaSW_SX_EUlSW_E_NS1_11comp_targetILNS1_3genE0ELNS1_11target_archE4294967295ELNS1_3gpuE0ELNS1_3repE0EEENS1_30default_config_static_selectorELNS0_4arch9wavefront6targetE1EEEvT1_,@function
_ZN7rocprim17ROCPRIM_400000_NS6detail17trampoline_kernelINS0_14default_configENS1_27scan_by_key_config_selectorIijEEZZNS1_16scan_by_key_implILNS1_25lookback_scan_determinismE0ELb0ES3_N6thrust23THRUST_200600_302600_NS6detail15normal_iteratorINS9_10device_ptrIiEEEENSB_INSC_IjEEEESG_jNS9_4plusIvEENS9_8equal_toIvEEjEE10hipError_tPvRmT2_T3_T4_T5_mT6_T7_P12ihipStream_tbENKUlT_T0_E_clISt17integral_constantIbLb0EES11_EEDaSW_SX_EUlSW_E_NS1_11comp_targetILNS1_3genE0ELNS1_11target_archE4294967295ELNS1_3gpuE0ELNS1_3repE0EEENS1_30default_config_static_selectorELNS0_4arch9wavefront6targetE1EEEvT1_: ; @_ZN7rocprim17ROCPRIM_400000_NS6detail17trampoline_kernelINS0_14default_configENS1_27scan_by_key_config_selectorIijEEZZNS1_16scan_by_key_implILNS1_25lookback_scan_determinismE0ELb0ES3_N6thrust23THRUST_200600_302600_NS6detail15normal_iteratorINS9_10device_ptrIiEEEENSB_INSC_IjEEEESG_jNS9_4plusIvEENS9_8equal_toIvEEjEE10hipError_tPvRmT2_T3_T4_T5_mT6_T7_P12ihipStream_tbENKUlT_T0_E_clISt17integral_constantIbLb0EES11_EEDaSW_SX_EUlSW_E_NS1_11comp_targetILNS1_3genE0ELNS1_11target_archE4294967295ELNS1_3gpuE0ELNS1_3repE0EEENS1_30default_config_static_selectorELNS0_4arch9wavefront6targetE1EEEvT1_
; %bb.0:
	.section	.rodata,"a",@progbits
	.p2align	6, 0x0
	.amdhsa_kernel _ZN7rocprim17ROCPRIM_400000_NS6detail17trampoline_kernelINS0_14default_configENS1_27scan_by_key_config_selectorIijEEZZNS1_16scan_by_key_implILNS1_25lookback_scan_determinismE0ELb0ES3_N6thrust23THRUST_200600_302600_NS6detail15normal_iteratorINS9_10device_ptrIiEEEENSB_INSC_IjEEEESG_jNS9_4plusIvEENS9_8equal_toIvEEjEE10hipError_tPvRmT2_T3_T4_T5_mT6_T7_P12ihipStream_tbENKUlT_T0_E_clISt17integral_constantIbLb0EES11_EEDaSW_SX_EUlSW_E_NS1_11comp_targetILNS1_3genE0ELNS1_11target_archE4294967295ELNS1_3gpuE0ELNS1_3repE0EEENS1_30default_config_static_selectorELNS0_4arch9wavefront6targetE1EEEvT1_
		.amdhsa_group_segment_fixed_size 0
		.amdhsa_private_segment_fixed_size 0
		.amdhsa_kernarg_size 112
		.amdhsa_user_sgpr_count 6
		.amdhsa_user_sgpr_private_segment_buffer 1
		.amdhsa_user_sgpr_dispatch_ptr 0
		.amdhsa_user_sgpr_queue_ptr 0
		.amdhsa_user_sgpr_kernarg_segment_ptr 1
		.amdhsa_user_sgpr_dispatch_id 0
		.amdhsa_user_sgpr_flat_scratch_init 0
		.amdhsa_user_sgpr_kernarg_preload_length 0
		.amdhsa_user_sgpr_kernarg_preload_offset 0
		.amdhsa_user_sgpr_private_segment_size 0
		.amdhsa_uses_dynamic_stack 0
		.amdhsa_system_sgpr_private_segment_wavefront_offset 0
		.amdhsa_system_sgpr_workgroup_id_x 1
		.amdhsa_system_sgpr_workgroup_id_y 0
		.amdhsa_system_sgpr_workgroup_id_z 0
		.amdhsa_system_sgpr_workgroup_info 0
		.amdhsa_system_vgpr_workitem_id 0
		.amdhsa_next_free_vgpr 1
		.amdhsa_next_free_sgpr 0
		.amdhsa_accum_offset 4
		.amdhsa_reserve_vcc 0
		.amdhsa_reserve_flat_scratch 0
		.amdhsa_float_round_mode_32 0
		.amdhsa_float_round_mode_16_64 0
		.amdhsa_float_denorm_mode_32 3
		.amdhsa_float_denorm_mode_16_64 3
		.amdhsa_dx10_clamp 1
		.amdhsa_ieee_mode 1
		.amdhsa_fp16_overflow 0
		.amdhsa_tg_split 0
		.amdhsa_exception_fp_ieee_invalid_op 0
		.amdhsa_exception_fp_denorm_src 0
		.amdhsa_exception_fp_ieee_div_zero 0
		.amdhsa_exception_fp_ieee_overflow 0
		.amdhsa_exception_fp_ieee_underflow 0
		.amdhsa_exception_fp_ieee_inexact 0
		.amdhsa_exception_int_div_zero 0
	.end_amdhsa_kernel
	.section	.text._ZN7rocprim17ROCPRIM_400000_NS6detail17trampoline_kernelINS0_14default_configENS1_27scan_by_key_config_selectorIijEEZZNS1_16scan_by_key_implILNS1_25lookback_scan_determinismE0ELb0ES3_N6thrust23THRUST_200600_302600_NS6detail15normal_iteratorINS9_10device_ptrIiEEEENSB_INSC_IjEEEESG_jNS9_4plusIvEENS9_8equal_toIvEEjEE10hipError_tPvRmT2_T3_T4_T5_mT6_T7_P12ihipStream_tbENKUlT_T0_E_clISt17integral_constantIbLb0EES11_EEDaSW_SX_EUlSW_E_NS1_11comp_targetILNS1_3genE0ELNS1_11target_archE4294967295ELNS1_3gpuE0ELNS1_3repE0EEENS1_30default_config_static_selectorELNS0_4arch9wavefront6targetE1EEEvT1_,"axG",@progbits,_ZN7rocprim17ROCPRIM_400000_NS6detail17trampoline_kernelINS0_14default_configENS1_27scan_by_key_config_selectorIijEEZZNS1_16scan_by_key_implILNS1_25lookback_scan_determinismE0ELb0ES3_N6thrust23THRUST_200600_302600_NS6detail15normal_iteratorINS9_10device_ptrIiEEEENSB_INSC_IjEEEESG_jNS9_4plusIvEENS9_8equal_toIvEEjEE10hipError_tPvRmT2_T3_T4_T5_mT6_T7_P12ihipStream_tbENKUlT_T0_E_clISt17integral_constantIbLb0EES11_EEDaSW_SX_EUlSW_E_NS1_11comp_targetILNS1_3genE0ELNS1_11target_archE4294967295ELNS1_3gpuE0ELNS1_3repE0EEENS1_30default_config_static_selectorELNS0_4arch9wavefront6targetE1EEEvT1_,comdat
.Lfunc_end1221:
	.size	_ZN7rocprim17ROCPRIM_400000_NS6detail17trampoline_kernelINS0_14default_configENS1_27scan_by_key_config_selectorIijEEZZNS1_16scan_by_key_implILNS1_25lookback_scan_determinismE0ELb0ES3_N6thrust23THRUST_200600_302600_NS6detail15normal_iteratorINS9_10device_ptrIiEEEENSB_INSC_IjEEEESG_jNS9_4plusIvEENS9_8equal_toIvEEjEE10hipError_tPvRmT2_T3_T4_T5_mT6_T7_P12ihipStream_tbENKUlT_T0_E_clISt17integral_constantIbLb0EES11_EEDaSW_SX_EUlSW_E_NS1_11comp_targetILNS1_3genE0ELNS1_11target_archE4294967295ELNS1_3gpuE0ELNS1_3repE0EEENS1_30default_config_static_selectorELNS0_4arch9wavefront6targetE1EEEvT1_, .Lfunc_end1221-_ZN7rocprim17ROCPRIM_400000_NS6detail17trampoline_kernelINS0_14default_configENS1_27scan_by_key_config_selectorIijEEZZNS1_16scan_by_key_implILNS1_25lookback_scan_determinismE0ELb0ES3_N6thrust23THRUST_200600_302600_NS6detail15normal_iteratorINS9_10device_ptrIiEEEENSB_INSC_IjEEEESG_jNS9_4plusIvEENS9_8equal_toIvEEjEE10hipError_tPvRmT2_T3_T4_T5_mT6_T7_P12ihipStream_tbENKUlT_T0_E_clISt17integral_constantIbLb0EES11_EEDaSW_SX_EUlSW_E_NS1_11comp_targetILNS1_3genE0ELNS1_11target_archE4294967295ELNS1_3gpuE0ELNS1_3repE0EEENS1_30default_config_static_selectorELNS0_4arch9wavefront6targetE1EEEvT1_
                                        ; -- End function
	.section	.AMDGPU.csdata,"",@progbits
; Kernel info:
; codeLenInByte = 0
; NumSgprs: 4
; NumVgprs: 0
; NumAgprs: 0
; TotalNumVgprs: 0
; ScratchSize: 0
; MemoryBound: 0
; FloatMode: 240
; IeeeMode: 1
; LDSByteSize: 0 bytes/workgroup (compile time only)
; SGPRBlocks: 0
; VGPRBlocks: 0
; NumSGPRsForWavesPerEU: 4
; NumVGPRsForWavesPerEU: 1
; AccumOffset: 4
; Occupancy: 8
; WaveLimiterHint : 0
; COMPUTE_PGM_RSRC2:SCRATCH_EN: 0
; COMPUTE_PGM_RSRC2:USER_SGPR: 6
; COMPUTE_PGM_RSRC2:TRAP_HANDLER: 0
; COMPUTE_PGM_RSRC2:TGID_X_EN: 1
; COMPUTE_PGM_RSRC2:TGID_Y_EN: 0
; COMPUTE_PGM_RSRC2:TGID_Z_EN: 0
; COMPUTE_PGM_RSRC2:TIDIG_COMP_CNT: 0
; COMPUTE_PGM_RSRC3_GFX90A:ACCUM_OFFSET: 0
; COMPUTE_PGM_RSRC3_GFX90A:TG_SPLIT: 0
	.section	.text._ZN7rocprim17ROCPRIM_400000_NS6detail17trampoline_kernelINS0_14default_configENS1_27scan_by_key_config_selectorIijEEZZNS1_16scan_by_key_implILNS1_25lookback_scan_determinismE0ELb0ES3_N6thrust23THRUST_200600_302600_NS6detail15normal_iteratorINS9_10device_ptrIiEEEENSB_INSC_IjEEEESG_jNS9_4plusIvEENS9_8equal_toIvEEjEE10hipError_tPvRmT2_T3_T4_T5_mT6_T7_P12ihipStream_tbENKUlT_T0_E_clISt17integral_constantIbLb0EES11_EEDaSW_SX_EUlSW_E_NS1_11comp_targetILNS1_3genE10ELNS1_11target_archE1201ELNS1_3gpuE5ELNS1_3repE0EEENS1_30default_config_static_selectorELNS0_4arch9wavefront6targetE1EEEvT1_,"axG",@progbits,_ZN7rocprim17ROCPRIM_400000_NS6detail17trampoline_kernelINS0_14default_configENS1_27scan_by_key_config_selectorIijEEZZNS1_16scan_by_key_implILNS1_25lookback_scan_determinismE0ELb0ES3_N6thrust23THRUST_200600_302600_NS6detail15normal_iteratorINS9_10device_ptrIiEEEENSB_INSC_IjEEEESG_jNS9_4plusIvEENS9_8equal_toIvEEjEE10hipError_tPvRmT2_T3_T4_T5_mT6_T7_P12ihipStream_tbENKUlT_T0_E_clISt17integral_constantIbLb0EES11_EEDaSW_SX_EUlSW_E_NS1_11comp_targetILNS1_3genE10ELNS1_11target_archE1201ELNS1_3gpuE5ELNS1_3repE0EEENS1_30default_config_static_selectorELNS0_4arch9wavefront6targetE1EEEvT1_,comdat
	.protected	_ZN7rocprim17ROCPRIM_400000_NS6detail17trampoline_kernelINS0_14default_configENS1_27scan_by_key_config_selectorIijEEZZNS1_16scan_by_key_implILNS1_25lookback_scan_determinismE0ELb0ES3_N6thrust23THRUST_200600_302600_NS6detail15normal_iteratorINS9_10device_ptrIiEEEENSB_INSC_IjEEEESG_jNS9_4plusIvEENS9_8equal_toIvEEjEE10hipError_tPvRmT2_T3_T4_T5_mT6_T7_P12ihipStream_tbENKUlT_T0_E_clISt17integral_constantIbLb0EES11_EEDaSW_SX_EUlSW_E_NS1_11comp_targetILNS1_3genE10ELNS1_11target_archE1201ELNS1_3gpuE5ELNS1_3repE0EEENS1_30default_config_static_selectorELNS0_4arch9wavefront6targetE1EEEvT1_ ; -- Begin function _ZN7rocprim17ROCPRIM_400000_NS6detail17trampoline_kernelINS0_14default_configENS1_27scan_by_key_config_selectorIijEEZZNS1_16scan_by_key_implILNS1_25lookback_scan_determinismE0ELb0ES3_N6thrust23THRUST_200600_302600_NS6detail15normal_iteratorINS9_10device_ptrIiEEEENSB_INSC_IjEEEESG_jNS9_4plusIvEENS9_8equal_toIvEEjEE10hipError_tPvRmT2_T3_T4_T5_mT6_T7_P12ihipStream_tbENKUlT_T0_E_clISt17integral_constantIbLb0EES11_EEDaSW_SX_EUlSW_E_NS1_11comp_targetILNS1_3genE10ELNS1_11target_archE1201ELNS1_3gpuE5ELNS1_3repE0EEENS1_30default_config_static_selectorELNS0_4arch9wavefront6targetE1EEEvT1_
	.globl	_ZN7rocprim17ROCPRIM_400000_NS6detail17trampoline_kernelINS0_14default_configENS1_27scan_by_key_config_selectorIijEEZZNS1_16scan_by_key_implILNS1_25lookback_scan_determinismE0ELb0ES3_N6thrust23THRUST_200600_302600_NS6detail15normal_iteratorINS9_10device_ptrIiEEEENSB_INSC_IjEEEESG_jNS9_4plusIvEENS9_8equal_toIvEEjEE10hipError_tPvRmT2_T3_T4_T5_mT6_T7_P12ihipStream_tbENKUlT_T0_E_clISt17integral_constantIbLb0EES11_EEDaSW_SX_EUlSW_E_NS1_11comp_targetILNS1_3genE10ELNS1_11target_archE1201ELNS1_3gpuE5ELNS1_3repE0EEENS1_30default_config_static_selectorELNS0_4arch9wavefront6targetE1EEEvT1_
	.p2align	8
	.type	_ZN7rocprim17ROCPRIM_400000_NS6detail17trampoline_kernelINS0_14default_configENS1_27scan_by_key_config_selectorIijEEZZNS1_16scan_by_key_implILNS1_25lookback_scan_determinismE0ELb0ES3_N6thrust23THRUST_200600_302600_NS6detail15normal_iteratorINS9_10device_ptrIiEEEENSB_INSC_IjEEEESG_jNS9_4plusIvEENS9_8equal_toIvEEjEE10hipError_tPvRmT2_T3_T4_T5_mT6_T7_P12ihipStream_tbENKUlT_T0_E_clISt17integral_constantIbLb0EES11_EEDaSW_SX_EUlSW_E_NS1_11comp_targetILNS1_3genE10ELNS1_11target_archE1201ELNS1_3gpuE5ELNS1_3repE0EEENS1_30default_config_static_selectorELNS0_4arch9wavefront6targetE1EEEvT1_,@function
_ZN7rocprim17ROCPRIM_400000_NS6detail17trampoline_kernelINS0_14default_configENS1_27scan_by_key_config_selectorIijEEZZNS1_16scan_by_key_implILNS1_25lookback_scan_determinismE0ELb0ES3_N6thrust23THRUST_200600_302600_NS6detail15normal_iteratorINS9_10device_ptrIiEEEENSB_INSC_IjEEEESG_jNS9_4plusIvEENS9_8equal_toIvEEjEE10hipError_tPvRmT2_T3_T4_T5_mT6_T7_P12ihipStream_tbENKUlT_T0_E_clISt17integral_constantIbLb0EES11_EEDaSW_SX_EUlSW_E_NS1_11comp_targetILNS1_3genE10ELNS1_11target_archE1201ELNS1_3gpuE5ELNS1_3repE0EEENS1_30default_config_static_selectorELNS0_4arch9wavefront6targetE1EEEvT1_: ; @_ZN7rocprim17ROCPRIM_400000_NS6detail17trampoline_kernelINS0_14default_configENS1_27scan_by_key_config_selectorIijEEZZNS1_16scan_by_key_implILNS1_25lookback_scan_determinismE0ELb0ES3_N6thrust23THRUST_200600_302600_NS6detail15normal_iteratorINS9_10device_ptrIiEEEENSB_INSC_IjEEEESG_jNS9_4plusIvEENS9_8equal_toIvEEjEE10hipError_tPvRmT2_T3_T4_T5_mT6_T7_P12ihipStream_tbENKUlT_T0_E_clISt17integral_constantIbLb0EES11_EEDaSW_SX_EUlSW_E_NS1_11comp_targetILNS1_3genE10ELNS1_11target_archE1201ELNS1_3gpuE5ELNS1_3repE0EEENS1_30default_config_static_selectorELNS0_4arch9wavefront6targetE1EEEvT1_
; %bb.0:
	.section	.rodata,"a",@progbits
	.p2align	6, 0x0
	.amdhsa_kernel _ZN7rocprim17ROCPRIM_400000_NS6detail17trampoline_kernelINS0_14default_configENS1_27scan_by_key_config_selectorIijEEZZNS1_16scan_by_key_implILNS1_25lookback_scan_determinismE0ELb0ES3_N6thrust23THRUST_200600_302600_NS6detail15normal_iteratorINS9_10device_ptrIiEEEENSB_INSC_IjEEEESG_jNS9_4plusIvEENS9_8equal_toIvEEjEE10hipError_tPvRmT2_T3_T4_T5_mT6_T7_P12ihipStream_tbENKUlT_T0_E_clISt17integral_constantIbLb0EES11_EEDaSW_SX_EUlSW_E_NS1_11comp_targetILNS1_3genE10ELNS1_11target_archE1201ELNS1_3gpuE5ELNS1_3repE0EEENS1_30default_config_static_selectorELNS0_4arch9wavefront6targetE1EEEvT1_
		.amdhsa_group_segment_fixed_size 0
		.amdhsa_private_segment_fixed_size 0
		.amdhsa_kernarg_size 112
		.amdhsa_user_sgpr_count 6
		.amdhsa_user_sgpr_private_segment_buffer 1
		.amdhsa_user_sgpr_dispatch_ptr 0
		.amdhsa_user_sgpr_queue_ptr 0
		.amdhsa_user_sgpr_kernarg_segment_ptr 1
		.amdhsa_user_sgpr_dispatch_id 0
		.amdhsa_user_sgpr_flat_scratch_init 0
		.amdhsa_user_sgpr_kernarg_preload_length 0
		.amdhsa_user_sgpr_kernarg_preload_offset 0
		.amdhsa_user_sgpr_private_segment_size 0
		.amdhsa_uses_dynamic_stack 0
		.amdhsa_system_sgpr_private_segment_wavefront_offset 0
		.amdhsa_system_sgpr_workgroup_id_x 1
		.amdhsa_system_sgpr_workgroup_id_y 0
		.amdhsa_system_sgpr_workgroup_id_z 0
		.amdhsa_system_sgpr_workgroup_info 0
		.amdhsa_system_vgpr_workitem_id 0
		.amdhsa_next_free_vgpr 1
		.amdhsa_next_free_sgpr 0
		.amdhsa_accum_offset 4
		.amdhsa_reserve_vcc 0
		.amdhsa_reserve_flat_scratch 0
		.amdhsa_float_round_mode_32 0
		.amdhsa_float_round_mode_16_64 0
		.amdhsa_float_denorm_mode_32 3
		.amdhsa_float_denorm_mode_16_64 3
		.amdhsa_dx10_clamp 1
		.amdhsa_ieee_mode 1
		.amdhsa_fp16_overflow 0
		.amdhsa_tg_split 0
		.amdhsa_exception_fp_ieee_invalid_op 0
		.amdhsa_exception_fp_denorm_src 0
		.amdhsa_exception_fp_ieee_div_zero 0
		.amdhsa_exception_fp_ieee_overflow 0
		.amdhsa_exception_fp_ieee_underflow 0
		.amdhsa_exception_fp_ieee_inexact 0
		.amdhsa_exception_int_div_zero 0
	.end_amdhsa_kernel
	.section	.text._ZN7rocprim17ROCPRIM_400000_NS6detail17trampoline_kernelINS0_14default_configENS1_27scan_by_key_config_selectorIijEEZZNS1_16scan_by_key_implILNS1_25lookback_scan_determinismE0ELb0ES3_N6thrust23THRUST_200600_302600_NS6detail15normal_iteratorINS9_10device_ptrIiEEEENSB_INSC_IjEEEESG_jNS9_4plusIvEENS9_8equal_toIvEEjEE10hipError_tPvRmT2_T3_T4_T5_mT6_T7_P12ihipStream_tbENKUlT_T0_E_clISt17integral_constantIbLb0EES11_EEDaSW_SX_EUlSW_E_NS1_11comp_targetILNS1_3genE10ELNS1_11target_archE1201ELNS1_3gpuE5ELNS1_3repE0EEENS1_30default_config_static_selectorELNS0_4arch9wavefront6targetE1EEEvT1_,"axG",@progbits,_ZN7rocprim17ROCPRIM_400000_NS6detail17trampoline_kernelINS0_14default_configENS1_27scan_by_key_config_selectorIijEEZZNS1_16scan_by_key_implILNS1_25lookback_scan_determinismE0ELb0ES3_N6thrust23THRUST_200600_302600_NS6detail15normal_iteratorINS9_10device_ptrIiEEEENSB_INSC_IjEEEESG_jNS9_4plusIvEENS9_8equal_toIvEEjEE10hipError_tPvRmT2_T3_T4_T5_mT6_T7_P12ihipStream_tbENKUlT_T0_E_clISt17integral_constantIbLb0EES11_EEDaSW_SX_EUlSW_E_NS1_11comp_targetILNS1_3genE10ELNS1_11target_archE1201ELNS1_3gpuE5ELNS1_3repE0EEENS1_30default_config_static_selectorELNS0_4arch9wavefront6targetE1EEEvT1_,comdat
.Lfunc_end1222:
	.size	_ZN7rocprim17ROCPRIM_400000_NS6detail17trampoline_kernelINS0_14default_configENS1_27scan_by_key_config_selectorIijEEZZNS1_16scan_by_key_implILNS1_25lookback_scan_determinismE0ELb0ES3_N6thrust23THRUST_200600_302600_NS6detail15normal_iteratorINS9_10device_ptrIiEEEENSB_INSC_IjEEEESG_jNS9_4plusIvEENS9_8equal_toIvEEjEE10hipError_tPvRmT2_T3_T4_T5_mT6_T7_P12ihipStream_tbENKUlT_T0_E_clISt17integral_constantIbLb0EES11_EEDaSW_SX_EUlSW_E_NS1_11comp_targetILNS1_3genE10ELNS1_11target_archE1201ELNS1_3gpuE5ELNS1_3repE0EEENS1_30default_config_static_selectorELNS0_4arch9wavefront6targetE1EEEvT1_, .Lfunc_end1222-_ZN7rocprim17ROCPRIM_400000_NS6detail17trampoline_kernelINS0_14default_configENS1_27scan_by_key_config_selectorIijEEZZNS1_16scan_by_key_implILNS1_25lookback_scan_determinismE0ELb0ES3_N6thrust23THRUST_200600_302600_NS6detail15normal_iteratorINS9_10device_ptrIiEEEENSB_INSC_IjEEEESG_jNS9_4plusIvEENS9_8equal_toIvEEjEE10hipError_tPvRmT2_T3_T4_T5_mT6_T7_P12ihipStream_tbENKUlT_T0_E_clISt17integral_constantIbLb0EES11_EEDaSW_SX_EUlSW_E_NS1_11comp_targetILNS1_3genE10ELNS1_11target_archE1201ELNS1_3gpuE5ELNS1_3repE0EEENS1_30default_config_static_selectorELNS0_4arch9wavefront6targetE1EEEvT1_
                                        ; -- End function
	.section	.AMDGPU.csdata,"",@progbits
; Kernel info:
; codeLenInByte = 0
; NumSgprs: 4
; NumVgprs: 0
; NumAgprs: 0
; TotalNumVgprs: 0
; ScratchSize: 0
; MemoryBound: 0
; FloatMode: 240
; IeeeMode: 1
; LDSByteSize: 0 bytes/workgroup (compile time only)
; SGPRBlocks: 0
; VGPRBlocks: 0
; NumSGPRsForWavesPerEU: 4
; NumVGPRsForWavesPerEU: 1
; AccumOffset: 4
; Occupancy: 8
; WaveLimiterHint : 0
; COMPUTE_PGM_RSRC2:SCRATCH_EN: 0
; COMPUTE_PGM_RSRC2:USER_SGPR: 6
; COMPUTE_PGM_RSRC2:TRAP_HANDLER: 0
; COMPUTE_PGM_RSRC2:TGID_X_EN: 1
; COMPUTE_PGM_RSRC2:TGID_Y_EN: 0
; COMPUTE_PGM_RSRC2:TGID_Z_EN: 0
; COMPUTE_PGM_RSRC2:TIDIG_COMP_CNT: 0
; COMPUTE_PGM_RSRC3_GFX90A:ACCUM_OFFSET: 0
; COMPUTE_PGM_RSRC3_GFX90A:TG_SPLIT: 0
	.section	.text._ZN7rocprim17ROCPRIM_400000_NS6detail17trampoline_kernelINS0_14default_configENS1_27scan_by_key_config_selectorIijEEZZNS1_16scan_by_key_implILNS1_25lookback_scan_determinismE0ELb0ES3_N6thrust23THRUST_200600_302600_NS6detail15normal_iteratorINS9_10device_ptrIiEEEENSB_INSC_IjEEEESG_jNS9_4plusIvEENS9_8equal_toIvEEjEE10hipError_tPvRmT2_T3_T4_T5_mT6_T7_P12ihipStream_tbENKUlT_T0_E_clISt17integral_constantIbLb0EES11_EEDaSW_SX_EUlSW_E_NS1_11comp_targetILNS1_3genE5ELNS1_11target_archE942ELNS1_3gpuE9ELNS1_3repE0EEENS1_30default_config_static_selectorELNS0_4arch9wavefront6targetE1EEEvT1_,"axG",@progbits,_ZN7rocprim17ROCPRIM_400000_NS6detail17trampoline_kernelINS0_14default_configENS1_27scan_by_key_config_selectorIijEEZZNS1_16scan_by_key_implILNS1_25lookback_scan_determinismE0ELb0ES3_N6thrust23THRUST_200600_302600_NS6detail15normal_iteratorINS9_10device_ptrIiEEEENSB_INSC_IjEEEESG_jNS9_4plusIvEENS9_8equal_toIvEEjEE10hipError_tPvRmT2_T3_T4_T5_mT6_T7_P12ihipStream_tbENKUlT_T0_E_clISt17integral_constantIbLb0EES11_EEDaSW_SX_EUlSW_E_NS1_11comp_targetILNS1_3genE5ELNS1_11target_archE942ELNS1_3gpuE9ELNS1_3repE0EEENS1_30default_config_static_selectorELNS0_4arch9wavefront6targetE1EEEvT1_,comdat
	.protected	_ZN7rocprim17ROCPRIM_400000_NS6detail17trampoline_kernelINS0_14default_configENS1_27scan_by_key_config_selectorIijEEZZNS1_16scan_by_key_implILNS1_25lookback_scan_determinismE0ELb0ES3_N6thrust23THRUST_200600_302600_NS6detail15normal_iteratorINS9_10device_ptrIiEEEENSB_INSC_IjEEEESG_jNS9_4plusIvEENS9_8equal_toIvEEjEE10hipError_tPvRmT2_T3_T4_T5_mT6_T7_P12ihipStream_tbENKUlT_T0_E_clISt17integral_constantIbLb0EES11_EEDaSW_SX_EUlSW_E_NS1_11comp_targetILNS1_3genE5ELNS1_11target_archE942ELNS1_3gpuE9ELNS1_3repE0EEENS1_30default_config_static_selectorELNS0_4arch9wavefront6targetE1EEEvT1_ ; -- Begin function _ZN7rocprim17ROCPRIM_400000_NS6detail17trampoline_kernelINS0_14default_configENS1_27scan_by_key_config_selectorIijEEZZNS1_16scan_by_key_implILNS1_25lookback_scan_determinismE0ELb0ES3_N6thrust23THRUST_200600_302600_NS6detail15normal_iteratorINS9_10device_ptrIiEEEENSB_INSC_IjEEEESG_jNS9_4plusIvEENS9_8equal_toIvEEjEE10hipError_tPvRmT2_T3_T4_T5_mT6_T7_P12ihipStream_tbENKUlT_T0_E_clISt17integral_constantIbLb0EES11_EEDaSW_SX_EUlSW_E_NS1_11comp_targetILNS1_3genE5ELNS1_11target_archE942ELNS1_3gpuE9ELNS1_3repE0EEENS1_30default_config_static_selectorELNS0_4arch9wavefront6targetE1EEEvT1_
	.globl	_ZN7rocprim17ROCPRIM_400000_NS6detail17trampoline_kernelINS0_14default_configENS1_27scan_by_key_config_selectorIijEEZZNS1_16scan_by_key_implILNS1_25lookback_scan_determinismE0ELb0ES3_N6thrust23THRUST_200600_302600_NS6detail15normal_iteratorINS9_10device_ptrIiEEEENSB_INSC_IjEEEESG_jNS9_4plusIvEENS9_8equal_toIvEEjEE10hipError_tPvRmT2_T3_T4_T5_mT6_T7_P12ihipStream_tbENKUlT_T0_E_clISt17integral_constantIbLb0EES11_EEDaSW_SX_EUlSW_E_NS1_11comp_targetILNS1_3genE5ELNS1_11target_archE942ELNS1_3gpuE9ELNS1_3repE0EEENS1_30default_config_static_selectorELNS0_4arch9wavefront6targetE1EEEvT1_
	.p2align	8
	.type	_ZN7rocprim17ROCPRIM_400000_NS6detail17trampoline_kernelINS0_14default_configENS1_27scan_by_key_config_selectorIijEEZZNS1_16scan_by_key_implILNS1_25lookback_scan_determinismE0ELb0ES3_N6thrust23THRUST_200600_302600_NS6detail15normal_iteratorINS9_10device_ptrIiEEEENSB_INSC_IjEEEESG_jNS9_4plusIvEENS9_8equal_toIvEEjEE10hipError_tPvRmT2_T3_T4_T5_mT6_T7_P12ihipStream_tbENKUlT_T0_E_clISt17integral_constantIbLb0EES11_EEDaSW_SX_EUlSW_E_NS1_11comp_targetILNS1_3genE5ELNS1_11target_archE942ELNS1_3gpuE9ELNS1_3repE0EEENS1_30default_config_static_selectorELNS0_4arch9wavefront6targetE1EEEvT1_,@function
_ZN7rocprim17ROCPRIM_400000_NS6detail17trampoline_kernelINS0_14default_configENS1_27scan_by_key_config_selectorIijEEZZNS1_16scan_by_key_implILNS1_25lookback_scan_determinismE0ELb0ES3_N6thrust23THRUST_200600_302600_NS6detail15normal_iteratorINS9_10device_ptrIiEEEENSB_INSC_IjEEEESG_jNS9_4plusIvEENS9_8equal_toIvEEjEE10hipError_tPvRmT2_T3_T4_T5_mT6_T7_P12ihipStream_tbENKUlT_T0_E_clISt17integral_constantIbLb0EES11_EEDaSW_SX_EUlSW_E_NS1_11comp_targetILNS1_3genE5ELNS1_11target_archE942ELNS1_3gpuE9ELNS1_3repE0EEENS1_30default_config_static_selectorELNS0_4arch9wavefront6targetE1EEEvT1_: ; @_ZN7rocprim17ROCPRIM_400000_NS6detail17trampoline_kernelINS0_14default_configENS1_27scan_by_key_config_selectorIijEEZZNS1_16scan_by_key_implILNS1_25lookback_scan_determinismE0ELb0ES3_N6thrust23THRUST_200600_302600_NS6detail15normal_iteratorINS9_10device_ptrIiEEEENSB_INSC_IjEEEESG_jNS9_4plusIvEENS9_8equal_toIvEEjEE10hipError_tPvRmT2_T3_T4_T5_mT6_T7_P12ihipStream_tbENKUlT_T0_E_clISt17integral_constantIbLb0EES11_EEDaSW_SX_EUlSW_E_NS1_11comp_targetILNS1_3genE5ELNS1_11target_archE942ELNS1_3gpuE9ELNS1_3repE0EEENS1_30default_config_static_selectorELNS0_4arch9wavefront6targetE1EEEvT1_
; %bb.0:
	.section	.rodata,"a",@progbits
	.p2align	6, 0x0
	.amdhsa_kernel _ZN7rocprim17ROCPRIM_400000_NS6detail17trampoline_kernelINS0_14default_configENS1_27scan_by_key_config_selectorIijEEZZNS1_16scan_by_key_implILNS1_25lookback_scan_determinismE0ELb0ES3_N6thrust23THRUST_200600_302600_NS6detail15normal_iteratorINS9_10device_ptrIiEEEENSB_INSC_IjEEEESG_jNS9_4plusIvEENS9_8equal_toIvEEjEE10hipError_tPvRmT2_T3_T4_T5_mT6_T7_P12ihipStream_tbENKUlT_T0_E_clISt17integral_constantIbLb0EES11_EEDaSW_SX_EUlSW_E_NS1_11comp_targetILNS1_3genE5ELNS1_11target_archE942ELNS1_3gpuE9ELNS1_3repE0EEENS1_30default_config_static_selectorELNS0_4arch9wavefront6targetE1EEEvT1_
		.amdhsa_group_segment_fixed_size 0
		.amdhsa_private_segment_fixed_size 0
		.amdhsa_kernarg_size 112
		.amdhsa_user_sgpr_count 6
		.amdhsa_user_sgpr_private_segment_buffer 1
		.amdhsa_user_sgpr_dispatch_ptr 0
		.amdhsa_user_sgpr_queue_ptr 0
		.amdhsa_user_sgpr_kernarg_segment_ptr 1
		.amdhsa_user_sgpr_dispatch_id 0
		.amdhsa_user_sgpr_flat_scratch_init 0
		.amdhsa_user_sgpr_kernarg_preload_length 0
		.amdhsa_user_sgpr_kernarg_preload_offset 0
		.amdhsa_user_sgpr_private_segment_size 0
		.amdhsa_uses_dynamic_stack 0
		.amdhsa_system_sgpr_private_segment_wavefront_offset 0
		.amdhsa_system_sgpr_workgroup_id_x 1
		.amdhsa_system_sgpr_workgroup_id_y 0
		.amdhsa_system_sgpr_workgroup_id_z 0
		.amdhsa_system_sgpr_workgroup_info 0
		.amdhsa_system_vgpr_workitem_id 0
		.amdhsa_next_free_vgpr 1
		.amdhsa_next_free_sgpr 0
		.amdhsa_accum_offset 4
		.amdhsa_reserve_vcc 0
		.amdhsa_reserve_flat_scratch 0
		.amdhsa_float_round_mode_32 0
		.amdhsa_float_round_mode_16_64 0
		.amdhsa_float_denorm_mode_32 3
		.amdhsa_float_denorm_mode_16_64 3
		.amdhsa_dx10_clamp 1
		.amdhsa_ieee_mode 1
		.amdhsa_fp16_overflow 0
		.amdhsa_tg_split 0
		.amdhsa_exception_fp_ieee_invalid_op 0
		.amdhsa_exception_fp_denorm_src 0
		.amdhsa_exception_fp_ieee_div_zero 0
		.amdhsa_exception_fp_ieee_overflow 0
		.amdhsa_exception_fp_ieee_underflow 0
		.amdhsa_exception_fp_ieee_inexact 0
		.amdhsa_exception_int_div_zero 0
	.end_amdhsa_kernel
	.section	.text._ZN7rocprim17ROCPRIM_400000_NS6detail17trampoline_kernelINS0_14default_configENS1_27scan_by_key_config_selectorIijEEZZNS1_16scan_by_key_implILNS1_25lookback_scan_determinismE0ELb0ES3_N6thrust23THRUST_200600_302600_NS6detail15normal_iteratorINS9_10device_ptrIiEEEENSB_INSC_IjEEEESG_jNS9_4plusIvEENS9_8equal_toIvEEjEE10hipError_tPvRmT2_T3_T4_T5_mT6_T7_P12ihipStream_tbENKUlT_T0_E_clISt17integral_constantIbLb0EES11_EEDaSW_SX_EUlSW_E_NS1_11comp_targetILNS1_3genE5ELNS1_11target_archE942ELNS1_3gpuE9ELNS1_3repE0EEENS1_30default_config_static_selectorELNS0_4arch9wavefront6targetE1EEEvT1_,"axG",@progbits,_ZN7rocprim17ROCPRIM_400000_NS6detail17trampoline_kernelINS0_14default_configENS1_27scan_by_key_config_selectorIijEEZZNS1_16scan_by_key_implILNS1_25lookback_scan_determinismE0ELb0ES3_N6thrust23THRUST_200600_302600_NS6detail15normal_iteratorINS9_10device_ptrIiEEEENSB_INSC_IjEEEESG_jNS9_4plusIvEENS9_8equal_toIvEEjEE10hipError_tPvRmT2_T3_T4_T5_mT6_T7_P12ihipStream_tbENKUlT_T0_E_clISt17integral_constantIbLb0EES11_EEDaSW_SX_EUlSW_E_NS1_11comp_targetILNS1_3genE5ELNS1_11target_archE942ELNS1_3gpuE9ELNS1_3repE0EEENS1_30default_config_static_selectorELNS0_4arch9wavefront6targetE1EEEvT1_,comdat
.Lfunc_end1223:
	.size	_ZN7rocprim17ROCPRIM_400000_NS6detail17trampoline_kernelINS0_14default_configENS1_27scan_by_key_config_selectorIijEEZZNS1_16scan_by_key_implILNS1_25lookback_scan_determinismE0ELb0ES3_N6thrust23THRUST_200600_302600_NS6detail15normal_iteratorINS9_10device_ptrIiEEEENSB_INSC_IjEEEESG_jNS9_4plusIvEENS9_8equal_toIvEEjEE10hipError_tPvRmT2_T3_T4_T5_mT6_T7_P12ihipStream_tbENKUlT_T0_E_clISt17integral_constantIbLb0EES11_EEDaSW_SX_EUlSW_E_NS1_11comp_targetILNS1_3genE5ELNS1_11target_archE942ELNS1_3gpuE9ELNS1_3repE0EEENS1_30default_config_static_selectorELNS0_4arch9wavefront6targetE1EEEvT1_, .Lfunc_end1223-_ZN7rocprim17ROCPRIM_400000_NS6detail17trampoline_kernelINS0_14default_configENS1_27scan_by_key_config_selectorIijEEZZNS1_16scan_by_key_implILNS1_25lookback_scan_determinismE0ELb0ES3_N6thrust23THRUST_200600_302600_NS6detail15normal_iteratorINS9_10device_ptrIiEEEENSB_INSC_IjEEEESG_jNS9_4plusIvEENS9_8equal_toIvEEjEE10hipError_tPvRmT2_T3_T4_T5_mT6_T7_P12ihipStream_tbENKUlT_T0_E_clISt17integral_constantIbLb0EES11_EEDaSW_SX_EUlSW_E_NS1_11comp_targetILNS1_3genE5ELNS1_11target_archE942ELNS1_3gpuE9ELNS1_3repE0EEENS1_30default_config_static_selectorELNS0_4arch9wavefront6targetE1EEEvT1_
                                        ; -- End function
	.section	.AMDGPU.csdata,"",@progbits
; Kernel info:
; codeLenInByte = 0
; NumSgprs: 4
; NumVgprs: 0
; NumAgprs: 0
; TotalNumVgprs: 0
; ScratchSize: 0
; MemoryBound: 0
; FloatMode: 240
; IeeeMode: 1
; LDSByteSize: 0 bytes/workgroup (compile time only)
; SGPRBlocks: 0
; VGPRBlocks: 0
; NumSGPRsForWavesPerEU: 4
; NumVGPRsForWavesPerEU: 1
; AccumOffset: 4
; Occupancy: 8
; WaveLimiterHint : 0
; COMPUTE_PGM_RSRC2:SCRATCH_EN: 0
; COMPUTE_PGM_RSRC2:USER_SGPR: 6
; COMPUTE_PGM_RSRC2:TRAP_HANDLER: 0
; COMPUTE_PGM_RSRC2:TGID_X_EN: 1
; COMPUTE_PGM_RSRC2:TGID_Y_EN: 0
; COMPUTE_PGM_RSRC2:TGID_Z_EN: 0
; COMPUTE_PGM_RSRC2:TIDIG_COMP_CNT: 0
; COMPUTE_PGM_RSRC3_GFX90A:ACCUM_OFFSET: 0
; COMPUTE_PGM_RSRC3_GFX90A:TG_SPLIT: 0
	.section	.text._ZN7rocprim17ROCPRIM_400000_NS6detail17trampoline_kernelINS0_14default_configENS1_27scan_by_key_config_selectorIijEEZZNS1_16scan_by_key_implILNS1_25lookback_scan_determinismE0ELb0ES3_N6thrust23THRUST_200600_302600_NS6detail15normal_iteratorINS9_10device_ptrIiEEEENSB_INSC_IjEEEESG_jNS9_4plusIvEENS9_8equal_toIvEEjEE10hipError_tPvRmT2_T3_T4_T5_mT6_T7_P12ihipStream_tbENKUlT_T0_E_clISt17integral_constantIbLb0EES11_EEDaSW_SX_EUlSW_E_NS1_11comp_targetILNS1_3genE4ELNS1_11target_archE910ELNS1_3gpuE8ELNS1_3repE0EEENS1_30default_config_static_selectorELNS0_4arch9wavefront6targetE1EEEvT1_,"axG",@progbits,_ZN7rocprim17ROCPRIM_400000_NS6detail17trampoline_kernelINS0_14default_configENS1_27scan_by_key_config_selectorIijEEZZNS1_16scan_by_key_implILNS1_25lookback_scan_determinismE0ELb0ES3_N6thrust23THRUST_200600_302600_NS6detail15normal_iteratorINS9_10device_ptrIiEEEENSB_INSC_IjEEEESG_jNS9_4plusIvEENS9_8equal_toIvEEjEE10hipError_tPvRmT2_T3_T4_T5_mT6_T7_P12ihipStream_tbENKUlT_T0_E_clISt17integral_constantIbLb0EES11_EEDaSW_SX_EUlSW_E_NS1_11comp_targetILNS1_3genE4ELNS1_11target_archE910ELNS1_3gpuE8ELNS1_3repE0EEENS1_30default_config_static_selectorELNS0_4arch9wavefront6targetE1EEEvT1_,comdat
	.protected	_ZN7rocprim17ROCPRIM_400000_NS6detail17trampoline_kernelINS0_14default_configENS1_27scan_by_key_config_selectorIijEEZZNS1_16scan_by_key_implILNS1_25lookback_scan_determinismE0ELb0ES3_N6thrust23THRUST_200600_302600_NS6detail15normal_iteratorINS9_10device_ptrIiEEEENSB_INSC_IjEEEESG_jNS9_4plusIvEENS9_8equal_toIvEEjEE10hipError_tPvRmT2_T3_T4_T5_mT6_T7_P12ihipStream_tbENKUlT_T0_E_clISt17integral_constantIbLb0EES11_EEDaSW_SX_EUlSW_E_NS1_11comp_targetILNS1_3genE4ELNS1_11target_archE910ELNS1_3gpuE8ELNS1_3repE0EEENS1_30default_config_static_selectorELNS0_4arch9wavefront6targetE1EEEvT1_ ; -- Begin function _ZN7rocprim17ROCPRIM_400000_NS6detail17trampoline_kernelINS0_14default_configENS1_27scan_by_key_config_selectorIijEEZZNS1_16scan_by_key_implILNS1_25lookback_scan_determinismE0ELb0ES3_N6thrust23THRUST_200600_302600_NS6detail15normal_iteratorINS9_10device_ptrIiEEEENSB_INSC_IjEEEESG_jNS9_4plusIvEENS9_8equal_toIvEEjEE10hipError_tPvRmT2_T3_T4_T5_mT6_T7_P12ihipStream_tbENKUlT_T0_E_clISt17integral_constantIbLb0EES11_EEDaSW_SX_EUlSW_E_NS1_11comp_targetILNS1_3genE4ELNS1_11target_archE910ELNS1_3gpuE8ELNS1_3repE0EEENS1_30default_config_static_selectorELNS0_4arch9wavefront6targetE1EEEvT1_
	.globl	_ZN7rocprim17ROCPRIM_400000_NS6detail17trampoline_kernelINS0_14default_configENS1_27scan_by_key_config_selectorIijEEZZNS1_16scan_by_key_implILNS1_25lookback_scan_determinismE0ELb0ES3_N6thrust23THRUST_200600_302600_NS6detail15normal_iteratorINS9_10device_ptrIiEEEENSB_INSC_IjEEEESG_jNS9_4plusIvEENS9_8equal_toIvEEjEE10hipError_tPvRmT2_T3_T4_T5_mT6_T7_P12ihipStream_tbENKUlT_T0_E_clISt17integral_constantIbLb0EES11_EEDaSW_SX_EUlSW_E_NS1_11comp_targetILNS1_3genE4ELNS1_11target_archE910ELNS1_3gpuE8ELNS1_3repE0EEENS1_30default_config_static_selectorELNS0_4arch9wavefront6targetE1EEEvT1_
	.p2align	8
	.type	_ZN7rocprim17ROCPRIM_400000_NS6detail17trampoline_kernelINS0_14default_configENS1_27scan_by_key_config_selectorIijEEZZNS1_16scan_by_key_implILNS1_25lookback_scan_determinismE0ELb0ES3_N6thrust23THRUST_200600_302600_NS6detail15normal_iteratorINS9_10device_ptrIiEEEENSB_INSC_IjEEEESG_jNS9_4plusIvEENS9_8equal_toIvEEjEE10hipError_tPvRmT2_T3_T4_T5_mT6_T7_P12ihipStream_tbENKUlT_T0_E_clISt17integral_constantIbLb0EES11_EEDaSW_SX_EUlSW_E_NS1_11comp_targetILNS1_3genE4ELNS1_11target_archE910ELNS1_3gpuE8ELNS1_3repE0EEENS1_30default_config_static_selectorELNS0_4arch9wavefront6targetE1EEEvT1_,@function
_ZN7rocprim17ROCPRIM_400000_NS6detail17trampoline_kernelINS0_14default_configENS1_27scan_by_key_config_selectorIijEEZZNS1_16scan_by_key_implILNS1_25lookback_scan_determinismE0ELb0ES3_N6thrust23THRUST_200600_302600_NS6detail15normal_iteratorINS9_10device_ptrIiEEEENSB_INSC_IjEEEESG_jNS9_4plusIvEENS9_8equal_toIvEEjEE10hipError_tPvRmT2_T3_T4_T5_mT6_T7_P12ihipStream_tbENKUlT_T0_E_clISt17integral_constantIbLb0EES11_EEDaSW_SX_EUlSW_E_NS1_11comp_targetILNS1_3genE4ELNS1_11target_archE910ELNS1_3gpuE8ELNS1_3repE0EEENS1_30default_config_static_selectorELNS0_4arch9wavefront6targetE1EEEvT1_: ; @_ZN7rocprim17ROCPRIM_400000_NS6detail17trampoline_kernelINS0_14default_configENS1_27scan_by_key_config_selectorIijEEZZNS1_16scan_by_key_implILNS1_25lookback_scan_determinismE0ELb0ES3_N6thrust23THRUST_200600_302600_NS6detail15normal_iteratorINS9_10device_ptrIiEEEENSB_INSC_IjEEEESG_jNS9_4plusIvEENS9_8equal_toIvEEjEE10hipError_tPvRmT2_T3_T4_T5_mT6_T7_P12ihipStream_tbENKUlT_T0_E_clISt17integral_constantIbLb0EES11_EEDaSW_SX_EUlSW_E_NS1_11comp_targetILNS1_3genE4ELNS1_11target_archE910ELNS1_3gpuE8ELNS1_3repE0EEENS1_30default_config_static_selectorELNS0_4arch9wavefront6targetE1EEEvT1_
; %bb.0:
	s_load_dwordx8 s[36:43], s[4:5], 0x0
	s_load_dwordx4 s[52:55], s[4:5], 0x28
	s_load_dwordx2 s[56:57], s[4:5], 0x38
	s_load_dword s0, s[4:5], 0x40
	s_load_dwordx8 s[44:51], s[4:5], 0x48
	s_waitcnt lgkmcnt(0)
	s_lshl_b64 s[38:39], s[38:39], 2
	s_add_u32 s2, s36, s38
	s_addc_u32 s3, s37, s39
	s_add_u32 s4, s40, s38
	s_mul_i32 s1, s57, s0
	s_mul_hi_u32 s7, s56, s0
	s_addc_u32 s5, s41, s39
	s_add_i32 s8, s7, s1
	s_mul_i32 s9, s56, s0
	s_cmp_lg_u64 s[48:49], 0
	s_mul_i32 s0, s6, 0xe00
	s_mov_b32 s1, 0
	s_cselect_b64 s[40:41], -1, 0
	s_lshl_b64 s[36:37], s[0:1], 2
	s_add_u32 s34, s2, s36
	s_addc_u32 s35, s3, s37
	s_add_u32 s7, s4, s36
	s_addc_u32 s55, s5, s37
	;; [unrolled: 2-line block ×3, first 2 shown]
	s_add_u32 s2, s44, -1
	s_addc_u32 s3, s45, -1
	v_pk_mov_b32 v[2:3], s[2:3], s[2:3] op_sel:[0,1]
	v_cmp_ge_u64_e64 s[0:1], s[48:49], v[2:3]
	s_mov_b64 s[18:19], 0
	s_mov_b64 s[4:5], -1
	s_and_b64 vcc, exec, s[0:1]
	s_mul_i32 s33, s2, 0xfffff200
	s_barrier
	s_cbranch_vccz .LBB1224_77
; %bb.1:
	v_pk_mov_b32 v[2:3], s[34:35], s[34:35] op_sel:[0,1]
	flat_load_dword v1, v[2:3]
	s_add_i32 s60, s33, s54
	v_cmp_gt_u32_e64 s[2:3], s60, v0
	s_waitcnt vmcnt(0) lgkmcnt(0)
	v_mov_b32_e32 v13, v1
	s_and_saveexec_b64 s[4:5], s[2:3]
	s_cbranch_execz .LBB1224_3
; %bb.2:
	v_lshlrev_b32_e32 v2, 2, v0
	v_mov_b32_e32 v3, s35
	v_add_co_u32_e32 v2, vcc, s34, v2
	v_addc_co_u32_e32 v3, vcc, 0, v3, vcc
	flat_load_dword v13, v[2:3]
.LBB1224_3:
	s_or_b64 exec, exec, s[4:5]
	v_or_b32_e32 v2, 0x100, v0
	v_cmp_gt_u32_e64 s[4:5], s60, v2
	v_mov_b32_e32 v14, v1
	s_and_saveexec_b64 s[8:9], s[4:5]
	s_cbranch_execz .LBB1224_5
; %bb.4:
	v_lshlrev_b32_e32 v2, 2, v0
	v_mov_b32_e32 v3, s35
	v_add_co_u32_e32 v2, vcc, s34, v2
	v_addc_co_u32_e32 v3, vcc, 0, v3, vcc
	flat_load_dword v14, v[2:3] offset:1024
.LBB1224_5:
	s_or_b64 exec, exec, s[8:9]
	v_or_b32_e32 v2, 0x200, v0
	v_cmp_gt_u32_e64 s[30:31], s60, v2
	v_mov_b32_e32 v15, v1
	s_and_saveexec_b64 s[8:9], s[30:31]
	s_cbranch_execz .LBB1224_7
; %bb.6:
	v_lshlrev_b32_e32 v2, 2, v0
	v_mov_b32_e32 v3, s35
	v_add_co_u32_e32 v2, vcc, s34, v2
	v_addc_co_u32_e32 v3, vcc, 0, v3, vcc
	flat_load_dword v15, v[2:3] offset:2048
.LBB1224_7:
	;; [unrolled: 13-line block ×3, first 2 shown]
	s_or_b64 exec, exec, s[10:11]
	v_or_b32_e32 v2, 0x400, v0
	v_cmp_gt_u32_e64 s[10:11], s60, v2
	v_lshlrev_b32_e32 v2, 2, v2
	v_mov_b32_e32 v17, v1
	s_and_saveexec_b64 s[12:13], s[10:11]
	s_cbranch_execz .LBB1224_11
; %bb.10:
	v_mov_b32_e32 v3, s35
	v_add_co_u32_e32 v4, vcc, s34, v2
	v_addc_co_u32_e32 v5, vcc, 0, v3, vcc
	flat_load_dword v17, v[4:5]
.LBB1224_11:
	s_or_b64 exec, exec, s[12:13]
	v_or_b32_e32 v3, 0x500, v0
	v_cmp_gt_u32_e64 s[12:13], s60, v3
	v_lshlrev_b32_e32 v3, 2, v3
	v_mov_b32_e32 v18, v1
	s_and_saveexec_b64 s[14:15], s[12:13]
	s_cbranch_execz .LBB1224_13
; %bb.12:
	v_mov_b32_e32 v5, s35
	v_add_co_u32_e32 v4, vcc, s34, v3
	v_addc_co_u32_e32 v5, vcc, 0, v5, vcc
	flat_load_dword v18, v[4:5]
.LBB1224_13:
	;; [unrolled: 13-line block ×9, first 2 shown]
	s_or_b64 exec, exec, s[28:29]
	v_or_b32_e32 v11, 0xd00, v0
	v_cmp_gt_u32_e64 s[28:29], s60, v11
	v_lshlrev_b32_e32 v11, 2, v11
	s_and_saveexec_b64 s[44:45], s[28:29]
	s_cbranch_execz .LBB1224_29
; %bb.28:
	v_mov_b32_e32 v1, s35
	v_add_co_u32_e32 v26, vcc, s34, v11
	v_addc_co_u32_e32 v27, vcc, 0, v1, vcc
	flat_load_dword v1, v[26:27]
.LBB1224_29:
	s_or_b64 exec, exec, s[44:45]
	v_lshlrev_b32_e32 v12, 2, v0
	s_waitcnt vmcnt(0) lgkmcnt(0)
	ds_write2st64_b32 v12, v13, v14 offset1:4
	ds_write2st64_b32 v12, v15, v16 offset0:8 offset1:12
	ds_write2st64_b32 v12, v17, v18 offset0:16 offset1:20
	;; [unrolled: 1-line block ×6, first 2 shown]
	v_mad_u32_u24 v1, v0, 52, v12
	s_waitcnt lgkmcnt(0)
	s_barrier
	ds_read2_b64 v[34:37], v1 offset1:1
	ds_read2_b64 v[30:33], v1 offset0:2 offset1:3
	ds_read2_b64 v[26:29], v1 offset0:4 offset1:5
	ds_read_b64 v[40:41], v1 offset:48
	s_cmp_eq_u64 s[48:49], 0
	s_mov_b64 s[44:45], s[34:35]
	s_cbranch_scc1 .LBB1224_33
; %bb.30:
	s_andn2_b64 vcc, exec, s[40:41]
	s_cbranch_vccnz .LBB1224_179
; %bb.31:
	s_lshl_b64 s[44:45], s[48:49], 2
	s_add_u32 s44, s50, s44
	s_addc_u32 s45, s51, s45
	s_add_u32 s44, s44, -4
	s_addc_u32 s45, s45, -1
	s_cbranch_execnz .LBB1224_33
.LBB1224_32:
	s_add_u32 s44, s34, -4
	s_addc_u32 s45, s35, -1
.LBB1224_33:
	v_pk_mov_b32 v[14:15], s[44:45], s[44:45] op_sel:[0,1]
	flat_load_dword v44, v[14:15]
	s_movk_i32 s44, 0xffcc
	v_mad_i32_i24 v13, v0, s44, v1
	v_cmp_ne_u32_e32 vcc, 0, v0
	s_waitcnt lgkmcnt(0)
	ds_write_b32 v13, v41 offset:14336
	s_waitcnt lgkmcnt(0)
	s_barrier
	s_and_saveexec_b64 s[44:45], vcc
	s_cbranch_execz .LBB1224_35
; %bb.34:
	v_mul_i32_i24_e32 v13, 0xffffffcc, v0
	v_add_u32_e32 v13, v1, v13
	s_waitcnt vmcnt(0)
	ds_read_b32 v44, v13 offset:14332
.LBB1224_35:
	s_or_b64 exec, exec, s[44:45]
	s_waitcnt lgkmcnt(0)
	s_barrier
	s_waitcnt lgkmcnt(0)
                                        ; implicit-def: $vgpr13
	s_and_saveexec_b64 s[44:45], s[2:3]
	s_cbranch_execnz .LBB1224_166
; %bb.36:
	s_or_b64 exec, exec, s[44:45]
                                        ; implicit-def: $vgpr14
	s_and_saveexec_b64 s[2:3], s[4:5]
	s_cbranch_execnz .LBB1224_167
.LBB1224_37:
	s_or_b64 exec, exec, s[2:3]
                                        ; implicit-def: $vgpr15
	s_and_saveexec_b64 s[2:3], s[30:31]
	s_cbranch_execnz .LBB1224_168
.LBB1224_38:
	s_or_b64 exec, exec, s[2:3]
                                        ; implicit-def: $vgpr16
	s_and_saveexec_b64 s[2:3], s[8:9]
	s_cbranch_execnz .LBB1224_169
.LBB1224_39:
	s_or_b64 exec, exec, s[2:3]
                                        ; implicit-def: $vgpr17
	s_and_saveexec_b64 s[2:3], s[10:11]
	s_cbranch_execnz .LBB1224_170
.LBB1224_40:
	s_or_b64 exec, exec, s[2:3]
                                        ; implicit-def: $vgpr2
	s_and_saveexec_b64 s[2:3], s[12:13]
	s_cbranch_execnz .LBB1224_171
.LBB1224_41:
	s_or_b64 exec, exec, s[2:3]
                                        ; implicit-def: $vgpr3
	s_and_saveexec_b64 s[2:3], s[14:15]
	s_cbranch_execnz .LBB1224_172
.LBB1224_42:
	s_or_b64 exec, exec, s[2:3]
                                        ; implicit-def: $vgpr4
	s_and_saveexec_b64 s[2:3], s[16:17]
	s_cbranch_execnz .LBB1224_173
.LBB1224_43:
	s_or_b64 exec, exec, s[2:3]
                                        ; implicit-def: $vgpr5
	s_and_saveexec_b64 s[2:3], s[18:19]
	s_cbranch_execnz .LBB1224_174
.LBB1224_44:
	s_or_b64 exec, exec, s[2:3]
                                        ; implicit-def: $vgpr6
	s_and_saveexec_b64 s[2:3], s[20:21]
	s_cbranch_execnz .LBB1224_175
.LBB1224_45:
	s_or_b64 exec, exec, s[2:3]
                                        ; implicit-def: $vgpr7
	s_and_saveexec_b64 s[2:3], s[22:23]
	s_cbranch_execnz .LBB1224_176
.LBB1224_46:
	s_or_b64 exec, exec, s[2:3]
                                        ; implicit-def: $vgpr8
	s_and_saveexec_b64 s[2:3], s[24:25]
	s_cbranch_execnz .LBB1224_177
.LBB1224_47:
	s_or_b64 exec, exec, s[2:3]
                                        ; implicit-def: $vgpr9
	s_and_saveexec_b64 s[2:3], s[26:27]
	s_cbranch_execnz .LBB1224_178
.LBB1224_48:
	s_or_b64 exec, exec, s[2:3]
                                        ; implicit-def: $vgpr10
	s_and_saveexec_b64 s[2:3], s[28:29]
	s_cbranch_execz .LBB1224_50
.LBB1224_49:
	v_mov_b32_e32 v18, s55
	v_add_co_u32_e32 v10, vcc, s7, v11
	v_addc_co_u32_e32 v11, vcc, 0, v18, vcc
	flat_load_dword v10, v[10:11]
.LBB1224_50:
	s_or_b64 exec, exec, s[2:3]
	s_mov_b32 s8, 0
	s_mov_b32 s9, s8
	s_waitcnt vmcnt(0) lgkmcnt(0)
	ds_write2st64_b32 v12, v13, v14 offset1:4
	ds_write2st64_b32 v12, v15, v16 offset0:8 offset1:12
	ds_write2st64_b32 v12, v17, v2 offset0:16 offset1:20
	;; [unrolled: 1-line block ×6, first 2 shown]
	s_mov_b32 s10, s8
	s_mov_b32 s11, s8
	s_mov_b32 s12, s8
	s_mov_b32 s13, s8
	s_mov_b32 s14, s8
	s_mov_b32 s15, s8
	v_pk_mov_b32 v[2:3], s[8:9], s[8:9] op_sel:[0,1]
	v_pk_mov_b32 v[8:9], s[14:15], s[14:15] op_sel:[0,1]
	v_mul_u32_u24_e32 v42, 14, v0
	v_pk_mov_b32 v[4:5], s[10:11], s[10:11] op_sel:[0,1]
	v_pk_mov_b32 v[6:7], s[12:13], s[12:13] op_sel:[0,1]
	;; [unrolled: 1-line block ×4, first 2 shown]
	v_cmp_gt_u32_e32 vcc, s60, v42
	s_mov_b64 s[4:5], 0
	v_pk_mov_b32 v[38:39], 0, 0
	s_mov_b64 s[18:19], 0
	v_pk_mov_b32 v[14:15], v[6:7], v[6:7] op_sel:[0,1]
	v_pk_mov_b32 v[12:13], v[4:5], v[4:5] op_sel:[0,1]
	;; [unrolled: 1-line block ×6, first 2 shown]
	s_waitcnt lgkmcnt(0)
	s_barrier
	s_waitcnt lgkmcnt(0)
                                        ; implicit-def: $sgpr2_sgpr3
                                        ; implicit-def: $vgpr43
	s_and_saveexec_b64 s[16:17], vcc
	s_cbranch_execz .LBB1224_76
; %bb.51:
	v_or_b32_e32 v2, 1, v42
	ds_read_b32 v38, v1
	v_cmp_ne_u32_e32 vcc, v44, v34
	v_cndmask_b32_e64 v39, 0, 1, vcc
	v_cmp_gt_u32_e32 vcc, s60, v2
	v_pk_mov_b32 v[2:3], s[8:9], s[8:9] op_sel:[0,1]
	v_pk_mov_b32 v[8:9], s[14:15], s[14:15] op_sel:[0,1]
	;; [unrolled: 1-line block ×6, first 2 shown]
	s_mov_b64 s[20:21], 0
	v_pk_mov_b32 v[14:15], v[6:7], v[6:7] op_sel:[0,1]
	v_pk_mov_b32 v[12:13], v[4:5], v[4:5] op_sel:[0,1]
	;; [unrolled: 1-line block ×6, first 2 shown]
                                        ; implicit-def: $sgpr8_sgpr9
                                        ; implicit-def: $vgpr43
	s_and_saveexec_b64 s[18:19], vcc
	s_cbranch_execz .LBB1224_75
; %bb.52:
	ds_read2_b32 v[44:45], v1 offset0:1 offset1:2
	s_mov_b32 s8, 0
	s_mov_b32 s14, s8
	;; [unrolled: 1-line block ×8, first 2 shown]
	v_pk_mov_b32 v[16:17], s[14:15], s[14:15] op_sel:[0,1]
	v_add_u32_e32 v2, 2, v42
	v_cmp_ne_u32_e32 vcc, v34, v35
	v_mov_b32_e32 v6, 0
	v_pk_mov_b32 v[14:15], s[12:13], s[12:13] op_sel:[0,1]
	v_pk_mov_b32 v[12:13], s[10:11], s[10:11] op_sel:[0,1]
	v_pk_mov_b32 v[10:11], s[8:9], s[8:9] op_sel:[0,1]
	v_pk_mov_b32 v[24:25], v[16:17], v[16:17] op_sel:[0,1]
	v_cndmask_b32_e64 v3, 0, 1, vcc
	v_cmp_gt_u32_e32 vcc, s60, v2
	s_waitcnt lgkmcnt(0)
	v_mov_b32_e32 v2, v44
	v_mov_b32_e32 v4, v6
	;; [unrolled: 1-line block ×6, first 2 shown]
	s_mov_b64 s[2:3], 0
	v_pk_mov_b32 v[22:23], v[14:15], v[14:15] op_sel:[0,1]
	v_pk_mov_b32 v[20:21], v[12:13], v[12:13] op_sel:[0,1]
	;; [unrolled: 1-line block ×3, first 2 shown]
                                        ; implicit-def: $sgpr22_sgpr23
                                        ; implicit-def: $vgpr43
	s_and_saveexec_b64 s[20:21], vcc
	s_cbranch_execz .LBB1224_74
; %bb.53:
	v_pk_mov_b32 v[16:17], s[14:15], s[14:15] op_sel:[0,1]
	v_add_u32_e32 v2, 3, v42
	v_cmp_ne_u32_e32 vcc, v35, v36
	v_pk_mov_b32 v[14:15], s[12:13], s[12:13] op_sel:[0,1]
	v_pk_mov_b32 v[12:13], s[10:11], s[10:11] op_sel:[0,1]
	;; [unrolled: 1-line block ×4, first 2 shown]
	v_cndmask_b32_e64 v5, 0, 1, vcc
	v_cmp_gt_u32_e32 vcc, s60, v2
	v_mov_b32_e32 v2, v44
	v_mov_b32_e32 v4, v45
	v_mov_b32_e32 v7, v6
	v_mov_b32_e32 v8, v6
	v_mov_b32_e32 v9, v6
	v_pk_mov_b32 v[22:23], v[14:15], v[14:15] op_sel:[0,1]
	v_pk_mov_b32 v[20:21], v[12:13], v[12:13] op_sel:[0,1]
	;; [unrolled: 1-line block ×3, first 2 shown]
                                        ; implicit-def: $sgpr8_sgpr9
                                        ; implicit-def: $vgpr43
	s_and_saveexec_b64 s[22:23], vcc
	s_cbranch_execz .LBB1224_73
; %bb.54:
	ds_read2_b32 v[34:35], v1 offset0:3 offset1:4
	s_mov_b32 s8, 0
	s_mov_b32 s14, s8
	;; [unrolled: 1-line block ×8, first 2 shown]
	v_pk_mov_b32 v[16:17], s[14:15], s[14:15] op_sel:[0,1]
	v_add_u32_e32 v6, 4, v42
	v_cmp_ne_u32_e32 vcc, v36, v37
	v_pk_mov_b32 v[14:15], s[12:13], s[12:13] op_sel:[0,1]
	v_pk_mov_b32 v[12:13], s[10:11], s[10:11] op_sel:[0,1]
	;; [unrolled: 1-line block ×4, first 2 shown]
	v_cndmask_b32_e64 v7, 0, 1, vcc
	v_cmp_gt_u32_e32 vcc, s60, v6
	s_waitcnt lgkmcnt(0)
	v_mov_b32_e32 v6, v34
	v_mov_b32_e32 v8, s8
	;; [unrolled: 1-line block ×3, first 2 shown]
	v_pk_mov_b32 v[22:23], v[14:15], v[14:15] op_sel:[0,1]
	v_pk_mov_b32 v[20:21], v[12:13], v[12:13] op_sel:[0,1]
	;; [unrolled: 1-line block ×3, first 2 shown]
                                        ; implicit-def: $sgpr26_sgpr27
                                        ; implicit-def: $vgpr43
	s_and_saveexec_b64 s[24:25], vcc
	s_cbranch_execz .LBB1224_72
; %bb.55:
	v_pk_mov_b32 v[16:17], s[14:15], s[14:15] op_sel:[0,1]
	v_add_u32_e32 v8, 5, v42
	v_cmp_ne_u32_e32 vcc, v37, v30
	v_pk_mov_b32 v[14:15], s[12:13], s[12:13] op_sel:[0,1]
	v_pk_mov_b32 v[12:13], s[10:11], s[10:11] op_sel:[0,1]
	;; [unrolled: 1-line block ×4, first 2 shown]
	v_cndmask_b32_e64 v9, 0, 1, vcc
	v_cmp_gt_u32_e32 vcc, s60, v8
	v_mov_b32_e32 v8, v35
	v_pk_mov_b32 v[22:23], v[14:15], v[14:15] op_sel:[0,1]
	v_pk_mov_b32 v[20:21], v[12:13], v[12:13] op_sel:[0,1]
	;; [unrolled: 1-line block ×3, first 2 shown]
                                        ; implicit-def: $sgpr8_sgpr9
                                        ; implicit-def: $vgpr43
	s_and_saveexec_b64 s[26:27], vcc
	s_cbranch_execz .LBB1224_71
; %bb.56:
	ds_read2_b32 v[34:35], v1 offset0:5 offset1:6
	s_mov_b32 s8, 0
	s_mov_b32 s14, s8
	;; [unrolled: 1-line block ×3, first 2 shown]
	v_add_u32_e32 v10, 6, v42
	v_cmp_ne_u32_e32 vcc, v30, v31
	v_mov_b32_e32 v14, 0
	s_mov_b32 s9, s8
	s_mov_b32 s10, s8
	;; [unrolled: 1-line block ×5, first 2 shown]
	v_pk_mov_b32 v[24:25], s[14:15], s[14:15] op_sel:[0,1]
	v_cndmask_b32_e64 v11, 0, 1, vcc
	v_cmp_gt_u32_e32 vcc, s60, v10
	s_waitcnt lgkmcnt(0)
	v_mov_b32_e32 v10, v34
	v_mov_b32_e32 v12, v14
	;; [unrolled: 1-line block ×6, first 2 shown]
	v_pk_mov_b32 v[22:23], s[12:13], s[12:13] op_sel:[0,1]
	v_pk_mov_b32 v[20:21], s[10:11], s[10:11] op_sel:[0,1]
	;; [unrolled: 1-line block ×3, first 2 shown]
                                        ; implicit-def: $sgpr30_sgpr31
                                        ; implicit-def: $vgpr43
	s_and_saveexec_b64 s[28:29], vcc
	s_cbranch_execz .LBB1224_70
; %bb.57:
	v_add_u32_e32 v10, 7, v42
	v_cmp_ne_u32_e32 vcc, v31, v32
	v_pk_mov_b32 v[24:25], s[14:15], s[14:15] op_sel:[0,1]
	v_cndmask_b32_e64 v13, 0, 1, vcc
	v_cmp_gt_u32_e32 vcc, s60, v10
	v_mov_b32_e32 v10, v34
	v_mov_b32_e32 v12, v35
	;; [unrolled: 1-line block ×5, first 2 shown]
	v_pk_mov_b32 v[22:23], s[12:13], s[12:13] op_sel:[0,1]
	v_pk_mov_b32 v[20:21], s[10:11], s[10:11] op_sel:[0,1]
	;; [unrolled: 1-line block ×3, first 2 shown]
                                        ; implicit-def: $sgpr8_sgpr9
                                        ; implicit-def: $vgpr43
	s_and_saveexec_b64 s[30:31], vcc
	s_cbranch_execz .LBB1224_69
; %bb.58:
	ds_read2_b32 v[30:31], v1 offset0:7 offset1:8
	s_mov_b32 s8, 0
	s_mov_b32 s14, s8
	s_mov_b32 s15, s8
	v_add_u32_e32 v14, 8, v42
	v_cmp_ne_u32_e32 vcc, v32, v33
	s_mov_b32 s9, s8
	s_mov_b32 s10, s8
	;; [unrolled: 1-line block ×5, first 2 shown]
	v_pk_mov_b32 v[24:25], s[14:15], s[14:15] op_sel:[0,1]
	v_cndmask_b32_e64 v15, 0, 1, vcc
	v_cmp_gt_u32_e32 vcc, s60, v14
	s_waitcnt lgkmcnt(0)
	v_mov_b32_e32 v14, v30
	v_mov_b32_e32 v16, s8
	v_mov_b32_e32 v17, s8
	v_pk_mov_b32 v[22:23], s[12:13], s[12:13] op_sel:[0,1]
	v_pk_mov_b32 v[20:21], s[10:11], s[10:11] op_sel:[0,1]
	;; [unrolled: 1-line block ×3, first 2 shown]
                                        ; implicit-def: $sgpr58_sgpr59
                                        ; implicit-def: $vgpr43
	s_and_saveexec_b64 s[44:45], vcc
	s_cbranch_execz .LBB1224_68
; %bb.59:
	v_add_u32_e32 v16, 9, v42
	v_cmp_ne_u32_e32 vcc, v33, v26
	v_pk_mov_b32 v[24:25], s[14:15], s[14:15] op_sel:[0,1]
	v_cndmask_b32_e64 v17, 0, 1, vcc
	v_cmp_gt_u32_e32 vcc, s60, v16
	v_mov_b32_e32 v16, v31
	v_pk_mov_b32 v[22:23], s[12:13], s[12:13] op_sel:[0,1]
	v_pk_mov_b32 v[20:21], s[10:11], s[10:11] op_sel:[0,1]
	;; [unrolled: 1-line block ×3, first 2 shown]
                                        ; implicit-def: $sgpr10_sgpr11
                                        ; implicit-def: $vgpr43
	s_and_saveexec_b64 s[8:9], vcc
	s_cbranch_execz .LBB1224_67
; %bb.60:
	ds_read2_b32 v[30:31], v1 offset0:9 offset1:10
	v_add_u32_e32 v18, 10, v42
	v_cmp_ne_u32_e32 vcc, v26, v27
	v_mov_b32_e32 v22, 0
	v_cndmask_b32_e64 v19, 0, 1, vcc
	v_cmp_gt_u32_e32 vcc, s60, v18
	s_waitcnt lgkmcnt(0)
	v_mov_b32_e32 v18, v30
	v_mov_b32_e32 v20, v22
	;; [unrolled: 1-line block ×6, first 2 shown]
                                        ; implicit-def: $sgpr12_sgpr13
                                        ; implicit-def: $vgpr43
	s_and_saveexec_b64 s[10:11], vcc
	s_cbranch_execz .LBB1224_66
; %bb.61:
	v_add_u32_e32 v18, 11, v42
	v_cmp_ne_u32_e32 vcc, v27, v28
	v_cndmask_b32_e64 v21, 0, 1, vcc
	v_cmp_gt_u32_e32 vcc, s60, v18
	s_mov_b32 s58, 0
	v_mov_b32_e32 v18, v30
	v_mov_b32_e32 v20, v31
	;; [unrolled: 1-line block ×5, first 2 shown]
                                        ; implicit-def: $sgpr14_sgpr15
                                        ; implicit-def: $vgpr43
	s_and_saveexec_b64 s[12:13], vcc
	s_cbranch_execz .LBB1224_65
; %bb.62:
	ds_read2_b32 v[26:27], v1 offset0:11 offset1:12
	v_add_u32_e32 v22, 12, v42
	v_cmp_ne_u32_e32 vcc, v28, v29
	v_cndmask_b32_e64 v23, 0, 1, vcc
	v_cmp_gt_u32_e32 vcc, s60, v22
	s_waitcnt lgkmcnt(0)
	v_mov_b32_e32 v22, v26
	v_mov_b32_e32 v24, s58
	;; [unrolled: 1-line block ×3, first 2 shown]
                                        ; implicit-def: $sgpr14_sgpr15
                                        ; implicit-def: $vgpr43
	s_and_saveexec_b64 s[58:59], vcc
	s_xor_b64 s[58:59], exec, s[58:59]
	s_cbranch_execz .LBB1224_64
; %bb.63:
	ds_read_b32 v43, v1 offset:52
	v_add_u32_e32 v1, 13, v42
	v_cmp_ne_u32_e64 s[2:3], v29, v40
	v_cmp_ne_u32_e32 vcc, v40, v41
	v_cndmask_b32_e64 v25, 0, 1, s[2:3]
	v_cmp_gt_u32_e64 s[2:3], s60, v1
	v_mov_b32_e32 v24, v27
	s_and_b64 s[14:15], vcc, exec
	s_and_b64 s[2:3], s[2:3], exec
.LBB1224_64:
	s_or_b64 exec, exec, s[58:59]
	s_and_b64 s[14:15], s[14:15], exec
	s_and_b64 s[2:3], s[2:3], exec
.LBB1224_65:
	s_or_b64 exec, exec, s[12:13]
	s_and_b64 s[12:13], s[14:15], exec
	s_and_b64 s[2:3], s[2:3], exec
.LBB1224_66:
	s_or_b64 exec, exec, s[10:11]
	s_and_b64 s[10:11], s[12:13], exec
	s_and_b64 s[2:3], s[2:3], exec
.LBB1224_67:
	s_or_b64 exec, exec, s[8:9]
	s_and_b64 s[58:59], s[10:11], exec
	s_and_b64 s[2:3], s[2:3], exec
.LBB1224_68:
	s_or_b64 exec, exec, s[44:45]
	s_and_b64 s[8:9], s[58:59], exec
	s_and_b64 s[2:3], s[2:3], exec
.LBB1224_69:
	s_or_b64 exec, exec, s[30:31]
	s_and_b64 s[30:31], s[8:9], exec
	s_and_b64 s[2:3], s[2:3], exec
.LBB1224_70:
	s_or_b64 exec, exec, s[28:29]
	s_and_b64 s[8:9], s[30:31], exec
	s_and_b64 s[2:3], s[2:3], exec
.LBB1224_71:
	s_or_b64 exec, exec, s[26:27]
	s_and_b64 s[26:27], s[8:9], exec
	s_and_b64 s[2:3], s[2:3], exec
.LBB1224_72:
	s_or_b64 exec, exec, s[24:25]
	s_and_b64 s[8:9], s[26:27], exec
	s_and_b64 s[2:3], s[2:3], exec
.LBB1224_73:
	s_or_b64 exec, exec, s[22:23]
	s_and_b64 s[22:23], s[8:9], exec
	s_and_b64 s[2:3], s[2:3], exec
.LBB1224_74:
	s_or_b64 exec, exec, s[20:21]
	s_and_b64 s[8:9], s[22:23], exec
	s_and_b64 s[20:21], s[2:3], exec
.LBB1224_75:
	s_or_b64 exec, exec, s[18:19]
	s_and_b64 s[2:3], s[8:9], exec
	s_and_b64 s[18:19], s[20:21], exec
.LBB1224_76:
	s_or_b64 exec, exec, s[16:17]
	s_and_b64 vcc, exec, s[4:5]
	v_lshlrev_b32_e32 v50, 2, v0
	s_cbranch_vccnz .LBB1224_78
	s_branch .LBB1224_86
.LBB1224_77:
                                        ; implicit-def: $sgpr2_sgpr3
                                        ; implicit-def: $vgpr2_vgpr3_vgpr4_vgpr5_vgpr6_vgpr7_vgpr8_vgpr9
                                        ; implicit-def: $vgpr10_vgpr11_vgpr12_vgpr13_vgpr14_vgpr15_vgpr16_vgpr17
                                        ; implicit-def: $vgpr18_vgpr19_vgpr20_vgpr21_vgpr22_vgpr23_vgpr24_vgpr25
                                        ; implicit-def: $vgpr43
                                        ; implicit-def: $vgpr38_vgpr39
	s_and_b64 vcc, exec, s[4:5]
	v_lshlrev_b32_e32 v50, 2, v0
	s_cbranch_vccz .LBB1224_86
.LBB1224_78:
	v_mov_b32_e32 v1, s35
	v_add_co_u32_e32 v2, vcc, s34, v50
	v_addc_co_u32_e32 v3, vcc, 0, v1, vcc
	v_add_co_u32_e32 v4, vcc, 0x1000, v2
	v_addc_co_u32_e32 v5, vcc, 0, v3, vcc
	flat_load_dword v6, v[2:3]
	flat_load_dword v7, v[2:3] offset:1024
	flat_load_dword v8, v[2:3] offset:2048
	;; [unrolled: 1-line block ×3, first 2 shown]
	flat_load_dword v10, v[4:5]
	flat_load_dword v11, v[4:5] offset:1024
	flat_load_dword v12, v[4:5] offset:2048
	;; [unrolled: 1-line block ×3, first 2 shown]
	v_add_co_u32_e32 v4, vcc, 0x2000, v2
	v_addc_co_u32_e32 v5, vcc, 0, v3, vcc
	v_add_co_u32_e32 v2, vcc, 0x3000, v2
	v_addc_co_u32_e32 v3, vcc, 0, v3, vcc
	flat_load_dword v14, v[4:5]
	flat_load_dword v15, v[4:5] offset:1024
	flat_load_dword v16, v[4:5] offset:2048
	;; [unrolled: 1-line block ×3, first 2 shown]
	flat_load_dword v18, v[2:3]
	flat_load_dword v19, v[2:3] offset:1024
	v_mad_u32_u24 v1, v0, 52, v50
	s_cmp_eq_u64 s[48:49], 0
	s_waitcnt vmcnt(0) lgkmcnt(0)
	ds_write2st64_b32 v50, v6, v7 offset1:4
	ds_write2st64_b32 v50, v8, v9 offset0:8 offset1:12
	ds_write2st64_b32 v50, v10, v11 offset0:16 offset1:20
	;; [unrolled: 1-line block ×6, first 2 shown]
	s_waitcnt lgkmcnt(0)
	s_barrier
	ds_read2_b64 v[2:5], v1 offset1:1
	ds_read2_b64 v[10:13], v1 offset0:2 offset1:3
	ds_read2_b64 v[18:21], v1 offset0:4 offset1:5
	ds_read_b64 v[6:7], v1 offset:48
	s_cbranch_scc1 .LBB1224_83
; %bb.79:
	s_andn2_b64 vcc, exec, s[40:41]
	s_cbranch_vccnz .LBB1224_180
; %bb.80:
	s_lshl_b64 s[2:3], s[48:49], 2
	s_add_u32 s2, s50, s2
	s_addc_u32 s3, s51, s3
	s_add_u32 s2, s2, -4
	s_addc_u32 s3, s3, -1
	s_cbranch_execnz .LBB1224_82
.LBB1224_81:
	s_add_u32 s2, s34, -4
	s_addc_u32 s3, s35, -1
.LBB1224_82:
	s_mov_b64 s[34:35], s[2:3]
.LBB1224_83:
	v_pk_mov_b32 v[8:9], s[34:35], s[34:35] op_sel:[0,1]
	flat_load_dword v8, v[8:9]
	s_movk_i32 s2, 0xffcc
	v_mad_i32_i24 v9, v0, s2, v1
	v_cmp_ne_u32_e32 vcc, 0, v0
	s_waitcnt lgkmcnt(0)
	ds_write_b32 v9, v7 offset:14336
	s_waitcnt lgkmcnt(0)
	s_barrier
	s_and_saveexec_b64 s[2:3], vcc
	s_cbranch_execz .LBB1224_85
; %bb.84:
	s_waitcnt vmcnt(0)
	v_mul_i32_i24_e32 v8, 0xffffffcc, v0
	v_add_u32_e32 v8, v1, v8
	ds_read_b32 v8, v8 offset:14332
.LBB1224_85:
	s_or_b64 exec, exec, s[2:3]
	v_mov_b32_e32 v9, s55
	v_add_co_u32_e32 v14, vcc, s7, v50
	v_addc_co_u32_e32 v15, vcc, 0, v9, vcc
	s_movk_i32 s2, 0x1000
	v_add_co_u32_e32 v16, vcc, s2, v14
	v_addc_co_u32_e32 v17, vcc, 0, v15, vcc
	s_movk_i32 s2, 0x2000
	s_waitcnt lgkmcnt(0)
	s_barrier
	flat_load_dword v22, v[14:15]
	flat_load_dword v24, v[14:15] offset:1024
	flat_load_dword v26, v[14:15] offset:2048
	;; [unrolled: 1-line block ×3, first 2 shown]
	flat_load_dword v28, v[16:17]
	flat_load_dword v29, v[16:17] offset:1024
	flat_load_dword v30, v[16:17] offset:2048
	;; [unrolled: 1-line block ×3, first 2 shown]
	v_add_co_u32_e32 v16, vcc, s2, v14
	v_addc_co_u32_e32 v17, vcc, 0, v15, vcc
	s_movk_i32 s2, 0x3000
	v_add_co_u32_e32 v14, vcc, s2, v14
	v_addc_co_u32_e32 v15, vcc, 0, v15, vcc
	flat_load_dword v32, v[16:17]
	flat_load_dword v33, v[16:17] offset:1024
	flat_load_dword v34, v[16:17] offset:2048
	;; [unrolled: 1-line block ×3, first 2 shown]
	flat_load_dword v36, v[14:15]
	flat_load_dword v37, v[14:15] offset:1024
	s_waitcnt vmcnt(0)
	v_cmp_ne_u32_e32 vcc, v8, v2
	v_cndmask_b32_e64 v39, 0, 1, vcc
	v_cmp_ne_u32_e32 vcc, v5, v10
	v_cndmask_b32_e64 v9, 0, 1, vcc
	v_cmp_ne_u32_e32 vcc, v4, v5
	v_cmp_ne_u32_e64 s[2:3], v6, v7
	v_cndmask_b32_e64 v7, 0, 1, vcc
	v_cmp_ne_u32_e32 vcc, v3, v4
	v_cndmask_b32_e64 v5, 0, 1, vcc
	v_cmp_ne_u32_e32 vcc, v2, v3
	;; [unrolled: 2-line block ×10, first 2 shown]
	v_cndmask_b32_e64 v19, 0, 1, vcc
	s_mov_b64 s[18:19], -1
                                        ; implicit-def: $sgpr4_sgpr5
	s_waitcnt lgkmcnt(0)
	ds_write2st64_b32 v50, v22, v24 offset1:4
	ds_write2st64_b32 v50, v26, v27 offset0:8 offset1:12
	ds_write2st64_b32 v50, v28, v29 offset0:16 offset1:20
	;; [unrolled: 1-line block ×6, first 2 shown]
	s_waitcnt lgkmcnt(0)
	s_barrier
	ds_read2_b32 v[42:43], v1 offset1:13
	ds_read2_b32 v[26:27], v1 offset0:7 offset1:8
	ds_read2_b32 v[28:29], v1 offset0:5 offset1:6
	;; [unrolled: 1-line block ×6, first 2 shown]
	s_waitcnt lgkmcnt(6)
	v_mov_b32_e32 v38, v42
	s_waitcnt lgkmcnt(4)
	v_mov_b32_e32 v10, v28
	;; [unrolled: 2-line block ×4, first 2 shown]
	v_mov_b32_e32 v4, v33
	v_mov_b32_e32 v8, v31
	;; [unrolled: 1-line block ×5, first 2 shown]
	s_waitcnt lgkmcnt(0)
	v_mov_b32_e32 v18, v36
	v_mov_b32_e32 v20, v37
	;; [unrolled: 1-line block ×4, first 2 shown]
.LBB1224_86:
	v_pk_mov_b32 v[40:41], s[4:5], s[4:5] op_sel:[0,1]
	s_and_saveexec_b64 s[4:5], s[18:19]
	s_cbranch_execz .LBB1224_88
; %bb.87:
	v_cndmask_b32_e64 v41, 0, 1, s[2:3]
	s_waitcnt lgkmcnt(0)
	v_mov_b32_e32 v40, v43
.LBB1224_88:
	s_or_b64 exec, exec, s[4:5]
	s_mov_b32 s26, 0
	s_cmp_lg_u32 s6, 0
	v_mbcnt_lo_u32_b32 v52, -1, 0
	v_lshrrev_b32_e32 v1, 6, v0
	v_or_b32_e32 v51, 63, v0
	s_waitcnt lgkmcnt(0)
	s_barrier
	s_cbranch_scc0 .LBB1224_117
; %bb.89:
	s_mov_b32 s27, 1
	v_cmp_gt_u64_e64 s[2:3], s[26:27], v[2:3]
	v_cndmask_b32_e64 v27, 0, v38, s[2:3]
	v_add_u32_e32 v27, v27, v2
	v_cmp_gt_u64_e64 s[4:5], s[26:27], v[4:5]
	v_cndmask_b32_e64 v27, 0, v27, s[4:5]
	v_add_u32_e32 v27, v27, v4
	;; [unrolled: 3-line block ×13, first 2 shown]
	v_or3_b32 v27, v41, v25, v23
	v_or3_b32 v27, v27, v21, v19
	;; [unrolled: 1-line block ×6, first 2 shown]
	v_mov_b32_e32 v26, 0
	v_and_b32_e32 v27, 1, v27
	v_cmp_eq_u64_e32 vcc, 0, v[26:27]
	v_cndmask_b32_e32 v26, 1, v39, vcc
	v_mbcnt_hi_u32_b32 v46, -1, v52
	v_mov_b32_dpp v29, v28 row_shr:1 row_mask:0xf bank_mask:0xf
	v_mov_b32_dpp v30, v26 row_shr:1 row_mask:0xf bank_mask:0xf
	v_cmp_eq_u32_e32 vcc, 0, v26
	v_and_b32_e32 v31, 1, v26
	v_and_b32_e32 v27, 15, v46
	v_cndmask_b32_e32 v29, 0, v29, vcc
	v_and_b32_e32 v30, 1, v30
	v_cmp_eq_u32_e32 vcc, 1, v31
	v_cndmask_b32_e64 v30, v30, 1, vcc
	v_cmp_eq_u32_e32 vcc, 0, v27
	v_cndmask_b32_e32 v26, v30, v26, vcc
	v_and_b32_e32 v31, 1, v26
	v_cmp_eq_u32_e64 s[28:29], 1, v31
	v_mov_b32_dpp v30, v26 row_shr:2 row_mask:0xf bank_mask:0xf
	v_and_b32_e32 v30, 1, v30
	v_cndmask_b32_e64 v30, v30, 1, s[28:29]
	v_cmp_lt_u32_e64 s[28:29], 1, v27
	v_cndmask_b32_e64 v29, v29, 0, vcc
	v_cmp_eq_u32_e32 vcc, 0, v26
	v_cndmask_b32_e64 v26, v26, v30, s[28:29]
	v_add_u32_e32 v28, v29, v28
	v_and_b32_e32 v31, 1, v26
	v_mov_b32_dpp v30, v26 row_shr:4 row_mask:0xf bank_mask:0xf
	v_mov_b32_dpp v29, v28 row_shr:2 row_mask:0xf bank_mask:0xf
	s_and_b64 vcc, s[28:29], vcc
	v_and_b32_e32 v30, 1, v30
	v_cmp_eq_u32_e64 s[28:29], 1, v31
	v_cndmask_b32_e32 v29, 0, v29, vcc
	v_cndmask_b32_e64 v30, v30, 1, s[28:29]
	v_cmp_lt_u32_e64 s[28:29], 3, v27
	v_add_u32_e32 v28, v29, v28
	v_cmp_eq_u32_e32 vcc, 0, v26
	v_cndmask_b32_e64 v26, v26, v30, s[28:29]
	v_mov_b32_dpp v29, v28 row_shr:4 row_mask:0xf bank_mask:0xf
	s_and_b64 vcc, s[28:29], vcc
	v_mov_b32_dpp v30, v26 row_shr:8 row_mask:0xf bank_mask:0xf
	v_and_b32_e32 v31, 1, v26
	v_cndmask_b32_e32 v29, 0, v29, vcc
	v_and_b32_e32 v30, 1, v30
	v_cmp_eq_u32_e64 s[28:29], 1, v31
	v_add_u32_e32 v28, v29, v28
	v_cmp_eq_u32_e32 vcc, 0, v26
	v_cndmask_b32_e64 v30, v30, 1, s[28:29]
	v_cmp_lt_u32_e64 s[28:29], 7, v27
	v_mov_b32_dpp v29, v28 row_shr:8 row_mask:0xf bank_mask:0xf
	s_and_b64 vcc, s[28:29], vcc
	v_cndmask_b32_e32 v27, 0, v29, vcc
	v_cndmask_b32_e64 v26, v26, v30, s[28:29]
	v_add_u32_e32 v27, v27, v28
	v_cmp_eq_u32_e32 vcc, 0, v26
	v_mov_b32_dpp v29, v26 row_bcast:15 row_mask:0xf bank_mask:0xf
	v_mov_b32_dpp v28, v27 row_bcast:15 row_mask:0xf bank_mask:0xf
	v_and_b32_e32 v32, 1, v26
	v_and_b32_e32 v31, 16, v46
	v_cndmask_b32_e32 v28, 0, v28, vcc
	v_and_b32_e32 v29, 1, v29
	v_cmp_eq_u32_e32 vcc, 1, v32
	v_bfe_i32 v30, v46, 4, 1
	v_cndmask_b32_e64 v29, v29, 1, vcc
	v_cmp_eq_u32_e32 vcc, 0, v31
	v_and_b32_e32 v28, v30, v28
	v_cndmask_b32_e32 v26, v29, v26, vcc
	v_add_u32_e32 v27, v28, v27
	v_and_b32_e32 v30, 1, v26
	v_mov_b32_dpp v28, v26 row_bcast:31 row_mask:0xf bank_mask:0xf
	v_and_b32_e32 v28, 1, v28
	v_cmp_eq_u32_e64 s[28:29], 1, v30
	v_cmp_eq_u32_e32 vcc, 0, v26
	v_cndmask_b32_e64 v28, v28, 1, s[28:29]
	v_cmp_lt_u32_e64 s[28:29], 31, v46
	v_mov_b32_dpp v29, v27 row_bcast:31 row_mask:0xf bank_mask:0xf
	s_and_b64 vcc, s[28:29], vcc
	v_cndmask_b32_e64 v28, v26, v28, s[28:29]
	v_cndmask_b32_e32 v26, 0, v29, vcc
	v_add_u32_e32 v29, v26, v27
	v_cmp_eq_u32_e32 vcc, v51, v0
	s_and_saveexec_b64 s[28:29], vcc
	s_cbranch_execz .LBB1224_91
; %bb.90:
	v_lshlrev_b32_e32 v26, 3, v1
	ds_write_b32 v26, v29
	ds_write_b8 v26, v28 offset:4
.LBB1224_91:
	s_or_b64 exec, exec, s[28:29]
	v_cmp_gt_u32_e32 vcc, 4, v0
	s_waitcnt lgkmcnt(0)
	s_barrier
	s_and_saveexec_b64 s[28:29], vcc
	s_cbranch_execz .LBB1224_95
; %bb.92:
	v_lshlrev_b32_e32 v30, 3, v0
	ds_read_b64 v[26:27], v30
	v_and_b32_e32 v31, 3, v46
	v_cmp_ne_u32_e32 vcc, 0, v31
	s_waitcnt lgkmcnt(0)
	v_mov_b32_dpp v32, v26 row_shr:1 row_mask:0xf bank_mask:0xf
	v_mov_b32_dpp v34, v27 row_shr:1 row_mask:0xf bank_mask:0xf
	v_mov_b32_e32 v33, v27
	s_and_saveexec_b64 s[34:35], vcc
	s_cbranch_execz .LBB1224_94
; %bb.93:
	v_and_b32_e32 v33, 1, v27
	v_and_b32_e32 v34, 1, v34
	v_cmp_eq_u32_e32 vcc, 1, v33
	v_mov_b32_e32 v33, 0
	v_cndmask_b32_e64 v34, v34, 1, vcc
	v_cmp_eq_u16_sdwa vcc, v27, v33 src0_sel:BYTE_0 src1_sel:DWORD
	v_cndmask_b32_e32 v32, 0, v32, vcc
	v_add_u32_e32 v26, v32, v26
	v_and_b32_e32 v32, 0xffff, v34
	s_movk_i32 s7, 0xff00
	v_and_or_b32 v33, v27, s7, v32
	v_mov_b32_e32 v27, v34
.LBB1224_94:
	s_or_b64 exec, exec, s[34:35]
	v_mov_b32_dpp v33, v33 row_shr:2 row_mask:0xf bank_mask:0xf
	v_and_b32_e32 v34, 1, v27
	v_and_b32_e32 v33, 1, v33
	v_cmp_eq_u32_e32 vcc, 1, v34
	v_mov_b32_e32 v34, 0
	v_cndmask_b32_e64 v33, v33, 1, vcc
	v_cmp_eq_u16_sdwa s[34:35], v27, v34 src0_sel:BYTE_0 src1_sel:DWORD
	v_cmp_lt_u32_e32 vcc, 1, v31
	v_mov_b32_dpp v32, v26 row_shr:2 row_mask:0xf bank_mask:0xf
	v_cndmask_b32_e32 v27, v27, v33, vcc
	s_and_b64 vcc, vcc, s[34:35]
	v_cndmask_b32_e32 v31, 0, v32, vcc
	v_add_u32_e32 v26, v31, v26
	ds_write_b32 v30, v26
	ds_write_b8 v30, v27 offset:4
.LBB1224_95:
	s_or_b64 exec, exec, s[28:29]
	v_cmp_gt_u32_e32 vcc, 64, v0
	v_cmp_lt_u32_e64 s[28:29], 63, v0
	v_mov_b32_e32 v42, 0
	v_mov_b32_e32 v43, 0
	s_waitcnt lgkmcnt(0)
	s_barrier
	s_and_saveexec_b64 s[34:35], s[28:29]
	s_cbranch_execz .LBB1224_97
; %bb.96:
	v_lshl_add_u32 v26, v1, 3, -8
	ds_read_b32 v42, v26
	ds_read_u8 v43, v26 offset:4
	v_and_b32_e32 v27, 1, v28
	v_cmp_eq_u32_e64 s[28:29], 0, v28
	s_waitcnt lgkmcnt(1)
	v_cndmask_b32_e64 v26, 0, v42, s[28:29]
	v_cmp_eq_u32_e64 s[28:29], 1, v27
	v_add_u32_e32 v29, v26, v29
	s_waitcnt lgkmcnt(0)
	v_cndmask_b32_e64 v28, v43, 1, s[28:29]
.LBB1224_97:
	s_or_b64 exec, exec, s[34:35]
	v_add_u32_e32 v26, -1, v46
	v_and_b32_e32 v27, 64, v46
	v_cmp_lt_i32_e64 s[28:29], v26, v27
	v_cndmask_b32_e64 v26, v26, v46, s[28:29]
	v_lshlrev_b32_e32 v26, 2, v26
	ds_bpermute_b32 v44, v26, v29
	ds_bpermute_b32 v45, v26, v28
	v_cmp_eq_u32_e64 s[28:29], 0, v46
	s_and_saveexec_b64 s[40:41], vcc
	s_cbranch_execz .LBB1224_116
; %bb.98:
	v_mov_b32_e32 v29, 0
	ds_read_b64 v[26:27], v29 offset:24
	s_waitcnt lgkmcnt(0)
	v_readfirstlane_b32 s7, v27
	s_and_saveexec_b64 s[34:35], s[28:29]
	s_cbranch_execz .LBB1224_100
; %bb.99:
	s_add_i32 s44, s6, 64
	s_mov_b32 s45, 0
	s_lshl_b64 s[48:49], s[44:45], 4
	s_add_u32 s48, s52, s48
	s_addc_u32 s49, s53, s49
	s_and_b32 s51, s7, 0xff000000
	s_mov_b32 s50, s45
	s_and_b32 s59, s7, 0xff0000
	s_mov_b32 s58, s45
	s_or_b64 s[50:51], s[58:59], s[50:51]
	s_and_b32 s59, s7, 0xff00
	s_or_b64 s[50:51], s[50:51], s[58:59]
	s_and_b32 s59, s7, 0xff
	s_or_b64 s[44:45], s[50:51], s[58:59]
	v_mov_b32_e32 v27, s45
	v_mov_b32_e32 v28, 1
	v_pk_mov_b32 v[30:31], s[48:49], s[48:49] op_sel:[0,1]
	;;#ASMSTART
	global_store_dwordx4 v[30:31], v[26:29] off	
s_waitcnt vmcnt(0)
	;;#ASMEND
.LBB1224_100:
	s_or_b64 exec, exec, s[34:35]
	v_xad_u32 v34, v46, -1, s6
	v_add_u32_e32 v28, 64, v34
	v_lshlrev_b64 v[30:31], 4, v[28:29]
	v_mov_b32_e32 v27, s53
	v_add_co_u32_e32 v36, vcc, s52, v30
	v_addc_co_u32_e32 v37, vcc, v27, v31, vcc
	;;#ASMSTART
	global_load_dwordx4 v[30:33], v[36:37] off glc	
s_waitcnt vmcnt(0)
	;;#ASMEND
	v_and_b32_e32 v27, 0xff0000, v30
	v_or_b32_sdwa v27, v30, v27 dst_sel:DWORD dst_unused:UNUSED_PAD src0_sel:WORD_0 src1_sel:DWORD
	v_and_b32_e32 v28, 0xff000000, v30
	v_and_b32_e32 v30, 0xff, v31
	v_or3_b32 v31, 0, 0, v30
	v_or3_b32 v30, v27, v28, 0
	v_cmp_eq_u16_sdwa s[44:45], v32, v29 src0_sel:BYTE_0 src1_sel:DWORD
	s_and_saveexec_b64 s[34:35], s[44:45]
	s_cbranch_execz .LBB1224_104
; %bb.101:
	s_mov_b64 s[44:45], 0
	v_mov_b32_e32 v27, 0
.LBB1224_102:                           ; =>This Inner Loop Header: Depth=1
	;;#ASMSTART
	global_load_dwordx4 v[30:33], v[36:37] off glc	
s_waitcnt vmcnt(0)
	;;#ASMEND
	v_cmp_ne_u16_sdwa s[48:49], v32, v27 src0_sel:BYTE_0 src1_sel:DWORD
	s_or_b64 s[44:45], s[48:49], s[44:45]
	s_andn2_b64 exec, exec, s[44:45]
	s_cbranch_execnz .LBB1224_102
; %bb.103:
	s_or_b64 exec, exec, s[44:45]
	v_and_b32_e32 v31, 0xff, v31
.LBB1224_104:
	s_or_b64 exec, exec, s[34:35]
	v_mov_b32_e32 v27, 2
	v_cmp_eq_u16_sdwa s[34:35], v32, v27 src0_sel:BYTE_0 src1_sel:DWORD
	v_lshlrev_b64 v[28:29], v46, -1
	v_and_b32_e32 v33, s35, v29
	v_or_b32_e32 v33, 0x80000000, v33
	v_and_b32_e32 v35, s34, v28
	v_ffbl_b32_e32 v33, v33
	v_and_b32_e32 v47, 63, v46
	v_add_u32_e32 v33, 32, v33
	v_ffbl_b32_e32 v35, v35
	v_cmp_ne_u32_e32 vcc, 63, v47
	v_min_u32_e32 v33, v35, v33
	v_addc_co_u32_e32 v35, vcc, 0, v46, vcc
	v_lshlrev_b32_e32 v48, 2, v35
	ds_bpermute_b32 v35, v48, v31
	ds_bpermute_b32 v36, v48, v30
	s_mov_b32 s44, 0
	v_and_b32_e32 v37, 1, v31
	s_mov_b32 s45, 1
	s_waitcnt lgkmcnt(1)
	v_and_b32_e32 v35, 1, v35
	v_cmp_eq_u32_e32 vcc, 1, v37
	v_cndmask_b32_e64 v35, v35, 1, vcc
	v_cmp_gt_u64_e32 vcc, s[44:45], v[30:31]
	v_cmp_lt_u32_e64 s[34:35], v47, v33
	s_and_b64 vcc, s[34:35], vcc
	v_and_b32_e32 v37, 0xffff, v35
	v_cndmask_b32_e64 v54, v31, v35, s[34:35]
	s_waitcnt lgkmcnt(0)
	v_cndmask_b32_e32 v35, 0, v36, vcc
	v_cmp_gt_u32_e32 vcc, 62, v47
	v_cndmask_b32_e64 v36, 0, 1, vcc
	v_lshlrev_b32_e32 v36, 1, v36
	v_cndmask_b32_e64 v31, v31, v37, s[34:35]
	v_add_lshl_u32 v49, v36, v46, 2
	ds_bpermute_b32 v36, v49, v31
	v_add_u32_e32 v30, v35, v30
	ds_bpermute_b32 v37, v49, v30
	v_and_b32_e32 v35, 1, v54
	v_cmp_eq_u32_e32 vcc, 1, v35
	s_waitcnt lgkmcnt(1)
	v_and_b32_e32 v36, 1, v36
	v_mov_b32_e32 v35, 0
	v_add_u32_e32 v53, 2, v47
	v_cndmask_b32_e64 v36, v36, 1, vcc
	v_cmp_eq_u16_sdwa vcc, v54, v35 src0_sel:BYTE_0 src1_sel:DWORD
	v_and_b32_e32 v55, 0xffff, v36
	s_waitcnt lgkmcnt(0)
	v_cndmask_b32_e32 v37, 0, v37, vcc
	v_cmp_gt_u32_e32 vcc, v53, v33
	v_cndmask_b32_e32 v36, v36, v54, vcc
	v_cndmask_b32_e64 v37, v37, 0, vcc
	v_cndmask_b32_e32 v31, v55, v31, vcc
	v_cmp_gt_u32_e32 vcc, 60, v47
	v_cndmask_b32_e64 v54, 0, 1, vcc
	v_lshlrev_b32_e32 v54, 2, v54
	v_add_lshl_u32 v54, v54, v46, 2
	ds_bpermute_b32 v56, v54, v31
	v_add_u32_e32 v30, v37, v30
	ds_bpermute_b32 v37, v54, v30
	v_and_b32_e32 v57, 1, v36
	v_cmp_eq_u32_e32 vcc, 1, v57
	s_waitcnt lgkmcnt(1)
	v_and_b32_e32 v56, 1, v56
	v_add_u32_e32 v55, 4, v47
	v_cndmask_b32_e64 v56, v56, 1, vcc
	v_cmp_eq_u16_sdwa vcc, v36, v35 src0_sel:BYTE_0 src1_sel:DWORD
	v_and_b32_e32 v57, 0xffff, v56
	s_waitcnt lgkmcnt(0)
	v_cndmask_b32_e32 v37, 0, v37, vcc
	v_cmp_gt_u32_e32 vcc, v55, v33
	v_cndmask_b32_e32 v36, v56, v36, vcc
	v_cndmask_b32_e64 v37, v37, 0, vcc
	v_cndmask_b32_e32 v31, v57, v31, vcc
	v_cmp_gt_u32_e32 vcc, 56, v47
	v_cndmask_b32_e64 v56, 0, 1, vcc
	v_lshlrev_b32_e32 v56, 3, v56
	v_add_lshl_u32 v56, v56, v46, 2
	ds_bpermute_b32 v58, v56, v31
	v_add_u32_e32 v30, v37, v30
	ds_bpermute_b32 v37, v56, v30
	v_and_b32_e32 v59, 1, v36
	v_cmp_eq_u32_e32 vcc, 1, v59
	s_waitcnt lgkmcnt(1)
	v_and_b32_e32 v58, 1, v58
	;; [unrolled: 21-line block ×4, first 2 shown]
	v_add_u32_e32 v62, 32, v47
	v_cndmask_b32_e64 v31, v31, 1, vcc
	v_cmp_eq_u16_sdwa vcc, v36, v35 src0_sel:BYTE_0 src1_sel:DWORD
	s_waitcnt lgkmcnt(0)
	v_cndmask_b32_e32 v37, 0, v37, vcc
	v_cmp_gt_u32_e32 vcc, v62, v33
	v_cndmask_b32_e64 v33, v37, 0, vcc
	v_cndmask_b32_e32 v31, v31, v36, vcc
	v_add_u32_e32 v30, v33, v30
	s_branch .LBB1224_106
.LBB1224_105:                           ;   in Loop: Header=BB1224_106 Depth=1
	s_or_b64 exec, exec, s[34:35]
	v_cmp_eq_u16_sdwa s[34:35], v32, v27 src0_sel:BYTE_0 src1_sel:DWORD
	v_and_b32_e32 v33, s35, v29
	ds_bpermute_b32 v37, v48, v31
	v_or_b32_e32 v33, 0x80000000, v33
	v_and_b32_e32 v36, s34, v28
	v_ffbl_b32_e32 v33, v33
	v_add_u32_e32 v33, 32, v33
	v_ffbl_b32_e32 v36, v36
	v_min_u32_e32 v33, v36, v33
	ds_bpermute_b32 v36, v48, v30
	v_and_b32_e32 v63, 1, v31
	s_waitcnt lgkmcnt(1)
	v_and_b32_e32 v37, 1, v37
	v_cmp_eq_u32_e32 vcc, 1, v63
	v_cndmask_b32_e64 v37, v37, 1, vcc
	v_cmp_gt_u64_e32 vcc, s[44:45], v[30:31]
	v_and_b32_e32 v63, 0xffff, v37
	v_cmp_lt_u32_e64 s[34:35], v47, v33
	v_cndmask_b32_e64 v37, v31, v37, s[34:35]
	v_cndmask_b32_e64 v31, v31, v63, s[34:35]
	s_and_b64 vcc, s[34:35], vcc
	ds_bpermute_b32 v63, v49, v31
	s_waitcnt lgkmcnt(1)
	v_cndmask_b32_e32 v36, 0, v36, vcc
	v_add_u32_e32 v30, v36, v30
	ds_bpermute_b32 v36, v49, v30
	v_and_b32_e32 v64, 1, v37
	s_waitcnt lgkmcnt(1)
	v_and_b32_e32 v63, 1, v63
	v_cmp_eq_u32_e32 vcc, 1, v64
	v_cndmask_b32_e64 v63, v63, 1, vcc
	v_cmp_eq_u16_sdwa vcc, v37, v35 src0_sel:BYTE_0 src1_sel:DWORD
	v_and_b32_e32 v64, 0xffff, v63
	s_waitcnt lgkmcnt(0)
	v_cndmask_b32_e32 v36, 0, v36, vcc
	v_cmp_gt_u32_e32 vcc, v53, v33
	v_cndmask_b32_e32 v31, v64, v31, vcc
	v_cndmask_b32_e32 v37, v63, v37, vcc
	ds_bpermute_b32 v63, v54, v31
	v_cndmask_b32_e64 v36, v36, 0, vcc
	v_add_u32_e32 v30, v36, v30
	ds_bpermute_b32 v36, v54, v30
	v_and_b32_e32 v64, 1, v37
	s_waitcnt lgkmcnt(1)
	v_and_b32_e32 v63, 1, v63
	v_cmp_eq_u32_e32 vcc, 1, v64
	v_cndmask_b32_e64 v63, v63, 1, vcc
	v_cmp_eq_u16_sdwa vcc, v37, v35 src0_sel:BYTE_0 src1_sel:DWORD
	v_and_b32_e32 v64, 0xffff, v63
	s_waitcnt lgkmcnt(0)
	v_cndmask_b32_e32 v36, 0, v36, vcc
	v_cmp_gt_u32_e32 vcc, v55, v33
	v_cndmask_b32_e32 v31, v64, v31, vcc
	v_cndmask_b32_e32 v37, v63, v37, vcc
	ds_bpermute_b32 v63, v56, v31
	v_cndmask_b32_e64 v36, v36, 0, vcc
	v_add_u32_e32 v30, v36, v30
	ds_bpermute_b32 v36, v56, v30
	v_and_b32_e32 v64, 1, v37
	s_waitcnt lgkmcnt(1)
	v_and_b32_e32 v63, 1, v63
	v_cmp_eq_u32_e32 vcc, 1, v64
	v_cndmask_b32_e64 v63, v63, 1, vcc
	v_cmp_eq_u16_sdwa vcc, v37, v35 src0_sel:BYTE_0 src1_sel:DWORD
	v_and_b32_e32 v64, 0xffff, v63
	s_waitcnt lgkmcnt(0)
	v_cndmask_b32_e32 v36, 0, v36, vcc
	v_cmp_gt_u32_e32 vcc, v57, v33
	v_cndmask_b32_e32 v31, v64, v31, vcc
	v_cndmask_b32_e32 v37, v63, v37, vcc
	ds_bpermute_b32 v63, v58, v31
	v_cndmask_b32_e64 v36, v36, 0, vcc
	v_add_u32_e32 v30, v36, v30
	ds_bpermute_b32 v36, v58, v30
	v_and_b32_e32 v64, 1, v37
	s_waitcnt lgkmcnt(1)
	v_and_b32_e32 v63, 1, v63
	v_cmp_eq_u32_e32 vcc, 1, v64
	v_cndmask_b32_e64 v63, v63, 1, vcc
	v_cmp_eq_u16_sdwa vcc, v37, v35 src0_sel:BYTE_0 src1_sel:DWORD
	v_and_b32_e32 v64, 0xffff, v63
	s_waitcnt lgkmcnt(0)
	v_cndmask_b32_e32 v36, 0, v36, vcc
	v_cmp_gt_u32_e32 vcc, v59, v33
	v_cndmask_b32_e64 v36, v36, 0, vcc
	v_cndmask_b32_e32 v31, v64, v31, vcc
	ds_bpermute_b32 v31, v61, v31
	v_add_u32_e32 v30, v36, v30
	ds_bpermute_b32 v36, v61, v30
	v_cndmask_b32_e32 v37, v63, v37, vcc
	v_and_b32_e32 v63, 1, v37
	v_cmp_eq_u32_e32 vcc, 1, v63
	s_waitcnt lgkmcnt(1)
	v_cndmask_b32_e64 v31, v31, 1, vcc
	v_cmp_eq_u16_sdwa vcc, v37, v35 src0_sel:BYTE_0 src1_sel:DWORD
	s_waitcnt lgkmcnt(0)
	v_cndmask_b32_e32 v36, 0, v36, vcc
	v_cmp_gt_u32_e32 vcc, v62, v33
	v_cndmask_b32_e64 v33, v36, 0, vcc
	v_cndmask_b32_e32 v31, v31, v37, vcc
	v_add_u32_e32 v30, v33, v30
	v_cmp_eq_u16_sdwa vcc, v46, v35 src0_sel:BYTE_0 src1_sel:DWORD
	v_and_b32_e32 v33, 1, v46
	v_cndmask_b32_e32 v30, 0, v30, vcc
	v_and_b32_e32 v31, 1, v31
	v_cmp_eq_u32_e32 vcc, 1, v33
	v_subrev_u32_e32 v34, 64, v34
	v_add_u32_e32 v30, v30, v60
	v_cndmask_b32_e64 v31, v31, 1, vcc
.LBB1224_106:                           ; =>This Loop Header: Depth=1
                                        ;     Child Loop BB1224_109 Depth 2
	v_cmp_ne_u16_sdwa s[34:35], v32, v27 src0_sel:BYTE_0 src1_sel:DWORD
	v_mov_b32_e32 v46, v31
	v_cndmask_b32_e64 v31, 0, 1, s[34:35]
	;;#ASMSTART
	;;#ASMEND
	v_cmp_ne_u32_e32 vcc, 0, v31
	s_cmp_lg_u64 vcc, exec
	v_mov_b32_e32 v60, v30
	s_cbranch_scc1 .LBB1224_111
; %bb.107:                              ;   in Loop: Header=BB1224_106 Depth=1
	v_lshlrev_b64 v[30:31], 4, v[34:35]
	v_mov_b32_e32 v32, s53
	v_add_co_u32_e32 v36, vcc, s52, v30
	v_addc_co_u32_e32 v37, vcc, v32, v31, vcc
	;;#ASMSTART
	global_load_dwordx4 v[30:33], v[36:37] off glc	
s_waitcnt vmcnt(0)
	;;#ASMEND
	v_and_b32_e32 v33, 0xff0000, v30
	v_or_b32_sdwa v33, v30, v33 dst_sel:DWORD dst_unused:UNUSED_PAD src0_sel:WORD_0 src1_sel:DWORD
	v_and_b32_e32 v30, 0xff000000, v30
	v_and_b32_e32 v31, 0xff, v31
	v_or3_b32 v31, 0, 0, v31
	v_or3_b32 v30, v33, v30, 0
	v_cmp_eq_u16_sdwa s[48:49], v32, v35 src0_sel:BYTE_0 src1_sel:DWORD
	s_and_saveexec_b64 s[34:35], s[48:49]
	s_cbranch_execz .LBB1224_105
; %bb.108:                              ;   in Loop: Header=BB1224_106 Depth=1
	s_mov_b64 s[48:49], 0
.LBB1224_109:                           ;   Parent Loop BB1224_106 Depth=1
                                        ; =>  This Inner Loop Header: Depth=2
	;;#ASMSTART
	global_load_dwordx4 v[30:33], v[36:37] off glc	
s_waitcnt vmcnt(0)
	;;#ASMEND
	v_cmp_ne_u16_sdwa s[50:51], v32, v35 src0_sel:BYTE_0 src1_sel:DWORD
	s_or_b64 s[48:49], s[50:51], s[48:49]
	s_andn2_b64 exec, exec, s[48:49]
	s_cbranch_execnz .LBB1224_109
; %bb.110:                              ;   in Loop: Header=BB1224_106 Depth=1
	s_or_b64 exec, exec, s[48:49]
	v_and_b32_e32 v31, 0xff, v31
	s_branch .LBB1224_105
.LBB1224_111:                           ;   in Loop: Header=BB1224_106 Depth=1
                                        ; implicit-def: $vgpr31
                                        ; implicit-def: $vgpr30
                                        ; implicit-def: $vgpr32
	s_cbranch_execz .LBB1224_106
; %bb.112:
	s_and_saveexec_b64 s[34:35], s[28:29]
	s_cbranch_execz .LBB1224_114
; %bb.113:
	s_and_b32 s44, s7, 0xff
	s_cmp_eq_u32 s44, 0
	s_cselect_b64 vcc, -1, 0
	s_bitcmp1_b32 s7, 0
	s_mov_b32 s45, 0
	s_cselect_b64 s[48:49], -1, 0
	s_add_i32 s44, s6, 64
	s_lshl_b64 s[6:7], s[44:45], 4
	v_cndmask_b32_e32 v27, 0, v60, vcc
	s_add_u32 s6, s52, s6
	v_add_u32_e32 v26, v27, v26
	v_and_b32_e32 v27, 1, v46
	s_addc_u32 s7, s53, s7
	v_mov_b32_e32 v29, 0
	v_cndmask_b32_e64 v27, v27, 1, s[48:49]
	v_mov_b32_e32 v28, 2
	v_pk_mov_b32 v[30:31], s[6:7], s[6:7] op_sel:[0,1]
	;;#ASMSTART
	global_store_dwordx4 v[30:31], v[26:29] off	
s_waitcnt vmcnt(0)
	;;#ASMEND
.LBB1224_114:
	s_or_b64 exec, exec, s[34:35]
	v_cmp_eq_u32_e32 vcc, 0, v0
	s_and_b64 exec, exec, vcc
	s_cbranch_execz .LBB1224_116
; %bb.115:
	v_mov_b32_e32 v26, 0
	ds_write_b32 v26, v60 offset:24
	ds_write_b8 v26, v46 offset:28
.LBB1224_116:
	s_or_b64 exec, exec, s[40:41]
	s_mov_b32 s6, 0
	v_mov_b32_e32 v28, 0
	s_mov_b32 s7, 1
	s_waitcnt lgkmcnt(0)
	v_cndmask_b32_e64 v26, v45, v43, s[28:29]
	v_cndmask_b32_e64 v27, v44, v42, s[28:29]
	s_barrier
	ds_read_b32 v29, v28 offset:24
	v_cmp_gt_u64_e32 vcc, s[6:7], v[38:39]
	v_and_b32_e32 v30, 1, v39
	v_cndmask_b32_e32 v27, 0, v27, vcc
	v_and_b32_e32 v26, 1, v26
	v_cmp_eq_u32_e32 vcc, 1, v30
	v_cndmask_b32_e64 v26, v26, 1, vcc
	v_cmp_eq_u32_e32 vcc, 0, v0
	v_cndmask_b32_e32 v26, v26, v39, vcc
	v_cndmask_b32_e64 v27, v27, 0, vcc
	v_cmp_eq_u16_sdwa vcc, v26, v28 src0_sel:BYTE_0 src1_sel:DWORD
	s_waitcnt lgkmcnt(0)
	v_cndmask_b32_e32 v26, 0, v29, vcc
	v_add3_u32 v26, v27, v38, v26
	v_cndmask_b32_e64 v27, 0, v26, s[2:3]
	v_add_u32_e32 v27, v27, v2
	v_cndmask_b32_e64 v28, 0, v27, s[4:5]
	v_add_u32_e32 v42, v28, v4
	;; [unrolled: 2-line block ×13, first 2 shown]
	s_branch .LBB1224_133
.LBB1224_117:
                                        ; implicit-def: $vgpr49
                                        ; implicit-def: $vgpr47
                                        ; implicit-def: $vgpr45
                                        ; implicit-def: $vgpr43
                                        ; implicit-def: $vgpr34_vgpr35_vgpr36_vgpr37
                                        ; implicit-def: $vgpr30_vgpr31_vgpr32_vgpr33
                                        ; implicit-def: $vgpr26_vgpr27_vgpr28_vgpr29
	s_cbranch_execz .LBB1224_133
; %bb.118:
	s_cmp_lg_u64 s[56:57], 0
	s_cselect_b32 s5, s47, 0
	s_cselect_b32 s4, s46, 0
	s_cmp_lg_u64 s[4:5], 0
	s_cselect_b64 s[6:7], -1, 0
	v_cmp_eq_u32_e32 vcc, 0, v0
	s_mov_b32 s28, 0
	v_cmp_ne_u32_e64 s[2:3], 0, v0
	s_and_b64 s[8:9], vcc, s[6:7]
	s_and_saveexec_b64 s[6:7], s[8:9]
	s_cbranch_execz .LBB1224_120
; %bb.119:
	v_mov_b32_e32 v26, 0
	global_load_dword v28, v26, s[4:5]
	global_load_ubyte v29, v26, s[4:5] offset:4
	s_mov_b32 s29, 1
	v_and_b32_e32 v27, 1, v39
	v_cmp_gt_u64_e64 s[4:5], s[28:29], v[38:39]
	s_waitcnt vmcnt(1)
	v_cndmask_b32_e64 v28, 0, v28, s[4:5]
	s_waitcnt vmcnt(0)
	v_and_b32_e32 v29, 1, v29
	v_cmp_eq_u64_e64 s[4:5], 0, v[26:27]
	v_add_u32_e32 v38, v28, v38
	v_cndmask_b32_e64 v39, 1, v29, s[4:5]
.LBB1224_120:
	s_or_b64 exec, exec, s[6:7]
	s_mov_b32 s29, 1
	v_cmp_gt_u64_e64 s[4:5], s[28:29], v[2:3]
	v_cndmask_b32_e64 v26, 0, v38, s[4:5]
	v_add_u32_e32 v27, v26, v2
	v_cmp_gt_u64_e64 s[6:7], s[28:29], v[4:5]
	v_cndmask_b32_e64 v26, 0, v27, s[6:7]
	v_add_u32_e32 v42, v26, v4
	;; [unrolled: 3-line block ×7, first 2 shown]
	v_cmp_gt_u64_e64 s[18:19], s[28:29], v[16:17]
	v_mov_b32_e32 v28, 0
	v_cndmask_b32_e64 v26, 0, v45, s[18:19]
	v_or3_b32 v7, v23, v15, v7
	v_add_u32_e32 v34, v26, v16
	v_cmp_gt_u64_e64 s[20:21], s[28:29], v[18:19]
	v_or3_b32 v9, v25, v17, v9
	v_and_b32_e32 v55, 1, v7
	v_mov_b32_e32 v54, v28
	v_cndmask_b32_e64 v26, 0, v34, s[20:21]
	v_or3_b32 v3, v19, v11, v3
	v_and_b32_e32 v37, 1, v9
	v_mov_b32_e32 v36, v28
	v_cmp_ne_u64_e64 s[34:35], 0, v[54:55]
	v_add_u32_e32 v35, v26, v18
	v_cmp_gt_u64_e64 s[22:23], s[28:29], v[20:21]
	v_or3_b32 v5, v21, v13, v5
	v_and_b32_e32 v29, 1, v3
	v_cndmask_b32_e64 v3, 0, 1, s[34:35]
	v_cmp_ne_u64_e64 s[34:35], 0, v[36:37]
	v_cndmask_b32_e64 v26, 0, v35, s[22:23]
	v_and_b32_e32 v33, 1, v5
	v_mov_b32_e32 v32, v28
	v_cndmask_b32_e64 v5, 0, 1, s[34:35]
	v_add_u32_e32 v46, v26, v20
	v_cmp_gt_u64_e64 s[24:25], s[28:29], v[22:23]
	v_lshlrev_b16_e32 v3, 2, v3
	v_lshlrev_b16_e32 v5, 3, v5
	v_cmp_ne_u64_e64 s[34:35], 0, v[32:33]
	v_cndmask_b32_e64 v26, 0, v46, s[24:25]
	v_or_b32_e32 v3, v5, v3
	v_cndmask_b32_e64 v5, 0, 1, s[34:35]
	v_cmp_ne_u64_e64 s[34:35], 0, v[28:29]
	v_add_u32_e32 v47, v26, v22
	v_cmp_gt_u64_e64 s[26:27], s[28:29], v[24:25]
	v_lshlrev_b16_e32 v5, 1, v5
	v_cndmask_b32_e64 v7, 0, 1, s[34:35]
	v_cndmask_b32_e64 v26, 0, v47, s[26:27]
	v_or_b32_e32 v5, v7, v5
	v_add_u32_e32 v48, v26, v24
	v_cmp_gt_u64_e64 s[28:29], s[28:29], v[40:41]
	v_and_b32_e32 v5, 3, v5
	v_cndmask_b32_e64 v26, 0, v48, s[28:29]
	v_or_b32_e32 v3, v5, v3
	v_add_u32_e32 v49, v26, v40
	v_and_b32_e32 v26, 1, v41
	v_and_b32_e32 v3, 15, v3
	v_cmp_eq_u32_e64 s[30:31], 1, v26
	v_cmp_ne_u16_e64 s[34:35], 0, v3
	s_or_b64 s[30:31], s[30:31], s[34:35]
	v_cndmask_b32_e64 v5, v39, 1, s[30:31]
	v_mbcnt_hi_u32_b32 v3, -1, v52
	v_mov_b32_dpp v9, v49 row_shr:1 row_mask:0xf bank_mask:0xf
	v_mov_b32_dpp v11, v5 row_shr:1 row_mask:0xf bank_mask:0xf
	v_cmp_eq_u32_e64 s[30:31], 0, v5
	v_and_b32_e32 v13, 1, v5
	v_and_b32_e32 v7, 15, v3
	v_cndmask_b32_e64 v9, 0, v9, s[30:31]
	v_and_b32_e32 v11, 1, v11
	v_cmp_eq_u32_e64 s[30:31], 1, v13
	v_cndmask_b32_e64 v11, v11, 1, s[30:31]
	v_cmp_eq_u32_e64 s[30:31], 0, v7
	v_cndmask_b32_e64 v5, v11, v5, s[30:31]
	v_and_b32_e32 v15, 1, v5
	v_cmp_eq_u32_e64 s[34:35], 1, v15
	v_mov_b32_dpp v13, v5 row_shr:2 row_mask:0xf bank_mask:0xf
	v_and_b32_e32 v13, 1, v13
	v_cndmask_b32_e64 v13, v13, 1, s[34:35]
	v_cmp_lt_u32_e64 s[34:35], 1, v7
	v_cndmask_b32_e64 v9, v9, 0, s[30:31]
	v_cmp_eq_u32_e64 s[30:31], 0, v5
	v_cndmask_b32_e64 v5, v5, v13, s[34:35]
	v_add_u32_e32 v9, v49, v9
	v_and_b32_e32 v15, 1, v5
	v_mov_b32_dpp v13, v5 row_shr:4 row_mask:0xf bank_mask:0xf
	v_mov_b32_dpp v11, v9 row_shr:2 row_mask:0xf bank_mask:0xf
	s_and_b64 s[30:31], s[34:35], s[30:31]
	v_and_b32_e32 v13, 1, v13
	v_cmp_eq_u32_e64 s[34:35], 1, v15
	v_cndmask_b32_e64 v11, 0, v11, s[30:31]
	v_cndmask_b32_e64 v13, v13, 1, s[34:35]
	v_cmp_lt_u32_e64 s[34:35], 3, v7
	v_add_u32_e32 v9, v9, v11
	v_cmp_eq_u32_e64 s[30:31], 0, v5
	v_cndmask_b32_e64 v5, v5, v13, s[34:35]
	v_mov_b32_dpp v11, v9 row_shr:4 row_mask:0xf bank_mask:0xf
	s_and_b64 s[30:31], s[34:35], s[30:31]
	v_mov_b32_dpp v13, v5 row_shr:8 row_mask:0xf bank_mask:0xf
	v_and_b32_e32 v15, 1, v5
	v_cndmask_b32_e64 v11, 0, v11, s[30:31]
	v_and_b32_e32 v13, 1, v13
	v_cmp_eq_u32_e64 s[34:35], 1, v15
	v_add_u32_e32 v9, v9, v11
	v_cmp_eq_u32_e64 s[30:31], 0, v5
	v_cndmask_b32_e64 v13, v13, 1, s[34:35]
	v_cmp_lt_u32_e64 s[34:35], 7, v7
	v_mov_b32_dpp v11, v9 row_shr:8 row_mask:0xf bank_mask:0xf
	s_and_b64 s[30:31], s[34:35], s[30:31]
	v_cndmask_b32_e64 v7, 0, v11, s[30:31]
	v_cndmask_b32_e64 v5, v5, v13, s[34:35]
	v_add_u32_e32 v7, v9, v7
	v_cmp_eq_u32_e64 s[30:31], 0, v5
	v_mov_b32_dpp v11, v5 row_bcast:15 row_mask:0xf bank_mask:0xf
	v_mov_b32_dpp v9, v7 row_bcast:15 row_mask:0xf bank_mask:0xf
	v_and_b32_e32 v17, 1, v5
	v_and_b32_e32 v15, 16, v3
	v_cndmask_b32_e64 v9, 0, v9, s[30:31]
	v_and_b32_e32 v11, 1, v11
	v_cmp_eq_u32_e64 s[30:31], 1, v17
	v_bfe_i32 v13, v3, 4, 1
	v_cndmask_b32_e64 v11, v11, 1, s[30:31]
	v_cmp_eq_u32_e64 s[30:31], 0, v15
	v_and_b32_e32 v9, v13, v9
	v_cndmask_b32_e64 v5, v11, v5, s[30:31]
	v_add_u32_e32 v9, v7, v9
	v_and_b32_e32 v13, 1, v5
	v_mov_b32_dpp v7, v5 row_bcast:31 row_mask:0xf bank_mask:0xf
	v_and_b32_e32 v7, 1, v7
	v_cmp_eq_u32_e64 s[34:35], 1, v13
	v_cmp_eq_u32_e64 s[30:31], 0, v5
	v_cndmask_b32_e64 v7, v7, 1, s[34:35]
	v_cmp_lt_u32_e64 s[34:35], 31, v3
	v_mov_b32_dpp v11, v9 row_bcast:31 row_mask:0xf bank_mask:0xf
	s_and_b64 s[30:31], s[34:35], s[30:31]
	v_cndmask_b32_e64 v7, v5, v7, s[34:35]
	v_cndmask_b32_e64 v5, 0, v11, s[30:31]
	v_add_u32_e32 v5, v9, v5
	v_cmp_eq_u32_e64 s[30:31], v51, v0
	s_and_saveexec_b64 s[34:35], s[30:31]
	s_cbranch_execz .LBB1224_122
; %bb.121:
	v_lshlrev_b32_e32 v9, 3, v1
	ds_write_b32 v9, v5
	ds_write_b8 v9, v7 offset:4
.LBB1224_122:
	s_or_b64 exec, exec, s[34:35]
	v_cmp_gt_u32_e64 s[30:31], 4, v0
	s_waitcnt lgkmcnt(0)
	s_barrier
	s_and_saveexec_b64 s[34:35], s[30:31]
	s_cbranch_execz .LBB1224_126
; %bb.123:
	v_lshlrev_b32_e32 v9, 3, v0
	ds_read_b64 v[28:29], v9
	v_and_b32_e32 v11, 3, v3
	v_cmp_ne_u32_e64 s[30:31], 0, v11
	s_waitcnt lgkmcnt(0)
	v_mov_b32_dpp v13, v28 row_shr:1 row_mask:0xf bank_mask:0xf
	v_mov_b32_dpp v17, v29 row_shr:1 row_mask:0xf bank_mask:0xf
	v_mov_b32_e32 v15, v29
	s_and_saveexec_b64 s[40:41], s[30:31]
	s_cbranch_execz .LBB1224_125
; %bb.124:
	v_and_b32_e32 v15, 1, v29
	v_and_b32_e32 v17, 1, v17
	v_cmp_eq_u32_e64 s[30:31], 1, v15
	v_mov_b32_e32 v15, 0
	v_cndmask_b32_e64 v17, v17, 1, s[30:31]
	v_cmp_eq_u16_sdwa s[30:31], v29, v15 src0_sel:BYTE_0 src1_sel:DWORD
	v_cndmask_b32_e64 v13, 0, v13, s[30:31]
	v_add_u32_e32 v28, v13, v28
	v_and_b32_e32 v13, 0xffff, v17
	s_movk_i32 s30, 0xff00
	v_and_or_b32 v15, v29, s30, v13
	v_mov_b32_e32 v29, v17
.LBB1224_125:
	s_or_b64 exec, exec, s[40:41]
	v_mov_b32_dpp v15, v15 row_shr:2 row_mask:0xf bank_mask:0xf
	v_and_b32_e32 v17, 1, v29
	v_and_b32_e32 v15, 1, v15
	v_cmp_eq_u32_e64 s[30:31], 1, v17
	v_mov_b32_e32 v17, 0
	v_cndmask_b32_e64 v15, v15, 1, s[30:31]
	v_cmp_eq_u16_sdwa s[40:41], v29, v17 src0_sel:BYTE_0 src1_sel:DWORD
	v_cmp_lt_u32_e64 s[30:31], 1, v11
	v_mov_b32_dpp v13, v28 row_shr:2 row_mask:0xf bank_mask:0xf
	v_cndmask_b32_e64 v11, v29, v15, s[30:31]
	s_and_b64 s[30:31], s[30:31], s[40:41]
	v_cndmask_b32_e64 v13, 0, v13, s[30:31]
	v_add_u32_e32 v13, v13, v28
	ds_write_b32 v9, v13
	ds_write_b8 v9, v11 offset:4
.LBB1224_126:
	s_or_b64 exec, exec, s[34:35]
	v_cmp_lt_u32_e64 s[30:31], 63, v0
	v_mov_b32_e32 v9, 0
	s_waitcnt lgkmcnt(0)
	s_barrier
	s_and_saveexec_b64 s[34:35], s[30:31]
	s_cbranch_execz .LBB1224_128
; %bb.127:
	v_lshl_add_u32 v1, v1, 3, -8
	ds_read_b32 v9, v1
	v_cmp_eq_u32_e64 s[30:31], 0, v7
	s_waitcnt lgkmcnt(0)
	v_cndmask_b32_e64 v1, 0, v9, s[30:31]
	v_add_u32_e32 v5, v1, v5
.LBB1224_128:
	s_or_b64 exec, exec, s[34:35]
	v_add_u32_e32 v1, -1, v3
	v_and_b32_e32 v7, 64, v3
	v_cmp_lt_i32_e64 s[30:31], v1, v7
	v_cndmask_b32_e64 v1, v1, v3, s[30:31]
	v_lshlrev_b32_e32 v1, 2, v1
	ds_bpermute_b32 v1, v1, v5
	s_and_saveexec_b64 s[30:31], s[2:3]
	s_cbranch_execz .LBB1224_130
; %bb.129:
	v_and_b32_e32 v27, 0xff, v39
	v_mov_b32_e32 v26, 0
	v_cmp_eq_u32_e64 s[2:3], 0, v3
	s_waitcnt lgkmcnt(0)
	v_cndmask_b32_e64 v1, v1, v9, s[2:3]
	v_cmp_eq_u64_e64 s[2:3], 0, v[26:27]
	v_cndmask_b32_e64 v1, 0, v1, s[2:3]
	v_add_u32_e32 v38, v1, v38
	v_cndmask_b32_e64 v1, 0, v38, s[4:5]
	v_add_u32_e32 v27, v1, v2
	v_cndmask_b32_e64 v1, 0, v27, s[6:7]
	v_add_u32_e32 v42, v1, v4
	v_cndmask_b32_e64 v1, 0, v42, s[8:9]
	v_add_u32_e32 v43, v1, v6
	v_cndmask_b32_e64 v1, 0, v43, s[10:11]
	v_add_u32_e32 v30, v1, v8
	v_cndmask_b32_e64 v1, 0, v30, s[12:13]
	v_add_u32_e32 v31, v1, v10
	v_cndmask_b32_e64 v1, 0, v31, s[14:15]
	v_add_u32_e32 v44, v1, v12
	v_cndmask_b32_e64 v1, 0, v44, s[16:17]
	v_add_u32_e32 v45, v1, v14
	v_cndmask_b32_e64 v1, 0, v45, s[18:19]
	v_add_u32_e32 v34, v1, v16
	v_cndmask_b32_e64 v1, 0, v34, s[20:21]
	v_add_u32_e32 v35, v1, v18
	v_cndmask_b32_e64 v1, 0, v35, s[22:23]
	v_add_u32_e32 v46, v1, v20
	v_cndmask_b32_e64 v1, 0, v46, s[24:25]
	v_add_u32_e32 v47, v1, v22
	v_cndmask_b32_e64 v1, 0, v47, s[26:27]
	v_add_u32_e32 v48, v1, v24
	v_cndmask_b32_e64 v1, 0, v48, s[28:29]
	v_add_u32_e32 v49, v1, v40
	;;#ASMSTART
	;;#ASMEND
.LBB1224_130:
	s_or_b64 exec, exec, s[30:31]
	s_and_saveexec_b64 s[2:3], vcc
	s_cbranch_execz .LBB1224_132
; %bb.131:
	v_mov_b32_e32 v5, 0
	ds_read_b32 v2, v5 offset:24
	ds_read_u8 v3, v5 offset:28
	s_add_u32 s4, s52, 0x400
	s_addc_u32 s5, s53, 0
	v_mov_b32_e32 v4, 2
	v_pk_mov_b32 v[6:7], s[4:5], s[4:5] op_sel:[0,1]
	s_waitcnt lgkmcnt(0)
	;;#ASMSTART
	global_store_dwordx4 v[6:7], v[2:5] off	
s_waitcnt vmcnt(0)
	;;#ASMEND
.LBB1224_132:
	s_or_b64 exec, exec, s[2:3]
	v_mov_b32_e32 v26, v38
.LBB1224_133:
	s_add_u32 s2, s42, s38
	s_addc_u32 s3, s43, s39
	s_add_u32 s4, s2, s36
	s_waitcnt lgkmcnt(0)
	v_mul_u32_u24_e32 v1, 14, v0
	s_addc_u32 s5, s3, s37
	s_and_b64 vcc, exec, s[0:1]
	v_lshlrev_b32_e32 v2, 2, v1
	s_cbranch_vccz .LBB1224_161
; %bb.134:
	s_movk_i32 s0, 0xffcc
	v_mad_i32_i24 v3, v0, s0, v2
	s_barrier
	ds_write2_b64 v2, v[26:27], v[42:43] offset1:1
	ds_write2_b64 v2, v[30:31], v[44:45] offset0:2 offset1:3
	ds_write2_b64 v2, v[34:35], v[46:47] offset0:4 offset1:5
	ds_write_b64 v2, v[48:49] offset:48
	s_waitcnt lgkmcnt(0)
	s_barrier
	ds_read2st64_b32 v[16:17], v3 offset0:4 offset1:8
	ds_read2st64_b32 v[14:15], v3 offset0:12 offset1:16
	;; [unrolled: 1-line block ×6, first 2 shown]
	ds_read_b32 v3, v3 offset:13312
	v_mov_b32_e32 v7, s5
	v_add_co_u32_e32 v6, vcc, s4, v50
	s_add_i32 s33, s33, s54
	v_addc_co_u32_e32 v7, vcc, 0, v7, vcc
	v_mov_b32_e32 v1, 0
	v_cmp_gt_u32_e32 vcc, s33, v0
	s_and_saveexec_b64 s[0:1], vcc
	s_cbranch_execz .LBB1224_136
; %bb.135:
	v_mul_i32_i24_e32 v18, 0xffffffcc, v0
	v_add_u32_e32 v18, v2, v18
	ds_read_b32 v18, v18
	s_waitcnt lgkmcnt(0)
	flat_store_dword v[6:7], v18
.LBB1224_136:
	s_or_b64 exec, exec, s[0:1]
	v_or_b32_e32 v18, 0x100, v0
	v_cmp_gt_u32_e32 vcc, s33, v18
	s_and_saveexec_b64 s[0:1], vcc
	s_cbranch_execz .LBB1224_138
; %bb.137:
	s_waitcnt lgkmcnt(0)
	flat_store_dword v[6:7], v16 offset:1024
.LBB1224_138:
	s_or_b64 exec, exec, s[0:1]
	s_waitcnt lgkmcnt(0)
	v_or_b32_e32 v16, 0x200, v0
	v_cmp_gt_u32_e32 vcc, s33, v16
	s_and_saveexec_b64 s[0:1], vcc
	s_cbranch_execz .LBB1224_140
; %bb.139:
	flat_store_dword v[6:7], v17 offset:2048
.LBB1224_140:
	s_or_b64 exec, exec, s[0:1]
	v_or_b32_e32 v16, 0x300, v0
	v_cmp_gt_u32_e32 vcc, s33, v16
	s_and_saveexec_b64 s[0:1], vcc
	s_cbranch_execz .LBB1224_142
; %bb.141:
	flat_store_dword v[6:7], v14 offset:3072
.LBB1224_142:
	s_or_b64 exec, exec, s[0:1]
	v_or_b32_e32 v14, 0x400, v0
	v_cmp_gt_u32_e32 vcc, s33, v14
	s_and_saveexec_b64 s[0:1], vcc
	s_cbranch_execz .LBB1224_144
; %bb.143:
	v_add_co_u32_e32 v16, vcc, 0x1000, v6
	v_addc_co_u32_e32 v17, vcc, 0, v7, vcc
	flat_store_dword v[16:17], v15
.LBB1224_144:
	s_or_b64 exec, exec, s[0:1]
	v_or_b32_e32 v14, 0x500, v0
	v_cmp_gt_u32_e32 vcc, s33, v14
	s_and_saveexec_b64 s[0:1], vcc
	s_cbranch_execz .LBB1224_146
; %bb.145:
	v_add_co_u32_e32 v14, vcc, 0x1000, v6
	v_addc_co_u32_e32 v15, vcc, 0, v7, vcc
	flat_store_dword v[14:15], v12 offset:1024
.LBB1224_146:
	s_or_b64 exec, exec, s[0:1]
	v_or_b32_e32 v12, 0x600, v0
	v_cmp_gt_u32_e32 vcc, s33, v12
	s_and_saveexec_b64 s[0:1], vcc
	s_cbranch_execz .LBB1224_148
; %bb.147:
	v_add_co_u32_e32 v14, vcc, 0x1000, v6
	v_addc_co_u32_e32 v15, vcc, 0, v7, vcc
	flat_store_dword v[14:15], v13 offset:2048
.LBB1224_148:
	;; [unrolled: 10-line block ×3, first 2 shown]
	s_or_b64 exec, exec, s[0:1]
	v_or_b32_e32 v10, 0x800, v0
	v_cmp_gt_u32_e32 vcc, s33, v10
	s_and_saveexec_b64 s[0:1], vcc
	s_cbranch_execz .LBB1224_152
; %bb.151:
	v_add_co_u32_e32 v12, vcc, 0x2000, v6
	v_addc_co_u32_e32 v13, vcc, 0, v7, vcc
	flat_store_dword v[12:13], v11
.LBB1224_152:
	s_or_b64 exec, exec, s[0:1]
	v_or_b32_e32 v10, 0x900, v0
	v_cmp_gt_u32_e32 vcc, s33, v10
	s_and_saveexec_b64 s[0:1], vcc
	s_cbranch_execz .LBB1224_154
; %bb.153:
	v_add_co_u32_e32 v10, vcc, 0x2000, v6
	v_addc_co_u32_e32 v11, vcc, 0, v7, vcc
	flat_store_dword v[10:11], v8 offset:1024
.LBB1224_154:
	s_or_b64 exec, exec, s[0:1]
	v_or_b32_e32 v8, 0xa00, v0
	v_cmp_gt_u32_e32 vcc, s33, v8
	s_and_saveexec_b64 s[0:1], vcc
	s_cbranch_execz .LBB1224_156
; %bb.155:
	v_add_co_u32_e32 v10, vcc, 0x2000, v6
	v_addc_co_u32_e32 v11, vcc, 0, v7, vcc
	flat_store_dword v[10:11], v9 offset:2048
.LBB1224_156:
	;; [unrolled: 10-line block ×3, first 2 shown]
	s_or_b64 exec, exec, s[0:1]
	v_or_b32_e32 v4, 0xc00, v0
	v_cmp_gt_u32_e32 vcc, s33, v4
	s_and_saveexec_b64 s[0:1], vcc
	s_cbranch_execz .LBB1224_160
; %bb.159:
	v_add_co_u32_e32 v6, vcc, 0x3000, v6
	v_addc_co_u32_e32 v7, vcc, 0, v7, vcc
	flat_store_dword v[6:7], v5
.LBB1224_160:
	s_or_b64 exec, exec, s[0:1]
	v_or_b32_e32 v4, 0xd00, v0
	v_cmp_gt_u32_e64 s[0:1], s33, v4
	s_branch .LBB1224_163
.LBB1224_161:
	s_mov_b64 s[0:1], 0
                                        ; implicit-def: $vgpr3
	s_cbranch_execz .LBB1224_163
; %bb.162:
	s_movk_i32 s2, 0xffcc
	s_waitcnt lgkmcnt(0)
	s_barrier
	ds_write2_b64 v2, v[26:27], v[42:43] offset1:1
	ds_write2_b64 v2, v[30:31], v[44:45] offset0:2 offset1:3
	ds_write2_b64 v2, v[34:35], v[46:47] offset0:4 offset1:5
	ds_write_b64 v2, v[48:49] offset:48
	v_mad_i32_i24 v2, v0, s2, v2
	v_mov_b32_e32 v17, s5
	v_add_co_u32_e32 v16, vcc, s4, v50
	s_waitcnt lgkmcnt(0)
	s_barrier
	ds_read2st64_b32 v[4:5], v2 offset1:4
	ds_read2st64_b32 v[6:7], v2 offset0:8 offset1:12
	ds_read2st64_b32 v[8:9], v2 offset0:16 offset1:20
	;; [unrolled: 1-line block ×6, first 2 shown]
	v_addc_co_u32_e32 v17, vcc, 0, v17, vcc
	s_movk_i32 s2, 0x1000
	s_waitcnt lgkmcnt(0)
	flat_store_dword v[16:17], v4
	flat_store_dword v[16:17], v5 offset:1024
	flat_store_dword v[16:17], v6 offset:2048
	;; [unrolled: 1-line block ×3, first 2 shown]
	v_add_co_u32_e32 v4, vcc, s2, v16
	v_addc_co_u32_e32 v5, vcc, 0, v17, vcc
	flat_store_dword v[4:5], v8
	flat_store_dword v[4:5], v9 offset:1024
	flat_store_dword v[4:5], v10 offset:2048
	;; [unrolled: 1-line block ×3, first 2 shown]
	v_add_co_u32_e32 v4, vcc, 0x2000, v16
	v_addc_co_u32_e32 v5, vcc, 0, v17, vcc
	flat_store_dword v[4:5], v12
	flat_store_dword v[4:5], v13 offset:1024
	flat_store_dword v[4:5], v14 offset:2048
	;; [unrolled: 1-line block ×3, first 2 shown]
	v_add_co_u32_e32 v4, vcc, 0x3000, v16
	v_mov_b32_e32 v1, 0
	v_addc_co_u32_e32 v5, vcc, 0, v17, vcc
	s_or_b64 s[0:1], s[0:1], exec
	flat_store_dword v[4:5], v2
.LBB1224_163:
	s_and_saveexec_b64 s[2:3], s[0:1]
	s_cbranch_execnz .LBB1224_165
; %bb.164:
	s_endpgm
.LBB1224_165:
	v_lshlrev_b64 v[0:1], 2, v[0:1]
	v_mov_b32_e32 v2, s5
	v_add_co_u32_e32 v0, vcc, s4, v0
	v_addc_co_u32_e32 v1, vcc, v2, v1, vcc
	v_add_co_u32_e32 v0, vcc, 0x3000, v0
	v_addc_co_u32_e32 v1, vcc, 0, v1, vcc
	flat_store_dword v[0:1], v3 offset:1024
	s_endpgm
.LBB1224_166:
	v_mov_b32_e32 v13, s55
	v_add_co_u32_e32 v14, vcc, s7, v12
	v_addc_co_u32_e32 v15, vcc, 0, v13, vcc
	flat_load_dword v13, v[14:15]
	s_or_b64 exec, exec, s[44:45]
                                        ; implicit-def: $vgpr14
	s_and_saveexec_b64 s[2:3], s[4:5]
	s_cbranch_execz .LBB1224_37
.LBB1224_167:
	v_mov_b32_e32 v15, s55
	v_add_co_u32_e32 v14, vcc, s7, v12
	v_addc_co_u32_e32 v15, vcc, 0, v15, vcc
	flat_load_dword v14, v[14:15] offset:1024
	s_or_b64 exec, exec, s[2:3]
                                        ; implicit-def: $vgpr15
	s_and_saveexec_b64 s[2:3], s[30:31]
	s_cbranch_execz .LBB1224_38
.LBB1224_168:
	v_mov_b32_e32 v15, s55
	v_add_co_u32_e32 v16, vcc, s7, v12
	v_addc_co_u32_e32 v17, vcc, 0, v15, vcc
	flat_load_dword v15, v[16:17] offset:2048
	s_or_b64 exec, exec, s[2:3]
                                        ; implicit-def: $vgpr16
	s_and_saveexec_b64 s[2:3], s[8:9]
	s_cbranch_execz .LBB1224_39
.LBB1224_169:
	v_mov_b32_e32 v17, s55
	v_add_co_u32_e32 v16, vcc, s7, v12
	v_addc_co_u32_e32 v17, vcc, 0, v17, vcc
	flat_load_dword v16, v[16:17] offset:3072
	s_or_b64 exec, exec, s[2:3]
                                        ; implicit-def: $vgpr17
	s_and_saveexec_b64 s[2:3], s[10:11]
	s_cbranch_execz .LBB1224_40
.LBB1224_170:
	v_mov_b32_e32 v17, s55
	v_add_co_u32_e32 v18, vcc, s7, v2
	v_addc_co_u32_e32 v19, vcc, 0, v17, vcc
	flat_load_dword v17, v[18:19]
	s_or_b64 exec, exec, s[2:3]
                                        ; implicit-def: $vgpr2
	s_and_saveexec_b64 s[2:3], s[12:13]
	s_cbranch_execz .LBB1224_41
.LBB1224_171:
	v_mov_b32_e32 v18, s55
	v_add_co_u32_e32 v2, vcc, s7, v3
	v_addc_co_u32_e32 v3, vcc, 0, v18, vcc
	flat_load_dword v2, v[2:3]
	s_or_b64 exec, exec, s[2:3]
                                        ; implicit-def: $vgpr3
	s_and_saveexec_b64 s[2:3], s[14:15]
	s_cbranch_execz .LBB1224_42
.LBB1224_172:
	v_mov_b32_e32 v3, s55
	v_add_co_u32_e32 v18, vcc, s7, v4
	v_addc_co_u32_e32 v19, vcc, 0, v3, vcc
	flat_load_dword v3, v[18:19]
	s_or_b64 exec, exec, s[2:3]
                                        ; implicit-def: $vgpr4
	s_and_saveexec_b64 s[2:3], s[16:17]
	s_cbranch_execz .LBB1224_43
.LBB1224_173:
	v_mov_b32_e32 v18, s55
	v_add_co_u32_e32 v4, vcc, s7, v5
	v_addc_co_u32_e32 v5, vcc, 0, v18, vcc
	flat_load_dword v4, v[4:5]
	s_or_b64 exec, exec, s[2:3]
                                        ; implicit-def: $vgpr5
	s_and_saveexec_b64 s[2:3], s[18:19]
	s_cbranch_execz .LBB1224_44
.LBB1224_174:
	v_mov_b32_e32 v5, s55
	v_add_co_u32_e32 v18, vcc, s7, v6
	v_addc_co_u32_e32 v19, vcc, 0, v5, vcc
	flat_load_dword v5, v[18:19]
	s_or_b64 exec, exec, s[2:3]
                                        ; implicit-def: $vgpr6
	s_and_saveexec_b64 s[2:3], s[20:21]
	s_cbranch_execz .LBB1224_45
.LBB1224_175:
	v_mov_b32_e32 v18, s55
	v_add_co_u32_e32 v6, vcc, s7, v7
	v_addc_co_u32_e32 v7, vcc, 0, v18, vcc
	flat_load_dword v6, v[6:7]
	s_or_b64 exec, exec, s[2:3]
                                        ; implicit-def: $vgpr7
	s_and_saveexec_b64 s[2:3], s[22:23]
	s_cbranch_execz .LBB1224_46
.LBB1224_176:
	v_mov_b32_e32 v7, s55
	v_add_co_u32_e32 v18, vcc, s7, v8
	v_addc_co_u32_e32 v19, vcc, 0, v7, vcc
	flat_load_dword v7, v[18:19]
	s_or_b64 exec, exec, s[2:3]
                                        ; implicit-def: $vgpr8
	s_and_saveexec_b64 s[2:3], s[24:25]
	s_cbranch_execz .LBB1224_47
.LBB1224_177:
	v_mov_b32_e32 v18, s55
	v_add_co_u32_e32 v8, vcc, s7, v9
	v_addc_co_u32_e32 v9, vcc, 0, v18, vcc
	flat_load_dword v8, v[8:9]
	s_or_b64 exec, exec, s[2:3]
                                        ; implicit-def: $vgpr9
	s_and_saveexec_b64 s[2:3], s[26:27]
	s_cbranch_execz .LBB1224_48
.LBB1224_178:
	v_mov_b32_e32 v9, s55
	v_add_co_u32_e32 v18, vcc, s7, v10
	v_addc_co_u32_e32 v19, vcc, 0, v9, vcc
	flat_load_dword v9, v[18:19]
	s_or_b64 exec, exec, s[2:3]
                                        ; implicit-def: $vgpr10
	s_and_saveexec_b64 s[2:3], s[28:29]
	s_cbranch_execnz .LBB1224_49
	s_branch .LBB1224_50
.LBB1224_179:
                                        ; implicit-def: $sgpr44_sgpr45
	s_branch .LBB1224_32
.LBB1224_180:
                                        ; implicit-def: $sgpr2_sgpr3
	s_branch .LBB1224_81
	.section	.rodata,"a",@progbits
	.p2align	6, 0x0
	.amdhsa_kernel _ZN7rocprim17ROCPRIM_400000_NS6detail17trampoline_kernelINS0_14default_configENS1_27scan_by_key_config_selectorIijEEZZNS1_16scan_by_key_implILNS1_25lookback_scan_determinismE0ELb0ES3_N6thrust23THRUST_200600_302600_NS6detail15normal_iteratorINS9_10device_ptrIiEEEENSB_INSC_IjEEEESG_jNS9_4plusIvEENS9_8equal_toIvEEjEE10hipError_tPvRmT2_T3_T4_T5_mT6_T7_P12ihipStream_tbENKUlT_T0_E_clISt17integral_constantIbLb0EES11_EEDaSW_SX_EUlSW_E_NS1_11comp_targetILNS1_3genE4ELNS1_11target_archE910ELNS1_3gpuE8ELNS1_3repE0EEENS1_30default_config_static_selectorELNS0_4arch9wavefront6targetE1EEEvT1_
		.amdhsa_group_segment_fixed_size 16384
		.amdhsa_private_segment_fixed_size 0
		.amdhsa_kernarg_size 112
		.amdhsa_user_sgpr_count 6
		.amdhsa_user_sgpr_private_segment_buffer 1
		.amdhsa_user_sgpr_dispatch_ptr 0
		.amdhsa_user_sgpr_queue_ptr 0
		.amdhsa_user_sgpr_kernarg_segment_ptr 1
		.amdhsa_user_sgpr_dispatch_id 0
		.amdhsa_user_sgpr_flat_scratch_init 0
		.amdhsa_user_sgpr_kernarg_preload_length 0
		.amdhsa_user_sgpr_kernarg_preload_offset 0
		.amdhsa_user_sgpr_private_segment_size 0
		.amdhsa_uses_dynamic_stack 0
		.amdhsa_system_sgpr_private_segment_wavefront_offset 0
		.amdhsa_system_sgpr_workgroup_id_x 1
		.amdhsa_system_sgpr_workgroup_id_y 0
		.amdhsa_system_sgpr_workgroup_id_z 0
		.amdhsa_system_sgpr_workgroup_info 0
		.amdhsa_system_vgpr_workitem_id 0
		.amdhsa_next_free_vgpr 65
		.amdhsa_next_free_sgpr 61
		.amdhsa_accum_offset 68
		.amdhsa_reserve_vcc 1
		.amdhsa_reserve_flat_scratch 0
		.amdhsa_float_round_mode_32 0
		.amdhsa_float_round_mode_16_64 0
		.amdhsa_float_denorm_mode_32 3
		.amdhsa_float_denorm_mode_16_64 3
		.amdhsa_dx10_clamp 1
		.amdhsa_ieee_mode 1
		.amdhsa_fp16_overflow 0
		.amdhsa_tg_split 0
		.amdhsa_exception_fp_ieee_invalid_op 0
		.amdhsa_exception_fp_denorm_src 0
		.amdhsa_exception_fp_ieee_div_zero 0
		.amdhsa_exception_fp_ieee_overflow 0
		.amdhsa_exception_fp_ieee_underflow 0
		.amdhsa_exception_fp_ieee_inexact 0
		.amdhsa_exception_int_div_zero 0
	.end_amdhsa_kernel
	.section	.text._ZN7rocprim17ROCPRIM_400000_NS6detail17trampoline_kernelINS0_14default_configENS1_27scan_by_key_config_selectorIijEEZZNS1_16scan_by_key_implILNS1_25lookback_scan_determinismE0ELb0ES3_N6thrust23THRUST_200600_302600_NS6detail15normal_iteratorINS9_10device_ptrIiEEEENSB_INSC_IjEEEESG_jNS9_4plusIvEENS9_8equal_toIvEEjEE10hipError_tPvRmT2_T3_T4_T5_mT6_T7_P12ihipStream_tbENKUlT_T0_E_clISt17integral_constantIbLb0EES11_EEDaSW_SX_EUlSW_E_NS1_11comp_targetILNS1_3genE4ELNS1_11target_archE910ELNS1_3gpuE8ELNS1_3repE0EEENS1_30default_config_static_selectorELNS0_4arch9wavefront6targetE1EEEvT1_,"axG",@progbits,_ZN7rocprim17ROCPRIM_400000_NS6detail17trampoline_kernelINS0_14default_configENS1_27scan_by_key_config_selectorIijEEZZNS1_16scan_by_key_implILNS1_25lookback_scan_determinismE0ELb0ES3_N6thrust23THRUST_200600_302600_NS6detail15normal_iteratorINS9_10device_ptrIiEEEENSB_INSC_IjEEEESG_jNS9_4plusIvEENS9_8equal_toIvEEjEE10hipError_tPvRmT2_T3_T4_T5_mT6_T7_P12ihipStream_tbENKUlT_T0_E_clISt17integral_constantIbLb0EES11_EEDaSW_SX_EUlSW_E_NS1_11comp_targetILNS1_3genE4ELNS1_11target_archE910ELNS1_3gpuE8ELNS1_3repE0EEENS1_30default_config_static_selectorELNS0_4arch9wavefront6targetE1EEEvT1_,comdat
.Lfunc_end1224:
	.size	_ZN7rocprim17ROCPRIM_400000_NS6detail17trampoline_kernelINS0_14default_configENS1_27scan_by_key_config_selectorIijEEZZNS1_16scan_by_key_implILNS1_25lookback_scan_determinismE0ELb0ES3_N6thrust23THRUST_200600_302600_NS6detail15normal_iteratorINS9_10device_ptrIiEEEENSB_INSC_IjEEEESG_jNS9_4plusIvEENS9_8equal_toIvEEjEE10hipError_tPvRmT2_T3_T4_T5_mT6_T7_P12ihipStream_tbENKUlT_T0_E_clISt17integral_constantIbLb0EES11_EEDaSW_SX_EUlSW_E_NS1_11comp_targetILNS1_3genE4ELNS1_11target_archE910ELNS1_3gpuE8ELNS1_3repE0EEENS1_30default_config_static_selectorELNS0_4arch9wavefront6targetE1EEEvT1_, .Lfunc_end1224-_ZN7rocprim17ROCPRIM_400000_NS6detail17trampoline_kernelINS0_14default_configENS1_27scan_by_key_config_selectorIijEEZZNS1_16scan_by_key_implILNS1_25lookback_scan_determinismE0ELb0ES3_N6thrust23THRUST_200600_302600_NS6detail15normal_iteratorINS9_10device_ptrIiEEEENSB_INSC_IjEEEESG_jNS9_4plusIvEENS9_8equal_toIvEEjEE10hipError_tPvRmT2_T3_T4_T5_mT6_T7_P12ihipStream_tbENKUlT_T0_E_clISt17integral_constantIbLb0EES11_EEDaSW_SX_EUlSW_E_NS1_11comp_targetILNS1_3genE4ELNS1_11target_archE910ELNS1_3gpuE8ELNS1_3repE0EEENS1_30default_config_static_selectorELNS0_4arch9wavefront6targetE1EEEvT1_
                                        ; -- End function
	.section	.AMDGPU.csdata,"",@progbits
; Kernel info:
; codeLenInByte = 10908
; NumSgprs: 65
; NumVgprs: 65
; NumAgprs: 0
; TotalNumVgprs: 65
; ScratchSize: 0
; MemoryBound: 0
; FloatMode: 240
; IeeeMode: 1
; LDSByteSize: 16384 bytes/workgroup (compile time only)
; SGPRBlocks: 8
; VGPRBlocks: 8
; NumSGPRsForWavesPerEU: 65
; NumVGPRsForWavesPerEU: 65
; AccumOffset: 68
; Occupancy: 4
; WaveLimiterHint : 1
; COMPUTE_PGM_RSRC2:SCRATCH_EN: 0
; COMPUTE_PGM_RSRC2:USER_SGPR: 6
; COMPUTE_PGM_RSRC2:TRAP_HANDLER: 0
; COMPUTE_PGM_RSRC2:TGID_X_EN: 1
; COMPUTE_PGM_RSRC2:TGID_Y_EN: 0
; COMPUTE_PGM_RSRC2:TGID_Z_EN: 0
; COMPUTE_PGM_RSRC2:TIDIG_COMP_CNT: 0
; COMPUTE_PGM_RSRC3_GFX90A:ACCUM_OFFSET: 16
; COMPUTE_PGM_RSRC3_GFX90A:TG_SPLIT: 0
	.section	.text._ZN7rocprim17ROCPRIM_400000_NS6detail17trampoline_kernelINS0_14default_configENS1_27scan_by_key_config_selectorIijEEZZNS1_16scan_by_key_implILNS1_25lookback_scan_determinismE0ELb0ES3_N6thrust23THRUST_200600_302600_NS6detail15normal_iteratorINS9_10device_ptrIiEEEENSB_INSC_IjEEEESG_jNS9_4plusIvEENS9_8equal_toIvEEjEE10hipError_tPvRmT2_T3_T4_T5_mT6_T7_P12ihipStream_tbENKUlT_T0_E_clISt17integral_constantIbLb0EES11_EEDaSW_SX_EUlSW_E_NS1_11comp_targetILNS1_3genE3ELNS1_11target_archE908ELNS1_3gpuE7ELNS1_3repE0EEENS1_30default_config_static_selectorELNS0_4arch9wavefront6targetE1EEEvT1_,"axG",@progbits,_ZN7rocprim17ROCPRIM_400000_NS6detail17trampoline_kernelINS0_14default_configENS1_27scan_by_key_config_selectorIijEEZZNS1_16scan_by_key_implILNS1_25lookback_scan_determinismE0ELb0ES3_N6thrust23THRUST_200600_302600_NS6detail15normal_iteratorINS9_10device_ptrIiEEEENSB_INSC_IjEEEESG_jNS9_4plusIvEENS9_8equal_toIvEEjEE10hipError_tPvRmT2_T3_T4_T5_mT6_T7_P12ihipStream_tbENKUlT_T0_E_clISt17integral_constantIbLb0EES11_EEDaSW_SX_EUlSW_E_NS1_11comp_targetILNS1_3genE3ELNS1_11target_archE908ELNS1_3gpuE7ELNS1_3repE0EEENS1_30default_config_static_selectorELNS0_4arch9wavefront6targetE1EEEvT1_,comdat
	.protected	_ZN7rocprim17ROCPRIM_400000_NS6detail17trampoline_kernelINS0_14default_configENS1_27scan_by_key_config_selectorIijEEZZNS1_16scan_by_key_implILNS1_25lookback_scan_determinismE0ELb0ES3_N6thrust23THRUST_200600_302600_NS6detail15normal_iteratorINS9_10device_ptrIiEEEENSB_INSC_IjEEEESG_jNS9_4plusIvEENS9_8equal_toIvEEjEE10hipError_tPvRmT2_T3_T4_T5_mT6_T7_P12ihipStream_tbENKUlT_T0_E_clISt17integral_constantIbLb0EES11_EEDaSW_SX_EUlSW_E_NS1_11comp_targetILNS1_3genE3ELNS1_11target_archE908ELNS1_3gpuE7ELNS1_3repE0EEENS1_30default_config_static_selectorELNS0_4arch9wavefront6targetE1EEEvT1_ ; -- Begin function _ZN7rocprim17ROCPRIM_400000_NS6detail17trampoline_kernelINS0_14default_configENS1_27scan_by_key_config_selectorIijEEZZNS1_16scan_by_key_implILNS1_25lookback_scan_determinismE0ELb0ES3_N6thrust23THRUST_200600_302600_NS6detail15normal_iteratorINS9_10device_ptrIiEEEENSB_INSC_IjEEEESG_jNS9_4plusIvEENS9_8equal_toIvEEjEE10hipError_tPvRmT2_T3_T4_T5_mT6_T7_P12ihipStream_tbENKUlT_T0_E_clISt17integral_constantIbLb0EES11_EEDaSW_SX_EUlSW_E_NS1_11comp_targetILNS1_3genE3ELNS1_11target_archE908ELNS1_3gpuE7ELNS1_3repE0EEENS1_30default_config_static_selectorELNS0_4arch9wavefront6targetE1EEEvT1_
	.globl	_ZN7rocprim17ROCPRIM_400000_NS6detail17trampoline_kernelINS0_14default_configENS1_27scan_by_key_config_selectorIijEEZZNS1_16scan_by_key_implILNS1_25lookback_scan_determinismE0ELb0ES3_N6thrust23THRUST_200600_302600_NS6detail15normal_iteratorINS9_10device_ptrIiEEEENSB_INSC_IjEEEESG_jNS9_4plusIvEENS9_8equal_toIvEEjEE10hipError_tPvRmT2_T3_T4_T5_mT6_T7_P12ihipStream_tbENKUlT_T0_E_clISt17integral_constantIbLb0EES11_EEDaSW_SX_EUlSW_E_NS1_11comp_targetILNS1_3genE3ELNS1_11target_archE908ELNS1_3gpuE7ELNS1_3repE0EEENS1_30default_config_static_selectorELNS0_4arch9wavefront6targetE1EEEvT1_
	.p2align	8
	.type	_ZN7rocprim17ROCPRIM_400000_NS6detail17trampoline_kernelINS0_14default_configENS1_27scan_by_key_config_selectorIijEEZZNS1_16scan_by_key_implILNS1_25lookback_scan_determinismE0ELb0ES3_N6thrust23THRUST_200600_302600_NS6detail15normal_iteratorINS9_10device_ptrIiEEEENSB_INSC_IjEEEESG_jNS9_4plusIvEENS9_8equal_toIvEEjEE10hipError_tPvRmT2_T3_T4_T5_mT6_T7_P12ihipStream_tbENKUlT_T0_E_clISt17integral_constantIbLb0EES11_EEDaSW_SX_EUlSW_E_NS1_11comp_targetILNS1_3genE3ELNS1_11target_archE908ELNS1_3gpuE7ELNS1_3repE0EEENS1_30default_config_static_selectorELNS0_4arch9wavefront6targetE1EEEvT1_,@function
_ZN7rocprim17ROCPRIM_400000_NS6detail17trampoline_kernelINS0_14default_configENS1_27scan_by_key_config_selectorIijEEZZNS1_16scan_by_key_implILNS1_25lookback_scan_determinismE0ELb0ES3_N6thrust23THRUST_200600_302600_NS6detail15normal_iteratorINS9_10device_ptrIiEEEENSB_INSC_IjEEEESG_jNS9_4plusIvEENS9_8equal_toIvEEjEE10hipError_tPvRmT2_T3_T4_T5_mT6_T7_P12ihipStream_tbENKUlT_T0_E_clISt17integral_constantIbLb0EES11_EEDaSW_SX_EUlSW_E_NS1_11comp_targetILNS1_3genE3ELNS1_11target_archE908ELNS1_3gpuE7ELNS1_3repE0EEENS1_30default_config_static_selectorELNS0_4arch9wavefront6targetE1EEEvT1_: ; @_ZN7rocprim17ROCPRIM_400000_NS6detail17trampoline_kernelINS0_14default_configENS1_27scan_by_key_config_selectorIijEEZZNS1_16scan_by_key_implILNS1_25lookback_scan_determinismE0ELb0ES3_N6thrust23THRUST_200600_302600_NS6detail15normal_iteratorINS9_10device_ptrIiEEEENSB_INSC_IjEEEESG_jNS9_4plusIvEENS9_8equal_toIvEEjEE10hipError_tPvRmT2_T3_T4_T5_mT6_T7_P12ihipStream_tbENKUlT_T0_E_clISt17integral_constantIbLb0EES11_EEDaSW_SX_EUlSW_E_NS1_11comp_targetILNS1_3genE3ELNS1_11target_archE908ELNS1_3gpuE7ELNS1_3repE0EEENS1_30default_config_static_selectorELNS0_4arch9wavefront6targetE1EEEvT1_
; %bb.0:
	.section	.rodata,"a",@progbits
	.p2align	6, 0x0
	.amdhsa_kernel _ZN7rocprim17ROCPRIM_400000_NS6detail17trampoline_kernelINS0_14default_configENS1_27scan_by_key_config_selectorIijEEZZNS1_16scan_by_key_implILNS1_25lookback_scan_determinismE0ELb0ES3_N6thrust23THRUST_200600_302600_NS6detail15normal_iteratorINS9_10device_ptrIiEEEENSB_INSC_IjEEEESG_jNS9_4plusIvEENS9_8equal_toIvEEjEE10hipError_tPvRmT2_T3_T4_T5_mT6_T7_P12ihipStream_tbENKUlT_T0_E_clISt17integral_constantIbLb0EES11_EEDaSW_SX_EUlSW_E_NS1_11comp_targetILNS1_3genE3ELNS1_11target_archE908ELNS1_3gpuE7ELNS1_3repE0EEENS1_30default_config_static_selectorELNS0_4arch9wavefront6targetE1EEEvT1_
		.amdhsa_group_segment_fixed_size 0
		.amdhsa_private_segment_fixed_size 0
		.amdhsa_kernarg_size 112
		.amdhsa_user_sgpr_count 6
		.amdhsa_user_sgpr_private_segment_buffer 1
		.amdhsa_user_sgpr_dispatch_ptr 0
		.amdhsa_user_sgpr_queue_ptr 0
		.amdhsa_user_sgpr_kernarg_segment_ptr 1
		.amdhsa_user_sgpr_dispatch_id 0
		.amdhsa_user_sgpr_flat_scratch_init 0
		.amdhsa_user_sgpr_kernarg_preload_length 0
		.amdhsa_user_sgpr_kernarg_preload_offset 0
		.amdhsa_user_sgpr_private_segment_size 0
		.amdhsa_uses_dynamic_stack 0
		.amdhsa_system_sgpr_private_segment_wavefront_offset 0
		.amdhsa_system_sgpr_workgroup_id_x 1
		.amdhsa_system_sgpr_workgroup_id_y 0
		.amdhsa_system_sgpr_workgroup_id_z 0
		.amdhsa_system_sgpr_workgroup_info 0
		.amdhsa_system_vgpr_workitem_id 0
		.amdhsa_next_free_vgpr 1
		.amdhsa_next_free_sgpr 0
		.amdhsa_accum_offset 4
		.amdhsa_reserve_vcc 0
		.amdhsa_reserve_flat_scratch 0
		.amdhsa_float_round_mode_32 0
		.amdhsa_float_round_mode_16_64 0
		.amdhsa_float_denorm_mode_32 3
		.amdhsa_float_denorm_mode_16_64 3
		.amdhsa_dx10_clamp 1
		.amdhsa_ieee_mode 1
		.amdhsa_fp16_overflow 0
		.amdhsa_tg_split 0
		.amdhsa_exception_fp_ieee_invalid_op 0
		.amdhsa_exception_fp_denorm_src 0
		.amdhsa_exception_fp_ieee_div_zero 0
		.amdhsa_exception_fp_ieee_overflow 0
		.amdhsa_exception_fp_ieee_underflow 0
		.amdhsa_exception_fp_ieee_inexact 0
		.amdhsa_exception_int_div_zero 0
	.end_amdhsa_kernel
	.section	.text._ZN7rocprim17ROCPRIM_400000_NS6detail17trampoline_kernelINS0_14default_configENS1_27scan_by_key_config_selectorIijEEZZNS1_16scan_by_key_implILNS1_25lookback_scan_determinismE0ELb0ES3_N6thrust23THRUST_200600_302600_NS6detail15normal_iteratorINS9_10device_ptrIiEEEENSB_INSC_IjEEEESG_jNS9_4plusIvEENS9_8equal_toIvEEjEE10hipError_tPvRmT2_T3_T4_T5_mT6_T7_P12ihipStream_tbENKUlT_T0_E_clISt17integral_constantIbLb0EES11_EEDaSW_SX_EUlSW_E_NS1_11comp_targetILNS1_3genE3ELNS1_11target_archE908ELNS1_3gpuE7ELNS1_3repE0EEENS1_30default_config_static_selectorELNS0_4arch9wavefront6targetE1EEEvT1_,"axG",@progbits,_ZN7rocprim17ROCPRIM_400000_NS6detail17trampoline_kernelINS0_14default_configENS1_27scan_by_key_config_selectorIijEEZZNS1_16scan_by_key_implILNS1_25lookback_scan_determinismE0ELb0ES3_N6thrust23THRUST_200600_302600_NS6detail15normal_iteratorINS9_10device_ptrIiEEEENSB_INSC_IjEEEESG_jNS9_4plusIvEENS9_8equal_toIvEEjEE10hipError_tPvRmT2_T3_T4_T5_mT6_T7_P12ihipStream_tbENKUlT_T0_E_clISt17integral_constantIbLb0EES11_EEDaSW_SX_EUlSW_E_NS1_11comp_targetILNS1_3genE3ELNS1_11target_archE908ELNS1_3gpuE7ELNS1_3repE0EEENS1_30default_config_static_selectorELNS0_4arch9wavefront6targetE1EEEvT1_,comdat
.Lfunc_end1225:
	.size	_ZN7rocprim17ROCPRIM_400000_NS6detail17trampoline_kernelINS0_14default_configENS1_27scan_by_key_config_selectorIijEEZZNS1_16scan_by_key_implILNS1_25lookback_scan_determinismE0ELb0ES3_N6thrust23THRUST_200600_302600_NS6detail15normal_iteratorINS9_10device_ptrIiEEEENSB_INSC_IjEEEESG_jNS9_4plusIvEENS9_8equal_toIvEEjEE10hipError_tPvRmT2_T3_T4_T5_mT6_T7_P12ihipStream_tbENKUlT_T0_E_clISt17integral_constantIbLb0EES11_EEDaSW_SX_EUlSW_E_NS1_11comp_targetILNS1_3genE3ELNS1_11target_archE908ELNS1_3gpuE7ELNS1_3repE0EEENS1_30default_config_static_selectorELNS0_4arch9wavefront6targetE1EEEvT1_, .Lfunc_end1225-_ZN7rocprim17ROCPRIM_400000_NS6detail17trampoline_kernelINS0_14default_configENS1_27scan_by_key_config_selectorIijEEZZNS1_16scan_by_key_implILNS1_25lookback_scan_determinismE0ELb0ES3_N6thrust23THRUST_200600_302600_NS6detail15normal_iteratorINS9_10device_ptrIiEEEENSB_INSC_IjEEEESG_jNS9_4plusIvEENS9_8equal_toIvEEjEE10hipError_tPvRmT2_T3_T4_T5_mT6_T7_P12ihipStream_tbENKUlT_T0_E_clISt17integral_constantIbLb0EES11_EEDaSW_SX_EUlSW_E_NS1_11comp_targetILNS1_3genE3ELNS1_11target_archE908ELNS1_3gpuE7ELNS1_3repE0EEENS1_30default_config_static_selectorELNS0_4arch9wavefront6targetE1EEEvT1_
                                        ; -- End function
	.section	.AMDGPU.csdata,"",@progbits
; Kernel info:
; codeLenInByte = 0
; NumSgprs: 4
; NumVgprs: 0
; NumAgprs: 0
; TotalNumVgprs: 0
; ScratchSize: 0
; MemoryBound: 0
; FloatMode: 240
; IeeeMode: 1
; LDSByteSize: 0 bytes/workgroup (compile time only)
; SGPRBlocks: 0
; VGPRBlocks: 0
; NumSGPRsForWavesPerEU: 4
; NumVGPRsForWavesPerEU: 1
; AccumOffset: 4
; Occupancy: 8
; WaveLimiterHint : 0
; COMPUTE_PGM_RSRC2:SCRATCH_EN: 0
; COMPUTE_PGM_RSRC2:USER_SGPR: 6
; COMPUTE_PGM_RSRC2:TRAP_HANDLER: 0
; COMPUTE_PGM_RSRC2:TGID_X_EN: 1
; COMPUTE_PGM_RSRC2:TGID_Y_EN: 0
; COMPUTE_PGM_RSRC2:TGID_Z_EN: 0
; COMPUTE_PGM_RSRC2:TIDIG_COMP_CNT: 0
; COMPUTE_PGM_RSRC3_GFX90A:ACCUM_OFFSET: 0
; COMPUTE_PGM_RSRC3_GFX90A:TG_SPLIT: 0
	.section	.text._ZN7rocprim17ROCPRIM_400000_NS6detail17trampoline_kernelINS0_14default_configENS1_27scan_by_key_config_selectorIijEEZZNS1_16scan_by_key_implILNS1_25lookback_scan_determinismE0ELb0ES3_N6thrust23THRUST_200600_302600_NS6detail15normal_iteratorINS9_10device_ptrIiEEEENSB_INSC_IjEEEESG_jNS9_4plusIvEENS9_8equal_toIvEEjEE10hipError_tPvRmT2_T3_T4_T5_mT6_T7_P12ihipStream_tbENKUlT_T0_E_clISt17integral_constantIbLb0EES11_EEDaSW_SX_EUlSW_E_NS1_11comp_targetILNS1_3genE2ELNS1_11target_archE906ELNS1_3gpuE6ELNS1_3repE0EEENS1_30default_config_static_selectorELNS0_4arch9wavefront6targetE1EEEvT1_,"axG",@progbits,_ZN7rocprim17ROCPRIM_400000_NS6detail17trampoline_kernelINS0_14default_configENS1_27scan_by_key_config_selectorIijEEZZNS1_16scan_by_key_implILNS1_25lookback_scan_determinismE0ELb0ES3_N6thrust23THRUST_200600_302600_NS6detail15normal_iteratorINS9_10device_ptrIiEEEENSB_INSC_IjEEEESG_jNS9_4plusIvEENS9_8equal_toIvEEjEE10hipError_tPvRmT2_T3_T4_T5_mT6_T7_P12ihipStream_tbENKUlT_T0_E_clISt17integral_constantIbLb0EES11_EEDaSW_SX_EUlSW_E_NS1_11comp_targetILNS1_3genE2ELNS1_11target_archE906ELNS1_3gpuE6ELNS1_3repE0EEENS1_30default_config_static_selectorELNS0_4arch9wavefront6targetE1EEEvT1_,comdat
	.protected	_ZN7rocprim17ROCPRIM_400000_NS6detail17trampoline_kernelINS0_14default_configENS1_27scan_by_key_config_selectorIijEEZZNS1_16scan_by_key_implILNS1_25lookback_scan_determinismE0ELb0ES3_N6thrust23THRUST_200600_302600_NS6detail15normal_iteratorINS9_10device_ptrIiEEEENSB_INSC_IjEEEESG_jNS9_4plusIvEENS9_8equal_toIvEEjEE10hipError_tPvRmT2_T3_T4_T5_mT6_T7_P12ihipStream_tbENKUlT_T0_E_clISt17integral_constantIbLb0EES11_EEDaSW_SX_EUlSW_E_NS1_11comp_targetILNS1_3genE2ELNS1_11target_archE906ELNS1_3gpuE6ELNS1_3repE0EEENS1_30default_config_static_selectorELNS0_4arch9wavefront6targetE1EEEvT1_ ; -- Begin function _ZN7rocprim17ROCPRIM_400000_NS6detail17trampoline_kernelINS0_14default_configENS1_27scan_by_key_config_selectorIijEEZZNS1_16scan_by_key_implILNS1_25lookback_scan_determinismE0ELb0ES3_N6thrust23THRUST_200600_302600_NS6detail15normal_iteratorINS9_10device_ptrIiEEEENSB_INSC_IjEEEESG_jNS9_4plusIvEENS9_8equal_toIvEEjEE10hipError_tPvRmT2_T3_T4_T5_mT6_T7_P12ihipStream_tbENKUlT_T0_E_clISt17integral_constantIbLb0EES11_EEDaSW_SX_EUlSW_E_NS1_11comp_targetILNS1_3genE2ELNS1_11target_archE906ELNS1_3gpuE6ELNS1_3repE0EEENS1_30default_config_static_selectorELNS0_4arch9wavefront6targetE1EEEvT1_
	.globl	_ZN7rocprim17ROCPRIM_400000_NS6detail17trampoline_kernelINS0_14default_configENS1_27scan_by_key_config_selectorIijEEZZNS1_16scan_by_key_implILNS1_25lookback_scan_determinismE0ELb0ES3_N6thrust23THRUST_200600_302600_NS6detail15normal_iteratorINS9_10device_ptrIiEEEENSB_INSC_IjEEEESG_jNS9_4plusIvEENS9_8equal_toIvEEjEE10hipError_tPvRmT2_T3_T4_T5_mT6_T7_P12ihipStream_tbENKUlT_T0_E_clISt17integral_constantIbLb0EES11_EEDaSW_SX_EUlSW_E_NS1_11comp_targetILNS1_3genE2ELNS1_11target_archE906ELNS1_3gpuE6ELNS1_3repE0EEENS1_30default_config_static_selectorELNS0_4arch9wavefront6targetE1EEEvT1_
	.p2align	8
	.type	_ZN7rocprim17ROCPRIM_400000_NS6detail17trampoline_kernelINS0_14default_configENS1_27scan_by_key_config_selectorIijEEZZNS1_16scan_by_key_implILNS1_25lookback_scan_determinismE0ELb0ES3_N6thrust23THRUST_200600_302600_NS6detail15normal_iteratorINS9_10device_ptrIiEEEENSB_INSC_IjEEEESG_jNS9_4plusIvEENS9_8equal_toIvEEjEE10hipError_tPvRmT2_T3_T4_T5_mT6_T7_P12ihipStream_tbENKUlT_T0_E_clISt17integral_constantIbLb0EES11_EEDaSW_SX_EUlSW_E_NS1_11comp_targetILNS1_3genE2ELNS1_11target_archE906ELNS1_3gpuE6ELNS1_3repE0EEENS1_30default_config_static_selectorELNS0_4arch9wavefront6targetE1EEEvT1_,@function
_ZN7rocprim17ROCPRIM_400000_NS6detail17trampoline_kernelINS0_14default_configENS1_27scan_by_key_config_selectorIijEEZZNS1_16scan_by_key_implILNS1_25lookback_scan_determinismE0ELb0ES3_N6thrust23THRUST_200600_302600_NS6detail15normal_iteratorINS9_10device_ptrIiEEEENSB_INSC_IjEEEESG_jNS9_4plusIvEENS9_8equal_toIvEEjEE10hipError_tPvRmT2_T3_T4_T5_mT6_T7_P12ihipStream_tbENKUlT_T0_E_clISt17integral_constantIbLb0EES11_EEDaSW_SX_EUlSW_E_NS1_11comp_targetILNS1_3genE2ELNS1_11target_archE906ELNS1_3gpuE6ELNS1_3repE0EEENS1_30default_config_static_selectorELNS0_4arch9wavefront6targetE1EEEvT1_: ; @_ZN7rocprim17ROCPRIM_400000_NS6detail17trampoline_kernelINS0_14default_configENS1_27scan_by_key_config_selectorIijEEZZNS1_16scan_by_key_implILNS1_25lookback_scan_determinismE0ELb0ES3_N6thrust23THRUST_200600_302600_NS6detail15normal_iteratorINS9_10device_ptrIiEEEENSB_INSC_IjEEEESG_jNS9_4plusIvEENS9_8equal_toIvEEjEE10hipError_tPvRmT2_T3_T4_T5_mT6_T7_P12ihipStream_tbENKUlT_T0_E_clISt17integral_constantIbLb0EES11_EEDaSW_SX_EUlSW_E_NS1_11comp_targetILNS1_3genE2ELNS1_11target_archE906ELNS1_3gpuE6ELNS1_3repE0EEENS1_30default_config_static_selectorELNS0_4arch9wavefront6targetE1EEEvT1_
; %bb.0:
	.section	.rodata,"a",@progbits
	.p2align	6, 0x0
	.amdhsa_kernel _ZN7rocprim17ROCPRIM_400000_NS6detail17trampoline_kernelINS0_14default_configENS1_27scan_by_key_config_selectorIijEEZZNS1_16scan_by_key_implILNS1_25lookback_scan_determinismE0ELb0ES3_N6thrust23THRUST_200600_302600_NS6detail15normal_iteratorINS9_10device_ptrIiEEEENSB_INSC_IjEEEESG_jNS9_4plusIvEENS9_8equal_toIvEEjEE10hipError_tPvRmT2_T3_T4_T5_mT6_T7_P12ihipStream_tbENKUlT_T0_E_clISt17integral_constantIbLb0EES11_EEDaSW_SX_EUlSW_E_NS1_11comp_targetILNS1_3genE2ELNS1_11target_archE906ELNS1_3gpuE6ELNS1_3repE0EEENS1_30default_config_static_selectorELNS0_4arch9wavefront6targetE1EEEvT1_
		.amdhsa_group_segment_fixed_size 0
		.amdhsa_private_segment_fixed_size 0
		.amdhsa_kernarg_size 112
		.amdhsa_user_sgpr_count 6
		.amdhsa_user_sgpr_private_segment_buffer 1
		.amdhsa_user_sgpr_dispatch_ptr 0
		.amdhsa_user_sgpr_queue_ptr 0
		.amdhsa_user_sgpr_kernarg_segment_ptr 1
		.amdhsa_user_sgpr_dispatch_id 0
		.amdhsa_user_sgpr_flat_scratch_init 0
		.amdhsa_user_sgpr_kernarg_preload_length 0
		.amdhsa_user_sgpr_kernarg_preload_offset 0
		.amdhsa_user_sgpr_private_segment_size 0
		.amdhsa_uses_dynamic_stack 0
		.amdhsa_system_sgpr_private_segment_wavefront_offset 0
		.amdhsa_system_sgpr_workgroup_id_x 1
		.amdhsa_system_sgpr_workgroup_id_y 0
		.amdhsa_system_sgpr_workgroup_id_z 0
		.amdhsa_system_sgpr_workgroup_info 0
		.amdhsa_system_vgpr_workitem_id 0
		.amdhsa_next_free_vgpr 1
		.amdhsa_next_free_sgpr 0
		.amdhsa_accum_offset 4
		.amdhsa_reserve_vcc 0
		.amdhsa_reserve_flat_scratch 0
		.amdhsa_float_round_mode_32 0
		.amdhsa_float_round_mode_16_64 0
		.amdhsa_float_denorm_mode_32 3
		.amdhsa_float_denorm_mode_16_64 3
		.amdhsa_dx10_clamp 1
		.amdhsa_ieee_mode 1
		.amdhsa_fp16_overflow 0
		.amdhsa_tg_split 0
		.amdhsa_exception_fp_ieee_invalid_op 0
		.amdhsa_exception_fp_denorm_src 0
		.amdhsa_exception_fp_ieee_div_zero 0
		.amdhsa_exception_fp_ieee_overflow 0
		.amdhsa_exception_fp_ieee_underflow 0
		.amdhsa_exception_fp_ieee_inexact 0
		.amdhsa_exception_int_div_zero 0
	.end_amdhsa_kernel
	.section	.text._ZN7rocprim17ROCPRIM_400000_NS6detail17trampoline_kernelINS0_14default_configENS1_27scan_by_key_config_selectorIijEEZZNS1_16scan_by_key_implILNS1_25lookback_scan_determinismE0ELb0ES3_N6thrust23THRUST_200600_302600_NS6detail15normal_iteratorINS9_10device_ptrIiEEEENSB_INSC_IjEEEESG_jNS9_4plusIvEENS9_8equal_toIvEEjEE10hipError_tPvRmT2_T3_T4_T5_mT6_T7_P12ihipStream_tbENKUlT_T0_E_clISt17integral_constantIbLb0EES11_EEDaSW_SX_EUlSW_E_NS1_11comp_targetILNS1_3genE2ELNS1_11target_archE906ELNS1_3gpuE6ELNS1_3repE0EEENS1_30default_config_static_selectorELNS0_4arch9wavefront6targetE1EEEvT1_,"axG",@progbits,_ZN7rocprim17ROCPRIM_400000_NS6detail17trampoline_kernelINS0_14default_configENS1_27scan_by_key_config_selectorIijEEZZNS1_16scan_by_key_implILNS1_25lookback_scan_determinismE0ELb0ES3_N6thrust23THRUST_200600_302600_NS6detail15normal_iteratorINS9_10device_ptrIiEEEENSB_INSC_IjEEEESG_jNS9_4plusIvEENS9_8equal_toIvEEjEE10hipError_tPvRmT2_T3_T4_T5_mT6_T7_P12ihipStream_tbENKUlT_T0_E_clISt17integral_constantIbLb0EES11_EEDaSW_SX_EUlSW_E_NS1_11comp_targetILNS1_3genE2ELNS1_11target_archE906ELNS1_3gpuE6ELNS1_3repE0EEENS1_30default_config_static_selectorELNS0_4arch9wavefront6targetE1EEEvT1_,comdat
.Lfunc_end1226:
	.size	_ZN7rocprim17ROCPRIM_400000_NS6detail17trampoline_kernelINS0_14default_configENS1_27scan_by_key_config_selectorIijEEZZNS1_16scan_by_key_implILNS1_25lookback_scan_determinismE0ELb0ES3_N6thrust23THRUST_200600_302600_NS6detail15normal_iteratorINS9_10device_ptrIiEEEENSB_INSC_IjEEEESG_jNS9_4plusIvEENS9_8equal_toIvEEjEE10hipError_tPvRmT2_T3_T4_T5_mT6_T7_P12ihipStream_tbENKUlT_T0_E_clISt17integral_constantIbLb0EES11_EEDaSW_SX_EUlSW_E_NS1_11comp_targetILNS1_3genE2ELNS1_11target_archE906ELNS1_3gpuE6ELNS1_3repE0EEENS1_30default_config_static_selectorELNS0_4arch9wavefront6targetE1EEEvT1_, .Lfunc_end1226-_ZN7rocprim17ROCPRIM_400000_NS6detail17trampoline_kernelINS0_14default_configENS1_27scan_by_key_config_selectorIijEEZZNS1_16scan_by_key_implILNS1_25lookback_scan_determinismE0ELb0ES3_N6thrust23THRUST_200600_302600_NS6detail15normal_iteratorINS9_10device_ptrIiEEEENSB_INSC_IjEEEESG_jNS9_4plusIvEENS9_8equal_toIvEEjEE10hipError_tPvRmT2_T3_T4_T5_mT6_T7_P12ihipStream_tbENKUlT_T0_E_clISt17integral_constantIbLb0EES11_EEDaSW_SX_EUlSW_E_NS1_11comp_targetILNS1_3genE2ELNS1_11target_archE906ELNS1_3gpuE6ELNS1_3repE0EEENS1_30default_config_static_selectorELNS0_4arch9wavefront6targetE1EEEvT1_
                                        ; -- End function
	.section	.AMDGPU.csdata,"",@progbits
; Kernel info:
; codeLenInByte = 0
; NumSgprs: 4
; NumVgprs: 0
; NumAgprs: 0
; TotalNumVgprs: 0
; ScratchSize: 0
; MemoryBound: 0
; FloatMode: 240
; IeeeMode: 1
; LDSByteSize: 0 bytes/workgroup (compile time only)
; SGPRBlocks: 0
; VGPRBlocks: 0
; NumSGPRsForWavesPerEU: 4
; NumVGPRsForWavesPerEU: 1
; AccumOffset: 4
; Occupancy: 8
; WaveLimiterHint : 0
; COMPUTE_PGM_RSRC2:SCRATCH_EN: 0
; COMPUTE_PGM_RSRC2:USER_SGPR: 6
; COMPUTE_PGM_RSRC2:TRAP_HANDLER: 0
; COMPUTE_PGM_RSRC2:TGID_X_EN: 1
; COMPUTE_PGM_RSRC2:TGID_Y_EN: 0
; COMPUTE_PGM_RSRC2:TGID_Z_EN: 0
; COMPUTE_PGM_RSRC2:TIDIG_COMP_CNT: 0
; COMPUTE_PGM_RSRC3_GFX90A:ACCUM_OFFSET: 0
; COMPUTE_PGM_RSRC3_GFX90A:TG_SPLIT: 0
	.section	.text._ZN7rocprim17ROCPRIM_400000_NS6detail17trampoline_kernelINS0_14default_configENS1_27scan_by_key_config_selectorIijEEZZNS1_16scan_by_key_implILNS1_25lookback_scan_determinismE0ELb0ES3_N6thrust23THRUST_200600_302600_NS6detail15normal_iteratorINS9_10device_ptrIiEEEENSB_INSC_IjEEEESG_jNS9_4plusIvEENS9_8equal_toIvEEjEE10hipError_tPvRmT2_T3_T4_T5_mT6_T7_P12ihipStream_tbENKUlT_T0_E_clISt17integral_constantIbLb0EES11_EEDaSW_SX_EUlSW_E_NS1_11comp_targetILNS1_3genE10ELNS1_11target_archE1200ELNS1_3gpuE4ELNS1_3repE0EEENS1_30default_config_static_selectorELNS0_4arch9wavefront6targetE1EEEvT1_,"axG",@progbits,_ZN7rocprim17ROCPRIM_400000_NS6detail17trampoline_kernelINS0_14default_configENS1_27scan_by_key_config_selectorIijEEZZNS1_16scan_by_key_implILNS1_25lookback_scan_determinismE0ELb0ES3_N6thrust23THRUST_200600_302600_NS6detail15normal_iteratorINS9_10device_ptrIiEEEENSB_INSC_IjEEEESG_jNS9_4plusIvEENS9_8equal_toIvEEjEE10hipError_tPvRmT2_T3_T4_T5_mT6_T7_P12ihipStream_tbENKUlT_T0_E_clISt17integral_constantIbLb0EES11_EEDaSW_SX_EUlSW_E_NS1_11comp_targetILNS1_3genE10ELNS1_11target_archE1200ELNS1_3gpuE4ELNS1_3repE0EEENS1_30default_config_static_selectorELNS0_4arch9wavefront6targetE1EEEvT1_,comdat
	.protected	_ZN7rocprim17ROCPRIM_400000_NS6detail17trampoline_kernelINS0_14default_configENS1_27scan_by_key_config_selectorIijEEZZNS1_16scan_by_key_implILNS1_25lookback_scan_determinismE0ELb0ES3_N6thrust23THRUST_200600_302600_NS6detail15normal_iteratorINS9_10device_ptrIiEEEENSB_INSC_IjEEEESG_jNS9_4plusIvEENS9_8equal_toIvEEjEE10hipError_tPvRmT2_T3_T4_T5_mT6_T7_P12ihipStream_tbENKUlT_T0_E_clISt17integral_constantIbLb0EES11_EEDaSW_SX_EUlSW_E_NS1_11comp_targetILNS1_3genE10ELNS1_11target_archE1200ELNS1_3gpuE4ELNS1_3repE0EEENS1_30default_config_static_selectorELNS0_4arch9wavefront6targetE1EEEvT1_ ; -- Begin function _ZN7rocprim17ROCPRIM_400000_NS6detail17trampoline_kernelINS0_14default_configENS1_27scan_by_key_config_selectorIijEEZZNS1_16scan_by_key_implILNS1_25lookback_scan_determinismE0ELb0ES3_N6thrust23THRUST_200600_302600_NS6detail15normal_iteratorINS9_10device_ptrIiEEEENSB_INSC_IjEEEESG_jNS9_4plusIvEENS9_8equal_toIvEEjEE10hipError_tPvRmT2_T3_T4_T5_mT6_T7_P12ihipStream_tbENKUlT_T0_E_clISt17integral_constantIbLb0EES11_EEDaSW_SX_EUlSW_E_NS1_11comp_targetILNS1_3genE10ELNS1_11target_archE1200ELNS1_3gpuE4ELNS1_3repE0EEENS1_30default_config_static_selectorELNS0_4arch9wavefront6targetE1EEEvT1_
	.globl	_ZN7rocprim17ROCPRIM_400000_NS6detail17trampoline_kernelINS0_14default_configENS1_27scan_by_key_config_selectorIijEEZZNS1_16scan_by_key_implILNS1_25lookback_scan_determinismE0ELb0ES3_N6thrust23THRUST_200600_302600_NS6detail15normal_iteratorINS9_10device_ptrIiEEEENSB_INSC_IjEEEESG_jNS9_4plusIvEENS9_8equal_toIvEEjEE10hipError_tPvRmT2_T3_T4_T5_mT6_T7_P12ihipStream_tbENKUlT_T0_E_clISt17integral_constantIbLb0EES11_EEDaSW_SX_EUlSW_E_NS1_11comp_targetILNS1_3genE10ELNS1_11target_archE1200ELNS1_3gpuE4ELNS1_3repE0EEENS1_30default_config_static_selectorELNS0_4arch9wavefront6targetE1EEEvT1_
	.p2align	8
	.type	_ZN7rocprim17ROCPRIM_400000_NS6detail17trampoline_kernelINS0_14default_configENS1_27scan_by_key_config_selectorIijEEZZNS1_16scan_by_key_implILNS1_25lookback_scan_determinismE0ELb0ES3_N6thrust23THRUST_200600_302600_NS6detail15normal_iteratorINS9_10device_ptrIiEEEENSB_INSC_IjEEEESG_jNS9_4plusIvEENS9_8equal_toIvEEjEE10hipError_tPvRmT2_T3_T4_T5_mT6_T7_P12ihipStream_tbENKUlT_T0_E_clISt17integral_constantIbLb0EES11_EEDaSW_SX_EUlSW_E_NS1_11comp_targetILNS1_3genE10ELNS1_11target_archE1200ELNS1_3gpuE4ELNS1_3repE0EEENS1_30default_config_static_selectorELNS0_4arch9wavefront6targetE1EEEvT1_,@function
_ZN7rocprim17ROCPRIM_400000_NS6detail17trampoline_kernelINS0_14default_configENS1_27scan_by_key_config_selectorIijEEZZNS1_16scan_by_key_implILNS1_25lookback_scan_determinismE0ELb0ES3_N6thrust23THRUST_200600_302600_NS6detail15normal_iteratorINS9_10device_ptrIiEEEENSB_INSC_IjEEEESG_jNS9_4plusIvEENS9_8equal_toIvEEjEE10hipError_tPvRmT2_T3_T4_T5_mT6_T7_P12ihipStream_tbENKUlT_T0_E_clISt17integral_constantIbLb0EES11_EEDaSW_SX_EUlSW_E_NS1_11comp_targetILNS1_3genE10ELNS1_11target_archE1200ELNS1_3gpuE4ELNS1_3repE0EEENS1_30default_config_static_selectorELNS0_4arch9wavefront6targetE1EEEvT1_: ; @_ZN7rocprim17ROCPRIM_400000_NS6detail17trampoline_kernelINS0_14default_configENS1_27scan_by_key_config_selectorIijEEZZNS1_16scan_by_key_implILNS1_25lookback_scan_determinismE0ELb0ES3_N6thrust23THRUST_200600_302600_NS6detail15normal_iteratorINS9_10device_ptrIiEEEENSB_INSC_IjEEEESG_jNS9_4plusIvEENS9_8equal_toIvEEjEE10hipError_tPvRmT2_T3_T4_T5_mT6_T7_P12ihipStream_tbENKUlT_T0_E_clISt17integral_constantIbLb0EES11_EEDaSW_SX_EUlSW_E_NS1_11comp_targetILNS1_3genE10ELNS1_11target_archE1200ELNS1_3gpuE4ELNS1_3repE0EEENS1_30default_config_static_selectorELNS0_4arch9wavefront6targetE1EEEvT1_
; %bb.0:
	.section	.rodata,"a",@progbits
	.p2align	6, 0x0
	.amdhsa_kernel _ZN7rocprim17ROCPRIM_400000_NS6detail17trampoline_kernelINS0_14default_configENS1_27scan_by_key_config_selectorIijEEZZNS1_16scan_by_key_implILNS1_25lookback_scan_determinismE0ELb0ES3_N6thrust23THRUST_200600_302600_NS6detail15normal_iteratorINS9_10device_ptrIiEEEENSB_INSC_IjEEEESG_jNS9_4plusIvEENS9_8equal_toIvEEjEE10hipError_tPvRmT2_T3_T4_T5_mT6_T7_P12ihipStream_tbENKUlT_T0_E_clISt17integral_constantIbLb0EES11_EEDaSW_SX_EUlSW_E_NS1_11comp_targetILNS1_3genE10ELNS1_11target_archE1200ELNS1_3gpuE4ELNS1_3repE0EEENS1_30default_config_static_selectorELNS0_4arch9wavefront6targetE1EEEvT1_
		.amdhsa_group_segment_fixed_size 0
		.amdhsa_private_segment_fixed_size 0
		.amdhsa_kernarg_size 112
		.amdhsa_user_sgpr_count 6
		.amdhsa_user_sgpr_private_segment_buffer 1
		.amdhsa_user_sgpr_dispatch_ptr 0
		.amdhsa_user_sgpr_queue_ptr 0
		.amdhsa_user_sgpr_kernarg_segment_ptr 1
		.amdhsa_user_sgpr_dispatch_id 0
		.amdhsa_user_sgpr_flat_scratch_init 0
		.amdhsa_user_sgpr_kernarg_preload_length 0
		.amdhsa_user_sgpr_kernarg_preload_offset 0
		.amdhsa_user_sgpr_private_segment_size 0
		.amdhsa_uses_dynamic_stack 0
		.amdhsa_system_sgpr_private_segment_wavefront_offset 0
		.amdhsa_system_sgpr_workgroup_id_x 1
		.amdhsa_system_sgpr_workgroup_id_y 0
		.amdhsa_system_sgpr_workgroup_id_z 0
		.amdhsa_system_sgpr_workgroup_info 0
		.amdhsa_system_vgpr_workitem_id 0
		.amdhsa_next_free_vgpr 1
		.amdhsa_next_free_sgpr 0
		.amdhsa_accum_offset 4
		.amdhsa_reserve_vcc 0
		.amdhsa_reserve_flat_scratch 0
		.amdhsa_float_round_mode_32 0
		.amdhsa_float_round_mode_16_64 0
		.amdhsa_float_denorm_mode_32 3
		.amdhsa_float_denorm_mode_16_64 3
		.amdhsa_dx10_clamp 1
		.amdhsa_ieee_mode 1
		.amdhsa_fp16_overflow 0
		.amdhsa_tg_split 0
		.amdhsa_exception_fp_ieee_invalid_op 0
		.amdhsa_exception_fp_denorm_src 0
		.amdhsa_exception_fp_ieee_div_zero 0
		.amdhsa_exception_fp_ieee_overflow 0
		.amdhsa_exception_fp_ieee_underflow 0
		.amdhsa_exception_fp_ieee_inexact 0
		.amdhsa_exception_int_div_zero 0
	.end_amdhsa_kernel
	.section	.text._ZN7rocprim17ROCPRIM_400000_NS6detail17trampoline_kernelINS0_14default_configENS1_27scan_by_key_config_selectorIijEEZZNS1_16scan_by_key_implILNS1_25lookback_scan_determinismE0ELb0ES3_N6thrust23THRUST_200600_302600_NS6detail15normal_iteratorINS9_10device_ptrIiEEEENSB_INSC_IjEEEESG_jNS9_4plusIvEENS9_8equal_toIvEEjEE10hipError_tPvRmT2_T3_T4_T5_mT6_T7_P12ihipStream_tbENKUlT_T0_E_clISt17integral_constantIbLb0EES11_EEDaSW_SX_EUlSW_E_NS1_11comp_targetILNS1_3genE10ELNS1_11target_archE1200ELNS1_3gpuE4ELNS1_3repE0EEENS1_30default_config_static_selectorELNS0_4arch9wavefront6targetE1EEEvT1_,"axG",@progbits,_ZN7rocprim17ROCPRIM_400000_NS6detail17trampoline_kernelINS0_14default_configENS1_27scan_by_key_config_selectorIijEEZZNS1_16scan_by_key_implILNS1_25lookback_scan_determinismE0ELb0ES3_N6thrust23THRUST_200600_302600_NS6detail15normal_iteratorINS9_10device_ptrIiEEEENSB_INSC_IjEEEESG_jNS9_4plusIvEENS9_8equal_toIvEEjEE10hipError_tPvRmT2_T3_T4_T5_mT6_T7_P12ihipStream_tbENKUlT_T0_E_clISt17integral_constantIbLb0EES11_EEDaSW_SX_EUlSW_E_NS1_11comp_targetILNS1_3genE10ELNS1_11target_archE1200ELNS1_3gpuE4ELNS1_3repE0EEENS1_30default_config_static_selectorELNS0_4arch9wavefront6targetE1EEEvT1_,comdat
.Lfunc_end1227:
	.size	_ZN7rocprim17ROCPRIM_400000_NS6detail17trampoline_kernelINS0_14default_configENS1_27scan_by_key_config_selectorIijEEZZNS1_16scan_by_key_implILNS1_25lookback_scan_determinismE0ELb0ES3_N6thrust23THRUST_200600_302600_NS6detail15normal_iteratorINS9_10device_ptrIiEEEENSB_INSC_IjEEEESG_jNS9_4plusIvEENS9_8equal_toIvEEjEE10hipError_tPvRmT2_T3_T4_T5_mT6_T7_P12ihipStream_tbENKUlT_T0_E_clISt17integral_constantIbLb0EES11_EEDaSW_SX_EUlSW_E_NS1_11comp_targetILNS1_3genE10ELNS1_11target_archE1200ELNS1_3gpuE4ELNS1_3repE0EEENS1_30default_config_static_selectorELNS0_4arch9wavefront6targetE1EEEvT1_, .Lfunc_end1227-_ZN7rocprim17ROCPRIM_400000_NS6detail17trampoline_kernelINS0_14default_configENS1_27scan_by_key_config_selectorIijEEZZNS1_16scan_by_key_implILNS1_25lookback_scan_determinismE0ELb0ES3_N6thrust23THRUST_200600_302600_NS6detail15normal_iteratorINS9_10device_ptrIiEEEENSB_INSC_IjEEEESG_jNS9_4plusIvEENS9_8equal_toIvEEjEE10hipError_tPvRmT2_T3_T4_T5_mT6_T7_P12ihipStream_tbENKUlT_T0_E_clISt17integral_constantIbLb0EES11_EEDaSW_SX_EUlSW_E_NS1_11comp_targetILNS1_3genE10ELNS1_11target_archE1200ELNS1_3gpuE4ELNS1_3repE0EEENS1_30default_config_static_selectorELNS0_4arch9wavefront6targetE1EEEvT1_
                                        ; -- End function
	.section	.AMDGPU.csdata,"",@progbits
; Kernel info:
; codeLenInByte = 0
; NumSgprs: 4
; NumVgprs: 0
; NumAgprs: 0
; TotalNumVgprs: 0
; ScratchSize: 0
; MemoryBound: 0
; FloatMode: 240
; IeeeMode: 1
; LDSByteSize: 0 bytes/workgroup (compile time only)
; SGPRBlocks: 0
; VGPRBlocks: 0
; NumSGPRsForWavesPerEU: 4
; NumVGPRsForWavesPerEU: 1
; AccumOffset: 4
; Occupancy: 8
; WaveLimiterHint : 0
; COMPUTE_PGM_RSRC2:SCRATCH_EN: 0
; COMPUTE_PGM_RSRC2:USER_SGPR: 6
; COMPUTE_PGM_RSRC2:TRAP_HANDLER: 0
; COMPUTE_PGM_RSRC2:TGID_X_EN: 1
; COMPUTE_PGM_RSRC2:TGID_Y_EN: 0
; COMPUTE_PGM_RSRC2:TGID_Z_EN: 0
; COMPUTE_PGM_RSRC2:TIDIG_COMP_CNT: 0
; COMPUTE_PGM_RSRC3_GFX90A:ACCUM_OFFSET: 0
; COMPUTE_PGM_RSRC3_GFX90A:TG_SPLIT: 0
	.section	.text._ZN7rocprim17ROCPRIM_400000_NS6detail17trampoline_kernelINS0_14default_configENS1_27scan_by_key_config_selectorIijEEZZNS1_16scan_by_key_implILNS1_25lookback_scan_determinismE0ELb0ES3_N6thrust23THRUST_200600_302600_NS6detail15normal_iteratorINS9_10device_ptrIiEEEENSB_INSC_IjEEEESG_jNS9_4plusIvEENS9_8equal_toIvEEjEE10hipError_tPvRmT2_T3_T4_T5_mT6_T7_P12ihipStream_tbENKUlT_T0_E_clISt17integral_constantIbLb0EES11_EEDaSW_SX_EUlSW_E_NS1_11comp_targetILNS1_3genE9ELNS1_11target_archE1100ELNS1_3gpuE3ELNS1_3repE0EEENS1_30default_config_static_selectorELNS0_4arch9wavefront6targetE1EEEvT1_,"axG",@progbits,_ZN7rocprim17ROCPRIM_400000_NS6detail17trampoline_kernelINS0_14default_configENS1_27scan_by_key_config_selectorIijEEZZNS1_16scan_by_key_implILNS1_25lookback_scan_determinismE0ELb0ES3_N6thrust23THRUST_200600_302600_NS6detail15normal_iteratorINS9_10device_ptrIiEEEENSB_INSC_IjEEEESG_jNS9_4plusIvEENS9_8equal_toIvEEjEE10hipError_tPvRmT2_T3_T4_T5_mT6_T7_P12ihipStream_tbENKUlT_T0_E_clISt17integral_constantIbLb0EES11_EEDaSW_SX_EUlSW_E_NS1_11comp_targetILNS1_3genE9ELNS1_11target_archE1100ELNS1_3gpuE3ELNS1_3repE0EEENS1_30default_config_static_selectorELNS0_4arch9wavefront6targetE1EEEvT1_,comdat
	.protected	_ZN7rocprim17ROCPRIM_400000_NS6detail17trampoline_kernelINS0_14default_configENS1_27scan_by_key_config_selectorIijEEZZNS1_16scan_by_key_implILNS1_25lookback_scan_determinismE0ELb0ES3_N6thrust23THRUST_200600_302600_NS6detail15normal_iteratorINS9_10device_ptrIiEEEENSB_INSC_IjEEEESG_jNS9_4plusIvEENS9_8equal_toIvEEjEE10hipError_tPvRmT2_T3_T4_T5_mT6_T7_P12ihipStream_tbENKUlT_T0_E_clISt17integral_constantIbLb0EES11_EEDaSW_SX_EUlSW_E_NS1_11comp_targetILNS1_3genE9ELNS1_11target_archE1100ELNS1_3gpuE3ELNS1_3repE0EEENS1_30default_config_static_selectorELNS0_4arch9wavefront6targetE1EEEvT1_ ; -- Begin function _ZN7rocprim17ROCPRIM_400000_NS6detail17trampoline_kernelINS0_14default_configENS1_27scan_by_key_config_selectorIijEEZZNS1_16scan_by_key_implILNS1_25lookback_scan_determinismE0ELb0ES3_N6thrust23THRUST_200600_302600_NS6detail15normal_iteratorINS9_10device_ptrIiEEEENSB_INSC_IjEEEESG_jNS9_4plusIvEENS9_8equal_toIvEEjEE10hipError_tPvRmT2_T3_T4_T5_mT6_T7_P12ihipStream_tbENKUlT_T0_E_clISt17integral_constantIbLb0EES11_EEDaSW_SX_EUlSW_E_NS1_11comp_targetILNS1_3genE9ELNS1_11target_archE1100ELNS1_3gpuE3ELNS1_3repE0EEENS1_30default_config_static_selectorELNS0_4arch9wavefront6targetE1EEEvT1_
	.globl	_ZN7rocprim17ROCPRIM_400000_NS6detail17trampoline_kernelINS0_14default_configENS1_27scan_by_key_config_selectorIijEEZZNS1_16scan_by_key_implILNS1_25lookback_scan_determinismE0ELb0ES3_N6thrust23THRUST_200600_302600_NS6detail15normal_iteratorINS9_10device_ptrIiEEEENSB_INSC_IjEEEESG_jNS9_4plusIvEENS9_8equal_toIvEEjEE10hipError_tPvRmT2_T3_T4_T5_mT6_T7_P12ihipStream_tbENKUlT_T0_E_clISt17integral_constantIbLb0EES11_EEDaSW_SX_EUlSW_E_NS1_11comp_targetILNS1_3genE9ELNS1_11target_archE1100ELNS1_3gpuE3ELNS1_3repE0EEENS1_30default_config_static_selectorELNS0_4arch9wavefront6targetE1EEEvT1_
	.p2align	8
	.type	_ZN7rocprim17ROCPRIM_400000_NS6detail17trampoline_kernelINS0_14default_configENS1_27scan_by_key_config_selectorIijEEZZNS1_16scan_by_key_implILNS1_25lookback_scan_determinismE0ELb0ES3_N6thrust23THRUST_200600_302600_NS6detail15normal_iteratorINS9_10device_ptrIiEEEENSB_INSC_IjEEEESG_jNS9_4plusIvEENS9_8equal_toIvEEjEE10hipError_tPvRmT2_T3_T4_T5_mT6_T7_P12ihipStream_tbENKUlT_T0_E_clISt17integral_constantIbLb0EES11_EEDaSW_SX_EUlSW_E_NS1_11comp_targetILNS1_3genE9ELNS1_11target_archE1100ELNS1_3gpuE3ELNS1_3repE0EEENS1_30default_config_static_selectorELNS0_4arch9wavefront6targetE1EEEvT1_,@function
_ZN7rocprim17ROCPRIM_400000_NS6detail17trampoline_kernelINS0_14default_configENS1_27scan_by_key_config_selectorIijEEZZNS1_16scan_by_key_implILNS1_25lookback_scan_determinismE0ELb0ES3_N6thrust23THRUST_200600_302600_NS6detail15normal_iteratorINS9_10device_ptrIiEEEENSB_INSC_IjEEEESG_jNS9_4plusIvEENS9_8equal_toIvEEjEE10hipError_tPvRmT2_T3_T4_T5_mT6_T7_P12ihipStream_tbENKUlT_T0_E_clISt17integral_constantIbLb0EES11_EEDaSW_SX_EUlSW_E_NS1_11comp_targetILNS1_3genE9ELNS1_11target_archE1100ELNS1_3gpuE3ELNS1_3repE0EEENS1_30default_config_static_selectorELNS0_4arch9wavefront6targetE1EEEvT1_: ; @_ZN7rocprim17ROCPRIM_400000_NS6detail17trampoline_kernelINS0_14default_configENS1_27scan_by_key_config_selectorIijEEZZNS1_16scan_by_key_implILNS1_25lookback_scan_determinismE0ELb0ES3_N6thrust23THRUST_200600_302600_NS6detail15normal_iteratorINS9_10device_ptrIiEEEENSB_INSC_IjEEEESG_jNS9_4plusIvEENS9_8equal_toIvEEjEE10hipError_tPvRmT2_T3_T4_T5_mT6_T7_P12ihipStream_tbENKUlT_T0_E_clISt17integral_constantIbLb0EES11_EEDaSW_SX_EUlSW_E_NS1_11comp_targetILNS1_3genE9ELNS1_11target_archE1100ELNS1_3gpuE3ELNS1_3repE0EEENS1_30default_config_static_selectorELNS0_4arch9wavefront6targetE1EEEvT1_
; %bb.0:
	.section	.rodata,"a",@progbits
	.p2align	6, 0x0
	.amdhsa_kernel _ZN7rocprim17ROCPRIM_400000_NS6detail17trampoline_kernelINS0_14default_configENS1_27scan_by_key_config_selectorIijEEZZNS1_16scan_by_key_implILNS1_25lookback_scan_determinismE0ELb0ES3_N6thrust23THRUST_200600_302600_NS6detail15normal_iteratorINS9_10device_ptrIiEEEENSB_INSC_IjEEEESG_jNS9_4plusIvEENS9_8equal_toIvEEjEE10hipError_tPvRmT2_T3_T4_T5_mT6_T7_P12ihipStream_tbENKUlT_T0_E_clISt17integral_constantIbLb0EES11_EEDaSW_SX_EUlSW_E_NS1_11comp_targetILNS1_3genE9ELNS1_11target_archE1100ELNS1_3gpuE3ELNS1_3repE0EEENS1_30default_config_static_selectorELNS0_4arch9wavefront6targetE1EEEvT1_
		.amdhsa_group_segment_fixed_size 0
		.amdhsa_private_segment_fixed_size 0
		.amdhsa_kernarg_size 112
		.amdhsa_user_sgpr_count 6
		.amdhsa_user_sgpr_private_segment_buffer 1
		.amdhsa_user_sgpr_dispatch_ptr 0
		.amdhsa_user_sgpr_queue_ptr 0
		.amdhsa_user_sgpr_kernarg_segment_ptr 1
		.amdhsa_user_sgpr_dispatch_id 0
		.amdhsa_user_sgpr_flat_scratch_init 0
		.amdhsa_user_sgpr_kernarg_preload_length 0
		.amdhsa_user_sgpr_kernarg_preload_offset 0
		.amdhsa_user_sgpr_private_segment_size 0
		.amdhsa_uses_dynamic_stack 0
		.amdhsa_system_sgpr_private_segment_wavefront_offset 0
		.amdhsa_system_sgpr_workgroup_id_x 1
		.amdhsa_system_sgpr_workgroup_id_y 0
		.amdhsa_system_sgpr_workgroup_id_z 0
		.amdhsa_system_sgpr_workgroup_info 0
		.amdhsa_system_vgpr_workitem_id 0
		.amdhsa_next_free_vgpr 1
		.amdhsa_next_free_sgpr 0
		.amdhsa_accum_offset 4
		.amdhsa_reserve_vcc 0
		.amdhsa_reserve_flat_scratch 0
		.amdhsa_float_round_mode_32 0
		.amdhsa_float_round_mode_16_64 0
		.amdhsa_float_denorm_mode_32 3
		.amdhsa_float_denorm_mode_16_64 3
		.amdhsa_dx10_clamp 1
		.amdhsa_ieee_mode 1
		.amdhsa_fp16_overflow 0
		.amdhsa_tg_split 0
		.amdhsa_exception_fp_ieee_invalid_op 0
		.amdhsa_exception_fp_denorm_src 0
		.amdhsa_exception_fp_ieee_div_zero 0
		.amdhsa_exception_fp_ieee_overflow 0
		.amdhsa_exception_fp_ieee_underflow 0
		.amdhsa_exception_fp_ieee_inexact 0
		.amdhsa_exception_int_div_zero 0
	.end_amdhsa_kernel
	.section	.text._ZN7rocprim17ROCPRIM_400000_NS6detail17trampoline_kernelINS0_14default_configENS1_27scan_by_key_config_selectorIijEEZZNS1_16scan_by_key_implILNS1_25lookback_scan_determinismE0ELb0ES3_N6thrust23THRUST_200600_302600_NS6detail15normal_iteratorINS9_10device_ptrIiEEEENSB_INSC_IjEEEESG_jNS9_4plusIvEENS9_8equal_toIvEEjEE10hipError_tPvRmT2_T3_T4_T5_mT6_T7_P12ihipStream_tbENKUlT_T0_E_clISt17integral_constantIbLb0EES11_EEDaSW_SX_EUlSW_E_NS1_11comp_targetILNS1_3genE9ELNS1_11target_archE1100ELNS1_3gpuE3ELNS1_3repE0EEENS1_30default_config_static_selectorELNS0_4arch9wavefront6targetE1EEEvT1_,"axG",@progbits,_ZN7rocprim17ROCPRIM_400000_NS6detail17trampoline_kernelINS0_14default_configENS1_27scan_by_key_config_selectorIijEEZZNS1_16scan_by_key_implILNS1_25lookback_scan_determinismE0ELb0ES3_N6thrust23THRUST_200600_302600_NS6detail15normal_iteratorINS9_10device_ptrIiEEEENSB_INSC_IjEEEESG_jNS9_4plusIvEENS9_8equal_toIvEEjEE10hipError_tPvRmT2_T3_T4_T5_mT6_T7_P12ihipStream_tbENKUlT_T0_E_clISt17integral_constantIbLb0EES11_EEDaSW_SX_EUlSW_E_NS1_11comp_targetILNS1_3genE9ELNS1_11target_archE1100ELNS1_3gpuE3ELNS1_3repE0EEENS1_30default_config_static_selectorELNS0_4arch9wavefront6targetE1EEEvT1_,comdat
.Lfunc_end1228:
	.size	_ZN7rocprim17ROCPRIM_400000_NS6detail17trampoline_kernelINS0_14default_configENS1_27scan_by_key_config_selectorIijEEZZNS1_16scan_by_key_implILNS1_25lookback_scan_determinismE0ELb0ES3_N6thrust23THRUST_200600_302600_NS6detail15normal_iteratorINS9_10device_ptrIiEEEENSB_INSC_IjEEEESG_jNS9_4plusIvEENS9_8equal_toIvEEjEE10hipError_tPvRmT2_T3_T4_T5_mT6_T7_P12ihipStream_tbENKUlT_T0_E_clISt17integral_constantIbLb0EES11_EEDaSW_SX_EUlSW_E_NS1_11comp_targetILNS1_3genE9ELNS1_11target_archE1100ELNS1_3gpuE3ELNS1_3repE0EEENS1_30default_config_static_selectorELNS0_4arch9wavefront6targetE1EEEvT1_, .Lfunc_end1228-_ZN7rocprim17ROCPRIM_400000_NS6detail17trampoline_kernelINS0_14default_configENS1_27scan_by_key_config_selectorIijEEZZNS1_16scan_by_key_implILNS1_25lookback_scan_determinismE0ELb0ES3_N6thrust23THRUST_200600_302600_NS6detail15normal_iteratorINS9_10device_ptrIiEEEENSB_INSC_IjEEEESG_jNS9_4plusIvEENS9_8equal_toIvEEjEE10hipError_tPvRmT2_T3_T4_T5_mT6_T7_P12ihipStream_tbENKUlT_T0_E_clISt17integral_constantIbLb0EES11_EEDaSW_SX_EUlSW_E_NS1_11comp_targetILNS1_3genE9ELNS1_11target_archE1100ELNS1_3gpuE3ELNS1_3repE0EEENS1_30default_config_static_selectorELNS0_4arch9wavefront6targetE1EEEvT1_
                                        ; -- End function
	.section	.AMDGPU.csdata,"",@progbits
; Kernel info:
; codeLenInByte = 0
; NumSgprs: 4
; NumVgprs: 0
; NumAgprs: 0
; TotalNumVgprs: 0
; ScratchSize: 0
; MemoryBound: 0
; FloatMode: 240
; IeeeMode: 1
; LDSByteSize: 0 bytes/workgroup (compile time only)
; SGPRBlocks: 0
; VGPRBlocks: 0
; NumSGPRsForWavesPerEU: 4
; NumVGPRsForWavesPerEU: 1
; AccumOffset: 4
; Occupancy: 8
; WaveLimiterHint : 0
; COMPUTE_PGM_RSRC2:SCRATCH_EN: 0
; COMPUTE_PGM_RSRC2:USER_SGPR: 6
; COMPUTE_PGM_RSRC2:TRAP_HANDLER: 0
; COMPUTE_PGM_RSRC2:TGID_X_EN: 1
; COMPUTE_PGM_RSRC2:TGID_Y_EN: 0
; COMPUTE_PGM_RSRC2:TGID_Z_EN: 0
; COMPUTE_PGM_RSRC2:TIDIG_COMP_CNT: 0
; COMPUTE_PGM_RSRC3_GFX90A:ACCUM_OFFSET: 0
; COMPUTE_PGM_RSRC3_GFX90A:TG_SPLIT: 0
	.section	.text._ZN7rocprim17ROCPRIM_400000_NS6detail17trampoline_kernelINS0_14default_configENS1_27scan_by_key_config_selectorIijEEZZNS1_16scan_by_key_implILNS1_25lookback_scan_determinismE0ELb0ES3_N6thrust23THRUST_200600_302600_NS6detail15normal_iteratorINS9_10device_ptrIiEEEENSB_INSC_IjEEEESG_jNS9_4plusIvEENS9_8equal_toIvEEjEE10hipError_tPvRmT2_T3_T4_T5_mT6_T7_P12ihipStream_tbENKUlT_T0_E_clISt17integral_constantIbLb0EES11_EEDaSW_SX_EUlSW_E_NS1_11comp_targetILNS1_3genE8ELNS1_11target_archE1030ELNS1_3gpuE2ELNS1_3repE0EEENS1_30default_config_static_selectorELNS0_4arch9wavefront6targetE1EEEvT1_,"axG",@progbits,_ZN7rocprim17ROCPRIM_400000_NS6detail17trampoline_kernelINS0_14default_configENS1_27scan_by_key_config_selectorIijEEZZNS1_16scan_by_key_implILNS1_25lookback_scan_determinismE0ELb0ES3_N6thrust23THRUST_200600_302600_NS6detail15normal_iteratorINS9_10device_ptrIiEEEENSB_INSC_IjEEEESG_jNS9_4plusIvEENS9_8equal_toIvEEjEE10hipError_tPvRmT2_T3_T4_T5_mT6_T7_P12ihipStream_tbENKUlT_T0_E_clISt17integral_constantIbLb0EES11_EEDaSW_SX_EUlSW_E_NS1_11comp_targetILNS1_3genE8ELNS1_11target_archE1030ELNS1_3gpuE2ELNS1_3repE0EEENS1_30default_config_static_selectorELNS0_4arch9wavefront6targetE1EEEvT1_,comdat
	.protected	_ZN7rocprim17ROCPRIM_400000_NS6detail17trampoline_kernelINS0_14default_configENS1_27scan_by_key_config_selectorIijEEZZNS1_16scan_by_key_implILNS1_25lookback_scan_determinismE0ELb0ES3_N6thrust23THRUST_200600_302600_NS6detail15normal_iteratorINS9_10device_ptrIiEEEENSB_INSC_IjEEEESG_jNS9_4plusIvEENS9_8equal_toIvEEjEE10hipError_tPvRmT2_T3_T4_T5_mT6_T7_P12ihipStream_tbENKUlT_T0_E_clISt17integral_constantIbLb0EES11_EEDaSW_SX_EUlSW_E_NS1_11comp_targetILNS1_3genE8ELNS1_11target_archE1030ELNS1_3gpuE2ELNS1_3repE0EEENS1_30default_config_static_selectorELNS0_4arch9wavefront6targetE1EEEvT1_ ; -- Begin function _ZN7rocprim17ROCPRIM_400000_NS6detail17trampoline_kernelINS0_14default_configENS1_27scan_by_key_config_selectorIijEEZZNS1_16scan_by_key_implILNS1_25lookback_scan_determinismE0ELb0ES3_N6thrust23THRUST_200600_302600_NS6detail15normal_iteratorINS9_10device_ptrIiEEEENSB_INSC_IjEEEESG_jNS9_4plusIvEENS9_8equal_toIvEEjEE10hipError_tPvRmT2_T3_T4_T5_mT6_T7_P12ihipStream_tbENKUlT_T0_E_clISt17integral_constantIbLb0EES11_EEDaSW_SX_EUlSW_E_NS1_11comp_targetILNS1_3genE8ELNS1_11target_archE1030ELNS1_3gpuE2ELNS1_3repE0EEENS1_30default_config_static_selectorELNS0_4arch9wavefront6targetE1EEEvT1_
	.globl	_ZN7rocprim17ROCPRIM_400000_NS6detail17trampoline_kernelINS0_14default_configENS1_27scan_by_key_config_selectorIijEEZZNS1_16scan_by_key_implILNS1_25lookback_scan_determinismE0ELb0ES3_N6thrust23THRUST_200600_302600_NS6detail15normal_iteratorINS9_10device_ptrIiEEEENSB_INSC_IjEEEESG_jNS9_4plusIvEENS9_8equal_toIvEEjEE10hipError_tPvRmT2_T3_T4_T5_mT6_T7_P12ihipStream_tbENKUlT_T0_E_clISt17integral_constantIbLb0EES11_EEDaSW_SX_EUlSW_E_NS1_11comp_targetILNS1_3genE8ELNS1_11target_archE1030ELNS1_3gpuE2ELNS1_3repE0EEENS1_30default_config_static_selectorELNS0_4arch9wavefront6targetE1EEEvT1_
	.p2align	8
	.type	_ZN7rocprim17ROCPRIM_400000_NS6detail17trampoline_kernelINS0_14default_configENS1_27scan_by_key_config_selectorIijEEZZNS1_16scan_by_key_implILNS1_25lookback_scan_determinismE0ELb0ES3_N6thrust23THRUST_200600_302600_NS6detail15normal_iteratorINS9_10device_ptrIiEEEENSB_INSC_IjEEEESG_jNS9_4plusIvEENS9_8equal_toIvEEjEE10hipError_tPvRmT2_T3_T4_T5_mT6_T7_P12ihipStream_tbENKUlT_T0_E_clISt17integral_constantIbLb0EES11_EEDaSW_SX_EUlSW_E_NS1_11comp_targetILNS1_3genE8ELNS1_11target_archE1030ELNS1_3gpuE2ELNS1_3repE0EEENS1_30default_config_static_selectorELNS0_4arch9wavefront6targetE1EEEvT1_,@function
_ZN7rocprim17ROCPRIM_400000_NS6detail17trampoline_kernelINS0_14default_configENS1_27scan_by_key_config_selectorIijEEZZNS1_16scan_by_key_implILNS1_25lookback_scan_determinismE0ELb0ES3_N6thrust23THRUST_200600_302600_NS6detail15normal_iteratorINS9_10device_ptrIiEEEENSB_INSC_IjEEEESG_jNS9_4plusIvEENS9_8equal_toIvEEjEE10hipError_tPvRmT2_T3_T4_T5_mT6_T7_P12ihipStream_tbENKUlT_T0_E_clISt17integral_constantIbLb0EES11_EEDaSW_SX_EUlSW_E_NS1_11comp_targetILNS1_3genE8ELNS1_11target_archE1030ELNS1_3gpuE2ELNS1_3repE0EEENS1_30default_config_static_selectorELNS0_4arch9wavefront6targetE1EEEvT1_: ; @_ZN7rocprim17ROCPRIM_400000_NS6detail17trampoline_kernelINS0_14default_configENS1_27scan_by_key_config_selectorIijEEZZNS1_16scan_by_key_implILNS1_25lookback_scan_determinismE0ELb0ES3_N6thrust23THRUST_200600_302600_NS6detail15normal_iteratorINS9_10device_ptrIiEEEENSB_INSC_IjEEEESG_jNS9_4plusIvEENS9_8equal_toIvEEjEE10hipError_tPvRmT2_T3_T4_T5_mT6_T7_P12ihipStream_tbENKUlT_T0_E_clISt17integral_constantIbLb0EES11_EEDaSW_SX_EUlSW_E_NS1_11comp_targetILNS1_3genE8ELNS1_11target_archE1030ELNS1_3gpuE2ELNS1_3repE0EEENS1_30default_config_static_selectorELNS0_4arch9wavefront6targetE1EEEvT1_
; %bb.0:
	.section	.rodata,"a",@progbits
	.p2align	6, 0x0
	.amdhsa_kernel _ZN7rocprim17ROCPRIM_400000_NS6detail17trampoline_kernelINS0_14default_configENS1_27scan_by_key_config_selectorIijEEZZNS1_16scan_by_key_implILNS1_25lookback_scan_determinismE0ELb0ES3_N6thrust23THRUST_200600_302600_NS6detail15normal_iteratorINS9_10device_ptrIiEEEENSB_INSC_IjEEEESG_jNS9_4plusIvEENS9_8equal_toIvEEjEE10hipError_tPvRmT2_T3_T4_T5_mT6_T7_P12ihipStream_tbENKUlT_T0_E_clISt17integral_constantIbLb0EES11_EEDaSW_SX_EUlSW_E_NS1_11comp_targetILNS1_3genE8ELNS1_11target_archE1030ELNS1_3gpuE2ELNS1_3repE0EEENS1_30default_config_static_selectorELNS0_4arch9wavefront6targetE1EEEvT1_
		.amdhsa_group_segment_fixed_size 0
		.amdhsa_private_segment_fixed_size 0
		.amdhsa_kernarg_size 112
		.amdhsa_user_sgpr_count 6
		.amdhsa_user_sgpr_private_segment_buffer 1
		.amdhsa_user_sgpr_dispatch_ptr 0
		.amdhsa_user_sgpr_queue_ptr 0
		.amdhsa_user_sgpr_kernarg_segment_ptr 1
		.amdhsa_user_sgpr_dispatch_id 0
		.amdhsa_user_sgpr_flat_scratch_init 0
		.amdhsa_user_sgpr_kernarg_preload_length 0
		.amdhsa_user_sgpr_kernarg_preload_offset 0
		.amdhsa_user_sgpr_private_segment_size 0
		.amdhsa_uses_dynamic_stack 0
		.amdhsa_system_sgpr_private_segment_wavefront_offset 0
		.amdhsa_system_sgpr_workgroup_id_x 1
		.amdhsa_system_sgpr_workgroup_id_y 0
		.amdhsa_system_sgpr_workgroup_id_z 0
		.amdhsa_system_sgpr_workgroup_info 0
		.amdhsa_system_vgpr_workitem_id 0
		.amdhsa_next_free_vgpr 1
		.amdhsa_next_free_sgpr 0
		.amdhsa_accum_offset 4
		.amdhsa_reserve_vcc 0
		.amdhsa_reserve_flat_scratch 0
		.amdhsa_float_round_mode_32 0
		.amdhsa_float_round_mode_16_64 0
		.amdhsa_float_denorm_mode_32 3
		.amdhsa_float_denorm_mode_16_64 3
		.amdhsa_dx10_clamp 1
		.amdhsa_ieee_mode 1
		.amdhsa_fp16_overflow 0
		.amdhsa_tg_split 0
		.amdhsa_exception_fp_ieee_invalid_op 0
		.amdhsa_exception_fp_denorm_src 0
		.amdhsa_exception_fp_ieee_div_zero 0
		.amdhsa_exception_fp_ieee_overflow 0
		.amdhsa_exception_fp_ieee_underflow 0
		.amdhsa_exception_fp_ieee_inexact 0
		.amdhsa_exception_int_div_zero 0
	.end_amdhsa_kernel
	.section	.text._ZN7rocprim17ROCPRIM_400000_NS6detail17trampoline_kernelINS0_14default_configENS1_27scan_by_key_config_selectorIijEEZZNS1_16scan_by_key_implILNS1_25lookback_scan_determinismE0ELb0ES3_N6thrust23THRUST_200600_302600_NS6detail15normal_iteratorINS9_10device_ptrIiEEEENSB_INSC_IjEEEESG_jNS9_4plusIvEENS9_8equal_toIvEEjEE10hipError_tPvRmT2_T3_T4_T5_mT6_T7_P12ihipStream_tbENKUlT_T0_E_clISt17integral_constantIbLb0EES11_EEDaSW_SX_EUlSW_E_NS1_11comp_targetILNS1_3genE8ELNS1_11target_archE1030ELNS1_3gpuE2ELNS1_3repE0EEENS1_30default_config_static_selectorELNS0_4arch9wavefront6targetE1EEEvT1_,"axG",@progbits,_ZN7rocprim17ROCPRIM_400000_NS6detail17trampoline_kernelINS0_14default_configENS1_27scan_by_key_config_selectorIijEEZZNS1_16scan_by_key_implILNS1_25lookback_scan_determinismE0ELb0ES3_N6thrust23THRUST_200600_302600_NS6detail15normal_iteratorINS9_10device_ptrIiEEEENSB_INSC_IjEEEESG_jNS9_4plusIvEENS9_8equal_toIvEEjEE10hipError_tPvRmT2_T3_T4_T5_mT6_T7_P12ihipStream_tbENKUlT_T0_E_clISt17integral_constantIbLb0EES11_EEDaSW_SX_EUlSW_E_NS1_11comp_targetILNS1_3genE8ELNS1_11target_archE1030ELNS1_3gpuE2ELNS1_3repE0EEENS1_30default_config_static_selectorELNS0_4arch9wavefront6targetE1EEEvT1_,comdat
.Lfunc_end1229:
	.size	_ZN7rocprim17ROCPRIM_400000_NS6detail17trampoline_kernelINS0_14default_configENS1_27scan_by_key_config_selectorIijEEZZNS1_16scan_by_key_implILNS1_25lookback_scan_determinismE0ELb0ES3_N6thrust23THRUST_200600_302600_NS6detail15normal_iteratorINS9_10device_ptrIiEEEENSB_INSC_IjEEEESG_jNS9_4plusIvEENS9_8equal_toIvEEjEE10hipError_tPvRmT2_T3_T4_T5_mT6_T7_P12ihipStream_tbENKUlT_T0_E_clISt17integral_constantIbLb0EES11_EEDaSW_SX_EUlSW_E_NS1_11comp_targetILNS1_3genE8ELNS1_11target_archE1030ELNS1_3gpuE2ELNS1_3repE0EEENS1_30default_config_static_selectorELNS0_4arch9wavefront6targetE1EEEvT1_, .Lfunc_end1229-_ZN7rocprim17ROCPRIM_400000_NS6detail17trampoline_kernelINS0_14default_configENS1_27scan_by_key_config_selectorIijEEZZNS1_16scan_by_key_implILNS1_25lookback_scan_determinismE0ELb0ES3_N6thrust23THRUST_200600_302600_NS6detail15normal_iteratorINS9_10device_ptrIiEEEENSB_INSC_IjEEEESG_jNS9_4plusIvEENS9_8equal_toIvEEjEE10hipError_tPvRmT2_T3_T4_T5_mT6_T7_P12ihipStream_tbENKUlT_T0_E_clISt17integral_constantIbLb0EES11_EEDaSW_SX_EUlSW_E_NS1_11comp_targetILNS1_3genE8ELNS1_11target_archE1030ELNS1_3gpuE2ELNS1_3repE0EEENS1_30default_config_static_selectorELNS0_4arch9wavefront6targetE1EEEvT1_
                                        ; -- End function
	.section	.AMDGPU.csdata,"",@progbits
; Kernel info:
; codeLenInByte = 0
; NumSgprs: 4
; NumVgprs: 0
; NumAgprs: 0
; TotalNumVgprs: 0
; ScratchSize: 0
; MemoryBound: 0
; FloatMode: 240
; IeeeMode: 1
; LDSByteSize: 0 bytes/workgroup (compile time only)
; SGPRBlocks: 0
; VGPRBlocks: 0
; NumSGPRsForWavesPerEU: 4
; NumVGPRsForWavesPerEU: 1
; AccumOffset: 4
; Occupancy: 8
; WaveLimiterHint : 0
; COMPUTE_PGM_RSRC2:SCRATCH_EN: 0
; COMPUTE_PGM_RSRC2:USER_SGPR: 6
; COMPUTE_PGM_RSRC2:TRAP_HANDLER: 0
; COMPUTE_PGM_RSRC2:TGID_X_EN: 1
; COMPUTE_PGM_RSRC2:TGID_Y_EN: 0
; COMPUTE_PGM_RSRC2:TGID_Z_EN: 0
; COMPUTE_PGM_RSRC2:TIDIG_COMP_CNT: 0
; COMPUTE_PGM_RSRC3_GFX90A:ACCUM_OFFSET: 0
; COMPUTE_PGM_RSRC3_GFX90A:TG_SPLIT: 0
	.section	.text._ZN7rocprim17ROCPRIM_400000_NS6detail30init_device_scan_by_key_kernelINS1_19lookback_scan_stateINS0_5tupleIJjbEEELb1ELb1EEEN6thrust23THRUST_200600_302600_NS6detail15normal_iteratorINS8_10device_ptrIiEEEEjNS1_16block_id_wrapperIjLb1EEEEEvT_jjPNSG_10value_typeET0_PNSt15iterator_traitsISJ_E10value_typeEmT1_T2_,"axG",@progbits,_ZN7rocprim17ROCPRIM_400000_NS6detail30init_device_scan_by_key_kernelINS1_19lookback_scan_stateINS0_5tupleIJjbEEELb1ELb1EEEN6thrust23THRUST_200600_302600_NS6detail15normal_iteratorINS8_10device_ptrIiEEEEjNS1_16block_id_wrapperIjLb1EEEEEvT_jjPNSG_10value_typeET0_PNSt15iterator_traitsISJ_E10value_typeEmT1_T2_,comdat
	.protected	_ZN7rocprim17ROCPRIM_400000_NS6detail30init_device_scan_by_key_kernelINS1_19lookback_scan_stateINS0_5tupleIJjbEEELb1ELb1EEEN6thrust23THRUST_200600_302600_NS6detail15normal_iteratorINS8_10device_ptrIiEEEEjNS1_16block_id_wrapperIjLb1EEEEEvT_jjPNSG_10value_typeET0_PNSt15iterator_traitsISJ_E10value_typeEmT1_T2_ ; -- Begin function _ZN7rocprim17ROCPRIM_400000_NS6detail30init_device_scan_by_key_kernelINS1_19lookback_scan_stateINS0_5tupleIJjbEEELb1ELb1EEEN6thrust23THRUST_200600_302600_NS6detail15normal_iteratorINS8_10device_ptrIiEEEEjNS1_16block_id_wrapperIjLb1EEEEEvT_jjPNSG_10value_typeET0_PNSt15iterator_traitsISJ_E10value_typeEmT1_T2_
	.globl	_ZN7rocprim17ROCPRIM_400000_NS6detail30init_device_scan_by_key_kernelINS1_19lookback_scan_stateINS0_5tupleIJjbEEELb1ELb1EEEN6thrust23THRUST_200600_302600_NS6detail15normal_iteratorINS8_10device_ptrIiEEEEjNS1_16block_id_wrapperIjLb1EEEEEvT_jjPNSG_10value_typeET0_PNSt15iterator_traitsISJ_E10value_typeEmT1_T2_
	.p2align	8
	.type	_ZN7rocprim17ROCPRIM_400000_NS6detail30init_device_scan_by_key_kernelINS1_19lookback_scan_stateINS0_5tupleIJjbEEELb1ELb1EEEN6thrust23THRUST_200600_302600_NS6detail15normal_iteratorINS8_10device_ptrIiEEEEjNS1_16block_id_wrapperIjLb1EEEEEvT_jjPNSG_10value_typeET0_PNSt15iterator_traitsISJ_E10value_typeEmT1_T2_,@function
_ZN7rocprim17ROCPRIM_400000_NS6detail30init_device_scan_by_key_kernelINS1_19lookback_scan_stateINS0_5tupleIJjbEEELb1ELb1EEEN6thrust23THRUST_200600_302600_NS6detail15normal_iteratorINS8_10device_ptrIiEEEEjNS1_16block_id_wrapperIjLb1EEEEEvT_jjPNSG_10value_typeET0_PNSt15iterator_traitsISJ_E10value_typeEmT1_T2_: ; @_ZN7rocprim17ROCPRIM_400000_NS6detail30init_device_scan_by_key_kernelINS1_19lookback_scan_stateINS0_5tupleIJjbEEELb1ELb1EEEN6thrust23THRUST_200600_302600_NS6detail15normal_iteratorINS8_10device_ptrIiEEEEjNS1_16block_id_wrapperIjLb1EEEEEvT_jjPNSG_10value_typeET0_PNSt15iterator_traitsISJ_E10value_typeEmT1_T2_
; %bb.0:
	s_load_dword s0, s[4:5], 0x4c
	s_load_dwordx8 s[8:15], s[4:5], 0x0
	s_load_dword s18, s[4:5], 0x40
	s_waitcnt lgkmcnt(0)
	s_and_b32 s19, s0, 0xffff
	s_mul_i32 s6, s6, s19
	s_cmp_eq_u64 s[12:13], 0
	v_add_u32_e32 v4, s6, v0
	s_cbranch_scc1 .LBB1230_10
; %bb.1:
	s_cmp_lt_u32 s11, s10
	s_cselect_b32 s0, s11, 0
	s_mov_b32 s3, 0
	v_cmp_eq_u32_e32 vcc, s0, v4
	s_and_saveexec_b64 s[0:1], vcc
	s_cbranch_execz .LBB1230_9
; %bb.2:
	s_add_i32 s2, s11, 64
	s_lshl_b64 s[2:3], s[2:3], 4
	s_add_u32 s16, s8, s2
	s_addc_u32 s17, s9, s3
	v_pk_mov_b32 v[0:1], s[16:17], s[16:17] op_sel:[0,1]
	;;#ASMSTART
	global_load_dwordx4 v[0:3], v[0:1] off glc	
s_waitcnt vmcnt(0)
	;;#ASMEND
	v_mov_b32_e32 v7, 0
	v_and_b32_e32 v6, 0xff, v2
	s_mov_b64 s[6:7], 0
	v_cmp_eq_u64_e32 vcc, 0, v[6:7]
	s_and_saveexec_b64 s[2:3], vcc
	s_cbranch_execz .LBB1230_8
; %bb.3:
	s_mov_b32 s11, 1
	v_pk_mov_b32 v[8:9], s[16:17], s[16:17] op_sel:[0,1]
.LBB1230_4:                             ; =>This Loop Header: Depth=1
                                        ;     Child Loop BB1230_5 Depth 2
	s_max_u32 s16, s11, 1
.LBB1230_5:                             ;   Parent Loop BB1230_4 Depth=1
                                        ; =>  This Inner Loop Header: Depth=2
	s_add_i32 s16, s16, -1
	s_cmp_eq_u32 s16, 0
	s_sleep 1
	s_cbranch_scc0 .LBB1230_5
; %bb.6:                                ;   in Loop: Header=BB1230_4 Depth=1
	s_cmp_lt_u32 s11, 32
	s_cselect_b64 s[16:17], -1, 0
	s_cmp_lg_u64 s[16:17], 0
	;;#ASMSTART
	global_load_dwordx4 v[0:3], v[8:9] off glc	
s_waitcnt vmcnt(0)
	;;#ASMEND
	v_and_b32_e32 v6, 0xff, v2
	s_addc_u32 s11, s11, 0
	v_cmp_ne_u64_e32 vcc, 0, v[6:7]
	s_or_b64 s[6:7], vcc, s[6:7]
	s_andn2_b64 exec, exec, s[6:7]
	s_cbranch_execnz .LBB1230_4
; %bb.7:
	s_or_b64 exec, exec, s[6:7]
.LBB1230_8:
	s_or_b64 exec, exec, s[2:3]
	v_mov_b32_e32 v2, 0
	global_store_dword v2, v0, s[12:13]
	global_store_byte v2, v1, s[12:13] offset:4
.LBB1230_9:
	s_or_b64 exec, exec, s[0:1]
.LBB1230_10:
	v_cmp_eq_u32_e32 vcc, 0, v4
	s_and_saveexec_b64 s[0:1], vcc
	s_cbranch_execz .LBB1230_12
; %bb.11:
	s_load_dwordx2 s[2:3], s[4:5], 0x38
	v_mov_b32_e32 v0, 0
	s_waitcnt lgkmcnt(0)
	global_store_dword v0, v0, s[2:3]
.LBB1230_12:
	s_or_b64 exec, exec, s[0:1]
	v_cmp_gt_u32_e32 vcc, s10, v4
	s_and_saveexec_b64 s[0:1], vcc
	s_cbranch_execz .LBB1230_14
; %bb.13:
	v_add_u32_e32 v0, 64, v4
	v_mov_b32_e32 v1, 0
	v_lshlrev_b64 v[2:3], 4, v[0:1]
	v_mov_b32_e32 v0, s9
	v_add_co_u32_e32 v6, vcc, s8, v2
	v_addc_co_u32_e32 v7, vcc, v0, v3, vcc
	v_mov_b32_e32 v0, v1
	v_mov_b32_e32 v2, v1
	;; [unrolled: 1-line block ×3, first 2 shown]
	global_store_dwordx4 v[6:7], v[0:3], off
.LBB1230_14:
	s_or_b64 exec, exec, s[0:1]
	v_cmp_gt_u32_e32 vcc, 64, v4
	v_mov_b32_e32 v5, 0
	s_and_saveexec_b64 s[0:1], vcc
	s_cbranch_execz .LBB1230_16
; %bb.15:
	v_lshlrev_b64 v[0:1], 4, v[4:5]
	v_mov_b32_e32 v2, s9
	v_add_co_u32_e32 v6, vcc, s8, v0
	v_addc_co_u32_e32 v7, vcc, v2, v1, vcc
	v_mov_b32_e32 v2, 0xff
	v_mov_b32_e32 v0, v5
	;; [unrolled: 1-line block ×4, first 2 shown]
	global_store_dwordx4 v[6:7], v[0:3], off
.LBB1230_16:
	s_or_b64 exec, exec, s[0:1]
	s_load_dwordx2 s[0:1], s[4:5], 0x28
	s_waitcnt lgkmcnt(0)
	v_cmp_gt_u64_e32 vcc, s[0:1], v[4:5]
	s_and_saveexec_b64 s[2:3], vcc
	s_cbranch_execz .LBB1230_19
; %bb.17:
	s_load_dword s10, s[4:5], 0x30
	s_load_dwordx2 s[6:7], s[4:5], 0x20
	s_mov_b32 s5, 0
	s_mov_b32 s3, s5
	s_mul_i32 s2, s18, s19
	s_waitcnt lgkmcnt(0)
	s_add_i32 s4, s10, -1
	s_lshl_b64 s[4:5], s[4:5], 2
	v_mad_u64_u32 v[0:1], s[8:9], s10, v4, 0
	s_add_u32 s4, s14, s4
	v_lshlrev_b64 v[0:1], 2, v[0:1]
	s_addc_u32 s5, s15, s5
	v_mov_b32_e32 v2, s5
	v_add_co_u32_e32 v0, vcc, s4, v0
	v_addc_co_u32_e32 v1, vcc, v2, v1, vcc
	s_mul_hi_u32 s5, s10, s2
	s_mul_i32 s4, s10, s2
	v_lshlrev_b64 v[2:3], 2, v[4:5]
	s_lshl_b64 s[4:5], s[4:5], 2
	v_mov_b32_e32 v6, s7
	v_add_co_u32_e32 v2, vcc, s6, v2
	s_lshl_b64 s[6:7], s[2:3], 2
	v_addc_co_u32_e32 v3, vcc, v6, v3, vcc
	s_mov_b64 s[8:9], 0
	v_mov_b32_e32 v6, s3
	v_mov_b32_e32 v7, s5
	;; [unrolled: 1-line block ×3, first 2 shown]
.LBB1230_18:                            ; =>This Inner Loop Header: Depth=1
	global_load_dword v9, v[0:1], off
	v_add_co_u32_e32 v4, vcc, s2, v4
	v_addc_co_u32_e32 v5, vcc, v5, v6, vcc
	v_add_co_u32_e32 v0, vcc, s4, v0
	v_addc_co_u32_e32 v1, vcc, v1, v7, vcc
	v_cmp_le_u64_e32 vcc, s[0:1], v[4:5]
	s_or_b64 s[8:9], vcc, s[8:9]
	s_waitcnt vmcnt(0)
	global_store_dword v[2:3], v9, off
	v_add_co_u32_e32 v2, vcc, s6, v2
	v_addc_co_u32_e32 v3, vcc, v3, v8, vcc
	s_andn2_b64 exec, exec, s[8:9]
	s_cbranch_execnz .LBB1230_18
.LBB1230_19:
	s_endpgm
	.section	.rodata,"a",@progbits
	.p2align	6, 0x0
	.amdhsa_kernel _ZN7rocprim17ROCPRIM_400000_NS6detail30init_device_scan_by_key_kernelINS1_19lookback_scan_stateINS0_5tupleIJjbEEELb1ELb1EEEN6thrust23THRUST_200600_302600_NS6detail15normal_iteratorINS8_10device_ptrIiEEEEjNS1_16block_id_wrapperIjLb1EEEEEvT_jjPNSG_10value_typeET0_PNSt15iterator_traitsISJ_E10value_typeEmT1_T2_
		.amdhsa_group_segment_fixed_size 0
		.amdhsa_private_segment_fixed_size 0
		.amdhsa_kernarg_size 320
		.amdhsa_user_sgpr_count 6
		.amdhsa_user_sgpr_private_segment_buffer 1
		.amdhsa_user_sgpr_dispatch_ptr 0
		.amdhsa_user_sgpr_queue_ptr 0
		.amdhsa_user_sgpr_kernarg_segment_ptr 1
		.amdhsa_user_sgpr_dispatch_id 0
		.amdhsa_user_sgpr_flat_scratch_init 0
		.amdhsa_user_sgpr_kernarg_preload_length 0
		.amdhsa_user_sgpr_kernarg_preload_offset 0
		.amdhsa_user_sgpr_private_segment_size 0
		.amdhsa_uses_dynamic_stack 0
		.amdhsa_system_sgpr_private_segment_wavefront_offset 0
		.amdhsa_system_sgpr_workgroup_id_x 1
		.amdhsa_system_sgpr_workgroup_id_y 0
		.amdhsa_system_sgpr_workgroup_id_z 0
		.amdhsa_system_sgpr_workgroup_info 0
		.amdhsa_system_vgpr_workitem_id 0
		.amdhsa_next_free_vgpr 10
		.amdhsa_next_free_sgpr 20
		.amdhsa_accum_offset 12
		.amdhsa_reserve_vcc 1
		.amdhsa_reserve_flat_scratch 0
		.amdhsa_float_round_mode_32 0
		.amdhsa_float_round_mode_16_64 0
		.amdhsa_float_denorm_mode_32 3
		.amdhsa_float_denorm_mode_16_64 3
		.amdhsa_dx10_clamp 1
		.amdhsa_ieee_mode 1
		.amdhsa_fp16_overflow 0
		.amdhsa_tg_split 0
		.amdhsa_exception_fp_ieee_invalid_op 0
		.amdhsa_exception_fp_denorm_src 0
		.amdhsa_exception_fp_ieee_div_zero 0
		.amdhsa_exception_fp_ieee_overflow 0
		.amdhsa_exception_fp_ieee_underflow 0
		.amdhsa_exception_fp_ieee_inexact 0
		.amdhsa_exception_int_div_zero 0
	.end_amdhsa_kernel
	.section	.text._ZN7rocprim17ROCPRIM_400000_NS6detail30init_device_scan_by_key_kernelINS1_19lookback_scan_stateINS0_5tupleIJjbEEELb1ELb1EEEN6thrust23THRUST_200600_302600_NS6detail15normal_iteratorINS8_10device_ptrIiEEEEjNS1_16block_id_wrapperIjLb1EEEEEvT_jjPNSG_10value_typeET0_PNSt15iterator_traitsISJ_E10value_typeEmT1_T2_,"axG",@progbits,_ZN7rocprim17ROCPRIM_400000_NS6detail30init_device_scan_by_key_kernelINS1_19lookback_scan_stateINS0_5tupleIJjbEEELb1ELb1EEEN6thrust23THRUST_200600_302600_NS6detail15normal_iteratorINS8_10device_ptrIiEEEEjNS1_16block_id_wrapperIjLb1EEEEEvT_jjPNSG_10value_typeET0_PNSt15iterator_traitsISJ_E10value_typeEmT1_T2_,comdat
.Lfunc_end1230:
	.size	_ZN7rocprim17ROCPRIM_400000_NS6detail30init_device_scan_by_key_kernelINS1_19lookback_scan_stateINS0_5tupleIJjbEEELb1ELb1EEEN6thrust23THRUST_200600_302600_NS6detail15normal_iteratorINS8_10device_ptrIiEEEEjNS1_16block_id_wrapperIjLb1EEEEEvT_jjPNSG_10value_typeET0_PNSt15iterator_traitsISJ_E10value_typeEmT1_T2_, .Lfunc_end1230-_ZN7rocprim17ROCPRIM_400000_NS6detail30init_device_scan_by_key_kernelINS1_19lookback_scan_stateINS0_5tupleIJjbEEELb1ELb1EEEN6thrust23THRUST_200600_302600_NS6detail15normal_iteratorINS8_10device_ptrIiEEEEjNS1_16block_id_wrapperIjLb1EEEEEvT_jjPNSG_10value_typeET0_PNSt15iterator_traitsISJ_E10value_typeEmT1_T2_
                                        ; -- End function
	.section	.AMDGPU.csdata,"",@progbits
; Kernel info:
; codeLenInByte = 652
; NumSgprs: 24
; NumVgprs: 10
; NumAgprs: 0
; TotalNumVgprs: 10
; ScratchSize: 0
; MemoryBound: 0
; FloatMode: 240
; IeeeMode: 1
; LDSByteSize: 0 bytes/workgroup (compile time only)
; SGPRBlocks: 2
; VGPRBlocks: 1
; NumSGPRsForWavesPerEU: 24
; NumVGPRsForWavesPerEU: 10
; AccumOffset: 12
; Occupancy: 8
; WaveLimiterHint : 0
; COMPUTE_PGM_RSRC2:SCRATCH_EN: 0
; COMPUTE_PGM_RSRC2:USER_SGPR: 6
; COMPUTE_PGM_RSRC2:TRAP_HANDLER: 0
; COMPUTE_PGM_RSRC2:TGID_X_EN: 1
; COMPUTE_PGM_RSRC2:TGID_Y_EN: 0
; COMPUTE_PGM_RSRC2:TGID_Z_EN: 0
; COMPUTE_PGM_RSRC2:TIDIG_COMP_CNT: 0
; COMPUTE_PGM_RSRC3_GFX90A:ACCUM_OFFSET: 2
; COMPUTE_PGM_RSRC3_GFX90A:TG_SPLIT: 0
	.section	.text._ZN7rocprim17ROCPRIM_400000_NS6detail30init_device_scan_by_key_kernelINS1_19lookback_scan_stateINS0_5tupleIJjbEEELb1ELb1EEENS1_16block_id_wrapperIjLb1EEEEEvT_jjPNS9_10value_typeET0_,"axG",@progbits,_ZN7rocprim17ROCPRIM_400000_NS6detail30init_device_scan_by_key_kernelINS1_19lookback_scan_stateINS0_5tupleIJjbEEELb1ELb1EEENS1_16block_id_wrapperIjLb1EEEEEvT_jjPNS9_10value_typeET0_,comdat
	.protected	_ZN7rocprim17ROCPRIM_400000_NS6detail30init_device_scan_by_key_kernelINS1_19lookback_scan_stateINS0_5tupleIJjbEEELb1ELb1EEENS1_16block_id_wrapperIjLb1EEEEEvT_jjPNS9_10value_typeET0_ ; -- Begin function _ZN7rocprim17ROCPRIM_400000_NS6detail30init_device_scan_by_key_kernelINS1_19lookback_scan_stateINS0_5tupleIJjbEEELb1ELb1EEENS1_16block_id_wrapperIjLb1EEEEEvT_jjPNS9_10value_typeET0_
	.globl	_ZN7rocprim17ROCPRIM_400000_NS6detail30init_device_scan_by_key_kernelINS1_19lookback_scan_stateINS0_5tupleIJjbEEELb1ELb1EEENS1_16block_id_wrapperIjLb1EEEEEvT_jjPNS9_10value_typeET0_
	.p2align	8
	.type	_ZN7rocprim17ROCPRIM_400000_NS6detail30init_device_scan_by_key_kernelINS1_19lookback_scan_stateINS0_5tupleIJjbEEELb1ELb1EEENS1_16block_id_wrapperIjLb1EEEEEvT_jjPNS9_10value_typeET0_,@function
_ZN7rocprim17ROCPRIM_400000_NS6detail30init_device_scan_by_key_kernelINS1_19lookback_scan_stateINS0_5tupleIJjbEEELb1ELb1EEENS1_16block_id_wrapperIjLb1EEEEEvT_jjPNS9_10value_typeET0_: ; @_ZN7rocprim17ROCPRIM_400000_NS6detail30init_device_scan_by_key_kernelINS1_19lookback_scan_stateINS0_5tupleIJjbEEELb1ELb1EEENS1_16block_id_wrapperIjLb1EEEEEvT_jjPNS9_10value_typeET0_
; %bb.0:
	s_load_dword s0, s[4:5], 0x2c
	s_load_dwordx8 s[8:15], s[4:5], 0x0
	s_waitcnt lgkmcnt(0)
	s_and_b32 s0, s0, 0xffff
	s_mul_i32 s6, s6, s0
	s_cmp_eq_u64 s[12:13], 0
	v_add_u32_e32 v0, s6, v0
	s_cbranch_scc1 .LBB1231_10
; %bb.1:
	s_cmp_lt_u32 s11, s10
	s_cselect_b32 s0, s11, 0
	s_mov_b32 s3, 0
	v_cmp_eq_u32_e32 vcc, s0, v0
	s_and_saveexec_b64 s[0:1], vcc
	s_cbranch_execz .LBB1231_9
; %bb.2:
	s_add_i32 s2, s11, 64
	s_lshl_b64 s[2:3], s[2:3], 4
	s_add_u32 s6, s8, s2
	s_addc_u32 s7, s9, s3
	v_pk_mov_b32 v[2:3], s[6:7], s[6:7] op_sel:[0,1]
	;;#ASMSTART
	global_load_dwordx4 v[2:5], v[2:3] off glc	
s_waitcnt vmcnt(0)
	;;#ASMEND
	v_mov_b32_e32 v7, 0
	v_and_b32_e32 v6, 0xff, v4
	s_mov_b64 s[4:5], 0
	v_cmp_eq_u64_e32 vcc, 0, v[6:7]
	s_and_saveexec_b64 s[2:3], vcc
	s_cbranch_execz .LBB1231_8
; %bb.3:
	s_mov_b32 s11, 1
	v_pk_mov_b32 v[8:9], s[6:7], s[6:7] op_sel:[0,1]
.LBB1231_4:                             ; =>This Loop Header: Depth=1
                                        ;     Child Loop BB1231_5 Depth 2
	s_max_u32 s6, s11, 1
.LBB1231_5:                             ;   Parent Loop BB1231_4 Depth=1
                                        ; =>  This Inner Loop Header: Depth=2
	s_add_i32 s6, s6, -1
	s_cmp_eq_u32 s6, 0
	s_sleep 1
	s_cbranch_scc0 .LBB1231_5
; %bb.6:                                ;   in Loop: Header=BB1231_4 Depth=1
	s_cmp_lt_u32 s11, 32
	s_cselect_b64 s[6:7], -1, 0
	s_cmp_lg_u64 s[6:7], 0
	;;#ASMSTART
	global_load_dwordx4 v[2:5], v[8:9] off glc	
s_waitcnt vmcnt(0)
	;;#ASMEND
	v_and_b32_e32 v6, 0xff, v4
	s_addc_u32 s11, s11, 0
	v_cmp_ne_u64_e32 vcc, 0, v[6:7]
	s_or_b64 s[4:5], vcc, s[4:5]
	s_andn2_b64 exec, exec, s[4:5]
	s_cbranch_execnz .LBB1231_4
; %bb.7:
	s_or_b64 exec, exec, s[4:5]
.LBB1231_8:
	s_or_b64 exec, exec, s[2:3]
	v_mov_b32_e32 v1, 0
	global_store_dword v1, v2, s[12:13]
	global_store_byte v1, v3, s[12:13] offset:4
.LBB1231_9:
	s_or_b64 exec, exec, s[0:1]
.LBB1231_10:
	v_cmp_eq_u32_e32 vcc, 0, v0
	s_and_saveexec_b64 s[0:1], vcc
	s_cbranch_execnz .LBB1231_14
; %bb.11:
	s_or_b64 exec, exec, s[0:1]
	v_cmp_gt_u32_e32 vcc, s10, v0
	s_and_saveexec_b64 s[0:1], vcc
	s_cbranch_execnz .LBB1231_15
.LBB1231_12:
	s_or_b64 exec, exec, s[0:1]
	v_cmp_gt_u32_e32 vcc, 64, v0
	s_and_saveexec_b64 s[0:1], vcc
	s_cbranch_execnz .LBB1231_16
.LBB1231_13:
	s_endpgm
.LBB1231_14:
	v_mov_b32_e32 v1, 0
	global_store_dword v1, v1, s[14:15]
	s_or_b64 exec, exec, s[0:1]
	v_cmp_gt_u32_e32 vcc, s10, v0
	s_and_saveexec_b64 s[0:1], vcc
	s_cbranch_execz .LBB1231_12
.LBB1231_15:
	v_add_u32_e32 v2, 64, v0
	v_mov_b32_e32 v3, 0
	v_lshlrev_b64 v[4:5], 4, v[2:3]
	v_mov_b32_e32 v1, s9
	v_add_co_u32_e32 v6, vcc, s8, v4
	v_addc_co_u32_e32 v7, vcc, v1, v5, vcc
	v_mov_b32_e32 v2, v3
	v_mov_b32_e32 v4, v3
	;; [unrolled: 1-line block ×3, first 2 shown]
	global_store_dwordx4 v[6:7], v[2:5], off
	s_or_b64 exec, exec, s[0:1]
	v_cmp_gt_u32_e32 vcc, 64, v0
	s_and_saveexec_b64 s[0:1], vcc
	s_cbranch_execz .LBB1231_13
.LBB1231_16:
	v_mov_b32_e32 v1, 0
	v_lshlrev_b64 v[2:3], 4, v[0:1]
	v_mov_b32_e32 v0, s9
	v_add_co_u32_e32 v4, vcc, s8, v2
	v_addc_co_u32_e32 v5, vcc, v0, v3, vcc
	v_mov_b32_e32 v2, 0xff
	v_mov_b32_e32 v0, v1
	v_mov_b32_e32 v3, v1
	global_store_dwordx4 v[4:5], v[0:3], off
	s_endpgm
	.section	.rodata,"a",@progbits
	.p2align	6, 0x0
	.amdhsa_kernel _ZN7rocprim17ROCPRIM_400000_NS6detail30init_device_scan_by_key_kernelINS1_19lookback_scan_stateINS0_5tupleIJjbEEELb1ELb1EEENS1_16block_id_wrapperIjLb1EEEEEvT_jjPNS9_10value_typeET0_
		.amdhsa_group_segment_fixed_size 0
		.amdhsa_private_segment_fixed_size 0
		.amdhsa_kernarg_size 288
		.amdhsa_user_sgpr_count 6
		.amdhsa_user_sgpr_private_segment_buffer 1
		.amdhsa_user_sgpr_dispatch_ptr 0
		.amdhsa_user_sgpr_queue_ptr 0
		.amdhsa_user_sgpr_kernarg_segment_ptr 1
		.amdhsa_user_sgpr_dispatch_id 0
		.amdhsa_user_sgpr_flat_scratch_init 0
		.amdhsa_user_sgpr_kernarg_preload_length 0
		.amdhsa_user_sgpr_kernarg_preload_offset 0
		.amdhsa_user_sgpr_private_segment_size 0
		.amdhsa_uses_dynamic_stack 0
		.amdhsa_system_sgpr_private_segment_wavefront_offset 0
		.amdhsa_system_sgpr_workgroup_id_x 1
		.amdhsa_system_sgpr_workgroup_id_y 0
		.amdhsa_system_sgpr_workgroup_id_z 0
		.amdhsa_system_sgpr_workgroup_info 0
		.amdhsa_system_vgpr_workitem_id 0
		.amdhsa_next_free_vgpr 10
		.amdhsa_next_free_sgpr 16
		.amdhsa_accum_offset 12
		.amdhsa_reserve_vcc 1
		.amdhsa_reserve_flat_scratch 0
		.amdhsa_float_round_mode_32 0
		.amdhsa_float_round_mode_16_64 0
		.amdhsa_float_denorm_mode_32 3
		.amdhsa_float_denorm_mode_16_64 3
		.amdhsa_dx10_clamp 1
		.amdhsa_ieee_mode 1
		.amdhsa_fp16_overflow 0
		.amdhsa_tg_split 0
		.amdhsa_exception_fp_ieee_invalid_op 0
		.amdhsa_exception_fp_denorm_src 0
		.amdhsa_exception_fp_ieee_div_zero 0
		.amdhsa_exception_fp_ieee_overflow 0
		.amdhsa_exception_fp_ieee_underflow 0
		.amdhsa_exception_fp_ieee_inexact 0
		.amdhsa_exception_int_div_zero 0
	.end_amdhsa_kernel
	.section	.text._ZN7rocprim17ROCPRIM_400000_NS6detail30init_device_scan_by_key_kernelINS1_19lookback_scan_stateINS0_5tupleIJjbEEELb1ELb1EEENS1_16block_id_wrapperIjLb1EEEEEvT_jjPNS9_10value_typeET0_,"axG",@progbits,_ZN7rocprim17ROCPRIM_400000_NS6detail30init_device_scan_by_key_kernelINS1_19lookback_scan_stateINS0_5tupleIJjbEEELb1ELb1EEENS1_16block_id_wrapperIjLb1EEEEEvT_jjPNS9_10value_typeET0_,comdat
.Lfunc_end1231:
	.size	_ZN7rocprim17ROCPRIM_400000_NS6detail30init_device_scan_by_key_kernelINS1_19lookback_scan_stateINS0_5tupleIJjbEEELb1ELb1EEENS1_16block_id_wrapperIjLb1EEEEEvT_jjPNS9_10value_typeET0_, .Lfunc_end1231-_ZN7rocprim17ROCPRIM_400000_NS6detail30init_device_scan_by_key_kernelINS1_19lookback_scan_stateINS0_5tupleIJjbEEELb1ELb1EEENS1_16block_id_wrapperIjLb1EEEEEvT_jjPNS9_10value_typeET0_
                                        ; -- End function
	.section	.AMDGPU.csdata,"",@progbits
; Kernel info:
; codeLenInByte = 448
; NumSgprs: 20
; NumVgprs: 10
; NumAgprs: 0
; TotalNumVgprs: 10
; ScratchSize: 0
; MemoryBound: 0
; FloatMode: 240
; IeeeMode: 1
; LDSByteSize: 0 bytes/workgroup (compile time only)
; SGPRBlocks: 2
; VGPRBlocks: 1
; NumSGPRsForWavesPerEU: 20
; NumVGPRsForWavesPerEU: 10
; AccumOffset: 12
; Occupancy: 8
; WaveLimiterHint : 0
; COMPUTE_PGM_RSRC2:SCRATCH_EN: 0
; COMPUTE_PGM_RSRC2:USER_SGPR: 6
; COMPUTE_PGM_RSRC2:TRAP_HANDLER: 0
; COMPUTE_PGM_RSRC2:TGID_X_EN: 1
; COMPUTE_PGM_RSRC2:TGID_Y_EN: 0
; COMPUTE_PGM_RSRC2:TGID_Z_EN: 0
; COMPUTE_PGM_RSRC2:TIDIG_COMP_CNT: 0
; COMPUTE_PGM_RSRC3_GFX90A:ACCUM_OFFSET: 2
; COMPUTE_PGM_RSRC3_GFX90A:TG_SPLIT: 0
	.section	.text._ZN7rocprim17ROCPRIM_400000_NS6detail17trampoline_kernelINS0_14default_configENS1_27scan_by_key_config_selectorIijEEZZNS1_16scan_by_key_implILNS1_25lookback_scan_determinismE0ELb0ES3_N6thrust23THRUST_200600_302600_NS6detail15normal_iteratorINS9_10device_ptrIiEEEENSB_INSC_IjEEEESG_jNS9_4plusIvEENS9_8equal_toIvEEjEE10hipError_tPvRmT2_T3_T4_T5_mT6_T7_P12ihipStream_tbENKUlT_T0_E_clISt17integral_constantIbLb1EES11_EEDaSW_SX_EUlSW_E_NS1_11comp_targetILNS1_3genE0ELNS1_11target_archE4294967295ELNS1_3gpuE0ELNS1_3repE0EEENS1_30default_config_static_selectorELNS0_4arch9wavefront6targetE1EEEvT1_,"axG",@progbits,_ZN7rocprim17ROCPRIM_400000_NS6detail17trampoline_kernelINS0_14default_configENS1_27scan_by_key_config_selectorIijEEZZNS1_16scan_by_key_implILNS1_25lookback_scan_determinismE0ELb0ES3_N6thrust23THRUST_200600_302600_NS6detail15normal_iteratorINS9_10device_ptrIiEEEENSB_INSC_IjEEEESG_jNS9_4plusIvEENS9_8equal_toIvEEjEE10hipError_tPvRmT2_T3_T4_T5_mT6_T7_P12ihipStream_tbENKUlT_T0_E_clISt17integral_constantIbLb1EES11_EEDaSW_SX_EUlSW_E_NS1_11comp_targetILNS1_3genE0ELNS1_11target_archE4294967295ELNS1_3gpuE0ELNS1_3repE0EEENS1_30default_config_static_selectorELNS0_4arch9wavefront6targetE1EEEvT1_,comdat
	.protected	_ZN7rocprim17ROCPRIM_400000_NS6detail17trampoline_kernelINS0_14default_configENS1_27scan_by_key_config_selectorIijEEZZNS1_16scan_by_key_implILNS1_25lookback_scan_determinismE0ELb0ES3_N6thrust23THRUST_200600_302600_NS6detail15normal_iteratorINS9_10device_ptrIiEEEENSB_INSC_IjEEEESG_jNS9_4plusIvEENS9_8equal_toIvEEjEE10hipError_tPvRmT2_T3_T4_T5_mT6_T7_P12ihipStream_tbENKUlT_T0_E_clISt17integral_constantIbLb1EES11_EEDaSW_SX_EUlSW_E_NS1_11comp_targetILNS1_3genE0ELNS1_11target_archE4294967295ELNS1_3gpuE0ELNS1_3repE0EEENS1_30default_config_static_selectorELNS0_4arch9wavefront6targetE1EEEvT1_ ; -- Begin function _ZN7rocprim17ROCPRIM_400000_NS6detail17trampoline_kernelINS0_14default_configENS1_27scan_by_key_config_selectorIijEEZZNS1_16scan_by_key_implILNS1_25lookback_scan_determinismE0ELb0ES3_N6thrust23THRUST_200600_302600_NS6detail15normal_iteratorINS9_10device_ptrIiEEEENSB_INSC_IjEEEESG_jNS9_4plusIvEENS9_8equal_toIvEEjEE10hipError_tPvRmT2_T3_T4_T5_mT6_T7_P12ihipStream_tbENKUlT_T0_E_clISt17integral_constantIbLb1EES11_EEDaSW_SX_EUlSW_E_NS1_11comp_targetILNS1_3genE0ELNS1_11target_archE4294967295ELNS1_3gpuE0ELNS1_3repE0EEENS1_30default_config_static_selectorELNS0_4arch9wavefront6targetE1EEEvT1_
	.globl	_ZN7rocprim17ROCPRIM_400000_NS6detail17trampoline_kernelINS0_14default_configENS1_27scan_by_key_config_selectorIijEEZZNS1_16scan_by_key_implILNS1_25lookback_scan_determinismE0ELb0ES3_N6thrust23THRUST_200600_302600_NS6detail15normal_iteratorINS9_10device_ptrIiEEEENSB_INSC_IjEEEESG_jNS9_4plusIvEENS9_8equal_toIvEEjEE10hipError_tPvRmT2_T3_T4_T5_mT6_T7_P12ihipStream_tbENKUlT_T0_E_clISt17integral_constantIbLb1EES11_EEDaSW_SX_EUlSW_E_NS1_11comp_targetILNS1_3genE0ELNS1_11target_archE4294967295ELNS1_3gpuE0ELNS1_3repE0EEENS1_30default_config_static_selectorELNS0_4arch9wavefront6targetE1EEEvT1_
	.p2align	8
	.type	_ZN7rocprim17ROCPRIM_400000_NS6detail17trampoline_kernelINS0_14default_configENS1_27scan_by_key_config_selectorIijEEZZNS1_16scan_by_key_implILNS1_25lookback_scan_determinismE0ELb0ES3_N6thrust23THRUST_200600_302600_NS6detail15normal_iteratorINS9_10device_ptrIiEEEENSB_INSC_IjEEEESG_jNS9_4plusIvEENS9_8equal_toIvEEjEE10hipError_tPvRmT2_T3_T4_T5_mT6_T7_P12ihipStream_tbENKUlT_T0_E_clISt17integral_constantIbLb1EES11_EEDaSW_SX_EUlSW_E_NS1_11comp_targetILNS1_3genE0ELNS1_11target_archE4294967295ELNS1_3gpuE0ELNS1_3repE0EEENS1_30default_config_static_selectorELNS0_4arch9wavefront6targetE1EEEvT1_,@function
_ZN7rocprim17ROCPRIM_400000_NS6detail17trampoline_kernelINS0_14default_configENS1_27scan_by_key_config_selectorIijEEZZNS1_16scan_by_key_implILNS1_25lookback_scan_determinismE0ELb0ES3_N6thrust23THRUST_200600_302600_NS6detail15normal_iteratorINS9_10device_ptrIiEEEENSB_INSC_IjEEEESG_jNS9_4plusIvEENS9_8equal_toIvEEjEE10hipError_tPvRmT2_T3_T4_T5_mT6_T7_P12ihipStream_tbENKUlT_T0_E_clISt17integral_constantIbLb1EES11_EEDaSW_SX_EUlSW_E_NS1_11comp_targetILNS1_3genE0ELNS1_11target_archE4294967295ELNS1_3gpuE0ELNS1_3repE0EEENS1_30default_config_static_selectorELNS0_4arch9wavefront6targetE1EEEvT1_: ; @_ZN7rocprim17ROCPRIM_400000_NS6detail17trampoline_kernelINS0_14default_configENS1_27scan_by_key_config_selectorIijEEZZNS1_16scan_by_key_implILNS1_25lookback_scan_determinismE0ELb0ES3_N6thrust23THRUST_200600_302600_NS6detail15normal_iteratorINS9_10device_ptrIiEEEENSB_INSC_IjEEEESG_jNS9_4plusIvEENS9_8equal_toIvEEjEE10hipError_tPvRmT2_T3_T4_T5_mT6_T7_P12ihipStream_tbENKUlT_T0_E_clISt17integral_constantIbLb1EES11_EEDaSW_SX_EUlSW_E_NS1_11comp_targetILNS1_3genE0ELNS1_11target_archE4294967295ELNS1_3gpuE0ELNS1_3repE0EEENS1_30default_config_static_selectorELNS0_4arch9wavefront6targetE1EEEvT1_
; %bb.0:
	.section	.rodata,"a",@progbits
	.p2align	6, 0x0
	.amdhsa_kernel _ZN7rocprim17ROCPRIM_400000_NS6detail17trampoline_kernelINS0_14default_configENS1_27scan_by_key_config_selectorIijEEZZNS1_16scan_by_key_implILNS1_25lookback_scan_determinismE0ELb0ES3_N6thrust23THRUST_200600_302600_NS6detail15normal_iteratorINS9_10device_ptrIiEEEENSB_INSC_IjEEEESG_jNS9_4plusIvEENS9_8equal_toIvEEjEE10hipError_tPvRmT2_T3_T4_T5_mT6_T7_P12ihipStream_tbENKUlT_T0_E_clISt17integral_constantIbLb1EES11_EEDaSW_SX_EUlSW_E_NS1_11comp_targetILNS1_3genE0ELNS1_11target_archE4294967295ELNS1_3gpuE0ELNS1_3repE0EEENS1_30default_config_static_selectorELNS0_4arch9wavefront6targetE1EEEvT1_
		.amdhsa_group_segment_fixed_size 0
		.amdhsa_private_segment_fixed_size 0
		.amdhsa_kernarg_size 112
		.amdhsa_user_sgpr_count 6
		.amdhsa_user_sgpr_private_segment_buffer 1
		.amdhsa_user_sgpr_dispatch_ptr 0
		.amdhsa_user_sgpr_queue_ptr 0
		.amdhsa_user_sgpr_kernarg_segment_ptr 1
		.amdhsa_user_sgpr_dispatch_id 0
		.amdhsa_user_sgpr_flat_scratch_init 0
		.amdhsa_user_sgpr_kernarg_preload_length 0
		.amdhsa_user_sgpr_kernarg_preload_offset 0
		.amdhsa_user_sgpr_private_segment_size 0
		.amdhsa_uses_dynamic_stack 0
		.amdhsa_system_sgpr_private_segment_wavefront_offset 0
		.amdhsa_system_sgpr_workgroup_id_x 1
		.amdhsa_system_sgpr_workgroup_id_y 0
		.amdhsa_system_sgpr_workgroup_id_z 0
		.amdhsa_system_sgpr_workgroup_info 0
		.amdhsa_system_vgpr_workitem_id 0
		.amdhsa_next_free_vgpr 1
		.amdhsa_next_free_sgpr 0
		.amdhsa_accum_offset 4
		.amdhsa_reserve_vcc 0
		.amdhsa_reserve_flat_scratch 0
		.amdhsa_float_round_mode_32 0
		.amdhsa_float_round_mode_16_64 0
		.amdhsa_float_denorm_mode_32 3
		.amdhsa_float_denorm_mode_16_64 3
		.amdhsa_dx10_clamp 1
		.amdhsa_ieee_mode 1
		.amdhsa_fp16_overflow 0
		.amdhsa_tg_split 0
		.amdhsa_exception_fp_ieee_invalid_op 0
		.amdhsa_exception_fp_denorm_src 0
		.amdhsa_exception_fp_ieee_div_zero 0
		.amdhsa_exception_fp_ieee_overflow 0
		.amdhsa_exception_fp_ieee_underflow 0
		.amdhsa_exception_fp_ieee_inexact 0
		.amdhsa_exception_int_div_zero 0
	.end_amdhsa_kernel
	.section	.text._ZN7rocprim17ROCPRIM_400000_NS6detail17trampoline_kernelINS0_14default_configENS1_27scan_by_key_config_selectorIijEEZZNS1_16scan_by_key_implILNS1_25lookback_scan_determinismE0ELb0ES3_N6thrust23THRUST_200600_302600_NS6detail15normal_iteratorINS9_10device_ptrIiEEEENSB_INSC_IjEEEESG_jNS9_4plusIvEENS9_8equal_toIvEEjEE10hipError_tPvRmT2_T3_T4_T5_mT6_T7_P12ihipStream_tbENKUlT_T0_E_clISt17integral_constantIbLb1EES11_EEDaSW_SX_EUlSW_E_NS1_11comp_targetILNS1_3genE0ELNS1_11target_archE4294967295ELNS1_3gpuE0ELNS1_3repE0EEENS1_30default_config_static_selectorELNS0_4arch9wavefront6targetE1EEEvT1_,"axG",@progbits,_ZN7rocprim17ROCPRIM_400000_NS6detail17trampoline_kernelINS0_14default_configENS1_27scan_by_key_config_selectorIijEEZZNS1_16scan_by_key_implILNS1_25lookback_scan_determinismE0ELb0ES3_N6thrust23THRUST_200600_302600_NS6detail15normal_iteratorINS9_10device_ptrIiEEEENSB_INSC_IjEEEESG_jNS9_4plusIvEENS9_8equal_toIvEEjEE10hipError_tPvRmT2_T3_T4_T5_mT6_T7_P12ihipStream_tbENKUlT_T0_E_clISt17integral_constantIbLb1EES11_EEDaSW_SX_EUlSW_E_NS1_11comp_targetILNS1_3genE0ELNS1_11target_archE4294967295ELNS1_3gpuE0ELNS1_3repE0EEENS1_30default_config_static_selectorELNS0_4arch9wavefront6targetE1EEEvT1_,comdat
.Lfunc_end1232:
	.size	_ZN7rocprim17ROCPRIM_400000_NS6detail17trampoline_kernelINS0_14default_configENS1_27scan_by_key_config_selectorIijEEZZNS1_16scan_by_key_implILNS1_25lookback_scan_determinismE0ELb0ES3_N6thrust23THRUST_200600_302600_NS6detail15normal_iteratorINS9_10device_ptrIiEEEENSB_INSC_IjEEEESG_jNS9_4plusIvEENS9_8equal_toIvEEjEE10hipError_tPvRmT2_T3_T4_T5_mT6_T7_P12ihipStream_tbENKUlT_T0_E_clISt17integral_constantIbLb1EES11_EEDaSW_SX_EUlSW_E_NS1_11comp_targetILNS1_3genE0ELNS1_11target_archE4294967295ELNS1_3gpuE0ELNS1_3repE0EEENS1_30default_config_static_selectorELNS0_4arch9wavefront6targetE1EEEvT1_, .Lfunc_end1232-_ZN7rocprim17ROCPRIM_400000_NS6detail17trampoline_kernelINS0_14default_configENS1_27scan_by_key_config_selectorIijEEZZNS1_16scan_by_key_implILNS1_25lookback_scan_determinismE0ELb0ES3_N6thrust23THRUST_200600_302600_NS6detail15normal_iteratorINS9_10device_ptrIiEEEENSB_INSC_IjEEEESG_jNS9_4plusIvEENS9_8equal_toIvEEjEE10hipError_tPvRmT2_T3_T4_T5_mT6_T7_P12ihipStream_tbENKUlT_T0_E_clISt17integral_constantIbLb1EES11_EEDaSW_SX_EUlSW_E_NS1_11comp_targetILNS1_3genE0ELNS1_11target_archE4294967295ELNS1_3gpuE0ELNS1_3repE0EEENS1_30default_config_static_selectorELNS0_4arch9wavefront6targetE1EEEvT1_
                                        ; -- End function
	.section	.AMDGPU.csdata,"",@progbits
; Kernel info:
; codeLenInByte = 0
; NumSgprs: 4
; NumVgprs: 0
; NumAgprs: 0
; TotalNumVgprs: 0
; ScratchSize: 0
; MemoryBound: 0
; FloatMode: 240
; IeeeMode: 1
; LDSByteSize: 0 bytes/workgroup (compile time only)
; SGPRBlocks: 0
; VGPRBlocks: 0
; NumSGPRsForWavesPerEU: 4
; NumVGPRsForWavesPerEU: 1
; AccumOffset: 4
; Occupancy: 8
; WaveLimiterHint : 0
; COMPUTE_PGM_RSRC2:SCRATCH_EN: 0
; COMPUTE_PGM_RSRC2:USER_SGPR: 6
; COMPUTE_PGM_RSRC2:TRAP_HANDLER: 0
; COMPUTE_PGM_RSRC2:TGID_X_EN: 1
; COMPUTE_PGM_RSRC2:TGID_Y_EN: 0
; COMPUTE_PGM_RSRC2:TGID_Z_EN: 0
; COMPUTE_PGM_RSRC2:TIDIG_COMP_CNT: 0
; COMPUTE_PGM_RSRC3_GFX90A:ACCUM_OFFSET: 0
; COMPUTE_PGM_RSRC3_GFX90A:TG_SPLIT: 0
	.section	.text._ZN7rocprim17ROCPRIM_400000_NS6detail17trampoline_kernelINS0_14default_configENS1_27scan_by_key_config_selectorIijEEZZNS1_16scan_by_key_implILNS1_25lookback_scan_determinismE0ELb0ES3_N6thrust23THRUST_200600_302600_NS6detail15normal_iteratorINS9_10device_ptrIiEEEENSB_INSC_IjEEEESG_jNS9_4plusIvEENS9_8equal_toIvEEjEE10hipError_tPvRmT2_T3_T4_T5_mT6_T7_P12ihipStream_tbENKUlT_T0_E_clISt17integral_constantIbLb1EES11_EEDaSW_SX_EUlSW_E_NS1_11comp_targetILNS1_3genE10ELNS1_11target_archE1201ELNS1_3gpuE5ELNS1_3repE0EEENS1_30default_config_static_selectorELNS0_4arch9wavefront6targetE1EEEvT1_,"axG",@progbits,_ZN7rocprim17ROCPRIM_400000_NS6detail17trampoline_kernelINS0_14default_configENS1_27scan_by_key_config_selectorIijEEZZNS1_16scan_by_key_implILNS1_25lookback_scan_determinismE0ELb0ES3_N6thrust23THRUST_200600_302600_NS6detail15normal_iteratorINS9_10device_ptrIiEEEENSB_INSC_IjEEEESG_jNS9_4plusIvEENS9_8equal_toIvEEjEE10hipError_tPvRmT2_T3_T4_T5_mT6_T7_P12ihipStream_tbENKUlT_T0_E_clISt17integral_constantIbLb1EES11_EEDaSW_SX_EUlSW_E_NS1_11comp_targetILNS1_3genE10ELNS1_11target_archE1201ELNS1_3gpuE5ELNS1_3repE0EEENS1_30default_config_static_selectorELNS0_4arch9wavefront6targetE1EEEvT1_,comdat
	.protected	_ZN7rocprim17ROCPRIM_400000_NS6detail17trampoline_kernelINS0_14default_configENS1_27scan_by_key_config_selectorIijEEZZNS1_16scan_by_key_implILNS1_25lookback_scan_determinismE0ELb0ES3_N6thrust23THRUST_200600_302600_NS6detail15normal_iteratorINS9_10device_ptrIiEEEENSB_INSC_IjEEEESG_jNS9_4plusIvEENS9_8equal_toIvEEjEE10hipError_tPvRmT2_T3_T4_T5_mT6_T7_P12ihipStream_tbENKUlT_T0_E_clISt17integral_constantIbLb1EES11_EEDaSW_SX_EUlSW_E_NS1_11comp_targetILNS1_3genE10ELNS1_11target_archE1201ELNS1_3gpuE5ELNS1_3repE0EEENS1_30default_config_static_selectorELNS0_4arch9wavefront6targetE1EEEvT1_ ; -- Begin function _ZN7rocprim17ROCPRIM_400000_NS6detail17trampoline_kernelINS0_14default_configENS1_27scan_by_key_config_selectorIijEEZZNS1_16scan_by_key_implILNS1_25lookback_scan_determinismE0ELb0ES3_N6thrust23THRUST_200600_302600_NS6detail15normal_iteratorINS9_10device_ptrIiEEEENSB_INSC_IjEEEESG_jNS9_4plusIvEENS9_8equal_toIvEEjEE10hipError_tPvRmT2_T3_T4_T5_mT6_T7_P12ihipStream_tbENKUlT_T0_E_clISt17integral_constantIbLb1EES11_EEDaSW_SX_EUlSW_E_NS1_11comp_targetILNS1_3genE10ELNS1_11target_archE1201ELNS1_3gpuE5ELNS1_3repE0EEENS1_30default_config_static_selectorELNS0_4arch9wavefront6targetE1EEEvT1_
	.globl	_ZN7rocprim17ROCPRIM_400000_NS6detail17trampoline_kernelINS0_14default_configENS1_27scan_by_key_config_selectorIijEEZZNS1_16scan_by_key_implILNS1_25lookback_scan_determinismE0ELb0ES3_N6thrust23THRUST_200600_302600_NS6detail15normal_iteratorINS9_10device_ptrIiEEEENSB_INSC_IjEEEESG_jNS9_4plusIvEENS9_8equal_toIvEEjEE10hipError_tPvRmT2_T3_T4_T5_mT6_T7_P12ihipStream_tbENKUlT_T0_E_clISt17integral_constantIbLb1EES11_EEDaSW_SX_EUlSW_E_NS1_11comp_targetILNS1_3genE10ELNS1_11target_archE1201ELNS1_3gpuE5ELNS1_3repE0EEENS1_30default_config_static_selectorELNS0_4arch9wavefront6targetE1EEEvT1_
	.p2align	8
	.type	_ZN7rocprim17ROCPRIM_400000_NS6detail17trampoline_kernelINS0_14default_configENS1_27scan_by_key_config_selectorIijEEZZNS1_16scan_by_key_implILNS1_25lookback_scan_determinismE0ELb0ES3_N6thrust23THRUST_200600_302600_NS6detail15normal_iteratorINS9_10device_ptrIiEEEENSB_INSC_IjEEEESG_jNS9_4plusIvEENS9_8equal_toIvEEjEE10hipError_tPvRmT2_T3_T4_T5_mT6_T7_P12ihipStream_tbENKUlT_T0_E_clISt17integral_constantIbLb1EES11_EEDaSW_SX_EUlSW_E_NS1_11comp_targetILNS1_3genE10ELNS1_11target_archE1201ELNS1_3gpuE5ELNS1_3repE0EEENS1_30default_config_static_selectorELNS0_4arch9wavefront6targetE1EEEvT1_,@function
_ZN7rocprim17ROCPRIM_400000_NS6detail17trampoline_kernelINS0_14default_configENS1_27scan_by_key_config_selectorIijEEZZNS1_16scan_by_key_implILNS1_25lookback_scan_determinismE0ELb0ES3_N6thrust23THRUST_200600_302600_NS6detail15normal_iteratorINS9_10device_ptrIiEEEENSB_INSC_IjEEEESG_jNS9_4plusIvEENS9_8equal_toIvEEjEE10hipError_tPvRmT2_T3_T4_T5_mT6_T7_P12ihipStream_tbENKUlT_T0_E_clISt17integral_constantIbLb1EES11_EEDaSW_SX_EUlSW_E_NS1_11comp_targetILNS1_3genE10ELNS1_11target_archE1201ELNS1_3gpuE5ELNS1_3repE0EEENS1_30default_config_static_selectorELNS0_4arch9wavefront6targetE1EEEvT1_: ; @_ZN7rocprim17ROCPRIM_400000_NS6detail17trampoline_kernelINS0_14default_configENS1_27scan_by_key_config_selectorIijEEZZNS1_16scan_by_key_implILNS1_25lookback_scan_determinismE0ELb0ES3_N6thrust23THRUST_200600_302600_NS6detail15normal_iteratorINS9_10device_ptrIiEEEENSB_INSC_IjEEEESG_jNS9_4plusIvEENS9_8equal_toIvEEjEE10hipError_tPvRmT2_T3_T4_T5_mT6_T7_P12ihipStream_tbENKUlT_T0_E_clISt17integral_constantIbLb1EES11_EEDaSW_SX_EUlSW_E_NS1_11comp_targetILNS1_3genE10ELNS1_11target_archE1201ELNS1_3gpuE5ELNS1_3repE0EEENS1_30default_config_static_selectorELNS0_4arch9wavefront6targetE1EEEvT1_
; %bb.0:
	.section	.rodata,"a",@progbits
	.p2align	6, 0x0
	.amdhsa_kernel _ZN7rocprim17ROCPRIM_400000_NS6detail17trampoline_kernelINS0_14default_configENS1_27scan_by_key_config_selectorIijEEZZNS1_16scan_by_key_implILNS1_25lookback_scan_determinismE0ELb0ES3_N6thrust23THRUST_200600_302600_NS6detail15normal_iteratorINS9_10device_ptrIiEEEENSB_INSC_IjEEEESG_jNS9_4plusIvEENS9_8equal_toIvEEjEE10hipError_tPvRmT2_T3_T4_T5_mT6_T7_P12ihipStream_tbENKUlT_T0_E_clISt17integral_constantIbLb1EES11_EEDaSW_SX_EUlSW_E_NS1_11comp_targetILNS1_3genE10ELNS1_11target_archE1201ELNS1_3gpuE5ELNS1_3repE0EEENS1_30default_config_static_selectorELNS0_4arch9wavefront6targetE1EEEvT1_
		.amdhsa_group_segment_fixed_size 0
		.amdhsa_private_segment_fixed_size 0
		.amdhsa_kernarg_size 112
		.amdhsa_user_sgpr_count 6
		.amdhsa_user_sgpr_private_segment_buffer 1
		.amdhsa_user_sgpr_dispatch_ptr 0
		.amdhsa_user_sgpr_queue_ptr 0
		.amdhsa_user_sgpr_kernarg_segment_ptr 1
		.amdhsa_user_sgpr_dispatch_id 0
		.amdhsa_user_sgpr_flat_scratch_init 0
		.amdhsa_user_sgpr_kernarg_preload_length 0
		.amdhsa_user_sgpr_kernarg_preload_offset 0
		.amdhsa_user_sgpr_private_segment_size 0
		.amdhsa_uses_dynamic_stack 0
		.amdhsa_system_sgpr_private_segment_wavefront_offset 0
		.amdhsa_system_sgpr_workgroup_id_x 1
		.amdhsa_system_sgpr_workgroup_id_y 0
		.amdhsa_system_sgpr_workgroup_id_z 0
		.amdhsa_system_sgpr_workgroup_info 0
		.amdhsa_system_vgpr_workitem_id 0
		.amdhsa_next_free_vgpr 1
		.amdhsa_next_free_sgpr 0
		.amdhsa_accum_offset 4
		.amdhsa_reserve_vcc 0
		.amdhsa_reserve_flat_scratch 0
		.amdhsa_float_round_mode_32 0
		.amdhsa_float_round_mode_16_64 0
		.amdhsa_float_denorm_mode_32 3
		.amdhsa_float_denorm_mode_16_64 3
		.amdhsa_dx10_clamp 1
		.amdhsa_ieee_mode 1
		.amdhsa_fp16_overflow 0
		.amdhsa_tg_split 0
		.amdhsa_exception_fp_ieee_invalid_op 0
		.amdhsa_exception_fp_denorm_src 0
		.amdhsa_exception_fp_ieee_div_zero 0
		.amdhsa_exception_fp_ieee_overflow 0
		.amdhsa_exception_fp_ieee_underflow 0
		.amdhsa_exception_fp_ieee_inexact 0
		.amdhsa_exception_int_div_zero 0
	.end_amdhsa_kernel
	.section	.text._ZN7rocprim17ROCPRIM_400000_NS6detail17trampoline_kernelINS0_14default_configENS1_27scan_by_key_config_selectorIijEEZZNS1_16scan_by_key_implILNS1_25lookback_scan_determinismE0ELb0ES3_N6thrust23THRUST_200600_302600_NS6detail15normal_iteratorINS9_10device_ptrIiEEEENSB_INSC_IjEEEESG_jNS9_4plusIvEENS9_8equal_toIvEEjEE10hipError_tPvRmT2_T3_T4_T5_mT6_T7_P12ihipStream_tbENKUlT_T0_E_clISt17integral_constantIbLb1EES11_EEDaSW_SX_EUlSW_E_NS1_11comp_targetILNS1_3genE10ELNS1_11target_archE1201ELNS1_3gpuE5ELNS1_3repE0EEENS1_30default_config_static_selectorELNS0_4arch9wavefront6targetE1EEEvT1_,"axG",@progbits,_ZN7rocprim17ROCPRIM_400000_NS6detail17trampoline_kernelINS0_14default_configENS1_27scan_by_key_config_selectorIijEEZZNS1_16scan_by_key_implILNS1_25lookback_scan_determinismE0ELb0ES3_N6thrust23THRUST_200600_302600_NS6detail15normal_iteratorINS9_10device_ptrIiEEEENSB_INSC_IjEEEESG_jNS9_4plusIvEENS9_8equal_toIvEEjEE10hipError_tPvRmT2_T3_T4_T5_mT6_T7_P12ihipStream_tbENKUlT_T0_E_clISt17integral_constantIbLb1EES11_EEDaSW_SX_EUlSW_E_NS1_11comp_targetILNS1_3genE10ELNS1_11target_archE1201ELNS1_3gpuE5ELNS1_3repE0EEENS1_30default_config_static_selectorELNS0_4arch9wavefront6targetE1EEEvT1_,comdat
.Lfunc_end1233:
	.size	_ZN7rocprim17ROCPRIM_400000_NS6detail17trampoline_kernelINS0_14default_configENS1_27scan_by_key_config_selectorIijEEZZNS1_16scan_by_key_implILNS1_25lookback_scan_determinismE0ELb0ES3_N6thrust23THRUST_200600_302600_NS6detail15normal_iteratorINS9_10device_ptrIiEEEENSB_INSC_IjEEEESG_jNS9_4plusIvEENS9_8equal_toIvEEjEE10hipError_tPvRmT2_T3_T4_T5_mT6_T7_P12ihipStream_tbENKUlT_T0_E_clISt17integral_constantIbLb1EES11_EEDaSW_SX_EUlSW_E_NS1_11comp_targetILNS1_3genE10ELNS1_11target_archE1201ELNS1_3gpuE5ELNS1_3repE0EEENS1_30default_config_static_selectorELNS0_4arch9wavefront6targetE1EEEvT1_, .Lfunc_end1233-_ZN7rocprim17ROCPRIM_400000_NS6detail17trampoline_kernelINS0_14default_configENS1_27scan_by_key_config_selectorIijEEZZNS1_16scan_by_key_implILNS1_25lookback_scan_determinismE0ELb0ES3_N6thrust23THRUST_200600_302600_NS6detail15normal_iteratorINS9_10device_ptrIiEEEENSB_INSC_IjEEEESG_jNS9_4plusIvEENS9_8equal_toIvEEjEE10hipError_tPvRmT2_T3_T4_T5_mT6_T7_P12ihipStream_tbENKUlT_T0_E_clISt17integral_constantIbLb1EES11_EEDaSW_SX_EUlSW_E_NS1_11comp_targetILNS1_3genE10ELNS1_11target_archE1201ELNS1_3gpuE5ELNS1_3repE0EEENS1_30default_config_static_selectorELNS0_4arch9wavefront6targetE1EEEvT1_
                                        ; -- End function
	.section	.AMDGPU.csdata,"",@progbits
; Kernel info:
; codeLenInByte = 0
; NumSgprs: 4
; NumVgprs: 0
; NumAgprs: 0
; TotalNumVgprs: 0
; ScratchSize: 0
; MemoryBound: 0
; FloatMode: 240
; IeeeMode: 1
; LDSByteSize: 0 bytes/workgroup (compile time only)
; SGPRBlocks: 0
; VGPRBlocks: 0
; NumSGPRsForWavesPerEU: 4
; NumVGPRsForWavesPerEU: 1
; AccumOffset: 4
; Occupancy: 8
; WaveLimiterHint : 0
; COMPUTE_PGM_RSRC2:SCRATCH_EN: 0
; COMPUTE_PGM_RSRC2:USER_SGPR: 6
; COMPUTE_PGM_RSRC2:TRAP_HANDLER: 0
; COMPUTE_PGM_RSRC2:TGID_X_EN: 1
; COMPUTE_PGM_RSRC2:TGID_Y_EN: 0
; COMPUTE_PGM_RSRC2:TGID_Z_EN: 0
; COMPUTE_PGM_RSRC2:TIDIG_COMP_CNT: 0
; COMPUTE_PGM_RSRC3_GFX90A:ACCUM_OFFSET: 0
; COMPUTE_PGM_RSRC3_GFX90A:TG_SPLIT: 0
	.section	.text._ZN7rocprim17ROCPRIM_400000_NS6detail17trampoline_kernelINS0_14default_configENS1_27scan_by_key_config_selectorIijEEZZNS1_16scan_by_key_implILNS1_25lookback_scan_determinismE0ELb0ES3_N6thrust23THRUST_200600_302600_NS6detail15normal_iteratorINS9_10device_ptrIiEEEENSB_INSC_IjEEEESG_jNS9_4plusIvEENS9_8equal_toIvEEjEE10hipError_tPvRmT2_T3_T4_T5_mT6_T7_P12ihipStream_tbENKUlT_T0_E_clISt17integral_constantIbLb1EES11_EEDaSW_SX_EUlSW_E_NS1_11comp_targetILNS1_3genE5ELNS1_11target_archE942ELNS1_3gpuE9ELNS1_3repE0EEENS1_30default_config_static_selectorELNS0_4arch9wavefront6targetE1EEEvT1_,"axG",@progbits,_ZN7rocprim17ROCPRIM_400000_NS6detail17trampoline_kernelINS0_14default_configENS1_27scan_by_key_config_selectorIijEEZZNS1_16scan_by_key_implILNS1_25lookback_scan_determinismE0ELb0ES3_N6thrust23THRUST_200600_302600_NS6detail15normal_iteratorINS9_10device_ptrIiEEEENSB_INSC_IjEEEESG_jNS9_4plusIvEENS9_8equal_toIvEEjEE10hipError_tPvRmT2_T3_T4_T5_mT6_T7_P12ihipStream_tbENKUlT_T0_E_clISt17integral_constantIbLb1EES11_EEDaSW_SX_EUlSW_E_NS1_11comp_targetILNS1_3genE5ELNS1_11target_archE942ELNS1_3gpuE9ELNS1_3repE0EEENS1_30default_config_static_selectorELNS0_4arch9wavefront6targetE1EEEvT1_,comdat
	.protected	_ZN7rocprim17ROCPRIM_400000_NS6detail17trampoline_kernelINS0_14default_configENS1_27scan_by_key_config_selectorIijEEZZNS1_16scan_by_key_implILNS1_25lookback_scan_determinismE0ELb0ES3_N6thrust23THRUST_200600_302600_NS6detail15normal_iteratorINS9_10device_ptrIiEEEENSB_INSC_IjEEEESG_jNS9_4plusIvEENS9_8equal_toIvEEjEE10hipError_tPvRmT2_T3_T4_T5_mT6_T7_P12ihipStream_tbENKUlT_T0_E_clISt17integral_constantIbLb1EES11_EEDaSW_SX_EUlSW_E_NS1_11comp_targetILNS1_3genE5ELNS1_11target_archE942ELNS1_3gpuE9ELNS1_3repE0EEENS1_30default_config_static_selectorELNS0_4arch9wavefront6targetE1EEEvT1_ ; -- Begin function _ZN7rocprim17ROCPRIM_400000_NS6detail17trampoline_kernelINS0_14default_configENS1_27scan_by_key_config_selectorIijEEZZNS1_16scan_by_key_implILNS1_25lookback_scan_determinismE0ELb0ES3_N6thrust23THRUST_200600_302600_NS6detail15normal_iteratorINS9_10device_ptrIiEEEENSB_INSC_IjEEEESG_jNS9_4plusIvEENS9_8equal_toIvEEjEE10hipError_tPvRmT2_T3_T4_T5_mT6_T7_P12ihipStream_tbENKUlT_T0_E_clISt17integral_constantIbLb1EES11_EEDaSW_SX_EUlSW_E_NS1_11comp_targetILNS1_3genE5ELNS1_11target_archE942ELNS1_3gpuE9ELNS1_3repE0EEENS1_30default_config_static_selectorELNS0_4arch9wavefront6targetE1EEEvT1_
	.globl	_ZN7rocprim17ROCPRIM_400000_NS6detail17trampoline_kernelINS0_14default_configENS1_27scan_by_key_config_selectorIijEEZZNS1_16scan_by_key_implILNS1_25lookback_scan_determinismE0ELb0ES3_N6thrust23THRUST_200600_302600_NS6detail15normal_iteratorINS9_10device_ptrIiEEEENSB_INSC_IjEEEESG_jNS9_4plusIvEENS9_8equal_toIvEEjEE10hipError_tPvRmT2_T3_T4_T5_mT6_T7_P12ihipStream_tbENKUlT_T0_E_clISt17integral_constantIbLb1EES11_EEDaSW_SX_EUlSW_E_NS1_11comp_targetILNS1_3genE5ELNS1_11target_archE942ELNS1_3gpuE9ELNS1_3repE0EEENS1_30default_config_static_selectorELNS0_4arch9wavefront6targetE1EEEvT1_
	.p2align	8
	.type	_ZN7rocprim17ROCPRIM_400000_NS6detail17trampoline_kernelINS0_14default_configENS1_27scan_by_key_config_selectorIijEEZZNS1_16scan_by_key_implILNS1_25lookback_scan_determinismE0ELb0ES3_N6thrust23THRUST_200600_302600_NS6detail15normal_iteratorINS9_10device_ptrIiEEEENSB_INSC_IjEEEESG_jNS9_4plusIvEENS9_8equal_toIvEEjEE10hipError_tPvRmT2_T3_T4_T5_mT6_T7_P12ihipStream_tbENKUlT_T0_E_clISt17integral_constantIbLb1EES11_EEDaSW_SX_EUlSW_E_NS1_11comp_targetILNS1_3genE5ELNS1_11target_archE942ELNS1_3gpuE9ELNS1_3repE0EEENS1_30default_config_static_selectorELNS0_4arch9wavefront6targetE1EEEvT1_,@function
_ZN7rocprim17ROCPRIM_400000_NS6detail17trampoline_kernelINS0_14default_configENS1_27scan_by_key_config_selectorIijEEZZNS1_16scan_by_key_implILNS1_25lookback_scan_determinismE0ELb0ES3_N6thrust23THRUST_200600_302600_NS6detail15normal_iteratorINS9_10device_ptrIiEEEENSB_INSC_IjEEEESG_jNS9_4plusIvEENS9_8equal_toIvEEjEE10hipError_tPvRmT2_T3_T4_T5_mT6_T7_P12ihipStream_tbENKUlT_T0_E_clISt17integral_constantIbLb1EES11_EEDaSW_SX_EUlSW_E_NS1_11comp_targetILNS1_3genE5ELNS1_11target_archE942ELNS1_3gpuE9ELNS1_3repE0EEENS1_30default_config_static_selectorELNS0_4arch9wavefront6targetE1EEEvT1_: ; @_ZN7rocprim17ROCPRIM_400000_NS6detail17trampoline_kernelINS0_14default_configENS1_27scan_by_key_config_selectorIijEEZZNS1_16scan_by_key_implILNS1_25lookback_scan_determinismE0ELb0ES3_N6thrust23THRUST_200600_302600_NS6detail15normal_iteratorINS9_10device_ptrIiEEEENSB_INSC_IjEEEESG_jNS9_4plusIvEENS9_8equal_toIvEEjEE10hipError_tPvRmT2_T3_T4_T5_mT6_T7_P12ihipStream_tbENKUlT_T0_E_clISt17integral_constantIbLb1EES11_EEDaSW_SX_EUlSW_E_NS1_11comp_targetILNS1_3genE5ELNS1_11target_archE942ELNS1_3gpuE9ELNS1_3repE0EEENS1_30default_config_static_selectorELNS0_4arch9wavefront6targetE1EEEvT1_
; %bb.0:
	.section	.rodata,"a",@progbits
	.p2align	6, 0x0
	.amdhsa_kernel _ZN7rocprim17ROCPRIM_400000_NS6detail17trampoline_kernelINS0_14default_configENS1_27scan_by_key_config_selectorIijEEZZNS1_16scan_by_key_implILNS1_25lookback_scan_determinismE0ELb0ES3_N6thrust23THRUST_200600_302600_NS6detail15normal_iteratorINS9_10device_ptrIiEEEENSB_INSC_IjEEEESG_jNS9_4plusIvEENS9_8equal_toIvEEjEE10hipError_tPvRmT2_T3_T4_T5_mT6_T7_P12ihipStream_tbENKUlT_T0_E_clISt17integral_constantIbLb1EES11_EEDaSW_SX_EUlSW_E_NS1_11comp_targetILNS1_3genE5ELNS1_11target_archE942ELNS1_3gpuE9ELNS1_3repE0EEENS1_30default_config_static_selectorELNS0_4arch9wavefront6targetE1EEEvT1_
		.amdhsa_group_segment_fixed_size 0
		.amdhsa_private_segment_fixed_size 0
		.amdhsa_kernarg_size 112
		.amdhsa_user_sgpr_count 6
		.amdhsa_user_sgpr_private_segment_buffer 1
		.amdhsa_user_sgpr_dispatch_ptr 0
		.amdhsa_user_sgpr_queue_ptr 0
		.amdhsa_user_sgpr_kernarg_segment_ptr 1
		.amdhsa_user_sgpr_dispatch_id 0
		.amdhsa_user_sgpr_flat_scratch_init 0
		.amdhsa_user_sgpr_kernarg_preload_length 0
		.amdhsa_user_sgpr_kernarg_preload_offset 0
		.amdhsa_user_sgpr_private_segment_size 0
		.amdhsa_uses_dynamic_stack 0
		.amdhsa_system_sgpr_private_segment_wavefront_offset 0
		.amdhsa_system_sgpr_workgroup_id_x 1
		.amdhsa_system_sgpr_workgroup_id_y 0
		.amdhsa_system_sgpr_workgroup_id_z 0
		.amdhsa_system_sgpr_workgroup_info 0
		.amdhsa_system_vgpr_workitem_id 0
		.amdhsa_next_free_vgpr 1
		.amdhsa_next_free_sgpr 0
		.amdhsa_accum_offset 4
		.amdhsa_reserve_vcc 0
		.amdhsa_reserve_flat_scratch 0
		.amdhsa_float_round_mode_32 0
		.amdhsa_float_round_mode_16_64 0
		.amdhsa_float_denorm_mode_32 3
		.amdhsa_float_denorm_mode_16_64 3
		.amdhsa_dx10_clamp 1
		.amdhsa_ieee_mode 1
		.amdhsa_fp16_overflow 0
		.amdhsa_tg_split 0
		.amdhsa_exception_fp_ieee_invalid_op 0
		.amdhsa_exception_fp_denorm_src 0
		.amdhsa_exception_fp_ieee_div_zero 0
		.amdhsa_exception_fp_ieee_overflow 0
		.amdhsa_exception_fp_ieee_underflow 0
		.amdhsa_exception_fp_ieee_inexact 0
		.amdhsa_exception_int_div_zero 0
	.end_amdhsa_kernel
	.section	.text._ZN7rocprim17ROCPRIM_400000_NS6detail17trampoline_kernelINS0_14default_configENS1_27scan_by_key_config_selectorIijEEZZNS1_16scan_by_key_implILNS1_25lookback_scan_determinismE0ELb0ES3_N6thrust23THRUST_200600_302600_NS6detail15normal_iteratorINS9_10device_ptrIiEEEENSB_INSC_IjEEEESG_jNS9_4plusIvEENS9_8equal_toIvEEjEE10hipError_tPvRmT2_T3_T4_T5_mT6_T7_P12ihipStream_tbENKUlT_T0_E_clISt17integral_constantIbLb1EES11_EEDaSW_SX_EUlSW_E_NS1_11comp_targetILNS1_3genE5ELNS1_11target_archE942ELNS1_3gpuE9ELNS1_3repE0EEENS1_30default_config_static_selectorELNS0_4arch9wavefront6targetE1EEEvT1_,"axG",@progbits,_ZN7rocprim17ROCPRIM_400000_NS6detail17trampoline_kernelINS0_14default_configENS1_27scan_by_key_config_selectorIijEEZZNS1_16scan_by_key_implILNS1_25lookback_scan_determinismE0ELb0ES3_N6thrust23THRUST_200600_302600_NS6detail15normal_iteratorINS9_10device_ptrIiEEEENSB_INSC_IjEEEESG_jNS9_4plusIvEENS9_8equal_toIvEEjEE10hipError_tPvRmT2_T3_T4_T5_mT6_T7_P12ihipStream_tbENKUlT_T0_E_clISt17integral_constantIbLb1EES11_EEDaSW_SX_EUlSW_E_NS1_11comp_targetILNS1_3genE5ELNS1_11target_archE942ELNS1_3gpuE9ELNS1_3repE0EEENS1_30default_config_static_selectorELNS0_4arch9wavefront6targetE1EEEvT1_,comdat
.Lfunc_end1234:
	.size	_ZN7rocprim17ROCPRIM_400000_NS6detail17trampoline_kernelINS0_14default_configENS1_27scan_by_key_config_selectorIijEEZZNS1_16scan_by_key_implILNS1_25lookback_scan_determinismE0ELb0ES3_N6thrust23THRUST_200600_302600_NS6detail15normal_iteratorINS9_10device_ptrIiEEEENSB_INSC_IjEEEESG_jNS9_4plusIvEENS9_8equal_toIvEEjEE10hipError_tPvRmT2_T3_T4_T5_mT6_T7_P12ihipStream_tbENKUlT_T0_E_clISt17integral_constantIbLb1EES11_EEDaSW_SX_EUlSW_E_NS1_11comp_targetILNS1_3genE5ELNS1_11target_archE942ELNS1_3gpuE9ELNS1_3repE0EEENS1_30default_config_static_selectorELNS0_4arch9wavefront6targetE1EEEvT1_, .Lfunc_end1234-_ZN7rocprim17ROCPRIM_400000_NS6detail17trampoline_kernelINS0_14default_configENS1_27scan_by_key_config_selectorIijEEZZNS1_16scan_by_key_implILNS1_25lookback_scan_determinismE0ELb0ES3_N6thrust23THRUST_200600_302600_NS6detail15normal_iteratorINS9_10device_ptrIiEEEENSB_INSC_IjEEEESG_jNS9_4plusIvEENS9_8equal_toIvEEjEE10hipError_tPvRmT2_T3_T4_T5_mT6_T7_P12ihipStream_tbENKUlT_T0_E_clISt17integral_constantIbLb1EES11_EEDaSW_SX_EUlSW_E_NS1_11comp_targetILNS1_3genE5ELNS1_11target_archE942ELNS1_3gpuE9ELNS1_3repE0EEENS1_30default_config_static_selectorELNS0_4arch9wavefront6targetE1EEEvT1_
                                        ; -- End function
	.section	.AMDGPU.csdata,"",@progbits
; Kernel info:
; codeLenInByte = 0
; NumSgprs: 4
; NumVgprs: 0
; NumAgprs: 0
; TotalNumVgprs: 0
; ScratchSize: 0
; MemoryBound: 0
; FloatMode: 240
; IeeeMode: 1
; LDSByteSize: 0 bytes/workgroup (compile time only)
; SGPRBlocks: 0
; VGPRBlocks: 0
; NumSGPRsForWavesPerEU: 4
; NumVGPRsForWavesPerEU: 1
; AccumOffset: 4
; Occupancy: 8
; WaveLimiterHint : 0
; COMPUTE_PGM_RSRC2:SCRATCH_EN: 0
; COMPUTE_PGM_RSRC2:USER_SGPR: 6
; COMPUTE_PGM_RSRC2:TRAP_HANDLER: 0
; COMPUTE_PGM_RSRC2:TGID_X_EN: 1
; COMPUTE_PGM_RSRC2:TGID_Y_EN: 0
; COMPUTE_PGM_RSRC2:TGID_Z_EN: 0
; COMPUTE_PGM_RSRC2:TIDIG_COMP_CNT: 0
; COMPUTE_PGM_RSRC3_GFX90A:ACCUM_OFFSET: 0
; COMPUTE_PGM_RSRC3_GFX90A:TG_SPLIT: 0
	.section	.text._ZN7rocprim17ROCPRIM_400000_NS6detail17trampoline_kernelINS0_14default_configENS1_27scan_by_key_config_selectorIijEEZZNS1_16scan_by_key_implILNS1_25lookback_scan_determinismE0ELb0ES3_N6thrust23THRUST_200600_302600_NS6detail15normal_iteratorINS9_10device_ptrIiEEEENSB_INSC_IjEEEESG_jNS9_4plusIvEENS9_8equal_toIvEEjEE10hipError_tPvRmT2_T3_T4_T5_mT6_T7_P12ihipStream_tbENKUlT_T0_E_clISt17integral_constantIbLb1EES11_EEDaSW_SX_EUlSW_E_NS1_11comp_targetILNS1_3genE4ELNS1_11target_archE910ELNS1_3gpuE8ELNS1_3repE0EEENS1_30default_config_static_selectorELNS0_4arch9wavefront6targetE1EEEvT1_,"axG",@progbits,_ZN7rocprim17ROCPRIM_400000_NS6detail17trampoline_kernelINS0_14default_configENS1_27scan_by_key_config_selectorIijEEZZNS1_16scan_by_key_implILNS1_25lookback_scan_determinismE0ELb0ES3_N6thrust23THRUST_200600_302600_NS6detail15normal_iteratorINS9_10device_ptrIiEEEENSB_INSC_IjEEEESG_jNS9_4plusIvEENS9_8equal_toIvEEjEE10hipError_tPvRmT2_T3_T4_T5_mT6_T7_P12ihipStream_tbENKUlT_T0_E_clISt17integral_constantIbLb1EES11_EEDaSW_SX_EUlSW_E_NS1_11comp_targetILNS1_3genE4ELNS1_11target_archE910ELNS1_3gpuE8ELNS1_3repE0EEENS1_30default_config_static_selectorELNS0_4arch9wavefront6targetE1EEEvT1_,comdat
	.protected	_ZN7rocprim17ROCPRIM_400000_NS6detail17trampoline_kernelINS0_14default_configENS1_27scan_by_key_config_selectorIijEEZZNS1_16scan_by_key_implILNS1_25lookback_scan_determinismE0ELb0ES3_N6thrust23THRUST_200600_302600_NS6detail15normal_iteratorINS9_10device_ptrIiEEEENSB_INSC_IjEEEESG_jNS9_4plusIvEENS9_8equal_toIvEEjEE10hipError_tPvRmT2_T3_T4_T5_mT6_T7_P12ihipStream_tbENKUlT_T0_E_clISt17integral_constantIbLb1EES11_EEDaSW_SX_EUlSW_E_NS1_11comp_targetILNS1_3genE4ELNS1_11target_archE910ELNS1_3gpuE8ELNS1_3repE0EEENS1_30default_config_static_selectorELNS0_4arch9wavefront6targetE1EEEvT1_ ; -- Begin function _ZN7rocprim17ROCPRIM_400000_NS6detail17trampoline_kernelINS0_14default_configENS1_27scan_by_key_config_selectorIijEEZZNS1_16scan_by_key_implILNS1_25lookback_scan_determinismE0ELb0ES3_N6thrust23THRUST_200600_302600_NS6detail15normal_iteratorINS9_10device_ptrIiEEEENSB_INSC_IjEEEESG_jNS9_4plusIvEENS9_8equal_toIvEEjEE10hipError_tPvRmT2_T3_T4_T5_mT6_T7_P12ihipStream_tbENKUlT_T0_E_clISt17integral_constantIbLb1EES11_EEDaSW_SX_EUlSW_E_NS1_11comp_targetILNS1_3genE4ELNS1_11target_archE910ELNS1_3gpuE8ELNS1_3repE0EEENS1_30default_config_static_selectorELNS0_4arch9wavefront6targetE1EEEvT1_
	.globl	_ZN7rocprim17ROCPRIM_400000_NS6detail17trampoline_kernelINS0_14default_configENS1_27scan_by_key_config_selectorIijEEZZNS1_16scan_by_key_implILNS1_25lookback_scan_determinismE0ELb0ES3_N6thrust23THRUST_200600_302600_NS6detail15normal_iteratorINS9_10device_ptrIiEEEENSB_INSC_IjEEEESG_jNS9_4plusIvEENS9_8equal_toIvEEjEE10hipError_tPvRmT2_T3_T4_T5_mT6_T7_P12ihipStream_tbENKUlT_T0_E_clISt17integral_constantIbLb1EES11_EEDaSW_SX_EUlSW_E_NS1_11comp_targetILNS1_3genE4ELNS1_11target_archE910ELNS1_3gpuE8ELNS1_3repE0EEENS1_30default_config_static_selectorELNS0_4arch9wavefront6targetE1EEEvT1_
	.p2align	8
	.type	_ZN7rocprim17ROCPRIM_400000_NS6detail17trampoline_kernelINS0_14default_configENS1_27scan_by_key_config_selectorIijEEZZNS1_16scan_by_key_implILNS1_25lookback_scan_determinismE0ELb0ES3_N6thrust23THRUST_200600_302600_NS6detail15normal_iteratorINS9_10device_ptrIiEEEENSB_INSC_IjEEEESG_jNS9_4plusIvEENS9_8equal_toIvEEjEE10hipError_tPvRmT2_T3_T4_T5_mT6_T7_P12ihipStream_tbENKUlT_T0_E_clISt17integral_constantIbLb1EES11_EEDaSW_SX_EUlSW_E_NS1_11comp_targetILNS1_3genE4ELNS1_11target_archE910ELNS1_3gpuE8ELNS1_3repE0EEENS1_30default_config_static_selectorELNS0_4arch9wavefront6targetE1EEEvT1_,@function
_ZN7rocprim17ROCPRIM_400000_NS6detail17trampoline_kernelINS0_14default_configENS1_27scan_by_key_config_selectorIijEEZZNS1_16scan_by_key_implILNS1_25lookback_scan_determinismE0ELb0ES3_N6thrust23THRUST_200600_302600_NS6detail15normal_iteratorINS9_10device_ptrIiEEEENSB_INSC_IjEEEESG_jNS9_4plusIvEENS9_8equal_toIvEEjEE10hipError_tPvRmT2_T3_T4_T5_mT6_T7_P12ihipStream_tbENKUlT_T0_E_clISt17integral_constantIbLb1EES11_EEDaSW_SX_EUlSW_E_NS1_11comp_targetILNS1_3genE4ELNS1_11target_archE910ELNS1_3gpuE8ELNS1_3repE0EEENS1_30default_config_static_selectorELNS0_4arch9wavefront6targetE1EEEvT1_: ; @_ZN7rocprim17ROCPRIM_400000_NS6detail17trampoline_kernelINS0_14default_configENS1_27scan_by_key_config_selectorIijEEZZNS1_16scan_by_key_implILNS1_25lookback_scan_determinismE0ELb0ES3_N6thrust23THRUST_200600_302600_NS6detail15normal_iteratorINS9_10device_ptrIiEEEENSB_INSC_IjEEEESG_jNS9_4plusIvEENS9_8equal_toIvEEjEE10hipError_tPvRmT2_T3_T4_T5_mT6_T7_P12ihipStream_tbENKUlT_T0_E_clISt17integral_constantIbLb1EES11_EEDaSW_SX_EUlSW_E_NS1_11comp_targetILNS1_3genE4ELNS1_11target_archE910ELNS1_3gpuE8ELNS1_3repE0EEENS1_30default_config_static_selectorELNS0_4arch9wavefront6targetE1EEEvT1_
; %bb.0:
	s_load_dwordx4 s[56:59], s[4:5], 0x28
	s_load_dwordx2 s[60:61], s[4:5], 0x38
	v_cmp_ne_u32_e64 s[36:37], 0, v0
	v_cmp_eq_u32_e64 s[0:1], 0, v0
	s_and_saveexec_b64 s[2:3], s[0:1]
	s_cbranch_execz .LBB1235_4
; %bb.1:
	s_mov_b64 s[8:9], exec
	v_mbcnt_lo_u32_b32 v1, s8, 0
	v_mbcnt_hi_u32_b32 v1, s9, v1
	v_cmp_eq_u32_e32 vcc, 0, v1
                                        ; implicit-def: $vgpr2
	s_and_saveexec_b64 s[6:7], vcc
	s_cbranch_execz .LBB1235_3
; %bb.2:
	s_load_dwordx2 s[10:11], s[4:5], 0x68
	s_bcnt1_i32_b64 s8, s[8:9]
	v_mov_b32_e32 v2, 0
	v_mov_b32_e32 v3, s8
	s_waitcnt lgkmcnt(0)
	global_atomic_add v2, v2, v3, s[10:11] glc
.LBB1235_3:
	s_or_b64 exec, exec, s[6:7]
	s_waitcnt vmcnt(0)
	v_readfirstlane_b32 s6, v2
	v_add_u32_e32 v1, s6, v1
	v_mov_b32_e32 v2, 0
	ds_write_b32 v2, v1
.LBB1235_4:
	s_or_b64 exec, exec, s[2:3]
	s_load_dwordx8 s[40:47], s[4:5], 0x0
	s_load_dword s2, s[4:5], 0x40
	s_load_dwordx8 s[48:55], s[4:5], 0x48
	v_mov_b32_e32 v1, 0
	s_waitcnt lgkmcnt(0)
	s_barrier
	ds_read_b32 v1, v1
	s_lshl_b64 s[38:39], s[42:43], 2
	s_add_u32 s4, s40, s38
	s_addc_u32 s5, s41, s39
	s_add_u32 s6, s44, s38
	s_mul_i32 s3, s61, s2
	s_mul_hi_u32 s8, s60, s2
	s_addc_u32 s7, s45, s39
	s_add_i32 s8, s8, s3
	s_waitcnt lgkmcnt(0)
	v_readfirstlane_b32 s59, v1
	s_mul_i32 s9, s60, s2
	s_cmp_lg_u64 s[52:53], 0
	s_mov_b32 s3, 0
	s_mul_i32 s2, s59, 0xe00
	s_cselect_b64 s[44:45], -1, 0
	s_lshl_b64 s[40:41], s[2:3], 2
	s_add_u32 s42, s4, s40
	s_addc_u32 s43, s5, s41
	s_add_u32 s62, s6, s40
	s_addc_u32 s63, s7, s41
	;; [unrolled: 2-line block ×3, first 2 shown]
	s_add_u32 s4, s48, -1
	s_addc_u32 s5, s49, -1
	v_pk_mov_b32 v[2:3], s[4:5], s[4:5] op_sel:[0,1]
	v_cmp_ge_u64_e64 s[2:3], s[52:53], v[2:3]
	s_mov_b64 s[18:19], 0
	s_mov_b64 s[12:13], -1
	s_and_b64 vcc, exec, s[2:3]
	s_mul_i32 s33, s4, 0xfffff200
	s_barrier
	s_barrier
	s_cbranch_vccz .LBB1235_81
; %bb.5:
	v_pk_mov_b32 v[2:3], s[42:43], s[42:43] op_sel:[0,1]
	flat_load_dword v1, v[2:3]
	s_add_i32 s64, s33, s58
	v_cmp_gt_u32_e64 s[6:7], s64, v0
	s_waitcnt vmcnt(0) lgkmcnt(0)
	v_mov_b32_e32 v13, v1
	s_and_saveexec_b64 s[4:5], s[6:7]
	s_cbranch_execz .LBB1235_7
; %bb.6:
	v_lshlrev_b32_e32 v2, 2, v0
	v_mov_b32_e32 v3, s43
	v_add_co_u32_e32 v2, vcc, s42, v2
	v_addc_co_u32_e32 v3, vcc, 0, v3, vcc
	flat_load_dword v13, v[2:3]
.LBB1235_7:
	s_or_b64 exec, exec, s[4:5]
	v_or_b32_e32 v2, 0x100, v0
	v_cmp_gt_u32_e64 s[8:9], s64, v2
	v_mov_b32_e32 v14, v1
	s_and_saveexec_b64 s[4:5], s[8:9]
	s_cbranch_execz .LBB1235_9
; %bb.8:
	v_lshlrev_b32_e32 v2, 2, v0
	v_mov_b32_e32 v3, s43
	v_add_co_u32_e32 v2, vcc, s42, v2
	v_addc_co_u32_e32 v3, vcc, 0, v3, vcc
	flat_load_dword v14, v[2:3] offset:1024
.LBB1235_9:
	s_or_b64 exec, exec, s[4:5]
	v_or_b32_e32 v2, 0x200, v0
	v_cmp_gt_u32_e64 s[10:11], s64, v2
	v_mov_b32_e32 v15, v1
	s_and_saveexec_b64 s[4:5], s[10:11]
	s_cbranch_execz .LBB1235_11
; %bb.10:
	v_lshlrev_b32_e32 v2, 2, v0
	v_mov_b32_e32 v3, s43
	v_add_co_u32_e32 v2, vcc, s42, v2
	v_addc_co_u32_e32 v3, vcc, 0, v3, vcc
	flat_load_dword v15, v[2:3] offset:2048
.LBB1235_11:
	s_or_b64 exec, exec, s[4:5]
	v_or_b32_e32 v2, 0x300, v0
	v_cmp_gt_u32_e64 s[12:13], s64, v2
	v_mov_b32_e32 v16, v1
	s_and_saveexec_b64 s[4:5], s[12:13]
	s_cbranch_execz .LBB1235_13
; %bb.12:
	v_lshlrev_b32_e32 v2, 2, v0
	v_mov_b32_e32 v3, s43
	v_add_co_u32_e32 v2, vcc, s42, v2
	v_addc_co_u32_e32 v3, vcc, 0, v3, vcc
	flat_load_dword v16, v[2:3] offset:3072
.LBB1235_13:
	s_or_b64 exec, exec, s[4:5]
	v_or_b32_e32 v2, 0x400, v0
	v_cmp_gt_u32_e64 s[14:15], s64, v2
	v_mov_b32_e32 v17, v1
	s_and_saveexec_b64 s[4:5], s[14:15]
	s_cbranch_execz .LBB1235_15
; %bb.14:
	v_lshlrev_b32_e32 v3, 2, v2
	v_mov_b32_e32 v5, s43
	v_add_co_u32_e32 v4, vcc, s42, v3
	v_addc_co_u32_e32 v5, vcc, 0, v5, vcc
	flat_load_dword v17, v[4:5]
.LBB1235_15:
	s_or_b64 exec, exec, s[4:5]
	v_or_b32_e32 v3, 0x500, v0
	v_cmp_gt_u32_e64 s[16:17], s64, v3
	v_mov_b32_e32 v18, v1
	s_and_saveexec_b64 s[4:5], s[16:17]
	s_cbranch_execz .LBB1235_17
; %bb.16:
	v_lshlrev_b32_e32 v4, 2, v3
	v_mov_b32_e32 v5, s43
	v_add_co_u32_e32 v4, vcc, s42, v4
	v_addc_co_u32_e32 v5, vcc, 0, v5, vcc
	flat_load_dword v18, v[4:5]
.LBB1235_17:
	s_or_b64 exec, exec, s[4:5]
	v_or_b32_e32 v4, 0x600, v0
	v_cmp_gt_u32_e64 s[18:19], s64, v4
	v_mov_b32_e32 v19, v1
	s_and_saveexec_b64 s[4:5], s[18:19]
	s_cbranch_execz .LBB1235_19
; %bb.18:
	v_lshlrev_b32_e32 v5, 2, v4
	v_mov_b32_e32 v7, s43
	v_add_co_u32_e32 v6, vcc, s42, v5
	v_addc_co_u32_e32 v7, vcc, 0, v7, vcc
	flat_load_dword v19, v[6:7]
.LBB1235_19:
	s_or_b64 exec, exec, s[4:5]
	v_or_b32_e32 v5, 0x700, v0
	v_cmp_gt_u32_e64 s[20:21], s64, v5
	v_mov_b32_e32 v20, v1
	s_and_saveexec_b64 s[4:5], s[20:21]
	s_cbranch_execz .LBB1235_21
; %bb.20:
	v_lshlrev_b32_e32 v6, 2, v5
	v_mov_b32_e32 v7, s43
	v_add_co_u32_e32 v6, vcc, s42, v6
	v_addc_co_u32_e32 v7, vcc, 0, v7, vcc
	flat_load_dword v20, v[6:7]
.LBB1235_21:
	s_or_b64 exec, exec, s[4:5]
	v_or_b32_e32 v6, 0x800, v0
	v_cmp_gt_u32_e64 s[22:23], s64, v6
	v_mov_b32_e32 v21, v1
	s_and_saveexec_b64 s[4:5], s[22:23]
	s_cbranch_execz .LBB1235_23
; %bb.22:
	v_lshlrev_b32_e32 v7, 2, v6
	v_mov_b32_e32 v9, s43
	v_add_co_u32_e32 v8, vcc, s42, v7
	v_addc_co_u32_e32 v9, vcc, 0, v9, vcc
	flat_load_dword v21, v[8:9]
.LBB1235_23:
	s_or_b64 exec, exec, s[4:5]
	v_or_b32_e32 v7, 0x900, v0
	v_cmp_gt_u32_e64 s[24:25], s64, v7
	v_mov_b32_e32 v22, v1
	s_and_saveexec_b64 s[4:5], s[24:25]
	s_cbranch_execz .LBB1235_25
; %bb.24:
	v_lshlrev_b32_e32 v8, 2, v7
	v_mov_b32_e32 v9, s43
	v_add_co_u32_e32 v8, vcc, s42, v8
	v_addc_co_u32_e32 v9, vcc, 0, v9, vcc
	flat_load_dword v22, v[8:9]
.LBB1235_25:
	s_or_b64 exec, exec, s[4:5]
	v_or_b32_e32 v8, 0xa00, v0
	v_cmp_gt_u32_e64 s[26:27], s64, v8
	v_mov_b32_e32 v23, v1
	s_and_saveexec_b64 s[4:5], s[26:27]
	s_cbranch_execz .LBB1235_27
; %bb.26:
	v_lshlrev_b32_e32 v9, 2, v8
	v_mov_b32_e32 v11, s43
	v_add_co_u32_e32 v10, vcc, s42, v9
	v_addc_co_u32_e32 v11, vcc, 0, v11, vcc
	flat_load_dword v23, v[10:11]
.LBB1235_27:
	s_or_b64 exec, exec, s[4:5]
	v_or_b32_e32 v9, 0xb00, v0
	v_cmp_gt_u32_e64 s[28:29], s64, v9
	v_mov_b32_e32 v24, v1
	s_and_saveexec_b64 s[4:5], s[28:29]
	s_cbranch_execz .LBB1235_29
; %bb.28:
	v_lshlrev_b32_e32 v10, 2, v9
	v_mov_b32_e32 v11, s43
	v_add_co_u32_e32 v10, vcc, s42, v10
	v_addc_co_u32_e32 v11, vcc, 0, v11, vcc
	flat_load_dword v24, v[10:11]
.LBB1235_29:
	s_or_b64 exec, exec, s[4:5]
	v_or_b32_e32 v10, 0xc00, v0
	v_cmp_gt_u32_e64 s[30:31], s64, v10
	v_mov_b32_e32 v25, v1
	s_and_saveexec_b64 s[4:5], s[30:31]
	s_cbranch_execz .LBB1235_31
; %bb.30:
	v_lshlrev_b32_e32 v11, 2, v10
	v_mov_b32_e32 v12, s43
	v_add_co_u32_e32 v26, vcc, s42, v11
	v_addc_co_u32_e32 v27, vcc, 0, v12, vcc
	flat_load_dword v25, v[26:27]
.LBB1235_31:
	s_or_b64 exec, exec, s[4:5]
	v_or_b32_e32 v11, 0xd00, v0
	v_cmp_gt_u32_e64 s[34:35], s64, v11
	s_and_saveexec_b64 s[4:5], s[34:35]
	s_cbranch_execz .LBB1235_33
; %bb.32:
	v_lshlrev_b32_e32 v1, 2, v11
	v_mov_b32_e32 v12, s43
	v_add_co_u32_e32 v26, vcc, s42, v1
	v_addc_co_u32_e32 v27, vcc, 0, v12, vcc
	flat_load_dword v1, v[26:27]
.LBB1235_33:
	s_or_b64 exec, exec, s[4:5]
	v_lshlrev_b32_e32 v12, 2, v0
	s_waitcnt vmcnt(0) lgkmcnt(0)
	ds_write2st64_b32 v12, v13, v14 offset1:4
	ds_write2st64_b32 v12, v15, v16 offset0:8 offset1:12
	ds_write2st64_b32 v12, v17, v18 offset0:16 offset1:20
	;; [unrolled: 1-line block ×6, first 2 shown]
	v_mad_u32_u24 v1, v0, 52, v12
	s_waitcnt lgkmcnt(0)
	s_barrier
	ds_read2_b64 v[34:37], v1 offset1:1
	ds_read2_b64 v[30:33], v1 offset0:2 offset1:3
	ds_read2_b64 v[26:29], v1 offset0:4 offset1:5
	ds_read_b64 v[40:41], v1 offset:48
	s_cmp_eq_u64 s[52:53], 0
	s_mov_b64 s[4:5], s[42:43]
	s_cbranch_scc1 .LBB1235_37
; %bb.34:
	s_andn2_b64 vcc, exec, s[44:45]
	s_cbranch_vccnz .LBB1235_187
; %bb.35:
	s_lshl_b64 s[4:5], s[52:53], 2
	s_add_u32 s4, s54, s4
	s_addc_u32 s5, s55, s5
	s_add_u32 s4, s4, -4
	s_addc_u32 s5, s5, -1
	s_cbranch_execnz .LBB1235_37
.LBB1235_36:
	s_add_u32 s4, s42, -4
	s_addc_u32 s5, s43, -1
.LBB1235_37:
	v_pk_mov_b32 v[14:15], s[4:5], s[4:5] op_sel:[0,1]
	flat_load_dword v44, v[14:15]
	s_movk_i32 s4, 0xffcc
	v_mad_i32_i24 v13, v0, s4, v1
	s_waitcnt lgkmcnt(0)
	ds_write_b32 v13, v41 offset:14336
	s_waitcnt lgkmcnt(0)
	s_barrier
	s_and_saveexec_b64 s[4:5], s[36:37]
	s_cbranch_execz .LBB1235_39
; %bb.38:
	v_mul_i32_i24_e32 v13, 0xffffffcc, v0
	v_add_u32_e32 v13, v1, v13
	s_waitcnt vmcnt(0)
	ds_read_b32 v44, v13 offset:14332
.LBB1235_39:
	s_or_b64 exec, exec, s[4:5]
	s_waitcnt lgkmcnt(0)
	s_barrier
	s_waitcnt lgkmcnt(0)
                                        ; implicit-def: $vgpr13
	s_and_saveexec_b64 s[4:5], s[6:7]
	s_cbranch_execnz .LBB1235_174
; %bb.40:
	s_or_b64 exec, exec, s[4:5]
                                        ; implicit-def: $vgpr14
	s_and_saveexec_b64 s[4:5], s[8:9]
	s_cbranch_execnz .LBB1235_175
.LBB1235_41:
	s_or_b64 exec, exec, s[4:5]
                                        ; implicit-def: $vgpr15
	s_and_saveexec_b64 s[4:5], s[10:11]
	s_cbranch_execnz .LBB1235_176
.LBB1235_42:
	s_or_b64 exec, exec, s[4:5]
                                        ; implicit-def: $vgpr16
	s_and_saveexec_b64 s[4:5], s[12:13]
	s_cbranch_execnz .LBB1235_177
.LBB1235_43:
	s_or_b64 exec, exec, s[4:5]
                                        ; implicit-def: $vgpr17
	s_and_saveexec_b64 s[4:5], s[14:15]
	s_cbranch_execnz .LBB1235_178
.LBB1235_44:
	s_or_b64 exec, exec, s[4:5]
                                        ; implicit-def: $vgpr2
	s_and_saveexec_b64 s[4:5], s[16:17]
	s_cbranch_execnz .LBB1235_179
.LBB1235_45:
	s_or_b64 exec, exec, s[4:5]
                                        ; implicit-def: $vgpr3
	s_and_saveexec_b64 s[4:5], s[18:19]
	s_cbranch_execnz .LBB1235_180
.LBB1235_46:
	s_or_b64 exec, exec, s[4:5]
                                        ; implicit-def: $vgpr4
	s_and_saveexec_b64 s[4:5], s[20:21]
	s_cbranch_execnz .LBB1235_181
.LBB1235_47:
	s_or_b64 exec, exec, s[4:5]
                                        ; implicit-def: $vgpr5
	s_and_saveexec_b64 s[4:5], s[22:23]
	s_cbranch_execnz .LBB1235_182
.LBB1235_48:
	s_or_b64 exec, exec, s[4:5]
                                        ; implicit-def: $vgpr6
	s_and_saveexec_b64 s[4:5], s[24:25]
	s_cbranch_execnz .LBB1235_183
.LBB1235_49:
	s_or_b64 exec, exec, s[4:5]
                                        ; implicit-def: $vgpr7
	s_and_saveexec_b64 s[4:5], s[26:27]
	s_cbranch_execnz .LBB1235_184
.LBB1235_50:
	s_or_b64 exec, exec, s[4:5]
                                        ; implicit-def: $vgpr8
	s_and_saveexec_b64 s[4:5], s[28:29]
	s_cbranch_execnz .LBB1235_185
.LBB1235_51:
	s_or_b64 exec, exec, s[4:5]
                                        ; implicit-def: $vgpr9
	s_and_saveexec_b64 s[4:5], s[30:31]
	s_cbranch_execnz .LBB1235_186
.LBB1235_52:
	s_or_b64 exec, exec, s[4:5]
                                        ; implicit-def: $vgpr10
	s_and_saveexec_b64 s[4:5], s[34:35]
	s_cbranch_execz .LBB1235_54
.LBB1235_53:
	v_lshlrev_b32_e32 v10, 2, v11
	v_mov_b32_e32 v11, s63
	v_add_co_u32_e32 v10, vcc, s62, v10
	v_addc_co_u32_e32 v11, vcc, 0, v11, vcc
	flat_load_dword v10, v[10:11]
.LBB1235_54:
	s_or_b64 exec, exec, s[4:5]
	s_mov_b32 s4, 0
	s_mov_b32 s5, s4
	s_waitcnt vmcnt(0) lgkmcnt(0)
	ds_write2st64_b32 v12, v13, v14 offset1:4
	ds_write2st64_b32 v12, v15, v16 offset0:8 offset1:12
	ds_write2st64_b32 v12, v17, v2 offset0:16 offset1:20
	ds_write2st64_b32 v12, v3, v4 offset0:24 offset1:28
	ds_write2st64_b32 v12, v5, v6 offset0:32 offset1:36
	ds_write2st64_b32 v12, v7, v8 offset0:40 offset1:44
	ds_write2st64_b32 v12, v9, v10 offset0:48 offset1:52
	s_mov_b32 s6, s4
	s_mov_b32 s7, s4
	;; [unrolled: 1-line block ×6, first 2 shown]
	v_pk_mov_b32 v[2:3], s[4:5], s[4:5] op_sel:[0,1]
	v_pk_mov_b32 v[8:9], s[10:11], s[10:11] op_sel:[0,1]
	v_mul_u32_u24_e32 v42, 14, v0
	v_pk_mov_b32 v[4:5], s[6:7], s[6:7] op_sel:[0,1]
	v_pk_mov_b32 v[6:7], s[8:9], s[8:9] op_sel:[0,1]
	;; [unrolled: 1-line block ×4, first 2 shown]
	v_cmp_gt_u32_e32 vcc, s64, v42
	s_mov_b64 s[12:13], 0
	v_pk_mov_b32 v[38:39], 0, 0
	s_mov_b64 s[18:19], 0
	v_pk_mov_b32 v[14:15], v[6:7], v[6:7] op_sel:[0,1]
	v_pk_mov_b32 v[12:13], v[4:5], v[4:5] op_sel:[0,1]
	;; [unrolled: 1-line block ×6, first 2 shown]
	s_waitcnt lgkmcnt(0)
	s_barrier
	s_waitcnt lgkmcnt(0)
                                        ; implicit-def: $sgpr16_sgpr17
                                        ; implicit-def: $vgpr43
	s_and_saveexec_b64 s[14:15], vcc
	s_cbranch_execz .LBB1235_80
; %bb.55:
	v_or_b32_e32 v2, 1, v42
	ds_read_b32 v38, v1
	v_cmp_ne_u32_e32 vcc, v44, v34
	v_cndmask_b32_e64 v39, 0, 1, vcc
	v_cmp_gt_u32_e32 vcc, s64, v2
	v_pk_mov_b32 v[2:3], s[4:5], s[4:5] op_sel:[0,1]
	v_pk_mov_b32 v[8:9], s[10:11], s[10:11] op_sel:[0,1]
	;; [unrolled: 1-line block ×12, first 2 shown]
                                        ; implicit-def: $sgpr4_sgpr5
                                        ; implicit-def: $vgpr43
	s_and_saveexec_b64 s[16:17], vcc
	s_cbranch_execz .LBB1235_79
; %bb.56:
	ds_read2_b32 v[44:45], v1 offset0:1 offset1:2
	s_mov_b32 s4, 0
	s_mov_b32 s10, s4
	;; [unrolled: 1-line block ×8, first 2 shown]
	v_pk_mov_b32 v[16:17], s[10:11], s[10:11] op_sel:[0,1]
	v_add_u32_e32 v2, 2, v42
	v_cmp_ne_u32_e32 vcc, v34, v35
	v_mov_b32_e32 v6, 0
	v_pk_mov_b32 v[14:15], s[8:9], s[8:9] op_sel:[0,1]
	v_pk_mov_b32 v[12:13], s[6:7], s[6:7] op_sel:[0,1]
	;; [unrolled: 1-line block ×4, first 2 shown]
	v_cndmask_b32_e64 v3, 0, 1, vcc
	v_cmp_gt_u32_e32 vcc, s64, v2
	s_waitcnt lgkmcnt(0)
	v_mov_b32_e32 v2, v44
	v_mov_b32_e32 v4, v6
	;; [unrolled: 1-line block ×6, first 2 shown]
	s_mov_b64 s[20:21], 0
	v_pk_mov_b32 v[22:23], v[14:15], v[14:15] op_sel:[0,1]
	v_pk_mov_b32 v[20:21], v[12:13], v[12:13] op_sel:[0,1]
	;; [unrolled: 1-line block ×3, first 2 shown]
                                        ; implicit-def: $sgpr24_sgpr25
                                        ; implicit-def: $vgpr43
	s_and_saveexec_b64 s[18:19], vcc
	s_cbranch_execz .LBB1235_78
; %bb.57:
	v_pk_mov_b32 v[16:17], s[10:11], s[10:11] op_sel:[0,1]
	v_add_u32_e32 v2, 3, v42
	v_cmp_ne_u32_e32 vcc, v35, v36
	v_pk_mov_b32 v[14:15], s[8:9], s[8:9] op_sel:[0,1]
	v_pk_mov_b32 v[12:13], s[6:7], s[6:7] op_sel:[0,1]
	;; [unrolled: 1-line block ×4, first 2 shown]
	v_cndmask_b32_e64 v5, 0, 1, vcc
	v_cmp_gt_u32_e32 vcc, s64, v2
	v_mov_b32_e32 v2, v44
	v_mov_b32_e32 v4, v45
	;; [unrolled: 1-line block ×5, first 2 shown]
	s_mov_b64 s[22:23], 0
	v_pk_mov_b32 v[22:23], v[14:15], v[14:15] op_sel:[0,1]
	v_pk_mov_b32 v[20:21], v[12:13], v[12:13] op_sel:[0,1]
	;; [unrolled: 1-line block ×3, first 2 shown]
                                        ; implicit-def: $sgpr4_sgpr5
                                        ; implicit-def: $vgpr43
	s_and_saveexec_b64 s[20:21], vcc
	s_cbranch_execz .LBB1235_77
; %bb.58:
	ds_read2_b32 v[34:35], v1 offset0:3 offset1:4
	s_mov_b32 s4, 0
	s_mov_b32 s10, s4
	s_mov_b32 s11, s4
	s_mov_b32 s5, s4
	s_mov_b32 s6, s4
	s_mov_b32 s7, s4
	s_mov_b32 s8, s4
	s_mov_b32 s9, s4
	v_pk_mov_b32 v[16:17], s[10:11], s[10:11] op_sel:[0,1]
	v_add_u32_e32 v6, 4, v42
	v_cmp_ne_u32_e32 vcc, v36, v37
	v_pk_mov_b32 v[14:15], s[8:9], s[8:9] op_sel:[0,1]
	v_pk_mov_b32 v[12:13], s[6:7], s[6:7] op_sel:[0,1]
	;; [unrolled: 1-line block ×4, first 2 shown]
	v_cndmask_b32_e64 v7, 0, 1, vcc
	v_cmp_gt_u32_e32 vcc, s64, v6
	s_waitcnt lgkmcnt(0)
	v_mov_b32_e32 v6, v34
	v_mov_b32_e32 v8, s4
	;; [unrolled: 1-line block ×3, first 2 shown]
	s_mov_b64 s[24:25], 0
	v_pk_mov_b32 v[22:23], v[14:15], v[14:15] op_sel:[0,1]
	v_pk_mov_b32 v[20:21], v[12:13], v[12:13] op_sel:[0,1]
	;; [unrolled: 1-line block ×3, first 2 shown]
                                        ; implicit-def: $sgpr26_sgpr27
                                        ; implicit-def: $vgpr43
	s_and_saveexec_b64 s[22:23], vcc
	s_cbranch_execz .LBB1235_76
; %bb.59:
	v_pk_mov_b32 v[16:17], s[10:11], s[10:11] op_sel:[0,1]
	v_add_u32_e32 v8, 5, v42
	v_cmp_ne_u32_e32 vcc, v37, v30
	v_pk_mov_b32 v[14:15], s[8:9], s[8:9] op_sel:[0,1]
	v_pk_mov_b32 v[12:13], s[6:7], s[6:7] op_sel:[0,1]
	;; [unrolled: 1-line block ×4, first 2 shown]
	v_cndmask_b32_e64 v9, 0, 1, vcc
	v_cmp_gt_u32_e32 vcc, s64, v8
	v_mov_b32_e32 v8, v35
	s_mov_b64 s[28:29], 0
	v_pk_mov_b32 v[22:23], v[14:15], v[14:15] op_sel:[0,1]
	v_pk_mov_b32 v[20:21], v[12:13], v[12:13] op_sel:[0,1]
	;; [unrolled: 1-line block ×3, first 2 shown]
                                        ; implicit-def: $sgpr4_sgpr5
                                        ; implicit-def: $vgpr43
	s_and_saveexec_b64 s[24:25], vcc
	s_cbranch_execz .LBB1235_75
; %bb.60:
	ds_read2_b32 v[34:35], v1 offset0:5 offset1:6
	s_mov_b32 s4, 0
	s_mov_b32 s10, s4
	;; [unrolled: 1-line block ×3, first 2 shown]
	v_add_u32_e32 v10, 6, v42
	v_cmp_ne_u32_e32 vcc, v30, v31
	v_mov_b32_e32 v14, 0
	s_mov_b32 s5, s4
	s_mov_b32 s6, s4
	;; [unrolled: 1-line block ×5, first 2 shown]
	v_pk_mov_b32 v[24:25], s[10:11], s[10:11] op_sel:[0,1]
	v_cndmask_b32_e64 v11, 0, 1, vcc
	v_cmp_gt_u32_e32 vcc, s64, v10
	s_waitcnt lgkmcnt(0)
	v_mov_b32_e32 v10, v34
	v_mov_b32_e32 v12, v14
	;; [unrolled: 1-line block ×6, first 2 shown]
	v_pk_mov_b32 v[22:23], s[8:9], s[8:9] op_sel:[0,1]
	v_pk_mov_b32 v[20:21], s[6:7], s[6:7] op_sel:[0,1]
	;; [unrolled: 1-line block ×3, first 2 shown]
                                        ; implicit-def: $sgpr34_sgpr35
                                        ; implicit-def: $vgpr43
	s_and_saveexec_b64 s[26:27], vcc
	s_cbranch_execz .LBB1235_74
; %bb.61:
	v_add_u32_e32 v10, 7, v42
	v_cmp_ne_u32_e32 vcc, v31, v32
	v_pk_mov_b32 v[24:25], s[10:11], s[10:11] op_sel:[0,1]
	v_cndmask_b32_e64 v13, 0, 1, vcc
	v_cmp_gt_u32_e32 vcc, s64, v10
	v_mov_b32_e32 v10, v34
	v_mov_b32_e32 v12, v35
	;; [unrolled: 1-line block ×5, first 2 shown]
	s_mov_b64 s[30:31], 0
	v_pk_mov_b32 v[22:23], s[8:9], s[8:9] op_sel:[0,1]
	v_pk_mov_b32 v[20:21], s[6:7], s[6:7] op_sel:[0,1]
	;; [unrolled: 1-line block ×3, first 2 shown]
                                        ; implicit-def: $sgpr4_sgpr5
                                        ; implicit-def: $vgpr43
	s_and_saveexec_b64 s[28:29], vcc
	s_cbranch_execz .LBB1235_73
; %bb.62:
	ds_read2_b32 v[30:31], v1 offset0:7 offset1:8
	s_mov_b32 s4, 0
	s_mov_b32 s10, s4
	;; [unrolled: 1-line block ×3, first 2 shown]
	v_add_u32_e32 v14, 8, v42
	v_cmp_ne_u32_e32 vcc, v32, v33
	s_mov_b32 s5, s4
	s_mov_b32 s6, s4
	;; [unrolled: 1-line block ×5, first 2 shown]
	v_pk_mov_b32 v[24:25], s[10:11], s[10:11] op_sel:[0,1]
	v_cndmask_b32_e64 v15, 0, 1, vcc
	v_cmp_gt_u32_e32 vcc, s64, v14
	s_waitcnt lgkmcnt(0)
	v_mov_b32_e32 v14, v30
	v_mov_b32_e32 v16, s4
	;; [unrolled: 1-line block ×3, first 2 shown]
	s_mov_b64 s[34:35], 0
	v_pk_mov_b32 v[22:23], s[8:9], s[8:9] op_sel:[0,1]
	v_pk_mov_b32 v[20:21], s[6:7], s[6:7] op_sel:[0,1]
	;; [unrolled: 1-line block ×3, first 2 shown]
                                        ; implicit-def: $sgpr48_sgpr49
                                        ; implicit-def: $vgpr43
	s_and_saveexec_b64 s[30:31], vcc
	s_cbranch_execz .LBB1235_72
; %bb.63:
	v_add_u32_e32 v16, 9, v42
	v_cmp_ne_u32_e32 vcc, v33, v26
	v_pk_mov_b32 v[24:25], s[10:11], s[10:11] op_sel:[0,1]
	v_cndmask_b32_e64 v17, 0, 1, vcc
	v_cmp_gt_u32_e32 vcc, s64, v16
	v_mov_b32_e32 v16, v31
	v_pk_mov_b32 v[22:23], s[8:9], s[8:9] op_sel:[0,1]
	v_pk_mov_b32 v[20:21], s[6:7], s[6:7] op_sel:[0,1]
	;; [unrolled: 1-line block ×3, first 2 shown]
                                        ; implicit-def: $sgpr8_sgpr9
                                        ; implicit-def: $vgpr43
	s_and_saveexec_b64 s[6:7], vcc
	s_cbranch_execz .LBB1235_71
; %bb.64:
	ds_read2_b32 v[30:31], v1 offset0:9 offset1:10
	v_add_u32_e32 v18, 10, v42
	v_cmp_ne_u32_e32 vcc, v26, v27
	v_mov_b32_e32 v22, 0
	v_cndmask_b32_e64 v19, 0, 1, vcc
	v_cmp_gt_u32_e32 vcc, s64, v18
	s_waitcnt lgkmcnt(0)
	v_mov_b32_e32 v18, v30
	v_mov_b32_e32 v20, v22
	;; [unrolled: 1-line block ×6, first 2 shown]
	s_mov_b64 s[4:5], 0
                                        ; implicit-def: $sgpr10_sgpr11
                                        ; implicit-def: $vgpr43
	s_and_saveexec_b64 s[8:9], vcc
	s_cbranch_execz .LBB1235_70
; %bb.65:
	v_add_u32_e32 v18, 11, v42
	v_cmp_ne_u32_e32 vcc, v27, v28
	v_cndmask_b32_e64 v21, 0, 1, vcc
	v_cmp_gt_u32_e32 vcc, s64, v18
	s_mov_b32 s48, 0
	v_mov_b32_e32 v18, v30
	v_mov_b32_e32 v20, v31
	;; [unrolled: 1-line block ×5, first 2 shown]
                                        ; implicit-def: $sgpr34_sgpr35
                                        ; implicit-def: $vgpr43
	s_and_saveexec_b64 s[10:11], vcc
	s_cbranch_execz .LBB1235_69
; %bb.66:
	ds_read2_b32 v[26:27], v1 offset0:11 offset1:12
	v_add_u32_e32 v22, 12, v42
	v_cmp_ne_u32_e32 vcc, v28, v29
	v_cndmask_b32_e64 v23, 0, 1, vcc
	v_cmp_gt_u32_e32 vcc, s64, v22
	s_waitcnt lgkmcnt(0)
	v_mov_b32_e32 v22, v26
	v_mov_b32_e32 v24, s48
	;; [unrolled: 1-line block ×3, first 2 shown]
                                        ; implicit-def: $sgpr34_sgpr35
                                        ; implicit-def: $vgpr43
	s_and_saveexec_b64 s[48:49], vcc
	s_xor_b64 s[48:49], exec, s[48:49]
	s_cbranch_execz .LBB1235_68
; %bb.67:
	ds_read_b32 v43, v1 offset:52
	v_add_u32_e32 v1, 13, v42
	v_cmp_ne_u32_e64 s[4:5], v29, v40
	v_cmp_ne_u32_e32 vcc, v40, v41
	v_cndmask_b32_e64 v25, 0, 1, s[4:5]
	v_cmp_gt_u32_e64 s[4:5], s64, v1
	v_mov_b32_e32 v24, v27
	s_and_b64 s[34:35], vcc, exec
	s_and_b64 s[4:5], s[4:5], exec
.LBB1235_68:
	s_or_b64 exec, exec, s[48:49]
	s_and_b64 s[34:35], s[34:35], exec
	s_and_b64 s[4:5], s[4:5], exec
.LBB1235_69:
	s_or_b64 exec, exec, s[10:11]
	s_and_b64 s[10:11], s[34:35], exec
	s_and_b64 s[4:5], s[4:5], exec
.LBB1235_70:
	s_or_b64 exec, exec, s[8:9]
	s_and_b64 s[8:9], s[10:11], exec
	s_and_b64 s[34:35], s[4:5], exec
.LBB1235_71:
	s_or_b64 exec, exec, s[6:7]
	s_and_b64 s[48:49], s[8:9], exec
	s_and_b64 s[34:35], s[34:35], exec
.LBB1235_72:
	s_or_b64 exec, exec, s[30:31]
	s_and_b64 s[4:5], s[48:49], exec
	s_and_b64 s[30:31], s[34:35], exec
.LBB1235_73:
	s_or_b64 exec, exec, s[28:29]
	s_and_b64 s[34:35], s[4:5], exec
	s_and_b64 s[28:29], s[30:31], exec
.LBB1235_74:
	s_or_b64 exec, exec, s[26:27]
	s_and_b64 s[4:5], s[34:35], exec
	s_and_b64 s[28:29], s[28:29], exec
.LBB1235_75:
	s_or_b64 exec, exec, s[24:25]
	s_and_b64 s[26:27], s[4:5], exec
	s_and_b64 s[24:25], s[28:29], exec
.LBB1235_76:
	s_or_b64 exec, exec, s[22:23]
	s_and_b64 s[4:5], s[26:27], exec
	s_and_b64 s[22:23], s[24:25], exec
.LBB1235_77:
	s_or_b64 exec, exec, s[20:21]
	s_and_b64 s[24:25], s[4:5], exec
	s_and_b64 s[20:21], s[22:23], exec
.LBB1235_78:
	s_or_b64 exec, exec, s[18:19]
	s_and_b64 s[4:5], s[24:25], exec
	s_and_b64 s[18:19], s[20:21], exec
.LBB1235_79:
	s_or_b64 exec, exec, s[16:17]
	s_and_b64 s[16:17], s[4:5], exec
	s_and_b64 s[18:19], s[18:19], exec
.LBB1235_80:
	s_or_b64 exec, exec, s[14:15]
	s_and_b64 vcc, exec, s[12:13]
	v_lshlrev_b32_e32 v50, 2, v0
	s_cbranch_vccnz .LBB1235_82
	s_branch .LBB1235_90
.LBB1235_81:
                                        ; implicit-def: $sgpr16_sgpr17
                                        ; implicit-def: $vgpr2_vgpr3_vgpr4_vgpr5_vgpr6_vgpr7_vgpr8_vgpr9
                                        ; implicit-def: $vgpr10_vgpr11_vgpr12_vgpr13_vgpr14_vgpr15_vgpr16_vgpr17
                                        ; implicit-def: $vgpr18_vgpr19_vgpr20_vgpr21_vgpr22_vgpr23_vgpr24_vgpr25
                                        ; implicit-def: $vgpr43
                                        ; implicit-def: $vgpr38_vgpr39
	s_and_b64 vcc, exec, s[12:13]
	v_lshlrev_b32_e32 v50, 2, v0
	s_cbranch_vccz .LBB1235_90
.LBB1235_82:
	v_mov_b32_e32 v1, s43
	v_add_co_u32_e32 v2, vcc, s42, v50
	v_addc_co_u32_e32 v3, vcc, 0, v1, vcc
	v_add_co_u32_e32 v4, vcc, 0x1000, v2
	v_addc_co_u32_e32 v5, vcc, 0, v3, vcc
	flat_load_dword v6, v[2:3]
	flat_load_dword v7, v[2:3] offset:1024
	flat_load_dword v8, v[2:3] offset:2048
	;; [unrolled: 1-line block ×3, first 2 shown]
	flat_load_dword v10, v[4:5]
	flat_load_dword v11, v[4:5] offset:1024
	flat_load_dword v12, v[4:5] offset:2048
	;; [unrolled: 1-line block ×3, first 2 shown]
	v_add_co_u32_e32 v4, vcc, 0x2000, v2
	v_addc_co_u32_e32 v5, vcc, 0, v3, vcc
	v_add_co_u32_e32 v2, vcc, 0x3000, v2
	v_addc_co_u32_e32 v3, vcc, 0, v3, vcc
	flat_load_dword v14, v[4:5]
	flat_load_dword v15, v[4:5] offset:1024
	flat_load_dword v16, v[4:5] offset:2048
	;; [unrolled: 1-line block ×3, first 2 shown]
	flat_load_dword v18, v[2:3]
	flat_load_dword v19, v[2:3] offset:1024
	v_mad_u32_u24 v1, v0, 52, v50
	s_cmp_eq_u64 s[52:53], 0
	s_waitcnt vmcnt(0) lgkmcnt(0)
	ds_write2st64_b32 v50, v6, v7 offset1:4
	ds_write2st64_b32 v50, v8, v9 offset0:8 offset1:12
	ds_write2st64_b32 v50, v10, v11 offset0:16 offset1:20
	ds_write2st64_b32 v50, v12, v13 offset0:24 offset1:28
	ds_write2st64_b32 v50, v14, v15 offset0:32 offset1:36
	ds_write2st64_b32 v50, v16, v17 offset0:40 offset1:44
	ds_write2st64_b32 v50, v18, v19 offset0:48 offset1:52
	s_waitcnt lgkmcnt(0)
	s_barrier
	ds_read2_b64 v[2:5], v1 offset1:1
	ds_read2_b64 v[10:13], v1 offset0:2 offset1:3
	ds_read2_b64 v[18:21], v1 offset0:4 offset1:5
	ds_read_b64 v[6:7], v1 offset:48
	s_cbranch_scc1 .LBB1235_87
; %bb.83:
	s_andn2_b64 vcc, exec, s[44:45]
	s_cbranch_vccnz .LBB1235_188
; %bb.84:
	s_lshl_b64 s[4:5], s[52:53], 2
	s_add_u32 s4, s54, s4
	s_addc_u32 s5, s55, s5
	s_add_u32 s4, s4, -4
	s_addc_u32 s5, s5, -1
	s_cbranch_execnz .LBB1235_86
.LBB1235_85:
	s_add_u32 s4, s42, -4
	s_addc_u32 s5, s43, -1
.LBB1235_86:
	s_mov_b64 s[42:43], s[4:5]
.LBB1235_87:
	v_pk_mov_b32 v[8:9], s[42:43], s[42:43] op_sel:[0,1]
	flat_load_dword v8, v[8:9]
	s_movk_i32 s4, 0xffcc
	v_mad_i32_i24 v9, v0, s4, v1
	s_waitcnt lgkmcnt(0)
	ds_write_b32 v9, v7 offset:14336
	s_waitcnt lgkmcnt(0)
	s_barrier
	s_and_saveexec_b64 s[4:5], s[36:37]
	s_cbranch_execz .LBB1235_89
; %bb.88:
	s_waitcnt vmcnt(0)
	v_mul_i32_i24_e32 v8, 0xffffffcc, v0
	v_add_u32_e32 v8, v1, v8
	ds_read_b32 v8, v8 offset:14332
.LBB1235_89:
	s_or_b64 exec, exec, s[4:5]
	v_mov_b32_e32 v9, s63
	v_add_co_u32_e32 v14, vcc, s62, v50
	v_addc_co_u32_e32 v15, vcc, 0, v9, vcc
	s_movk_i32 s4, 0x1000
	v_add_co_u32_e32 v16, vcc, s4, v14
	v_addc_co_u32_e32 v17, vcc, 0, v15, vcc
	s_movk_i32 s4, 0x2000
	s_waitcnt lgkmcnt(0)
	s_barrier
	flat_load_dword v22, v[14:15]
	flat_load_dword v24, v[14:15] offset:1024
	flat_load_dword v26, v[14:15] offset:2048
	;; [unrolled: 1-line block ×3, first 2 shown]
	flat_load_dword v28, v[16:17]
	flat_load_dword v29, v[16:17] offset:1024
	flat_load_dword v30, v[16:17] offset:2048
	;; [unrolled: 1-line block ×3, first 2 shown]
	v_add_co_u32_e32 v16, vcc, s4, v14
	v_addc_co_u32_e32 v17, vcc, 0, v15, vcc
	s_movk_i32 s4, 0x3000
	v_add_co_u32_e32 v14, vcc, s4, v14
	v_addc_co_u32_e32 v15, vcc, 0, v15, vcc
	flat_load_dword v32, v[16:17]
	flat_load_dword v33, v[16:17] offset:1024
	flat_load_dword v34, v[16:17] offset:2048
	;; [unrolled: 1-line block ×3, first 2 shown]
	flat_load_dword v36, v[14:15]
	flat_load_dword v37, v[14:15] offset:1024
	s_waitcnt vmcnt(0)
	v_cmp_ne_u32_e32 vcc, v8, v2
	v_cndmask_b32_e64 v39, 0, 1, vcc
	v_cmp_ne_u32_e32 vcc, v5, v10
	v_cndmask_b32_e64 v9, 0, 1, vcc
	v_cmp_ne_u32_e32 vcc, v4, v5
	v_cmp_ne_u32_e64 s[16:17], v6, v7
	v_cndmask_b32_e64 v7, 0, 1, vcc
	v_cmp_ne_u32_e32 vcc, v3, v4
	v_cndmask_b32_e64 v5, 0, 1, vcc
	v_cmp_ne_u32_e32 vcc, v2, v3
	;; [unrolled: 2-line block ×10, first 2 shown]
	v_cndmask_b32_e64 v19, 0, 1, vcc
	s_mov_b64 s[18:19], -1
                                        ; implicit-def: $sgpr12_sgpr13
	s_waitcnt lgkmcnt(0)
	ds_write2st64_b32 v50, v22, v24 offset1:4
	ds_write2st64_b32 v50, v26, v27 offset0:8 offset1:12
	ds_write2st64_b32 v50, v28, v29 offset0:16 offset1:20
	;; [unrolled: 1-line block ×6, first 2 shown]
	s_waitcnt lgkmcnt(0)
	s_barrier
	ds_read2_b32 v[42:43], v1 offset1:13
	ds_read2_b32 v[26:27], v1 offset0:7 offset1:8
	ds_read2_b32 v[28:29], v1 offset0:5 offset1:6
	;; [unrolled: 1-line block ×6, first 2 shown]
	s_waitcnt lgkmcnt(6)
	v_mov_b32_e32 v38, v42
	s_waitcnt lgkmcnt(4)
	v_mov_b32_e32 v10, v28
	s_waitcnt lgkmcnt(3)
	v_mov_b32_e32 v6, v30
	s_waitcnt lgkmcnt(2)
	v_mov_b32_e32 v2, v32
	v_mov_b32_e32 v4, v33
	v_mov_b32_e32 v8, v31
	;; [unrolled: 1-line block ×5, first 2 shown]
	s_waitcnt lgkmcnt(0)
	v_mov_b32_e32 v18, v36
	v_mov_b32_e32 v20, v37
	;; [unrolled: 1-line block ×4, first 2 shown]
.LBB1235_90:
	v_pk_mov_b32 v[40:41], s[12:13], s[12:13] op_sel:[0,1]
	s_and_saveexec_b64 s[4:5], s[18:19]
	s_cbranch_execz .LBB1235_92
; %bb.91:
	v_cndmask_b32_e64 v41, 0, 1, s[16:17]
	s_waitcnt lgkmcnt(0)
	v_mov_b32_e32 v40, v43
.LBB1235_92:
	s_or_b64 exec, exec, s[4:5]
	s_mov_b32 s4, 0
	s_cmp_lg_u32 s59, 0
	v_mbcnt_lo_u32_b32 v52, -1, 0
	v_lshrrev_b32_e32 v1, 6, v0
	v_or_b32_e32 v51, 63, v0
	s_waitcnt lgkmcnt(0)
	s_barrier
	s_cbranch_scc0 .LBB1235_125
; %bb.93:
	s_mov_b32 s5, 1
	v_cmp_gt_u64_e64 s[6:7], s[4:5], v[2:3]
	v_cndmask_b32_e64 v27, 0, v38, s[6:7]
	v_add_u32_e32 v27, v27, v2
	v_cmp_gt_u64_e64 s[8:9], s[4:5], v[4:5]
	v_cndmask_b32_e64 v27, 0, v27, s[8:9]
	v_add_u32_e32 v27, v27, v4
	;; [unrolled: 3-line block ×13, first 2 shown]
	v_or3_b32 v27, v41, v25, v23
	v_or3_b32 v27, v27, v21, v19
	;; [unrolled: 1-line block ×6, first 2 shown]
	v_mov_b32_e32 v26, 0
	v_and_b32_e32 v27, 1, v27
	v_cmp_eq_u64_e32 vcc, 0, v[26:27]
	v_cndmask_b32_e32 v26, 1, v39, vcc
	v_mbcnt_hi_u32_b32 v46, -1, v52
	v_mov_b32_dpp v29, v28 row_shr:1 row_mask:0xf bank_mask:0xf
	v_mov_b32_dpp v30, v26 row_shr:1 row_mask:0xf bank_mask:0xf
	v_cmp_eq_u32_e32 vcc, 0, v26
	v_and_b32_e32 v31, 1, v26
	v_and_b32_e32 v27, 15, v46
	v_cndmask_b32_e32 v29, 0, v29, vcc
	v_and_b32_e32 v30, 1, v30
	v_cmp_eq_u32_e32 vcc, 1, v31
	v_cndmask_b32_e64 v30, v30, 1, vcc
	v_cmp_eq_u32_e32 vcc, 0, v27
	v_cndmask_b32_e32 v26, v30, v26, vcc
	v_and_b32_e32 v31, 1, v26
	v_cmp_eq_u32_e64 s[4:5], 1, v31
	v_mov_b32_dpp v30, v26 row_shr:2 row_mask:0xf bank_mask:0xf
	v_and_b32_e32 v30, 1, v30
	v_cndmask_b32_e64 v30, v30, 1, s[4:5]
	v_cmp_lt_u32_e64 s[4:5], 1, v27
	v_cndmask_b32_e64 v29, v29, 0, vcc
	v_cmp_eq_u32_e32 vcc, 0, v26
	v_cndmask_b32_e64 v26, v26, v30, s[4:5]
	v_add_u32_e32 v28, v29, v28
	v_and_b32_e32 v31, 1, v26
	v_mov_b32_dpp v30, v26 row_shr:4 row_mask:0xf bank_mask:0xf
	v_mov_b32_dpp v29, v28 row_shr:2 row_mask:0xf bank_mask:0xf
	s_and_b64 vcc, s[4:5], vcc
	v_and_b32_e32 v30, 1, v30
	v_cmp_eq_u32_e64 s[4:5], 1, v31
	v_cndmask_b32_e32 v29, 0, v29, vcc
	v_cndmask_b32_e64 v30, v30, 1, s[4:5]
	v_cmp_lt_u32_e64 s[4:5], 3, v27
	v_add_u32_e32 v28, v29, v28
	v_cmp_eq_u32_e32 vcc, 0, v26
	v_cndmask_b32_e64 v26, v26, v30, s[4:5]
	v_mov_b32_dpp v29, v28 row_shr:4 row_mask:0xf bank_mask:0xf
	s_and_b64 vcc, s[4:5], vcc
	v_mov_b32_dpp v30, v26 row_shr:8 row_mask:0xf bank_mask:0xf
	v_and_b32_e32 v31, 1, v26
	v_cndmask_b32_e32 v29, 0, v29, vcc
	v_and_b32_e32 v30, 1, v30
	v_cmp_eq_u32_e64 s[4:5], 1, v31
	v_add_u32_e32 v28, v29, v28
	v_cmp_eq_u32_e32 vcc, 0, v26
	v_cndmask_b32_e64 v30, v30, 1, s[4:5]
	v_cmp_lt_u32_e64 s[4:5], 7, v27
	v_mov_b32_dpp v29, v28 row_shr:8 row_mask:0xf bank_mask:0xf
	s_and_b64 vcc, s[4:5], vcc
	v_cndmask_b32_e32 v27, 0, v29, vcc
	v_cndmask_b32_e64 v26, v26, v30, s[4:5]
	v_add_u32_e32 v27, v27, v28
	v_cmp_eq_u32_e32 vcc, 0, v26
	v_mov_b32_dpp v29, v26 row_bcast:15 row_mask:0xf bank_mask:0xf
	v_mov_b32_dpp v28, v27 row_bcast:15 row_mask:0xf bank_mask:0xf
	v_and_b32_e32 v32, 1, v26
	v_and_b32_e32 v31, 16, v46
	v_cndmask_b32_e32 v28, 0, v28, vcc
	v_and_b32_e32 v29, 1, v29
	v_cmp_eq_u32_e32 vcc, 1, v32
	v_bfe_i32 v30, v46, 4, 1
	v_cndmask_b32_e64 v29, v29, 1, vcc
	v_cmp_eq_u32_e32 vcc, 0, v31
	v_and_b32_e32 v28, v30, v28
	v_cndmask_b32_e32 v26, v29, v26, vcc
	v_add_u32_e32 v27, v28, v27
	v_and_b32_e32 v30, 1, v26
	v_mov_b32_dpp v28, v26 row_bcast:31 row_mask:0xf bank_mask:0xf
	v_and_b32_e32 v28, 1, v28
	v_cmp_eq_u32_e64 s[4:5], 1, v30
	v_cmp_eq_u32_e32 vcc, 0, v26
	v_cndmask_b32_e64 v28, v28, 1, s[4:5]
	v_cmp_lt_u32_e64 s[4:5], 31, v46
	v_mov_b32_dpp v29, v27 row_bcast:31 row_mask:0xf bank_mask:0xf
	s_and_b64 vcc, s[4:5], vcc
	v_cndmask_b32_e64 v28, v26, v28, s[4:5]
	v_cndmask_b32_e32 v26, 0, v29, vcc
	v_add_u32_e32 v29, v26, v27
	v_cmp_eq_u32_e32 vcc, v51, v0
	s_and_saveexec_b64 s[4:5], vcc
	s_cbranch_execz .LBB1235_95
; %bb.94:
	v_lshlrev_b32_e32 v26, 3, v1
	ds_write_b32 v26, v29
	ds_write_b8 v26, v28 offset:4
.LBB1235_95:
	s_or_b64 exec, exec, s[4:5]
	v_cmp_gt_u32_e32 vcc, 4, v0
	s_waitcnt lgkmcnt(0)
	s_barrier
	s_and_saveexec_b64 s[4:5], vcc
	s_cbranch_execz .LBB1235_99
; %bb.96:
	v_lshlrev_b32_e32 v30, 3, v0
	ds_read_b64 v[26:27], v30
	v_and_b32_e32 v31, 3, v46
	v_cmp_ne_u32_e32 vcc, 0, v31
	s_waitcnt lgkmcnt(0)
	v_mov_b32_dpp v32, v26 row_shr:1 row_mask:0xf bank_mask:0xf
	v_mov_b32_dpp v34, v27 row_shr:1 row_mask:0xf bank_mask:0xf
	v_mov_b32_e32 v33, v27
	s_and_saveexec_b64 s[34:35], vcc
	s_cbranch_execz .LBB1235_98
; %bb.97:
	v_and_b32_e32 v33, 1, v27
	v_and_b32_e32 v34, 1, v34
	v_cmp_eq_u32_e32 vcc, 1, v33
	v_mov_b32_e32 v33, 0
	v_cndmask_b32_e64 v34, v34, 1, vcc
	v_cmp_eq_u16_sdwa vcc, v27, v33 src0_sel:BYTE_0 src1_sel:DWORD
	v_cndmask_b32_e32 v32, 0, v32, vcc
	v_add_u32_e32 v26, v32, v26
	v_and_b32_e32 v32, 0xffff, v34
	s_movk_i32 s42, 0xff00
	v_and_or_b32 v33, v27, s42, v32
	v_mov_b32_e32 v27, v34
.LBB1235_98:
	s_or_b64 exec, exec, s[34:35]
	v_mov_b32_dpp v33, v33 row_shr:2 row_mask:0xf bank_mask:0xf
	v_and_b32_e32 v34, 1, v27
	v_and_b32_e32 v33, 1, v33
	v_cmp_eq_u32_e32 vcc, 1, v34
	v_mov_b32_e32 v34, 0
	v_cndmask_b32_e64 v33, v33, 1, vcc
	v_cmp_eq_u16_sdwa s[34:35], v27, v34 src0_sel:BYTE_0 src1_sel:DWORD
	v_cmp_lt_u32_e32 vcc, 1, v31
	v_mov_b32_dpp v32, v26 row_shr:2 row_mask:0xf bank_mask:0xf
	v_cndmask_b32_e32 v27, v27, v33, vcc
	s_and_b64 vcc, vcc, s[34:35]
	v_cndmask_b32_e32 v31, 0, v32, vcc
	v_add_u32_e32 v26, v31, v26
	ds_write_b32 v30, v26
	ds_write_b8 v30, v27 offset:4
.LBB1235_99:
	s_or_b64 exec, exec, s[4:5]
	v_cmp_gt_u32_e32 vcc, 64, v0
	v_cmp_lt_u32_e64 s[4:5], 63, v0
	v_mov_b32_e32 v42, 0
	v_mov_b32_e32 v43, 0
	s_waitcnt lgkmcnt(0)
	s_barrier
	s_and_saveexec_b64 s[34:35], s[4:5]
	s_cbranch_execz .LBB1235_101
; %bb.100:
	v_lshl_add_u32 v26, v1, 3, -8
	ds_read_b32 v42, v26
	ds_read_u8 v43, v26 offset:4
	v_and_b32_e32 v27, 1, v28
	v_cmp_eq_u32_e64 s[4:5], 0, v28
	s_waitcnt lgkmcnt(1)
	v_cndmask_b32_e64 v26, 0, v42, s[4:5]
	v_cmp_eq_u32_e64 s[4:5], 1, v27
	v_add_u32_e32 v29, v26, v29
	s_waitcnt lgkmcnt(0)
	v_cndmask_b32_e64 v28, v43, 1, s[4:5]
.LBB1235_101:
	s_or_b64 exec, exec, s[34:35]
	v_add_u32_e32 v26, -1, v46
	v_and_b32_e32 v27, 64, v46
	v_cmp_lt_i32_e64 s[4:5], v26, v27
	v_cndmask_b32_e64 v26, v26, v46, s[4:5]
	v_lshlrev_b32_e32 v26, 2, v26
	ds_bpermute_b32 v44, v26, v29
	ds_bpermute_b32 v45, v26, v28
	v_cmp_eq_u32_e64 s[34:35], 0, v46
	s_and_saveexec_b64 s[42:43], vcc
	s_cbranch_execz .LBB1235_124
; %bb.102:
	v_mov_b32_e32 v29, 0
	ds_read_b64 v[26:27], v29 offset:24
	s_waitcnt lgkmcnt(0)
	v_readfirstlane_b32 s52, v27
	s_and_saveexec_b64 s[4:5], s[34:35]
	s_cbranch_execz .LBB1235_104
; %bb.103:
	s_add_i32 s44, s59, 64
	s_mov_b32 s45, 0
	s_lshl_b64 s[48:49], s[44:45], 4
	s_add_u32 s48, s56, s48
	s_addc_u32 s49, s57, s49
	s_and_b32 s55, s52, 0xff000000
	s_mov_b32 s54, s45
	s_and_b32 s63, s52, 0xff0000
	s_mov_b32 s62, s45
	s_or_b64 s[54:55], s[62:63], s[54:55]
	s_and_b32 s63, s52, 0xff00
	s_or_b64 s[54:55], s[54:55], s[62:63]
	s_and_b32 s63, s52, 0xff
	s_or_b64 s[44:45], s[54:55], s[62:63]
	v_mov_b32_e32 v27, s45
	v_mov_b32_e32 v28, 1
	v_pk_mov_b32 v[30:31], s[48:49], s[48:49] op_sel:[0,1]
	;;#ASMSTART
	global_store_dwordx4 v[30:31], v[26:29] off	
s_waitcnt vmcnt(0)
	;;#ASMEND
.LBB1235_104:
	s_or_b64 exec, exec, s[4:5]
	v_xad_u32 v34, v46, -1, s59
	v_add_u32_e32 v28, 64, v34
	v_lshlrev_b64 v[30:31], 4, v[28:29]
	v_mov_b32_e32 v27, s57
	v_add_co_u32_e32 v36, vcc, s56, v30
	v_addc_co_u32_e32 v37, vcc, v27, v31, vcc
	;;#ASMSTART
	global_load_dwordx4 v[30:33], v[36:37] off glc	
s_waitcnt vmcnt(0)
	;;#ASMEND
	v_and_b32_e32 v27, 0xff0000, v30
	v_or_b32_sdwa v27, v30, v27 dst_sel:DWORD dst_unused:UNUSED_PAD src0_sel:WORD_0 src1_sel:DWORD
	v_and_b32_e32 v28, 0xff000000, v30
	v_and_b32_e32 v30, 0xff, v31
	v_or3_b32 v31, 0, 0, v30
	v_or3_b32 v30, v27, v28, 0
	v_cmp_eq_u16_sdwa s[44:45], v32, v29 src0_sel:BYTE_0 src1_sel:DWORD
	s_and_saveexec_b64 s[4:5], s[44:45]
	s_cbranch_execz .LBB1235_110
; %bb.105:
	s_mov_b32 s48, 1
	s_mov_b64 s[44:45], 0
	v_mov_b32_e32 v27, 0
.LBB1235_106:                           ; =>This Loop Header: Depth=1
                                        ;     Child Loop BB1235_107 Depth 2
	s_max_u32 s49, s48, 1
.LBB1235_107:                           ;   Parent Loop BB1235_106 Depth=1
                                        ; =>  This Inner Loop Header: Depth=2
	s_add_i32 s49, s49, -1
	s_cmp_eq_u32 s49, 0
	s_sleep 1
	s_cbranch_scc0 .LBB1235_107
; %bb.108:                              ;   in Loop: Header=BB1235_106 Depth=1
	s_cmp_lt_u32 s48, 32
	s_cselect_b64 s[54:55], -1, 0
	s_cmp_lg_u64 s[54:55], 0
	s_addc_u32 s48, s48, 0
	;;#ASMSTART
	global_load_dwordx4 v[30:33], v[36:37] off glc	
s_waitcnt vmcnt(0)
	;;#ASMEND
	v_cmp_ne_u16_sdwa s[54:55], v32, v27 src0_sel:BYTE_0 src1_sel:DWORD
	s_or_b64 s[44:45], s[54:55], s[44:45]
	s_andn2_b64 exec, exec, s[44:45]
	s_cbranch_execnz .LBB1235_106
; %bb.109:
	s_or_b64 exec, exec, s[44:45]
	v_and_b32_e32 v31, 0xff, v31
.LBB1235_110:
	s_or_b64 exec, exec, s[4:5]
	v_mov_b32_e32 v27, 2
	v_cmp_eq_u16_sdwa s[4:5], v32, v27 src0_sel:BYTE_0 src1_sel:DWORD
	v_lshlrev_b64 v[28:29], v46, -1
	v_and_b32_e32 v33, s5, v29
	v_or_b32_e32 v33, 0x80000000, v33
	v_and_b32_e32 v35, s4, v28
	v_ffbl_b32_e32 v33, v33
	v_and_b32_e32 v47, 63, v46
	v_add_u32_e32 v33, 32, v33
	v_ffbl_b32_e32 v35, v35
	v_cmp_ne_u32_e32 vcc, 63, v47
	v_min_u32_e32 v33, v35, v33
	v_addc_co_u32_e32 v35, vcc, 0, v46, vcc
	v_lshlrev_b32_e32 v48, 2, v35
	ds_bpermute_b32 v35, v48, v31
	ds_bpermute_b32 v36, v48, v30
	s_mov_b32 s44, 0
	v_and_b32_e32 v37, 1, v31
	s_mov_b32 s45, 1
	s_waitcnt lgkmcnt(1)
	v_and_b32_e32 v35, 1, v35
	v_cmp_eq_u32_e32 vcc, 1, v37
	v_cndmask_b32_e64 v35, v35, 1, vcc
	v_cmp_gt_u64_e32 vcc, s[44:45], v[30:31]
	v_cmp_lt_u32_e64 s[4:5], v47, v33
	s_and_b64 vcc, s[4:5], vcc
	v_and_b32_e32 v37, 0xffff, v35
	v_cndmask_b32_e64 v54, v31, v35, s[4:5]
	s_waitcnt lgkmcnt(0)
	v_cndmask_b32_e32 v35, 0, v36, vcc
	v_cmp_gt_u32_e32 vcc, 62, v47
	v_cndmask_b32_e64 v36, 0, 1, vcc
	v_lshlrev_b32_e32 v36, 1, v36
	v_cndmask_b32_e64 v31, v31, v37, s[4:5]
	v_add_lshl_u32 v49, v36, v46, 2
	ds_bpermute_b32 v36, v49, v31
	v_add_u32_e32 v30, v35, v30
	ds_bpermute_b32 v37, v49, v30
	v_and_b32_e32 v35, 1, v54
	v_cmp_eq_u32_e32 vcc, 1, v35
	s_waitcnt lgkmcnt(1)
	v_and_b32_e32 v36, 1, v36
	v_mov_b32_e32 v35, 0
	v_add_u32_e32 v53, 2, v47
	v_cndmask_b32_e64 v36, v36, 1, vcc
	v_cmp_eq_u16_sdwa vcc, v54, v35 src0_sel:BYTE_0 src1_sel:DWORD
	v_and_b32_e32 v55, 0xffff, v36
	s_waitcnt lgkmcnt(0)
	v_cndmask_b32_e32 v37, 0, v37, vcc
	v_cmp_gt_u32_e32 vcc, v53, v33
	v_cndmask_b32_e32 v36, v36, v54, vcc
	v_cndmask_b32_e64 v37, v37, 0, vcc
	v_cndmask_b32_e32 v31, v55, v31, vcc
	v_cmp_gt_u32_e32 vcc, 60, v47
	v_cndmask_b32_e64 v54, 0, 1, vcc
	v_lshlrev_b32_e32 v54, 2, v54
	v_add_lshl_u32 v54, v54, v46, 2
	ds_bpermute_b32 v56, v54, v31
	v_add_u32_e32 v30, v37, v30
	ds_bpermute_b32 v37, v54, v30
	v_and_b32_e32 v57, 1, v36
	v_cmp_eq_u32_e32 vcc, 1, v57
	s_waitcnt lgkmcnt(1)
	v_and_b32_e32 v56, 1, v56
	v_add_u32_e32 v55, 4, v47
	v_cndmask_b32_e64 v56, v56, 1, vcc
	v_cmp_eq_u16_sdwa vcc, v36, v35 src0_sel:BYTE_0 src1_sel:DWORD
	v_and_b32_e32 v57, 0xffff, v56
	s_waitcnt lgkmcnt(0)
	v_cndmask_b32_e32 v37, 0, v37, vcc
	v_cmp_gt_u32_e32 vcc, v55, v33
	v_cndmask_b32_e32 v36, v56, v36, vcc
	v_cndmask_b32_e64 v37, v37, 0, vcc
	v_cndmask_b32_e32 v31, v57, v31, vcc
	v_cmp_gt_u32_e32 vcc, 56, v47
	v_cndmask_b32_e64 v56, 0, 1, vcc
	v_lshlrev_b32_e32 v56, 3, v56
	v_add_lshl_u32 v56, v56, v46, 2
	ds_bpermute_b32 v58, v56, v31
	v_add_u32_e32 v30, v37, v30
	ds_bpermute_b32 v37, v56, v30
	v_and_b32_e32 v59, 1, v36
	v_cmp_eq_u32_e32 vcc, 1, v59
	s_waitcnt lgkmcnt(1)
	v_and_b32_e32 v58, 1, v58
	;; [unrolled: 21-line block ×4, first 2 shown]
	v_add_u32_e32 v62, 32, v47
	v_cndmask_b32_e64 v31, v31, 1, vcc
	v_cmp_eq_u16_sdwa vcc, v36, v35 src0_sel:BYTE_0 src1_sel:DWORD
	s_waitcnt lgkmcnt(0)
	v_cndmask_b32_e32 v37, 0, v37, vcc
	v_cmp_gt_u32_e32 vcc, v62, v33
	v_cndmask_b32_e64 v33, v37, 0, vcc
	v_cndmask_b32_e32 v31, v31, v36, vcc
	v_add_u32_e32 v30, v33, v30
	s_branch .LBB1235_112
.LBB1235_111:                           ;   in Loop: Header=BB1235_112 Depth=1
	s_or_b64 exec, exec, s[4:5]
	v_cmp_eq_u16_sdwa s[4:5], v32, v27 src0_sel:BYTE_0 src1_sel:DWORD
	v_and_b32_e32 v33, s5, v29
	ds_bpermute_b32 v37, v48, v31
	v_or_b32_e32 v33, 0x80000000, v33
	v_and_b32_e32 v36, s4, v28
	v_ffbl_b32_e32 v33, v33
	v_add_u32_e32 v33, 32, v33
	v_ffbl_b32_e32 v36, v36
	v_min_u32_e32 v33, v36, v33
	ds_bpermute_b32 v36, v48, v30
	v_and_b32_e32 v63, 1, v31
	s_waitcnt lgkmcnt(1)
	v_and_b32_e32 v37, 1, v37
	v_cmp_eq_u32_e32 vcc, 1, v63
	v_cndmask_b32_e64 v37, v37, 1, vcc
	v_cmp_gt_u64_e32 vcc, s[44:45], v[30:31]
	v_and_b32_e32 v63, 0xffff, v37
	v_cmp_lt_u32_e64 s[4:5], v47, v33
	v_cndmask_b32_e64 v37, v31, v37, s[4:5]
	v_cndmask_b32_e64 v31, v31, v63, s[4:5]
	s_and_b64 vcc, s[4:5], vcc
	ds_bpermute_b32 v63, v49, v31
	s_waitcnt lgkmcnt(1)
	v_cndmask_b32_e32 v36, 0, v36, vcc
	v_add_u32_e32 v30, v36, v30
	ds_bpermute_b32 v36, v49, v30
	v_and_b32_e32 v64, 1, v37
	s_waitcnt lgkmcnt(1)
	v_and_b32_e32 v63, 1, v63
	v_cmp_eq_u32_e32 vcc, 1, v64
	v_cndmask_b32_e64 v63, v63, 1, vcc
	v_cmp_eq_u16_sdwa vcc, v37, v35 src0_sel:BYTE_0 src1_sel:DWORD
	v_and_b32_e32 v64, 0xffff, v63
	s_waitcnt lgkmcnt(0)
	v_cndmask_b32_e32 v36, 0, v36, vcc
	v_cmp_gt_u32_e32 vcc, v53, v33
	v_cndmask_b32_e32 v31, v64, v31, vcc
	v_cndmask_b32_e32 v37, v63, v37, vcc
	ds_bpermute_b32 v63, v54, v31
	v_cndmask_b32_e64 v36, v36, 0, vcc
	v_add_u32_e32 v30, v36, v30
	ds_bpermute_b32 v36, v54, v30
	v_and_b32_e32 v64, 1, v37
	s_waitcnt lgkmcnt(1)
	v_and_b32_e32 v63, 1, v63
	v_cmp_eq_u32_e32 vcc, 1, v64
	v_cndmask_b32_e64 v63, v63, 1, vcc
	v_cmp_eq_u16_sdwa vcc, v37, v35 src0_sel:BYTE_0 src1_sel:DWORD
	v_and_b32_e32 v64, 0xffff, v63
	s_waitcnt lgkmcnt(0)
	v_cndmask_b32_e32 v36, 0, v36, vcc
	v_cmp_gt_u32_e32 vcc, v55, v33
	v_cndmask_b32_e32 v31, v64, v31, vcc
	v_cndmask_b32_e32 v37, v63, v37, vcc
	ds_bpermute_b32 v63, v56, v31
	v_cndmask_b32_e64 v36, v36, 0, vcc
	v_add_u32_e32 v30, v36, v30
	ds_bpermute_b32 v36, v56, v30
	v_and_b32_e32 v64, 1, v37
	s_waitcnt lgkmcnt(1)
	v_and_b32_e32 v63, 1, v63
	v_cmp_eq_u32_e32 vcc, 1, v64
	v_cndmask_b32_e64 v63, v63, 1, vcc
	v_cmp_eq_u16_sdwa vcc, v37, v35 src0_sel:BYTE_0 src1_sel:DWORD
	v_and_b32_e32 v64, 0xffff, v63
	s_waitcnt lgkmcnt(0)
	v_cndmask_b32_e32 v36, 0, v36, vcc
	v_cmp_gt_u32_e32 vcc, v57, v33
	v_cndmask_b32_e32 v31, v64, v31, vcc
	v_cndmask_b32_e32 v37, v63, v37, vcc
	ds_bpermute_b32 v63, v58, v31
	v_cndmask_b32_e64 v36, v36, 0, vcc
	v_add_u32_e32 v30, v36, v30
	ds_bpermute_b32 v36, v58, v30
	v_and_b32_e32 v64, 1, v37
	s_waitcnt lgkmcnt(1)
	v_and_b32_e32 v63, 1, v63
	v_cmp_eq_u32_e32 vcc, 1, v64
	v_cndmask_b32_e64 v63, v63, 1, vcc
	v_cmp_eq_u16_sdwa vcc, v37, v35 src0_sel:BYTE_0 src1_sel:DWORD
	v_and_b32_e32 v64, 0xffff, v63
	s_waitcnt lgkmcnt(0)
	v_cndmask_b32_e32 v36, 0, v36, vcc
	v_cmp_gt_u32_e32 vcc, v59, v33
	v_cndmask_b32_e64 v36, v36, 0, vcc
	v_cndmask_b32_e32 v31, v64, v31, vcc
	ds_bpermute_b32 v31, v61, v31
	v_add_u32_e32 v30, v36, v30
	ds_bpermute_b32 v36, v61, v30
	v_cndmask_b32_e32 v37, v63, v37, vcc
	v_and_b32_e32 v63, 1, v37
	v_cmp_eq_u32_e32 vcc, 1, v63
	s_waitcnt lgkmcnt(1)
	v_cndmask_b32_e64 v31, v31, 1, vcc
	v_cmp_eq_u16_sdwa vcc, v37, v35 src0_sel:BYTE_0 src1_sel:DWORD
	s_waitcnt lgkmcnt(0)
	v_cndmask_b32_e32 v36, 0, v36, vcc
	v_cmp_gt_u32_e32 vcc, v62, v33
	v_cndmask_b32_e64 v33, v36, 0, vcc
	v_cndmask_b32_e32 v31, v31, v37, vcc
	v_add_u32_e32 v30, v33, v30
	v_cmp_eq_u16_sdwa vcc, v46, v35 src0_sel:BYTE_0 src1_sel:DWORD
	v_and_b32_e32 v33, 1, v46
	v_cndmask_b32_e32 v30, 0, v30, vcc
	v_and_b32_e32 v31, 1, v31
	v_cmp_eq_u32_e32 vcc, 1, v33
	v_subrev_u32_e32 v34, 64, v34
	v_add_u32_e32 v30, v30, v60
	v_cndmask_b32_e64 v31, v31, 1, vcc
.LBB1235_112:                           ; =>This Loop Header: Depth=1
                                        ;     Child Loop BB1235_115 Depth 2
                                        ;       Child Loop BB1235_116 Depth 3
	v_cmp_ne_u16_sdwa s[4:5], v32, v27 src0_sel:BYTE_0 src1_sel:DWORD
	v_mov_b32_e32 v46, v31
	v_cndmask_b32_e64 v31, 0, 1, s[4:5]
	;;#ASMSTART
	;;#ASMEND
	v_cmp_ne_u32_e32 vcc, 0, v31
	s_cmp_lg_u64 vcc, exec
	v_mov_b32_e32 v60, v30
	s_cbranch_scc1 .LBB1235_119
; %bb.113:                              ;   in Loop: Header=BB1235_112 Depth=1
	v_lshlrev_b64 v[30:31], 4, v[34:35]
	v_mov_b32_e32 v32, s57
	v_add_co_u32_e32 v36, vcc, s56, v30
	v_addc_co_u32_e32 v37, vcc, v32, v31, vcc
	;;#ASMSTART
	global_load_dwordx4 v[30:33], v[36:37] off glc	
s_waitcnt vmcnt(0)
	;;#ASMEND
	v_and_b32_e32 v33, 0xff0000, v30
	v_or_b32_sdwa v33, v30, v33 dst_sel:DWORD dst_unused:UNUSED_PAD src0_sel:WORD_0 src1_sel:DWORD
	v_and_b32_e32 v30, 0xff000000, v30
	v_and_b32_e32 v31, 0xff, v31
	v_or3_b32 v31, 0, 0, v31
	v_or3_b32 v30, v33, v30, 0
	v_cmp_eq_u16_sdwa s[48:49], v32, v35 src0_sel:BYTE_0 src1_sel:DWORD
	s_and_saveexec_b64 s[4:5], s[48:49]
	s_cbranch_execz .LBB1235_111
; %bb.114:                              ;   in Loop: Header=BB1235_112 Depth=1
	s_mov_b32 s53, 1
	s_mov_b64 s[48:49], 0
.LBB1235_115:                           ;   Parent Loop BB1235_112 Depth=1
                                        ; =>  This Loop Header: Depth=2
                                        ;       Child Loop BB1235_116 Depth 3
	s_max_u32 s54, s53, 1
.LBB1235_116:                           ;   Parent Loop BB1235_112 Depth=1
                                        ;     Parent Loop BB1235_115 Depth=2
                                        ; =>    This Inner Loop Header: Depth=3
	s_add_i32 s54, s54, -1
	s_cmp_eq_u32 s54, 0
	s_sleep 1
	s_cbranch_scc0 .LBB1235_116
; %bb.117:                              ;   in Loop: Header=BB1235_115 Depth=2
	s_cmp_lt_u32 s53, 32
	s_cselect_b64 s[54:55], -1, 0
	s_cmp_lg_u64 s[54:55], 0
	s_addc_u32 s53, s53, 0
	;;#ASMSTART
	global_load_dwordx4 v[30:33], v[36:37] off glc	
s_waitcnt vmcnt(0)
	;;#ASMEND
	v_cmp_ne_u16_sdwa s[54:55], v32, v35 src0_sel:BYTE_0 src1_sel:DWORD
	s_or_b64 s[48:49], s[54:55], s[48:49]
	s_andn2_b64 exec, exec, s[48:49]
	s_cbranch_execnz .LBB1235_115
; %bb.118:                              ;   in Loop: Header=BB1235_112 Depth=1
	s_or_b64 exec, exec, s[48:49]
	v_and_b32_e32 v31, 0xff, v31
	s_branch .LBB1235_111
.LBB1235_119:                           ;   in Loop: Header=BB1235_112 Depth=1
                                        ; implicit-def: $vgpr31
                                        ; implicit-def: $vgpr30
                                        ; implicit-def: $vgpr32
	s_cbranch_execz .LBB1235_112
; %bb.120:
	s_and_saveexec_b64 s[4:5], s[34:35]
	s_cbranch_execz .LBB1235_122
; %bb.121:
	s_and_b32 s44, s52, 0xff
	s_cmp_eq_u32 s44, 0
	s_cselect_b64 vcc, -1, 0
	s_bitcmp1_b32 s52, 0
	s_mov_b32 s45, 0
	s_cselect_b64 s[48:49], -1, 0
	s_add_i32 s44, s59, 64
	s_lshl_b64 s[44:45], s[44:45], 4
	v_cndmask_b32_e32 v27, 0, v60, vcc
	s_add_u32 s44, s56, s44
	v_add_u32_e32 v26, v27, v26
	v_and_b32_e32 v27, 1, v46
	s_addc_u32 s45, s57, s45
	v_mov_b32_e32 v29, 0
	v_cndmask_b32_e64 v27, v27, 1, s[48:49]
	v_mov_b32_e32 v28, 2
	v_pk_mov_b32 v[30:31], s[44:45], s[44:45] op_sel:[0,1]
	;;#ASMSTART
	global_store_dwordx4 v[30:31], v[26:29] off	
s_waitcnt vmcnt(0)
	;;#ASMEND
.LBB1235_122:
	s_or_b64 exec, exec, s[4:5]
	s_and_b64 exec, exec, s[0:1]
	s_cbranch_execz .LBB1235_124
; %bb.123:
	v_mov_b32_e32 v26, 0
	ds_write_b32 v26, v60 offset:24
	ds_write_b8 v26, v46 offset:28
.LBB1235_124:
	s_or_b64 exec, exec, s[42:43]
	s_mov_b32 s4, 0
	v_mov_b32_e32 v28, 0
	s_mov_b32 s5, 1
	s_waitcnt lgkmcnt(0)
	v_cndmask_b32_e64 v26, v45, v43, s[34:35]
	v_cndmask_b32_e64 v27, v44, v42, s[34:35]
	s_barrier
	ds_read_b32 v29, v28 offset:24
	v_cmp_gt_u64_e32 vcc, s[4:5], v[38:39]
	v_and_b32_e32 v30, 1, v39
	v_cndmask_b32_e32 v27, 0, v27, vcc
	v_and_b32_e32 v26, 1, v26
	v_cmp_eq_u32_e32 vcc, 1, v30
	v_cndmask_b32_e64 v26, v26, 1, vcc
	v_cndmask_b32_e64 v26, v26, v39, s[0:1]
	v_cmp_eq_u16_sdwa vcc, v26, v28 src0_sel:BYTE_0 src1_sel:DWORD
	v_cndmask_b32_e64 v27, v27, 0, s[0:1]
	s_waitcnt lgkmcnt(0)
	v_cndmask_b32_e32 v26, 0, v29, vcc
	v_add3_u32 v26, v27, v38, v26
	v_cndmask_b32_e64 v27, 0, v26, s[6:7]
	v_add_u32_e32 v27, v27, v2
	v_cndmask_b32_e64 v28, 0, v27, s[8:9]
	v_add_u32_e32 v42, v28, v4
	;; [unrolled: 2-line block ×13, first 2 shown]
	s_branch .LBB1235_141
.LBB1235_125:
                                        ; implicit-def: $vgpr49
                                        ; implicit-def: $vgpr47
                                        ; implicit-def: $vgpr45
                                        ; implicit-def: $vgpr43
                                        ; implicit-def: $vgpr34_vgpr35_vgpr36_vgpr37
                                        ; implicit-def: $vgpr30_vgpr31_vgpr32_vgpr33
                                        ; implicit-def: $vgpr26_vgpr27_vgpr28_vgpr29
	s_cbranch_execz .LBB1235_141
; %bb.126:
	s_cmp_lg_u64 s[60:61], 0
	s_cselect_b32 s9, s51, 0
	s_cselect_b32 s8, s50, 0
	s_cmp_lg_u64 s[8:9], 0
	s_cselect_b64 s[6:7], -1, 0
	s_mov_b32 s4, 0
	s_and_b64 s[10:11], s[0:1], s[6:7]
	s_and_saveexec_b64 s[6:7], s[10:11]
	s_cbranch_execz .LBB1235_128
; %bb.127:
	v_mov_b32_e32 v26, 0
	global_load_dword v28, v26, s[8:9]
	global_load_ubyte v29, v26, s[8:9] offset:4
	s_mov_b32 s5, 1
	v_and_b32_e32 v27, 1, v39
	v_cmp_gt_u64_e32 vcc, s[4:5], v[38:39]
	s_waitcnt vmcnt(1)
	v_cndmask_b32_e32 v28, 0, v28, vcc
	s_waitcnt vmcnt(0)
	v_and_b32_e32 v29, 1, v29
	v_cmp_eq_u64_e32 vcc, 0, v[26:27]
	v_add_u32_e32 v38, v28, v38
	v_cndmask_b32_e32 v39, 1, v29, vcc
.LBB1235_128:
	s_or_b64 exec, exec, s[6:7]
	s_mov_b32 s5, 1
	v_cmp_gt_u64_e32 vcc, s[4:5], v[2:3]
	v_cndmask_b32_e32 v26, 0, v38, vcc
	v_add_u32_e32 v27, v26, v2
	v_cmp_gt_u64_e64 s[6:7], s[4:5], v[4:5]
	v_cndmask_b32_e64 v26, 0, v27, s[6:7]
	v_add_u32_e32 v42, v26, v4
	v_cmp_gt_u64_e64 s[8:9], s[4:5], v[6:7]
	v_cndmask_b32_e64 v26, 0, v42, s[8:9]
	v_add_u32_e32 v43, v26, v6
	v_cmp_gt_u64_e64 s[10:11], s[4:5], v[8:9]
	v_cndmask_b32_e64 v26, 0, v43, s[10:11]
	v_add_u32_e32 v30, v26, v8
	v_cmp_gt_u64_e64 s[12:13], s[4:5], v[10:11]
	v_cndmask_b32_e64 v26, 0, v30, s[12:13]
	v_add_u32_e32 v31, v26, v10
	v_cmp_gt_u64_e64 s[14:15], s[4:5], v[12:13]
	v_cndmask_b32_e64 v26, 0, v31, s[14:15]
	v_add_u32_e32 v44, v26, v12
	v_cmp_gt_u64_e64 s[16:17], s[4:5], v[14:15]
	v_cndmask_b32_e64 v26, 0, v44, s[16:17]
	v_add_u32_e32 v45, v26, v14
	v_cmp_gt_u64_e64 s[18:19], s[4:5], v[16:17]
	v_mov_b32_e32 v28, 0
	v_cndmask_b32_e64 v26, 0, v45, s[18:19]
	v_or3_b32 v7, v23, v15, v7
	v_add_u32_e32 v34, v26, v16
	v_cmp_gt_u64_e64 s[20:21], s[4:5], v[18:19]
	v_or3_b32 v9, v25, v17, v9
	v_and_b32_e32 v55, 1, v7
	v_mov_b32_e32 v54, v28
	v_cndmask_b32_e64 v26, 0, v34, s[20:21]
	v_or3_b32 v3, v19, v11, v3
	v_and_b32_e32 v37, 1, v9
	v_mov_b32_e32 v36, v28
	v_cmp_ne_u64_e64 s[30:31], 0, v[54:55]
	v_add_u32_e32 v35, v26, v18
	v_cmp_gt_u64_e64 s[22:23], s[4:5], v[20:21]
	v_or3_b32 v5, v21, v13, v5
	v_and_b32_e32 v29, 1, v3
	v_cndmask_b32_e64 v3, 0, 1, s[30:31]
	v_cmp_ne_u64_e64 s[30:31], 0, v[36:37]
	v_cndmask_b32_e64 v26, 0, v35, s[22:23]
	v_and_b32_e32 v33, 1, v5
	v_mov_b32_e32 v32, v28
	v_cndmask_b32_e64 v5, 0, 1, s[30:31]
	v_add_u32_e32 v46, v26, v20
	v_cmp_gt_u64_e64 s[24:25], s[4:5], v[22:23]
	v_lshlrev_b16_e32 v3, 2, v3
	v_lshlrev_b16_e32 v5, 3, v5
	v_cmp_ne_u64_e64 s[30:31], 0, v[32:33]
	v_cndmask_b32_e64 v26, 0, v46, s[24:25]
	v_or_b32_e32 v3, v5, v3
	v_cndmask_b32_e64 v5, 0, 1, s[30:31]
	v_cmp_ne_u64_e64 s[30:31], 0, v[28:29]
	v_add_u32_e32 v47, v26, v22
	v_cmp_gt_u64_e64 s[26:27], s[4:5], v[24:25]
	v_lshlrev_b16_e32 v5, 1, v5
	v_cndmask_b32_e64 v7, 0, 1, s[30:31]
	v_cndmask_b32_e64 v26, 0, v47, s[26:27]
	v_or_b32_e32 v5, v7, v5
	v_add_u32_e32 v48, v26, v24
	v_cmp_gt_u64_e64 s[28:29], s[4:5], v[40:41]
	v_and_b32_e32 v5, 3, v5
	v_cndmask_b32_e64 v26, 0, v48, s[28:29]
	v_or_b32_e32 v3, v5, v3
	v_add_u32_e32 v49, v26, v40
	v_and_b32_e32 v26, 1, v41
	v_and_b32_e32 v3, 15, v3
	v_cmp_eq_u32_e64 s[4:5], 1, v26
	v_cmp_ne_u16_e64 s[30:31], 0, v3
	s_or_b64 s[4:5], s[4:5], s[30:31]
	v_cndmask_b32_e64 v5, v39, 1, s[4:5]
	v_mbcnt_hi_u32_b32 v3, -1, v52
	v_mov_b32_dpp v9, v49 row_shr:1 row_mask:0xf bank_mask:0xf
	v_mov_b32_dpp v11, v5 row_shr:1 row_mask:0xf bank_mask:0xf
	v_cmp_eq_u32_e64 s[4:5], 0, v5
	v_and_b32_e32 v13, 1, v5
	v_and_b32_e32 v7, 15, v3
	v_cndmask_b32_e64 v9, 0, v9, s[4:5]
	v_and_b32_e32 v11, 1, v11
	v_cmp_eq_u32_e64 s[4:5], 1, v13
	v_cndmask_b32_e64 v11, v11, 1, s[4:5]
	v_cmp_eq_u32_e64 s[4:5], 0, v7
	v_cndmask_b32_e64 v5, v11, v5, s[4:5]
	v_and_b32_e32 v15, 1, v5
	v_cmp_eq_u32_e64 s[30:31], 1, v15
	v_mov_b32_dpp v13, v5 row_shr:2 row_mask:0xf bank_mask:0xf
	v_and_b32_e32 v13, 1, v13
	v_cndmask_b32_e64 v13, v13, 1, s[30:31]
	v_cmp_lt_u32_e64 s[30:31], 1, v7
	v_cndmask_b32_e64 v9, v9, 0, s[4:5]
	v_cmp_eq_u32_e64 s[4:5], 0, v5
	v_cndmask_b32_e64 v5, v5, v13, s[30:31]
	v_add_u32_e32 v9, v49, v9
	v_and_b32_e32 v15, 1, v5
	v_mov_b32_dpp v13, v5 row_shr:4 row_mask:0xf bank_mask:0xf
	v_mov_b32_dpp v11, v9 row_shr:2 row_mask:0xf bank_mask:0xf
	s_and_b64 s[4:5], s[30:31], s[4:5]
	v_and_b32_e32 v13, 1, v13
	v_cmp_eq_u32_e64 s[30:31], 1, v15
	v_cndmask_b32_e64 v11, 0, v11, s[4:5]
	v_cndmask_b32_e64 v13, v13, 1, s[30:31]
	v_cmp_lt_u32_e64 s[30:31], 3, v7
	v_add_u32_e32 v9, v9, v11
	v_cmp_eq_u32_e64 s[4:5], 0, v5
	v_cndmask_b32_e64 v5, v5, v13, s[30:31]
	v_mov_b32_dpp v11, v9 row_shr:4 row_mask:0xf bank_mask:0xf
	s_and_b64 s[4:5], s[30:31], s[4:5]
	v_mov_b32_dpp v13, v5 row_shr:8 row_mask:0xf bank_mask:0xf
	v_and_b32_e32 v15, 1, v5
	v_cndmask_b32_e64 v11, 0, v11, s[4:5]
	v_and_b32_e32 v13, 1, v13
	v_cmp_eq_u32_e64 s[30:31], 1, v15
	v_add_u32_e32 v9, v9, v11
	v_cmp_eq_u32_e64 s[4:5], 0, v5
	v_cndmask_b32_e64 v13, v13, 1, s[30:31]
	v_cmp_lt_u32_e64 s[30:31], 7, v7
	v_mov_b32_dpp v11, v9 row_shr:8 row_mask:0xf bank_mask:0xf
	s_and_b64 s[4:5], s[30:31], s[4:5]
	v_cndmask_b32_e64 v7, 0, v11, s[4:5]
	v_cndmask_b32_e64 v5, v5, v13, s[30:31]
	v_add_u32_e32 v7, v9, v7
	v_cmp_eq_u32_e64 s[4:5], 0, v5
	v_mov_b32_dpp v11, v5 row_bcast:15 row_mask:0xf bank_mask:0xf
	v_mov_b32_dpp v9, v7 row_bcast:15 row_mask:0xf bank_mask:0xf
	v_and_b32_e32 v17, 1, v5
	v_and_b32_e32 v15, 16, v3
	v_cndmask_b32_e64 v9, 0, v9, s[4:5]
	v_and_b32_e32 v11, 1, v11
	v_cmp_eq_u32_e64 s[4:5], 1, v17
	v_bfe_i32 v13, v3, 4, 1
	v_cndmask_b32_e64 v11, v11, 1, s[4:5]
	v_cmp_eq_u32_e64 s[4:5], 0, v15
	v_and_b32_e32 v9, v13, v9
	v_cndmask_b32_e64 v5, v11, v5, s[4:5]
	v_add_u32_e32 v9, v7, v9
	v_and_b32_e32 v13, 1, v5
	v_mov_b32_dpp v7, v5 row_bcast:31 row_mask:0xf bank_mask:0xf
	v_and_b32_e32 v7, 1, v7
	v_cmp_eq_u32_e64 s[30:31], 1, v13
	v_cmp_eq_u32_e64 s[4:5], 0, v5
	v_cndmask_b32_e64 v7, v7, 1, s[30:31]
	v_cmp_lt_u32_e64 s[30:31], 31, v3
	v_mov_b32_dpp v11, v9 row_bcast:31 row_mask:0xf bank_mask:0xf
	s_and_b64 s[4:5], s[30:31], s[4:5]
	v_cndmask_b32_e64 v7, v5, v7, s[30:31]
	v_cndmask_b32_e64 v5, 0, v11, s[4:5]
	v_add_u32_e32 v5, v9, v5
	v_cmp_eq_u32_e64 s[4:5], v51, v0
	s_and_saveexec_b64 s[30:31], s[4:5]
	s_cbranch_execz .LBB1235_130
; %bb.129:
	v_lshlrev_b32_e32 v9, 3, v1
	ds_write_b32 v9, v5
	ds_write_b8 v9, v7 offset:4
.LBB1235_130:
	s_or_b64 exec, exec, s[30:31]
	v_cmp_gt_u32_e64 s[4:5], 4, v0
	s_waitcnt lgkmcnt(0)
	s_barrier
	s_and_saveexec_b64 s[30:31], s[4:5]
	s_cbranch_execz .LBB1235_134
; %bb.131:
	v_lshlrev_b32_e32 v9, 3, v0
	ds_read_b64 v[28:29], v9
	v_and_b32_e32 v11, 3, v3
	v_cmp_ne_u32_e64 s[4:5], 0, v11
	s_waitcnt lgkmcnt(0)
	v_mov_b32_dpp v13, v28 row_shr:1 row_mask:0xf bank_mask:0xf
	v_mov_b32_dpp v17, v29 row_shr:1 row_mask:0xf bank_mask:0xf
	v_mov_b32_e32 v15, v29
	s_and_saveexec_b64 s[34:35], s[4:5]
	s_cbranch_execz .LBB1235_133
; %bb.132:
	v_and_b32_e32 v15, 1, v29
	v_and_b32_e32 v17, 1, v17
	v_cmp_eq_u32_e64 s[4:5], 1, v15
	v_mov_b32_e32 v15, 0
	v_cndmask_b32_e64 v17, v17, 1, s[4:5]
	v_cmp_eq_u16_sdwa s[4:5], v29, v15 src0_sel:BYTE_0 src1_sel:DWORD
	v_cndmask_b32_e64 v13, 0, v13, s[4:5]
	v_add_u32_e32 v28, v13, v28
	v_and_b32_e32 v13, 0xffff, v17
	s_movk_i32 s4, 0xff00
	v_and_or_b32 v15, v29, s4, v13
	v_mov_b32_e32 v29, v17
.LBB1235_133:
	s_or_b64 exec, exec, s[34:35]
	v_mov_b32_dpp v15, v15 row_shr:2 row_mask:0xf bank_mask:0xf
	v_and_b32_e32 v17, 1, v29
	v_and_b32_e32 v15, 1, v15
	v_cmp_eq_u32_e64 s[4:5], 1, v17
	v_mov_b32_e32 v17, 0
	v_cndmask_b32_e64 v15, v15, 1, s[4:5]
	v_cmp_eq_u16_sdwa s[34:35], v29, v17 src0_sel:BYTE_0 src1_sel:DWORD
	v_cmp_lt_u32_e64 s[4:5], 1, v11
	v_mov_b32_dpp v13, v28 row_shr:2 row_mask:0xf bank_mask:0xf
	v_cndmask_b32_e64 v11, v29, v15, s[4:5]
	s_and_b64 s[4:5], s[4:5], s[34:35]
	v_cndmask_b32_e64 v13, 0, v13, s[4:5]
	v_add_u32_e32 v13, v13, v28
	ds_write_b32 v9, v13
	ds_write_b8 v9, v11 offset:4
.LBB1235_134:
	s_or_b64 exec, exec, s[30:31]
	v_cmp_lt_u32_e64 s[4:5], 63, v0
	v_mov_b32_e32 v9, 0
	s_waitcnt lgkmcnt(0)
	s_barrier
	s_and_saveexec_b64 s[30:31], s[4:5]
	s_cbranch_execz .LBB1235_136
; %bb.135:
	v_lshl_add_u32 v1, v1, 3, -8
	ds_read_b32 v9, v1
	v_cmp_eq_u32_e64 s[4:5], 0, v7
	s_waitcnt lgkmcnt(0)
	v_cndmask_b32_e64 v1, 0, v9, s[4:5]
	v_add_u32_e32 v5, v1, v5
.LBB1235_136:
	s_or_b64 exec, exec, s[30:31]
	v_add_u32_e32 v1, -1, v3
	v_and_b32_e32 v7, 64, v3
	v_cmp_lt_i32_e64 s[4:5], v1, v7
	v_cndmask_b32_e64 v1, v1, v3, s[4:5]
	v_lshlrev_b32_e32 v1, 2, v1
	ds_bpermute_b32 v1, v1, v5
	s_and_saveexec_b64 s[30:31], s[36:37]
	s_cbranch_execz .LBB1235_138
; %bb.137:
	v_and_b32_e32 v27, 0xff, v39
	v_mov_b32_e32 v26, 0
	v_cmp_eq_u32_e64 s[4:5], 0, v3
	s_waitcnt lgkmcnt(0)
	v_cndmask_b32_e64 v1, v1, v9, s[4:5]
	v_cmp_eq_u64_e64 s[4:5], 0, v[26:27]
	v_cndmask_b32_e64 v1, 0, v1, s[4:5]
	v_add_u32_e32 v38, v1, v38
	v_cndmask_b32_e32 v1, 0, v38, vcc
	v_add_u32_e32 v27, v1, v2
	v_cndmask_b32_e64 v1, 0, v27, s[6:7]
	v_add_u32_e32 v42, v1, v4
	v_cndmask_b32_e64 v1, 0, v42, s[8:9]
	;; [unrolled: 2-line block ×12, first 2 shown]
	v_add_u32_e32 v49, v1, v40
	;;#ASMSTART
	;;#ASMEND
.LBB1235_138:
	s_or_b64 exec, exec, s[30:31]
	s_and_saveexec_b64 s[4:5], s[0:1]
	s_cbranch_execz .LBB1235_140
; %bb.139:
	v_mov_b32_e32 v5, 0
	ds_read_b32 v2, v5 offset:24
	ds_read_u8 v3, v5 offset:28
	s_add_u32 s0, s56, 0x400
	s_addc_u32 s1, s57, 0
	v_mov_b32_e32 v4, 2
	v_pk_mov_b32 v[6:7], s[0:1], s[0:1] op_sel:[0,1]
	s_waitcnt lgkmcnt(0)
	;;#ASMSTART
	global_store_dwordx4 v[6:7], v[2:5] off	
s_waitcnt vmcnt(0)
	;;#ASMEND
.LBB1235_140:
	s_or_b64 exec, exec, s[4:5]
	v_mov_b32_e32 v26, v38
.LBB1235_141:
	s_add_u32 s0, s46, s38
	s_addc_u32 s1, s47, s39
	s_add_u32 s4, s0, s40
	s_waitcnt lgkmcnt(0)
	v_mul_u32_u24_e32 v1, 14, v0
	s_addc_u32 s5, s1, s41
	s_and_b64 vcc, exec, s[2:3]
	v_lshlrev_b32_e32 v2, 2, v1
	s_cbranch_vccz .LBB1235_169
; %bb.142:
	s_movk_i32 s0, 0xffcc
	v_mad_i32_i24 v3, v0, s0, v2
	s_barrier
	ds_write2_b64 v2, v[26:27], v[42:43] offset1:1
	ds_write2_b64 v2, v[30:31], v[44:45] offset0:2 offset1:3
	ds_write2_b64 v2, v[34:35], v[46:47] offset0:4 offset1:5
	ds_write_b64 v2, v[48:49] offset:48
	s_waitcnt lgkmcnt(0)
	s_barrier
	ds_read2st64_b32 v[16:17], v3 offset0:4 offset1:8
	ds_read2st64_b32 v[14:15], v3 offset0:12 offset1:16
	;; [unrolled: 1-line block ×6, first 2 shown]
	ds_read_b32 v3, v3 offset:13312
	v_mov_b32_e32 v7, s5
	v_add_co_u32_e32 v6, vcc, s4, v50
	s_add_i32 s33, s33, s58
	v_addc_co_u32_e32 v7, vcc, 0, v7, vcc
	v_mov_b32_e32 v1, 0
	v_cmp_gt_u32_e32 vcc, s33, v0
	s_and_saveexec_b64 s[0:1], vcc
	s_cbranch_execz .LBB1235_144
; %bb.143:
	v_mul_i32_i24_e32 v18, 0xffffffcc, v0
	v_add_u32_e32 v18, v2, v18
	ds_read_b32 v18, v18
	s_waitcnt lgkmcnt(0)
	flat_store_dword v[6:7], v18
.LBB1235_144:
	s_or_b64 exec, exec, s[0:1]
	v_or_b32_e32 v18, 0x100, v0
	v_cmp_gt_u32_e32 vcc, s33, v18
	s_and_saveexec_b64 s[0:1], vcc
	s_cbranch_execz .LBB1235_146
; %bb.145:
	s_waitcnt lgkmcnt(0)
	flat_store_dword v[6:7], v16 offset:1024
.LBB1235_146:
	s_or_b64 exec, exec, s[0:1]
	s_waitcnt lgkmcnt(0)
	v_or_b32_e32 v16, 0x200, v0
	v_cmp_gt_u32_e32 vcc, s33, v16
	s_and_saveexec_b64 s[0:1], vcc
	s_cbranch_execz .LBB1235_148
; %bb.147:
	flat_store_dword v[6:7], v17 offset:2048
.LBB1235_148:
	s_or_b64 exec, exec, s[0:1]
	v_or_b32_e32 v16, 0x300, v0
	v_cmp_gt_u32_e32 vcc, s33, v16
	s_and_saveexec_b64 s[0:1], vcc
	s_cbranch_execz .LBB1235_150
; %bb.149:
	flat_store_dword v[6:7], v14 offset:3072
.LBB1235_150:
	s_or_b64 exec, exec, s[0:1]
	v_or_b32_e32 v14, 0x400, v0
	v_cmp_gt_u32_e32 vcc, s33, v14
	s_and_saveexec_b64 s[0:1], vcc
	s_cbranch_execz .LBB1235_152
; %bb.151:
	v_add_co_u32_e32 v16, vcc, 0x1000, v6
	v_addc_co_u32_e32 v17, vcc, 0, v7, vcc
	flat_store_dword v[16:17], v15
.LBB1235_152:
	s_or_b64 exec, exec, s[0:1]
	v_or_b32_e32 v14, 0x500, v0
	v_cmp_gt_u32_e32 vcc, s33, v14
	s_and_saveexec_b64 s[0:1], vcc
	s_cbranch_execz .LBB1235_154
; %bb.153:
	v_add_co_u32_e32 v14, vcc, 0x1000, v6
	v_addc_co_u32_e32 v15, vcc, 0, v7, vcc
	flat_store_dword v[14:15], v12 offset:1024
.LBB1235_154:
	s_or_b64 exec, exec, s[0:1]
	v_or_b32_e32 v12, 0x600, v0
	v_cmp_gt_u32_e32 vcc, s33, v12
	s_and_saveexec_b64 s[0:1], vcc
	s_cbranch_execz .LBB1235_156
; %bb.155:
	v_add_co_u32_e32 v14, vcc, 0x1000, v6
	v_addc_co_u32_e32 v15, vcc, 0, v7, vcc
	flat_store_dword v[14:15], v13 offset:2048
.LBB1235_156:
	s_or_b64 exec, exec, s[0:1]
	v_or_b32_e32 v12, 0x700, v0
	v_cmp_gt_u32_e32 vcc, s33, v12
	s_and_saveexec_b64 s[0:1], vcc
	s_cbranch_execz .LBB1235_158
; %bb.157:
	v_add_co_u32_e32 v12, vcc, 0x1000, v6
	v_addc_co_u32_e32 v13, vcc, 0, v7, vcc
	flat_store_dword v[12:13], v10 offset:3072
.LBB1235_158:
	s_or_b64 exec, exec, s[0:1]
	v_or_b32_e32 v10, 0x800, v0
	v_cmp_gt_u32_e32 vcc, s33, v10
	s_and_saveexec_b64 s[0:1], vcc
	s_cbranch_execz .LBB1235_160
; %bb.159:
	v_add_co_u32_e32 v12, vcc, 0x2000, v6
	v_addc_co_u32_e32 v13, vcc, 0, v7, vcc
	flat_store_dword v[12:13], v11
.LBB1235_160:
	s_or_b64 exec, exec, s[0:1]
	v_or_b32_e32 v10, 0x900, v0
	v_cmp_gt_u32_e32 vcc, s33, v10
	s_and_saveexec_b64 s[0:1], vcc
	s_cbranch_execz .LBB1235_162
; %bb.161:
	v_add_co_u32_e32 v10, vcc, 0x2000, v6
	v_addc_co_u32_e32 v11, vcc, 0, v7, vcc
	flat_store_dword v[10:11], v8 offset:1024
.LBB1235_162:
	s_or_b64 exec, exec, s[0:1]
	v_or_b32_e32 v8, 0xa00, v0
	v_cmp_gt_u32_e32 vcc, s33, v8
	s_and_saveexec_b64 s[0:1], vcc
	s_cbranch_execz .LBB1235_164
; %bb.163:
	v_add_co_u32_e32 v10, vcc, 0x2000, v6
	v_addc_co_u32_e32 v11, vcc, 0, v7, vcc
	flat_store_dword v[10:11], v9 offset:2048
.LBB1235_164:
	;; [unrolled: 10-line block ×3, first 2 shown]
	s_or_b64 exec, exec, s[0:1]
	v_or_b32_e32 v4, 0xc00, v0
	v_cmp_gt_u32_e32 vcc, s33, v4
	s_and_saveexec_b64 s[0:1], vcc
	s_cbranch_execz .LBB1235_168
; %bb.167:
	v_add_co_u32_e32 v6, vcc, 0x3000, v6
	v_addc_co_u32_e32 v7, vcc, 0, v7, vcc
	flat_store_dword v[6:7], v5
.LBB1235_168:
	s_or_b64 exec, exec, s[0:1]
	v_or_b32_e32 v4, 0xd00, v0
	v_cmp_gt_u32_e64 s[0:1], s33, v4
	s_branch .LBB1235_171
.LBB1235_169:
	s_mov_b64 s[0:1], 0
                                        ; implicit-def: $vgpr3
	s_cbranch_execz .LBB1235_171
; %bb.170:
	s_movk_i32 s2, 0xffcc
	s_waitcnt lgkmcnt(0)
	s_barrier
	ds_write2_b64 v2, v[26:27], v[42:43] offset1:1
	ds_write2_b64 v2, v[30:31], v[44:45] offset0:2 offset1:3
	ds_write2_b64 v2, v[34:35], v[46:47] offset0:4 offset1:5
	ds_write_b64 v2, v[48:49] offset:48
	v_mad_i32_i24 v2, v0, s2, v2
	v_mov_b32_e32 v17, s5
	v_add_co_u32_e32 v16, vcc, s4, v50
	s_waitcnt lgkmcnt(0)
	s_barrier
	ds_read2st64_b32 v[4:5], v2 offset1:4
	ds_read2st64_b32 v[6:7], v2 offset0:8 offset1:12
	ds_read2st64_b32 v[8:9], v2 offset0:16 offset1:20
	;; [unrolled: 1-line block ×6, first 2 shown]
	v_addc_co_u32_e32 v17, vcc, 0, v17, vcc
	s_movk_i32 s2, 0x1000
	s_waitcnt lgkmcnt(0)
	flat_store_dword v[16:17], v4
	flat_store_dword v[16:17], v5 offset:1024
	flat_store_dword v[16:17], v6 offset:2048
	;; [unrolled: 1-line block ×3, first 2 shown]
	v_add_co_u32_e32 v4, vcc, s2, v16
	v_addc_co_u32_e32 v5, vcc, 0, v17, vcc
	flat_store_dword v[4:5], v8
	flat_store_dword v[4:5], v9 offset:1024
	flat_store_dword v[4:5], v10 offset:2048
	;; [unrolled: 1-line block ×3, first 2 shown]
	v_add_co_u32_e32 v4, vcc, 0x2000, v16
	v_addc_co_u32_e32 v5, vcc, 0, v17, vcc
	flat_store_dword v[4:5], v12
	flat_store_dword v[4:5], v13 offset:1024
	flat_store_dword v[4:5], v14 offset:2048
	;; [unrolled: 1-line block ×3, first 2 shown]
	v_add_co_u32_e32 v4, vcc, 0x3000, v16
	v_mov_b32_e32 v1, 0
	v_addc_co_u32_e32 v5, vcc, 0, v17, vcc
	s_or_b64 s[0:1], s[0:1], exec
	flat_store_dword v[4:5], v2
.LBB1235_171:
	s_and_saveexec_b64 s[2:3], s[0:1]
	s_cbranch_execnz .LBB1235_173
; %bb.172:
	s_endpgm
.LBB1235_173:
	v_lshlrev_b64 v[0:1], 2, v[0:1]
	v_mov_b32_e32 v2, s5
	v_add_co_u32_e32 v0, vcc, s4, v0
	v_addc_co_u32_e32 v1, vcc, v2, v1, vcc
	v_add_co_u32_e32 v0, vcc, 0x3000, v0
	v_addc_co_u32_e32 v1, vcc, 0, v1, vcc
	flat_store_dword v[0:1], v3 offset:1024
	s_endpgm
.LBB1235_174:
	v_mov_b32_e32 v13, s63
	v_add_co_u32_e32 v14, vcc, s62, v12
	v_addc_co_u32_e32 v15, vcc, 0, v13, vcc
	flat_load_dword v13, v[14:15]
	s_or_b64 exec, exec, s[4:5]
                                        ; implicit-def: $vgpr14
	s_and_saveexec_b64 s[4:5], s[8:9]
	s_cbranch_execz .LBB1235_41
.LBB1235_175:
	v_mov_b32_e32 v15, s63
	v_add_co_u32_e32 v14, vcc, s62, v12
	v_addc_co_u32_e32 v15, vcc, 0, v15, vcc
	flat_load_dword v14, v[14:15] offset:1024
	s_or_b64 exec, exec, s[4:5]
                                        ; implicit-def: $vgpr15
	s_and_saveexec_b64 s[4:5], s[10:11]
	s_cbranch_execz .LBB1235_42
.LBB1235_176:
	v_mov_b32_e32 v15, s63
	v_add_co_u32_e32 v16, vcc, s62, v12
	v_addc_co_u32_e32 v17, vcc, 0, v15, vcc
	flat_load_dword v15, v[16:17] offset:2048
	s_or_b64 exec, exec, s[4:5]
                                        ; implicit-def: $vgpr16
	s_and_saveexec_b64 s[4:5], s[12:13]
	s_cbranch_execz .LBB1235_43
.LBB1235_177:
	v_mov_b32_e32 v17, s63
	v_add_co_u32_e32 v16, vcc, s62, v12
	v_addc_co_u32_e32 v17, vcc, 0, v17, vcc
	flat_load_dword v16, v[16:17] offset:3072
	s_or_b64 exec, exec, s[4:5]
                                        ; implicit-def: $vgpr17
	s_and_saveexec_b64 s[4:5], s[14:15]
	s_cbranch_execz .LBB1235_44
.LBB1235_178:
	v_lshlrev_b32_e32 v2, 2, v2
	v_mov_b32_e32 v17, s63
	v_add_co_u32_e32 v18, vcc, s62, v2
	v_addc_co_u32_e32 v19, vcc, 0, v17, vcc
	flat_load_dword v17, v[18:19]
	s_or_b64 exec, exec, s[4:5]
                                        ; implicit-def: $vgpr2
	s_and_saveexec_b64 s[4:5], s[16:17]
	s_cbranch_execz .LBB1235_45
.LBB1235_179:
	v_lshlrev_b32_e32 v2, 2, v3
	v_mov_b32_e32 v3, s63
	v_add_co_u32_e32 v2, vcc, s62, v2
	v_addc_co_u32_e32 v3, vcc, 0, v3, vcc
	flat_load_dword v2, v[2:3]
	s_or_b64 exec, exec, s[4:5]
                                        ; implicit-def: $vgpr3
	s_and_saveexec_b64 s[4:5], s[18:19]
	s_cbranch_execz .LBB1235_46
.LBB1235_180:
	v_lshlrev_b32_e32 v3, 2, v4
	v_mov_b32_e32 v4, s63
	v_add_co_u32_e32 v18, vcc, s62, v3
	v_addc_co_u32_e32 v19, vcc, 0, v4, vcc
	flat_load_dword v3, v[18:19]
	s_or_b64 exec, exec, s[4:5]
                                        ; implicit-def: $vgpr4
	s_and_saveexec_b64 s[4:5], s[20:21]
	s_cbranch_execz .LBB1235_47
.LBB1235_181:
	v_lshlrev_b32_e32 v4, 2, v5
	v_mov_b32_e32 v5, s63
	v_add_co_u32_e32 v4, vcc, s62, v4
	v_addc_co_u32_e32 v5, vcc, 0, v5, vcc
	flat_load_dword v4, v[4:5]
	s_or_b64 exec, exec, s[4:5]
                                        ; implicit-def: $vgpr5
	s_and_saveexec_b64 s[4:5], s[22:23]
	s_cbranch_execz .LBB1235_48
.LBB1235_182:
	v_lshlrev_b32_e32 v5, 2, v6
	v_mov_b32_e32 v6, s63
	v_add_co_u32_e32 v18, vcc, s62, v5
	v_addc_co_u32_e32 v19, vcc, 0, v6, vcc
	flat_load_dword v5, v[18:19]
	s_or_b64 exec, exec, s[4:5]
                                        ; implicit-def: $vgpr6
	s_and_saveexec_b64 s[4:5], s[24:25]
	s_cbranch_execz .LBB1235_49
.LBB1235_183:
	v_lshlrev_b32_e32 v6, 2, v7
	v_mov_b32_e32 v7, s63
	v_add_co_u32_e32 v6, vcc, s62, v6
	v_addc_co_u32_e32 v7, vcc, 0, v7, vcc
	flat_load_dword v6, v[6:7]
	s_or_b64 exec, exec, s[4:5]
                                        ; implicit-def: $vgpr7
	s_and_saveexec_b64 s[4:5], s[26:27]
	s_cbranch_execz .LBB1235_50
.LBB1235_184:
	v_lshlrev_b32_e32 v7, 2, v8
	v_mov_b32_e32 v8, s63
	v_add_co_u32_e32 v18, vcc, s62, v7
	v_addc_co_u32_e32 v19, vcc, 0, v8, vcc
	flat_load_dword v7, v[18:19]
	s_or_b64 exec, exec, s[4:5]
                                        ; implicit-def: $vgpr8
	s_and_saveexec_b64 s[4:5], s[28:29]
	s_cbranch_execz .LBB1235_51
.LBB1235_185:
	v_lshlrev_b32_e32 v8, 2, v9
	v_mov_b32_e32 v9, s63
	v_add_co_u32_e32 v8, vcc, s62, v8
	v_addc_co_u32_e32 v9, vcc, 0, v9, vcc
	flat_load_dword v8, v[8:9]
	s_or_b64 exec, exec, s[4:5]
                                        ; implicit-def: $vgpr9
	s_and_saveexec_b64 s[4:5], s[30:31]
	s_cbranch_execz .LBB1235_52
.LBB1235_186:
	v_lshlrev_b32_e32 v9, 2, v10
	v_mov_b32_e32 v10, s63
	v_add_co_u32_e32 v18, vcc, s62, v9
	v_addc_co_u32_e32 v19, vcc, 0, v10, vcc
	flat_load_dword v9, v[18:19]
	s_or_b64 exec, exec, s[4:5]
                                        ; implicit-def: $vgpr10
	s_and_saveexec_b64 s[4:5], s[34:35]
	s_cbranch_execnz .LBB1235_53
	s_branch .LBB1235_54
.LBB1235_187:
                                        ; implicit-def: $sgpr4_sgpr5
	s_branch .LBB1235_36
.LBB1235_188:
                                        ; implicit-def: $sgpr4_sgpr5
	s_branch .LBB1235_85
	.section	.rodata,"a",@progbits
	.p2align	6, 0x0
	.amdhsa_kernel _ZN7rocprim17ROCPRIM_400000_NS6detail17trampoline_kernelINS0_14default_configENS1_27scan_by_key_config_selectorIijEEZZNS1_16scan_by_key_implILNS1_25lookback_scan_determinismE0ELb0ES3_N6thrust23THRUST_200600_302600_NS6detail15normal_iteratorINS9_10device_ptrIiEEEENSB_INSC_IjEEEESG_jNS9_4plusIvEENS9_8equal_toIvEEjEE10hipError_tPvRmT2_T3_T4_T5_mT6_T7_P12ihipStream_tbENKUlT_T0_E_clISt17integral_constantIbLb1EES11_EEDaSW_SX_EUlSW_E_NS1_11comp_targetILNS1_3genE4ELNS1_11target_archE910ELNS1_3gpuE8ELNS1_3repE0EEENS1_30default_config_static_selectorELNS0_4arch9wavefront6targetE1EEEvT1_
		.amdhsa_group_segment_fixed_size 16384
		.amdhsa_private_segment_fixed_size 0
		.amdhsa_kernarg_size 112
		.amdhsa_user_sgpr_count 6
		.amdhsa_user_sgpr_private_segment_buffer 1
		.amdhsa_user_sgpr_dispatch_ptr 0
		.amdhsa_user_sgpr_queue_ptr 0
		.amdhsa_user_sgpr_kernarg_segment_ptr 1
		.amdhsa_user_sgpr_dispatch_id 0
		.amdhsa_user_sgpr_flat_scratch_init 0
		.amdhsa_user_sgpr_kernarg_preload_length 0
		.amdhsa_user_sgpr_kernarg_preload_offset 0
		.amdhsa_user_sgpr_private_segment_size 0
		.amdhsa_uses_dynamic_stack 0
		.amdhsa_system_sgpr_private_segment_wavefront_offset 0
		.amdhsa_system_sgpr_workgroup_id_x 1
		.amdhsa_system_sgpr_workgroup_id_y 0
		.amdhsa_system_sgpr_workgroup_id_z 0
		.amdhsa_system_sgpr_workgroup_info 0
		.amdhsa_system_vgpr_workitem_id 0
		.amdhsa_next_free_vgpr 65
		.amdhsa_next_free_sgpr 65
		.amdhsa_accum_offset 68
		.amdhsa_reserve_vcc 1
		.amdhsa_reserve_flat_scratch 0
		.amdhsa_float_round_mode_32 0
		.amdhsa_float_round_mode_16_64 0
		.amdhsa_float_denorm_mode_32 3
		.amdhsa_float_denorm_mode_16_64 3
		.amdhsa_dx10_clamp 1
		.amdhsa_ieee_mode 1
		.amdhsa_fp16_overflow 0
		.amdhsa_tg_split 0
		.amdhsa_exception_fp_ieee_invalid_op 0
		.amdhsa_exception_fp_denorm_src 0
		.amdhsa_exception_fp_ieee_div_zero 0
		.amdhsa_exception_fp_ieee_overflow 0
		.amdhsa_exception_fp_ieee_underflow 0
		.amdhsa_exception_fp_ieee_inexact 0
		.amdhsa_exception_int_div_zero 0
	.end_amdhsa_kernel
	.section	.text._ZN7rocprim17ROCPRIM_400000_NS6detail17trampoline_kernelINS0_14default_configENS1_27scan_by_key_config_selectorIijEEZZNS1_16scan_by_key_implILNS1_25lookback_scan_determinismE0ELb0ES3_N6thrust23THRUST_200600_302600_NS6detail15normal_iteratorINS9_10device_ptrIiEEEENSB_INSC_IjEEEESG_jNS9_4plusIvEENS9_8equal_toIvEEjEE10hipError_tPvRmT2_T3_T4_T5_mT6_T7_P12ihipStream_tbENKUlT_T0_E_clISt17integral_constantIbLb1EES11_EEDaSW_SX_EUlSW_E_NS1_11comp_targetILNS1_3genE4ELNS1_11target_archE910ELNS1_3gpuE8ELNS1_3repE0EEENS1_30default_config_static_selectorELNS0_4arch9wavefront6targetE1EEEvT1_,"axG",@progbits,_ZN7rocprim17ROCPRIM_400000_NS6detail17trampoline_kernelINS0_14default_configENS1_27scan_by_key_config_selectorIijEEZZNS1_16scan_by_key_implILNS1_25lookback_scan_determinismE0ELb0ES3_N6thrust23THRUST_200600_302600_NS6detail15normal_iteratorINS9_10device_ptrIiEEEENSB_INSC_IjEEEESG_jNS9_4plusIvEENS9_8equal_toIvEEjEE10hipError_tPvRmT2_T3_T4_T5_mT6_T7_P12ihipStream_tbENKUlT_T0_E_clISt17integral_constantIbLb1EES11_EEDaSW_SX_EUlSW_E_NS1_11comp_targetILNS1_3genE4ELNS1_11target_archE910ELNS1_3gpuE8ELNS1_3repE0EEENS1_30default_config_static_selectorELNS0_4arch9wavefront6targetE1EEEvT1_,comdat
.Lfunc_end1235:
	.size	_ZN7rocprim17ROCPRIM_400000_NS6detail17trampoline_kernelINS0_14default_configENS1_27scan_by_key_config_selectorIijEEZZNS1_16scan_by_key_implILNS1_25lookback_scan_determinismE0ELb0ES3_N6thrust23THRUST_200600_302600_NS6detail15normal_iteratorINS9_10device_ptrIiEEEENSB_INSC_IjEEEESG_jNS9_4plusIvEENS9_8equal_toIvEEjEE10hipError_tPvRmT2_T3_T4_T5_mT6_T7_P12ihipStream_tbENKUlT_T0_E_clISt17integral_constantIbLb1EES11_EEDaSW_SX_EUlSW_E_NS1_11comp_targetILNS1_3genE4ELNS1_11target_archE910ELNS1_3gpuE8ELNS1_3repE0EEENS1_30default_config_static_selectorELNS0_4arch9wavefront6targetE1EEEvT1_, .Lfunc_end1235-_ZN7rocprim17ROCPRIM_400000_NS6detail17trampoline_kernelINS0_14default_configENS1_27scan_by_key_config_selectorIijEEZZNS1_16scan_by_key_implILNS1_25lookback_scan_determinismE0ELb0ES3_N6thrust23THRUST_200600_302600_NS6detail15normal_iteratorINS9_10device_ptrIiEEEENSB_INSC_IjEEEESG_jNS9_4plusIvEENS9_8equal_toIvEEjEE10hipError_tPvRmT2_T3_T4_T5_mT6_T7_P12ihipStream_tbENKUlT_T0_E_clISt17integral_constantIbLb1EES11_EEDaSW_SX_EUlSW_E_NS1_11comp_targetILNS1_3genE4ELNS1_11target_archE910ELNS1_3gpuE8ELNS1_3repE0EEENS1_30default_config_static_selectorELNS0_4arch9wavefront6targetE1EEEvT1_
                                        ; -- End function
	.section	.AMDGPU.csdata,"",@progbits
; Kernel info:
; codeLenInByte = 11144
; NumSgprs: 69
; NumVgprs: 65
; NumAgprs: 0
; TotalNumVgprs: 65
; ScratchSize: 0
; MemoryBound: 0
; FloatMode: 240
; IeeeMode: 1
; LDSByteSize: 16384 bytes/workgroup (compile time only)
; SGPRBlocks: 8
; VGPRBlocks: 8
; NumSGPRsForWavesPerEU: 69
; NumVGPRsForWavesPerEU: 65
; AccumOffset: 68
; Occupancy: 4
; WaveLimiterHint : 1
; COMPUTE_PGM_RSRC2:SCRATCH_EN: 0
; COMPUTE_PGM_RSRC2:USER_SGPR: 6
; COMPUTE_PGM_RSRC2:TRAP_HANDLER: 0
; COMPUTE_PGM_RSRC2:TGID_X_EN: 1
; COMPUTE_PGM_RSRC2:TGID_Y_EN: 0
; COMPUTE_PGM_RSRC2:TGID_Z_EN: 0
; COMPUTE_PGM_RSRC2:TIDIG_COMP_CNT: 0
; COMPUTE_PGM_RSRC3_GFX90A:ACCUM_OFFSET: 16
; COMPUTE_PGM_RSRC3_GFX90A:TG_SPLIT: 0
	.section	.text._ZN7rocprim17ROCPRIM_400000_NS6detail17trampoline_kernelINS0_14default_configENS1_27scan_by_key_config_selectorIijEEZZNS1_16scan_by_key_implILNS1_25lookback_scan_determinismE0ELb0ES3_N6thrust23THRUST_200600_302600_NS6detail15normal_iteratorINS9_10device_ptrIiEEEENSB_INSC_IjEEEESG_jNS9_4plusIvEENS9_8equal_toIvEEjEE10hipError_tPvRmT2_T3_T4_T5_mT6_T7_P12ihipStream_tbENKUlT_T0_E_clISt17integral_constantIbLb1EES11_EEDaSW_SX_EUlSW_E_NS1_11comp_targetILNS1_3genE3ELNS1_11target_archE908ELNS1_3gpuE7ELNS1_3repE0EEENS1_30default_config_static_selectorELNS0_4arch9wavefront6targetE1EEEvT1_,"axG",@progbits,_ZN7rocprim17ROCPRIM_400000_NS6detail17trampoline_kernelINS0_14default_configENS1_27scan_by_key_config_selectorIijEEZZNS1_16scan_by_key_implILNS1_25lookback_scan_determinismE0ELb0ES3_N6thrust23THRUST_200600_302600_NS6detail15normal_iteratorINS9_10device_ptrIiEEEENSB_INSC_IjEEEESG_jNS9_4plusIvEENS9_8equal_toIvEEjEE10hipError_tPvRmT2_T3_T4_T5_mT6_T7_P12ihipStream_tbENKUlT_T0_E_clISt17integral_constantIbLb1EES11_EEDaSW_SX_EUlSW_E_NS1_11comp_targetILNS1_3genE3ELNS1_11target_archE908ELNS1_3gpuE7ELNS1_3repE0EEENS1_30default_config_static_selectorELNS0_4arch9wavefront6targetE1EEEvT1_,comdat
	.protected	_ZN7rocprim17ROCPRIM_400000_NS6detail17trampoline_kernelINS0_14default_configENS1_27scan_by_key_config_selectorIijEEZZNS1_16scan_by_key_implILNS1_25lookback_scan_determinismE0ELb0ES3_N6thrust23THRUST_200600_302600_NS6detail15normal_iteratorINS9_10device_ptrIiEEEENSB_INSC_IjEEEESG_jNS9_4plusIvEENS9_8equal_toIvEEjEE10hipError_tPvRmT2_T3_T4_T5_mT6_T7_P12ihipStream_tbENKUlT_T0_E_clISt17integral_constantIbLb1EES11_EEDaSW_SX_EUlSW_E_NS1_11comp_targetILNS1_3genE3ELNS1_11target_archE908ELNS1_3gpuE7ELNS1_3repE0EEENS1_30default_config_static_selectorELNS0_4arch9wavefront6targetE1EEEvT1_ ; -- Begin function _ZN7rocprim17ROCPRIM_400000_NS6detail17trampoline_kernelINS0_14default_configENS1_27scan_by_key_config_selectorIijEEZZNS1_16scan_by_key_implILNS1_25lookback_scan_determinismE0ELb0ES3_N6thrust23THRUST_200600_302600_NS6detail15normal_iteratorINS9_10device_ptrIiEEEENSB_INSC_IjEEEESG_jNS9_4plusIvEENS9_8equal_toIvEEjEE10hipError_tPvRmT2_T3_T4_T5_mT6_T7_P12ihipStream_tbENKUlT_T0_E_clISt17integral_constantIbLb1EES11_EEDaSW_SX_EUlSW_E_NS1_11comp_targetILNS1_3genE3ELNS1_11target_archE908ELNS1_3gpuE7ELNS1_3repE0EEENS1_30default_config_static_selectorELNS0_4arch9wavefront6targetE1EEEvT1_
	.globl	_ZN7rocprim17ROCPRIM_400000_NS6detail17trampoline_kernelINS0_14default_configENS1_27scan_by_key_config_selectorIijEEZZNS1_16scan_by_key_implILNS1_25lookback_scan_determinismE0ELb0ES3_N6thrust23THRUST_200600_302600_NS6detail15normal_iteratorINS9_10device_ptrIiEEEENSB_INSC_IjEEEESG_jNS9_4plusIvEENS9_8equal_toIvEEjEE10hipError_tPvRmT2_T3_T4_T5_mT6_T7_P12ihipStream_tbENKUlT_T0_E_clISt17integral_constantIbLb1EES11_EEDaSW_SX_EUlSW_E_NS1_11comp_targetILNS1_3genE3ELNS1_11target_archE908ELNS1_3gpuE7ELNS1_3repE0EEENS1_30default_config_static_selectorELNS0_4arch9wavefront6targetE1EEEvT1_
	.p2align	8
	.type	_ZN7rocprim17ROCPRIM_400000_NS6detail17trampoline_kernelINS0_14default_configENS1_27scan_by_key_config_selectorIijEEZZNS1_16scan_by_key_implILNS1_25lookback_scan_determinismE0ELb0ES3_N6thrust23THRUST_200600_302600_NS6detail15normal_iteratorINS9_10device_ptrIiEEEENSB_INSC_IjEEEESG_jNS9_4plusIvEENS9_8equal_toIvEEjEE10hipError_tPvRmT2_T3_T4_T5_mT6_T7_P12ihipStream_tbENKUlT_T0_E_clISt17integral_constantIbLb1EES11_EEDaSW_SX_EUlSW_E_NS1_11comp_targetILNS1_3genE3ELNS1_11target_archE908ELNS1_3gpuE7ELNS1_3repE0EEENS1_30default_config_static_selectorELNS0_4arch9wavefront6targetE1EEEvT1_,@function
_ZN7rocprim17ROCPRIM_400000_NS6detail17trampoline_kernelINS0_14default_configENS1_27scan_by_key_config_selectorIijEEZZNS1_16scan_by_key_implILNS1_25lookback_scan_determinismE0ELb0ES3_N6thrust23THRUST_200600_302600_NS6detail15normal_iteratorINS9_10device_ptrIiEEEENSB_INSC_IjEEEESG_jNS9_4plusIvEENS9_8equal_toIvEEjEE10hipError_tPvRmT2_T3_T4_T5_mT6_T7_P12ihipStream_tbENKUlT_T0_E_clISt17integral_constantIbLb1EES11_EEDaSW_SX_EUlSW_E_NS1_11comp_targetILNS1_3genE3ELNS1_11target_archE908ELNS1_3gpuE7ELNS1_3repE0EEENS1_30default_config_static_selectorELNS0_4arch9wavefront6targetE1EEEvT1_: ; @_ZN7rocprim17ROCPRIM_400000_NS6detail17trampoline_kernelINS0_14default_configENS1_27scan_by_key_config_selectorIijEEZZNS1_16scan_by_key_implILNS1_25lookback_scan_determinismE0ELb0ES3_N6thrust23THRUST_200600_302600_NS6detail15normal_iteratorINS9_10device_ptrIiEEEENSB_INSC_IjEEEESG_jNS9_4plusIvEENS9_8equal_toIvEEjEE10hipError_tPvRmT2_T3_T4_T5_mT6_T7_P12ihipStream_tbENKUlT_T0_E_clISt17integral_constantIbLb1EES11_EEDaSW_SX_EUlSW_E_NS1_11comp_targetILNS1_3genE3ELNS1_11target_archE908ELNS1_3gpuE7ELNS1_3repE0EEENS1_30default_config_static_selectorELNS0_4arch9wavefront6targetE1EEEvT1_
; %bb.0:
	.section	.rodata,"a",@progbits
	.p2align	6, 0x0
	.amdhsa_kernel _ZN7rocprim17ROCPRIM_400000_NS6detail17trampoline_kernelINS0_14default_configENS1_27scan_by_key_config_selectorIijEEZZNS1_16scan_by_key_implILNS1_25lookback_scan_determinismE0ELb0ES3_N6thrust23THRUST_200600_302600_NS6detail15normal_iteratorINS9_10device_ptrIiEEEENSB_INSC_IjEEEESG_jNS9_4plusIvEENS9_8equal_toIvEEjEE10hipError_tPvRmT2_T3_T4_T5_mT6_T7_P12ihipStream_tbENKUlT_T0_E_clISt17integral_constantIbLb1EES11_EEDaSW_SX_EUlSW_E_NS1_11comp_targetILNS1_3genE3ELNS1_11target_archE908ELNS1_3gpuE7ELNS1_3repE0EEENS1_30default_config_static_selectorELNS0_4arch9wavefront6targetE1EEEvT1_
		.amdhsa_group_segment_fixed_size 0
		.amdhsa_private_segment_fixed_size 0
		.amdhsa_kernarg_size 112
		.amdhsa_user_sgpr_count 6
		.amdhsa_user_sgpr_private_segment_buffer 1
		.amdhsa_user_sgpr_dispatch_ptr 0
		.amdhsa_user_sgpr_queue_ptr 0
		.amdhsa_user_sgpr_kernarg_segment_ptr 1
		.amdhsa_user_sgpr_dispatch_id 0
		.amdhsa_user_sgpr_flat_scratch_init 0
		.amdhsa_user_sgpr_kernarg_preload_length 0
		.amdhsa_user_sgpr_kernarg_preload_offset 0
		.amdhsa_user_sgpr_private_segment_size 0
		.amdhsa_uses_dynamic_stack 0
		.amdhsa_system_sgpr_private_segment_wavefront_offset 0
		.amdhsa_system_sgpr_workgroup_id_x 1
		.amdhsa_system_sgpr_workgroup_id_y 0
		.amdhsa_system_sgpr_workgroup_id_z 0
		.amdhsa_system_sgpr_workgroup_info 0
		.amdhsa_system_vgpr_workitem_id 0
		.amdhsa_next_free_vgpr 1
		.amdhsa_next_free_sgpr 0
		.amdhsa_accum_offset 4
		.amdhsa_reserve_vcc 0
		.amdhsa_reserve_flat_scratch 0
		.amdhsa_float_round_mode_32 0
		.amdhsa_float_round_mode_16_64 0
		.amdhsa_float_denorm_mode_32 3
		.amdhsa_float_denorm_mode_16_64 3
		.amdhsa_dx10_clamp 1
		.amdhsa_ieee_mode 1
		.amdhsa_fp16_overflow 0
		.amdhsa_tg_split 0
		.amdhsa_exception_fp_ieee_invalid_op 0
		.amdhsa_exception_fp_denorm_src 0
		.amdhsa_exception_fp_ieee_div_zero 0
		.amdhsa_exception_fp_ieee_overflow 0
		.amdhsa_exception_fp_ieee_underflow 0
		.amdhsa_exception_fp_ieee_inexact 0
		.amdhsa_exception_int_div_zero 0
	.end_amdhsa_kernel
	.section	.text._ZN7rocprim17ROCPRIM_400000_NS6detail17trampoline_kernelINS0_14default_configENS1_27scan_by_key_config_selectorIijEEZZNS1_16scan_by_key_implILNS1_25lookback_scan_determinismE0ELb0ES3_N6thrust23THRUST_200600_302600_NS6detail15normal_iteratorINS9_10device_ptrIiEEEENSB_INSC_IjEEEESG_jNS9_4plusIvEENS9_8equal_toIvEEjEE10hipError_tPvRmT2_T3_T4_T5_mT6_T7_P12ihipStream_tbENKUlT_T0_E_clISt17integral_constantIbLb1EES11_EEDaSW_SX_EUlSW_E_NS1_11comp_targetILNS1_3genE3ELNS1_11target_archE908ELNS1_3gpuE7ELNS1_3repE0EEENS1_30default_config_static_selectorELNS0_4arch9wavefront6targetE1EEEvT1_,"axG",@progbits,_ZN7rocprim17ROCPRIM_400000_NS6detail17trampoline_kernelINS0_14default_configENS1_27scan_by_key_config_selectorIijEEZZNS1_16scan_by_key_implILNS1_25lookback_scan_determinismE0ELb0ES3_N6thrust23THRUST_200600_302600_NS6detail15normal_iteratorINS9_10device_ptrIiEEEENSB_INSC_IjEEEESG_jNS9_4plusIvEENS9_8equal_toIvEEjEE10hipError_tPvRmT2_T3_T4_T5_mT6_T7_P12ihipStream_tbENKUlT_T0_E_clISt17integral_constantIbLb1EES11_EEDaSW_SX_EUlSW_E_NS1_11comp_targetILNS1_3genE3ELNS1_11target_archE908ELNS1_3gpuE7ELNS1_3repE0EEENS1_30default_config_static_selectorELNS0_4arch9wavefront6targetE1EEEvT1_,comdat
.Lfunc_end1236:
	.size	_ZN7rocprim17ROCPRIM_400000_NS6detail17trampoline_kernelINS0_14default_configENS1_27scan_by_key_config_selectorIijEEZZNS1_16scan_by_key_implILNS1_25lookback_scan_determinismE0ELb0ES3_N6thrust23THRUST_200600_302600_NS6detail15normal_iteratorINS9_10device_ptrIiEEEENSB_INSC_IjEEEESG_jNS9_4plusIvEENS9_8equal_toIvEEjEE10hipError_tPvRmT2_T3_T4_T5_mT6_T7_P12ihipStream_tbENKUlT_T0_E_clISt17integral_constantIbLb1EES11_EEDaSW_SX_EUlSW_E_NS1_11comp_targetILNS1_3genE3ELNS1_11target_archE908ELNS1_3gpuE7ELNS1_3repE0EEENS1_30default_config_static_selectorELNS0_4arch9wavefront6targetE1EEEvT1_, .Lfunc_end1236-_ZN7rocprim17ROCPRIM_400000_NS6detail17trampoline_kernelINS0_14default_configENS1_27scan_by_key_config_selectorIijEEZZNS1_16scan_by_key_implILNS1_25lookback_scan_determinismE0ELb0ES3_N6thrust23THRUST_200600_302600_NS6detail15normal_iteratorINS9_10device_ptrIiEEEENSB_INSC_IjEEEESG_jNS9_4plusIvEENS9_8equal_toIvEEjEE10hipError_tPvRmT2_T3_T4_T5_mT6_T7_P12ihipStream_tbENKUlT_T0_E_clISt17integral_constantIbLb1EES11_EEDaSW_SX_EUlSW_E_NS1_11comp_targetILNS1_3genE3ELNS1_11target_archE908ELNS1_3gpuE7ELNS1_3repE0EEENS1_30default_config_static_selectorELNS0_4arch9wavefront6targetE1EEEvT1_
                                        ; -- End function
	.section	.AMDGPU.csdata,"",@progbits
; Kernel info:
; codeLenInByte = 0
; NumSgprs: 4
; NumVgprs: 0
; NumAgprs: 0
; TotalNumVgprs: 0
; ScratchSize: 0
; MemoryBound: 0
; FloatMode: 240
; IeeeMode: 1
; LDSByteSize: 0 bytes/workgroup (compile time only)
; SGPRBlocks: 0
; VGPRBlocks: 0
; NumSGPRsForWavesPerEU: 4
; NumVGPRsForWavesPerEU: 1
; AccumOffset: 4
; Occupancy: 8
; WaveLimiterHint : 0
; COMPUTE_PGM_RSRC2:SCRATCH_EN: 0
; COMPUTE_PGM_RSRC2:USER_SGPR: 6
; COMPUTE_PGM_RSRC2:TRAP_HANDLER: 0
; COMPUTE_PGM_RSRC2:TGID_X_EN: 1
; COMPUTE_PGM_RSRC2:TGID_Y_EN: 0
; COMPUTE_PGM_RSRC2:TGID_Z_EN: 0
; COMPUTE_PGM_RSRC2:TIDIG_COMP_CNT: 0
; COMPUTE_PGM_RSRC3_GFX90A:ACCUM_OFFSET: 0
; COMPUTE_PGM_RSRC3_GFX90A:TG_SPLIT: 0
	.section	.text._ZN7rocprim17ROCPRIM_400000_NS6detail17trampoline_kernelINS0_14default_configENS1_27scan_by_key_config_selectorIijEEZZNS1_16scan_by_key_implILNS1_25lookback_scan_determinismE0ELb0ES3_N6thrust23THRUST_200600_302600_NS6detail15normal_iteratorINS9_10device_ptrIiEEEENSB_INSC_IjEEEESG_jNS9_4plusIvEENS9_8equal_toIvEEjEE10hipError_tPvRmT2_T3_T4_T5_mT6_T7_P12ihipStream_tbENKUlT_T0_E_clISt17integral_constantIbLb1EES11_EEDaSW_SX_EUlSW_E_NS1_11comp_targetILNS1_3genE2ELNS1_11target_archE906ELNS1_3gpuE6ELNS1_3repE0EEENS1_30default_config_static_selectorELNS0_4arch9wavefront6targetE1EEEvT1_,"axG",@progbits,_ZN7rocprim17ROCPRIM_400000_NS6detail17trampoline_kernelINS0_14default_configENS1_27scan_by_key_config_selectorIijEEZZNS1_16scan_by_key_implILNS1_25lookback_scan_determinismE0ELb0ES3_N6thrust23THRUST_200600_302600_NS6detail15normal_iteratorINS9_10device_ptrIiEEEENSB_INSC_IjEEEESG_jNS9_4plusIvEENS9_8equal_toIvEEjEE10hipError_tPvRmT2_T3_T4_T5_mT6_T7_P12ihipStream_tbENKUlT_T0_E_clISt17integral_constantIbLb1EES11_EEDaSW_SX_EUlSW_E_NS1_11comp_targetILNS1_3genE2ELNS1_11target_archE906ELNS1_3gpuE6ELNS1_3repE0EEENS1_30default_config_static_selectorELNS0_4arch9wavefront6targetE1EEEvT1_,comdat
	.protected	_ZN7rocprim17ROCPRIM_400000_NS6detail17trampoline_kernelINS0_14default_configENS1_27scan_by_key_config_selectorIijEEZZNS1_16scan_by_key_implILNS1_25lookback_scan_determinismE0ELb0ES3_N6thrust23THRUST_200600_302600_NS6detail15normal_iteratorINS9_10device_ptrIiEEEENSB_INSC_IjEEEESG_jNS9_4plusIvEENS9_8equal_toIvEEjEE10hipError_tPvRmT2_T3_T4_T5_mT6_T7_P12ihipStream_tbENKUlT_T0_E_clISt17integral_constantIbLb1EES11_EEDaSW_SX_EUlSW_E_NS1_11comp_targetILNS1_3genE2ELNS1_11target_archE906ELNS1_3gpuE6ELNS1_3repE0EEENS1_30default_config_static_selectorELNS0_4arch9wavefront6targetE1EEEvT1_ ; -- Begin function _ZN7rocprim17ROCPRIM_400000_NS6detail17trampoline_kernelINS0_14default_configENS1_27scan_by_key_config_selectorIijEEZZNS1_16scan_by_key_implILNS1_25lookback_scan_determinismE0ELb0ES3_N6thrust23THRUST_200600_302600_NS6detail15normal_iteratorINS9_10device_ptrIiEEEENSB_INSC_IjEEEESG_jNS9_4plusIvEENS9_8equal_toIvEEjEE10hipError_tPvRmT2_T3_T4_T5_mT6_T7_P12ihipStream_tbENKUlT_T0_E_clISt17integral_constantIbLb1EES11_EEDaSW_SX_EUlSW_E_NS1_11comp_targetILNS1_3genE2ELNS1_11target_archE906ELNS1_3gpuE6ELNS1_3repE0EEENS1_30default_config_static_selectorELNS0_4arch9wavefront6targetE1EEEvT1_
	.globl	_ZN7rocprim17ROCPRIM_400000_NS6detail17trampoline_kernelINS0_14default_configENS1_27scan_by_key_config_selectorIijEEZZNS1_16scan_by_key_implILNS1_25lookback_scan_determinismE0ELb0ES3_N6thrust23THRUST_200600_302600_NS6detail15normal_iteratorINS9_10device_ptrIiEEEENSB_INSC_IjEEEESG_jNS9_4plusIvEENS9_8equal_toIvEEjEE10hipError_tPvRmT2_T3_T4_T5_mT6_T7_P12ihipStream_tbENKUlT_T0_E_clISt17integral_constantIbLb1EES11_EEDaSW_SX_EUlSW_E_NS1_11comp_targetILNS1_3genE2ELNS1_11target_archE906ELNS1_3gpuE6ELNS1_3repE0EEENS1_30default_config_static_selectorELNS0_4arch9wavefront6targetE1EEEvT1_
	.p2align	8
	.type	_ZN7rocprim17ROCPRIM_400000_NS6detail17trampoline_kernelINS0_14default_configENS1_27scan_by_key_config_selectorIijEEZZNS1_16scan_by_key_implILNS1_25lookback_scan_determinismE0ELb0ES3_N6thrust23THRUST_200600_302600_NS6detail15normal_iteratorINS9_10device_ptrIiEEEENSB_INSC_IjEEEESG_jNS9_4plusIvEENS9_8equal_toIvEEjEE10hipError_tPvRmT2_T3_T4_T5_mT6_T7_P12ihipStream_tbENKUlT_T0_E_clISt17integral_constantIbLb1EES11_EEDaSW_SX_EUlSW_E_NS1_11comp_targetILNS1_3genE2ELNS1_11target_archE906ELNS1_3gpuE6ELNS1_3repE0EEENS1_30default_config_static_selectorELNS0_4arch9wavefront6targetE1EEEvT1_,@function
_ZN7rocprim17ROCPRIM_400000_NS6detail17trampoline_kernelINS0_14default_configENS1_27scan_by_key_config_selectorIijEEZZNS1_16scan_by_key_implILNS1_25lookback_scan_determinismE0ELb0ES3_N6thrust23THRUST_200600_302600_NS6detail15normal_iteratorINS9_10device_ptrIiEEEENSB_INSC_IjEEEESG_jNS9_4plusIvEENS9_8equal_toIvEEjEE10hipError_tPvRmT2_T3_T4_T5_mT6_T7_P12ihipStream_tbENKUlT_T0_E_clISt17integral_constantIbLb1EES11_EEDaSW_SX_EUlSW_E_NS1_11comp_targetILNS1_3genE2ELNS1_11target_archE906ELNS1_3gpuE6ELNS1_3repE0EEENS1_30default_config_static_selectorELNS0_4arch9wavefront6targetE1EEEvT1_: ; @_ZN7rocprim17ROCPRIM_400000_NS6detail17trampoline_kernelINS0_14default_configENS1_27scan_by_key_config_selectorIijEEZZNS1_16scan_by_key_implILNS1_25lookback_scan_determinismE0ELb0ES3_N6thrust23THRUST_200600_302600_NS6detail15normal_iteratorINS9_10device_ptrIiEEEENSB_INSC_IjEEEESG_jNS9_4plusIvEENS9_8equal_toIvEEjEE10hipError_tPvRmT2_T3_T4_T5_mT6_T7_P12ihipStream_tbENKUlT_T0_E_clISt17integral_constantIbLb1EES11_EEDaSW_SX_EUlSW_E_NS1_11comp_targetILNS1_3genE2ELNS1_11target_archE906ELNS1_3gpuE6ELNS1_3repE0EEENS1_30default_config_static_selectorELNS0_4arch9wavefront6targetE1EEEvT1_
; %bb.0:
	.section	.rodata,"a",@progbits
	.p2align	6, 0x0
	.amdhsa_kernel _ZN7rocprim17ROCPRIM_400000_NS6detail17trampoline_kernelINS0_14default_configENS1_27scan_by_key_config_selectorIijEEZZNS1_16scan_by_key_implILNS1_25lookback_scan_determinismE0ELb0ES3_N6thrust23THRUST_200600_302600_NS6detail15normal_iteratorINS9_10device_ptrIiEEEENSB_INSC_IjEEEESG_jNS9_4plusIvEENS9_8equal_toIvEEjEE10hipError_tPvRmT2_T3_T4_T5_mT6_T7_P12ihipStream_tbENKUlT_T0_E_clISt17integral_constantIbLb1EES11_EEDaSW_SX_EUlSW_E_NS1_11comp_targetILNS1_3genE2ELNS1_11target_archE906ELNS1_3gpuE6ELNS1_3repE0EEENS1_30default_config_static_selectorELNS0_4arch9wavefront6targetE1EEEvT1_
		.amdhsa_group_segment_fixed_size 0
		.amdhsa_private_segment_fixed_size 0
		.amdhsa_kernarg_size 112
		.amdhsa_user_sgpr_count 6
		.amdhsa_user_sgpr_private_segment_buffer 1
		.amdhsa_user_sgpr_dispatch_ptr 0
		.amdhsa_user_sgpr_queue_ptr 0
		.amdhsa_user_sgpr_kernarg_segment_ptr 1
		.amdhsa_user_sgpr_dispatch_id 0
		.amdhsa_user_sgpr_flat_scratch_init 0
		.amdhsa_user_sgpr_kernarg_preload_length 0
		.amdhsa_user_sgpr_kernarg_preload_offset 0
		.amdhsa_user_sgpr_private_segment_size 0
		.amdhsa_uses_dynamic_stack 0
		.amdhsa_system_sgpr_private_segment_wavefront_offset 0
		.amdhsa_system_sgpr_workgroup_id_x 1
		.amdhsa_system_sgpr_workgroup_id_y 0
		.amdhsa_system_sgpr_workgroup_id_z 0
		.amdhsa_system_sgpr_workgroup_info 0
		.amdhsa_system_vgpr_workitem_id 0
		.amdhsa_next_free_vgpr 1
		.amdhsa_next_free_sgpr 0
		.amdhsa_accum_offset 4
		.amdhsa_reserve_vcc 0
		.amdhsa_reserve_flat_scratch 0
		.amdhsa_float_round_mode_32 0
		.amdhsa_float_round_mode_16_64 0
		.amdhsa_float_denorm_mode_32 3
		.amdhsa_float_denorm_mode_16_64 3
		.amdhsa_dx10_clamp 1
		.amdhsa_ieee_mode 1
		.amdhsa_fp16_overflow 0
		.amdhsa_tg_split 0
		.amdhsa_exception_fp_ieee_invalid_op 0
		.amdhsa_exception_fp_denorm_src 0
		.amdhsa_exception_fp_ieee_div_zero 0
		.amdhsa_exception_fp_ieee_overflow 0
		.amdhsa_exception_fp_ieee_underflow 0
		.amdhsa_exception_fp_ieee_inexact 0
		.amdhsa_exception_int_div_zero 0
	.end_amdhsa_kernel
	.section	.text._ZN7rocprim17ROCPRIM_400000_NS6detail17trampoline_kernelINS0_14default_configENS1_27scan_by_key_config_selectorIijEEZZNS1_16scan_by_key_implILNS1_25lookback_scan_determinismE0ELb0ES3_N6thrust23THRUST_200600_302600_NS6detail15normal_iteratorINS9_10device_ptrIiEEEENSB_INSC_IjEEEESG_jNS9_4plusIvEENS9_8equal_toIvEEjEE10hipError_tPvRmT2_T3_T4_T5_mT6_T7_P12ihipStream_tbENKUlT_T0_E_clISt17integral_constantIbLb1EES11_EEDaSW_SX_EUlSW_E_NS1_11comp_targetILNS1_3genE2ELNS1_11target_archE906ELNS1_3gpuE6ELNS1_3repE0EEENS1_30default_config_static_selectorELNS0_4arch9wavefront6targetE1EEEvT1_,"axG",@progbits,_ZN7rocprim17ROCPRIM_400000_NS6detail17trampoline_kernelINS0_14default_configENS1_27scan_by_key_config_selectorIijEEZZNS1_16scan_by_key_implILNS1_25lookback_scan_determinismE0ELb0ES3_N6thrust23THRUST_200600_302600_NS6detail15normal_iteratorINS9_10device_ptrIiEEEENSB_INSC_IjEEEESG_jNS9_4plusIvEENS9_8equal_toIvEEjEE10hipError_tPvRmT2_T3_T4_T5_mT6_T7_P12ihipStream_tbENKUlT_T0_E_clISt17integral_constantIbLb1EES11_EEDaSW_SX_EUlSW_E_NS1_11comp_targetILNS1_3genE2ELNS1_11target_archE906ELNS1_3gpuE6ELNS1_3repE0EEENS1_30default_config_static_selectorELNS0_4arch9wavefront6targetE1EEEvT1_,comdat
.Lfunc_end1237:
	.size	_ZN7rocprim17ROCPRIM_400000_NS6detail17trampoline_kernelINS0_14default_configENS1_27scan_by_key_config_selectorIijEEZZNS1_16scan_by_key_implILNS1_25lookback_scan_determinismE0ELb0ES3_N6thrust23THRUST_200600_302600_NS6detail15normal_iteratorINS9_10device_ptrIiEEEENSB_INSC_IjEEEESG_jNS9_4plusIvEENS9_8equal_toIvEEjEE10hipError_tPvRmT2_T3_T4_T5_mT6_T7_P12ihipStream_tbENKUlT_T0_E_clISt17integral_constantIbLb1EES11_EEDaSW_SX_EUlSW_E_NS1_11comp_targetILNS1_3genE2ELNS1_11target_archE906ELNS1_3gpuE6ELNS1_3repE0EEENS1_30default_config_static_selectorELNS0_4arch9wavefront6targetE1EEEvT1_, .Lfunc_end1237-_ZN7rocprim17ROCPRIM_400000_NS6detail17trampoline_kernelINS0_14default_configENS1_27scan_by_key_config_selectorIijEEZZNS1_16scan_by_key_implILNS1_25lookback_scan_determinismE0ELb0ES3_N6thrust23THRUST_200600_302600_NS6detail15normal_iteratorINS9_10device_ptrIiEEEENSB_INSC_IjEEEESG_jNS9_4plusIvEENS9_8equal_toIvEEjEE10hipError_tPvRmT2_T3_T4_T5_mT6_T7_P12ihipStream_tbENKUlT_T0_E_clISt17integral_constantIbLb1EES11_EEDaSW_SX_EUlSW_E_NS1_11comp_targetILNS1_3genE2ELNS1_11target_archE906ELNS1_3gpuE6ELNS1_3repE0EEENS1_30default_config_static_selectorELNS0_4arch9wavefront6targetE1EEEvT1_
                                        ; -- End function
	.section	.AMDGPU.csdata,"",@progbits
; Kernel info:
; codeLenInByte = 0
; NumSgprs: 4
; NumVgprs: 0
; NumAgprs: 0
; TotalNumVgprs: 0
; ScratchSize: 0
; MemoryBound: 0
; FloatMode: 240
; IeeeMode: 1
; LDSByteSize: 0 bytes/workgroup (compile time only)
; SGPRBlocks: 0
; VGPRBlocks: 0
; NumSGPRsForWavesPerEU: 4
; NumVGPRsForWavesPerEU: 1
; AccumOffset: 4
; Occupancy: 8
; WaveLimiterHint : 0
; COMPUTE_PGM_RSRC2:SCRATCH_EN: 0
; COMPUTE_PGM_RSRC2:USER_SGPR: 6
; COMPUTE_PGM_RSRC2:TRAP_HANDLER: 0
; COMPUTE_PGM_RSRC2:TGID_X_EN: 1
; COMPUTE_PGM_RSRC2:TGID_Y_EN: 0
; COMPUTE_PGM_RSRC2:TGID_Z_EN: 0
; COMPUTE_PGM_RSRC2:TIDIG_COMP_CNT: 0
; COMPUTE_PGM_RSRC3_GFX90A:ACCUM_OFFSET: 0
; COMPUTE_PGM_RSRC3_GFX90A:TG_SPLIT: 0
	.section	.text._ZN7rocprim17ROCPRIM_400000_NS6detail17trampoline_kernelINS0_14default_configENS1_27scan_by_key_config_selectorIijEEZZNS1_16scan_by_key_implILNS1_25lookback_scan_determinismE0ELb0ES3_N6thrust23THRUST_200600_302600_NS6detail15normal_iteratorINS9_10device_ptrIiEEEENSB_INSC_IjEEEESG_jNS9_4plusIvEENS9_8equal_toIvEEjEE10hipError_tPvRmT2_T3_T4_T5_mT6_T7_P12ihipStream_tbENKUlT_T0_E_clISt17integral_constantIbLb1EES11_EEDaSW_SX_EUlSW_E_NS1_11comp_targetILNS1_3genE10ELNS1_11target_archE1200ELNS1_3gpuE4ELNS1_3repE0EEENS1_30default_config_static_selectorELNS0_4arch9wavefront6targetE1EEEvT1_,"axG",@progbits,_ZN7rocprim17ROCPRIM_400000_NS6detail17trampoline_kernelINS0_14default_configENS1_27scan_by_key_config_selectorIijEEZZNS1_16scan_by_key_implILNS1_25lookback_scan_determinismE0ELb0ES3_N6thrust23THRUST_200600_302600_NS6detail15normal_iteratorINS9_10device_ptrIiEEEENSB_INSC_IjEEEESG_jNS9_4plusIvEENS9_8equal_toIvEEjEE10hipError_tPvRmT2_T3_T4_T5_mT6_T7_P12ihipStream_tbENKUlT_T0_E_clISt17integral_constantIbLb1EES11_EEDaSW_SX_EUlSW_E_NS1_11comp_targetILNS1_3genE10ELNS1_11target_archE1200ELNS1_3gpuE4ELNS1_3repE0EEENS1_30default_config_static_selectorELNS0_4arch9wavefront6targetE1EEEvT1_,comdat
	.protected	_ZN7rocprim17ROCPRIM_400000_NS6detail17trampoline_kernelINS0_14default_configENS1_27scan_by_key_config_selectorIijEEZZNS1_16scan_by_key_implILNS1_25lookback_scan_determinismE0ELb0ES3_N6thrust23THRUST_200600_302600_NS6detail15normal_iteratorINS9_10device_ptrIiEEEENSB_INSC_IjEEEESG_jNS9_4plusIvEENS9_8equal_toIvEEjEE10hipError_tPvRmT2_T3_T4_T5_mT6_T7_P12ihipStream_tbENKUlT_T0_E_clISt17integral_constantIbLb1EES11_EEDaSW_SX_EUlSW_E_NS1_11comp_targetILNS1_3genE10ELNS1_11target_archE1200ELNS1_3gpuE4ELNS1_3repE0EEENS1_30default_config_static_selectorELNS0_4arch9wavefront6targetE1EEEvT1_ ; -- Begin function _ZN7rocprim17ROCPRIM_400000_NS6detail17trampoline_kernelINS0_14default_configENS1_27scan_by_key_config_selectorIijEEZZNS1_16scan_by_key_implILNS1_25lookback_scan_determinismE0ELb0ES3_N6thrust23THRUST_200600_302600_NS6detail15normal_iteratorINS9_10device_ptrIiEEEENSB_INSC_IjEEEESG_jNS9_4plusIvEENS9_8equal_toIvEEjEE10hipError_tPvRmT2_T3_T4_T5_mT6_T7_P12ihipStream_tbENKUlT_T0_E_clISt17integral_constantIbLb1EES11_EEDaSW_SX_EUlSW_E_NS1_11comp_targetILNS1_3genE10ELNS1_11target_archE1200ELNS1_3gpuE4ELNS1_3repE0EEENS1_30default_config_static_selectorELNS0_4arch9wavefront6targetE1EEEvT1_
	.globl	_ZN7rocprim17ROCPRIM_400000_NS6detail17trampoline_kernelINS0_14default_configENS1_27scan_by_key_config_selectorIijEEZZNS1_16scan_by_key_implILNS1_25lookback_scan_determinismE0ELb0ES3_N6thrust23THRUST_200600_302600_NS6detail15normal_iteratorINS9_10device_ptrIiEEEENSB_INSC_IjEEEESG_jNS9_4plusIvEENS9_8equal_toIvEEjEE10hipError_tPvRmT2_T3_T4_T5_mT6_T7_P12ihipStream_tbENKUlT_T0_E_clISt17integral_constantIbLb1EES11_EEDaSW_SX_EUlSW_E_NS1_11comp_targetILNS1_3genE10ELNS1_11target_archE1200ELNS1_3gpuE4ELNS1_3repE0EEENS1_30default_config_static_selectorELNS0_4arch9wavefront6targetE1EEEvT1_
	.p2align	8
	.type	_ZN7rocprim17ROCPRIM_400000_NS6detail17trampoline_kernelINS0_14default_configENS1_27scan_by_key_config_selectorIijEEZZNS1_16scan_by_key_implILNS1_25lookback_scan_determinismE0ELb0ES3_N6thrust23THRUST_200600_302600_NS6detail15normal_iteratorINS9_10device_ptrIiEEEENSB_INSC_IjEEEESG_jNS9_4plusIvEENS9_8equal_toIvEEjEE10hipError_tPvRmT2_T3_T4_T5_mT6_T7_P12ihipStream_tbENKUlT_T0_E_clISt17integral_constantIbLb1EES11_EEDaSW_SX_EUlSW_E_NS1_11comp_targetILNS1_3genE10ELNS1_11target_archE1200ELNS1_3gpuE4ELNS1_3repE0EEENS1_30default_config_static_selectorELNS0_4arch9wavefront6targetE1EEEvT1_,@function
_ZN7rocprim17ROCPRIM_400000_NS6detail17trampoline_kernelINS0_14default_configENS1_27scan_by_key_config_selectorIijEEZZNS1_16scan_by_key_implILNS1_25lookback_scan_determinismE0ELb0ES3_N6thrust23THRUST_200600_302600_NS6detail15normal_iteratorINS9_10device_ptrIiEEEENSB_INSC_IjEEEESG_jNS9_4plusIvEENS9_8equal_toIvEEjEE10hipError_tPvRmT2_T3_T4_T5_mT6_T7_P12ihipStream_tbENKUlT_T0_E_clISt17integral_constantIbLb1EES11_EEDaSW_SX_EUlSW_E_NS1_11comp_targetILNS1_3genE10ELNS1_11target_archE1200ELNS1_3gpuE4ELNS1_3repE0EEENS1_30default_config_static_selectorELNS0_4arch9wavefront6targetE1EEEvT1_: ; @_ZN7rocprim17ROCPRIM_400000_NS6detail17trampoline_kernelINS0_14default_configENS1_27scan_by_key_config_selectorIijEEZZNS1_16scan_by_key_implILNS1_25lookback_scan_determinismE0ELb0ES3_N6thrust23THRUST_200600_302600_NS6detail15normal_iteratorINS9_10device_ptrIiEEEENSB_INSC_IjEEEESG_jNS9_4plusIvEENS9_8equal_toIvEEjEE10hipError_tPvRmT2_T3_T4_T5_mT6_T7_P12ihipStream_tbENKUlT_T0_E_clISt17integral_constantIbLb1EES11_EEDaSW_SX_EUlSW_E_NS1_11comp_targetILNS1_3genE10ELNS1_11target_archE1200ELNS1_3gpuE4ELNS1_3repE0EEENS1_30default_config_static_selectorELNS0_4arch9wavefront6targetE1EEEvT1_
; %bb.0:
	.section	.rodata,"a",@progbits
	.p2align	6, 0x0
	.amdhsa_kernel _ZN7rocprim17ROCPRIM_400000_NS6detail17trampoline_kernelINS0_14default_configENS1_27scan_by_key_config_selectorIijEEZZNS1_16scan_by_key_implILNS1_25lookback_scan_determinismE0ELb0ES3_N6thrust23THRUST_200600_302600_NS6detail15normal_iteratorINS9_10device_ptrIiEEEENSB_INSC_IjEEEESG_jNS9_4plusIvEENS9_8equal_toIvEEjEE10hipError_tPvRmT2_T3_T4_T5_mT6_T7_P12ihipStream_tbENKUlT_T0_E_clISt17integral_constantIbLb1EES11_EEDaSW_SX_EUlSW_E_NS1_11comp_targetILNS1_3genE10ELNS1_11target_archE1200ELNS1_3gpuE4ELNS1_3repE0EEENS1_30default_config_static_selectorELNS0_4arch9wavefront6targetE1EEEvT1_
		.amdhsa_group_segment_fixed_size 0
		.amdhsa_private_segment_fixed_size 0
		.amdhsa_kernarg_size 112
		.amdhsa_user_sgpr_count 6
		.amdhsa_user_sgpr_private_segment_buffer 1
		.amdhsa_user_sgpr_dispatch_ptr 0
		.amdhsa_user_sgpr_queue_ptr 0
		.amdhsa_user_sgpr_kernarg_segment_ptr 1
		.amdhsa_user_sgpr_dispatch_id 0
		.amdhsa_user_sgpr_flat_scratch_init 0
		.amdhsa_user_sgpr_kernarg_preload_length 0
		.amdhsa_user_sgpr_kernarg_preload_offset 0
		.amdhsa_user_sgpr_private_segment_size 0
		.amdhsa_uses_dynamic_stack 0
		.amdhsa_system_sgpr_private_segment_wavefront_offset 0
		.amdhsa_system_sgpr_workgroup_id_x 1
		.amdhsa_system_sgpr_workgroup_id_y 0
		.amdhsa_system_sgpr_workgroup_id_z 0
		.amdhsa_system_sgpr_workgroup_info 0
		.amdhsa_system_vgpr_workitem_id 0
		.amdhsa_next_free_vgpr 1
		.amdhsa_next_free_sgpr 0
		.amdhsa_accum_offset 4
		.amdhsa_reserve_vcc 0
		.amdhsa_reserve_flat_scratch 0
		.amdhsa_float_round_mode_32 0
		.amdhsa_float_round_mode_16_64 0
		.amdhsa_float_denorm_mode_32 3
		.amdhsa_float_denorm_mode_16_64 3
		.amdhsa_dx10_clamp 1
		.amdhsa_ieee_mode 1
		.amdhsa_fp16_overflow 0
		.amdhsa_tg_split 0
		.amdhsa_exception_fp_ieee_invalid_op 0
		.amdhsa_exception_fp_denorm_src 0
		.amdhsa_exception_fp_ieee_div_zero 0
		.amdhsa_exception_fp_ieee_overflow 0
		.amdhsa_exception_fp_ieee_underflow 0
		.amdhsa_exception_fp_ieee_inexact 0
		.amdhsa_exception_int_div_zero 0
	.end_amdhsa_kernel
	.section	.text._ZN7rocprim17ROCPRIM_400000_NS6detail17trampoline_kernelINS0_14default_configENS1_27scan_by_key_config_selectorIijEEZZNS1_16scan_by_key_implILNS1_25lookback_scan_determinismE0ELb0ES3_N6thrust23THRUST_200600_302600_NS6detail15normal_iteratorINS9_10device_ptrIiEEEENSB_INSC_IjEEEESG_jNS9_4plusIvEENS9_8equal_toIvEEjEE10hipError_tPvRmT2_T3_T4_T5_mT6_T7_P12ihipStream_tbENKUlT_T0_E_clISt17integral_constantIbLb1EES11_EEDaSW_SX_EUlSW_E_NS1_11comp_targetILNS1_3genE10ELNS1_11target_archE1200ELNS1_3gpuE4ELNS1_3repE0EEENS1_30default_config_static_selectorELNS0_4arch9wavefront6targetE1EEEvT1_,"axG",@progbits,_ZN7rocprim17ROCPRIM_400000_NS6detail17trampoline_kernelINS0_14default_configENS1_27scan_by_key_config_selectorIijEEZZNS1_16scan_by_key_implILNS1_25lookback_scan_determinismE0ELb0ES3_N6thrust23THRUST_200600_302600_NS6detail15normal_iteratorINS9_10device_ptrIiEEEENSB_INSC_IjEEEESG_jNS9_4plusIvEENS9_8equal_toIvEEjEE10hipError_tPvRmT2_T3_T4_T5_mT6_T7_P12ihipStream_tbENKUlT_T0_E_clISt17integral_constantIbLb1EES11_EEDaSW_SX_EUlSW_E_NS1_11comp_targetILNS1_3genE10ELNS1_11target_archE1200ELNS1_3gpuE4ELNS1_3repE0EEENS1_30default_config_static_selectorELNS0_4arch9wavefront6targetE1EEEvT1_,comdat
.Lfunc_end1238:
	.size	_ZN7rocprim17ROCPRIM_400000_NS6detail17trampoline_kernelINS0_14default_configENS1_27scan_by_key_config_selectorIijEEZZNS1_16scan_by_key_implILNS1_25lookback_scan_determinismE0ELb0ES3_N6thrust23THRUST_200600_302600_NS6detail15normal_iteratorINS9_10device_ptrIiEEEENSB_INSC_IjEEEESG_jNS9_4plusIvEENS9_8equal_toIvEEjEE10hipError_tPvRmT2_T3_T4_T5_mT6_T7_P12ihipStream_tbENKUlT_T0_E_clISt17integral_constantIbLb1EES11_EEDaSW_SX_EUlSW_E_NS1_11comp_targetILNS1_3genE10ELNS1_11target_archE1200ELNS1_3gpuE4ELNS1_3repE0EEENS1_30default_config_static_selectorELNS0_4arch9wavefront6targetE1EEEvT1_, .Lfunc_end1238-_ZN7rocprim17ROCPRIM_400000_NS6detail17trampoline_kernelINS0_14default_configENS1_27scan_by_key_config_selectorIijEEZZNS1_16scan_by_key_implILNS1_25lookback_scan_determinismE0ELb0ES3_N6thrust23THRUST_200600_302600_NS6detail15normal_iteratorINS9_10device_ptrIiEEEENSB_INSC_IjEEEESG_jNS9_4plusIvEENS9_8equal_toIvEEjEE10hipError_tPvRmT2_T3_T4_T5_mT6_T7_P12ihipStream_tbENKUlT_T0_E_clISt17integral_constantIbLb1EES11_EEDaSW_SX_EUlSW_E_NS1_11comp_targetILNS1_3genE10ELNS1_11target_archE1200ELNS1_3gpuE4ELNS1_3repE0EEENS1_30default_config_static_selectorELNS0_4arch9wavefront6targetE1EEEvT1_
                                        ; -- End function
	.section	.AMDGPU.csdata,"",@progbits
; Kernel info:
; codeLenInByte = 0
; NumSgprs: 4
; NumVgprs: 0
; NumAgprs: 0
; TotalNumVgprs: 0
; ScratchSize: 0
; MemoryBound: 0
; FloatMode: 240
; IeeeMode: 1
; LDSByteSize: 0 bytes/workgroup (compile time only)
; SGPRBlocks: 0
; VGPRBlocks: 0
; NumSGPRsForWavesPerEU: 4
; NumVGPRsForWavesPerEU: 1
; AccumOffset: 4
; Occupancy: 8
; WaveLimiterHint : 0
; COMPUTE_PGM_RSRC2:SCRATCH_EN: 0
; COMPUTE_PGM_RSRC2:USER_SGPR: 6
; COMPUTE_PGM_RSRC2:TRAP_HANDLER: 0
; COMPUTE_PGM_RSRC2:TGID_X_EN: 1
; COMPUTE_PGM_RSRC2:TGID_Y_EN: 0
; COMPUTE_PGM_RSRC2:TGID_Z_EN: 0
; COMPUTE_PGM_RSRC2:TIDIG_COMP_CNT: 0
; COMPUTE_PGM_RSRC3_GFX90A:ACCUM_OFFSET: 0
; COMPUTE_PGM_RSRC3_GFX90A:TG_SPLIT: 0
	.section	.text._ZN7rocprim17ROCPRIM_400000_NS6detail17trampoline_kernelINS0_14default_configENS1_27scan_by_key_config_selectorIijEEZZNS1_16scan_by_key_implILNS1_25lookback_scan_determinismE0ELb0ES3_N6thrust23THRUST_200600_302600_NS6detail15normal_iteratorINS9_10device_ptrIiEEEENSB_INSC_IjEEEESG_jNS9_4plusIvEENS9_8equal_toIvEEjEE10hipError_tPvRmT2_T3_T4_T5_mT6_T7_P12ihipStream_tbENKUlT_T0_E_clISt17integral_constantIbLb1EES11_EEDaSW_SX_EUlSW_E_NS1_11comp_targetILNS1_3genE9ELNS1_11target_archE1100ELNS1_3gpuE3ELNS1_3repE0EEENS1_30default_config_static_selectorELNS0_4arch9wavefront6targetE1EEEvT1_,"axG",@progbits,_ZN7rocprim17ROCPRIM_400000_NS6detail17trampoline_kernelINS0_14default_configENS1_27scan_by_key_config_selectorIijEEZZNS1_16scan_by_key_implILNS1_25lookback_scan_determinismE0ELb0ES3_N6thrust23THRUST_200600_302600_NS6detail15normal_iteratorINS9_10device_ptrIiEEEENSB_INSC_IjEEEESG_jNS9_4plusIvEENS9_8equal_toIvEEjEE10hipError_tPvRmT2_T3_T4_T5_mT6_T7_P12ihipStream_tbENKUlT_T0_E_clISt17integral_constantIbLb1EES11_EEDaSW_SX_EUlSW_E_NS1_11comp_targetILNS1_3genE9ELNS1_11target_archE1100ELNS1_3gpuE3ELNS1_3repE0EEENS1_30default_config_static_selectorELNS0_4arch9wavefront6targetE1EEEvT1_,comdat
	.protected	_ZN7rocprim17ROCPRIM_400000_NS6detail17trampoline_kernelINS0_14default_configENS1_27scan_by_key_config_selectorIijEEZZNS1_16scan_by_key_implILNS1_25lookback_scan_determinismE0ELb0ES3_N6thrust23THRUST_200600_302600_NS6detail15normal_iteratorINS9_10device_ptrIiEEEENSB_INSC_IjEEEESG_jNS9_4plusIvEENS9_8equal_toIvEEjEE10hipError_tPvRmT2_T3_T4_T5_mT6_T7_P12ihipStream_tbENKUlT_T0_E_clISt17integral_constantIbLb1EES11_EEDaSW_SX_EUlSW_E_NS1_11comp_targetILNS1_3genE9ELNS1_11target_archE1100ELNS1_3gpuE3ELNS1_3repE0EEENS1_30default_config_static_selectorELNS0_4arch9wavefront6targetE1EEEvT1_ ; -- Begin function _ZN7rocprim17ROCPRIM_400000_NS6detail17trampoline_kernelINS0_14default_configENS1_27scan_by_key_config_selectorIijEEZZNS1_16scan_by_key_implILNS1_25lookback_scan_determinismE0ELb0ES3_N6thrust23THRUST_200600_302600_NS6detail15normal_iteratorINS9_10device_ptrIiEEEENSB_INSC_IjEEEESG_jNS9_4plusIvEENS9_8equal_toIvEEjEE10hipError_tPvRmT2_T3_T4_T5_mT6_T7_P12ihipStream_tbENKUlT_T0_E_clISt17integral_constantIbLb1EES11_EEDaSW_SX_EUlSW_E_NS1_11comp_targetILNS1_3genE9ELNS1_11target_archE1100ELNS1_3gpuE3ELNS1_3repE0EEENS1_30default_config_static_selectorELNS0_4arch9wavefront6targetE1EEEvT1_
	.globl	_ZN7rocprim17ROCPRIM_400000_NS6detail17trampoline_kernelINS0_14default_configENS1_27scan_by_key_config_selectorIijEEZZNS1_16scan_by_key_implILNS1_25lookback_scan_determinismE0ELb0ES3_N6thrust23THRUST_200600_302600_NS6detail15normal_iteratorINS9_10device_ptrIiEEEENSB_INSC_IjEEEESG_jNS9_4plusIvEENS9_8equal_toIvEEjEE10hipError_tPvRmT2_T3_T4_T5_mT6_T7_P12ihipStream_tbENKUlT_T0_E_clISt17integral_constantIbLb1EES11_EEDaSW_SX_EUlSW_E_NS1_11comp_targetILNS1_3genE9ELNS1_11target_archE1100ELNS1_3gpuE3ELNS1_3repE0EEENS1_30default_config_static_selectorELNS0_4arch9wavefront6targetE1EEEvT1_
	.p2align	8
	.type	_ZN7rocprim17ROCPRIM_400000_NS6detail17trampoline_kernelINS0_14default_configENS1_27scan_by_key_config_selectorIijEEZZNS1_16scan_by_key_implILNS1_25lookback_scan_determinismE0ELb0ES3_N6thrust23THRUST_200600_302600_NS6detail15normal_iteratorINS9_10device_ptrIiEEEENSB_INSC_IjEEEESG_jNS9_4plusIvEENS9_8equal_toIvEEjEE10hipError_tPvRmT2_T3_T4_T5_mT6_T7_P12ihipStream_tbENKUlT_T0_E_clISt17integral_constantIbLb1EES11_EEDaSW_SX_EUlSW_E_NS1_11comp_targetILNS1_3genE9ELNS1_11target_archE1100ELNS1_3gpuE3ELNS1_3repE0EEENS1_30default_config_static_selectorELNS0_4arch9wavefront6targetE1EEEvT1_,@function
_ZN7rocprim17ROCPRIM_400000_NS6detail17trampoline_kernelINS0_14default_configENS1_27scan_by_key_config_selectorIijEEZZNS1_16scan_by_key_implILNS1_25lookback_scan_determinismE0ELb0ES3_N6thrust23THRUST_200600_302600_NS6detail15normal_iteratorINS9_10device_ptrIiEEEENSB_INSC_IjEEEESG_jNS9_4plusIvEENS9_8equal_toIvEEjEE10hipError_tPvRmT2_T3_T4_T5_mT6_T7_P12ihipStream_tbENKUlT_T0_E_clISt17integral_constantIbLb1EES11_EEDaSW_SX_EUlSW_E_NS1_11comp_targetILNS1_3genE9ELNS1_11target_archE1100ELNS1_3gpuE3ELNS1_3repE0EEENS1_30default_config_static_selectorELNS0_4arch9wavefront6targetE1EEEvT1_: ; @_ZN7rocprim17ROCPRIM_400000_NS6detail17trampoline_kernelINS0_14default_configENS1_27scan_by_key_config_selectorIijEEZZNS1_16scan_by_key_implILNS1_25lookback_scan_determinismE0ELb0ES3_N6thrust23THRUST_200600_302600_NS6detail15normal_iteratorINS9_10device_ptrIiEEEENSB_INSC_IjEEEESG_jNS9_4plusIvEENS9_8equal_toIvEEjEE10hipError_tPvRmT2_T3_T4_T5_mT6_T7_P12ihipStream_tbENKUlT_T0_E_clISt17integral_constantIbLb1EES11_EEDaSW_SX_EUlSW_E_NS1_11comp_targetILNS1_3genE9ELNS1_11target_archE1100ELNS1_3gpuE3ELNS1_3repE0EEENS1_30default_config_static_selectorELNS0_4arch9wavefront6targetE1EEEvT1_
; %bb.0:
	.section	.rodata,"a",@progbits
	.p2align	6, 0x0
	.amdhsa_kernel _ZN7rocprim17ROCPRIM_400000_NS6detail17trampoline_kernelINS0_14default_configENS1_27scan_by_key_config_selectorIijEEZZNS1_16scan_by_key_implILNS1_25lookback_scan_determinismE0ELb0ES3_N6thrust23THRUST_200600_302600_NS6detail15normal_iteratorINS9_10device_ptrIiEEEENSB_INSC_IjEEEESG_jNS9_4plusIvEENS9_8equal_toIvEEjEE10hipError_tPvRmT2_T3_T4_T5_mT6_T7_P12ihipStream_tbENKUlT_T0_E_clISt17integral_constantIbLb1EES11_EEDaSW_SX_EUlSW_E_NS1_11comp_targetILNS1_3genE9ELNS1_11target_archE1100ELNS1_3gpuE3ELNS1_3repE0EEENS1_30default_config_static_selectorELNS0_4arch9wavefront6targetE1EEEvT1_
		.amdhsa_group_segment_fixed_size 0
		.amdhsa_private_segment_fixed_size 0
		.amdhsa_kernarg_size 112
		.amdhsa_user_sgpr_count 6
		.amdhsa_user_sgpr_private_segment_buffer 1
		.amdhsa_user_sgpr_dispatch_ptr 0
		.amdhsa_user_sgpr_queue_ptr 0
		.amdhsa_user_sgpr_kernarg_segment_ptr 1
		.amdhsa_user_sgpr_dispatch_id 0
		.amdhsa_user_sgpr_flat_scratch_init 0
		.amdhsa_user_sgpr_kernarg_preload_length 0
		.amdhsa_user_sgpr_kernarg_preload_offset 0
		.amdhsa_user_sgpr_private_segment_size 0
		.amdhsa_uses_dynamic_stack 0
		.amdhsa_system_sgpr_private_segment_wavefront_offset 0
		.amdhsa_system_sgpr_workgroup_id_x 1
		.amdhsa_system_sgpr_workgroup_id_y 0
		.amdhsa_system_sgpr_workgroup_id_z 0
		.amdhsa_system_sgpr_workgroup_info 0
		.amdhsa_system_vgpr_workitem_id 0
		.amdhsa_next_free_vgpr 1
		.amdhsa_next_free_sgpr 0
		.amdhsa_accum_offset 4
		.amdhsa_reserve_vcc 0
		.amdhsa_reserve_flat_scratch 0
		.amdhsa_float_round_mode_32 0
		.amdhsa_float_round_mode_16_64 0
		.amdhsa_float_denorm_mode_32 3
		.amdhsa_float_denorm_mode_16_64 3
		.amdhsa_dx10_clamp 1
		.amdhsa_ieee_mode 1
		.amdhsa_fp16_overflow 0
		.amdhsa_tg_split 0
		.amdhsa_exception_fp_ieee_invalid_op 0
		.amdhsa_exception_fp_denorm_src 0
		.amdhsa_exception_fp_ieee_div_zero 0
		.amdhsa_exception_fp_ieee_overflow 0
		.amdhsa_exception_fp_ieee_underflow 0
		.amdhsa_exception_fp_ieee_inexact 0
		.amdhsa_exception_int_div_zero 0
	.end_amdhsa_kernel
	.section	.text._ZN7rocprim17ROCPRIM_400000_NS6detail17trampoline_kernelINS0_14default_configENS1_27scan_by_key_config_selectorIijEEZZNS1_16scan_by_key_implILNS1_25lookback_scan_determinismE0ELb0ES3_N6thrust23THRUST_200600_302600_NS6detail15normal_iteratorINS9_10device_ptrIiEEEENSB_INSC_IjEEEESG_jNS9_4plusIvEENS9_8equal_toIvEEjEE10hipError_tPvRmT2_T3_T4_T5_mT6_T7_P12ihipStream_tbENKUlT_T0_E_clISt17integral_constantIbLb1EES11_EEDaSW_SX_EUlSW_E_NS1_11comp_targetILNS1_3genE9ELNS1_11target_archE1100ELNS1_3gpuE3ELNS1_3repE0EEENS1_30default_config_static_selectorELNS0_4arch9wavefront6targetE1EEEvT1_,"axG",@progbits,_ZN7rocprim17ROCPRIM_400000_NS6detail17trampoline_kernelINS0_14default_configENS1_27scan_by_key_config_selectorIijEEZZNS1_16scan_by_key_implILNS1_25lookback_scan_determinismE0ELb0ES3_N6thrust23THRUST_200600_302600_NS6detail15normal_iteratorINS9_10device_ptrIiEEEENSB_INSC_IjEEEESG_jNS9_4plusIvEENS9_8equal_toIvEEjEE10hipError_tPvRmT2_T3_T4_T5_mT6_T7_P12ihipStream_tbENKUlT_T0_E_clISt17integral_constantIbLb1EES11_EEDaSW_SX_EUlSW_E_NS1_11comp_targetILNS1_3genE9ELNS1_11target_archE1100ELNS1_3gpuE3ELNS1_3repE0EEENS1_30default_config_static_selectorELNS0_4arch9wavefront6targetE1EEEvT1_,comdat
.Lfunc_end1239:
	.size	_ZN7rocprim17ROCPRIM_400000_NS6detail17trampoline_kernelINS0_14default_configENS1_27scan_by_key_config_selectorIijEEZZNS1_16scan_by_key_implILNS1_25lookback_scan_determinismE0ELb0ES3_N6thrust23THRUST_200600_302600_NS6detail15normal_iteratorINS9_10device_ptrIiEEEENSB_INSC_IjEEEESG_jNS9_4plusIvEENS9_8equal_toIvEEjEE10hipError_tPvRmT2_T3_T4_T5_mT6_T7_P12ihipStream_tbENKUlT_T0_E_clISt17integral_constantIbLb1EES11_EEDaSW_SX_EUlSW_E_NS1_11comp_targetILNS1_3genE9ELNS1_11target_archE1100ELNS1_3gpuE3ELNS1_3repE0EEENS1_30default_config_static_selectorELNS0_4arch9wavefront6targetE1EEEvT1_, .Lfunc_end1239-_ZN7rocprim17ROCPRIM_400000_NS6detail17trampoline_kernelINS0_14default_configENS1_27scan_by_key_config_selectorIijEEZZNS1_16scan_by_key_implILNS1_25lookback_scan_determinismE0ELb0ES3_N6thrust23THRUST_200600_302600_NS6detail15normal_iteratorINS9_10device_ptrIiEEEENSB_INSC_IjEEEESG_jNS9_4plusIvEENS9_8equal_toIvEEjEE10hipError_tPvRmT2_T3_T4_T5_mT6_T7_P12ihipStream_tbENKUlT_T0_E_clISt17integral_constantIbLb1EES11_EEDaSW_SX_EUlSW_E_NS1_11comp_targetILNS1_3genE9ELNS1_11target_archE1100ELNS1_3gpuE3ELNS1_3repE0EEENS1_30default_config_static_selectorELNS0_4arch9wavefront6targetE1EEEvT1_
                                        ; -- End function
	.section	.AMDGPU.csdata,"",@progbits
; Kernel info:
; codeLenInByte = 0
; NumSgprs: 4
; NumVgprs: 0
; NumAgprs: 0
; TotalNumVgprs: 0
; ScratchSize: 0
; MemoryBound: 0
; FloatMode: 240
; IeeeMode: 1
; LDSByteSize: 0 bytes/workgroup (compile time only)
; SGPRBlocks: 0
; VGPRBlocks: 0
; NumSGPRsForWavesPerEU: 4
; NumVGPRsForWavesPerEU: 1
; AccumOffset: 4
; Occupancy: 8
; WaveLimiterHint : 0
; COMPUTE_PGM_RSRC2:SCRATCH_EN: 0
; COMPUTE_PGM_RSRC2:USER_SGPR: 6
; COMPUTE_PGM_RSRC2:TRAP_HANDLER: 0
; COMPUTE_PGM_RSRC2:TGID_X_EN: 1
; COMPUTE_PGM_RSRC2:TGID_Y_EN: 0
; COMPUTE_PGM_RSRC2:TGID_Z_EN: 0
; COMPUTE_PGM_RSRC2:TIDIG_COMP_CNT: 0
; COMPUTE_PGM_RSRC3_GFX90A:ACCUM_OFFSET: 0
; COMPUTE_PGM_RSRC3_GFX90A:TG_SPLIT: 0
	.section	.text._ZN7rocprim17ROCPRIM_400000_NS6detail17trampoline_kernelINS0_14default_configENS1_27scan_by_key_config_selectorIijEEZZNS1_16scan_by_key_implILNS1_25lookback_scan_determinismE0ELb0ES3_N6thrust23THRUST_200600_302600_NS6detail15normal_iteratorINS9_10device_ptrIiEEEENSB_INSC_IjEEEESG_jNS9_4plusIvEENS9_8equal_toIvEEjEE10hipError_tPvRmT2_T3_T4_T5_mT6_T7_P12ihipStream_tbENKUlT_T0_E_clISt17integral_constantIbLb1EES11_EEDaSW_SX_EUlSW_E_NS1_11comp_targetILNS1_3genE8ELNS1_11target_archE1030ELNS1_3gpuE2ELNS1_3repE0EEENS1_30default_config_static_selectorELNS0_4arch9wavefront6targetE1EEEvT1_,"axG",@progbits,_ZN7rocprim17ROCPRIM_400000_NS6detail17trampoline_kernelINS0_14default_configENS1_27scan_by_key_config_selectorIijEEZZNS1_16scan_by_key_implILNS1_25lookback_scan_determinismE0ELb0ES3_N6thrust23THRUST_200600_302600_NS6detail15normal_iteratorINS9_10device_ptrIiEEEENSB_INSC_IjEEEESG_jNS9_4plusIvEENS9_8equal_toIvEEjEE10hipError_tPvRmT2_T3_T4_T5_mT6_T7_P12ihipStream_tbENKUlT_T0_E_clISt17integral_constantIbLb1EES11_EEDaSW_SX_EUlSW_E_NS1_11comp_targetILNS1_3genE8ELNS1_11target_archE1030ELNS1_3gpuE2ELNS1_3repE0EEENS1_30default_config_static_selectorELNS0_4arch9wavefront6targetE1EEEvT1_,comdat
	.protected	_ZN7rocprim17ROCPRIM_400000_NS6detail17trampoline_kernelINS0_14default_configENS1_27scan_by_key_config_selectorIijEEZZNS1_16scan_by_key_implILNS1_25lookback_scan_determinismE0ELb0ES3_N6thrust23THRUST_200600_302600_NS6detail15normal_iteratorINS9_10device_ptrIiEEEENSB_INSC_IjEEEESG_jNS9_4plusIvEENS9_8equal_toIvEEjEE10hipError_tPvRmT2_T3_T4_T5_mT6_T7_P12ihipStream_tbENKUlT_T0_E_clISt17integral_constantIbLb1EES11_EEDaSW_SX_EUlSW_E_NS1_11comp_targetILNS1_3genE8ELNS1_11target_archE1030ELNS1_3gpuE2ELNS1_3repE0EEENS1_30default_config_static_selectorELNS0_4arch9wavefront6targetE1EEEvT1_ ; -- Begin function _ZN7rocprim17ROCPRIM_400000_NS6detail17trampoline_kernelINS0_14default_configENS1_27scan_by_key_config_selectorIijEEZZNS1_16scan_by_key_implILNS1_25lookback_scan_determinismE0ELb0ES3_N6thrust23THRUST_200600_302600_NS6detail15normal_iteratorINS9_10device_ptrIiEEEENSB_INSC_IjEEEESG_jNS9_4plusIvEENS9_8equal_toIvEEjEE10hipError_tPvRmT2_T3_T4_T5_mT6_T7_P12ihipStream_tbENKUlT_T0_E_clISt17integral_constantIbLb1EES11_EEDaSW_SX_EUlSW_E_NS1_11comp_targetILNS1_3genE8ELNS1_11target_archE1030ELNS1_3gpuE2ELNS1_3repE0EEENS1_30default_config_static_selectorELNS0_4arch9wavefront6targetE1EEEvT1_
	.globl	_ZN7rocprim17ROCPRIM_400000_NS6detail17trampoline_kernelINS0_14default_configENS1_27scan_by_key_config_selectorIijEEZZNS1_16scan_by_key_implILNS1_25lookback_scan_determinismE0ELb0ES3_N6thrust23THRUST_200600_302600_NS6detail15normal_iteratorINS9_10device_ptrIiEEEENSB_INSC_IjEEEESG_jNS9_4plusIvEENS9_8equal_toIvEEjEE10hipError_tPvRmT2_T3_T4_T5_mT6_T7_P12ihipStream_tbENKUlT_T0_E_clISt17integral_constantIbLb1EES11_EEDaSW_SX_EUlSW_E_NS1_11comp_targetILNS1_3genE8ELNS1_11target_archE1030ELNS1_3gpuE2ELNS1_3repE0EEENS1_30default_config_static_selectorELNS0_4arch9wavefront6targetE1EEEvT1_
	.p2align	8
	.type	_ZN7rocprim17ROCPRIM_400000_NS6detail17trampoline_kernelINS0_14default_configENS1_27scan_by_key_config_selectorIijEEZZNS1_16scan_by_key_implILNS1_25lookback_scan_determinismE0ELb0ES3_N6thrust23THRUST_200600_302600_NS6detail15normal_iteratorINS9_10device_ptrIiEEEENSB_INSC_IjEEEESG_jNS9_4plusIvEENS9_8equal_toIvEEjEE10hipError_tPvRmT2_T3_T4_T5_mT6_T7_P12ihipStream_tbENKUlT_T0_E_clISt17integral_constantIbLb1EES11_EEDaSW_SX_EUlSW_E_NS1_11comp_targetILNS1_3genE8ELNS1_11target_archE1030ELNS1_3gpuE2ELNS1_3repE0EEENS1_30default_config_static_selectorELNS0_4arch9wavefront6targetE1EEEvT1_,@function
_ZN7rocprim17ROCPRIM_400000_NS6detail17trampoline_kernelINS0_14default_configENS1_27scan_by_key_config_selectorIijEEZZNS1_16scan_by_key_implILNS1_25lookback_scan_determinismE0ELb0ES3_N6thrust23THRUST_200600_302600_NS6detail15normal_iteratorINS9_10device_ptrIiEEEENSB_INSC_IjEEEESG_jNS9_4plusIvEENS9_8equal_toIvEEjEE10hipError_tPvRmT2_T3_T4_T5_mT6_T7_P12ihipStream_tbENKUlT_T0_E_clISt17integral_constantIbLb1EES11_EEDaSW_SX_EUlSW_E_NS1_11comp_targetILNS1_3genE8ELNS1_11target_archE1030ELNS1_3gpuE2ELNS1_3repE0EEENS1_30default_config_static_selectorELNS0_4arch9wavefront6targetE1EEEvT1_: ; @_ZN7rocprim17ROCPRIM_400000_NS6detail17trampoline_kernelINS0_14default_configENS1_27scan_by_key_config_selectorIijEEZZNS1_16scan_by_key_implILNS1_25lookback_scan_determinismE0ELb0ES3_N6thrust23THRUST_200600_302600_NS6detail15normal_iteratorINS9_10device_ptrIiEEEENSB_INSC_IjEEEESG_jNS9_4plusIvEENS9_8equal_toIvEEjEE10hipError_tPvRmT2_T3_T4_T5_mT6_T7_P12ihipStream_tbENKUlT_T0_E_clISt17integral_constantIbLb1EES11_EEDaSW_SX_EUlSW_E_NS1_11comp_targetILNS1_3genE8ELNS1_11target_archE1030ELNS1_3gpuE2ELNS1_3repE0EEENS1_30default_config_static_selectorELNS0_4arch9wavefront6targetE1EEEvT1_
; %bb.0:
	.section	.rodata,"a",@progbits
	.p2align	6, 0x0
	.amdhsa_kernel _ZN7rocprim17ROCPRIM_400000_NS6detail17trampoline_kernelINS0_14default_configENS1_27scan_by_key_config_selectorIijEEZZNS1_16scan_by_key_implILNS1_25lookback_scan_determinismE0ELb0ES3_N6thrust23THRUST_200600_302600_NS6detail15normal_iteratorINS9_10device_ptrIiEEEENSB_INSC_IjEEEESG_jNS9_4plusIvEENS9_8equal_toIvEEjEE10hipError_tPvRmT2_T3_T4_T5_mT6_T7_P12ihipStream_tbENKUlT_T0_E_clISt17integral_constantIbLb1EES11_EEDaSW_SX_EUlSW_E_NS1_11comp_targetILNS1_3genE8ELNS1_11target_archE1030ELNS1_3gpuE2ELNS1_3repE0EEENS1_30default_config_static_selectorELNS0_4arch9wavefront6targetE1EEEvT1_
		.amdhsa_group_segment_fixed_size 0
		.amdhsa_private_segment_fixed_size 0
		.amdhsa_kernarg_size 112
		.amdhsa_user_sgpr_count 6
		.amdhsa_user_sgpr_private_segment_buffer 1
		.amdhsa_user_sgpr_dispatch_ptr 0
		.amdhsa_user_sgpr_queue_ptr 0
		.amdhsa_user_sgpr_kernarg_segment_ptr 1
		.amdhsa_user_sgpr_dispatch_id 0
		.amdhsa_user_sgpr_flat_scratch_init 0
		.amdhsa_user_sgpr_kernarg_preload_length 0
		.amdhsa_user_sgpr_kernarg_preload_offset 0
		.amdhsa_user_sgpr_private_segment_size 0
		.amdhsa_uses_dynamic_stack 0
		.amdhsa_system_sgpr_private_segment_wavefront_offset 0
		.amdhsa_system_sgpr_workgroup_id_x 1
		.amdhsa_system_sgpr_workgroup_id_y 0
		.amdhsa_system_sgpr_workgroup_id_z 0
		.amdhsa_system_sgpr_workgroup_info 0
		.amdhsa_system_vgpr_workitem_id 0
		.amdhsa_next_free_vgpr 1
		.amdhsa_next_free_sgpr 0
		.amdhsa_accum_offset 4
		.amdhsa_reserve_vcc 0
		.amdhsa_reserve_flat_scratch 0
		.amdhsa_float_round_mode_32 0
		.amdhsa_float_round_mode_16_64 0
		.amdhsa_float_denorm_mode_32 3
		.amdhsa_float_denorm_mode_16_64 3
		.amdhsa_dx10_clamp 1
		.amdhsa_ieee_mode 1
		.amdhsa_fp16_overflow 0
		.amdhsa_tg_split 0
		.amdhsa_exception_fp_ieee_invalid_op 0
		.amdhsa_exception_fp_denorm_src 0
		.amdhsa_exception_fp_ieee_div_zero 0
		.amdhsa_exception_fp_ieee_overflow 0
		.amdhsa_exception_fp_ieee_underflow 0
		.amdhsa_exception_fp_ieee_inexact 0
		.amdhsa_exception_int_div_zero 0
	.end_amdhsa_kernel
	.section	.text._ZN7rocprim17ROCPRIM_400000_NS6detail17trampoline_kernelINS0_14default_configENS1_27scan_by_key_config_selectorIijEEZZNS1_16scan_by_key_implILNS1_25lookback_scan_determinismE0ELb0ES3_N6thrust23THRUST_200600_302600_NS6detail15normal_iteratorINS9_10device_ptrIiEEEENSB_INSC_IjEEEESG_jNS9_4plusIvEENS9_8equal_toIvEEjEE10hipError_tPvRmT2_T3_T4_T5_mT6_T7_P12ihipStream_tbENKUlT_T0_E_clISt17integral_constantIbLb1EES11_EEDaSW_SX_EUlSW_E_NS1_11comp_targetILNS1_3genE8ELNS1_11target_archE1030ELNS1_3gpuE2ELNS1_3repE0EEENS1_30default_config_static_selectorELNS0_4arch9wavefront6targetE1EEEvT1_,"axG",@progbits,_ZN7rocprim17ROCPRIM_400000_NS6detail17trampoline_kernelINS0_14default_configENS1_27scan_by_key_config_selectorIijEEZZNS1_16scan_by_key_implILNS1_25lookback_scan_determinismE0ELb0ES3_N6thrust23THRUST_200600_302600_NS6detail15normal_iteratorINS9_10device_ptrIiEEEENSB_INSC_IjEEEESG_jNS9_4plusIvEENS9_8equal_toIvEEjEE10hipError_tPvRmT2_T3_T4_T5_mT6_T7_P12ihipStream_tbENKUlT_T0_E_clISt17integral_constantIbLb1EES11_EEDaSW_SX_EUlSW_E_NS1_11comp_targetILNS1_3genE8ELNS1_11target_archE1030ELNS1_3gpuE2ELNS1_3repE0EEENS1_30default_config_static_selectorELNS0_4arch9wavefront6targetE1EEEvT1_,comdat
.Lfunc_end1240:
	.size	_ZN7rocprim17ROCPRIM_400000_NS6detail17trampoline_kernelINS0_14default_configENS1_27scan_by_key_config_selectorIijEEZZNS1_16scan_by_key_implILNS1_25lookback_scan_determinismE0ELb0ES3_N6thrust23THRUST_200600_302600_NS6detail15normal_iteratorINS9_10device_ptrIiEEEENSB_INSC_IjEEEESG_jNS9_4plusIvEENS9_8equal_toIvEEjEE10hipError_tPvRmT2_T3_T4_T5_mT6_T7_P12ihipStream_tbENKUlT_T0_E_clISt17integral_constantIbLb1EES11_EEDaSW_SX_EUlSW_E_NS1_11comp_targetILNS1_3genE8ELNS1_11target_archE1030ELNS1_3gpuE2ELNS1_3repE0EEENS1_30default_config_static_selectorELNS0_4arch9wavefront6targetE1EEEvT1_, .Lfunc_end1240-_ZN7rocprim17ROCPRIM_400000_NS6detail17trampoline_kernelINS0_14default_configENS1_27scan_by_key_config_selectorIijEEZZNS1_16scan_by_key_implILNS1_25lookback_scan_determinismE0ELb0ES3_N6thrust23THRUST_200600_302600_NS6detail15normal_iteratorINS9_10device_ptrIiEEEENSB_INSC_IjEEEESG_jNS9_4plusIvEENS9_8equal_toIvEEjEE10hipError_tPvRmT2_T3_T4_T5_mT6_T7_P12ihipStream_tbENKUlT_T0_E_clISt17integral_constantIbLb1EES11_EEDaSW_SX_EUlSW_E_NS1_11comp_targetILNS1_3genE8ELNS1_11target_archE1030ELNS1_3gpuE2ELNS1_3repE0EEENS1_30default_config_static_selectorELNS0_4arch9wavefront6targetE1EEEvT1_
                                        ; -- End function
	.section	.AMDGPU.csdata,"",@progbits
; Kernel info:
; codeLenInByte = 0
; NumSgprs: 4
; NumVgprs: 0
; NumAgprs: 0
; TotalNumVgprs: 0
; ScratchSize: 0
; MemoryBound: 0
; FloatMode: 240
; IeeeMode: 1
; LDSByteSize: 0 bytes/workgroup (compile time only)
; SGPRBlocks: 0
; VGPRBlocks: 0
; NumSGPRsForWavesPerEU: 4
; NumVGPRsForWavesPerEU: 1
; AccumOffset: 4
; Occupancy: 8
; WaveLimiterHint : 0
; COMPUTE_PGM_RSRC2:SCRATCH_EN: 0
; COMPUTE_PGM_RSRC2:USER_SGPR: 6
; COMPUTE_PGM_RSRC2:TRAP_HANDLER: 0
; COMPUTE_PGM_RSRC2:TGID_X_EN: 1
; COMPUTE_PGM_RSRC2:TGID_Y_EN: 0
; COMPUTE_PGM_RSRC2:TGID_Z_EN: 0
; COMPUTE_PGM_RSRC2:TIDIG_COMP_CNT: 0
; COMPUTE_PGM_RSRC3_GFX90A:ACCUM_OFFSET: 0
; COMPUTE_PGM_RSRC3_GFX90A:TG_SPLIT: 0
	.section	.text._ZN7rocprim17ROCPRIM_400000_NS6detail30init_device_scan_by_key_kernelINS1_19lookback_scan_stateINS0_5tupleIJjbEEELb1ELb1EEEN6thrust23THRUST_200600_302600_NS6detail15normal_iteratorINS8_10device_ptrIiEEEEjNS1_16block_id_wrapperIjLb0EEEEEvT_jjPNSG_10value_typeET0_PNSt15iterator_traitsISJ_E10value_typeEmT1_T2_,"axG",@progbits,_ZN7rocprim17ROCPRIM_400000_NS6detail30init_device_scan_by_key_kernelINS1_19lookback_scan_stateINS0_5tupleIJjbEEELb1ELb1EEEN6thrust23THRUST_200600_302600_NS6detail15normal_iteratorINS8_10device_ptrIiEEEEjNS1_16block_id_wrapperIjLb0EEEEEvT_jjPNSG_10value_typeET0_PNSt15iterator_traitsISJ_E10value_typeEmT1_T2_,comdat
	.protected	_ZN7rocprim17ROCPRIM_400000_NS6detail30init_device_scan_by_key_kernelINS1_19lookback_scan_stateINS0_5tupleIJjbEEELb1ELb1EEEN6thrust23THRUST_200600_302600_NS6detail15normal_iteratorINS8_10device_ptrIiEEEEjNS1_16block_id_wrapperIjLb0EEEEEvT_jjPNSG_10value_typeET0_PNSt15iterator_traitsISJ_E10value_typeEmT1_T2_ ; -- Begin function _ZN7rocprim17ROCPRIM_400000_NS6detail30init_device_scan_by_key_kernelINS1_19lookback_scan_stateINS0_5tupleIJjbEEELb1ELb1EEEN6thrust23THRUST_200600_302600_NS6detail15normal_iteratorINS8_10device_ptrIiEEEEjNS1_16block_id_wrapperIjLb0EEEEEvT_jjPNSG_10value_typeET0_PNSt15iterator_traitsISJ_E10value_typeEmT1_T2_
	.globl	_ZN7rocprim17ROCPRIM_400000_NS6detail30init_device_scan_by_key_kernelINS1_19lookback_scan_stateINS0_5tupleIJjbEEELb1ELb1EEEN6thrust23THRUST_200600_302600_NS6detail15normal_iteratorINS8_10device_ptrIiEEEEjNS1_16block_id_wrapperIjLb0EEEEEvT_jjPNSG_10value_typeET0_PNSt15iterator_traitsISJ_E10value_typeEmT1_T2_
	.p2align	8
	.type	_ZN7rocprim17ROCPRIM_400000_NS6detail30init_device_scan_by_key_kernelINS1_19lookback_scan_stateINS0_5tupleIJjbEEELb1ELb1EEEN6thrust23THRUST_200600_302600_NS6detail15normal_iteratorINS8_10device_ptrIiEEEEjNS1_16block_id_wrapperIjLb0EEEEEvT_jjPNSG_10value_typeET0_PNSt15iterator_traitsISJ_E10value_typeEmT1_T2_,@function
_ZN7rocprim17ROCPRIM_400000_NS6detail30init_device_scan_by_key_kernelINS1_19lookback_scan_stateINS0_5tupleIJjbEEELb1ELb1EEEN6thrust23THRUST_200600_302600_NS6detail15normal_iteratorINS8_10device_ptrIiEEEEjNS1_16block_id_wrapperIjLb0EEEEEvT_jjPNSG_10value_typeET0_PNSt15iterator_traitsISJ_E10value_typeEmT1_T2_: ; @_ZN7rocprim17ROCPRIM_400000_NS6detail30init_device_scan_by_key_kernelINS1_19lookback_scan_stateINS0_5tupleIJjbEEELb1ELb1EEEN6thrust23THRUST_200600_302600_NS6detail15normal_iteratorINS8_10device_ptrIiEEEEjNS1_16block_id_wrapperIjLb0EEEEEvT_jjPNSG_10value_typeET0_PNSt15iterator_traitsISJ_E10value_typeEmT1_T2_
; %bb.0:
	s_load_dword s0, s[4:5], 0x44
	s_load_dwordx8 s[8:15], s[4:5], 0x0
	s_load_dword s18, s[4:5], 0x38
	s_waitcnt lgkmcnt(0)
	s_and_b32 s19, s0, 0xffff
	s_mul_i32 s6, s6, s19
	s_cmp_eq_u64 s[12:13], 0
	v_add_u32_e32 v4, s6, v0
	s_cbranch_scc1 .LBB1241_10
; %bb.1:
	s_cmp_lt_u32 s11, s10
	s_cselect_b32 s0, s11, 0
	s_mov_b32 s3, 0
	v_cmp_eq_u32_e32 vcc, s0, v4
	s_and_saveexec_b64 s[0:1], vcc
	s_cbranch_execz .LBB1241_9
; %bb.2:
	s_add_i32 s2, s11, 64
	s_lshl_b64 s[2:3], s[2:3], 4
	s_add_u32 s16, s8, s2
	s_addc_u32 s17, s9, s3
	v_pk_mov_b32 v[0:1], s[16:17], s[16:17] op_sel:[0,1]
	;;#ASMSTART
	global_load_dwordx4 v[0:3], v[0:1] off glc	
s_waitcnt vmcnt(0)
	;;#ASMEND
	v_mov_b32_e32 v7, 0
	v_and_b32_e32 v6, 0xff, v2
	s_mov_b64 s[6:7], 0
	v_cmp_eq_u64_e32 vcc, 0, v[6:7]
	s_and_saveexec_b64 s[2:3], vcc
	s_cbranch_execz .LBB1241_8
; %bb.3:
	s_mov_b32 s11, 1
	v_pk_mov_b32 v[8:9], s[16:17], s[16:17] op_sel:[0,1]
.LBB1241_4:                             ; =>This Loop Header: Depth=1
                                        ;     Child Loop BB1241_5 Depth 2
	s_max_u32 s16, s11, 1
.LBB1241_5:                             ;   Parent Loop BB1241_4 Depth=1
                                        ; =>  This Inner Loop Header: Depth=2
	s_add_i32 s16, s16, -1
	s_cmp_eq_u32 s16, 0
	s_sleep 1
	s_cbranch_scc0 .LBB1241_5
; %bb.6:                                ;   in Loop: Header=BB1241_4 Depth=1
	s_cmp_lt_u32 s11, 32
	s_cselect_b64 s[16:17], -1, 0
	s_cmp_lg_u64 s[16:17], 0
	;;#ASMSTART
	global_load_dwordx4 v[0:3], v[8:9] off glc	
s_waitcnt vmcnt(0)
	;;#ASMEND
	v_and_b32_e32 v6, 0xff, v2
	s_addc_u32 s11, s11, 0
	v_cmp_ne_u64_e32 vcc, 0, v[6:7]
	s_or_b64 s[6:7], vcc, s[6:7]
	s_andn2_b64 exec, exec, s[6:7]
	s_cbranch_execnz .LBB1241_4
; %bb.7:
	s_or_b64 exec, exec, s[6:7]
.LBB1241_8:
	s_or_b64 exec, exec, s[2:3]
	v_mov_b32_e32 v2, 0
	global_store_dword v2, v0, s[12:13]
	global_store_byte v2, v1, s[12:13] offset:4
.LBB1241_9:
	s_or_b64 exec, exec, s[0:1]
.LBB1241_10:
	v_cmp_gt_u32_e32 vcc, s10, v4
	s_and_saveexec_b64 s[0:1], vcc
	s_cbranch_execz .LBB1241_12
; %bb.11:
	v_add_u32_e32 v0, 64, v4
	v_mov_b32_e32 v1, 0
	v_lshlrev_b64 v[2:3], 4, v[0:1]
	v_mov_b32_e32 v0, s9
	v_add_co_u32_e32 v6, vcc, s8, v2
	v_addc_co_u32_e32 v7, vcc, v0, v3, vcc
	v_mov_b32_e32 v0, v1
	v_mov_b32_e32 v2, v1
	;; [unrolled: 1-line block ×3, first 2 shown]
	global_store_dwordx4 v[6:7], v[0:3], off
.LBB1241_12:
	s_or_b64 exec, exec, s[0:1]
	v_cmp_gt_u32_e32 vcc, 64, v4
	v_mov_b32_e32 v5, 0
	s_and_saveexec_b64 s[0:1], vcc
	s_cbranch_execz .LBB1241_14
; %bb.13:
	v_lshlrev_b64 v[0:1], 4, v[4:5]
	v_mov_b32_e32 v2, s9
	v_add_co_u32_e32 v6, vcc, s8, v0
	v_addc_co_u32_e32 v7, vcc, v2, v1, vcc
	v_mov_b32_e32 v2, 0xff
	v_mov_b32_e32 v0, v5
	;; [unrolled: 1-line block ×4, first 2 shown]
	global_store_dwordx4 v[6:7], v[0:3], off
.LBB1241_14:
	s_or_b64 exec, exec, s[0:1]
	s_load_dwordx2 s[0:1], s[4:5], 0x28
	s_waitcnt lgkmcnt(0)
	v_cmp_gt_u64_e32 vcc, s[0:1], v[4:5]
	s_and_saveexec_b64 s[2:3], vcc
	s_cbranch_execz .LBB1241_17
; %bb.15:
	s_load_dword s10, s[4:5], 0x30
	s_load_dwordx2 s[6:7], s[4:5], 0x20
	s_mov_b32 s5, 0
	s_mov_b32 s3, s5
	s_mul_i32 s2, s18, s19
	s_waitcnt lgkmcnt(0)
	s_add_i32 s4, s10, -1
	s_lshl_b64 s[4:5], s[4:5], 2
	v_mad_u64_u32 v[0:1], s[8:9], s10, v4, 0
	s_add_u32 s4, s14, s4
	v_lshlrev_b64 v[0:1], 2, v[0:1]
	s_addc_u32 s5, s15, s5
	v_mov_b32_e32 v2, s5
	v_add_co_u32_e32 v0, vcc, s4, v0
	v_addc_co_u32_e32 v1, vcc, v2, v1, vcc
	s_mul_hi_u32 s5, s10, s2
	s_mul_i32 s4, s10, s2
	v_lshlrev_b64 v[2:3], 2, v[4:5]
	s_lshl_b64 s[4:5], s[4:5], 2
	v_mov_b32_e32 v6, s7
	v_add_co_u32_e32 v2, vcc, s6, v2
	s_lshl_b64 s[6:7], s[2:3], 2
	v_addc_co_u32_e32 v3, vcc, v6, v3, vcc
	s_mov_b64 s[8:9], 0
	v_mov_b32_e32 v6, s3
	v_mov_b32_e32 v7, s5
	;; [unrolled: 1-line block ×3, first 2 shown]
.LBB1241_16:                            ; =>This Inner Loop Header: Depth=1
	global_load_dword v9, v[0:1], off
	v_add_co_u32_e32 v4, vcc, s2, v4
	v_addc_co_u32_e32 v5, vcc, v5, v6, vcc
	v_add_co_u32_e32 v0, vcc, s4, v0
	v_addc_co_u32_e32 v1, vcc, v1, v7, vcc
	v_cmp_le_u64_e32 vcc, s[0:1], v[4:5]
	s_or_b64 s[8:9], vcc, s[8:9]
	s_waitcnt vmcnt(0)
	global_store_dword v[2:3], v9, off
	v_add_co_u32_e32 v2, vcc, s6, v2
	v_addc_co_u32_e32 v3, vcc, v3, v8, vcc
	s_andn2_b64 exec, exec, s[8:9]
	s_cbranch_execnz .LBB1241_16
.LBB1241_17:
	s_endpgm
	.section	.rodata,"a",@progbits
	.p2align	6, 0x0
	.amdhsa_kernel _ZN7rocprim17ROCPRIM_400000_NS6detail30init_device_scan_by_key_kernelINS1_19lookback_scan_stateINS0_5tupleIJjbEEELb1ELb1EEEN6thrust23THRUST_200600_302600_NS6detail15normal_iteratorINS8_10device_ptrIiEEEEjNS1_16block_id_wrapperIjLb0EEEEEvT_jjPNSG_10value_typeET0_PNSt15iterator_traitsISJ_E10value_typeEmT1_T2_
		.amdhsa_group_segment_fixed_size 0
		.amdhsa_private_segment_fixed_size 0
		.amdhsa_kernarg_size 312
		.amdhsa_user_sgpr_count 6
		.amdhsa_user_sgpr_private_segment_buffer 1
		.amdhsa_user_sgpr_dispatch_ptr 0
		.amdhsa_user_sgpr_queue_ptr 0
		.amdhsa_user_sgpr_kernarg_segment_ptr 1
		.amdhsa_user_sgpr_dispatch_id 0
		.amdhsa_user_sgpr_flat_scratch_init 0
		.amdhsa_user_sgpr_kernarg_preload_length 0
		.amdhsa_user_sgpr_kernarg_preload_offset 0
		.amdhsa_user_sgpr_private_segment_size 0
		.amdhsa_uses_dynamic_stack 0
		.amdhsa_system_sgpr_private_segment_wavefront_offset 0
		.amdhsa_system_sgpr_workgroup_id_x 1
		.amdhsa_system_sgpr_workgroup_id_y 0
		.amdhsa_system_sgpr_workgroup_id_z 0
		.amdhsa_system_sgpr_workgroup_info 0
		.amdhsa_system_vgpr_workitem_id 0
		.amdhsa_next_free_vgpr 10
		.amdhsa_next_free_sgpr 20
		.amdhsa_accum_offset 12
		.amdhsa_reserve_vcc 1
		.amdhsa_reserve_flat_scratch 0
		.amdhsa_float_round_mode_32 0
		.amdhsa_float_round_mode_16_64 0
		.amdhsa_float_denorm_mode_32 3
		.amdhsa_float_denorm_mode_16_64 3
		.amdhsa_dx10_clamp 1
		.amdhsa_ieee_mode 1
		.amdhsa_fp16_overflow 0
		.amdhsa_tg_split 0
		.amdhsa_exception_fp_ieee_invalid_op 0
		.amdhsa_exception_fp_denorm_src 0
		.amdhsa_exception_fp_ieee_div_zero 0
		.amdhsa_exception_fp_ieee_overflow 0
		.amdhsa_exception_fp_ieee_underflow 0
		.amdhsa_exception_fp_ieee_inexact 0
		.amdhsa_exception_int_div_zero 0
	.end_amdhsa_kernel
	.section	.text._ZN7rocprim17ROCPRIM_400000_NS6detail30init_device_scan_by_key_kernelINS1_19lookback_scan_stateINS0_5tupleIJjbEEELb1ELb1EEEN6thrust23THRUST_200600_302600_NS6detail15normal_iteratorINS8_10device_ptrIiEEEEjNS1_16block_id_wrapperIjLb0EEEEEvT_jjPNSG_10value_typeET0_PNSt15iterator_traitsISJ_E10value_typeEmT1_T2_,"axG",@progbits,_ZN7rocprim17ROCPRIM_400000_NS6detail30init_device_scan_by_key_kernelINS1_19lookback_scan_stateINS0_5tupleIJjbEEELb1ELb1EEEN6thrust23THRUST_200600_302600_NS6detail15normal_iteratorINS8_10device_ptrIiEEEEjNS1_16block_id_wrapperIjLb0EEEEEvT_jjPNSG_10value_typeET0_PNSt15iterator_traitsISJ_E10value_typeEmT1_T2_,comdat
.Lfunc_end1241:
	.size	_ZN7rocprim17ROCPRIM_400000_NS6detail30init_device_scan_by_key_kernelINS1_19lookback_scan_stateINS0_5tupleIJjbEEELb1ELb1EEEN6thrust23THRUST_200600_302600_NS6detail15normal_iteratorINS8_10device_ptrIiEEEEjNS1_16block_id_wrapperIjLb0EEEEEvT_jjPNSG_10value_typeET0_PNSt15iterator_traitsISJ_E10value_typeEmT1_T2_, .Lfunc_end1241-_ZN7rocprim17ROCPRIM_400000_NS6detail30init_device_scan_by_key_kernelINS1_19lookback_scan_stateINS0_5tupleIJjbEEELb1ELb1EEEN6thrust23THRUST_200600_302600_NS6detail15normal_iteratorINS8_10device_ptrIiEEEEjNS1_16block_id_wrapperIjLb0EEEEEvT_jjPNSG_10value_typeET0_PNSt15iterator_traitsISJ_E10value_typeEmT1_T2_
                                        ; -- End function
	.section	.AMDGPU.csdata,"",@progbits
; Kernel info:
; codeLenInByte = 612
; NumSgprs: 24
; NumVgprs: 10
; NumAgprs: 0
; TotalNumVgprs: 10
; ScratchSize: 0
; MemoryBound: 0
; FloatMode: 240
; IeeeMode: 1
; LDSByteSize: 0 bytes/workgroup (compile time only)
; SGPRBlocks: 2
; VGPRBlocks: 1
; NumSGPRsForWavesPerEU: 24
; NumVGPRsForWavesPerEU: 10
; AccumOffset: 12
; Occupancy: 8
; WaveLimiterHint : 0
; COMPUTE_PGM_RSRC2:SCRATCH_EN: 0
; COMPUTE_PGM_RSRC2:USER_SGPR: 6
; COMPUTE_PGM_RSRC2:TRAP_HANDLER: 0
; COMPUTE_PGM_RSRC2:TGID_X_EN: 1
; COMPUTE_PGM_RSRC2:TGID_Y_EN: 0
; COMPUTE_PGM_RSRC2:TGID_Z_EN: 0
; COMPUTE_PGM_RSRC2:TIDIG_COMP_CNT: 0
; COMPUTE_PGM_RSRC3_GFX90A:ACCUM_OFFSET: 2
; COMPUTE_PGM_RSRC3_GFX90A:TG_SPLIT: 0
	.section	.text._ZN7rocprim17ROCPRIM_400000_NS6detail30init_device_scan_by_key_kernelINS1_19lookback_scan_stateINS0_5tupleIJjbEEELb1ELb1EEENS1_16block_id_wrapperIjLb0EEEEEvT_jjPNS9_10value_typeET0_,"axG",@progbits,_ZN7rocprim17ROCPRIM_400000_NS6detail30init_device_scan_by_key_kernelINS1_19lookback_scan_stateINS0_5tupleIJjbEEELb1ELb1EEENS1_16block_id_wrapperIjLb0EEEEEvT_jjPNS9_10value_typeET0_,comdat
	.protected	_ZN7rocprim17ROCPRIM_400000_NS6detail30init_device_scan_by_key_kernelINS1_19lookback_scan_stateINS0_5tupleIJjbEEELb1ELb1EEENS1_16block_id_wrapperIjLb0EEEEEvT_jjPNS9_10value_typeET0_ ; -- Begin function _ZN7rocprim17ROCPRIM_400000_NS6detail30init_device_scan_by_key_kernelINS1_19lookback_scan_stateINS0_5tupleIJjbEEELb1ELb1EEENS1_16block_id_wrapperIjLb0EEEEEvT_jjPNS9_10value_typeET0_
	.globl	_ZN7rocprim17ROCPRIM_400000_NS6detail30init_device_scan_by_key_kernelINS1_19lookback_scan_stateINS0_5tupleIJjbEEELb1ELb1EEENS1_16block_id_wrapperIjLb0EEEEEvT_jjPNS9_10value_typeET0_
	.p2align	8
	.type	_ZN7rocprim17ROCPRIM_400000_NS6detail30init_device_scan_by_key_kernelINS1_19lookback_scan_stateINS0_5tupleIJjbEEELb1ELb1EEENS1_16block_id_wrapperIjLb0EEEEEvT_jjPNS9_10value_typeET0_,@function
_ZN7rocprim17ROCPRIM_400000_NS6detail30init_device_scan_by_key_kernelINS1_19lookback_scan_stateINS0_5tupleIJjbEEELb1ELb1EEENS1_16block_id_wrapperIjLb0EEEEEvT_jjPNS9_10value_typeET0_: ; @_ZN7rocprim17ROCPRIM_400000_NS6detail30init_device_scan_by_key_kernelINS1_19lookback_scan_stateINS0_5tupleIJjbEEELb1ELb1EEENS1_16block_id_wrapperIjLb0EEEEEvT_jjPNS9_10value_typeET0_
; %bb.0:
	s_load_dword s7, s[4:5], 0x2c
	s_load_dwordx2 s[8:9], s[4:5], 0x10
	s_load_dwordx4 s[0:3], s[4:5], 0x0
	s_waitcnt lgkmcnt(0)
	s_and_b32 s4, s7, 0xffff
	s_mul_i32 s6, s6, s4
	s_cmp_eq_u64 s[8:9], 0
	v_add_u32_e32 v0, s6, v0
	s_cbranch_scc1 .LBB1242_10
; %bb.1:
	s_cmp_lt_u32 s3, s2
	s_cselect_b32 s4, s3, 0
	s_mov_b32 s7, 0
	v_cmp_eq_u32_e32 vcc, s4, v0
	s_and_saveexec_b64 s[4:5], vcc
	s_cbranch_execz .LBB1242_9
; %bb.2:
	s_add_i32 s6, s3, 64
	s_lshl_b64 s[6:7], s[6:7], 4
	s_add_u32 s12, s0, s6
	s_addc_u32 s13, s1, s7
	v_pk_mov_b32 v[2:3], s[12:13], s[12:13] op_sel:[0,1]
	;;#ASMSTART
	global_load_dwordx4 v[2:5], v[2:3] off glc	
s_waitcnt vmcnt(0)
	;;#ASMEND
	v_mov_b32_e32 v7, 0
	v_and_b32_e32 v6, 0xff, v4
	s_mov_b64 s[10:11], 0
	v_cmp_eq_u64_e32 vcc, 0, v[6:7]
	s_and_saveexec_b64 s[6:7], vcc
	s_cbranch_execz .LBB1242_8
; %bb.3:
	s_mov_b32 s3, 1
	v_pk_mov_b32 v[8:9], s[12:13], s[12:13] op_sel:[0,1]
.LBB1242_4:                             ; =>This Loop Header: Depth=1
                                        ;     Child Loop BB1242_5 Depth 2
	s_max_u32 s12, s3, 1
.LBB1242_5:                             ;   Parent Loop BB1242_4 Depth=1
                                        ; =>  This Inner Loop Header: Depth=2
	s_add_i32 s12, s12, -1
	s_cmp_eq_u32 s12, 0
	s_sleep 1
	s_cbranch_scc0 .LBB1242_5
; %bb.6:                                ;   in Loop: Header=BB1242_4 Depth=1
	s_cmp_lt_u32 s3, 32
	s_cselect_b64 s[12:13], -1, 0
	s_cmp_lg_u64 s[12:13], 0
	;;#ASMSTART
	global_load_dwordx4 v[2:5], v[8:9] off glc	
s_waitcnt vmcnt(0)
	;;#ASMEND
	v_and_b32_e32 v6, 0xff, v4
	s_addc_u32 s3, s3, 0
	v_cmp_ne_u64_e32 vcc, 0, v[6:7]
	s_or_b64 s[10:11], vcc, s[10:11]
	s_andn2_b64 exec, exec, s[10:11]
	s_cbranch_execnz .LBB1242_4
; %bb.7:
	s_or_b64 exec, exec, s[10:11]
.LBB1242_8:
	s_or_b64 exec, exec, s[6:7]
	v_mov_b32_e32 v1, 0
	global_store_dword v1, v2, s[8:9]
	global_store_byte v1, v3, s[8:9] offset:4
.LBB1242_9:
	s_or_b64 exec, exec, s[4:5]
.LBB1242_10:
	v_cmp_gt_u32_e32 vcc, s2, v0
	s_and_saveexec_b64 s[2:3], vcc
	s_cbranch_execnz .LBB1242_13
; %bb.11:
	s_or_b64 exec, exec, s[2:3]
	v_cmp_gt_u32_e32 vcc, 64, v0
	s_and_saveexec_b64 s[2:3], vcc
	s_cbranch_execnz .LBB1242_14
.LBB1242_12:
	s_endpgm
.LBB1242_13:
	v_add_u32_e32 v2, 64, v0
	v_mov_b32_e32 v3, 0
	v_lshlrev_b64 v[4:5], 4, v[2:3]
	v_mov_b32_e32 v1, s1
	v_add_co_u32_e32 v6, vcc, s0, v4
	v_addc_co_u32_e32 v7, vcc, v1, v5, vcc
	v_mov_b32_e32 v2, v3
	v_mov_b32_e32 v4, v3
	;; [unrolled: 1-line block ×3, first 2 shown]
	global_store_dwordx4 v[6:7], v[2:5], off
	s_or_b64 exec, exec, s[2:3]
	v_cmp_gt_u32_e32 vcc, 64, v0
	s_and_saveexec_b64 s[2:3], vcc
	s_cbranch_execz .LBB1242_12
.LBB1242_14:
	v_mov_b32_e32 v1, 0
	v_lshlrev_b64 v[2:3], 4, v[0:1]
	v_mov_b32_e32 v0, s1
	v_add_co_u32_e32 v4, vcc, s0, v2
	v_addc_co_u32_e32 v5, vcc, v0, v3, vcc
	v_mov_b32_e32 v2, 0xff
	v_mov_b32_e32 v0, v1
	;; [unrolled: 1-line block ×3, first 2 shown]
	global_store_dwordx4 v[4:5], v[0:3], off
	s_endpgm
	.section	.rodata,"a",@progbits
	.p2align	6, 0x0
	.amdhsa_kernel _ZN7rocprim17ROCPRIM_400000_NS6detail30init_device_scan_by_key_kernelINS1_19lookback_scan_stateINS0_5tupleIJjbEEELb1ELb1EEENS1_16block_id_wrapperIjLb0EEEEEvT_jjPNS9_10value_typeET0_
		.amdhsa_group_segment_fixed_size 0
		.amdhsa_private_segment_fixed_size 0
		.amdhsa_kernarg_size 288
		.amdhsa_user_sgpr_count 6
		.amdhsa_user_sgpr_private_segment_buffer 1
		.amdhsa_user_sgpr_dispatch_ptr 0
		.amdhsa_user_sgpr_queue_ptr 0
		.amdhsa_user_sgpr_kernarg_segment_ptr 1
		.amdhsa_user_sgpr_dispatch_id 0
		.amdhsa_user_sgpr_flat_scratch_init 0
		.amdhsa_user_sgpr_kernarg_preload_length 0
		.amdhsa_user_sgpr_kernarg_preload_offset 0
		.amdhsa_user_sgpr_private_segment_size 0
		.amdhsa_uses_dynamic_stack 0
		.amdhsa_system_sgpr_private_segment_wavefront_offset 0
		.amdhsa_system_sgpr_workgroup_id_x 1
		.amdhsa_system_sgpr_workgroup_id_y 0
		.amdhsa_system_sgpr_workgroup_id_z 0
		.amdhsa_system_sgpr_workgroup_info 0
		.amdhsa_system_vgpr_workitem_id 0
		.amdhsa_next_free_vgpr 10
		.amdhsa_next_free_sgpr 14
		.amdhsa_accum_offset 12
		.amdhsa_reserve_vcc 1
		.amdhsa_reserve_flat_scratch 0
		.amdhsa_float_round_mode_32 0
		.amdhsa_float_round_mode_16_64 0
		.amdhsa_float_denorm_mode_32 3
		.amdhsa_float_denorm_mode_16_64 3
		.amdhsa_dx10_clamp 1
		.amdhsa_ieee_mode 1
		.amdhsa_fp16_overflow 0
		.amdhsa_tg_split 0
		.amdhsa_exception_fp_ieee_invalid_op 0
		.amdhsa_exception_fp_denorm_src 0
		.amdhsa_exception_fp_ieee_div_zero 0
		.amdhsa_exception_fp_ieee_overflow 0
		.amdhsa_exception_fp_ieee_underflow 0
		.amdhsa_exception_fp_ieee_inexact 0
		.amdhsa_exception_int_div_zero 0
	.end_amdhsa_kernel
	.section	.text._ZN7rocprim17ROCPRIM_400000_NS6detail30init_device_scan_by_key_kernelINS1_19lookback_scan_stateINS0_5tupleIJjbEEELb1ELb1EEENS1_16block_id_wrapperIjLb0EEEEEvT_jjPNS9_10value_typeET0_,"axG",@progbits,_ZN7rocprim17ROCPRIM_400000_NS6detail30init_device_scan_by_key_kernelINS1_19lookback_scan_stateINS0_5tupleIJjbEEELb1ELb1EEENS1_16block_id_wrapperIjLb0EEEEEvT_jjPNS9_10value_typeET0_,comdat
.Lfunc_end1242:
	.size	_ZN7rocprim17ROCPRIM_400000_NS6detail30init_device_scan_by_key_kernelINS1_19lookback_scan_stateINS0_5tupleIJjbEEELb1ELb1EEENS1_16block_id_wrapperIjLb0EEEEEvT_jjPNS9_10value_typeET0_, .Lfunc_end1242-_ZN7rocprim17ROCPRIM_400000_NS6detail30init_device_scan_by_key_kernelINS1_19lookback_scan_stateINS0_5tupleIJjbEEELb1ELb1EEENS1_16block_id_wrapperIjLb0EEEEEvT_jjPNS9_10value_typeET0_
                                        ; -- End function
	.section	.AMDGPU.csdata,"",@progbits
; Kernel info:
; codeLenInByte = 412
; NumSgprs: 18
; NumVgprs: 10
; NumAgprs: 0
; TotalNumVgprs: 10
; ScratchSize: 0
; MemoryBound: 0
; FloatMode: 240
; IeeeMode: 1
; LDSByteSize: 0 bytes/workgroup (compile time only)
; SGPRBlocks: 2
; VGPRBlocks: 1
; NumSGPRsForWavesPerEU: 18
; NumVGPRsForWavesPerEU: 10
; AccumOffset: 12
; Occupancy: 8
; WaveLimiterHint : 0
; COMPUTE_PGM_RSRC2:SCRATCH_EN: 0
; COMPUTE_PGM_RSRC2:USER_SGPR: 6
; COMPUTE_PGM_RSRC2:TRAP_HANDLER: 0
; COMPUTE_PGM_RSRC2:TGID_X_EN: 1
; COMPUTE_PGM_RSRC2:TGID_Y_EN: 0
; COMPUTE_PGM_RSRC2:TGID_Z_EN: 0
; COMPUTE_PGM_RSRC2:TIDIG_COMP_CNT: 0
; COMPUTE_PGM_RSRC3_GFX90A:ACCUM_OFFSET: 2
; COMPUTE_PGM_RSRC3_GFX90A:TG_SPLIT: 0
	.section	.text._ZN7rocprim17ROCPRIM_400000_NS6detail17trampoline_kernelINS0_14default_configENS1_27scan_by_key_config_selectorIijEEZZNS1_16scan_by_key_implILNS1_25lookback_scan_determinismE0ELb0ES3_N6thrust23THRUST_200600_302600_NS6detail15normal_iteratorINS9_10device_ptrIiEEEENSB_INSC_IjEEEESG_jNS9_4plusIvEENS9_8equal_toIvEEjEE10hipError_tPvRmT2_T3_T4_T5_mT6_T7_P12ihipStream_tbENKUlT_T0_E_clISt17integral_constantIbLb1EES10_IbLb0EEEEDaSW_SX_EUlSW_E_NS1_11comp_targetILNS1_3genE0ELNS1_11target_archE4294967295ELNS1_3gpuE0ELNS1_3repE0EEENS1_30default_config_static_selectorELNS0_4arch9wavefront6targetE1EEEvT1_,"axG",@progbits,_ZN7rocprim17ROCPRIM_400000_NS6detail17trampoline_kernelINS0_14default_configENS1_27scan_by_key_config_selectorIijEEZZNS1_16scan_by_key_implILNS1_25lookback_scan_determinismE0ELb0ES3_N6thrust23THRUST_200600_302600_NS6detail15normal_iteratorINS9_10device_ptrIiEEEENSB_INSC_IjEEEESG_jNS9_4plusIvEENS9_8equal_toIvEEjEE10hipError_tPvRmT2_T3_T4_T5_mT6_T7_P12ihipStream_tbENKUlT_T0_E_clISt17integral_constantIbLb1EES10_IbLb0EEEEDaSW_SX_EUlSW_E_NS1_11comp_targetILNS1_3genE0ELNS1_11target_archE4294967295ELNS1_3gpuE0ELNS1_3repE0EEENS1_30default_config_static_selectorELNS0_4arch9wavefront6targetE1EEEvT1_,comdat
	.protected	_ZN7rocprim17ROCPRIM_400000_NS6detail17trampoline_kernelINS0_14default_configENS1_27scan_by_key_config_selectorIijEEZZNS1_16scan_by_key_implILNS1_25lookback_scan_determinismE0ELb0ES3_N6thrust23THRUST_200600_302600_NS6detail15normal_iteratorINS9_10device_ptrIiEEEENSB_INSC_IjEEEESG_jNS9_4plusIvEENS9_8equal_toIvEEjEE10hipError_tPvRmT2_T3_T4_T5_mT6_T7_P12ihipStream_tbENKUlT_T0_E_clISt17integral_constantIbLb1EES10_IbLb0EEEEDaSW_SX_EUlSW_E_NS1_11comp_targetILNS1_3genE0ELNS1_11target_archE4294967295ELNS1_3gpuE0ELNS1_3repE0EEENS1_30default_config_static_selectorELNS0_4arch9wavefront6targetE1EEEvT1_ ; -- Begin function _ZN7rocprim17ROCPRIM_400000_NS6detail17trampoline_kernelINS0_14default_configENS1_27scan_by_key_config_selectorIijEEZZNS1_16scan_by_key_implILNS1_25lookback_scan_determinismE0ELb0ES3_N6thrust23THRUST_200600_302600_NS6detail15normal_iteratorINS9_10device_ptrIiEEEENSB_INSC_IjEEEESG_jNS9_4plusIvEENS9_8equal_toIvEEjEE10hipError_tPvRmT2_T3_T4_T5_mT6_T7_P12ihipStream_tbENKUlT_T0_E_clISt17integral_constantIbLb1EES10_IbLb0EEEEDaSW_SX_EUlSW_E_NS1_11comp_targetILNS1_3genE0ELNS1_11target_archE4294967295ELNS1_3gpuE0ELNS1_3repE0EEENS1_30default_config_static_selectorELNS0_4arch9wavefront6targetE1EEEvT1_
	.globl	_ZN7rocprim17ROCPRIM_400000_NS6detail17trampoline_kernelINS0_14default_configENS1_27scan_by_key_config_selectorIijEEZZNS1_16scan_by_key_implILNS1_25lookback_scan_determinismE0ELb0ES3_N6thrust23THRUST_200600_302600_NS6detail15normal_iteratorINS9_10device_ptrIiEEEENSB_INSC_IjEEEESG_jNS9_4plusIvEENS9_8equal_toIvEEjEE10hipError_tPvRmT2_T3_T4_T5_mT6_T7_P12ihipStream_tbENKUlT_T0_E_clISt17integral_constantIbLb1EES10_IbLb0EEEEDaSW_SX_EUlSW_E_NS1_11comp_targetILNS1_3genE0ELNS1_11target_archE4294967295ELNS1_3gpuE0ELNS1_3repE0EEENS1_30default_config_static_selectorELNS0_4arch9wavefront6targetE1EEEvT1_
	.p2align	8
	.type	_ZN7rocprim17ROCPRIM_400000_NS6detail17trampoline_kernelINS0_14default_configENS1_27scan_by_key_config_selectorIijEEZZNS1_16scan_by_key_implILNS1_25lookback_scan_determinismE0ELb0ES3_N6thrust23THRUST_200600_302600_NS6detail15normal_iteratorINS9_10device_ptrIiEEEENSB_INSC_IjEEEESG_jNS9_4plusIvEENS9_8equal_toIvEEjEE10hipError_tPvRmT2_T3_T4_T5_mT6_T7_P12ihipStream_tbENKUlT_T0_E_clISt17integral_constantIbLb1EES10_IbLb0EEEEDaSW_SX_EUlSW_E_NS1_11comp_targetILNS1_3genE0ELNS1_11target_archE4294967295ELNS1_3gpuE0ELNS1_3repE0EEENS1_30default_config_static_selectorELNS0_4arch9wavefront6targetE1EEEvT1_,@function
_ZN7rocprim17ROCPRIM_400000_NS6detail17trampoline_kernelINS0_14default_configENS1_27scan_by_key_config_selectorIijEEZZNS1_16scan_by_key_implILNS1_25lookback_scan_determinismE0ELb0ES3_N6thrust23THRUST_200600_302600_NS6detail15normal_iteratorINS9_10device_ptrIiEEEENSB_INSC_IjEEEESG_jNS9_4plusIvEENS9_8equal_toIvEEjEE10hipError_tPvRmT2_T3_T4_T5_mT6_T7_P12ihipStream_tbENKUlT_T0_E_clISt17integral_constantIbLb1EES10_IbLb0EEEEDaSW_SX_EUlSW_E_NS1_11comp_targetILNS1_3genE0ELNS1_11target_archE4294967295ELNS1_3gpuE0ELNS1_3repE0EEENS1_30default_config_static_selectorELNS0_4arch9wavefront6targetE1EEEvT1_: ; @_ZN7rocprim17ROCPRIM_400000_NS6detail17trampoline_kernelINS0_14default_configENS1_27scan_by_key_config_selectorIijEEZZNS1_16scan_by_key_implILNS1_25lookback_scan_determinismE0ELb0ES3_N6thrust23THRUST_200600_302600_NS6detail15normal_iteratorINS9_10device_ptrIiEEEENSB_INSC_IjEEEESG_jNS9_4plusIvEENS9_8equal_toIvEEjEE10hipError_tPvRmT2_T3_T4_T5_mT6_T7_P12ihipStream_tbENKUlT_T0_E_clISt17integral_constantIbLb1EES10_IbLb0EEEEDaSW_SX_EUlSW_E_NS1_11comp_targetILNS1_3genE0ELNS1_11target_archE4294967295ELNS1_3gpuE0ELNS1_3repE0EEENS1_30default_config_static_selectorELNS0_4arch9wavefront6targetE1EEEvT1_
; %bb.0:
	.section	.rodata,"a",@progbits
	.p2align	6, 0x0
	.amdhsa_kernel _ZN7rocprim17ROCPRIM_400000_NS6detail17trampoline_kernelINS0_14default_configENS1_27scan_by_key_config_selectorIijEEZZNS1_16scan_by_key_implILNS1_25lookback_scan_determinismE0ELb0ES3_N6thrust23THRUST_200600_302600_NS6detail15normal_iteratorINS9_10device_ptrIiEEEENSB_INSC_IjEEEESG_jNS9_4plusIvEENS9_8equal_toIvEEjEE10hipError_tPvRmT2_T3_T4_T5_mT6_T7_P12ihipStream_tbENKUlT_T0_E_clISt17integral_constantIbLb1EES10_IbLb0EEEEDaSW_SX_EUlSW_E_NS1_11comp_targetILNS1_3genE0ELNS1_11target_archE4294967295ELNS1_3gpuE0ELNS1_3repE0EEENS1_30default_config_static_selectorELNS0_4arch9wavefront6targetE1EEEvT1_
		.amdhsa_group_segment_fixed_size 0
		.amdhsa_private_segment_fixed_size 0
		.amdhsa_kernarg_size 112
		.amdhsa_user_sgpr_count 6
		.amdhsa_user_sgpr_private_segment_buffer 1
		.amdhsa_user_sgpr_dispatch_ptr 0
		.amdhsa_user_sgpr_queue_ptr 0
		.amdhsa_user_sgpr_kernarg_segment_ptr 1
		.amdhsa_user_sgpr_dispatch_id 0
		.amdhsa_user_sgpr_flat_scratch_init 0
		.amdhsa_user_sgpr_kernarg_preload_length 0
		.amdhsa_user_sgpr_kernarg_preload_offset 0
		.amdhsa_user_sgpr_private_segment_size 0
		.amdhsa_uses_dynamic_stack 0
		.amdhsa_system_sgpr_private_segment_wavefront_offset 0
		.amdhsa_system_sgpr_workgroup_id_x 1
		.amdhsa_system_sgpr_workgroup_id_y 0
		.amdhsa_system_sgpr_workgroup_id_z 0
		.amdhsa_system_sgpr_workgroup_info 0
		.amdhsa_system_vgpr_workitem_id 0
		.amdhsa_next_free_vgpr 1
		.amdhsa_next_free_sgpr 0
		.amdhsa_accum_offset 4
		.amdhsa_reserve_vcc 0
		.amdhsa_reserve_flat_scratch 0
		.amdhsa_float_round_mode_32 0
		.amdhsa_float_round_mode_16_64 0
		.amdhsa_float_denorm_mode_32 3
		.amdhsa_float_denorm_mode_16_64 3
		.amdhsa_dx10_clamp 1
		.amdhsa_ieee_mode 1
		.amdhsa_fp16_overflow 0
		.amdhsa_tg_split 0
		.amdhsa_exception_fp_ieee_invalid_op 0
		.amdhsa_exception_fp_denorm_src 0
		.amdhsa_exception_fp_ieee_div_zero 0
		.amdhsa_exception_fp_ieee_overflow 0
		.amdhsa_exception_fp_ieee_underflow 0
		.amdhsa_exception_fp_ieee_inexact 0
		.amdhsa_exception_int_div_zero 0
	.end_amdhsa_kernel
	.section	.text._ZN7rocprim17ROCPRIM_400000_NS6detail17trampoline_kernelINS0_14default_configENS1_27scan_by_key_config_selectorIijEEZZNS1_16scan_by_key_implILNS1_25lookback_scan_determinismE0ELb0ES3_N6thrust23THRUST_200600_302600_NS6detail15normal_iteratorINS9_10device_ptrIiEEEENSB_INSC_IjEEEESG_jNS9_4plusIvEENS9_8equal_toIvEEjEE10hipError_tPvRmT2_T3_T4_T5_mT6_T7_P12ihipStream_tbENKUlT_T0_E_clISt17integral_constantIbLb1EES10_IbLb0EEEEDaSW_SX_EUlSW_E_NS1_11comp_targetILNS1_3genE0ELNS1_11target_archE4294967295ELNS1_3gpuE0ELNS1_3repE0EEENS1_30default_config_static_selectorELNS0_4arch9wavefront6targetE1EEEvT1_,"axG",@progbits,_ZN7rocprim17ROCPRIM_400000_NS6detail17trampoline_kernelINS0_14default_configENS1_27scan_by_key_config_selectorIijEEZZNS1_16scan_by_key_implILNS1_25lookback_scan_determinismE0ELb0ES3_N6thrust23THRUST_200600_302600_NS6detail15normal_iteratorINS9_10device_ptrIiEEEENSB_INSC_IjEEEESG_jNS9_4plusIvEENS9_8equal_toIvEEjEE10hipError_tPvRmT2_T3_T4_T5_mT6_T7_P12ihipStream_tbENKUlT_T0_E_clISt17integral_constantIbLb1EES10_IbLb0EEEEDaSW_SX_EUlSW_E_NS1_11comp_targetILNS1_3genE0ELNS1_11target_archE4294967295ELNS1_3gpuE0ELNS1_3repE0EEENS1_30default_config_static_selectorELNS0_4arch9wavefront6targetE1EEEvT1_,comdat
.Lfunc_end1243:
	.size	_ZN7rocprim17ROCPRIM_400000_NS6detail17trampoline_kernelINS0_14default_configENS1_27scan_by_key_config_selectorIijEEZZNS1_16scan_by_key_implILNS1_25lookback_scan_determinismE0ELb0ES3_N6thrust23THRUST_200600_302600_NS6detail15normal_iteratorINS9_10device_ptrIiEEEENSB_INSC_IjEEEESG_jNS9_4plusIvEENS9_8equal_toIvEEjEE10hipError_tPvRmT2_T3_T4_T5_mT6_T7_P12ihipStream_tbENKUlT_T0_E_clISt17integral_constantIbLb1EES10_IbLb0EEEEDaSW_SX_EUlSW_E_NS1_11comp_targetILNS1_3genE0ELNS1_11target_archE4294967295ELNS1_3gpuE0ELNS1_3repE0EEENS1_30default_config_static_selectorELNS0_4arch9wavefront6targetE1EEEvT1_, .Lfunc_end1243-_ZN7rocprim17ROCPRIM_400000_NS6detail17trampoline_kernelINS0_14default_configENS1_27scan_by_key_config_selectorIijEEZZNS1_16scan_by_key_implILNS1_25lookback_scan_determinismE0ELb0ES3_N6thrust23THRUST_200600_302600_NS6detail15normal_iteratorINS9_10device_ptrIiEEEENSB_INSC_IjEEEESG_jNS9_4plusIvEENS9_8equal_toIvEEjEE10hipError_tPvRmT2_T3_T4_T5_mT6_T7_P12ihipStream_tbENKUlT_T0_E_clISt17integral_constantIbLb1EES10_IbLb0EEEEDaSW_SX_EUlSW_E_NS1_11comp_targetILNS1_3genE0ELNS1_11target_archE4294967295ELNS1_3gpuE0ELNS1_3repE0EEENS1_30default_config_static_selectorELNS0_4arch9wavefront6targetE1EEEvT1_
                                        ; -- End function
	.section	.AMDGPU.csdata,"",@progbits
; Kernel info:
; codeLenInByte = 0
; NumSgprs: 4
; NumVgprs: 0
; NumAgprs: 0
; TotalNumVgprs: 0
; ScratchSize: 0
; MemoryBound: 0
; FloatMode: 240
; IeeeMode: 1
; LDSByteSize: 0 bytes/workgroup (compile time only)
; SGPRBlocks: 0
; VGPRBlocks: 0
; NumSGPRsForWavesPerEU: 4
; NumVGPRsForWavesPerEU: 1
; AccumOffset: 4
; Occupancy: 8
; WaveLimiterHint : 0
; COMPUTE_PGM_RSRC2:SCRATCH_EN: 0
; COMPUTE_PGM_RSRC2:USER_SGPR: 6
; COMPUTE_PGM_RSRC2:TRAP_HANDLER: 0
; COMPUTE_PGM_RSRC2:TGID_X_EN: 1
; COMPUTE_PGM_RSRC2:TGID_Y_EN: 0
; COMPUTE_PGM_RSRC2:TGID_Z_EN: 0
; COMPUTE_PGM_RSRC2:TIDIG_COMP_CNT: 0
; COMPUTE_PGM_RSRC3_GFX90A:ACCUM_OFFSET: 0
; COMPUTE_PGM_RSRC3_GFX90A:TG_SPLIT: 0
	.section	.text._ZN7rocprim17ROCPRIM_400000_NS6detail17trampoline_kernelINS0_14default_configENS1_27scan_by_key_config_selectorIijEEZZNS1_16scan_by_key_implILNS1_25lookback_scan_determinismE0ELb0ES3_N6thrust23THRUST_200600_302600_NS6detail15normal_iteratorINS9_10device_ptrIiEEEENSB_INSC_IjEEEESG_jNS9_4plusIvEENS9_8equal_toIvEEjEE10hipError_tPvRmT2_T3_T4_T5_mT6_T7_P12ihipStream_tbENKUlT_T0_E_clISt17integral_constantIbLb1EES10_IbLb0EEEEDaSW_SX_EUlSW_E_NS1_11comp_targetILNS1_3genE10ELNS1_11target_archE1201ELNS1_3gpuE5ELNS1_3repE0EEENS1_30default_config_static_selectorELNS0_4arch9wavefront6targetE1EEEvT1_,"axG",@progbits,_ZN7rocprim17ROCPRIM_400000_NS6detail17trampoline_kernelINS0_14default_configENS1_27scan_by_key_config_selectorIijEEZZNS1_16scan_by_key_implILNS1_25lookback_scan_determinismE0ELb0ES3_N6thrust23THRUST_200600_302600_NS6detail15normal_iteratorINS9_10device_ptrIiEEEENSB_INSC_IjEEEESG_jNS9_4plusIvEENS9_8equal_toIvEEjEE10hipError_tPvRmT2_T3_T4_T5_mT6_T7_P12ihipStream_tbENKUlT_T0_E_clISt17integral_constantIbLb1EES10_IbLb0EEEEDaSW_SX_EUlSW_E_NS1_11comp_targetILNS1_3genE10ELNS1_11target_archE1201ELNS1_3gpuE5ELNS1_3repE0EEENS1_30default_config_static_selectorELNS0_4arch9wavefront6targetE1EEEvT1_,comdat
	.protected	_ZN7rocprim17ROCPRIM_400000_NS6detail17trampoline_kernelINS0_14default_configENS1_27scan_by_key_config_selectorIijEEZZNS1_16scan_by_key_implILNS1_25lookback_scan_determinismE0ELb0ES3_N6thrust23THRUST_200600_302600_NS6detail15normal_iteratorINS9_10device_ptrIiEEEENSB_INSC_IjEEEESG_jNS9_4plusIvEENS9_8equal_toIvEEjEE10hipError_tPvRmT2_T3_T4_T5_mT6_T7_P12ihipStream_tbENKUlT_T0_E_clISt17integral_constantIbLb1EES10_IbLb0EEEEDaSW_SX_EUlSW_E_NS1_11comp_targetILNS1_3genE10ELNS1_11target_archE1201ELNS1_3gpuE5ELNS1_3repE0EEENS1_30default_config_static_selectorELNS0_4arch9wavefront6targetE1EEEvT1_ ; -- Begin function _ZN7rocprim17ROCPRIM_400000_NS6detail17trampoline_kernelINS0_14default_configENS1_27scan_by_key_config_selectorIijEEZZNS1_16scan_by_key_implILNS1_25lookback_scan_determinismE0ELb0ES3_N6thrust23THRUST_200600_302600_NS6detail15normal_iteratorINS9_10device_ptrIiEEEENSB_INSC_IjEEEESG_jNS9_4plusIvEENS9_8equal_toIvEEjEE10hipError_tPvRmT2_T3_T4_T5_mT6_T7_P12ihipStream_tbENKUlT_T0_E_clISt17integral_constantIbLb1EES10_IbLb0EEEEDaSW_SX_EUlSW_E_NS1_11comp_targetILNS1_3genE10ELNS1_11target_archE1201ELNS1_3gpuE5ELNS1_3repE0EEENS1_30default_config_static_selectorELNS0_4arch9wavefront6targetE1EEEvT1_
	.globl	_ZN7rocprim17ROCPRIM_400000_NS6detail17trampoline_kernelINS0_14default_configENS1_27scan_by_key_config_selectorIijEEZZNS1_16scan_by_key_implILNS1_25lookback_scan_determinismE0ELb0ES3_N6thrust23THRUST_200600_302600_NS6detail15normal_iteratorINS9_10device_ptrIiEEEENSB_INSC_IjEEEESG_jNS9_4plusIvEENS9_8equal_toIvEEjEE10hipError_tPvRmT2_T3_T4_T5_mT6_T7_P12ihipStream_tbENKUlT_T0_E_clISt17integral_constantIbLb1EES10_IbLb0EEEEDaSW_SX_EUlSW_E_NS1_11comp_targetILNS1_3genE10ELNS1_11target_archE1201ELNS1_3gpuE5ELNS1_3repE0EEENS1_30default_config_static_selectorELNS0_4arch9wavefront6targetE1EEEvT1_
	.p2align	8
	.type	_ZN7rocprim17ROCPRIM_400000_NS6detail17trampoline_kernelINS0_14default_configENS1_27scan_by_key_config_selectorIijEEZZNS1_16scan_by_key_implILNS1_25lookback_scan_determinismE0ELb0ES3_N6thrust23THRUST_200600_302600_NS6detail15normal_iteratorINS9_10device_ptrIiEEEENSB_INSC_IjEEEESG_jNS9_4plusIvEENS9_8equal_toIvEEjEE10hipError_tPvRmT2_T3_T4_T5_mT6_T7_P12ihipStream_tbENKUlT_T0_E_clISt17integral_constantIbLb1EES10_IbLb0EEEEDaSW_SX_EUlSW_E_NS1_11comp_targetILNS1_3genE10ELNS1_11target_archE1201ELNS1_3gpuE5ELNS1_3repE0EEENS1_30default_config_static_selectorELNS0_4arch9wavefront6targetE1EEEvT1_,@function
_ZN7rocprim17ROCPRIM_400000_NS6detail17trampoline_kernelINS0_14default_configENS1_27scan_by_key_config_selectorIijEEZZNS1_16scan_by_key_implILNS1_25lookback_scan_determinismE0ELb0ES3_N6thrust23THRUST_200600_302600_NS6detail15normal_iteratorINS9_10device_ptrIiEEEENSB_INSC_IjEEEESG_jNS9_4plusIvEENS9_8equal_toIvEEjEE10hipError_tPvRmT2_T3_T4_T5_mT6_T7_P12ihipStream_tbENKUlT_T0_E_clISt17integral_constantIbLb1EES10_IbLb0EEEEDaSW_SX_EUlSW_E_NS1_11comp_targetILNS1_3genE10ELNS1_11target_archE1201ELNS1_3gpuE5ELNS1_3repE0EEENS1_30default_config_static_selectorELNS0_4arch9wavefront6targetE1EEEvT1_: ; @_ZN7rocprim17ROCPRIM_400000_NS6detail17trampoline_kernelINS0_14default_configENS1_27scan_by_key_config_selectorIijEEZZNS1_16scan_by_key_implILNS1_25lookback_scan_determinismE0ELb0ES3_N6thrust23THRUST_200600_302600_NS6detail15normal_iteratorINS9_10device_ptrIiEEEENSB_INSC_IjEEEESG_jNS9_4plusIvEENS9_8equal_toIvEEjEE10hipError_tPvRmT2_T3_T4_T5_mT6_T7_P12ihipStream_tbENKUlT_T0_E_clISt17integral_constantIbLb1EES10_IbLb0EEEEDaSW_SX_EUlSW_E_NS1_11comp_targetILNS1_3genE10ELNS1_11target_archE1201ELNS1_3gpuE5ELNS1_3repE0EEENS1_30default_config_static_selectorELNS0_4arch9wavefront6targetE1EEEvT1_
; %bb.0:
	.section	.rodata,"a",@progbits
	.p2align	6, 0x0
	.amdhsa_kernel _ZN7rocprim17ROCPRIM_400000_NS6detail17trampoline_kernelINS0_14default_configENS1_27scan_by_key_config_selectorIijEEZZNS1_16scan_by_key_implILNS1_25lookback_scan_determinismE0ELb0ES3_N6thrust23THRUST_200600_302600_NS6detail15normal_iteratorINS9_10device_ptrIiEEEENSB_INSC_IjEEEESG_jNS9_4plusIvEENS9_8equal_toIvEEjEE10hipError_tPvRmT2_T3_T4_T5_mT6_T7_P12ihipStream_tbENKUlT_T0_E_clISt17integral_constantIbLb1EES10_IbLb0EEEEDaSW_SX_EUlSW_E_NS1_11comp_targetILNS1_3genE10ELNS1_11target_archE1201ELNS1_3gpuE5ELNS1_3repE0EEENS1_30default_config_static_selectorELNS0_4arch9wavefront6targetE1EEEvT1_
		.amdhsa_group_segment_fixed_size 0
		.amdhsa_private_segment_fixed_size 0
		.amdhsa_kernarg_size 112
		.amdhsa_user_sgpr_count 6
		.amdhsa_user_sgpr_private_segment_buffer 1
		.amdhsa_user_sgpr_dispatch_ptr 0
		.amdhsa_user_sgpr_queue_ptr 0
		.amdhsa_user_sgpr_kernarg_segment_ptr 1
		.amdhsa_user_sgpr_dispatch_id 0
		.amdhsa_user_sgpr_flat_scratch_init 0
		.amdhsa_user_sgpr_kernarg_preload_length 0
		.amdhsa_user_sgpr_kernarg_preload_offset 0
		.amdhsa_user_sgpr_private_segment_size 0
		.amdhsa_uses_dynamic_stack 0
		.amdhsa_system_sgpr_private_segment_wavefront_offset 0
		.amdhsa_system_sgpr_workgroup_id_x 1
		.amdhsa_system_sgpr_workgroup_id_y 0
		.amdhsa_system_sgpr_workgroup_id_z 0
		.amdhsa_system_sgpr_workgroup_info 0
		.amdhsa_system_vgpr_workitem_id 0
		.amdhsa_next_free_vgpr 1
		.amdhsa_next_free_sgpr 0
		.amdhsa_accum_offset 4
		.amdhsa_reserve_vcc 0
		.amdhsa_reserve_flat_scratch 0
		.amdhsa_float_round_mode_32 0
		.amdhsa_float_round_mode_16_64 0
		.amdhsa_float_denorm_mode_32 3
		.amdhsa_float_denorm_mode_16_64 3
		.amdhsa_dx10_clamp 1
		.amdhsa_ieee_mode 1
		.amdhsa_fp16_overflow 0
		.amdhsa_tg_split 0
		.amdhsa_exception_fp_ieee_invalid_op 0
		.amdhsa_exception_fp_denorm_src 0
		.amdhsa_exception_fp_ieee_div_zero 0
		.amdhsa_exception_fp_ieee_overflow 0
		.amdhsa_exception_fp_ieee_underflow 0
		.amdhsa_exception_fp_ieee_inexact 0
		.amdhsa_exception_int_div_zero 0
	.end_amdhsa_kernel
	.section	.text._ZN7rocprim17ROCPRIM_400000_NS6detail17trampoline_kernelINS0_14default_configENS1_27scan_by_key_config_selectorIijEEZZNS1_16scan_by_key_implILNS1_25lookback_scan_determinismE0ELb0ES3_N6thrust23THRUST_200600_302600_NS6detail15normal_iteratorINS9_10device_ptrIiEEEENSB_INSC_IjEEEESG_jNS9_4plusIvEENS9_8equal_toIvEEjEE10hipError_tPvRmT2_T3_T4_T5_mT6_T7_P12ihipStream_tbENKUlT_T0_E_clISt17integral_constantIbLb1EES10_IbLb0EEEEDaSW_SX_EUlSW_E_NS1_11comp_targetILNS1_3genE10ELNS1_11target_archE1201ELNS1_3gpuE5ELNS1_3repE0EEENS1_30default_config_static_selectorELNS0_4arch9wavefront6targetE1EEEvT1_,"axG",@progbits,_ZN7rocprim17ROCPRIM_400000_NS6detail17trampoline_kernelINS0_14default_configENS1_27scan_by_key_config_selectorIijEEZZNS1_16scan_by_key_implILNS1_25lookback_scan_determinismE0ELb0ES3_N6thrust23THRUST_200600_302600_NS6detail15normal_iteratorINS9_10device_ptrIiEEEENSB_INSC_IjEEEESG_jNS9_4plusIvEENS9_8equal_toIvEEjEE10hipError_tPvRmT2_T3_T4_T5_mT6_T7_P12ihipStream_tbENKUlT_T0_E_clISt17integral_constantIbLb1EES10_IbLb0EEEEDaSW_SX_EUlSW_E_NS1_11comp_targetILNS1_3genE10ELNS1_11target_archE1201ELNS1_3gpuE5ELNS1_3repE0EEENS1_30default_config_static_selectorELNS0_4arch9wavefront6targetE1EEEvT1_,comdat
.Lfunc_end1244:
	.size	_ZN7rocprim17ROCPRIM_400000_NS6detail17trampoline_kernelINS0_14default_configENS1_27scan_by_key_config_selectorIijEEZZNS1_16scan_by_key_implILNS1_25lookback_scan_determinismE0ELb0ES3_N6thrust23THRUST_200600_302600_NS6detail15normal_iteratorINS9_10device_ptrIiEEEENSB_INSC_IjEEEESG_jNS9_4plusIvEENS9_8equal_toIvEEjEE10hipError_tPvRmT2_T3_T4_T5_mT6_T7_P12ihipStream_tbENKUlT_T0_E_clISt17integral_constantIbLb1EES10_IbLb0EEEEDaSW_SX_EUlSW_E_NS1_11comp_targetILNS1_3genE10ELNS1_11target_archE1201ELNS1_3gpuE5ELNS1_3repE0EEENS1_30default_config_static_selectorELNS0_4arch9wavefront6targetE1EEEvT1_, .Lfunc_end1244-_ZN7rocprim17ROCPRIM_400000_NS6detail17trampoline_kernelINS0_14default_configENS1_27scan_by_key_config_selectorIijEEZZNS1_16scan_by_key_implILNS1_25lookback_scan_determinismE0ELb0ES3_N6thrust23THRUST_200600_302600_NS6detail15normal_iteratorINS9_10device_ptrIiEEEENSB_INSC_IjEEEESG_jNS9_4plusIvEENS9_8equal_toIvEEjEE10hipError_tPvRmT2_T3_T4_T5_mT6_T7_P12ihipStream_tbENKUlT_T0_E_clISt17integral_constantIbLb1EES10_IbLb0EEEEDaSW_SX_EUlSW_E_NS1_11comp_targetILNS1_3genE10ELNS1_11target_archE1201ELNS1_3gpuE5ELNS1_3repE0EEENS1_30default_config_static_selectorELNS0_4arch9wavefront6targetE1EEEvT1_
                                        ; -- End function
	.section	.AMDGPU.csdata,"",@progbits
; Kernel info:
; codeLenInByte = 0
; NumSgprs: 4
; NumVgprs: 0
; NumAgprs: 0
; TotalNumVgprs: 0
; ScratchSize: 0
; MemoryBound: 0
; FloatMode: 240
; IeeeMode: 1
; LDSByteSize: 0 bytes/workgroup (compile time only)
; SGPRBlocks: 0
; VGPRBlocks: 0
; NumSGPRsForWavesPerEU: 4
; NumVGPRsForWavesPerEU: 1
; AccumOffset: 4
; Occupancy: 8
; WaveLimiterHint : 0
; COMPUTE_PGM_RSRC2:SCRATCH_EN: 0
; COMPUTE_PGM_RSRC2:USER_SGPR: 6
; COMPUTE_PGM_RSRC2:TRAP_HANDLER: 0
; COMPUTE_PGM_RSRC2:TGID_X_EN: 1
; COMPUTE_PGM_RSRC2:TGID_Y_EN: 0
; COMPUTE_PGM_RSRC2:TGID_Z_EN: 0
; COMPUTE_PGM_RSRC2:TIDIG_COMP_CNT: 0
; COMPUTE_PGM_RSRC3_GFX90A:ACCUM_OFFSET: 0
; COMPUTE_PGM_RSRC3_GFX90A:TG_SPLIT: 0
	.section	.text._ZN7rocprim17ROCPRIM_400000_NS6detail17trampoline_kernelINS0_14default_configENS1_27scan_by_key_config_selectorIijEEZZNS1_16scan_by_key_implILNS1_25lookback_scan_determinismE0ELb0ES3_N6thrust23THRUST_200600_302600_NS6detail15normal_iteratorINS9_10device_ptrIiEEEENSB_INSC_IjEEEESG_jNS9_4plusIvEENS9_8equal_toIvEEjEE10hipError_tPvRmT2_T3_T4_T5_mT6_T7_P12ihipStream_tbENKUlT_T0_E_clISt17integral_constantIbLb1EES10_IbLb0EEEEDaSW_SX_EUlSW_E_NS1_11comp_targetILNS1_3genE5ELNS1_11target_archE942ELNS1_3gpuE9ELNS1_3repE0EEENS1_30default_config_static_selectorELNS0_4arch9wavefront6targetE1EEEvT1_,"axG",@progbits,_ZN7rocprim17ROCPRIM_400000_NS6detail17trampoline_kernelINS0_14default_configENS1_27scan_by_key_config_selectorIijEEZZNS1_16scan_by_key_implILNS1_25lookback_scan_determinismE0ELb0ES3_N6thrust23THRUST_200600_302600_NS6detail15normal_iteratorINS9_10device_ptrIiEEEENSB_INSC_IjEEEESG_jNS9_4plusIvEENS9_8equal_toIvEEjEE10hipError_tPvRmT2_T3_T4_T5_mT6_T7_P12ihipStream_tbENKUlT_T0_E_clISt17integral_constantIbLb1EES10_IbLb0EEEEDaSW_SX_EUlSW_E_NS1_11comp_targetILNS1_3genE5ELNS1_11target_archE942ELNS1_3gpuE9ELNS1_3repE0EEENS1_30default_config_static_selectorELNS0_4arch9wavefront6targetE1EEEvT1_,comdat
	.protected	_ZN7rocprim17ROCPRIM_400000_NS6detail17trampoline_kernelINS0_14default_configENS1_27scan_by_key_config_selectorIijEEZZNS1_16scan_by_key_implILNS1_25lookback_scan_determinismE0ELb0ES3_N6thrust23THRUST_200600_302600_NS6detail15normal_iteratorINS9_10device_ptrIiEEEENSB_INSC_IjEEEESG_jNS9_4plusIvEENS9_8equal_toIvEEjEE10hipError_tPvRmT2_T3_T4_T5_mT6_T7_P12ihipStream_tbENKUlT_T0_E_clISt17integral_constantIbLb1EES10_IbLb0EEEEDaSW_SX_EUlSW_E_NS1_11comp_targetILNS1_3genE5ELNS1_11target_archE942ELNS1_3gpuE9ELNS1_3repE0EEENS1_30default_config_static_selectorELNS0_4arch9wavefront6targetE1EEEvT1_ ; -- Begin function _ZN7rocprim17ROCPRIM_400000_NS6detail17trampoline_kernelINS0_14default_configENS1_27scan_by_key_config_selectorIijEEZZNS1_16scan_by_key_implILNS1_25lookback_scan_determinismE0ELb0ES3_N6thrust23THRUST_200600_302600_NS6detail15normal_iteratorINS9_10device_ptrIiEEEENSB_INSC_IjEEEESG_jNS9_4plusIvEENS9_8equal_toIvEEjEE10hipError_tPvRmT2_T3_T4_T5_mT6_T7_P12ihipStream_tbENKUlT_T0_E_clISt17integral_constantIbLb1EES10_IbLb0EEEEDaSW_SX_EUlSW_E_NS1_11comp_targetILNS1_3genE5ELNS1_11target_archE942ELNS1_3gpuE9ELNS1_3repE0EEENS1_30default_config_static_selectorELNS0_4arch9wavefront6targetE1EEEvT1_
	.globl	_ZN7rocprim17ROCPRIM_400000_NS6detail17trampoline_kernelINS0_14default_configENS1_27scan_by_key_config_selectorIijEEZZNS1_16scan_by_key_implILNS1_25lookback_scan_determinismE0ELb0ES3_N6thrust23THRUST_200600_302600_NS6detail15normal_iteratorINS9_10device_ptrIiEEEENSB_INSC_IjEEEESG_jNS9_4plusIvEENS9_8equal_toIvEEjEE10hipError_tPvRmT2_T3_T4_T5_mT6_T7_P12ihipStream_tbENKUlT_T0_E_clISt17integral_constantIbLb1EES10_IbLb0EEEEDaSW_SX_EUlSW_E_NS1_11comp_targetILNS1_3genE5ELNS1_11target_archE942ELNS1_3gpuE9ELNS1_3repE0EEENS1_30default_config_static_selectorELNS0_4arch9wavefront6targetE1EEEvT1_
	.p2align	8
	.type	_ZN7rocprim17ROCPRIM_400000_NS6detail17trampoline_kernelINS0_14default_configENS1_27scan_by_key_config_selectorIijEEZZNS1_16scan_by_key_implILNS1_25lookback_scan_determinismE0ELb0ES3_N6thrust23THRUST_200600_302600_NS6detail15normal_iteratorINS9_10device_ptrIiEEEENSB_INSC_IjEEEESG_jNS9_4plusIvEENS9_8equal_toIvEEjEE10hipError_tPvRmT2_T3_T4_T5_mT6_T7_P12ihipStream_tbENKUlT_T0_E_clISt17integral_constantIbLb1EES10_IbLb0EEEEDaSW_SX_EUlSW_E_NS1_11comp_targetILNS1_3genE5ELNS1_11target_archE942ELNS1_3gpuE9ELNS1_3repE0EEENS1_30default_config_static_selectorELNS0_4arch9wavefront6targetE1EEEvT1_,@function
_ZN7rocprim17ROCPRIM_400000_NS6detail17trampoline_kernelINS0_14default_configENS1_27scan_by_key_config_selectorIijEEZZNS1_16scan_by_key_implILNS1_25lookback_scan_determinismE0ELb0ES3_N6thrust23THRUST_200600_302600_NS6detail15normal_iteratorINS9_10device_ptrIiEEEENSB_INSC_IjEEEESG_jNS9_4plusIvEENS9_8equal_toIvEEjEE10hipError_tPvRmT2_T3_T4_T5_mT6_T7_P12ihipStream_tbENKUlT_T0_E_clISt17integral_constantIbLb1EES10_IbLb0EEEEDaSW_SX_EUlSW_E_NS1_11comp_targetILNS1_3genE5ELNS1_11target_archE942ELNS1_3gpuE9ELNS1_3repE0EEENS1_30default_config_static_selectorELNS0_4arch9wavefront6targetE1EEEvT1_: ; @_ZN7rocprim17ROCPRIM_400000_NS6detail17trampoline_kernelINS0_14default_configENS1_27scan_by_key_config_selectorIijEEZZNS1_16scan_by_key_implILNS1_25lookback_scan_determinismE0ELb0ES3_N6thrust23THRUST_200600_302600_NS6detail15normal_iteratorINS9_10device_ptrIiEEEENSB_INSC_IjEEEESG_jNS9_4plusIvEENS9_8equal_toIvEEjEE10hipError_tPvRmT2_T3_T4_T5_mT6_T7_P12ihipStream_tbENKUlT_T0_E_clISt17integral_constantIbLb1EES10_IbLb0EEEEDaSW_SX_EUlSW_E_NS1_11comp_targetILNS1_3genE5ELNS1_11target_archE942ELNS1_3gpuE9ELNS1_3repE0EEENS1_30default_config_static_selectorELNS0_4arch9wavefront6targetE1EEEvT1_
; %bb.0:
	.section	.rodata,"a",@progbits
	.p2align	6, 0x0
	.amdhsa_kernel _ZN7rocprim17ROCPRIM_400000_NS6detail17trampoline_kernelINS0_14default_configENS1_27scan_by_key_config_selectorIijEEZZNS1_16scan_by_key_implILNS1_25lookback_scan_determinismE0ELb0ES3_N6thrust23THRUST_200600_302600_NS6detail15normal_iteratorINS9_10device_ptrIiEEEENSB_INSC_IjEEEESG_jNS9_4plusIvEENS9_8equal_toIvEEjEE10hipError_tPvRmT2_T3_T4_T5_mT6_T7_P12ihipStream_tbENKUlT_T0_E_clISt17integral_constantIbLb1EES10_IbLb0EEEEDaSW_SX_EUlSW_E_NS1_11comp_targetILNS1_3genE5ELNS1_11target_archE942ELNS1_3gpuE9ELNS1_3repE0EEENS1_30default_config_static_selectorELNS0_4arch9wavefront6targetE1EEEvT1_
		.amdhsa_group_segment_fixed_size 0
		.amdhsa_private_segment_fixed_size 0
		.amdhsa_kernarg_size 112
		.amdhsa_user_sgpr_count 6
		.amdhsa_user_sgpr_private_segment_buffer 1
		.amdhsa_user_sgpr_dispatch_ptr 0
		.amdhsa_user_sgpr_queue_ptr 0
		.amdhsa_user_sgpr_kernarg_segment_ptr 1
		.amdhsa_user_sgpr_dispatch_id 0
		.amdhsa_user_sgpr_flat_scratch_init 0
		.amdhsa_user_sgpr_kernarg_preload_length 0
		.amdhsa_user_sgpr_kernarg_preload_offset 0
		.amdhsa_user_sgpr_private_segment_size 0
		.amdhsa_uses_dynamic_stack 0
		.amdhsa_system_sgpr_private_segment_wavefront_offset 0
		.amdhsa_system_sgpr_workgroup_id_x 1
		.amdhsa_system_sgpr_workgroup_id_y 0
		.amdhsa_system_sgpr_workgroup_id_z 0
		.amdhsa_system_sgpr_workgroup_info 0
		.amdhsa_system_vgpr_workitem_id 0
		.amdhsa_next_free_vgpr 1
		.amdhsa_next_free_sgpr 0
		.amdhsa_accum_offset 4
		.amdhsa_reserve_vcc 0
		.amdhsa_reserve_flat_scratch 0
		.amdhsa_float_round_mode_32 0
		.amdhsa_float_round_mode_16_64 0
		.amdhsa_float_denorm_mode_32 3
		.amdhsa_float_denorm_mode_16_64 3
		.amdhsa_dx10_clamp 1
		.amdhsa_ieee_mode 1
		.amdhsa_fp16_overflow 0
		.amdhsa_tg_split 0
		.amdhsa_exception_fp_ieee_invalid_op 0
		.amdhsa_exception_fp_denorm_src 0
		.amdhsa_exception_fp_ieee_div_zero 0
		.amdhsa_exception_fp_ieee_overflow 0
		.amdhsa_exception_fp_ieee_underflow 0
		.amdhsa_exception_fp_ieee_inexact 0
		.amdhsa_exception_int_div_zero 0
	.end_amdhsa_kernel
	.section	.text._ZN7rocprim17ROCPRIM_400000_NS6detail17trampoline_kernelINS0_14default_configENS1_27scan_by_key_config_selectorIijEEZZNS1_16scan_by_key_implILNS1_25lookback_scan_determinismE0ELb0ES3_N6thrust23THRUST_200600_302600_NS6detail15normal_iteratorINS9_10device_ptrIiEEEENSB_INSC_IjEEEESG_jNS9_4plusIvEENS9_8equal_toIvEEjEE10hipError_tPvRmT2_T3_T4_T5_mT6_T7_P12ihipStream_tbENKUlT_T0_E_clISt17integral_constantIbLb1EES10_IbLb0EEEEDaSW_SX_EUlSW_E_NS1_11comp_targetILNS1_3genE5ELNS1_11target_archE942ELNS1_3gpuE9ELNS1_3repE0EEENS1_30default_config_static_selectorELNS0_4arch9wavefront6targetE1EEEvT1_,"axG",@progbits,_ZN7rocprim17ROCPRIM_400000_NS6detail17trampoline_kernelINS0_14default_configENS1_27scan_by_key_config_selectorIijEEZZNS1_16scan_by_key_implILNS1_25lookback_scan_determinismE0ELb0ES3_N6thrust23THRUST_200600_302600_NS6detail15normal_iteratorINS9_10device_ptrIiEEEENSB_INSC_IjEEEESG_jNS9_4plusIvEENS9_8equal_toIvEEjEE10hipError_tPvRmT2_T3_T4_T5_mT6_T7_P12ihipStream_tbENKUlT_T0_E_clISt17integral_constantIbLb1EES10_IbLb0EEEEDaSW_SX_EUlSW_E_NS1_11comp_targetILNS1_3genE5ELNS1_11target_archE942ELNS1_3gpuE9ELNS1_3repE0EEENS1_30default_config_static_selectorELNS0_4arch9wavefront6targetE1EEEvT1_,comdat
.Lfunc_end1245:
	.size	_ZN7rocprim17ROCPRIM_400000_NS6detail17trampoline_kernelINS0_14default_configENS1_27scan_by_key_config_selectorIijEEZZNS1_16scan_by_key_implILNS1_25lookback_scan_determinismE0ELb0ES3_N6thrust23THRUST_200600_302600_NS6detail15normal_iteratorINS9_10device_ptrIiEEEENSB_INSC_IjEEEESG_jNS9_4plusIvEENS9_8equal_toIvEEjEE10hipError_tPvRmT2_T3_T4_T5_mT6_T7_P12ihipStream_tbENKUlT_T0_E_clISt17integral_constantIbLb1EES10_IbLb0EEEEDaSW_SX_EUlSW_E_NS1_11comp_targetILNS1_3genE5ELNS1_11target_archE942ELNS1_3gpuE9ELNS1_3repE0EEENS1_30default_config_static_selectorELNS0_4arch9wavefront6targetE1EEEvT1_, .Lfunc_end1245-_ZN7rocprim17ROCPRIM_400000_NS6detail17trampoline_kernelINS0_14default_configENS1_27scan_by_key_config_selectorIijEEZZNS1_16scan_by_key_implILNS1_25lookback_scan_determinismE0ELb0ES3_N6thrust23THRUST_200600_302600_NS6detail15normal_iteratorINS9_10device_ptrIiEEEENSB_INSC_IjEEEESG_jNS9_4plusIvEENS9_8equal_toIvEEjEE10hipError_tPvRmT2_T3_T4_T5_mT6_T7_P12ihipStream_tbENKUlT_T0_E_clISt17integral_constantIbLb1EES10_IbLb0EEEEDaSW_SX_EUlSW_E_NS1_11comp_targetILNS1_3genE5ELNS1_11target_archE942ELNS1_3gpuE9ELNS1_3repE0EEENS1_30default_config_static_selectorELNS0_4arch9wavefront6targetE1EEEvT1_
                                        ; -- End function
	.section	.AMDGPU.csdata,"",@progbits
; Kernel info:
; codeLenInByte = 0
; NumSgprs: 4
; NumVgprs: 0
; NumAgprs: 0
; TotalNumVgprs: 0
; ScratchSize: 0
; MemoryBound: 0
; FloatMode: 240
; IeeeMode: 1
; LDSByteSize: 0 bytes/workgroup (compile time only)
; SGPRBlocks: 0
; VGPRBlocks: 0
; NumSGPRsForWavesPerEU: 4
; NumVGPRsForWavesPerEU: 1
; AccumOffset: 4
; Occupancy: 8
; WaveLimiterHint : 0
; COMPUTE_PGM_RSRC2:SCRATCH_EN: 0
; COMPUTE_PGM_RSRC2:USER_SGPR: 6
; COMPUTE_PGM_RSRC2:TRAP_HANDLER: 0
; COMPUTE_PGM_RSRC2:TGID_X_EN: 1
; COMPUTE_PGM_RSRC2:TGID_Y_EN: 0
; COMPUTE_PGM_RSRC2:TGID_Z_EN: 0
; COMPUTE_PGM_RSRC2:TIDIG_COMP_CNT: 0
; COMPUTE_PGM_RSRC3_GFX90A:ACCUM_OFFSET: 0
; COMPUTE_PGM_RSRC3_GFX90A:TG_SPLIT: 0
	.section	.text._ZN7rocprim17ROCPRIM_400000_NS6detail17trampoline_kernelINS0_14default_configENS1_27scan_by_key_config_selectorIijEEZZNS1_16scan_by_key_implILNS1_25lookback_scan_determinismE0ELb0ES3_N6thrust23THRUST_200600_302600_NS6detail15normal_iteratorINS9_10device_ptrIiEEEENSB_INSC_IjEEEESG_jNS9_4plusIvEENS9_8equal_toIvEEjEE10hipError_tPvRmT2_T3_T4_T5_mT6_T7_P12ihipStream_tbENKUlT_T0_E_clISt17integral_constantIbLb1EES10_IbLb0EEEEDaSW_SX_EUlSW_E_NS1_11comp_targetILNS1_3genE4ELNS1_11target_archE910ELNS1_3gpuE8ELNS1_3repE0EEENS1_30default_config_static_selectorELNS0_4arch9wavefront6targetE1EEEvT1_,"axG",@progbits,_ZN7rocprim17ROCPRIM_400000_NS6detail17trampoline_kernelINS0_14default_configENS1_27scan_by_key_config_selectorIijEEZZNS1_16scan_by_key_implILNS1_25lookback_scan_determinismE0ELb0ES3_N6thrust23THRUST_200600_302600_NS6detail15normal_iteratorINS9_10device_ptrIiEEEENSB_INSC_IjEEEESG_jNS9_4plusIvEENS9_8equal_toIvEEjEE10hipError_tPvRmT2_T3_T4_T5_mT6_T7_P12ihipStream_tbENKUlT_T0_E_clISt17integral_constantIbLb1EES10_IbLb0EEEEDaSW_SX_EUlSW_E_NS1_11comp_targetILNS1_3genE4ELNS1_11target_archE910ELNS1_3gpuE8ELNS1_3repE0EEENS1_30default_config_static_selectorELNS0_4arch9wavefront6targetE1EEEvT1_,comdat
	.protected	_ZN7rocprim17ROCPRIM_400000_NS6detail17trampoline_kernelINS0_14default_configENS1_27scan_by_key_config_selectorIijEEZZNS1_16scan_by_key_implILNS1_25lookback_scan_determinismE0ELb0ES3_N6thrust23THRUST_200600_302600_NS6detail15normal_iteratorINS9_10device_ptrIiEEEENSB_INSC_IjEEEESG_jNS9_4plusIvEENS9_8equal_toIvEEjEE10hipError_tPvRmT2_T3_T4_T5_mT6_T7_P12ihipStream_tbENKUlT_T0_E_clISt17integral_constantIbLb1EES10_IbLb0EEEEDaSW_SX_EUlSW_E_NS1_11comp_targetILNS1_3genE4ELNS1_11target_archE910ELNS1_3gpuE8ELNS1_3repE0EEENS1_30default_config_static_selectorELNS0_4arch9wavefront6targetE1EEEvT1_ ; -- Begin function _ZN7rocprim17ROCPRIM_400000_NS6detail17trampoline_kernelINS0_14default_configENS1_27scan_by_key_config_selectorIijEEZZNS1_16scan_by_key_implILNS1_25lookback_scan_determinismE0ELb0ES3_N6thrust23THRUST_200600_302600_NS6detail15normal_iteratorINS9_10device_ptrIiEEEENSB_INSC_IjEEEESG_jNS9_4plusIvEENS9_8equal_toIvEEjEE10hipError_tPvRmT2_T3_T4_T5_mT6_T7_P12ihipStream_tbENKUlT_T0_E_clISt17integral_constantIbLb1EES10_IbLb0EEEEDaSW_SX_EUlSW_E_NS1_11comp_targetILNS1_3genE4ELNS1_11target_archE910ELNS1_3gpuE8ELNS1_3repE0EEENS1_30default_config_static_selectorELNS0_4arch9wavefront6targetE1EEEvT1_
	.globl	_ZN7rocprim17ROCPRIM_400000_NS6detail17trampoline_kernelINS0_14default_configENS1_27scan_by_key_config_selectorIijEEZZNS1_16scan_by_key_implILNS1_25lookback_scan_determinismE0ELb0ES3_N6thrust23THRUST_200600_302600_NS6detail15normal_iteratorINS9_10device_ptrIiEEEENSB_INSC_IjEEEESG_jNS9_4plusIvEENS9_8equal_toIvEEjEE10hipError_tPvRmT2_T3_T4_T5_mT6_T7_P12ihipStream_tbENKUlT_T0_E_clISt17integral_constantIbLb1EES10_IbLb0EEEEDaSW_SX_EUlSW_E_NS1_11comp_targetILNS1_3genE4ELNS1_11target_archE910ELNS1_3gpuE8ELNS1_3repE0EEENS1_30default_config_static_selectorELNS0_4arch9wavefront6targetE1EEEvT1_
	.p2align	8
	.type	_ZN7rocprim17ROCPRIM_400000_NS6detail17trampoline_kernelINS0_14default_configENS1_27scan_by_key_config_selectorIijEEZZNS1_16scan_by_key_implILNS1_25lookback_scan_determinismE0ELb0ES3_N6thrust23THRUST_200600_302600_NS6detail15normal_iteratorINS9_10device_ptrIiEEEENSB_INSC_IjEEEESG_jNS9_4plusIvEENS9_8equal_toIvEEjEE10hipError_tPvRmT2_T3_T4_T5_mT6_T7_P12ihipStream_tbENKUlT_T0_E_clISt17integral_constantIbLb1EES10_IbLb0EEEEDaSW_SX_EUlSW_E_NS1_11comp_targetILNS1_3genE4ELNS1_11target_archE910ELNS1_3gpuE8ELNS1_3repE0EEENS1_30default_config_static_selectorELNS0_4arch9wavefront6targetE1EEEvT1_,@function
_ZN7rocprim17ROCPRIM_400000_NS6detail17trampoline_kernelINS0_14default_configENS1_27scan_by_key_config_selectorIijEEZZNS1_16scan_by_key_implILNS1_25lookback_scan_determinismE0ELb0ES3_N6thrust23THRUST_200600_302600_NS6detail15normal_iteratorINS9_10device_ptrIiEEEENSB_INSC_IjEEEESG_jNS9_4plusIvEENS9_8equal_toIvEEjEE10hipError_tPvRmT2_T3_T4_T5_mT6_T7_P12ihipStream_tbENKUlT_T0_E_clISt17integral_constantIbLb1EES10_IbLb0EEEEDaSW_SX_EUlSW_E_NS1_11comp_targetILNS1_3genE4ELNS1_11target_archE910ELNS1_3gpuE8ELNS1_3repE0EEENS1_30default_config_static_selectorELNS0_4arch9wavefront6targetE1EEEvT1_: ; @_ZN7rocprim17ROCPRIM_400000_NS6detail17trampoline_kernelINS0_14default_configENS1_27scan_by_key_config_selectorIijEEZZNS1_16scan_by_key_implILNS1_25lookback_scan_determinismE0ELb0ES3_N6thrust23THRUST_200600_302600_NS6detail15normal_iteratorINS9_10device_ptrIiEEEENSB_INSC_IjEEEESG_jNS9_4plusIvEENS9_8equal_toIvEEjEE10hipError_tPvRmT2_T3_T4_T5_mT6_T7_P12ihipStream_tbENKUlT_T0_E_clISt17integral_constantIbLb1EES10_IbLb0EEEEDaSW_SX_EUlSW_E_NS1_11comp_targetILNS1_3genE4ELNS1_11target_archE910ELNS1_3gpuE8ELNS1_3repE0EEENS1_30default_config_static_selectorELNS0_4arch9wavefront6targetE1EEEvT1_
; %bb.0:
	s_load_dwordx8 s[36:43], s[4:5], 0x0
	s_load_dwordx4 s[52:55], s[4:5], 0x28
	s_load_dwordx2 s[56:57], s[4:5], 0x38
	s_load_dword s0, s[4:5], 0x40
	s_load_dwordx8 s[44:51], s[4:5], 0x48
	s_waitcnt lgkmcnt(0)
	s_lshl_b64 s[38:39], s[38:39], 2
	s_add_u32 s2, s36, s38
	s_addc_u32 s3, s37, s39
	s_add_u32 s4, s40, s38
	s_mul_i32 s1, s57, s0
	s_mul_hi_u32 s7, s56, s0
	s_addc_u32 s5, s41, s39
	s_add_i32 s8, s7, s1
	s_mul_i32 s9, s56, s0
	s_cmp_lg_u64 s[48:49], 0
	s_mul_i32 s0, s6, 0xe00
	s_mov_b32 s1, 0
	s_cselect_b64 s[40:41], -1, 0
	s_lshl_b64 s[36:37], s[0:1], 2
	s_add_u32 s34, s2, s36
	s_addc_u32 s35, s3, s37
	s_add_u32 s7, s4, s36
	s_addc_u32 s55, s5, s37
	;; [unrolled: 2-line block ×3, first 2 shown]
	s_add_u32 s2, s44, -1
	s_addc_u32 s3, s45, -1
	v_pk_mov_b32 v[2:3], s[2:3], s[2:3] op_sel:[0,1]
	v_cmp_ge_u64_e64 s[0:1], s[48:49], v[2:3]
	s_mov_b64 s[18:19], 0
	s_mov_b64 s[4:5], -1
	s_and_b64 vcc, exec, s[0:1]
	s_mul_i32 s33, s2, 0xfffff200
	s_barrier
	s_cbranch_vccz .LBB1246_77
; %bb.1:
	v_pk_mov_b32 v[2:3], s[34:35], s[34:35] op_sel:[0,1]
	flat_load_dword v1, v[2:3]
	s_add_i32 s60, s33, s54
	v_cmp_gt_u32_e64 s[2:3], s60, v0
	s_waitcnt vmcnt(0) lgkmcnt(0)
	v_mov_b32_e32 v13, v1
	s_and_saveexec_b64 s[4:5], s[2:3]
	s_cbranch_execz .LBB1246_3
; %bb.2:
	v_lshlrev_b32_e32 v2, 2, v0
	v_mov_b32_e32 v3, s35
	v_add_co_u32_e32 v2, vcc, s34, v2
	v_addc_co_u32_e32 v3, vcc, 0, v3, vcc
	flat_load_dword v13, v[2:3]
.LBB1246_3:
	s_or_b64 exec, exec, s[4:5]
	v_or_b32_e32 v2, 0x100, v0
	v_cmp_gt_u32_e64 s[4:5], s60, v2
	v_mov_b32_e32 v14, v1
	s_and_saveexec_b64 s[8:9], s[4:5]
	s_cbranch_execz .LBB1246_5
; %bb.4:
	v_lshlrev_b32_e32 v2, 2, v0
	v_mov_b32_e32 v3, s35
	v_add_co_u32_e32 v2, vcc, s34, v2
	v_addc_co_u32_e32 v3, vcc, 0, v3, vcc
	flat_load_dword v14, v[2:3] offset:1024
.LBB1246_5:
	s_or_b64 exec, exec, s[8:9]
	v_or_b32_e32 v2, 0x200, v0
	v_cmp_gt_u32_e64 s[30:31], s60, v2
	v_mov_b32_e32 v15, v1
	s_and_saveexec_b64 s[8:9], s[30:31]
	s_cbranch_execz .LBB1246_7
; %bb.6:
	v_lshlrev_b32_e32 v2, 2, v0
	v_mov_b32_e32 v3, s35
	v_add_co_u32_e32 v2, vcc, s34, v2
	v_addc_co_u32_e32 v3, vcc, 0, v3, vcc
	flat_load_dword v15, v[2:3] offset:2048
.LBB1246_7:
	s_or_b64 exec, exec, s[8:9]
	v_or_b32_e32 v2, 0x300, v0
	v_cmp_gt_u32_e64 s[8:9], s60, v2
	v_mov_b32_e32 v16, v1
	s_and_saveexec_b64 s[10:11], s[8:9]
	s_cbranch_execz .LBB1246_9
; %bb.8:
	v_lshlrev_b32_e32 v2, 2, v0
	v_mov_b32_e32 v3, s35
	v_add_co_u32_e32 v2, vcc, s34, v2
	v_addc_co_u32_e32 v3, vcc, 0, v3, vcc
	flat_load_dword v16, v[2:3] offset:3072
.LBB1246_9:
	s_or_b64 exec, exec, s[10:11]
	v_or_b32_e32 v2, 0x400, v0
	v_cmp_gt_u32_e64 s[10:11], s60, v2
	v_mov_b32_e32 v17, v1
	s_and_saveexec_b64 s[12:13], s[10:11]
	s_cbranch_execz .LBB1246_11
; %bb.10:
	v_lshlrev_b32_e32 v3, 2, v2
	v_mov_b32_e32 v5, s35
	v_add_co_u32_e32 v4, vcc, s34, v3
	v_addc_co_u32_e32 v5, vcc, 0, v5, vcc
	flat_load_dword v17, v[4:5]
.LBB1246_11:
	s_or_b64 exec, exec, s[12:13]
	v_or_b32_e32 v3, 0x500, v0
	v_cmp_gt_u32_e64 s[12:13], s60, v3
	v_mov_b32_e32 v18, v1
	s_and_saveexec_b64 s[14:15], s[12:13]
	s_cbranch_execz .LBB1246_13
; %bb.12:
	v_lshlrev_b32_e32 v4, 2, v3
	v_mov_b32_e32 v5, s35
	v_add_co_u32_e32 v4, vcc, s34, v4
	v_addc_co_u32_e32 v5, vcc, 0, v5, vcc
	flat_load_dword v18, v[4:5]
.LBB1246_13:
	s_or_b64 exec, exec, s[14:15]
	v_or_b32_e32 v4, 0x600, v0
	v_cmp_gt_u32_e64 s[14:15], s60, v4
	v_mov_b32_e32 v19, v1
	s_and_saveexec_b64 s[16:17], s[14:15]
	s_cbranch_execz .LBB1246_15
; %bb.14:
	v_lshlrev_b32_e32 v5, 2, v4
	v_mov_b32_e32 v7, s35
	v_add_co_u32_e32 v6, vcc, s34, v5
	v_addc_co_u32_e32 v7, vcc, 0, v7, vcc
	flat_load_dword v19, v[6:7]
.LBB1246_15:
	s_or_b64 exec, exec, s[16:17]
	v_or_b32_e32 v5, 0x700, v0
	v_cmp_gt_u32_e64 s[16:17], s60, v5
	v_mov_b32_e32 v20, v1
	s_and_saveexec_b64 s[18:19], s[16:17]
	s_cbranch_execz .LBB1246_17
; %bb.16:
	v_lshlrev_b32_e32 v6, 2, v5
	v_mov_b32_e32 v7, s35
	v_add_co_u32_e32 v6, vcc, s34, v6
	v_addc_co_u32_e32 v7, vcc, 0, v7, vcc
	flat_load_dword v20, v[6:7]
.LBB1246_17:
	s_or_b64 exec, exec, s[18:19]
	v_or_b32_e32 v6, 0x800, v0
	v_cmp_gt_u32_e64 s[18:19], s60, v6
	v_mov_b32_e32 v21, v1
	s_and_saveexec_b64 s[20:21], s[18:19]
	s_cbranch_execz .LBB1246_19
; %bb.18:
	v_lshlrev_b32_e32 v7, 2, v6
	v_mov_b32_e32 v9, s35
	v_add_co_u32_e32 v8, vcc, s34, v7
	v_addc_co_u32_e32 v9, vcc, 0, v9, vcc
	flat_load_dword v21, v[8:9]
.LBB1246_19:
	s_or_b64 exec, exec, s[20:21]
	v_or_b32_e32 v7, 0x900, v0
	v_cmp_gt_u32_e64 s[20:21], s60, v7
	v_mov_b32_e32 v22, v1
	s_and_saveexec_b64 s[22:23], s[20:21]
	s_cbranch_execz .LBB1246_21
; %bb.20:
	v_lshlrev_b32_e32 v8, 2, v7
	v_mov_b32_e32 v9, s35
	v_add_co_u32_e32 v8, vcc, s34, v8
	v_addc_co_u32_e32 v9, vcc, 0, v9, vcc
	flat_load_dword v22, v[8:9]
.LBB1246_21:
	s_or_b64 exec, exec, s[22:23]
	v_or_b32_e32 v8, 0xa00, v0
	v_cmp_gt_u32_e64 s[22:23], s60, v8
	v_mov_b32_e32 v23, v1
	s_and_saveexec_b64 s[24:25], s[22:23]
	s_cbranch_execz .LBB1246_23
; %bb.22:
	v_lshlrev_b32_e32 v9, 2, v8
	v_mov_b32_e32 v11, s35
	v_add_co_u32_e32 v10, vcc, s34, v9
	v_addc_co_u32_e32 v11, vcc, 0, v11, vcc
	flat_load_dword v23, v[10:11]
.LBB1246_23:
	s_or_b64 exec, exec, s[24:25]
	v_or_b32_e32 v9, 0xb00, v0
	v_cmp_gt_u32_e64 s[24:25], s60, v9
	v_mov_b32_e32 v24, v1
	s_and_saveexec_b64 s[26:27], s[24:25]
	s_cbranch_execz .LBB1246_25
; %bb.24:
	v_lshlrev_b32_e32 v10, 2, v9
	v_mov_b32_e32 v11, s35
	v_add_co_u32_e32 v10, vcc, s34, v10
	v_addc_co_u32_e32 v11, vcc, 0, v11, vcc
	flat_load_dword v24, v[10:11]
.LBB1246_25:
	s_or_b64 exec, exec, s[26:27]
	v_or_b32_e32 v10, 0xc00, v0
	v_cmp_gt_u32_e64 s[26:27], s60, v10
	v_mov_b32_e32 v25, v1
	s_and_saveexec_b64 s[28:29], s[26:27]
	s_cbranch_execz .LBB1246_27
; %bb.26:
	v_lshlrev_b32_e32 v11, 2, v10
	v_mov_b32_e32 v12, s35
	v_add_co_u32_e32 v26, vcc, s34, v11
	v_addc_co_u32_e32 v27, vcc, 0, v12, vcc
	flat_load_dword v25, v[26:27]
.LBB1246_27:
	s_or_b64 exec, exec, s[28:29]
	v_or_b32_e32 v11, 0xd00, v0
	v_cmp_gt_u32_e64 s[28:29], s60, v11
	s_and_saveexec_b64 s[44:45], s[28:29]
	s_cbranch_execz .LBB1246_29
; %bb.28:
	v_lshlrev_b32_e32 v1, 2, v11
	v_mov_b32_e32 v12, s35
	v_add_co_u32_e32 v26, vcc, s34, v1
	v_addc_co_u32_e32 v27, vcc, 0, v12, vcc
	flat_load_dword v1, v[26:27]
.LBB1246_29:
	s_or_b64 exec, exec, s[44:45]
	v_lshlrev_b32_e32 v12, 2, v0
	s_waitcnt vmcnt(0) lgkmcnt(0)
	ds_write2st64_b32 v12, v13, v14 offset1:4
	ds_write2st64_b32 v12, v15, v16 offset0:8 offset1:12
	ds_write2st64_b32 v12, v17, v18 offset0:16 offset1:20
	;; [unrolled: 1-line block ×6, first 2 shown]
	v_mad_u32_u24 v1, v0, 52, v12
	s_waitcnt lgkmcnt(0)
	s_barrier
	ds_read2_b64 v[34:37], v1 offset1:1
	ds_read2_b64 v[30:33], v1 offset0:2 offset1:3
	ds_read2_b64 v[26:29], v1 offset0:4 offset1:5
	ds_read_b64 v[40:41], v1 offset:48
	s_cmp_eq_u64 s[48:49], 0
	s_mov_b64 s[44:45], s[34:35]
	s_cbranch_scc1 .LBB1246_33
; %bb.30:
	s_andn2_b64 vcc, exec, s[40:41]
	s_cbranch_vccnz .LBB1246_183
; %bb.31:
	s_lshl_b64 s[44:45], s[48:49], 2
	s_add_u32 s44, s50, s44
	s_addc_u32 s45, s51, s45
	s_add_u32 s44, s44, -4
	s_addc_u32 s45, s45, -1
	s_cbranch_execnz .LBB1246_33
.LBB1246_32:
	s_add_u32 s44, s34, -4
	s_addc_u32 s45, s35, -1
.LBB1246_33:
	v_pk_mov_b32 v[14:15], s[44:45], s[44:45] op_sel:[0,1]
	flat_load_dword v44, v[14:15]
	s_movk_i32 s44, 0xffcc
	v_mad_i32_i24 v13, v0, s44, v1
	v_cmp_ne_u32_e32 vcc, 0, v0
	s_waitcnt lgkmcnt(0)
	ds_write_b32 v13, v41 offset:14336
	s_waitcnt lgkmcnt(0)
	s_barrier
	s_and_saveexec_b64 s[44:45], vcc
	s_cbranch_execz .LBB1246_35
; %bb.34:
	v_mul_i32_i24_e32 v13, 0xffffffcc, v0
	v_add_u32_e32 v13, v1, v13
	s_waitcnt vmcnt(0)
	ds_read_b32 v44, v13 offset:14332
.LBB1246_35:
	s_or_b64 exec, exec, s[44:45]
	s_waitcnt lgkmcnt(0)
	s_barrier
	s_waitcnt lgkmcnt(0)
                                        ; implicit-def: $vgpr13
	s_and_saveexec_b64 s[44:45], s[2:3]
	s_cbranch_execnz .LBB1246_170
; %bb.36:
	s_or_b64 exec, exec, s[44:45]
                                        ; implicit-def: $vgpr14
	s_and_saveexec_b64 s[2:3], s[4:5]
	s_cbranch_execnz .LBB1246_171
.LBB1246_37:
	s_or_b64 exec, exec, s[2:3]
                                        ; implicit-def: $vgpr15
	s_and_saveexec_b64 s[2:3], s[30:31]
	s_cbranch_execnz .LBB1246_172
.LBB1246_38:
	s_or_b64 exec, exec, s[2:3]
                                        ; implicit-def: $vgpr16
	s_and_saveexec_b64 s[2:3], s[8:9]
	s_cbranch_execnz .LBB1246_173
.LBB1246_39:
	s_or_b64 exec, exec, s[2:3]
                                        ; implicit-def: $vgpr17
	s_and_saveexec_b64 s[2:3], s[10:11]
	s_cbranch_execnz .LBB1246_174
.LBB1246_40:
	s_or_b64 exec, exec, s[2:3]
                                        ; implicit-def: $vgpr2
	s_and_saveexec_b64 s[2:3], s[12:13]
	s_cbranch_execnz .LBB1246_175
.LBB1246_41:
	s_or_b64 exec, exec, s[2:3]
                                        ; implicit-def: $vgpr3
	s_and_saveexec_b64 s[2:3], s[14:15]
	s_cbranch_execnz .LBB1246_176
.LBB1246_42:
	s_or_b64 exec, exec, s[2:3]
                                        ; implicit-def: $vgpr4
	s_and_saveexec_b64 s[2:3], s[16:17]
	s_cbranch_execnz .LBB1246_177
.LBB1246_43:
	s_or_b64 exec, exec, s[2:3]
                                        ; implicit-def: $vgpr5
	s_and_saveexec_b64 s[2:3], s[18:19]
	s_cbranch_execnz .LBB1246_178
.LBB1246_44:
	s_or_b64 exec, exec, s[2:3]
                                        ; implicit-def: $vgpr6
	s_and_saveexec_b64 s[2:3], s[20:21]
	s_cbranch_execnz .LBB1246_179
.LBB1246_45:
	s_or_b64 exec, exec, s[2:3]
                                        ; implicit-def: $vgpr7
	s_and_saveexec_b64 s[2:3], s[22:23]
	s_cbranch_execnz .LBB1246_180
.LBB1246_46:
	s_or_b64 exec, exec, s[2:3]
                                        ; implicit-def: $vgpr8
	s_and_saveexec_b64 s[2:3], s[24:25]
	s_cbranch_execnz .LBB1246_181
.LBB1246_47:
	s_or_b64 exec, exec, s[2:3]
                                        ; implicit-def: $vgpr9
	s_and_saveexec_b64 s[2:3], s[26:27]
	s_cbranch_execnz .LBB1246_182
.LBB1246_48:
	s_or_b64 exec, exec, s[2:3]
                                        ; implicit-def: $vgpr10
	s_and_saveexec_b64 s[2:3], s[28:29]
	s_cbranch_execz .LBB1246_50
.LBB1246_49:
	v_lshlrev_b32_e32 v10, 2, v11
	v_mov_b32_e32 v11, s55
	v_add_co_u32_e32 v10, vcc, s7, v10
	v_addc_co_u32_e32 v11, vcc, 0, v11, vcc
	flat_load_dword v10, v[10:11]
.LBB1246_50:
	s_or_b64 exec, exec, s[2:3]
	s_mov_b32 s8, 0
	s_mov_b32 s9, s8
	s_waitcnt vmcnt(0) lgkmcnt(0)
	ds_write2st64_b32 v12, v13, v14 offset1:4
	ds_write2st64_b32 v12, v15, v16 offset0:8 offset1:12
	ds_write2st64_b32 v12, v17, v2 offset0:16 offset1:20
	;; [unrolled: 1-line block ×6, first 2 shown]
	s_mov_b32 s10, s8
	s_mov_b32 s11, s8
	;; [unrolled: 1-line block ×6, first 2 shown]
	v_pk_mov_b32 v[2:3], s[8:9], s[8:9] op_sel:[0,1]
	v_pk_mov_b32 v[8:9], s[14:15], s[14:15] op_sel:[0,1]
	v_mul_u32_u24_e32 v42, 14, v0
	v_pk_mov_b32 v[4:5], s[10:11], s[10:11] op_sel:[0,1]
	v_pk_mov_b32 v[6:7], s[12:13], s[12:13] op_sel:[0,1]
	;; [unrolled: 1-line block ×4, first 2 shown]
	v_cmp_gt_u32_e32 vcc, s60, v42
	s_mov_b64 s[4:5], 0
	v_pk_mov_b32 v[38:39], 0, 0
	s_mov_b64 s[18:19], 0
	v_pk_mov_b32 v[14:15], v[6:7], v[6:7] op_sel:[0,1]
	v_pk_mov_b32 v[12:13], v[4:5], v[4:5] op_sel:[0,1]
	;; [unrolled: 1-line block ×6, first 2 shown]
	s_waitcnt lgkmcnt(0)
	s_barrier
	s_waitcnt lgkmcnt(0)
                                        ; implicit-def: $sgpr2_sgpr3
                                        ; implicit-def: $vgpr43
	s_and_saveexec_b64 s[16:17], vcc
	s_cbranch_execz .LBB1246_76
; %bb.51:
	v_or_b32_e32 v2, 1, v42
	ds_read_b32 v38, v1
	v_cmp_ne_u32_e32 vcc, v44, v34
	v_cndmask_b32_e64 v39, 0, 1, vcc
	v_cmp_gt_u32_e32 vcc, s60, v2
	v_pk_mov_b32 v[2:3], s[8:9], s[8:9] op_sel:[0,1]
	v_pk_mov_b32 v[8:9], s[14:15], s[14:15] op_sel:[0,1]
	;; [unrolled: 1-line block ×6, first 2 shown]
	s_mov_b64 s[20:21], 0
	v_pk_mov_b32 v[14:15], v[6:7], v[6:7] op_sel:[0,1]
	v_pk_mov_b32 v[12:13], v[4:5], v[4:5] op_sel:[0,1]
	;; [unrolled: 1-line block ×6, first 2 shown]
                                        ; implicit-def: $sgpr8_sgpr9
                                        ; implicit-def: $vgpr43
	s_and_saveexec_b64 s[18:19], vcc
	s_cbranch_execz .LBB1246_75
; %bb.52:
	ds_read2_b32 v[44:45], v1 offset0:1 offset1:2
	s_mov_b32 s8, 0
	s_mov_b32 s14, s8
	;; [unrolled: 1-line block ×8, first 2 shown]
	v_pk_mov_b32 v[16:17], s[14:15], s[14:15] op_sel:[0,1]
	v_add_u32_e32 v2, 2, v42
	v_cmp_ne_u32_e32 vcc, v34, v35
	v_mov_b32_e32 v6, 0
	v_pk_mov_b32 v[14:15], s[12:13], s[12:13] op_sel:[0,1]
	v_pk_mov_b32 v[12:13], s[10:11], s[10:11] op_sel:[0,1]
	;; [unrolled: 1-line block ×4, first 2 shown]
	v_cndmask_b32_e64 v3, 0, 1, vcc
	v_cmp_gt_u32_e32 vcc, s60, v2
	s_waitcnt lgkmcnt(0)
	v_mov_b32_e32 v2, v44
	v_mov_b32_e32 v4, v6
	;; [unrolled: 1-line block ×6, first 2 shown]
	s_mov_b64 s[2:3], 0
	v_pk_mov_b32 v[22:23], v[14:15], v[14:15] op_sel:[0,1]
	v_pk_mov_b32 v[20:21], v[12:13], v[12:13] op_sel:[0,1]
	;; [unrolled: 1-line block ×3, first 2 shown]
                                        ; implicit-def: $sgpr22_sgpr23
                                        ; implicit-def: $vgpr43
	s_and_saveexec_b64 s[20:21], vcc
	s_cbranch_execz .LBB1246_74
; %bb.53:
	v_pk_mov_b32 v[16:17], s[14:15], s[14:15] op_sel:[0,1]
	v_add_u32_e32 v2, 3, v42
	v_cmp_ne_u32_e32 vcc, v35, v36
	v_pk_mov_b32 v[14:15], s[12:13], s[12:13] op_sel:[0,1]
	v_pk_mov_b32 v[12:13], s[10:11], s[10:11] op_sel:[0,1]
	;; [unrolled: 1-line block ×4, first 2 shown]
	v_cndmask_b32_e64 v5, 0, 1, vcc
	v_cmp_gt_u32_e32 vcc, s60, v2
	v_mov_b32_e32 v2, v44
	v_mov_b32_e32 v4, v45
	;; [unrolled: 1-line block ×5, first 2 shown]
	v_pk_mov_b32 v[22:23], v[14:15], v[14:15] op_sel:[0,1]
	v_pk_mov_b32 v[20:21], v[12:13], v[12:13] op_sel:[0,1]
	;; [unrolled: 1-line block ×3, first 2 shown]
                                        ; implicit-def: $sgpr8_sgpr9
                                        ; implicit-def: $vgpr43
	s_and_saveexec_b64 s[22:23], vcc
	s_cbranch_execz .LBB1246_73
; %bb.54:
	ds_read2_b32 v[34:35], v1 offset0:3 offset1:4
	s_mov_b32 s8, 0
	s_mov_b32 s14, s8
	;; [unrolled: 1-line block ×8, first 2 shown]
	v_pk_mov_b32 v[16:17], s[14:15], s[14:15] op_sel:[0,1]
	v_add_u32_e32 v6, 4, v42
	v_cmp_ne_u32_e32 vcc, v36, v37
	v_pk_mov_b32 v[14:15], s[12:13], s[12:13] op_sel:[0,1]
	v_pk_mov_b32 v[12:13], s[10:11], s[10:11] op_sel:[0,1]
	v_pk_mov_b32 v[10:11], s[8:9], s[8:9] op_sel:[0,1]
	v_pk_mov_b32 v[24:25], v[16:17], v[16:17] op_sel:[0,1]
	v_cndmask_b32_e64 v7, 0, 1, vcc
	v_cmp_gt_u32_e32 vcc, s60, v6
	s_waitcnt lgkmcnt(0)
	v_mov_b32_e32 v6, v34
	v_mov_b32_e32 v8, s8
	;; [unrolled: 1-line block ×3, first 2 shown]
	v_pk_mov_b32 v[22:23], v[14:15], v[14:15] op_sel:[0,1]
	v_pk_mov_b32 v[20:21], v[12:13], v[12:13] op_sel:[0,1]
	;; [unrolled: 1-line block ×3, first 2 shown]
                                        ; implicit-def: $sgpr26_sgpr27
                                        ; implicit-def: $vgpr43
	s_and_saveexec_b64 s[24:25], vcc
	s_cbranch_execz .LBB1246_72
; %bb.55:
	v_pk_mov_b32 v[16:17], s[14:15], s[14:15] op_sel:[0,1]
	v_add_u32_e32 v8, 5, v42
	v_cmp_ne_u32_e32 vcc, v37, v30
	v_pk_mov_b32 v[14:15], s[12:13], s[12:13] op_sel:[0,1]
	v_pk_mov_b32 v[12:13], s[10:11], s[10:11] op_sel:[0,1]
	;; [unrolled: 1-line block ×4, first 2 shown]
	v_cndmask_b32_e64 v9, 0, 1, vcc
	v_cmp_gt_u32_e32 vcc, s60, v8
	v_mov_b32_e32 v8, v35
	v_pk_mov_b32 v[22:23], v[14:15], v[14:15] op_sel:[0,1]
	v_pk_mov_b32 v[20:21], v[12:13], v[12:13] op_sel:[0,1]
	;; [unrolled: 1-line block ×3, first 2 shown]
                                        ; implicit-def: $sgpr8_sgpr9
                                        ; implicit-def: $vgpr43
	s_and_saveexec_b64 s[26:27], vcc
	s_cbranch_execz .LBB1246_71
; %bb.56:
	ds_read2_b32 v[34:35], v1 offset0:5 offset1:6
	s_mov_b32 s8, 0
	s_mov_b32 s14, s8
	;; [unrolled: 1-line block ×3, first 2 shown]
	v_add_u32_e32 v10, 6, v42
	v_cmp_ne_u32_e32 vcc, v30, v31
	v_mov_b32_e32 v14, 0
	s_mov_b32 s9, s8
	s_mov_b32 s10, s8
	;; [unrolled: 1-line block ×5, first 2 shown]
	v_pk_mov_b32 v[24:25], s[14:15], s[14:15] op_sel:[0,1]
	v_cndmask_b32_e64 v11, 0, 1, vcc
	v_cmp_gt_u32_e32 vcc, s60, v10
	s_waitcnt lgkmcnt(0)
	v_mov_b32_e32 v10, v34
	v_mov_b32_e32 v12, v14
	;; [unrolled: 1-line block ×6, first 2 shown]
	v_pk_mov_b32 v[22:23], s[12:13], s[12:13] op_sel:[0,1]
	v_pk_mov_b32 v[20:21], s[10:11], s[10:11] op_sel:[0,1]
	;; [unrolled: 1-line block ×3, first 2 shown]
                                        ; implicit-def: $sgpr30_sgpr31
                                        ; implicit-def: $vgpr43
	s_and_saveexec_b64 s[28:29], vcc
	s_cbranch_execz .LBB1246_70
; %bb.57:
	v_add_u32_e32 v10, 7, v42
	v_cmp_ne_u32_e32 vcc, v31, v32
	v_pk_mov_b32 v[24:25], s[14:15], s[14:15] op_sel:[0,1]
	v_cndmask_b32_e64 v13, 0, 1, vcc
	v_cmp_gt_u32_e32 vcc, s60, v10
	v_mov_b32_e32 v10, v34
	v_mov_b32_e32 v12, v35
	;; [unrolled: 1-line block ×5, first 2 shown]
	v_pk_mov_b32 v[22:23], s[12:13], s[12:13] op_sel:[0,1]
	v_pk_mov_b32 v[20:21], s[10:11], s[10:11] op_sel:[0,1]
	;; [unrolled: 1-line block ×3, first 2 shown]
                                        ; implicit-def: $sgpr8_sgpr9
                                        ; implicit-def: $vgpr43
	s_and_saveexec_b64 s[30:31], vcc
	s_cbranch_execz .LBB1246_69
; %bb.58:
	ds_read2_b32 v[30:31], v1 offset0:7 offset1:8
	s_mov_b32 s8, 0
	s_mov_b32 s14, s8
	;; [unrolled: 1-line block ×3, first 2 shown]
	v_add_u32_e32 v14, 8, v42
	v_cmp_ne_u32_e32 vcc, v32, v33
	s_mov_b32 s9, s8
	s_mov_b32 s10, s8
	;; [unrolled: 1-line block ×5, first 2 shown]
	v_pk_mov_b32 v[24:25], s[14:15], s[14:15] op_sel:[0,1]
	v_cndmask_b32_e64 v15, 0, 1, vcc
	v_cmp_gt_u32_e32 vcc, s60, v14
	s_waitcnt lgkmcnt(0)
	v_mov_b32_e32 v14, v30
	v_mov_b32_e32 v16, s8
	;; [unrolled: 1-line block ×3, first 2 shown]
	v_pk_mov_b32 v[22:23], s[12:13], s[12:13] op_sel:[0,1]
	v_pk_mov_b32 v[20:21], s[10:11], s[10:11] op_sel:[0,1]
	;; [unrolled: 1-line block ×3, first 2 shown]
                                        ; implicit-def: $sgpr58_sgpr59
                                        ; implicit-def: $vgpr43
	s_and_saveexec_b64 s[44:45], vcc
	s_cbranch_execz .LBB1246_68
; %bb.59:
	v_add_u32_e32 v16, 9, v42
	v_cmp_ne_u32_e32 vcc, v33, v26
	v_pk_mov_b32 v[24:25], s[14:15], s[14:15] op_sel:[0,1]
	v_cndmask_b32_e64 v17, 0, 1, vcc
	v_cmp_gt_u32_e32 vcc, s60, v16
	v_mov_b32_e32 v16, v31
	v_pk_mov_b32 v[22:23], s[12:13], s[12:13] op_sel:[0,1]
	v_pk_mov_b32 v[20:21], s[10:11], s[10:11] op_sel:[0,1]
	;; [unrolled: 1-line block ×3, first 2 shown]
                                        ; implicit-def: $sgpr10_sgpr11
                                        ; implicit-def: $vgpr43
	s_and_saveexec_b64 s[8:9], vcc
	s_cbranch_execz .LBB1246_67
; %bb.60:
	ds_read2_b32 v[30:31], v1 offset0:9 offset1:10
	v_add_u32_e32 v18, 10, v42
	v_cmp_ne_u32_e32 vcc, v26, v27
	v_mov_b32_e32 v22, 0
	v_cndmask_b32_e64 v19, 0, 1, vcc
	v_cmp_gt_u32_e32 vcc, s60, v18
	s_waitcnt lgkmcnt(0)
	v_mov_b32_e32 v18, v30
	v_mov_b32_e32 v20, v22
	;; [unrolled: 1-line block ×6, first 2 shown]
                                        ; implicit-def: $sgpr12_sgpr13
                                        ; implicit-def: $vgpr43
	s_and_saveexec_b64 s[10:11], vcc
	s_cbranch_execz .LBB1246_66
; %bb.61:
	v_add_u32_e32 v18, 11, v42
	v_cmp_ne_u32_e32 vcc, v27, v28
	v_cndmask_b32_e64 v21, 0, 1, vcc
	v_cmp_gt_u32_e32 vcc, s60, v18
	s_mov_b32 s58, 0
	v_mov_b32_e32 v18, v30
	v_mov_b32_e32 v20, v31
	;; [unrolled: 1-line block ×5, first 2 shown]
                                        ; implicit-def: $sgpr14_sgpr15
                                        ; implicit-def: $vgpr43
	s_and_saveexec_b64 s[12:13], vcc
	s_cbranch_execz .LBB1246_65
; %bb.62:
	ds_read2_b32 v[26:27], v1 offset0:11 offset1:12
	v_add_u32_e32 v22, 12, v42
	v_cmp_ne_u32_e32 vcc, v28, v29
	v_cndmask_b32_e64 v23, 0, 1, vcc
	v_cmp_gt_u32_e32 vcc, s60, v22
	s_waitcnt lgkmcnt(0)
	v_mov_b32_e32 v22, v26
	v_mov_b32_e32 v24, s58
	;; [unrolled: 1-line block ×3, first 2 shown]
                                        ; implicit-def: $sgpr14_sgpr15
                                        ; implicit-def: $vgpr43
	s_and_saveexec_b64 s[58:59], vcc
	s_xor_b64 s[58:59], exec, s[58:59]
	s_cbranch_execz .LBB1246_64
; %bb.63:
	ds_read_b32 v43, v1 offset:52
	v_add_u32_e32 v1, 13, v42
	v_cmp_ne_u32_e64 s[2:3], v29, v40
	v_cmp_ne_u32_e32 vcc, v40, v41
	v_cndmask_b32_e64 v25, 0, 1, s[2:3]
	v_cmp_gt_u32_e64 s[2:3], s60, v1
	v_mov_b32_e32 v24, v27
	s_and_b64 s[14:15], vcc, exec
	s_and_b64 s[2:3], s[2:3], exec
.LBB1246_64:
	s_or_b64 exec, exec, s[58:59]
	s_and_b64 s[14:15], s[14:15], exec
	s_and_b64 s[2:3], s[2:3], exec
.LBB1246_65:
	s_or_b64 exec, exec, s[12:13]
	s_and_b64 s[12:13], s[14:15], exec
	s_and_b64 s[2:3], s[2:3], exec
.LBB1246_66:
	s_or_b64 exec, exec, s[10:11]
	s_and_b64 s[10:11], s[12:13], exec
	s_and_b64 s[2:3], s[2:3], exec
.LBB1246_67:
	s_or_b64 exec, exec, s[8:9]
	s_and_b64 s[58:59], s[10:11], exec
	s_and_b64 s[2:3], s[2:3], exec
.LBB1246_68:
	s_or_b64 exec, exec, s[44:45]
	s_and_b64 s[8:9], s[58:59], exec
	s_and_b64 s[2:3], s[2:3], exec
.LBB1246_69:
	s_or_b64 exec, exec, s[30:31]
	s_and_b64 s[30:31], s[8:9], exec
	s_and_b64 s[2:3], s[2:3], exec
.LBB1246_70:
	s_or_b64 exec, exec, s[28:29]
	s_and_b64 s[8:9], s[30:31], exec
	s_and_b64 s[2:3], s[2:3], exec
.LBB1246_71:
	s_or_b64 exec, exec, s[26:27]
	s_and_b64 s[26:27], s[8:9], exec
	s_and_b64 s[2:3], s[2:3], exec
.LBB1246_72:
	s_or_b64 exec, exec, s[24:25]
	s_and_b64 s[8:9], s[26:27], exec
	s_and_b64 s[2:3], s[2:3], exec
.LBB1246_73:
	s_or_b64 exec, exec, s[22:23]
	s_and_b64 s[22:23], s[8:9], exec
	s_and_b64 s[2:3], s[2:3], exec
.LBB1246_74:
	s_or_b64 exec, exec, s[20:21]
	s_and_b64 s[8:9], s[22:23], exec
	s_and_b64 s[20:21], s[2:3], exec
.LBB1246_75:
	s_or_b64 exec, exec, s[18:19]
	s_and_b64 s[2:3], s[8:9], exec
	s_and_b64 s[18:19], s[20:21], exec
.LBB1246_76:
	s_or_b64 exec, exec, s[16:17]
	s_and_b64 vcc, exec, s[4:5]
	v_lshlrev_b32_e32 v50, 2, v0
	s_cbranch_vccnz .LBB1246_78
	s_branch .LBB1246_86
.LBB1246_77:
                                        ; implicit-def: $sgpr2_sgpr3
                                        ; implicit-def: $vgpr2_vgpr3_vgpr4_vgpr5_vgpr6_vgpr7_vgpr8_vgpr9
                                        ; implicit-def: $vgpr10_vgpr11_vgpr12_vgpr13_vgpr14_vgpr15_vgpr16_vgpr17
                                        ; implicit-def: $vgpr18_vgpr19_vgpr20_vgpr21_vgpr22_vgpr23_vgpr24_vgpr25
                                        ; implicit-def: $vgpr43
                                        ; implicit-def: $vgpr38_vgpr39
	s_and_b64 vcc, exec, s[4:5]
	v_lshlrev_b32_e32 v50, 2, v0
	s_cbranch_vccz .LBB1246_86
.LBB1246_78:
	v_mov_b32_e32 v1, s35
	v_add_co_u32_e32 v2, vcc, s34, v50
	v_addc_co_u32_e32 v3, vcc, 0, v1, vcc
	v_add_co_u32_e32 v4, vcc, 0x1000, v2
	v_addc_co_u32_e32 v5, vcc, 0, v3, vcc
	flat_load_dword v6, v[2:3]
	flat_load_dword v7, v[2:3] offset:1024
	flat_load_dword v8, v[2:3] offset:2048
	;; [unrolled: 1-line block ×3, first 2 shown]
	flat_load_dword v10, v[4:5]
	flat_load_dword v11, v[4:5] offset:1024
	flat_load_dword v12, v[4:5] offset:2048
	;; [unrolled: 1-line block ×3, first 2 shown]
	v_add_co_u32_e32 v4, vcc, 0x2000, v2
	v_addc_co_u32_e32 v5, vcc, 0, v3, vcc
	v_add_co_u32_e32 v2, vcc, 0x3000, v2
	v_addc_co_u32_e32 v3, vcc, 0, v3, vcc
	flat_load_dword v14, v[4:5]
	flat_load_dword v15, v[4:5] offset:1024
	flat_load_dword v16, v[4:5] offset:2048
	;; [unrolled: 1-line block ×3, first 2 shown]
	flat_load_dword v18, v[2:3]
	flat_load_dword v19, v[2:3] offset:1024
	v_mad_u32_u24 v1, v0, 52, v50
	s_cmp_eq_u64 s[48:49], 0
	s_waitcnt vmcnt(0) lgkmcnt(0)
	ds_write2st64_b32 v50, v6, v7 offset1:4
	ds_write2st64_b32 v50, v8, v9 offset0:8 offset1:12
	ds_write2st64_b32 v50, v10, v11 offset0:16 offset1:20
	ds_write2st64_b32 v50, v12, v13 offset0:24 offset1:28
	ds_write2st64_b32 v50, v14, v15 offset0:32 offset1:36
	ds_write2st64_b32 v50, v16, v17 offset0:40 offset1:44
	ds_write2st64_b32 v50, v18, v19 offset0:48 offset1:52
	s_waitcnt lgkmcnt(0)
	s_barrier
	ds_read2_b64 v[2:5], v1 offset1:1
	ds_read2_b64 v[10:13], v1 offset0:2 offset1:3
	ds_read2_b64 v[18:21], v1 offset0:4 offset1:5
	ds_read_b64 v[6:7], v1 offset:48
	s_cbranch_scc1 .LBB1246_83
; %bb.79:
	s_andn2_b64 vcc, exec, s[40:41]
	s_cbranch_vccnz .LBB1246_184
; %bb.80:
	s_lshl_b64 s[2:3], s[48:49], 2
	s_add_u32 s2, s50, s2
	s_addc_u32 s3, s51, s3
	s_add_u32 s2, s2, -4
	s_addc_u32 s3, s3, -1
	s_cbranch_execnz .LBB1246_82
.LBB1246_81:
	s_add_u32 s2, s34, -4
	s_addc_u32 s3, s35, -1
.LBB1246_82:
	s_mov_b64 s[34:35], s[2:3]
.LBB1246_83:
	v_pk_mov_b32 v[8:9], s[34:35], s[34:35] op_sel:[0,1]
	flat_load_dword v8, v[8:9]
	s_movk_i32 s2, 0xffcc
	v_mad_i32_i24 v9, v0, s2, v1
	v_cmp_ne_u32_e32 vcc, 0, v0
	s_waitcnt lgkmcnt(0)
	ds_write_b32 v9, v7 offset:14336
	s_waitcnt lgkmcnt(0)
	s_barrier
	s_and_saveexec_b64 s[2:3], vcc
	s_cbranch_execz .LBB1246_85
; %bb.84:
	s_waitcnt vmcnt(0)
	v_mul_i32_i24_e32 v8, 0xffffffcc, v0
	v_add_u32_e32 v8, v1, v8
	ds_read_b32 v8, v8 offset:14332
.LBB1246_85:
	s_or_b64 exec, exec, s[2:3]
	v_mov_b32_e32 v9, s55
	v_add_co_u32_e32 v14, vcc, s7, v50
	v_addc_co_u32_e32 v15, vcc, 0, v9, vcc
	s_movk_i32 s2, 0x1000
	v_add_co_u32_e32 v16, vcc, s2, v14
	v_addc_co_u32_e32 v17, vcc, 0, v15, vcc
	s_movk_i32 s2, 0x2000
	s_waitcnt lgkmcnt(0)
	s_barrier
	flat_load_dword v22, v[14:15]
	flat_load_dword v24, v[14:15] offset:1024
	flat_load_dword v26, v[14:15] offset:2048
	;; [unrolled: 1-line block ×3, first 2 shown]
	flat_load_dword v28, v[16:17]
	flat_load_dword v29, v[16:17] offset:1024
	flat_load_dword v30, v[16:17] offset:2048
	;; [unrolled: 1-line block ×3, first 2 shown]
	v_add_co_u32_e32 v16, vcc, s2, v14
	v_addc_co_u32_e32 v17, vcc, 0, v15, vcc
	s_movk_i32 s2, 0x3000
	v_add_co_u32_e32 v14, vcc, s2, v14
	v_addc_co_u32_e32 v15, vcc, 0, v15, vcc
	flat_load_dword v32, v[16:17]
	flat_load_dword v33, v[16:17] offset:1024
	flat_load_dword v34, v[16:17] offset:2048
	;; [unrolled: 1-line block ×3, first 2 shown]
	flat_load_dword v36, v[14:15]
	flat_load_dword v37, v[14:15] offset:1024
	s_waitcnt vmcnt(0)
	v_cmp_ne_u32_e32 vcc, v8, v2
	v_cndmask_b32_e64 v39, 0, 1, vcc
	v_cmp_ne_u32_e32 vcc, v5, v10
	v_cndmask_b32_e64 v9, 0, 1, vcc
	v_cmp_ne_u32_e32 vcc, v4, v5
	v_cmp_ne_u32_e64 s[2:3], v6, v7
	v_cndmask_b32_e64 v7, 0, 1, vcc
	v_cmp_ne_u32_e32 vcc, v3, v4
	v_cndmask_b32_e64 v5, 0, 1, vcc
	v_cmp_ne_u32_e32 vcc, v2, v3
	v_cndmask_b32_e64 v3, 0, 1, vcc
	v_cmp_ne_u32_e32 vcc, v13, v18
	v_cndmask_b32_e64 v17, 0, 1, vcc
	v_cmp_ne_u32_e32 vcc, v12, v13
	v_cndmask_b32_e64 v15, 0, 1, vcc
	v_cmp_ne_u32_e32 vcc, v11, v12
	v_cndmask_b32_e64 v13, 0, 1, vcc
	v_cmp_ne_u32_e32 vcc, v10, v11
	v_cndmask_b32_e64 v11, 0, 1, vcc
	v_cmp_ne_u32_e32 vcc, v21, v6
	v_cndmask_b32_e64 v25, 0, 1, vcc
	v_cmp_ne_u32_e32 vcc, v20, v21
	v_cndmask_b32_e64 v23, 0, 1, vcc
	v_cmp_ne_u32_e32 vcc, v19, v20
	v_cndmask_b32_e64 v21, 0, 1, vcc
	v_cmp_ne_u32_e32 vcc, v18, v19
	v_cndmask_b32_e64 v19, 0, 1, vcc
	s_mov_b64 s[18:19], -1
                                        ; implicit-def: $sgpr4_sgpr5
	s_waitcnt lgkmcnt(0)
	ds_write2st64_b32 v50, v22, v24 offset1:4
	ds_write2st64_b32 v50, v26, v27 offset0:8 offset1:12
	ds_write2st64_b32 v50, v28, v29 offset0:16 offset1:20
	;; [unrolled: 1-line block ×6, first 2 shown]
	s_waitcnt lgkmcnt(0)
	s_barrier
	ds_read2_b32 v[42:43], v1 offset1:13
	ds_read2_b32 v[26:27], v1 offset0:7 offset1:8
	ds_read2_b32 v[28:29], v1 offset0:5 offset1:6
	;; [unrolled: 1-line block ×6, first 2 shown]
	s_waitcnt lgkmcnt(6)
	v_mov_b32_e32 v38, v42
	s_waitcnt lgkmcnt(4)
	v_mov_b32_e32 v10, v28
	;; [unrolled: 2-line block ×4, first 2 shown]
	v_mov_b32_e32 v4, v33
	v_mov_b32_e32 v8, v31
	;; [unrolled: 1-line block ×5, first 2 shown]
	s_waitcnt lgkmcnt(0)
	v_mov_b32_e32 v18, v36
	v_mov_b32_e32 v20, v37
	;; [unrolled: 1-line block ×4, first 2 shown]
.LBB1246_86:
	v_pk_mov_b32 v[40:41], s[4:5], s[4:5] op_sel:[0,1]
	s_and_saveexec_b64 s[4:5], s[18:19]
	s_cbranch_execz .LBB1246_88
; %bb.87:
	v_cndmask_b32_e64 v41, 0, 1, s[2:3]
	s_waitcnt lgkmcnt(0)
	v_mov_b32_e32 v40, v43
.LBB1246_88:
	s_or_b64 exec, exec, s[4:5]
	s_mov_b32 s26, 0
	s_cmp_lg_u32 s6, 0
	v_mbcnt_lo_u32_b32 v52, -1, 0
	v_lshrrev_b32_e32 v1, 6, v0
	v_or_b32_e32 v51, 63, v0
	s_waitcnt lgkmcnt(0)
	s_barrier
	s_cbranch_scc0 .LBB1246_121
; %bb.89:
	s_mov_b32 s27, 1
	v_cmp_gt_u64_e64 s[2:3], s[26:27], v[2:3]
	v_cndmask_b32_e64 v27, 0, v38, s[2:3]
	v_add_u32_e32 v27, v27, v2
	v_cmp_gt_u64_e64 s[4:5], s[26:27], v[4:5]
	v_cndmask_b32_e64 v27, 0, v27, s[4:5]
	v_add_u32_e32 v27, v27, v4
	v_cmp_gt_u64_e64 s[30:31], s[26:27], v[6:7]
	v_cndmask_b32_e64 v27, 0, v27, s[30:31]
	v_add_u32_e32 v27, v27, v6
	v_cmp_gt_u64_e64 s[8:9], s[26:27], v[8:9]
	v_cndmask_b32_e64 v27, 0, v27, s[8:9]
	v_add_u32_e32 v27, v27, v8
	v_cmp_gt_u64_e64 s[10:11], s[26:27], v[10:11]
	v_cndmask_b32_e64 v27, 0, v27, s[10:11]
	v_add_u32_e32 v27, v27, v10
	v_cmp_gt_u64_e64 s[12:13], s[26:27], v[12:13]
	v_cndmask_b32_e64 v27, 0, v27, s[12:13]
	v_add_u32_e32 v27, v27, v12
	v_cmp_gt_u64_e64 s[14:15], s[26:27], v[14:15]
	v_cndmask_b32_e64 v27, 0, v27, s[14:15]
	v_add_u32_e32 v27, v27, v14
	v_cmp_gt_u64_e64 s[16:17], s[26:27], v[16:17]
	v_cndmask_b32_e64 v27, 0, v27, s[16:17]
	v_add_u32_e32 v27, v27, v16
	v_cmp_gt_u64_e64 s[18:19], s[26:27], v[18:19]
	v_cndmask_b32_e64 v27, 0, v27, s[18:19]
	v_add_u32_e32 v27, v27, v18
	v_cmp_gt_u64_e64 s[20:21], s[26:27], v[20:21]
	v_cndmask_b32_e64 v27, 0, v27, s[20:21]
	v_add_u32_e32 v27, v27, v20
	v_cmp_gt_u64_e64 s[22:23], s[26:27], v[22:23]
	v_cndmask_b32_e64 v27, 0, v27, s[22:23]
	v_add_u32_e32 v27, v27, v22
	v_cmp_gt_u64_e64 s[24:25], s[26:27], v[24:25]
	v_cndmask_b32_e64 v27, 0, v27, s[24:25]
	v_add_u32_e32 v27, v27, v24
	v_cmp_gt_u64_e64 s[26:27], s[26:27], v[40:41]
	v_cndmask_b32_e64 v27, 0, v27, s[26:27]
	v_add_u32_e32 v28, v27, v40
	v_or3_b32 v27, v41, v25, v23
	v_or3_b32 v27, v27, v21, v19
	;; [unrolled: 1-line block ×6, first 2 shown]
	v_mov_b32_e32 v26, 0
	v_and_b32_e32 v27, 1, v27
	v_cmp_eq_u64_e32 vcc, 0, v[26:27]
	v_cndmask_b32_e32 v26, 1, v39, vcc
	v_mbcnt_hi_u32_b32 v46, -1, v52
	v_mov_b32_dpp v29, v28 row_shr:1 row_mask:0xf bank_mask:0xf
	v_mov_b32_dpp v30, v26 row_shr:1 row_mask:0xf bank_mask:0xf
	v_cmp_eq_u32_e32 vcc, 0, v26
	v_and_b32_e32 v31, 1, v26
	v_and_b32_e32 v27, 15, v46
	v_cndmask_b32_e32 v29, 0, v29, vcc
	v_and_b32_e32 v30, 1, v30
	v_cmp_eq_u32_e32 vcc, 1, v31
	v_cndmask_b32_e64 v30, v30, 1, vcc
	v_cmp_eq_u32_e32 vcc, 0, v27
	v_cndmask_b32_e32 v26, v30, v26, vcc
	v_and_b32_e32 v31, 1, v26
	v_cmp_eq_u32_e64 s[28:29], 1, v31
	v_mov_b32_dpp v30, v26 row_shr:2 row_mask:0xf bank_mask:0xf
	v_and_b32_e32 v30, 1, v30
	v_cndmask_b32_e64 v30, v30, 1, s[28:29]
	v_cmp_lt_u32_e64 s[28:29], 1, v27
	v_cndmask_b32_e64 v29, v29, 0, vcc
	v_cmp_eq_u32_e32 vcc, 0, v26
	v_cndmask_b32_e64 v26, v26, v30, s[28:29]
	v_add_u32_e32 v28, v29, v28
	v_and_b32_e32 v31, 1, v26
	v_mov_b32_dpp v30, v26 row_shr:4 row_mask:0xf bank_mask:0xf
	v_mov_b32_dpp v29, v28 row_shr:2 row_mask:0xf bank_mask:0xf
	s_and_b64 vcc, s[28:29], vcc
	v_and_b32_e32 v30, 1, v30
	v_cmp_eq_u32_e64 s[28:29], 1, v31
	v_cndmask_b32_e32 v29, 0, v29, vcc
	v_cndmask_b32_e64 v30, v30, 1, s[28:29]
	v_cmp_lt_u32_e64 s[28:29], 3, v27
	v_add_u32_e32 v28, v29, v28
	v_cmp_eq_u32_e32 vcc, 0, v26
	v_cndmask_b32_e64 v26, v26, v30, s[28:29]
	v_mov_b32_dpp v29, v28 row_shr:4 row_mask:0xf bank_mask:0xf
	s_and_b64 vcc, s[28:29], vcc
	v_mov_b32_dpp v30, v26 row_shr:8 row_mask:0xf bank_mask:0xf
	v_and_b32_e32 v31, 1, v26
	v_cndmask_b32_e32 v29, 0, v29, vcc
	v_and_b32_e32 v30, 1, v30
	v_cmp_eq_u32_e64 s[28:29], 1, v31
	v_add_u32_e32 v28, v29, v28
	v_cmp_eq_u32_e32 vcc, 0, v26
	v_cndmask_b32_e64 v30, v30, 1, s[28:29]
	v_cmp_lt_u32_e64 s[28:29], 7, v27
	v_mov_b32_dpp v29, v28 row_shr:8 row_mask:0xf bank_mask:0xf
	s_and_b64 vcc, s[28:29], vcc
	v_cndmask_b32_e32 v27, 0, v29, vcc
	v_cndmask_b32_e64 v26, v26, v30, s[28:29]
	v_add_u32_e32 v27, v27, v28
	v_cmp_eq_u32_e32 vcc, 0, v26
	v_mov_b32_dpp v29, v26 row_bcast:15 row_mask:0xf bank_mask:0xf
	v_mov_b32_dpp v28, v27 row_bcast:15 row_mask:0xf bank_mask:0xf
	v_and_b32_e32 v32, 1, v26
	v_and_b32_e32 v31, 16, v46
	v_cndmask_b32_e32 v28, 0, v28, vcc
	v_and_b32_e32 v29, 1, v29
	v_cmp_eq_u32_e32 vcc, 1, v32
	v_bfe_i32 v30, v46, 4, 1
	v_cndmask_b32_e64 v29, v29, 1, vcc
	v_cmp_eq_u32_e32 vcc, 0, v31
	v_and_b32_e32 v28, v30, v28
	v_cndmask_b32_e32 v26, v29, v26, vcc
	v_add_u32_e32 v27, v28, v27
	v_and_b32_e32 v30, 1, v26
	v_mov_b32_dpp v28, v26 row_bcast:31 row_mask:0xf bank_mask:0xf
	v_and_b32_e32 v28, 1, v28
	v_cmp_eq_u32_e64 s[28:29], 1, v30
	v_cmp_eq_u32_e32 vcc, 0, v26
	v_cndmask_b32_e64 v28, v28, 1, s[28:29]
	v_cmp_lt_u32_e64 s[28:29], 31, v46
	v_mov_b32_dpp v29, v27 row_bcast:31 row_mask:0xf bank_mask:0xf
	s_and_b64 vcc, s[28:29], vcc
	v_cndmask_b32_e64 v28, v26, v28, s[28:29]
	v_cndmask_b32_e32 v26, 0, v29, vcc
	v_add_u32_e32 v29, v26, v27
	v_cmp_eq_u32_e32 vcc, v51, v0
	s_and_saveexec_b64 s[28:29], vcc
	s_cbranch_execz .LBB1246_91
; %bb.90:
	v_lshlrev_b32_e32 v26, 3, v1
	ds_write_b32 v26, v29
	ds_write_b8 v26, v28 offset:4
.LBB1246_91:
	s_or_b64 exec, exec, s[28:29]
	v_cmp_gt_u32_e32 vcc, 4, v0
	s_waitcnt lgkmcnt(0)
	s_barrier
	s_and_saveexec_b64 s[28:29], vcc
	s_cbranch_execz .LBB1246_95
; %bb.92:
	v_lshlrev_b32_e32 v30, 3, v0
	ds_read_b64 v[26:27], v30
	v_and_b32_e32 v31, 3, v46
	v_cmp_ne_u32_e32 vcc, 0, v31
	s_waitcnt lgkmcnt(0)
	v_mov_b32_dpp v32, v26 row_shr:1 row_mask:0xf bank_mask:0xf
	v_mov_b32_dpp v34, v27 row_shr:1 row_mask:0xf bank_mask:0xf
	v_mov_b32_e32 v33, v27
	s_and_saveexec_b64 s[34:35], vcc
	s_cbranch_execz .LBB1246_94
; %bb.93:
	v_and_b32_e32 v33, 1, v27
	v_and_b32_e32 v34, 1, v34
	v_cmp_eq_u32_e32 vcc, 1, v33
	v_mov_b32_e32 v33, 0
	v_cndmask_b32_e64 v34, v34, 1, vcc
	v_cmp_eq_u16_sdwa vcc, v27, v33 src0_sel:BYTE_0 src1_sel:DWORD
	v_cndmask_b32_e32 v32, 0, v32, vcc
	v_add_u32_e32 v26, v32, v26
	v_and_b32_e32 v32, 0xffff, v34
	s_movk_i32 s7, 0xff00
	v_and_or_b32 v33, v27, s7, v32
	v_mov_b32_e32 v27, v34
.LBB1246_94:
	s_or_b64 exec, exec, s[34:35]
	v_mov_b32_dpp v33, v33 row_shr:2 row_mask:0xf bank_mask:0xf
	v_and_b32_e32 v34, 1, v27
	v_and_b32_e32 v33, 1, v33
	v_cmp_eq_u32_e32 vcc, 1, v34
	v_mov_b32_e32 v34, 0
	v_cndmask_b32_e64 v33, v33, 1, vcc
	v_cmp_eq_u16_sdwa s[34:35], v27, v34 src0_sel:BYTE_0 src1_sel:DWORD
	v_cmp_lt_u32_e32 vcc, 1, v31
	v_mov_b32_dpp v32, v26 row_shr:2 row_mask:0xf bank_mask:0xf
	v_cndmask_b32_e32 v27, v27, v33, vcc
	s_and_b64 vcc, vcc, s[34:35]
	v_cndmask_b32_e32 v31, 0, v32, vcc
	v_add_u32_e32 v26, v31, v26
	ds_write_b32 v30, v26
	ds_write_b8 v30, v27 offset:4
.LBB1246_95:
	s_or_b64 exec, exec, s[28:29]
	v_cmp_gt_u32_e32 vcc, 64, v0
	v_cmp_lt_u32_e64 s[28:29], 63, v0
	v_mov_b32_e32 v42, 0
	v_mov_b32_e32 v43, 0
	s_waitcnt lgkmcnt(0)
	s_barrier
	s_and_saveexec_b64 s[34:35], s[28:29]
	s_cbranch_execz .LBB1246_97
; %bb.96:
	v_lshl_add_u32 v26, v1, 3, -8
	ds_read_b32 v42, v26
	ds_read_u8 v43, v26 offset:4
	v_and_b32_e32 v27, 1, v28
	v_cmp_eq_u32_e64 s[28:29], 0, v28
	s_waitcnt lgkmcnt(1)
	v_cndmask_b32_e64 v26, 0, v42, s[28:29]
	v_cmp_eq_u32_e64 s[28:29], 1, v27
	v_add_u32_e32 v29, v26, v29
	s_waitcnt lgkmcnt(0)
	v_cndmask_b32_e64 v28, v43, 1, s[28:29]
.LBB1246_97:
	s_or_b64 exec, exec, s[34:35]
	v_add_u32_e32 v26, -1, v46
	v_and_b32_e32 v27, 64, v46
	v_cmp_lt_i32_e64 s[28:29], v26, v27
	v_cndmask_b32_e64 v26, v26, v46, s[28:29]
	v_lshlrev_b32_e32 v26, 2, v26
	ds_bpermute_b32 v44, v26, v29
	ds_bpermute_b32 v45, v26, v28
	v_cmp_eq_u32_e64 s[28:29], 0, v46
	s_and_saveexec_b64 s[40:41], vcc
	s_cbranch_execz .LBB1246_120
; %bb.98:
	v_mov_b32_e32 v29, 0
	ds_read_b64 v[26:27], v29 offset:24
	s_waitcnt lgkmcnt(0)
	v_readfirstlane_b32 s7, v27
	s_and_saveexec_b64 s[34:35], s[28:29]
	s_cbranch_execz .LBB1246_100
; %bb.99:
	s_add_i32 s44, s6, 64
	s_mov_b32 s45, 0
	s_lshl_b64 s[48:49], s[44:45], 4
	s_add_u32 s48, s52, s48
	s_addc_u32 s49, s53, s49
	s_and_b32 s51, s7, 0xff000000
	s_mov_b32 s50, s45
	s_and_b32 s59, s7, 0xff0000
	s_mov_b32 s58, s45
	s_or_b64 s[50:51], s[58:59], s[50:51]
	s_and_b32 s59, s7, 0xff00
	s_or_b64 s[50:51], s[50:51], s[58:59]
	s_and_b32 s59, s7, 0xff
	s_or_b64 s[44:45], s[50:51], s[58:59]
	v_mov_b32_e32 v27, s45
	v_mov_b32_e32 v28, 1
	v_pk_mov_b32 v[30:31], s[48:49], s[48:49] op_sel:[0,1]
	;;#ASMSTART
	global_store_dwordx4 v[30:31], v[26:29] off	
s_waitcnt vmcnt(0)
	;;#ASMEND
.LBB1246_100:
	s_or_b64 exec, exec, s[34:35]
	v_xad_u32 v34, v46, -1, s6
	v_add_u32_e32 v28, 64, v34
	v_lshlrev_b64 v[30:31], 4, v[28:29]
	v_mov_b32_e32 v27, s53
	v_add_co_u32_e32 v36, vcc, s52, v30
	v_addc_co_u32_e32 v37, vcc, v27, v31, vcc
	;;#ASMSTART
	global_load_dwordx4 v[30:33], v[36:37] off glc	
s_waitcnt vmcnt(0)
	;;#ASMEND
	v_and_b32_e32 v27, 0xff0000, v30
	v_or_b32_sdwa v27, v30, v27 dst_sel:DWORD dst_unused:UNUSED_PAD src0_sel:WORD_0 src1_sel:DWORD
	v_and_b32_e32 v28, 0xff000000, v30
	v_and_b32_e32 v30, 0xff, v31
	v_or3_b32 v31, 0, 0, v30
	v_or3_b32 v30, v27, v28, 0
	v_cmp_eq_u16_sdwa s[44:45], v32, v29 src0_sel:BYTE_0 src1_sel:DWORD
	s_and_saveexec_b64 s[34:35], s[44:45]
	s_cbranch_execz .LBB1246_106
; %bb.101:
	s_mov_b32 s48, 1
	s_mov_b64 s[44:45], 0
	v_mov_b32_e32 v27, 0
.LBB1246_102:                           ; =>This Loop Header: Depth=1
                                        ;     Child Loop BB1246_103 Depth 2
	s_max_u32 s49, s48, 1
.LBB1246_103:                           ;   Parent Loop BB1246_102 Depth=1
                                        ; =>  This Inner Loop Header: Depth=2
	s_add_i32 s49, s49, -1
	s_cmp_eq_u32 s49, 0
	s_sleep 1
	s_cbranch_scc0 .LBB1246_103
; %bb.104:                              ;   in Loop: Header=BB1246_102 Depth=1
	s_cmp_lt_u32 s48, 32
	s_cselect_b64 s[50:51], -1, 0
	s_cmp_lg_u64 s[50:51], 0
	s_addc_u32 s48, s48, 0
	;;#ASMSTART
	global_load_dwordx4 v[30:33], v[36:37] off glc	
s_waitcnt vmcnt(0)
	;;#ASMEND
	v_cmp_ne_u16_sdwa s[50:51], v32, v27 src0_sel:BYTE_0 src1_sel:DWORD
	s_or_b64 s[44:45], s[50:51], s[44:45]
	s_andn2_b64 exec, exec, s[44:45]
	s_cbranch_execnz .LBB1246_102
; %bb.105:
	s_or_b64 exec, exec, s[44:45]
	v_and_b32_e32 v31, 0xff, v31
.LBB1246_106:
	s_or_b64 exec, exec, s[34:35]
	v_mov_b32_e32 v27, 2
	v_cmp_eq_u16_sdwa s[34:35], v32, v27 src0_sel:BYTE_0 src1_sel:DWORD
	v_lshlrev_b64 v[28:29], v46, -1
	v_and_b32_e32 v33, s35, v29
	v_or_b32_e32 v33, 0x80000000, v33
	v_and_b32_e32 v35, s34, v28
	v_ffbl_b32_e32 v33, v33
	v_and_b32_e32 v47, 63, v46
	v_add_u32_e32 v33, 32, v33
	v_ffbl_b32_e32 v35, v35
	v_cmp_ne_u32_e32 vcc, 63, v47
	v_min_u32_e32 v33, v35, v33
	v_addc_co_u32_e32 v35, vcc, 0, v46, vcc
	v_lshlrev_b32_e32 v48, 2, v35
	ds_bpermute_b32 v35, v48, v31
	ds_bpermute_b32 v36, v48, v30
	s_mov_b32 s44, 0
	v_and_b32_e32 v37, 1, v31
	s_mov_b32 s45, 1
	s_waitcnt lgkmcnt(1)
	v_and_b32_e32 v35, 1, v35
	v_cmp_eq_u32_e32 vcc, 1, v37
	v_cndmask_b32_e64 v35, v35, 1, vcc
	v_cmp_gt_u64_e32 vcc, s[44:45], v[30:31]
	v_cmp_lt_u32_e64 s[34:35], v47, v33
	s_and_b64 vcc, s[34:35], vcc
	v_and_b32_e32 v37, 0xffff, v35
	v_cndmask_b32_e64 v54, v31, v35, s[34:35]
	s_waitcnt lgkmcnt(0)
	v_cndmask_b32_e32 v35, 0, v36, vcc
	v_cmp_gt_u32_e32 vcc, 62, v47
	v_cndmask_b32_e64 v36, 0, 1, vcc
	v_lshlrev_b32_e32 v36, 1, v36
	v_cndmask_b32_e64 v31, v31, v37, s[34:35]
	v_add_lshl_u32 v49, v36, v46, 2
	ds_bpermute_b32 v36, v49, v31
	v_add_u32_e32 v30, v35, v30
	ds_bpermute_b32 v37, v49, v30
	v_and_b32_e32 v35, 1, v54
	v_cmp_eq_u32_e32 vcc, 1, v35
	s_waitcnt lgkmcnt(1)
	v_and_b32_e32 v36, 1, v36
	v_mov_b32_e32 v35, 0
	v_add_u32_e32 v53, 2, v47
	v_cndmask_b32_e64 v36, v36, 1, vcc
	v_cmp_eq_u16_sdwa vcc, v54, v35 src0_sel:BYTE_0 src1_sel:DWORD
	v_and_b32_e32 v55, 0xffff, v36
	s_waitcnt lgkmcnt(0)
	v_cndmask_b32_e32 v37, 0, v37, vcc
	v_cmp_gt_u32_e32 vcc, v53, v33
	v_cndmask_b32_e32 v36, v36, v54, vcc
	v_cndmask_b32_e64 v37, v37, 0, vcc
	v_cndmask_b32_e32 v31, v55, v31, vcc
	v_cmp_gt_u32_e32 vcc, 60, v47
	v_cndmask_b32_e64 v54, 0, 1, vcc
	v_lshlrev_b32_e32 v54, 2, v54
	v_add_lshl_u32 v54, v54, v46, 2
	ds_bpermute_b32 v56, v54, v31
	v_add_u32_e32 v30, v37, v30
	ds_bpermute_b32 v37, v54, v30
	v_and_b32_e32 v57, 1, v36
	v_cmp_eq_u32_e32 vcc, 1, v57
	s_waitcnt lgkmcnt(1)
	v_and_b32_e32 v56, 1, v56
	v_add_u32_e32 v55, 4, v47
	v_cndmask_b32_e64 v56, v56, 1, vcc
	v_cmp_eq_u16_sdwa vcc, v36, v35 src0_sel:BYTE_0 src1_sel:DWORD
	v_and_b32_e32 v57, 0xffff, v56
	s_waitcnt lgkmcnt(0)
	v_cndmask_b32_e32 v37, 0, v37, vcc
	v_cmp_gt_u32_e32 vcc, v55, v33
	v_cndmask_b32_e32 v36, v56, v36, vcc
	v_cndmask_b32_e64 v37, v37, 0, vcc
	v_cndmask_b32_e32 v31, v57, v31, vcc
	v_cmp_gt_u32_e32 vcc, 56, v47
	v_cndmask_b32_e64 v56, 0, 1, vcc
	v_lshlrev_b32_e32 v56, 3, v56
	v_add_lshl_u32 v56, v56, v46, 2
	ds_bpermute_b32 v58, v56, v31
	v_add_u32_e32 v30, v37, v30
	ds_bpermute_b32 v37, v56, v30
	v_and_b32_e32 v59, 1, v36
	v_cmp_eq_u32_e32 vcc, 1, v59
	s_waitcnt lgkmcnt(1)
	v_and_b32_e32 v58, 1, v58
	;; [unrolled: 21-line block ×4, first 2 shown]
	v_add_u32_e32 v62, 32, v47
	v_cndmask_b32_e64 v31, v31, 1, vcc
	v_cmp_eq_u16_sdwa vcc, v36, v35 src0_sel:BYTE_0 src1_sel:DWORD
	s_waitcnt lgkmcnt(0)
	v_cndmask_b32_e32 v37, 0, v37, vcc
	v_cmp_gt_u32_e32 vcc, v62, v33
	v_cndmask_b32_e64 v33, v37, 0, vcc
	v_cndmask_b32_e32 v31, v31, v36, vcc
	v_add_u32_e32 v30, v33, v30
	s_branch .LBB1246_108
.LBB1246_107:                           ;   in Loop: Header=BB1246_108 Depth=1
	s_or_b64 exec, exec, s[34:35]
	v_cmp_eq_u16_sdwa s[34:35], v32, v27 src0_sel:BYTE_0 src1_sel:DWORD
	v_and_b32_e32 v33, s35, v29
	ds_bpermute_b32 v37, v48, v31
	v_or_b32_e32 v33, 0x80000000, v33
	v_and_b32_e32 v36, s34, v28
	v_ffbl_b32_e32 v33, v33
	v_add_u32_e32 v33, 32, v33
	v_ffbl_b32_e32 v36, v36
	v_min_u32_e32 v33, v36, v33
	ds_bpermute_b32 v36, v48, v30
	v_and_b32_e32 v63, 1, v31
	s_waitcnt lgkmcnt(1)
	v_and_b32_e32 v37, 1, v37
	v_cmp_eq_u32_e32 vcc, 1, v63
	v_cndmask_b32_e64 v37, v37, 1, vcc
	v_cmp_gt_u64_e32 vcc, s[44:45], v[30:31]
	v_and_b32_e32 v63, 0xffff, v37
	v_cmp_lt_u32_e64 s[34:35], v47, v33
	v_cndmask_b32_e64 v37, v31, v37, s[34:35]
	v_cndmask_b32_e64 v31, v31, v63, s[34:35]
	s_and_b64 vcc, s[34:35], vcc
	ds_bpermute_b32 v63, v49, v31
	s_waitcnt lgkmcnt(1)
	v_cndmask_b32_e32 v36, 0, v36, vcc
	v_add_u32_e32 v30, v36, v30
	ds_bpermute_b32 v36, v49, v30
	v_and_b32_e32 v64, 1, v37
	s_waitcnt lgkmcnt(1)
	v_and_b32_e32 v63, 1, v63
	v_cmp_eq_u32_e32 vcc, 1, v64
	v_cndmask_b32_e64 v63, v63, 1, vcc
	v_cmp_eq_u16_sdwa vcc, v37, v35 src0_sel:BYTE_0 src1_sel:DWORD
	v_and_b32_e32 v64, 0xffff, v63
	s_waitcnt lgkmcnt(0)
	v_cndmask_b32_e32 v36, 0, v36, vcc
	v_cmp_gt_u32_e32 vcc, v53, v33
	v_cndmask_b32_e32 v31, v64, v31, vcc
	v_cndmask_b32_e32 v37, v63, v37, vcc
	ds_bpermute_b32 v63, v54, v31
	v_cndmask_b32_e64 v36, v36, 0, vcc
	v_add_u32_e32 v30, v36, v30
	ds_bpermute_b32 v36, v54, v30
	v_and_b32_e32 v64, 1, v37
	s_waitcnt lgkmcnt(1)
	v_and_b32_e32 v63, 1, v63
	v_cmp_eq_u32_e32 vcc, 1, v64
	v_cndmask_b32_e64 v63, v63, 1, vcc
	v_cmp_eq_u16_sdwa vcc, v37, v35 src0_sel:BYTE_0 src1_sel:DWORD
	v_and_b32_e32 v64, 0xffff, v63
	s_waitcnt lgkmcnt(0)
	v_cndmask_b32_e32 v36, 0, v36, vcc
	v_cmp_gt_u32_e32 vcc, v55, v33
	v_cndmask_b32_e32 v31, v64, v31, vcc
	v_cndmask_b32_e32 v37, v63, v37, vcc
	ds_bpermute_b32 v63, v56, v31
	v_cndmask_b32_e64 v36, v36, 0, vcc
	;; [unrolled: 16-line block ×3, first 2 shown]
	v_add_u32_e32 v30, v36, v30
	ds_bpermute_b32 v36, v58, v30
	v_and_b32_e32 v64, 1, v37
	s_waitcnt lgkmcnt(1)
	v_and_b32_e32 v63, 1, v63
	v_cmp_eq_u32_e32 vcc, 1, v64
	v_cndmask_b32_e64 v63, v63, 1, vcc
	v_cmp_eq_u16_sdwa vcc, v37, v35 src0_sel:BYTE_0 src1_sel:DWORD
	v_and_b32_e32 v64, 0xffff, v63
	s_waitcnt lgkmcnt(0)
	v_cndmask_b32_e32 v36, 0, v36, vcc
	v_cmp_gt_u32_e32 vcc, v59, v33
	v_cndmask_b32_e64 v36, v36, 0, vcc
	v_cndmask_b32_e32 v31, v64, v31, vcc
	ds_bpermute_b32 v31, v61, v31
	v_add_u32_e32 v30, v36, v30
	ds_bpermute_b32 v36, v61, v30
	v_cndmask_b32_e32 v37, v63, v37, vcc
	v_and_b32_e32 v63, 1, v37
	v_cmp_eq_u32_e32 vcc, 1, v63
	s_waitcnt lgkmcnt(1)
	v_cndmask_b32_e64 v31, v31, 1, vcc
	v_cmp_eq_u16_sdwa vcc, v37, v35 src0_sel:BYTE_0 src1_sel:DWORD
	s_waitcnt lgkmcnt(0)
	v_cndmask_b32_e32 v36, 0, v36, vcc
	v_cmp_gt_u32_e32 vcc, v62, v33
	v_cndmask_b32_e64 v33, v36, 0, vcc
	v_cndmask_b32_e32 v31, v31, v37, vcc
	v_add_u32_e32 v30, v33, v30
	v_cmp_eq_u16_sdwa vcc, v46, v35 src0_sel:BYTE_0 src1_sel:DWORD
	v_and_b32_e32 v33, 1, v46
	v_cndmask_b32_e32 v30, 0, v30, vcc
	v_and_b32_e32 v31, 1, v31
	v_cmp_eq_u32_e32 vcc, 1, v33
	v_subrev_u32_e32 v34, 64, v34
	v_add_u32_e32 v30, v30, v60
	v_cndmask_b32_e64 v31, v31, 1, vcc
.LBB1246_108:                           ; =>This Loop Header: Depth=1
                                        ;     Child Loop BB1246_111 Depth 2
                                        ;       Child Loop BB1246_112 Depth 3
	v_cmp_ne_u16_sdwa s[34:35], v32, v27 src0_sel:BYTE_0 src1_sel:DWORD
	v_mov_b32_e32 v46, v31
	v_cndmask_b32_e64 v31, 0, 1, s[34:35]
	;;#ASMSTART
	;;#ASMEND
	v_cmp_ne_u32_e32 vcc, 0, v31
	s_cmp_lg_u64 vcc, exec
	v_mov_b32_e32 v60, v30
	s_cbranch_scc1 .LBB1246_115
; %bb.109:                              ;   in Loop: Header=BB1246_108 Depth=1
	v_lshlrev_b64 v[30:31], 4, v[34:35]
	v_mov_b32_e32 v32, s53
	v_add_co_u32_e32 v36, vcc, s52, v30
	v_addc_co_u32_e32 v37, vcc, v32, v31, vcc
	;;#ASMSTART
	global_load_dwordx4 v[30:33], v[36:37] off glc	
s_waitcnt vmcnt(0)
	;;#ASMEND
	v_and_b32_e32 v33, 0xff0000, v30
	v_or_b32_sdwa v33, v30, v33 dst_sel:DWORD dst_unused:UNUSED_PAD src0_sel:WORD_0 src1_sel:DWORD
	v_and_b32_e32 v30, 0xff000000, v30
	v_and_b32_e32 v31, 0xff, v31
	v_or3_b32 v31, 0, 0, v31
	v_or3_b32 v30, v33, v30, 0
	v_cmp_eq_u16_sdwa s[48:49], v32, v35 src0_sel:BYTE_0 src1_sel:DWORD
	s_and_saveexec_b64 s[34:35], s[48:49]
	s_cbranch_execz .LBB1246_107
; %bb.110:                              ;   in Loop: Header=BB1246_108 Depth=1
	s_mov_b32 s50, 1
	s_mov_b64 s[48:49], 0
.LBB1246_111:                           ;   Parent Loop BB1246_108 Depth=1
                                        ; =>  This Loop Header: Depth=2
                                        ;       Child Loop BB1246_112 Depth 3
	s_max_u32 s51, s50, 1
.LBB1246_112:                           ;   Parent Loop BB1246_108 Depth=1
                                        ;     Parent Loop BB1246_111 Depth=2
                                        ; =>    This Inner Loop Header: Depth=3
	s_add_i32 s51, s51, -1
	s_cmp_eq_u32 s51, 0
	s_sleep 1
	s_cbranch_scc0 .LBB1246_112
; %bb.113:                              ;   in Loop: Header=BB1246_111 Depth=2
	s_cmp_lt_u32 s50, 32
	s_cselect_b64 s[58:59], -1, 0
	s_cmp_lg_u64 s[58:59], 0
	s_addc_u32 s50, s50, 0
	;;#ASMSTART
	global_load_dwordx4 v[30:33], v[36:37] off glc	
s_waitcnt vmcnt(0)
	;;#ASMEND
	v_cmp_ne_u16_sdwa s[58:59], v32, v35 src0_sel:BYTE_0 src1_sel:DWORD
	s_or_b64 s[48:49], s[58:59], s[48:49]
	s_andn2_b64 exec, exec, s[48:49]
	s_cbranch_execnz .LBB1246_111
; %bb.114:                              ;   in Loop: Header=BB1246_108 Depth=1
	s_or_b64 exec, exec, s[48:49]
	v_and_b32_e32 v31, 0xff, v31
	s_branch .LBB1246_107
.LBB1246_115:                           ;   in Loop: Header=BB1246_108 Depth=1
                                        ; implicit-def: $vgpr31
                                        ; implicit-def: $vgpr30
                                        ; implicit-def: $vgpr32
	s_cbranch_execz .LBB1246_108
; %bb.116:
	s_and_saveexec_b64 s[34:35], s[28:29]
	s_cbranch_execz .LBB1246_118
; %bb.117:
	s_and_b32 s44, s7, 0xff
	s_cmp_eq_u32 s44, 0
	s_cselect_b64 vcc, -1, 0
	s_bitcmp1_b32 s7, 0
	s_mov_b32 s45, 0
	s_cselect_b64 s[48:49], -1, 0
	s_add_i32 s44, s6, 64
	s_lshl_b64 s[6:7], s[44:45], 4
	v_cndmask_b32_e32 v27, 0, v60, vcc
	s_add_u32 s6, s52, s6
	v_add_u32_e32 v26, v27, v26
	v_and_b32_e32 v27, 1, v46
	s_addc_u32 s7, s53, s7
	v_mov_b32_e32 v29, 0
	v_cndmask_b32_e64 v27, v27, 1, s[48:49]
	v_mov_b32_e32 v28, 2
	v_pk_mov_b32 v[30:31], s[6:7], s[6:7] op_sel:[0,1]
	;;#ASMSTART
	global_store_dwordx4 v[30:31], v[26:29] off	
s_waitcnt vmcnt(0)
	;;#ASMEND
.LBB1246_118:
	s_or_b64 exec, exec, s[34:35]
	v_cmp_eq_u32_e32 vcc, 0, v0
	s_and_b64 exec, exec, vcc
	s_cbranch_execz .LBB1246_120
; %bb.119:
	v_mov_b32_e32 v26, 0
	ds_write_b32 v26, v60 offset:24
	ds_write_b8 v26, v46 offset:28
.LBB1246_120:
	s_or_b64 exec, exec, s[40:41]
	s_mov_b32 s6, 0
	v_mov_b32_e32 v28, 0
	s_mov_b32 s7, 1
	s_waitcnt lgkmcnt(0)
	v_cndmask_b32_e64 v26, v45, v43, s[28:29]
	v_cndmask_b32_e64 v27, v44, v42, s[28:29]
	s_barrier
	ds_read_b32 v29, v28 offset:24
	v_cmp_gt_u64_e32 vcc, s[6:7], v[38:39]
	v_and_b32_e32 v30, 1, v39
	v_cndmask_b32_e32 v27, 0, v27, vcc
	v_and_b32_e32 v26, 1, v26
	v_cmp_eq_u32_e32 vcc, 1, v30
	v_cndmask_b32_e64 v26, v26, 1, vcc
	v_cmp_eq_u32_e32 vcc, 0, v0
	v_cndmask_b32_e32 v26, v26, v39, vcc
	v_cndmask_b32_e64 v27, v27, 0, vcc
	v_cmp_eq_u16_sdwa vcc, v26, v28 src0_sel:BYTE_0 src1_sel:DWORD
	s_waitcnt lgkmcnt(0)
	v_cndmask_b32_e32 v26, 0, v29, vcc
	v_add3_u32 v26, v27, v38, v26
	v_cndmask_b32_e64 v27, 0, v26, s[2:3]
	v_add_u32_e32 v27, v27, v2
	v_cndmask_b32_e64 v28, 0, v27, s[4:5]
	v_add_u32_e32 v42, v28, v4
	;; [unrolled: 2-line block ×13, first 2 shown]
	s_branch .LBB1246_137
.LBB1246_121:
                                        ; implicit-def: $vgpr49
                                        ; implicit-def: $vgpr47
                                        ; implicit-def: $vgpr45
                                        ; implicit-def: $vgpr43
                                        ; implicit-def: $vgpr34_vgpr35_vgpr36_vgpr37
                                        ; implicit-def: $vgpr30_vgpr31_vgpr32_vgpr33
                                        ; implicit-def: $vgpr26_vgpr27_vgpr28_vgpr29
	s_cbranch_execz .LBB1246_137
; %bb.122:
	s_cmp_lg_u64 s[56:57], 0
	s_cselect_b32 s5, s47, 0
	s_cselect_b32 s4, s46, 0
	s_cmp_lg_u64 s[4:5], 0
	s_cselect_b64 s[6:7], -1, 0
	v_cmp_eq_u32_e32 vcc, 0, v0
	s_mov_b32 s28, 0
	v_cmp_ne_u32_e64 s[2:3], 0, v0
	s_and_b64 s[8:9], vcc, s[6:7]
	s_and_saveexec_b64 s[6:7], s[8:9]
	s_cbranch_execz .LBB1246_124
; %bb.123:
	v_mov_b32_e32 v26, 0
	global_load_dword v28, v26, s[4:5]
	global_load_ubyte v29, v26, s[4:5] offset:4
	s_mov_b32 s29, 1
	v_and_b32_e32 v27, 1, v39
	v_cmp_gt_u64_e64 s[4:5], s[28:29], v[38:39]
	s_waitcnt vmcnt(1)
	v_cndmask_b32_e64 v28, 0, v28, s[4:5]
	s_waitcnt vmcnt(0)
	v_and_b32_e32 v29, 1, v29
	v_cmp_eq_u64_e64 s[4:5], 0, v[26:27]
	v_add_u32_e32 v38, v28, v38
	v_cndmask_b32_e64 v39, 1, v29, s[4:5]
.LBB1246_124:
	s_or_b64 exec, exec, s[6:7]
	s_mov_b32 s29, 1
	v_cmp_gt_u64_e64 s[4:5], s[28:29], v[2:3]
	v_cndmask_b32_e64 v26, 0, v38, s[4:5]
	v_add_u32_e32 v27, v26, v2
	v_cmp_gt_u64_e64 s[6:7], s[28:29], v[4:5]
	v_cndmask_b32_e64 v26, 0, v27, s[6:7]
	v_add_u32_e32 v42, v26, v4
	;; [unrolled: 3-line block ×7, first 2 shown]
	v_cmp_gt_u64_e64 s[18:19], s[28:29], v[16:17]
	v_mov_b32_e32 v28, 0
	v_cndmask_b32_e64 v26, 0, v45, s[18:19]
	v_or3_b32 v7, v23, v15, v7
	v_add_u32_e32 v34, v26, v16
	v_cmp_gt_u64_e64 s[20:21], s[28:29], v[18:19]
	v_or3_b32 v9, v25, v17, v9
	v_and_b32_e32 v55, 1, v7
	v_mov_b32_e32 v54, v28
	v_cndmask_b32_e64 v26, 0, v34, s[20:21]
	v_or3_b32 v3, v19, v11, v3
	v_and_b32_e32 v37, 1, v9
	v_mov_b32_e32 v36, v28
	v_cmp_ne_u64_e64 s[34:35], 0, v[54:55]
	v_add_u32_e32 v35, v26, v18
	v_cmp_gt_u64_e64 s[22:23], s[28:29], v[20:21]
	v_or3_b32 v5, v21, v13, v5
	v_and_b32_e32 v29, 1, v3
	v_cndmask_b32_e64 v3, 0, 1, s[34:35]
	v_cmp_ne_u64_e64 s[34:35], 0, v[36:37]
	v_cndmask_b32_e64 v26, 0, v35, s[22:23]
	v_and_b32_e32 v33, 1, v5
	v_mov_b32_e32 v32, v28
	v_cndmask_b32_e64 v5, 0, 1, s[34:35]
	v_add_u32_e32 v46, v26, v20
	v_cmp_gt_u64_e64 s[24:25], s[28:29], v[22:23]
	v_lshlrev_b16_e32 v3, 2, v3
	v_lshlrev_b16_e32 v5, 3, v5
	v_cmp_ne_u64_e64 s[34:35], 0, v[32:33]
	v_cndmask_b32_e64 v26, 0, v46, s[24:25]
	v_or_b32_e32 v3, v5, v3
	v_cndmask_b32_e64 v5, 0, 1, s[34:35]
	v_cmp_ne_u64_e64 s[34:35], 0, v[28:29]
	v_add_u32_e32 v47, v26, v22
	v_cmp_gt_u64_e64 s[26:27], s[28:29], v[24:25]
	v_lshlrev_b16_e32 v5, 1, v5
	v_cndmask_b32_e64 v7, 0, 1, s[34:35]
	v_cndmask_b32_e64 v26, 0, v47, s[26:27]
	v_or_b32_e32 v5, v7, v5
	v_add_u32_e32 v48, v26, v24
	v_cmp_gt_u64_e64 s[28:29], s[28:29], v[40:41]
	v_and_b32_e32 v5, 3, v5
	v_cndmask_b32_e64 v26, 0, v48, s[28:29]
	v_or_b32_e32 v3, v5, v3
	v_add_u32_e32 v49, v26, v40
	v_and_b32_e32 v26, 1, v41
	v_and_b32_e32 v3, 15, v3
	v_cmp_eq_u32_e64 s[30:31], 1, v26
	v_cmp_ne_u16_e64 s[34:35], 0, v3
	s_or_b64 s[30:31], s[30:31], s[34:35]
	v_cndmask_b32_e64 v5, v39, 1, s[30:31]
	v_mbcnt_hi_u32_b32 v3, -1, v52
	v_mov_b32_dpp v9, v49 row_shr:1 row_mask:0xf bank_mask:0xf
	v_mov_b32_dpp v11, v5 row_shr:1 row_mask:0xf bank_mask:0xf
	v_cmp_eq_u32_e64 s[30:31], 0, v5
	v_and_b32_e32 v13, 1, v5
	v_and_b32_e32 v7, 15, v3
	v_cndmask_b32_e64 v9, 0, v9, s[30:31]
	v_and_b32_e32 v11, 1, v11
	v_cmp_eq_u32_e64 s[30:31], 1, v13
	v_cndmask_b32_e64 v11, v11, 1, s[30:31]
	v_cmp_eq_u32_e64 s[30:31], 0, v7
	v_cndmask_b32_e64 v5, v11, v5, s[30:31]
	v_and_b32_e32 v15, 1, v5
	v_cmp_eq_u32_e64 s[34:35], 1, v15
	v_mov_b32_dpp v13, v5 row_shr:2 row_mask:0xf bank_mask:0xf
	v_and_b32_e32 v13, 1, v13
	v_cndmask_b32_e64 v13, v13, 1, s[34:35]
	v_cmp_lt_u32_e64 s[34:35], 1, v7
	v_cndmask_b32_e64 v9, v9, 0, s[30:31]
	v_cmp_eq_u32_e64 s[30:31], 0, v5
	v_cndmask_b32_e64 v5, v5, v13, s[34:35]
	v_add_u32_e32 v9, v49, v9
	v_and_b32_e32 v15, 1, v5
	v_mov_b32_dpp v13, v5 row_shr:4 row_mask:0xf bank_mask:0xf
	v_mov_b32_dpp v11, v9 row_shr:2 row_mask:0xf bank_mask:0xf
	s_and_b64 s[30:31], s[34:35], s[30:31]
	v_and_b32_e32 v13, 1, v13
	v_cmp_eq_u32_e64 s[34:35], 1, v15
	v_cndmask_b32_e64 v11, 0, v11, s[30:31]
	v_cndmask_b32_e64 v13, v13, 1, s[34:35]
	v_cmp_lt_u32_e64 s[34:35], 3, v7
	v_add_u32_e32 v9, v9, v11
	v_cmp_eq_u32_e64 s[30:31], 0, v5
	v_cndmask_b32_e64 v5, v5, v13, s[34:35]
	v_mov_b32_dpp v11, v9 row_shr:4 row_mask:0xf bank_mask:0xf
	s_and_b64 s[30:31], s[34:35], s[30:31]
	v_mov_b32_dpp v13, v5 row_shr:8 row_mask:0xf bank_mask:0xf
	v_and_b32_e32 v15, 1, v5
	v_cndmask_b32_e64 v11, 0, v11, s[30:31]
	v_and_b32_e32 v13, 1, v13
	v_cmp_eq_u32_e64 s[34:35], 1, v15
	v_add_u32_e32 v9, v9, v11
	v_cmp_eq_u32_e64 s[30:31], 0, v5
	v_cndmask_b32_e64 v13, v13, 1, s[34:35]
	v_cmp_lt_u32_e64 s[34:35], 7, v7
	v_mov_b32_dpp v11, v9 row_shr:8 row_mask:0xf bank_mask:0xf
	s_and_b64 s[30:31], s[34:35], s[30:31]
	v_cndmask_b32_e64 v7, 0, v11, s[30:31]
	v_cndmask_b32_e64 v5, v5, v13, s[34:35]
	v_add_u32_e32 v7, v9, v7
	v_cmp_eq_u32_e64 s[30:31], 0, v5
	v_mov_b32_dpp v11, v5 row_bcast:15 row_mask:0xf bank_mask:0xf
	v_mov_b32_dpp v9, v7 row_bcast:15 row_mask:0xf bank_mask:0xf
	v_and_b32_e32 v17, 1, v5
	v_and_b32_e32 v15, 16, v3
	v_cndmask_b32_e64 v9, 0, v9, s[30:31]
	v_and_b32_e32 v11, 1, v11
	v_cmp_eq_u32_e64 s[30:31], 1, v17
	v_bfe_i32 v13, v3, 4, 1
	v_cndmask_b32_e64 v11, v11, 1, s[30:31]
	v_cmp_eq_u32_e64 s[30:31], 0, v15
	v_and_b32_e32 v9, v13, v9
	v_cndmask_b32_e64 v5, v11, v5, s[30:31]
	v_add_u32_e32 v9, v7, v9
	v_and_b32_e32 v13, 1, v5
	v_mov_b32_dpp v7, v5 row_bcast:31 row_mask:0xf bank_mask:0xf
	v_and_b32_e32 v7, 1, v7
	v_cmp_eq_u32_e64 s[34:35], 1, v13
	v_cmp_eq_u32_e64 s[30:31], 0, v5
	v_cndmask_b32_e64 v7, v7, 1, s[34:35]
	v_cmp_lt_u32_e64 s[34:35], 31, v3
	v_mov_b32_dpp v11, v9 row_bcast:31 row_mask:0xf bank_mask:0xf
	s_and_b64 s[30:31], s[34:35], s[30:31]
	v_cndmask_b32_e64 v7, v5, v7, s[34:35]
	v_cndmask_b32_e64 v5, 0, v11, s[30:31]
	v_add_u32_e32 v5, v9, v5
	v_cmp_eq_u32_e64 s[30:31], v51, v0
	s_and_saveexec_b64 s[34:35], s[30:31]
	s_cbranch_execz .LBB1246_126
; %bb.125:
	v_lshlrev_b32_e32 v9, 3, v1
	ds_write_b32 v9, v5
	ds_write_b8 v9, v7 offset:4
.LBB1246_126:
	s_or_b64 exec, exec, s[34:35]
	v_cmp_gt_u32_e64 s[30:31], 4, v0
	s_waitcnt lgkmcnt(0)
	s_barrier
	s_and_saveexec_b64 s[34:35], s[30:31]
	s_cbranch_execz .LBB1246_130
; %bb.127:
	v_lshlrev_b32_e32 v9, 3, v0
	ds_read_b64 v[28:29], v9
	v_and_b32_e32 v11, 3, v3
	v_cmp_ne_u32_e64 s[30:31], 0, v11
	s_waitcnt lgkmcnt(0)
	v_mov_b32_dpp v13, v28 row_shr:1 row_mask:0xf bank_mask:0xf
	v_mov_b32_dpp v17, v29 row_shr:1 row_mask:0xf bank_mask:0xf
	v_mov_b32_e32 v15, v29
	s_and_saveexec_b64 s[40:41], s[30:31]
	s_cbranch_execz .LBB1246_129
; %bb.128:
	v_and_b32_e32 v15, 1, v29
	v_and_b32_e32 v17, 1, v17
	v_cmp_eq_u32_e64 s[30:31], 1, v15
	v_mov_b32_e32 v15, 0
	v_cndmask_b32_e64 v17, v17, 1, s[30:31]
	v_cmp_eq_u16_sdwa s[30:31], v29, v15 src0_sel:BYTE_0 src1_sel:DWORD
	v_cndmask_b32_e64 v13, 0, v13, s[30:31]
	v_add_u32_e32 v28, v13, v28
	v_and_b32_e32 v13, 0xffff, v17
	s_movk_i32 s30, 0xff00
	v_and_or_b32 v15, v29, s30, v13
	v_mov_b32_e32 v29, v17
.LBB1246_129:
	s_or_b64 exec, exec, s[40:41]
	v_mov_b32_dpp v15, v15 row_shr:2 row_mask:0xf bank_mask:0xf
	v_and_b32_e32 v17, 1, v29
	v_and_b32_e32 v15, 1, v15
	v_cmp_eq_u32_e64 s[30:31], 1, v17
	v_mov_b32_e32 v17, 0
	v_cndmask_b32_e64 v15, v15, 1, s[30:31]
	v_cmp_eq_u16_sdwa s[40:41], v29, v17 src0_sel:BYTE_0 src1_sel:DWORD
	v_cmp_lt_u32_e64 s[30:31], 1, v11
	v_mov_b32_dpp v13, v28 row_shr:2 row_mask:0xf bank_mask:0xf
	v_cndmask_b32_e64 v11, v29, v15, s[30:31]
	s_and_b64 s[30:31], s[30:31], s[40:41]
	v_cndmask_b32_e64 v13, 0, v13, s[30:31]
	v_add_u32_e32 v13, v13, v28
	ds_write_b32 v9, v13
	ds_write_b8 v9, v11 offset:4
.LBB1246_130:
	s_or_b64 exec, exec, s[34:35]
	v_cmp_lt_u32_e64 s[30:31], 63, v0
	v_mov_b32_e32 v9, 0
	s_waitcnt lgkmcnt(0)
	s_barrier
	s_and_saveexec_b64 s[34:35], s[30:31]
	s_cbranch_execz .LBB1246_132
; %bb.131:
	v_lshl_add_u32 v1, v1, 3, -8
	ds_read_b32 v9, v1
	v_cmp_eq_u32_e64 s[30:31], 0, v7
	s_waitcnt lgkmcnt(0)
	v_cndmask_b32_e64 v1, 0, v9, s[30:31]
	v_add_u32_e32 v5, v1, v5
.LBB1246_132:
	s_or_b64 exec, exec, s[34:35]
	v_add_u32_e32 v1, -1, v3
	v_and_b32_e32 v7, 64, v3
	v_cmp_lt_i32_e64 s[30:31], v1, v7
	v_cndmask_b32_e64 v1, v1, v3, s[30:31]
	v_lshlrev_b32_e32 v1, 2, v1
	ds_bpermute_b32 v1, v1, v5
	s_and_saveexec_b64 s[30:31], s[2:3]
	s_cbranch_execz .LBB1246_134
; %bb.133:
	v_and_b32_e32 v27, 0xff, v39
	v_mov_b32_e32 v26, 0
	v_cmp_eq_u32_e64 s[2:3], 0, v3
	s_waitcnt lgkmcnt(0)
	v_cndmask_b32_e64 v1, v1, v9, s[2:3]
	v_cmp_eq_u64_e64 s[2:3], 0, v[26:27]
	v_cndmask_b32_e64 v1, 0, v1, s[2:3]
	v_add_u32_e32 v38, v1, v38
	v_cndmask_b32_e64 v1, 0, v38, s[4:5]
	v_add_u32_e32 v27, v1, v2
	;; [unrolled: 2-line block ×14, first 2 shown]
	;;#ASMSTART
	;;#ASMEND
.LBB1246_134:
	s_or_b64 exec, exec, s[30:31]
	s_and_saveexec_b64 s[2:3], vcc
	s_cbranch_execz .LBB1246_136
; %bb.135:
	v_mov_b32_e32 v5, 0
	ds_read_b32 v2, v5 offset:24
	ds_read_u8 v3, v5 offset:28
	s_add_u32 s4, s52, 0x400
	s_addc_u32 s5, s53, 0
	v_mov_b32_e32 v4, 2
	v_pk_mov_b32 v[6:7], s[4:5], s[4:5] op_sel:[0,1]
	s_waitcnt lgkmcnt(0)
	;;#ASMSTART
	global_store_dwordx4 v[6:7], v[2:5] off	
s_waitcnt vmcnt(0)
	;;#ASMEND
.LBB1246_136:
	s_or_b64 exec, exec, s[2:3]
	v_mov_b32_e32 v26, v38
.LBB1246_137:
	s_add_u32 s2, s42, s38
	s_addc_u32 s3, s43, s39
	s_add_u32 s4, s2, s36
	s_waitcnt lgkmcnt(0)
	v_mul_u32_u24_e32 v1, 14, v0
	s_addc_u32 s5, s3, s37
	s_and_b64 vcc, exec, s[0:1]
	v_lshlrev_b32_e32 v2, 2, v1
	s_cbranch_vccz .LBB1246_165
; %bb.138:
	s_movk_i32 s0, 0xffcc
	v_mad_i32_i24 v3, v0, s0, v2
	s_barrier
	ds_write2_b64 v2, v[26:27], v[42:43] offset1:1
	ds_write2_b64 v2, v[30:31], v[44:45] offset0:2 offset1:3
	ds_write2_b64 v2, v[34:35], v[46:47] offset0:4 offset1:5
	ds_write_b64 v2, v[48:49] offset:48
	s_waitcnt lgkmcnt(0)
	s_barrier
	ds_read2st64_b32 v[16:17], v3 offset0:4 offset1:8
	ds_read2st64_b32 v[14:15], v3 offset0:12 offset1:16
	;; [unrolled: 1-line block ×6, first 2 shown]
	ds_read_b32 v3, v3 offset:13312
	v_mov_b32_e32 v7, s5
	v_add_co_u32_e32 v6, vcc, s4, v50
	s_add_i32 s33, s33, s54
	v_addc_co_u32_e32 v7, vcc, 0, v7, vcc
	v_mov_b32_e32 v1, 0
	v_cmp_gt_u32_e32 vcc, s33, v0
	s_and_saveexec_b64 s[0:1], vcc
	s_cbranch_execz .LBB1246_140
; %bb.139:
	v_mul_i32_i24_e32 v18, 0xffffffcc, v0
	v_add_u32_e32 v18, v2, v18
	ds_read_b32 v18, v18
	s_waitcnt lgkmcnt(0)
	flat_store_dword v[6:7], v18
.LBB1246_140:
	s_or_b64 exec, exec, s[0:1]
	v_or_b32_e32 v18, 0x100, v0
	v_cmp_gt_u32_e32 vcc, s33, v18
	s_and_saveexec_b64 s[0:1], vcc
	s_cbranch_execz .LBB1246_142
; %bb.141:
	s_waitcnt lgkmcnt(0)
	flat_store_dword v[6:7], v16 offset:1024
.LBB1246_142:
	s_or_b64 exec, exec, s[0:1]
	s_waitcnt lgkmcnt(0)
	v_or_b32_e32 v16, 0x200, v0
	v_cmp_gt_u32_e32 vcc, s33, v16
	s_and_saveexec_b64 s[0:1], vcc
	s_cbranch_execz .LBB1246_144
; %bb.143:
	flat_store_dword v[6:7], v17 offset:2048
.LBB1246_144:
	s_or_b64 exec, exec, s[0:1]
	v_or_b32_e32 v16, 0x300, v0
	v_cmp_gt_u32_e32 vcc, s33, v16
	s_and_saveexec_b64 s[0:1], vcc
	s_cbranch_execz .LBB1246_146
; %bb.145:
	flat_store_dword v[6:7], v14 offset:3072
.LBB1246_146:
	s_or_b64 exec, exec, s[0:1]
	v_or_b32_e32 v14, 0x400, v0
	v_cmp_gt_u32_e32 vcc, s33, v14
	s_and_saveexec_b64 s[0:1], vcc
	s_cbranch_execz .LBB1246_148
; %bb.147:
	v_add_co_u32_e32 v16, vcc, 0x1000, v6
	v_addc_co_u32_e32 v17, vcc, 0, v7, vcc
	flat_store_dword v[16:17], v15
.LBB1246_148:
	s_or_b64 exec, exec, s[0:1]
	v_or_b32_e32 v14, 0x500, v0
	v_cmp_gt_u32_e32 vcc, s33, v14
	s_and_saveexec_b64 s[0:1], vcc
	s_cbranch_execz .LBB1246_150
; %bb.149:
	v_add_co_u32_e32 v14, vcc, 0x1000, v6
	v_addc_co_u32_e32 v15, vcc, 0, v7, vcc
	flat_store_dword v[14:15], v12 offset:1024
.LBB1246_150:
	s_or_b64 exec, exec, s[0:1]
	v_or_b32_e32 v12, 0x600, v0
	v_cmp_gt_u32_e32 vcc, s33, v12
	s_and_saveexec_b64 s[0:1], vcc
	s_cbranch_execz .LBB1246_152
; %bb.151:
	v_add_co_u32_e32 v14, vcc, 0x1000, v6
	v_addc_co_u32_e32 v15, vcc, 0, v7, vcc
	flat_store_dword v[14:15], v13 offset:2048
.LBB1246_152:
	;; [unrolled: 10-line block ×3, first 2 shown]
	s_or_b64 exec, exec, s[0:1]
	v_or_b32_e32 v10, 0x800, v0
	v_cmp_gt_u32_e32 vcc, s33, v10
	s_and_saveexec_b64 s[0:1], vcc
	s_cbranch_execz .LBB1246_156
; %bb.155:
	v_add_co_u32_e32 v12, vcc, 0x2000, v6
	v_addc_co_u32_e32 v13, vcc, 0, v7, vcc
	flat_store_dword v[12:13], v11
.LBB1246_156:
	s_or_b64 exec, exec, s[0:1]
	v_or_b32_e32 v10, 0x900, v0
	v_cmp_gt_u32_e32 vcc, s33, v10
	s_and_saveexec_b64 s[0:1], vcc
	s_cbranch_execz .LBB1246_158
; %bb.157:
	v_add_co_u32_e32 v10, vcc, 0x2000, v6
	v_addc_co_u32_e32 v11, vcc, 0, v7, vcc
	flat_store_dword v[10:11], v8 offset:1024
.LBB1246_158:
	s_or_b64 exec, exec, s[0:1]
	v_or_b32_e32 v8, 0xa00, v0
	v_cmp_gt_u32_e32 vcc, s33, v8
	s_and_saveexec_b64 s[0:1], vcc
	s_cbranch_execz .LBB1246_160
; %bb.159:
	v_add_co_u32_e32 v10, vcc, 0x2000, v6
	v_addc_co_u32_e32 v11, vcc, 0, v7, vcc
	flat_store_dword v[10:11], v9 offset:2048
.LBB1246_160:
	;; [unrolled: 10-line block ×3, first 2 shown]
	s_or_b64 exec, exec, s[0:1]
	v_or_b32_e32 v4, 0xc00, v0
	v_cmp_gt_u32_e32 vcc, s33, v4
	s_and_saveexec_b64 s[0:1], vcc
	s_cbranch_execz .LBB1246_164
; %bb.163:
	v_add_co_u32_e32 v6, vcc, 0x3000, v6
	v_addc_co_u32_e32 v7, vcc, 0, v7, vcc
	flat_store_dword v[6:7], v5
.LBB1246_164:
	s_or_b64 exec, exec, s[0:1]
	v_or_b32_e32 v4, 0xd00, v0
	v_cmp_gt_u32_e64 s[0:1], s33, v4
	s_branch .LBB1246_167
.LBB1246_165:
	s_mov_b64 s[0:1], 0
                                        ; implicit-def: $vgpr3
	s_cbranch_execz .LBB1246_167
; %bb.166:
	s_movk_i32 s2, 0xffcc
	s_waitcnt lgkmcnt(0)
	s_barrier
	ds_write2_b64 v2, v[26:27], v[42:43] offset1:1
	ds_write2_b64 v2, v[30:31], v[44:45] offset0:2 offset1:3
	ds_write2_b64 v2, v[34:35], v[46:47] offset0:4 offset1:5
	ds_write_b64 v2, v[48:49] offset:48
	v_mad_i32_i24 v2, v0, s2, v2
	v_mov_b32_e32 v17, s5
	v_add_co_u32_e32 v16, vcc, s4, v50
	s_waitcnt lgkmcnt(0)
	s_barrier
	ds_read2st64_b32 v[4:5], v2 offset1:4
	ds_read2st64_b32 v[6:7], v2 offset0:8 offset1:12
	ds_read2st64_b32 v[8:9], v2 offset0:16 offset1:20
	;; [unrolled: 1-line block ×6, first 2 shown]
	v_addc_co_u32_e32 v17, vcc, 0, v17, vcc
	s_movk_i32 s2, 0x1000
	s_waitcnt lgkmcnt(0)
	flat_store_dword v[16:17], v4
	flat_store_dword v[16:17], v5 offset:1024
	flat_store_dword v[16:17], v6 offset:2048
	;; [unrolled: 1-line block ×3, first 2 shown]
	v_add_co_u32_e32 v4, vcc, s2, v16
	v_addc_co_u32_e32 v5, vcc, 0, v17, vcc
	flat_store_dword v[4:5], v8
	flat_store_dword v[4:5], v9 offset:1024
	flat_store_dword v[4:5], v10 offset:2048
	;; [unrolled: 1-line block ×3, first 2 shown]
	v_add_co_u32_e32 v4, vcc, 0x2000, v16
	v_addc_co_u32_e32 v5, vcc, 0, v17, vcc
	flat_store_dword v[4:5], v12
	flat_store_dword v[4:5], v13 offset:1024
	flat_store_dword v[4:5], v14 offset:2048
	;; [unrolled: 1-line block ×3, first 2 shown]
	v_add_co_u32_e32 v4, vcc, 0x3000, v16
	v_mov_b32_e32 v1, 0
	v_addc_co_u32_e32 v5, vcc, 0, v17, vcc
	s_or_b64 s[0:1], s[0:1], exec
	flat_store_dword v[4:5], v2
.LBB1246_167:
	s_and_saveexec_b64 s[2:3], s[0:1]
	s_cbranch_execnz .LBB1246_169
; %bb.168:
	s_endpgm
.LBB1246_169:
	v_lshlrev_b64 v[0:1], 2, v[0:1]
	v_mov_b32_e32 v2, s5
	v_add_co_u32_e32 v0, vcc, s4, v0
	v_addc_co_u32_e32 v1, vcc, v2, v1, vcc
	v_add_co_u32_e32 v0, vcc, 0x3000, v0
	v_addc_co_u32_e32 v1, vcc, 0, v1, vcc
	flat_store_dword v[0:1], v3 offset:1024
	s_endpgm
.LBB1246_170:
	v_mov_b32_e32 v13, s55
	v_add_co_u32_e32 v14, vcc, s7, v12
	v_addc_co_u32_e32 v15, vcc, 0, v13, vcc
	flat_load_dword v13, v[14:15]
	s_or_b64 exec, exec, s[44:45]
                                        ; implicit-def: $vgpr14
	s_and_saveexec_b64 s[2:3], s[4:5]
	s_cbranch_execz .LBB1246_37
.LBB1246_171:
	v_mov_b32_e32 v15, s55
	v_add_co_u32_e32 v14, vcc, s7, v12
	v_addc_co_u32_e32 v15, vcc, 0, v15, vcc
	flat_load_dword v14, v[14:15] offset:1024
	s_or_b64 exec, exec, s[2:3]
                                        ; implicit-def: $vgpr15
	s_and_saveexec_b64 s[2:3], s[30:31]
	s_cbranch_execz .LBB1246_38
.LBB1246_172:
	v_mov_b32_e32 v15, s55
	v_add_co_u32_e32 v16, vcc, s7, v12
	v_addc_co_u32_e32 v17, vcc, 0, v15, vcc
	flat_load_dword v15, v[16:17] offset:2048
	s_or_b64 exec, exec, s[2:3]
                                        ; implicit-def: $vgpr16
	s_and_saveexec_b64 s[2:3], s[8:9]
	s_cbranch_execz .LBB1246_39
.LBB1246_173:
	v_mov_b32_e32 v17, s55
	v_add_co_u32_e32 v16, vcc, s7, v12
	v_addc_co_u32_e32 v17, vcc, 0, v17, vcc
	flat_load_dword v16, v[16:17] offset:3072
	s_or_b64 exec, exec, s[2:3]
                                        ; implicit-def: $vgpr17
	s_and_saveexec_b64 s[2:3], s[10:11]
	s_cbranch_execz .LBB1246_40
.LBB1246_174:
	v_lshlrev_b32_e32 v2, 2, v2
	v_mov_b32_e32 v17, s55
	v_add_co_u32_e32 v18, vcc, s7, v2
	v_addc_co_u32_e32 v19, vcc, 0, v17, vcc
	flat_load_dword v17, v[18:19]
	s_or_b64 exec, exec, s[2:3]
                                        ; implicit-def: $vgpr2
	s_and_saveexec_b64 s[2:3], s[12:13]
	s_cbranch_execz .LBB1246_41
.LBB1246_175:
	v_lshlrev_b32_e32 v2, 2, v3
	v_mov_b32_e32 v3, s55
	v_add_co_u32_e32 v2, vcc, s7, v2
	v_addc_co_u32_e32 v3, vcc, 0, v3, vcc
	flat_load_dword v2, v[2:3]
	s_or_b64 exec, exec, s[2:3]
                                        ; implicit-def: $vgpr3
	s_and_saveexec_b64 s[2:3], s[14:15]
	s_cbranch_execz .LBB1246_42
.LBB1246_176:
	v_lshlrev_b32_e32 v3, 2, v4
	v_mov_b32_e32 v4, s55
	v_add_co_u32_e32 v18, vcc, s7, v3
	v_addc_co_u32_e32 v19, vcc, 0, v4, vcc
	flat_load_dword v3, v[18:19]
	s_or_b64 exec, exec, s[2:3]
                                        ; implicit-def: $vgpr4
	s_and_saveexec_b64 s[2:3], s[16:17]
	s_cbranch_execz .LBB1246_43
.LBB1246_177:
	v_lshlrev_b32_e32 v4, 2, v5
	v_mov_b32_e32 v5, s55
	v_add_co_u32_e32 v4, vcc, s7, v4
	v_addc_co_u32_e32 v5, vcc, 0, v5, vcc
	flat_load_dword v4, v[4:5]
	s_or_b64 exec, exec, s[2:3]
                                        ; implicit-def: $vgpr5
	s_and_saveexec_b64 s[2:3], s[18:19]
	s_cbranch_execz .LBB1246_44
.LBB1246_178:
	v_lshlrev_b32_e32 v5, 2, v6
	v_mov_b32_e32 v6, s55
	v_add_co_u32_e32 v18, vcc, s7, v5
	v_addc_co_u32_e32 v19, vcc, 0, v6, vcc
	flat_load_dword v5, v[18:19]
	s_or_b64 exec, exec, s[2:3]
                                        ; implicit-def: $vgpr6
	s_and_saveexec_b64 s[2:3], s[20:21]
	s_cbranch_execz .LBB1246_45
.LBB1246_179:
	v_lshlrev_b32_e32 v6, 2, v7
	v_mov_b32_e32 v7, s55
	v_add_co_u32_e32 v6, vcc, s7, v6
	v_addc_co_u32_e32 v7, vcc, 0, v7, vcc
	flat_load_dword v6, v[6:7]
	s_or_b64 exec, exec, s[2:3]
                                        ; implicit-def: $vgpr7
	s_and_saveexec_b64 s[2:3], s[22:23]
	s_cbranch_execz .LBB1246_46
.LBB1246_180:
	v_lshlrev_b32_e32 v7, 2, v8
	v_mov_b32_e32 v8, s55
	v_add_co_u32_e32 v18, vcc, s7, v7
	v_addc_co_u32_e32 v19, vcc, 0, v8, vcc
	flat_load_dword v7, v[18:19]
	s_or_b64 exec, exec, s[2:3]
                                        ; implicit-def: $vgpr8
	s_and_saveexec_b64 s[2:3], s[24:25]
	s_cbranch_execz .LBB1246_47
.LBB1246_181:
	v_lshlrev_b32_e32 v8, 2, v9
	v_mov_b32_e32 v9, s55
	v_add_co_u32_e32 v8, vcc, s7, v8
	v_addc_co_u32_e32 v9, vcc, 0, v9, vcc
	flat_load_dword v8, v[8:9]
	s_or_b64 exec, exec, s[2:3]
                                        ; implicit-def: $vgpr9
	s_and_saveexec_b64 s[2:3], s[26:27]
	s_cbranch_execz .LBB1246_48
.LBB1246_182:
	v_lshlrev_b32_e32 v9, 2, v10
	v_mov_b32_e32 v10, s55
	v_add_co_u32_e32 v18, vcc, s7, v9
	v_addc_co_u32_e32 v19, vcc, 0, v10, vcc
	flat_load_dword v9, v[18:19]
	s_or_b64 exec, exec, s[2:3]
                                        ; implicit-def: $vgpr10
	s_and_saveexec_b64 s[2:3], s[28:29]
	s_cbranch_execnz .LBB1246_49
	s_branch .LBB1246_50
.LBB1246_183:
                                        ; implicit-def: $sgpr44_sgpr45
	s_branch .LBB1246_32
.LBB1246_184:
                                        ; implicit-def: $sgpr2_sgpr3
	s_branch .LBB1246_81
	.section	.rodata,"a",@progbits
	.p2align	6, 0x0
	.amdhsa_kernel _ZN7rocprim17ROCPRIM_400000_NS6detail17trampoline_kernelINS0_14default_configENS1_27scan_by_key_config_selectorIijEEZZNS1_16scan_by_key_implILNS1_25lookback_scan_determinismE0ELb0ES3_N6thrust23THRUST_200600_302600_NS6detail15normal_iteratorINS9_10device_ptrIiEEEENSB_INSC_IjEEEESG_jNS9_4plusIvEENS9_8equal_toIvEEjEE10hipError_tPvRmT2_T3_T4_T5_mT6_T7_P12ihipStream_tbENKUlT_T0_E_clISt17integral_constantIbLb1EES10_IbLb0EEEEDaSW_SX_EUlSW_E_NS1_11comp_targetILNS1_3genE4ELNS1_11target_archE910ELNS1_3gpuE8ELNS1_3repE0EEENS1_30default_config_static_selectorELNS0_4arch9wavefront6targetE1EEEvT1_
		.amdhsa_group_segment_fixed_size 16384
		.amdhsa_private_segment_fixed_size 0
		.amdhsa_kernarg_size 112
		.amdhsa_user_sgpr_count 6
		.amdhsa_user_sgpr_private_segment_buffer 1
		.amdhsa_user_sgpr_dispatch_ptr 0
		.amdhsa_user_sgpr_queue_ptr 0
		.amdhsa_user_sgpr_kernarg_segment_ptr 1
		.amdhsa_user_sgpr_dispatch_id 0
		.amdhsa_user_sgpr_flat_scratch_init 0
		.amdhsa_user_sgpr_kernarg_preload_length 0
		.amdhsa_user_sgpr_kernarg_preload_offset 0
		.amdhsa_user_sgpr_private_segment_size 0
		.amdhsa_uses_dynamic_stack 0
		.amdhsa_system_sgpr_private_segment_wavefront_offset 0
		.amdhsa_system_sgpr_workgroup_id_x 1
		.amdhsa_system_sgpr_workgroup_id_y 0
		.amdhsa_system_sgpr_workgroup_id_z 0
		.amdhsa_system_sgpr_workgroup_info 0
		.amdhsa_system_vgpr_workitem_id 0
		.amdhsa_next_free_vgpr 65
		.amdhsa_next_free_sgpr 61
		.amdhsa_accum_offset 68
		.amdhsa_reserve_vcc 1
		.amdhsa_reserve_flat_scratch 0
		.amdhsa_float_round_mode_32 0
		.amdhsa_float_round_mode_16_64 0
		.amdhsa_float_denorm_mode_32 3
		.amdhsa_float_denorm_mode_16_64 3
		.amdhsa_dx10_clamp 1
		.amdhsa_ieee_mode 1
		.amdhsa_fp16_overflow 0
		.amdhsa_tg_split 0
		.amdhsa_exception_fp_ieee_invalid_op 0
		.amdhsa_exception_fp_denorm_src 0
		.amdhsa_exception_fp_ieee_div_zero 0
		.amdhsa_exception_fp_ieee_overflow 0
		.amdhsa_exception_fp_ieee_underflow 0
		.amdhsa_exception_fp_ieee_inexact 0
		.amdhsa_exception_int_div_zero 0
	.end_amdhsa_kernel
	.section	.text._ZN7rocprim17ROCPRIM_400000_NS6detail17trampoline_kernelINS0_14default_configENS1_27scan_by_key_config_selectorIijEEZZNS1_16scan_by_key_implILNS1_25lookback_scan_determinismE0ELb0ES3_N6thrust23THRUST_200600_302600_NS6detail15normal_iteratorINS9_10device_ptrIiEEEENSB_INSC_IjEEEESG_jNS9_4plusIvEENS9_8equal_toIvEEjEE10hipError_tPvRmT2_T3_T4_T5_mT6_T7_P12ihipStream_tbENKUlT_T0_E_clISt17integral_constantIbLb1EES10_IbLb0EEEEDaSW_SX_EUlSW_E_NS1_11comp_targetILNS1_3genE4ELNS1_11target_archE910ELNS1_3gpuE8ELNS1_3repE0EEENS1_30default_config_static_selectorELNS0_4arch9wavefront6targetE1EEEvT1_,"axG",@progbits,_ZN7rocprim17ROCPRIM_400000_NS6detail17trampoline_kernelINS0_14default_configENS1_27scan_by_key_config_selectorIijEEZZNS1_16scan_by_key_implILNS1_25lookback_scan_determinismE0ELb0ES3_N6thrust23THRUST_200600_302600_NS6detail15normal_iteratorINS9_10device_ptrIiEEEENSB_INSC_IjEEEESG_jNS9_4plusIvEENS9_8equal_toIvEEjEE10hipError_tPvRmT2_T3_T4_T5_mT6_T7_P12ihipStream_tbENKUlT_T0_E_clISt17integral_constantIbLb1EES10_IbLb0EEEEDaSW_SX_EUlSW_E_NS1_11comp_targetILNS1_3genE4ELNS1_11target_archE910ELNS1_3gpuE8ELNS1_3repE0EEENS1_30default_config_static_selectorELNS0_4arch9wavefront6targetE1EEEvT1_,comdat
.Lfunc_end1246:
	.size	_ZN7rocprim17ROCPRIM_400000_NS6detail17trampoline_kernelINS0_14default_configENS1_27scan_by_key_config_selectorIijEEZZNS1_16scan_by_key_implILNS1_25lookback_scan_determinismE0ELb0ES3_N6thrust23THRUST_200600_302600_NS6detail15normal_iteratorINS9_10device_ptrIiEEEENSB_INSC_IjEEEESG_jNS9_4plusIvEENS9_8equal_toIvEEjEE10hipError_tPvRmT2_T3_T4_T5_mT6_T7_P12ihipStream_tbENKUlT_T0_E_clISt17integral_constantIbLb1EES10_IbLb0EEEEDaSW_SX_EUlSW_E_NS1_11comp_targetILNS1_3genE4ELNS1_11target_archE910ELNS1_3gpuE8ELNS1_3repE0EEENS1_30default_config_static_selectorELNS0_4arch9wavefront6targetE1EEEvT1_, .Lfunc_end1246-_ZN7rocprim17ROCPRIM_400000_NS6detail17trampoline_kernelINS0_14default_configENS1_27scan_by_key_config_selectorIijEEZZNS1_16scan_by_key_implILNS1_25lookback_scan_determinismE0ELb0ES3_N6thrust23THRUST_200600_302600_NS6detail15normal_iteratorINS9_10device_ptrIiEEEENSB_INSC_IjEEEESG_jNS9_4plusIvEENS9_8equal_toIvEEjEE10hipError_tPvRmT2_T3_T4_T5_mT6_T7_P12ihipStream_tbENKUlT_T0_E_clISt17integral_constantIbLb1EES10_IbLb0EEEEDaSW_SX_EUlSW_E_NS1_11comp_targetILNS1_3genE4ELNS1_11target_archE910ELNS1_3gpuE8ELNS1_3repE0EEENS1_30default_config_static_selectorELNS0_4arch9wavefront6targetE1EEEvT1_
                                        ; -- End function
	.section	.AMDGPU.csdata,"",@progbits
; Kernel info:
; codeLenInByte = 11028
; NumSgprs: 65
; NumVgprs: 65
; NumAgprs: 0
; TotalNumVgprs: 65
; ScratchSize: 0
; MemoryBound: 0
; FloatMode: 240
; IeeeMode: 1
; LDSByteSize: 16384 bytes/workgroup (compile time only)
; SGPRBlocks: 8
; VGPRBlocks: 8
; NumSGPRsForWavesPerEU: 65
; NumVGPRsForWavesPerEU: 65
; AccumOffset: 68
; Occupancy: 4
; WaveLimiterHint : 1
; COMPUTE_PGM_RSRC2:SCRATCH_EN: 0
; COMPUTE_PGM_RSRC2:USER_SGPR: 6
; COMPUTE_PGM_RSRC2:TRAP_HANDLER: 0
; COMPUTE_PGM_RSRC2:TGID_X_EN: 1
; COMPUTE_PGM_RSRC2:TGID_Y_EN: 0
; COMPUTE_PGM_RSRC2:TGID_Z_EN: 0
; COMPUTE_PGM_RSRC2:TIDIG_COMP_CNT: 0
; COMPUTE_PGM_RSRC3_GFX90A:ACCUM_OFFSET: 16
; COMPUTE_PGM_RSRC3_GFX90A:TG_SPLIT: 0
	.section	.text._ZN7rocprim17ROCPRIM_400000_NS6detail17trampoline_kernelINS0_14default_configENS1_27scan_by_key_config_selectorIijEEZZNS1_16scan_by_key_implILNS1_25lookback_scan_determinismE0ELb0ES3_N6thrust23THRUST_200600_302600_NS6detail15normal_iteratorINS9_10device_ptrIiEEEENSB_INSC_IjEEEESG_jNS9_4plusIvEENS9_8equal_toIvEEjEE10hipError_tPvRmT2_T3_T4_T5_mT6_T7_P12ihipStream_tbENKUlT_T0_E_clISt17integral_constantIbLb1EES10_IbLb0EEEEDaSW_SX_EUlSW_E_NS1_11comp_targetILNS1_3genE3ELNS1_11target_archE908ELNS1_3gpuE7ELNS1_3repE0EEENS1_30default_config_static_selectorELNS0_4arch9wavefront6targetE1EEEvT1_,"axG",@progbits,_ZN7rocprim17ROCPRIM_400000_NS6detail17trampoline_kernelINS0_14default_configENS1_27scan_by_key_config_selectorIijEEZZNS1_16scan_by_key_implILNS1_25lookback_scan_determinismE0ELb0ES3_N6thrust23THRUST_200600_302600_NS6detail15normal_iteratorINS9_10device_ptrIiEEEENSB_INSC_IjEEEESG_jNS9_4plusIvEENS9_8equal_toIvEEjEE10hipError_tPvRmT2_T3_T4_T5_mT6_T7_P12ihipStream_tbENKUlT_T0_E_clISt17integral_constantIbLb1EES10_IbLb0EEEEDaSW_SX_EUlSW_E_NS1_11comp_targetILNS1_3genE3ELNS1_11target_archE908ELNS1_3gpuE7ELNS1_3repE0EEENS1_30default_config_static_selectorELNS0_4arch9wavefront6targetE1EEEvT1_,comdat
	.protected	_ZN7rocprim17ROCPRIM_400000_NS6detail17trampoline_kernelINS0_14default_configENS1_27scan_by_key_config_selectorIijEEZZNS1_16scan_by_key_implILNS1_25lookback_scan_determinismE0ELb0ES3_N6thrust23THRUST_200600_302600_NS6detail15normal_iteratorINS9_10device_ptrIiEEEENSB_INSC_IjEEEESG_jNS9_4plusIvEENS9_8equal_toIvEEjEE10hipError_tPvRmT2_T3_T4_T5_mT6_T7_P12ihipStream_tbENKUlT_T0_E_clISt17integral_constantIbLb1EES10_IbLb0EEEEDaSW_SX_EUlSW_E_NS1_11comp_targetILNS1_3genE3ELNS1_11target_archE908ELNS1_3gpuE7ELNS1_3repE0EEENS1_30default_config_static_selectorELNS0_4arch9wavefront6targetE1EEEvT1_ ; -- Begin function _ZN7rocprim17ROCPRIM_400000_NS6detail17trampoline_kernelINS0_14default_configENS1_27scan_by_key_config_selectorIijEEZZNS1_16scan_by_key_implILNS1_25lookback_scan_determinismE0ELb0ES3_N6thrust23THRUST_200600_302600_NS6detail15normal_iteratorINS9_10device_ptrIiEEEENSB_INSC_IjEEEESG_jNS9_4plusIvEENS9_8equal_toIvEEjEE10hipError_tPvRmT2_T3_T4_T5_mT6_T7_P12ihipStream_tbENKUlT_T0_E_clISt17integral_constantIbLb1EES10_IbLb0EEEEDaSW_SX_EUlSW_E_NS1_11comp_targetILNS1_3genE3ELNS1_11target_archE908ELNS1_3gpuE7ELNS1_3repE0EEENS1_30default_config_static_selectorELNS0_4arch9wavefront6targetE1EEEvT1_
	.globl	_ZN7rocprim17ROCPRIM_400000_NS6detail17trampoline_kernelINS0_14default_configENS1_27scan_by_key_config_selectorIijEEZZNS1_16scan_by_key_implILNS1_25lookback_scan_determinismE0ELb0ES3_N6thrust23THRUST_200600_302600_NS6detail15normal_iteratorINS9_10device_ptrIiEEEENSB_INSC_IjEEEESG_jNS9_4plusIvEENS9_8equal_toIvEEjEE10hipError_tPvRmT2_T3_T4_T5_mT6_T7_P12ihipStream_tbENKUlT_T0_E_clISt17integral_constantIbLb1EES10_IbLb0EEEEDaSW_SX_EUlSW_E_NS1_11comp_targetILNS1_3genE3ELNS1_11target_archE908ELNS1_3gpuE7ELNS1_3repE0EEENS1_30default_config_static_selectorELNS0_4arch9wavefront6targetE1EEEvT1_
	.p2align	8
	.type	_ZN7rocprim17ROCPRIM_400000_NS6detail17trampoline_kernelINS0_14default_configENS1_27scan_by_key_config_selectorIijEEZZNS1_16scan_by_key_implILNS1_25lookback_scan_determinismE0ELb0ES3_N6thrust23THRUST_200600_302600_NS6detail15normal_iteratorINS9_10device_ptrIiEEEENSB_INSC_IjEEEESG_jNS9_4plusIvEENS9_8equal_toIvEEjEE10hipError_tPvRmT2_T3_T4_T5_mT6_T7_P12ihipStream_tbENKUlT_T0_E_clISt17integral_constantIbLb1EES10_IbLb0EEEEDaSW_SX_EUlSW_E_NS1_11comp_targetILNS1_3genE3ELNS1_11target_archE908ELNS1_3gpuE7ELNS1_3repE0EEENS1_30default_config_static_selectorELNS0_4arch9wavefront6targetE1EEEvT1_,@function
_ZN7rocprim17ROCPRIM_400000_NS6detail17trampoline_kernelINS0_14default_configENS1_27scan_by_key_config_selectorIijEEZZNS1_16scan_by_key_implILNS1_25lookback_scan_determinismE0ELb0ES3_N6thrust23THRUST_200600_302600_NS6detail15normal_iteratorINS9_10device_ptrIiEEEENSB_INSC_IjEEEESG_jNS9_4plusIvEENS9_8equal_toIvEEjEE10hipError_tPvRmT2_T3_T4_T5_mT6_T7_P12ihipStream_tbENKUlT_T0_E_clISt17integral_constantIbLb1EES10_IbLb0EEEEDaSW_SX_EUlSW_E_NS1_11comp_targetILNS1_3genE3ELNS1_11target_archE908ELNS1_3gpuE7ELNS1_3repE0EEENS1_30default_config_static_selectorELNS0_4arch9wavefront6targetE1EEEvT1_: ; @_ZN7rocprim17ROCPRIM_400000_NS6detail17trampoline_kernelINS0_14default_configENS1_27scan_by_key_config_selectorIijEEZZNS1_16scan_by_key_implILNS1_25lookback_scan_determinismE0ELb0ES3_N6thrust23THRUST_200600_302600_NS6detail15normal_iteratorINS9_10device_ptrIiEEEENSB_INSC_IjEEEESG_jNS9_4plusIvEENS9_8equal_toIvEEjEE10hipError_tPvRmT2_T3_T4_T5_mT6_T7_P12ihipStream_tbENKUlT_T0_E_clISt17integral_constantIbLb1EES10_IbLb0EEEEDaSW_SX_EUlSW_E_NS1_11comp_targetILNS1_3genE3ELNS1_11target_archE908ELNS1_3gpuE7ELNS1_3repE0EEENS1_30default_config_static_selectorELNS0_4arch9wavefront6targetE1EEEvT1_
; %bb.0:
	.section	.rodata,"a",@progbits
	.p2align	6, 0x0
	.amdhsa_kernel _ZN7rocprim17ROCPRIM_400000_NS6detail17trampoline_kernelINS0_14default_configENS1_27scan_by_key_config_selectorIijEEZZNS1_16scan_by_key_implILNS1_25lookback_scan_determinismE0ELb0ES3_N6thrust23THRUST_200600_302600_NS6detail15normal_iteratorINS9_10device_ptrIiEEEENSB_INSC_IjEEEESG_jNS9_4plusIvEENS9_8equal_toIvEEjEE10hipError_tPvRmT2_T3_T4_T5_mT6_T7_P12ihipStream_tbENKUlT_T0_E_clISt17integral_constantIbLb1EES10_IbLb0EEEEDaSW_SX_EUlSW_E_NS1_11comp_targetILNS1_3genE3ELNS1_11target_archE908ELNS1_3gpuE7ELNS1_3repE0EEENS1_30default_config_static_selectorELNS0_4arch9wavefront6targetE1EEEvT1_
		.amdhsa_group_segment_fixed_size 0
		.amdhsa_private_segment_fixed_size 0
		.amdhsa_kernarg_size 112
		.amdhsa_user_sgpr_count 6
		.amdhsa_user_sgpr_private_segment_buffer 1
		.amdhsa_user_sgpr_dispatch_ptr 0
		.amdhsa_user_sgpr_queue_ptr 0
		.amdhsa_user_sgpr_kernarg_segment_ptr 1
		.amdhsa_user_sgpr_dispatch_id 0
		.amdhsa_user_sgpr_flat_scratch_init 0
		.amdhsa_user_sgpr_kernarg_preload_length 0
		.amdhsa_user_sgpr_kernarg_preload_offset 0
		.amdhsa_user_sgpr_private_segment_size 0
		.amdhsa_uses_dynamic_stack 0
		.amdhsa_system_sgpr_private_segment_wavefront_offset 0
		.amdhsa_system_sgpr_workgroup_id_x 1
		.amdhsa_system_sgpr_workgroup_id_y 0
		.amdhsa_system_sgpr_workgroup_id_z 0
		.amdhsa_system_sgpr_workgroup_info 0
		.amdhsa_system_vgpr_workitem_id 0
		.amdhsa_next_free_vgpr 1
		.amdhsa_next_free_sgpr 0
		.amdhsa_accum_offset 4
		.amdhsa_reserve_vcc 0
		.amdhsa_reserve_flat_scratch 0
		.amdhsa_float_round_mode_32 0
		.amdhsa_float_round_mode_16_64 0
		.amdhsa_float_denorm_mode_32 3
		.amdhsa_float_denorm_mode_16_64 3
		.amdhsa_dx10_clamp 1
		.amdhsa_ieee_mode 1
		.amdhsa_fp16_overflow 0
		.amdhsa_tg_split 0
		.amdhsa_exception_fp_ieee_invalid_op 0
		.amdhsa_exception_fp_denorm_src 0
		.amdhsa_exception_fp_ieee_div_zero 0
		.amdhsa_exception_fp_ieee_overflow 0
		.amdhsa_exception_fp_ieee_underflow 0
		.amdhsa_exception_fp_ieee_inexact 0
		.amdhsa_exception_int_div_zero 0
	.end_amdhsa_kernel
	.section	.text._ZN7rocprim17ROCPRIM_400000_NS6detail17trampoline_kernelINS0_14default_configENS1_27scan_by_key_config_selectorIijEEZZNS1_16scan_by_key_implILNS1_25lookback_scan_determinismE0ELb0ES3_N6thrust23THRUST_200600_302600_NS6detail15normal_iteratorINS9_10device_ptrIiEEEENSB_INSC_IjEEEESG_jNS9_4plusIvEENS9_8equal_toIvEEjEE10hipError_tPvRmT2_T3_T4_T5_mT6_T7_P12ihipStream_tbENKUlT_T0_E_clISt17integral_constantIbLb1EES10_IbLb0EEEEDaSW_SX_EUlSW_E_NS1_11comp_targetILNS1_3genE3ELNS1_11target_archE908ELNS1_3gpuE7ELNS1_3repE0EEENS1_30default_config_static_selectorELNS0_4arch9wavefront6targetE1EEEvT1_,"axG",@progbits,_ZN7rocprim17ROCPRIM_400000_NS6detail17trampoline_kernelINS0_14default_configENS1_27scan_by_key_config_selectorIijEEZZNS1_16scan_by_key_implILNS1_25lookback_scan_determinismE0ELb0ES3_N6thrust23THRUST_200600_302600_NS6detail15normal_iteratorINS9_10device_ptrIiEEEENSB_INSC_IjEEEESG_jNS9_4plusIvEENS9_8equal_toIvEEjEE10hipError_tPvRmT2_T3_T4_T5_mT6_T7_P12ihipStream_tbENKUlT_T0_E_clISt17integral_constantIbLb1EES10_IbLb0EEEEDaSW_SX_EUlSW_E_NS1_11comp_targetILNS1_3genE3ELNS1_11target_archE908ELNS1_3gpuE7ELNS1_3repE0EEENS1_30default_config_static_selectorELNS0_4arch9wavefront6targetE1EEEvT1_,comdat
.Lfunc_end1247:
	.size	_ZN7rocprim17ROCPRIM_400000_NS6detail17trampoline_kernelINS0_14default_configENS1_27scan_by_key_config_selectorIijEEZZNS1_16scan_by_key_implILNS1_25lookback_scan_determinismE0ELb0ES3_N6thrust23THRUST_200600_302600_NS6detail15normal_iteratorINS9_10device_ptrIiEEEENSB_INSC_IjEEEESG_jNS9_4plusIvEENS9_8equal_toIvEEjEE10hipError_tPvRmT2_T3_T4_T5_mT6_T7_P12ihipStream_tbENKUlT_T0_E_clISt17integral_constantIbLb1EES10_IbLb0EEEEDaSW_SX_EUlSW_E_NS1_11comp_targetILNS1_3genE3ELNS1_11target_archE908ELNS1_3gpuE7ELNS1_3repE0EEENS1_30default_config_static_selectorELNS0_4arch9wavefront6targetE1EEEvT1_, .Lfunc_end1247-_ZN7rocprim17ROCPRIM_400000_NS6detail17trampoline_kernelINS0_14default_configENS1_27scan_by_key_config_selectorIijEEZZNS1_16scan_by_key_implILNS1_25lookback_scan_determinismE0ELb0ES3_N6thrust23THRUST_200600_302600_NS6detail15normal_iteratorINS9_10device_ptrIiEEEENSB_INSC_IjEEEESG_jNS9_4plusIvEENS9_8equal_toIvEEjEE10hipError_tPvRmT2_T3_T4_T5_mT6_T7_P12ihipStream_tbENKUlT_T0_E_clISt17integral_constantIbLb1EES10_IbLb0EEEEDaSW_SX_EUlSW_E_NS1_11comp_targetILNS1_3genE3ELNS1_11target_archE908ELNS1_3gpuE7ELNS1_3repE0EEENS1_30default_config_static_selectorELNS0_4arch9wavefront6targetE1EEEvT1_
                                        ; -- End function
	.section	.AMDGPU.csdata,"",@progbits
; Kernel info:
; codeLenInByte = 0
; NumSgprs: 4
; NumVgprs: 0
; NumAgprs: 0
; TotalNumVgprs: 0
; ScratchSize: 0
; MemoryBound: 0
; FloatMode: 240
; IeeeMode: 1
; LDSByteSize: 0 bytes/workgroup (compile time only)
; SGPRBlocks: 0
; VGPRBlocks: 0
; NumSGPRsForWavesPerEU: 4
; NumVGPRsForWavesPerEU: 1
; AccumOffset: 4
; Occupancy: 8
; WaveLimiterHint : 0
; COMPUTE_PGM_RSRC2:SCRATCH_EN: 0
; COMPUTE_PGM_RSRC2:USER_SGPR: 6
; COMPUTE_PGM_RSRC2:TRAP_HANDLER: 0
; COMPUTE_PGM_RSRC2:TGID_X_EN: 1
; COMPUTE_PGM_RSRC2:TGID_Y_EN: 0
; COMPUTE_PGM_RSRC2:TGID_Z_EN: 0
; COMPUTE_PGM_RSRC2:TIDIG_COMP_CNT: 0
; COMPUTE_PGM_RSRC3_GFX90A:ACCUM_OFFSET: 0
; COMPUTE_PGM_RSRC3_GFX90A:TG_SPLIT: 0
	.section	.text._ZN7rocprim17ROCPRIM_400000_NS6detail17trampoline_kernelINS0_14default_configENS1_27scan_by_key_config_selectorIijEEZZNS1_16scan_by_key_implILNS1_25lookback_scan_determinismE0ELb0ES3_N6thrust23THRUST_200600_302600_NS6detail15normal_iteratorINS9_10device_ptrIiEEEENSB_INSC_IjEEEESG_jNS9_4plusIvEENS9_8equal_toIvEEjEE10hipError_tPvRmT2_T3_T4_T5_mT6_T7_P12ihipStream_tbENKUlT_T0_E_clISt17integral_constantIbLb1EES10_IbLb0EEEEDaSW_SX_EUlSW_E_NS1_11comp_targetILNS1_3genE2ELNS1_11target_archE906ELNS1_3gpuE6ELNS1_3repE0EEENS1_30default_config_static_selectorELNS0_4arch9wavefront6targetE1EEEvT1_,"axG",@progbits,_ZN7rocprim17ROCPRIM_400000_NS6detail17trampoline_kernelINS0_14default_configENS1_27scan_by_key_config_selectorIijEEZZNS1_16scan_by_key_implILNS1_25lookback_scan_determinismE0ELb0ES3_N6thrust23THRUST_200600_302600_NS6detail15normal_iteratorINS9_10device_ptrIiEEEENSB_INSC_IjEEEESG_jNS9_4plusIvEENS9_8equal_toIvEEjEE10hipError_tPvRmT2_T3_T4_T5_mT6_T7_P12ihipStream_tbENKUlT_T0_E_clISt17integral_constantIbLb1EES10_IbLb0EEEEDaSW_SX_EUlSW_E_NS1_11comp_targetILNS1_3genE2ELNS1_11target_archE906ELNS1_3gpuE6ELNS1_3repE0EEENS1_30default_config_static_selectorELNS0_4arch9wavefront6targetE1EEEvT1_,comdat
	.protected	_ZN7rocprim17ROCPRIM_400000_NS6detail17trampoline_kernelINS0_14default_configENS1_27scan_by_key_config_selectorIijEEZZNS1_16scan_by_key_implILNS1_25lookback_scan_determinismE0ELb0ES3_N6thrust23THRUST_200600_302600_NS6detail15normal_iteratorINS9_10device_ptrIiEEEENSB_INSC_IjEEEESG_jNS9_4plusIvEENS9_8equal_toIvEEjEE10hipError_tPvRmT2_T3_T4_T5_mT6_T7_P12ihipStream_tbENKUlT_T0_E_clISt17integral_constantIbLb1EES10_IbLb0EEEEDaSW_SX_EUlSW_E_NS1_11comp_targetILNS1_3genE2ELNS1_11target_archE906ELNS1_3gpuE6ELNS1_3repE0EEENS1_30default_config_static_selectorELNS0_4arch9wavefront6targetE1EEEvT1_ ; -- Begin function _ZN7rocprim17ROCPRIM_400000_NS6detail17trampoline_kernelINS0_14default_configENS1_27scan_by_key_config_selectorIijEEZZNS1_16scan_by_key_implILNS1_25lookback_scan_determinismE0ELb0ES3_N6thrust23THRUST_200600_302600_NS6detail15normal_iteratorINS9_10device_ptrIiEEEENSB_INSC_IjEEEESG_jNS9_4plusIvEENS9_8equal_toIvEEjEE10hipError_tPvRmT2_T3_T4_T5_mT6_T7_P12ihipStream_tbENKUlT_T0_E_clISt17integral_constantIbLb1EES10_IbLb0EEEEDaSW_SX_EUlSW_E_NS1_11comp_targetILNS1_3genE2ELNS1_11target_archE906ELNS1_3gpuE6ELNS1_3repE0EEENS1_30default_config_static_selectorELNS0_4arch9wavefront6targetE1EEEvT1_
	.globl	_ZN7rocprim17ROCPRIM_400000_NS6detail17trampoline_kernelINS0_14default_configENS1_27scan_by_key_config_selectorIijEEZZNS1_16scan_by_key_implILNS1_25lookback_scan_determinismE0ELb0ES3_N6thrust23THRUST_200600_302600_NS6detail15normal_iteratorINS9_10device_ptrIiEEEENSB_INSC_IjEEEESG_jNS9_4plusIvEENS9_8equal_toIvEEjEE10hipError_tPvRmT2_T3_T4_T5_mT6_T7_P12ihipStream_tbENKUlT_T0_E_clISt17integral_constantIbLb1EES10_IbLb0EEEEDaSW_SX_EUlSW_E_NS1_11comp_targetILNS1_3genE2ELNS1_11target_archE906ELNS1_3gpuE6ELNS1_3repE0EEENS1_30default_config_static_selectorELNS0_4arch9wavefront6targetE1EEEvT1_
	.p2align	8
	.type	_ZN7rocprim17ROCPRIM_400000_NS6detail17trampoline_kernelINS0_14default_configENS1_27scan_by_key_config_selectorIijEEZZNS1_16scan_by_key_implILNS1_25lookback_scan_determinismE0ELb0ES3_N6thrust23THRUST_200600_302600_NS6detail15normal_iteratorINS9_10device_ptrIiEEEENSB_INSC_IjEEEESG_jNS9_4plusIvEENS9_8equal_toIvEEjEE10hipError_tPvRmT2_T3_T4_T5_mT6_T7_P12ihipStream_tbENKUlT_T0_E_clISt17integral_constantIbLb1EES10_IbLb0EEEEDaSW_SX_EUlSW_E_NS1_11comp_targetILNS1_3genE2ELNS1_11target_archE906ELNS1_3gpuE6ELNS1_3repE0EEENS1_30default_config_static_selectorELNS0_4arch9wavefront6targetE1EEEvT1_,@function
_ZN7rocprim17ROCPRIM_400000_NS6detail17trampoline_kernelINS0_14default_configENS1_27scan_by_key_config_selectorIijEEZZNS1_16scan_by_key_implILNS1_25lookback_scan_determinismE0ELb0ES3_N6thrust23THRUST_200600_302600_NS6detail15normal_iteratorINS9_10device_ptrIiEEEENSB_INSC_IjEEEESG_jNS9_4plusIvEENS9_8equal_toIvEEjEE10hipError_tPvRmT2_T3_T4_T5_mT6_T7_P12ihipStream_tbENKUlT_T0_E_clISt17integral_constantIbLb1EES10_IbLb0EEEEDaSW_SX_EUlSW_E_NS1_11comp_targetILNS1_3genE2ELNS1_11target_archE906ELNS1_3gpuE6ELNS1_3repE0EEENS1_30default_config_static_selectorELNS0_4arch9wavefront6targetE1EEEvT1_: ; @_ZN7rocprim17ROCPRIM_400000_NS6detail17trampoline_kernelINS0_14default_configENS1_27scan_by_key_config_selectorIijEEZZNS1_16scan_by_key_implILNS1_25lookback_scan_determinismE0ELb0ES3_N6thrust23THRUST_200600_302600_NS6detail15normal_iteratorINS9_10device_ptrIiEEEENSB_INSC_IjEEEESG_jNS9_4plusIvEENS9_8equal_toIvEEjEE10hipError_tPvRmT2_T3_T4_T5_mT6_T7_P12ihipStream_tbENKUlT_T0_E_clISt17integral_constantIbLb1EES10_IbLb0EEEEDaSW_SX_EUlSW_E_NS1_11comp_targetILNS1_3genE2ELNS1_11target_archE906ELNS1_3gpuE6ELNS1_3repE0EEENS1_30default_config_static_selectorELNS0_4arch9wavefront6targetE1EEEvT1_
; %bb.0:
	.section	.rodata,"a",@progbits
	.p2align	6, 0x0
	.amdhsa_kernel _ZN7rocprim17ROCPRIM_400000_NS6detail17trampoline_kernelINS0_14default_configENS1_27scan_by_key_config_selectorIijEEZZNS1_16scan_by_key_implILNS1_25lookback_scan_determinismE0ELb0ES3_N6thrust23THRUST_200600_302600_NS6detail15normal_iteratorINS9_10device_ptrIiEEEENSB_INSC_IjEEEESG_jNS9_4plusIvEENS9_8equal_toIvEEjEE10hipError_tPvRmT2_T3_T4_T5_mT6_T7_P12ihipStream_tbENKUlT_T0_E_clISt17integral_constantIbLb1EES10_IbLb0EEEEDaSW_SX_EUlSW_E_NS1_11comp_targetILNS1_3genE2ELNS1_11target_archE906ELNS1_3gpuE6ELNS1_3repE0EEENS1_30default_config_static_selectorELNS0_4arch9wavefront6targetE1EEEvT1_
		.amdhsa_group_segment_fixed_size 0
		.amdhsa_private_segment_fixed_size 0
		.amdhsa_kernarg_size 112
		.amdhsa_user_sgpr_count 6
		.amdhsa_user_sgpr_private_segment_buffer 1
		.amdhsa_user_sgpr_dispatch_ptr 0
		.amdhsa_user_sgpr_queue_ptr 0
		.amdhsa_user_sgpr_kernarg_segment_ptr 1
		.amdhsa_user_sgpr_dispatch_id 0
		.amdhsa_user_sgpr_flat_scratch_init 0
		.amdhsa_user_sgpr_kernarg_preload_length 0
		.amdhsa_user_sgpr_kernarg_preload_offset 0
		.amdhsa_user_sgpr_private_segment_size 0
		.amdhsa_uses_dynamic_stack 0
		.amdhsa_system_sgpr_private_segment_wavefront_offset 0
		.amdhsa_system_sgpr_workgroup_id_x 1
		.amdhsa_system_sgpr_workgroup_id_y 0
		.amdhsa_system_sgpr_workgroup_id_z 0
		.amdhsa_system_sgpr_workgroup_info 0
		.amdhsa_system_vgpr_workitem_id 0
		.amdhsa_next_free_vgpr 1
		.amdhsa_next_free_sgpr 0
		.amdhsa_accum_offset 4
		.amdhsa_reserve_vcc 0
		.amdhsa_reserve_flat_scratch 0
		.amdhsa_float_round_mode_32 0
		.amdhsa_float_round_mode_16_64 0
		.amdhsa_float_denorm_mode_32 3
		.amdhsa_float_denorm_mode_16_64 3
		.amdhsa_dx10_clamp 1
		.amdhsa_ieee_mode 1
		.amdhsa_fp16_overflow 0
		.amdhsa_tg_split 0
		.amdhsa_exception_fp_ieee_invalid_op 0
		.amdhsa_exception_fp_denorm_src 0
		.amdhsa_exception_fp_ieee_div_zero 0
		.amdhsa_exception_fp_ieee_overflow 0
		.amdhsa_exception_fp_ieee_underflow 0
		.amdhsa_exception_fp_ieee_inexact 0
		.amdhsa_exception_int_div_zero 0
	.end_amdhsa_kernel
	.section	.text._ZN7rocprim17ROCPRIM_400000_NS6detail17trampoline_kernelINS0_14default_configENS1_27scan_by_key_config_selectorIijEEZZNS1_16scan_by_key_implILNS1_25lookback_scan_determinismE0ELb0ES3_N6thrust23THRUST_200600_302600_NS6detail15normal_iteratorINS9_10device_ptrIiEEEENSB_INSC_IjEEEESG_jNS9_4plusIvEENS9_8equal_toIvEEjEE10hipError_tPvRmT2_T3_T4_T5_mT6_T7_P12ihipStream_tbENKUlT_T0_E_clISt17integral_constantIbLb1EES10_IbLb0EEEEDaSW_SX_EUlSW_E_NS1_11comp_targetILNS1_3genE2ELNS1_11target_archE906ELNS1_3gpuE6ELNS1_3repE0EEENS1_30default_config_static_selectorELNS0_4arch9wavefront6targetE1EEEvT1_,"axG",@progbits,_ZN7rocprim17ROCPRIM_400000_NS6detail17trampoline_kernelINS0_14default_configENS1_27scan_by_key_config_selectorIijEEZZNS1_16scan_by_key_implILNS1_25lookback_scan_determinismE0ELb0ES3_N6thrust23THRUST_200600_302600_NS6detail15normal_iteratorINS9_10device_ptrIiEEEENSB_INSC_IjEEEESG_jNS9_4plusIvEENS9_8equal_toIvEEjEE10hipError_tPvRmT2_T3_T4_T5_mT6_T7_P12ihipStream_tbENKUlT_T0_E_clISt17integral_constantIbLb1EES10_IbLb0EEEEDaSW_SX_EUlSW_E_NS1_11comp_targetILNS1_3genE2ELNS1_11target_archE906ELNS1_3gpuE6ELNS1_3repE0EEENS1_30default_config_static_selectorELNS0_4arch9wavefront6targetE1EEEvT1_,comdat
.Lfunc_end1248:
	.size	_ZN7rocprim17ROCPRIM_400000_NS6detail17trampoline_kernelINS0_14default_configENS1_27scan_by_key_config_selectorIijEEZZNS1_16scan_by_key_implILNS1_25lookback_scan_determinismE0ELb0ES3_N6thrust23THRUST_200600_302600_NS6detail15normal_iteratorINS9_10device_ptrIiEEEENSB_INSC_IjEEEESG_jNS9_4plusIvEENS9_8equal_toIvEEjEE10hipError_tPvRmT2_T3_T4_T5_mT6_T7_P12ihipStream_tbENKUlT_T0_E_clISt17integral_constantIbLb1EES10_IbLb0EEEEDaSW_SX_EUlSW_E_NS1_11comp_targetILNS1_3genE2ELNS1_11target_archE906ELNS1_3gpuE6ELNS1_3repE0EEENS1_30default_config_static_selectorELNS0_4arch9wavefront6targetE1EEEvT1_, .Lfunc_end1248-_ZN7rocprim17ROCPRIM_400000_NS6detail17trampoline_kernelINS0_14default_configENS1_27scan_by_key_config_selectorIijEEZZNS1_16scan_by_key_implILNS1_25lookback_scan_determinismE0ELb0ES3_N6thrust23THRUST_200600_302600_NS6detail15normal_iteratorINS9_10device_ptrIiEEEENSB_INSC_IjEEEESG_jNS9_4plusIvEENS9_8equal_toIvEEjEE10hipError_tPvRmT2_T3_T4_T5_mT6_T7_P12ihipStream_tbENKUlT_T0_E_clISt17integral_constantIbLb1EES10_IbLb0EEEEDaSW_SX_EUlSW_E_NS1_11comp_targetILNS1_3genE2ELNS1_11target_archE906ELNS1_3gpuE6ELNS1_3repE0EEENS1_30default_config_static_selectorELNS0_4arch9wavefront6targetE1EEEvT1_
                                        ; -- End function
	.section	.AMDGPU.csdata,"",@progbits
; Kernel info:
; codeLenInByte = 0
; NumSgprs: 4
; NumVgprs: 0
; NumAgprs: 0
; TotalNumVgprs: 0
; ScratchSize: 0
; MemoryBound: 0
; FloatMode: 240
; IeeeMode: 1
; LDSByteSize: 0 bytes/workgroup (compile time only)
; SGPRBlocks: 0
; VGPRBlocks: 0
; NumSGPRsForWavesPerEU: 4
; NumVGPRsForWavesPerEU: 1
; AccumOffset: 4
; Occupancy: 8
; WaveLimiterHint : 0
; COMPUTE_PGM_RSRC2:SCRATCH_EN: 0
; COMPUTE_PGM_RSRC2:USER_SGPR: 6
; COMPUTE_PGM_RSRC2:TRAP_HANDLER: 0
; COMPUTE_PGM_RSRC2:TGID_X_EN: 1
; COMPUTE_PGM_RSRC2:TGID_Y_EN: 0
; COMPUTE_PGM_RSRC2:TGID_Z_EN: 0
; COMPUTE_PGM_RSRC2:TIDIG_COMP_CNT: 0
; COMPUTE_PGM_RSRC3_GFX90A:ACCUM_OFFSET: 0
; COMPUTE_PGM_RSRC3_GFX90A:TG_SPLIT: 0
	.section	.text._ZN7rocprim17ROCPRIM_400000_NS6detail17trampoline_kernelINS0_14default_configENS1_27scan_by_key_config_selectorIijEEZZNS1_16scan_by_key_implILNS1_25lookback_scan_determinismE0ELb0ES3_N6thrust23THRUST_200600_302600_NS6detail15normal_iteratorINS9_10device_ptrIiEEEENSB_INSC_IjEEEESG_jNS9_4plusIvEENS9_8equal_toIvEEjEE10hipError_tPvRmT2_T3_T4_T5_mT6_T7_P12ihipStream_tbENKUlT_T0_E_clISt17integral_constantIbLb1EES10_IbLb0EEEEDaSW_SX_EUlSW_E_NS1_11comp_targetILNS1_3genE10ELNS1_11target_archE1200ELNS1_3gpuE4ELNS1_3repE0EEENS1_30default_config_static_selectorELNS0_4arch9wavefront6targetE1EEEvT1_,"axG",@progbits,_ZN7rocprim17ROCPRIM_400000_NS6detail17trampoline_kernelINS0_14default_configENS1_27scan_by_key_config_selectorIijEEZZNS1_16scan_by_key_implILNS1_25lookback_scan_determinismE0ELb0ES3_N6thrust23THRUST_200600_302600_NS6detail15normal_iteratorINS9_10device_ptrIiEEEENSB_INSC_IjEEEESG_jNS9_4plusIvEENS9_8equal_toIvEEjEE10hipError_tPvRmT2_T3_T4_T5_mT6_T7_P12ihipStream_tbENKUlT_T0_E_clISt17integral_constantIbLb1EES10_IbLb0EEEEDaSW_SX_EUlSW_E_NS1_11comp_targetILNS1_3genE10ELNS1_11target_archE1200ELNS1_3gpuE4ELNS1_3repE0EEENS1_30default_config_static_selectorELNS0_4arch9wavefront6targetE1EEEvT1_,comdat
	.protected	_ZN7rocprim17ROCPRIM_400000_NS6detail17trampoline_kernelINS0_14default_configENS1_27scan_by_key_config_selectorIijEEZZNS1_16scan_by_key_implILNS1_25lookback_scan_determinismE0ELb0ES3_N6thrust23THRUST_200600_302600_NS6detail15normal_iteratorINS9_10device_ptrIiEEEENSB_INSC_IjEEEESG_jNS9_4plusIvEENS9_8equal_toIvEEjEE10hipError_tPvRmT2_T3_T4_T5_mT6_T7_P12ihipStream_tbENKUlT_T0_E_clISt17integral_constantIbLb1EES10_IbLb0EEEEDaSW_SX_EUlSW_E_NS1_11comp_targetILNS1_3genE10ELNS1_11target_archE1200ELNS1_3gpuE4ELNS1_3repE0EEENS1_30default_config_static_selectorELNS0_4arch9wavefront6targetE1EEEvT1_ ; -- Begin function _ZN7rocprim17ROCPRIM_400000_NS6detail17trampoline_kernelINS0_14default_configENS1_27scan_by_key_config_selectorIijEEZZNS1_16scan_by_key_implILNS1_25lookback_scan_determinismE0ELb0ES3_N6thrust23THRUST_200600_302600_NS6detail15normal_iteratorINS9_10device_ptrIiEEEENSB_INSC_IjEEEESG_jNS9_4plusIvEENS9_8equal_toIvEEjEE10hipError_tPvRmT2_T3_T4_T5_mT6_T7_P12ihipStream_tbENKUlT_T0_E_clISt17integral_constantIbLb1EES10_IbLb0EEEEDaSW_SX_EUlSW_E_NS1_11comp_targetILNS1_3genE10ELNS1_11target_archE1200ELNS1_3gpuE4ELNS1_3repE0EEENS1_30default_config_static_selectorELNS0_4arch9wavefront6targetE1EEEvT1_
	.globl	_ZN7rocprim17ROCPRIM_400000_NS6detail17trampoline_kernelINS0_14default_configENS1_27scan_by_key_config_selectorIijEEZZNS1_16scan_by_key_implILNS1_25lookback_scan_determinismE0ELb0ES3_N6thrust23THRUST_200600_302600_NS6detail15normal_iteratorINS9_10device_ptrIiEEEENSB_INSC_IjEEEESG_jNS9_4plusIvEENS9_8equal_toIvEEjEE10hipError_tPvRmT2_T3_T4_T5_mT6_T7_P12ihipStream_tbENKUlT_T0_E_clISt17integral_constantIbLb1EES10_IbLb0EEEEDaSW_SX_EUlSW_E_NS1_11comp_targetILNS1_3genE10ELNS1_11target_archE1200ELNS1_3gpuE4ELNS1_3repE0EEENS1_30default_config_static_selectorELNS0_4arch9wavefront6targetE1EEEvT1_
	.p2align	8
	.type	_ZN7rocprim17ROCPRIM_400000_NS6detail17trampoline_kernelINS0_14default_configENS1_27scan_by_key_config_selectorIijEEZZNS1_16scan_by_key_implILNS1_25lookback_scan_determinismE0ELb0ES3_N6thrust23THRUST_200600_302600_NS6detail15normal_iteratorINS9_10device_ptrIiEEEENSB_INSC_IjEEEESG_jNS9_4plusIvEENS9_8equal_toIvEEjEE10hipError_tPvRmT2_T3_T4_T5_mT6_T7_P12ihipStream_tbENKUlT_T0_E_clISt17integral_constantIbLb1EES10_IbLb0EEEEDaSW_SX_EUlSW_E_NS1_11comp_targetILNS1_3genE10ELNS1_11target_archE1200ELNS1_3gpuE4ELNS1_3repE0EEENS1_30default_config_static_selectorELNS0_4arch9wavefront6targetE1EEEvT1_,@function
_ZN7rocprim17ROCPRIM_400000_NS6detail17trampoline_kernelINS0_14default_configENS1_27scan_by_key_config_selectorIijEEZZNS1_16scan_by_key_implILNS1_25lookback_scan_determinismE0ELb0ES3_N6thrust23THRUST_200600_302600_NS6detail15normal_iteratorINS9_10device_ptrIiEEEENSB_INSC_IjEEEESG_jNS9_4plusIvEENS9_8equal_toIvEEjEE10hipError_tPvRmT2_T3_T4_T5_mT6_T7_P12ihipStream_tbENKUlT_T0_E_clISt17integral_constantIbLb1EES10_IbLb0EEEEDaSW_SX_EUlSW_E_NS1_11comp_targetILNS1_3genE10ELNS1_11target_archE1200ELNS1_3gpuE4ELNS1_3repE0EEENS1_30default_config_static_selectorELNS0_4arch9wavefront6targetE1EEEvT1_: ; @_ZN7rocprim17ROCPRIM_400000_NS6detail17trampoline_kernelINS0_14default_configENS1_27scan_by_key_config_selectorIijEEZZNS1_16scan_by_key_implILNS1_25lookback_scan_determinismE0ELb0ES3_N6thrust23THRUST_200600_302600_NS6detail15normal_iteratorINS9_10device_ptrIiEEEENSB_INSC_IjEEEESG_jNS9_4plusIvEENS9_8equal_toIvEEjEE10hipError_tPvRmT2_T3_T4_T5_mT6_T7_P12ihipStream_tbENKUlT_T0_E_clISt17integral_constantIbLb1EES10_IbLb0EEEEDaSW_SX_EUlSW_E_NS1_11comp_targetILNS1_3genE10ELNS1_11target_archE1200ELNS1_3gpuE4ELNS1_3repE0EEENS1_30default_config_static_selectorELNS0_4arch9wavefront6targetE1EEEvT1_
; %bb.0:
	.section	.rodata,"a",@progbits
	.p2align	6, 0x0
	.amdhsa_kernel _ZN7rocprim17ROCPRIM_400000_NS6detail17trampoline_kernelINS0_14default_configENS1_27scan_by_key_config_selectorIijEEZZNS1_16scan_by_key_implILNS1_25lookback_scan_determinismE0ELb0ES3_N6thrust23THRUST_200600_302600_NS6detail15normal_iteratorINS9_10device_ptrIiEEEENSB_INSC_IjEEEESG_jNS9_4plusIvEENS9_8equal_toIvEEjEE10hipError_tPvRmT2_T3_T4_T5_mT6_T7_P12ihipStream_tbENKUlT_T0_E_clISt17integral_constantIbLb1EES10_IbLb0EEEEDaSW_SX_EUlSW_E_NS1_11comp_targetILNS1_3genE10ELNS1_11target_archE1200ELNS1_3gpuE4ELNS1_3repE0EEENS1_30default_config_static_selectorELNS0_4arch9wavefront6targetE1EEEvT1_
		.amdhsa_group_segment_fixed_size 0
		.amdhsa_private_segment_fixed_size 0
		.amdhsa_kernarg_size 112
		.amdhsa_user_sgpr_count 6
		.amdhsa_user_sgpr_private_segment_buffer 1
		.amdhsa_user_sgpr_dispatch_ptr 0
		.amdhsa_user_sgpr_queue_ptr 0
		.amdhsa_user_sgpr_kernarg_segment_ptr 1
		.amdhsa_user_sgpr_dispatch_id 0
		.amdhsa_user_sgpr_flat_scratch_init 0
		.amdhsa_user_sgpr_kernarg_preload_length 0
		.amdhsa_user_sgpr_kernarg_preload_offset 0
		.amdhsa_user_sgpr_private_segment_size 0
		.amdhsa_uses_dynamic_stack 0
		.amdhsa_system_sgpr_private_segment_wavefront_offset 0
		.amdhsa_system_sgpr_workgroup_id_x 1
		.amdhsa_system_sgpr_workgroup_id_y 0
		.amdhsa_system_sgpr_workgroup_id_z 0
		.amdhsa_system_sgpr_workgroup_info 0
		.amdhsa_system_vgpr_workitem_id 0
		.amdhsa_next_free_vgpr 1
		.amdhsa_next_free_sgpr 0
		.amdhsa_accum_offset 4
		.amdhsa_reserve_vcc 0
		.amdhsa_reserve_flat_scratch 0
		.amdhsa_float_round_mode_32 0
		.amdhsa_float_round_mode_16_64 0
		.amdhsa_float_denorm_mode_32 3
		.amdhsa_float_denorm_mode_16_64 3
		.amdhsa_dx10_clamp 1
		.amdhsa_ieee_mode 1
		.amdhsa_fp16_overflow 0
		.amdhsa_tg_split 0
		.amdhsa_exception_fp_ieee_invalid_op 0
		.amdhsa_exception_fp_denorm_src 0
		.amdhsa_exception_fp_ieee_div_zero 0
		.amdhsa_exception_fp_ieee_overflow 0
		.amdhsa_exception_fp_ieee_underflow 0
		.amdhsa_exception_fp_ieee_inexact 0
		.amdhsa_exception_int_div_zero 0
	.end_amdhsa_kernel
	.section	.text._ZN7rocprim17ROCPRIM_400000_NS6detail17trampoline_kernelINS0_14default_configENS1_27scan_by_key_config_selectorIijEEZZNS1_16scan_by_key_implILNS1_25lookback_scan_determinismE0ELb0ES3_N6thrust23THRUST_200600_302600_NS6detail15normal_iteratorINS9_10device_ptrIiEEEENSB_INSC_IjEEEESG_jNS9_4plusIvEENS9_8equal_toIvEEjEE10hipError_tPvRmT2_T3_T4_T5_mT6_T7_P12ihipStream_tbENKUlT_T0_E_clISt17integral_constantIbLb1EES10_IbLb0EEEEDaSW_SX_EUlSW_E_NS1_11comp_targetILNS1_3genE10ELNS1_11target_archE1200ELNS1_3gpuE4ELNS1_3repE0EEENS1_30default_config_static_selectorELNS0_4arch9wavefront6targetE1EEEvT1_,"axG",@progbits,_ZN7rocprim17ROCPRIM_400000_NS6detail17trampoline_kernelINS0_14default_configENS1_27scan_by_key_config_selectorIijEEZZNS1_16scan_by_key_implILNS1_25lookback_scan_determinismE0ELb0ES3_N6thrust23THRUST_200600_302600_NS6detail15normal_iteratorINS9_10device_ptrIiEEEENSB_INSC_IjEEEESG_jNS9_4plusIvEENS9_8equal_toIvEEjEE10hipError_tPvRmT2_T3_T4_T5_mT6_T7_P12ihipStream_tbENKUlT_T0_E_clISt17integral_constantIbLb1EES10_IbLb0EEEEDaSW_SX_EUlSW_E_NS1_11comp_targetILNS1_3genE10ELNS1_11target_archE1200ELNS1_3gpuE4ELNS1_3repE0EEENS1_30default_config_static_selectorELNS0_4arch9wavefront6targetE1EEEvT1_,comdat
.Lfunc_end1249:
	.size	_ZN7rocprim17ROCPRIM_400000_NS6detail17trampoline_kernelINS0_14default_configENS1_27scan_by_key_config_selectorIijEEZZNS1_16scan_by_key_implILNS1_25lookback_scan_determinismE0ELb0ES3_N6thrust23THRUST_200600_302600_NS6detail15normal_iteratorINS9_10device_ptrIiEEEENSB_INSC_IjEEEESG_jNS9_4plusIvEENS9_8equal_toIvEEjEE10hipError_tPvRmT2_T3_T4_T5_mT6_T7_P12ihipStream_tbENKUlT_T0_E_clISt17integral_constantIbLb1EES10_IbLb0EEEEDaSW_SX_EUlSW_E_NS1_11comp_targetILNS1_3genE10ELNS1_11target_archE1200ELNS1_3gpuE4ELNS1_3repE0EEENS1_30default_config_static_selectorELNS0_4arch9wavefront6targetE1EEEvT1_, .Lfunc_end1249-_ZN7rocprim17ROCPRIM_400000_NS6detail17trampoline_kernelINS0_14default_configENS1_27scan_by_key_config_selectorIijEEZZNS1_16scan_by_key_implILNS1_25lookback_scan_determinismE0ELb0ES3_N6thrust23THRUST_200600_302600_NS6detail15normal_iteratorINS9_10device_ptrIiEEEENSB_INSC_IjEEEESG_jNS9_4plusIvEENS9_8equal_toIvEEjEE10hipError_tPvRmT2_T3_T4_T5_mT6_T7_P12ihipStream_tbENKUlT_T0_E_clISt17integral_constantIbLb1EES10_IbLb0EEEEDaSW_SX_EUlSW_E_NS1_11comp_targetILNS1_3genE10ELNS1_11target_archE1200ELNS1_3gpuE4ELNS1_3repE0EEENS1_30default_config_static_selectorELNS0_4arch9wavefront6targetE1EEEvT1_
                                        ; -- End function
	.section	.AMDGPU.csdata,"",@progbits
; Kernel info:
; codeLenInByte = 0
; NumSgprs: 4
; NumVgprs: 0
; NumAgprs: 0
; TotalNumVgprs: 0
; ScratchSize: 0
; MemoryBound: 0
; FloatMode: 240
; IeeeMode: 1
; LDSByteSize: 0 bytes/workgroup (compile time only)
; SGPRBlocks: 0
; VGPRBlocks: 0
; NumSGPRsForWavesPerEU: 4
; NumVGPRsForWavesPerEU: 1
; AccumOffset: 4
; Occupancy: 8
; WaveLimiterHint : 0
; COMPUTE_PGM_RSRC2:SCRATCH_EN: 0
; COMPUTE_PGM_RSRC2:USER_SGPR: 6
; COMPUTE_PGM_RSRC2:TRAP_HANDLER: 0
; COMPUTE_PGM_RSRC2:TGID_X_EN: 1
; COMPUTE_PGM_RSRC2:TGID_Y_EN: 0
; COMPUTE_PGM_RSRC2:TGID_Z_EN: 0
; COMPUTE_PGM_RSRC2:TIDIG_COMP_CNT: 0
; COMPUTE_PGM_RSRC3_GFX90A:ACCUM_OFFSET: 0
; COMPUTE_PGM_RSRC3_GFX90A:TG_SPLIT: 0
	.section	.text._ZN7rocprim17ROCPRIM_400000_NS6detail17trampoline_kernelINS0_14default_configENS1_27scan_by_key_config_selectorIijEEZZNS1_16scan_by_key_implILNS1_25lookback_scan_determinismE0ELb0ES3_N6thrust23THRUST_200600_302600_NS6detail15normal_iteratorINS9_10device_ptrIiEEEENSB_INSC_IjEEEESG_jNS9_4plusIvEENS9_8equal_toIvEEjEE10hipError_tPvRmT2_T3_T4_T5_mT6_T7_P12ihipStream_tbENKUlT_T0_E_clISt17integral_constantIbLb1EES10_IbLb0EEEEDaSW_SX_EUlSW_E_NS1_11comp_targetILNS1_3genE9ELNS1_11target_archE1100ELNS1_3gpuE3ELNS1_3repE0EEENS1_30default_config_static_selectorELNS0_4arch9wavefront6targetE1EEEvT1_,"axG",@progbits,_ZN7rocprim17ROCPRIM_400000_NS6detail17trampoline_kernelINS0_14default_configENS1_27scan_by_key_config_selectorIijEEZZNS1_16scan_by_key_implILNS1_25lookback_scan_determinismE0ELb0ES3_N6thrust23THRUST_200600_302600_NS6detail15normal_iteratorINS9_10device_ptrIiEEEENSB_INSC_IjEEEESG_jNS9_4plusIvEENS9_8equal_toIvEEjEE10hipError_tPvRmT2_T3_T4_T5_mT6_T7_P12ihipStream_tbENKUlT_T0_E_clISt17integral_constantIbLb1EES10_IbLb0EEEEDaSW_SX_EUlSW_E_NS1_11comp_targetILNS1_3genE9ELNS1_11target_archE1100ELNS1_3gpuE3ELNS1_3repE0EEENS1_30default_config_static_selectorELNS0_4arch9wavefront6targetE1EEEvT1_,comdat
	.protected	_ZN7rocprim17ROCPRIM_400000_NS6detail17trampoline_kernelINS0_14default_configENS1_27scan_by_key_config_selectorIijEEZZNS1_16scan_by_key_implILNS1_25lookback_scan_determinismE0ELb0ES3_N6thrust23THRUST_200600_302600_NS6detail15normal_iteratorINS9_10device_ptrIiEEEENSB_INSC_IjEEEESG_jNS9_4plusIvEENS9_8equal_toIvEEjEE10hipError_tPvRmT2_T3_T4_T5_mT6_T7_P12ihipStream_tbENKUlT_T0_E_clISt17integral_constantIbLb1EES10_IbLb0EEEEDaSW_SX_EUlSW_E_NS1_11comp_targetILNS1_3genE9ELNS1_11target_archE1100ELNS1_3gpuE3ELNS1_3repE0EEENS1_30default_config_static_selectorELNS0_4arch9wavefront6targetE1EEEvT1_ ; -- Begin function _ZN7rocprim17ROCPRIM_400000_NS6detail17trampoline_kernelINS0_14default_configENS1_27scan_by_key_config_selectorIijEEZZNS1_16scan_by_key_implILNS1_25lookback_scan_determinismE0ELb0ES3_N6thrust23THRUST_200600_302600_NS6detail15normal_iteratorINS9_10device_ptrIiEEEENSB_INSC_IjEEEESG_jNS9_4plusIvEENS9_8equal_toIvEEjEE10hipError_tPvRmT2_T3_T4_T5_mT6_T7_P12ihipStream_tbENKUlT_T0_E_clISt17integral_constantIbLb1EES10_IbLb0EEEEDaSW_SX_EUlSW_E_NS1_11comp_targetILNS1_3genE9ELNS1_11target_archE1100ELNS1_3gpuE3ELNS1_3repE0EEENS1_30default_config_static_selectorELNS0_4arch9wavefront6targetE1EEEvT1_
	.globl	_ZN7rocprim17ROCPRIM_400000_NS6detail17trampoline_kernelINS0_14default_configENS1_27scan_by_key_config_selectorIijEEZZNS1_16scan_by_key_implILNS1_25lookback_scan_determinismE0ELb0ES3_N6thrust23THRUST_200600_302600_NS6detail15normal_iteratorINS9_10device_ptrIiEEEENSB_INSC_IjEEEESG_jNS9_4plusIvEENS9_8equal_toIvEEjEE10hipError_tPvRmT2_T3_T4_T5_mT6_T7_P12ihipStream_tbENKUlT_T0_E_clISt17integral_constantIbLb1EES10_IbLb0EEEEDaSW_SX_EUlSW_E_NS1_11comp_targetILNS1_3genE9ELNS1_11target_archE1100ELNS1_3gpuE3ELNS1_3repE0EEENS1_30default_config_static_selectorELNS0_4arch9wavefront6targetE1EEEvT1_
	.p2align	8
	.type	_ZN7rocprim17ROCPRIM_400000_NS6detail17trampoline_kernelINS0_14default_configENS1_27scan_by_key_config_selectorIijEEZZNS1_16scan_by_key_implILNS1_25lookback_scan_determinismE0ELb0ES3_N6thrust23THRUST_200600_302600_NS6detail15normal_iteratorINS9_10device_ptrIiEEEENSB_INSC_IjEEEESG_jNS9_4plusIvEENS9_8equal_toIvEEjEE10hipError_tPvRmT2_T3_T4_T5_mT6_T7_P12ihipStream_tbENKUlT_T0_E_clISt17integral_constantIbLb1EES10_IbLb0EEEEDaSW_SX_EUlSW_E_NS1_11comp_targetILNS1_3genE9ELNS1_11target_archE1100ELNS1_3gpuE3ELNS1_3repE0EEENS1_30default_config_static_selectorELNS0_4arch9wavefront6targetE1EEEvT1_,@function
_ZN7rocprim17ROCPRIM_400000_NS6detail17trampoline_kernelINS0_14default_configENS1_27scan_by_key_config_selectorIijEEZZNS1_16scan_by_key_implILNS1_25lookback_scan_determinismE0ELb0ES3_N6thrust23THRUST_200600_302600_NS6detail15normal_iteratorINS9_10device_ptrIiEEEENSB_INSC_IjEEEESG_jNS9_4plusIvEENS9_8equal_toIvEEjEE10hipError_tPvRmT2_T3_T4_T5_mT6_T7_P12ihipStream_tbENKUlT_T0_E_clISt17integral_constantIbLb1EES10_IbLb0EEEEDaSW_SX_EUlSW_E_NS1_11comp_targetILNS1_3genE9ELNS1_11target_archE1100ELNS1_3gpuE3ELNS1_3repE0EEENS1_30default_config_static_selectorELNS0_4arch9wavefront6targetE1EEEvT1_: ; @_ZN7rocprim17ROCPRIM_400000_NS6detail17trampoline_kernelINS0_14default_configENS1_27scan_by_key_config_selectorIijEEZZNS1_16scan_by_key_implILNS1_25lookback_scan_determinismE0ELb0ES3_N6thrust23THRUST_200600_302600_NS6detail15normal_iteratorINS9_10device_ptrIiEEEENSB_INSC_IjEEEESG_jNS9_4plusIvEENS9_8equal_toIvEEjEE10hipError_tPvRmT2_T3_T4_T5_mT6_T7_P12ihipStream_tbENKUlT_T0_E_clISt17integral_constantIbLb1EES10_IbLb0EEEEDaSW_SX_EUlSW_E_NS1_11comp_targetILNS1_3genE9ELNS1_11target_archE1100ELNS1_3gpuE3ELNS1_3repE0EEENS1_30default_config_static_selectorELNS0_4arch9wavefront6targetE1EEEvT1_
; %bb.0:
	.section	.rodata,"a",@progbits
	.p2align	6, 0x0
	.amdhsa_kernel _ZN7rocprim17ROCPRIM_400000_NS6detail17trampoline_kernelINS0_14default_configENS1_27scan_by_key_config_selectorIijEEZZNS1_16scan_by_key_implILNS1_25lookback_scan_determinismE0ELb0ES3_N6thrust23THRUST_200600_302600_NS6detail15normal_iteratorINS9_10device_ptrIiEEEENSB_INSC_IjEEEESG_jNS9_4plusIvEENS9_8equal_toIvEEjEE10hipError_tPvRmT2_T3_T4_T5_mT6_T7_P12ihipStream_tbENKUlT_T0_E_clISt17integral_constantIbLb1EES10_IbLb0EEEEDaSW_SX_EUlSW_E_NS1_11comp_targetILNS1_3genE9ELNS1_11target_archE1100ELNS1_3gpuE3ELNS1_3repE0EEENS1_30default_config_static_selectorELNS0_4arch9wavefront6targetE1EEEvT1_
		.amdhsa_group_segment_fixed_size 0
		.amdhsa_private_segment_fixed_size 0
		.amdhsa_kernarg_size 112
		.amdhsa_user_sgpr_count 6
		.amdhsa_user_sgpr_private_segment_buffer 1
		.amdhsa_user_sgpr_dispatch_ptr 0
		.amdhsa_user_sgpr_queue_ptr 0
		.amdhsa_user_sgpr_kernarg_segment_ptr 1
		.amdhsa_user_sgpr_dispatch_id 0
		.amdhsa_user_sgpr_flat_scratch_init 0
		.amdhsa_user_sgpr_kernarg_preload_length 0
		.amdhsa_user_sgpr_kernarg_preload_offset 0
		.amdhsa_user_sgpr_private_segment_size 0
		.amdhsa_uses_dynamic_stack 0
		.amdhsa_system_sgpr_private_segment_wavefront_offset 0
		.amdhsa_system_sgpr_workgroup_id_x 1
		.amdhsa_system_sgpr_workgroup_id_y 0
		.amdhsa_system_sgpr_workgroup_id_z 0
		.amdhsa_system_sgpr_workgroup_info 0
		.amdhsa_system_vgpr_workitem_id 0
		.amdhsa_next_free_vgpr 1
		.amdhsa_next_free_sgpr 0
		.amdhsa_accum_offset 4
		.amdhsa_reserve_vcc 0
		.amdhsa_reserve_flat_scratch 0
		.amdhsa_float_round_mode_32 0
		.amdhsa_float_round_mode_16_64 0
		.amdhsa_float_denorm_mode_32 3
		.amdhsa_float_denorm_mode_16_64 3
		.amdhsa_dx10_clamp 1
		.amdhsa_ieee_mode 1
		.amdhsa_fp16_overflow 0
		.amdhsa_tg_split 0
		.amdhsa_exception_fp_ieee_invalid_op 0
		.amdhsa_exception_fp_denorm_src 0
		.amdhsa_exception_fp_ieee_div_zero 0
		.amdhsa_exception_fp_ieee_overflow 0
		.amdhsa_exception_fp_ieee_underflow 0
		.amdhsa_exception_fp_ieee_inexact 0
		.amdhsa_exception_int_div_zero 0
	.end_amdhsa_kernel
	.section	.text._ZN7rocprim17ROCPRIM_400000_NS6detail17trampoline_kernelINS0_14default_configENS1_27scan_by_key_config_selectorIijEEZZNS1_16scan_by_key_implILNS1_25lookback_scan_determinismE0ELb0ES3_N6thrust23THRUST_200600_302600_NS6detail15normal_iteratorINS9_10device_ptrIiEEEENSB_INSC_IjEEEESG_jNS9_4plusIvEENS9_8equal_toIvEEjEE10hipError_tPvRmT2_T3_T4_T5_mT6_T7_P12ihipStream_tbENKUlT_T0_E_clISt17integral_constantIbLb1EES10_IbLb0EEEEDaSW_SX_EUlSW_E_NS1_11comp_targetILNS1_3genE9ELNS1_11target_archE1100ELNS1_3gpuE3ELNS1_3repE0EEENS1_30default_config_static_selectorELNS0_4arch9wavefront6targetE1EEEvT1_,"axG",@progbits,_ZN7rocprim17ROCPRIM_400000_NS6detail17trampoline_kernelINS0_14default_configENS1_27scan_by_key_config_selectorIijEEZZNS1_16scan_by_key_implILNS1_25lookback_scan_determinismE0ELb0ES3_N6thrust23THRUST_200600_302600_NS6detail15normal_iteratorINS9_10device_ptrIiEEEENSB_INSC_IjEEEESG_jNS9_4plusIvEENS9_8equal_toIvEEjEE10hipError_tPvRmT2_T3_T4_T5_mT6_T7_P12ihipStream_tbENKUlT_T0_E_clISt17integral_constantIbLb1EES10_IbLb0EEEEDaSW_SX_EUlSW_E_NS1_11comp_targetILNS1_3genE9ELNS1_11target_archE1100ELNS1_3gpuE3ELNS1_3repE0EEENS1_30default_config_static_selectorELNS0_4arch9wavefront6targetE1EEEvT1_,comdat
.Lfunc_end1250:
	.size	_ZN7rocprim17ROCPRIM_400000_NS6detail17trampoline_kernelINS0_14default_configENS1_27scan_by_key_config_selectorIijEEZZNS1_16scan_by_key_implILNS1_25lookback_scan_determinismE0ELb0ES3_N6thrust23THRUST_200600_302600_NS6detail15normal_iteratorINS9_10device_ptrIiEEEENSB_INSC_IjEEEESG_jNS9_4plusIvEENS9_8equal_toIvEEjEE10hipError_tPvRmT2_T3_T4_T5_mT6_T7_P12ihipStream_tbENKUlT_T0_E_clISt17integral_constantIbLb1EES10_IbLb0EEEEDaSW_SX_EUlSW_E_NS1_11comp_targetILNS1_3genE9ELNS1_11target_archE1100ELNS1_3gpuE3ELNS1_3repE0EEENS1_30default_config_static_selectorELNS0_4arch9wavefront6targetE1EEEvT1_, .Lfunc_end1250-_ZN7rocprim17ROCPRIM_400000_NS6detail17trampoline_kernelINS0_14default_configENS1_27scan_by_key_config_selectorIijEEZZNS1_16scan_by_key_implILNS1_25lookback_scan_determinismE0ELb0ES3_N6thrust23THRUST_200600_302600_NS6detail15normal_iteratorINS9_10device_ptrIiEEEENSB_INSC_IjEEEESG_jNS9_4plusIvEENS9_8equal_toIvEEjEE10hipError_tPvRmT2_T3_T4_T5_mT6_T7_P12ihipStream_tbENKUlT_T0_E_clISt17integral_constantIbLb1EES10_IbLb0EEEEDaSW_SX_EUlSW_E_NS1_11comp_targetILNS1_3genE9ELNS1_11target_archE1100ELNS1_3gpuE3ELNS1_3repE0EEENS1_30default_config_static_selectorELNS0_4arch9wavefront6targetE1EEEvT1_
                                        ; -- End function
	.section	.AMDGPU.csdata,"",@progbits
; Kernel info:
; codeLenInByte = 0
; NumSgprs: 4
; NumVgprs: 0
; NumAgprs: 0
; TotalNumVgprs: 0
; ScratchSize: 0
; MemoryBound: 0
; FloatMode: 240
; IeeeMode: 1
; LDSByteSize: 0 bytes/workgroup (compile time only)
; SGPRBlocks: 0
; VGPRBlocks: 0
; NumSGPRsForWavesPerEU: 4
; NumVGPRsForWavesPerEU: 1
; AccumOffset: 4
; Occupancy: 8
; WaveLimiterHint : 0
; COMPUTE_PGM_RSRC2:SCRATCH_EN: 0
; COMPUTE_PGM_RSRC2:USER_SGPR: 6
; COMPUTE_PGM_RSRC2:TRAP_HANDLER: 0
; COMPUTE_PGM_RSRC2:TGID_X_EN: 1
; COMPUTE_PGM_RSRC2:TGID_Y_EN: 0
; COMPUTE_PGM_RSRC2:TGID_Z_EN: 0
; COMPUTE_PGM_RSRC2:TIDIG_COMP_CNT: 0
; COMPUTE_PGM_RSRC3_GFX90A:ACCUM_OFFSET: 0
; COMPUTE_PGM_RSRC3_GFX90A:TG_SPLIT: 0
	.section	.text._ZN7rocprim17ROCPRIM_400000_NS6detail17trampoline_kernelINS0_14default_configENS1_27scan_by_key_config_selectorIijEEZZNS1_16scan_by_key_implILNS1_25lookback_scan_determinismE0ELb0ES3_N6thrust23THRUST_200600_302600_NS6detail15normal_iteratorINS9_10device_ptrIiEEEENSB_INSC_IjEEEESG_jNS9_4plusIvEENS9_8equal_toIvEEjEE10hipError_tPvRmT2_T3_T4_T5_mT6_T7_P12ihipStream_tbENKUlT_T0_E_clISt17integral_constantIbLb1EES10_IbLb0EEEEDaSW_SX_EUlSW_E_NS1_11comp_targetILNS1_3genE8ELNS1_11target_archE1030ELNS1_3gpuE2ELNS1_3repE0EEENS1_30default_config_static_selectorELNS0_4arch9wavefront6targetE1EEEvT1_,"axG",@progbits,_ZN7rocprim17ROCPRIM_400000_NS6detail17trampoline_kernelINS0_14default_configENS1_27scan_by_key_config_selectorIijEEZZNS1_16scan_by_key_implILNS1_25lookback_scan_determinismE0ELb0ES3_N6thrust23THRUST_200600_302600_NS6detail15normal_iteratorINS9_10device_ptrIiEEEENSB_INSC_IjEEEESG_jNS9_4plusIvEENS9_8equal_toIvEEjEE10hipError_tPvRmT2_T3_T4_T5_mT6_T7_P12ihipStream_tbENKUlT_T0_E_clISt17integral_constantIbLb1EES10_IbLb0EEEEDaSW_SX_EUlSW_E_NS1_11comp_targetILNS1_3genE8ELNS1_11target_archE1030ELNS1_3gpuE2ELNS1_3repE0EEENS1_30default_config_static_selectorELNS0_4arch9wavefront6targetE1EEEvT1_,comdat
	.protected	_ZN7rocprim17ROCPRIM_400000_NS6detail17trampoline_kernelINS0_14default_configENS1_27scan_by_key_config_selectorIijEEZZNS1_16scan_by_key_implILNS1_25lookback_scan_determinismE0ELb0ES3_N6thrust23THRUST_200600_302600_NS6detail15normal_iteratorINS9_10device_ptrIiEEEENSB_INSC_IjEEEESG_jNS9_4plusIvEENS9_8equal_toIvEEjEE10hipError_tPvRmT2_T3_T4_T5_mT6_T7_P12ihipStream_tbENKUlT_T0_E_clISt17integral_constantIbLb1EES10_IbLb0EEEEDaSW_SX_EUlSW_E_NS1_11comp_targetILNS1_3genE8ELNS1_11target_archE1030ELNS1_3gpuE2ELNS1_3repE0EEENS1_30default_config_static_selectorELNS0_4arch9wavefront6targetE1EEEvT1_ ; -- Begin function _ZN7rocprim17ROCPRIM_400000_NS6detail17trampoline_kernelINS0_14default_configENS1_27scan_by_key_config_selectorIijEEZZNS1_16scan_by_key_implILNS1_25lookback_scan_determinismE0ELb0ES3_N6thrust23THRUST_200600_302600_NS6detail15normal_iteratorINS9_10device_ptrIiEEEENSB_INSC_IjEEEESG_jNS9_4plusIvEENS9_8equal_toIvEEjEE10hipError_tPvRmT2_T3_T4_T5_mT6_T7_P12ihipStream_tbENKUlT_T0_E_clISt17integral_constantIbLb1EES10_IbLb0EEEEDaSW_SX_EUlSW_E_NS1_11comp_targetILNS1_3genE8ELNS1_11target_archE1030ELNS1_3gpuE2ELNS1_3repE0EEENS1_30default_config_static_selectorELNS0_4arch9wavefront6targetE1EEEvT1_
	.globl	_ZN7rocprim17ROCPRIM_400000_NS6detail17trampoline_kernelINS0_14default_configENS1_27scan_by_key_config_selectorIijEEZZNS1_16scan_by_key_implILNS1_25lookback_scan_determinismE0ELb0ES3_N6thrust23THRUST_200600_302600_NS6detail15normal_iteratorINS9_10device_ptrIiEEEENSB_INSC_IjEEEESG_jNS9_4plusIvEENS9_8equal_toIvEEjEE10hipError_tPvRmT2_T3_T4_T5_mT6_T7_P12ihipStream_tbENKUlT_T0_E_clISt17integral_constantIbLb1EES10_IbLb0EEEEDaSW_SX_EUlSW_E_NS1_11comp_targetILNS1_3genE8ELNS1_11target_archE1030ELNS1_3gpuE2ELNS1_3repE0EEENS1_30default_config_static_selectorELNS0_4arch9wavefront6targetE1EEEvT1_
	.p2align	8
	.type	_ZN7rocprim17ROCPRIM_400000_NS6detail17trampoline_kernelINS0_14default_configENS1_27scan_by_key_config_selectorIijEEZZNS1_16scan_by_key_implILNS1_25lookback_scan_determinismE0ELb0ES3_N6thrust23THRUST_200600_302600_NS6detail15normal_iteratorINS9_10device_ptrIiEEEENSB_INSC_IjEEEESG_jNS9_4plusIvEENS9_8equal_toIvEEjEE10hipError_tPvRmT2_T3_T4_T5_mT6_T7_P12ihipStream_tbENKUlT_T0_E_clISt17integral_constantIbLb1EES10_IbLb0EEEEDaSW_SX_EUlSW_E_NS1_11comp_targetILNS1_3genE8ELNS1_11target_archE1030ELNS1_3gpuE2ELNS1_3repE0EEENS1_30default_config_static_selectorELNS0_4arch9wavefront6targetE1EEEvT1_,@function
_ZN7rocprim17ROCPRIM_400000_NS6detail17trampoline_kernelINS0_14default_configENS1_27scan_by_key_config_selectorIijEEZZNS1_16scan_by_key_implILNS1_25lookback_scan_determinismE0ELb0ES3_N6thrust23THRUST_200600_302600_NS6detail15normal_iteratorINS9_10device_ptrIiEEEENSB_INSC_IjEEEESG_jNS9_4plusIvEENS9_8equal_toIvEEjEE10hipError_tPvRmT2_T3_T4_T5_mT6_T7_P12ihipStream_tbENKUlT_T0_E_clISt17integral_constantIbLb1EES10_IbLb0EEEEDaSW_SX_EUlSW_E_NS1_11comp_targetILNS1_3genE8ELNS1_11target_archE1030ELNS1_3gpuE2ELNS1_3repE0EEENS1_30default_config_static_selectorELNS0_4arch9wavefront6targetE1EEEvT1_: ; @_ZN7rocprim17ROCPRIM_400000_NS6detail17trampoline_kernelINS0_14default_configENS1_27scan_by_key_config_selectorIijEEZZNS1_16scan_by_key_implILNS1_25lookback_scan_determinismE0ELb0ES3_N6thrust23THRUST_200600_302600_NS6detail15normal_iteratorINS9_10device_ptrIiEEEENSB_INSC_IjEEEESG_jNS9_4plusIvEENS9_8equal_toIvEEjEE10hipError_tPvRmT2_T3_T4_T5_mT6_T7_P12ihipStream_tbENKUlT_T0_E_clISt17integral_constantIbLb1EES10_IbLb0EEEEDaSW_SX_EUlSW_E_NS1_11comp_targetILNS1_3genE8ELNS1_11target_archE1030ELNS1_3gpuE2ELNS1_3repE0EEENS1_30default_config_static_selectorELNS0_4arch9wavefront6targetE1EEEvT1_
; %bb.0:
	.section	.rodata,"a",@progbits
	.p2align	6, 0x0
	.amdhsa_kernel _ZN7rocprim17ROCPRIM_400000_NS6detail17trampoline_kernelINS0_14default_configENS1_27scan_by_key_config_selectorIijEEZZNS1_16scan_by_key_implILNS1_25lookback_scan_determinismE0ELb0ES3_N6thrust23THRUST_200600_302600_NS6detail15normal_iteratorINS9_10device_ptrIiEEEENSB_INSC_IjEEEESG_jNS9_4plusIvEENS9_8equal_toIvEEjEE10hipError_tPvRmT2_T3_T4_T5_mT6_T7_P12ihipStream_tbENKUlT_T0_E_clISt17integral_constantIbLb1EES10_IbLb0EEEEDaSW_SX_EUlSW_E_NS1_11comp_targetILNS1_3genE8ELNS1_11target_archE1030ELNS1_3gpuE2ELNS1_3repE0EEENS1_30default_config_static_selectorELNS0_4arch9wavefront6targetE1EEEvT1_
		.amdhsa_group_segment_fixed_size 0
		.amdhsa_private_segment_fixed_size 0
		.amdhsa_kernarg_size 112
		.amdhsa_user_sgpr_count 6
		.amdhsa_user_sgpr_private_segment_buffer 1
		.amdhsa_user_sgpr_dispatch_ptr 0
		.amdhsa_user_sgpr_queue_ptr 0
		.amdhsa_user_sgpr_kernarg_segment_ptr 1
		.amdhsa_user_sgpr_dispatch_id 0
		.amdhsa_user_sgpr_flat_scratch_init 0
		.amdhsa_user_sgpr_kernarg_preload_length 0
		.amdhsa_user_sgpr_kernarg_preload_offset 0
		.amdhsa_user_sgpr_private_segment_size 0
		.amdhsa_uses_dynamic_stack 0
		.amdhsa_system_sgpr_private_segment_wavefront_offset 0
		.amdhsa_system_sgpr_workgroup_id_x 1
		.amdhsa_system_sgpr_workgroup_id_y 0
		.amdhsa_system_sgpr_workgroup_id_z 0
		.amdhsa_system_sgpr_workgroup_info 0
		.amdhsa_system_vgpr_workitem_id 0
		.amdhsa_next_free_vgpr 1
		.amdhsa_next_free_sgpr 0
		.amdhsa_accum_offset 4
		.amdhsa_reserve_vcc 0
		.amdhsa_reserve_flat_scratch 0
		.amdhsa_float_round_mode_32 0
		.amdhsa_float_round_mode_16_64 0
		.amdhsa_float_denorm_mode_32 3
		.amdhsa_float_denorm_mode_16_64 3
		.amdhsa_dx10_clamp 1
		.amdhsa_ieee_mode 1
		.amdhsa_fp16_overflow 0
		.amdhsa_tg_split 0
		.amdhsa_exception_fp_ieee_invalid_op 0
		.amdhsa_exception_fp_denorm_src 0
		.amdhsa_exception_fp_ieee_div_zero 0
		.amdhsa_exception_fp_ieee_overflow 0
		.amdhsa_exception_fp_ieee_underflow 0
		.amdhsa_exception_fp_ieee_inexact 0
		.amdhsa_exception_int_div_zero 0
	.end_amdhsa_kernel
	.section	.text._ZN7rocprim17ROCPRIM_400000_NS6detail17trampoline_kernelINS0_14default_configENS1_27scan_by_key_config_selectorIijEEZZNS1_16scan_by_key_implILNS1_25lookback_scan_determinismE0ELb0ES3_N6thrust23THRUST_200600_302600_NS6detail15normal_iteratorINS9_10device_ptrIiEEEENSB_INSC_IjEEEESG_jNS9_4plusIvEENS9_8equal_toIvEEjEE10hipError_tPvRmT2_T3_T4_T5_mT6_T7_P12ihipStream_tbENKUlT_T0_E_clISt17integral_constantIbLb1EES10_IbLb0EEEEDaSW_SX_EUlSW_E_NS1_11comp_targetILNS1_3genE8ELNS1_11target_archE1030ELNS1_3gpuE2ELNS1_3repE0EEENS1_30default_config_static_selectorELNS0_4arch9wavefront6targetE1EEEvT1_,"axG",@progbits,_ZN7rocprim17ROCPRIM_400000_NS6detail17trampoline_kernelINS0_14default_configENS1_27scan_by_key_config_selectorIijEEZZNS1_16scan_by_key_implILNS1_25lookback_scan_determinismE0ELb0ES3_N6thrust23THRUST_200600_302600_NS6detail15normal_iteratorINS9_10device_ptrIiEEEENSB_INSC_IjEEEESG_jNS9_4plusIvEENS9_8equal_toIvEEjEE10hipError_tPvRmT2_T3_T4_T5_mT6_T7_P12ihipStream_tbENKUlT_T0_E_clISt17integral_constantIbLb1EES10_IbLb0EEEEDaSW_SX_EUlSW_E_NS1_11comp_targetILNS1_3genE8ELNS1_11target_archE1030ELNS1_3gpuE2ELNS1_3repE0EEENS1_30default_config_static_selectorELNS0_4arch9wavefront6targetE1EEEvT1_,comdat
.Lfunc_end1251:
	.size	_ZN7rocprim17ROCPRIM_400000_NS6detail17trampoline_kernelINS0_14default_configENS1_27scan_by_key_config_selectorIijEEZZNS1_16scan_by_key_implILNS1_25lookback_scan_determinismE0ELb0ES3_N6thrust23THRUST_200600_302600_NS6detail15normal_iteratorINS9_10device_ptrIiEEEENSB_INSC_IjEEEESG_jNS9_4plusIvEENS9_8equal_toIvEEjEE10hipError_tPvRmT2_T3_T4_T5_mT6_T7_P12ihipStream_tbENKUlT_T0_E_clISt17integral_constantIbLb1EES10_IbLb0EEEEDaSW_SX_EUlSW_E_NS1_11comp_targetILNS1_3genE8ELNS1_11target_archE1030ELNS1_3gpuE2ELNS1_3repE0EEENS1_30default_config_static_selectorELNS0_4arch9wavefront6targetE1EEEvT1_, .Lfunc_end1251-_ZN7rocprim17ROCPRIM_400000_NS6detail17trampoline_kernelINS0_14default_configENS1_27scan_by_key_config_selectorIijEEZZNS1_16scan_by_key_implILNS1_25lookback_scan_determinismE0ELb0ES3_N6thrust23THRUST_200600_302600_NS6detail15normal_iteratorINS9_10device_ptrIiEEEENSB_INSC_IjEEEESG_jNS9_4plusIvEENS9_8equal_toIvEEjEE10hipError_tPvRmT2_T3_T4_T5_mT6_T7_P12ihipStream_tbENKUlT_T0_E_clISt17integral_constantIbLb1EES10_IbLb0EEEEDaSW_SX_EUlSW_E_NS1_11comp_targetILNS1_3genE8ELNS1_11target_archE1030ELNS1_3gpuE2ELNS1_3repE0EEENS1_30default_config_static_selectorELNS0_4arch9wavefront6targetE1EEEvT1_
                                        ; -- End function
	.section	.AMDGPU.csdata,"",@progbits
; Kernel info:
; codeLenInByte = 0
; NumSgprs: 4
; NumVgprs: 0
; NumAgprs: 0
; TotalNumVgprs: 0
; ScratchSize: 0
; MemoryBound: 0
; FloatMode: 240
; IeeeMode: 1
; LDSByteSize: 0 bytes/workgroup (compile time only)
; SGPRBlocks: 0
; VGPRBlocks: 0
; NumSGPRsForWavesPerEU: 4
; NumVGPRsForWavesPerEU: 1
; AccumOffset: 4
; Occupancy: 8
; WaveLimiterHint : 0
; COMPUTE_PGM_RSRC2:SCRATCH_EN: 0
; COMPUTE_PGM_RSRC2:USER_SGPR: 6
; COMPUTE_PGM_RSRC2:TRAP_HANDLER: 0
; COMPUTE_PGM_RSRC2:TGID_X_EN: 1
; COMPUTE_PGM_RSRC2:TGID_Y_EN: 0
; COMPUTE_PGM_RSRC2:TGID_Z_EN: 0
; COMPUTE_PGM_RSRC2:TIDIG_COMP_CNT: 0
; COMPUTE_PGM_RSRC3_GFX90A:ACCUM_OFFSET: 0
; COMPUTE_PGM_RSRC3_GFX90A:TG_SPLIT: 0
	.section	.text._ZN7rocprim17ROCPRIM_400000_NS6detail30init_device_scan_by_key_kernelINS1_19lookback_scan_stateINS0_5tupleIJjbEEELb0ELb1EEEN6thrust23THRUST_200600_302600_NS6detail15normal_iteratorINS8_10device_ptrIiEEEEjNS1_16block_id_wrapperIjLb1EEEEEvT_jjPNSG_10value_typeET0_PNSt15iterator_traitsISJ_E10value_typeEmT1_T2_,"axG",@progbits,_ZN7rocprim17ROCPRIM_400000_NS6detail30init_device_scan_by_key_kernelINS1_19lookback_scan_stateINS0_5tupleIJjbEEELb0ELb1EEEN6thrust23THRUST_200600_302600_NS6detail15normal_iteratorINS8_10device_ptrIiEEEEjNS1_16block_id_wrapperIjLb1EEEEEvT_jjPNSG_10value_typeET0_PNSt15iterator_traitsISJ_E10value_typeEmT1_T2_,comdat
	.protected	_ZN7rocprim17ROCPRIM_400000_NS6detail30init_device_scan_by_key_kernelINS1_19lookback_scan_stateINS0_5tupleIJjbEEELb0ELb1EEEN6thrust23THRUST_200600_302600_NS6detail15normal_iteratorINS8_10device_ptrIiEEEEjNS1_16block_id_wrapperIjLb1EEEEEvT_jjPNSG_10value_typeET0_PNSt15iterator_traitsISJ_E10value_typeEmT1_T2_ ; -- Begin function _ZN7rocprim17ROCPRIM_400000_NS6detail30init_device_scan_by_key_kernelINS1_19lookback_scan_stateINS0_5tupleIJjbEEELb0ELb1EEEN6thrust23THRUST_200600_302600_NS6detail15normal_iteratorINS8_10device_ptrIiEEEEjNS1_16block_id_wrapperIjLb1EEEEEvT_jjPNSG_10value_typeET0_PNSt15iterator_traitsISJ_E10value_typeEmT1_T2_
	.globl	_ZN7rocprim17ROCPRIM_400000_NS6detail30init_device_scan_by_key_kernelINS1_19lookback_scan_stateINS0_5tupleIJjbEEELb0ELb1EEEN6thrust23THRUST_200600_302600_NS6detail15normal_iteratorINS8_10device_ptrIiEEEEjNS1_16block_id_wrapperIjLb1EEEEEvT_jjPNSG_10value_typeET0_PNSt15iterator_traitsISJ_E10value_typeEmT1_T2_
	.p2align	8
	.type	_ZN7rocprim17ROCPRIM_400000_NS6detail30init_device_scan_by_key_kernelINS1_19lookback_scan_stateINS0_5tupleIJjbEEELb0ELb1EEEN6thrust23THRUST_200600_302600_NS6detail15normal_iteratorINS8_10device_ptrIiEEEEjNS1_16block_id_wrapperIjLb1EEEEEvT_jjPNSG_10value_typeET0_PNSt15iterator_traitsISJ_E10value_typeEmT1_T2_,@function
_ZN7rocprim17ROCPRIM_400000_NS6detail30init_device_scan_by_key_kernelINS1_19lookback_scan_stateINS0_5tupleIJjbEEELb0ELb1EEEN6thrust23THRUST_200600_302600_NS6detail15normal_iteratorINS8_10device_ptrIiEEEEjNS1_16block_id_wrapperIjLb1EEEEEvT_jjPNSG_10value_typeET0_PNSt15iterator_traitsISJ_E10value_typeEmT1_T2_: ; @_ZN7rocprim17ROCPRIM_400000_NS6detail30init_device_scan_by_key_kernelINS1_19lookback_scan_stateINS0_5tupleIJjbEEELb0ELb1EEEN6thrust23THRUST_200600_302600_NS6detail15normal_iteratorINS8_10device_ptrIiEEEEjNS1_16block_id_wrapperIjLb1EEEEEvT_jjPNSG_10value_typeET0_PNSt15iterator_traitsISJ_E10value_typeEmT1_T2_
; %bb.0:
	s_load_dword s0, s[4:5], 0x4c
	s_load_dwordx8 s[8:15], s[4:5], 0x0
	s_load_dword s18, s[4:5], 0x40
	s_waitcnt lgkmcnt(0)
	s_and_b32 s19, s0, 0xffff
	s_mul_i32 s6, s6, s19
	s_cmp_eq_u64 s[12:13], 0
	v_add_u32_e32 v4, s6, v0
	s_cbranch_scc1 .LBB1252_8
; %bb.1:
	s_cmp_lt_u32 s11, s10
	s_cselect_b32 s0, s11, 0
	s_mov_b32 s3, 0
	v_cmp_eq_u32_e32 vcc, s0, v4
	s_and_saveexec_b64 s[0:1], vcc
	s_cbranch_execz .LBB1252_7
; %bb.2:
	s_add_i32 s2, s11, 64
	s_lshl_b64 s[2:3], s[2:3], 4
	s_add_u32 s16, s8, s2
	s_addc_u32 s17, s9, s3
	v_pk_mov_b32 v[0:1], s[16:17], s[16:17] op_sel:[0,1]
	;;#ASMSTART
	global_load_dwordx4 v[0:3], v[0:1] off glc	
s_waitcnt vmcnt(0)
	;;#ASMEND
	v_mov_b32_e32 v7, 0
	v_and_b32_e32 v6, 0xff, v2
	s_mov_b64 s[6:7], 0
	v_cmp_eq_u64_e32 vcc, 0, v[6:7]
	s_and_saveexec_b64 s[2:3], vcc
	s_cbranch_execz .LBB1252_6
; %bb.3:
	v_pk_mov_b32 v[8:9], s[16:17], s[16:17] op_sel:[0,1]
.LBB1252_4:                             ; =>This Inner Loop Header: Depth=1
	;;#ASMSTART
	global_load_dwordx4 v[0:3], v[8:9] off glc	
s_waitcnt vmcnt(0)
	;;#ASMEND
	v_and_b32_e32 v6, 0xff, v2
	v_cmp_ne_u64_e32 vcc, 0, v[6:7]
	s_or_b64 s[6:7], vcc, s[6:7]
	s_andn2_b64 exec, exec, s[6:7]
	s_cbranch_execnz .LBB1252_4
; %bb.5:
	s_or_b64 exec, exec, s[6:7]
.LBB1252_6:
	s_or_b64 exec, exec, s[2:3]
	v_mov_b32_e32 v2, 0
	global_store_dword v2, v0, s[12:13]
	global_store_byte v2, v1, s[12:13] offset:4
.LBB1252_7:
	s_or_b64 exec, exec, s[0:1]
.LBB1252_8:
	v_cmp_eq_u32_e32 vcc, 0, v4
	s_and_saveexec_b64 s[0:1], vcc
	s_cbranch_execz .LBB1252_10
; %bb.9:
	s_load_dwordx2 s[2:3], s[4:5], 0x38
	v_mov_b32_e32 v0, 0
	s_waitcnt lgkmcnt(0)
	global_store_dword v0, v0, s[2:3]
.LBB1252_10:
	s_or_b64 exec, exec, s[0:1]
	v_cmp_gt_u32_e32 vcc, s10, v4
	s_and_saveexec_b64 s[0:1], vcc
	s_cbranch_execz .LBB1252_12
; %bb.11:
	v_add_u32_e32 v0, 64, v4
	v_mov_b32_e32 v1, 0
	v_lshlrev_b64 v[2:3], 4, v[0:1]
	v_mov_b32_e32 v0, s9
	v_add_co_u32_e32 v6, vcc, s8, v2
	v_addc_co_u32_e32 v7, vcc, v0, v3, vcc
	v_mov_b32_e32 v0, v1
	v_mov_b32_e32 v2, v1
	;; [unrolled: 1-line block ×3, first 2 shown]
	global_store_dwordx4 v[6:7], v[0:3], off
.LBB1252_12:
	s_or_b64 exec, exec, s[0:1]
	v_cmp_gt_u32_e32 vcc, 64, v4
	v_mov_b32_e32 v5, 0
	s_and_saveexec_b64 s[0:1], vcc
	s_cbranch_execz .LBB1252_14
; %bb.13:
	v_lshlrev_b64 v[0:1], 4, v[4:5]
	v_mov_b32_e32 v2, s9
	v_add_co_u32_e32 v6, vcc, s8, v0
	v_addc_co_u32_e32 v7, vcc, v2, v1, vcc
	v_mov_b32_e32 v2, 0xff
	v_mov_b32_e32 v0, v5
	;; [unrolled: 1-line block ×4, first 2 shown]
	global_store_dwordx4 v[6:7], v[0:3], off
.LBB1252_14:
	s_or_b64 exec, exec, s[0:1]
	s_load_dwordx2 s[0:1], s[4:5], 0x28
	s_waitcnt lgkmcnt(0)
	v_cmp_gt_u64_e32 vcc, s[0:1], v[4:5]
	s_and_saveexec_b64 s[2:3], vcc
	s_cbranch_execz .LBB1252_17
; %bb.15:
	s_load_dword s10, s[4:5], 0x30
	s_load_dwordx2 s[6:7], s[4:5], 0x20
	s_mov_b32 s5, 0
	s_mov_b32 s3, s5
	s_mul_i32 s2, s18, s19
	s_waitcnt lgkmcnt(0)
	s_add_i32 s4, s10, -1
	s_lshl_b64 s[4:5], s[4:5], 2
	v_mad_u64_u32 v[0:1], s[8:9], s10, v4, 0
	s_add_u32 s4, s14, s4
	v_lshlrev_b64 v[0:1], 2, v[0:1]
	s_addc_u32 s5, s15, s5
	v_mov_b32_e32 v2, s5
	v_add_co_u32_e32 v0, vcc, s4, v0
	v_addc_co_u32_e32 v1, vcc, v2, v1, vcc
	s_mul_hi_u32 s5, s10, s2
	s_mul_i32 s4, s10, s2
	v_lshlrev_b64 v[2:3], 2, v[4:5]
	s_lshl_b64 s[4:5], s[4:5], 2
	v_mov_b32_e32 v6, s7
	v_add_co_u32_e32 v2, vcc, s6, v2
	s_lshl_b64 s[6:7], s[2:3], 2
	v_addc_co_u32_e32 v3, vcc, v6, v3, vcc
	s_mov_b64 s[8:9], 0
	v_mov_b32_e32 v6, s3
	v_mov_b32_e32 v7, s5
	;; [unrolled: 1-line block ×3, first 2 shown]
.LBB1252_16:                            ; =>This Inner Loop Header: Depth=1
	global_load_dword v9, v[0:1], off
	v_add_co_u32_e32 v4, vcc, s2, v4
	v_addc_co_u32_e32 v5, vcc, v5, v6, vcc
	v_add_co_u32_e32 v0, vcc, s4, v0
	v_addc_co_u32_e32 v1, vcc, v1, v7, vcc
	v_cmp_le_u64_e32 vcc, s[0:1], v[4:5]
	s_or_b64 s[8:9], vcc, s[8:9]
	s_waitcnt vmcnt(0)
	global_store_dword v[2:3], v9, off
	v_add_co_u32_e32 v2, vcc, s6, v2
	v_addc_co_u32_e32 v3, vcc, v3, v8, vcc
	s_andn2_b64 exec, exec, s[8:9]
	s_cbranch_execnz .LBB1252_16
.LBB1252_17:
	s_endpgm
	.section	.rodata,"a",@progbits
	.p2align	6, 0x0
	.amdhsa_kernel _ZN7rocprim17ROCPRIM_400000_NS6detail30init_device_scan_by_key_kernelINS1_19lookback_scan_stateINS0_5tupleIJjbEEELb0ELb1EEEN6thrust23THRUST_200600_302600_NS6detail15normal_iteratorINS8_10device_ptrIiEEEEjNS1_16block_id_wrapperIjLb1EEEEEvT_jjPNSG_10value_typeET0_PNSt15iterator_traitsISJ_E10value_typeEmT1_T2_
		.amdhsa_group_segment_fixed_size 0
		.amdhsa_private_segment_fixed_size 0
		.amdhsa_kernarg_size 320
		.amdhsa_user_sgpr_count 6
		.amdhsa_user_sgpr_private_segment_buffer 1
		.amdhsa_user_sgpr_dispatch_ptr 0
		.amdhsa_user_sgpr_queue_ptr 0
		.amdhsa_user_sgpr_kernarg_segment_ptr 1
		.amdhsa_user_sgpr_dispatch_id 0
		.amdhsa_user_sgpr_flat_scratch_init 0
		.amdhsa_user_sgpr_kernarg_preload_length 0
		.amdhsa_user_sgpr_kernarg_preload_offset 0
		.amdhsa_user_sgpr_private_segment_size 0
		.amdhsa_uses_dynamic_stack 0
		.amdhsa_system_sgpr_private_segment_wavefront_offset 0
		.amdhsa_system_sgpr_workgroup_id_x 1
		.amdhsa_system_sgpr_workgroup_id_y 0
		.amdhsa_system_sgpr_workgroup_id_z 0
		.amdhsa_system_sgpr_workgroup_info 0
		.amdhsa_system_vgpr_workitem_id 0
		.amdhsa_next_free_vgpr 10
		.amdhsa_next_free_sgpr 20
		.amdhsa_accum_offset 12
		.amdhsa_reserve_vcc 1
		.amdhsa_reserve_flat_scratch 0
		.amdhsa_float_round_mode_32 0
		.amdhsa_float_round_mode_16_64 0
		.amdhsa_float_denorm_mode_32 3
		.amdhsa_float_denorm_mode_16_64 3
		.amdhsa_dx10_clamp 1
		.amdhsa_ieee_mode 1
		.amdhsa_fp16_overflow 0
		.amdhsa_tg_split 0
		.amdhsa_exception_fp_ieee_invalid_op 0
		.amdhsa_exception_fp_denorm_src 0
		.amdhsa_exception_fp_ieee_div_zero 0
		.amdhsa_exception_fp_ieee_overflow 0
		.amdhsa_exception_fp_ieee_underflow 0
		.amdhsa_exception_fp_ieee_inexact 0
		.amdhsa_exception_int_div_zero 0
	.end_amdhsa_kernel
	.section	.text._ZN7rocprim17ROCPRIM_400000_NS6detail30init_device_scan_by_key_kernelINS1_19lookback_scan_stateINS0_5tupleIJjbEEELb0ELb1EEEN6thrust23THRUST_200600_302600_NS6detail15normal_iteratorINS8_10device_ptrIiEEEEjNS1_16block_id_wrapperIjLb1EEEEEvT_jjPNSG_10value_typeET0_PNSt15iterator_traitsISJ_E10value_typeEmT1_T2_,"axG",@progbits,_ZN7rocprim17ROCPRIM_400000_NS6detail30init_device_scan_by_key_kernelINS1_19lookback_scan_stateINS0_5tupleIJjbEEELb0ELb1EEEN6thrust23THRUST_200600_302600_NS6detail15normal_iteratorINS8_10device_ptrIiEEEEjNS1_16block_id_wrapperIjLb1EEEEEvT_jjPNSG_10value_typeET0_PNSt15iterator_traitsISJ_E10value_typeEmT1_T2_,comdat
.Lfunc_end1252:
	.size	_ZN7rocprim17ROCPRIM_400000_NS6detail30init_device_scan_by_key_kernelINS1_19lookback_scan_stateINS0_5tupleIJjbEEELb0ELb1EEEN6thrust23THRUST_200600_302600_NS6detail15normal_iteratorINS8_10device_ptrIiEEEEjNS1_16block_id_wrapperIjLb1EEEEEvT_jjPNSG_10value_typeET0_PNSt15iterator_traitsISJ_E10value_typeEmT1_T2_, .Lfunc_end1252-_ZN7rocprim17ROCPRIM_400000_NS6detail30init_device_scan_by_key_kernelINS1_19lookback_scan_stateINS0_5tupleIJjbEEELb0ELb1EEEN6thrust23THRUST_200600_302600_NS6detail15normal_iteratorINS8_10device_ptrIiEEEEjNS1_16block_id_wrapperIjLb1EEEEEvT_jjPNSG_10value_typeET0_PNSt15iterator_traitsISJ_E10value_typeEmT1_T2_
                                        ; -- End function
	.section	.AMDGPU.csdata,"",@progbits
; Kernel info:
; codeLenInByte = 612
; NumSgprs: 24
; NumVgprs: 10
; NumAgprs: 0
; TotalNumVgprs: 10
; ScratchSize: 0
; MemoryBound: 0
; FloatMode: 240
; IeeeMode: 1
; LDSByteSize: 0 bytes/workgroup (compile time only)
; SGPRBlocks: 2
; VGPRBlocks: 1
; NumSGPRsForWavesPerEU: 24
; NumVGPRsForWavesPerEU: 10
; AccumOffset: 12
; Occupancy: 8
; WaveLimiterHint : 0
; COMPUTE_PGM_RSRC2:SCRATCH_EN: 0
; COMPUTE_PGM_RSRC2:USER_SGPR: 6
; COMPUTE_PGM_RSRC2:TRAP_HANDLER: 0
; COMPUTE_PGM_RSRC2:TGID_X_EN: 1
; COMPUTE_PGM_RSRC2:TGID_Y_EN: 0
; COMPUTE_PGM_RSRC2:TGID_Z_EN: 0
; COMPUTE_PGM_RSRC2:TIDIG_COMP_CNT: 0
; COMPUTE_PGM_RSRC3_GFX90A:ACCUM_OFFSET: 2
; COMPUTE_PGM_RSRC3_GFX90A:TG_SPLIT: 0
	.section	.text._ZN7rocprim17ROCPRIM_400000_NS6detail30init_device_scan_by_key_kernelINS1_19lookback_scan_stateINS0_5tupleIJjbEEELb0ELb1EEENS1_16block_id_wrapperIjLb1EEEEEvT_jjPNS9_10value_typeET0_,"axG",@progbits,_ZN7rocprim17ROCPRIM_400000_NS6detail30init_device_scan_by_key_kernelINS1_19lookback_scan_stateINS0_5tupleIJjbEEELb0ELb1EEENS1_16block_id_wrapperIjLb1EEEEEvT_jjPNS9_10value_typeET0_,comdat
	.protected	_ZN7rocprim17ROCPRIM_400000_NS6detail30init_device_scan_by_key_kernelINS1_19lookback_scan_stateINS0_5tupleIJjbEEELb0ELb1EEENS1_16block_id_wrapperIjLb1EEEEEvT_jjPNS9_10value_typeET0_ ; -- Begin function _ZN7rocprim17ROCPRIM_400000_NS6detail30init_device_scan_by_key_kernelINS1_19lookback_scan_stateINS0_5tupleIJjbEEELb0ELb1EEENS1_16block_id_wrapperIjLb1EEEEEvT_jjPNS9_10value_typeET0_
	.globl	_ZN7rocprim17ROCPRIM_400000_NS6detail30init_device_scan_by_key_kernelINS1_19lookback_scan_stateINS0_5tupleIJjbEEELb0ELb1EEENS1_16block_id_wrapperIjLb1EEEEEvT_jjPNS9_10value_typeET0_
	.p2align	8
	.type	_ZN7rocprim17ROCPRIM_400000_NS6detail30init_device_scan_by_key_kernelINS1_19lookback_scan_stateINS0_5tupleIJjbEEELb0ELb1EEENS1_16block_id_wrapperIjLb1EEEEEvT_jjPNS9_10value_typeET0_,@function
_ZN7rocprim17ROCPRIM_400000_NS6detail30init_device_scan_by_key_kernelINS1_19lookback_scan_stateINS0_5tupleIJjbEEELb0ELb1EEENS1_16block_id_wrapperIjLb1EEEEEvT_jjPNS9_10value_typeET0_: ; @_ZN7rocprim17ROCPRIM_400000_NS6detail30init_device_scan_by_key_kernelINS1_19lookback_scan_stateINS0_5tupleIJjbEEELb0ELb1EEENS1_16block_id_wrapperIjLb1EEEEEvT_jjPNS9_10value_typeET0_
; %bb.0:
	s_load_dword s0, s[4:5], 0x2c
	s_load_dwordx8 s[8:15], s[4:5], 0x0
	s_waitcnt lgkmcnt(0)
	s_and_b32 s0, s0, 0xffff
	s_mul_i32 s6, s6, s0
	s_cmp_eq_u64 s[12:13], 0
	v_add_u32_e32 v0, s6, v0
	s_cbranch_scc1 .LBB1253_8
; %bb.1:
	s_cmp_lt_u32 s11, s10
	s_cselect_b32 s0, s11, 0
	s_mov_b32 s3, 0
	v_cmp_eq_u32_e32 vcc, s0, v0
	s_and_saveexec_b64 s[0:1], vcc
	s_cbranch_execz .LBB1253_7
; %bb.2:
	s_add_i32 s2, s11, 64
	s_lshl_b64 s[2:3], s[2:3], 4
	s_add_u32 s6, s8, s2
	s_addc_u32 s7, s9, s3
	v_pk_mov_b32 v[2:3], s[6:7], s[6:7] op_sel:[0,1]
	;;#ASMSTART
	global_load_dwordx4 v[2:5], v[2:3] off glc	
s_waitcnt vmcnt(0)
	;;#ASMEND
	v_mov_b32_e32 v7, 0
	v_and_b32_e32 v6, 0xff, v4
	s_mov_b64 s[4:5], 0
	v_cmp_eq_u64_e32 vcc, 0, v[6:7]
	s_and_saveexec_b64 s[2:3], vcc
	s_cbranch_execz .LBB1253_6
; %bb.3:
	v_pk_mov_b32 v[8:9], s[6:7], s[6:7] op_sel:[0,1]
.LBB1253_4:                             ; =>This Inner Loop Header: Depth=1
	;;#ASMSTART
	global_load_dwordx4 v[2:5], v[8:9] off glc	
s_waitcnt vmcnt(0)
	;;#ASMEND
	v_and_b32_e32 v6, 0xff, v4
	v_cmp_ne_u64_e32 vcc, 0, v[6:7]
	s_or_b64 s[4:5], vcc, s[4:5]
	s_andn2_b64 exec, exec, s[4:5]
	s_cbranch_execnz .LBB1253_4
; %bb.5:
	s_or_b64 exec, exec, s[4:5]
.LBB1253_6:
	s_or_b64 exec, exec, s[2:3]
	v_mov_b32_e32 v1, 0
	global_store_dword v1, v2, s[12:13]
	global_store_byte v1, v3, s[12:13] offset:4
.LBB1253_7:
	s_or_b64 exec, exec, s[0:1]
.LBB1253_8:
	v_cmp_eq_u32_e32 vcc, 0, v0
	s_and_saveexec_b64 s[0:1], vcc
	s_cbranch_execnz .LBB1253_12
; %bb.9:
	s_or_b64 exec, exec, s[0:1]
	v_cmp_gt_u32_e32 vcc, s10, v0
	s_and_saveexec_b64 s[0:1], vcc
	s_cbranch_execnz .LBB1253_13
.LBB1253_10:
	s_or_b64 exec, exec, s[0:1]
	v_cmp_gt_u32_e32 vcc, 64, v0
	s_and_saveexec_b64 s[0:1], vcc
	s_cbranch_execnz .LBB1253_14
.LBB1253_11:
	s_endpgm
.LBB1253_12:
	v_mov_b32_e32 v1, 0
	global_store_dword v1, v1, s[14:15]
	s_or_b64 exec, exec, s[0:1]
	v_cmp_gt_u32_e32 vcc, s10, v0
	s_and_saveexec_b64 s[0:1], vcc
	s_cbranch_execz .LBB1253_10
.LBB1253_13:
	v_add_u32_e32 v2, 64, v0
	v_mov_b32_e32 v3, 0
	v_lshlrev_b64 v[4:5], 4, v[2:3]
	v_mov_b32_e32 v1, s9
	v_add_co_u32_e32 v6, vcc, s8, v4
	v_addc_co_u32_e32 v7, vcc, v1, v5, vcc
	v_mov_b32_e32 v2, v3
	v_mov_b32_e32 v4, v3
	;; [unrolled: 1-line block ×3, first 2 shown]
	global_store_dwordx4 v[6:7], v[2:5], off
	s_or_b64 exec, exec, s[0:1]
	v_cmp_gt_u32_e32 vcc, 64, v0
	s_and_saveexec_b64 s[0:1], vcc
	s_cbranch_execz .LBB1253_11
.LBB1253_14:
	v_mov_b32_e32 v1, 0
	v_lshlrev_b64 v[2:3], 4, v[0:1]
	v_mov_b32_e32 v0, s9
	v_add_co_u32_e32 v4, vcc, s8, v2
	v_addc_co_u32_e32 v5, vcc, v0, v3, vcc
	v_mov_b32_e32 v2, 0xff
	v_mov_b32_e32 v0, v1
	v_mov_b32_e32 v3, v1
	global_store_dwordx4 v[4:5], v[0:3], off
	s_endpgm
	.section	.rodata,"a",@progbits
	.p2align	6, 0x0
	.amdhsa_kernel _ZN7rocprim17ROCPRIM_400000_NS6detail30init_device_scan_by_key_kernelINS1_19lookback_scan_stateINS0_5tupleIJjbEEELb0ELb1EEENS1_16block_id_wrapperIjLb1EEEEEvT_jjPNS9_10value_typeET0_
		.amdhsa_group_segment_fixed_size 0
		.amdhsa_private_segment_fixed_size 0
		.amdhsa_kernarg_size 288
		.amdhsa_user_sgpr_count 6
		.amdhsa_user_sgpr_private_segment_buffer 1
		.amdhsa_user_sgpr_dispatch_ptr 0
		.amdhsa_user_sgpr_queue_ptr 0
		.amdhsa_user_sgpr_kernarg_segment_ptr 1
		.amdhsa_user_sgpr_dispatch_id 0
		.amdhsa_user_sgpr_flat_scratch_init 0
		.amdhsa_user_sgpr_kernarg_preload_length 0
		.amdhsa_user_sgpr_kernarg_preload_offset 0
		.amdhsa_user_sgpr_private_segment_size 0
		.amdhsa_uses_dynamic_stack 0
		.amdhsa_system_sgpr_private_segment_wavefront_offset 0
		.amdhsa_system_sgpr_workgroup_id_x 1
		.amdhsa_system_sgpr_workgroup_id_y 0
		.amdhsa_system_sgpr_workgroup_id_z 0
		.amdhsa_system_sgpr_workgroup_info 0
		.amdhsa_system_vgpr_workitem_id 0
		.amdhsa_next_free_vgpr 10
		.amdhsa_next_free_sgpr 16
		.amdhsa_accum_offset 12
		.amdhsa_reserve_vcc 1
		.amdhsa_reserve_flat_scratch 0
		.amdhsa_float_round_mode_32 0
		.amdhsa_float_round_mode_16_64 0
		.amdhsa_float_denorm_mode_32 3
		.amdhsa_float_denorm_mode_16_64 3
		.amdhsa_dx10_clamp 1
		.amdhsa_ieee_mode 1
		.amdhsa_fp16_overflow 0
		.amdhsa_tg_split 0
		.amdhsa_exception_fp_ieee_invalid_op 0
		.amdhsa_exception_fp_denorm_src 0
		.amdhsa_exception_fp_ieee_div_zero 0
		.amdhsa_exception_fp_ieee_overflow 0
		.amdhsa_exception_fp_ieee_underflow 0
		.amdhsa_exception_fp_ieee_inexact 0
		.amdhsa_exception_int_div_zero 0
	.end_amdhsa_kernel
	.section	.text._ZN7rocprim17ROCPRIM_400000_NS6detail30init_device_scan_by_key_kernelINS1_19lookback_scan_stateINS0_5tupleIJjbEEELb0ELb1EEENS1_16block_id_wrapperIjLb1EEEEEvT_jjPNS9_10value_typeET0_,"axG",@progbits,_ZN7rocprim17ROCPRIM_400000_NS6detail30init_device_scan_by_key_kernelINS1_19lookback_scan_stateINS0_5tupleIJjbEEELb0ELb1EEENS1_16block_id_wrapperIjLb1EEEEEvT_jjPNS9_10value_typeET0_,comdat
.Lfunc_end1253:
	.size	_ZN7rocprim17ROCPRIM_400000_NS6detail30init_device_scan_by_key_kernelINS1_19lookback_scan_stateINS0_5tupleIJjbEEELb0ELb1EEENS1_16block_id_wrapperIjLb1EEEEEvT_jjPNS9_10value_typeET0_, .Lfunc_end1253-_ZN7rocprim17ROCPRIM_400000_NS6detail30init_device_scan_by_key_kernelINS1_19lookback_scan_stateINS0_5tupleIJjbEEELb0ELb1EEENS1_16block_id_wrapperIjLb1EEEEEvT_jjPNS9_10value_typeET0_
                                        ; -- End function
	.section	.AMDGPU.csdata,"",@progbits
; Kernel info:
; codeLenInByte = 408
; NumSgprs: 20
; NumVgprs: 10
; NumAgprs: 0
; TotalNumVgprs: 10
; ScratchSize: 0
; MemoryBound: 0
; FloatMode: 240
; IeeeMode: 1
; LDSByteSize: 0 bytes/workgroup (compile time only)
; SGPRBlocks: 2
; VGPRBlocks: 1
; NumSGPRsForWavesPerEU: 20
; NumVGPRsForWavesPerEU: 10
; AccumOffset: 12
; Occupancy: 8
; WaveLimiterHint : 0
; COMPUTE_PGM_RSRC2:SCRATCH_EN: 0
; COMPUTE_PGM_RSRC2:USER_SGPR: 6
; COMPUTE_PGM_RSRC2:TRAP_HANDLER: 0
; COMPUTE_PGM_RSRC2:TGID_X_EN: 1
; COMPUTE_PGM_RSRC2:TGID_Y_EN: 0
; COMPUTE_PGM_RSRC2:TGID_Z_EN: 0
; COMPUTE_PGM_RSRC2:TIDIG_COMP_CNT: 0
; COMPUTE_PGM_RSRC3_GFX90A:ACCUM_OFFSET: 2
; COMPUTE_PGM_RSRC3_GFX90A:TG_SPLIT: 0
	.section	.text._ZN7rocprim17ROCPRIM_400000_NS6detail17trampoline_kernelINS0_14default_configENS1_27scan_by_key_config_selectorIijEEZZNS1_16scan_by_key_implILNS1_25lookback_scan_determinismE0ELb0ES3_N6thrust23THRUST_200600_302600_NS6detail15normal_iteratorINS9_10device_ptrIiEEEENSB_INSC_IjEEEESG_jNS9_4plusIvEENS9_8equal_toIvEEjEE10hipError_tPvRmT2_T3_T4_T5_mT6_T7_P12ihipStream_tbENKUlT_T0_E_clISt17integral_constantIbLb0EES10_IbLb1EEEEDaSW_SX_EUlSW_E_NS1_11comp_targetILNS1_3genE0ELNS1_11target_archE4294967295ELNS1_3gpuE0ELNS1_3repE0EEENS1_30default_config_static_selectorELNS0_4arch9wavefront6targetE1EEEvT1_,"axG",@progbits,_ZN7rocprim17ROCPRIM_400000_NS6detail17trampoline_kernelINS0_14default_configENS1_27scan_by_key_config_selectorIijEEZZNS1_16scan_by_key_implILNS1_25lookback_scan_determinismE0ELb0ES3_N6thrust23THRUST_200600_302600_NS6detail15normal_iteratorINS9_10device_ptrIiEEEENSB_INSC_IjEEEESG_jNS9_4plusIvEENS9_8equal_toIvEEjEE10hipError_tPvRmT2_T3_T4_T5_mT6_T7_P12ihipStream_tbENKUlT_T0_E_clISt17integral_constantIbLb0EES10_IbLb1EEEEDaSW_SX_EUlSW_E_NS1_11comp_targetILNS1_3genE0ELNS1_11target_archE4294967295ELNS1_3gpuE0ELNS1_3repE0EEENS1_30default_config_static_selectorELNS0_4arch9wavefront6targetE1EEEvT1_,comdat
	.protected	_ZN7rocprim17ROCPRIM_400000_NS6detail17trampoline_kernelINS0_14default_configENS1_27scan_by_key_config_selectorIijEEZZNS1_16scan_by_key_implILNS1_25lookback_scan_determinismE0ELb0ES3_N6thrust23THRUST_200600_302600_NS6detail15normal_iteratorINS9_10device_ptrIiEEEENSB_INSC_IjEEEESG_jNS9_4plusIvEENS9_8equal_toIvEEjEE10hipError_tPvRmT2_T3_T4_T5_mT6_T7_P12ihipStream_tbENKUlT_T0_E_clISt17integral_constantIbLb0EES10_IbLb1EEEEDaSW_SX_EUlSW_E_NS1_11comp_targetILNS1_3genE0ELNS1_11target_archE4294967295ELNS1_3gpuE0ELNS1_3repE0EEENS1_30default_config_static_selectorELNS0_4arch9wavefront6targetE1EEEvT1_ ; -- Begin function _ZN7rocprim17ROCPRIM_400000_NS6detail17trampoline_kernelINS0_14default_configENS1_27scan_by_key_config_selectorIijEEZZNS1_16scan_by_key_implILNS1_25lookback_scan_determinismE0ELb0ES3_N6thrust23THRUST_200600_302600_NS6detail15normal_iteratorINS9_10device_ptrIiEEEENSB_INSC_IjEEEESG_jNS9_4plusIvEENS9_8equal_toIvEEjEE10hipError_tPvRmT2_T3_T4_T5_mT6_T7_P12ihipStream_tbENKUlT_T0_E_clISt17integral_constantIbLb0EES10_IbLb1EEEEDaSW_SX_EUlSW_E_NS1_11comp_targetILNS1_3genE0ELNS1_11target_archE4294967295ELNS1_3gpuE0ELNS1_3repE0EEENS1_30default_config_static_selectorELNS0_4arch9wavefront6targetE1EEEvT1_
	.globl	_ZN7rocprim17ROCPRIM_400000_NS6detail17trampoline_kernelINS0_14default_configENS1_27scan_by_key_config_selectorIijEEZZNS1_16scan_by_key_implILNS1_25lookback_scan_determinismE0ELb0ES3_N6thrust23THRUST_200600_302600_NS6detail15normal_iteratorINS9_10device_ptrIiEEEENSB_INSC_IjEEEESG_jNS9_4plusIvEENS9_8equal_toIvEEjEE10hipError_tPvRmT2_T3_T4_T5_mT6_T7_P12ihipStream_tbENKUlT_T0_E_clISt17integral_constantIbLb0EES10_IbLb1EEEEDaSW_SX_EUlSW_E_NS1_11comp_targetILNS1_3genE0ELNS1_11target_archE4294967295ELNS1_3gpuE0ELNS1_3repE0EEENS1_30default_config_static_selectorELNS0_4arch9wavefront6targetE1EEEvT1_
	.p2align	8
	.type	_ZN7rocprim17ROCPRIM_400000_NS6detail17trampoline_kernelINS0_14default_configENS1_27scan_by_key_config_selectorIijEEZZNS1_16scan_by_key_implILNS1_25lookback_scan_determinismE0ELb0ES3_N6thrust23THRUST_200600_302600_NS6detail15normal_iteratorINS9_10device_ptrIiEEEENSB_INSC_IjEEEESG_jNS9_4plusIvEENS9_8equal_toIvEEjEE10hipError_tPvRmT2_T3_T4_T5_mT6_T7_P12ihipStream_tbENKUlT_T0_E_clISt17integral_constantIbLb0EES10_IbLb1EEEEDaSW_SX_EUlSW_E_NS1_11comp_targetILNS1_3genE0ELNS1_11target_archE4294967295ELNS1_3gpuE0ELNS1_3repE0EEENS1_30default_config_static_selectorELNS0_4arch9wavefront6targetE1EEEvT1_,@function
_ZN7rocprim17ROCPRIM_400000_NS6detail17trampoline_kernelINS0_14default_configENS1_27scan_by_key_config_selectorIijEEZZNS1_16scan_by_key_implILNS1_25lookback_scan_determinismE0ELb0ES3_N6thrust23THRUST_200600_302600_NS6detail15normal_iteratorINS9_10device_ptrIiEEEENSB_INSC_IjEEEESG_jNS9_4plusIvEENS9_8equal_toIvEEjEE10hipError_tPvRmT2_T3_T4_T5_mT6_T7_P12ihipStream_tbENKUlT_T0_E_clISt17integral_constantIbLb0EES10_IbLb1EEEEDaSW_SX_EUlSW_E_NS1_11comp_targetILNS1_3genE0ELNS1_11target_archE4294967295ELNS1_3gpuE0ELNS1_3repE0EEENS1_30default_config_static_selectorELNS0_4arch9wavefront6targetE1EEEvT1_: ; @_ZN7rocprim17ROCPRIM_400000_NS6detail17trampoline_kernelINS0_14default_configENS1_27scan_by_key_config_selectorIijEEZZNS1_16scan_by_key_implILNS1_25lookback_scan_determinismE0ELb0ES3_N6thrust23THRUST_200600_302600_NS6detail15normal_iteratorINS9_10device_ptrIiEEEENSB_INSC_IjEEEESG_jNS9_4plusIvEENS9_8equal_toIvEEjEE10hipError_tPvRmT2_T3_T4_T5_mT6_T7_P12ihipStream_tbENKUlT_T0_E_clISt17integral_constantIbLb0EES10_IbLb1EEEEDaSW_SX_EUlSW_E_NS1_11comp_targetILNS1_3genE0ELNS1_11target_archE4294967295ELNS1_3gpuE0ELNS1_3repE0EEENS1_30default_config_static_selectorELNS0_4arch9wavefront6targetE1EEEvT1_
; %bb.0:
	.section	.rodata,"a",@progbits
	.p2align	6, 0x0
	.amdhsa_kernel _ZN7rocprim17ROCPRIM_400000_NS6detail17trampoline_kernelINS0_14default_configENS1_27scan_by_key_config_selectorIijEEZZNS1_16scan_by_key_implILNS1_25lookback_scan_determinismE0ELb0ES3_N6thrust23THRUST_200600_302600_NS6detail15normal_iteratorINS9_10device_ptrIiEEEENSB_INSC_IjEEEESG_jNS9_4plusIvEENS9_8equal_toIvEEjEE10hipError_tPvRmT2_T3_T4_T5_mT6_T7_P12ihipStream_tbENKUlT_T0_E_clISt17integral_constantIbLb0EES10_IbLb1EEEEDaSW_SX_EUlSW_E_NS1_11comp_targetILNS1_3genE0ELNS1_11target_archE4294967295ELNS1_3gpuE0ELNS1_3repE0EEENS1_30default_config_static_selectorELNS0_4arch9wavefront6targetE1EEEvT1_
		.amdhsa_group_segment_fixed_size 0
		.amdhsa_private_segment_fixed_size 0
		.amdhsa_kernarg_size 112
		.amdhsa_user_sgpr_count 6
		.amdhsa_user_sgpr_private_segment_buffer 1
		.amdhsa_user_sgpr_dispatch_ptr 0
		.amdhsa_user_sgpr_queue_ptr 0
		.amdhsa_user_sgpr_kernarg_segment_ptr 1
		.amdhsa_user_sgpr_dispatch_id 0
		.amdhsa_user_sgpr_flat_scratch_init 0
		.amdhsa_user_sgpr_kernarg_preload_length 0
		.amdhsa_user_sgpr_kernarg_preload_offset 0
		.amdhsa_user_sgpr_private_segment_size 0
		.amdhsa_uses_dynamic_stack 0
		.amdhsa_system_sgpr_private_segment_wavefront_offset 0
		.amdhsa_system_sgpr_workgroup_id_x 1
		.amdhsa_system_sgpr_workgroup_id_y 0
		.amdhsa_system_sgpr_workgroup_id_z 0
		.amdhsa_system_sgpr_workgroup_info 0
		.amdhsa_system_vgpr_workitem_id 0
		.amdhsa_next_free_vgpr 1
		.amdhsa_next_free_sgpr 0
		.amdhsa_accum_offset 4
		.amdhsa_reserve_vcc 0
		.amdhsa_reserve_flat_scratch 0
		.amdhsa_float_round_mode_32 0
		.amdhsa_float_round_mode_16_64 0
		.amdhsa_float_denorm_mode_32 3
		.amdhsa_float_denorm_mode_16_64 3
		.amdhsa_dx10_clamp 1
		.amdhsa_ieee_mode 1
		.amdhsa_fp16_overflow 0
		.amdhsa_tg_split 0
		.amdhsa_exception_fp_ieee_invalid_op 0
		.amdhsa_exception_fp_denorm_src 0
		.amdhsa_exception_fp_ieee_div_zero 0
		.amdhsa_exception_fp_ieee_overflow 0
		.amdhsa_exception_fp_ieee_underflow 0
		.amdhsa_exception_fp_ieee_inexact 0
		.amdhsa_exception_int_div_zero 0
	.end_amdhsa_kernel
	.section	.text._ZN7rocprim17ROCPRIM_400000_NS6detail17trampoline_kernelINS0_14default_configENS1_27scan_by_key_config_selectorIijEEZZNS1_16scan_by_key_implILNS1_25lookback_scan_determinismE0ELb0ES3_N6thrust23THRUST_200600_302600_NS6detail15normal_iteratorINS9_10device_ptrIiEEEENSB_INSC_IjEEEESG_jNS9_4plusIvEENS9_8equal_toIvEEjEE10hipError_tPvRmT2_T3_T4_T5_mT6_T7_P12ihipStream_tbENKUlT_T0_E_clISt17integral_constantIbLb0EES10_IbLb1EEEEDaSW_SX_EUlSW_E_NS1_11comp_targetILNS1_3genE0ELNS1_11target_archE4294967295ELNS1_3gpuE0ELNS1_3repE0EEENS1_30default_config_static_selectorELNS0_4arch9wavefront6targetE1EEEvT1_,"axG",@progbits,_ZN7rocprim17ROCPRIM_400000_NS6detail17trampoline_kernelINS0_14default_configENS1_27scan_by_key_config_selectorIijEEZZNS1_16scan_by_key_implILNS1_25lookback_scan_determinismE0ELb0ES3_N6thrust23THRUST_200600_302600_NS6detail15normal_iteratorINS9_10device_ptrIiEEEENSB_INSC_IjEEEESG_jNS9_4plusIvEENS9_8equal_toIvEEjEE10hipError_tPvRmT2_T3_T4_T5_mT6_T7_P12ihipStream_tbENKUlT_T0_E_clISt17integral_constantIbLb0EES10_IbLb1EEEEDaSW_SX_EUlSW_E_NS1_11comp_targetILNS1_3genE0ELNS1_11target_archE4294967295ELNS1_3gpuE0ELNS1_3repE0EEENS1_30default_config_static_selectorELNS0_4arch9wavefront6targetE1EEEvT1_,comdat
.Lfunc_end1254:
	.size	_ZN7rocprim17ROCPRIM_400000_NS6detail17trampoline_kernelINS0_14default_configENS1_27scan_by_key_config_selectorIijEEZZNS1_16scan_by_key_implILNS1_25lookback_scan_determinismE0ELb0ES3_N6thrust23THRUST_200600_302600_NS6detail15normal_iteratorINS9_10device_ptrIiEEEENSB_INSC_IjEEEESG_jNS9_4plusIvEENS9_8equal_toIvEEjEE10hipError_tPvRmT2_T3_T4_T5_mT6_T7_P12ihipStream_tbENKUlT_T0_E_clISt17integral_constantIbLb0EES10_IbLb1EEEEDaSW_SX_EUlSW_E_NS1_11comp_targetILNS1_3genE0ELNS1_11target_archE4294967295ELNS1_3gpuE0ELNS1_3repE0EEENS1_30default_config_static_selectorELNS0_4arch9wavefront6targetE1EEEvT1_, .Lfunc_end1254-_ZN7rocprim17ROCPRIM_400000_NS6detail17trampoline_kernelINS0_14default_configENS1_27scan_by_key_config_selectorIijEEZZNS1_16scan_by_key_implILNS1_25lookback_scan_determinismE0ELb0ES3_N6thrust23THRUST_200600_302600_NS6detail15normal_iteratorINS9_10device_ptrIiEEEENSB_INSC_IjEEEESG_jNS9_4plusIvEENS9_8equal_toIvEEjEE10hipError_tPvRmT2_T3_T4_T5_mT6_T7_P12ihipStream_tbENKUlT_T0_E_clISt17integral_constantIbLb0EES10_IbLb1EEEEDaSW_SX_EUlSW_E_NS1_11comp_targetILNS1_3genE0ELNS1_11target_archE4294967295ELNS1_3gpuE0ELNS1_3repE0EEENS1_30default_config_static_selectorELNS0_4arch9wavefront6targetE1EEEvT1_
                                        ; -- End function
	.section	.AMDGPU.csdata,"",@progbits
; Kernel info:
; codeLenInByte = 0
; NumSgprs: 4
; NumVgprs: 0
; NumAgprs: 0
; TotalNumVgprs: 0
; ScratchSize: 0
; MemoryBound: 0
; FloatMode: 240
; IeeeMode: 1
; LDSByteSize: 0 bytes/workgroup (compile time only)
; SGPRBlocks: 0
; VGPRBlocks: 0
; NumSGPRsForWavesPerEU: 4
; NumVGPRsForWavesPerEU: 1
; AccumOffset: 4
; Occupancy: 8
; WaveLimiterHint : 0
; COMPUTE_PGM_RSRC2:SCRATCH_EN: 0
; COMPUTE_PGM_RSRC2:USER_SGPR: 6
; COMPUTE_PGM_RSRC2:TRAP_HANDLER: 0
; COMPUTE_PGM_RSRC2:TGID_X_EN: 1
; COMPUTE_PGM_RSRC2:TGID_Y_EN: 0
; COMPUTE_PGM_RSRC2:TGID_Z_EN: 0
; COMPUTE_PGM_RSRC2:TIDIG_COMP_CNT: 0
; COMPUTE_PGM_RSRC3_GFX90A:ACCUM_OFFSET: 0
; COMPUTE_PGM_RSRC3_GFX90A:TG_SPLIT: 0
	.section	.text._ZN7rocprim17ROCPRIM_400000_NS6detail17trampoline_kernelINS0_14default_configENS1_27scan_by_key_config_selectorIijEEZZNS1_16scan_by_key_implILNS1_25lookback_scan_determinismE0ELb0ES3_N6thrust23THRUST_200600_302600_NS6detail15normal_iteratorINS9_10device_ptrIiEEEENSB_INSC_IjEEEESG_jNS9_4plusIvEENS9_8equal_toIvEEjEE10hipError_tPvRmT2_T3_T4_T5_mT6_T7_P12ihipStream_tbENKUlT_T0_E_clISt17integral_constantIbLb0EES10_IbLb1EEEEDaSW_SX_EUlSW_E_NS1_11comp_targetILNS1_3genE10ELNS1_11target_archE1201ELNS1_3gpuE5ELNS1_3repE0EEENS1_30default_config_static_selectorELNS0_4arch9wavefront6targetE1EEEvT1_,"axG",@progbits,_ZN7rocprim17ROCPRIM_400000_NS6detail17trampoline_kernelINS0_14default_configENS1_27scan_by_key_config_selectorIijEEZZNS1_16scan_by_key_implILNS1_25lookback_scan_determinismE0ELb0ES3_N6thrust23THRUST_200600_302600_NS6detail15normal_iteratorINS9_10device_ptrIiEEEENSB_INSC_IjEEEESG_jNS9_4plusIvEENS9_8equal_toIvEEjEE10hipError_tPvRmT2_T3_T4_T5_mT6_T7_P12ihipStream_tbENKUlT_T0_E_clISt17integral_constantIbLb0EES10_IbLb1EEEEDaSW_SX_EUlSW_E_NS1_11comp_targetILNS1_3genE10ELNS1_11target_archE1201ELNS1_3gpuE5ELNS1_3repE0EEENS1_30default_config_static_selectorELNS0_4arch9wavefront6targetE1EEEvT1_,comdat
	.protected	_ZN7rocprim17ROCPRIM_400000_NS6detail17trampoline_kernelINS0_14default_configENS1_27scan_by_key_config_selectorIijEEZZNS1_16scan_by_key_implILNS1_25lookback_scan_determinismE0ELb0ES3_N6thrust23THRUST_200600_302600_NS6detail15normal_iteratorINS9_10device_ptrIiEEEENSB_INSC_IjEEEESG_jNS9_4plusIvEENS9_8equal_toIvEEjEE10hipError_tPvRmT2_T3_T4_T5_mT6_T7_P12ihipStream_tbENKUlT_T0_E_clISt17integral_constantIbLb0EES10_IbLb1EEEEDaSW_SX_EUlSW_E_NS1_11comp_targetILNS1_3genE10ELNS1_11target_archE1201ELNS1_3gpuE5ELNS1_3repE0EEENS1_30default_config_static_selectorELNS0_4arch9wavefront6targetE1EEEvT1_ ; -- Begin function _ZN7rocprim17ROCPRIM_400000_NS6detail17trampoline_kernelINS0_14default_configENS1_27scan_by_key_config_selectorIijEEZZNS1_16scan_by_key_implILNS1_25lookback_scan_determinismE0ELb0ES3_N6thrust23THRUST_200600_302600_NS6detail15normal_iteratorINS9_10device_ptrIiEEEENSB_INSC_IjEEEESG_jNS9_4plusIvEENS9_8equal_toIvEEjEE10hipError_tPvRmT2_T3_T4_T5_mT6_T7_P12ihipStream_tbENKUlT_T0_E_clISt17integral_constantIbLb0EES10_IbLb1EEEEDaSW_SX_EUlSW_E_NS1_11comp_targetILNS1_3genE10ELNS1_11target_archE1201ELNS1_3gpuE5ELNS1_3repE0EEENS1_30default_config_static_selectorELNS0_4arch9wavefront6targetE1EEEvT1_
	.globl	_ZN7rocprim17ROCPRIM_400000_NS6detail17trampoline_kernelINS0_14default_configENS1_27scan_by_key_config_selectorIijEEZZNS1_16scan_by_key_implILNS1_25lookback_scan_determinismE0ELb0ES3_N6thrust23THRUST_200600_302600_NS6detail15normal_iteratorINS9_10device_ptrIiEEEENSB_INSC_IjEEEESG_jNS9_4plusIvEENS9_8equal_toIvEEjEE10hipError_tPvRmT2_T3_T4_T5_mT6_T7_P12ihipStream_tbENKUlT_T0_E_clISt17integral_constantIbLb0EES10_IbLb1EEEEDaSW_SX_EUlSW_E_NS1_11comp_targetILNS1_3genE10ELNS1_11target_archE1201ELNS1_3gpuE5ELNS1_3repE0EEENS1_30default_config_static_selectorELNS0_4arch9wavefront6targetE1EEEvT1_
	.p2align	8
	.type	_ZN7rocprim17ROCPRIM_400000_NS6detail17trampoline_kernelINS0_14default_configENS1_27scan_by_key_config_selectorIijEEZZNS1_16scan_by_key_implILNS1_25lookback_scan_determinismE0ELb0ES3_N6thrust23THRUST_200600_302600_NS6detail15normal_iteratorINS9_10device_ptrIiEEEENSB_INSC_IjEEEESG_jNS9_4plusIvEENS9_8equal_toIvEEjEE10hipError_tPvRmT2_T3_T4_T5_mT6_T7_P12ihipStream_tbENKUlT_T0_E_clISt17integral_constantIbLb0EES10_IbLb1EEEEDaSW_SX_EUlSW_E_NS1_11comp_targetILNS1_3genE10ELNS1_11target_archE1201ELNS1_3gpuE5ELNS1_3repE0EEENS1_30default_config_static_selectorELNS0_4arch9wavefront6targetE1EEEvT1_,@function
_ZN7rocprim17ROCPRIM_400000_NS6detail17trampoline_kernelINS0_14default_configENS1_27scan_by_key_config_selectorIijEEZZNS1_16scan_by_key_implILNS1_25lookback_scan_determinismE0ELb0ES3_N6thrust23THRUST_200600_302600_NS6detail15normal_iteratorINS9_10device_ptrIiEEEENSB_INSC_IjEEEESG_jNS9_4plusIvEENS9_8equal_toIvEEjEE10hipError_tPvRmT2_T3_T4_T5_mT6_T7_P12ihipStream_tbENKUlT_T0_E_clISt17integral_constantIbLb0EES10_IbLb1EEEEDaSW_SX_EUlSW_E_NS1_11comp_targetILNS1_3genE10ELNS1_11target_archE1201ELNS1_3gpuE5ELNS1_3repE0EEENS1_30default_config_static_selectorELNS0_4arch9wavefront6targetE1EEEvT1_: ; @_ZN7rocprim17ROCPRIM_400000_NS6detail17trampoline_kernelINS0_14default_configENS1_27scan_by_key_config_selectorIijEEZZNS1_16scan_by_key_implILNS1_25lookback_scan_determinismE0ELb0ES3_N6thrust23THRUST_200600_302600_NS6detail15normal_iteratorINS9_10device_ptrIiEEEENSB_INSC_IjEEEESG_jNS9_4plusIvEENS9_8equal_toIvEEjEE10hipError_tPvRmT2_T3_T4_T5_mT6_T7_P12ihipStream_tbENKUlT_T0_E_clISt17integral_constantIbLb0EES10_IbLb1EEEEDaSW_SX_EUlSW_E_NS1_11comp_targetILNS1_3genE10ELNS1_11target_archE1201ELNS1_3gpuE5ELNS1_3repE0EEENS1_30default_config_static_selectorELNS0_4arch9wavefront6targetE1EEEvT1_
; %bb.0:
	.section	.rodata,"a",@progbits
	.p2align	6, 0x0
	.amdhsa_kernel _ZN7rocprim17ROCPRIM_400000_NS6detail17trampoline_kernelINS0_14default_configENS1_27scan_by_key_config_selectorIijEEZZNS1_16scan_by_key_implILNS1_25lookback_scan_determinismE0ELb0ES3_N6thrust23THRUST_200600_302600_NS6detail15normal_iteratorINS9_10device_ptrIiEEEENSB_INSC_IjEEEESG_jNS9_4plusIvEENS9_8equal_toIvEEjEE10hipError_tPvRmT2_T3_T4_T5_mT6_T7_P12ihipStream_tbENKUlT_T0_E_clISt17integral_constantIbLb0EES10_IbLb1EEEEDaSW_SX_EUlSW_E_NS1_11comp_targetILNS1_3genE10ELNS1_11target_archE1201ELNS1_3gpuE5ELNS1_3repE0EEENS1_30default_config_static_selectorELNS0_4arch9wavefront6targetE1EEEvT1_
		.amdhsa_group_segment_fixed_size 0
		.amdhsa_private_segment_fixed_size 0
		.amdhsa_kernarg_size 112
		.amdhsa_user_sgpr_count 6
		.amdhsa_user_sgpr_private_segment_buffer 1
		.amdhsa_user_sgpr_dispatch_ptr 0
		.amdhsa_user_sgpr_queue_ptr 0
		.amdhsa_user_sgpr_kernarg_segment_ptr 1
		.amdhsa_user_sgpr_dispatch_id 0
		.amdhsa_user_sgpr_flat_scratch_init 0
		.amdhsa_user_sgpr_kernarg_preload_length 0
		.amdhsa_user_sgpr_kernarg_preload_offset 0
		.amdhsa_user_sgpr_private_segment_size 0
		.amdhsa_uses_dynamic_stack 0
		.amdhsa_system_sgpr_private_segment_wavefront_offset 0
		.amdhsa_system_sgpr_workgroup_id_x 1
		.amdhsa_system_sgpr_workgroup_id_y 0
		.amdhsa_system_sgpr_workgroup_id_z 0
		.amdhsa_system_sgpr_workgroup_info 0
		.amdhsa_system_vgpr_workitem_id 0
		.amdhsa_next_free_vgpr 1
		.amdhsa_next_free_sgpr 0
		.amdhsa_accum_offset 4
		.amdhsa_reserve_vcc 0
		.amdhsa_reserve_flat_scratch 0
		.amdhsa_float_round_mode_32 0
		.amdhsa_float_round_mode_16_64 0
		.amdhsa_float_denorm_mode_32 3
		.amdhsa_float_denorm_mode_16_64 3
		.amdhsa_dx10_clamp 1
		.amdhsa_ieee_mode 1
		.amdhsa_fp16_overflow 0
		.amdhsa_tg_split 0
		.amdhsa_exception_fp_ieee_invalid_op 0
		.amdhsa_exception_fp_denorm_src 0
		.amdhsa_exception_fp_ieee_div_zero 0
		.amdhsa_exception_fp_ieee_overflow 0
		.amdhsa_exception_fp_ieee_underflow 0
		.amdhsa_exception_fp_ieee_inexact 0
		.amdhsa_exception_int_div_zero 0
	.end_amdhsa_kernel
	.section	.text._ZN7rocprim17ROCPRIM_400000_NS6detail17trampoline_kernelINS0_14default_configENS1_27scan_by_key_config_selectorIijEEZZNS1_16scan_by_key_implILNS1_25lookback_scan_determinismE0ELb0ES3_N6thrust23THRUST_200600_302600_NS6detail15normal_iteratorINS9_10device_ptrIiEEEENSB_INSC_IjEEEESG_jNS9_4plusIvEENS9_8equal_toIvEEjEE10hipError_tPvRmT2_T3_T4_T5_mT6_T7_P12ihipStream_tbENKUlT_T0_E_clISt17integral_constantIbLb0EES10_IbLb1EEEEDaSW_SX_EUlSW_E_NS1_11comp_targetILNS1_3genE10ELNS1_11target_archE1201ELNS1_3gpuE5ELNS1_3repE0EEENS1_30default_config_static_selectorELNS0_4arch9wavefront6targetE1EEEvT1_,"axG",@progbits,_ZN7rocprim17ROCPRIM_400000_NS6detail17trampoline_kernelINS0_14default_configENS1_27scan_by_key_config_selectorIijEEZZNS1_16scan_by_key_implILNS1_25lookback_scan_determinismE0ELb0ES3_N6thrust23THRUST_200600_302600_NS6detail15normal_iteratorINS9_10device_ptrIiEEEENSB_INSC_IjEEEESG_jNS9_4plusIvEENS9_8equal_toIvEEjEE10hipError_tPvRmT2_T3_T4_T5_mT6_T7_P12ihipStream_tbENKUlT_T0_E_clISt17integral_constantIbLb0EES10_IbLb1EEEEDaSW_SX_EUlSW_E_NS1_11comp_targetILNS1_3genE10ELNS1_11target_archE1201ELNS1_3gpuE5ELNS1_3repE0EEENS1_30default_config_static_selectorELNS0_4arch9wavefront6targetE1EEEvT1_,comdat
.Lfunc_end1255:
	.size	_ZN7rocprim17ROCPRIM_400000_NS6detail17trampoline_kernelINS0_14default_configENS1_27scan_by_key_config_selectorIijEEZZNS1_16scan_by_key_implILNS1_25lookback_scan_determinismE0ELb0ES3_N6thrust23THRUST_200600_302600_NS6detail15normal_iteratorINS9_10device_ptrIiEEEENSB_INSC_IjEEEESG_jNS9_4plusIvEENS9_8equal_toIvEEjEE10hipError_tPvRmT2_T3_T4_T5_mT6_T7_P12ihipStream_tbENKUlT_T0_E_clISt17integral_constantIbLb0EES10_IbLb1EEEEDaSW_SX_EUlSW_E_NS1_11comp_targetILNS1_3genE10ELNS1_11target_archE1201ELNS1_3gpuE5ELNS1_3repE0EEENS1_30default_config_static_selectorELNS0_4arch9wavefront6targetE1EEEvT1_, .Lfunc_end1255-_ZN7rocprim17ROCPRIM_400000_NS6detail17trampoline_kernelINS0_14default_configENS1_27scan_by_key_config_selectorIijEEZZNS1_16scan_by_key_implILNS1_25lookback_scan_determinismE0ELb0ES3_N6thrust23THRUST_200600_302600_NS6detail15normal_iteratorINS9_10device_ptrIiEEEENSB_INSC_IjEEEESG_jNS9_4plusIvEENS9_8equal_toIvEEjEE10hipError_tPvRmT2_T3_T4_T5_mT6_T7_P12ihipStream_tbENKUlT_T0_E_clISt17integral_constantIbLb0EES10_IbLb1EEEEDaSW_SX_EUlSW_E_NS1_11comp_targetILNS1_3genE10ELNS1_11target_archE1201ELNS1_3gpuE5ELNS1_3repE0EEENS1_30default_config_static_selectorELNS0_4arch9wavefront6targetE1EEEvT1_
                                        ; -- End function
	.section	.AMDGPU.csdata,"",@progbits
; Kernel info:
; codeLenInByte = 0
; NumSgprs: 4
; NumVgprs: 0
; NumAgprs: 0
; TotalNumVgprs: 0
; ScratchSize: 0
; MemoryBound: 0
; FloatMode: 240
; IeeeMode: 1
; LDSByteSize: 0 bytes/workgroup (compile time only)
; SGPRBlocks: 0
; VGPRBlocks: 0
; NumSGPRsForWavesPerEU: 4
; NumVGPRsForWavesPerEU: 1
; AccumOffset: 4
; Occupancy: 8
; WaveLimiterHint : 0
; COMPUTE_PGM_RSRC2:SCRATCH_EN: 0
; COMPUTE_PGM_RSRC2:USER_SGPR: 6
; COMPUTE_PGM_RSRC2:TRAP_HANDLER: 0
; COMPUTE_PGM_RSRC2:TGID_X_EN: 1
; COMPUTE_PGM_RSRC2:TGID_Y_EN: 0
; COMPUTE_PGM_RSRC2:TGID_Z_EN: 0
; COMPUTE_PGM_RSRC2:TIDIG_COMP_CNT: 0
; COMPUTE_PGM_RSRC3_GFX90A:ACCUM_OFFSET: 0
; COMPUTE_PGM_RSRC3_GFX90A:TG_SPLIT: 0
	.section	.text._ZN7rocprim17ROCPRIM_400000_NS6detail17trampoline_kernelINS0_14default_configENS1_27scan_by_key_config_selectorIijEEZZNS1_16scan_by_key_implILNS1_25lookback_scan_determinismE0ELb0ES3_N6thrust23THRUST_200600_302600_NS6detail15normal_iteratorINS9_10device_ptrIiEEEENSB_INSC_IjEEEESG_jNS9_4plusIvEENS9_8equal_toIvEEjEE10hipError_tPvRmT2_T3_T4_T5_mT6_T7_P12ihipStream_tbENKUlT_T0_E_clISt17integral_constantIbLb0EES10_IbLb1EEEEDaSW_SX_EUlSW_E_NS1_11comp_targetILNS1_3genE5ELNS1_11target_archE942ELNS1_3gpuE9ELNS1_3repE0EEENS1_30default_config_static_selectorELNS0_4arch9wavefront6targetE1EEEvT1_,"axG",@progbits,_ZN7rocprim17ROCPRIM_400000_NS6detail17trampoline_kernelINS0_14default_configENS1_27scan_by_key_config_selectorIijEEZZNS1_16scan_by_key_implILNS1_25lookback_scan_determinismE0ELb0ES3_N6thrust23THRUST_200600_302600_NS6detail15normal_iteratorINS9_10device_ptrIiEEEENSB_INSC_IjEEEESG_jNS9_4plusIvEENS9_8equal_toIvEEjEE10hipError_tPvRmT2_T3_T4_T5_mT6_T7_P12ihipStream_tbENKUlT_T0_E_clISt17integral_constantIbLb0EES10_IbLb1EEEEDaSW_SX_EUlSW_E_NS1_11comp_targetILNS1_3genE5ELNS1_11target_archE942ELNS1_3gpuE9ELNS1_3repE0EEENS1_30default_config_static_selectorELNS0_4arch9wavefront6targetE1EEEvT1_,comdat
	.protected	_ZN7rocprim17ROCPRIM_400000_NS6detail17trampoline_kernelINS0_14default_configENS1_27scan_by_key_config_selectorIijEEZZNS1_16scan_by_key_implILNS1_25lookback_scan_determinismE0ELb0ES3_N6thrust23THRUST_200600_302600_NS6detail15normal_iteratorINS9_10device_ptrIiEEEENSB_INSC_IjEEEESG_jNS9_4plusIvEENS9_8equal_toIvEEjEE10hipError_tPvRmT2_T3_T4_T5_mT6_T7_P12ihipStream_tbENKUlT_T0_E_clISt17integral_constantIbLb0EES10_IbLb1EEEEDaSW_SX_EUlSW_E_NS1_11comp_targetILNS1_3genE5ELNS1_11target_archE942ELNS1_3gpuE9ELNS1_3repE0EEENS1_30default_config_static_selectorELNS0_4arch9wavefront6targetE1EEEvT1_ ; -- Begin function _ZN7rocprim17ROCPRIM_400000_NS6detail17trampoline_kernelINS0_14default_configENS1_27scan_by_key_config_selectorIijEEZZNS1_16scan_by_key_implILNS1_25lookback_scan_determinismE0ELb0ES3_N6thrust23THRUST_200600_302600_NS6detail15normal_iteratorINS9_10device_ptrIiEEEENSB_INSC_IjEEEESG_jNS9_4plusIvEENS9_8equal_toIvEEjEE10hipError_tPvRmT2_T3_T4_T5_mT6_T7_P12ihipStream_tbENKUlT_T0_E_clISt17integral_constantIbLb0EES10_IbLb1EEEEDaSW_SX_EUlSW_E_NS1_11comp_targetILNS1_3genE5ELNS1_11target_archE942ELNS1_3gpuE9ELNS1_3repE0EEENS1_30default_config_static_selectorELNS0_4arch9wavefront6targetE1EEEvT1_
	.globl	_ZN7rocprim17ROCPRIM_400000_NS6detail17trampoline_kernelINS0_14default_configENS1_27scan_by_key_config_selectorIijEEZZNS1_16scan_by_key_implILNS1_25lookback_scan_determinismE0ELb0ES3_N6thrust23THRUST_200600_302600_NS6detail15normal_iteratorINS9_10device_ptrIiEEEENSB_INSC_IjEEEESG_jNS9_4plusIvEENS9_8equal_toIvEEjEE10hipError_tPvRmT2_T3_T4_T5_mT6_T7_P12ihipStream_tbENKUlT_T0_E_clISt17integral_constantIbLb0EES10_IbLb1EEEEDaSW_SX_EUlSW_E_NS1_11comp_targetILNS1_3genE5ELNS1_11target_archE942ELNS1_3gpuE9ELNS1_3repE0EEENS1_30default_config_static_selectorELNS0_4arch9wavefront6targetE1EEEvT1_
	.p2align	8
	.type	_ZN7rocprim17ROCPRIM_400000_NS6detail17trampoline_kernelINS0_14default_configENS1_27scan_by_key_config_selectorIijEEZZNS1_16scan_by_key_implILNS1_25lookback_scan_determinismE0ELb0ES3_N6thrust23THRUST_200600_302600_NS6detail15normal_iteratorINS9_10device_ptrIiEEEENSB_INSC_IjEEEESG_jNS9_4plusIvEENS9_8equal_toIvEEjEE10hipError_tPvRmT2_T3_T4_T5_mT6_T7_P12ihipStream_tbENKUlT_T0_E_clISt17integral_constantIbLb0EES10_IbLb1EEEEDaSW_SX_EUlSW_E_NS1_11comp_targetILNS1_3genE5ELNS1_11target_archE942ELNS1_3gpuE9ELNS1_3repE0EEENS1_30default_config_static_selectorELNS0_4arch9wavefront6targetE1EEEvT1_,@function
_ZN7rocprim17ROCPRIM_400000_NS6detail17trampoline_kernelINS0_14default_configENS1_27scan_by_key_config_selectorIijEEZZNS1_16scan_by_key_implILNS1_25lookback_scan_determinismE0ELb0ES3_N6thrust23THRUST_200600_302600_NS6detail15normal_iteratorINS9_10device_ptrIiEEEENSB_INSC_IjEEEESG_jNS9_4plusIvEENS9_8equal_toIvEEjEE10hipError_tPvRmT2_T3_T4_T5_mT6_T7_P12ihipStream_tbENKUlT_T0_E_clISt17integral_constantIbLb0EES10_IbLb1EEEEDaSW_SX_EUlSW_E_NS1_11comp_targetILNS1_3genE5ELNS1_11target_archE942ELNS1_3gpuE9ELNS1_3repE0EEENS1_30default_config_static_selectorELNS0_4arch9wavefront6targetE1EEEvT1_: ; @_ZN7rocprim17ROCPRIM_400000_NS6detail17trampoline_kernelINS0_14default_configENS1_27scan_by_key_config_selectorIijEEZZNS1_16scan_by_key_implILNS1_25lookback_scan_determinismE0ELb0ES3_N6thrust23THRUST_200600_302600_NS6detail15normal_iteratorINS9_10device_ptrIiEEEENSB_INSC_IjEEEESG_jNS9_4plusIvEENS9_8equal_toIvEEjEE10hipError_tPvRmT2_T3_T4_T5_mT6_T7_P12ihipStream_tbENKUlT_T0_E_clISt17integral_constantIbLb0EES10_IbLb1EEEEDaSW_SX_EUlSW_E_NS1_11comp_targetILNS1_3genE5ELNS1_11target_archE942ELNS1_3gpuE9ELNS1_3repE0EEENS1_30default_config_static_selectorELNS0_4arch9wavefront6targetE1EEEvT1_
; %bb.0:
	.section	.rodata,"a",@progbits
	.p2align	6, 0x0
	.amdhsa_kernel _ZN7rocprim17ROCPRIM_400000_NS6detail17trampoline_kernelINS0_14default_configENS1_27scan_by_key_config_selectorIijEEZZNS1_16scan_by_key_implILNS1_25lookback_scan_determinismE0ELb0ES3_N6thrust23THRUST_200600_302600_NS6detail15normal_iteratorINS9_10device_ptrIiEEEENSB_INSC_IjEEEESG_jNS9_4plusIvEENS9_8equal_toIvEEjEE10hipError_tPvRmT2_T3_T4_T5_mT6_T7_P12ihipStream_tbENKUlT_T0_E_clISt17integral_constantIbLb0EES10_IbLb1EEEEDaSW_SX_EUlSW_E_NS1_11comp_targetILNS1_3genE5ELNS1_11target_archE942ELNS1_3gpuE9ELNS1_3repE0EEENS1_30default_config_static_selectorELNS0_4arch9wavefront6targetE1EEEvT1_
		.amdhsa_group_segment_fixed_size 0
		.amdhsa_private_segment_fixed_size 0
		.amdhsa_kernarg_size 112
		.amdhsa_user_sgpr_count 6
		.amdhsa_user_sgpr_private_segment_buffer 1
		.amdhsa_user_sgpr_dispatch_ptr 0
		.amdhsa_user_sgpr_queue_ptr 0
		.amdhsa_user_sgpr_kernarg_segment_ptr 1
		.amdhsa_user_sgpr_dispatch_id 0
		.amdhsa_user_sgpr_flat_scratch_init 0
		.amdhsa_user_sgpr_kernarg_preload_length 0
		.amdhsa_user_sgpr_kernarg_preload_offset 0
		.amdhsa_user_sgpr_private_segment_size 0
		.amdhsa_uses_dynamic_stack 0
		.amdhsa_system_sgpr_private_segment_wavefront_offset 0
		.amdhsa_system_sgpr_workgroup_id_x 1
		.amdhsa_system_sgpr_workgroup_id_y 0
		.amdhsa_system_sgpr_workgroup_id_z 0
		.amdhsa_system_sgpr_workgroup_info 0
		.amdhsa_system_vgpr_workitem_id 0
		.amdhsa_next_free_vgpr 1
		.amdhsa_next_free_sgpr 0
		.amdhsa_accum_offset 4
		.amdhsa_reserve_vcc 0
		.amdhsa_reserve_flat_scratch 0
		.amdhsa_float_round_mode_32 0
		.amdhsa_float_round_mode_16_64 0
		.amdhsa_float_denorm_mode_32 3
		.amdhsa_float_denorm_mode_16_64 3
		.amdhsa_dx10_clamp 1
		.amdhsa_ieee_mode 1
		.amdhsa_fp16_overflow 0
		.amdhsa_tg_split 0
		.amdhsa_exception_fp_ieee_invalid_op 0
		.amdhsa_exception_fp_denorm_src 0
		.amdhsa_exception_fp_ieee_div_zero 0
		.amdhsa_exception_fp_ieee_overflow 0
		.amdhsa_exception_fp_ieee_underflow 0
		.amdhsa_exception_fp_ieee_inexact 0
		.amdhsa_exception_int_div_zero 0
	.end_amdhsa_kernel
	.section	.text._ZN7rocprim17ROCPRIM_400000_NS6detail17trampoline_kernelINS0_14default_configENS1_27scan_by_key_config_selectorIijEEZZNS1_16scan_by_key_implILNS1_25lookback_scan_determinismE0ELb0ES3_N6thrust23THRUST_200600_302600_NS6detail15normal_iteratorINS9_10device_ptrIiEEEENSB_INSC_IjEEEESG_jNS9_4plusIvEENS9_8equal_toIvEEjEE10hipError_tPvRmT2_T3_T4_T5_mT6_T7_P12ihipStream_tbENKUlT_T0_E_clISt17integral_constantIbLb0EES10_IbLb1EEEEDaSW_SX_EUlSW_E_NS1_11comp_targetILNS1_3genE5ELNS1_11target_archE942ELNS1_3gpuE9ELNS1_3repE0EEENS1_30default_config_static_selectorELNS0_4arch9wavefront6targetE1EEEvT1_,"axG",@progbits,_ZN7rocprim17ROCPRIM_400000_NS6detail17trampoline_kernelINS0_14default_configENS1_27scan_by_key_config_selectorIijEEZZNS1_16scan_by_key_implILNS1_25lookback_scan_determinismE0ELb0ES3_N6thrust23THRUST_200600_302600_NS6detail15normal_iteratorINS9_10device_ptrIiEEEENSB_INSC_IjEEEESG_jNS9_4plusIvEENS9_8equal_toIvEEjEE10hipError_tPvRmT2_T3_T4_T5_mT6_T7_P12ihipStream_tbENKUlT_T0_E_clISt17integral_constantIbLb0EES10_IbLb1EEEEDaSW_SX_EUlSW_E_NS1_11comp_targetILNS1_3genE5ELNS1_11target_archE942ELNS1_3gpuE9ELNS1_3repE0EEENS1_30default_config_static_selectorELNS0_4arch9wavefront6targetE1EEEvT1_,comdat
.Lfunc_end1256:
	.size	_ZN7rocprim17ROCPRIM_400000_NS6detail17trampoline_kernelINS0_14default_configENS1_27scan_by_key_config_selectorIijEEZZNS1_16scan_by_key_implILNS1_25lookback_scan_determinismE0ELb0ES3_N6thrust23THRUST_200600_302600_NS6detail15normal_iteratorINS9_10device_ptrIiEEEENSB_INSC_IjEEEESG_jNS9_4plusIvEENS9_8equal_toIvEEjEE10hipError_tPvRmT2_T3_T4_T5_mT6_T7_P12ihipStream_tbENKUlT_T0_E_clISt17integral_constantIbLb0EES10_IbLb1EEEEDaSW_SX_EUlSW_E_NS1_11comp_targetILNS1_3genE5ELNS1_11target_archE942ELNS1_3gpuE9ELNS1_3repE0EEENS1_30default_config_static_selectorELNS0_4arch9wavefront6targetE1EEEvT1_, .Lfunc_end1256-_ZN7rocprim17ROCPRIM_400000_NS6detail17trampoline_kernelINS0_14default_configENS1_27scan_by_key_config_selectorIijEEZZNS1_16scan_by_key_implILNS1_25lookback_scan_determinismE0ELb0ES3_N6thrust23THRUST_200600_302600_NS6detail15normal_iteratorINS9_10device_ptrIiEEEENSB_INSC_IjEEEESG_jNS9_4plusIvEENS9_8equal_toIvEEjEE10hipError_tPvRmT2_T3_T4_T5_mT6_T7_P12ihipStream_tbENKUlT_T0_E_clISt17integral_constantIbLb0EES10_IbLb1EEEEDaSW_SX_EUlSW_E_NS1_11comp_targetILNS1_3genE5ELNS1_11target_archE942ELNS1_3gpuE9ELNS1_3repE0EEENS1_30default_config_static_selectorELNS0_4arch9wavefront6targetE1EEEvT1_
                                        ; -- End function
	.section	.AMDGPU.csdata,"",@progbits
; Kernel info:
; codeLenInByte = 0
; NumSgprs: 4
; NumVgprs: 0
; NumAgprs: 0
; TotalNumVgprs: 0
; ScratchSize: 0
; MemoryBound: 0
; FloatMode: 240
; IeeeMode: 1
; LDSByteSize: 0 bytes/workgroup (compile time only)
; SGPRBlocks: 0
; VGPRBlocks: 0
; NumSGPRsForWavesPerEU: 4
; NumVGPRsForWavesPerEU: 1
; AccumOffset: 4
; Occupancy: 8
; WaveLimiterHint : 0
; COMPUTE_PGM_RSRC2:SCRATCH_EN: 0
; COMPUTE_PGM_RSRC2:USER_SGPR: 6
; COMPUTE_PGM_RSRC2:TRAP_HANDLER: 0
; COMPUTE_PGM_RSRC2:TGID_X_EN: 1
; COMPUTE_PGM_RSRC2:TGID_Y_EN: 0
; COMPUTE_PGM_RSRC2:TGID_Z_EN: 0
; COMPUTE_PGM_RSRC2:TIDIG_COMP_CNT: 0
; COMPUTE_PGM_RSRC3_GFX90A:ACCUM_OFFSET: 0
; COMPUTE_PGM_RSRC3_GFX90A:TG_SPLIT: 0
	.section	.text._ZN7rocprim17ROCPRIM_400000_NS6detail17trampoline_kernelINS0_14default_configENS1_27scan_by_key_config_selectorIijEEZZNS1_16scan_by_key_implILNS1_25lookback_scan_determinismE0ELb0ES3_N6thrust23THRUST_200600_302600_NS6detail15normal_iteratorINS9_10device_ptrIiEEEENSB_INSC_IjEEEESG_jNS9_4plusIvEENS9_8equal_toIvEEjEE10hipError_tPvRmT2_T3_T4_T5_mT6_T7_P12ihipStream_tbENKUlT_T0_E_clISt17integral_constantIbLb0EES10_IbLb1EEEEDaSW_SX_EUlSW_E_NS1_11comp_targetILNS1_3genE4ELNS1_11target_archE910ELNS1_3gpuE8ELNS1_3repE0EEENS1_30default_config_static_selectorELNS0_4arch9wavefront6targetE1EEEvT1_,"axG",@progbits,_ZN7rocprim17ROCPRIM_400000_NS6detail17trampoline_kernelINS0_14default_configENS1_27scan_by_key_config_selectorIijEEZZNS1_16scan_by_key_implILNS1_25lookback_scan_determinismE0ELb0ES3_N6thrust23THRUST_200600_302600_NS6detail15normal_iteratorINS9_10device_ptrIiEEEENSB_INSC_IjEEEESG_jNS9_4plusIvEENS9_8equal_toIvEEjEE10hipError_tPvRmT2_T3_T4_T5_mT6_T7_P12ihipStream_tbENKUlT_T0_E_clISt17integral_constantIbLb0EES10_IbLb1EEEEDaSW_SX_EUlSW_E_NS1_11comp_targetILNS1_3genE4ELNS1_11target_archE910ELNS1_3gpuE8ELNS1_3repE0EEENS1_30default_config_static_selectorELNS0_4arch9wavefront6targetE1EEEvT1_,comdat
	.protected	_ZN7rocprim17ROCPRIM_400000_NS6detail17trampoline_kernelINS0_14default_configENS1_27scan_by_key_config_selectorIijEEZZNS1_16scan_by_key_implILNS1_25lookback_scan_determinismE0ELb0ES3_N6thrust23THRUST_200600_302600_NS6detail15normal_iteratorINS9_10device_ptrIiEEEENSB_INSC_IjEEEESG_jNS9_4plusIvEENS9_8equal_toIvEEjEE10hipError_tPvRmT2_T3_T4_T5_mT6_T7_P12ihipStream_tbENKUlT_T0_E_clISt17integral_constantIbLb0EES10_IbLb1EEEEDaSW_SX_EUlSW_E_NS1_11comp_targetILNS1_3genE4ELNS1_11target_archE910ELNS1_3gpuE8ELNS1_3repE0EEENS1_30default_config_static_selectorELNS0_4arch9wavefront6targetE1EEEvT1_ ; -- Begin function _ZN7rocprim17ROCPRIM_400000_NS6detail17trampoline_kernelINS0_14default_configENS1_27scan_by_key_config_selectorIijEEZZNS1_16scan_by_key_implILNS1_25lookback_scan_determinismE0ELb0ES3_N6thrust23THRUST_200600_302600_NS6detail15normal_iteratorINS9_10device_ptrIiEEEENSB_INSC_IjEEEESG_jNS9_4plusIvEENS9_8equal_toIvEEjEE10hipError_tPvRmT2_T3_T4_T5_mT6_T7_P12ihipStream_tbENKUlT_T0_E_clISt17integral_constantIbLb0EES10_IbLb1EEEEDaSW_SX_EUlSW_E_NS1_11comp_targetILNS1_3genE4ELNS1_11target_archE910ELNS1_3gpuE8ELNS1_3repE0EEENS1_30default_config_static_selectorELNS0_4arch9wavefront6targetE1EEEvT1_
	.globl	_ZN7rocprim17ROCPRIM_400000_NS6detail17trampoline_kernelINS0_14default_configENS1_27scan_by_key_config_selectorIijEEZZNS1_16scan_by_key_implILNS1_25lookback_scan_determinismE0ELb0ES3_N6thrust23THRUST_200600_302600_NS6detail15normal_iteratorINS9_10device_ptrIiEEEENSB_INSC_IjEEEESG_jNS9_4plusIvEENS9_8equal_toIvEEjEE10hipError_tPvRmT2_T3_T4_T5_mT6_T7_P12ihipStream_tbENKUlT_T0_E_clISt17integral_constantIbLb0EES10_IbLb1EEEEDaSW_SX_EUlSW_E_NS1_11comp_targetILNS1_3genE4ELNS1_11target_archE910ELNS1_3gpuE8ELNS1_3repE0EEENS1_30default_config_static_selectorELNS0_4arch9wavefront6targetE1EEEvT1_
	.p2align	8
	.type	_ZN7rocprim17ROCPRIM_400000_NS6detail17trampoline_kernelINS0_14default_configENS1_27scan_by_key_config_selectorIijEEZZNS1_16scan_by_key_implILNS1_25lookback_scan_determinismE0ELb0ES3_N6thrust23THRUST_200600_302600_NS6detail15normal_iteratorINS9_10device_ptrIiEEEENSB_INSC_IjEEEESG_jNS9_4plusIvEENS9_8equal_toIvEEjEE10hipError_tPvRmT2_T3_T4_T5_mT6_T7_P12ihipStream_tbENKUlT_T0_E_clISt17integral_constantIbLb0EES10_IbLb1EEEEDaSW_SX_EUlSW_E_NS1_11comp_targetILNS1_3genE4ELNS1_11target_archE910ELNS1_3gpuE8ELNS1_3repE0EEENS1_30default_config_static_selectorELNS0_4arch9wavefront6targetE1EEEvT1_,@function
_ZN7rocprim17ROCPRIM_400000_NS6detail17trampoline_kernelINS0_14default_configENS1_27scan_by_key_config_selectorIijEEZZNS1_16scan_by_key_implILNS1_25lookback_scan_determinismE0ELb0ES3_N6thrust23THRUST_200600_302600_NS6detail15normal_iteratorINS9_10device_ptrIiEEEENSB_INSC_IjEEEESG_jNS9_4plusIvEENS9_8equal_toIvEEjEE10hipError_tPvRmT2_T3_T4_T5_mT6_T7_P12ihipStream_tbENKUlT_T0_E_clISt17integral_constantIbLb0EES10_IbLb1EEEEDaSW_SX_EUlSW_E_NS1_11comp_targetILNS1_3genE4ELNS1_11target_archE910ELNS1_3gpuE8ELNS1_3repE0EEENS1_30default_config_static_selectorELNS0_4arch9wavefront6targetE1EEEvT1_: ; @_ZN7rocprim17ROCPRIM_400000_NS6detail17trampoline_kernelINS0_14default_configENS1_27scan_by_key_config_selectorIijEEZZNS1_16scan_by_key_implILNS1_25lookback_scan_determinismE0ELb0ES3_N6thrust23THRUST_200600_302600_NS6detail15normal_iteratorINS9_10device_ptrIiEEEENSB_INSC_IjEEEESG_jNS9_4plusIvEENS9_8equal_toIvEEjEE10hipError_tPvRmT2_T3_T4_T5_mT6_T7_P12ihipStream_tbENKUlT_T0_E_clISt17integral_constantIbLb0EES10_IbLb1EEEEDaSW_SX_EUlSW_E_NS1_11comp_targetILNS1_3genE4ELNS1_11target_archE910ELNS1_3gpuE8ELNS1_3repE0EEENS1_30default_config_static_selectorELNS0_4arch9wavefront6targetE1EEEvT1_
; %bb.0:
	s_load_dwordx4 s[56:59], s[4:5], 0x28
	s_load_dwordx2 s[60:61], s[4:5], 0x38
	v_cmp_ne_u32_e64 s[36:37], 0, v0
	v_cmp_eq_u32_e64 s[0:1], 0, v0
	s_and_saveexec_b64 s[2:3], s[0:1]
	s_cbranch_execz .LBB1257_4
; %bb.1:
	s_mov_b64 s[8:9], exec
	v_mbcnt_lo_u32_b32 v1, s8, 0
	v_mbcnt_hi_u32_b32 v1, s9, v1
	v_cmp_eq_u32_e32 vcc, 0, v1
                                        ; implicit-def: $vgpr2
	s_and_saveexec_b64 s[6:7], vcc
	s_cbranch_execz .LBB1257_3
; %bb.2:
	s_load_dwordx2 s[10:11], s[4:5], 0x68
	s_bcnt1_i32_b64 s8, s[8:9]
	v_mov_b32_e32 v2, 0
	v_mov_b32_e32 v3, s8
	s_waitcnt lgkmcnt(0)
	global_atomic_add v2, v2, v3, s[10:11] glc
.LBB1257_3:
	s_or_b64 exec, exec, s[6:7]
	s_waitcnt vmcnt(0)
	v_readfirstlane_b32 s6, v2
	v_add_u32_e32 v1, s6, v1
	v_mov_b32_e32 v2, 0
	ds_write_b32 v2, v1
.LBB1257_4:
	s_or_b64 exec, exec, s[2:3]
	s_load_dwordx8 s[40:47], s[4:5], 0x0
	s_load_dword s2, s[4:5], 0x40
	s_load_dwordx8 s[48:55], s[4:5], 0x48
	v_mov_b32_e32 v1, 0
	s_waitcnt lgkmcnt(0)
	s_barrier
	ds_read_b32 v1, v1
	s_lshl_b64 s[38:39], s[42:43], 2
	s_add_u32 s4, s40, s38
	s_addc_u32 s5, s41, s39
	s_add_u32 s6, s44, s38
	s_mul_i32 s3, s61, s2
	s_mul_hi_u32 s8, s60, s2
	s_addc_u32 s7, s45, s39
	s_add_i32 s8, s8, s3
	s_waitcnt lgkmcnt(0)
	v_readfirstlane_b32 s59, v1
	s_mul_i32 s9, s60, s2
	s_cmp_lg_u64 s[52:53], 0
	s_mov_b32 s3, 0
	s_mul_i32 s2, s59, 0xe00
	s_cselect_b64 s[44:45], -1, 0
	s_lshl_b64 s[40:41], s[2:3], 2
	s_add_u32 s42, s4, s40
	s_addc_u32 s43, s5, s41
	s_add_u32 s62, s6, s40
	s_addc_u32 s63, s7, s41
	;; [unrolled: 2-line block ×3, first 2 shown]
	s_add_u32 s4, s48, -1
	s_addc_u32 s5, s49, -1
	v_pk_mov_b32 v[2:3], s[4:5], s[4:5] op_sel:[0,1]
	v_cmp_ge_u64_e64 s[2:3], s[52:53], v[2:3]
	s_mov_b64 s[18:19], 0
	s_mov_b64 s[12:13], -1
	s_and_b64 vcc, exec, s[2:3]
	s_mul_i32 s33, s4, 0xfffff200
	s_barrier
	s_barrier
	s_cbranch_vccz .LBB1257_81
; %bb.5:
	v_pk_mov_b32 v[2:3], s[42:43], s[42:43] op_sel:[0,1]
	flat_load_dword v1, v[2:3]
	s_add_i32 s64, s33, s58
	v_cmp_gt_u32_e64 s[6:7], s64, v0
	s_waitcnt vmcnt(0) lgkmcnt(0)
	v_mov_b32_e32 v13, v1
	s_and_saveexec_b64 s[4:5], s[6:7]
	s_cbranch_execz .LBB1257_7
; %bb.6:
	v_lshlrev_b32_e32 v2, 2, v0
	v_mov_b32_e32 v3, s43
	v_add_co_u32_e32 v2, vcc, s42, v2
	v_addc_co_u32_e32 v3, vcc, 0, v3, vcc
	flat_load_dword v13, v[2:3]
.LBB1257_7:
	s_or_b64 exec, exec, s[4:5]
	v_or_b32_e32 v2, 0x100, v0
	v_cmp_gt_u32_e64 s[8:9], s64, v2
	v_mov_b32_e32 v14, v1
	s_and_saveexec_b64 s[4:5], s[8:9]
	s_cbranch_execz .LBB1257_9
; %bb.8:
	v_lshlrev_b32_e32 v2, 2, v0
	v_mov_b32_e32 v3, s43
	v_add_co_u32_e32 v2, vcc, s42, v2
	v_addc_co_u32_e32 v3, vcc, 0, v3, vcc
	flat_load_dword v14, v[2:3] offset:1024
.LBB1257_9:
	s_or_b64 exec, exec, s[4:5]
	v_or_b32_e32 v2, 0x200, v0
	v_cmp_gt_u32_e64 s[10:11], s64, v2
	v_mov_b32_e32 v15, v1
	s_and_saveexec_b64 s[4:5], s[10:11]
	s_cbranch_execz .LBB1257_11
; %bb.10:
	v_lshlrev_b32_e32 v2, 2, v0
	v_mov_b32_e32 v3, s43
	v_add_co_u32_e32 v2, vcc, s42, v2
	v_addc_co_u32_e32 v3, vcc, 0, v3, vcc
	flat_load_dword v15, v[2:3] offset:2048
.LBB1257_11:
	;; [unrolled: 13-line block ×3, first 2 shown]
	s_or_b64 exec, exec, s[4:5]
	v_or_b32_e32 v2, 0x400, v0
	v_cmp_gt_u32_e64 s[14:15], s64, v2
	v_lshlrev_b32_e32 v2, 2, v2
	v_mov_b32_e32 v17, v1
	s_and_saveexec_b64 s[4:5], s[14:15]
	s_cbranch_execz .LBB1257_15
; %bb.14:
	v_mov_b32_e32 v3, s43
	v_add_co_u32_e32 v4, vcc, s42, v2
	v_addc_co_u32_e32 v5, vcc, 0, v3, vcc
	flat_load_dword v17, v[4:5]
.LBB1257_15:
	s_or_b64 exec, exec, s[4:5]
	v_or_b32_e32 v3, 0x500, v0
	v_cmp_gt_u32_e64 s[16:17], s64, v3
	v_lshlrev_b32_e32 v3, 2, v3
	v_mov_b32_e32 v18, v1
	s_and_saveexec_b64 s[4:5], s[16:17]
	s_cbranch_execz .LBB1257_17
; %bb.16:
	v_mov_b32_e32 v5, s43
	v_add_co_u32_e32 v4, vcc, s42, v3
	v_addc_co_u32_e32 v5, vcc, 0, v5, vcc
	flat_load_dword v18, v[4:5]
.LBB1257_17:
	;; [unrolled: 13-line block ×9, first 2 shown]
	s_or_b64 exec, exec, s[4:5]
	v_or_b32_e32 v11, 0xd00, v0
	v_cmp_gt_u32_e64 s[34:35], s64, v11
	v_lshlrev_b32_e32 v11, 2, v11
	s_and_saveexec_b64 s[4:5], s[34:35]
	s_cbranch_execz .LBB1257_33
; %bb.32:
	v_mov_b32_e32 v1, s43
	v_add_co_u32_e32 v26, vcc, s42, v11
	v_addc_co_u32_e32 v27, vcc, 0, v1, vcc
	flat_load_dword v1, v[26:27]
.LBB1257_33:
	s_or_b64 exec, exec, s[4:5]
	v_lshlrev_b32_e32 v12, 2, v0
	s_waitcnt vmcnt(0) lgkmcnt(0)
	ds_write2st64_b32 v12, v13, v14 offset1:4
	ds_write2st64_b32 v12, v15, v16 offset0:8 offset1:12
	ds_write2st64_b32 v12, v17, v18 offset0:16 offset1:20
	;; [unrolled: 1-line block ×6, first 2 shown]
	v_mad_u32_u24 v1, v0, 52, v12
	s_waitcnt lgkmcnt(0)
	s_barrier
	ds_read2_b64 v[34:37], v1 offset1:1
	ds_read2_b64 v[30:33], v1 offset0:2 offset1:3
	ds_read2_b64 v[26:29], v1 offset0:4 offset1:5
	ds_read_b64 v[40:41], v1 offset:48
	s_cmp_eq_u64 s[52:53], 0
	s_mov_b64 s[4:5], s[42:43]
	s_cbranch_scc1 .LBB1257_37
; %bb.34:
	s_andn2_b64 vcc, exec, s[44:45]
	s_cbranch_vccnz .LBB1257_183
; %bb.35:
	s_lshl_b64 s[4:5], s[52:53], 2
	s_add_u32 s4, s54, s4
	s_addc_u32 s5, s55, s5
	s_add_u32 s4, s4, -4
	s_addc_u32 s5, s5, -1
	s_cbranch_execnz .LBB1257_37
.LBB1257_36:
	s_add_u32 s4, s42, -4
	s_addc_u32 s5, s43, -1
.LBB1257_37:
	v_pk_mov_b32 v[14:15], s[4:5], s[4:5] op_sel:[0,1]
	flat_load_dword v44, v[14:15]
	s_movk_i32 s4, 0xffcc
	v_mad_i32_i24 v13, v0, s4, v1
	s_waitcnt lgkmcnt(0)
	ds_write_b32 v13, v41 offset:14336
	s_waitcnt lgkmcnt(0)
	s_barrier
	s_and_saveexec_b64 s[4:5], s[36:37]
	s_cbranch_execz .LBB1257_39
; %bb.38:
	v_mul_i32_i24_e32 v13, 0xffffffcc, v0
	v_add_u32_e32 v13, v1, v13
	s_waitcnt vmcnt(0)
	ds_read_b32 v44, v13 offset:14332
.LBB1257_39:
	s_or_b64 exec, exec, s[4:5]
	s_waitcnt lgkmcnt(0)
	s_barrier
	s_waitcnt lgkmcnt(0)
                                        ; implicit-def: $vgpr13
	s_and_saveexec_b64 s[4:5], s[6:7]
	s_cbranch_execnz .LBB1257_170
; %bb.40:
	s_or_b64 exec, exec, s[4:5]
                                        ; implicit-def: $vgpr14
	s_and_saveexec_b64 s[4:5], s[8:9]
	s_cbranch_execnz .LBB1257_171
.LBB1257_41:
	s_or_b64 exec, exec, s[4:5]
                                        ; implicit-def: $vgpr15
	s_and_saveexec_b64 s[4:5], s[10:11]
	s_cbranch_execnz .LBB1257_172
.LBB1257_42:
	s_or_b64 exec, exec, s[4:5]
                                        ; implicit-def: $vgpr16
	s_and_saveexec_b64 s[4:5], s[12:13]
	s_cbranch_execnz .LBB1257_173
.LBB1257_43:
	s_or_b64 exec, exec, s[4:5]
                                        ; implicit-def: $vgpr17
	s_and_saveexec_b64 s[4:5], s[14:15]
	s_cbranch_execnz .LBB1257_174
.LBB1257_44:
	s_or_b64 exec, exec, s[4:5]
                                        ; implicit-def: $vgpr2
	s_and_saveexec_b64 s[4:5], s[16:17]
	s_cbranch_execnz .LBB1257_175
.LBB1257_45:
	s_or_b64 exec, exec, s[4:5]
                                        ; implicit-def: $vgpr3
	s_and_saveexec_b64 s[4:5], s[18:19]
	s_cbranch_execnz .LBB1257_176
.LBB1257_46:
	s_or_b64 exec, exec, s[4:5]
                                        ; implicit-def: $vgpr4
	s_and_saveexec_b64 s[4:5], s[20:21]
	s_cbranch_execnz .LBB1257_177
.LBB1257_47:
	s_or_b64 exec, exec, s[4:5]
                                        ; implicit-def: $vgpr5
	s_and_saveexec_b64 s[4:5], s[22:23]
	s_cbranch_execnz .LBB1257_178
.LBB1257_48:
	s_or_b64 exec, exec, s[4:5]
                                        ; implicit-def: $vgpr6
	s_and_saveexec_b64 s[4:5], s[24:25]
	s_cbranch_execnz .LBB1257_179
.LBB1257_49:
	s_or_b64 exec, exec, s[4:5]
                                        ; implicit-def: $vgpr7
	s_and_saveexec_b64 s[4:5], s[26:27]
	s_cbranch_execnz .LBB1257_180
.LBB1257_50:
	s_or_b64 exec, exec, s[4:5]
                                        ; implicit-def: $vgpr8
	s_and_saveexec_b64 s[4:5], s[28:29]
	s_cbranch_execnz .LBB1257_181
.LBB1257_51:
	s_or_b64 exec, exec, s[4:5]
                                        ; implicit-def: $vgpr9
	s_and_saveexec_b64 s[4:5], s[30:31]
	s_cbranch_execnz .LBB1257_182
.LBB1257_52:
	s_or_b64 exec, exec, s[4:5]
                                        ; implicit-def: $vgpr10
	s_and_saveexec_b64 s[4:5], s[34:35]
	s_cbranch_execz .LBB1257_54
.LBB1257_53:
	v_mov_b32_e32 v18, s63
	v_add_co_u32_e32 v10, vcc, s62, v11
	v_addc_co_u32_e32 v11, vcc, 0, v18, vcc
	flat_load_dword v10, v[10:11]
.LBB1257_54:
	s_or_b64 exec, exec, s[4:5]
	s_mov_b32 s4, 0
	s_mov_b32 s5, s4
	s_waitcnt vmcnt(0) lgkmcnt(0)
	ds_write2st64_b32 v12, v13, v14 offset1:4
	ds_write2st64_b32 v12, v15, v16 offset0:8 offset1:12
	ds_write2st64_b32 v12, v17, v2 offset0:16 offset1:20
	;; [unrolled: 1-line block ×6, first 2 shown]
	s_mov_b32 s6, s4
	s_mov_b32 s7, s4
	;; [unrolled: 1-line block ×6, first 2 shown]
	v_pk_mov_b32 v[2:3], s[4:5], s[4:5] op_sel:[0,1]
	v_pk_mov_b32 v[8:9], s[10:11], s[10:11] op_sel:[0,1]
	v_mul_u32_u24_e32 v42, 14, v0
	v_pk_mov_b32 v[4:5], s[6:7], s[6:7] op_sel:[0,1]
	v_pk_mov_b32 v[6:7], s[8:9], s[8:9] op_sel:[0,1]
	v_pk_mov_b32 v[16:17], v[8:9], v[8:9] op_sel:[0,1]
	v_pk_mov_b32 v[24:25], v[8:9], v[8:9] op_sel:[0,1]
	v_cmp_gt_u32_e32 vcc, s64, v42
	s_mov_b64 s[12:13], 0
	v_pk_mov_b32 v[38:39], 0, 0
	s_mov_b64 s[18:19], 0
	v_pk_mov_b32 v[14:15], v[6:7], v[6:7] op_sel:[0,1]
	v_pk_mov_b32 v[12:13], v[4:5], v[4:5] op_sel:[0,1]
	;; [unrolled: 1-line block ×6, first 2 shown]
	s_waitcnt lgkmcnt(0)
	s_barrier
	s_waitcnt lgkmcnt(0)
                                        ; implicit-def: $sgpr16_sgpr17
                                        ; implicit-def: $vgpr43
	s_and_saveexec_b64 s[14:15], vcc
	s_cbranch_execz .LBB1257_80
; %bb.55:
	v_or_b32_e32 v2, 1, v42
	ds_read_b32 v38, v1
	v_cmp_ne_u32_e32 vcc, v44, v34
	v_cndmask_b32_e64 v39, 0, 1, vcc
	v_cmp_gt_u32_e32 vcc, s64, v2
	v_pk_mov_b32 v[2:3], s[4:5], s[4:5] op_sel:[0,1]
	v_pk_mov_b32 v[8:9], s[10:11], s[10:11] op_sel:[0,1]
	;; [unrolled: 1-line block ×12, first 2 shown]
                                        ; implicit-def: $sgpr4_sgpr5
                                        ; implicit-def: $vgpr43
	s_and_saveexec_b64 s[16:17], vcc
	s_cbranch_execz .LBB1257_79
; %bb.56:
	ds_read2_b32 v[44:45], v1 offset0:1 offset1:2
	s_mov_b32 s4, 0
	s_mov_b32 s10, s4
	;; [unrolled: 1-line block ×8, first 2 shown]
	v_pk_mov_b32 v[16:17], s[10:11], s[10:11] op_sel:[0,1]
	v_add_u32_e32 v2, 2, v42
	v_cmp_ne_u32_e32 vcc, v34, v35
	v_mov_b32_e32 v6, 0
	v_pk_mov_b32 v[14:15], s[8:9], s[8:9] op_sel:[0,1]
	v_pk_mov_b32 v[12:13], s[6:7], s[6:7] op_sel:[0,1]
	;; [unrolled: 1-line block ×4, first 2 shown]
	v_cndmask_b32_e64 v3, 0, 1, vcc
	v_cmp_gt_u32_e32 vcc, s64, v2
	s_waitcnt lgkmcnt(0)
	v_mov_b32_e32 v2, v44
	v_mov_b32_e32 v4, v6
	;; [unrolled: 1-line block ×6, first 2 shown]
	s_mov_b64 s[20:21], 0
	v_pk_mov_b32 v[22:23], v[14:15], v[14:15] op_sel:[0,1]
	v_pk_mov_b32 v[20:21], v[12:13], v[12:13] op_sel:[0,1]
	;; [unrolled: 1-line block ×3, first 2 shown]
                                        ; implicit-def: $sgpr24_sgpr25
                                        ; implicit-def: $vgpr43
	s_and_saveexec_b64 s[18:19], vcc
	s_cbranch_execz .LBB1257_78
; %bb.57:
	v_pk_mov_b32 v[16:17], s[10:11], s[10:11] op_sel:[0,1]
	v_add_u32_e32 v2, 3, v42
	v_cmp_ne_u32_e32 vcc, v35, v36
	v_pk_mov_b32 v[14:15], s[8:9], s[8:9] op_sel:[0,1]
	v_pk_mov_b32 v[12:13], s[6:7], s[6:7] op_sel:[0,1]
	;; [unrolled: 1-line block ×4, first 2 shown]
	v_cndmask_b32_e64 v5, 0, 1, vcc
	v_cmp_gt_u32_e32 vcc, s64, v2
	v_mov_b32_e32 v2, v44
	v_mov_b32_e32 v4, v45
	;; [unrolled: 1-line block ×5, first 2 shown]
	s_mov_b64 s[22:23], 0
	v_pk_mov_b32 v[22:23], v[14:15], v[14:15] op_sel:[0,1]
	v_pk_mov_b32 v[20:21], v[12:13], v[12:13] op_sel:[0,1]
	v_pk_mov_b32 v[18:19], v[10:11], v[10:11] op_sel:[0,1]
                                        ; implicit-def: $sgpr4_sgpr5
                                        ; implicit-def: $vgpr43
	s_and_saveexec_b64 s[20:21], vcc
	s_cbranch_execz .LBB1257_77
; %bb.58:
	ds_read2_b32 v[34:35], v1 offset0:3 offset1:4
	s_mov_b32 s4, 0
	s_mov_b32 s10, s4
	;; [unrolled: 1-line block ×8, first 2 shown]
	v_pk_mov_b32 v[16:17], s[10:11], s[10:11] op_sel:[0,1]
	v_add_u32_e32 v6, 4, v42
	v_cmp_ne_u32_e32 vcc, v36, v37
	v_pk_mov_b32 v[14:15], s[8:9], s[8:9] op_sel:[0,1]
	v_pk_mov_b32 v[12:13], s[6:7], s[6:7] op_sel:[0,1]
	;; [unrolled: 1-line block ×4, first 2 shown]
	v_cndmask_b32_e64 v7, 0, 1, vcc
	v_cmp_gt_u32_e32 vcc, s64, v6
	s_waitcnt lgkmcnt(0)
	v_mov_b32_e32 v6, v34
	v_mov_b32_e32 v8, s4
	;; [unrolled: 1-line block ×3, first 2 shown]
	s_mov_b64 s[24:25], 0
	v_pk_mov_b32 v[22:23], v[14:15], v[14:15] op_sel:[0,1]
	v_pk_mov_b32 v[20:21], v[12:13], v[12:13] op_sel:[0,1]
	;; [unrolled: 1-line block ×3, first 2 shown]
                                        ; implicit-def: $sgpr26_sgpr27
                                        ; implicit-def: $vgpr43
	s_and_saveexec_b64 s[22:23], vcc
	s_cbranch_execz .LBB1257_76
; %bb.59:
	v_pk_mov_b32 v[16:17], s[10:11], s[10:11] op_sel:[0,1]
	v_add_u32_e32 v8, 5, v42
	v_cmp_ne_u32_e32 vcc, v37, v30
	v_pk_mov_b32 v[14:15], s[8:9], s[8:9] op_sel:[0,1]
	v_pk_mov_b32 v[12:13], s[6:7], s[6:7] op_sel:[0,1]
	;; [unrolled: 1-line block ×4, first 2 shown]
	v_cndmask_b32_e64 v9, 0, 1, vcc
	v_cmp_gt_u32_e32 vcc, s64, v8
	v_mov_b32_e32 v8, v35
	s_mov_b64 s[28:29], 0
	v_pk_mov_b32 v[22:23], v[14:15], v[14:15] op_sel:[0,1]
	v_pk_mov_b32 v[20:21], v[12:13], v[12:13] op_sel:[0,1]
	;; [unrolled: 1-line block ×3, first 2 shown]
                                        ; implicit-def: $sgpr4_sgpr5
                                        ; implicit-def: $vgpr43
	s_and_saveexec_b64 s[24:25], vcc
	s_cbranch_execz .LBB1257_75
; %bb.60:
	ds_read2_b32 v[34:35], v1 offset0:5 offset1:6
	s_mov_b32 s4, 0
	s_mov_b32 s10, s4
	;; [unrolled: 1-line block ×3, first 2 shown]
	v_add_u32_e32 v10, 6, v42
	v_cmp_ne_u32_e32 vcc, v30, v31
	v_mov_b32_e32 v14, 0
	s_mov_b32 s5, s4
	s_mov_b32 s6, s4
	;; [unrolled: 1-line block ×5, first 2 shown]
	v_pk_mov_b32 v[24:25], s[10:11], s[10:11] op_sel:[0,1]
	v_cndmask_b32_e64 v11, 0, 1, vcc
	v_cmp_gt_u32_e32 vcc, s64, v10
	s_waitcnt lgkmcnt(0)
	v_mov_b32_e32 v10, v34
	v_mov_b32_e32 v12, v14
	;; [unrolled: 1-line block ×6, first 2 shown]
	v_pk_mov_b32 v[22:23], s[8:9], s[8:9] op_sel:[0,1]
	v_pk_mov_b32 v[20:21], s[6:7], s[6:7] op_sel:[0,1]
	;; [unrolled: 1-line block ×3, first 2 shown]
                                        ; implicit-def: $sgpr34_sgpr35
                                        ; implicit-def: $vgpr43
	s_and_saveexec_b64 s[26:27], vcc
	s_cbranch_execz .LBB1257_74
; %bb.61:
	v_add_u32_e32 v10, 7, v42
	v_cmp_ne_u32_e32 vcc, v31, v32
	v_pk_mov_b32 v[24:25], s[10:11], s[10:11] op_sel:[0,1]
	v_cndmask_b32_e64 v13, 0, 1, vcc
	v_cmp_gt_u32_e32 vcc, s64, v10
	v_mov_b32_e32 v10, v34
	v_mov_b32_e32 v12, v35
	;; [unrolled: 1-line block ×5, first 2 shown]
	s_mov_b64 s[30:31], 0
	v_pk_mov_b32 v[22:23], s[8:9], s[8:9] op_sel:[0,1]
	v_pk_mov_b32 v[20:21], s[6:7], s[6:7] op_sel:[0,1]
	;; [unrolled: 1-line block ×3, first 2 shown]
                                        ; implicit-def: $sgpr4_sgpr5
                                        ; implicit-def: $vgpr43
	s_and_saveexec_b64 s[28:29], vcc
	s_cbranch_execz .LBB1257_73
; %bb.62:
	ds_read2_b32 v[30:31], v1 offset0:7 offset1:8
	s_mov_b32 s4, 0
	s_mov_b32 s10, s4
	;; [unrolled: 1-line block ×3, first 2 shown]
	v_add_u32_e32 v14, 8, v42
	v_cmp_ne_u32_e32 vcc, v32, v33
	s_mov_b32 s5, s4
	s_mov_b32 s6, s4
	;; [unrolled: 1-line block ×5, first 2 shown]
	v_pk_mov_b32 v[24:25], s[10:11], s[10:11] op_sel:[0,1]
	v_cndmask_b32_e64 v15, 0, 1, vcc
	v_cmp_gt_u32_e32 vcc, s64, v14
	s_waitcnt lgkmcnt(0)
	v_mov_b32_e32 v14, v30
	v_mov_b32_e32 v16, s4
	;; [unrolled: 1-line block ×3, first 2 shown]
	s_mov_b64 s[34:35], 0
	v_pk_mov_b32 v[22:23], s[8:9], s[8:9] op_sel:[0,1]
	v_pk_mov_b32 v[20:21], s[6:7], s[6:7] op_sel:[0,1]
	;; [unrolled: 1-line block ×3, first 2 shown]
                                        ; implicit-def: $sgpr48_sgpr49
                                        ; implicit-def: $vgpr43
	s_and_saveexec_b64 s[30:31], vcc
	s_cbranch_execz .LBB1257_72
; %bb.63:
	v_add_u32_e32 v16, 9, v42
	v_cmp_ne_u32_e32 vcc, v33, v26
	v_pk_mov_b32 v[24:25], s[10:11], s[10:11] op_sel:[0,1]
	v_cndmask_b32_e64 v17, 0, 1, vcc
	v_cmp_gt_u32_e32 vcc, s64, v16
	v_mov_b32_e32 v16, v31
	v_pk_mov_b32 v[22:23], s[8:9], s[8:9] op_sel:[0,1]
	v_pk_mov_b32 v[20:21], s[6:7], s[6:7] op_sel:[0,1]
	;; [unrolled: 1-line block ×3, first 2 shown]
                                        ; implicit-def: $sgpr8_sgpr9
                                        ; implicit-def: $vgpr43
	s_and_saveexec_b64 s[6:7], vcc
	s_cbranch_execz .LBB1257_71
; %bb.64:
	ds_read2_b32 v[30:31], v1 offset0:9 offset1:10
	v_add_u32_e32 v18, 10, v42
	v_cmp_ne_u32_e32 vcc, v26, v27
	v_mov_b32_e32 v22, 0
	v_cndmask_b32_e64 v19, 0, 1, vcc
	v_cmp_gt_u32_e32 vcc, s64, v18
	s_waitcnt lgkmcnt(0)
	v_mov_b32_e32 v18, v30
	v_mov_b32_e32 v20, v22
	;; [unrolled: 1-line block ×6, first 2 shown]
	s_mov_b64 s[4:5], 0
                                        ; implicit-def: $sgpr10_sgpr11
                                        ; implicit-def: $vgpr43
	s_and_saveexec_b64 s[8:9], vcc
	s_cbranch_execz .LBB1257_70
; %bb.65:
	v_add_u32_e32 v18, 11, v42
	v_cmp_ne_u32_e32 vcc, v27, v28
	v_cndmask_b32_e64 v21, 0, 1, vcc
	v_cmp_gt_u32_e32 vcc, s64, v18
	s_mov_b32 s48, 0
	v_mov_b32_e32 v18, v30
	v_mov_b32_e32 v20, v31
	;; [unrolled: 1-line block ×5, first 2 shown]
                                        ; implicit-def: $sgpr34_sgpr35
                                        ; implicit-def: $vgpr43
	s_and_saveexec_b64 s[10:11], vcc
	s_cbranch_execz .LBB1257_69
; %bb.66:
	ds_read2_b32 v[26:27], v1 offset0:11 offset1:12
	v_add_u32_e32 v22, 12, v42
	v_cmp_ne_u32_e32 vcc, v28, v29
	v_cndmask_b32_e64 v23, 0, 1, vcc
	v_cmp_gt_u32_e32 vcc, s64, v22
	s_waitcnt lgkmcnt(0)
	v_mov_b32_e32 v22, v26
	v_mov_b32_e32 v24, s48
	;; [unrolled: 1-line block ×3, first 2 shown]
                                        ; implicit-def: $sgpr34_sgpr35
                                        ; implicit-def: $vgpr43
	s_and_saveexec_b64 s[48:49], vcc
	s_xor_b64 s[48:49], exec, s[48:49]
	s_cbranch_execz .LBB1257_68
; %bb.67:
	ds_read_b32 v43, v1 offset:52
	v_add_u32_e32 v1, 13, v42
	v_cmp_ne_u32_e64 s[4:5], v29, v40
	v_cmp_ne_u32_e32 vcc, v40, v41
	v_cndmask_b32_e64 v25, 0, 1, s[4:5]
	v_cmp_gt_u32_e64 s[4:5], s64, v1
	v_mov_b32_e32 v24, v27
	s_and_b64 s[34:35], vcc, exec
	s_and_b64 s[4:5], s[4:5], exec
.LBB1257_68:
	s_or_b64 exec, exec, s[48:49]
	s_and_b64 s[34:35], s[34:35], exec
	s_and_b64 s[4:5], s[4:5], exec
.LBB1257_69:
	s_or_b64 exec, exec, s[10:11]
	s_and_b64 s[10:11], s[34:35], exec
	s_and_b64 s[4:5], s[4:5], exec
.LBB1257_70:
	s_or_b64 exec, exec, s[8:9]
	s_and_b64 s[8:9], s[10:11], exec
	s_and_b64 s[34:35], s[4:5], exec
.LBB1257_71:
	s_or_b64 exec, exec, s[6:7]
	s_and_b64 s[48:49], s[8:9], exec
	s_and_b64 s[34:35], s[34:35], exec
.LBB1257_72:
	s_or_b64 exec, exec, s[30:31]
	s_and_b64 s[4:5], s[48:49], exec
	s_and_b64 s[30:31], s[34:35], exec
.LBB1257_73:
	s_or_b64 exec, exec, s[28:29]
	s_and_b64 s[34:35], s[4:5], exec
	s_and_b64 s[28:29], s[30:31], exec
.LBB1257_74:
	s_or_b64 exec, exec, s[26:27]
	s_and_b64 s[4:5], s[34:35], exec
	s_and_b64 s[28:29], s[28:29], exec
.LBB1257_75:
	s_or_b64 exec, exec, s[24:25]
	s_and_b64 s[26:27], s[4:5], exec
	s_and_b64 s[24:25], s[28:29], exec
.LBB1257_76:
	s_or_b64 exec, exec, s[22:23]
	s_and_b64 s[4:5], s[26:27], exec
	s_and_b64 s[22:23], s[24:25], exec
.LBB1257_77:
	s_or_b64 exec, exec, s[20:21]
	s_and_b64 s[24:25], s[4:5], exec
	s_and_b64 s[20:21], s[22:23], exec
.LBB1257_78:
	s_or_b64 exec, exec, s[18:19]
	s_and_b64 s[4:5], s[24:25], exec
	s_and_b64 s[18:19], s[20:21], exec
.LBB1257_79:
	s_or_b64 exec, exec, s[16:17]
	s_and_b64 s[16:17], s[4:5], exec
	s_and_b64 s[18:19], s[18:19], exec
.LBB1257_80:
	s_or_b64 exec, exec, s[14:15]
	s_and_b64 vcc, exec, s[12:13]
	v_lshlrev_b32_e32 v50, 2, v0
	s_cbranch_vccnz .LBB1257_82
	s_branch .LBB1257_90
.LBB1257_81:
                                        ; implicit-def: $sgpr16_sgpr17
                                        ; implicit-def: $vgpr2_vgpr3_vgpr4_vgpr5_vgpr6_vgpr7_vgpr8_vgpr9
                                        ; implicit-def: $vgpr10_vgpr11_vgpr12_vgpr13_vgpr14_vgpr15_vgpr16_vgpr17
                                        ; implicit-def: $vgpr18_vgpr19_vgpr20_vgpr21_vgpr22_vgpr23_vgpr24_vgpr25
                                        ; implicit-def: $vgpr43
                                        ; implicit-def: $vgpr38_vgpr39
	s_and_b64 vcc, exec, s[12:13]
	v_lshlrev_b32_e32 v50, 2, v0
	s_cbranch_vccz .LBB1257_90
.LBB1257_82:
	v_mov_b32_e32 v1, s43
	v_add_co_u32_e32 v2, vcc, s42, v50
	v_addc_co_u32_e32 v3, vcc, 0, v1, vcc
	v_add_co_u32_e32 v4, vcc, 0x1000, v2
	v_addc_co_u32_e32 v5, vcc, 0, v3, vcc
	flat_load_dword v6, v[2:3]
	flat_load_dword v7, v[2:3] offset:1024
	flat_load_dword v8, v[2:3] offset:2048
	;; [unrolled: 1-line block ×3, first 2 shown]
	flat_load_dword v10, v[4:5]
	flat_load_dword v11, v[4:5] offset:1024
	flat_load_dword v12, v[4:5] offset:2048
	;; [unrolled: 1-line block ×3, first 2 shown]
	v_add_co_u32_e32 v4, vcc, 0x2000, v2
	v_addc_co_u32_e32 v5, vcc, 0, v3, vcc
	v_add_co_u32_e32 v2, vcc, 0x3000, v2
	v_addc_co_u32_e32 v3, vcc, 0, v3, vcc
	flat_load_dword v14, v[4:5]
	flat_load_dword v15, v[4:5] offset:1024
	flat_load_dword v16, v[4:5] offset:2048
	flat_load_dword v17, v[4:5] offset:3072
	flat_load_dword v18, v[2:3]
	flat_load_dword v19, v[2:3] offset:1024
	v_mad_u32_u24 v1, v0, 52, v50
	s_cmp_eq_u64 s[52:53], 0
	s_waitcnt vmcnt(0) lgkmcnt(0)
	ds_write2st64_b32 v50, v6, v7 offset1:4
	ds_write2st64_b32 v50, v8, v9 offset0:8 offset1:12
	ds_write2st64_b32 v50, v10, v11 offset0:16 offset1:20
	;; [unrolled: 1-line block ×6, first 2 shown]
	s_waitcnt lgkmcnt(0)
	s_barrier
	ds_read2_b64 v[2:5], v1 offset1:1
	ds_read2_b64 v[10:13], v1 offset0:2 offset1:3
	ds_read2_b64 v[18:21], v1 offset0:4 offset1:5
	ds_read_b64 v[6:7], v1 offset:48
	s_cbranch_scc1 .LBB1257_87
; %bb.83:
	s_andn2_b64 vcc, exec, s[44:45]
	s_cbranch_vccnz .LBB1257_184
; %bb.84:
	s_lshl_b64 s[4:5], s[52:53], 2
	s_add_u32 s4, s54, s4
	s_addc_u32 s5, s55, s5
	s_add_u32 s4, s4, -4
	s_addc_u32 s5, s5, -1
	s_cbranch_execnz .LBB1257_86
.LBB1257_85:
	s_add_u32 s4, s42, -4
	s_addc_u32 s5, s43, -1
.LBB1257_86:
	s_mov_b64 s[42:43], s[4:5]
.LBB1257_87:
	v_pk_mov_b32 v[8:9], s[42:43], s[42:43] op_sel:[0,1]
	flat_load_dword v8, v[8:9]
	s_movk_i32 s4, 0xffcc
	v_mad_i32_i24 v9, v0, s4, v1
	s_waitcnt lgkmcnt(0)
	ds_write_b32 v9, v7 offset:14336
	s_waitcnt lgkmcnt(0)
	s_barrier
	s_and_saveexec_b64 s[4:5], s[36:37]
	s_cbranch_execz .LBB1257_89
; %bb.88:
	s_waitcnt vmcnt(0)
	v_mul_i32_i24_e32 v8, 0xffffffcc, v0
	v_add_u32_e32 v8, v1, v8
	ds_read_b32 v8, v8 offset:14332
.LBB1257_89:
	s_or_b64 exec, exec, s[4:5]
	v_mov_b32_e32 v9, s63
	v_add_co_u32_e32 v14, vcc, s62, v50
	v_addc_co_u32_e32 v15, vcc, 0, v9, vcc
	s_movk_i32 s4, 0x1000
	v_add_co_u32_e32 v16, vcc, s4, v14
	v_addc_co_u32_e32 v17, vcc, 0, v15, vcc
	s_movk_i32 s4, 0x2000
	s_waitcnt lgkmcnt(0)
	s_barrier
	flat_load_dword v22, v[14:15]
	flat_load_dword v24, v[14:15] offset:1024
	flat_load_dword v26, v[14:15] offset:2048
	flat_load_dword v27, v[14:15] offset:3072
	flat_load_dword v28, v[16:17]
	flat_load_dword v29, v[16:17] offset:1024
	flat_load_dword v30, v[16:17] offset:2048
	flat_load_dword v31, v[16:17] offset:3072
	v_add_co_u32_e32 v16, vcc, s4, v14
	v_addc_co_u32_e32 v17, vcc, 0, v15, vcc
	s_movk_i32 s4, 0x3000
	v_add_co_u32_e32 v14, vcc, s4, v14
	v_addc_co_u32_e32 v15, vcc, 0, v15, vcc
	flat_load_dword v32, v[16:17]
	flat_load_dword v33, v[16:17] offset:1024
	flat_load_dword v34, v[16:17] offset:2048
	flat_load_dword v35, v[16:17] offset:3072
	flat_load_dword v36, v[14:15]
	flat_load_dword v37, v[14:15] offset:1024
	s_waitcnt vmcnt(0)
	v_cmp_ne_u32_e32 vcc, v8, v2
	v_cndmask_b32_e64 v39, 0, 1, vcc
	v_cmp_ne_u32_e32 vcc, v5, v10
	v_cndmask_b32_e64 v9, 0, 1, vcc
	v_cmp_ne_u32_e32 vcc, v4, v5
	v_cmp_ne_u32_e64 s[16:17], v6, v7
	v_cndmask_b32_e64 v7, 0, 1, vcc
	v_cmp_ne_u32_e32 vcc, v3, v4
	v_cndmask_b32_e64 v5, 0, 1, vcc
	v_cmp_ne_u32_e32 vcc, v2, v3
	;; [unrolled: 2-line block ×10, first 2 shown]
	v_cndmask_b32_e64 v19, 0, 1, vcc
	s_mov_b64 s[18:19], -1
                                        ; implicit-def: $sgpr12_sgpr13
	s_waitcnt lgkmcnt(0)
	ds_write2st64_b32 v50, v22, v24 offset1:4
	ds_write2st64_b32 v50, v26, v27 offset0:8 offset1:12
	ds_write2st64_b32 v50, v28, v29 offset0:16 offset1:20
	;; [unrolled: 1-line block ×6, first 2 shown]
	s_waitcnt lgkmcnt(0)
	s_barrier
	ds_read2_b32 v[42:43], v1 offset1:13
	ds_read2_b32 v[26:27], v1 offset0:7 offset1:8
	ds_read2_b32 v[28:29], v1 offset0:5 offset1:6
	;; [unrolled: 1-line block ×6, first 2 shown]
	s_waitcnt lgkmcnt(6)
	v_mov_b32_e32 v38, v42
	s_waitcnt lgkmcnt(4)
	v_mov_b32_e32 v10, v28
	;; [unrolled: 2-line block ×4, first 2 shown]
	v_mov_b32_e32 v4, v33
	v_mov_b32_e32 v8, v31
	;; [unrolled: 1-line block ×5, first 2 shown]
	s_waitcnt lgkmcnt(0)
	v_mov_b32_e32 v18, v36
	v_mov_b32_e32 v20, v37
	;; [unrolled: 1-line block ×4, first 2 shown]
.LBB1257_90:
	v_pk_mov_b32 v[40:41], s[12:13], s[12:13] op_sel:[0,1]
	s_and_saveexec_b64 s[4:5], s[18:19]
	s_cbranch_execz .LBB1257_92
; %bb.91:
	v_cndmask_b32_e64 v41, 0, 1, s[16:17]
	s_waitcnt lgkmcnt(0)
	v_mov_b32_e32 v40, v43
.LBB1257_92:
	s_or_b64 exec, exec, s[4:5]
	s_mov_b32 s4, 0
	s_cmp_lg_u32 s59, 0
	v_mbcnt_lo_u32_b32 v52, -1, 0
	v_lshrrev_b32_e32 v1, 6, v0
	v_or_b32_e32 v51, 63, v0
	s_waitcnt lgkmcnt(0)
	s_barrier
	s_cbranch_scc0 .LBB1257_121
; %bb.93:
	s_mov_b32 s5, 1
	v_cmp_gt_u64_e64 s[6:7], s[4:5], v[2:3]
	v_cndmask_b32_e64 v27, 0, v38, s[6:7]
	v_add_u32_e32 v27, v27, v2
	v_cmp_gt_u64_e64 s[8:9], s[4:5], v[4:5]
	v_cndmask_b32_e64 v27, 0, v27, s[8:9]
	v_add_u32_e32 v27, v27, v4
	;; [unrolled: 3-line block ×13, first 2 shown]
	v_or3_b32 v27, v41, v25, v23
	v_or3_b32 v27, v27, v21, v19
	;; [unrolled: 1-line block ×6, first 2 shown]
	v_mov_b32_e32 v26, 0
	v_and_b32_e32 v27, 1, v27
	v_cmp_eq_u64_e32 vcc, 0, v[26:27]
	v_cndmask_b32_e32 v26, 1, v39, vcc
	v_mbcnt_hi_u32_b32 v46, -1, v52
	v_mov_b32_dpp v29, v28 row_shr:1 row_mask:0xf bank_mask:0xf
	v_mov_b32_dpp v30, v26 row_shr:1 row_mask:0xf bank_mask:0xf
	v_cmp_eq_u32_e32 vcc, 0, v26
	v_and_b32_e32 v31, 1, v26
	v_and_b32_e32 v27, 15, v46
	v_cndmask_b32_e32 v29, 0, v29, vcc
	v_and_b32_e32 v30, 1, v30
	v_cmp_eq_u32_e32 vcc, 1, v31
	v_cndmask_b32_e64 v30, v30, 1, vcc
	v_cmp_eq_u32_e32 vcc, 0, v27
	v_cndmask_b32_e32 v26, v30, v26, vcc
	v_and_b32_e32 v31, 1, v26
	v_cmp_eq_u32_e64 s[4:5], 1, v31
	v_mov_b32_dpp v30, v26 row_shr:2 row_mask:0xf bank_mask:0xf
	v_and_b32_e32 v30, 1, v30
	v_cndmask_b32_e64 v30, v30, 1, s[4:5]
	v_cmp_lt_u32_e64 s[4:5], 1, v27
	v_cndmask_b32_e64 v29, v29, 0, vcc
	v_cmp_eq_u32_e32 vcc, 0, v26
	v_cndmask_b32_e64 v26, v26, v30, s[4:5]
	v_add_u32_e32 v28, v29, v28
	v_and_b32_e32 v31, 1, v26
	v_mov_b32_dpp v30, v26 row_shr:4 row_mask:0xf bank_mask:0xf
	v_mov_b32_dpp v29, v28 row_shr:2 row_mask:0xf bank_mask:0xf
	s_and_b64 vcc, s[4:5], vcc
	v_and_b32_e32 v30, 1, v30
	v_cmp_eq_u32_e64 s[4:5], 1, v31
	v_cndmask_b32_e32 v29, 0, v29, vcc
	v_cndmask_b32_e64 v30, v30, 1, s[4:5]
	v_cmp_lt_u32_e64 s[4:5], 3, v27
	v_add_u32_e32 v28, v29, v28
	v_cmp_eq_u32_e32 vcc, 0, v26
	v_cndmask_b32_e64 v26, v26, v30, s[4:5]
	v_mov_b32_dpp v29, v28 row_shr:4 row_mask:0xf bank_mask:0xf
	s_and_b64 vcc, s[4:5], vcc
	v_mov_b32_dpp v30, v26 row_shr:8 row_mask:0xf bank_mask:0xf
	v_and_b32_e32 v31, 1, v26
	v_cndmask_b32_e32 v29, 0, v29, vcc
	v_and_b32_e32 v30, 1, v30
	v_cmp_eq_u32_e64 s[4:5], 1, v31
	v_add_u32_e32 v28, v29, v28
	v_cmp_eq_u32_e32 vcc, 0, v26
	v_cndmask_b32_e64 v30, v30, 1, s[4:5]
	v_cmp_lt_u32_e64 s[4:5], 7, v27
	v_mov_b32_dpp v29, v28 row_shr:8 row_mask:0xf bank_mask:0xf
	s_and_b64 vcc, s[4:5], vcc
	v_cndmask_b32_e32 v27, 0, v29, vcc
	v_cndmask_b32_e64 v26, v26, v30, s[4:5]
	v_add_u32_e32 v27, v27, v28
	v_cmp_eq_u32_e32 vcc, 0, v26
	v_mov_b32_dpp v29, v26 row_bcast:15 row_mask:0xf bank_mask:0xf
	v_mov_b32_dpp v28, v27 row_bcast:15 row_mask:0xf bank_mask:0xf
	v_and_b32_e32 v32, 1, v26
	v_and_b32_e32 v31, 16, v46
	v_cndmask_b32_e32 v28, 0, v28, vcc
	v_and_b32_e32 v29, 1, v29
	v_cmp_eq_u32_e32 vcc, 1, v32
	v_bfe_i32 v30, v46, 4, 1
	v_cndmask_b32_e64 v29, v29, 1, vcc
	v_cmp_eq_u32_e32 vcc, 0, v31
	v_and_b32_e32 v28, v30, v28
	v_cndmask_b32_e32 v26, v29, v26, vcc
	v_add_u32_e32 v27, v28, v27
	v_and_b32_e32 v30, 1, v26
	v_mov_b32_dpp v28, v26 row_bcast:31 row_mask:0xf bank_mask:0xf
	v_and_b32_e32 v28, 1, v28
	v_cmp_eq_u32_e64 s[4:5], 1, v30
	v_cmp_eq_u32_e32 vcc, 0, v26
	v_cndmask_b32_e64 v28, v28, 1, s[4:5]
	v_cmp_lt_u32_e64 s[4:5], 31, v46
	v_mov_b32_dpp v29, v27 row_bcast:31 row_mask:0xf bank_mask:0xf
	s_and_b64 vcc, s[4:5], vcc
	v_cndmask_b32_e64 v28, v26, v28, s[4:5]
	v_cndmask_b32_e32 v26, 0, v29, vcc
	v_add_u32_e32 v29, v26, v27
	v_cmp_eq_u32_e32 vcc, v51, v0
	s_and_saveexec_b64 s[4:5], vcc
	s_cbranch_execz .LBB1257_95
; %bb.94:
	v_lshlrev_b32_e32 v26, 3, v1
	ds_write_b32 v26, v29
	ds_write_b8 v26, v28 offset:4
.LBB1257_95:
	s_or_b64 exec, exec, s[4:5]
	v_cmp_gt_u32_e32 vcc, 4, v0
	s_waitcnt lgkmcnt(0)
	s_barrier
	s_and_saveexec_b64 s[4:5], vcc
	s_cbranch_execz .LBB1257_99
; %bb.96:
	v_lshlrev_b32_e32 v30, 3, v0
	ds_read_b64 v[26:27], v30
	v_and_b32_e32 v31, 3, v46
	v_cmp_ne_u32_e32 vcc, 0, v31
	s_waitcnt lgkmcnt(0)
	v_mov_b32_dpp v32, v26 row_shr:1 row_mask:0xf bank_mask:0xf
	v_mov_b32_dpp v34, v27 row_shr:1 row_mask:0xf bank_mask:0xf
	v_mov_b32_e32 v33, v27
	s_and_saveexec_b64 s[34:35], vcc
	s_cbranch_execz .LBB1257_98
; %bb.97:
	v_and_b32_e32 v33, 1, v27
	v_and_b32_e32 v34, 1, v34
	v_cmp_eq_u32_e32 vcc, 1, v33
	v_mov_b32_e32 v33, 0
	v_cndmask_b32_e64 v34, v34, 1, vcc
	v_cmp_eq_u16_sdwa vcc, v27, v33 src0_sel:BYTE_0 src1_sel:DWORD
	v_cndmask_b32_e32 v32, 0, v32, vcc
	v_add_u32_e32 v26, v32, v26
	v_and_b32_e32 v32, 0xffff, v34
	s_movk_i32 s42, 0xff00
	v_and_or_b32 v33, v27, s42, v32
	v_mov_b32_e32 v27, v34
.LBB1257_98:
	s_or_b64 exec, exec, s[34:35]
	v_mov_b32_dpp v33, v33 row_shr:2 row_mask:0xf bank_mask:0xf
	v_and_b32_e32 v34, 1, v27
	v_and_b32_e32 v33, 1, v33
	v_cmp_eq_u32_e32 vcc, 1, v34
	v_mov_b32_e32 v34, 0
	v_cndmask_b32_e64 v33, v33, 1, vcc
	v_cmp_eq_u16_sdwa s[34:35], v27, v34 src0_sel:BYTE_0 src1_sel:DWORD
	v_cmp_lt_u32_e32 vcc, 1, v31
	v_mov_b32_dpp v32, v26 row_shr:2 row_mask:0xf bank_mask:0xf
	v_cndmask_b32_e32 v27, v27, v33, vcc
	s_and_b64 vcc, vcc, s[34:35]
	v_cndmask_b32_e32 v31, 0, v32, vcc
	v_add_u32_e32 v26, v31, v26
	ds_write_b32 v30, v26
	ds_write_b8 v30, v27 offset:4
.LBB1257_99:
	s_or_b64 exec, exec, s[4:5]
	v_cmp_gt_u32_e32 vcc, 64, v0
	v_cmp_lt_u32_e64 s[4:5], 63, v0
	v_mov_b32_e32 v42, 0
	v_mov_b32_e32 v43, 0
	s_waitcnt lgkmcnt(0)
	s_barrier
	s_and_saveexec_b64 s[34:35], s[4:5]
	s_cbranch_execz .LBB1257_101
; %bb.100:
	v_lshl_add_u32 v26, v1, 3, -8
	ds_read_b32 v42, v26
	ds_read_u8 v43, v26 offset:4
	v_and_b32_e32 v27, 1, v28
	v_cmp_eq_u32_e64 s[4:5], 0, v28
	s_waitcnt lgkmcnt(1)
	v_cndmask_b32_e64 v26, 0, v42, s[4:5]
	v_cmp_eq_u32_e64 s[4:5], 1, v27
	v_add_u32_e32 v29, v26, v29
	s_waitcnt lgkmcnt(0)
	v_cndmask_b32_e64 v28, v43, 1, s[4:5]
.LBB1257_101:
	s_or_b64 exec, exec, s[34:35]
	v_add_u32_e32 v26, -1, v46
	v_and_b32_e32 v27, 64, v46
	v_cmp_lt_i32_e64 s[4:5], v26, v27
	v_cndmask_b32_e64 v26, v26, v46, s[4:5]
	v_lshlrev_b32_e32 v26, 2, v26
	ds_bpermute_b32 v44, v26, v29
	ds_bpermute_b32 v45, v26, v28
	v_cmp_eq_u32_e64 s[34:35], 0, v46
	s_and_saveexec_b64 s[42:43], vcc
	s_cbranch_execz .LBB1257_120
; %bb.102:
	v_mov_b32_e32 v29, 0
	ds_read_b64 v[26:27], v29 offset:24
	s_waitcnt lgkmcnt(0)
	v_readfirstlane_b32 s52, v27
	s_and_saveexec_b64 s[4:5], s[34:35]
	s_cbranch_execz .LBB1257_104
; %bb.103:
	s_add_i32 s44, s59, 64
	s_mov_b32 s45, 0
	s_lshl_b64 s[48:49], s[44:45], 4
	s_add_u32 s48, s56, s48
	s_addc_u32 s49, s57, s49
	s_and_b32 s55, s52, 0xff000000
	s_mov_b32 s54, s45
	s_and_b32 s63, s52, 0xff0000
	s_mov_b32 s62, s45
	s_or_b64 s[54:55], s[62:63], s[54:55]
	s_and_b32 s63, s52, 0xff00
	s_or_b64 s[54:55], s[54:55], s[62:63]
	s_and_b32 s63, s52, 0xff
	s_or_b64 s[44:45], s[54:55], s[62:63]
	v_mov_b32_e32 v27, s45
	v_mov_b32_e32 v28, 1
	v_pk_mov_b32 v[30:31], s[48:49], s[48:49] op_sel:[0,1]
	;;#ASMSTART
	global_store_dwordx4 v[30:31], v[26:29] off	
s_waitcnt vmcnt(0)
	;;#ASMEND
.LBB1257_104:
	s_or_b64 exec, exec, s[4:5]
	v_xad_u32 v34, v46, -1, s59
	v_add_u32_e32 v28, 64, v34
	v_lshlrev_b64 v[30:31], 4, v[28:29]
	v_mov_b32_e32 v27, s57
	v_add_co_u32_e32 v36, vcc, s56, v30
	v_addc_co_u32_e32 v37, vcc, v27, v31, vcc
	;;#ASMSTART
	global_load_dwordx4 v[30:33], v[36:37] off glc	
s_waitcnt vmcnt(0)
	;;#ASMEND
	v_and_b32_e32 v27, 0xff0000, v30
	v_or_b32_sdwa v27, v30, v27 dst_sel:DWORD dst_unused:UNUSED_PAD src0_sel:WORD_0 src1_sel:DWORD
	v_and_b32_e32 v28, 0xff000000, v30
	v_and_b32_e32 v30, 0xff, v31
	v_or3_b32 v31, 0, 0, v30
	v_or3_b32 v30, v27, v28, 0
	v_cmp_eq_u16_sdwa s[44:45], v32, v29 src0_sel:BYTE_0 src1_sel:DWORD
	s_and_saveexec_b64 s[4:5], s[44:45]
	s_cbranch_execz .LBB1257_108
; %bb.105:
	s_mov_b64 s[44:45], 0
	v_mov_b32_e32 v27, 0
.LBB1257_106:                           ; =>This Inner Loop Header: Depth=1
	;;#ASMSTART
	global_load_dwordx4 v[30:33], v[36:37] off glc	
s_waitcnt vmcnt(0)
	;;#ASMEND
	v_cmp_ne_u16_sdwa s[48:49], v32, v27 src0_sel:BYTE_0 src1_sel:DWORD
	s_or_b64 s[44:45], s[48:49], s[44:45]
	s_andn2_b64 exec, exec, s[44:45]
	s_cbranch_execnz .LBB1257_106
; %bb.107:
	s_or_b64 exec, exec, s[44:45]
	v_and_b32_e32 v31, 0xff, v31
.LBB1257_108:
	s_or_b64 exec, exec, s[4:5]
	v_mov_b32_e32 v27, 2
	v_cmp_eq_u16_sdwa s[4:5], v32, v27 src0_sel:BYTE_0 src1_sel:DWORD
	v_lshlrev_b64 v[28:29], v46, -1
	v_and_b32_e32 v33, s5, v29
	v_or_b32_e32 v33, 0x80000000, v33
	v_and_b32_e32 v35, s4, v28
	v_ffbl_b32_e32 v33, v33
	v_and_b32_e32 v47, 63, v46
	v_add_u32_e32 v33, 32, v33
	v_ffbl_b32_e32 v35, v35
	v_cmp_ne_u32_e32 vcc, 63, v47
	v_min_u32_e32 v33, v35, v33
	v_addc_co_u32_e32 v35, vcc, 0, v46, vcc
	v_lshlrev_b32_e32 v48, 2, v35
	ds_bpermute_b32 v35, v48, v31
	ds_bpermute_b32 v36, v48, v30
	s_mov_b32 s44, 0
	v_and_b32_e32 v37, 1, v31
	s_mov_b32 s45, 1
	s_waitcnt lgkmcnt(1)
	v_and_b32_e32 v35, 1, v35
	v_cmp_eq_u32_e32 vcc, 1, v37
	v_cndmask_b32_e64 v35, v35, 1, vcc
	v_cmp_gt_u64_e32 vcc, s[44:45], v[30:31]
	v_cmp_lt_u32_e64 s[4:5], v47, v33
	s_and_b64 vcc, s[4:5], vcc
	v_and_b32_e32 v37, 0xffff, v35
	v_cndmask_b32_e64 v54, v31, v35, s[4:5]
	s_waitcnt lgkmcnt(0)
	v_cndmask_b32_e32 v35, 0, v36, vcc
	v_cmp_gt_u32_e32 vcc, 62, v47
	v_cndmask_b32_e64 v36, 0, 1, vcc
	v_lshlrev_b32_e32 v36, 1, v36
	v_cndmask_b32_e64 v31, v31, v37, s[4:5]
	v_add_lshl_u32 v49, v36, v46, 2
	ds_bpermute_b32 v36, v49, v31
	v_add_u32_e32 v30, v35, v30
	ds_bpermute_b32 v37, v49, v30
	v_and_b32_e32 v35, 1, v54
	v_cmp_eq_u32_e32 vcc, 1, v35
	s_waitcnt lgkmcnt(1)
	v_and_b32_e32 v36, 1, v36
	v_mov_b32_e32 v35, 0
	v_add_u32_e32 v53, 2, v47
	v_cndmask_b32_e64 v36, v36, 1, vcc
	v_cmp_eq_u16_sdwa vcc, v54, v35 src0_sel:BYTE_0 src1_sel:DWORD
	v_and_b32_e32 v55, 0xffff, v36
	s_waitcnt lgkmcnt(0)
	v_cndmask_b32_e32 v37, 0, v37, vcc
	v_cmp_gt_u32_e32 vcc, v53, v33
	v_cndmask_b32_e32 v36, v36, v54, vcc
	v_cndmask_b32_e64 v37, v37, 0, vcc
	v_cndmask_b32_e32 v31, v55, v31, vcc
	v_cmp_gt_u32_e32 vcc, 60, v47
	v_cndmask_b32_e64 v54, 0, 1, vcc
	v_lshlrev_b32_e32 v54, 2, v54
	v_add_lshl_u32 v54, v54, v46, 2
	ds_bpermute_b32 v56, v54, v31
	v_add_u32_e32 v30, v37, v30
	ds_bpermute_b32 v37, v54, v30
	v_and_b32_e32 v57, 1, v36
	v_cmp_eq_u32_e32 vcc, 1, v57
	s_waitcnt lgkmcnt(1)
	v_and_b32_e32 v56, 1, v56
	v_add_u32_e32 v55, 4, v47
	v_cndmask_b32_e64 v56, v56, 1, vcc
	v_cmp_eq_u16_sdwa vcc, v36, v35 src0_sel:BYTE_0 src1_sel:DWORD
	v_and_b32_e32 v57, 0xffff, v56
	s_waitcnt lgkmcnt(0)
	v_cndmask_b32_e32 v37, 0, v37, vcc
	v_cmp_gt_u32_e32 vcc, v55, v33
	v_cndmask_b32_e32 v36, v56, v36, vcc
	v_cndmask_b32_e64 v37, v37, 0, vcc
	v_cndmask_b32_e32 v31, v57, v31, vcc
	v_cmp_gt_u32_e32 vcc, 56, v47
	v_cndmask_b32_e64 v56, 0, 1, vcc
	v_lshlrev_b32_e32 v56, 3, v56
	v_add_lshl_u32 v56, v56, v46, 2
	ds_bpermute_b32 v58, v56, v31
	v_add_u32_e32 v30, v37, v30
	ds_bpermute_b32 v37, v56, v30
	v_and_b32_e32 v59, 1, v36
	v_cmp_eq_u32_e32 vcc, 1, v59
	s_waitcnt lgkmcnt(1)
	v_and_b32_e32 v58, 1, v58
	;; [unrolled: 21-line block ×4, first 2 shown]
	v_add_u32_e32 v62, 32, v47
	v_cndmask_b32_e64 v31, v31, 1, vcc
	v_cmp_eq_u16_sdwa vcc, v36, v35 src0_sel:BYTE_0 src1_sel:DWORD
	s_waitcnt lgkmcnt(0)
	v_cndmask_b32_e32 v37, 0, v37, vcc
	v_cmp_gt_u32_e32 vcc, v62, v33
	v_cndmask_b32_e64 v33, v37, 0, vcc
	v_cndmask_b32_e32 v31, v31, v36, vcc
	v_add_u32_e32 v30, v33, v30
	s_branch .LBB1257_110
.LBB1257_109:                           ;   in Loop: Header=BB1257_110 Depth=1
	s_or_b64 exec, exec, s[4:5]
	v_cmp_eq_u16_sdwa s[4:5], v32, v27 src0_sel:BYTE_0 src1_sel:DWORD
	v_and_b32_e32 v33, s5, v29
	ds_bpermute_b32 v37, v48, v31
	v_or_b32_e32 v33, 0x80000000, v33
	v_and_b32_e32 v36, s4, v28
	v_ffbl_b32_e32 v33, v33
	v_add_u32_e32 v33, 32, v33
	v_ffbl_b32_e32 v36, v36
	v_min_u32_e32 v33, v36, v33
	ds_bpermute_b32 v36, v48, v30
	v_and_b32_e32 v63, 1, v31
	s_waitcnt lgkmcnt(1)
	v_and_b32_e32 v37, 1, v37
	v_cmp_eq_u32_e32 vcc, 1, v63
	v_cndmask_b32_e64 v37, v37, 1, vcc
	v_cmp_gt_u64_e32 vcc, s[44:45], v[30:31]
	v_and_b32_e32 v63, 0xffff, v37
	v_cmp_lt_u32_e64 s[4:5], v47, v33
	v_cndmask_b32_e64 v37, v31, v37, s[4:5]
	v_cndmask_b32_e64 v31, v31, v63, s[4:5]
	s_and_b64 vcc, s[4:5], vcc
	ds_bpermute_b32 v63, v49, v31
	s_waitcnt lgkmcnt(1)
	v_cndmask_b32_e32 v36, 0, v36, vcc
	v_add_u32_e32 v30, v36, v30
	ds_bpermute_b32 v36, v49, v30
	v_and_b32_e32 v64, 1, v37
	s_waitcnt lgkmcnt(1)
	v_and_b32_e32 v63, 1, v63
	v_cmp_eq_u32_e32 vcc, 1, v64
	v_cndmask_b32_e64 v63, v63, 1, vcc
	v_cmp_eq_u16_sdwa vcc, v37, v35 src0_sel:BYTE_0 src1_sel:DWORD
	v_and_b32_e32 v64, 0xffff, v63
	s_waitcnt lgkmcnt(0)
	v_cndmask_b32_e32 v36, 0, v36, vcc
	v_cmp_gt_u32_e32 vcc, v53, v33
	v_cndmask_b32_e32 v31, v64, v31, vcc
	v_cndmask_b32_e32 v37, v63, v37, vcc
	ds_bpermute_b32 v63, v54, v31
	v_cndmask_b32_e64 v36, v36, 0, vcc
	v_add_u32_e32 v30, v36, v30
	ds_bpermute_b32 v36, v54, v30
	v_and_b32_e32 v64, 1, v37
	s_waitcnt lgkmcnt(1)
	v_and_b32_e32 v63, 1, v63
	v_cmp_eq_u32_e32 vcc, 1, v64
	v_cndmask_b32_e64 v63, v63, 1, vcc
	v_cmp_eq_u16_sdwa vcc, v37, v35 src0_sel:BYTE_0 src1_sel:DWORD
	v_and_b32_e32 v64, 0xffff, v63
	s_waitcnt lgkmcnt(0)
	v_cndmask_b32_e32 v36, 0, v36, vcc
	v_cmp_gt_u32_e32 vcc, v55, v33
	v_cndmask_b32_e32 v31, v64, v31, vcc
	v_cndmask_b32_e32 v37, v63, v37, vcc
	ds_bpermute_b32 v63, v56, v31
	v_cndmask_b32_e64 v36, v36, 0, vcc
	;; [unrolled: 16-line block ×3, first 2 shown]
	v_add_u32_e32 v30, v36, v30
	ds_bpermute_b32 v36, v58, v30
	v_and_b32_e32 v64, 1, v37
	s_waitcnt lgkmcnt(1)
	v_and_b32_e32 v63, 1, v63
	v_cmp_eq_u32_e32 vcc, 1, v64
	v_cndmask_b32_e64 v63, v63, 1, vcc
	v_cmp_eq_u16_sdwa vcc, v37, v35 src0_sel:BYTE_0 src1_sel:DWORD
	v_and_b32_e32 v64, 0xffff, v63
	s_waitcnt lgkmcnt(0)
	v_cndmask_b32_e32 v36, 0, v36, vcc
	v_cmp_gt_u32_e32 vcc, v59, v33
	v_cndmask_b32_e64 v36, v36, 0, vcc
	v_cndmask_b32_e32 v31, v64, v31, vcc
	ds_bpermute_b32 v31, v61, v31
	v_add_u32_e32 v30, v36, v30
	ds_bpermute_b32 v36, v61, v30
	v_cndmask_b32_e32 v37, v63, v37, vcc
	v_and_b32_e32 v63, 1, v37
	v_cmp_eq_u32_e32 vcc, 1, v63
	s_waitcnt lgkmcnt(1)
	v_cndmask_b32_e64 v31, v31, 1, vcc
	v_cmp_eq_u16_sdwa vcc, v37, v35 src0_sel:BYTE_0 src1_sel:DWORD
	s_waitcnt lgkmcnt(0)
	v_cndmask_b32_e32 v36, 0, v36, vcc
	v_cmp_gt_u32_e32 vcc, v62, v33
	v_cndmask_b32_e64 v33, v36, 0, vcc
	v_cndmask_b32_e32 v31, v31, v37, vcc
	v_add_u32_e32 v30, v33, v30
	v_cmp_eq_u16_sdwa vcc, v46, v35 src0_sel:BYTE_0 src1_sel:DWORD
	v_and_b32_e32 v33, 1, v46
	v_cndmask_b32_e32 v30, 0, v30, vcc
	v_and_b32_e32 v31, 1, v31
	v_cmp_eq_u32_e32 vcc, 1, v33
	v_subrev_u32_e32 v34, 64, v34
	v_add_u32_e32 v30, v30, v60
	v_cndmask_b32_e64 v31, v31, 1, vcc
.LBB1257_110:                           ; =>This Loop Header: Depth=1
                                        ;     Child Loop BB1257_113 Depth 2
	v_cmp_ne_u16_sdwa s[4:5], v32, v27 src0_sel:BYTE_0 src1_sel:DWORD
	v_mov_b32_e32 v46, v31
	v_cndmask_b32_e64 v31, 0, 1, s[4:5]
	;;#ASMSTART
	;;#ASMEND
	v_cmp_ne_u32_e32 vcc, 0, v31
	s_cmp_lg_u64 vcc, exec
	v_mov_b32_e32 v60, v30
	s_cbranch_scc1 .LBB1257_115
; %bb.111:                              ;   in Loop: Header=BB1257_110 Depth=1
	v_lshlrev_b64 v[30:31], 4, v[34:35]
	v_mov_b32_e32 v32, s57
	v_add_co_u32_e32 v36, vcc, s56, v30
	v_addc_co_u32_e32 v37, vcc, v32, v31, vcc
	;;#ASMSTART
	global_load_dwordx4 v[30:33], v[36:37] off glc	
s_waitcnt vmcnt(0)
	;;#ASMEND
	v_and_b32_e32 v33, 0xff0000, v30
	v_or_b32_sdwa v33, v30, v33 dst_sel:DWORD dst_unused:UNUSED_PAD src0_sel:WORD_0 src1_sel:DWORD
	v_and_b32_e32 v30, 0xff000000, v30
	v_and_b32_e32 v31, 0xff, v31
	v_or3_b32 v31, 0, 0, v31
	v_or3_b32 v30, v33, v30, 0
	v_cmp_eq_u16_sdwa s[48:49], v32, v35 src0_sel:BYTE_0 src1_sel:DWORD
	s_and_saveexec_b64 s[4:5], s[48:49]
	s_cbranch_execz .LBB1257_109
; %bb.112:                              ;   in Loop: Header=BB1257_110 Depth=1
	s_mov_b64 s[48:49], 0
.LBB1257_113:                           ;   Parent Loop BB1257_110 Depth=1
                                        ; =>  This Inner Loop Header: Depth=2
	;;#ASMSTART
	global_load_dwordx4 v[30:33], v[36:37] off glc	
s_waitcnt vmcnt(0)
	;;#ASMEND
	v_cmp_ne_u16_sdwa s[54:55], v32, v35 src0_sel:BYTE_0 src1_sel:DWORD
	s_or_b64 s[48:49], s[54:55], s[48:49]
	s_andn2_b64 exec, exec, s[48:49]
	s_cbranch_execnz .LBB1257_113
; %bb.114:                              ;   in Loop: Header=BB1257_110 Depth=1
	s_or_b64 exec, exec, s[48:49]
	v_and_b32_e32 v31, 0xff, v31
	s_branch .LBB1257_109
.LBB1257_115:                           ;   in Loop: Header=BB1257_110 Depth=1
                                        ; implicit-def: $vgpr31
                                        ; implicit-def: $vgpr30
                                        ; implicit-def: $vgpr32
	s_cbranch_execz .LBB1257_110
; %bb.116:
	s_and_saveexec_b64 s[4:5], s[34:35]
	s_cbranch_execz .LBB1257_118
; %bb.117:
	s_and_b32 s44, s52, 0xff
	s_cmp_eq_u32 s44, 0
	s_cselect_b64 vcc, -1, 0
	s_bitcmp1_b32 s52, 0
	s_mov_b32 s45, 0
	s_cselect_b64 s[48:49], -1, 0
	s_add_i32 s44, s59, 64
	s_lshl_b64 s[44:45], s[44:45], 4
	v_cndmask_b32_e32 v27, 0, v60, vcc
	s_add_u32 s44, s56, s44
	v_add_u32_e32 v26, v27, v26
	v_and_b32_e32 v27, 1, v46
	s_addc_u32 s45, s57, s45
	v_mov_b32_e32 v29, 0
	v_cndmask_b32_e64 v27, v27, 1, s[48:49]
	v_mov_b32_e32 v28, 2
	v_pk_mov_b32 v[30:31], s[44:45], s[44:45] op_sel:[0,1]
	;;#ASMSTART
	global_store_dwordx4 v[30:31], v[26:29] off	
s_waitcnt vmcnt(0)
	;;#ASMEND
.LBB1257_118:
	s_or_b64 exec, exec, s[4:5]
	s_and_b64 exec, exec, s[0:1]
	s_cbranch_execz .LBB1257_120
; %bb.119:
	v_mov_b32_e32 v26, 0
	ds_write_b32 v26, v60 offset:24
	ds_write_b8 v26, v46 offset:28
.LBB1257_120:
	s_or_b64 exec, exec, s[42:43]
	s_mov_b32 s4, 0
	v_mov_b32_e32 v28, 0
	s_mov_b32 s5, 1
	s_waitcnt lgkmcnt(0)
	v_cndmask_b32_e64 v26, v45, v43, s[34:35]
	v_cndmask_b32_e64 v27, v44, v42, s[34:35]
	s_barrier
	ds_read_b32 v29, v28 offset:24
	v_cmp_gt_u64_e32 vcc, s[4:5], v[38:39]
	v_and_b32_e32 v30, 1, v39
	v_cndmask_b32_e32 v27, 0, v27, vcc
	v_and_b32_e32 v26, 1, v26
	v_cmp_eq_u32_e32 vcc, 1, v30
	v_cndmask_b32_e64 v26, v26, 1, vcc
	v_cndmask_b32_e64 v26, v26, v39, s[0:1]
	v_cmp_eq_u16_sdwa vcc, v26, v28 src0_sel:BYTE_0 src1_sel:DWORD
	v_cndmask_b32_e64 v27, v27, 0, s[0:1]
	s_waitcnt lgkmcnt(0)
	v_cndmask_b32_e32 v26, 0, v29, vcc
	v_add3_u32 v26, v27, v38, v26
	v_cndmask_b32_e64 v27, 0, v26, s[6:7]
	v_add_u32_e32 v27, v27, v2
	v_cndmask_b32_e64 v28, 0, v27, s[8:9]
	v_add_u32_e32 v42, v28, v4
	v_cndmask_b32_e64 v28, 0, v42, s[10:11]
	v_add_u32_e32 v43, v28, v6
	v_cndmask_b32_e64 v28, 0, v43, s[12:13]
	v_add_u32_e32 v30, v28, v8
	v_cndmask_b32_e64 v28, 0, v30, s[14:15]
	v_add_u32_e32 v31, v28, v10
	v_cndmask_b32_e64 v28, 0, v31, s[16:17]
	v_add_u32_e32 v44, v28, v12
	v_cndmask_b32_e64 v28, 0, v44, s[18:19]
	v_add_u32_e32 v45, v28, v14
	v_cndmask_b32_e64 v28, 0, v45, s[20:21]
	v_add_u32_e32 v34, v28, v16
	v_cndmask_b32_e64 v28, 0, v34, s[22:23]
	v_add_u32_e32 v35, v28, v18
	v_cndmask_b32_e64 v28, 0, v35, s[24:25]
	v_add_u32_e32 v46, v28, v20
	v_cndmask_b32_e64 v28, 0, v46, s[26:27]
	v_add_u32_e32 v47, v28, v22
	v_cndmask_b32_e64 v28, 0, v47, s[28:29]
	v_add_u32_e32 v48, v28, v24
	v_cndmask_b32_e64 v28, 0, v48, s[30:31]
	v_add_u32_e32 v49, v28, v40
	s_branch .LBB1257_137
.LBB1257_121:
                                        ; implicit-def: $vgpr49
                                        ; implicit-def: $vgpr47
                                        ; implicit-def: $vgpr45
                                        ; implicit-def: $vgpr43
                                        ; implicit-def: $vgpr34_vgpr35_vgpr36_vgpr37
                                        ; implicit-def: $vgpr30_vgpr31_vgpr32_vgpr33
                                        ; implicit-def: $vgpr26_vgpr27_vgpr28_vgpr29
	s_cbranch_execz .LBB1257_137
; %bb.122:
	s_cmp_lg_u64 s[60:61], 0
	s_cselect_b32 s9, s51, 0
	s_cselect_b32 s8, s50, 0
	s_cmp_lg_u64 s[8:9], 0
	s_cselect_b64 s[6:7], -1, 0
	s_mov_b32 s4, 0
	s_and_b64 s[10:11], s[0:1], s[6:7]
	s_and_saveexec_b64 s[6:7], s[10:11]
	s_cbranch_execz .LBB1257_124
; %bb.123:
	v_mov_b32_e32 v26, 0
	global_load_dword v28, v26, s[8:9]
	global_load_ubyte v29, v26, s[8:9] offset:4
	s_mov_b32 s5, 1
	v_and_b32_e32 v27, 1, v39
	v_cmp_gt_u64_e32 vcc, s[4:5], v[38:39]
	s_waitcnt vmcnt(1)
	v_cndmask_b32_e32 v28, 0, v28, vcc
	s_waitcnt vmcnt(0)
	v_and_b32_e32 v29, 1, v29
	v_cmp_eq_u64_e32 vcc, 0, v[26:27]
	v_add_u32_e32 v38, v28, v38
	v_cndmask_b32_e32 v39, 1, v29, vcc
.LBB1257_124:
	s_or_b64 exec, exec, s[6:7]
	s_mov_b32 s5, 1
	v_cmp_gt_u64_e32 vcc, s[4:5], v[2:3]
	v_cndmask_b32_e32 v26, 0, v38, vcc
	v_add_u32_e32 v27, v26, v2
	v_cmp_gt_u64_e64 s[6:7], s[4:5], v[4:5]
	v_cndmask_b32_e64 v26, 0, v27, s[6:7]
	v_add_u32_e32 v42, v26, v4
	v_cmp_gt_u64_e64 s[8:9], s[4:5], v[6:7]
	v_cndmask_b32_e64 v26, 0, v42, s[8:9]
	;; [unrolled: 3-line block ×6, first 2 shown]
	v_add_u32_e32 v45, v26, v14
	v_cmp_gt_u64_e64 s[18:19], s[4:5], v[16:17]
	v_mov_b32_e32 v28, 0
	v_cndmask_b32_e64 v26, 0, v45, s[18:19]
	v_or3_b32 v7, v23, v15, v7
	v_add_u32_e32 v34, v26, v16
	v_cmp_gt_u64_e64 s[20:21], s[4:5], v[18:19]
	v_or3_b32 v9, v25, v17, v9
	v_and_b32_e32 v55, 1, v7
	v_mov_b32_e32 v54, v28
	v_cndmask_b32_e64 v26, 0, v34, s[20:21]
	v_or3_b32 v3, v19, v11, v3
	v_and_b32_e32 v37, 1, v9
	v_mov_b32_e32 v36, v28
	v_cmp_ne_u64_e64 s[30:31], 0, v[54:55]
	v_add_u32_e32 v35, v26, v18
	v_cmp_gt_u64_e64 s[22:23], s[4:5], v[20:21]
	v_or3_b32 v5, v21, v13, v5
	v_and_b32_e32 v29, 1, v3
	v_cndmask_b32_e64 v3, 0, 1, s[30:31]
	v_cmp_ne_u64_e64 s[30:31], 0, v[36:37]
	v_cndmask_b32_e64 v26, 0, v35, s[22:23]
	v_and_b32_e32 v33, 1, v5
	v_mov_b32_e32 v32, v28
	v_cndmask_b32_e64 v5, 0, 1, s[30:31]
	v_add_u32_e32 v46, v26, v20
	v_cmp_gt_u64_e64 s[24:25], s[4:5], v[22:23]
	v_lshlrev_b16_e32 v3, 2, v3
	v_lshlrev_b16_e32 v5, 3, v5
	v_cmp_ne_u64_e64 s[30:31], 0, v[32:33]
	v_cndmask_b32_e64 v26, 0, v46, s[24:25]
	v_or_b32_e32 v3, v5, v3
	v_cndmask_b32_e64 v5, 0, 1, s[30:31]
	v_cmp_ne_u64_e64 s[30:31], 0, v[28:29]
	v_add_u32_e32 v47, v26, v22
	v_cmp_gt_u64_e64 s[26:27], s[4:5], v[24:25]
	v_lshlrev_b16_e32 v5, 1, v5
	v_cndmask_b32_e64 v7, 0, 1, s[30:31]
	v_cndmask_b32_e64 v26, 0, v47, s[26:27]
	v_or_b32_e32 v5, v7, v5
	v_add_u32_e32 v48, v26, v24
	v_cmp_gt_u64_e64 s[28:29], s[4:5], v[40:41]
	v_and_b32_e32 v5, 3, v5
	v_cndmask_b32_e64 v26, 0, v48, s[28:29]
	v_or_b32_e32 v3, v5, v3
	v_add_u32_e32 v49, v26, v40
	v_and_b32_e32 v26, 1, v41
	v_and_b32_e32 v3, 15, v3
	v_cmp_eq_u32_e64 s[4:5], 1, v26
	v_cmp_ne_u16_e64 s[30:31], 0, v3
	s_or_b64 s[4:5], s[4:5], s[30:31]
	v_cndmask_b32_e64 v5, v39, 1, s[4:5]
	v_mbcnt_hi_u32_b32 v3, -1, v52
	v_mov_b32_dpp v9, v49 row_shr:1 row_mask:0xf bank_mask:0xf
	v_mov_b32_dpp v11, v5 row_shr:1 row_mask:0xf bank_mask:0xf
	v_cmp_eq_u32_e64 s[4:5], 0, v5
	v_and_b32_e32 v13, 1, v5
	v_and_b32_e32 v7, 15, v3
	v_cndmask_b32_e64 v9, 0, v9, s[4:5]
	v_and_b32_e32 v11, 1, v11
	v_cmp_eq_u32_e64 s[4:5], 1, v13
	v_cndmask_b32_e64 v11, v11, 1, s[4:5]
	v_cmp_eq_u32_e64 s[4:5], 0, v7
	v_cndmask_b32_e64 v5, v11, v5, s[4:5]
	v_and_b32_e32 v15, 1, v5
	v_cmp_eq_u32_e64 s[30:31], 1, v15
	v_mov_b32_dpp v13, v5 row_shr:2 row_mask:0xf bank_mask:0xf
	v_and_b32_e32 v13, 1, v13
	v_cndmask_b32_e64 v13, v13, 1, s[30:31]
	v_cmp_lt_u32_e64 s[30:31], 1, v7
	v_cndmask_b32_e64 v9, v9, 0, s[4:5]
	v_cmp_eq_u32_e64 s[4:5], 0, v5
	v_cndmask_b32_e64 v5, v5, v13, s[30:31]
	v_add_u32_e32 v9, v49, v9
	v_and_b32_e32 v15, 1, v5
	v_mov_b32_dpp v13, v5 row_shr:4 row_mask:0xf bank_mask:0xf
	v_mov_b32_dpp v11, v9 row_shr:2 row_mask:0xf bank_mask:0xf
	s_and_b64 s[4:5], s[30:31], s[4:5]
	v_and_b32_e32 v13, 1, v13
	v_cmp_eq_u32_e64 s[30:31], 1, v15
	v_cndmask_b32_e64 v11, 0, v11, s[4:5]
	v_cndmask_b32_e64 v13, v13, 1, s[30:31]
	v_cmp_lt_u32_e64 s[30:31], 3, v7
	v_add_u32_e32 v9, v9, v11
	v_cmp_eq_u32_e64 s[4:5], 0, v5
	v_cndmask_b32_e64 v5, v5, v13, s[30:31]
	v_mov_b32_dpp v11, v9 row_shr:4 row_mask:0xf bank_mask:0xf
	s_and_b64 s[4:5], s[30:31], s[4:5]
	v_mov_b32_dpp v13, v5 row_shr:8 row_mask:0xf bank_mask:0xf
	v_and_b32_e32 v15, 1, v5
	v_cndmask_b32_e64 v11, 0, v11, s[4:5]
	v_and_b32_e32 v13, 1, v13
	v_cmp_eq_u32_e64 s[30:31], 1, v15
	v_add_u32_e32 v9, v9, v11
	v_cmp_eq_u32_e64 s[4:5], 0, v5
	v_cndmask_b32_e64 v13, v13, 1, s[30:31]
	v_cmp_lt_u32_e64 s[30:31], 7, v7
	v_mov_b32_dpp v11, v9 row_shr:8 row_mask:0xf bank_mask:0xf
	s_and_b64 s[4:5], s[30:31], s[4:5]
	v_cndmask_b32_e64 v7, 0, v11, s[4:5]
	v_cndmask_b32_e64 v5, v5, v13, s[30:31]
	v_add_u32_e32 v7, v9, v7
	v_cmp_eq_u32_e64 s[4:5], 0, v5
	v_mov_b32_dpp v11, v5 row_bcast:15 row_mask:0xf bank_mask:0xf
	v_mov_b32_dpp v9, v7 row_bcast:15 row_mask:0xf bank_mask:0xf
	v_and_b32_e32 v17, 1, v5
	v_and_b32_e32 v15, 16, v3
	v_cndmask_b32_e64 v9, 0, v9, s[4:5]
	v_and_b32_e32 v11, 1, v11
	v_cmp_eq_u32_e64 s[4:5], 1, v17
	v_bfe_i32 v13, v3, 4, 1
	v_cndmask_b32_e64 v11, v11, 1, s[4:5]
	v_cmp_eq_u32_e64 s[4:5], 0, v15
	v_and_b32_e32 v9, v13, v9
	v_cndmask_b32_e64 v5, v11, v5, s[4:5]
	v_add_u32_e32 v9, v7, v9
	v_and_b32_e32 v13, 1, v5
	v_mov_b32_dpp v7, v5 row_bcast:31 row_mask:0xf bank_mask:0xf
	v_and_b32_e32 v7, 1, v7
	v_cmp_eq_u32_e64 s[30:31], 1, v13
	v_cmp_eq_u32_e64 s[4:5], 0, v5
	v_cndmask_b32_e64 v7, v7, 1, s[30:31]
	v_cmp_lt_u32_e64 s[30:31], 31, v3
	v_mov_b32_dpp v11, v9 row_bcast:31 row_mask:0xf bank_mask:0xf
	s_and_b64 s[4:5], s[30:31], s[4:5]
	v_cndmask_b32_e64 v7, v5, v7, s[30:31]
	v_cndmask_b32_e64 v5, 0, v11, s[4:5]
	v_add_u32_e32 v5, v9, v5
	v_cmp_eq_u32_e64 s[4:5], v51, v0
	s_and_saveexec_b64 s[30:31], s[4:5]
	s_cbranch_execz .LBB1257_126
; %bb.125:
	v_lshlrev_b32_e32 v9, 3, v1
	ds_write_b32 v9, v5
	ds_write_b8 v9, v7 offset:4
.LBB1257_126:
	s_or_b64 exec, exec, s[30:31]
	v_cmp_gt_u32_e64 s[4:5], 4, v0
	s_waitcnt lgkmcnt(0)
	s_barrier
	s_and_saveexec_b64 s[30:31], s[4:5]
	s_cbranch_execz .LBB1257_130
; %bb.127:
	v_lshlrev_b32_e32 v9, 3, v0
	ds_read_b64 v[28:29], v9
	v_and_b32_e32 v11, 3, v3
	v_cmp_ne_u32_e64 s[4:5], 0, v11
	s_waitcnt lgkmcnt(0)
	v_mov_b32_dpp v13, v28 row_shr:1 row_mask:0xf bank_mask:0xf
	v_mov_b32_dpp v17, v29 row_shr:1 row_mask:0xf bank_mask:0xf
	v_mov_b32_e32 v15, v29
	s_and_saveexec_b64 s[34:35], s[4:5]
	s_cbranch_execz .LBB1257_129
; %bb.128:
	v_and_b32_e32 v15, 1, v29
	v_and_b32_e32 v17, 1, v17
	v_cmp_eq_u32_e64 s[4:5], 1, v15
	v_mov_b32_e32 v15, 0
	v_cndmask_b32_e64 v17, v17, 1, s[4:5]
	v_cmp_eq_u16_sdwa s[4:5], v29, v15 src0_sel:BYTE_0 src1_sel:DWORD
	v_cndmask_b32_e64 v13, 0, v13, s[4:5]
	v_add_u32_e32 v28, v13, v28
	v_and_b32_e32 v13, 0xffff, v17
	s_movk_i32 s4, 0xff00
	v_and_or_b32 v15, v29, s4, v13
	v_mov_b32_e32 v29, v17
.LBB1257_129:
	s_or_b64 exec, exec, s[34:35]
	v_mov_b32_dpp v15, v15 row_shr:2 row_mask:0xf bank_mask:0xf
	v_and_b32_e32 v17, 1, v29
	v_and_b32_e32 v15, 1, v15
	v_cmp_eq_u32_e64 s[4:5], 1, v17
	v_mov_b32_e32 v17, 0
	v_cndmask_b32_e64 v15, v15, 1, s[4:5]
	v_cmp_eq_u16_sdwa s[34:35], v29, v17 src0_sel:BYTE_0 src1_sel:DWORD
	v_cmp_lt_u32_e64 s[4:5], 1, v11
	v_mov_b32_dpp v13, v28 row_shr:2 row_mask:0xf bank_mask:0xf
	v_cndmask_b32_e64 v11, v29, v15, s[4:5]
	s_and_b64 s[4:5], s[4:5], s[34:35]
	v_cndmask_b32_e64 v13, 0, v13, s[4:5]
	v_add_u32_e32 v13, v13, v28
	ds_write_b32 v9, v13
	ds_write_b8 v9, v11 offset:4
.LBB1257_130:
	s_or_b64 exec, exec, s[30:31]
	v_cmp_lt_u32_e64 s[4:5], 63, v0
	v_mov_b32_e32 v9, 0
	s_waitcnt lgkmcnt(0)
	s_barrier
	s_and_saveexec_b64 s[30:31], s[4:5]
	s_cbranch_execz .LBB1257_132
; %bb.131:
	v_lshl_add_u32 v1, v1, 3, -8
	ds_read_b32 v9, v1
	v_cmp_eq_u32_e64 s[4:5], 0, v7
	s_waitcnt lgkmcnt(0)
	v_cndmask_b32_e64 v1, 0, v9, s[4:5]
	v_add_u32_e32 v5, v1, v5
.LBB1257_132:
	s_or_b64 exec, exec, s[30:31]
	v_add_u32_e32 v1, -1, v3
	v_and_b32_e32 v7, 64, v3
	v_cmp_lt_i32_e64 s[4:5], v1, v7
	v_cndmask_b32_e64 v1, v1, v3, s[4:5]
	v_lshlrev_b32_e32 v1, 2, v1
	ds_bpermute_b32 v1, v1, v5
	s_and_saveexec_b64 s[30:31], s[36:37]
	s_cbranch_execz .LBB1257_134
; %bb.133:
	v_and_b32_e32 v27, 0xff, v39
	v_mov_b32_e32 v26, 0
	v_cmp_eq_u32_e64 s[4:5], 0, v3
	s_waitcnt lgkmcnt(0)
	v_cndmask_b32_e64 v1, v1, v9, s[4:5]
	v_cmp_eq_u64_e64 s[4:5], 0, v[26:27]
	v_cndmask_b32_e64 v1, 0, v1, s[4:5]
	v_add_u32_e32 v38, v1, v38
	v_cndmask_b32_e32 v1, 0, v38, vcc
	v_add_u32_e32 v27, v1, v2
	v_cndmask_b32_e64 v1, 0, v27, s[6:7]
	v_add_u32_e32 v42, v1, v4
	v_cndmask_b32_e64 v1, 0, v42, s[8:9]
	;; [unrolled: 2-line block ×12, first 2 shown]
	v_add_u32_e32 v49, v1, v40
	;;#ASMSTART
	;;#ASMEND
.LBB1257_134:
	s_or_b64 exec, exec, s[30:31]
	s_and_saveexec_b64 s[4:5], s[0:1]
	s_cbranch_execz .LBB1257_136
; %bb.135:
	v_mov_b32_e32 v5, 0
	ds_read_b32 v2, v5 offset:24
	ds_read_u8 v3, v5 offset:28
	s_add_u32 s0, s56, 0x400
	s_addc_u32 s1, s57, 0
	v_mov_b32_e32 v4, 2
	v_pk_mov_b32 v[6:7], s[0:1], s[0:1] op_sel:[0,1]
	s_waitcnt lgkmcnt(0)
	;;#ASMSTART
	global_store_dwordx4 v[6:7], v[2:5] off	
s_waitcnt vmcnt(0)
	;;#ASMEND
.LBB1257_136:
	s_or_b64 exec, exec, s[4:5]
	v_mov_b32_e32 v26, v38
.LBB1257_137:
	s_add_u32 s0, s46, s38
	s_addc_u32 s1, s47, s39
	s_add_u32 s4, s0, s40
	s_waitcnt lgkmcnt(0)
	v_mul_u32_u24_e32 v1, 14, v0
	s_addc_u32 s5, s1, s41
	s_and_b64 vcc, exec, s[2:3]
	v_lshlrev_b32_e32 v2, 2, v1
	s_cbranch_vccz .LBB1257_165
; %bb.138:
	s_movk_i32 s0, 0xffcc
	v_mad_i32_i24 v3, v0, s0, v2
	s_barrier
	ds_write2_b64 v2, v[26:27], v[42:43] offset1:1
	ds_write2_b64 v2, v[30:31], v[44:45] offset0:2 offset1:3
	ds_write2_b64 v2, v[34:35], v[46:47] offset0:4 offset1:5
	ds_write_b64 v2, v[48:49] offset:48
	s_waitcnt lgkmcnt(0)
	s_barrier
	ds_read2st64_b32 v[16:17], v3 offset0:4 offset1:8
	ds_read2st64_b32 v[14:15], v3 offset0:12 offset1:16
	;; [unrolled: 1-line block ×6, first 2 shown]
	ds_read_b32 v3, v3 offset:13312
	v_mov_b32_e32 v7, s5
	v_add_co_u32_e32 v6, vcc, s4, v50
	s_add_i32 s33, s33, s58
	v_addc_co_u32_e32 v7, vcc, 0, v7, vcc
	v_mov_b32_e32 v1, 0
	v_cmp_gt_u32_e32 vcc, s33, v0
	s_and_saveexec_b64 s[0:1], vcc
	s_cbranch_execz .LBB1257_140
; %bb.139:
	v_mul_i32_i24_e32 v18, 0xffffffcc, v0
	v_add_u32_e32 v18, v2, v18
	ds_read_b32 v18, v18
	s_waitcnt lgkmcnt(0)
	flat_store_dword v[6:7], v18
.LBB1257_140:
	s_or_b64 exec, exec, s[0:1]
	v_or_b32_e32 v18, 0x100, v0
	v_cmp_gt_u32_e32 vcc, s33, v18
	s_and_saveexec_b64 s[0:1], vcc
	s_cbranch_execz .LBB1257_142
; %bb.141:
	s_waitcnt lgkmcnt(0)
	flat_store_dword v[6:7], v16 offset:1024
.LBB1257_142:
	s_or_b64 exec, exec, s[0:1]
	s_waitcnt lgkmcnt(0)
	v_or_b32_e32 v16, 0x200, v0
	v_cmp_gt_u32_e32 vcc, s33, v16
	s_and_saveexec_b64 s[0:1], vcc
	s_cbranch_execz .LBB1257_144
; %bb.143:
	flat_store_dword v[6:7], v17 offset:2048
.LBB1257_144:
	s_or_b64 exec, exec, s[0:1]
	v_or_b32_e32 v16, 0x300, v0
	v_cmp_gt_u32_e32 vcc, s33, v16
	s_and_saveexec_b64 s[0:1], vcc
	s_cbranch_execz .LBB1257_146
; %bb.145:
	flat_store_dword v[6:7], v14 offset:3072
.LBB1257_146:
	s_or_b64 exec, exec, s[0:1]
	v_or_b32_e32 v14, 0x400, v0
	v_cmp_gt_u32_e32 vcc, s33, v14
	s_and_saveexec_b64 s[0:1], vcc
	s_cbranch_execz .LBB1257_148
; %bb.147:
	v_add_co_u32_e32 v16, vcc, 0x1000, v6
	v_addc_co_u32_e32 v17, vcc, 0, v7, vcc
	flat_store_dword v[16:17], v15
.LBB1257_148:
	s_or_b64 exec, exec, s[0:1]
	v_or_b32_e32 v14, 0x500, v0
	v_cmp_gt_u32_e32 vcc, s33, v14
	s_and_saveexec_b64 s[0:1], vcc
	s_cbranch_execz .LBB1257_150
; %bb.149:
	v_add_co_u32_e32 v14, vcc, 0x1000, v6
	v_addc_co_u32_e32 v15, vcc, 0, v7, vcc
	flat_store_dword v[14:15], v12 offset:1024
.LBB1257_150:
	s_or_b64 exec, exec, s[0:1]
	v_or_b32_e32 v12, 0x600, v0
	v_cmp_gt_u32_e32 vcc, s33, v12
	s_and_saveexec_b64 s[0:1], vcc
	s_cbranch_execz .LBB1257_152
; %bb.151:
	v_add_co_u32_e32 v14, vcc, 0x1000, v6
	v_addc_co_u32_e32 v15, vcc, 0, v7, vcc
	flat_store_dword v[14:15], v13 offset:2048
.LBB1257_152:
	;; [unrolled: 10-line block ×3, first 2 shown]
	s_or_b64 exec, exec, s[0:1]
	v_or_b32_e32 v10, 0x800, v0
	v_cmp_gt_u32_e32 vcc, s33, v10
	s_and_saveexec_b64 s[0:1], vcc
	s_cbranch_execz .LBB1257_156
; %bb.155:
	v_add_co_u32_e32 v12, vcc, 0x2000, v6
	v_addc_co_u32_e32 v13, vcc, 0, v7, vcc
	flat_store_dword v[12:13], v11
.LBB1257_156:
	s_or_b64 exec, exec, s[0:1]
	v_or_b32_e32 v10, 0x900, v0
	v_cmp_gt_u32_e32 vcc, s33, v10
	s_and_saveexec_b64 s[0:1], vcc
	s_cbranch_execz .LBB1257_158
; %bb.157:
	v_add_co_u32_e32 v10, vcc, 0x2000, v6
	v_addc_co_u32_e32 v11, vcc, 0, v7, vcc
	flat_store_dword v[10:11], v8 offset:1024
.LBB1257_158:
	s_or_b64 exec, exec, s[0:1]
	v_or_b32_e32 v8, 0xa00, v0
	v_cmp_gt_u32_e32 vcc, s33, v8
	s_and_saveexec_b64 s[0:1], vcc
	s_cbranch_execz .LBB1257_160
; %bb.159:
	v_add_co_u32_e32 v10, vcc, 0x2000, v6
	v_addc_co_u32_e32 v11, vcc, 0, v7, vcc
	flat_store_dword v[10:11], v9 offset:2048
.LBB1257_160:
	s_or_b64 exec, exec, s[0:1]
	v_or_b32_e32 v8, 0xb00, v0
	v_cmp_gt_u32_e32 vcc, s33, v8
	s_and_saveexec_b64 s[0:1], vcc
	s_cbranch_execz .LBB1257_162
; %bb.161:
	v_add_co_u32_e32 v8, vcc, 0x2000, v6
	v_addc_co_u32_e32 v9, vcc, 0, v7, vcc
	flat_store_dword v[8:9], v4 offset:3072
.LBB1257_162:
	s_or_b64 exec, exec, s[0:1]
	v_or_b32_e32 v4, 0xc00, v0
	v_cmp_gt_u32_e32 vcc, s33, v4
	s_and_saveexec_b64 s[0:1], vcc
	s_cbranch_execz .LBB1257_164
; %bb.163:
	v_add_co_u32_e32 v6, vcc, 0x3000, v6
	v_addc_co_u32_e32 v7, vcc, 0, v7, vcc
	flat_store_dword v[6:7], v5
.LBB1257_164:
	s_or_b64 exec, exec, s[0:1]
	v_or_b32_e32 v4, 0xd00, v0
	v_cmp_gt_u32_e64 s[0:1], s33, v4
	s_branch .LBB1257_167
.LBB1257_165:
	s_mov_b64 s[0:1], 0
                                        ; implicit-def: $vgpr3
	s_cbranch_execz .LBB1257_167
; %bb.166:
	s_movk_i32 s2, 0xffcc
	s_waitcnt lgkmcnt(0)
	s_barrier
	ds_write2_b64 v2, v[26:27], v[42:43] offset1:1
	ds_write2_b64 v2, v[30:31], v[44:45] offset0:2 offset1:3
	ds_write2_b64 v2, v[34:35], v[46:47] offset0:4 offset1:5
	ds_write_b64 v2, v[48:49] offset:48
	v_mad_i32_i24 v2, v0, s2, v2
	v_mov_b32_e32 v17, s5
	v_add_co_u32_e32 v16, vcc, s4, v50
	s_waitcnt lgkmcnt(0)
	s_barrier
	ds_read2st64_b32 v[4:5], v2 offset1:4
	ds_read2st64_b32 v[6:7], v2 offset0:8 offset1:12
	ds_read2st64_b32 v[8:9], v2 offset0:16 offset1:20
	;; [unrolled: 1-line block ×6, first 2 shown]
	v_addc_co_u32_e32 v17, vcc, 0, v17, vcc
	s_movk_i32 s2, 0x1000
	s_waitcnt lgkmcnt(0)
	flat_store_dword v[16:17], v4
	flat_store_dword v[16:17], v5 offset:1024
	flat_store_dword v[16:17], v6 offset:2048
	;; [unrolled: 1-line block ×3, first 2 shown]
	v_add_co_u32_e32 v4, vcc, s2, v16
	v_addc_co_u32_e32 v5, vcc, 0, v17, vcc
	flat_store_dword v[4:5], v8
	flat_store_dword v[4:5], v9 offset:1024
	flat_store_dword v[4:5], v10 offset:2048
	;; [unrolled: 1-line block ×3, first 2 shown]
	v_add_co_u32_e32 v4, vcc, 0x2000, v16
	v_addc_co_u32_e32 v5, vcc, 0, v17, vcc
	flat_store_dword v[4:5], v12
	flat_store_dword v[4:5], v13 offset:1024
	flat_store_dword v[4:5], v14 offset:2048
	;; [unrolled: 1-line block ×3, first 2 shown]
	v_add_co_u32_e32 v4, vcc, 0x3000, v16
	v_mov_b32_e32 v1, 0
	v_addc_co_u32_e32 v5, vcc, 0, v17, vcc
	s_or_b64 s[0:1], s[0:1], exec
	flat_store_dword v[4:5], v2
.LBB1257_167:
	s_and_saveexec_b64 s[2:3], s[0:1]
	s_cbranch_execnz .LBB1257_169
; %bb.168:
	s_endpgm
.LBB1257_169:
	v_lshlrev_b64 v[0:1], 2, v[0:1]
	v_mov_b32_e32 v2, s5
	v_add_co_u32_e32 v0, vcc, s4, v0
	v_addc_co_u32_e32 v1, vcc, v2, v1, vcc
	v_add_co_u32_e32 v0, vcc, 0x3000, v0
	v_addc_co_u32_e32 v1, vcc, 0, v1, vcc
	flat_store_dword v[0:1], v3 offset:1024
	s_endpgm
.LBB1257_170:
	v_mov_b32_e32 v13, s63
	v_add_co_u32_e32 v14, vcc, s62, v12
	v_addc_co_u32_e32 v15, vcc, 0, v13, vcc
	flat_load_dword v13, v[14:15]
	s_or_b64 exec, exec, s[4:5]
                                        ; implicit-def: $vgpr14
	s_and_saveexec_b64 s[4:5], s[8:9]
	s_cbranch_execz .LBB1257_41
.LBB1257_171:
	v_mov_b32_e32 v15, s63
	v_add_co_u32_e32 v14, vcc, s62, v12
	v_addc_co_u32_e32 v15, vcc, 0, v15, vcc
	flat_load_dword v14, v[14:15] offset:1024
	s_or_b64 exec, exec, s[4:5]
                                        ; implicit-def: $vgpr15
	s_and_saveexec_b64 s[4:5], s[10:11]
	s_cbranch_execz .LBB1257_42
.LBB1257_172:
	v_mov_b32_e32 v15, s63
	v_add_co_u32_e32 v16, vcc, s62, v12
	v_addc_co_u32_e32 v17, vcc, 0, v15, vcc
	flat_load_dword v15, v[16:17] offset:2048
	s_or_b64 exec, exec, s[4:5]
                                        ; implicit-def: $vgpr16
	s_and_saveexec_b64 s[4:5], s[12:13]
	s_cbranch_execz .LBB1257_43
.LBB1257_173:
	v_mov_b32_e32 v17, s63
	v_add_co_u32_e32 v16, vcc, s62, v12
	v_addc_co_u32_e32 v17, vcc, 0, v17, vcc
	flat_load_dword v16, v[16:17] offset:3072
	s_or_b64 exec, exec, s[4:5]
                                        ; implicit-def: $vgpr17
	s_and_saveexec_b64 s[4:5], s[14:15]
	s_cbranch_execz .LBB1257_44
.LBB1257_174:
	v_mov_b32_e32 v17, s63
	v_add_co_u32_e32 v18, vcc, s62, v2
	v_addc_co_u32_e32 v19, vcc, 0, v17, vcc
	flat_load_dword v17, v[18:19]
	s_or_b64 exec, exec, s[4:5]
                                        ; implicit-def: $vgpr2
	s_and_saveexec_b64 s[4:5], s[16:17]
	s_cbranch_execz .LBB1257_45
.LBB1257_175:
	v_mov_b32_e32 v18, s63
	v_add_co_u32_e32 v2, vcc, s62, v3
	v_addc_co_u32_e32 v3, vcc, 0, v18, vcc
	flat_load_dword v2, v[2:3]
	s_or_b64 exec, exec, s[4:5]
                                        ; implicit-def: $vgpr3
	s_and_saveexec_b64 s[4:5], s[18:19]
	s_cbranch_execz .LBB1257_46
.LBB1257_176:
	v_mov_b32_e32 v3, s63
	v_add_co_u32_e32 v18, vcc, s62, v4
	v_addc_co_u32_e32 v19, vcc, 0, v3, vcc
	flat_load_dword v3, v[18:19]
	s_or_b64 exec, exec, s[4:5]
                                        ; implicit-def: $vgpr4
	s_and_saveexec_b64 s[4:5], s[20:21]
	s_cbranch_execz .LBB1257_47
.LBB1257_177:
	v_mov_b32_e32 v18, s63
	v_add_co_u32_e32 v4, vcc, s62, v5
	v_addc_co_u32_e32 v5, vcc, 0, v18, vcc
	flat_load_dword v4, v[4:5]
	s_or_b64 exec, exec, s[4:5]
                                        ; implicit-def: $vgpr5
	s_and_saveexec_b64 s[4:5], s[22:23]
	s_cbranch_execz .LBB1257_48
.LBB1257_178:
	v_mov_b32_e32 v5, s63
	v_add_co_u32_e32 v18, vcc, s62, v6
	v_addc_co_u32_e32 v19, vcc, 0, v5, vcc
	flat_load_dword v5, v[18:19]
	s_or_b64 exec, exec, s[4:5]
                                        ; implicit-def: $vgpr6
	s_and_saveexec_b64 s[4:5], s[24:25]
	s_cbranch_execz .LBB1257_49
.LBB1257_179:
	v_mov_b32_e32 v18, s63
	v_add_co_u32_e32 v6, vcc, s62, v7
	v_addc_co_u32_e32 v7, vcc, 0, v18, vcc
	flat_load_dword v6, v[6:7]
	s_or_b64 exec, exec, s[4:5]
                                        ; implicit-def: $vgpr7
	s_and_saveexec_b64 s[4:5], s[26:27]
	s_cbranch_execz .LBB1257_50
.LBB1257_180:
	v_mov_b32_e32 v7, s63
	v_add_co_u32_e32 v18, vcc, s62, v8
	v_addc_co_u32_e32 v19, vcc, 0, v7, vcc
	flat_load_dword v7, v[18:19]
	s_or_b64 exec, exec, s[4:5]
                                        ; implicit-def: $vgpr8
	s_and_saveexec_b64 s[4:5], s[28:29]
	s_cbranch_execz .LBB1257_51
.LBB1257_181:
	v_mov_b32_e32 v18, s63
	v_add_co_u32_e32 v8, vcc, s62, v9
	v_addc_co_u32_e32 v9, vcc, 0, v18, vcc
	flat_load_dword v8, v[8:9]
	s_or_b64 exec, exec, s[4:5]
                                        ; implicit-def: $vgpr9
	s_and_saveexec_b64 s[4:5], s[30:31]
	s_cbranch_execz .LBB1257_52
.LBB1257_182:
	v_mov_b32_e32 v9, s63
	v_add_co_u32_e32 v18, vcc, s62, v10
	v_addc_co_u32_e32 v19, vcc, 0, v9, vcc
	flat_load_dword v9, v[18:19]
	s_or_b64 exec, exec, s[4:5]
                                        ; implicit-def: $vgpr10
	s_and_saveexec_b64 s[4:5], s[34:35]
	s_cbranch_execnz .LBB1257_53
	s_branch .LBB1257_54
.LBB1257_183:
                                        ; implicit-def: $sgpr4_sgpr5
	s_branch .LBB1257_36
.LBB1257_184:
                                        ; implicit-def: $sgpr4_sgpr5
	s_branch .LBB1257_85
	.section	.rodata,"a",@progbits
	.p2align	6, 0x0
	.amdhsa_kernel _ZN7rocprim17ROCPRIM_400000_NS6detail17trampoline_kernelINS0_14default_configENS1_27scan_by_key_config_selectorIijEEZZNS1_16scan_by_key_implILNS1_25lookback_scan_determinismE0ELb0ES3_N6thrust23THRUST_200600_302600_NS6detail15normal_iteratorINS9_10device_ptrIiEEEENSB_INSC_IjEEEESG_jNS9_4plusIvEENS9_8equal_toIvEEjEE10hipError_tPvRmT2_T3_T4_T5_mT6_T7_P12ihipStream_tbENKUlT_T0_E_clISt17integral_constantIbLb0EES10_IbLb1EEEEDaSW_SX_EUlSW_E_NS1_11comp_targetILNS1_3genE4ELNS1_11target_archE910ELNS1_3gpuE8ELNS1_3repE0EEENS1_30default_config_static_selectorELNS0_4arch9wavefront6targetE1EEEvT1_
		.amdhsa_group_segment_fixed_size 16384
		.amdhsa_private_segment_fixed_size 0
		.amdhsa_kernarg_size 112
		.amdhsa_user_sgpr_count 6
		.amdhsa_user_sgpr_private_segment_buffer 1
		.amdhsa_user_sgpr_dispatch_ptr 0
		.amdhsa_user_sgpr_queue_ptr 0
		.amdhsa_user_sgpr_kernarg_segment_ptr 1
		.amdhsa_user_sgpr_dispatch_id 0
		.amdhsa_user_sgpr_flat_scratch_init 0
		.amdhsa_user_sgpr_kernarg_preload_length 0
		.amdhsa_user_sgpr_kernarg_preload_offset 0
		.amdhsa_user_sgpr_private_segment_size 0
		.amdhsa_uses_dynamic_stack 0
		.amdhsa_system_sgpr_private_segment_wavefront_offset 0
		.amdhsa_system_sgpr_workgroup_id_x 1
		.amdhsa_system_sgpr_workgroup_id_y 0
		.amdhsa_system_sgpr_workgroup_id_z 0
		.amdhsa_system_sgpr_workgroup_info 0
		.amdhsa_system_vgpr_workitem_id 0
		.amdhsa_next_free_vgpr 65
		.amdhsa_next_free_sgpr 65
		.amdhsa_accum_offset 68
		.amdhsa_reserve_vcc 1
		.amdhsa_reserve_flat_scratch 0
		.amdhsa_float_round_mode_32 0
		.amdhsa_float_round_mode_16_64 0
		.amdhsa_float_denorm_mode_32 3
		.amdhsa_float_denorm_mode_16_64 3
		.amdhsa_dx10_clamp 1
		.amdhsa_ieee_mode 1
		.amdhsa_fp16_overflow 0
		.amdhsa_tg_split 0
		.amdhsa_exception_fp_ieee_invalid_op 0
		.amdhsa_exception_fp_denorm_src 0
		.amdhsa_exception_fp_ieee_div_zero 0
		.amdhsa_exception_fp_ieee_overflow 0
		.amdhsa_exception_fp_ieee_underflow 0
		.amdhsa_exception_fp_ieee_inexact 0
		.amdhsa_exception_int_div_zero 0
	.end_amdhsa_kernel
	.section	.text._ZN7rocprim17ROCPRIM_400000_NS6detail17trampoline_kernelINS0_14default_configENS1_27scan_by_key_config_selectorIijEEZZNS1_16scan_by_key_implILNS1_25lookback_scan_determinismE0ELb0ES3_N6thrust23THRUST_200600_302600_NS6detail15normal_iteratorINS9_10device_ptrIiEEEENSB_INSC_IjEEEESG_jNS9_4plusIvEENS9_8equal_toIvEEjEE10hipError_tPvRmT2_T3_T4_T5_mT6_T7_P12ihipStream_tbENKUlT_T0_E_clISt17integral_constantIbLb0EES10_IbLb1EEEEDaSW_SX_EUlSW_E_NS1_11comp_targetILNS1_3genE4ELNS1_11target_archE910ELNS1_3gpuE8ELNS1_3repE0EEENS1_30default_config_static_selectorELNS0_4arch9wavefront6targetE1EEEvT1_,"axG",@progbits,_ZN7rocprim17ROCPRIM_400000_NS6detail17trampoline_kernelINS0_14default_configENS1_27scan_by_key_config_selectorIijEEZZNS1_16scan_by_key_implILNS1_25lookback_scan_determinismE0ELb0ES3_N6thrust23THRUST_200600_302600_NS6detail15normal_iteratorINS9_10device_ptrIiEEEENSB_INSC_IjEEEESG_jNS9_4plusIvEENS9_8equal_toIvEEjEE10hipError_tPvRmT2_T3_T4_T5_mT6_T7_P12ihipStream_tbENKUlT_T0_E_clISt17integral_constantIbLb0EES10_IbLb1EEEEDaSW_SX_EUlSW_E_NS1_11comp_targetILNS1_3genE4ELNS1_11target_archE910ELNS1_3gpuE8ELNS1_3repE0EEENS1_30default_config_static_selectorELNS0_4arch9wavefront6targetE1EEEvT1_,comdat
.Lfunc_end1257:
	.size	_ZN7rocprim17ROCPRIM_400000_NS6detail17trampoline_kernelINS0_14default_configENS1_27scan_by_key_config_selectorIijEEZZNS1_16scan_by_key_implILNS1_25lookback_scan_determinismE0ELb0ES3_N6thrust23THRUST_200600_302600_NS6detail15normal_iteratorINS9_10device_ptrIiEEEENSB_INSC_IjEEEESG_jNS9_4plusIvEENS9_8equal_toIvEEjEE10hipError_tPvRmT2_T3_T4_T5_mT6_T7_P12ihipStream_tbENKUlT_T0_E_clISt17integral_constantIbLb0EES10_IbLb1EEEEDaSW_SX_EUlSW_E_NS1_11comp_targetILNS1_3genE4ELNS1_11target_archE910ELNS1_3gpuE8ELNS1_3repE0EEENS1_30default_config_static_selectorELNS0_4arch9wavefront6targetE1EEEvT1_, .Lfunc_end1257-_ZN7rocprim17ROCPRIM_400000_NS6detail17trampoline_kernelINS0_14default_configENS1_27scan_by_key_config_selectorIijEEZZNS1_16scan_by_key_implILNS1_25lookback_scan_determinismE0ELb0ES3_N6thrust23THRUST_200600_302600_NS6detail15normal_iteratorINS9_10device_ptrIiEEEENSB_INSC_IjEEEESG_jNS9_4plusIvEENS9_8equal_toIvEEjEE10hipError_tPvRmT2_T3_T4_T5_mT6_T7_P12ihipStream_tbENKUlT_T0_E_clISt17integral_constantIbLb0EES10_IbLb1EEEEDaSW_SX_EUlSW_E_NS1_11comp_targetILNS1_3genE4ELNS1_11target_archE910ELNS1_3gpuE8ELNS1_3repE0EEENS1_30default_config_static_selectorELNS0_4arch9wavefront6targetE1EEEvT1_
                                        ; -- End function
	.section	.AMDGPU.csdata,"",@progbits
; Kernel info:
; codeLenInByte = 11024
; NumSgprs: 69
; NumVgprs: 65
; NumAgprs: 0
; TotalNumVgprs: 65
; ScratchSize: 0
; MemoryBound: 0
; FloatMode: 240
; IeeeMode: 1
; LDSByteSize: 16384 bytes/workgroup (compile time only)
; SGPRBlocks: 8
; VGPRBlocks: 8
; NumSGPRsForWavesPerEU: 69
; NumVGPRsForWavesPerEU: 65
; AccumOffset: 68
; Occupancy: 4
; WaveLimiterHint : 1
; COMPUTE_PGM_RSRC2:SCRATCH_EN: 0
; COMPUTE_PGM_RSRC2:USER_SGPR: 6
; COMPUTE_PGM_RSRC2:TRAP_HANDLER: 0
; COMPUTE_PGM_RSRC2:TGID_X_EN: 1
; COMPUTE_PGM_RSRC2:TGID_Y_EN: 0
; COMPUTE_PGM_RSRC2:TGID_Z_EN: 0
; COMPUTE_PGM_RSRC2:TIDIG_COMP_CNT: 0
; COMPUTE_PGM_RSRC3_GFX90A:ACCUM_OFFSET: 16
; COMPUTE_PGM_RSRC3_GFX90A:TG_SPLIT: 0
	.section	.text._ZN7rocprim17ROCPRIM_400000_NS6detail17trampoline_kernelINS0_14default_configENS1_27scan_by_key_config_selectorIijEEZZNS1_16scan_by_key_implILNS1_25lookback_scan_determinismE0ELb0ES3_N6thrust23THRUST_200600_302600_NS6detail15normal_iteratorINS9_10device_ptrIiEEEENSB_INSC_IjEEEESG_jNS9_4plusIvEENS9_8equal_toIvEEjEE10hipError_tPvRmT2_T3_T4_T5_mT6_T7_P12ihipStream_tbENKUlT_T0_E_clISt17integral_constantIbLb0EES10_IbLb1EEEEDaSW_SX_EUlSW_E_NS1_11comp_targetILNS1_3genE3ELNS1_11target_archE908ELNS1_3gpuE7ELNS1_3repE0EEENS1_30default_config_static_selectorELNS0_4arch9wavefront6targetE1EEEvT1_,"axG",@progbits,_ZN7rocprim17ROCPRIM_400000_NS6detail17trampoline_kernelINS0_14default_configENS1_27scan_by_key_config_selectorIijEEZZNS1_16scan_by_key_implILNS1_25lookback_scan_determinismE0ELb0ES3_N6thrust23THRUST_200600_302600_NS6detail15normal_iteratorINS9_10device_ptrIiEEEENSB_INSC_IjEEEESG_jNS9_4plusIvEENS9_8equal_toIvEEjEE10hipError_tPvRmT2_T3_T4_T5_mT6_T7_P12ihipStream_tbENKUlT_T0_E_clISt17integral_constantIbLb0EES10_IbLb1EEEEDaSW_SX_EUlSW_E_NS1_11comp_targetILNS1_3genE3ELNS1_11target_archE908ELNS1_3gpuE7ELNS1_3repE0EEENS1_30default_config_static_selectorELNS0_4arch9wavefront6targetE1EEEvT1_,comdat
	.protected	_ZN7rocprim17ROCPRIM_400000_NS6detail17trampoline_kernelINS0_14default_configENS1_27scan_by_key_config_selectorIijEEZZNS1_16scan_by_key_implILNS1_25lookback_scan_determinismE0ELb0ES3_N6thrust23THRUST_200600_302600_NS6detail15normal_iteratorINS9_10device_ptrIiEEEENSB_INSC_IjEEEESG_jNS9_4plusIvEENS9_8equal_toIvEEjEE10hipError_tPvRmT2_T3_T4_T5_mT6_T7_P12ihipStream_tbENKUlT_T0_E_clISt17integral_constantIbLb0EES10_IbLb1EEEEDaSW_SX_EUlSW_E_NS1_11comp_targetILNS1_3genE3ELNS1_11target_archE908ELNS1_3gpuE7ELNS1_3repE0EEENS1_30default_config_static_selectorELNS0_4arch9wavefront6targetE1EEEvT1_ ; -- Begin function _ZN7rocprim17ROCPRIM_400000_NS6detail17trampoline_kernelINS0_14default_configENS1_27scan_by_key_config_selectorIijEEZZNS1_16scan_by_key_implILNS1_25lookback_scan_determinismE0ELb0ES3_N6thrust23THRUST_200600_302600_NS6detail15normal_iteratorINS9_10device_ptrIiEEEENSB_INSC_IjEEEESG_jNS9_4plusIvEENS9_8equal_toIvEEjEE10hipError_tPvRmT2_T3_T4_T5_mT6_T7_P12ihipStream_tbENKUlT_T0_E_clISt17integral_constantIbLb0EES10_IbLb1EEEEDaSW_SX_EUlSW_E_NS1_11comp_targetILNS1_3genE3ELNS1_11target_archE908ELNS1_3gpuE7ELNS1_3repE0EEENS1_30default_config_static_selectorELNS0_4arch9wavefront6targetE1EEEvT1_
	.globl	_ZN7rocprim17ROCPRIM_400000_NS6detail17trampoline_kernelINS0_14default_configENS1_27scan_by_key_config_selectorIijEEZZNS1_16scan_by_key_implILNS1_25lookback_scan_determinismE0ELb0ES3_N6thrust23THRUST_200600_302600_NS6detail15normal_iteratorINS9_10device_ptrIiEEEENSB_INSC_IjEEEESG_jNS9_4plusIvEENS9_8equal_toIvEEjEE10hipError_tPvRmT2_T3_T4_T5_mT6_T7_P12ihipStream_tbENKUlT_T0_E_clISt17integral_constantIbLb0EES10_IbLb1EEEEDaSW_SX_EUlSW_E_NS1_11comp_targetILNS1_3genE3ELNS1_11target_archE908ELNS1_3gpuE7ELNS1_3repE0EEENS1_30default_config_static_selectorELNS0_4arch9wavefront6targetE1EEEvT1_
	.p2align	8
	.type	_ZN7rocprim17ROCPRIM_400000_NS6detail17trampoline_kernelINS0_14default_configENS1_27scan_by_key_config_selectorIijEEZZNS1_16scan_by_key_implILNS1_25lookback_scan_determinismE0ELb0ES3_N6thrust23THRUST_200600_302600_NS6detail15normal_iteratorINS9_10device_ptrIiEEEENSB_INSC_IjEEEESG_jNS9_4plusIvEENS9_8equal_toIvEEjEE10hipError_tPvRmT2_T3_T4_T5_mT6_T7_P12ihipStream_tbENKUlT_T0_E_clISt17integral_constantIbLb0EES10_IbLb1EEEEDaSW_SX_EUlSW_E_NS1_11comp_targetILNS1_3genE3ELNS1_11target_archE908ELNS1_3gpuE7ELNS1_3repE0EEENS1_30default_config_static_selectorELNS0_4arch9wavefront6targetE1EEEvT1_,@function
_ZN7rocprim17ROCPRIM_400000_NS6detail17trampoline_kernelINS0_14default_configENS1_27scan_by_key_config_selectorIijEEZZNS1_16scan_by_key_implILNS1_25lookback_scan_determinismE0ELb0ES3_N6thrust23THRUST_200600_302600_NS6detail15normal_iteratorINS9_10device_ptrIiEEEENSB_INSC_IjEEEESG_jNS9_4plusIvEENS9_8equal_toIvEEjEE10hipError_tPvRmT2_T3_T4_T5_mT6_T7_P12ihipStream_tbENKUlT_T0_E_clISt17integral_constantIbLb0EES10_IbLb1EEEEDaSW_SX_EUlSW_E_NS1_11comp_targetILNS1_3genE3ELNS1_11target_archE908ELNS1_3gpuE7ELNS1_3repE0EEENS1_30default_config_static_selectorELNS0_4arch9wavefront6targetE1EEEvT1_: ; @_ZN7rocprim17ROCPRIM_400000_NS6detail17trampoline_kernelINS0_14default_configENS1_27scan_by_key_config_selectorIijEEZZNS1_16scan_by_key_implILNS1_25lookback_scan_determinismE0ELb0ES3_N6thrust23THRUST_200600_302600_NS6detail15normal_iteratorINS9_10device_ptrIiEEEENSB_INSC_IjEEEESG_jNS9_4plusIvEENS9_8equal_toIvEEjEE10hipError_tPvRmT2_T3_T4_T5_mT6_T7_P12ihipStream_tbENKUlT_T0_E_clISt17integral_constantIbLb0EES10_IbLb1EEEEDaSW_SX_EUlSW_E_NS1_11comp_targetILNS1_3genE3ELNS1_11target_archE908ELNS1_3gpuE7ELNS1_3repE0EEENS1_30default_config_static_selectorELNS0_4arch9wavefront6targetE1EEEvT1_
; %bb.0:
	.section	.rodata,"a",@progbits
	.p2align	6, 0x0
	.amdhsa_kernel _ZN7rocprim17ROCPRIM_400000_NS6detail17trampoline_kernelINS0_14default_configENS1_27scan_by_key_config_selectorIijEEZZNS1_16scan_by_key_implILNS1_25lookback_scan_determinismE0ELb0ES3_N6thrust23THRUST_200600_302600_NS6detail15normal_iteratorINS9_10device_ptrIiEEEENSB_INSC_IjEEEESG_jNS9_4plusIvEENS9_8equal_toIvEEjEE10hipError_tPvRmT2_T3_T4_T5_mT6_T7_P12ihipStream_tbENKUlT_T0_E_clISt17integral_constantIbLb0EES10_IbLb1EEEEDaSW_SX_EUlSW_E_NS1_11comp_targetILNS1_3genE3ELNS1_11target_archE908ELNS1_3gpuE7ELNS1_3repE0EEENS1_30default_config_static_selectorELNS0_4arch9wavefront6targetE1EEEvT1_
		.amdhsa_group_segment_fixed_size 0
		.amdhsa_private_segment_fixed_size 0
		.amdhsa_kernarg_size 112
		.amdhsa_user_sgpr_count 6
		.amdhsa_user_sgpr_private_segment_buffer 1
		.amdhsa_user_sgpr_dispatch_ptr 0
		.amdhsa_user_sgpr_queue_ptr 0
		.amdhsa_user_sgpr_kernarg_segment_ptr 1
		.amdhsa_user_sgpr_dispatch_id 0
		.amdhsa_user_sgpr_flat_scratch_init 0
		.amdhsa_user_sgpr_kernarg_preload_length 0
		.amdhsa_user_sgpr_kernarg_preload_offset 0
		.amdhsa_user_sgpr_private_segment_size 0
		.amdhsa_uses_dynamic_stack 0
		.amdhsa_system_sgpr_private_segment_wavefront_offset 0
		.amdhsa_system_sgpr_workgroup_id_x 1
		.amdhsa_system_sgpr_workgroup_id_y 0
		.amdhsa_system_sgpr_workgroup_id_z 0
		.amdhsa_system_sgpr_workgroup_info 0
		.amdhsa_system_vgpr_workitem_id 0
		.amdhsa_next_free_vgpr 1
		.amdhsa_next_free_sgpr 0
		.amdhsa_accum_offset 4
		.amdhsa_reserve_vcc 0
		.amdhsa_reserve_flat_scratch 0
		.amdhsa_float_round_mode_32 0
		.amdhsa_float_round_mode_16_64 0
		.amdhsa_float_denorm_mode_32 3
		.amdhsa_float_denorm_mode_16_64 3
		.amdhsa_dx10_clamp 1
		.amdhsa_ieee_mode 1
		.amdhsa_fp16_overflow 0
		.amdhsa_tg_split 0
		.amdhsa_exception_fp_ieee_invalid_op 0
		.amdhsa_exception_fp_denorm_src 0
		.amdhsa_exception_fp_ieee_div_zero 0
		.amdhsa_exception_fp_ieee_overflow 0
		.amdhsa_exception_fp_ieee_underflow 0
		.amdhsa_exception_fp_ieee_inexact 0
		.amdhsa_exception_int_div_zero 0
	.end_amdhsa_kernel
	.section	.text._ZN7rocprim17ROCPRIM_400000_NS6detail17trampoline_kernelINS0_14default_configENS1_27scan_by_key_config_selectorIijEEZZNS1_16scan_by_key_implILNS1_25lookback_scan_determinismE0ELb0ES3_N6thrust23THRUST_200600_302600_NS6detail15normal_iteratorINS9_10device_ptrIiEEEENSB_INSC_IjEEEESG_jNS9_4plusIvEENS9_8equal_toIvEEjEE10hipError_tPvRmT2_T3_T4_T5_mT6_T7_P12ihipStream_tbENKUlT_T0_E_clISt17integral_constantIbLb0EES10_IbLb1EEEEDaSW_SX_EUlSW_E_NS1_11comp_targetILNS1_3genE3ELNS1_11target_archE908ELNS1_3gpuE7ELNS1_3repE0EEENS1_30default_config_static_selectorELNS0_4arch9wavefront6targetE1EEEvT1_,"axG",@progbits,_ZN7rocprim17ROCPRIM_400000_NS6detail17trampoline_kernelINS0_14default_configENS1_27scan_by_key_config_selectorIijEEZZNS1_16scan_by_key_implILNS1_25lookback_scan_determinismE0ELb0ES3_N6thrust23THRUST_200600_302600_NS6detail15normal_iteratorINS9_10device_ptrIiEEEENSB_INSC_IjEEEESG_jNS9_4plusIvEENS9_8equal_toIvEEjEE10hipError_tPvRmT2_T3_T4_T5_mT6_T7_P12ihipStream_tbENKUlT_T0_E_clISt17integral_constantIbLb0EES10_IbLb1EEEEDaSW_SX_EUlSW_E_NS1_11comp_targetILNS1_3genE3ELNS1_11target_archE908ELNS1_3gpuE7ELNS1_3repE0EEENS1_30default_config_static_selectorELNS0_4arch9wavefront6targetE1EEEvT1_,comdat
.Lfunc_end1258:
	.size	_ZN7rocprim17ROCPRIM_400000_NS6detail17trampoline_kernelINS0_14default_configENS1_27scan_by_key_config_selectorIijEEZZNS1_16scan_by_key_implILNS1_25lookback_scan_determinismE0ELb0ES3_N6thrust23THRUST_200600_302600_NS6detail15normal_iteratorINS9_10device_ptrIiEEEENSB_INSC_IjEEEESG_jNS9_4plusIvEENS9_8equal_toIvEEjEE10hipError_tPvRmT2_T3_T4_T5_mT6_T7_P12ihipStream_tbENKUlT_T0_E_clISt17integral_constantIbLb0EES10_IbLb1EEEEDaSW_SX_EUlSW_E_NS1_11comp_targetILNS1_3genE3ELNS1_11target_archE908ELNS1_3gpuE7ELNS1_3repE0EEENS1_30default_config_static_selectorELNS0_4arch9wavefront6targetE1EEEvT1_, .Lfunc_end1258-_ZN7rocprim17ROCPRIM_400000_NS6detail17trampoline_kernelINS0_14default_configENS1_27scan_by_key_config_selectorIijEEZZNS1_16scan_by_key_implILNS1_25lookback_scan_determinismE0ELb0ES3_N6thrust23THRUST_200600_302600_NS6detail15normal_iteratorINS9_10device_ptrIiEEEENSB_INSC_IjEEEESG_jNS9_4plusIvEENS9_8equal_toIvEEjEE10hipError_tPvRmT2_T3_T4_T5_mT6_T7_P12ihipStream_tbENKUlT_T0_E_clISt17integral_constantIbLb0EES10_IbLb1EEEEDaSW_SX_EUlSW_E_NS1_11comp_targetILNS1_3genE3ELNS1_11target_archE908ELNS1_3gpuE7ELNS1_3repE0EEENS1_30default_config_static_selectorELNS0_4arch9wavefront6targetE1EEEvT1_
                                        ; -- End function
	.section	.AMDGPU.csdata,"",@progbits
; Kernel info:
; codeLenInByte = 0
; NumSgprs: 4
; NumVgprs: 0
; NumAgprs: 0
; TotalNumVgprs: 0
; ScratchSize: 0
; MemoryBound: 0
; FloatMode: 240
; IeeeMode: 1
; LDSByteSize: 0 bytes/workgroup (compile time only)
; SGPRBlocks: 0
; VGPRBlocks: 0
; NumSGPRsForWavesPerEU: 4
; NumVGPRsForWavesPerEU: 1
; AccumOffset: 4
; Occupancy: 8
; WaveLimiterHint : 0
; COMPUTE_PGM_RSRC2:SCRATCH_EN: 0
; COMPUTE_PGM_RSRC2:USER_SGPR: 6
; COMPUTE_PGM_RSRC2:TRAP_HANDLER: 0
; COMPUTE_PGM_RSRC2:TGID_X_EN: 1
; COMPUTE_PGM_RSRC2:TGID_Y_EN: 0
; COMPUTE_PGM_RSRC2:TGID_Z_EN: 0
; COMPUTE_PGM_RSRC2:TIDIG_COMP_CNT: 0
; COMPUTE_PGM_RSRC3_GFX90A:ACCUM_OFFSET: 0
; COMPUTE_PGM_RSRC3_GFX90A:TG_SPLIT: 0
	.section	.text._ZN7rocprim17ROCPRIM_400000_NS6detail17trampoline_kernelINS0_14default_configENS1_27scan_by_key_config_selectorIijEEZZNS1_16scan_by_key_implILNS1_25lookback_scan_determinismE0ELb0ES3_N6thrust23THRUST_200600_302600_NS6detail15normal_iteratorINS9_10device_ptrIiEEEENSB_INSC_IjEEEESG_jNS9_4plusIvEENS9_8equal_toIvEEjEE10hipError_tPvRmT2_T3_T4_T5_mT6_T7_P12ihipStream_tbENKUlT_T0_E_clISt17integral_constantIbLb0EES10_IbLb1EEEEDaSW_SX_EUlSW_E_NS1_11comp_targetILNS1_3genE2ELNS1_11target_archE906ELNS1_3gpuE6ELNS1_3repE0EEENS1_30default_config_static_selectorELNS0_4arch9wavefront6targetE1EEEvT1_,"axG",@progbits,_ZN7rocprim17ROCPRIM_400000_NS6detail17trampoline_kernelINS0_14default_configENS1_27scan_by_key_config_selectorIijEEZZNS1_16scan_by_key_implILNS1_25lookback_scan_determinismE0ELb0ES3_N6thrust23THRUST_200600_302600_NS6detail15normal_iteratorINS9_10device_ptrIiEEEENSB_INSC_IjEEEESG_jNS9_4plusIvEENS9_8equal_toIvEEjEE10hipError_tPvRmT2_T3_T4_T5_mT6_T7_P12ihipStream_tbENKUlT_T0_E_clISt17integral_constantIbLb0EES10_IbLb1EEEEDaSW_SX_EUlSW_E_NS1_11comp_targetILNS1_3genE2ELNS1_11target_archE906ELNS1_3gpuE6ELNS1_3repE0EEENS1_30default_config_static_selectorELNS0_4arch9wavefront6targetE1EEEvT1_,comdat
	.protected	_ZN7rocprim17ROCPRIM_400000_NS6detail17trampoline_kernelINS0_14default_configENS1_27scan_by_key_config_selectorIijEEZZNS1_16scan_by_key_implILNS1_25lookback_scan_determinismE0ELb0ES3_N6thrust23THRUST_200600_302600_NS6detail15normal_iteratorINS9_10device_ptrIiEEEENSB_INSC_IjEEEESG_jNS9_4plusIvEENS9_8equal_toIvEEjEE10hipError_tPvRmT2_T3_T4_T5_mT6_T7_P12ihipStream_tbENKUlT_T0_E_clISt17integral_constantIbLb0EES10_IbLb1EEEEDaSW_SX_EUlSW_E_NS1_11comp_targetILNS1_3genE2ELNS1_11target_archE906ELNS1_3gpuE6ELNS1_3repE0EEENS1_30default_config_static_selectorELNS0_4arch9wavefront6targetE1EEEvT1_ ; -- Begin function _ZN7rocprim17ROCPRIM_400000_NS6detail17trampoline_kernelINS0_14default_configENS1_27scan_by_key_config_selectorIijEEZZNS1_16scan_by_key_implILNS1_25lookback_scan_determinismE0ELb0ES3_N6thrust23THRUST_200600_302600_NS6detail15normal_iteratorINS9_10device_ptrIiEEEENSB_INSC_IjEEEESG_jNS9_4plusIvEENS9_8equal_toIvEEjEE10hipError_tPvRmT2_T3_T4_T5_mT6_T7_P12ihipStream_tbENKUlT_T0_E_clISt17integral_constantIbLb0EES10_IbLb1EEEEDaSW_SX_EUlSW_E_NS1_11comp_targetILNS1_3genE2ELNS1_11target_archE906ELNS1_3gpuE6ELNS1_3repE0EEENS1_30default_config_static_selectorELNS0_4arch9wavefront6targetE1EEEvT1_
	.globl	_ZN7rocprim17ROCPRIM_400000_NS6detail17trampoline_kernelINS0_14default_configENS1_27scan_by_key_config_selectorIijEEZZNS1_16scan_by_key_implILNS1_25lookback_scan_determinismE0ELb0ES3_N6thrust23THRUST_200600_302600_NS6detail15normal_iteratorINS9_10device_ptrIiEEEENSB_INSC_IjEEEESG_jNS9_4plusIvEENS9_8equal_toIvEEjEE10hipError_tPvRmT2_T3_T4_T5_mT6_T7_P12ihipStream_tbENKUlT_T0_E_clISt17integral_constantIbLb0EES10_IbLb1EEEEDaSW_SX_EUlSW_E_NS1_11comp_targetILNS1_3genE2ELNS1_11target_archE906ELNS1_3gpuE6ELNS1_3repE0EEENS1_30default_config_static_selectorELNS0_4arch9wavefront6targetE1EEEvT1_
	.p2align	8
	.type	_ZN7rocprim17ROCPRIM_400000_NS6detail17trampoline_kernelINS0_14default_configENS1_27scan_by_key_config_selectorIijEEZZNS1_16scan_by_key_implILNS1_25lookback_scan_determinismE0ELb0ES3_N6thrust23THRUST_200600_302600_NS6detail15normal_iteratorINS9_10device_ptrIiEEEENSB_INSC_IjEEEESG_jNS9_4plusIvEENS9_8equal_toIvEEjEE10hipError_tPvRmT2_T3_T4_T5_mT6_T7_P12ihipStream_tbENKUlT_T0_E_clISt17integral_constantIbLb0EES10_IbLb1EEEEDaSW_SX_EUlSW_E_NS1_11comp_targetILNS1_3genE2ELNS1_11target_archE906ELNS1_3gpuE6ELNS1_3repE0EEENS1_30default_config_static_selectorELNS0_4arch9wavefront6targetE1EEEvT1_,@function
_ZN7rocprim17ROCPRIM_400000_NS6detail17trampoline_kernelINS0_14default_configENS1_27scan_by_key_config_selectorIijEEZZNS1_16scan_by_key_implILNS1_25lookback_scan_determinismE0ELb0ES3_N6thrust23THRUST_200600_302600_NS6detail15normal_iteratorINS9_10device_ptrIiEEEENSB_INSC_IjEEEESG_jNS9_4plusIvEENS9_8equal_toIvEEjEE10hipError_tPvRmT2_T3_T4_T5_mT6_T7_P12ihipStream_tbENKUlT_T0_E_clISt17integral_constantIbLb0EES10_IbLb1EEEEDaSW_SX_EUlSW_E_NS1_11comp_targetILNS1_3genE2ELNS1_11target_archE906ELNS1_3gpuE6ELNS1_3repE0EEENS1_30default_config_static_selectorELNS0_4arch9wavefront6targetE1EEEvT1_: ; @_ZN7rocprim17ROCPRIM_400000_NS6detail17trampoline_kernelINS0_14default_configENS1_27scan_by_key_config_selectorIijEEZZNS1_16scan_by_key_implILNS1_25lookback_scan_determinismE0ELb0ES3_N6thrust23THRUST_200600_302600_NS6detail15normal_iteratorINS9_10device_ptrIiEEEENSB_INSC_IjEEEESG_jNS9_4plusIvEENS9_8equal_toIvEEjEE10hipError_tPvRmT2_T3_T4_T5_mT6_T7_P12ihipStream_tbENKUlT_T0_E_clISt17integral_constantIbLb0EES10_IbLb1EEEEDaSW_SX_EUlSW_E_NS1_11comp_targetILNS1_3genE2ELNS1_11target_archE906ELNS1_3gpuE6ELNS1_3repE0EEENS1_30default_config_static_selectorELNS0_4arch9wavefront6targetE1EEEvT1_
; %bb.0:
	.section	.rodata,"a",@progbits
	.p2align	6, 0x0
	.amdhsa_kernel _ZN7rocprim17ROCPRIM_400000_NS6detail17trampoline_kernelINS0_14default_configENS1_27scan_by_key_config_selectorIijEEZZNS1_16scan_by_key_implILNS1_25lookback_scan_determinismE0ELb0ES3_N6thrust23THRUST_200600_302600_NS6detail15normal_iteratorINS9_10device_ptrIiEEEENSB_INSC_IjEEEESG_jNS9_4plusIvEENS9_8equal_toIvEEjEE10hipError_tPvRmT2_T3_T4_T5_mT6_T7_P12ihipStream_tbENKUlT_T0_E_clISt17integral_constantIbLb0EES10_IbLb1EEEEDaSW_SX_EUlSW_E_NS1_11comp_targetILNS1_3genE2ELNS1_11target_archE906ELNS1_3gpuE6ELNS1_3repE0EEENS1_30default_config_static_selectorELNS0_4arch9wavefront6targetE1EEEvT1_
		.amdhsa_group_segment_fixed_size 0
		.amdhsa_private_segment_fixed_size 0
		.amdhsa_kernarg_size 112
		.amdhsa_user_sgpr_count 6
		.amdhsa_user_sgpr_private_segment_buffer 1
		.amdhsa_user_sgpr_dispatch_ptr 0
		.amdhsa_user_sgpr_queue_ptr 0
		.amdhsa_user_sgpr_kernarg_segment_ptr 1
		.amdhsa_user_sgpr_dispatch_id 0
		.amdhsa_user_sgpr_flat_scratch_init 0
		.amdhsa_user_sgpr_kernarg_preload_length 0
		.amdhsa_user_sgpr_kernarg_preload_offset 0
		.amdhsa_user_sgpr_private_segment_size 0
		.amdhsa_uses_dynamic_stack 0
		.amdhsa_system_sgpr_private_segment_wavefront_offset 0
		.amdhsa_system_sgpr_workgroup_id_x 1
		.amdhsa_system_sgpr_workgroup_id_y 0
		.amdhsa_system_sgpr_workgroup_id_z 0
		.amdhsa_system_sgpr_workgroup_info 0
		.amdhsa_system_vgpr_workitem_id 0
		.amdhsa_next_free_vgpr 1
		.amdhsa_next_free_sgpr 0
		.amdhsa_accum_offset 4
		.amdhsa_reserve_vcc 0
		.amdhsa_reserve_flat_scratch 0
		.amdhsa_float_round_mode_32 0
		.amdhsa_float_round_mode_16_64 0
		.amdhsa_float_denorm_mode_32 3
		.amdhsa_float_denorm_mode_16_64 3
		.amdhsa_dx10_clamp 1
		.amdhsa_ieee_mode 1
		.amdhsa_fp16_overflow 0
		.amdhsa_tg_split 0
		.amdhsa_exception_fp_ieee_invalid_op 0
		.amdhsa_exception_fp_denorm_src 0
		.amdhsa_exception_fp_ieee_div_zero 0
		.amdhsa_exception_fp_ieee_overflow 0
		.amdhsa_exception_fp_ieee_underflow 0
		.amdhsa_exception_fp_ieee_inexact 0
		.amdhsa_exception_int_div_zero 0
	.end_amdhsa_kernel
	.section	.text._ZN7rocprim17ROCPRIM_400000_NS6detail17trampoline_kernelINS0_14default_configENS1_27scan_by_key_config_selectorIijEEZZNS1_16scan_by_key_implILNS1_25lookback_scan_determinismE0ELb0ES3_N6thrust23THRUST_200600_302600_NS6detail15normal_iteratorINS9_10device_ptrIiEEEENSB_INSC_IjEEEESG_jNS9_4plusIvEENS9_8equal_toIvEEjEE10hipError_tPvRmT2_T3_T4_T5_mT6_T7_P12ihipStream_tbENKUlT_T0_E_clISt17integral_constantIbLb0EES10_IbLb1EEEEDaSW_SX_EUlSW_E_NS1_11comp_targetILNS1_3genE2ELNS1_11target_archE906ELNS1_3gpuE6ELNS1_3repE0EEENS1_30default_config_static_selectorELNS0_4arch9wavefront6targetE1EEEvT1_,"axG",@progbits,_ZN7rocprim17ROCPRIM_400000_NS6detail17trampoline_kernelINS0_14default_configENS1_27scan_by_key_config_selectorIijEEZZNS1_16scan_by_key_implILNS1_25lookback_scan_determinismE0ELb0ES3_N6thrust23THRUST_200600_302600_NS6detail15normal_iteratorINS9_10device_ptrIiEEEENSB_INSC_IjEEEESG_jNS9_4plusIvEENS9_8equal_toIvEEjEE10hipError_tPvRmT2_T3_T4_T5_mT6_T7_P12ihipStream_tbENKUlT_T0_E_clISt17integral_constantIbLb0EES10_IbLb1EEEEDaSW_SX_EUlSW_E_NS1_11comp_targetILNS1_3genE2ELNS1_11target_archE906ELNS1_3gpuE6ELNS1_3repE0EEENS1_30default_config_static_selectorELNS0_4arch9wavefront6targetE1EEEvT1_,comdat
.Lfunc_end1259:
	.size	_ZN7rocprim17ROCPRIM_400000_NS6detail17trampoline_kernelINS0_14default_configENS1_27scan_by_key_config_selectorIijEEZZNS1_16scan_by_key_implILNS1_25lookback_scan_determinismE0ELb0ES3_N6thrust23THRUST_200600_302600_NS6detail15normal_iteratorINS9_10device_ptrIiEEEENSB_INSC_IjEEEESG_jNS9_4plusIvEENS9_8equal_toIvEEjEE10hipError_tPvRmT2_T3_T4_T5_mT6_T7_P12ihipStream_tbENKUlT_T0_E_clISt17integral_constantIbLb0EES10_IbLb1EEEEDaSW_SX_EUlSW_E_NS1_11comp_targetILNS1_3genE2ELNS1_11target_archE906ELNS1_3gpuE6ELNS1_3repE0EEENS1_30default_config_static_selectorELNS0_4arch9wavefront6targetE1EEEvT1_, .Lfunc_end1259-_ZN7rocprim17ROCPRIM_400000_NS6detail17trampoline_kernelINS0_14default_configENS1_27scan_by_key_config_selectorIijEEZZNS1_16scan_by_key_implILNS1_25lookback_scan_determinismE0ELb0ES3_N6thrust23THRUST_200600_302600_NS6detail15normal_iteratorINS9_10device_ptrIiEEEENSB_INSC_IjEEEESG_jNS9_4plusIvEENS9_8equal_toIvEEjEE10hipError_tPvRmT2_T3_T4_T5_mT6_T7_P12ihipStream_tbENKUlT_T0_E_clISt17integral_constantIbLb0EES10_IbLb1EEEEDaSW_SX_EUlSW_E_NS1_11comp_targetILNS1_3genE2ELNS1_11target_archE906ELNS1_3gpuE6ELNS1_3repE0EEENS1_30default_config_static_selectorELNS0_4arch9wavefront6targetE1EEEvT1_
                                        ; -- End function
	.section	.AMDGPU.csdata,"",@progbits
; Kernel info:
; codeLenInByte = 0
; NumSgprs: 4
; NumVgprs: 0
; NumAgprs: 0
; TotalNumVgprs: 0
; ScratchSize: 0
; MemoryBound: 0
; FloatMode: 240
; IeeeMode: 1
; LDSByteSize: 0 bytes/workgroup (compile time only)
; SGPRBlocks: 0
; VGPRBlocks: 0
; NumSGPRsForWavesPerEU: 4
; NumVGPRsForWavesPerEU: 1
; AccumOffset: 4
; Occupancy: 8
; WaveLimiterHint : 0
; COMPUTE_PGM_RSRC2:SCRATCH_EN: 0
; COMPUTE_PGM_RSRC2:USER_SGPR: 6
; COMPUTE_PGM_RSRC2:TRAP_HANDLER: 0
; COMPUTE_PGM_RSRC2:TGID_X_EN: 1
; COMPUTE_PGM_RSRC2:TGID_Y_EN: 0
; COMPUTE_PGM_RSRC2:TGID_Z_EN: 0
; COMPUTE_PGM_RSRC2:TIDIG_COMP_CNT: 0
; COMPUTE_PGM_RSRC3_GFX90A:ACCUM_OFFSET: 0
; COMPUTE_PGM_RSRC3_GFX90A:TG_SPLIT: 0
	.section	.text._ZN7rocprim17ROCPRIM_400000_NS6detail17trampoline_kernelINS0_14default_configENS1_27scan_by_key_config_selectorIijEEZZNS1_16scan_by_key_implILNS1_25lookback_scan_determinismE0ELb0ES3_N6thrust23THRUST_200600_302600_NS6detail15normal_iteratorINS9_10device_ptrIiEEEENSB_INSC_IjEEEESG_jNS9_4plusIvEENS9_8equal_toIvEEjEE10hipError_tPvRmT2_T3_T4_T5_mT6_T7_P12ihipStream_tbENKUlT_T0_E_clISt17integral_constantIbLb0EES10_IbLb1EEEEDaSW_SX_EUlSW_E_NS1_11comp_targetILNS1_3genE10ELNS1_11target_archE1200ELNS1_3gpuE4ELNS1_3repE0EEENS1_30default_config_static_selectorELNS0_4arch9wavefront6targetE1EEEvT1_,"axG",@progbits,_ZN7rocprim17ROCPRIM_400000_NS6detail17trampoline_kernelINS0_14default_configENS1_27scan_by_key_config_selectorIijEEZZNS1_16scan_by_key_implILNS1_25lookback_scan_determinismE0ELb0ES3_N6thrust23THRUST_200600_302600_NS6detail15normal_iteratorINS9_10device_ptrIiEEEENSB_INSC_IjEEEESG_jNS9_4plusIvEENS9_8equal_toIvEEjEE10hipError_tPvRmT2_T3_T4_T5_mT6_T7_P12ihipStream_tbENKUlT_T0_E_clISt17integral_constantIbLb0EES10_IbLb1EEEEDaSW_SX_EUlSW_E_NS1_11comp_targetILNS1_3genE10ELNS1_11target_archE1200ELNS1_3gpuE4ELNS1_3repE0EEENS1_30default_config_static_selectorELNS0_4arch9wavefront6targetE1EEEvT1_,comdat
	.protected	_ZN7rocprim17ROCPRIM_400000_NS6detail17trampoline_kernelINS0_14default_configENS1_27scan_by_key_config_selectorIijEEZZNS1_16scan_by_key_implILNS1_25lookback_scan_determinismE0ELb0ES3_N6thrust23THRUST_200600_302600_NS6detail15normal_iteratorINS9_10device_ptrIiEEEENSB_INSC_IjEEEESG_jNS9_4plusIvEENS9_8equal_toIvEEjEE10hipError_tPvRmT2_T3_T4_T5_mT6_T7_P12ihipStream_tbENKUlT_T0_E_clISt17integral_constantIbLb0EES10_IbLb1EEEEDaSW_SX_EUlSW_E_NS1_11comp_targetILNS1_3genE10ELNS1_11target_archE1200ELNS1_3gpuE4ELNS1_3repE0EEENS1_30default_config_static_selectorELNS0_4arch9wavefront6targetE1EEEvT1_ ; -- Begin function _ZN7rocprim17ROCPRIM_400000_NS6detail17trampoline_kernelINS0_14default_configENS1_27scan_by_key_config_selectorIijEEZZNS1_16scan_by_key_implILNS1_25lookback_scan_determinismE0ELb0ES3_N6thrust23THRUST_200600_302600_NS6detail15normal_iteratorINS9_10device_ptrIiEEEENSB_INSC_IjEEEESG_jNS9_4plusIvEENS9_8equal_toIvEEjEE10hipError_tPvRmT2_T3_T4_T5_mT6_T7_P12ihipStream_tbENKUlT_T0_E_clISt17integral_constantIbLb0EES10_IbLb1EEEEDaSW_SX_EUlSW_E_NS1_11comp_targetILNS1_3genE10ELNS1_11target_archE1200ELNS1_3gpuE4ELNS1_3repE0EEENS1_30default_config_static_selectorELNS0_4arch9wavefront6targetE1EEEvT1_
	.globl	_ZN7rocprim17ROCPRIM_400000_NS6detail17trampoline_kernelINS0_14default_configENS1_27scan_by_key_config_selectorIijEEZZNS1_16scan_by_key_implILNS1_25lookback_scan_determinismE0ELb0ES3_N6thrust23THRUST_200600_302600_NS6detail15normal_iteratorINS9_10device_ptrIiEEEENSB_INSC_IjEEEESG_jNS9_4plusIvEENS9_8equal_toIvEEjEE10hipError_tPvRmT2_T3_T4_T5_mT6_T7_P12ihipStream_tbENKUlT_T0_E_clISt17integral_constantIbLb0EES10_IbLb1EEEEDaSW_SX_EUlSW_E_NS1_11comp_targetILNS1_3genE10ELNS1_11target_archE1200ELNS1_3gpuE4ELNS1_3repE0EEENS1_30default_config_static_selectorELNS0_4arch9wavefront6targetE1EEEvT1_
	.p2align	8
	.type	_ZN7rocprim17ROCPRIM_400000_NS6detail17trampoline_kernelINS0_14default_configENS1_27scan_by_key_config_selectorIijEEZZNS1_16scan_by_key_implILNS1_25lookback_scan_determinismE0ELb0ES3_N6thrust23THRUST_200600_302600_NS6detail15normal_iteratorINS9_10device_ptrIiEEEENSB_INSC_IjEEEESG_jNS9_4plusIvEENS9_8equal_toIvEEjEE10hipError_tPvRmT2_T3_T4_T5_mT6_T7_P12ihipStream_tbENKUlT_T0_E_clISt17integral_constantIbLb0EES10_IbLb1EEEEDaSW_SX_EUlSW_E_NS1_11comp_targetILNS1_3genE10ELNS1_11target_archE1200ELNS1_3gpuE4ELNS1_3repE0EEENS1_30default_config_static_selectorELNS0_4arch9wavefront6targetE1EEEvT1_,@function
_ZN7rocprim17ROCPRIM_400000_NS6detail17trampoline_kernelINS0_14default_configENS1_27scan_by_key_config_selectorIijEEZZNS1_16scan_by_key_implILNS1_25lookback_scan_determinismE0ELb0ES3_N6thrust23THRUST_200600_302600_NS6detail15normal_iteratorINS9_10device_ptrIiEEEENSB_INSC_IjEEEESG_jNS9_4plusIvEENS9_8equal_toIvEEjEE10hipError_tPvRmT2_T3_T4_T5_mT6_T7_P12ihipStream_tbENKUlT_T0_E_clISt17integral_constantIbLb0EES10_IbLb1EEEEDaSW_SX_EUlSW_E_NS1_11comp_targetILNS1_3genE10ELNS1_11target_archE1200ELNS1_3gpuE4ELNS1_3repE0EEENS1_30default_config_static_selectorELNS0_4arch9wavefront6targetE1EEEvT1_: ; @_ZN7rocprim17ROCPRIM_400000_NS6detail17trampoline_kernelINS0_14default_configENS1_27scan_by_key_config_selectorIijEEZZNS1_16scan_by_key_implILNS1_25lookback_scan_determinismE0ELb0ES3_N6thrust23THRUST_200600_302600_NS6detail15normal_iteratorINS9_10device_ptrIiEEEENSB_INSC_IjEEEESG_jNS9_4plusIvEENS9_8equal_toIvEEjEE10hipError_tPvRmT2_T3_T4_T5_mT6_T7_P12ihipStream_tbENKUlT_T0_E_clISt17integral_constantIbLb0EES10_IbLb1EEEEDaSW_SX_EUlSW_E_NS1_11comp_targetILNS1_3genE10ELNS1_11target_archE1200ELNS1_3gpuE4ELNS1_3repE0EEENS1_30default_config_static_selectorELNS0_4arch9wavefront6targetE1EEEvT1_
; %bb.0:
	.section	.rodata,"a",@progbits
	.p2align	6, 0x0
	.amdhsa_kernel _ZN7rocprim17ROCPRIM_400000_NS6detail17trampoline_kernelINS0_14default_configENS1_27scan_by_key_config_selectorIijEEZZNS1_16scan_by_key_implILNS1_25lookback_scan_determinismE0ELb0ES3_N6thrust23THRUST_200600_302600_NS6detail15normal_iteratorINS9_10device_ptrIiEEEENSB_INSC_IjEEEESG_jNS9_4plusIvEENS9_8equal_toIvEEjEE10hipError_tPvRmT2_T3_T4_T5_mT6_T7_P12ihipStream_tbENKUlT_T0_E_clISt17integral_constantIbLb0EES10_IbLb1EEEEDaSW_SX_EUlSW_E_NS1_11comp_targetILNS1_3genE10ELNS1_11target_archE1200ELNS1_3gpuE4ELNS1_3repE0EEENS1_30default_config_static_selectorELNS0_4arch9wavefront6targetE1EEEvT1_
		.amdhsa_group_segment_fixed_size 0
		.amdhsa_private_segment_fixed_size 0
		.amdhsa_kernarg_size 112
		.amdhsa_user_sgpr_count 6
		.amdhsa_user_sgpr_private_segment_buffer 1
		.amdhsa_user_sgpr_dispatch_ptr 0
		.amdhsa_user_sgpr_queue_ptr 0
		.amdhsa_user_sgpr_kernarg_segment_ptr 1
		.amdhsa_user_sgpr_dispatch_id 0
		.amdhsa_user_sgpr_flat_scratch_init 0
		.amdhsa_user_sgpr_kernarg_preload_length 0
		.amdhsa_user_sgpr_kernarg_preload_offset 0
		.amdhsa_user_sgpr_private_segment_size 0
		.amdhsa_uses_dynamic_stack 0
		.amdhsa_system_sgpr_private_segment_wavefront_offset 0
		.amdhsa_system_sgpr_workgroup_id_x 1
		.amdhsa_system_sgpr_workgroup_id_y 0
		.amdhsa_system_sgpr_workgroup_id_z 0
		.amdhsa_system_sgpr_workgroup_info 0
		.amdhsa_system_vgpr_workitem_id 0
		.amdhsa_next_free_vgpr 1
		.amdhsa_next_free_sgpr 0
		.amdhsa_accum_offset 4
		.amdhsa_reserve_vcc 0
		.amdhsa_reserve_flat_scratch 0
		.amdhsa_float_round_mode_32 0
		.amdhsa_float_round_mode_16_64 0
		.amdhsa_float_denorm_mode_32 3
		.amdhsa_float_denorm_mode_16_64 3
		.amdhsa_dx10_clamp 1
		.amdhsa_ieee_mode 1
		.amdhsa_fp16_overflow 0
		.amdhsa_tg_split 0
		.amdhsa_exception_fp_ieee_invalid_op 0
		.amdhsa_exception_fp_denorm_src 0
		.amdhsa_exception_fp_ieee_div_zero 0
		.amdhsa_exception_fp_ieee_overflow 0
		.amdhsa_exception_fp_ieee_underflow 0
		.amdhsa_exception_fp_ieee_inexact 0
		.amdhsa_exception_int_div_zero 0
	.end_amdhsa_kernel
	.section	.text._ZN7rocprim17ROCPRIM_400000_NS6detail17trampoline_kernelINS0_14default_configENS1_27scan_by_key_config_selectorIijEEZZNS1_16scan_by_key_implILNS1_25lookback_scan_determinismE0ELb0ES3_N6thrust23THRUST_200600_302600_NS6detail15normal_iteratorINS9_10device_ptrIiEEEENSB_INSC_IjEEEESG_jNS9_4plusIvEENS9_8equal_toIvEEjEE10hipError_tPvRmT2_T3_T4_T5_mT6_T7_P12ihipStream_tbENKUlT_T0_E_clISt17integral_constantIbLb0EES10_IbLb1EEEEDaSW_SX_EUlSW_E_NS1_11comp_targetILNS1_3genE10ELNS1_11target_archE1200ELNS1_3gpuE4ELNS1_3repE0EEENS1_30default_config_static_selectorELNS0_4arch9wavefront6targetE1EEEvT1_,"axG",@progbits,_ZN7rocprim17ROCPRIM_400000_NS6detail17trampoline_kernelINS0_14default_configENS1_27scan_by_key_config_selectorIijEEZZNS1_16scan_by_key_implILNS1_25lookback_scan_determinismE0ELb0ES3_N6thrust23THRUST_200600_302600_NS6detail15normal_iteratorINS9_10device_ptrIiEEEENSB_INSC_IjEEEESG_jNS9_4plusIvEENS9_8equal_toIvEEjEE10hipError_tPvRmT2_T3_T4_T5_mT6_T7_P12ihipStream_tbENKUlT_T0_E_clISt17integral_constantIbLb0EES10_IbLb1EEEEDaSW_SX_EUlSW_E_NS1_11comp_targetILNS1_3genE10ELNS1_11target_archE1200ELNS1_3gpuE4ELNS1_3repE0EEENS1_30default_config_static_selectorELNS0_4arch9wavefront6targetE1EEEvT1_,comdat
.Lfunc_end1260:
	.size	_ZN7rocprim17ROCPRIM_400000_NS6detail17trampoline_kernelINS0_14default_configENS1_27scan_by_key_config_selectorIijEEZZNS1_16scan_by_key_implILNS1_25lookback_scan_determinismE0ELb0ES3_N6thrust23THRUST_200600_302600_NS6detail15normal_iteratorINS9_10device_ptrIiEEEENSB_INSC_IjEEEESG_jNS9_4plusIvEENS9_8equal_toIvEEjEE10hipError_tPvRmT2_T3_T4_T5_mT6_T7_P12ihipStream_tbENKUlT_T0_E_clISt17integral_constantIbLb0EES10_IbLb1EEEEDaSW_SX_EUlSW_E_NS1_11comp_targetILNS1_3genE10ELNS1_11target_archE1200ELNS1_3gpuE4ELNS1_3repE0EEENS1_30default_config_static_selectorELNS0_4arch9wavefront6targetE1EEEvT1_, .Lfunc_end1260-_ZN7rocprim17ROCPRIM_400000_NS6detail17trampoline_kernelINS0_14default_configENS1_27scan_by_key_config_selectorIijEEZZNS1_16scan_by_key_implILNS1_25lookback_scan_determinismE0ELb0ES3_N6thrust23THRUST_200600_302600_NS6detail15normal_iteratorINS9_10device_ptrIiEEEENSB_INSC_IjEEEESG_jNS9_4plusIvEENS9_8equal_toIvEEjEE10hipError_tPvRmT2_T3_T4_T5_mT6_T7_P12ihipStream_tbENKUlT_T0_E_clISt17integral_constantIbLb0EES10_IbLb1EEEEDaSW_SX_EUlSW_E_NS1_11comp_targetILNS1_3genE10ELNS1_11target_archE1200ELNS1_3gpuE4ELNS1_3repE0EEENS1_30default_config_static_selectorELNS0_4arch9wavefront6targetE1EEEvT1_
                                        ; -- End function
	.section	.AMDGPU.csdata,"",@progbits
; Kernel info:
; codeLenInByte = 0
; NumSgprs: 4
; NumVgprs: 0
; NumAgprs: 0
; TotalNumVgprs: 0
; ScratchSize: 0
; MemoryBound: 0
; FloatMode: 240
; IeeeMode: 1
; LDSByteSize: 0 bytes/workgroup (compile time only)
; SGPRBlocks: 0
; VGPRBlocks: 0
; NumSGPRsForWavesPerEU: 4
; NumVGPRsForWavesPerEU: 1
; AccumOffset: 4
; Occupancy: 8
; WaveLimiterHint : 0
; COMPUTE_PGM_RSRC2:SCRATCH_EN: 0
; COMPUTE_PGM_RSRC2:USER_SGPR: 6
; COMPUTE_PGM_RSRC2:TRAP_HANDLER: 0
; COMPUTE_PGM_RSRC2:TGID_X_EN: 1
; COMPUTE_PGM_RSRC2:TGID_Y_EN: 0
; COMPUTE_PGM_RSRC2:TGID_Z_EN: 0
; COMPUTE_PGM_RSRC2:TIDIG_COMP_CNT: 0
; COMPUTE_PGM_RSRC3_GFX90A:ACCUM_OFFSET: 0
; COMPUTE_PGM_RSRC3_GFX90A:TG_SPLIT: 0
	.section	.text._ZN7rocprim17ROCPRIM_400000_NS6detail17trampoline_kernelINS0_14default_configENS1_27scan_by_key_config_selectorIijEEZZNS1_16scan_by_key_implILNS1_25lookback_scan_determinismE0ELb0ES3_N6thrust23THRUST_200600_302600_NS6detail15normal_iteratorINS9_10device_ptrIiEEEENSB_INSC_IjEEEESG_jNS9_4plusIvEENS9_8equal_toIvEEjEE10hipError_tPvRmT2_T3_T4_T5_mT6_T7_P12ihipStream_tbENKUlT_T0_E_clISt17integral_constantIbLb0EES10_IbLb1EEEEDaSW_SX_EUlSW_E_NS1_11comp_targetILNS1_3genE9ELNS1_11target_archE1100ELNS1_3gpuE3ELNS1_3repE0EEENS1_30default_config_static_selectorELNS0_4arch9wavefront6targetE1EEEvT1_,"axG",@progbits,_ZN7rocprim17ROCPRIM_400000_NS6detail17trampoline_kernelINS0_14default_configENS1_27scan_by_key_config_selectorIijEEZZNS1_16scan_by_key_implILNS1_25lookback_scan_determinismE0ELb0ES3_N6thrust23THRUST_200600_302600_NS6detail15normal_iteratorINS9_10device_ptrIiEEEENSB_INSC_IjEEEESG_jNS9_4plusIvEENS9_8equal_toIvEEjEE10hipError_tPvRmT2_T3_T4_T5_mT6_T7_P12ihipStream_tbENKUlT_T0_E_clISt17integral_constantIbLb0EES10_IbLb1EEEEDaSW_SX_EUlSW_E_NS1_11comp_targetILNS1_3genE9ELNS1_11target_archE1100ELNS1_3gpuE3ELNS1_3repE0EEENS1_30default_config_static_selectorELNS0_4arch9wavefront6targetE1EEEvT1_,comdat
	.protected	_ZN7rocprim17ROCPRIM_400000_NS6detail17trampoline_kernelINS0_14default_configENS1_27scan_by_key_config_selectorIijEEZZNS1_16scan_by_key_implILNS1_25lookback_scan_determinismE0ELb0ES3_N6thrust23THRUST_200600_302600_NS6detail15normal_iteratorINS9_10device_ptrIiEEEENSB_INSC_IjEEEESG_jNS9_4plusIvEENS9_8equal_toIvEEjEE10hipError_tPvRmT2_T3_T4_T5_mT6_T7_P12ihipStream_tbENKUlT_T0_E_clISt17integral_constantIbLb0EES10_IbLb1EEEEDaSW_SX_EUlSW_E_NS1_11comp_targetILNS1_3genE9ELNS1_11target_archE1100ELNS1_3gpuE3ELNS1_3repE0EEENS1_30default_config_static_selectorELNS0_4arch9wavefront6targetE1EEEvT1_ ; -- Begin function _ZN7rocprim17ROCPRIM_400000_NS6detail17trampoline_kernelINS0_14default_configENS1_27scan_by_key_config_selectorIijEEZZNS1_16scan_by_key_implILNS1_25lookback_scan_determinismE0ELb0ES3_N6thrust23THRUST_200600_302600_NS6detail15normal_iteratorINS9_10device_ptrIiEEEENSB_INSC_IjEEEESG_jNS9_4plusIvEENS9_8equal_toIvEEjEE10hipError_tPvRmT2_T3_T4_T5_mT6_T7_P12ihipStream_tbENKUlT_T0_E_clISt17integral_constantIbLb0EES10_IbLb1EEEEDaSW_SX_EUlSW_E_NS1_11comp_targetILNS1_3genE9ELNS1_11target_archE1100ELNS1_3gpuE3ELNS1_3repE0EEENS1_30default_config_static_selectorELNS0_4arch9wavefront6targetE1EEEvT1_
	.globl	_ZN7rocprim17ROCPRIM_400000_NS6detail17trampoline_kernelINS0_14default_configENS1_27scan_by_key_config_selectorIijEEZZNS1_16scan_by_key_implILNS1_25lookback_scan_determinismE0ELb0ES3_N6thrust23THRUST_200600_302600_NS6detail15normal_iteratorINS9_10device_ptrIiEEEENSB_INSC_IjEEEESG_jNS9_4plusIvEENS9_8equal_toIvEEjEE10hipError_tPvRmT2_T3_T4_T5_mT6_T7_P12ihipStream_tbENKUlT_T0_E_clISt17integral_constantIbLb0EES10_IbLb1EEEEDaSW_SX_EUlSW_E_NS1_11comp_targetILNS1_3genE9ELNS1_11target_archE1100ELNS1_3gpuE3ELNS1_3repE0EEENS1_30default_config_static_selectorELNS0_4arch9wavefront6targetE1EEEvT1_
	.p2align	8
	.type	_ZN7rocprim17ROCPRIM_400000_NS6detail17trampoline_kernelINS0_14default_configENS1_27scan_by_key_config_selectorIijEEZZNS1_16scan_by_key_implILNS1_25lookback_scan_determinismE0ELb0ES3_N6thrust23THRUST_200600_302600_NS6detail15normal_iteratorINS9_10device_ptrIiEEEENSB_INSC_IjEEEESG_jNS9_4plusIvEENS9_8equal_toIvEEjEE10hipError_tPvRmT2_T3_T4_T5_mT6_T7_P12ihipStream_tbENKUlT_T0_E_clISt17integral_constantIbLb0EES10_IbLb1EEEEDaSW_SX_EUlSW_E_NS1_11comp_targetILNS1_3genE9ELNS1_11target_archE1100ELNS1_3gpuE3ELNS1_3repE0EEENS1_30default_config_static_selectorELNS0_4arch9wavefront6targetE1EEEvT1_,@function
_ZN7rocprim17ROCPRIM_400000_NS6detail17trampoline_kernelINS0_14default_configENS1_27scan_by_key_config_selectorIijEEZZNS1_16scan_by_key_implILNS1_25lookback_scan_determinismE0ELb0ES3_N6thrust23THRUST_200600_302600_NS6detail15normal_iteratorINS9_10device_ptrIiEEEENSB_INSC_IjEEEESG_jNS9_4plusIvEENS9_8equal_toIvEEjEE10hipError_tPvRmT2_T3_T4_T5_mT6_T7_P12ihipStream_tbENKUlT_T0_E_clISt17integral_constantIbLb0EES10_IbLb1EEEEDaSW_SX_EUlSW_E_NS1_11comp_targetILNS1_3genE9ELNS1_11target_archE1100ELNS1_3gpuE3ELNS1_3repE0EEENS1_30default_config_static_selectorELNS0_4arch9wavefront6targetE1EEEvT1_: ; @_ZN7rocprim17ROCPRIM_400000_NS6detail17trampoline_kernelINS0_14default_configENS1_27scan_by_key_config_selectorIijEEZZNS1_16scan_by_key_implILNS1_25lookback_scan_determinismE0ELb0ES3_N6thrust23THRUST_200600_302600_NS6detail15normal_iteratorINS9_10device_ptrIiEEEENSB_INSC_IjEEEESG_jNS9_4plusIvEENS9_8equal_toIvEEjEE10hipError_tPvRmT2_T3_T4_T5_mT6_T7_P12ihipStream_tbENKUlT_T0_E_clISt17integral_constantIbLb0EES10_IbLb1EEEEDaSW_SX_EUlSW_E_NS1_11comp_targetILNS1_3genE9ELNS1_11target_archE1100ELNS1_3gpuE3ELNS1_3repE0EEENS1_30default_config_static_selectorELNS0_4arch9wavefront6targetE1EEEvT1_
; %bb.0:
	.section	.rodata,"a",@progbits
	.p2align	6, 0x0
	.amdhsa_kernel _ZN7rocprim17ROCPRIM_400000_NS6detail17trampoline_kernelINS0_14default_configENS1_27scan_by_key_config_selectorIijEEZZNS1_16scan_by_key_implILNS1_25lookback_scan_determinismE0ELb0ES3_N6thrust23THRUST_200600_302600_NS6detail15normal_iteratorINS9_10device_ptrIiEEEENSB_INSC_IjEEEESG_jNS9_4plusIvEENS9_8equal_toIvEEjEE10hipError_tPvRmT2_T3_T4_T5_mT6_T7_P12ihipStream_tbENKUlT_T0_E_clISt17integral_constantIbLb0EES10_IbLb1EEEEDaSW_SX_EUlSW_E_NS1_11comp_targetILNS1_3genE9ELNS1_11target_archE1100ELNS1_3gpuE3ELNS1_3repE0EEENS1_30default_config_static_selectorELNS0_4arch9wavefront6targetE1EEEvT1_
		.amdhsa_group_segment_fixed_size 0
		.amdhsa_private_segment_fixed_size 0
		.amdhsa_kernarg_size 112
		.amdhsa_user_sgpr_count 6
		.amdhsa_user_sgpr_private_segment_buffer 1
		.amdhsa_user_sgpr_dispatch_ptr 0
		.amdhsa_user_sgpr_queue_ptr 0
		.amdhsa_user_sgpr_kernarg_segment_ptr 1
		.amdhsa_user_sgpr_dispatch_id 0
		.amdhsa_user_sgpr_flat_scratch_init 0
		.amdhsa_user_sgpr_kernarg_preload_length 0
		.amdhsa_user_sgpr_kernarg_preload_offset 0
		.amdhsa_user_sgpr_private_segment_size 0
		.amdhsa_uses_dynamic_stack 0
		.amdhsa_system_sgpr_private_segment_wavefront_offset 0
		.amdhsa_system_sgpr_workgroup_id_x 1
		.amdhsa_system_sgpr_workgroup_id_y 0
		.amdhsa_system_sgpr_workgroup_id_z 0
		.amdhsa_system_sgpr_workgroup_info 0
		.amdhsa_system_vgpr_workitem_id 0
		.amdhsa_next_free_vgpr 1
		.amdhsa_next_free_sgpr 0
		.amdhsa_accum_offset 4
		.amdhsa_reserve_vcc 0
		.amdhsa_reserve_flat_scratch 0
		.amdhsa_float_round_mode_32 0
		.amdhsa_float_round_mode_16_64 0
		.amdhsa_float_denorm_mode_32 3
		.amdhsa_float_denorm_mode_16_64 3
		.amdhsa_dx10_clamp 1
		.amdhsa_ieee_mode 1
		.amdhsa_fp16_overflow 0
		.amdhsa_tg_split 0
		.amdhsa_exception_fp_ieee_invalid_op 0
		.amdhsa_exception_fp_denorm_src 0
		.amdhsa_exception_fp_ieee_div_zero 0
		.amdhsa_exception_fp_ieee_overflow 0
		.amdhsa_exception_fp_ieee_underflow 0
		.amdhsa_exception_fp_ieee_inexact 0
		.amdhsa_exception_int_div_zero 0
	.end_amdhsa_kernel
	.section	.text._ZN7rocprim17ROCPRIM_400000_NS6detail17trampoline_kernelINS0_14default_configENS1_27scan_by_key_config_selectorIijEEZZNS1_16scan_by_key_implILNS1_25lookback_scan_determinismE0ELb0ES3_N6thrust23THRUST_200600_302600_NS6detail15normal_iteratorINS9_10device_ptrIiEEEENSB_INSC_IjEEEESG_jNS9_4plusIvEENS9_8equal_toIvEEjEE10hipError_tPvRmT2_T3_T4_T5_mT6_T7_P12ihipStream_tbENKUlT_T0_E_clISt17integral_constantIbLb0EES10_IbLb1EEEEDaSW_SX_EUlSW_E_NS1_11comp_targetILNS1_3genE9ELNS1_11target_archE1100ELNS1_3gpuE3ELNS1_3repE0EEENS1_30default_config_static_selectorELNS0_4arch9wavefront6targetE1EEEvT1_,"axG",@progbits,_ZN7rocprim17ROCPRIM_400000_NS6detail17trampoline_kernelINS0_14default_configENS1_27scan_by_key_config_selectorIijEEZZNS1_16scan_by_key_implILNS1_25lookback_scan_determinismE0ELb0ES3_N6thrust23THRUST_200600_302600_NS6detail15normal_iteratorINS9_10device_ptrIiEEEENSB_INSC_IjEEEESG_jNS9_4plusIvEENS9_8equal_toIvEEjEE10hipError_tPvRmT2_T3_T4_T5_mT6_T7_P12ihipStream_tbENKUlT_T0_E_clISt17integral_constantIbLb0EES10_IbLb1EEEEDaSW_SX_EUlSW_E_NS1_11comp_targetILNS1_3genE9ELNS1_11target_archE1100ELNS1_3gpuE3ELNS1_3repE0EEENS1_30default_config_static_selectorELNS0_4arch9wavefront6targetE1EEEvT1_,comdat
.Lfunc_end1261:
	.size	_ZN7rocprim17ROCPRIM_400000_NS6detail17trampoline_kernelINS0_14default_configENS1_27scan_by_key_config_selectorIijEEZZNS1_16scan_by_key_implILNS1_25lookback_scan_determinismE0ELb0ES3_N6thrust23THRUST_200600_302600_NS6detail15normal_iteratorINS9_10device_ptrIiEEEENSB_INSC_IjEEEESG_jNS9_4plusIvEENS9_8equal_toIvEEjEE10hipError_tPvRmT2_T3_T4_T5_mT6_T7_P12ihipStream_tbENKUlT_T0_E_clISt17integral_constantIbLb0EES10_IbLb1EEEEDaSW_SX_EUlSW_E_NS1_11comp_targetILNS1_3genE9ELNS1_11target_archE1100ELNS1_3gpuE3ELNS1_3repE0EEENS1_30default_config_static_selectorELNS0_4arch9wavefront6targetE1EEEvT1_, .Lfunc_end1261-_ZN7rocprim17ROCPRIM_400000_NS6detail17trampoline_kernelINS0_14default_configENS1_27scan_by_key_config_selectorIijEEZZNS1_16scan_by_key_implILNS1_25lookback_scan_determinismE0ELb0ES3_N6thrust23THRUST_200600_302600_NS6detail15normal_iteratorINS9_10device_ptrIiEEEENSB_INSC_IjEEEESG_jNS9_4plusIvEENS9_8equal_toIvEEjEE10hipError_tPvRmT2_T3_T4_T5_mT6_T7_P12ihipStream_tbENKUlT_T0_E_clISt17integral_constantIbLb0EES10_IbLb1EEEEDaSW_SX_EUlSW_E_NS1_11comp_targetILNS1_3genE9ELNS1_11target_archE1100ELNS1_3gpuE3ELNS1_3repE0EEENS1_30default_config_static_selectorELNS0_4arch9wavefront6targetE1EEEvT1_
                                        ; -- End function
	.section	.AMDGPU.csdata,"",@progbits
; Kernel info:
; codeLenInByte = 0
; NumSgprs: 4
; NumVgprs: 0
; NumAgprs: 0
; TotalNumVgprs: 0
; ScratchSize: 0
; MemoryBound: 0
; FloatMode: 240
; IeeeMode: 1
; LDSByteSize: 0 bytes/workgroup (compile time only)
; SGPRBlocks: 0
; VGPRBlocks: 0
; NumSGPRsForWavesPerEU: 4
; NumVGPRsForWavesPerEU: 1
; AccumOffset: 4
; Occupancy: 8
; WaveLimiterHint : 0
; COMPUTE_PGM_RSRC2:SCRATCH_EN: 0
; COMPUTE_PGM_RSRC2:USER_SGPR: 6
; COMPUTE_PGM_RSRC2:TRAP_HANDLER: 0
; COMPUTE_PGM_RSRC2:TGID_X_EN: 1
; COMPUTE_PGM_RSRC2:TGID_Y_EN: 0
; COMPUTE_PGM_RSRC2:TGID_Z_EN: 0
; COMPUTE_PGM_RSRC2:TIDIG_COMP_CNT: 0
; COMPUTE_PGM_RSRC3_GFX90A:ACCUM_OFFSET: 0
; COMPUTE_PGM_RSRC3_GFX90A:TG_SPLIT: 0
	.section	.text._ZN7rocprim17ROCPRIM_400000_NS6detail17trampoline_kernelINS0_14default_configENS1_27scan_by_key_config_selectorIijEEZZNS1_16scan_by_key_implILNS1_25lookback_scan_determinismE0ELb0ES3_N6thrust23THRUST_200600_302600_NS6detail15normal_iteratorINS9_10device_ptrIiEEEENSB_INSC_IjEEEESG_jNS9_4plusIvEENS9_8equal_toIvEEjEE10hipError_tPvRmT2_T3_T4_T5_mT6_T7_P12ihipStream_tbENKUlT_T0_E_clISt17integral_constantIbLb0EES10_IbLb1EEEEDaSW_SX_EUlSW_E_NS1_11comp_targetILNS1_3genE8ELNS1_11target_archE1030ELNS1_3gpuE2ELNS1_3repE0EEENS1_30default_config_static_selectorELNS0_4arch9wavefront6targetE1EEEvT1_,"axG",@progbits,_ZN7rocprim17ROCPRIM_400000_NS6detail17trampoline_kernelINS0_14default_configENS1_27scan_by_key_config_selectorIijEEZZNS1_16scan_by_key_implILNS1_25lookback_scan_determinismE0ELb0ES3_N6thrust23THRUST_200600_302600_NS6detail15normal_iteratorINS9_10device_ptrIiEEEENSB_INSC_IjEEEESG_jNS9_4plusIvEENS9_8equal_toIvEEjEE10hipError_tPvRmT2_T3_T4_T5_mT6_T7_P12ihipStream_tbENKUlT_T0_E_clISt17integral_constantIbLb0EES10_IbLb1EEEEDaSW_SX_EUlSW_E_NS1_11comp_targetILNS1_3genE8ELNS1_11target_archE1030ELNS1_3gpuE2ELNS1_3repE0EEENS1_30default_config_static_selectorELNS0_4arch9wavefront6targetE1EEEvT1_,comdat
	.protected	_ZN7rocprim17ROCPRIM_400000_NS6detail17trampoline_kernelINS0_14default_configENS1_27scan_by_key_config_selectorIijEEZZNS1_16scan_by_key_implILNS1_25lookback_scan_determinismE0ELb0ES3_N6thrust23THRUST_200600_302600_NS6detail15normal_iteratorINS9_10device_ptrIiEEEENSB_INSC_IjEEEESG_jNS9_4plusIvEENS9_8equal_toIvEEjEE10hipError_tPvRmT2_T3_T4_T5_mT6_T7_P12ihipStream_tbENKUlT_T0_E_clISt17integral_constantIbLb0EES10_IbLb1EEEEDaSW_SX_EUlSW_E_NS1_11comp_targetILNS1_3genE8ELNS1_11target_archE1030ELNS1_3gpuE2ELNS1_3repE0EEENS1_30default_config_static_selectorELNS0_4arch9wavefront6targetE1EEEvT1_ ; -- Begin function _ZN7rocprim17ROCPRIM_400000_NS6detail17trampoline_kernelINS0_14default_configENS1_27scan_by_key_config_selectorIijEEZZNS1_16scan_by_key_implILNS1_25lookback_scan_determinismE0ELb0ES3_N6thrust23THRUST_200600_302600_NS6detail15normal_iteratorINS9_10device_ptrIiEEEENSB_INSC_IjEEEESG_jNS9_4plusIvEENS9_8equal_toIvEEjEE10hipError_tPvRmT2_T3_T4_T5_mT6_T7_P12ihipStream_tbENKUlT_T0_E_clISt17integral_constantIbLb0EES10_IbLb1EEEEDaSW_SX_EUlSW_E_NS1_11comp_targetILNS1_3genE8ELNS1_11target_archE1030ELNS1_3gpuE2ELNS1_3repE0EEENS1_30default_config_static_selectorELNS0_4arch9wavefront6targetE1EEEvT1_
	.globl	_ZN7rocprim17ROCPRIM_400000_NS6detail17trampoline_kernelINS0_14default_configENS1_27scan_by_key_config_selectorIijEEZZNS1_16scan_by_key_implILNS1_25lookback_scan_determinismE0ELb0ES3_N6thrust23THRUST_200600_302600_NS6detail15normal_iteratorINS9_10device_ptrIiEEEENSB_INSC_IjEEEESG_jNS9_4plusIvEENS9_8equal_toIvEEjEE10hipError_tPvRmT2_T3_T4_T5_mT6_T7_P12ihipStream_tbENKUlT_T0_E_clISt17integral_constantIbLb0EES10_IbLb1EEEEDaSW_SX_EUlSW_E_NS1_11comp_targetILNS1_3genE8ELNS1_11target_archE1030ELNS1_3gpuE2ELNS1_3repE0EEENS1_30default_config_static_selectorELNS0_4arch9wavefront6targetE1EEEvT1_
	.p2align	8
	.type	_ZN7rocprim17ROCPRIM_400000_NS6detail17trampoline_kernelINS0_14default_configENS1_27scan_by_key_config_selectorIijEEZZNS1_16scan_by_key_implILNS1_25lookback_scan_determinismE0ELb0ES3_N6thrust23THRUST_200600_302600_NS6detail15normal_iteratorINS9_10device_ptrIiEEEENSB_INSC_IjEEEESG_jNS9_4plusIvEENS9_8equal_toIvEEjEE10hipError_tPvRmT2_T3_T4_T5_mT6_T7_P12ihipStream_tbENKUlT_T0_E_clISt17integral_constantIbLb0EES10_IbLb1EEEEDaSW_SX_EUlSW_E_NS1_11comp_targetILNS1_3genE8ELNS1_11target_archE1030ELNS1_3gpuE2ELNS1_3repE0EEENS1_30default_config_static_selectorELNS0_4arch9wavefront6targetE1EEEvT1_,@function
_ZN7rocprim17ROCPRIM_400000_NS6detail17trampoline_kernelINS0_14default_configENS1_27scan_by_key_config_selectorIijEEZZNS1_16scan_by_key_implILNS1_25lookback_scan_determinismE0ELb0ES3_N6thrust23THRUST_200600_302600_NS6detail15normal_iteratorINS9_10device_ptrIiEEEENSB_INSC_IjEEEESG_jNS9_4plusIvEENS9_8equal_toIvEEjEE10hipError_tPvRmT2_T3_T4_T5_mT6_T7_P12ihipStream_tbENKUlT_T0_E_clISt17integral_constantIbLb0EES10_IbLb1EEEEDaSW_SX_EUlSW_E_NS1_11comp_targetILNS1_3genE8ELNS1_11target_archE1030ELNS1_3gpuE2ELNS1_3repE0EEENS1_30default_config_static_selectorELNS0_4arch9wavefront6targetE1EEEvT1_: ; @_ZN7rocprim17ROCPRIM_400000_NS6detail17trampoline_kernelINS0_14default_configENS1_27scan_by_key_config_selectorIijEEZZNS1_16scan_by_key_implILNS1_25lookback_scan_determinismE0ELb0ES3_N6thrust23THRUST_200600_302600_NS6detail15normal_iteratorINS9_10device_ptrIiEEEENSB_INSC_IjEEEESG_jNS9_4plusIvEENS9_8equal_toIvEEjEE10hipError_tPvRmT2_T3_T4_T5_mT6_T7_P12ihipStream_tbENKUlT_T0_E_clISt17integral_constantIbLb0EES10_IbLb1EEEEDaSW_SX_EUlSW_E_NS1_11comp_targetILNS1_3genE8ELNS1_11target_archE1030ELNS1_3gpuE2ELNS1_3repE0EEENS1_30default_config_static_selectorELNS0_4arch9wavefront6targetE1EEEvT1_
; %bb.0:
	.section	.rodata,"a",@progbits
	.p2align	6, 0x0
	.amdhsa_kernel _ZN7rocprim17ROCPRIM_400000_NS6detail17trampoline_kernelINS0_14default_configENS1_27scan_by_key_config_selectorIijEEZZNS1_16scan_by_key_implILNS1_25lookback_scan_determinismE0ELb0ES3_N6thrust23THRUST_200600_302600_NS6detail15normal_iteratorINS9_10device_ptrIiEEEENSB_INSC_IjEEEESG_jNS9_4plusIvEENS9_8equal_toIvEEjEE10hipError_tPvRmT2_T3_T4_T5_mT6_T7_P12ihipStream_tbENKUlT_T0_E_clISt17integral_constantIbLb0EES10_IbLb1EEEEDaSW_SX_EUlSW_E_NS1_11comp_targetILNS1_3genE8ELNS1_11target_archE1030ELNS1_3gpuE2ELNS1_3repE0EEENS1_30default_config_static_selectorELNS0_4arch9wavefront6targetE1EEEvT1_
		.amdhsa_group_segment_fixed_size 0
		.amdhsa_private_segment_fixed_size 0
		.amdhsa_kernarg_size 112
		.amdhsa_user_sgpr_count 6
		.amdhsa_user_sgpr_private_segment_buffer 1
		.amdhsa_user_sgpr_dispatch_ptr 0
		.amdhsa_user_sgpr_queue_ptr 0
		.amdhsa_user_sgpr_kernarg_segment_ptr 1
		.amdhsa_user_sgpr_dispatch_id 0
		.amdhsa_user_sgpr_flat_scratch_init 0
		.amdhsa_user_sgpr_kernarg_preload_length 0
		.amdhsa_user_sgpr_kernarg_preload_offset 0
		.amdhsa_user_sgpr_private_segment_size 0
		.amdhsa_uses_dynamic_stack 0
		.amdhsa_system_sgpr_private_segment_wavefront_offset 0
		.amdhsa_system_sgpr_workgroup_id_x 1
		.amdhsa_system_sgpr_workgroup_id_y 0
		.amdhsa_system_sgpr_workgroup_id_z 0
		.amdhsa_system_sgpr_workgroup_info 0
		.amdhsa_system_vgpr_workitem_id 0
		.amdhsa_next_free_vgpr 1
		.amdhsa_next_free_sgpr 0
		.amdhsa_accum_offset 4
		.amdhsa_reserve_vcc 0
		.amdhsa_reserve_flat_scratch 0
		.amdhsa_float_round_mode_32 0
		.amdhsa_float_round_mode_16_64 0
		.amdhsa_float_denorm_mode_32 3
		.amdhsa_float_denorm_mode_16_64 3
		.amdhsa_dx10_clamp 1
		.amdhsa_ieee_mode 1
		.amdhsa_fp16_overflow 0
		.amdhsa_tg_split 0
		.amdhsa_exception_fp_ieee_invalid_op 0
		.amdhsa_exception_fp_denorm_src 0
		.amdhsa_exception_fp_ieee_div_zero 0
		.amdhsa_exception_fp_ieee_overflow 0
		.amdhsa_exception_fp_ieee_underflow 0
		.amdhsa_exception_fp_ieee_inexact 0
		.amdhsa_exception_int_div_zero 0
	.end_amdhsa_kernel
	.section	.text._ZN7rocprim17ROCPRIM_400000_NS6detail17trampoline_kernelINS0_14default_configENS1_27scan_by_key_config_selectorIijEEZZNS1_16scan_by_key_implILNS1_25lookback_scan_determinismE0ELb0ES3_N6thrust23THRUST_200600_302600_NS6detail15normal_iteratorINS9_10device_ptrIiEEEENSB_INSC_IjEEEESG_jNS9_4plusIvEENS9_8equal_toIvEEjEE10hipError_tPvRmT2_T3_T4_T5_mT6_T7_P12ihipStream_tbENKUlT_T0_E_clISt17integral_constantIbLb0EES10_IbLb1EEEEDaSW_SX_EUlSW_E_NS1_11comp_targetILNS1_3genE8ELNS1_11target_archE1030ELNS1_3gpuE2ELNS1_3repE0EEENS1_30default_config_static_selectorELNS0_4arch9wavefront6targetE1EEEvT1_,"axG",@progbits,_ZN7rocprim17ROCPRIM_400000_NS6detail17trampoline_kernelINS0_14default_configENS1_27scan_by_key_config_selectorIijEEZZNS1_16scan_by_key_implILNS1_25lookback_scan_determinismE0ELb0ES3_N6thrust23THRUST_200600_302600_NS6detail15normal_iteratorINS9_10device_ptrIiEEEENSB_INSC_IjEEEESG_jNS9_4plusIvEENS9_8equal_toIvEEjEE10hipError_tPvRmT2_T3_T4_T5_mT6_T7_P12ihipStream_tbENKUlT_T0_E_clISt17integral_constantIbLb0EES10_IbLb1EEEEDaSW_SX_EUlSW_E_NS1_11comp_targetILNS1_3genE8ELNS1_11target_archE1030ELNS1_3gpuE2ELNS1_3repE0EEENS1_30default_config_static_selectorELNS0_4arch9wavefront6targetE1EEEvT1_,comdat
.Lfunc_end1262:
	.size	_ZN7rocprim17ROCPRIM_400000_NS6detail17trampoline_kernelINS0_14default_configENS1_27scan_by_key_config_selectorIijEEZZNS1_16scan_by_key_implILNS1_25lookback_scan_determinismE0ELb0ES3_N6thrust23THRUST_200600_302600_NS6detail15normal_iteratorINS9_10device_ptrIiEEEENSB_INSC_IjEEEESG_jNS9_4plusIvEENS9_8equal_toIvEEjEE10hipError_tPvRmT2_T3_T4_T5_mT6_T7_P12ihipStream_tbENKUlT_T0_E_clISt17integral_constantIbLb0EES10_IbLb1EEEEDaSW_SX_EUlSW_E_NS1_11comp_targetILNS1_3genE8ELNS1_11target_archE1030ELNS1_3gpuE2ELNS1_3repE0EEENS1_30default_config_static_selectorELNS0_4arch9wavefront6targetE1EEEvT1_, .Lfunc_end1262-_ZN7rocprim17ROCPRIM_400000_NS6detail17trampoline_kernelINS0_14default_configENS1_27scan_by_key_config_selectorIijEEZZNS1_16scan_by_key_implILNS1_25lookback_scan_determinismE0ELb0ES3_N6thrust23THRUST_200600_302600_NS6detail15normal_iteratorINS9_10device_ptrIiEEEENSB_INSC_IjEEEESG_jNS9_4plusIvEENS9_8equal_toIvEEjEE10hipError_tPvRmT2_T3_T4_T5_mT6_T7_P12ihipStream_tbENKUlT_T0_E_clISt17integral_constantIbLb0EES10_IbLb1EEEEDaSW_SX_EUlSW_E_NS1_11comp_targetILNS1_3genE8ELNS1_11target_archE1030ELNS1_3gpuE2ELNS1_3repE0EEENS1_30default_config_static_selectorELNS0_4arch9wavefront6targetE1EEEvT1_
                                        ; -- End function
	.section	.AMDGPU.csdata,"",@progbits
; Kernel info:
; codeLenInByte = 0
; NumSgprs: 4
; NumVgprs: 0
; NumAgprs: 0
; TotalNumVgprs: 0
; ScratchSize: 0
; MemoryBound: 0
; FloatMode: 240
; IeeeMode: 1
; LDSByteSize: 0 bytes/workgroup (compile time only)
; SGPRBlocks: 0
; VGPRBlocks: 0
; NumSGPRsForWavesPerEU: 4
; NumVGPRsForWavesPerEU: 1
; AccumOffset: 4
; Occupancy: 8
; WaveLimiterHint : 0
; COMPUTE_PGM_RSRC2:SCRATCH_EN: 0
; COMPUTE_PGM_RSRC2:USER_SGPR: 6
; COMPUTE_PGM_RSRC2:TRAP_HANDLER: 0
; COMPUTE_PGM_RSRC2:TGID_X_EN: 1
; COMPUTE_PGM_RSRC2:TGID_Y_EN: 0
; COMPUTE_PGM_RSRC2:TGID_Z_EN: 0
; COMPUTE_PGM_RSRC2:TIDIG_COMP_CNT: 0
; COMPUTE_PGM_RSRC3_GFX90A:ACCUM_OFFSET: 0
; COMPUTE_PGM_RSRC3_GFX90A:TG_SPLIT: 0
	.section	.text._ZN6thrust23THRUST_200600_302600_NS11hip_rocprim14__parallel_for6kernelILj256ENS1_11__transform17unary_transform_fINS0_7pointerIiNS1_3tagENS0_11use_defaultES8_EENS0_10device_ptrItEENS4_14no_stencil_tagENS0_8identityIiEENS4_21always_true_predicateEEElLj1EEEvT0_T1_SI_,"axG",@progbits,_ZN6thrust23THRUST_200600_302600_NS11hip_rocprim14__parallel_for6kernelILj256ENS1_11__transform17unary_transform_fINS0_7pointerIiNS1_3tagENS0_11use_defaultES8_EENS0_10device_ptrItEENS4_14no_stencil_tagENS0_8identityIiEENS4_21always_true_predicateEEElLj1EEEvT0_T1_SI_,comdat
	.protected	_ZN6thrust23THRUST_200600_302600_NS11hip_rocprim14__parallel_for6kernelILj256ENS1_11__transform17unary_transform_fINS0_7pointerIiNS1_3tagENS0_11use_defaultES8_EENS0_10device_ptrItEENS4_14no_stencil_tagENS0_8identityIiEENS4_21always_true_predicateEEElLj1EEEvT0_T1_SI_ ; -- Begin function _ZN6thrust23THRUST_200600_302600_NS11hip_rocprim14__parallel_for6kernelILj256ENS1_11__transform17unary_transform_fINS0_7pointerIiNS1_3tagENS0_11use_defaultES8_EENS0_10device_ptrItEENS4_14no_stencil_tagENS0_8identityIiEENS4_21always_true_predicateEEElLj1EEEvT0_T1_SI_
	.globl	_ZN6thrust23THRUST_200600_302600_NS11hip_rocprim14__parallel_for6kernelILj256ENS1_11__transform17unary_transform_fINS0_7pointerIiNS1_3tagENS0_11use_defaultES8_EENS0_10device_ptrItEENS4_14no_stencil_tagENS0_8identityIiEENS4_21always_true_predicateEEElLj1EEEvT0_T1_SI_
	.p2align	8
	.type	_ZN6thrust23THRUST_200600_302600_NS11hip_rocprim14__parallel_for6kernelILj256ENS1_11__transform17unary_transform_fINS0_7pointerIiNS1_3tagENS0_11use_defaultES8_EENS0_10device_ptrItEENS4_14no_stencil_tagENS0_8identityIiEENS4_21always_true_predicateEEElLj1EEEvT0_T1_SI_,@function
_ZN6thrust23THRUST_200600_302600_NS11hip_rocprim14__parallel_for6kernelILj256ENS1_11__transform17unary_transform_fINS0_7pointerIiNS1_3tagENS0_11use_defaultES8_EENS0_10device_ptrItEENS4_14no_stencil_tagENS0_8identityIiEENS4_21always_true_predicateEEElLj1EEEvT0_T1_SI_: ; @_ZN6thrust23THRUST_200600_302600_NS11hip_rocprim14__parallel_for6kernelILj256ENS1_11__transform17unary_transform_fINS0_7pointerIiNS1_3tagENS0_11use_defaultES8_EENS0_10device_ptrItEENS4_14no_stencil_tagENS0_8identityIiEENS4_21always_true_predicateEEElLj1EEEvT0_T1_SI_
; %bb.0:
	s_load_dwordx4 s[8:11], s[4:5], 0x18
	s_load_dwordx4 s[0:3], s[4:5], 0x0
	s_lshl_b32 s4, s6, 8
	v_mov_b32_e32 v2, 0x100
	v_mov_b32_e32 v3, 0
	s_waitcnt lgkmcnt(0)
	s_add_u32 s6, s4, s10
	s_addc_u32 s7, 0, s11
	s_sub_u32 s4, s8, s6
	s_subb_u32 s5, s9, s7
	v_cmp_lt_i64_e32 vcc, s[4:5], v[2:3]
	s_and_b64 s[8:9], vcc, exec
	s_cselect_b32 s8, s4, 0x100
	s_cmpk_lg_i32 s8, 0x100
	s_mov_b64 s[4:5], -1
	s_cbranch_scc1 .LBB1263_3
; %bb.1:
	s_andn2_b64 vcc, exec, s[4:5]
	s_cbranch_vccz .LBB1263_6
.LBB1263_2:
	s_endpgm
.LBB1263_3:
	v_cmp_gt_u32_e32 vcc, s8, v0
	s_and_saveexec_b64 s[4:5], vcc
	s_cbranch_execz .LBB1263_5
; %bb.4:
	v_mov_b32_e32 v1, s7
	v_add_co_u32_e32 v2, vcc, s6, v0
	v_addc_co_u32_e32 v3, vcc, 0, v1, vcc
	v_lshlrev_b64 v[4:5], 2, v[2:3]
	v_mov_b32_e32 v1, s1
	v_add_co_u32_e32 v4, vcc, s0, v4
	v_addc_co_u32_e32 v5, vcc, v1, v5, vcc
	flat_load_dword v1, v[4:5]
	v_lshlrev_b64 v[2:3], 1, v[2:3]
	v_mov_b32_e32 v4, s3
	v_add_co_u32_e32 v2, vcc, s2, v2
	v_addc_co_u32_e32 v3, vcc, v4, v3, vcc
	s_waitcnt vmcnt(0) lgkmcnt(0)
	flat_store_short v[2:3], v1
.LBB1263_5:
	s_or_b64 exec, exec, s[4:5]
	s_cbranch_execnz .LBB1263_2
.LBB1263_6:
	v_mov_b32_e32 v1, s7
	v_add_co_u32_e32 v0, vcc, s6, v0
	v_addc_co_u32_e32 v1, vcc, 0, v1, vcc
	v_lshlrev_b64 v[2:3], 2, v[0:1]
	v_mov_b32_e32 v4, s1
	v_add_co_u32_e32 v2, vcc, s0, v2
	v_addc_co_u32_e32 v3, vcc, v4, v3, vcc
	flat_load_dword v2, v[2:3]
	v_lshlrev_b64 v[0:1], 1, v[0:1]
	v_mov_b32_e32 v3, s3
	v_add_co_u32_e32 v0, vcc, s2, v0
	v_addc_co_u32_e32 v1, vcc, v3, v1, vcc
	s_waitcnt vmcnt(0) lgkmcnt(0)
	flat_store_short v[0:1], v2
	s_endpgm
	.section	.rodata,"a",@progbits
	.p2align	6, 0x0
	.amdhsa_kernel _ZN6thrust23THRUST_200600_302600_NS11hip_rocprim14__parallel_for6kernelILj256ENS1_11__transform17unary_transform_fINS0_7pointerIiNS1_3tagENS0_11use_defaultES8_EENS0_10device_ptrItEENS4_14no_stencil_tagENS0_8identityIiEENS4_21always_true_predicateEEElLj1EEEvT0_T1_SI_
		.amdhsa_group_segment_fixed_size 0
		.amdhsa_private_segment_fixed_size 0
		.amdhsa_kernarg_size 40
		.amdhsa_user_sgpr_count 6
		.amdhsa_user_sgpr_private_segment_buffer 1
		.amdhsa_user_sgpr_dispatch_ptr 0
		.amdhsa_user_sgpr_queue_ptr 0
		.amdhsa_user_sgpr_kernarg_segment_ptr 1
		.amdhsa_user_sgpr_dispatch_id 0
		.amdhsa_user_sgpr_flat_scratch_init 0
		.amdhsa_user_sgpr_kernarg_preload_length 0
		.amdhsa_user_sgpr_kernarg_preload_offset 0
		.amdhsa_user_sgpr_private_segment_size 0
		.amdhsa_uses_dynamic_stack 0
		.amdhsa_system_sgpr_private_segment_wavefront_offset 0
		.amdhsa_system_sgpr_workgroup_id_x 1
		.amdhsa_system_sgpr_workgroup_id_y 0
		.amdhsa_system_sgpr_workgroup_id_z 0
		.amdhsa_system_sgpr_workgroup_info 0
		.amdhsa_system_vgpr_workitem_id 0
		.amdhsa_next_free_vgpr 6
		.amdhsa_next_free_sgpr 12
		.amdhsa_accum_offset 8
		.amdhsa_reserve_vcc 1
		.amdhsa_reserve_flat_scratch 0
		.amdhsa_float_round_mode_32 0
		.amdhsa_float_round_mode_16_64 0
		.amdhsa_float_denorm_mode_32 3
		.amdhsa_float_denorm_mode_16_64 3
		.amdhsa_dx10_clamp 1
		.amdhsa_ieee_mode 1
		.amdhsa_fp16_overflow 0
		.amdhsa_tg_split 0
		.amdhsa_exception_fp_ieee_invalid_op 0
		.amdhsa_exception_fp_denorm_src 0
		.amdhsa_exception_fp_ieee_div_zero 0
		.amdhsa_exception_fp_ieee_overflow 0
		.amdhsa_exception_fp_ieee_underflow 0
		.amdhsa_exception_fp_ieee_inexact 0
		.amdhsa_exception_int_div_zero 0
	.end_amdhsa_kernel
	.section	.text._ZN6thrust23THRUST_200600_302600_NS11hip_rocprim14__parallel_for6kernelILj256ENS1_11__transform17unary_transform_fINS0_7pointerIiNS1_3tagENS0_11use_defaultES8_EENS0_10device_ptrItEENS4_14no_stencil_tagENS0_8identityIiEENS4_21always_true_predicateEEElLj1EEEvT0_T1_SI_,"axG",@progbits,_ZN6thrust23THRUST_200600_302600_NS11hip_rocprim14__parallel_for6kernelILj256ENS1_11__transform17unary_transform_fINS0_7pointerIiNS1_3tagENS0_11use_defaultES8_EENS0_10device_ptrItEENS4_14no_stencil_tagENS0_8identityIiEENS4_21always_true_predicateEEElLj1EEEvT0_T1_SI_,comdat
.Lfunc_end1263:
	.size	_ZN6thrust23THRUST_200600_302600_NS11hip_rocprim14__parallel_for6kernelILj256ENS1_11__transform17unary_transform_fINS0_7pointerIiNS1_3tagENS0_11use_defaultES8_EENS0_10device_ptrItEENS4_14no_stencil_tagENS0_8identityIiEENS4_21always_true_predicateEEElLj1EEEvT0_T1_SI_, .Lfunc_end1263-_ZN6thrust23THRUST_200600_302600_NS11hip_rocprim14__parallel_for6kernelILj256ENS1_11__transform17unary_transform_fINS0_7pointerIiNS1_3tagENS0_11use_defaultES8_EENS0_10device_ptrItEENS4_14no_stencil_tagENS0_8identityIiEENS4_21always_true_predicateEEElLj1EEEvT0_T1_SI_
                                        ; -- End function
	.section	.AMDGPU.csdata,"",@progbits
; Kernel info:
; codeLenInByte = 260
; NumSgprs: 16
; NumVgprs: 6
; NumAgprs: 0
; TotalNumVgprs: 6
; ScratchSize: 0
; MemoryBound: 0
; FloatMode: 240
; IeeeMode: 1
; LDSByteSize: 0 bytes/workgroup (compile time only)
; SGPRBlocks: 1
; VGPRBlocks: 0
; NumSGPRsForWavesPerEU: 16
; NumVGPRsForWavesPerEU: 6
; AccumOffset: 8
; Occupancy: 8
; WaveLimiterHint : 0
; COMPUTE_PGM_RSRC2:SCRATCH_EN: 0
; COMPUTE_PGM_RSRC2:USER_SGPR: 6
; COMPUTE_PGM_RSRC2:TRAP_HANDLER: 0
; COMPUTE_PGM_RSRC2:TGID_X_EN: 1
; COMPUTE_PGM_RSRC2:TGID_Y_EN: 0
; COMPUTE_PGM_RSRC2:TGID_Z_EN: 0
; COMPUTE_PGM_RSRC2:TIDIG_COMP_CNT: 0
; COMPUTE_PGM_RSRC3_GFX90A:ACCUM_OFFSET: 1
; COMPUTE_PGM_RSRC3_GFX90A:TG_SPLIT: 0
	.section	.text._ZN6thrust23THRUST_200600_302600_NS11hip_rocprim14__parallel_for6kernelILj256ENS1_20__uninitialized_fill7functorINS0_10device_ptrItEEtEEmLj1EEEvT0_T1_SA_,"axG",@progbits,_ZN6thrust23THRUST_200600_302600_NS11hip_rocprim14__parallel_for6kernelILj256ENS1_20__uninitialized_fill7functorINS0_10device_ptrItEEtEEmLj1EEEvT0_T1_SA_,comdat
	.protected	_ZN6thrust23THRUST_200600_302600_NS11hip_rocprim14__parallel_for6kernelILj256ENS1_20__uninitialized_fill7functorINS0_10device_ptrItEEtEEmLj1EEEvT0_T1_SA_ ; -- Begin function _ZN6thrust23THRUST_200600_302600_NS11hip_rocprim14__parallel_for6kernelILj256ENS1_20__uninitialized_fill7functorINS0_10device_ptrItEEtEEmLj1EEEvT0_T1_SA_
	.globl	_ZN6thrust23THRUST_200600_302600_NS11hip_rocprim14__parallel_for6kernelILj256ENS1_20__uninitialized_fill7functorINS0_10device_ptrItEEtEEmLj1EEEvT0_T1_SA_
	.p2align	8
	.type	_ZN6thrust23THRUST_200600_302600_NS11hip_rocprim14__parallel_for6kernelILj256ENS1_20__uninitialized_fill7functorINS0_10device_ptrItEEtEEmLj1EEEvT0_T1_SA_,@function
_ZN6thrust23THRUST_200600_302600_NS11hip_rocprim14__parallel_for6kernelILj256ENS1_20__uninitialized_fill7functorINS0_10device_ptrItEEtEEmLj1EEEvT0_T1_SA_: ; @_ZN6thrust23THRUST_200600_302600_NS11hip_rocprim14__parallel_for6kernelILj256ENS1_20__uninitialized_fill7functorINS0_10device_ptrItEEtEEmLj1EEEvT0_T1_SA_
; %bb.0:
	s_load_dwordx4 s[8:11], s[4:5], 0x10
	s_lshl_b32 s0, s6, 8
	v_mov_b32_e32 v2, 0x100
	v_mov_b32_e32 v3, 0
	s_waitcnt lgkmcnt(0)
	s_add_u32 s0, s0, s10
	s_addc_u32 s1, 0, s11
	s_sub_u32 s2, s8, s0
	s_subb_u32 s3, s9, s1
	v_cmp_lt_u64_e32 vcc, s[2:3], v[2:3]
	s_cbranch_vccz .LBB1264_2
; %bb.1:
	v_cmp_gt_u32_e32 vcc, s2, v0
	s_and_b64 s[2:3], vcc, exec
	s_cbranch_execz .LBB1264_3
	s_branch .LBB1264_4
.LBB1264_2:
	s_mov_b64 s[2:3], 0
.LBB1264_3:
	s_or_b64 s[2:3], s[2:3], exec
.LBB1264_4:
	s_and_saveexec_b64 s[6:7], s[2:3]
	s_cbranch_execnz .LBB1264_6
; %bb.5:
	s_endpgm
.LBB1264_6:
	s_load_dwordx2 s[2:3], s[4:5], 0x0
	s_load_dword s6, s[4:5], 0x8
	s_lshl_b64 s[0:1], s[0:1], 1
	v_mov_b32_e32 v1, 0
	v_lshlrev_b64 v[0:1], 1, v[0:1]
	s_waitcnt lgkmcnt(0)
	s_add_u32 s0, s2, s0
	s_addc_u32 s1, s3, s1
	v_mov_b32_e32 v2, s1
	v_add_co_u32_e32 v0, vcc, s0, v0
	v_addc_co_u32_e32 v1, vcc, v2, v1, vcc
	v_mov_b32_e32 v2, s6
	flat_store_short v[0:1], v2
	s_endpgm
	.section	.rodata,"a",@progbits
	.p2align	6, 0x0
	.amdhsa_kernel _ZN6thrust23THRUST_200600_302600_NS11hip_rocprim14__parallel_for6kernelILj256ENS1_20__uninitialized_fill7functorINS0_10device_ptrItEEtEEmLj1EEEvT0_T1_SA_
		.amdhsa_group_segment_fixed_size 0
		.amdhsa_private_segment_fixed_size 0
		.amdhsa_kernarg_size 32
		.amdhsa_user_sgpr_count 6
		.amdhsa_user_sgpr_private_segment_buffer 1
		.amdhsa_user_sgpr_dispatch_ptr 0
		.amdhsa_user_sgpr_queue_ptr 0
		.amdhsa_user_sgpr_kernarg_segment_ptr 1
		.amdhsa_user_sgpr_dispatch_id 0
		.amdhsa_user_sgpr_flat_scratch_init 0
		.amdhsa_user_sgpr_kernarg_preload_length 0
		.amdhsa_user_sgpr_kernarg_preload_offset 0
		.amdhsa_user_sgpr_private_segment_size 0
		.amdhsa_uses_dynamic_stack 0
		.amdhsa_system_sgpr_private_segment_wavefront_offset 0
		.amdhsa_system_sgpr_workgroup_id_x 1
		.amdhsa_system_sgpr_workgroup_id_y 0
		.amdhsa_system_sgpr_workgroup_id_z 0
		.amdhsa_system_sgpr_workgroup_info 0
		.amdhsa_system_vgpr_workitem_id 0
		.amdhsa_next_free_vgpr 4
		.amdhsa_next_free_sgpr 12
		.amdhsa_accum_offset 4
		.amdhsa_reserve_vcc 1
		.amdhsa_reserve_flat_scratch 0
		.amdhsa_float_round_mode_32 0
		.amdhsa_float_round_mode_16_64 0
		.amdhsa_float_denorm_mode_32 3
		.amdhsa_float_denorm_mode_16_64 3
		.amdhsa_dx10_clamp 1
		.amdhsa_ieee_mode 1
		.amdhsa_fp16_overflow 0
		.amdhsa_tg_split 0
		.amdhsa_exception_fp_ieee_invalid_op 0
		.amdhsa_exception_fp_denorm_src 0
		.amdhsa_exception_fp_ieee_div_zero 0
		.amdhsa_exception_fp_ieee_overflow 0
		.amdhsa_exception_fp_ieee_underflow 0
		.amdhsa_exception_fp_ieee_inexact 0
		.amdhsa_exception_int_div_zero 0
	.end_amdhsa_kernel
	.section	.text._ZN6thrust23THRUST_200600_302600_NS11hip_rocprim14__parallel_for6kernelILj256ENS1_20__uninitialized_fill7functorINS0_10device_ptrItEEtEEmLj1EEEvT0_T1_SA_,"axG",@progbits,_ZN6thrust23THRUST_200600_302600_NS11hip_rocprim14__parallel_for6kernelILj256ENS1_20__uninitialized_fill7functorINS0_10device_ptrItEEtEEmLj1EEEvT0_T1_SA_,comdat
.Lfunc_end1264:
	.size	_ZN6thrust23THRUST_200600_302600_NS11hip_rocprim14__parallel_for6kernelILj256ENS1_20__uninitialized_fill7functorINS0_10device_ptrItEEtEEmLj1EEEvT0_T1_SA_, .Lfunc_end1264-_ZN6thrust23THRUST_200600_302600_NS11hip_rocprim14__parallel_for6kernelILj256ENS1_20__uninitialized_fill7functorINS0_10device_ptrItEEtEEmLj1EEEvT0_T1_SA_
                                        ; -- End function
	.section	.AMDGPU.csdata,"",@progbits
; Kernel info:
; codeLenInByte = 160
; NumSgprs: 16
; NumVgprs: 4
; NumAgprs: 0
; TotalNumVgprs: 4
; ScratchSize: 0
; MemoryBound: 0
; FloatMode: 240
; IeeeMode: 1
; LDSByteSize: 0 bytes/workgroup (compile time only)
; SGPRBlocks: 1
; VGPRBlocks: 0
; NumSGPRsForWavesPerEU: 16
; NumVGPRsForWavesPerEU: 4
; AccumOffset: 4
; Occupancy: 8
; WaveLimiterHint : 0
; COMPUTE_PGM_RSRC2:SCRATCH_EN: 0
; COMPUTE_PGM_RSRC2:USER_SGPR: 6
; COMPUTE_PGM_RSRC2:TRAP_HANDLER: 0
; COMPUTE_PGM_RSRC2:TGID_X_EN: 1
; COMPUTE_PGM_RSRC2:TGID_Y_EN: 0
; COMPUTE_PGM_RSRC2:TGID_Z_EN: 0
; COMPUTE_PGM_RSRC2:TIDIG_COMP_CNT: 0
; COMPUTE_PGM_RSRC3_GFX90A:ACCUM_OFFSET: 0
; COMPUTE_PGM_RSRC3_GFX90A:TG_SPLIT: 0
	.section	.text._ZN7rocprim17ROCPRIM_400000_NS6detail30init_device_scan_by_key_kernelINS1_19lookback_scan_stateINS0_5tupleIJtbEEELb0ELb1EEEN6thrust23THRUST_200600_302600_NS6detail15normal_iteratorINS8_10device_ptrIiEEEEjNS1_16block_id_wrapperIjLb0EEEEEvT_jjPNSG_10value_typeET0_PNSt15iterator_traitsISJ_E10value_typeEmT1_T2_,"axG",@progbits,_ZN7rocprim17ROCPRIM_400000_NS6detail30init_device_scan_by_key_kernelINS1_19lookback_scan_stateINS0_5tupleIJtbEEELb0ELb1EEEN6thrust23THRUST_200600_302600_NS6detail15normal_iteratorINS8_10device_ptrIiEEEEjNS1_16block_id_wrapperIjLb0EEEEEvT_jjPNSG_10value_typeET0_PNSt15iterator_traitsISJ_E10value_typeEmT1_T2_,comdat
	.protected	_ZN7rocprim17ROCPRIM_400000_NS6detail30init_device_scan_by_key_kernelINS1_19lookback_scan_stateINS0_5tupleIJtbEEELb0ELb1EEEN6thrust23THRUST_200600_302600_NS6detail15normal_iteratorINS8_10device_ptrIiEEEEjNS1_16block_id_wrapperIjLb0EEEEEvT_jjPNSG_10value_typeET0_PNSt15iterator_traitsISJ_E10value_typeEmT1_T2_ ; -- Begin function _ZN7rocprim17ROCPRIM_400000_NS6detail30init_device_scan_by_key_kernelINS1_19lookback_scan_stateINS0_5tupleIJtbEEELb0ELb1EEEN6thrust23THRUST_200600_302600_NS6detail15normal_iteratorINS8_10device_ptrIiEEEEjNS1_16block_id_wrapperIjLb0EEEEEvT_jjPNSG_10value_typeET0_PNSt15iterator_traitsISJ_E10value_typeEmT1_T2_
	.globl	_ZN7rocprim17ROCPRIM_400000_NS6detail30init_device_scan_by_key_kernelINS1_19lookback_scan_stateINS0_5tupleIJtbEEELb0ELb1EEEN6thrust23THRUST_200600_302600_NS6detail15normal_iteratorINS8_10device_ptrIiEEEEjNS1_16block_id_wrapperIjLb0EEEEEvT_jjPNSG_10value_typeET0_PNSt15iterator_traitsISJ_E10value_typeEmT1_T2_
	.p2align	8
	.type	_ZN7rocprim17ROCPRIM_400000_NS6detail30init_device_scan_by_key_kernelINS1_19lookback_scan_stateINS0_5tupleIJtbEEELb0ELb1EEEN6thrust23THRUST_200600_302600_NS6detail15normal_iteratorINS8_10device_ptrIiEEEEjNS1_16block_id_wrapperIjLb0EEEEEvT_jjPNSG_10value_typeET0_PNSt15iterator_traitsISJ_E10value_typeEmT1_T2_,@function
_ZN7rocprim17ROCPRIM_400000_NS6detail30init_device_scan_by_key_kernelINS1_19lookback_scan_stateINS0_5tupleIJtbEEELb0ELb1EEEN6thrust23THRUST_200600_302600_NS6detail15normal_iteratorINS8_10device_ptrIiEEEEjNS1_16block_id_wrapperIjLb0EEEEEvT_jjPNSG_10value_typeET0_PNSt15iterator_traitsISJ_E10value_typeEmT1_T2_: ; @_ZN7rocprim17ROCPRIM_400000_NS6detail30init_device_scan_by_key_kernelINS1_19lookback_scan_stateINS0_5tupleIJtbEEELb0ELb1EEEN6thrust23THRUST_200600_302600_NS6detail15normal_iteratorINS8_10device_ptrIiEEEEjNS1_16block_id_wrapperIjLb0EEEEEvT_jjPNSG_10value_typeET0_PNSt15iterator_traitsISJ_E10value_typeEmT1_T2_
; %bb.0:
	s_load_dword s0, s[4:5], 0x44
	s_load_dwordx8 s[8:15], s[4:5], 0x0
	s_load_dword s7, s[4:5], 0x38
	s_waitcnt lgkmcnt(0)
	s_and_b32 s16, s0, 0xffff
	s_mul_i32 s6, s6, s16
	s_cmp_eq_u64 s[12:13], 0
	v_add_u32_e32 v0, s6, v0
	s_cbranch_scc1 .LBB1265_6
; %bb.1:
	s_cmp_lt_u32 s11, s10
	s_cselect_b32 s0, s11, 0
	s_mov_b32 s3, 0
	v_cmp_eq_u32_e32 vcc, s0, v0
	s_and_saveexec_b64 s[0:1], vcc
	s_cbranch_execz .LBB1265_5
; %bb.2:
	s_add_i32 s2, s11, 64
	s_lshl_b64 s[2:3], s[2:3], 3
	s_add_u32 s2, s8, s2
	s_addc_u32 s3, s9, s3
	v_mov_b32_e32 v4, 0
	global_load_dwordx2 v[2:3], v4, s[2:3] glc
	s_waitcnt vmcnt(0)
	v_and_b32_e32 v5, 0xff, v3
	v_cmp_ne_u64_e32 vcc, 0, v[4:5]
	s_cbranch_vccnz .LBB1265_4
.LBB1265_3:                             ; =>This Inner Loop Header: Depth=1
	global_load_dwordx2 v[2:3], v4, s[2:3] glc
	s_waitcnt vmcnt(0)
	v_and_b32_e32 v5, 0xff, v3
	v_cmp_eq_u64_e32 vcc, 0, v[4:5]
	s_cbranch_vccnz .LBB1265_3
.LBB1265_4:
	v_mov_b32_e32 v1, 0
	global_store_short v1, v2, s[12:13]
	global_store_byte_d16_hi v1, v2, s[12:13] offset:2
.LBB1265_5:
	s_or_b64 exec, exec, s[0:1]
.LBB1265_6:
	v_cmp_gt_u32_e32 vcc, s10, v0
	s_and_saveexec_b64 s[0:1], vcc
	s_cbranch_execz .LBB1265_8
; %bb.7:
	v_add_u32_e32 v2, 64, v0
	v_mov_b32_e32 v3, 0
	v_lshlrev_b64 v[4:5], 3, v[2:3]
	v_mov_b32_e32 v1, s9
	v_add_co_u32_e32 v4, vcc, s8, v4
	v_addc_co_u32_e32 v5, vcc, v1, v5, vcc
	v_mov_b32_e32 v2, v3
	global_store_dwordx2 v[4:5], v[2:3], off
.LBB1265_8:
	s_or_b64 exec, exec, s[0:1]
	v_cmp_gt_u32_e32 vcc, 64, v0
	v_mov_b32_e32 v1, 0
	s_and_saveexec_b64 s[0:1], vcc
	s_cbranch_execz .LBB1265_10
; %bb.9:
	v_lshlrev_b64 v[2:3], 3, v[0:1]
	v_mov_b32_e32 v4, s9
	v_add_co_u32_e32 v2, vcc, s8, v2
	v_addc_co_u32_e32 v3, vcc, v4, v3, vcc
	v_mov_b32_e32 v5, 0xff
	v_mov_b32_e32 v4, v1
	global_store_dwordx2 v[2:3], v[4:5], off
.LBB1265_10:
	s_or_b64 exec, exec, s[0:1]
	s_load_dwordx2 s[0:1], s[4:5], 0x28
	s_waitcnt lgkmcnt(0)
	v_cmp_gt_u64_e32 vcc, s[0:1], v[0:1]
	s_and_saveexec_b64 s[2:3], vcc
	s_cbranch_execz .LBB1265_13
; %bb.11:
	s_load_dword s10, s[4:5], 0x30
	s_load_dwordx2 s[8:9], s[4:5], 0x20
	s_mov_b32 s5, 0
	s_mov_b32 s3, s5
	s_mul_i32 s2, s7, s16
	s_waitcnt lgkmcnt(0)
	s_add_i32 s4, s10, -1
	s_lshl_b64 s[4:5], s[4:5], 2
	v_mad_u64_u32 v[2:3], s[6:7], s10, v0, 0
	s_add_u32 s4, s14, s4
	v_lshlrev_b64 v[2:3], 2, v[2:3]
	s_addc_u32 s5, s15, s5
	v_mov_b32_e32 v4, s5
	v_add_co_u32_e32 v2, vcc, s4, v2
	v_addc_co_u32_e32 v3, vcc, v4, v3, vcc
	s_mul_hi_u32 s5, s10, s2
	s_mul_i32 s4, s10, s2
	v_lshlrev_b64 v[4:5], 2, v[0:1]
	s_lshl_b64 s[4:5], s[4:5], 2
	v_mov_b32_e32 v6, s9
	v_add_co_u32_e32 v4, vcc, s8, v4
	s_lshl_b64 s[6:7], s[2:3], 2
	v_addc_co_u32_e32 v5, vcc, v6, v5, vcc
	s_mov_b64 s[8:9], 0
	v_mov_b32_e32 v6, s3
	v_mov_b32_e32 v7, s5
	;; [unrolled: 1-line block ×3, first 2 shown]
.LBB1265_12:                            ; =>This Inner Loop Header: Depth=1
	global_load_dword v9, v[2:3], off
	v_add_co_u32_e32 v0, vcc, s2, v0
	v_addc_co_u32_e32 v1, vcc, v1, v6, vcc
	v_add_co_u32_e32 v2, vcc, s4, v2
	v_addc_co_u32_e32 v3, vcc, v3, v7, vcc
	v_cmp_le_u64_e32 vcc, s[0:1], v[0:1]
	s_or_b64 s[8:9], vcc, s[8:9]
	s_waitcnt vmcnt(0)
	global_store_dword v[4:5], v9, off
	v_add_co_u32_e32 v4, vcc, s6, v4
	v_addc_co_u32_e32 v5, vcc, v5, v8, vcc
	s_andn2_b64 exec, exec, s[8:9]
	s_cbranch_execnz .LBB1265_12
.LBB1265_13:
	s_endpgm
	.section	.rodata,"a",@progbits
	.p2align	6, 0x0
	.amdhsa_kernel _ZN7rocprim17ROCPRIM_400000_NS6detail30init_device_scan_by_key_kernelINS1_19lookback_scan_stateINS0_5tupleIJtbEEELb0ELb1EEEN6thrust23THRUST_200600_302600_NS6detail15normal_iteratorINS8_10device_ptrIiEEEEjNS1_16block_id_wrapperIjLb0EEEEEvT_jjPNSG_10value_typeET0_PNSt15iterator_traitsISJ_E10value_typeEmT1_T2_
		.amdhsa_group_segment_fixed_size 0
		.amdhsa_private_segment_fixed_size 0
		.amdhsa_kernarg_size 312
		.amdhsa_user_sgpr_count 6
		.amdhsa_user_sgpr_private_segment_buffer 1
		.amdhsa_user_sgpr_dispatch_ptr 0
		.amdhsa_user_sgpr_queue_ptr 0
		.amdhsa_user_sgpr_kernarg_segment_ptr 1
		.amdhsa_user_sgpr_dispatch_id 0
		.amdhsa_user_sgpr_flat_scratch_init 0
		.amdhsa_user_sgpr_kernarg_preload_length 0
		.amdhsa_user_sgpr_kernarg_preload_offset 0
		.amdhsa_user_sgpr_private_segment_size 0
		.amdhsa_uses_dynamic_stack 0
		.amdhsa_system_sgpr_private_segment_wavefront_offset 0
		.amdhsa_system_sgpr_workgroup_id_x 1
		.amdhsa_system_sgpr_workgroup_id_y 0
		.amdhsa_system_sgpr_workgroup_id_z 0
		.amdhsa_system_sgpr_workgroup_info 0
		.amdhsa_system_vgpr_workitem_id 0
		.amdhsa_next_free_vgpr 10
		.amdhsa_next_free_sgpr 17
		.amdhsa_accum_offset 12
		.amdhsa_reserve_vcc 1
		.amdhsa_reserve_flat_scratch 0
		.amdhsa_float_round_mode_32 0
		.amdhsa_float_round_mode_16_64 0
		.amdhsa_float_denorm_mode_32 3
		.amdhsa_float_denorm_mode_16_64 3
		.amdhsa_dx10_clamp 1
		.amdhsa_ieee_mode 1
		.amdhsa_fp16_overflow 0
		.amdhsa_tg_split 0
		.amdhsa_exception_fp_ieee_invalid_op 0
		.amdhsa_exception_fp_denorm_src 0
		.amdhsa_exception_fp_ieee_div_zero 0
		.amdhsa_exception_fp_ieee_overflow 0
		.amdhsa_exception_fp_ieee_underflow 0
		.amdhsa_exception_fp_ieee_inexact 0
		.amdhsa_exception_int_div_zero 0
	.end_amdhsa_kernel
	.section	.text._ZN7rocprim17ROCPRIM_400000_NS6detail30init_device_scan_by_key_kernelINS1_19lookback_scan_stateINS0_5tupleIJtbEEELb0ELb1EEEN6thrust23THRUST_200600_302600_NS6detail15normal_iteratorINS8_10device_ptrIiEEEEjNS1_16block_id_wrapperIjLb0EEEEEvT_jjPNSG_10value_typeET0_PNSt15iterator_traitsISJ_E10value_typeEmT1_T2_,"axG",@progbits,_ZN7rocprim17ROCPRIM_400000_NS6detail30init_device_scan_by_key_kernelINS1_19lookback_scan_stateINS0_5tupleIJtbEEELb0ELb1EEEN6thrust23THRUST_200600_302600_NS6detail15normal_iteratorINS8_10device_ptrIiEEEEjNS1_16block_id_wrapperIjLb0EEEEEvT_jjPNSG_10value_typeET0_PNSt15iterator_traitsISJ_E10value_typeEmT1_T2_,comdat
.Lfunc_end1265:
	.size	_ZN7rocprim17ROCPRIM_400000_NS6detail30init_device_scan_by_key_kernelINS1_19lookback_scan_stateINS0_5tupleIJtbEEELb0ELb1EEEN6thrust23THRUST_200600_302600_NS6detail15normal_iteratorINS8_10device_ptrIiEEEEjNS1_16block_id_wrapperIjLb0EEEEEvT_jjPNSG_10value_typeET0_PNSt15iterator_traitsISJ_E10value_typeEmT1_T2_, .Lfunc_end1265-_ZN7rocprim17ROCPRIM_400000_NS6detail30init_device_scan_by_key_kernelINS1_19lookback_scan_stateINS0_5tupleIJtbEEELb0ELb1EEEN6thrust23THRUST_200600_302600_NS6detail15normal_iteratorINS8_10device_ptrIiEEEEjNS1_16block_id_wrapperIjLb0EEEEEvT_jjPNSG_10value_typeET0_PNSt15iterator_traitsISJ_E10value_typeEmT1_T2_
                                        ; -- End function
	.section	.AMDGPU.csdata,"",@progbits
; Kernel info:
; codeLenInByte = 508
; NumSgprs: 21
; NumVgprs: 10
; NumAgprs: 0
; TotalNumVgprs: 10
; ScratchSize: 0
; MemoryBound: 0
; FloatMode: 240
; IeeeMode: 1
; LDSByteSize: 0 bytes/workgroup (compile time only)
; SGPRBlocks: 2
; VGPRBlocks: 1
; NumSGPRsForWavesPerEU: 21
; NumVGPRsForWavesPerEU: 10
; AccumOffset: 12
; Occupancy: 8
; WaveLimiterHint : 0
; COMPUTE_PGM_RSRC2:SCRATCH_EN: 0
; COMPUTE_PGM_RSRC2:USER_SGPR: 6
; COMPUTE_PGM_RSRC2:TRAP_HANDLER: 0
; COMPUTE_PGM_RSRC2:TGID_X_EN: 1
; COMPUTE_PGM_RSRC2:TGID_Y_EN: 0
; COMPUTE_PGM_RSRC2:TGID_Z_EN: 0
; COMPUTE_PGM_RSRC2:TIDIG_COMP_CNT: 0
; COMPUTE_PGM_RSRC3_GFX90A:ACCUM_OFFSET: 2
; COMPUTE_PGM_RSRC3_GFX90A:TG_SPLIT: 0
	.section	.text._ZN7rocprim17ROCPRIM_400000_NS6detail30init_device_scan_by_key_kernelINS1_19lookback_scan_stateINS0_5tupleIJtbEEELb0ELb1EEENS1_16block_id_wrapperIjLb0EEEEEvT_jjPNS9_10value_typeET0_,"axG",@progbits,_ZN7rocprim17ROCPRIM_400000_NS6detail30init_device_scan_by_key_kernelINS1_19lookback_scan_stateINS0_5tupleIJtbEEELb0ELb1EEENS1_16block_id_wrapperIjLb0EEEEEvT_jjPNS9_10value_typeET0_,comdat
	.protected	_ZN7rocprim17ROCPRIM_400000_NS6detail30init_device_scan_by_key_kernelINS1_19lookback_scan_stateINS0_5tupleIJtbEEELb0ELb1EEENS1_16block_id_wrapperIjLb0EEEEEvT_jjPNS9_10value_typeET0_ ; -- Begin function _ZN7rocprim17ROCPRIM_400000_NS6detail30init_device_scan_by_key_kernelINS1_19lookback_scan_stateINS0_5tupleIJtbEEELb0ELb1EEENS1_16block_id_wrapperIjLb0EEEEEvT_jjPNS9_10value_typeET0_
	.globl	_ZN7rocprim17ROCPRIM_400000_NS6detail30init_device_scan_by_key_kernelINS1_19lookback_scan_stateINS0_5tupleIJtbEEELb0ELb1EEENS1_16block_id_wrapperIjLb0EEEEEvT_jjPNS9_10value_typeET0_
	.p2align	8
	.type	_ZN7rocprim17ROCPRIM_400000_NS6detail30init_device_scan_by_key_kernelINS1_19lookback_scan_stateINS0_5tupleIJtbEEELb0ELb1EEENS1_16block_id_wrapperIjLb0EEEEEvT_jjPNS9_10value_typeET0_,@function
_ZN7rocprim17ROCPRIM_400000_NS6detail30init_device_scan_by_key_kernelINS1_19lookback_scan_stateINS0_5tupleIJtbEEELb0ELb1EEENS1_16block_id_wrapperIjLb0EEEEEvT_jjPNS9_10value_typeET0_: ; @_ZN7rocprim17ROCPRIM_400000_NS6detail30init_device_scan_by_key_kernelINS1_19lookback_scan_stateINS0_5tupleIJtbEEELb0ELb1EEENS1_16block_id_wrapperIjLb0EEEEEvT_jjPNS9_10value_typeET0_
; %bb.0:
	s_load_dword s7, s[4:5], 0x2c
	s_load_dwordx2 s[8:9], s[4:5], 0x10
	s_load_dwordx4 s[0:3], s[4:5], 0x0
	s_waitcnt lgkmcnt(0)
	s_and_b32 s4, s7, 0xffff
	s_mul_i32 s6, s6, s4
	s_cmp_eq_u64 s[8:9], 0
	v_add_u32_e32 v0, s6, v0
	s_cbranch_scc1 .LBB1266_6
; %bb.1:
	s_cmp_lt_u32 s3, s2
	s_cselect_b32 s4, s3, 0
	s_mov_b32 s7, 0
	v_cmp_eq_u32_e32 vcc, s4, v0
	s_and_saveexec_b64 s[4:5], vcc
	s_cbranch_execz .LBB1266_5
; %bb.2:
	s_add_i32 s6, s3, 64
	s_lshl_b64 s[6:7], s[6:7], 3
	s_add_u32 s6, s0, s6
	s_addc_u32 s7, s1, s7
	v_mov_b32_e32 v4, 0
	global_load_dwordx2 v[2:3], v4, s[6:7] glc
	s_waitcnt vmcnt(0)
	v_and_b32_e32 v5, 0xff, v3
	v_cmp_ne_u64_e32 vcc, 0, v[4:5]
	s_cbranch_vccnz .LBB1266_4
.LBB1266_3:                             ; =>This Inner Loop Header: Depth=1
	global_load_dwordx2 v[2:3], v4, s[6:7] glc
	s_waitcnt vmcnt(0)
	v_and_b32_e32 v5, 0xff, v3
	v_cmp_eq_u64_e32 vcc, 0, v[4:5]
	s_cbranch_vccnz .LBB1266_3
.LBB1266_4:
	v_mov_b32_e32 v1, 0
	global_store_short v1, v2, s[8:9]
	global_store_byte_d16_hi v1, v2, s[8:9] offset:2
.LBB1266_5:
	s_or_b64 exec, exec, s[4:5]
.LBB1266_6:
	v_cmp_gt_u32_e32 vcc, s2, v0
	s_and_saveexec_b64 s[2:3], vcc
	s_cbranch_execnz .LBB1266_9
; %bb.7:
	s_or_b64 exec, exec, s[2:3]
	v_cmp_gt_u32_e32 vcc, 64, v0
	s_and_saveexec_b64 s[2:3], vcc
	s_cbranch_execnz .LBB1266_10
.LBB1266_8:
	s_endpgm
.LBB1266_9:
	v_add_u32_e32 v2, 64, v0
	v_mov_b32_e32 v3, 0
	v_lshlrev_b64 v[4:5], 3, v[2:3]
	v_mov_b32_e32 v1, s1
	v_add_co_u32_e32 v4, vcc, s0, v4
	v_addc_co_u32_e32 v5, vcc, v1, v5, vcc
	v_mov_b32_e32 v2, v3
	global_store_dwordx2 v[4:5], v[2:3], off
	s_or_b64 exec, exec, s[2:3]
	v_cmp_gt_u32_e32 vcc, 64, v0
	s_and_saveexec_b64 s[2:3], vcc
	s_cbranch_execz .LBB1266_8
.LBB1266_10:
	v_mov_b32_e32 v1, 0
	v_lshlrev_b64 v[2:3], 3, v[0:1]
	v_mov_b32_e32 v0, s1
	v_add_co_u32_e32 v2, vcc, s0, v2
	v_addc_co_u32_e32 v3, vcc, v0, v3, vcc
	v_mov_b32_e32 v5, 0xff
	v_mov_b32_e32 v4, v1
	global_store_dwordx2 v[2:3], v[4:5], off
	s_endpgm
	.section	.rodata,"a",@progbits
	.p2align	6, 0x0
	.amdhsa_kernel _ZN7rocprim17ROCPRIM_400000_NS6detail30init_device_scan_by_key_kernelINS1_19lookback_scan_stateINS0_5tupleIJtbEEELb0ELb1EEENS1_16block_id_wrapperIjLb0EEEEEvT_jjPNS9_10value_typeET0_
		.amdhsa_group_segment_fixed_size 0
		.amdhsa_private_segment_fixed_size 0
		.amdhsa_kernarg_size 288
		.amdhsa_user_sgpr_count 6
		.amdhsa_user_sgpr_private_segment_buffer 1
		.amdhsa_user_sgpr_dispatch_ptr 0
		.amdhsa_user_sgpr_queue_ptr 0
		.amdhsa_user_sgpr_kernarg_segment_ptr 1
		.amdhsa_user_sgpr_dispatch_id 0
		.amdhsa_user_sgpr_flat_scratch_init 0
		.amdhsa_user_sgpr_kernarg_preload_length 0
		.amdhsa_user_sgpr_kernarg_preload_offset 0
		.amdhsa_user_sgpr_private_segment_size 0
		.amdhsa_uses_dynamic_stack 0
		.amdhsa_system_sgpr_private_segment_wavefront_offset 0
		.amdhsa_system_sgpr_workgroup_id_x 1
		.amdhsa_system_sgpr_workgroup_id_y 0
		.amdhsa_system_sgpr_workgroup_id_z 0
		.amdhsa_system_sgpr_workgroup_info 0
		.amdhsa_system_vgpr_workitem_id 0
		.amdhsa_next_free_vgpr 6
		.amdhsa_next_free_sgpr 10
		.amdhsa_accum_offset 8
		.amdhsa_reserve_vcc 1
		.amdhsa_reserve_flat_scratch 0
		.amdhsa_float_round_mode_32 0
		.amdhsa_float_round_mode_16_64 0
		.amdhsa_float_denorm_mode_32 3
		.amdhsa_float_denorm_mode_16_64 3
		.amdhsa_dx10_clamp 1
		.amdhsa_ieee_mode 1
		.amdhsa_fp16_overflow 0
		.amdhsa_tg_split 0
		.amdhsa_exception_fp_ieee_invalid_op 0
		.amdhsa_exception_fp_denorm_src 0
		.amdhsa_exception_fp_ieee_div_zero 0
		.amdhsa_exception_fp_ieee_overflow 0
		.amdhsa_exception_fp_ieee_underflow 0
		.amdhsa_exception_fp_ieee_inexact 0
		.amdhsa_exception_int_div_zero 0
	.end_amdhsa_kernel
	.section	.text._ZN7rocprim17ROCPRIM_400000_NS6detail30init_device_scan_by_key_kernelINS1_19lookback_scan_stateINS0_5tupleIJtbEEELb0ELb1EEENS1_16block_id_wrapperIjLb0EEEEEvT_jjPNS9_10value_typeET0_,"axG",@progbits,_ZN7rocprim17ROCPRIM_400000_NS6detail30init_device_scan_by_key_kernelINS1_19lookback_scan_stateINS0_5tupleIJtbEEELb0ELb1EEENS1_16block_id_wrapperIjLb0EEEEEvT_jjPNS9_10value_typeET0_,comdat
.Lfunc_end1266:
	.size	_ZN7rocprim17ROCPRIM_400000_NS6detail30init_device_scan_by_key_kernelINS1_19lookback_scan_stateINS0_5tupleIJtbEEELb0ELb1EEENS1_16block_id_wrapperIjLb0EEEEEvT_jjPNS9_10value_typeET0_, .Lfunc_end1266-_ZN7rocprim17ROCPRIM_400000_NS6detail30init_device_scan_by_key_kernelINS1_19lookback_scan_stateINS0_5tupleIJtbEEELb0ELb1EEENS1_16block_id_wrapperIjLb0EEEEEvT_jjPNS9_10value_typeET0_
                                        ; -- End function
	.section	.AMDGPU.csdata,"",@progbits
; Kernel info:
; codeLenInByte = 312
; NumSgprs: 14
; NumVgprs: 6
; NumAgprs: 0
; TotalNumVgprs: 6
; ScratchSize: 0
; MemoryBound: 0
; FloatMode: 240
; IeeeMode: 1
; LDSByteSize: 0 bytes/workgroup (compile time only)
; SGPRBlocks: 1
; VGPRBlocks: 0
; NumSGPRsForWavesPerEU: 14
; NumVGPRsForWavesPerEU: 6
; AccumOffset: 8
; Occupancy: 8
; WaveLimiterHint : 0
; COMPUTE_PGM_RSRC2:SCRATCH_EN: 0
; COMPUTE_PGM_RSRC2:USER_SGPR: 6
; COMPUTE_PGM_RSRC2:TRAP_HANDLER: 0
; COMPUTE_PGM_RSRC2:TGID_X_EN: 1
; COMPUTE_PGM_RSRC2:TGID_Y_EN: 0
; COMPUTE_PGM_RSRC2:TGID_Z_EN: 0
; COMPUTE_PGM_RSRC2:TIDIG_COMP_CNT: 0
; COMPUTE_PGM_RSRC3_GFX90A:ACCUM_OFFSET: 1
; COMPUTE_PGM_RSRC3_GFX90A:TG_SPLIT: 0
	.section	.text._ZN7rocprim17ROCPRIM_400000_NS6detail17trampoline_kernelINS0_14default_configENS1_27scan_by_key_config_selectorIitEEZZNS1_16scan_by_key_implILNS1_25lookback_scan_determinismE0ELb0ES3_N6thrust23THRUST_200600_302600_NS6detail15normal_iteratorINS9_10device_ptrIiEEEENSB_INSC_ItEEEESG_tNS9_4plusIvEENS9_8equal_toIvEEtEE10hipError_tPvRmT2_T3_T4_T5_mT6_T7_P12ihipStream_tbENKUlT_T0_E_clISt17integral_constantIbLb0EES11_EEDaSW_SX_EUlSW_E_NS1_11comp_targetILNS1_3genE0ELNS1_11target_archE4294967295ELNS1_3gpuE0ELNS1_3repE0EEENS1_30default_config_static_selectorELNS0_4arch9wavefront6targetE1EEEvT1_,"axG",@progbits,_ZN7rocprim17ROCPRIM_400000_NS6detail17trampoline_kernelINS0_14default_configENS1_27scan_by_key_config_selectorIitEEZZNS1_16scan_by_key_implILNS1_25lookback_scan_determinismE0ELb0ES3_N6thrust23THRUST_200600_302600_NS6detail15normal_iteratorINS9_10device_ptrIiEEEENSB_INSC_ItEEEESG_tNS9_4plusIvEENS9_8equal_toIvEEtEE10hipError_tPvRmT2_T3_T4_T5_mT6_T7_P12ihipStream_tbENKUlT_T0_E_clISt17integral_constantIbLb0EES11_EEDaSW_SX_EUlSW_E_NS1_11comp_targetILNS1_3genE0ELNS1_11target_archE4294967295ELNS1_3gpuE0ELNS1_3repE0EEENS1_30default_config_static_selectorELNS0_4arch9wavefront6targetE1EEEvT1_,comdat
	.protected	_ZN7rocprim17ROCPRIM_400000_NS6detail17trampoline_kernelINS0_14default_configENS1_27scan_by_key_config_selectorIitEEZZNS1_16scan_by_key_implILNS1_25lookback_scan_determinismE0ELb0ES3_N6thrust23THRUST_200600_302600_NS6detail15normal_iteratorINS9_10device_ptrIiEEEENSB_INSC_ItEEEESG_tNS9_4plusIvEENS9_8equal_toIvEEtEE10hipError_tPvRmT2_T3_T4_T5_mT6_T7_P12ihipStream_tbENKUlT_T0_E_clISt17integral_constantIbLb0EES11_EEDaSW_SX_EUlSW_E_NS1_11comp_targetILNS1_3genE0ELNS1_11target_archE4294967295ELNS1_3gpuE0ELNS1_3repE0EEENS1_30default_config_static_selectorELNS0_4arch9wavefront6targetE1EEEvT1_ ; -- Begin function _ZN7rocprim17ROCPRIM_400000_NS6detail17trampoline_kernelINS0_14default_configENS1_27scan_by_key_config_selectorIitEEZZNS1_16scan_by_key_implILNS1_25lookback_scan_determinismE0ELb0ES3_N6thrust23THRUST_200600_302600_NS6detail15normal_iteratorINS9_10device_ptrIiEEEENSB_INSC_ItEEEESG_tNS9_4plusIvEENS9_8equal_toIvEEtEE10hipError_tPvRmT2_T3_T4_T5_mT6_T7_P12ihipStream_tbENKUlT_T0_E_clISt17integral_constantIbLb0EES11_EEDaSW_SX_EUlSW_E_NS1_11comp_targetILNS1_3genE0ELNS1_11target_archE4294967295ELNS1_3gpuE0ELNS1_3repE0EEENS1_30default_config_static_selectorELNS0_4arch9wavefront6targetE1EEEvT1_
	.globl	_ZN7rocprim17ROCPRIM_400000_NS6detail17trampoline_kernelINS0_14default_configENS1_27scan_by_key_config_selectorIitEEZZNS1_16scan_by_key_implILNS1_25lookback_scan_determinismE0ELb0ES3_N6thrust23THRUST_200600_302600_NS6detail15normal_iteratorINS9_10device_ptrIiEEEENSB_INSC_ItEEEESG_tNS9_4plusIvEENS9_8equal_toIvEEtEE10hipError_tPvRmT2_T3_T4_T5_mT6_T7_P12ihipStream_tbENKUlT_T0_E_clISt17integral_constantIbLb0EES11_EEDaSW_SX_EUlSW_E_NS1_11comp_targetILNS1_3genE0ELNS1_11target_archE4294967295ELNS1_3gpuE0ELNS1_3repE0EEENS1_30default_config_static_selectorELNS0_4arch9wavefront6targetE1EEEvT1_
	.p2align	8
	.type	_ZN7rocprim17ROCPRIM_400000_NS6detail17trampoline_kernelINS0_14default_configENS1_27scan_by_key_config_selectorIitEEZZNS1_16scan_by_key_implILNS1_25lookback_scan_determinismE0ELb0ES3_N6thrust23THRUST_200600_302600_NS6detail15normal_iteratorINS9_10device_ptrIiEEEENSB_INSC_ItEEEESG_tNS9_4plusIvEENS9_8equal_toIvEEtEE10hipError_tPvRmT2_T3_T4_T5_mT6_T7_P12ihipStream_tbENKUlT_T0_E_clISt17integral_constantIbLb0EES11_EEDaSW_SX_EUlSW_E_NS1_11comp_targetILNS1_3genE0ELNS1_11target_archE4294967295ELNS1_3gpuE0ELNS1_3repE0EEENS1_30default_config_static_selectorELNS0_4arch9wavefront6targetE1EEEvT1_,@function
_ZN7rocprim17ROCPRIM_400000_NS6detail17trampoline_kernelINS0_14default_configENS1_27scan_by_key_config_selectorIitEEZZNS1_16scan_by_key_implILNS1_25lookback_scan_determinismE0ELb0ES3_N6thrust23THRUST_200600_302600_NS6detail15normal_iteratorINS9_10device_ptrIiEEEENSB_INSC_ItEEEESG_tNS9_4plusIvEENS9_8equal_toIvEEtEE10hipError_tPvRmT2_T3_T4_T5_mT6_T7_P12ihipStream_tbENKUlT_T0_E_clISt17integral_constantIbLb0EES11_EEDaSW_SX_EUlSW_E_NS1_11comp_targetILNS1_3genE0ELNS1_11target_archE4294967295ELNS1_3gpuE0ELNS1_3repE0EEENS1_30default_config_static_selectorELNS0_4arch9wavefront6targetE1EEEvT1_: ; @_ZN7rocprim17ROCPRIM_400000_NS6detail17trampoline_kernelINS0_14default_configENS1_27scan_by_key_config_selectorIitEEZZNS1_16scan_by_key_implILNS1_25lookback_scan_determinismE0ELb0ES3_N6thrust23THRUST_200600_302600_NS6detail15normal_iteratorINS9_10device_ptrIiEEEENSB_INSC_ItEEEESG_tNS9_4plusIvEENS9_8equal_toIvEEtEE10hipError_tPvRmT2_T3_T4_T5_mT6_T7_P12ihipStream_tbENKUlT_T0_E_clISt17integral_constantIbLb0EES11_EEDaSW_SX_EUlSW_E_NS1_11comp_targetILNS1_3genE0ELNS1_11target_archE4294967295ELNS1_3gpuE0ELNS1_3repE0EEENS1_30default_config_static_selectorELNS0_4arch9wavefront6targetE1EEEvT1_
; %bb.0:
	.section	.rodata,"a",@progbits
	.p2align	6, 0x0
	.amdhsa_kernel _ZN7rocprim17ROCPRIM_400000_NS6detail17trampoline_kernelINS0_14default_configENS1_27scan_by_key_config_selectorIitEEZZNS1_16scan_by_key_implILNS1_25lookback_scan_determinismE0ELb0ES3_N6thrust23THRUST_200600_302600_NS6detail15normal_iteratorINS9_10device_ptrIiEEEENSB_INSC_ItEEEESG_tNS9_4plusIvEENS9_8equal_toIvEEtEE10hipError_tPvRmT2_T3_T4_T5_mT6_T7_P12ihipStream_tbENKUlT_T0_E_clISt17integral_constantIbLb0EES11_EEDaSW_SX_EUlSW_E_NS1_11comp_targetILNS1_3genE0ELNS1_11target_archE4294967295ELNS1_3gpuE0ELNS1_3repE0EEENS1_30default_config_static_selectorELNS0_4arch9wavefront6targetE1EEEvT1_
		.amdhsa_group_segment_fixed_size 0
		.amdhsa_private_segment_fixed_size 0
		.amdhsa_kernarg_size 112
		.amdhsa_user_sgpr_count 6
		.amdhsa_user_sgpr_private_segment_buffer 1
		.amdhsa_user_sgpr_dispatch_ptr 0
		.amdhsa_user_sgpr_queue_ptr 0
		.amdhsa_user_sgpr_kernarg_segment_ptr 1
		.amdhsa_user_sgpr_dispatch_id 0
		.amdhsa_user_sgpr_flat_scratch_init 0
		.amdhsa_user_sgpr_kernarg_preload_length 0
		.amdhsa_user_sgpr_kernarg_preload_offset 0
		.amdhsa_user_sgpr_private_segment_size 0
		.amdhsa_uses_dynamic_stack 0
		.amdhsa_system_sgpr_private_segment_wavefront_offset 0
		.amdhsa_system_sgpr_workgroup_id_x 1
		.amdhsa_system_sgpr_workgroup_id_y 0
		.amdhsa_system_sgpr_workgroup_id_z 0
		.amdhsa_system_sgpr_workgroup_info 0
		.amdhsa_system_vgpr_workitem_id 0
		.amdhsa_next_free_vgpr 1
		.amdhsa_next_free_sgpr 0
		.amdhsa_accum_offset 4
		.amdhsa_reserve_vcc 0
		.amdhsa_reserve_flat_scratch 0
		.amdhsa_float_round_mode_32 0
		.amdhsa_float_round_mode_16_64 0
		.amdhsa_float_denorm_mode_32 3
		.amdhsa_float_denorm_mode_16_64 3
		.amdhsa_dx10_clamp 1
		.amdhsa_ieee_mode 1
		.amdhsa_fp16_overflow 0
		.amdhsa_tg_split 0
		.amdhsa_exception_fp_ieee_invalid_op 0
		.amdhsa_exception_fp_denorm_src 0
		.amdhsa_exception_fp_ieee_div_zero 0
		.amdhsa_exception_fp_ieee_overflow 0
		.amdhsa_exception_fp_ieee_underflow 0
		.amdhsa_exception_fp_ieee_inexact 0
		.amdhsa_exception_int_div_zero 0
	.end_amdhsa_kernel
	.section	.text._ZN7rocprim17ROCPRIM_400000_NS6detail17trampoline_kernelINS0_14default_configENS1_27scan_by_key_config_selectorIitEEZZNS1_16scan_by_key_implILNS1_25lookback_scan_determinismE0ELb0ES3_N6thrust23THRUST_200600_302600_NS6detail15normal_iteratorINS9_10device_ptrIiEEEENSB_INSC_ItEEEESG_tNS9_4plusIvEENS9_8equal_toIvEEtEE10hipError_tPvRmT2_T3_T4_T5_mT6_T7_P12ihipStream_tbENKUlT_T0_E_clISt17integral_constantIbLb0EES11_EEDaSW_SX_EUlSW_E_NS1_11comp_targetILNS1_3genE0ELNS1_11target_archE4294967295ELNS1_3gpuE0ELNS1_3repE0EEENS1_30default_config_static_selectorELNS0_4arch9wavefront6targetE1EEEvT1_,"axG",@progbits,_ZN7rocprim17ROCPRIM_400000_NS6detail17trampoline_kernelINS0_14default_configENS1_27scan_by_key_config_selectorIitEEZZNS1_16scan_by_key_implILNS1_25lookback_scan_determinismE0ELb0ES3_N6thrust23THRUST_200600_302600_NS6detail15normal_iteratorINS9_10device_ptrIiEEEENSB_INSC_ItEEEESG_tNS9_4plusIvEENS9_8equal_toIvEEtEE10hipError_tPvRmT2_T3_T4_T5_mT6_T7_P12ihipStream_tbENKUlT_T0_E_clISt17integral_constantIbLb0EES11_EEDaSW_SX_EUlSW_E_NS1_11comp_targetILNS1_3genE0ELNS1_11target_archE4294967295ELNS1_3gpuE0ELNS1_3repE0EEENS1_30default_config_static_selectorELNS0_4arch9wavefront6targetE1EEEvT1_,comdat
.Lfunc_end1267:
	.size	_ZN7rocprim17ROCPRIM_400000_NS6detail17trampoline_kernelINS0_14default_configENS1_27scan_by_key_config_selectorIitEEZZNS1_16scan_by_key_implILNS1_25lookback_scan_determinismE0ELb0ES3_N6thrust23THRUST_200600_302600_NS6detail15normal_iteratorINS9_10device_ptrIiEEEENSB_INSC_ItEEEESG_tNS9_4plusIvEENS9_8equal_toIvEEtEE10hipError_tPvRmT2_T3_T4_T5_mT6_T7_P12ihipStream_tbENKUlT_T0_E_clISt17integral_constantIbLb0EES11_EEDaSW_SX_EUlSW_E_NS1_11comp_targetILNS1_3genE0ELNS1_11target_archE4294967295ELNS1_3gpuE0ELNS1_3repE0EEENS1_30default_config_static_selectorELNS0_4arch9wavefront6targetE1EEEvT1_, .Lfunc_end1267-_ZN7rocprim17ROCPRIM_400000_NS6detail17trampoline_kernelINS0_14default_configENS1_27scan_by_key_config_selectorIitEEZZNS1_16scan_by_key_implILNS1_25lookback_scan_determinismE0ELb0ES3_N6thrust23THRUST_200600_302600_NS6detail15normal_iteratorINS9_10device_ptrIiEEEENSB_INSC_ItEEEESG_tNS9_4plusIvEENS9_8equal_toIvEEtEE10hipError_tPvRmT2_T3_T4_T5_mT6_T7_P12ihipStream_tbENKUlT_T0_E_clISt17integral_constantIbLb0EES11_EEDaSW_SX_EUlSW_E_NS1_11comp_targetILNS1_3genE0ELNS1_11target_archE4294967295ELNS1_3gpuE0ELNS1_3repE0EEENS1_30default_config_static_selectorELNS0_4arch9wavefront6targetE1EEEvT1_
                                        ; -- End function
	.section	.AMDGPU.csdata,"",@progbits
; Kernel info:
; codeLenInByte = 0
; NumSgprs: 4
; NumVgprs: 0
; NumAgprs: 0
; TotalNumVgprs: 0
; ScratchSize: 0
; MemoryBound: 0
; FloatMode: 240
; IeeeMode: 1
; LDSByteSize: 0 bytes/workgroup (compile time only)
; SGPRBlocks: 0
; VGPRBlocks: 0
; NumSGPRsForWavesPerEU: 4
; NumVGPRsForWavesPerEU: 1
; AccumOffset: 4
; Occupancy: 8
; WaveLimiterHint : 0
; COMPUTE_PGM_RSRC2:SCRATCH_EN: 0
; COMPUTE_PGM_RSRC2:USER_SGPR: 6
; COMPUTE_PGM_RSRC2:TRAP_HANDLER: 0
; COMPUTE_PGM_RSRC2:TGID_X_EN: 1
; COMPUTE_PGM_RSRC2:TGID_Y_EN: 0
; COMPUTE_PGM_RSRC2:TGID_Z_EN: 0
; COMPUTE_PGM_RSRC2:TIDIG_COMP_CNT: 0
; COMPUTE_PGM_RSRC3_GFX90A:ACCUM_OFFSET: 0
; COMPUTE_PGM_RSRC3_GFX90A:TG_SPLIT: 0
	.section	.text._ZN7rocprim17ROCPRIM_400000_NS6detail17trampoline_kernelINS0_14default_configENS1_27scan_by_key_config_selectorIitEEZZNS1_16scan_by_key_implILNS1_25lookback_scan_determinismE0ELb0ES3_N6thrust23THRUST_200600_302600_NS6detail15normal_iteratorINS9_10device_ptrIiEEEENSB_INSC_ItEEEESG_tNS9_4plusIvEENS9_8equal_toIvEEtEE10hipError_tPvRmT2_T3_T4_T5_mT6_T7_P12ihipStream_tbENKUlT_T0_E_clISt17integral_constantIbLb0EES11_EEDaSW_SX_EUlSW_E_NS1_11comp_targetILNS1_3genE10ELNS1_11target_archE1201ELNS1_3gpuE5ELNS1_3repE0EEENS1_30default_config_static_selectorELNS0_4arch9wavefront6targetE1EEEvT1_,"axG",@progbits,_ZN7rocprim17ROCPRIM_400000_NS6detail17trampoline_kernelINS0_14default_configENS1_27scan_by_key_config_selectorIitEEZZNS1_16scan_by_key_implILNS1_25lookback_scan_determinismE0ELb0ES3_N6thrust23THRUST_200600_302600_NS6detail15normal_iteratorINS9_10device_ptrIiEEEENSB_INSC_ItEEEESG_tNS9_4plusIvEENS9_8equal_toIvEEtEE10hipError_tPvRmT2_T3_T4_T5_mT6_T7_P12ihipStream_tbENKUlT_T0_E_clISt17integral_constantIbLb0EES11_EEDaSW_SX_EUlSW_E_NS1_11comp_targetILNS1_3genE10ELNS1_11target_archE1201ELNS1_3gpuE5ELNS1_3repE0EEENS1_30default_config_static_selectorELNS0_4arch9wavefront6targetE1EEEvT1_,comdat
	.protected	_ZN7rocprim17ROCPRIM_400000_NS6detail17trampoline_kernelINS0_14default_configENS1_27scan_by_key_config_selectorIitEEZZNS1_16scan_by_key_implILNS1_25lookback_scan_determinismE0ELb0ES3_N6thrust23THRUST_200600_302600_NS6detail15normal_iteratorINS9_10device_ptrIiEEEENSB_INSC_ItEEEESG_tNS9_4plusIvEENS9_8equal_toIvEEtEE10hipError_tPvRmT2_T3_T4_T5_mT6_T7_P12ihipStream_tbENKUlT_T0_E_clISt17integral_constantIbLb0EES11_EEDaSW_SX_EUlSW_E_NS1_11comp_targetILNS1_3genE10ELNS1_11target_archE1201ELNS1_3gpuE5ELNS1_3repE0EEENS1_30default_config_static_selectorELNS0_4arch9wavefront6targetE1EEEvT1_ ; -- Begin function _ZN7rocprim17ROCPRIM_400000_NS6detail17trampoline_kernelINS0_14default_configENS1_27scan_by_key_config_selectorIitEEZZNS1_16scan_by_key_implILNS1_25lookback_scan_determinismE0ELb0ES3_N6thrust23THRUST_200600_302600_NS6detail15normal_iteratorINS9_10device_ptrIiEEEENSB_INSC_ItEEEESG_tNS9_4plusIvEENS9_8equal_toIvEEtEE10hipError_tPvRmT2_T3_T4_T5_mT6_T7_P12ihipStream_tbENKUlT_T0_E_clISt17integral_constantIbLb0EES11_EEDaSW_SX_EUlSW_E_NS1_11comp_targetILNS1_3genE10ELNS1_11target_archE1201ELNS1_3gpuE5ELNS1_3repE0EEENS1_30default_config_static_selectorELNS0_4arch9wavefront6targetE1EEEvT1_
	.globl	_ZN7rocprim17ROCPRIM_400000_NS6detail17trampoline_kernelINS0_14default_configENS1_27scan_by_key_config_selectorIitEEZZNS1_16scan_by_key_implILNS1_25lookback_scan_determinismE0ELb0ES3_N6thrust23THRUST_200600_302600_NS6detail15normal_iteratorINS9_10device_ptrIiEEEENSB_INSC_ItEEEESG_tNS9_4plusIvEENS9_8equal_toIvEEtEE10hipError_tPvRmT2_T3_T4_T5_mT6_T7_P12ihipStream_tbENKUlT_T0_E_clISt17integral_constantIbLb0EES11_EEDaSW_SX_EUlSW_E_NS1_11comp_targetILNS1_3genE10ELNS1_11target_archE1201ELNS1_3gpuE5ELNS1_3repE0EEENS1_30default_config_static_selectorELNS0_4arch9wavefront6targetE1EEEvT1_
	.p2align	8
	.type	_ZN7rocprim17ROCPRIM_400000_NS6detail17trampoline_kernelINS0_14default_configENS1_27scan_by_key_config_selectorIitEEZZNS1_16scan_by_key_implILNS1_25lookback_scan_determinismE0ELb0ES3_N6thrust23THRUST_200600_302600_NS6detail15normal_iteratorINS9_10device_ptrIiEEEENSB_INSC_ItEEEESG_tNS9_4plusIvEENS9_8equal_toIvEEtEE10hipError_tPvRmT2_T3_T4_T5_mT6_T7_P12ihipStream_tbENKUlT_T0_E_clISt17integral_constantIbLb0EES11_EEDaSW_SX_EUlSW_E_NS1_11comp_targetILNS1_3genE10ELNS1_11target_archE1201ELNS1_3gpuE5ELNS1_3repE0EEENS1_30default_config_static_selectorELNS0_4arch9wavefront6targetE1EEEvT1_,@function
_ZN7rocprim17ROCPRIM_400000_NS6detail17trampoline_kernelINS0_14default_configENS1_27scan_by_key_config_selectorIitEEZZNS1_16scan_by_key_implILNS1_25lookback_scan_determinismE0ELb0ES3_N6thrust23THRUST_200600_302600_NS6detail15normal_iteratorINS9_10device_ptrIiEEEENSB_INSC_ItEEEESG_tNS9_4plusIvEENS9_8equal_toIvEEtEE10hipError_tPvRmT2_T3_T4_T5_mT6_T7_P12ihipStream_tbENKUlT_T0_E_clISt17integral_constantIbLb0EES11_EEDaSW_SX_EUlSW_E_NS1_11comp_targetILNS1_3genE10ELNS1_11target_archE1201ELNS1_3gpuE5ELNS1_3repE0EEENS1_30default_config_static_selectorELNS0_4arch9wavefront6targetE1EEEvT1_: ; @_ZN7rocprim17ROCPRIM_400000_NS6detail17trampoline_kernelINS0_14default_configENS1_27scan_by_key_config_selectorIitEEZZNS1_16scan_by_key_implILNS1_25lookback_scan_determinismE0ELb0ES3_N6thrust23THRUST_200600_302600_NS6detail15normal_iteratorINS9_10device_ptrIiEEEENSB_INSC_ItEEEESG_tNS9_4plusIvEENS9_8equal_toIvEEtEE10hipError_tPvRmT2_T3_T4_T5_mT6_T7_P12ihipStream_tbENKUlT_T0_E_clISt17integral_constantIbLb0EES11_EEDaSW_SX_EUlSW_E_NS1_11comp_targetILNS1_3genE10ELNS1_11target_archE1201ELNS1_3gpuE5ELNS1_3repE0EEENS1_30default_config_static_selectorELNS0_4arch9wavefront6targetE1EEEvT1_
; %bb.0:
	.section	.rodata,"a",@progbits
	.p2align	6, 0x0
	.amdhsa_kernel _ZN7rocprim17ROCPRIM_400000_NS6detail17trampoline_kernelINS0_14default_configENS1_27scan_by_key_config_selectorIitEEZZNS1_16scan_by_key_implILNS1_25lookback_scan_determinismE0ELb0ES3_N6thrust23THRUST_200600_302600_NS6detail15normal_iteratorINS9_10device_ptrIiEEEENSB_INSC_ItEEEESG_tNS9_4plusIvEENS9_8equal_toIvEEtEE10hipError_tPvRmT2_T3_T4_T5_mT6_T7_P12ihipStream_tbENKUlT_T0_E_clISt17integral_constantIbLb0EES11_EEDaSW_SX_EUlSW_E_NS1_11comp_targetILNS1_3genE10ELNS1_11target_archE1201ELNS1_3gpuE5ELNS1_3repE0EEENS1_30default_config_static_selectorELNS0_4arch9wavefront6targetE1EEEvT1_
		.amdhsa_group_segment_fixed_size 0
		.amdhsa_private_segment_fixed_size 0
		.amdhsa_kernarg_size 112
		.amdhsa_user_sgpr_count 6
		.amdhsa_user_sgpr_private_segment_buffer 1
		.amdhsa_user_sgpr_dispatch_ptr 0
		.amdhsa_user_sgpr_queue_ptr 0
		.amdhsa_user_sgpr_kernarg_segment_ptr 1
		.amdhsa_user_sgpr_dispatch_id 0
		.amdhsa_user_sgpr_flat_scratch_init 0
		.amdhsa_user_sgpr_kernarg_preload_length 0
		.amdhsa_user_sgpr_kernarg_preload_offset 0
		.amdhsa_user_sgpr_private_segment_size 0
		.amdhsa_uses_dynamic_stack 0
		.amdhsa_system_sgpr_private_segment_wavefront_offset 0
		.amdhsa_system_sgpr_workgroup_id_x 1
		.amdhsa_system_sgpr_workgroup_id_y 0
		.amdhsa_system_sgpr_workgroup_id_z 0
		.amdhsa_system_sgpr_workgroup_info 0
		.amdhsa_system_vgpr_workitem_id 0
		.amdhsa_next_free_vgpr 1
		.amdhsa_next_free_sgpr 0
		.amdhsa_accum_offset 4
		.amdhsa_reserve_vcc 0
		.amdhsa_reserve_flat_scratch 0
		.amdhsa_float_round_mode_32 0
		.amdhsa_float_round_mode_16_64 0
		.amdhsa_float_denorm_mode_32 3
		.amdhsa_float_denorm_mode_16_64 3
		.amdhsa_dx10_clamp 1
		.amdhsa_ieee_mode 1
		.amdhsa_fp16_overflow 0
		.amdhsa_tg_split 0
		.amdhsa_exception_fp_ieee_invalid_op 0
		.amdhsa_exception_fp_denorm_src 0
		.amdhsa_exception_fp_ieee_div_zero 0
		.amdhsa_exception_fp_ieee_overflow 0
		.amdhsa_exception_fp_ieee_underflow 0
		.amdhsa_exception_fp_ieee_inexact 0
		.amdhsa_exception_int_div_zero 0
	.end_amdhsa_kernel
	.section	.text._ZN7rocprim17ROCPRIM_400000_NS6detail17trampoline_kernelINS0_14default_configENS1_27scan_by_key_config_selectorIitEEZZNS1_16scan_by_key_implILNS1_25lookback_scan_determinismE0ELb0ES3_N6thrust23THRUST_200600_302600_NS6detail15normal_iteratorINS9_10device_ptrIiEEEENSB_INSC_ItEEEESG_tNS9_4plusIvEENS9_8equal_toIvEEtEE10hipError_tPvRmT2_T3_T4_T5_mT6_T7_P12ihipStream_tbENKUlT_T0_E_clISt17integral_constantIbLb0EES11_EEDaSW_SX_EUlSW_E_NS1_11comp_targetILNS1_3genE10ELNS1_11target_archE1201ELNS1_3gpuE5ELNS1_3repE0EEENS1_30default_config_static_selectorELNS0_4arch9wavefront6targetE1EEEvT1_,"axG",@progbits,_ZN7rocprim17ROCPRIM_400000_NS6detail17trampoline_kernelINS0_14default_configENS1_27scan_by_key_config_selectorIitEEZZNS1_16scan_by_key_implILNS1_25lookback_scan_determinismE0ELb0ES3_N6thrust23THRUST_200600_302600_NS6detail15normal_iteratorINS9_10device_ptrIiEEEENSB_INSC_ItEEEESG_tNS9_4plusIvEENS9_8equal_toIvEEtEE10hipError_tPvRmT2_T3_T4_T5_mT6_T7_P12ihipStream_tbENKUlT_T0_E_clISt17integral_constantIbLb0EES11_EEDaSW_SX_EUlSW_E_NS1_11comp_targetILNS1_3genE10ELNS1_11target_archE1201ELNS1_3gpuE5ELNS1_3repE0EEENS1_30default_config_static_selectorELNS0_4arch9wavefront6targetE1EEEvT1_,comdat
.Lfunc_end1268:
	.size	_ZN7rocprim17ROCPRIM_400000_NS6detail17trampoline_kernelINS0_14default_configENS1_27scan_by_key_config_selectorIitEEZZNS1_16scan_by_key_implILNS1_25lookback_scan_determinismE0ELb0ES3_N6thrust23THRUST_200600_302600_NS6detail15normal_iteratorINS9_10device_ptrIiEEEENSB_INSC_ItEEEESG_tNS9_4plusIvEENS9_8equal_toIvEEtEE10hipError_tPvRmT2_T3_T4_T5_mT6_T7_P12ihipStream_tbENKUlT_T0_E_clISt17integral_constantIbLb0EES11_EEDaSW_SX_EUlSW_E_NS1_11comp_targetILNS1_3genE10ELNS1_11target_archE1201ELNS1_3gpuE5ELNS1_3repE0EEENS1_30default_config_static_selectorELNS0_4arch9wavefront6targetE1EEEvT1_, .Lfunc_end1268-_ZN7rocprim17ROCPRIM_400000_NS6detail17trampoline_kernelINS0_14default_configENS1_27scan_by_key_config_selectorIitEEZZNS1_16scan_by_key_implILNS1_25lookback_scan_determinismE0ELb0ES3_N6thrust23THRUST_200600_302600_NS6detail15normal_iteratorINS9_10device_ptrIiEEEENSB_INSC_ItEEEESG_tNS9_4plusIvEENS9_8equal_toIvEEtEE10hipError_tPvRmT2_T3_T4_T5_mT6_T7_P12ihipStream_tbENKUlT_T0_E_clISt17integral_constantIbLb0EES11_EEDaSW_SX_EUlSW_E_NS1_11comp_targetILNS1_3genE10ELNS1_11target_archE1201ELNS1_3gpuE5ELNS1_3repE0EEENS1_30default_config_static_selectorELNS0_4arch9wavefront6targetE1EEEvT1_
                                        ; -- End function
	.section	.AMDGPU.csdata,"",@progbits
; Kernel info:
; codeLenInByte = 0
; NumSgprs: 4
; NumVgprs: 0
; NumAgprs: 0
; TotalNumVgprs: 0
; ScratchSize: 0
; MemoryBound: 0
; FloatMode: 240
; IeeeMode: 1
; LDSByteSize: 0 bytes/workgroup (compile time only)
; SGPRBlocks: 0
; VGPRBlocks: 0
; NumSGPRsForWavesPerEU: 4
; NumVGPRsForWavesPerEU: 1
; AccumOffset: 4
; Occupancy: 8
; WaveLimiterHint : 0
; COMPUTE_PGM_RSRC2:SCRATCH_EN: 0
; COMPUTE_PGM_RSRC2:USER_SGPR: 6
; COMPUTE_PGM_RSRC2:TRAP_HANDLER: 0
; COMPUTE_PGM_RSRC2:TGID_X_EN: 1
; COMPUTE_PGM_RSRC2:TGID_Y_EN: 0
; COMPUTE_PGM_RSRC2:TGID_Z_EN: 0
; COMPUTE_PGM_RSRC2:TIDIG_COMP_CNT: 0
; COMPUTE_PGM_RSRC3_GFX90A:ACCUM_OFFSET: 0
; COMPUTE_PGM_RSRC3_GFX90A:TG_SPLIT: 0
	.section	.text._ZN7rocprim17ROCPRIM_400000_NS6detail17trampoline_kernelINS0_14default_configENS1_27scan_by_key_config_selectorIitEEZZNS1_16scan_by_key_implILNS1_25lookback_scan_determinismE0ELb0ES3_N6thrust23THRUST_200600_302600_NS6detail15normal_iteratorINS9_10device_ptrIiEEEENSB_INSC_ItEEEESG_tNS9_4plusIvEENS9_8equal_toIvEEtEE10hipError_tPvRmT2_T3_T4_T5_mT6_T7_P12ihipStream_tbENKUlT_T0_E_clISt17integral_constantIbLb0EES11_EEDaSW_SX_EUlSW_E_NS1_11comp_targetILNS1_3genE5ELNS1_11target_archE942ELNS1_3gpuE9ELNS1_3repE0EEENS1_30default_config_static_selectorELNS0_4arch9wavefront6targetE1EEEvT1_,"axG",@progbits,_ZN7rocprim17ROCPRIM_400000_NS6detail17trampoline_kernelINS0_14default_configENS1_27scan_by_key_config_selectorIitEEZZNS1_16scan_by_key_implILNS1_25lookback_scan_determinismE0ELb0ES3_N6thrust23THRUST_200600_302600_NS6detail15normal_iteratorINS9_10device_ptrIiEEEENSB_INSC_ItEEEESG_tNS9_4plusIvEENS9_8equal_toIvEEtEE10hipError_tPvRmT2_T3_T4_T5_mT6_T7_P12ihipStream_tbENKUlT_T0_E_clISt17integral_constantIbLb0EES11_EEDaSW_SX_EUlSW_E_NS1_11comp_targetILNS1_3genE5ELNS1_11target_archE942ELNS1_3gpuE9ELNS1_3repE0EEENS1_30default_config_static_selectorELNS0_4arch9wavefront6targetE1EEEvT1_,comdat
	.protected	_ZN7rocprim17ROCPRIM_400000_NS6detail17trampoline_kernelINS0_14default_configENS1_27scan_by_key_config_selectorIitEEZZNS1_16scan_by_key_implILNS1_25lookback_scan_determinismE0ELb0ES3_N6thrust23THRUST_200600_302600_NS6detail15normal_iteratorINS9_10device_ptrIiEEEENSB_INSC_ItEEEESG_tNS9_4plusIvEENS9_8equal_toIvEEtEE10hipError_tPvRmT2_T3_T4_T5_mT6_T7_P12ihipStream_tbENKUlT_T0_E_clISt17integral_constantIbLb0EES11_EEDaSW_SX_EUlSW_E_NS1_11comp_targetILNS1_3genE5ELNS1_11target_archE942ELNS1_3gpuE9ELNS1_3repE0EEENS1_30default_config_static_selectorELNS0_4arch9wavefront6targetE1EEEvT1_ ; -- Begin function _ZN7rocprim17ROCPRIM_400000_NS6detail17trampoline_kernelINS0_14default_configENS1_27scan_by_key_config_selectorIitEEZZNS1_16scan_by_key_implILNS1_25lookback_scan_determinismE0ELb0ES3_N6thrust23THRUST_200600_302600_NS6detail15normal_iteratorINS9_10device_ptrIiEEEENSB_INSC_ItEEEESG_tNS9_4plusIvEENS9_8equal_toIvEEtEE10hipError_tPvRmT2_T3_T4_T5_mT6_T7_P12ihipStream_tbENKUlT_T0_E_clISt17integral_constantIbLb0EES11_EEDaSW_SX_EUlSW_E_NS1_11comp_targetILNS1_3genE5ELNS1_11target_archE942ELNS1_3gpuE9ELNS1_3repE0EEENS1_30default_config_static_selectorELNS0_4arch9wavefront6targetE1EEEvT1_
	.globl	_ZN7rocprim17ROCPRIM_400000_NS6detail17trampoline_kernelINS0_14default_configENS1_27scan_by_key_config_selectorIitEEZZNS1_16scan_by_key_implILNS1_25lookback_scan_determinismE0ELb0ES3_N6thrust23THRUST_200600_302600_NS6detail15normal_iteratorINS9_10device_ptrIiEEEENSB_INSC_ItEEEESG_tNS9_4plusIvEENS9_8equal_toIvEEtEE10hipError_tPvRmT2_T3_T4_T5_mT6_T7_P12ihipStream_tbENKUlT_T0_E_clISt17integral_constantIbLb0EES11_EEDaSW_SX_EUlSW_E_NS1_11comp_targetILNS1_3genE5ELNS1_11target_archE942ELNS1_3gpuE9ELNS1_3repE0EEENS1_30default_config_static_selectorELNS0_4arch9wavefront6targetE1EEEvT1_
	.p2align	8
	.type	_ZN7rocprim17ROCPRIM_400000_NS6detail17trampoline_kernelINS0_14default_configENS1_27scan_by_key_config_selectorIitEEZZNS1_16scan_by_key_implILNS1_25lookback_scan_determinismE0ELb0ES3_N6thrust23THRUST_200600_302600_NS6detail15normal_iteratorINS9_10device_ptrIiEEEENSB_INSC_ItEEEESG_tNS9_4plusIvEENS9_8equal_toIvEEtEE10hipError_tPvRmT2_T3_T4_T5_mT6_T7_P12ihipStream_tbENKUlT_T0_E_clISt17integral_constantIbLb0EES11_EEDaSW_SX_EUlSW_E_NS1_11comp_targetILNS1_3genE5ELNS1_11target_archE942ELNS1_3gpuE9ELNS1_3repE0EEENS1_30default_config_static_selectorELNS0_4arch9wavefront6targetE1EEEvT1_,@function
_ZN7rocprim17ROCPRIM_400000_NS6detail17trampoline_kernelINS0_14default_configENS1_27scan_by_key_config_selectorIitEEZZNS1_16scan_by_key_implILNS1_25lookback_scan_determinismE0ELb0ES3_N6thrust23THRUST_200600_302600_NS6detail15normal_iteratorINS9_10device_ptrIiEEEENSB_INSC_ItEEEESG_tNS9_4plusIvEENS9_8equal_toIvEEtEE10hipError_tPvRmT2_T3_T4_T5_mT6_T7_P12ihipStream_tbENKUlT_T0_E_clISt17integral_constantIbLb0EES11_EEDaSW_SX_EUlSW_E_NS1_11comp_targetILNS1_3genE5ELNS1_11target_archE942ELNS1_3gpuE9ELNS1_3repE0EEENS1_30default_config_static_selectorELNS0_4arch9wavefront6targetE1EEEvT1_: ; @_ZN7rocprim17ROCPRIM_400000_NS6detail17trampoline_kernelINS0_14default_configENS1_27scan_by_key_config_selectorIitEEZZNS1_16scan_by_key_implILNS1_25lookback_scan_determinismE0ELb0ES3_N6thrust23THRUST_200600_302600_NS6detail15normal_iteratorINS9_10device_ptrIiEEEENSB_INSC_ItEEEESG_tNS9_4plusIvEENS9_8equal_toIvEEtEE10hipError_tPvRmT2_T3_T4_T5_mT6_T7_P12ihipStream_tbENKUlT_T0_E_clISt17integral_constantIbLb0EES11_EEDaSW_SX_EUlSW_E_NS1_11comp_targetILNS1_3genE5ELNS1_11target_archE942ELNS1_3gpuE9ELNS1_3repE0EEENS1_30default_config_static_selectorELNS0_4arch9wavefront6targetE1EEEvT1_
; %bb.0:
	.section	.rodata,"a",@progbits
	.p2align	6, 0x0
	.amdhsa_kernel _ZN7rocprim17ROCPRIM_400000_NS6detail17trampoline_kernelINS0_14default_configENS1_27scan_by_key_config_selectorIitEEZZNS1_16scan_by_key_implILNS1_25lookback_scan_determinismE0ELb0ES3_N6thrust23THRUST_200600_302600_NS6detail15normal_iteratorINS9_10device_ptrIiEEEENSB_INSC_ItEEEESG_tNS9_4plusIvEENS9_8equal_toIvEEtEE10hipError_tPvRmT2_T3_T4_T5_mT6_T7_P12ihipStream_tbENKUlT_T0_E_clISt17integral_constantIbLb0EES11_EEDaSW_SX_EUlSW_E_NS1_11comp_targetILNS1_3genE5ELNS1_11target_archE942ELNS1_3gpuE9ELNS1_3repE0EEENS1_30default_config_static_selectorELNS0_4arch9wavefront6targetE1EEEvT1_
		.amdhsa_group_segment_fixed_size 0
		.amdhsa_private_segment_fixed_size 0
		.amdhsa_kernarg_size 112
		.amdhsa_user_sgpr_count 6
		.amdhsa_user_sgpr_private_segment_buffer 1
		.amdhsa_user_sgpr_dispatch_ptr 0
		.amdhsa_user_sgpr_queue_ptr 0
		.amdhsa_user_sgpr_kernarg_segment_ptr 1
		.amdhsa_user_sgpr_dispatch_id 0
		.amdhsa_user_sgpr_flat_scratch_init 0
		.amdhsa_user_sgpr_kernarg_preload_length 0
		.amdhsa_user_sgpr_kernarg_preload_offset 0
		.amdhsa_user_sgpr_private_segment_size 0
		.amdhsa_uses_dynamic_stack 0
		.amdhsa_system_sgpr_private_segment_wavefront_offset 0
		.amdhsa_system_sgpr_workgroup_id_x 1
		.amdhsa_system_sgpr_workgroup_id_y 0
		.amdhsa_system_sgpr_workgroup_id_z 0
		.amdhsa_system_sgpr_workgroup_info 0
		.amdhsa_system_vgpr_workitem_id 0
		.amdhsa_next_free_vgpr 1
		.amdhsa_next_free_sgpr 0
		.amdhsa_accum_offset 4
		.amdhsa_reserve_vcc 0
		.amdhsa_reserve_flat_scratch 0
		.amdhsa_float_round_mode_32 0
		.amdhsa_float_round_mode_16_64 0
		.amdhsa_float_denorm_mode_32 3
		.amdhsa_float_denorm_mode_16_64 3
		.amdhsa_dx10_clamp 1
		.amdhsa_ieee_mode 1
		.amdhsa_fp16_overflow 0
		.amdhsa_tg_split 0
		.amdhsa_exception_fp_ieee_invalid_op 0
		.amdhsa_exception_fp_denorm_src 0
		.amdhsa_exception_fp_ieee_div_zero 0
		.amdhsa_exception_fp_ieee_overflow 0
		.amdhsa_exception_fp_ieee_underflow 0
		.amdhsa_exception_fp_ieee_inexact 0
		.amdhsa_exception_int_div_zero 0
	.end_amdhsa_kernel
	.section	.text._ZN7rocprim17ROCPRIM_400000_NS6detail17trampoline_kernelINS0_14default_configENS1_27scan_by_key_config_selectorIitEEZZNS1_16scan_by_key_implILNS1_25lookback_scan_determinismE0ELb0ES3_N6thrust23THRUST_200600_302600_NS6detail15normal_iteratorINS9_10device_ptrIiEEEENSB_INSC_ItEEEESG_tNS9_4plusIvEENS9_8equal_toIvEEtEE10hipError_tPvRmT2_T3_T4_T5_mT6_T7_P12ihipStream_tbENKUlT_T0_E_clISt17integral_constantIbLb0EES11_EEDaSW_SX_EUlSW_E_NS1_11comp_targetILNS1_3genE5ELNS1_11target_archE942ELNS1_3gpuE9ELNS1_3repE0EEENS1_30default_config_static_selectorELNS0_4arch9wavefront6targetE1EEEvT1_,"axG",@progbits,_ZN7rocprim17ROCPRIM_400000_NS6detail17trampoline_kernelINS0_14default_configENS1_27scan_by_key_config_selectorIitEEZZNS1_16scan_by_key_implILNS1_25lookback_scan_determinismE0ELb0ES3_N6thrust23THRUST_200600_302600_NS6detail15normal_iteratorINS9_10device_ptrIiEEEENSB_INSC_ItEEEESG_tNS9_4plusIvEENS9_8equal_toIvEEtEE10hipError_tPvRmT2_T3_T4_T5_mT6_T7_P12ihipStream_tbENKUlT_T0_E_clISt17integral_constantIbLb0EES11_EEDaSW_SX_EUlSW_E_NS1_11comp_targetILNS1_3genE5ELNS1_11target_archE942ELNS1_3gpuE9ELNS1_3repE0EEENS1_30default_config_static_selectorELNS0_4arch9wavefront6targetE1EEEvT1_,comdat
.Lfunc_end1269:
	.size	_ZN7rocprim17ROCPRIM_400000_NS6detail17trampoline_kernelINS0_14default_configENS1_27scan_by_key_config_selectorIitEEZZNS1_16scan_by_key_implILNS1_25lookback_scan_determinismE0ELb0ES3_N6thrust23THRUST_200600_302600_NS6detail15normal_iteratorINS9_10device_ptrIiEEEENSB_INSC_ItEEEESG_tNS9_4plusIvEENS9_8equal_toIvEEtEE10hipError_tPvRmT2_T3_T4_T5_mT6_T7_P12ihipStream_tbENKUlT_T0_E_clISt17integral_constantIbLb0EES11_EEDaSW_SX_EUlSW_E_NS1_11comp_targetILNS1_3genE5ELNS1_11target_archE942ELNS1_3gpuE9ELNS1_3repE0EEENS1_30default_config_static_selectorELNS0_4arch9wavefront6targetE1EEEvT1_, .Lfunc_end1269-_ZN7rocprim17ROCPRIM_400000_NS6detail17trampoline_kernelINS0_14default_configENS1_27scan_by_key_config_selectorIitEEZZNS1_16scan_by_key_implILNS1_25lookback_scan_determinismE0ELb0ES3_N6thrust23THRUST_200600_302600_NS6detail15normal_iteratorINS9_10device_ptrIiEEEENSB_INSC_ItEEEESG_tNS9_4plusIvEENS9_8equal_toIvEEtEE10hipError_tPvRmT2_T3_T4_T5_mT6_T7_P12ihipStream_tbENKUlT_T0_E_clISt17integral_constantIbLb0EES11_EEDaSW_SX_EUlSW_E_NS1_11comp_targetILNS1_3genE5ELNS1_11target_archE942ELNS1_3gpuE9ELNS1_3repE0EEENS1_30default_config_static_selectorELNS0_4arch9wavefront6targetE1EEEvT1_
                                        ; -- End function
	.section	.AMDGPU.csdata,"",@progbits
; Kernel info:
; codeLenInByte = 0
; NumSgprs: 4
; NumVgprs: 0
; NumAgprs: 0
; TotalNumVgprs: 0
; ScratchSize: 0
; MemoryBound: 0
; FloatMode: 240
; IeeeMode: 1
; LDSByteSize: 0 bytes/workgroup (compile time only)
; SGPRBlocks: 0
; VGPRBlocks: 0
; NumSGPRsForWavesPerEU: 4
; NumVGPRsForWavesPerEU: 1
; AccumOffset: 4
; Occupancy: 8
; WaveLimiterHint : 0
; COMPUTE_PGM_RSRC2:SCRATCH_EN: 0
; COMPUTE_PGM_RSRC2:USER_SGPR: 6
; COMPUTE_PGM_RSRC2:TRAP_HANDLER: 0
; COMPUTE_PGM_RSRC2:TGID_X_EN: 1
; COMPUTE_PGM_RSRC2:TGID_Y_EN: 0
; COMPUTE_PGM_RSRC2:TGID_Z_EN: 0
; COMPUTE_PGM_RSRC2:TIDIG_COMP_CNT: 0
; COMPUTE_PGM_RSRC3_GFX90A:ACCUM_OFFSET: 0
; COMPUTE_PGM_RSRC3_GFX90A:TG_SPLIT: 0
	.section	.text._ZN7rocprim17ROCPRIM_400000_NS6detail17trampoline_kernelINS0_14default_configENS1_27scan_by_key_config_selectorIitEEZZNS1_16scan_by_key_implILNS1_25lookback_scan_determinismE0ELb0ES3_N6thrust23THRUST_200600_302600_NS6detail15normal_iteratorINS9_10device_ptrIiEEEENSB_INSC_ItEEEESG_tNS9_4plusIvEENS9_8equal_toIvEEtEE10hipError_tPvRmT2_T3_T4_T5_mT6_T7_P12ihipStream_tbENKUlT_T0_E_clISt17integral_constantIbLb0EES11_EEDaSW_SX_EUlSW_E_NS1_11comp_targetILNS1_3genE4ELNS1_11target_archE910ELNS1_3gpuE8ELNS1_3repE0EEENS1_30default_config_static_selectorELNS0_4arch9wavefront6targetE1EEEvT1_,"axG",@progbits,_ZN7rocprim17ROCPRIM_400000_NS6detail17trampoline_kernelINS0_14default_configENS1_27scan_by_key_config_selectorIitEEZZNS1_16scan_by_key_implILNS1_25lookback_scan_determinismE0ELb0ES3_N6thrust23THRUST_200600_302600_NS6detail15normal_iteratorINS9_10device_ptrIiEEEENSB_INSC_ItEEEESG_tNS9_4plusIvEENS9_8equal_toIvEEtEE10hipError_tPvRmT2_T3_T4_T5_mT6_T7_P12ihipStream_tbENKUlT_T0_E_clISt17integral_constantIbLb0EES11_EEDaSW_SX_EUlSW_E_NS1_11comp_targetILNS1_3genE4ELNS1_11target_archE910ELNS1_3gpuE8ELNS1_3repE0EEENS1_30default_config_static_selectorELNS0_4arch9wavefront6targetE1EEEvT1_,comdat
	.protected	_ZN7rocprim17ROCPRIM_400000_NS6detail17trampoline_kernelINS0_14default_configENS1_27scan_by_key_config_selectorIitEEZZNS1_16scan_by_key_implILNS1_25lookback_scan_determinismE0ELb0ES3_N6thrust23THRUST_200600_302600_NS6detail15normal_iteratorINS9_10device_ptrIiEEEENSB_INSC_ItEEEESG_tNS9_4plusIvEENS9_8equal_toIvEEtEE10hipError_tPvRmT2_T3_T4_T5_mT6_T7_P12ihipStream_tbENKUlT_T0_E_clISt17integral_constantIbLb0EES11_EEDaSW_SX_EUlSW_E_NS1_11comp_targetILNS1_3genE4ELNS1_11target_archE910ELNS1_3gpuE8ELNS1_3repE0EEENS1_30default_config_static_selectorELNS0_4arch9wavefront6targetE1EEEvT1_ ; -- Begin function _ZN7rocprim17ROCPRIM_400000_NS6detail17trampoline_kernelINS0_14default_configENS1_27scan_by_key_config_selectorIitEEZZNS1_16scan_by_key_implILNS1_25lookback_scan_determinismE0ELb0ES3_N6thrust23THRUST_200600_302600_NS6detail15normal_iteratorINS9_10device_ptrIiEEEENSB_INSC_ItEEEESG_tNS9_4plusIvEENS9_8equal_toIvEEtEE10hipError_tPvRmT2_T3_T4_T5_mT6_T7_P12ihipStream_tbENKUlT_T0_E_clISt17integral_constantIbLb0EES11_EEDaSW_SX_EUlSW_E_NS1_11comp_targetILNS1_3genE4ELNS1_11target_archE910ELNS1_3gpuE8ELNS1_3repE0EEENS1_30default_config_static_selectorELNS0_4arch9wavefront6targetE1EEEvT1_
	.globl	_ZN7rocprim17ROCPRIM_400000_NS6detail17trampoline_kernelINS0_14default_configENS1_27scan_by_key_config_selectorIitEEZZNS1_16scan_by_key_implILNS1_25lookback_scan_determinismE0ELb0ES3_N6thrust23THRUST_200600_302600_NS6detail15normal_iteratorINS9_10device_ptrIiEEEENSB_INSC_ItEEEESG_tNS9_4plusIvEENS9_8equal_toIvEEtEE10hipError_tPvRmT2_T3_T4_T5_mT6_T7_P12ihipStream_tbENKUlT_T0_E_clISt17integral_constantIbLb0EES11_EEDaSW_SX_EUlSW_E_NS1_11comp_targetILNS1_3genE4ELNS1_11target_archE910ELNS1_3gpuE8ELNS1_3repE0EEENS1_30default_config_static_selectorELNS0_4arch9wavefront6targetE1EEEvT1_
	.p2align	8
	.type	_ZN7rocprim17ROCPRIM_400000_NS6detail17trampoline_kernelINS0_14default_configENS1_27scan_by_key_config_selectorIitEEZZNS1_16scan_by_key_implILNS1_25lookback_scan_determinismE0ELb0ES3_N6thrust23THRUST_200600_302600_NS6detail15normal_iteratorINS9_10device_ptrIiEEEENSB_INSC_ItEEEESG_tNS9_4plusIvEENS9_8equal_toIvEEtEE10hipError_tPvRmT2_T3_T4_T5_mT6_T7_P12ihipStream_tbENKUlT_T0_E_clISt17integral_constantIbLb0EES11_EEDaSW_SX_EUlSW_E_NS1_11comp_targetILNS1_3genE4ELNS1_11target_archE910ELNS1_3gpuE8ELNS1_3repE0EEENS1_30default_config_static_selectorELNS0_4arch9wavefront6targetE1EEEvT1_,@function
_ZN7rocprim17ROCPRIM_400000_NS6detail17trampoline_kernelINS0_14default_configENS1_27scan_by_key_config_selectorIitEEZZNS1_16scan_by_key_implILNS1_25lookback_scan_determinismE0ELb0ES3_N6thrust23THRUST_200600_302600_NS6detail15normal_iteratorINS9_10device_ptrIiEEEENSB_INSC_ItEEEESG_tNS9_4plusIvEENS9_8equal_toIvEEtEE10hipError_tPvRmT2_T3_T4_T5_mT6_T7_P12ihipStream_tbENKUlT_T0_E_clISt17integral_constantIbLb0EES11_EEDaSW_SX_EUlSW_E_NS1_11comp_targetILNS1_3genE4ELNS1_11target_archE910ELNS1_3gpuE8ELNS1_3repE0EEENS1_30default_config_static_selectorELNS0_4arch9wavefront6targetE1EEEvT1_: ; @_ZN7rocprim17ROCPRIM_400000_NS6detail17trampoline_kernelINS0_14default_configENS1_27scan_by_key_config_selectorIitEEZZNS1_16scan_by_key_implILNS1_25lookback_scan_determinismE0ELb0ES3_N6thrust23THRUST_200600_302600_NS6detail15normal_iteratorINS9_10device_ptrIiEEEENSB_INSC_ItEEEESG_tNS9_4plusIvEENS9_8equal_toIvEEtEE10hipError_tPvRmT2_T3_T4_T5_mT6_T7_P12ihipStream_tbENKUlT_T0_E_clISt17integral_constantIbLb0EES11_EEDaSW_SX_EUlSW_E_NS1_11comp_targetILNS1_3genE4ELNS1_11target_archE910ELNS1_3gpuE8ELNS1_3repE0EEENS1_30default_config_static_selectorELNS0_4arch9wavefront6targetE1EEEvT1_
; %bb.0:
	s_load_dwordx8 s[52:59], s[4:5], 0x0
	s_load_dwordx4 s[68:71], s[4:5], 0x28
	s_load_dwordx2 s[74:75], s[4:5], 0x38
	s_load_dword s2, s[4:5], 0x40
	s_load_dwordx8 s[60:67], s[4:5], 0x48
	s_waitcnt lgkmcnt(0)
	s_lshl_b64 s[0:1], s[54:55], 2
	s_add_u32 s4, s52, s0
	s_addc_u32 s5, s53, s1
	s_lshl_b64 s[72:73], s[54:55], 1
	s_add_u32 s7, s56, s72
	s_mul_i32 s0, s75, s2
	s_mul_hi_u32 s1, s74, s2
	s_addc_u32 s8, s57, s73
	s_add_i32 s9, s1, s0
	s_cmp_lg_u64 s[64:65], 0
	s_mul_i32 s0, s6, 0x600
	s_mov_b32 s1, 0
	s_mul_i32 s10, s74, s2
	s_cselect_b64 s[64:65], -1, 0
	s_lshl_b64 s[2:3], s[0:1], 2
	s_add_u32 s54, s4, s2
	s_addc_u32 s55, s5, s3
	s_lshl_b64 s[56:57], s[0:1], 1
	s_add_u32 s7, s7, s56
	s_addc_u32 s71, s8, s57
	s_add_u32 s76, s10, s6
	s_addc_u32 s77, s9, 0
	s_add_u32 s2, s60, -1
	s_addc_u32 s3, s61, -1
	v_pk_mov_b32 v[2:3], s[2:3], s[2:3] op_sel:[0,1]
	v_cmp_ge_u64_e64 s[0:1], s[76:77], v[2:3]
	s_mov_b64 s[12:13], 0
	s_mov_b64 s[4:5], -1
	s_and_b64 vcc, exec, s[0:1]
	s_mul_i32 s33, s2, 0xfffffa00
	s_waitcnt lgkmcnt(0)
	; wave barrier
	s_cbranch_vccz .LBB1270_127
; %bb.1:
	v_pk_mov_b32 v[2:3], s[54:55], s[54:55] op_sel:[0,1]
	flat_load_dword v1, v[2:3]
	s_add_i32 s82, s33, s70
	v_cmp_gt_u32_e64 s[2:3], s82, v0
	s_waitcnt vmcnt(0) lgkmcnt(0)
	v_mov_b32_e32 v2, v1
	s_and_saveexec_b64 s[4:5], s[2:3]
	s_cbranch_execz .LBB1270_3
; %bb.2:
	v_lshlrev_b32_e32 v2, 2, v0
	v_mov_b32_e32 v3, s55
	v_add_co_u32_e32 v2, vcc, s54, v2
	v_addc_co_u32_e32 v3, vcc, 0, v3, vcc
	flat_load_dword v2, v[2:3]
.LBB1270_3:
	s_or_b64 exec, exec, s[4:5]
	v_or_b32_e32 v3, 64, v0
	v_cmp_gt_u32_e64 s[4:5], s82, v3
	v_mov_b32_e32 v3, v1
	s_and_saveexec_b64 s[8:9], s[4:5]
	s_cbranch_execz .LBB1270_5
; %bb.4:
	v_lshlrev_b32_e32 v3, 2, v0
	v_mov_b32_e32 v5, s55
	v_add_co_u32_e32 v4, vcc, s54, v3
	v_addc_co_u32_e32 v5, vcc, 0, v5, vcc
	flat_load_dword v3, v[4:5] offset:256
.LBB1270_5:
	s_or_b64 exec, exec, s[8:9]
	v_or_b32_e32 v4, 0x80, v0
	v_cmp_gt_u32_e64 s[52:53], s82, v4
	v_mov_b32_e32 v4, v1
	s_and_saveexec_b64 s[8:9], s[52:53]
	s_cbranch_execz .LBB1270_7
; %bb.6:
	v_lshlrev_b32_e32 v4, 2, v0
	v_mov_b32_e32 v5, s55
	v_add_co_u32_e32 v4, vcc, s54, v4
	v_addc_co_u32_e32 v5, vcc, 0, v5, vcc
	flat_load_dword v4, v[4:5] offset:512
.LBB1270_7:
	;; [unrolled: 13-line block ×15, first 2 shown]
	s_or_b64 exec, exec, s[36:37]
	v_or_b32_e32 v19, 0x400, v0
	v_cmp_gt_u32_e64 s[36:37], s82, v19
	v_mov_b32_e32 v18, v1
	s_and_saveexec_b64 s[38:39], s[36:37]
	s_cbranch_execz .LBB1270_35
; %bb.34:
	v_lshlrev_b32_e32 v18, 2, v19
	v_mov_b32_e32 v19, s55
	v_add_co_u32_e32 v18, vcc, s54, v18
	v_addc_co_u32_e32 v19, vcc, 0, v19, vcc
	flat_load_dword v18, v[18:19]
.LBB1270_35:
	s_or_b64 exec, exec, s[38:39]
	v_or_b32_e32 v20, 0x440, v0
	v_cmp_gt_u32_e64 s[38:39], s82, v20
	v_mov_b32_e32 v19, v1
	s_and_saveexec_b64 s[40:41], s[38:39]
	s_cbranch_execz .LBB1270_37
; %bb.36:
	v_lshlrev_b32_e32 v19, 2, v20
	v_mov_b32_e32 v21, s55
	v_add_co_u32_e32 v20, vcc, s54, v19
	v_addc_co_u32_e32 v21, vcc, 0, v21, vcc
	flat_load_dword v19, v[20:21]
.LBB1270_37:
	;; [unrolled: 13-line block ×7, first 2 shown]
	s_or_b64 exec, exec, s[50:51]
	v_or_b32_e32 v25, 0x5c0, v0
	v_cmp_gt_u32_e64 s[50:51], s82, v25
	s_and_saveexec_b64 s[60:61], s[50:51]
	s_cbranch_execz .LBB1270_49
; %bb.48:
	v_lshlrev_b32_e32 v1, 2, v25
	v_mov_b32_e32 v25, s55
	v_add_co_u32_e32 v26, vcc, s54, v1
	v_addc_co_u32_e32 v27, vcc, 0, v25, vcc
	flat_load_dword v1, v[26:27]
.LBB1270_49:
	s_or_b64 exec, exec, s[60:61]
	v_lshlrev_b32_e32 v25, 2, v0
	s_movk_i32 s60, 0x5c
	s_waitcnt vmcnt(0) lgkmcnt(0)
	ds_write2st64_b32 v25, v2, v3 offset1:1
	ds_write2st64_b32 v25, v4, v5 offset0:2 offset1:3
	ds_write2st64_b32 v25, v6, v7 offset0:4 offset1:5
	;; [unrolled: 1-line block ×11, first 2 shown]
	v_mad_u32_u24 v1, v0, s60, v25
	s_waitcnt lgkmcnt(0)
	; wave barrier
	s_waitcnt lgkmcnt(0)
	ds_read_b128 v[42:45], v1
	ds_read_b128 v[38:41], v1 offset:16
	ds_read_b128 v[34:37], v1 offset:32
	;; [unrolled: 1-line block ×5, first 2 shown]
	s_cmp_eq_u64 s[76:77], 0
	s_mov_b64 s[60:61], s[54:55]
	s_cbranch_scc1 .LBB1270_53
; %bb.50:
	s_andn2_b64 vcc, exec, s[64:65]
	s_cbranch_vccnz .LBB1270_297
; %bb.51:
	s_lshl_b64 s[60:61], s[76:77], 2
	s_add_u32 s60, s66, s60
	s_addc_u32 s61, s67, s61
	s_add_u32 s60, s60, -4
	s_addc_u32 s61, s61, -1
	s_cbranch_execnz .LBB1270_53
.LBB1270_52:
	s_add_u32 s60, s54, -4
	s_addc_u32 s61, s55, -1
.LBB1270_53:
	v_pk_mov_b32 v[2:3], s[60:61], s[60:61] op_sel:[0,1]
	flat_load_dword v46, v[2:3]
	s_movk_i32 s60, 0xffa4
	v_mad_i32_i24 v1, v0, s60, v1
	v_cmp_ne_u32_e32 vcc, 0, v0
	s_waitcnt lgkmcnt(0)
	ds_write_b32 v1, v25 offset:6144
	s_waitcnt lgkmcnt(0)
	; wave barrier
	s_waitcnt lgkmcnt(0)
	s_and_saveexec_b64 s[60:61], vcc
	s_cbranch_execz .LBB1270_55
; %bb.54:
	s_waitcnt vmcnt(0)
	ds_read_b32 v46, v1 offset:6140
.LBB1270_55:
	s_or_b64 exec, exec, s[60:61]
	s_waitcnt lgkmcnt(0)
	; wave barrier
	s_waitcnt lgkmcnt(0)
                                        ; implicit-def: $vgpr2
	s_and_saveexec_b64 s[60:61], s[2:3]
	s_cbranch_execnz .LBB1270_274
; %bb.56:
	s_or_b64 exec, exec, s[60:61]
                                        ; implicit-def: $vgpr3
	s_and_saveexec_b64 s[2:3], s[4:5]
	s_cbranch_execnz .LBB1270_275
.LBB1270_57:
	s_or_b64 exec, exec, s[2:3]
                                        ; implicit-def: $vgpr4
	s_and_saveexec_b64 s[2:3], s[52:53]
	s_cbranch_execnz .LBB1270_276
.LBB1270_58:
	s_or_b64 exec, exec, s[2:3]
                                        ; implicit-def: $vgpr5
	s_and_saveexec_b64 s[2:3], s[8:9]
	s_cbranch_execnz .LBB1270_277
.LBB1270_59:
	s_or_b64 exec, exec, s[2:3]
                                        ; implicit-def: $vgpr6
	s_and_saveexec_b64 s[2:3], s[10:11]
	s_cbranch_execnz .LBB1270_278
.LBB1270_60:
	s_or_b64 exec, exec, s[2:3]
                                        ; implicit-def: $vgpr7
	s_and_saveexec_b64 s[2:3], s[12:13]
	s_cbranch_execnz .LBB1270_279
.LBB1270_61:
	s_or_b64 exec, exec, s[2:3]
                                        ; implicit-def: $vgpr8
	s_and_saveexec_b64 s[2:3], s[14:15]
	s_cbranch_execnz .LBB1270_280
.LBB1270_62:
	s_or_b64 exec, exec, s[2:3]
                                        ; implicit-def: $vgpr9
	s_and_saveexec_b64 s[2:3], s[16:17]
	s_cbranch_execnz .LBB1270_281
.LBB1270_63:
	s_or_b64 exec, exec, s[2:3]
                                        ; implicit-def: $vgpr10
	s_and_saveexec_b64 s[2:3], s[18:19]
	s_cbranch_execnz .LBB1270_282
.LBB1270_64:
	s_or_b64 exec, exec, s[2:3]
                                        ; implicit-def: $vgpr11
	s_and_saveexec_b64 s[2:3], s[20:21]
	s_cbranch_execnz .LBB1270_283
.LBB1270_65:
	s_or_b64 exec, exec, s[2:3]
                                        ; implicit-def: $vgpr12
	s_and_saveexec_b64 s[2:3], s[22:23]
	s_cbranch_execnz .LBB1270_284
.LBB1270_66:
	s_or_b64 exec, exec, s[2:3]
                                        ; implicit-def: $vgpr13
	s_and_saveexec_b64 s[2:3], s[24:25]
	s_cbranch_execnz .LBB1270_285
.LBB1270_67:
	s_or_b64 exec, exec, s[2:3]
                                        ; implicit-def: $vgpr14
	s_and_saveexec_b64 s[2:3], s[26:27]
	s_cbranch_execnz .LBB1270_286
.LBB1270_68:
	s_or_b64 exec, exec, s[2:3]
                                        ; implicit-def: $vgpr15
	s_and_saveexec_b64 s[2:3], s[28:29]
	s_cbranch_execnz .LBB1270_287
.LBB1270_69:
	s_or_b64 exec, exec, s[2:3]
                                        ; implicit-def: $vgpr16
	s_and_saveexec_b64 s[2:3], s[30:31]
	s_cbranch_execnz .LBB1270_288
.LBB1270_70:
	s_or_b64 exec, exec, s[2:3]
                                        ; implicit-def: $vgpr17
	s_and_saveexec_b64 s[2:3], s[34:35]
	s_cbranch_execnz .LBB1270_289
.LBB1270_71:
	s_or_b64 exec, exec, s[2:3]
                                        ; implicit-def: $vgpr18
	s_and_saveexec_b64 s[2:3], s[36:37]
	s_cbranch_execnz .LBB1270_290
.LBB1270_72:
	s_or_b64 exec, exec, s[2:3]
                                        ; implicit-def: $vgpr19
	s_and_saveexec_b64 s[2:3], s[38:39]
	s_cbranch_execnz .LBB1270_291
.LBB1270_73:
	s_or_b64 exec, exec, s[2:3]
                                        ; implicit-def: $vgpr20
	s_and_saveexec_b64 s[2:3], s[40:41]
	s_cbranch_execnz .LBB1270_292
.LBB1270_74:
	s_or_b64 exec, exec, s[2:3]
                                        ; implicit-def: $vgpr21
	s_and_saveexec_b64 s[2:3], s[42:43]
	s_cbranch_execnz .LBB1270_293
.LBB1270_75:
	s_or_b64 exec, exec, s[2:3]
                                        ; implicit-def: $vgpr48
	s_and_saveexec_b64 s[2:3], s[44:45]
	s_cbranch_execnz .LBB1270_294
.LBB1270_76:
	s_or_b64 exec, exec, s[2:3]
                                        ; implicit-def: $vgpr49
	s_and_saveexec_b64 s[2:3], s[46:47]
	s_cbranch_execnz .LBB1270_295
.LBB1270_77:
	s_or_b64 exec, exec, s[2:3]
                                        ; implicit-def: $vgpr50
	s_and_saveexec_b64 s[2:3], s[48:49]
	s_cbranch_execnz .LBB1270_296
.LBB1270_78:
	s_or_b64 exec, exec, s[2:3]
                                        ; implicit-def: $vgpr51
	s_and_saveexec_b64 s[2:3], s[50:51]
	s_cbranch_execz .LBB1270_80
.LBB1270_79:
	v_lshlrev_b32_e32 v47, 1, v0
	v_mov_b32_e32 v51, s71
	v_add_co_u32_e32 v52, vcc, s7, v47
	v_addc_co_u32_e32 v53, vcc, 0, v51, vcc
	flat_load_ushort v51, v[52:53] offset:2944
.LBB1270_80:
	s_or_b64 exec, exec, s[2:3]
	v_lshlrev_b32_e32 v47, 1, v0
	s_mov_b32 s8, 0
	v_sub_u32_e32 v47, v1, v47
	s_mov_b32 s9, s8
	s_mov_b32 s24, s8
	;; [unrolled: 1-line block ×3, first 2 shown]
	v_mul_u32_u24_e32 v53, 24, v0
	s_waitcnt vmcnt(0) lgkmcnt(0)
	ds_write_b16 v47, v2
	ds_write_b16 v47, v3 offset:128
	ds_write_b16 v47, v4 offset:256
	;; [unrolled: 1-line block ×23, first 2 shown]
	s_mov_b32 s10, s8
	s_mov_b32 s11, s8
	;; [unrolled: 1-line block ×18, first 2 shown]
	v_pk_mov_b32 v[18:19], s[24:25], s[24:25] op_sel:[0,1]
	v_pk_mov_b32 v[2:3], s[8:9], s[8:9] op_sel:[0,1]
	v_cmp_gt_u32_e32 vcc, s82, v53
	s_mov_b64 s[4:5], 0
	v_pk_mov_b32 v[50:51], s[2:3], s[2:3] op_sel:[0,1]
	v_pk_mov_b32 v[20:21], s[26:27], s[26:27] op_sel:[0,1]
	;; [unrolled: 1-line block ×9, first 2 shown]
	v_mov_b32_e32 v1, 0
	s_mov_b64 s[12:13], 0
	s_waitcnt lgkmcnt(0)
	; wave barrier
	s_waitcnt lgkmcnt(0)
                                        ; implicit-def: $sgpr2_sgpr3
                                        ; implicit-def: $vgpr52
	s_and_saveexec_b64 s[10:11], vcc
	s_cbranch_execz .LBB1270_126
; %bb.81:
	v_mad_u32_u24 v1, v0, 46, v47
	ds_read_u16 v1, v1
	v_cmp_ne_u32_e32 vcc, v46, v42
	s_mov_b32 s12, 0
	v_or_b32_e32 v2, 1, v53
	v_cndmask_b32_e64 v3, 0, 1, vcc
	s_mov_b32 s13, s12
	s_mov_b32 s28, s12
	;; [unrolled: 1-line block ×3, first 2 shown]
	v_cmp_gt_u32_e32 vcc, s82, v2
	s_waitcnt lgkmcnt(0)
	v_lshl_or_b32 v1, v3, 16, v1
	s_mov_b32 s14, s12
	s_mov_b32 s15, s12
	;; [unrolled: 1-line block ×18, first 2 shown]
	v_pk_mov_b32 v[18:19], s[28:29], s[28:29] op_sel:[0,1]
	v_pk_mov_b32 v[2:3], s[12:13], s[12:13] op_sel:[0,1]
	s_mov_b64 s[36:37], 0
	v_pk_mov_b32 v[50:51], s[2:3], s[2:3] op_sel:[0,1]
	v_pk_mov_b32 v[20:21], s[30:31], s[30:31] op_sel:[0,1]
	;; [unrolled: 1-line block ×9, first 2 shown]
                                        ; implicit-def: $sgpr38_sgpr39
                                        ; implicit-def: $vgpr52
	s_and_saveexec_b64 s[34:35], vcc
	s_cbranch_execz .LBB1270_125
; %bb.82:
	v_mul_u32_u24_e32 v2, 46, v0
	v_add_u32_e32 v54, v47, v2
	ds_read_b128 v[46:49], v54 offset:2
	v_or_b32_e32 v2, 2, v53
	v_cmp_ne_u32_e32 vcc, v42, v43
	v_cndmask_b32_e64 v3, 0, 1, vcc
	v_cmp_gt_u32_e32 vcc, s82, v2
	s_waitcnt lgkmcnt(0)
	v_and_b32_e32 v2, 0xffff, v46
	v_lshl_or_b32 v50, v3, 16, v2
	v_pk_mov_b32 v[18:19], s[28:29], s[28:29] op_sel:[0,1]
	v_pk_mov_b32 v[2:3], s[12:13], s[12:13] op_sel:[0,1]
	v_mov_b32_e32 v51, 0
	s_mov_b64 s[2:3], 0
	v_pk_mov_b32 v[20:21], s[30:31], s[30:31] op_sel:[0,1]
	v_pk_mov_b32 v[4:5], s[14:15], s[14:15] op_sel:[0,1]
	;; [unrolled: 1-line block ×8, first 2 shown]
                                        ; implicit-def: $sgpr12_sgpr13
                                        ; implicit-def: $vgpr52
	s_and_saveexec_b64 s[28:29], vcc
	s_cbranch_execz .LBB1270_124
; %bb.83:
	v_cmp_ne_u32_e32 vcc, v43, v44
	s_mov_b32 s12, 0
	v_or_b32_e32 v2, 3, v53
	v_cndmask_b32_e64 v3, 0, 1, vcc
	s_mov_b32 s13, s12
	s_mov_b32 s36, s12
	;; [unrolled: 1-line block ×3, first 2 shown]
	v_alignbit_b32 v51, v3, v46, 16
	v_cmp_gt_u32_e32 vcc, s82, v2
	s_mov_b32 s14, s12
	s_mov_b32 s15, s12
	;; [unrolled: 1-line block ×16, first 2 shown]
	v_pk_mov_b32 v[18:19], s[36:37], s[36:37] op_sel:[0,1]
	v_pk_mov_b32 v[2:3], s[12:13], s[12:13] op_sel:[0,1]
	;; [unrolled: 1-line block ×10, first 2 shown]
                                        ; implicit-def: $sgpr36_sgpr37
                                        ; implicit-def: $vgpr52
	s_and_saveexec_b64 s[30:31], vcc
	s_cbranch_execz .LBB1270_123
; %bb.84:
	v_cmp_ne_u32_e32 vcc, v44, v45
	v_and_b32_e32 v2, 0xffff, v47
	v_or_b32_e32 v3, 4, v53
	v_cndmask_b32_e64 v4, 0, 1, vcc
	v_lshl_or_b32 v18, v4, 16, v2
	v_cmp_gt_u32_e32 vcc, s82, v3
	v_mov_b32_e32 v20, 0
	v_pk_mov_b32 v[2:3], s[12:13], s[12:13] op_sel:[0,1]
	v_mov_b32_e32 v19, v20
	v_mov_b32_e32 v21, v20
	v_pk_mov_b32 v[4:5], s[14:15], s[14:15] op_sel:[0,1]
	v_pk_mov_b32 v[6:7], s[16:17], s[16:17] op_sel:[0,1]
	;; [unrolled: 1-line block ×7, first 2 shown]
                                        ; implicit-def: $sgpr12_sgpr13
                                        ; implicit-def: $vgpr52
	s_and_saveexec_b64 s[36:37], vcc
	s_cbranch_execz .LBB1270_122
; %bb.85:
	v_cmp_ne_u32_e32 vcc, v45, v38
	s_mov_b32 s12, 0
	v_or_b32_e32 v2, 5, v53
	v_cndmask_b32_e64 v3, 0, 1, vcc
	s_mov_b32 s13, s12
	v_alignbit_b32 v19, v3, v47, 16
	v_cmp_gt_u32_e32 vcc, s82, v2
	s_mov_b32 s14, s12
	s_mov_b32 s15, s12
	s_mov_b32 s16, s12
	s_mov_b32 s17, s12
	s_mov_b32 s18, s12
	s_mov_b32 s19, s12
	s_mov_b32 s20, s12
	s_mov_b32 s21, s12
	s_mov_b32 s22, s12
	s_mov_b32 s23, s12
	s_mov_b32 s24, s12
	s_mov_b32 s25, s12
	s_mov_b32 s26, s12
	s_mov_b32 s27, s12
	v_pk_mov_b32 v[2:3], s[12:13], s[12:13] op_sel:[0,1]
	v_mov_b32_e32 v21, v20
	v_pk_mov_b32 v[4:5], s[14:15], s[14:15] op_sel:[0,1]
	v_pk_mov_b32 v[6:7], s[16:17], s[16:17] op_sel:[0,1]
	v_pk_mov_b32 v[8:9], s[18:19], s[18:19] op_sel:[0,1]
	v_pk_mov_b32 v[10:11], s[20:21], s[20:21] op_sel:[0,1]
	v_pk_mov_b32 v[12:13], s[22:23], s[22:23] op_sel:[0,1]
	v_pk_mov_b32 v[14:15], s[24:25], s[24:25] op_sel:[0,1]
	v_pk_mov_b32 v[16:17], s[26:27], s[26:27] op_sel:[0,1]
                                        ; implicit-def: $sgpr40_sgpr41
                                        ; implicit-def: $vgpr52
	s_and_saveexec_b64 s[38:39], vcc
	s_cbranch_execz .LBB1270_121
; %bb.86:
	v_cmp_ne_u32_e32 vcc, v38, v39
	v_and_b32_e32 v2, 0xffff, v48
	v_or_b32_e32 v3, 6, v53
	v_cndmask_b32_e64 v4, 0, 1, vcc
	v_lshl_or_b32 v20, v4, 16, v2
	v_cmp_gt_u32_e32 vcc, s82, v3
	v_pk_mov_b32 v[2:3], s[12:13], s[12:13] op_sel:[0,1]
	v_mov_b32_e32 v21, s12
	v_pk_mov_b32 v[4:5], s[14:15], s[14:15] op_sel:[0,1]
	v_pk_mov_b32 v[6:7], s[16:17], s[16:17] op_sel:[0,1]
	;; [unrolled: 1-line block ×7, first 2 shown]
                                        ; implicit-def: $sgpr12_sgpr13
                                        ; implicit-def: $vgpr52
	s_and_saveexec_b64 s[40:41], vcc
	s_cbranch_execz .LBB1270_120
; %bb.87:
	v_cmp_ne_u32_e32 vcc, v39, v40
	s_mov_b32 s12, 0
	v_or_b32_e32 v2, 7, v53
	v_cndmask_b32_e64 v3, 0, 1, vcc
	s_mov_b32 s13, s12
	v_alignbit_b32 v21, v3, v48, 16
	v_cmp_gt_u32_e32 vcc, s82, v2
	s_mov_b32 s14, s12
	s_mov_b32 s15, s12
	;; [unrolled: 1-line block ×14, first 2 shown]
	v_pk_mov_b32 v[2:3], s[12:13], s[12:13] op_sel:[0,1]
	v_pk_mov_b32 v[4:5], s[14:15], s[14:15] op_sel:[0,1]
	;; [unrolled: 1-line block ×8, first 2 shown]
                                        ; implicit-def: $sgpr14_sgpr15
                                        ; implicit-def: $vgpr52
	s_and_saveexec_b64 s[12:13], vcc
	s_cbranch_execz .LBB1270_119
; %bb.88:
	v_cmp_ne_u32_e32 vcc, v40, v41
	v_and_b32_e32 v2, 0xffff, v49
	v_cndmask_b32_e64 v4, 0, 1, vcc
	v_add_u32_e32 v3, 8, v53
	v_lshl_or_b32 v2, v4, 16, v2
	v_mov_b32_e32 v4, 0
	v_cmp_gt_u32_e32 vcc, s82, v3
	v_mov_b32_e32 v3, v4
	v_mov_b32_e32 v5, v4
	;; [unrolled: 1-line block ×14, first 2 shown]
                                        ; implicit-def: $sgpr16_sgpr17
                                        ; implicit-def: $vgpr52
	s_and_saveexec_b64 s[14:15], vcc
	s_cbranch_execz .LBB1270_118
; %bb.89:
	v_cmp_ne_u32_e32 vcc, v41, v34
	v_add_u32_e32 v5, 9, v53
	v_cndmask_b32_e64 v3, 0, 1, vcc
	v_alignbit_b32 v3, v3, v49, 16
	v_cmp_gt_u32_e32 vcc, s82, v5
	v_mov_b32_e32 v5, v4
	v_mov_b32_e32 v6, v4
	;; [unrolled: 1-line block ×13, first 2 shown]
                                        ; implicit-def: $sgpr18_sgpr19
                                        ; implicit-def: $vgpr52
	s_and_saveexec_b64 s[16:17], vcc
	s_cbranch_execz .LBB1270_117
; %bb.90:
	ds_read_b128 v[38:41], v54 offset:18
	v_add_u32_e32 v4, 10, v53
	v_cmp_ne_u32_e32 vcc, v34, v35
	v_cndmask_b32_e64 v5, 0, 1, vcc
	v_cmp_gt_u32_e32 vcc, s82, v4
	s_waitcnt lgkmcnt(0)
	v_and_b32_e32 v4, 0xffff, v38
	v_mov_b32_e32 v6, 0
	v_lshl_or_b32 v4, v5, 16, v4
	v_mov_b32_e32 v5, v6
	v_mov_b32_e32 v7, v6
	;; [unrolled: 1-line block ×12, first 2 shown]
                                        ; implicit-def: $sgpr20_sgpr21
                                        ; implicit-def: $vgpr52
	s_and_saveexec_b64 s[18:19], vcc
	s_cbranch_execz .LBB1270_116
; %bb.91:
	v_cmp_ne_u32_e32 vcc, v35, v36
	v_add_u32_e32 v7, 11, v53
	v_cndmask_b32_e64 v5, 0, 1, vcc
	v_alignbit_b32 v5, v5, v38, 16
	v_cmp_gt_u32_e32 vcc, s82, v7
	v_mov_b32_e32 v7, v6
	v_mov_b32_e32 v8, v6
	;; [unrolled: 1-line block ×11, first 2 shown]
                                        ; implicit-def: $sgpr22_sgpr23
                                        ; implicit-def: $vgpr52
	s_and_saveexec_b64 s[20:21], vcc
	s_cbranch_execz .LBB1270_115
; %bb.92:
	v_cmp_ne_u32_e32 vcc, v36, v37
	v_and_b32_e32 v6, 0xffff, v39
	v_cndmask_b32_e64 v8, 0, 1, vcc
	v_add_u32_e32 v7, 12, v53
	v_lshl_or_b32 v6, v8, 16, v6
	v_mov_b32_e32 v8, 0
	v_cmp_gt_u32_e32 vcc, s82, v7
	v_mov_b32_e32 v7, v8
	v_mov_b32_e32 v9, v8
	v_mov_b32_e32 v10, v8
	v_mov_b32_e32 v11, v8
	v_mov_b32_e32 v12, v8
	v_mov_b32_e32 v13, v8
	v_mov_b32_e32 v14, v8
	v_mov_b32_e32 v15, v8
	v_mov_b32_e32 v16, v8
	v_mov_b32_e32 v17, v8
                                        ; implicit-def: $sgpr24_sgpr25
                                        ; implicit-def: $vgpr52
	s_and_saveexec_b64 s[22:23], vcc
	s_cbranch_execz .LBB1270_114
; %bb.93:
	v_cmp_ne_u32_e32 vcc, v37, v30
	v_add_u32_e32 v9, 13, v53
	v_cndmask_b32_e64 v7, 0, 1, vcc
	v_alignbit_b32 v7, v7, v39, 16
	v_cmp_gt_u32_e32 vcc, s82, v9
	v_mov_b32_e32 v9, v8
	v_mov_b32_e32 v10, v8
	v_mov_b32_e32 v11, v8
	v_mov_b32_e32 v12, v8
	v_mov_b32_e32 v13, v8
	v_mov_b32_e32 v14, v8
	v_mov_b32_e32 v15, v8
	v_mov_b32_e32 v16, v8
	v_mov_b32_e32 v17, v8
                                        ; implicit-def: $sgpr26_sgpr27
                                        ; implicit-def: $vgpr52
	s_and_saveexec_b64 s[24:25], vcc
	s_cbranch_execz .LBB1270_113
; %bb.94:
	v_cmp_ne_u32_e32 vcc, v30, v31
	v_and_b32_e32 v8, 0xffff, v40
	v_cndmask_b32_e64 v10, 0, 1, vcc
	v_add_u32_e32 v9, 14, v53
	v_lshl_or_b32 v8, v10, 16, v8
	v_mov_b32_e32 v10, 0
	v_cmp_gt_u32_e32 vcc, s82, v9
	v_mov_b32_e32 v9, v10
	v_mov_b32_e32 v11, v10
	;; [unrolled: 1-line block ×8, first 2 shown]
                                        ; implicit-def: $sgpr42_sgpr43
                                        ; implicit-def: $vgpr52
	s_and_saveexec_b64 s[26:27], vcc
	s_cbranch_execz .LBB1270_112
; %bb.95:
	v_cmp_ne_u32_e32 vcc, v31, v32
	v_add_u32_e32 v11, 15, v53
	v_cndmask_b32_e64 v9, 0, 1, vcc
	v_alignbit_b32 v9, v9, v40, 16
	v_cmp_gt_u32_e32 vcc, s82, v11
	v_mov_b32_e32 v11, v10
	v_mov_b32_e32 v12, v10
	;; [unrolled: 1-line block ×7, first 2 shown]
                                        ; implicit-def: $sgpr44_sgpr45
                                        ; implicit-def: $vgpr52
	s_and_saveexec_b64 s[42:43], vcc
	s_cbranch_execz .LBB1270_111
; %bb.96:
	v_cmp_ne_u32_e32 vcc, v32, v33
	v_and_b32_e32 v10, 0xffff, v41
	v_cndmask_b32_e64 v12, 0, 1, vcc
	v_add_u32_e32 v11, 16, v53
	v_lshl_or_b32 v10, v12, 16, v10
	v_mov_b32_e32 v12, 0
	v_cmp_gt_u32_e32 vcc, s82, v11
	v_mov_b32_e32 v11, v12
	v_mov_b32_e32 v13, v12
	;; [unrolled: 1-line block ×6, first 2 shown]
                                        ; implicit-def: $sgpr46_sgpr47
                                        ; implicit-def: $vgpr52
	s_and_saveexec_b64 s[44:45], vcc
	s_cbranch_execz .LBB1270_110
; %bb.97:
	v_cmp_ne_u32_e32 vcc, v33, v26
	v_add_u32_e32 v13, 17, v53
	v_cndmask_b32_e64 v11, 0, 1, vcc
	v_alignbit_b32 v11, v11, v41, 16
	v_cmp_gt_u32_e32 vcc, s82, v13
	v_mov_b32_e32 v13, v12
	v_mov_b32_e32 v14, v12
	;; [unrolled: 1-line block ×5, first 2 shown]
                                        ; implicit-def: $sgpr48_sgpr49
                                        ; implicit-def: $vgpr52
	s_and_saveexec_b64 s[46:47], vcc
	s_cbranch_execz .LBB1270_109
; %bb.98:
	ds_read_b96 v[30:32], v54 offset:34
	v_add_u32_e32 v12, 18, v53
	v_cmp_ne_u32_e32 vcc, v26, v27
	v_cndmask_b32_e64 v13, 0, 1, vcc
	v_cmp_gt_u32_e32 vcc, s82, v12
	s_waitcnt lgkmcnt(0)
	v_and_b32_e32 v12, 0xffff, v30
	v_mov_b32_e32 v14, 0
	v_lshl_or_b32 v12, v13, 16, v12
	v_mov_b32_e32 v13, v14
	v_mov_b32_e32 v15, v14
	;; [unrolled: 1-line block ×4, first 2 shown]
                                        ; implicit-def: $sgpr50_sgpr51
                                        ; implicit-def: $vgpr52
	s_and_saveexec_b64 s[48:49], vcc
	s_cbranch_execz .LBB1270_108
; %bb.99:
	v_cmp_ne_u32_e32 vcc, v27, v28
	v_add_u32_e32 v15, 19, v53
	v_cndmask_b32_e64 v13, 0, 1, vcc
	v_alignbit_b32 v13, v13, v30, 16
	v_cmp_gt_u32_e32 vcc, s82, v15
	v_mov_b32_e32 v15, v14
	v_mov_b32_e32 v16, v14
	;; [unrolled: 1-line block ×3, first 2 shown]
                                        ; implicit-def: $sgpr52_sgpr53
                                        ; implicit-def: $vgpr52
	s_and_saveexec_b64 s[50:51], vcc
	s_cbranch_execz .LBB1270_107
; %bb.100:
	v_cmp_ne_u32_e32 vcc, v28, v29
	v_and_b32_e32 v14, 0xffff, v31
	v_cndmask_b32_e64 v16, 0, 1, vcc
	v_add_u32_e32 v15, 20, v53
	v_lshl_or_b32 v14, v16, 16, v14
	v_mov_b32_e32 v16, 0
	v_cmp_gt_u32_e32 vcc, s82, v15
	v_mov_b32_e32 v15, v16
	v_mov_b32_e32 v17, v16
                                        ; implicit-def: $sgpr60_sgpr61
                                        ; implicit-def: $vgpr52
	s_and_saveexec_b64 s[52:53], vcc
	s_cbranch_execz .LBB1270_106
; %bb.101:
	v_cmp_ne_u32_e32 vcc, v29, v22
	v_add_u32_e32 v17, 21, v53
	v_cndmask_b32_e64 v15, 0, 1, vcc
	v_alignbit_b32 v15, v15, v31, 16
	v_cmp_gt_u32_e32 vcc, s82, v17
	s_mov_b32 s9, 0
	v_mov_b32_e32 v17, v16
                                        ; implicit-def: $sgpr78_sgpr79
                                        ; implicit-def: $vgpr52
	s_and_saveexec_b64 s[60:61], vcc
	s_cbranch_execz .LBB1270_105
; %bb.102:
	v_cmp_ne_u32_e32 vcc, v22, v23
	v_and_b32_e32 v16, 0xffff, v32
	v_add_u32_e32 v17, 22, v53
	v_cndmask_b32_e64 v22, 0, 1, vcc
	v_lshl_or_b32 v16, v22, 16, v16
	v_cmp_gt_u32_e32 vcc, s82, v17
	v_mov_b32_e32 v17, s9
                                        ; implicit-def: $sgpr78_sgpr79
                                        ; implicit-def: $vgpr52
	s_and_saveexec_b64 s[80:81], vcc
	s_xor_b64 s[80:81], exec, s[80:81]
	s_cbranch_execz .LBB1270_104
; %bb.103:
	ds_read_u16 v52, v54 offset:46
	v_add_u32_e32 v22, 23, v53
	v_cmp_ne_u32_e64 s[2:3], v23, v24
	v_cmp_ne_u32_e32 vcc, v24, v25
	v_cndmask_b32_e64 v17, 0, 1, s[2:3]
	v_cmp_gt_u32_e64 s[2:3], s82, v22
	v_alignbit_b32 v17, v17, v32, 16
	s_and_b64 s[78:79], vcc, exec
	s_and_b64 s[2:3], s[2:3], exec
.LBB1270_104:
	s_or_b64 exec, exec, s[80:81]
	s_and_b64 s[78:79], s[78:79], exec
	s_and_b64 s[2:3], s[2:3], exec
.LBB1270_105:
	s_or_b64 exec, exec, s[60:61]
	s_and_b64 s[60:61], s[78:79], exec
	s_and_b64 s[2:3], s[2:3], exec
.LBB1270_106:
	s_or_b64 exec, exec, s[52:53]
	s_and_b64 s[52:53], s[60:61], exec
	s_and_b64 s[2:3], s[2:3], exec
.LBB1270_107:
	s_or_b64 exec, exec, s[50:51]
	s_and_b64 s[50:51], s[52:53], exec
	s_and_b64 s[2:3], s[2:3], exec
.LBB1270_108:
	s_or_b64 exec, exec, s[48:49]
	s_and_b64 s[48:49], s[50:51], exec
	s_and_b64 s[2:3], s[2:3], exec
.LBB1270_109:
	s_or_b64 exec, exec, s[46:47]
	s_and_b64 s[46:47], s[48:49], exec
	s_and_b64 s[2:3], s[2:3], exec
.LBB1270_110:
	s_or_b64 exec, exec, s[44:45]
	s_and_b64 s[44:45], s[46:47], exec
	s_and_b64 s[2:3], s[2:3], exec
.LBB1270_111:
	s_or_b64 exec, exec, s[42:43]
	s_and_b64 s[42:43], s[44:45], exec
	s_and_b64 s[2:3], s[2:3], exec
.LBB1270_112:
	s_or_b64 exec, exec, s[26:27]
	s_and_b64 s[26:27], s[42:43], exec
	s_and_b64 s[2:3], s[2:3], exec
.LBB1270_113:
	s_or_b64 exec, exec, s[24:25]
	s_and_b64 s[24:25], s[26:27], exec
	s_and_b64 s[2:3], s[2:3], exec
.LBB1270_114:
	s_or_b64 exec, exec, s[22:23]
	s_and_b64 s[22:23], s[24:25], exec
	s_and_b64 s[2:3], s[2:3], exec
.LBB1270_115:
	s_or_b64 exec, exec, s[20:21]
	s_and_b64 s[20:21], s[22:23], exec
	s_and_b64 s[2:3], s[2:3], exec
.LBB1270_116:
	s_or_b64 exec, exec, s[18:19]
	s_and_b64 s[18:19], s[20:21], exec
	s_and_b64 s[2:3], s[2:3], exec
.LBB1270_117:
	s_or_b64 exec, exec, s[16:17]
	s_and_b64 s[16:17], s[18:19], exec
	s_and_b64 s[2:3], s[2:3], exec
.LBB1270_118:
	s_or_b64 exec, exec, s[14:15]
	s_and_b64 s[14:15], s[16:17], exec
	s_and_b64 s[2:3], s[2:3], exec
.LBB1270_119:
	s_or_b64 exec, exec, s[12:13]
	s_and_b64 s[12:13], s[14:15], exec
	s_and_b64 s[2:3], s[2:3], exec
.LBB1270_120:
	s_or_b64 exec, exec, s[40:41]
	s_and_b64 s[40:41], s[12:13], exec
	s_and_b64 s[2:3], s[2:3], exec
.LBB1270_121:
	s_or_b64 exec, exec, s[38:39]
	s_and_b64 s[12:13], s[40:41], exec
	s_and_b64 s[2:3], s[2:3], exec
.LBB1270_122:
	s_or_b64 exec, exec, s[36:37]
	s_and_b64 s[36:37], s[12:13], exec
	s_and_b64 s[2:3], s[2:3], exec
.LBB1270_123:
	s_or_b64 exec, exec, s[30:31]
	s_and_b64 s[12:13], s[36:37], exec
	s_and_b64 s[2:3], s[2:3], exec
.LBB1270_124:
	s_or_b64 exec, exec, s[28:29]
	s_and_b64 s[38:39], s[12:13], exec
	s_and_b64 s[36:37], s[2:3], exec
.LBB1270_125:
	s_or_b64 exec, exec, s[34:35]
	s_and_b64 s[2:3], s[38:39], exec
	s_and_b64 s[12:13], s[36:37], exec
.LBB1270_126:
	s_or_b64 exec, exec, s[10:11]
	s_and_b64 vcc, exec, s[4:5]
	s_cbranch_vccnz .LBB1270_128
	s_branch .LBB1270_136
.LBB1270_127:
                                        ; implicit-def: $sgpr2_sgpr3
                                        ; implicit-def: $vgpr50_vgpr51
                                        ; implicit-def: $vgpr18_vgpr19_vgpr20_vgpr21
                                        ; implicit-def: $vgpr2_vgpr3_vgpr4_vgpr5_vgpr6_vgpr7_vgpr8_vgpr9_vgpr10_vgpr11_vgpr12_vgpr13_vgpr14_vgpr15_vgpr16_vgpr17
                                        ; implicit-def: $vgpr52
                                        ; implicit-def: $vgpr1
                                        ; implicit-def: $sgpr8
	s_and_b64 vcc, exec, s[4:5]
	s_cbranch_vccz .LBB1270_136
.LBB1270_128:
	v_lshlrev_b32_e32 v4, 2, v0
	v_mov_b32_e32 v1, s55
	v_add_co_u32_e32 v2, vcc, s54, v4
	v_addc_co_u32_e32 v3, vcc, 0, v1, vcc
	s_movk_i32 s2, 0x1000
	flat_load_dword v5, v[2:3]
	flat_load_dword v6, v[2:3] offset:256
	flat_load_dword v7, v[2:3] offset:512
	;; [unrolled: 1-line block ×15, first 2 shown]
	v_add_co_u32_e32 v2, vcc, s2, v2
	v_addc_co_u32_e32 v3, vcc, 0, v3, vcc
	flat_load_dword v21, v[2:3]
	flat_load_dword v22, v[2:3] offset:256
	flat_load_dword v23, v[2:3] offset:512
	;; [unrolled: 1-line block ×7, first 2 shown]
	s_movk_i32 s2, 0x5c
	v_mad_u32_u24 v1, v0, s2, v4
	s_cmp_eq_u64 s[76:77], 0
	s_waitcnt vmcnt(0) lgkmcnt(0)
	ds_write2st64_b32 v4, v5, v6 offset1:1
	ds_write2st64_b32 v4, v7, v8 offset0:2 offset1:3
	ds_write2st64_b32 v4, v9, v10 offset0:4 offset1:5
	;; [unrolled: 1-line block ×11, first 2 shown]
	s_waitcnt lgkmcnt(0)
	; wave barrier
	s_waitcnt lgkmcnt(0)
	ds_read2_b64 v[2:5], v1 offset1:11
	ds_read2_b64 v[34:37], v1 offset0:9 offset1:10
	ds_read2_b64 v[30:33], v1 offset0:7 offset1:8
	;; [unrolled: 1-line block ×5, first 2 shown]
	s_cbranch_scc1 .LBB1270_133
; %bb.129:
	s_andn2_b64 vcc, exec, s[64:65]
	s_cbranch_vccnz .LBB1270_298
; %bb.130:
	s_lshl_b64 s[2:3], s[76:77], 2
	s_add_u32 s2, s66, s2
	s_addc_u32 s3, s67, s3
	s_add_u32 s2, s2, -4
	s_addc_u32 s3, s3, -1
	s_cbranch_execnz .LBB1270_132
.LBB1270_131:
	s_add_u32 s2, s54, -4
	s_addc_u32 s3, s55, -1
.LBB1270_132:
	s_mov_b64 s[54:55], s[2:3]
.LBB1270_133:
	v_pk_mov_b32 v[10:11], s[54:55], s[54:55] op_sel:[0,1]
	flat_load_dword v10, v[10:11]
	s_movk_i32 s2, 0xffa4
	v_mad_i32_i24 v1, v0, s2, v1
	v_cmp_ne_u32_e32 vcc, 0, v0
	s_waitcnt lgkmcnt(0)
	ds_write_b32 v1, v5 offset:6144
	s_waitcnt lgkmcnt(0)
	; wave barrier
	s_waitcnt lgkmcnt(0)
	s_and_saveexec_b64 s[2:3], vcc
	s_cbranch_execz .LBB1270_135
; %bb.134:
	s_waitcnt vmcnt(0)
	ds_read_b32 v10, v1 offset:6140
.LBB1270_135:
	s_or_b64 exec, exec, s[2:3]
	v_lshlrev_b32_e32 v11, 1, v0
	v_mov_b32_e32 v13, s71
	v_add_co_u32_e32 v12, vcc, s7, v11
	v_addc_co_u32_e32 v13, vcc, 0, v13, vcc
	s_waitcnt lgkmcnt(0)
	; wave barrier
	s_waitcnt lgkmcnt(0)
	flat_load_ushort v14, v[12:13]
	flat_load_ushort v15, v[12:13] offset:128
	flat_load_ushort v16, v[12:13] offset:256
	;; [unrolled: 1-line block ×23, first 2 shown]
	s_waitcnt vmcnt(0)
	v_cmp_ne_u32_e32 vcc, v10, v2
	v_cmp_ne_u32_e64 s[2:3], v4, v5
	v_cndmask_b32_e64 v5, 0, 1, vcc
	v_cmp_ne_u32_e32 vcc, v3, v6
	v_cndmask_b32_e64 v13, 0, 1, vcc
	v_cmp_ne_u32_e32 vcc, v2, v3
	;; [unrolled: 2-line block ×4, first 2 shown]
	v_sub_u32_e32 v1, v1, v11
	v_cndmask_b32_e64 v54, 0, 1, vcc
	v_cmp_ne_u32_e32 vcc, v8, v9
	v_mad_u32_u24 v57, v0, 46, v1
	v_cndmask_b32_e64 v55, 0, 1, vcc
	v_cmp_ne_u32_e32 vcc, v6, v7
	v_cndmask_b32_e64 v56, 0, 1, vcc
	v_cmp_ne_u32_e32 vcc, v37, v4
	s_mov_b64 s[12:13], -1
                                        ; implicit-def: $sgpr8
	s_waitcnt lgkmcnt(0)
	ds_write_b16 v1, v14
	ds_write_b16 v1, v15 offset:128
	ds_write_b16 v1, v16 offset:256
	;; [unrolled: 1-line block ×23, first 2 shown]
	s_waitcnt lgkmcnt(0)
	; wave barrier
	s_waitcnt lgkmcnt(0)
	ds_read_u16 v1, v57
	ds_read_b96 v[10:12], v57 offset:2
	ds_read_b128 v[38:41], v57 offset:14
	ds_read_b128 v[6:9], v57 offset:30
	ds_read_u16 v52, v57 offset:46
	s_waitcnt lgkmcnt(4)
	v_lshl_or_b32 v1, v5, 16, v1
	s_waitcnt lgkmcnt(3)
	v_alignbit_b32 v21, v3, v12, 16
	v_cndmask_b32_e64 v3, 0, 1, vcc
	v_cmp_ne_u32_e32 vcc, v35, v36
	s_waitcnt lgkmcnt(1)
	v_alignbit_b32 v17, v3, v9, 16
	v_cndmask_b32_e64 v3, 0, 1, vcc
	v_cmp_ne_u32_e32 vcc, v33, v34
	v_alignbit_b32 v51, v13, v10, 16
	v_and_b32_e32 v13, 0xffff, v12
	v_alignbit_b32 v15, v3, v8, 16
	v_cndmask_b32_e64 v3, 0, 1, vcc
	v_cmp_ne_u32_e32 vcc, v31, v32
	v_lshl_or_b32 v20, v55, 16, v13
	v_alignbit_b32 v13, v3, v7, 16
	v_cndmask_b32_e64 v3, 0, 1, vcc
	v_cmp_ne_u32_e32 vcc, v29, v30
	v_and_b32_e32 v5, 0xffff, v10
	v_and_b32_e32 v10, 0xffff, v11
	v_alignbit_b32 v19, v54, v11, 16
	v_alignbit_b32 v11, v3, v6, 16
	v_cndmask_b32_e64 v3, 0, 1, vcc
	v_cmp_ne_u32_e32 vcc, v27, v28
	v_and_b32_e32 v16, 0xffff, v9
	v_alignbit_b32 v9, v3, v41, 16
	v_cndmask_b32_e64 v3, 0, 1, vcc
	v_cmp_ne_u32_e32 vcc, v25, v26
	v_and_b32_e32 v12, 0xffff, v7
	v_alignbit_b32 v7, v3, v40, 16
	v_cndmask_b32_e64 v3, 0, 1, vcc
	v_cmp_ne_u32_e32 vcc, v23, v24
	v_lshl_or_b32 v50, v2, 16, v5
	v_alignbit_b32 v5, v3, v39, 16
	v_cndmask_b32_e64 v3, 0, 1, vcc
	v_cmp_ne_u32_e32 vcc, v36, v37
	v_cndmask_b32_e64 v4, 0, 1, vcc
	v_cmp_ne_u32_e32 vcc, v34, v35
	v_and_b32_e32 v14, 0xffff, v8
	v_lshl_or_b32 v16, v4, 16, v16
	v_cndmask_b32_e64 v4, 0, 1, vcc
	v_cmp_ne_u32_e32 vcc, v32, v33
	v_lshl_or_b32 v14, v4, 16, v14
	v_cndmask_b32_e64 v4, 0, 1, vcc
	v_cmp_ne_u32_e32 vcc, v30, v31
	v_lshl_or_b32 v18, v56, 16, v10
	v_and_b32_e32 v10, 0xffff, v6
	v_lshl_or_b32 v12, v4, 16, v12
	v_cndmask_b32_e64 v4, 0, 1, vcc
	v_cmp_ne_u32_e32 vcc, v28, v29
	v_and_b32_e32 v44, 0xffff, v41
	v_lshl_or_b32 v10, v4, 16, v10
	v_cndmask_b32_e64 v4, 0, 1, vcc
	v_cmp_ne_u32_e32 vcc, v26, v27
	;; [unrolled: 4-line block ×3, first 2 shown]
	v_lshl_or_b32 v6, v4, 16, v43
	v_cndmask_b32_e64 v4, 0, 1, vcc
	v_cmp_ne_u32_e32 vcc, v22, v23
	v_and_b32_e32 v2, 0xffff, v38
	v_and_b32_e32 v42, 0xffff, v39
	v_cndmask_b32_e64 v22, 0, 1, vcc
	v_alignbit_b32 v3, v3, v38, 16
	v_lshl_or_b32 v4, v4, 16, v42
	v_lshl_or_b32 v2, v22, 16, v2
.LBB1270_136:
	v_mov_b32_e32 v32, s8
	s_and_saveexec_b64 s[4:5], s[12:13]
	s_cbranch_execz .LBB1270_138
; %bb.137:
	v_mov_b32_e32 v22, 0x10000
	v_cndmask_b32_e64 v22, 0, v22, s[2:3]
	s_waitcnt lgkmcnt(0)
	v_or_b32_sdwa v32, v22, v52 dst_sel:DWORD dst_unused:UNUSED_PAD src0_sel:DWORD src1_sel:WORD_0
.LBB1270_138:
	s_or_b64 exec, exec, s[4:5]
	s_cmp_lg_u32 s6, 0
	v_mbcnt_lo_u32_b32 v33, -1, 0
	s_waitcnt lgkmcnt(0)
	; wave barrier
	s_waitcnt lgkmcnt(0)
	s_cbranch_scc0 .LBB1270_197
; %bb.139:
	s_mov_b32 s7, 0x10000
	v_cmp_gt_u32_e64 s[2:3], s7, v50
	v_cndmask_b32_e64 v22, 0, v1, s[2:3]
	v_add_u16_e32 v22, v22, v50
	v_cmp_gt_u32_e64 s[4:5], s7, v51
	v_cndmask_b32_e64 v22, 0, v22, s[4:5]
	v_add_u16_e32 v22, v22, v51
	;; [unrolled: 3-line block ×16, first 2 shown]
	v_cmp_gt_u32_e64 s[36:37], s7, v12
	v_cndmask_b32_e64 v22, 0, v22, s[36:37]
	v_or3_b32 v23, v32, v17, v16
	v_add_u16_e32 v22, v22, v12
	v_cmp_gt_u32_e64 s[38:39], s7, v13
	v_or3_b32 v23, v23, v15, v14
	v_cndmask_b32_e64 v22, 0, v22, s[38:39]
	v_or3_b32 v23, v23, v13, v12
	v_add_u16_e32 v22, v22, v13
	v_cmp_gt_u32_e64 s[40:41], s7, v14
	v_or3_b32 v23, v23, v11, v10
	;; [unrolled: 5-line block ×5, first 2 shown]
	v_cndmask_b32_e64 v22, 0, v22, s[46:47]
	v_or3_b32 v23, v23, v51, v50
	v_add_u16_e32 v22, v22, v17
	v_cmp_gt_u32_e64 s[48:49], s7, v32
	v_and_b32_e32 v23, 0x10000, v23
	v_lshrrev_b32_e32 v34, 16, v1
	v_cndmask_b32_e64 v24, 0, v22, s[48:49]
	v_cmp_eq_u32_e32 vcc, 0, v23
	v_add_u16_e32 v22, v24, v32
	v_cndmask_b32_e32 v23, 1, v34, vcc
	v_mbcnt_hi_u32_b32 v25, -1, v33
	v_add_u16_e32 v24, v24, v32
	v_and_b32_e32 v27, 15, v25
	v_lshl_or_b32 v26, v23, 16, v24
	v_cmp_ne_u32_e32 vcc, 0, v27
	s_nop 0
	v_mov_b32_dpp v24, v26 row_shr:1 row_mask:0xf bank_mask:0xf
	s_and_saveexec_b64 s[50:51], vcc
	s_cbranch_execz .LBB1270_141
; %bb.140:
	v_cmp_eq_u32_e32 vcc, 0, v23
	v_and_b32_e32 v23, 1, v23
	v_mov_b32_e32 v29, 1
	v_cndmask_b32_e32 v26, 0, v24, vcc
	v_and_b32_sdwa v24, v24, v29 dst_sel:DWORD dst_unused:UNUSED_PAD src0_sel:WORD_1 src1_sel:DWORD
	v_cmp_eq_u32_e32 vcc, 1, v23
	v_cndmask_b32_e64 v23, v24, 1, vcc
	v_add_u16_e32 v28, v26, v22
	v_lshlrev_b32_e32 v24, 16, v23
	v_add_u16_e32 v22, v26, v22
	v_or_b32_e32 v26, v24, v22
	v_mov_b32_e32 v22, v28
.LBB1270_141:
	s_or_b64 exec, exec, s[50:51]
	v_lshrrev_b32_e32 v24, 16, v26
	v_mov_b32_dpp v28, v26 row_shr:2 row_mask:0xf bank_mask:0xf
	v_cmp_lt_u32_e32 vcc, 1, v27
	s_and_saveexec_b64 s[50:51], vcc
	s_cbranch_execz .LBB1270_143
; %bb.142:
	v_cmp_gt_u32_e32 vcc, s7, v26
	v_and_b32_e32 v23, 0x10000, v26
	v_mov_b32_e32 v26, 1
	v_cndmask_b32_e32 v24, 0, v28, vcc
	v_and_b32_sdwa v26, v28, v26 dst_sel:DWORD dst_unused:UNUSED_PAD src0_sel:WORD_1 src1_sel:DWORD
	v_cmp_ne_u32_e32 vcc, 0, v23
	v_cndmask_b32_e64 v23, v26, 1, vcc
	v_add_u16_e32 v29, v24, v22
	v_lshlrev_b32_e32 v26, 16, v23
	v_add_u16_e32 v22, v24, v22
	v_or_b32_e32 v26, v26, v22
	v_mov_b32_e32 v22, v29
	v_mov_b32_e32 v24, v23
.LBB1270_143:
	s_or_b64 exec, exec, s[50:51]
	v_mov_b32_dpp v28, v26 row_shr:4 row_mask:0xf bank_mask:0xf
	v_cmp_lt_u32_e32 vcc, 3, v27
	s_and_saveexec_b64 s[50:51], vcc
	s_cbranch_execz .LBB1270_145
; %bb.144:
	v_mov_b32_e32 v23, 0
	v_cmp_eq_u16_sdwa vcc, v24, v23 src0_sel:BYTE_0 src1_sel:DWORD
	v_and_b32_e32 v23, 1, v24
	v_mov_b32_e32 v24, 1
	v_cndmask_b32_e32 v26, 0, v28, vcc
	v_and_b32_sdwa v24, v28, v24 dst_sel:DWORD dst_unused:UNUSED_PAD src0_sel:WORD_1 src1_sel:DWORD
	v_cmp_eq_u32_e32 vcc, 1, v23
	v_cndmask_b32_e64 v23, v24, 1, vcc
	v_add_u16_e32 v29, v26, v22
	v_lshlrev_b32_e32 v24, 16, v23
	v_add_u16_e32 v22, v26, v22
	v_or_b32_e32 v26, v24, v22
	v_mov_b32_e32 v22, v29
	v_mov_b32_e32 v24, v23
.LBB1270_145:
	s_or_b64 exec, exec, s[50:51]
	v_mov_b32_dpp v28, v26 row_shr:8 row_mask:0xf bank_mask:0xf
	v_cmp_lt_u32_e32 vcc, 7, v27
	s_and_saveexec_b64 s[50:51], vcc
	s_cbranch_execz .LBB1270_147
; %bb.146:
	v_mov_b32_e32 v23, 0
	v_cmp_eq_u16_sdwa vcc, v24, v23 src0_sel:BYTE_0 src1_sel:DWORD
	v_and_b32_e32 v23, 1, v24
	v_mov_b32_e32 v24, 1
	v_cndmask_b32_e32 v26, 0, v28, vcc
	v_and_b32_sdwa v24, v28, v24 dst_sel:DWORD dst_unused:UNUSED_PAD src0_sel:WORD_1 src1_sel:DWORD
	v_cmp_eq_u32_e32 vcc, 1, v23
	v_cndmask_b32_e64 v23, v24, 1, vcc
	v_add_u16_e32 v27, v26, v22
	v_lshlrev_b32_e32 v24, 16, v23
	v_add_u16_e32 v22, v26, v22
	v_or_b32_e32 v26, v24, v22
	v_mov_b32_e32 v22, v27
	v_mov_b32_e32 v24, v23
.LBB1270_147:
	s_or_b64 exec, exec, s[50:51]
	v_and_b32_e32 v28, 16, v25
	v_mov_b32_dpp v27, v26 row_bcast:15 row_mask:0xf bank_mask:0xf
	v_cmp_ne_u32_e32 vcc, 0, v28
	s_and_saveexec_b64 s[50:51], vcc
	s_cbranch_execz .LBB1270_149
; %bb.148:
	v_mov_b32_e32 v23, 0
	v_cmp_eq_u16_sdwa vcc, v24, v23 src0_sel:BYTE_0 src1_sel:DWORD
	v_and_b32_e32 v23, 1, v24
	v_mov_b32_e32 v24, 1
	v_cndmask_b32_e32 v26, 0, v27, vcc
	v_and_b32_sdwa v24, v27, v24 dst_sel:DWORD dst_unused:UNUSED_PAD src0_sel:WORD_1 src1_sel:DWORD
	v_cmp_eq_u32_e32 vcc, 1, v23
	v_cndmask_b32_e64 v23, v24, 1, vcc
	v_add_u16_e32 v28, v26, v22
	v_lshlrev_b32_e32 v24, 16, v23
	v_add_u16_e32 v22, v26, v22
	v_or_b32_e32 v26, v24, v22
	v_mov_b32_e32 v22, v28
	v_mov_b32_e32 v24, v23
.LBB1270_149:
	s_or_b64 exec, exec, s[50:51]
	v_mov_b32_dpp v26, v26 row_bcast:31 row_mask:0xf bank_mask:0xf
	v_cmp_lt_u32_e32 vcc, 31, v25
	s_and_saveexec_b64 s[50:51], vcc
; %bb.150:
	v_mov_b32_e32 v23, 0
	v_cmp_eq_u16_sdwa vcc, v24, v23 src0_sel:BYTE_0 src1_sel:DWORD
	v_cndmask_b32_e32 v23, 0, v26, vcc
	v_add_u16_e32 v22, v23, v22
	v_and_b32_e32 v23, 1, v24
	v_mov_b32_e32 v24, 1
	v_and_b32_sdwa v24, v26, v24 dst_sel:DWORD dst_unused:UNUSED_PAD src0_sel:WORD_1 src1_sel:DWORD
	v_cmp_eq_u32_e32 vcc, 1, v23
	v_cndmask_b32_e64 v23, v24, 1, vcc
	v_mov_b32_e32 v24, v23
; %bb.151:
	s_or_b64 exec, exec, s[50:51]
	v_cmp_eq_u32_e32 vcc, 63, v0
	s_and_saveexec_b64 s[50:51], vcc
	s_cbranch_execz .LBB1270_153
; %bb.152:
	v_mov_b32_e32 v26, 0
	ds_write_b16 v26, v22
	ds_write_b8 v26, v24 offset:2
.LBB1270_153:
	s_or_b64 exec, exec, s[50:51]
	v_and_b32_e32 v23, 0xff, v23
	v_and_b32_e32 v22, 0xffff, v22
	v_lshl_or_b32 v22, v23, 16, v22
	v_add_u32_e32 v23, -1, v25
	v_and_b32_e32 v24, 64, v25
	v_cmp_lt_i32_e32 vcc, v23, v24
	v_cndmask_b32_e32 v23, v23, v25, vcc
	v_lshlrev_b32_e32 v23, 2, v23
	ds_bpermute_b32 v35, v23, v22
	v_cmp_gt_u32_e32 vcc, 64, v0
	s_waitcnt lgkmcnt(0)
	; wave barrier
	s_waitcnt lgkmcnt(0)
	s_and_saveexec_b64 s[54:55], vcc
	s_cbranch_execz .LBB1270_196
; %bb.154:
	v_mov_b32_e32 v29, 0
	ds_read_b32 v22, v29
	s_mov_b32 s65, 0
	v_cmp_eq_u32_e64 s[50:51], 0, v25
	s_and_saveexec_b64 s[60:61], s[50:51]
	s_cbranch_execz .LBB1270_156
; %bb.155:
	s_add_i32 s64, s6, 64
	s_lshl_b64 s[64:65], s[64:65], 3
	s_add_u32 s64, s68, s64
	v_mov_b32_e32 v23, 1
	s_addc_u32 s65, s69, s65
	s_waitcnt lgkmcnt(0)
	global_store_dwordx2 v29, v[22:23], s[64:65]
.LBB1270_156:
	s_or_b64 exec, exec, s[60:61]
	v_xad_u32 v24, v25, -1, s6
	v_add_u32_e32 v28, 64, v24
	v_lshlrev_b64 v[26:27], 3, v[28:29]
	v_mov_b32_e32 v23, s69
	v_add_co_u32_e32 v30, vcc, s68, v26
	v_addc_co_u32_e32 v31, vcc, v23, v27, vcc
	global_load_dwordx2 v[26:27], v[30:31], off glc
	s_waitcnt vmcnt(0)
	v_cmp_eq_u16_sdwa s[64:65], v27, v29 src0_sel:BYTE_0 src1_sel:DWORD
	s_and_saveexec_b64 s[60:61], s[64:65]
	s_cbranch_execz .LBB1270_160
; %bb.157:
	s_mov_b64 s[64:65], 0
	v_mov_b32_e32 v23, 0
.LBB1270_158:                           ; =>This Inner Loop Header: Depth=1
	global_load_dwordx2 v[26:27], v[30:31], off glc
	s_waitcnt vmcnt(0)
	v_cmp_ne_u16_sdwa s[66:67], v27, v23 src0_sel:BYTE_0 src1_sel:DWORD
	s_or_b64 s[64:65], s[66:67], s[64:65]
	s_andn2_b64 exec, exec, s[64:65]
	s_cbranch_execnz .LBB1270_158
; %bb.159:
	s_or_b64 exec, exec, s[64:65]
.LBB1270_160:
	s_or_b64 exec, exec, s[60:61]
	v_mov_b32_e32 v23, 2
	v_cmp_eq_u16_sdwa s[60:61], v27, v23 src0_sel:BYTE_0 src1_sel:DWORD
	v_lshlrev_b64 v[28:29], v25, -1
	v_and_b32_e32 v23, s61, v29
	v_or_b32_e32 v23, 0x80000000, v23
	v_ffbl_b32_e32 v23, v23
	v_add_u32_e32 v31, 32, v23
	v_and_b32_e32 v23, 63, v25
	v_cmp_ne_u32_e32 vcc, 63, v23
	v_addc_co_u32_e32 v36, vcc, 0, v25, vcc
	v_and_b32_e32 v47, 0xffffff, v26
	v_lshlrev_b32_e32 v36, 2, v36
	ds_bpermute_b32 v37, v36, v47
	v_and_b32_e32 v30, s60, v28
	v_ffbl_b32_e32 v30, v30
	v_min_u32_e32 v31, v30, v31
	v_lshrrev_b32_e32 v30, 16, v26
	v_cmp_lt_u32_e32 vcc, v23, v31
	v_bfe_u32 v45, v26, 16, 8
	s_and_saveexec_b64 s[60:61], vcc
	s_cbranch_execz .LBB1270_162
; %bb.161:
	v_and_b32_e32 v30, 0xff0000, v26
	v_cmp_eq_u32_e32 vcc, 0, v30
	v_and_b32_e32 v30, 0x10000, v30
	v_mov_b32_e32 v40, 1
	s_waitcnt lgkmcnt(0)
	v_cndmask_b32_e32 v38, 0, v37, vcc
	v_and_b32_sdwa v37, v37, v40 dst_sel:DWORD dst_unused:UNUSED_PAD src0_sel:WORD_1 src1_sel:DWORD
	v_cmp_ne_u32_e32 vcc, 0, v30
	v_cndmask_b32_e64 v30, v37, 1, vcc
	v_add_u16_e32 v39, v38, v26
	v_lshlrev_b32_e32 v37, 16, v30
	v_add_u16_e32 v26, v38, v26
	v_or_b32_e32 v47, v37, v26
	v_mov_b32_e32 v26, v39
	v_mov_b32_e32 v45, v30
.LBB1270_162:
	s_or_b64 exec, exec, s[60:61]
	v_cmp_gt_u32_e32 vcc, 62, v23
	s_waitcnt lgkmcnt(0)
	v_cndmask_b32_e64 v37, 0, 1, vcc
	v_lshlrev_b32_e32 v37, 1, v37
	v_add_lshl_u32 v37, v37, v25, 2
	ds_bpermute_b32 v39, v37, v47
	v_add_u32_e32 v38, 2, v23
	v_cmp_le_u32_e32 vcc, v38, v31
	s_and_saveexec_b64 s[60:61], vcc
	s_cbranch_execz .LBB1270_164
; %bb.163:
	v_cmp_eq_u16_e32 vcc, 0, v45
	v_and_b32_e32 v30, 1, v45
	v_mov_b32_e32 v42, 1
	s_waitcnt lgkmcnt(0)
	v_cndmask_b32_e32 v40, 0, v39, vcc
	v_and_b32_sdwa v39, v39, v42 dst_sel:DWORD dst_unused:UNUSED_PAD src0_sel:WORD_1 src1_sel:DWORD
	v_cmp_eq_u32_e32 vcc, 1, v30
	v_cndmask_b32_e64 v30, v39, 1, vcc
	v_add_u16_e32 v41, v40, v26
	v_lshlrev_b32_e32 v39, 16, v30
	v_add_u16_e32 v26, v40, v26
	v_or_b32_e32 v47, v39, v26
	v_mov_b32_e32 v26, v41
	v_mov_b32_e32 v45, v30
.LBB1270_164:
	s_or_b64 exec, exec, s[60:61]
	v_cmp_gt_u32_e32 vcc, 60, v23
	s_waitcnt lgkmcnt(0)
	v_cndmask_b32_e64 v39, 0, 1, vcc
	v_lshlrev_b32_e32 v39, 2, v39
	v_add_lshl_u32 v39, v39, v25, 2
	ds_bpermute_b32 v41, v39, v47
	v_add_u32_e32 v40, 4, v23
	v_cmp_le_u32_e32 vcc, v40, v31
	s_and_saveexec_b64 s[60:61], vcc
	s_cbranch_execz .LBB1270_166
; %bb.165:
	v_cmp_eq_u16_e32 vcc, 0, v45
	v_and_b32_e32 v30, 1, v45
	v_mov_b32_e32 v44, 1
	s_waitcnt lgkmcnt(0)
	v_cndmask_b32_e32 v42, 0, v41, vcc
	v_and_b32_sdwa v41, v41, v44 dst_sel:DWORD dst_unused:UNUSED_PAD src0_sel:WORD_1 src1_sel:DWORD
	v_cmp_eq_u32_e32 vcc, 1, v30
	v_cndmask_b32_e64 v30, v41, 1, vcc
	v_add_u16_e32 v43, v42, v26
	v_lshlrev_b32_e32 v41, 16, v30
	v_add_u16_e32 v26, v42, v26
	v_or_b32_e32 v47, v41, v26
	v_mov_b32_e32 v26, v43
	v_mov_b32_e32 v45, v30
.LBB1270_166:
	;; [unrolled: 27-line block ×4, first 2 shown]
	s_or_b64 exec, exec, s[60:61]
	v_cmp_gt_u32_e32 vcc, 32, v23
	s_waitcnt lgkmcnt(0)
	v_cndmask_b32_e64 v46, 0, 1, vcc
	v_lshlrev_b32_e32 v46, 5, v46
	v_add_lshl_u32 v46, v46, v25, 2
	ds_bpermute_b32 v25, v46, v47
	v_add_u32_e32 v48, 32, v23
	v_cmp_le_u32_e32 vcc, v48, v31
	s_and_saveexec_b64 s[60:61], vcc
	s_cbranch_execz .LBB1270_172
; %bb.171:
	v_cmp_eq_u16_e32 vcc, 0, v45
	s_waitcnt lgkmcnt(0)
	v_cndmask_b32_e32 v30, 0, v25, vcc
	v_add_u16_e32 v26, v30, v26
	v_and_b32_e32 v30, 1, v45
	v_mov_b32_e32 v31, 1
	v_and_b32_sdwa v25, v25, v31 dst_sel:DWORD dst_unused:UNUSED_PAD src0_sel:WORD_1 src1_sel:DWORD
	v_cmp_eq_u32_e32 vcc, 1, v30
	v_cndmask_b32_e64 v30, v25, 1, vcc
.LBB1270_172:
	s_or_b64 exec, exec, s[60:61]
	s_waitcnt lgkmcnt(0)
	v_mov_b32_e32 v25, 0
	v_mov_b32_e32 v49, 2
	;; [unrolled: 1-line block ×3, first 2 shown]
	s_branch .LBB1270_174
.LBB1270_173:                           ;   in Loop: Header=BB1270_174 Depth=1
	s_or_b64 exec, exec, s[60:61]
	v_cmp_eq_u16_sdwa vcc, v45, v25 src0_sel:BYTE_0 src1_sel:DWORD
	v_and_b32_e32 v30, 1, v45
	v_cndmask_b32_e32 v26, 0, v26, vcc
	v_and_b32_e32 v31, 1, v31
	v_cmp_eq_u32_e32 vcc, 1, v30
	v_subrev_u32_e32 v24, 64, v24
	v_add_u16_e32 v26, v26, v47
	v_cndmask_b32_e64 v30, v31, 1, vcc
.LBB1270_174:                           ; =>This Loop Header: Depth=1
                                        ;     Child Loop BB1270_177 Depth 2
	v_cmp_ne_u16_sdwa s[60:61], v27, v49 src0_sel:BYTE_0 src1_sel:DWORD
	v_cndmask_b32_e64 v27, 0, 1, s[60:61]
	;;#ASMSTART
	;;#ASMEND
	v_cmp_ne_u32_e32 vcc, 0, v27
	v_mov_b32_e32 v45, v30
	s_cmp_lg_u64 vcc, exec
	v_mov_b32_e32 v47, v26
	s_cbranch_scc1 .LBB1270_191
; %bb.175:                              ;   in Loop: Header=BB1270_174 Depth=1
	v_lshlrev_b64 v[26:27], 3, v[24:25]
	v_mov_b32_e32 v31, s69
	v_add_co_u32_e32 v30, vcc, s68, v26
	v_addc_co_u32_e32 v31, vcc, v31, v27, vcc
	global_load_dwordx2 v[26:27], v[30:31], off glc
	s_waitcnt vmcnt(0)
	v_cmp_eq_u16_sdwa s[64:65], v27, v25 src0_sel:BYTE_0 src1_sel:DWORD
	s_and_saveexec_b64 s[60:61], s[64:65]
	s_cbranch_execz .LBB1270_179
; %bb.176:                              ;   in Loop: Header=BB1270_174 Depth=1
	s_mov_b64 s[64:65], 0
.LBB1270_177:                           ;   Parent Loop BB1270_174 Depth=1
                                        ; =>  This Inner Loop Header: Depth=2
	global_load_dwordx2 v[26:27], v[30:31], off glc
	s_waitcnt vmcnt(0)
	v_cmp_ne_u16_sdwa s[66:67], v27, v25 src0_sel:BYTE_0 src1_sel:DWORD
	s_or_b64 s[64:65], s[66:67], s[64:65]
	s_andn2_b64 exec, exec, s[64:65]
	s_cbranch_execnz .LBB1270_177
; %bb.178:                              ;   in Loop: Header=BB1270_174 Depth=1
	s_or_b64 exec, exec, s[64:65]
.LBB1270_179:                           ;   in Loop: Header=BB1270_174 Depth=1
	s_or_b64 exec, exec, s[60:61]
	v_cmp_eq_u16_sdwa s[60:61], v27, v49 src0_sel:BYTE_0 src1_sel:DWORD
	v_and_b32_e32 v30, s61, v29
	s_waitcnt lgkmcnt(0)
	v_and_b32_e32 v54, 0xffffff, v26
	v_or_b32_e32 v30, 0x80000000, v30
	ds_bpermute_b32 v55, v36, v54
	v_and_b32_e32 v31, s60, v28
	v_ffbl_b32_e32 v30, v30
	v_add_u32_e32 v30, 32, v30
	v_ffbl_b32_e32 v31, v31
	v_min_u32_e32 v30, v31, v30
	v_lshrrev_b32_e32 v31, 16, v26
	v_cmp_lt_u32_e32 vcc, v23, v30
	v_bfe_u32 v53, v26, 16, 8
	s_and_saveexec_b64 s[60:61], vcc
	s_cbranch_execz .LBB1270_181
; %bb.180:                              ;   in Loop: Header=BB1270_174 Depth=1
	v_and_b32_e32 v31, 0xff0000, v26
	v_cmp_eq_u32_e32 vcc, 0, v31
	v_and_b32_e32 v31, 0x10000, v31
	s_waitcnt lgkmcnt(0)
	v_cndmask_b32_e32 v53, 0, v55, vcc
	v_and_b32_sdwa v54, v55, v52 dst_sel:DWORD dst_unused:UNUSED_PAD src0_sel:WORD_1 src1_sel:DWORD
	v_cmp_ne_u32_e32 vcc, 0, v31
	v_cndmask_b32_e64 v31, v54, 1, vcc
	v_add_u16_e32 v56, v53, v26
	v_lshlrev_b32_e32 v54, 16, v31
	v_add_u16_e32 v26, v53, v26
	v_or_b32_e32 v54, v54, v26
	v_mov_b32_e32 v26, v56
	v_mov_b32_e32 v53, v31
.LBB1270_181:                           ;   in Loop: Header=BB1270_174 Depth=1
	s_or_b64 exec, exec, s[60:61]
	s_waitcnt lgkmcnt(0)
	ds_bpermute_b32 v55, v37, v54
	v_cmp_le_u32_e32 vcc, v38, v30
	s_and_saveexec_b64 s[60:61], vcc
	s_cbranch_execz .LBB1270_183
; %bb.182:                              ;   in Loop: Header=BB1270_174 Depth=1
	v_cmp_eq_u16_e32 vcc, 0, v53
	v_and_b32_e32 v31, 1, v53
	s_waitcnt lgkmcnt(0)
	v_cndmask_b32_e32 v54, 0, v55, vcc
	v_and_b32_sdwa v53, v55, v52 dst_sel:DWORD dst_unused:UNUSED_PAD src0_sel:WORD_1 src1_sel:DWORD
	v_cmp_eq_u32_e32 vcc, 1, v31
	v_cndmask_b32_e64 v31, v53, 1, vcc
	v_add_u16_e32 v56, v54, v26
	v_lshlrev_b32_e32 v53, 16, v31
	v_add_u16_e32 v26, v54, v26
	v_or_b32_e32 v54, v53, v26
	v_mov_b32_e32 v26, v56
	v_mov_b32_e32 v53, v31
.LBB1270_183:                           ;   in Loop: Header=BB1270_174 Depth=1
	s_or_b64 exec, exec, s[60:61]
	s_waitcnt lgkmcnt(0)
	ds_bpermute_b32 v55, v39, v54
	v_cmp_le_u32_e32 vcc, v40, v30
	s_and_saveexec_b64 s[60:61], vcc
	s_cbranch_execz .LBB1270_185
; %bb.184:                              ;   in Loop: Header=BB1270_174 Depth=1
	v_cmp_eq_u16_e32 vcc, 0, v53
	v_and_b32_e32 v31, 1, v53
	s_waitcnt lgkmcnt(0)
	v_cndmask_b32_e32 v54, 0, v55, vcc
	v_and_b32_sdwa v53, v55, v52 dst_sel:DWORD dst_unused:UNUSED_PAD src0_sel:WORD_1 src1_sel:DWORD
	v_cmp_eq_u32_e32 vcc, 1, v31
	v_cndmask_b32_e64 v31, v53, 1, vcc
	v_add_u16_e32 v56, v54, v26
	v_lshlrev_b32_e32 v53, 16, v31
	v_add_u16_e32 v26, v54, v26
	v_or_b32_e32 v54, v53, v26
	v_mov_b32_e32 v26, v56
	v_mov_b32_e32 v53, v31
.LBB1270_185:                           ;   in Loop: Header=BB1270_174 Depth=1
	;; [unrolled: 21-line block ×4, first 2 shown]
	s_or_b64 exec, exec, s[60:61]
	ds_bpermute_b32 v54, v46, v54
	v_cmp_le_u32_e32 vcc, v48, v30
	s_and_saveexec_b64 s[60:61], vcc
	s_cbranch_execz .LBB1270_173
; %bb.190:                              ;   in Loop: Header=BB1270_174 Depth=1
	v_cmp_eq_u16_e32 vcc, 0, v53
	s_waitcnt lgkmcnt(0)
	v_cndmask_b32_e32 v30, 0, v54, vcc
	v_add_u16_e32 v26, v30, v26
	v_and_b32_e32 v30, 1, v53
	v_lshrrev_b32_e32 v31, 16, v54
	v_cmp_eq_u32_e32 vcc, 1, v30
	v_cndmask_b32_e64 v31, v31, 1, vcc
	s_branch .LBB1270_173
.LBB1270_191:                           ;   in Loop: Header=BB1270_174 Depth=1
                                        ; implicit-def: $vgpr30
                                        ; implicit-def: $vgpr26
	s_cbranch_execz .LBB1270_174
; %bb.192:
	s_and_saveexec_b64 s[60:61], s[50:51]
	s_cbranch_execz .LBB1270_194
; %bb.193:
	v_and_b32_e32 v23, 0xff0000, v22
	s_mov_b32 s7, 0
	v_cmp_eq_u32_e32 vcc, 0, v23
	v_and_b32_e32 v24, 0x10000, v22
	v_mov_b32_e32 v25, 1
	s_add_i32 s6, s6, 64
	v_cndmask_b32_e32 v23, 0, v47, vcc
	v_and_b32_sdwa v25, v45, v25 dst_sel:WORD_1 dst_unused:UNUSED_PAD src0_sel:DWORD src1_sel:DWORD
	v_mov_b32_e32 v26, 0x10000
	v_cmp_eq_u32_e32 vcc, 0, v24
	s_lshl_b64 s[6:7], s[6:7], 3
	v_cndmask_b32_e32 v24, v26, v25, vcc
	s_add_u32 s6, s68, s6
	v_add_u16_e32 v22, v23, v22
	s_addc_u32 s7, s69, s7
	v_mov_b32_e32 v25, 0
	v_or_b32_e32 v22, v24, v22
	v_mov_b32_e32 v23, 2
	global_store_dwordx2 v25, v[22:23], s[6:7]
.LBB1270_194:
	s_or_b64 exec, exec, s[60:61]
	v_cmp_eq_u32_e32 vcc, 0, v0
	s_and_b64 exec, exec, vcc
	s_cbranch_execz .LBB1270_196
; %bb.195:
	v_mov_b32_e32 v22, 0
	ds_write_b16 v22, v47
	ds_write_b8 v22, v45 offset:2
.LBB1270_196:
	s_or_b64 exec, exec, s[54:55]
	v_mov_b32_e32 v22, 0
	s_mov_b32 s6, 0x10000
	s_waitcnt lgkmcnt(0)
	; wave barrier
	s_waitcnt lgkmcnt(0)
	ds_read_b32 v23, v22
	v_cmp_gt_u32_e32 vcc, s6, v1
	v_and_b32_e32 v25, 0x10000, v1
	v_mov_b32_e32 v26, 1
	v_cndmask_b32_e32 v24, 0, v35, vcc
	v_and_b32_sdwa v26, v35, v26 dst_sel:DWORD dst_unused:UNUSED_PAD src0_sel:WORD_1 src1_sel:DWORD
	v_cmp_ne_u32_e32 vcc, 0, v25
	v_cndmask_b32_e64 v25, v26, 1, vcc
	v_cmp_eq_u32_e32 vcc, 0, v0
	v_cndmask_b32_e32 v25, v25, v34, vcc
	v_cndmask_b32_e64 v24, v24, 0, vcc
	v_cmp_eq_u16_sdwa vcc, v25, v22 src0_sel:BYTE_0 src1_sel:DWORD
	v_add_u16_e32 v24, v24, v1
	s_waitcnt lgkmcnt(0)
	v_cndmask_b32_e32 v22, 0, v23, vcc
	v_add_u16_e32 v47, v24, v22
	v_cndmask_b32_e64 v22, 0, v47, s[2:3]
	v_add_u16_e32 v22, v22, v50
	v_cndmask_b32_e64 v23, 0, v22, s[4:5]
	;; [unrolled: 2-line block ×23, first 2 shown]
	v_add_u16_e32 v46, v46, v32
	s_branch .LBB1270_219
.LBB1270_197:
                                        ; implicit-def: $vgpr47
                                        ; implicit-def: $vgpr22
                                        ; implicit-def: $vgpr23
                                        ; implicit-def: $vgpr24
                                        ; implicit-def: $vgpr25
                                        ; implicit-def: $vgpr26
                                        ; implicit-def: $vgpr27
                                        ; implicit-def: $vgpr29
                                        ; implicit-def: $vgpr28
                                        ; implicit-def: $vgpr30
                                        ; implicit-def: $vgpr31
                                        ; implicit-def: $vgpr34
                                        ; implicit-def: $vgpr35
                                        ; implicit-def: $vgpr36
                                        ; implicit-def: $vgpr37
                                        ; implicit-def: $vgpr39
                                        ; implicit-def: $vgpr38
                                        ; implicit-def: $vgpr40
                                        ; implicit-def: $vgpr41
                                        ; implicit-def: $vgpr42
                                        ; implicit-def: $vgpr43
                                        ; implicit-def: $vgpr44
                                        ; implicit-def: $vgpr45
                                        ; implicit-def: $vgpr46
	s_cbranch_execz .LBB1270_219
; %bb.198:
	s_cmp_lg_u64 s[74:75], 0
	s_cselect_b32 s5, s63, 0
	s_cselect_b32 s4, s62, 0
	s_cmp_lg_u64 s[4:5], 0
	s_cselect_b64 s[6:7], -1, 0
	v_cmp_eq_u32_e32 vcc, 0, v0
	v_cmp_ne_u32_e64 s[2:3], 0, v0
	s_and_b64 s[8:9], vcc, s[6:7]
	s_and_saveexec_b64 s[6:7], s[8:9]
	s_cbranch_execz .LBB1270_200
; %bb.199:
	v_mov_b32_e32 v22, 0
	global_load_ushort v23, v22, s[4:5]
	global_load_ubyte v24, v22, s[4:5] offset:2
	s_mov_b32 s4, 0x10000
	v_and_b32_e32 v22, 0x10000, v1
	v_mov_b32_e32 v25, 1
	v_cmp_gt_u32_e64 s[4:5], s4, v1
	v_mov_b32_e32 v26, 0x10000
	s_waitcnt vmcnt(1)
	v_cndmask_b32_e64 v23, 0, v23, s[4:5]
	s_waitcnt vmcnt(0)
	v_and_b32_sdwa v24, v24, v25 dst_sel:WORD_1 dst_unused:UNUSED_PAD src0_sel:DWORD src1_sel:DWORD
	v_cmp_eq_u32_e64 s[4:5], 0, v22
	v_add_u16_e32 v1, v23, v1
	v_cndmask_b32_e64 v22, v26, v24, s[4:5]
	v_or_b32_e32 v1, v22, v1
.LBB1270_200:
	s_or_b64 exec, exec, s[6:7]
	s_mov_b32 s50, 0x10000
	v_cmp_gt_u32_e64 s[4:5], s50, v50
	v_cndmask_b32_e64 v22, 0, v1, s[4:5]
	v_add_u16_e32 v22, v22, v50
	v_cmp_gt_u32_e64 s[6:7], s50, v51
	v_cndmask_b32_e64 v23, 0, v22, s[6:7]
	v_add_u16_e32 v23, v23, v51
	;; [unrolled: 3-line block ×4, first 2 shown]
	v_cmp_gt_u32_e64 s[12:13], s50, v20
	v_bfe_u32 v28, v19, 16, 1
	v_mov_b32_e32 v52, 1
	v_cndmask_b32_e64 v26, 0, v25, s[12:13]
	v_lshlrev_b16_e32 v28, 1, v28
	v_and_b32_sdwa v29, v18, v52 dst_sel:DWORD dst_unused:UNUSED_PAD src0_sel:WORD_1 src1_sel:DWORD
	v_add_u16_e32 v26, v26, v20
	v_cmp_gt_u32_e64 s[14:15], s50, v21
	v_or_b32_e32 v28, v29, v28
	v_bfe_u32 v29, v21, 16, 1
	v_and_b32_sdwa v30, v20, v52 dst_sel:DWORD dst_unused:UNUSED_PAD src0_sel:WORD_1 src1_sel:DWORD
	v_cndmask_b32_e64 v27, 0, v26, s[14:15]
	v_lshlrev_b16_e32 v29, 3, v29
	v_lshlrev_b16_e32 v30, 2, v30
	v_add_u16_e32 v27, v27, v21
	v_or_b32_e32 v29, v29, v30
	v_cmp_gt_u32_e64 s[16:17], s50, v2
	v_or_b32_e32 v46, v28, v29
	v_cndmask_b32_e64 v28, 0, v27, s[16:17]
	v_add_u16_e32 v29, v28, v2
	v_cmp_gt_u32_e64 s[18:19], s50, v3
	v_cndmask_b32_e64 v28, 0, v29, s[18:19]
	v_bfe_u32 v48, v11, 16, 1
	v_add_u16_e32 v28, v28, v3
	v_cmp_gt_u32_e64 s[20:21], s50, v4
	v_lshlrev_b16_e32 v48, 1, v48
	v_and_b32_sdwa v49, v10, v52 dst_sel:DWORD dst_unused:UNUSED_PAD src0_sel:WORD_1 src1_sel:DWORD
	v_cndmask_b32_e64 v30, 0, v28, s[20:21]
	v_or_b32_e32 v48, v49, v48
	v_bfe_u32 v49, v13, 16, 1
	v_and_b32_sdwa v53, v12, v52 dst_sel:DWORD dst_unused:UNUSED_PAD src0_sel:WORD_1 src1_sel:DWORD
	v_add_u16_e32 v30, v30, v4
	v_cmp_gt_u32_e64 s[22:23], s50, v5
	v_lshlrev_b16_e32 v49, 3, v49
	v_lshlrev_b16_e32 v53, 2, v53
	v_cndmask_b32_e64 v31, 0, v30, s[22:23]
	v_or_b32_e32 v49, v49, v53
	v_add_u16_e32 v31, v31, v5
	v_cmp_gt_u32_e64 s[24:25], s50, v6
	v_or_b32_sdwa v48, v48, v49 dst_sel:BYTE_1 dst_unused:UNUSED_PAD src0_sel:DWORD src1_sel:DWORD
	v_bfe_u32 v49, v15, 16, 1
	v_cndmask_b32_e64 v34, 0, v31, s[24:25]
	v_lshlrev_b16_e32 v49, 1, v49
	v_and_b32_sdwa v53, v14, v52 dst_sel:DWORD dst_unused:UNUSED_PAD src0_sel:WORD_1 src1_sel:DWORD
	v_add_u16_e32 v34, v34, v6
	v_cmp_gt_u32_e64 s[26:27], s50, v7
	v_or_b32_e32 v49, v53, v49
	v_bfe_u32 v53, v17, 16, 1
	v_and_b32_sdwa v54, v16, v52 dst_sel:DWORD dst_unused:UNUSED_PAD src0_sel:WORD_1 src1_sel:DWORD
	v_cndmask_b32_e64 v35, 0, v34, s[26:27]
	v_lshlrev_b16_e32 v53, 3, v53
	v_lshlrev_b16_e32 v54, 2, v54
	v_add_u16_e32 v35, v35, v7
	v_cmp_gt_u32_e64 s[28:29], s50, v8
	v_or_b32_e32 v53, v53, v54
	v_cndmask_b32_e64 v36, 0, v35, s[28:29]
	v_or_b32_e32 v49, v49, v53
	v_add_u16_e32 v36, v36, v8
	v_cmp_gt_u32_e64 s[30:31], s50, v9
	v_lshlrev_b16_e32 v49, 12, v49
	v_cndmask_b32_e64 v37, 0, v36, s[30:31]
	v_or_b32_e32 v48, v49, v48
	v_bfe_u32 v49, v3, 16, 1
	v_add_u16_e32 v37, v37, v9
	v_cmp_gt_u32_e64 s[34:35], s50, v10
	v_lshlrev_b16_e32 v49, 1, v49
	v_and_b32_sdwa v53, v2, v52 dst_sel:DWORD dst_unused:UNUSED_PAD src0_sel:WORD_1 src1_sel:DWORD
	v_cndmask_b32_e64 v38, 0, v37, s[34:35]
	v_or_b32_e32 v49, v53, v49
	v_bfe_u32 v53, v5, 16, 1
	v_and_b32_sdwa v54, v4, v52 dst_sel:DWORD dst_unused:UNUSED_PAD src0_sel:WORD_1 src1_sel:DWORD
	v_add_u16_e32 v39, v38, v10
	v_cmp_gt_u32_e64 s[36:37], s50, v11
	v_lshlrev_b16_e32 v53, 3, v53
	v_lshlrev_b16_e32 v54, 2, v54
	v_cndmask_b32_e64 v38, 0, v39, s[36:37]
	v_or_b32_e32 v53, v53, v54
	v_add_u16_e32 v38, v38, v11
	v_cmp_gt_u32_e64 s[38:39], s50, v12
	v_or_b32_e32 v49, v49, v53
	v_bfe_u32 v53, v7, 16, 1
	v_cndmask_b32_e64 v40, 0, v38, s[38:39]
	v_lshlrev_b16_e32 v53, 1, v53
	v_and_b32_sdwa v54, v6, v52 dst_sel:DWORD dst_unused:UNUSED_PAD src0_sel:WORD_1 src1_sel:DWORD
	v_add_u16_e32 v40, v40, v12
	v_cmp_gt_u32_e64 s[40:41], s50, v13
	v_or_b32_e32 v53, v54, v53
	v_bfe_u32 v54, v9, 16, 1
	v_and_b32_sdwa v55, v8, v52 dst_sel:DWORD dst_unused:UNUSED_PAD src0_sel:WORD_1 src1_sel:DWORD
	v_cndmask_b32_e64 v41, 0, v40, s[40:41]
	v_lshlrev_b16_e32 v54, 3, v54
	v_lshlrev_b16_e32 v55, 2, v55
	v_add_u16_e32 v41, v41, v13
	v_cmp_gt_u32_e64 s[42:43], s50, v14
	v_or_b32_e32 v54, v54, v55
	v_cndmask_b32_e64 v42, 0, v41, s[42:43]
	v_or_b32_e32 v53, v53, v54
	v_add_u16_e32 v42, v42, v14
	v_cmp_gt_u32_e64 s[44:45], s50, v15
	v_lshlrev_b16_e32 v53, 4, v53
	v_cndmask_b32_e64 v43, 0, v42, s[44:45]
	v_or_b32_e32 v49, v49, v53
	v_add_u16_e32 v43, v43, v15
	v_cmp_gt_u32_e64 s[46:47], s50, v16
	v_or_b32_sdwa v49, v49, v48 dst_sel:DWORD dst_unused:UNUSED_PAD src0_sel:BYTE_0 src1_sel:DWORD
	v_cndmask_b32_e64 v44, 0, v43, s[46:47]
	v_or_b32_e32 v46, v49, v46
	v_add_u16_e32 v44, v44, v16
	v_cmp_gt_u32_e64 s[48:49], s50, v17
	v_cmp_ne_u16_e64 s[52:53], 0, v46
	v_or3_b32 v46, v51, v50, v32
	v_cndmask_b32_e64 v45, 0, v44, s[48:49]
	v_and_b32_e32 v46, 0x10000, v46
	v_add_u16_e32 v45, v45, v17
	v_cmp_gt_u32_e64 s[50:51], s50, v32
	v_cmp_ne_u32_e64 s[54:55], 0, v46
	v_lshrrev_b32_e32 v47, 16, v1
	v_cndmask_b32_e64 v53, 0, v45, s[50:51]
	s_or_b64 s[52:53], s[54:55], s[52:53]
	v_cndmask_b32_e64 v49, v47, 1, s[52:53]
	v_mbcnt_hi_u32_b32 v33, -1, v33
	v_add_u16_e32 v46, v53, v32
	v_add_u16_e32 v48, v53, v32
	v_and_b32_e32 v54, 15, v33
	v_lshl_or_b32 v53, v49, 16, v46
	v_cmp_ne_u32_e64 s[52:53], 0, v54
	s_nop 0
	v_mov_b32_dpp v55, v53 row_shr:1 row_mask:0xf bank_mask:0xf
	s_and_saveexec_b64 s[54:55], s[52:53]
; %bb.201:
	v_cmp_eq_u32_e64 s[52:53], 0, v49
	v_and_b32_e32 v49, 1, v49
	v_cndmask_b32_e64 v53, 0, v55, s[52:53]
	v_and_b32_sdwa v52, v55, v52 dst_sel:DWORD dst_unused:UNUSED_PAD src0_sel:WORD_1 src1_sel:DWORD
	v_cmp_eq_u32_e64 s[52:53], 1, v49
	v_cndmask_b32_e64 v49, v52, 1, s[52:53]
	v_add_u16_e32 v56, v48, v53
	v_lshlrev_b32_e32 v52, 16, v49
	v_add_u16_e32 v48, v48, v53
	v_or_b32_e32 v53, v52, v48
	v_mov_b32_e32 v48, v56
; %bb.202:
	s_or_b64 exec, exec, s[54:55]
	v_lshrrev_b32_e32 v52, 16, v53
	v_mov_b32_dpp v55, v53 row_shr:2 row_mask:0xf bank_mask:0xf
	v_cmp_lt_u32_e64 s[52:53], 1, v54
	s_and_saveexec_b64 s[54:55], s[52:53]
	s_cbranch_execz .LBB1270_204
; %bb.203:
	s_mov_b32 s52, 0x10000
	v_cmp_gt_u32_e64 s[52:53], s52, v53
	v_and_b32_e32 v49, 0x10000, v53
	v_mov_b32_e32 v53, 1
	v_cndmask_b32_e64 v52, 0, v55, s[52:53]
	v_and_b32_sdwa v53, v55, v53 dst_sel:DWORD dst_unused:UNUSED_PAD src0_sel:WORD_1 src1_sel:DWORD
	v_cmp_ne_u32_e64 s[52:53], 0, v49
	v_cndmask_b32_e64 v49, v53, 1, s[52:53]
	v_add_u16_e32 v56, v52, v48
	v_lshlrev_b32_e32 v53, 16, v49
	v_add_u16_e32 v48, v52, v48
	v_or_b32_e32 v53, v53, v48
	v_mov_b32_e32 v48, v56
	v_mov_b32_e32 v52, v49
.LBB1270_204:
	s_or_b64 exec, exec, s[54:55]
	v_mov_b32_dpp v55, v53 row_shr:4 row_mask:0xf bank_mask:0xf
	v_cmp_lt_u32_e64 s[52:53], 3, v54
	s_and_saveexec_b64 s[54:55], s[52:53]
	s_cbranch_execz .LBB1270_206
; %bb.205:
	v_mov_b32_e32 v49, 0
	v_cmp_eq_u16_sdwa s[52:53], v52, v49 src0_sel:BYTE_0 src1_sel:DWORD
	v_and_b32_e32 v49, 1, v52
	v_mov_b32_e32 v52, 1
	v_cndmask_b32_e64 v53, 0, v55, s[52:53]
	v_and_b32_sdwa v52, v55, v52 dst_sel:DWORD dst_unused:UNUSED_PAD src0_sel:WORD_1 src1_sel:DWORD
	v_cmp_eq_u32_e64 s[52:53], 1, v49
	v_cndmask_b32_e64 v49, v52, 1, s[52:53]
	v_add_u16_e32 v56, v53, v48
	v_lshlrev_b32_e32 v52, 16, v49
	v_add_u16_e32 v48, v53, v48
	v_or_b32_e32 v53, v52, v48
	v_mov_b32_e32 v48, v56
	v_mov_b32_e32 v52, v49
.LBB1270_206:
	s_or_b64 exec, exec, s[54:55]
	v_mov_b32_dpp v55, v53 row_shr:8 row_mask:0xf bank_mask:0xf
	v_cmp_lt_u32_e64 s[52:53], 7, v54
	s_and_saveexec_b64 s[54:55], s[52:53]
	s_cbranch_execz .LBB1270_208
; %bb.207:
	v_mov_b32_e32 v49, 0
	v_cmp_eq_u16_sdwa s[52:53], v52, v49 src0_sel:BYTE_0 src1_sel:DWORD
	v_and_b32_e32 v49, 1, v52
	v_mov_b32_e32 v52, 1
	v_cndmask_b32_e64 v53, 0, v55, s[52:53]
	v_and_b32_sdwa v52, v55, v52 dst_sel:DWORD dst_unused:UNUSED_PAD src0_sel:WORD_1 src1_sel:DWORD
	v_cmp_eq_u32_e64 s[52:53], 1, v49
	v_cndmask_b32_e64 v49, v52, 1, s[52:53]
	v_add_u16_e32 v54, v53, v48
	v_lshlrev_b32_e32 v52, 16, v49
	v_add_u16_e32 v48, v53, v48
	v_or_b32_e32 v53, v52, v48
	v_mov_b32_e32 v48, v54
	v_mov_b32_e32 v52, v49
.LBB1270_208:
	s_or_b64 exec, exec, s[54:55]
	v_and_b32_e32 v55, 16, v33
	v_mov_b32_dpp v54, v53 row_bcast:15 row_mask:0xf bank_mask:0xf
	v_cmp_ne_u32_e64 s[52:53], 0, v55
	s_and_saveexec_b64 s[54:55], s[52:53]
	s_cbranch_execz .LBB1270_210
; %bb.209:
	v_mov_b32_e32 v49, 0
	v_cmp_eq_u16_sdwa s[52:53], v52, v49 src0_sel:BYTE_0 src1_sel:DWORD
	v_and_b32_e32 v49, 1, v52
	v_mov_b32_e32 v52, 1
	v_cndmask_b32_e64 v53, 0, v54, s[52:53]
	v_and_b32_sdwa v52, v54, v52 dst_sel:DWORD dst_unused:UNUSED_PAD src0_sel:WORD_1 src1_sel:DWORD
	v_cmp_eq_u32_e64 s[52:53], 1, v49
	v_cndmask_b32_e64 v49, v52, 1, s[52:53]
	v_add_u16_e32 v55, v53, v48
	v_lshlrev_b32_e32 v52, 16, v49
	v_add_u16_e32 v48, v53, v48
	v_or_b32_e32 v53, v52, v48
	v_mov_b32_e32 v48, v55
	v_mov_b32_e32 v52, v49
.LBB1270_210:
	s_or_b64 exec, exec, s[54:55]
	v_mov_b32_dpp v53, v53 row_bcast:31 row_mask:0xf bank_mask:0xf
	v_cmp_lt_u32_e64 s[52:53], 31, v33
	s_and_saveexec_b64 s[54:55], s[52:53]
; %bb.211:
	v_mov_b32_e32 v49, 0
	v_cmp_eq_u16_sdwa s[52:53], v52, v49 src0_sel:BYTE_0 src1_sel:DWORD
	v_cndmask_b32_e64 v49, 0, v53, s[52:53]
	v_add_u16_e32 v48, v49, v48
	v_and_b32_e32 v49, 1, v52
	v_mov_b32_e32 v52, 1
	v_and_b32_sdwa v52, v53, v52 dst_sel:DWORD dst_unused:UNUSED_PAD src0_sel:WORD_1 src1_sel:DWORD
	v_cmp_eq_u32_e64 s[52:53], 1, v49
	v_cndmask_b32_e64 v49, v52, 1, s[52:53]
	v_mov_b32_e32 v52, v49
; %bb.212:
	s_or_b64 exec, exec, s[54:55]
	v_cmp_eq_u32_e64 s[52:53], 63, v0
	s_and_saveexec_b64 s[54:55], s[52:53]
	s_cbranch_execz .LBB1270_214
; %bb.213:
	v_mov_b32_e32 v53, 0
	ds_write_b16 v53, v48
	ds_write_b8 v53, v52 offset:2
.LBB1270_214:
	s_or_b64 exec, exec, s[54:55]
	v_and_b32_e32 v49, 0xff, v49
	v_and_b32_e32 v48, 0xffff, v48
	v_lshl_or_b32 v48, v49, 16, v48
	v_add_u32_e32 v49, -1, v33
	v_and_b32_e32 v52, 64, v33
	v_cmp_lt_i32_e64 s[52:53], v49, v52
	v_cndmask_b32_e64 v33, v49, v33, s[52:53]
	v_lshlrev_b32_e32 v33, 2, v33
	ds_bpermute_b32 v33, v33, v48
	s_waitcnt lgkmcnt(0)
	; wave barrier
	s_waitcnt lgkmcnt(0)
	s_and_saveexec_b64 s[52:53], s[2:3]
	s_cbranch_execz .LBB1270_216
; %bb.215:
	v_and_b32_e32 v22, 0xff0000, v1
	v_cmp_eq_u32_e64 s[2:3], 0, v22
	v_cndmask_b32_e64 v22, 0, v33, s[2:3]
	v_add_u32_e32 v1, v22, v1
	v_cndmask_b32_e64 v22, 0, v1, s[4:5]
	v_add_u16_e32 v22, v22, v50
	v_cndmask_b32_e64 v23, 0, v22, s[6:7]
	v_add_u16_e32 v23, v23, v51
	;; [unrolled: 2-line block ×22, first 2 shown]
	v_cndmask_b32_e64 v2, 0, v45, s[50:51]
	v_mov_b32_e32 v47, 0
	v_add_u16_e32 v46, v2, v32
	;;#ASMSTART
	;;#ASMEND
.LBB1270_216:
	s_or_b64 exec, exec, s[52:53]
	s_and_saveexec_b64 s[2:3], vcc
	s_cbranch_execz .LBB1270_218
; %bb.217:
	v_mov_b32_e32 v4, 0
	ds_read_u8 v2, v4 offset:2
	ds_read_u16 v3, v4
	s_waitcnt lgkmcnt(1)
	v_lshlrev_b32_e32 v2, 16, v2
	s_waitcnt lgkmcnt(0)
	v_or_b32_e32 v2, v2, v3
	v_mov_b32_e32 v3, 2
	global_store_dwordx2 v4, v[2:3], s[68:69] offset:512
.LBB1270_218:
	s_or_b64 exec, exec, s[2:3]
	v_lshl_or_b32 v47, v47, 16, v1
.LBB1270_219:
	s_add_u32 s2, s58, s72
	s_addc_u32 s3, s59, s73
	s_add_u32 s4, s2, s56
	s_addc_u32 s5, s3, s57
	s_and_b64 vcc, exec, s[0:1]
	v_mul_u32_u24_e32 v4, 24, v0
	s_cbranch_vccz .LBB1270_269
; %bb.220:
	s_add_i32 s33, s33, s70
	v_cmp_le_u32_e32 vcc, s33, v4
	v_or_b32_e32 v8, 1, v4
	v_or_b32_e32 v7, 2, v4
	;; [unrolled: 1-line block ×7, first 2 shown]
	s_and_saveexec_b64 s[0:1], vcc
	s_xor_b64 s[0:1], exec, s[0:1]
; %bb.221:
	v_or_b32_e32 v8, 1, v4
	v_or_b32_e32 v7, 2, v4
	;; [unrolled: 1-line block ×7, first 2 shown]
; %bb.222:
	s_andn2_saveexec_b64 s[0:1], s[0:1]
	s_or_b64 exec, exec, s[0:1]
	v_lshlrev_b32_e32 v49, 1, v4
	v_lshlrev_b32_e32 v8, 1, v8
	;; [unrolled: 1-line block ×4, first 2 shown]
	s_mov_b32 s0, 0x5040100
	s_waitcnt lgkmcnt(0)
	; wave barrier
	ds_write_b16 v49, v47
	ds_write_b16 v8, v22
	;; [unrolled: 1-line block ×4, first 2 shown]
	v_lshlrev_b32_e32 v5, 1, v5
	v_lshlrev_b32_e32 v3, 1, v3
	;; [unrolled: 1-line block ×4, first 2 shown]
	v_perm_b32 v9, v39, v37, s0
	v_perm_b32 v8, v36, v35, s0
	;; [unrolled: 1-line block ×4, first 2 shown]
	ds_write_b16 v5, v25
	ds_write_b16 v3, v26
	;; [unrolled: 1-line block ×4, first 2 shown]
	ds_write_b128 v49, v[6:9] offset:16
	v_perm_b32 v9, v46, v45, s0
	v_perm_b32 v8, v44, v43, s0
	;; [unrolled: 1-line block ×4, first 2 shown]
	s_movk_i32 s0, 0xffd2
	v_mad_i32_i24 v2, v0, s0, v49
	ds_write_b128 v49, v[6:9] offset:32
	s_waitcnt lgkmcnt(0)
	; wave barrier
	s_waitcnt lgkmcnt(0)
	ds_read_u16 v52, v2 offset:128
	ds_read_u16 v51, v2 offset:256
	;; [unrolled: 1-line block ×23, first 2 shown]
	v_lshlrev_b32_e32 v2, 1, v0
	v_mov_b32_e32 v3, s5
	v_add_co_u32_e32 v2, vcc, s4, v2
	v_addc_co_u32_e32 v3, vcc, 0, v3, vcc
	v_mov_b32_e32 v1, 0
	v_cmp_gt_u32_e32 vcc, s33, v0
	s_and_saveexec_b64 s[0:1], vcc
	s_cbranch_execz .LBB1270_224
; %bb.223:
	v_mul_i32_i24_e32 v53, 0xffffffd2, v0
	v_add_u32_e32 v49, v49, v53
	ds_read_u16 v49, v49
	s_waitcnt lgkmcnt(0)
	flat_store_short v[2:3], v49
.LBB1270_224:
	s_or_b64 exec, exec, s[0:1]
	v_or_b32_e32 v49, 64, v0
	v_cmp_gt_u32_e32 vcc, s33, v49
	s_and_saveexec_b64 s[0:1], vcc
	s_cbranch_execz .LBB1270_226
; %bb.225:
	s_waitcnt lgkmcnt(0)
	flat_store_short v[2:3], v52 offset:128
.LBB1270_226:
	s_or_b64 exec, exec, s[0:1]
	v_or_b32_e32 v49, 0x80, v0
	v_cmp_gt_u32_e32 vcc, s33, v49
	s_and_saveexec_b64 s[0:1], vcc
	s_cbranch_execz .LBB1270_228
; %bb.227:
	s_waitcnt lgkmcnt(0)
	flat_store_short v[2:3], v51 offset:256
.LBB1270_228:
	;; [unrolled: 9-line block ×4, first 2 shown]
	s_or_b64 exec, exec, s[0:1]
	s_waitcnt lgkmcnt(0)
	v_or_b32_e32 v48, 0x140, v0
	v_cmp_gt_u32_e32 vcc, s33, v48
	s_and_saveexec_b64 s[0:1], vcc
	s_cbranch_execz .LBB1270_234
; %bb.233:
	flat_store_short v[2:3], v33 offset:640
.LBB1270_234:
	s_or_b64 exec, exec, s[0:1]
	v_or_b32_e32 v33, 0x180, v0
	v_cmp_gt_u32_e32 vcc, s33, v33
	s_and_saveexec_b64 s[0:1], vcc
	s_cbranch_execz .LBB1270_236
; %bb.235:
	flat_store_short v[2:3], v32 offset:768
.LBB1270_236:
	s_or_b64 exec, exec, s[0:1]
	;; [unrolled: 8-line block ×18, first 2 shown]
	v_or_b32_e32 v2, 0x5c0, v0
	v_cmp_gt_u32_e64 s[0:1], s33, v2
	s_branch .LBB1270_271
.LBB1270_269:
	s_mov_b64 s[0:1], 0
                                        ; implicit-def: $vgpr5
	s_cbranch_execz .LBB1270_271
; %bb.270:
	s_mov_b32 s2, 0x5040100
	v_lshlrev_b32_e32 v6, 1, v4
	v_perm_b32 v5, v29, v27, s2
	v_perm_b32 v4, v26, v25, s2
	;; [unrolled: 1-line block ×4, first 2 shown]
	s_waitcnt lgkmcnt(0)
	; wave barrier
	s_waitcnt lgkmcnt(0)
	ds_write_b128 v6, v[2:5]
	v_perm_b32 v5, v39, v37, s2
	v_perm_b32 v4, v36, v35, s2
	;; [unrolled: 1-line block ×4, first 2 shown]
	ds_write_b128 v6, v[2:5] offset:16
	v_perm_b32 v4, v44, v43, s2
	v_perm_b32 v3, v42, v41, s2
	;; [unrolled: 1-line block ×4, first 2 shown]
	s_movk_i32 s2, 0xffd2
	ds_write_b128 v6, v[2:5] offset:32
	v_mad_i32_i24 v2, v0, s2, v6
	s_waitcnt lgkmcnt(0)
	; wave barrier
	s_waitcnt lgkmcnt(0)
	ds_read_u16 v4, v2
	ds_read_u16 v6, v2 offset:128
	ds_read_u16 v7, v2 offset:256
	;; [unrolled: 1-line block ×23, first 2 shown]
	v_lshlrev_b32_e32 v2, 1, v0
	v_mov_b32_e32 v3, s5
	v_add_co_u32_e32 v2, vcc, s4, v2
	v_mov_b32_e32 v1, 0
	v_addc_co_u32_e32 v3, vcc, 0, v3, vcc
	s_or_b64 s[0:1], s[0:1], exec
	s_waitcnt lgkmcnt(0)
	flat_store_short v[2:3], v4
	flat_store_short v[2:3], v6 offset:128
	flat_store_short v[2:3], v7 offset:256
	;; [unrolled: 1-line block ×22, first 2 shown]
.LBB1270_271:
	s_and_saveexec_b64 s[2:3], s[0:1]
	s_cbranch_execnz .LBB1270_273
; %bb.272:
	s_endpgm
.LBB1270_273:
	v_lshlrev_b64 v[0:1], 1, v[0:1]
	v_mov_b32_e32 v2, s5
	v_add_co_u32_e32 v0, vcc, s4, v0
	v_addc_co_u32_e32 v1, vcc, v2, v1, vcc
	flat_store_short v[0:1], v5 offset:2944
	s_endpgm
.LBB1270_274:
	v_lshlrev_b32_e32 v2, 1, v0
	v_mov_b32_e32 v3, s71
	v_add_co_u32_e32 v2, vcc, s7, v2
	v_addc_co_u32_e32 v3, vcc, 0, v3, vcc
	flat_load_ushort v2, v[2:3]
	s_or_b64 exec, exec, s[60:61]
                                        ; implicit-def: $vgpr3
	s_and_saveexec_b64 s[2:3], s[4:5]
	s_cbranch_execz .LBB1270_57
.LBB1270_275:
	v_lshlrev_b32_e32 v3, 1, v0
	v_mov_b32_e32 v5, s71
	v_add_co_u32_e32 v4, vcc, s7, v3
	v_addc_co_u32_e32 v5, vcc, 0, v5, vcc
	flat_load_ushort v3, v[4:5] offset:128
	s_or_b64 exec, exec, s[2:3]
                                        ; implicit-def: $vgpr4
	s_and_saveexec_b64 s[2:3], s[52:53]
	s_cbranch_execz .LBB1270_58
.LBB1270_276:
	v_lshlrev_b32_e32 v4, 1, v0
	v_mov_b32_e32 v5, s71
	v_add_co_u32_e32 v4, vcc, s7, v4
	v_addc_co_u32_e32 v5, vcc, 0, v5, vcc
	flat_load_ushort v4, v[4:5] offset:256
	s_or_b64 exec, exec, s[2:3]
                                        ; implicit-def: $vgpr5
	s_and_saveexec_b64 s[2:3], s[8:9]
	s_cbranch_execz .LBB1270_59
.LBB1270_277:
	v_lshlrev_b32_e32 v5, 1, v0
	v_mov_b32_e32 v7, s71
	v_add_co_u32_e32 v6, vcc, s7, v5
	v_addc_co_u32_e32 v7, vcc, 0, v7, vcc
	flat_load_ushort v5, v[6:7] offset:384
	s_or_b64 exec, exec, s[2:3]
                                        ; implicit-def: $vgpr6
	s_and_saveexec_b64 s[2:3], s[10:11]
	s_cbranch_execz .LBB1270_60
.LBB1270_278:
	v_lshlrev_b32_e32 v6, 1, v0
	v_mov_b32_e32 v7, s71
	v_add_co_u32_e32 v6, vcc, s7, v6
	v_addc_co_u32_e32 v7, vcc, 0, v7, vcc
	flat_load_ushort v6, v[6:7] offset:512
	s_or_b64 exec, exec, s[2:3]
                                        ; implicit-def: $vgpr7
	s_and_saveexec_b64 s[2:3], s[12:13]
	s_cbranch_execz .LBB1270_61
.LBB1270_279:
	v_lshlrev_b32_e32 v7, 1, v0
	v_mov_b32_e32 v9, s71
	v_add_co_u32_e32 v8, vcc, s7, v7
	v_addc_co_u32_e32 v9, vcc, 0, v9, vcc
	flat_load_ushort v7, v[8:9] offset:640
	s_or_b64 exec, exec, s[2:3]
                                        ; implicit-def: $vgpr8
	s_and_saveexec_b64 s[2:3], s[14:15]
	s_cbranch_execz .LBB1270_62
.LBB1270_280:
	v_lshlrev_b32_e32 v8, 1, v0
	v_mov_b32_e32 v9, s71
	v_add_co_u32_e32 v8, vcc, s7, v8
	v_addc_co_u32_e32 v9, vcc, 0, v9, vcc
	flat_load_ushort v8, v[8:9] offset:768
	s_or_b64 exec, exec, s[2:3]
                                        ; implicit-def: $vgpr9
	s_and_saveexec_b64 s[2:3], s[16:17]
	s_cbranch_execz .LBB1270_63
.LBB1270_281:
	v_lshlrev_b32_e32 v9, 1, v0
	v_mov_b32_e32 v11, s71
	v_add_co_u32_e32 v10, vcc, s7, v9
	v_addc_co_u32_e32 v11, vcc, 0, v11, vcc
	flat_load_ushort v9, v[10:11] offset:896
	s_or_b64 exec, exec, s[2:3]
                                        ; implicit-def: $vgpr10
	s_and_saveexec_b64 s[2:3], s[18:19]
	s_cbranch_execz .LBB1270_64
.LBB1270_282:
	v_lshlrev_b32_e32 v10, 1, v0
	v_mov_b32_e32 v11, s71
	v_add_co_u32_e32 v10, vcc, s7, v10
	v_addc_co_u32_e32 v11, vcc, 0, v11, vcc
	flat_load_ushort v10, v[10:11] offset:1024
	s_or_b64 exec, exec, s[2:3]
                                        ; implicit-def: $vgpr11
	s_and_saveexec_b64 s[2:3], s[20:21]
	s_cbranch_execz .LBB1270_65
.LBB1270_283:
	v_lshlrev_b32_e32 v11, 1, v0
	v_mov_b32_e32 v13, s71
	v_add_co_u32_e32 v12, vcc, s7, v11
	v_addc_co_u32_e32 v13, vcc, 0, v13, vcc
	flat_load_ushort v11, v[12:13] offset:1152
	s_or_b64 exec, exec, s[2:3]
                                        ; implicit-def: $vgpr12
	s_and_saveexec_b64 s[2:3], s[22:23]
	s_cbranch_execz .LBB1270_66
.LBB1270_284:
	v_lshlrev_b32_e32 v12, 1, v0
	v_mov_b32_e32 v13, s71
	v_add_co_u32_e32 v12, vcc, s7, v12
	v_addc_co_u32_e32 v13, vcc, 0, v13, vcc
	flat_load_ushort v12, v[12:13] offset:1280
	s_or_b64 exec, exec, s[2:3]
                                        ; implicit-def: $vgpr13
	s_and_saveexec_b64 s[2:3], s[24:25]
	s_cbranch_execz .LBB1270_67
.LBB1270_285:
	v_lshlrev_b32_e32 v13, 1, v0
	v_mov_b32_e32 v15, s71
	v_add_co_u32_e32 v14, vcc, s7, v13
	v_addc_co_u32_e32 v15, vcc, 0, v15, vcc
	flat_load_ushort v13, v[14:15] offset:1408
	s_or_b64 exec, exec, s[2:3]
                                        ; implicit-def: $vgpr14
	s_and_saveexec_b64 s[2:3], s[26:27]
	s_cbranch_execz .LBB1270_68
.LBB1270_286:
	v_lshlrev_b32_e32 v14, 1, v0
	v_mov_b32_e32 v15, s71
	v_add_co_u32_e32 v14, vcc, s7, v14
	v_addc_co_u32_e32 v15, vcc, 0, v15, vcc
	flat_load_ushort v14, v[14:15] offset:1536
	s_or_b64 exec, exec, s[2:3]
                                        ; implicit-def: $vgpr15
	s_and_saveexec_b64 s[2:3], s[28:29]
	s_cbranch_execz .LBB1270_69
.LBB1270_287:
	v_lshlrev_b32_e32 v15, 1, v0
	v_mov_b32_e32 v17, s71
	v_add_co_u32_e32 v16, vcc, s7, v15
	v_addc_co_u32_e32 v17, vcc, 0, v17, vcc
	flat_load_ushort v15, v[16:17] offset:1664
	s_or_b64 exec, exec, s[2:3]
                                        ; implicit-def: $vgpr16
	s_and_saveexec_b64 s[2:3], s[30:31]
	s_cbranch_execz .LBB1270_70
.LBB1270_288:
	v_lshlrev_b32_e32 v16, 1, v0
	v_mov_b32_e32 v17, s71
	v_add_co_u32_e32 v16, vcc, s7, v16
	v_addc_co_u32_e32 v17, vcc, 0, v17, vcc
	flat_load_ushort v16, v[16:17] offset:1792
	s_or_b64 exec, exec, s[2:3]
                                        ; implicit-def: $vgpr17
	s_and_saveexec_b64 s[2:3], s[34:35]
	s_cbranch_execz .LBB1270_71
.LBB1270_289:
	v_lshlrev_b32_e32 v17, 1, v0
	v_mov_b32_e32 v19, s71
	v_add_co_u32_e32 v18, vcc, s7, v17
	v_addc_co_u32_e32 v19, vcc, 0, v19, vcc
	flat_load_ushort v17, v[18:19] offset:1920
	s_or_b64 exec, exec, s[2:3]
                                        ; implicit-def: $vgpr18
	s_and_saveexec_b64 s[2:3], s[36:37]
	s_cbranch_execz .LBB1270_72
.LBB1270_290:
	v_lshlrev_b32_e32 v18, 1, v0
	v_mov_b32_e32 v19, s71
	v_add_co_u32_e32 v18, vcc, s7, v18
	v_addc_co_u32_e32 v19, vcc, 0, v19, vcc
	flat_load_ushort v18, v[18:19] offset:2048
	s_or_b64 exec, exec, s[2:3]
                                        ; implicit-def: $vgpr19
	s_and_saveexec_b64 s[2:3], s[38:39]
	s_cbranch_execz .LBB1270_73
.LBB1270_291:
	v_lshlrev_b32_e32 v19, 1, v0
	v_mov_b32_e32 v21, s71
	v_add_co_u32_e32 v20, vcc, s7, v19
	v_addc_co_u32_e32 v21, vcc, 0, v21, vcc
	flat_load_ushort v19, v[20:21] offset:2176
	s_or_b64 exec, exec, s[2:3]
                                        ; implicit-def: $vgpr20
	s_and_saveexec_b64 s[2:3], s[40:41]
	s_cbranch_execz .LBB1270_74
.LBB1270_292:
	v_lshlrev_b32_e32 v20, 1, v0
	v_mov_b32_e32 v21, s71
	v_add_co_u32_e32 v20, vcc, s7, v20
	v_addc_co_u32_e32 v21, vcc, 0, v21, vcc
	flat_load_ushort v20, v[20:21] offset:2304
	s_or_b64 exec, exec, s[2:3]
                                        ; implicit-def: $vgpr21
	s_and_saveexec_b64 s[2:3], s[42:43]
	s_cbranch_execz .LBB1270_75
.LBB1270_293:
	v_lshlrev_b32_e32 v21, 1, v0
	v_mov_b32_e32 v47, s71
	v_add_co_u32_e32 v48, vcc, s7, v21
	v_addc_co_u32_e32 v49, vcc, 0, v47, vcc
	flat_load_ushort v21, v[48:49] offset:2432
	s_or_b64 exec, exec, s[2:3]
                                        ; implicit-def: $vgpr48
	s_and_saveexec_b64 s[2:3], s[44:45]
	s_cbranch_execz .LBB1270_76
.LBB1270_294:
	v_lshlrev_b32_e32 v47, 1, v0
	v_mov_b32_e32 v49, s71
	v_add_co_u32_e32 v48, vcc, s7, v47
	v_addc_co_u32_e32 v49, vcc, 0, v49, vcc
	flat_load_ushort v48, v[48:49] offset:2560
	s_or_b64 exec, exec, s[2:3]
                                        ; implicit-def: $vgpr49
	s_and_saveexec_b64 s[2:3], s[46:47]
	s_cbranch_execz .LBB1270_77
.LBB1270_295:
	v_lshlrev_b32_e32 v47, 1, v0
	v_mov_b32_e32 v49, s71
	v_add_co_u32_e32 v50, vcc, s7, v47
	v_addc_co_u32_e32 v51, vcc, 0, v49, vcc
	flat_load_ushort v49, v[50:51] offset:2688
	s_or_b64 exec, exec, s[2:3]
                                        ; implicit-def: $vgpr50
	s_and_saveexec_b64 s[2:3], s[48:49]
	s_cbranch_execz .LBB1270_78
.LBB1270_296:
	v_lshlrev_b32_e32 v47, 1, v0
	v_mov_b32_e32 v51, s71
	v_add_co_u32_e32 v50, vcc, s7, v47
	v_addc_co_u32_e32 v51, vcc, 0, v51, vcc
	flat_load_ushort v50, v[50:51] offset:2816
	s_or_b64 exec, exec, s[2:3]
                                        ; implicit-def: $vgpr51
	s_and_saveexec_b64 s[2:3], s[50:51]
	s_cbranch_execnz .LBB1270_79
	s_branch .LBB1270_80
.LBB1270_297:
                                        ; implicit-def: $sgpr60_sgpr61
	s_branch .LBB1270_52
.LBB1270_298:
                                        ; implicit-def: $sgpr2_sgpr3
	s_branch .LBB1270_131
	.section	.rodata,"a",@progbits
	.p2align	6, 0x0
	.amdhsa_kernel _ZN7rocprim17ROCPRIM_400000_NS6detail17trampoline_kernelINS0_14default_configENS1_27scan_by_key_config_selectorIitEEZZNS1_16scan_by_key_implILNS1_25lookback_scan_determinismE0ELb0ES3_N6thrust23THRUST_200600_302600_NS6detail15normal_iteratorINS9_10device_ptrIiEEEENSB_INSC_ItEEEESG_tNS9_4plusIvEENS9_8equal_toIvEEtEE10hipError_tPvRmT2_T3_T4_T5_mT6_T7_P12ihipStream_tbENKUlT_T0_E_clISt17integral_constantIbLb0EES11_EEDaSW_SX_EUlSW_E_NS1_11comp_targetILNS1_3genE4ELNS1_11target_archE910ELNS1_3gpuE8ELNS1_3repE0EEENS1_30default_config_static_selectorELNS0_4arch9wavefront6targetE1EEEvT1_
		.amdhsa_group_segment_fixed_size 6656
		.amdhsa_private_segment_fixed_size 0
		.amdhsa_kernarg_size 112
		.amdhsa_user_sgpr_count 6
		.amdhsa_user_sgpr_private_segment_buffer 1
		.amdhsa_user_sgpr_dispatch_ptr 0
		.amdhsa_user_sgpr_queue_ptr 0
		.amdhsa_user_sgpr_kernarg_segment_ptr 1
		.amdhsa_user_sgpr_dispatch_id 0
		.amdhsa_user_sgpr_flat_scratch_init 0
		.amdhsa_user_sgpr_kernarg_preload_length 0
		.amdhsa_user_sgpr_kernarg_preload_offset 0
		.amdhsa_user_sgpr_private_segment_size 0
		.amdhsa_uses_dynamic_stack 0
		.amdhsa_system_sgpr_private_segment_wavefront_offset 0
		.amdhsa_system_sgpr_workgroup_id_x 1
		.amdhsa_system_sgpr_workgroup_id_y 0
		.amdhsa_system_sgpr_workgroup_id_z 0
		.amdhsa_system_sgpr_workgroup_info 0
		.amdhsa_system_vgpr_workitem_id 0
		.amdhsa_next_free_vgpr 58
		.amdhsa_next_free_sgpr 83
		.amdhsa_accum_offset 60
		.amdhsa_reserve_vcc 1
		.amdhsa_reserve_flat_scratch 0
		.amdhsa_float_round_mode_32 0
		.amdhsa_float_round_mode_16_64 0
		.amdhsa_float_denorm_mode_32 3
		.amdhsa_float_denorm_mode_16_64 3
		.amdhsa_dx10_clamp 1
		.amdhsa_ieee_mode 1
		.amdhsa_fp16_overflow 0
		.amdhsa_tg_split 0
		.amdhsa_exception_fp_ieee_invalid_op 0
		.amdhsa_exception_fp_denorm_src 0
		.amdhsa_exception_fp_ieee_div_zero 0
		.amdhsa_exception_fp_ieee_overflow 0
		.amdhsa_exception_fp_ieee_underflow 0
		.amdhsa_exception_fp_ieee_inexact 0
		.amdhsa_exception_int_div_zero 0
	.end_amdhsa_kernel
	.section	.text._ZN7rocprim17ROCPRIM_400000_NS6detail17trampoline_kernelINS0_14default_configENS1_27scan_by_key_config_selectorIitEEZZNS1_16scan_by_key_implILNS1_25lookback_scan_determinismE0ELb0ES3_N6thrust23THRUST_200600_302600_NS6detail15normal_iteratorINS9_10device_ptrIiEEEENSB_INSC_ItEEEESG_tNS9_4plusIvEENS9_8equal_toIvEEtEE10hipError_tPvRmT2_T3_T4_T5_mT6_T7_P12ihipStream_tbENKUlT_T0_E_clISt17integral_constantIbLb0EES11_EEDaSW_SX_EUlSW_E_NS1_11comp_targetILNS1_3genE4ELNS1_11target_archE910ELNS1_3gpuE8ELNS1_3repE0EEENS1_30default_config_static_selectorELNS0_4arch9wavefront6targetE1EEEvT1_,"axG",@progbits,_ZN7rocprim17ROCPRIM_400000_NS6detail17trampoline_kernelINS0_14default_configENS1_27scan_by_key_config_selectorIitEEZZNS1_16scan_by_key_implILNS1_25lookback_scan_determinismE0ELb0ES3_N6thrust23THRUST_200600_302600_NS6detail15normal_iteratorINS9_10device_ptrIiEEEENSB_INSC_ItEEEESG_tNS9_4plusIvEENS9_8equal_toIvEEtEE10hipError_tPvRmT2_T3_T4_T5_mT6_T7_P12ihipStream_tbENKUlT_T0_E_clISt17integral_constantIbLb0EES11_EEDaSW_SX_EUlSW_E_NS1_11comp_targetILNS1_3genE4ELNS1_11target_archE910ELNS1_3gpuE8ELNS1_3repE0EEENS1_30default_config_static_selectorELNS0_4arch9wavefront6targetE1EEEvT1_,comdat
.Lfunc_end1270:
	.size	_ZN7rocprim17ROCPRIM_400000_NS6detail17trampoline_kernelINS0_14default_configENS1_27scan_by_key_config_selectorIitEEZZNS1_16scan_by_key_implILNS1_25lookback_scan_determinismE0ELb0ES3_N6thrust23THRUST_200600_302600_NS6detail15normal_iteratorINS9_10device_ptrIiEEEENSB_INSC_ItEEEESG_tNS9_4plusIvEENS9_8equal_toIvEEtEE10hipError_tPvRmT2_T3_T4_T5_mT6_T7_P12ihipStream_tbENKUlT_T0_E_clISt17integral_constantIbLb0EES11_EEDaSW_SX_EUlSW_E_NS1_11comp_targetILNS1_3genE4ELNS1_11target_archE910ELNS1_3gpuE8ELNS1_3repE0EEENS1_30default_config_static_selectorELNS0_4arch9wavefront6targetE1EEEvT1_, .Lfunc_end1270-_ZN7rocprim17ROCPRIM_400000_NS6detail17trampoline_kernelINS0_14default_configENS1_27scan_by_key_config_selectorIitEEZZNS1_16scan_by_key_implILNS1_25lookback_scan_determinismE0ELb0ES3_N6thrust23THRUST_200600_302600_NS6detail15normal_iteratorINS9_10device_ptrIiEEEENSB_INSC_ItEEEESG_tNS9_4plusIvEENS9_8equal_toIvEEtEE10hipError_tPvRmT2_T3_T4_T5_mT6_T7_P12ihipStream_tbENKUlT_T0_E_clISt17integral_constantIbLb0EES11_EEDaSW_SX_EUlSW_E_NS1_11comp_targetILNS1_3genE4ELNS1_11target_archE910ELNS1_3gpuE8ELNS1_3repE0EEENS1_30default_config_static_selectorELNS0_4arch9wavefront6targetE1EEEvT1_
                                        ; -- End function
	.section	.AMDGPU.csdata,"",@progbits
; Kernel info:
; codeLenInByte = 15148
; NumSgprs: 87
; NumVgprs: 58
; NumAgprs: 0
; TotalNumVgprs: 58
; ScratchSize: 0
; MemoryBound: 0
; FloatMode: 240
; IeeeMode: 1
; LDSByteSize: 6656 bytes/workgroup (compile time only)
; SGPRBlocks: 10
; VGPRBlocks: 7
; NumSGPRsForWavesPerEU: 87
; NumVGPRsForWavesPerEU: 58
; AccumOffset: 60
; Occupancy: 3
; WaveLimiterHint : 1
; COMPUTE_PGM_RSRC2:SCRATCH_EN: 0
; COMPUTE_PGM_RSRC2:USER_SGPR: 6
; COMPUTE_PGM_RSRC2:TRAP_HANDLER: 0
; COMPUTE_PGM_RSRC2:TGID_X_EN: 1
; COMPUTE_PGM_RSRC2:TGID_Y_EN: 0
; COMPUTE_PGM_RSRC2:TGID_Z_EN: 0
; COMPUTE_PGM_RSRC2:TIDIG_COMP_CNT: 0
; COMPUTE_PGM_RSRC3_GFX90A:ACCUM_OFFSET: 14
; COMPUTE_PGM_RSRC3_GFX90A:TG_SPLIT: 0
	.section	.text._ZN7rocprim17ROCPRIM_400000_NS6detail17trampoline_kernelINS0_14default_configENS1_27scan_by_key_config_selectorIitEEZZNS1_16scan_by_key_implILNS1_25lookback_scan_determinismE0ELb0ES3_N6thrust23THRUST_200600_302600_NS6detail15normal_iteratorINS9_10device_ptrIiEEEENSB_INSC_ItEEEESG_tNS9_4plusIvEENS9_8equal_toIvEEtEE10hipError_tPvRmT2_T3_T4_T5_mT6_T7_P12ihipStream_tbENKUlT_T0_E_clISt17integral_constantIbLb0EES11_EEDaSW_SX_EUlSW_E_NS1_11comp_targetILNS1_3genE3ELNS1_11target_archE908ELNS1_3gpuE7ELNS1_3repE0EEENS1_30default_config_static_selectorELNS0_4arch9wavefront6targetE1EEEvT1_,"axG",@progbits,_ZN7rocprim17ROCPRIM_400000_NS6detail17trampoline_kernelINS0_14default_configENS1_27scan_by_key_config_selectorIitEEZZNS1_16scan_by_key_implILNS1_25lookback_scan_determinismE0ELb0ES3_N6thrust23THRUST_200600_302600_NS6detail15normal_iteratorINS9_10device_ptrIiEEEENSB_INSC_ItEEEESG_tNS9_4plusIvEENS9_8equal_toIvEEtEE10hipError_tPvRmT2_T3_T4_T5_mT6_T7_P12ihipStream_tbENKUlT_T0_E_clISt17integral_constantIbLb0EES11_EEDaSW_SX_EUlSW_E_NS1_11comp_targetILNS1_3genE3ELNS1_11target_archE908ELNS1_3gpuE7ELNS1_3repE0EEENS1_30default_config_static_selectorELNS0_4arch9wavefront6targetE1EEEvT1_,comdat
	.protected	_ZN7rocprim17ROCPRIM_400000_NS6detail17trampoline_kernelINS0_14default_configENS1_27scan_by_key_config_selectorIitEEZZNS1_16scan_by_key_implILNS1_25lookback_scan_determinismE0ELb0ES3_N6thrust23THRUST_200600_302600_NS6detail15normal_iteratorINS9_10device_ptrIiEEEENSB_INSC_ItEEEESG_tNS9_4plusIvEENS9_8equal_toIvEEtEE10hipError_tPvRmT2_T3_T4_T5_mT6_T7_P12ihipStream_tbENKUlT_T0_E_clISt17integral_constantIbLb0EES11_EEDaSW_SX_EUlSW_E_NS1_11comp_targetILNS1_3genE3ELNS1_11target_archE908ELNS1_3gpuE7ELNS1_3repE0EEENS1_30default_config_static_selectorELNS0_4arch9wavefront6targetE1EEEvT1_ ; -- Begin function _ZN7rocprim17ROCPRIM_400000_NS6detail17trampoline_kernelINS0_14default_configENS1_27scan_by_key_config_selectorIitEEZZNS1_16scan_by_key_implILNS1_25lookback_scan_determinismE0ELb0ES3_N6thrust23THRUST_200600_302600_NS6detail15normal_iteratorINS9_10device_ptrIiEEEENSB_INSC_ItEEEESG_tNS9_4plusIvEENS9_8equal_toIvEEtEE10hipError_tPvRmT2_T3_T4_T5_mT6_T7_P12ihipStream_tbENKUlT_T0_E_clISt17integral_constantIbLb0EES11_EEDaSW_SX_EUlSW_E_NS1_11comp_targetILNS1_3genE3ELNS1_11target_archE908ELNS1_3gpuE7ELNS1_3repE0EEENS1_30default_config_static_selectorELNS0_4arch9wavefront6targetE1EEEvT1_
	.globl	_ZN7rocprim17ROCPRIM_400000_NS6detail17trampoline_kernelINS0_14default_configENS1_27scan_by_key_config_selectorIitEEZZNS1_16scan_by_key_implILNS1_25lookback_scan_determinismE0ELb0ES3_N6thrust23THRUST_200600_302600_NS6detail15normal_iteratorINS9_10device_ptrIiEEEENSB_INSC_ItEEEESG_tNS9_4plusIvEENS9_8equal_toIvEEtEE10hipError_tPvRmT2_T3_T4_T5_mT6_T7_P12ihipStream_tbENKUlT_T0_E_clISt17integral_constantIbLb0EES11_EEDaSW_SX_EUlSW_E_NS1_11comp_targetILNS1_3genE3ELNS1_11target_archE908ELNS1_3gpuE7ELNS1_3repE0EEENS1_30default_config_static_selectorELNS0_4arch9wavefront6targetE1EEEvT1_
	.p2align	8
	.type	_ZN7rocprim17ROCPRIM_400000_NS6detail17trampoline_kernelINS0_14default_configENS1_27scan_by_key_config_selectorIitEEZZNS1_16scan_by_key_implILNS1_25lookback_scan_determinismE0ELb0ES3_N6thrust23THRUST_200600_302600_NS6detail15normal_iteratorINS9_10device_ptrIiEEEENSB_INSC_ItEEEESG_tNS9_4plusIvEENS9_8equal_toIvEEtEE10hipError_tPvRmT2_T3_T4_T5_mT6_T7_P12ihipStream_tbENKUlT_T0_E_clISt17integral_constantIbLb0EES11_EEDaSW_SX_EUlSW_E_NS1_11comp_targetILNS1_3genE3ELNS1_11target_archE908ELNS1_3gpuE7ELNS1_3repE0EEENS1_30default_config_static_selectorELNS0_4arch9wavefront6targetE1EEEvT1_,@function
_ZN7rocprim17ROCPRIM_400000_NS6detail17trampoline_kernelINS0_14default_configENS1_27scan_by_key_config_selectorIitEEZZNS1_16scan_by_key_implILNS1_25lookback_scan_determinismE0ELb0ES3_N6thrust23THRUST_200600_302600_NS6detail15normal_iteratorINS9_10device_ptrIiEEEENSB_INSC_ItEEEESG_tNS9_4plusIvEENS9_8equal_toIvEEtEE10hipError_tPvRmT2_T3_T4_T5_mT6_T7_P12ihipStream_tbENKUlT_T0_E_clISt17integral_constantIbLb0EES11_EEDaSW_SX_EUlSW_E_NS1_11comp_targetILNS1_3genE3ELNS1_11target_archE908ELNS1_3gpuE7ELNS1_3repE0EEENS1_30default_config_static_selectorELNS0_4arch9wavefront6targetE1EEEvT1_: ; @_ZN7rocprim17ROCPRIM_400000_NS6detail17trampoline_kernelINS0_14default_configENS1_27scan_by_key_config_selectorIitEEZZNS1_16scan_by_key_implILNS1_25lookback_scan_determinismE0ELb0ES3_N6thrust23THRUST_200600_302600_NS6detail15normal_iteratorINS9_10device_ptrIiEEEENSB_INSC_ItEEEESG_tNS9_4plusIvEENS9_8equal_toIvEEtEE10hipError_tPvRmT2_T3_T4_T5_mT6_T7_P12ihipStream_tbENKUlT_T0_E_clISt17integral_constantIbLb0EES11_EEDaSW_SX_EUlSW_E_NS1_11comp_targetILNS1_3genE3ELNS1_11target_archE908ELNS1_3gpuE7ELNS1_3repE0EEENS1_30default_config_static_selectorELNS0_4arch9wavefront6targetE1EEEvT1_
; %bb.0:
	.section	.rodata,"a",@progbits
	.p2align	6, 0x0
	.amdhsa_kernel _ZN7rocprim17ROCPRIM_400000_NS6detail17trampoline_kernelINS0_14default_configENS1_27scan_by_key_config_selectorIitEEZZNS1_16scan_by_key_implILNS1_25lookback_scan_determinismE0ELb0ES3_N6thrust23THRUST_200600_302600_NS6detail15normal_iteratorINS9_10device_ptrIiEEEENSB_INSC_ItEEEESG_tNS9_4plusIvEENS9_8equal_toIvEEtEE10hipError_tPvRmT2_T3_T4_T5_mT6_T7_P12ihipStream_tbENKUlT_T0_E_clISt17integral_constantIbLb0EES11_EEDaSW_SX_EUlSW_E_NS1_11comp_targetILNS1_3genE3ELNS1_11target_archE908ELNS1_3gpuE7ELNS1_3repE0EEENS1_30default_config_static_selectorELNS0_4arch9wavefront6targetE1EEEvT1_
		.amdhsa_group_segment_fixed_size 0
		.amdhsa_private_segment_fixed_size 0
		.amdhsa_kernarg_size 112
		.amdhsa_user_sgpr_count 6
		.amdhsa_user_sgpr_private_segment_buffer 1
		.amdhsa_user_sgpr_dispatch_ptr 0
		.amdhsa_user_sgpr_queue_ptr 0
		.amdhsa_user_sgpr_kernarg_segment_ptr 1
		.amdhsa_user_sgpr_dispatch_id 0
		.amdhsa_user_sgpr_flat_scratch_init 0
		.amdhsa_user_sgpr_kernarg_preload_length 0
		.amdhsa_user_sgpr_kernarg_preload_offset 0
		.amdhsa_user_sgpr_private_segment_size 0
		.amdhsa_uses_dynamic_stack 0
		.amdhsa_system_sgpr_private_segment_wavefront_offset 0
		.amdhsa_system_sgpr_workgroup_id_x 1
		.amdhsa_system_sgpr_workgroup_id_y 0
		.amdhsa_system_sgpr_workgroup_id_z 0
		.amdhsa_system_sgpr_workgroup_info 0
		.amdhsa_system_vgpr_workitem_id 0
		.amdhsa_next_free_vgpr 1
		.amdhsa_next_free_sgpr 0
		.amdhsa_accum_offset 4
		.amdhsa_reserve_vcc 0
		.amdhsa_reserve_flat_scratch 0
		.amdhsa_float_round_mode_32 0
		.amdhsa_float_round_mode_16_64 0
		.amdhsa_float_denorm_mode_32 3
		.amdhsa_float_denorm_mode_16_64 3
		.amdhsa_dx10_clamp 1
		.amdhsa_ieee_mode 1
		.amdhsa_fp16_overflow 0
		.amdhsa_tg_split 0
		.amdhsa_exception_fp_ieee_invalid_op 0
		.amdhsa_exception_fp_denorm_src 0
		.amdhsa_exception_fp_ieee_div_zero 0
		.amdhsa_exception_fp_ieee_overflow 0
		.amdhsa_exception_fp_ieee_underflow 0
		.amdhsa_exception_fp_ieee_inexact 0
		.amdhsa_exception_int_div_zero 0
	.end_amdhsa_kernel
	.section	.text._ZN7rocprim17ROCPRIM_400000_NS6detail17trampoline_kernelINS0_14default_configENS1_27scan_by_key_config_selectorIitEEZZNS1_16scan_by_key_implILNS1_25lookback_scan_determinismE0ELb0ES3_N6thrust23THRUST_200600_302600_NS6detail15normal_iteratorINS9_10device_ptrIiEEEENSB_INSC_ItEEEESG_tNS9_4plusIvEENS9_8equal_toIvEEtEE10hipError_tPvRmT2_T3_T4_T5_mT6_T7_P12ihipStream_tbENKUlT_T0_E_clISt17integral_constantIbLb0EES11_EEDaSW_SX_EUlSW_E_NS1_11comp_targetILNS1_3genE3ELNS1_11target_archE908ELNS1_3gpuE7ELNS1_3repE0EEENS1_30default_config_static_selectorELNS0_4arch9wavefront6targetE1EEEvT1_,"axG",@progbits,_ZN7rocprim17ROCPRIM_400000_NS6detail17trampoline_kernelINS0_14default_configENS1_27scan_by_key_config_selectorIitEEZZNS1_16scan_by_key_implILNS1_25lookback_scan_determinismE0ELb0ES3_N6thrust23THRUST_200600_302600_NS6detail15normal_iteratorINS9_10device_ptrIiEEEENSB_INSC_ItEEEESG_tNS9_4plusIvEENS9_8equal_toIvEEtEE10hipError_tPvRmT2_T3_T4_T5_mT6_T7_P12ihipStream_tbENKUlT_T0_E_clISt17integral_constantIbLb0EES11_EEDaSW_SX_EUlSW_E_NS1_11comp_targetILNS1_3genE3ELNS1_11target_archE908ELNS1_3gpuE7ELNS1_3repE0EEENS1_30default_config_static_selectorELNS0_4arch9wavefront6targetE1EEEvT1_,comdat
.Lfunc_end1271:
	.size	_ZN7rocprim17ROCPRIM_400000_NS6detail17trampoline_kernelINS0_14default_configENS1_27scan_by_key_config_selectorIitEEZZNS1_16scan_by_key_implILNS1_25lookback_scan_determinismE0ELb0ES3_N6thrust23THRUST_200600_302600_NS6detail15normal_iteratorINS9_10device_ptrIiEEEENSB_INSC_ItEEEESG_tNS9_4plusIvEENS9_8equal_toIvEEtEE10hipError_tPvRmT2_T3_T4_T5_mT6_T7_P12ihipStream_tbENKUlT_T0_E_clISt17integral_constantIbLb0EES11_EEDaSW_SX_EUlSW_E_NS1_11comp_targetILNS1_3genE3ELNS1_11target_archE908ELNS1_3gpuE7ELNS1_3repE0EEENS1_30default_config_static_selectorELNS0_4arch9wavefront6targetE1EEEvT1_, .Lfunc_end1271-_ZN7rocprim17ROCPRIM_400000_NS6detail17trampoline_kernelINS0_14default_configENS1_27scan_by_key_config_selectorIitEEZZNS1_16scan_by_key_implILNS1_25lookback_scan_determinismE0ELb0ES3_N6thrust23THRUST_200600_302600_NS6detail15normal_iteratorINS9_10device_ptrIiEEEENSB_INSC_ItEEEESG_tNS9_4plusIvEENS9_8equal_toIvEEtEE10hipError_tPvRmT2_T3_T4_T5_mT6_T7_P12ihipStream_tbENKUlT_T0_E_clISt17integral_constantIbLb0EES11_EEDaSW_SX_EUlSW_E_NS1_11comp_targetILNS1_3genE3ELNS1_11target_archE908ELNS1_3gpuE7ELNS1_3repE0EEENS1_30default_config_static_selectorELNS0_4arch9wavefront6targetE1EEEvT1_
                                        ; -- End function
	.section	.AMDGPU.csdata,"",@progbits
; Kernel info:
; codeLenInByte = 0
; NumSgprs: 4
; NumVgprs: 0
; NumAgprs: 0
; TotalNumVgprs: 0
; ScratchSize: 0
; MemoryBound: 0
; FloatMode: 240
; IeeeMode: 1
; LDSByteSize: 0 bytes/workgroup (compile time only)
; SGPRBlocks: 0
; VGPRBlocks: 0
; NumSGPRsForWavesPerEU: 4
; NumVGPRsForWavesPerEU: 1
; AccumOffset: 4
; Occupancy: 8
; WaveLimiterHint : 0
; COMPUTE_PGM_RSRC2:SCRATCH_EN: 0
; COMPUTE_PGM_RSRC2:USER_SGPR: 6
; COMPUTE_PGM_RSRC2:TRAP_HANDLER: 0
; COMPUTE_PGM_RSRC2:TGID_X_EN: 1
; COMPUTE_PGM_RSRC2:TGID_Y_EN: 0
; COMPUTE_PGM_RSRC2:TGID_Z_EN: 0
; COMPUTE_PGM_RSRC2:TIDIG_COMP_CNT: 0
; COMPUTE_PGM_RSRC3_GFX90A:ACCUM_OFFSET: 0
; COMPUTE_PGM_RSRC3_GFX90A:TG_SPLIT: 0
	.section	.text._ZN7rocprim17ROCPRIM_400000_NS6detail17trampoline_kernelINS0_14default_configENS1_27scan_by_key_config_selectorIitEEZZNS1_16scan_by_key_implILNS1_25lookback_scan_determinismE0ELb0ES3_N6thrust23THRUST_200600_302600_NS6detail15normal_iteratorINS9_10device_ptrIiEEEENSB_INSC_ItEEEESG_tNS9_4plusIvEENS9_8equal_toIvEEtEE10hipError_tPvRmT2_T3_T4_T5_mT6_T7_P12ihipStream_tbENKUlT_T0_E_clISt17integral_constantIbLb0EES11_EEDaSW_SX_EUlSW_E_NS1_11comp_targetILNS1_3genE2ELNS1_11target_archE906ELNS1_3gpuE6ELNS1_3repE0EEENS1_30default_config_static_selectorELNS0_4arch9wavefront6targetE1EEEvT1_,"axG",@progbits,_ZN7rocprim17ROCPRIM_400000_NS6detail17trampoline_kernelINS0_14default_configENS1_27scan_by_key_config_selectorIitEEZZNS1_16scan_by_key_implILNS1_25lookback_scan_determinismE0ELb0ES3_N6thrust23THRUST_200600_302600_NS6detail15normal_iteratorINS9_10device_ptrIiEEEENSB_INSC_ItEEEESG_tNS9_4plusIvEENS9_8equal_toIvEEtEE10hipError_tPvRmT2_T3_T4_T5_mT6_T7_P12ihipStream_tbENKUlT_T0_E_clISt17integral_constantIbLb0EES11_EEDaSW_SX_EUlSW_E_NS1_11comp_targetILNS1_3genE2ELNS1_11target_archE906ELNS1_3gpuE6ELNS1_3repE0EEENS1_30default_config_static_selectorELNS0_4arch9wavefront6targetE1EEEvT1_,comdat
	.protected	_ZN7rocprim17ROCPRIM_400000_NS6detail17trampoline_kernelINS0_14default_configENS1_27scan_by_key_config_selectorIitEEZZNS1_16scan_by_key_implILNS1_25lookback_scan_determinismE0ELb0ES3_N6thrust23THRUST_200600_302600_NS6detail15normal_iteratorINS9_10device_ptrIiEEEENSB_INSC_ItEEEESG_tNS9_4plusIvEENS9_8equal_toIvEEtEE10hipError_tPvRmT2_T3_T4_T5_mT6_T7_P12ihipStream_tbENKUlT_T0_E_clISt17integral_constantIbLb0EES11_EEDaSW_SX_EUlSW_E_NS1_11comp_targetILNS1_3genE2ELNS1_11target_archE906ELNS1_3gpuE6ELNS1_3repE0EEENS1_30default_config_static_selectorELNS0_4arch9wavefront6targetE1EEEvT1_ ; -- Begin function _ZN7rocprim17ROCPRIM_400000_NS6detail17trampoline_kernelINS0_14default_configENS1_27scan_by_key_config_selectorIitEEZZNS1_16scan_by_key_implILNS1_25lookback_scan_determinismE0ELb0ES3_N6thrust23THRUST_200600_302600_NS6detail15normal_iteratorINS9_10device_ptrIiEEEENSB_INSC_ItEEEESG_tNS9_4plusIvEENS9_8equal_toIvEEtEE10hipError_tPvRmT2_T3_T4_T5_mT6_T7_P12ihipStream_tbENKUlT_T0_E_clISt17integral_constantIbLb0EES11_EEDaSW_SX_EUlSW_E_NS1_11comp_targetILNS1_3genE2ELNS1_11target_archE906ELNS1_3gpuE6ELNS1_3repE0EEENS1_30default_config_static_selectorELNS0_4arch9wavefront6targetE1EEEvT1_
	.globl	_ZN7rocprim17ROCPRIM_400000_NS6detail17trampoline_kernelINS0_14default_configENS1_27scan_by_key_config_selectorIitEEZZNS1_16scan_by_key_implILNS1_25lookback_scan_determinismE0ELb0ES3_N6thrust23THRUST_200600_302600_NS6detail15normal_iteratorINS9_10device_ptrIiEEEENSB_INSC_ItEEEESG_tNS9_4plusIvEENS9_8equal_toIvEEtEE10hipError_tPvRmT2_T3_T4_T5_mT6_T7_P12ihipStream_tbENKUlT_T0_E_clISt17integral_constantIbLb0EES11_EEDaSW_SX_EUlSW_E_NS1_11comp_targetILNS1_3genE2ELNS1_11target_archE906ELNS1_3gpuE6ELNS1_3repE0EEENS1_30default_config_static_selectorELNS0_4arch9wavefront6targetE1EEEvT1_
	.p2align	8
	.type	_ZN7rocprim17ROCPRIM_400000_NS6detail17trampoline_kernelINS0_14default_configENS1_27scan_by_key_config_selectorIitEEZZNS1_16scan_by_key_implILNS1_25lookback_scan_determinismE0ELb0ES3_N6thrust23THRUST_200600_302600_NS6detail15normal_iteratorINS9_10device_ptrIiEEEENSB_INSC_ItEEEESG_tNS9_4plusIvEENS9_8equal_toIvEEtEE10hipError_tPvRmT2_T3_T4_T5_mT6_T7_P12ihipStream_tbENKUlT_T0_E_clISt17integral_constantIbLb0EES11_EEDaSW_SX_EUlSW_E_NS1_11comp_targetILNS1_3genE2ELNS1_11target_archE906ELNS1_3gpuE6ELNS1_3repE0EEENS1_30default_config_static_selectorELNS0_4arch9wavefront6targetE1EEEvT1_,@function
_ZN7rocprim17ROCPRIM_400000_NS6detail17trampoline_kernelINS0_14default_configENS1_27scan_by_key_config_selectorIitEEZZNS1_16scan_by_key_implILNS1_25lookback_scan_determinismE0ELb0ES3_N6thrust23THRUST_200600_302600_NS6detail15normal_iteratorINS9_10device_ptrIiEEEENSB_INSC_ItEEEESG_tNS9_4plusIvEENS9_8equal_toIvEEtEE10hipError_tPvRmT2_T3_T4_T5_mT6_T7_P12ihipStream_tbENKUlT_T0_E_clISt17integral_constantIbLb0EES11_EEDaSW_SX_EUlSW_E_NS1_11comp_targetILNS1_3genE2ELNS1_11target_archE906ELNS1_3gpuE6ELNS1_3repE0EEENS1_30default_config_static_selectorELNS0_4arch9wavefront6targetE1EEEvT1_: ; @_ZN7rocprim17ROCPRIM_400000_NS6detail17trampoline_kernelINS0_14default_configENS1_27scan_by_key_config_selectorIitEEZZNS1_16scan_by_key_implILNS1_25lookback_scan_determinismE0ELb0ES3_N6thrust23THRUST_200600_302600_NS6detail15normal_iteratorINS9_10device_ptrIiEEEENSB_INSC_ItEEEESG_tNS9_4plusIvEENS9_8equal_toIvEEtEE10hipError_tPvRmT2_T3_T4_T5_mT6_T7_P12ihipStream_tbENKUlT_T0_E_clISt17integral_constantIbLb0EES11_EEDaSW_SX_EUlSW_E_NS1_11comp_targetILNS1_3genE2ELNS1_11target_archE906ELNS1_3gpuE6ELNS1_3repE0EEENS1_30default_config_static_selectorELNS0_4arch9wavefront6targetE1EEEvT1_
; %bb.0:
	.section	.rodata,"a",@progbits
	.p2align	6, 0x0
	.amdhsa_kernel _ZN7rocprim17ROCPRIM_400000_NS6detail17trampoline_kernelINS0_14default_configENS1_27scan_by_key_config_selectorIitEEZZNS1_16scan_by_key_implILNS1_25lookback_scan_determinismE0ELb0ES3_N6thrust23THRUST_200600_302600_NS6detail15normal_iteratorINS9_10device_ptrIiEEEENSB_INSC_ItEEEESG_tNS9_4plusIvEENS9_8equal_toIvEEtEE10hipError_tPvRmT2_T3_T4_T5_mT6_T7_P12ihipStream_tbENKUlT_T0_E_clISt17integral_constantIbLb0EES11_EEDaSW_SX_EUlSW_E_NS1_11comp_targetILNS1_3genE2ELNS1_11target_archE906ELNS1_3gpuE6ELNS1_3repE0EEENS1_30default_config_static_selectorELNS0_4arch9wavefront6targetE1EEEvT1_
		.amdhsa_group_segment_fixed_size 0
		.amdhsa_private_segment_fixed_size 0
		.amdhsa_kernarg_size 112
		.amdhsa_user_sgpr_count 6
		.amdhsa_user_sgpr_private_segment_buffer 1
		.amdhsa_user_sgpr_dispatch_ptr 0
		.amdhsa_user_sgpr_queue_ptr 0
		.amdhsa_user_sgpr_kernarg_segment_ptr 1
		.amdhsa_user_sgpr_dispatch_id 0
		.amdhsa_user_sgpr_flat_scratch_init 0
		.amdhsa_user_sgpr_kernarg_preload_length 0
		.amdhsa_user_sgpr_kernarg_preload_offset 0
		.amdhsa_user_sgpr_private_segment_size 0
		.amdhsa_uses_dynamic_stack 0
		.amdhsa_system_sgpr_private_segment_wavefront_offset 0
		.amdhsa_system_sgpr_workgroup_id_x 1
		.amdhsa_system_sgpr_workgroup_id_y 0
		.amdhsa_system_sgpr_workgroup_id_z 0
		.amdhsa_system_sgpr_workgroup_info 0
		.amdhsa_system_vgpr_workitem_id 0
		.amdhsa_next_free_vgpr 1
		.amdhsa_next_free_sgpr 0
		.amdhsa_accum_offset 4
		.amdhsa_reserve_vcc 0
		.amdhsa_reserve_flat_scratch 0
		.amdhsa_float_round_mode_32 0
		.amdhsa_float_round_mode_16_64 0
		.amdhsa_float_denorm_mode_32 3
		.amdhsa_float_denorm_mode_16_64 3
		.amdhsa_dx10_clamp 1
		.amdhsa_ieee_mode 1
		.amdhsa_fp16_overflow 0
		.amdhsa_tg_split 0
		.amdhsa_exception_fp_ieee_invalid_op 0
		.amdhsa_exception_fp_denorm_src 0
		.amdhsa_exception_fp_ieee_div_zero 0
		.amdhsa_exception_fp_ieee_overflow 0
		.amdhsa_exception_fp_ieee_underflow 0
		.amdhsa_exception_fp_ieee_inexact 0
		.amdhsa_exception_int_div_zero 0
	.end_amdhsa_kernel
	.section	.text._ZN7rocprim17ROCPRIM_400000_NS6detail17trampoline_kernelINS0_14default_configENS1_27scan_by_key_config_selectorIitEEZZNS1_16scan_by_key_implILNS1_25lookback_scan_determinismE0ELb0ES3_N6thrust23THRUST_200600_302600_NS6detail15normal_iteratorINS9_10device_ptrIiEEEENSB_INSC_ItEEEESG_tNS9_4plusIvEENS9_8equal_toIvEEtEE10hipError_tPvRmT2_T3_T4_T5_mT6_T7_P12ihipStream_tbENKUlT_T0_E_clISt17integral_constantIbLb0EES11_EEDaSW_SX_EUlSW_E_NS1_11comp_targetILNS1_3genE2ELNS1_11target_archE906ELNS1_3gpuE6ELNS1_3repE0EEENS1_30default_config_static_selectorELNS0_4arch9wavefront6targetE1EEEvT1_,"axG",@progbits,_ZN7rocprim17ROCPRIM_400000_NS6detail17trampoline_kernelINS0_14default_configENS1_27scan_by_key_config_selectorIitEEZZNS1_16scan_by_key_implILNS1_25lookback_scan_determinismE0ELb0ES3_N6thrust23THRUST_200600_302600_NS6detail15normal_iteratorINS9_10device_ptrIiEEEENSB_INSC_ItEEEESG_tNS9_4plusIvEENS9_8equal_toIvEEtEE10hipError_tPvRmT2_T3_T4_T5_mT6_T7_P12ihipStream_tbENKUlT_T0_E_clISt17integral_constantIbLb0EES11_EEDaSW_SX_EUlSW_E_NS1_11comp_targetILNS1_3genE2ELNS1_11target_archE906ELNS1_3gpuE6ELNS1_3repE0EEENS1_30default_config_static_selectorELNS0_4arch9wavefront6targetE1EEEvT1_,comdat
.Lfunc_end1272:
	.size	_ZN7rocprim17ROCPRIM_400000_NS6detail17trampoline_kernelINS0_14default_configENS1_27scan_by_key_config_selectorIitEEZZNS1_16scan_by_key_implILNS1_25lookback_scan_determinismE0ELb0ES3_N6thrust23THRUST_200600_302600_NS6detail15normal_iteratorINS9_10device_ptrIiEEEENSB_INSC_ItEEEESG_tNS9_4plusIvEENS9_8equal_toIvEEtEE10hipError_tPvRmT2_T3_T4_T5_mT6_T7_P12ihipStream_tbENKUlT_T0_E_clISt17integral_constantIbLb0EES11_EEDaSW_SX_EUlSW_E_NS1_11comp_targetILNS1_3genE2ELNS1_11target_archE906ELNS1_3gpuE6ELNS1_3repE0EEENS1_30default_config_static_selectorELNS0_4arch9wavefront6targetE1EEEvT1_, .Lfunc_end1272-_ZN7rocprim17ROCPRIM_400000_NS6detail17trampoline_kernelINS0_14default_configENS1_27scan_by_key_config_selectorIitEEZZNS1_16scan_by_key_implILNS1_25lookback_scan_determinismE0ELb0ES3_N6thrust23THRUST_200600_302600_NS6detail15normal_iteratorINS9_10device_ptrIiEEEENSB_INSC_ItEEEESG_tNS9_4plusIvEENS9_8equal_toIvEEtEE10hipError_tPvRmT2_T3_T4_T5_mT6_T7_P12ihipStream_tbENKUlT_T0_E_clISt17integral_constantIbLb0EES11_EEDaSW_SX_EUlSW_E_NS1_11comp_targetILNS1_3genE2ELNS1_11target_archE906ELNS1_3gpuE6ELNS1_3repE0EEENS1_30default_config_static_selectorELNS0_4arch9wavefront6targetE1EEEvT1_
                                        ; -- End function
	.section	.AMDGPU.csdata,"",@progbits
; Kernel info:
; codeLenInByte = 0
; NumSgprs: 4
; NumVgprs: 0
; NumAgprs: 0
; TotalNumVgprs: 0
; ScratchSize: 0
; MemoryBound: 0
; FloatMode: 240
; IeeeMode: 1
; LDSByteSize: 0 bytes/workgroup (compile time only)
; SGPRBlocks: 0
; VGPRBlocks: 0
; NumSGPRsForWavesPerEU: 4
; NumVGPRsForWavesPerEU: 1
; AccumOffset: 4
; Occupancy: 8
; WaveLimiterHint : 0
; COMPUTE_PGM_RSRC2:SCRATCH_EN: 0
; COMPUTE_PGM_RSRC2:USER_SGPR: 6
; COMPUTE_PGM_RSRC2:TRAP_HANDLER: 0
; COMPUTE_PGM_RSRC2:TGID_X_EN: 1
; COMPUTE_PGM_RSRC2:TGID_Y_EN: 0
; COMPUTE_PGM_RSRC2:TGID_Z_EN: 0
; COMPUTE_PGM_RSRC2:TIDIG_COMP_CNT: 0
; COMPUTE_PGM_RSRC3_GFX90A:ACCUM_OFFSET: 0
; COMPUTE_PGM_RSRC3_GFX90A:TG_SPLIT: 0
	.section	.text._ZN7rocprim17ROCPRIM_400000_NS6detail17trampoline_kernelINS0_14default_configENS1_27scan_by_key_config_selectorIitEEZZNS1_16scan_by_key_implILNS1_25lookback_scan_determinismE0ELb0ES3_N6thrust23THRUST_200600_302600_NS6detail15normal_iteratorINS9_10device_ptrIiEEEENSB_INSC_ItEEEESG_tNS9_4plusIvEENS9_8equal_toIvEEtEE10hipError_tPvRmT2_T3_T4_T5_mT6_T7_P12ihipStream_tbENKUlT_T0_E_clISt17integral_constantIbLb0EES11_EEDaSW_SX_EUlSW_E_NS1_11comp_targetILNS1_3genE10ELNS1_11target_archE1200ELNS1_3gpuE4ELNS1_3repE0EEENS1_30default_config_static_selectorELNS0_4arch9wavefront6targetE1EEEvT1_,"axG",@progbits,_ZN7rocprim17ROCPRIM_400000_NS6detail17trampoline_kernelINS0_14default_configENS1_27scan_by_key_config_selectorIitEEZZNS1_16scan_by_key_implILNS1_25lookback_scan_determinismE0ELb0ES3_N6thrust23THRUST_200600_302600_NS6detail15normal_iteratorINS9_10device_ptrIiEEEENSB_INSC_ItEEEESG_tNS9_4plusIvEENS9_8equal_toIvEEtEE10hipError_tPvRmT2_T3_T4_T5_mT6_T7_P12ihipStream_tbENKUlT_T0_E_clISt17integral_constantIbLb0EES11_EEDaSW_SX_EUlSW_E_NS1_11comp_targetILNS1_3genE10ELNS1_11target_archE1200ELNS1_3gpuE4ELNS1_3repE0EEENS1_30default_config_static_selectorELNS0_4arch9wavefront6targetE1EEEvT1_,comdat
	.protected	_ZN7rocprim17ROCPRIM_400000_NS6detail17trampoline_kernelINS0_14default_configENS1_27scan_by_key_config_selectorIitEEZZNS1_16scan_by_key_implILNS1_25lookback_scan_determinismE0ELb0ES3_N6thrust23THRUST_200600_302600_NS6detail15normal_iteratorINS9_10device_ptrIiEEEENSB_INSC_ItEEEESG_tNS9_4plusIvEENS9_8equal_toIvEEtEE10hipError_tPvRmT2_T3_T4_T5_mT6_T7_P12ihipStream_tbENKUlT_T0_E_clISt17integral_constantIbLb0EES11_EEDaSW_SX_EUlSW_E_NS1_11comp_targetILNS1_3genE10ELNS1_11target_archE1200ELNS1_3gpuE4ELNS1_3repE0EEENS1_30default_config_static_selectorELNS0_4arch9wavefront6targetE1EEEvT1_ ; -- Begin function _ZN7rocprim17ROCPRIM_400000_NS6detail17trampoline_kernelINS0_14default_configENS1_27scan_by_key_config_selectorIitEEZZNS1_16scan_by_key_implILNS1_25lookback_scan_determinismE0ELb0ES3_N6thrust23THRUST_200600_302600_NS6detail15normal_iteratorINS9_10device_ptrIiEEEENSB_INSC_ItEEEESG_tNS9_4plusIvEENS9_8equal_toIvEEtEE10hipError_tPvRmT2_T3_T4_T5_mT6_T7_P12ihipStream_tbENKUlT_T0_E_clISt17integral_constantIbLb0EES11_EEDaSW_SX_EUlSW_E_NS1_11comp_targetILNS1_3genE10ELNS1_11target_archE1200ELNS1_3gpuE4ELNS1_3repE0EEENS1_30default_config_static_selectorELNS0_4arch9wavefront6targetE1EEEvT1_
	.globl	_ZN7rocprim17ROCPRIM_400000_NS6detail17trampoline_kernelINS0_14default_configENS1_27scan_by_key_config_selectorIitEEZZNS1_16scan_by_key_implILNS1_25lookback_scan_determinismE0ELb0ES3_N6thrust23THRUST_200600_302600_NS6detail15normal_iteratorINS9_10device_ptrIiEEEENSB_INSC_ItEEEESG_tNS9_4plusIvEENS9_8equal_toIvEEtEE10hipError_tPvRmT2_T3_T4_T5_mT6_T7_P12ihipStream_tbENKUlT_T0_E_clISt17integral_constantIbLb0EES11_EEDaSW_SX_EUlSW_E_NS1_11comp_targetILNS1_3genE10ELNS1_11target_archE1200ELNS1_3gpuE4ELNS1_3repE0EEENS1_30default_config_static_selectorELNS0_4arch9wavefront6targetE1EEEvT1_
	.p2align	8
	.type	_ZN7rocprim17ROCPRIM_400000_NS6detail17trampoline_kernelINS0_14default_configENS1_27scan_by_key_config_selectorIitEEZZNS1_16scan_by_key_implILNS1_25lookback_scan_determinismE0ELb0ES3_N6thrust23THRUST_200600_302600_NS6detail15normal_iteratorINS9_10device_ptrIiEEEENSB_INSC_ItEEEESG_tNS9_4plusIvEENS9_8equal_toIvEEtEE10hipError_tPvRmT2_T3_T4_T5_mT6_T7_P12ihipStream_tbENKUlT_T0_E_clISt17integral_constantIbLb0EES11_EEDaSW_SX_EUlSW_E_NS1_11comp_targetILNS1_3genE10ELNS1_11target_archE1200ELNS1_3gpuE4ELNS1_3repE0EEENS1_30default_config_static_selectorELNS0_4arch9wavefront6targetE1EEEvT1_,@function
_ZN7rocprim17ROCPRIM_400000_NS6detail17trampoline_kernelINS0_14default_configENS1_27scan_by_key_config_selectorIitEEZZNS1_16scan_by_key_implILNS1_25lookback_scan_determinismE0ELb0ES3_N6thrust23THRUST_200600_302600_NS6detail15normal_iteratorINS9_10device_ptrIiEEEENSB_INSC_ItEEEESG_tNS9_4plusIvEENS9_8equal_toIvEEtEE10hipError_tPvRmT2_T3_T4_T5_mT6_T7_P12ihipStream_tbENKUlT_T0_E_clISt17integral_constantIbLb0EES11_EEDaSW_SX_EUlSW_E_NS1_11comp_targetILNS1_3genE10ELNS1_11target_archE1200ELNS1_3gpuE4ELNS1_3repE0EEENS1_30default_config_static_selectorELNS0_4arch9wavefront6targetE1EEEvT1_: ; @_ZN7rocprim17ROCPRIM_400000_NS6detail17trampoline_kernelINS0_14default_configENS1_27scan_by_key_config_selectorIitEEZZNS1_16scan_by_key_implILNS1_25lookback_scan_determinismE0ELb0ES3_N6thrust23THRUST_200600_302600_NS6detail15normal_iteratorINS9_10device_ptrIiEEEENSB_INSC_ItEEEESG_tNS9_4plusIvEENS9_8equal_toIvEEtEE10hipError_tPvRmT2_T3_T4_T5_mT6_T7_P12ihipStream_tbENKUlT_T0_E_clISt17integral_constantIbLb0EES11_EEDaSW_SX_EUlSW_E_NS1_11comp_targetILNS1_3genE10ELNS1_11target_archE1200ELNS1_3gpuE4ELNS1_3repE0EEENS1_30default_config_static_selectorELNS0_4arch9wavefront6targetE1EEEvT1_
; %bb.0:
	.section	.rodata,"a",@progbits
	.p2align	6, 0x0
	.amdhsa_kernel _ZN7rocprim17ROCPRIM_400000_NS6detail17trampoline_kernelINS0_14default_configENS1_27scan_by_key_config_selectorIitEEZZNS1_16scan_by_key_implILNS1_25lookback_scan_determinismE0ELb0ES3_N6thrust23THRUST_200600_302600_NS6detail15normal_iteratorINS9_10device_ptrIiEEEENSB_INSC_ItEEEESG_tNS9_4plusIvEENS9_8equal_toIvEEtEE10hipError_tPvRmT2_T3_T4_T5_mT6_T7_P12ihipStream_tbENKUlT_T0_E_clISt17integral_constantIbLb0EES11_EEDaSW_SX_EUlSW_E_NS1_11comp_targetILNS1_3genE10ELNS1_11target_archE1200ELNS1_3gpuE4ELNS1_3repE0EEENS1_30default_config_static_selectorELNS0_4arch9wavefront6targetE1EEEvT1_
		.amdhsa_group_segment_fixed_size 0
		.amdhsa_private_segment_fixed_size 0
		.amdhsa_kernarg_size 112
		.amdhsa_user_sgpr_count 6
		.amdhsa_user_sgpr_private_segment_buffer 1
		.amdhsa_user_sgpr_dispatch_ptr 0
		.amdhsa_user_sgpr_queue_ptr 0
		.amdhsa_user_sgpr_kernarg_segment_ptr 1
		.amdhsa_user_sgpr_dispatch_id 0
		.amdhsa_user_sgpr_flat_scratch_init 0
		.amdhsa_user_sgpr_kernarg_preload_length 0
		.amdhsa_user_sgpr_kernarg_preload_offset 0
		.amdhsa_user_sgpr_private_segment_size 0
		.amdhsa_uses_dynamic_stack 0
		.amdhsa_system_sgpr_private_segment_wavefront_offset 0
		.amdhsa_system_sgpr_workgroup_id_x 1
		.amdhsa_system_sgpr_workgroup_id_y 0
		.amdhsa_system_sgpr_workgroup_id_z 0
		.amdhsa_system_sgpr_workgroup_info 0
		.amdhsa_system_vgpr_workitem_id 0
		.amdhsa_next_free_vgpr 1
		.amdhsa_next_free_sgpr 0
		.amdhsa_accum_offset 4
		.amdhsa_reserve_vcc 0
		.amdhsa_reserve_flat_scratch 0
		.amdhsa_float_round_mode_32 0
		.amdhsa_float_round_mode_16_64 0
		.amdhsa_float_denorm_mode_32 3
		.amdhsa_float_denorm_mode_16_64 3
		.amdhsa_dx10_clamp 1
		.amdhsa_ieee_mode 1
		.amdhsa_fp16_overflow 0
		.amdhsa_tg_split 0
		.amdhsa_exception_fp_ieee_invalid_op 0
		.amdhsa_exception_fp_denorm_src 0
		.amdhsa_exception_fp_ieee_div_zero 0
		.amdhsa_exception_fp_ieee_overflow 0
		.amdhsa_exception_fp_ieee_underflow 0
		.amdhsa_exception_fp_ieee_inexact 0
		.amdhsa_exception_int_div_zero 0
	.end_amdhsa_kernel
	.section	.text._ZN7rocprim17ROCPRIM_400000_NS6detail17trampoline_kernelINS0_14default_configENS1_27scan_by_key_config_selectorIitEEZZNS1_16scan_by_key_implILNS1_25lookback_scan_determinismE0ELb0ES3_N6thrust23THRUST_200600_302600_NS6detail15normal_iteratorINS9_10device_ptrIiEEEENSB_INSC_ItEEEESG_tNS9_4plusIvEENS9_8equal_toIvEEtEE10hipError_tPvRmT2_T3_T4_T5_mT6_T7_P12ihipStream_tbENKUlT_T0_E_clISt17integral_constantIbLb0EES11_EEDaSW_SX_EUlSW_E_NS1_11comp_targetILNS1_3genE10ELNS1_11target_archE1200ELNS1_3gpuE4ELNS1_3repE0EEENS1_30default_config_static_selectorELNS0_4arch9wavefront6targetE1EEEvT1_,"axG",@progbits,_ZN7rocprim17ROCPRIM_400000_NS6detail17trampoline_kernelINS0_14default_configENS1_27scan_by_key_config_selectorIitEEZZNS1_16scan_by_key_implILNS1_25lookback_scan_determinismE0ELb0ES3_N6thrust23THRUST_200600_302600_NS6detail15normal_iteratorINS9_10device_ptrIiEEEENSB_INSC_ItEEEESG_tNS9_4plusIvEENS9_8equal_toIvEEtEE10hipError_tPvRmT2_T3_T4_T5_mT6_T7_P12ihipStream_tbENKUlT_T0_E_clISt17integral_constantIbLb0EES11_EEDaSW_SX_EUlSW_E_NS1_11comp_targetILNS1_3genE10ELNS1_11target_archE1200ELNS1_3gpuE4ELNS1_3repE0EEENS1_30default_config_static_selectorELNS0_4arch9wavefront6targetE1EEEvT1_,comdat
.Lfunc_end1273:
	.size	_ZN7rocprim17ROCPRIM_400000_NS6detail17trampoline_kernelINS0_14default_configENS1_27scan_by_key_config_selectorIitEEZZNS1_16scan_by_key_implILNS1_25lookback_scan_determinismE0ELb0ES3_N6thrust23THRUST_200600_302600_NS6detail15normal_iteratorINS9_10device_ptrIiEEEENSB_INSC_ItEEEESG_tNS9_4plusIvEENS9_8equal_toIvEEtEE10hipError_tPvRmT2_T3_T4_T5_mT6_T7_P12ihipStream_tbENKUlT_T0_E_clISt17integral_constantIbLb0EES11_EEDaSW_SX_EUlSW_E_NS1_11comp_targetILNS1_3genE10ELNS1_11target_archE1200ELNS1_3gpuE4ELNS1_3repE0EEENS1_30default_config_static_selectorELNS0_4arch9wavefront6targetE1EEEvT1_, .Lfunc_end1273-_ZN7rocprim17ROCPRIM_400000_NS6detail17trampoline_kernelINS0_14default_configENS1_27scan_by_key_config_selectorIitEEZZNS1_16scan_by_key_implILNS1_25lookback_scan_determinismE0ELb0ES3_N6thrust23THRUST_200600_302600_NS6detail15normal_iteratorINS9_10device_ptrIiEEEENSB_INSC_ItEEEESG_tNS9_4plusIvEENS9_8equal_toIvEEtEE10hipError_tPvRmT2_T3_T4_T5_mT6_T7_P12ihipStream_tbENKUlT_T0_E_clISt17integral_constantIbLb0EES11_EEDaSW_SX_EUlSW_E_NS1_11comp_targetILNS1_3genE10ELNS1_11target_archE1200ELNS1_3gpuE4ELNS1_3repE0EEENS1_30default_config_static_selectorELNS0_4arch9wavefront6targetE1EEEvT1_
                                        ; -- End function
	.section	.AMDGPU.csdata,"",@progbits
; Kernel info:
; codeLenInByte = 0
; NumSgprs: 4
; NumVgprs: 0
; NumAgprs: 0
; TotalNumVgprs: 0
; ScratchSize: 0
; MemoryBound: 0
; FloatMode: 240
; IeeeMode: 1
; LDSByteSize: 0 bytes/workgroup (compile time only)
; SGPRBlocks: 0
; VGPRBlocks: 0
; NumSGPRsForWavesPerEU: 4
; NumVGPRsForWavesPerEU: 1
; AccumOffset: 4
; Occupancy: 8
; WaveLimiterHint : 0
; COMPUTE_PGM_RSRC2:SCRATCH_EN: 0
; COMPUTE_PGM_RSRC2:USER_SGPR: 6
; COMPUTE_PGM_RSRC2:TRAP_HANDLER: 0
; COMPUTE_PGM_RSRC2:TGID_X_EN: 1
; COMPUTE_PGM_RSRC2:TGID_Y_EN: 0
; COMPUTE_PGM_RSRC2:TGID_Z_EN: 0
; COMPUTE_PGM_RSRC2:TIDIG_COMP_CNT: 0
; COMPUTE_PGM_RSRC3_GFX90A:ACCUM_OFFSET: 0
; COMPUTE_PGM_RSRC3_GFX90A:TG_SPLIT: 0
	.section	.text._ZN7rocprim17ROCPRIM_400000_NS6detail17trampoline_kernelINS0_14default_configENS1_27scan_by_key_config_selectorIitEEZZNS1_16scan_by_key_implILNS1_25lookback_scan_determinismE0ELb0ES3_N6thrust23THRUST_200600_302600_NS6detail15normal_iteratorINS9_10device_ptrIiEEEENSB_INSC_ItEEEESG_tNS9_4plusIvEENS9_8equal_toIvEEtEE10hipError_tPvRmT2_T3_T4_T5_mT6_T7_P12ihipStream_tbENKUlT_T0_E_clISt17integral_constantIbLb0EES11_EEDaSW_SX_EUlSW_E_NS1_11comp_targetILNS1_3genE9ELNS1_11target_archE1100ELNS1_3gpuE3ELNS1_3repE0EEENS1_30default_config_static_selectorELNS0_4arch9wavefront6targetE1EEEvT1_,"axG",@progbits,_ZN7rocprim17ROCPRIM_400000_NS6detail17trampoline_kernelINS0_14default_configENS1_27scan_by_key_config_selectorIitEEZZNS1_16scan_by_key_implILNS1_25lookback_scan_determinismE0ELb0ES3_N6thrust23THRUST_200600_302600_NS6detail15normal_iteratorINS9_10device_ptrIiEEEENSB_INSC_ItEEEESG_tNS9_4plusIvEENS9_8equal_toIvEEtEE10hipError_tPvRmT2_T3_T4_T5_mT6_T7_P12ihipStream_tbENKUlT_T0_E_clISt17integral_constantIbLb0EES11_EEDaSW_SX_EUlSW_E_NS1_11comp_targetILNS1_3genE9ELNS1_11target_archE1100ELNS1_3gpuE3ELNS1_3repE0EEENS1_30default_config_static_selectorELNS0_4arch9wavefront6targetE1EEEvT1_,comdat
	.protected	_ZN7rocprim17ROCPRIM_400000_NS6detail17trampoline_kernelINS0_14default_configENS1_27scan_by_key_config_selectorIitEEZZNS1_16scan_by_key_implILNS1_25lookback_scan_determinismE0ELb0ES3_N6thrust23THRUST_200600_302600_NS6detail15normal_iteratorINS9_10device_ptrIiEEEENSB_INSC_ItEEEESG_tNS9_4plusIvEENS9_8equal_toIvEEtEE10hipError_tPvRmT2_T3_T4_T5_mT6_T7_P12ihipStream_tbENKUlT_T0_E_clISt17integral_constantIbLb0EES11_EEDaSW_SX_EUlSW_E_NS1_11comp_targetILNS1_3genE9ELNS1_11target_archE1100ELNS1_3gpuE3ELNS1_3repE0EEENS1_30default_config_static_selectorELNS0_4arch9wavefront6targetE1EEEvT1_ ; -- Begin function _ZN7rocprim17ROCPRIM_400000_NS6detail17trampoline_kernelINS0_14default_configENS1_27scan_by_key_config_selectorIitEEZZNS1_16scan_by_key_implILNS1_25lookback_scan_determinismE0ELb0ES3_N6thrust23THRUST_200600_302600_NS6detail15normal_iteratorINS9_10device_ptrIiEEEENSB_INSC_ItEEEESG_tNS9_4plusIvEENS9_8equal_toIvEEtEE10hipError_tPvRmT2_T3_T4_T5_mT6_T7_P12ihipStream_tbENKUlT_T0_E_clISt17integral_constantIbLb0EES11_EEDaSW_SX_EUlSW_E_NS1_11comp_targetILNS1_3genE9ELNS1_11target_archE1100ELNS1_3gpuE3ELNS1_3repE0EEENS1_30default_config_static_selectorELNS0_4arch9wavefront6targetE1EEEvT1_
	.globl	_ZN7rocprim17ROCPRIM_400000_NS6detail17trampoline_kernelINS0_14default_configENS1_27scan_by_key_config_selectorIitEEZZNS1_16scan_by_key_implILNS1_25lookback_scan_determinismE0ELb0ES3_N6thrust23THRUST_200600_302600_NS6detail15normal_iteratorINS9_10device_ptrIiEEEENSB_INSC_ItEEEESG_tNS9_4plusIvEENS9_8equal_toIvEEtEE10hipError_tPvRmT2_T3_T4_T5_mT6_T7_P12ihipStream_tbENKUlT_T0_E_clISt17integral_constantIbLb0EES11_EEDaSW_SX_EUlSW_E_NS1_11comp_targetILNS1_3genE9ELNS1_11target_archE1100ELNS1_3gpuE3ELNS1_3repE0EEENS1_30default_config_static_selectorELNS0_4arch9wavefront6targetE1EEEvT1_
	.p2align	8
	.type	_ZN7rocprim17ROCPRIM_400000_NS6detail17trampoline_kernelINS0_14default_configENS1_27scan_by_key_config_selectorIitEEZZNS1_16scan_by_key_implILNS1_25lookback_scan_determinismE0ELb0ES3_N6thrust23THRUST_200600_302600_NS6detail15normal_iteratorINS9_10device_ptrIiEEEENSB_INSC_ItEEEESG_tNS9_4plusIvEENS9_8equal_toIvEEtEE10hipError_tPvRmT2_T3_T4_T5_mT6_T7_P12ihipStream_tbENKUlT_T0_E_clISt17integral_constantIbLb0EES11_EEDaSW_SX_EUlSW_E_NS1_11comp_targetILNS1_3genE9ELNS1_11target_archE1100ELNS1_3gpuE3ELNS1_3repE0EEENS1_30default_config_static_selectorELNS0_4arch9wavefront6targetE1EEEvT1_,@function
_ZN7rocprim17ROCPRIM_400000_NS6detail17trampoline_kernelINS0_14default_configENS1_27scan_by_key_config_selectorIitEEZZNS1_16scan_by_key_implILNS1_25lookback_scan_determinismE0ELb0ES3_N6thrust23THRUST_200600_302600_NS6detail15normal_iteratorINS9_10device_ptrIiEEEENSB_INSC_ItEEEESG_tNS9_4plusIvEENS9_8equal_toIvEEtEE10hipError_tPvRmT2_T3_T4_T5_mT6_T7_P12ihipStream_tbENKUlT_T0_E_clISt17integral_constantIbLb0EES11_EEDaSW_SX_EUlSW_E_NS1_11comp_targetILNS1_3genE9ELNS1_11target_archE1100ELNS1_3gpuE3ELNS1_3repE0EEENS1_30default_config_static_selectorELNS0_4arch9wavefront6targetE1EEEvT1_: ; @_ZN7rocprim17ROCPRIM_400000_NS6detail17trampoline_kernelINS0_14default_configENS1_27scan_by_key_config_selectorIitEEZZNS1_16scan_by_key_implILNS1_25lookback_scan_determinismE0ELb0ES3_N6thrust23THRUST_200600_302600_NS6detail15normal_iteratorINS9_10device_ptrIiEEEENSB_INSC_ItEEEESG_tNS9_4plusIvEENS9_8equal_toIvEEtEE10hipError_tPvRmT2_T3_T4_T5_mT6_T7_P12ihipStream_tbENKUlT_T0_E_clISt17integral_constantIbLb0EES11_EEDaSW_SX_EUlSW_E_NS1_11comp_targetILNS1_3genE9ELNS1_11target_archE1100ELNS1_3gpuE3ELNS1_3repE0EEENS1_30default_config_static_selectorELNS0_4arch9wavefront6targetE1EEEvT1_
; %bb.0:
	.section	.rodata,"a",@progbits
	.p2align	6, 0x0
	.amdhsa_kernel _ZN7rocprim17ROCPRIM_400000_NS6detail17trampoline_kernelINS0_14default_configENS1_27scan_by_key_config_selectorIitEEZZNS1_16scan_by_key_implILNS1_25lookback_scan_determinismE0ELb0ES3_N6thrust23THRUST_200600_302600_NS6detail15normal_iteratorINS9_10device_ptrIiEEEENSB_INSC_ItEEEESG_tNS9_4plusIvEENS9_8equal_toIvEEtEE10hipError_tPvRmT2_T3_T4_T5_mT6_T7_P12ihipStream_tbENKUlT_T0_E_clISt17integral_constantIbLb0EES11_EEDaSW_SX_EUlSW_E_NS1_11comp_targetILNS1_3genE9ELNS1_11target_archE1100ELNS1_3gpuE3ELNS1_3repE0EEENS1_30default_config_static_selectorELNS0_4arch9wavefront6targetE1EEEvT1_
		.amdhsa_group_segment_fixed_size 0
		.amdhsa_private_segment_fixed_size 0
		.amdhsa_kernarg_size 112
		.amdhsa_user_sgpr_count 6
		.amdhsa_user_sgpr_private_segment_buffer 1
		.amdhsa_user_sgpr_dispatch_ptr 0
		.amdhsa_user_sgpr_queue_ptr 0
		.amdhsa_user_sgpr_kernarg_segment_ptr 1
		.amdhsa_user_sgpr_dispatch_id 0
		.amdhsa_user_sgpr_flat_scratch_init 0
		.amdhsa_user_sgpr_kernarg_preload_length 0
		.amdhsa_user_sgpr_kernarg_preload_offset 0
		.amdhsa_user_sgpr_private_segment_size 0
		.amdhsa_uses_dynamic_stack 0
		.amdhsa_system_sgpr_private_segment_wavefront_offset 0
		.amdhsa_system_sgpr_workgroup_id_x 1
		.amdhsa_system_sgpr_workgroup_id_y 0
		.amdhsa_system_sgpr_workgroup_id_z 0
		.amdhsa_system_sgpr_workgroup_info 0
		.amdhsa_system_vgpr_workitem_id 0
		.amdhsa_next_free_vgpr 1
		.amdhsa_next_free_sgpr 0
		.amdhsa_accum_offset 4
		.amdhsa_reserve_vcc 0
		.amdhsa_reserve_flat_scratch 0
		.amdhsa_float_round_mode_32 0
		.amdhsa_float_round_mode_16_64 0
		.amdhsa_float_denorm_mode_32 3
		.amdhsa_float_denorm_mode_16_64 3
		.amdhsa_dx10_clamp 1
		.amdhsa_ieee_mode 1
		.amdhsa_fp16_overflow 0
		.amdhsa_tg_split 0
		.amdhsa_exception_fp_ieee_invalid_op 0
		.amdhsa_exception_fp_denorm_src 0
		.amdhsa_exception_fp_ieee_div_zero 0
		.amdhsa_exception_fp_ieee_overflow 0
		.amdhsa_exception_fp_ieee_underflow 0
		.amdhsa_exception_fp_ieee_inexact 0
		.amdhsa_exception_int_div_zero 0
	.end_amdhsa_kernel
	.section	.text._ZN7rocprim17ROCPRIM_400000_NS6detail17trampoline_kernelINS0_14default_configENS1_27scan_by_key_config_selectorIitEEZZNS1_16scan_by_key_implILNS1_25lookback_scan_determinismE0ELb0ES3_N6thrust23THRUST_200600_302600_NS6detail15normal_iteratorINS9_10device_ptrIiEEEENSB_INSC_ItEEEESG_tNS9_4plusIvEENS9_8equal_toIvEEtEE10hipError_tPvRmT2_T3_T4_T5_mT6_T7_P12ihipStream_tbENKUlT_T0_E_clISt17integral_constantIbLb0EES11_EEDaSW_SX_EUlSW_E_NS1_11comp_targetILNS1_3genE9ELNS1_11target_archE1100ELNS1_3gpuE3ELNS1_3repE0EEENS1_30default_config_static_selectorELNS0_4arch9wavefront6targetE1EEEvT1_,"axG",@progbits,_ZN7rocprim17ROCPRIM_400000_NS6detail17trampoline_kernelINS0_14default_configENS1_27scan_by_key_config_selectorIitEEZZNS1_16scan_by_key_implILNS1_25lookback_scan_determinismE0ELb0ES3_N6thrust23THRUST_200600_302600_NS6detail15normal_iteratorINS9_10device_ptrIiEEEENSB_INSC_ItEEEESG_tNS9_4plusIvEENS9_8equal_toIvEEtEE10hipError_tPvRmT2_T3_T4_T5_mT6_T7_P12ihipStream_tbENKUlT_T0_E_clISt17integral_constantIbLb0EES11_EEDaSW_SX_EUlSW_E_NS1_11comp_targetILNS1_3genE9ELNS1_11target_archE1100ELNS1_3gpuE3ELNS1_3repE0EEENS1_30default_config_static_selectorELNS0_4arch9wavefront6targetE1EEEvT1_,comdat
.Lfunc_end1274:
	.size	_ZN7rocprim17ROCPRIM_400000_NS6detail17trampoline_kernelINS0_14default_configENS1_27scan_by_key_config_selectorIitEEZZNS1_16scan_by_key_implILNS1_25lookback_scan_determinismE0ELb0ES3_N6thrust23THRUST_200600_302600_NS6detail15normal_iteratorINS9_10device_ptrIiEEEENSB_INSC_ItEEEESG_tNS9_4plusIvEENS9_8equal_toIvEEtEE10hipError_tPvRmT2_T3_T4_T5_mT6_T7_P12ihipStream_tbENKUlT_T0_E_clISt17integral_constantIbLb0EES11_EEDaSW_SX_EUlSW_E_NS1_11comp_targetILNS1_3genE9ELNS1_11target_archE1100ELNS1_3gpuE3ELNS1_3repE0EEENS1_30default_config_static_selectorELNS0_4arch9wavefront6targetE1EEEvT1_, .Lfunc_end1274-_ZN7rocprim17ROCPRIM_400000_NS6detail17trampoline_kernelINS0_14default_configENS1_27scan_by_key_config_selectorIitEEZZNS1_16scan_by_key_implILNS1_25lookback_scan_determinismE0ELb0ES3_N6thrust23THRUST_200600_302600_NS6detail15normal_iteratorINS9_10device_ptrIiEEEENSB_INSC_ItEEEESG_tNS9_4plusIvEENS9_8equal_toIvEEtEE10hipError_tPvRmT2_T3_T4_T5_mT6_T7_P12ihipStream_tbENKUlT_T0_E_clISt17integral_constantIbLb0EES11_EEDaSW_SX_EUlSW_E_NS1_11comp_targetILNS1_3genE9ELNS1_11target_archE1100ELNS1_3gpuE3ELNS1_3repE0EEENS1_30default_config_static_selectorELNS0_4arch9wavefront6targetE1EEEvT1_
                                        ; -- End function
	.section	.AMDGPU.csdata,"",@progbits
; Kernel info:
; codeLenInByte = 0
; NumSgprs: 4
; NumVgprs: 0
; NumAgprs: 0
; TotalNumVgprs: 0
; ScratchSize: 0
; MemoryBound: 0
; FloatMode: 240
; IeeeMode: 1
; LDSByteSize: 0 bytes/workgroup (compile time only)
; SGPRBlocks: 0
; VGPRBlocks: 0
; NumSGPRsForWavesPerEU: 4
; NumVGPRsForWavesPerEU: 1
; AccumOffset: 4
; Occupancy: 8
; WaveLimiterHint : 0
; COMPUTE_PGM_RSRC2:SCRATCH_EN: 0
; COMPUTE_PGM_RSRC2:USER_SGPR: 6
; COMPUTE_PGM_RSRC2:TRAP_HANDLER: 0
; COMPUTE_PGM_RSRC2:TGID_X_EN: 1
; COMPUTE_PGM_RSRC2:TGID_Y_EN: 0
; COMPUTE_PGM_RSRC2:TGID_Z_EN: 0
; COMPUTE_PGM_RSRC2:TIDIG_COMP_CNT: 0
; COMPUTE_PGM_RSRC3_GFX90A:ACCUM_OFFSET: 0
; COMPUTE_PGM_RSRC3_GFX90A:TG_SPLIT: 0
	.section	.text._ZN7rocprim17ROCPRIM_400000_NS6detail17trampoline_kernelINS0_14default_configENS1_27scan_by_key_config_selectorIitEEZZNS1_16scan_by_key_implILNS1_25lookback_scan_determinismE0ELb0ES3_N6thrust23THRUST_200600_302600_NS6detail15normal_iteratorINS9_10device_ptrIiEEEENSB_INSC_ItEEEESG_tNS9_4plusIvEENS9_8equal_toIvEEtEE10hipError_tPvRmT2_T3_T4_T5_mT6_T7_P12ihipStream_tbENKUlT_T0_E_clISt17integral_constantIbLb0EES11_EEDaSW_SX_EUlSW_E_NS1_11comp_targetILNS1_3genE8ELNS1_11target_archE1030ELNS1_3gpuE2ELNS1_3repE0EEENS1_30default_config_static_selectorELNS0_4arch9wavefront6targetE1EEEvT1_,"axG",@progbits,_ZN7rocprim17ROCPRIM_400000_NS6detail17trampoline_kernelINS0_14default_configENS1_27scan_by_key_config_selectorIitEEZZNS1_16scan_by_key_implILNS1_25lookback_scan_determinismE0ELb0ES3_N6thrust23THRUST_200600_302600_NS6detail15normal_iteratorINS9_10device_ptrIiEEEENSB_INSC_ItEEEESG_tNS9_4plusIvEENS9_8equal_toIvEEtEE10hipError_tPvRmT2_T3_T4_T5_mT6_T7_P12ihipStream_tbENKUlT_T0_E_clISt17integral_constantIbLb0EES11_EEDaSW_SX_EUlSW_E_NS1_11comp_targetILNS1_3genE8ELNS1_11target_archE1030ELNS1_3gpuE2ELNS1_3repE0EEENS1_30default_config_static_selectorELNS0_4arch9wavefront6targetE1EEEvT1_,comdat
	.protected	_ZN7rocprim17ROCPRIM_400000_NS6detail17trampoline_kernelINS0_14default_configENS1_27scan_by_key_config_selectorIitEEZZNS1_16scan_by_key_implILNS1_25lookback_scan_determinismE0ELb0ES3_N6thrust23THRUST_200600_302600_NS6detail15normal_iteratorINS9_10device_ptrIiEEEENSB_INSC_ItEEEESG_tNS9_4plusIvEENS9_8equal_toIvEEtEE10hipError_tPvRmT2_T3_T4_T5_mT6_T7_P12ihipStream_tbENKUlT_T0_E_clISt17integral_constantIbLb0EES11_EEDaSW_SX_EUlSW_E_NS1_11comp_targetILNS1_3genE8ELNS1_11target_archE1030ELNS1_3gpuE2ELNS1_3repE0EEENS1_30default_config_static_selectorELNS0_4arch9wavefront6targetE1EEEvT1_ ; -- Begin function _ZN7rocprim17ROCPRIM_400000_NS6detail17trampoline_kernelINS0_14default_configENS1_27scan_by_key_config_selectorIitEEZZNS1_16scan_by_key_implILNS1_25lookback_scan_determinismE0ELb0ES3_N6thrust23THRUST_200600_302600_NS6detail15normal_iteratorINS9_10device_ptrIiEEEENSB_INSC_ItEEEESG_tNS9_4plusIvEENS9_8equal_toIvEEtEE10hipError_tPvRmT2_T3_T4_T5_mT6_T7_P12ihipStream_tbENKUlT_T0_E_clISt17integral_constantIbLb0EES11_EEDaSW_SX_EUlSW_E_NS1_11comp_targetILNS1_3genE8ELNS1_11target_archE1030ELNS1_3gpuE2ELNS1_3repE0EEENS1_30default_config_static_selectorELNS0_4arch9wavefront6targetE1EEEvT1_
	.globl	_ZN7rocprim17ROCPRIM_400000_NS6detail17trampoline_kernelINS0_14default_configENS1_27scan_by_key_config_selectorIitEEZZNS1_16scan_by_key_implILNS1_25lookback_scan_determinismE0ELb0ES3_N6thrust23THRUST_200600_302600_NS6detail15normal_iteratorINS9_10device_ptrIiEEEENSB_INSC_ItEEEESG_tNS9_4plusIvEENS9_8equal_toIvEEtEE10hipError_tPvRmT2_T3_T4_T5_mT6_T7_P12ihipStream_tbENKUlT_T0_E_clISt17integral_constantIbLb0EES11_EEDaSW_SX_EUlSW_E_NS1_11comp_targetILNS1_3genE8ELNS1_11target_archE1030ELNS1_3gpuE2ELNS1_3repE0EEENS1_30default_config_static_selectorELNS0_4arch9wavefront6targetE1EEEvT1_
	.p2align	8
	.type	_ZN7rocprim17ROCPRIM_400000_NS6detail17trampoline_kernelINS0_14default_configENS1_27scan_by_key_config_selectorIitEEZZNS1_16scan_by_key_implILNS1_25lookback_scan_determinismE0ELb0ES3_N6thrust23THRUST_200600_302600_NS6detail15normal_iteratorINS9_10device_ptrIiEEEENSB_INSC_ItEEEESG_tNS9_4plusIvEENS9_8equal_toIvEEtEE10hipError_tPvRmT2_T3_T4_T5_mT6_T7_P12ihipStream_tbENKUlT_T0_E_clISt17integral_constantIbLb0EES11_EEDaSW_SX_EUlSW_E_NS1_11comp_targetILNS1_3genE8ELNS1_11target_archE1030ELNS1_3gpuE2ELNS1_3repE0EEENS1_30default_config_static_selectorELNS0_4arch9wavefront6targetE1EEEvT1_,@function
_ZN7rocprim17ROCPRIM_400000_NS6detail17trampoline_kernelINS0_14default_configENS1_27scan_by_key_config_selectorIitEEZZNS1_16scan_by_key_implILNS1_25lookback_scan_determinismE0ELb0ES3_N6thrust23THRUST_200600_302600_NS6detail15normal_iteratorINS9_10device_ptrIiEEEENSB_INSC_ItEEEESG_tNS9_4plusIvEENS9_8equal_toIvEEtEE10hipError_tPvRmT2_T3_T4_T5_mT6_T7_P12ihipStream_tbENKUlT_T0_E_clISt17integral_constantIbLb0EES11_EEDaSW_SX_EUlSW_E_NS1_11comp_targetILNS1_3genE8ELNS1_11target_archE1030ELNS1_3gpuE2ELNS1_3repE0EEENS1_30default_config_static_selectorELNS0_4arch9wavefront6targetE1EEEvT1_: ; @_ZN7rocprim17ROCPRIM_400000_NS6detail17trampoline_kernelINS0_14default_configENS1_27scan_by_key_config_selectorIitEEZZNS1_16scan_by_key_implILNS1_25lookback_scan_determinismE0ELb0ES3_N6thrust23THRUST_200600_302600_NS6detail15normal_iteratorINS9_10device_ptrIiEEEENSB_INSC_ItEEEESG_tNS9_4plusIvEENS9_8equal_toIvEEtEE10hipError_tPvRmT2_T3_T4_T5_mT6_T7_P12ihipStream_tbENKUlT_T0_E_clISt17integral_constantIbLb0EES11_EEDaSW_SX_EUlSW_E_NS1_11comp_targetILNS1_3genE8ELNS1_11target_archE1030ELNS1_3gpuE2ELNS1_3repE0EEENS1_30default_config_static_selectorELNS0_4arch9wavefront6targetE1EEEvT1_
; %bb.0:
	.section	.rodata,"a",@progbits
	.p2align	6, 0x0
	.amdhsa_kernel _ZN7rocprim17ROCPRIM_400000_NS6detail17trampoline_kernelINS0_14default_configENS1_27scan_by_key_config_selectorIitEEZZNS1_16scan_by_key_implILNS1_25lookback_scan_determinismE0ELb0ES3_N6thrust23THRUST_200600_302600_NS6detail15normal_iteratorINS9_10device_ptrIiEEEENSB_INSC_ItEEEESG_tNS9_4plusIvEENS9_8equal_toIvEEtEE10hipError_tPvRmT2_T3_T4_T5_mT6_T7_P12ihipStream_tbENKUlT_T0_E_clISt17integral_constantIbLb0EES11_EEDaSW_SX_EUlSW_E_NS1_11comp_targetILNS1_3genE8ELNS1_11target_archE1030ELNS1_3gpuE2ELNS1_3repE0EEENS1_30default_config_static_selectorELNS0_4arch9wavefront6targetE1EEEvT1_
		.amdhsa_group_segment_fixed_size 0
		.amdhsa_private_segment_fixed_size 0
		.amdhsa_kernarg_size 112
		.amdhsa_user_sgpr_count 6
		.amdhsa_user_sgpr_private_segment_buffer 1
		.amdhsa_user_sgpr_dispatch_ptr 0
		.amdhsa_user_sgpr_queue_ptr 0
		.amdhsa_user_sgpr_kernarg_segment_ptr 1
		.amdhsa_user_sgpr_dispatch_id 0
		.amdhsa_user_sgpr_flat_scratch_init 0
		.amdhsa_user_sgpr_kernarg_preload_length 0
		.amdhsa_user_sgpr_kernarg_preload_offset 0
		.amdhsa_user_sgpr_private_segment_size 0
		.amdhsa_uses_dynamic_stack 0
		.amdhsa_system_sgpr_private_segment_wavefront_offset 0
		.amdhsa_system_sgpr_workgroup_id_x 1
		.amdhsa_system_sgpr_workgroup_id_y 0
		.amdhsa_system_sgpr_workgroup_id_z 0
		.amdhsa_system_sgpr_workgroup_info 0
		.amdhsa_system_vgpr_workitem_id 0
		.amdhsa_next_free_vgpr 1
		.amdhsa_next_free_sgpr 0
		.amdhsa_accum_offset 4
		.amdhsa_reserve_vcc 0
		.amdhsa_reserve_flat_scratch 0
		.amdhsa_float_round_mode_32 0
		.amdhsa_float_round_mode_16_64 0
		.amdhsa_float_denorm_mode_32 3
		.amdhsa_float_denorm_mode_16_64 3
		.amdhsa_dx10_clamp 1
		.amdhsa_ieee_mode 1
		.amdhsa_fp16_overflow 0
		.amdhsa_tg_split 0
		.amdhsa_exception_fp_ieee_invalid_op 0
		.amdhsa_exception_fp_denorm_src 0
		.amdhsa_exception_fp_ieee_div_zero 0
		.amdhsa_exception_fp_ieee_overflow 0
		.amdhsa_exception_fp_ieee_underflow 0
		.amdhsa_exception_fp_ieee_inexact 0
		.amdhsa_exception_int_div_zero 0
	.end_amdhsa_kernel
	.section	.text._ZN7rocprim17ROCPRIM_400000_NS6detail17trampoline_kernelINS0_14default_configENS1_27scan_by_key_config_selectorIitEEZZNS1_16scan_by_key_implILNS1_25lookback_scan_determinismE0ELb0ES3_N6thrust23THRUST_200600_302600_NS6detail15normal_iteratorINS9_10device_ptrIiEEEENSB_INSC_ItEEEESG_tNS9_4plusIvEENS9_8equal_toIvEEtEE10hipError_tPvRmT2_T3_T4_T5_mT6_T7_P12ihipStream_tbENKUlT_T0_E_clISt17integral_constantIbLb0EES11_EEDaSW_SX_EUlSW_E_NS1_11comp_targetILNS1_3genE8ELNS1_11target_archE1030ELNS1_3gpuE2ELNS1_3repE0EEENS1_30default_config_static_selectorELNS0_4arch9wavefront6targetE1EEEvT1_,"axG",@progbits,_ZN7rocprim17ROCPRIM_400000_NS6detail17trampoline_kernelINS0_14default_configENS1_27scan_by_key_config_selectorIitEEZZNS1_16scan_by_key_implILNS1_25lookback_scan_determinismE0ELb0ES3_N6thrust23THRUST_200600_302600_NS6detail15normal_iteratorINS9_10device_ptrIiEEEENSB_INSC_ItEEEESG_tNS9_4plusIvEENS9_8equal_toIvEEtEE10hipError_tPvRmT2_T3_T4_T5_mT6_T7_P12ihipStream_tbENKUlT_T0_E_clISt17integral_constantIbLb0EES11_EEDaSW_SX_EUlSW_E_NS1_11comp_targetILNS1_3genE8ELNS1_11target_archE1030ELNS1_3gpuE2ELNS1_3repE0EEENS1_30default_config_static_selectorELNS0_4arch9wavefront6targetE1EEEvT1_,comdat
.Lfunc_end1275:
	.size	_ZN7rocprim17ROCPRIM_400000_NS6detail17trampoline_kernelINS0_14default_configENS1_27scan_by_key_config_selectorIitEEZZNS1_16scan_by_key_implILNS1_25lookback_scan_determinismE0ELb0ES3_N6thrust23THRUST_200600_302600_NS6detail15normal_iteratorINS9_10device_ptrIiEEEENSB_INSC_ItEEEESG_tNS9_4plusIvEENS9_8equal_toIvEEtEE10hipError_tPvRmT2_T3_T4_T5_mT6_T7_P12ihipStream_tbENKUlT_T0_E_clISt17integral_constantIbLb0EES11_EEDaSW_SX_EUlSW_E_NS1_11comp_targetILNS1_3genE8ELNS1_11target_archE1030ELNS1_3gpuE2ELNS1_3repE0EEENS1_30default_config_static_selectorELNS0_4arch9wavefront6targetE1EEEvT1_, .Lfunc_end1275-_ZN7rocprim17ROCPRIM_400000_NS6detail17trampoline_kernelINS0_14default_configENS1_27scan_by_key_config_selectorIitEEZZNS1_16scan_by_key_implILNS1_25lookback_scan_determinismE0ELb0ES3_N6thrust23THRUST_200600_302600_NS6detail15normal_iteratorINS9_10device_ptrIiEEEENSB_INSC_ItEEEESG_tNS9_4plusIvEENS9_8equal_toIvEEtEE10hipError_tPvRmT2_T3_T4_T5_mT6_T7_P12ihipStream_tbENKUlT_T0_E_clISt17integral_constantIbLb0EES11_EEDaSW_SX_EUlSW_E_NS1_11comp_targetILNS1_3genE8ELNS1_11target_archE1030ELNS1_3gpuE2ELNS1_3repE0EEENS1_30default_config_static_selectorELNS0_4arch9wavefront6targetE1EEEvT1_
                                        ; -- End function
	.section	.AMDGPU.csdata,"",@progbits
; Kernel info:
; codeLenInByte = 0
; NumSgprs: 4
; NumVgprs: 0
; NumAgprs: 0
; TotalNumVgprs: 0
; ScratchSize: 0
; MemoryBound: 0
; FloatMode: 240
; IeeeMode: 1
; LDSByteSize: 0 bytes/workgroup (compile time only)
; SGPRBlocks: 0
; VGPRBlocks: 0
; NumSGPRsForWavesPerEU: 4
; NumVGPRsForWavesPerEU: 1
; AccumOffset: 4
; Occupancy: 8
; WaveLimiterHint : 0
; COMPUTE_PGM_RSRC2:SCRATCH_EN: 0
; COMPUTE_PGM_RSRC2:USER_SGPR: 6
; COMPUTE_PGM_RSRC2:TRAP_HANDLER: 0
; COMPUTE_PGM_RSRC2:TGID_X_EN: 1
; COMPUTE_PGM_RSRC2:TGID_Y_EN: 0
; COMPUTE_PGM_RSRC2:TGID_Z_EN: 0
; COMPUTE_PGM_RSRC2:TIDIG_COMP_CNT: 0
; COMPUTE_PGM_RSRC3_GFX90A:ACCUM_OFFSET: 0
; COMPUTE_PGM_RSRC3_GFX90A:TG_SPLIT: 0
	.section	.text._ZN7rocprim17ROCPRIM_400000_NS6detail30init_device_scan_by_key_kernelINS1_19lookback_scan_stateINS0_5tupleIJtbEEELb1ELb1EEEN6thrust23THRUST_200600_302600_NS6detail15normal_iteratorINS8_10device_ptrIiEEEEjNS1_16block_id_wrapperIjLb1EEEEEvT_jjPNSG_10value_typeET0_PNSt15iterator_traitsISJ_E10value_typeEmT1_T2_,"axG",@progbits,_ZN7rocprim17ROCPRIM_400000_NS6detail30init_device_scan_by_key_kernelINS1_19lookback_scan_stateINS0_5tupleIJtbEEELb1ELb1EEEN6thrust23THRUST_200600_302600_NS6detail15normal_iteratorINS8_10device_ptrIiEEEEjNS1_16block_id_wrapperIjLb1EEEEEvT_jjPNSG_10value_typeET0_PNSt15iterator_traitsISJ_E10value_typeEmT1_T2_,comdat
	.protected	_ZN7rocprim17ROCPRIM_400000_NS6detail30init_device_scan_by_key_kernelINS1_19lookback_scan_stateINS0_5tupleIJtbEEELb1ELb1EEEN6thrust23THRUST_200600_302600_NS6detail15normal_iteratorINS8_10device_ptrIiEEEEjNS1_16block_id_wrapperIjLb1EEEEEvT_jjPNSG_10value_typeET0_PNSt15iterator_traitsISJ_E10value_typeEmT1_T2_ ; -- Begin function _ZN7rocprim17ROCPRIM_400000_NS6detail30init_device_scan_by_key_kernelINS1_19lookback_scan_stateINS0_5tupleIJtbEEELb1ELb1EEEN6thrust23THRUST_200600_302600_NS6detail15normal_iteratorINS8_10device_ptrIiEEEEjNS1_16block_id_wrapperIjLb1EEEEEvT_jjPNSG_10value_typeET0_PNSt15iterator_traitsISJ_E10value_typeEmT1_T2_
	.globl	_ZN7rocprim17ROCPRIM_400000_NS6detail30init_device_scan_by_key_kernelINS1_19lookback_scan_stateINS0_5tupleIJtbEEELb1ELb1EEEN6thrust23THRUST_200600_302600_NS6detail15normal_iteratorINS8_10device_ptrIiEEEEjNS1_16block_id_wrapperIjLb1EEEEEvT_jjPNSG_10value_typeET0_PNSt15iterator_traitsISJ_E10value_typeEmT1_T2_
	.p2align	8
	.type	_ZN7rocprim17ROCPRIM_400000_NS6detail30init_device_scan_by_key_kernelINS1_19lookback_scan_stateINS0_5tupleIJtbEEELb1ELb1EEEN6thrust23THRUST_200600_302600_NS6detail15normal_iteratorINS8_10device_ptrIiEEEEjNS1_16block_id_wrapperIjLb1EEEEEvT_jjPNSG_10value_typeET0_PNSt15iterator_traitsISJ_E10value_typeEmT1_T2_,@function
_ZN7rocprim17ROCPRIM_400000_NS6detail30init_device_scan_by_key_kernelINS1_19lookback_scan_stateINS0_5tupleIJtbEEELb1ELb1EEEN6thrust23THRUST_200600_302600_NS6detail15normal_iteratorINS8_10device_ptrIiEEEEjNS1_16block_id_wrapperIjLb1EEEEEvT_jjPNSG_10value_typeET0_PNSt15iterator_traitsISJ_E10value_typeEmT1_T2_: ; @_ZN7rocprim17ROCPRIM_400000_NS6detail30init_device_scan_by_key_kernelINS1_19lookback_scan_stateINS0_5tupleIJtbEEELb1ELb1EEEN6thrust23THRUST_200600_302600_NS6detail15normal_iteratorINS8_10device_ptrIiEEEEjNS1_16block_id_wrapperIjLb1EEEEEvT_jjPNSG_10value_typeET0_PNSt15iterator_traitsISJ_E10value_typeEmT1_T2_
; %bb.0:
	s_load_dword s0, s[4:5], 0x4c
	s_load_dwordx8 s[8:15], s[4:5], 0x0
	s_load_dword s7, s[4:5], 0x40
	s_waitcnt lgkmcnt(0)
	s_and_b32 s16, s0, 0xffff
	s_mul_i32 s6, s6, s16
	s_cmp_eq_u64 s[12:13], 0
	v_add_u32_e32 v0, s6, v0
	s_cbranch_scc1 .LBB1276_9
; %bb.1:
	s_cmp_lt_u32 s11, s10
	s_cselect_b32 s0, s11, 0
	s_mov_b32 s3, 0
	v_cmp_eq_u32_e32 vcc, s0, v0
	s_and_saveexec_b64 s[0:1], vcc
	s_cbranch_execz .LBB1276_8
; %bb.2:
	s_add_i32 s2, s11, 64
	s_lshl_b64 s[2:3], s[2:3], 3
	s_add_u32 s2, s8, s2
	s_addc_u32 s3, s9, s3
	v_mov_b32_e32 v2, 0
	global_load_dwordx2 v[4:5], v2, s[2:3] glc
	s_waitcnt vmcnt(0)
	v_and_b32_e32 v3, 0xff, v5
	v_cmp_ne_u64_e32 vcc, 0, v[2:3]
	s_cbranch_vccnz .LBB1276_7
; %bb.3:
	s_mov_b32 s6, 1
.LBB1276_4:                             ; =>This Loop Header: Depth=1
                                        ;     Child Loop BB1276_5 Depth 2
	s_max_u32 s11, s6, 1
.LBB1276_5:                             ;   Parent Loop BB1276_4 Depth=1
                                        ; =>  This Inner Loop Header: Depth=2
	s_add_i32 s11, s11, -1
	s_cmp_eq_u32 s11, 0
	s_sleep 1
	s_cbranch_scc0 .LBB1276_5
; %bb.6:                                ;   in Loop: Header=BB1276_4 Depth=1
	global_load_dwordx2 v[4:5], v2, s[2:3] glc
	s_cmp_lt_u32 s6, 32
	s_cselect_b64 s[18:19], -1, 0
	s_cmp_lg_u64 s[18:19], 0
	s_addc_u32 s6, s6, 0
	s_waitcnt vmcnt(0)
	v_and_b32_e32 v3, 0xff, v5
	v_cmp_ne_u64_e32 vcc, 0, v[2:3]
	s_cbranch_vccz .LBB1276_4
.LBB1276_7:
	v_mov_b32_e32 v1, 0
	global_store_short v1, v4, s[12:13]
	global_store_byte_d16_hi v1, v4, s[12:13] offset:2
.LBB1276_8:
	s_or_b64 exec, exec, s[0:1]
.LBB1276_9:
	v_cmp_eq_u32_e32 vcc, 0, v0
	s_and_saveexec_b64 s[0:1], vcc
	s_cbranch_execz .LBB1276_11
; %bb.10:
	s_load_dwordx2 s[2:3], s[4:5], 0x38
	v_mov_b32_e32 v1, 0
	s_waitcnt lgkmcnt(0)
	global_store_dword v1, v1, s[2:3]
.LBB1276_11:
	s_or_b64 exec, exec, s[0:1]
	v_cmp_gt_u32_e32 vcc, s10, v0
	s_and_saveexec_b64 s[0:1], vcc
	s_cbranch_execz .LBB1276_13
; %bb.12:
	v_add_u32_e32 v2, 64, v0
	v_mov_b32_e32 v3, 0
	v_lshlrev_b64 v[4:5], 3, v[2:3]
	v_mov_b32_e32 v1, s9
	v_add_co_u32_e32 v4, vcc, s8, v4
	v_addc_co_u32_e32 v5, vcc, v1, v5, vcc
	v_mov_b32_e32 v2, v3
	global_store_dwordx2 v[4:5], v[2:3], off
.LBB1276_13:
	s_or_b64 exec, exec, s[0:1]
	v_cmp_gt_u32_e32 vcc, 64, v0
	v_mov_b32_e32 v1, 0
	s_and_saveexec_b64 s[0:1], vcc
	s_cbranch_execz .LBB1276_15
; %bb.14:
	v_lshlrev_b64 v[2:3], 3, v[0:1]
	v_mov_b32_e32 v4, s9
	v_add_co_u32_e32 v2, vcc, s8, v2
	v_addc_co_u32_e32 v3, vcc, v4, v3, vcc
	v_mov_b32_e32 v5, 0xff
	v_mov_b32_e32 v4, v1
	global_store_dwordx2 v[2:3], v[4:5], off
.LBB1276_15:
	s_or_b64 exec, exec, s[0:1]
	s_load_dwordx2 s[0:1], s[4:5], 0x28
	s_waitcnt lgkmcnt(0)
	v_cmp_gt_u64_e32 vcc, s[0:1], v[0:1]
	s_and_saveexec_b64 s[2:3], vcc
	s_cbranch_execz .LBB1276_18
; %bb.16:
	s_load_dword s10, s[4:5], 0x30
	s_load_dwordx2 s[8:9], s[4:5], 0x20
	s_mov_b32 s5, 0
	s_mov_b32 s3, s5
	s_mul_i32 s2, s7, s16
	s_waitcnt lgkmcnt(0)
	s_add_i32 s4, s10, -1
	s_lshl_b64 s[4:5], s[4:5], 2
	v_mad_u64_u32 v[2:3], s[6:7], s10, v0, 0
	s_add_u32 s4, s14, s4
	v_lshlrev_b64 v[2:3], 2, v[2:3]
	s_addc_u32 s5, s15, s5
	v_mov_b32_e32 v4, s5
	v_add_co_u32_e32 v2, vcc, s4, v2
	v_addc_co_u32_e32 v3, vcc, v4, v3, vcc
	s_mul_hi_u32 s5, s10, s2
	s_mul_i32 s4, s10, s2
	v_lshlrev_b64 v[4:5], 2, v[0:1]
	s_lshl_b64 s[4:5], s[4:5], 2
	v_mov_b32_e32 v6, s9
	v_add_co_u32_e32 v4, vcc, s8, v4
	s_lshl_b64 s[6:7], s[2:3], 2
	v_addc_co_u32_e32 v5, vcc, v6, v5, vcc
	s_mov_b64 s[8:9], 0
	v_mov_b32_e32 v6, s3
	v_mov_b32_e32 v7, s5
	;; [unrolled: 1-line block ×3, first 2 shown]
.LBB1276_17:                            ; =>This Inner Loop Header: Depth=1
	global_load_dword v9, v[2:3], off
	v_add_co_u32_e32 v0, vcc, s2, v0
	v_addc_co_u32_e32 v1, vcc, v1, v6, vcc
	v_add_co_u32_e32 v2, vcc, s4, v2
	v_addc_co_u32_e32 v3, vcc, v3, v7, vcc
	v_cmp_le_u64_e32 vcc, s[0:1], v[0:1]
	s_or_b64 s[8:9], vcc, s[8:9]
	s_waitcnt vmcnt(0)
	global_store_dword v[4:5], v9, off
	v_add_co_u32_e32 v4, vcc, s6, v4
	v_addc_co_u32_e32 v5, vcc, v5, v8, vcc
	s_andn2_b64 exec, exec, s[8:9]
	s_cbranch_execnz .LBB1276_17
.LBB1276_18:
	s_endpgm
	.section	.rodata,"a",@progbits
	.p2align	6, 0x0
	.amdhsa_kernel _ZN7rocprim17ROCPRIM_400000_NS6detail30init_device_scan_by_key_kernelINS1_19lookback_scan_stateINS0_5tupleIJtbEEELb1ELb1EEEN6thrust23THRUST_200600_302600_NS6detail15normal_iteratorINS8_10device_ptrIiEEEEjNS1_16block_id_wrapperIjLb1EEEEEvT_jjPNSG_10value_typeET0_PNSt15iterator_traitsISJ_E10value_typeEmT1_T2_
		.amdhsa_group_segment_fixed_size 0
		.amdhsa_private_segment_fixed_size 0
		.amdhsa_kernarg_size 320
		.amdhsa_user_sgpr_count 6
		.amdhsa_user_sgpr_private_segment_buffer 1
		.amdhsa_user_sgpr_dispatch_ptr 0
		.amdhsa_user_sgpr_queue_ptr 0
		.amdhsa_user_sgpr_kernarg_segment_ptr 1
		.amdhsa_user_sgpr_dispatch_id 0
		.amdhsa_user_sgpr_flat_scratch_init 0
		.amdhsa_user_sgpr_kernarg_preload_length 0
		.amdhsa_user_sgpr_kernarg_preload_offset 0
		.amdhsa_user_sgpr_private_segment_size 0
		.amdhsa_uses_dynamic_stack 0
		.amdhsa_system_sgpr_private_segment_wavefront_offset 0
		.amdhsa_system_sgpr_workgroup_id_x 1
		.amdhsa_system_sgpr_workgroup_id_y 0
		.amdhsa_system_sgpr_workgroup_id_z 0
		.amdhsa_system_sgpr_workgroup_info 0
		.amdhsa_system_vgpr_workitem_id 0
		.amdhsa_next_free_vgpr 10
		.amdhsa_next_free_sgpr 20
		.amdhsa_accum_offset 12
		.amdhsa_reserve_vcc 1
		.amdhsa_reserve_flat_scratch 0
		.amdhsa_float_round_mode_32 0
		.amdhsa_float_round_mode_16_64 0
		.amdhsa_float_denorm_mode_32 3
		.amdhsa_float_denorm_mode_16_64 3
		.amdhsa_dx10_clamp 1
		.amdhsa_ieee_mode 1
		.amdhsa_fp16_overflow 0
		.amdhsa_tg_split 0
		.amdhsa_exception_fp_ieee_invalid_op 0
		.amdhsa_exception_fp_denorm_src 0
		.amdhsa_exception_fp_ieee_div_zero 0
		.amdhsa_exception_fp_ieee_overflow 0
		.amdhsa_exception_fp_ieee_underflow 0
		.amdhsa_exception_fp_ieee_inexact 0
		.amdhsa_exception_int_div_zero 0
	.end_amdhsa_kernel
	.section	.text._ZN7rocprim17ROCPRIM_400000_NS6detail30init_device_scan_by_key_kernelINS1_19lookback_scan_stateINS0_5tupleIJtbEEELb1ELb1EEEN6thrust23THRUST_200600_302600_NS6detail15normal_iteratorINS8_10device_ptrIiEEEEjNS1_16block_id_wrapperIjLb1EEEEEvT_jjPNSG_10value_typeET0_PNSt15iterator_traitsISJ_E10value_typeEmT1_T2_,"axG",@progbits,_ZN7rocprim17ROCPRIM_400000_NS6detail30init_device_scan_by_key_kernelINS1_19lookback_scan_stateINS0_5tupleIJtbEEELb1ELb1EEEN6thrust23THRUST_200600_302600_NS6detail15normal_iteratorINS8_10device_ptrIiEEEEjNS1_16block_id_wrapperIjLb1EEEEEvT_jjPNSG_10value_typeET0_PNSt15iterator_traitsISJ_E10value_typeEmT1_T2_,comdat
.Lfunc_end1276:
	.size	_ZN7rocprim17ROCPRIM_400000_NS6detail30init_device_scan_by_key_kernelINS1_19lookback_scan_stateINS0_5tupleIJtbEEELb1ELb1EEEN6thrust23THRUST_200600_302600_NS6detail15normal_iteratorINS8_10device_ptrIiEEEEjNS1_16block_id_wrapperIjLb1EEEEEvT_jjPNSG_10value_typeET0_PNSt15iterator_traitsISJ_E10value_typeEmT1_T2_, .Lfunc_end1276-_ZN7rocprim17ROCPRIM_400000_NS6detail30init_device_scan_by_key_kernelINS1_19lookback_scan_stateINS0_5tupleIJtbEEELb1ELb1EEEN6thrust23THRUST_200600_302600_NS6detail15normal_iteratorINS8_10device_ptrIiEEEEjNS1_16block_id_wrapperIjLb1EEEEEvT_jjPNSG_10value_typeET0_PNSt15iterator_traitsISJ_E10value_typeEmT1_T2_
                                        ; -- End function
	.section	.AMDGPU.csdata,"",@progbits
; Kernel info:
; codeLenInByte = 588
; NumSgprs: 24
; NumVgprs: 10
; NumAgprs: 0
; TotalNumVgprs: 10
; ScratchSize: 0
; MemoryBound: 0
; FloatMode: 240
; IeeeMode: 1
; LDSByteSize: 0 bytes/workgroup (compile time only)
; SGPRBlocks: 2
; VGPRBlocks: 1
; NumSGPRsForWavesPerEU: 24
; NumVGPRsForWavesPerEU: 10
; AccumOffset: 12
; Occupancy: 8
; WaveLimiterHint : 0
; COMPUTE_PGM_RSRC2:SCRATCH_EN: 0
; COMPUTE_PGM_RSRC2:USER_SGPR: 6
; COMPUTE_PGM_RSRC2:TRAP_HANDLER: 0
; COMPUTE_PGM_RSRC2:TGID_X_EN: 1
; COMPUTE_PGM_RSRC2:TGID_Y_EN: 0
; COMPUTE_PGM_RSRC2:TGID_Z_EN: 0
; COMPUTE_PGM_RSRC2:TIDIG_COMP_CNT: 0
; COMPUTE_PGM_RSRC3_GFX90A:ACCUM_OFFSET: 2
; COMPUTE_PGM_RSRC3_GFX90A:TG_SPLIT: 0
	.section	.text._ZN7rocprim17ROCPRIM_400000_NS6detail30init_device_scan_by_key_kernelINS1_19lookback_scan_stateINS0_5tupleIJtbEEELb1ELb1EEENS1_16block_id_wrapperIjLb1EEEEEvT_jjPNS9_10value_typeET0_,"axG",@progbits,_ZN7rocprim17ROCPRIM_400000_NS6detail30init_device_scan_by_key_kernelINS1_19lookback_scan_stateINS0_5tupleIJtbEEELb1ELb1EEENS1_16block_id_wrapperIjLb1EEEEEvT_jjPNS9_10value_typeET0_,comdat
	.protected	_ZN7rocprim17ROCPRIM_400000_NS6detail30init_device_scan_by_key_kernelINS1_19lookback_scan_stateINS0_5tupleIJtbEEELb1ELb1EEENS1_16block_id_wrapperIjLb1EEEEEvT_jjPNS9_10value_typeET0_ ; -- Begin function _ZN7rocprim17ROCPRIM_400000_NS6detail30init_device_scan_by_key_kernelINS1_19lookback_scan_stateINS0_5tupleIJtbEEELb1ELb1EEENS1_16block_id_wrapperIjLb1EEEEEvT_jjPNS9_10value_typeET0_
	.globl	_ZN7rocprim17ROCPRIM_400000_NS6detail30init_device_scan_by_key_kernelINS1_19lookback_scan_stateINS0_5tupleIJtbEEELb1ELb1EEENS1_16block_id_wrapperIjLb1EEEEEvT_jjPNS9_10value_typeET0_
	.p2align	8
	.type	_ZN7rocprim17ROCPRIM_400000_NS6detail30init_device_scan_by_key_kernelINS1_19lookback_scan_stateINS0_5tupleIJtbEEELb1ELb1EEENS1_16block_id_wrapperIjLb1EEEEEvT_jjPNS9_10value_typeET0_,@function
_ZN7rocprim17ROCPRIM_400000_NS6detail30init_device_scan_by_key_kernelINS1_19lookback_scan_stateINS0_5tupleIJtbEEELb1ELb1EEENS1_16block_id_wrapperIjLb1EEEEEvT_jjPNS9_10value_typeET0_: ; @_ZN7rocprim17ROCPRIM_400000_NS6detail30init_device_scan_by_key_kernelINS1_19lookback_scan_stateINS0_5tupleIJtbEEELb1ELb1EEENS1_16block_id_wrapperIjLb1EEEEEvT_jjPNS9_10value_typeET0_
; %bb.0:
	s_load_dword s0, s[4:5], 0x2c
	s_load_dwordx8 s[8:15], s[4:5], 0x0
	s_waitcnt lgkmcnt(0)
	s_and_b32 s0, s0, 0xffff
	s_mul_i32 s6, s6, s0
	s_cmp_eq_u64 s[12:13], 0
	v_add_u32_e32 v0, s6, v0
	s_cbranch_scc1 .LBB1277_9
; %bb.1:
	s_cmp_lt_u32 s11, s10
	s_cselect_b32 s0, s11, 0
	s_mov_b32 s3, 0
	v_cmp_eq_u32_e32 vcc, s0, v0
	s_and_saveexec_b64 s[0:1], vcc
	s_cbranch_execz .LBB1277_8
; %bb.2:
	s_add_i32 s2, s11, 64
	s_lshl_b64 s[2:3], s[2:3], 3
	s_add_u32 s2, s8, s2
	s_addc_u32 s3, s9, s3
	v_mov_b32_e32 v2, 0
	global_load_dwordx2 v[4:5], v2, s[2:3] glc
	s_waitcnt vmcnt(0)
	v_and_b32_e32 v3, 0xff, v5
	v_cmp_ne_u64_e32 vcc, 0, v[2:3]
	s_cbranch_vccnz .LBB1277_7
; %bb.3:
	s_mov_b32 s4, 1
.LBB1277_4:                             ; =>This Loop Header: Depth=1
                                        ;     Child Loop BB1277_5 Depth 2
	s_max_u32 s5, s4, 1
.LBB1277_5:                             ;   Parent Loop BB1277_4 Depth=1
                                        ; =>  This Inner Loop Header: Depth=2
	s_add_i32 s5, s5, -1
	s_cmp_eq_u32 s5, 0
	s_sleep 1
	s_cbranch_scc0 .LBB1277_5
; %bb.6:                                ;   in Loop: Header=BB1277_4 Depth=1
	global_load_dwordx2 v[4:5], v2, s[2:3] glc
	s_cmp_lt_u32 s4, 32
	s_cselect_b64 s[6:7], -1, 0
	s_cmp_lg_u64 s[6:7], 0
	s_addc_u32 s4, s4, 0
	s_waitcnt vmcnt(0)
	v_and_b32_e32 v3, 0xff, v5
	v_cmp_ne_u64_e32 vcc, 0, v[2:3]
	s_cbranch_vccz .LBB1277_4
.LBB1277_7:
	v_mov_b32_e32 v1, 0
	global_store_short v1, v4, s[12:13]
	global_store_byte_d16_hi v1, v4, s[12:13] offset:2
.LBB1277_8:
	s_or_b64 exec, exec, s[0:1]
.LBB1277_9:
	v_cmp_eq_u32_e32 vcc, 0, v0
	s_and_saveexec_b64 s[0:1], vcc
	s_cbranch_execnz .LBB1277_13
; %bb.10:
	s_or_b64 exec, exec, s[0:1]
	v_cmp_gt_u32_e32 vcc, s10, v0
	s_and_saveexec_b64 s[0:1], vcc
	s_cbranch_execnz .LBB1277_14
.LBB1277_11:
	s_or_b64 exec, exec, s[0:1]
	v_cmp_gt_u32_e32 vcc, 64, v0
	s_and_saveexec_b64 s[0:1], vcc
	s_cbranch_execnz .LBB1277_15
.LBB1277_12:
	s_endpgm
.LBB1277_13:
	v_mov_b32_e32 v1, 0
	global_store_dword v1, v1, s[14:15]
	s_or_b64 exec, exec, s[0:1]
	v_cmp_gt_u32_e32 vcc, s10, v0
	s_and_saveexec_b64 s[0:1], vcc
	s_cbranch_execz .LBB1277_11
.LBB1277_14:
	v_add_u32_e32 v2, 64, v0
	v_mov_b32_e32 v3, 0
	v_lshlrev_b64 v[4:5], 3, v[2:3]
	v_mov_b32_e32 v1, s9
	v_add_co_u32_e32 v4, vcc, s8, v4
	v_addc_co_u32_e32 v5, vcc, v1, v5, vcc
	v_mov_b32_e32 v2, v3
	global_store_dwordx2 v[4:5], v[2:3], off
	s_or_b64 exec, exec, s[0:1]
	v_cmp_gt_u32_e32 vcc, 64, v0
	s_and_saveexec_b64 s[0:1], vcc
	s_cbranch_execz .LBB1277_12
.LBB1277_15:
	v_mov_b32_e32 v1, 0
	v_lshlrev_b64 v[2:3], 3, v[0:1]
	v_mov_b32_e32 v0, s9
	v_add_co_u32_e32 v2, vcc, s8, v2
	v_addc_co_u32_e32 v3, vcc, v0, v3, vcc
	v_mov_b32_e32 v5, 0xff
	v_mov_b32_e32 v4, v1
	global_store_dwordx2 v[2:3], v[4:5], off
	s_endpgm
	.section	.rodata,"a",@progbits
	.p2align	6, 0x0
	.amdhsa_kernel _ZN7rocprim17ROCPRIM_400000_NS6detail30init_device_scan_by_key_kernelINS1_19lookback_scan_stateINS0_5tupleIJtbEEELb1ELb1EEENS1_16block_id_wrapperIjLb1EEEEEvT_jjPNS9_10value_typeET0_
		.amdhsa_group_segment_fixed_size 0
		.amdhsa_private_segment_fixed_size 0
		.amdhsa_kernarg_size 288
		.amdhsa_user_sgpr_count 6
		.amdhsa_user_sgpr_private_segment_buffer 1
		.amdhsa_user_sgpr_dispatch_ptr 0
		.amdhsa_user_sgpr_queue_ptr 0
		.amdhsa_user_sgpr_kernarg_segment_ptr 1
		.amdhsa_user_sgpr_dispatch_id 0
		.amdhsa_user_sgpr_flat_scratch_init 0
		.amdhsa_user_sgpr_kernarg_preload_length 0
		.amdhsa_user_sgpr_kernarg_preload_offset 0
		.amdhsa_user_sgpr_private_segment_size 0
		.amdhsa_uses_dynamic_stack 0
		.amdhsa_system_sgpr_private_segment_wavefront_offset 0
		.amdhsa_system_sgpr_workgroup_id_x 1
		.amdhsa_system_sgpr_workgroup_id_y 0
		.amdhsa_system_sgpr_workgroup_id_z 0
		.amdhsa_system_sgpr_workgroup_info 0
		.amdhsa_system_vgpr_workitem_id 0
		.amdhsa_next_free_vgpr 6
		.amdhsa_next_free_sgpr 16
		.amdhsa_accum_offset 8
		.amdhsa_reserve_vcc 1
		.amdhsa_reserve_flat_scratch 0
		.amdhsa_float_round_mode_32 0
		.amdhsa_float_round_mode_16_64 0
		.amdhsa_float_denorm_mode_32 3
		.amdhsa_float_denorm_mode_16_64 3
		.amdhsa_dx10_clamp 1
		.amdhsa_ieee_mode 1
		.amdhsa_fp16_overflow 0
		.amdhsa_tg_split 0
		.amdhsa_exception_fp_ieee_invalid_op 0
		.amdhsa_exception_fp_denorm_src 0
		.amdhsa_exception_fp_ieee_div_zero 0
		.amdhsa_exception_fp_ieee_overflow 0
		.amdhsa_exception_fp_ieee_underflow 0
		.amdhsa_exception_fp_ieee_inexact 0
		.amdhsa_exception_int_div_zero 0
	.end_amdhsa_kernel
	.section	.text._ZN7rocprim17ROCPRIM_400000_NS6detail30init_device_scan_by_key_kernelINS1_19lookback_scan_stateINS0_5tupleIJtbEEELb1ELb1EEENS1_16block_id_wrapperIjLb1EEEEEvT_jjPNS9_10value_typeET0_,"axG",@progbits,_ZN7rocprim17ROCPRIM_400000_NS6detail30init_device_scan_by_key_kernelINS1_19lookback_scan_stateINS0_5tupleIJtbEEELb1ELb1EEENS1_16block_id_wrapperIjLb1EEEEEvT_jjPNS9_10value_typeET0_,comdat
.Lfunc_end1277:
	.size	_ZN7rocprim17ROCPRIM_400000_NS6detail30init_device_scan_by_key_kernelINS1_19lookback_scan_stateINS0_5tupleIJtbEEELb1ELb1EEENS1_16block_id_wrapperIjLb1EEEEEvT_jjPNS9_10value_typeET0_, .Lfunc_end1277-_ZN7rocprim17ROCPRIM_400000_NS6detail30init_device_scan_by_key_kernelINS1_19lookback_scan_stateINS0_5tupleIJtbEEELb1ELb1EEENS1_16block_id_wrapperIjLb1EEEEEvT_jjPNS9_10value_typeET0_
                                        ; -- End function
	.section	.AMDGPU.csdata,"",@progbits
; Kernel info:
; codeLenInByte = 388
; NumSgprs: 20
; NumVgprs: 6
; NumAgprs: 0
; TotalNumVgprs: 6
; ScratchSize: 0
; MemoryBound: 0
; FloatMode: 240
; IeeeMode: 1
; LDSByteSize: 0 bytes/workgroup (compile time only)
; SGPRBlocks: 2
; VGPRBlocks: 0
; NumSGPRsForWavesPerEU: 20
; NumVGPRsForWavesPerEU: 6
; AccumOffset: 8
; Occupancy: 8
; WaveLimiterHint : 0
; COMPUTE_PGM_RSRC2:SCRATCH_EN: 0
; COMPUTE_PGM_RSRC2:USER_SGPR: 6
; COMPUTE_PGM_RSRC2:TRAP_HANDLER: 0
; COMPUTE_PGM_RSRC2:TGID_X_EN: 1
; COMPUTE_PGM_RSRC2:TGID_Y_EN: 0
; COMPUTE_PGM_RSRC2:TGID_Z_EN: 0
; COMPUTE_PGM_RSRC2:TIDIG_COMP_CNT: 0
; COMPUTE_PGM_RSRC3_GFX90A:ACCUM_OFFSET: 1
; COMPUTE_PGM_RSRC3_GFX90A:TG_SPLIT: 0
	.section	.text._ZN7rocprim17ROCPRIM_400000_NS6detail17trampoline_kernelINS0_14default_configENS1_27scan_by_key_config_selectorIitEEZZNS1_16scan_by_key_implILNS1_25lookback_scan_determinismE0ELb0ES3_N6thrust23THRUST_200600_302600_NS6detail15normal_iteratorINS9_10device_ptrIiEEEENSB_INSC_ItEEEESG_tNS9_4plusIvEENS9_8equal_toIvEEtEE10hipError_tPvRmT2_T3_T4_T5_mT6_T7_P12ihipStream_tbENKUlT_T0_E_clISt17integral_constantIbLb1EES11_EEDaSW_SX_EUlSW_E_NS1_11comp_targetILNS1_3genE0ELNS1_11target_archE4294967295ELNS1_3gpuE0ELNS1_3repE0EEENS1_30default_config_static_selectorELNS0_4arch9wavefront6targetE1EEEvT1_,"axG",@progbits,_ZN7rocprim17ROCPRIM_400000_NS6detail17trampoline_kernelINS0_14default_configENS1_27scan_by_key_config_selectorIitEEZZNS1_16scan_by_key_implILNS1_25lookback_scan_determinismE0ELb0ES3_N6thrust23THRUST_200600_302600_NS6detail15normal_iteratorINS9_10device_ptrIiEEEENSB_INSC_ItEEEESG_tNS9_4plusIvEENS9_8equal_toIvEEtEE10hipError_tPvRmT2_T3_T4_T5_mT6_T7_P12ihipStream_tbENKUlT_T0_E_clISt17integral_constantIbLb1EES11_EEDaSW_SX_EUlSW_E_NS1_11comp_targetILNS1_3genE0ELNS1_11target_archE4294967295ELNS1_3gpuE0ELNS1_3repE0EEENS1_30default_config_static_selectorELNS0_4arch9wavefront6targetE1EEEvT1_,comdat
	.protected	_ZN7rocprim17ROCPRIM_400000_NS6detail17trampoline_kernelINS0_14default_configENS1_27scan_by_key_config_selectorIitEEZZNS1_16scan_by_key_implILNS1_25lookback_scan_determinismE0ELb0ES3_N6thrust23THRUST_200600_302600_NS6detail15normal_iteratorINS9_10device_ptrIiEEEENSB_INSC_ItEEEESG_tNS9_4plusIvEENS9_8equal_toIvEEtEE10hipError_tPvRmT2_T3_T4_T5_mT6_T7_P12ihipStream_tbENKUlT_T0_E_clISt17integral_constantIbLb1EES11_EEDaSW_SX_EUlSW_E_NS1_11comp_targetILNS1_3genE0ELNS1_11target_archE4294967295ELNS1_3gpuE0ELNS1_3repE0EEENS1_30default_config_static_selectorELNS0_4arch9wavefront6targetE1EEEvT1_ ; -- Begin function _ZN7rocprim17ROCPRIM_400000_NS6detail17trampoline_kernelINS0_14default_configENS1_27scan_by_key_config_selectorIitEEZZNS1_16scan_by_key_implILNS1_25lookback_scan_determinismE0ELb0ES3_N6thrust23THRUST_200600_302600_NS6detail15normal_iteratorINS9_10device_ptrIiEEEENSB_INSC_ItEEEESG_tNS9_4plusIvEENS9_8equal_toIvEEtEE10hipError_tPvRmT2_T3_T4_T5_mT6_T7_P12ihipStream_tbENKUlT_T0_E_clISt17integral_constantIbLb1EES11_EEDaSW_SX_EUlSW_E_NS1_11comp_targetILNS1_3genE0ELNS1_11target_archE4294967295ELNS1_3gpuE0ELNS1_3repE0EEENS1_30default_config_static_selectorELNS0_4arch9wavefront6targetE1EEEvT1_
	.globl	_ZN7rocprim17ROCPRIM_400000_NS6detail17trampoline_kernelINS0_14default_configENS1_27scan_by_key_config_selectorIitEEZZNS1_16scan_by_key_implILNS1_25lookback_scan_determinismE0ELb0ES3_N6thrust23THRUST_200600_302600_NS6detail15normal_iteratorINS9_10device_ptrIiEEEENSB_INSC_ItEEEESG_tNS9_4plusIvEENS9_8equal_toIvEEtEE10hipError_tPvRmT2_T3_T4_T5_mT6_T7_P12ihipStream_tbENKUlT_T0_E_clISt17integral_constantIbLb1EES11_EEDaSW_SX_EUlSW_E_NS1_11comp_targetILNS1_3genE0ELNS1_11target_archE4294967295ELNS1_3gpuE0ELNS1_3repE0EEENS1_30default_config_static_selectorELNS0_4arch9wavefront6targetE1EEEvT1_
	.p2align	8
	.type	_ZN7rocprim17ROCPRIM_400000_NS6detail17trampoline_kernelINS0_14default_configENS1_27scan_by_key_config_selectorIitEEZZNS1_16scan_by_key_implILNS1_25lookback_scan_determinismE0ELb0ES3_N6thrust23THRUST_200600_302600_NS6detail15normal_iteratorINS9_10device_ptrIiEEEENSB_INSC_ItEEEESG_tNS9_4plusIvEENS9_8equal_toIvEEtEE10hipError_tPvRmT2_T3_T4_T5_mT6_T7_P12ihipStream_tbENKUlT_T0_E_clISt17integral_constantIbLb1EES11_EEDaSW_SX_EUlSW_E_NS1_11comp_targetILNS1_3genE0ELNS1_11target_archE4294967295ELNS1_3gpuE0ELNS1_3repE0EEENS1_30default_config_static_selectorELNS0_4arch9wavefront6targetE1EEEvT1_,@function
_ZN7rocprim17ROCPRIM_400000_NS6detail17trampoline_kernelINS0_14default_configENS1_27scan_by_key_config_selectorIitEEZZNS1_16scan_by_key_implILNS1_25lookback_scan_determinismE0ELb0ES3_N6thrust23THRUST_200600_302600_NS6detail15normal_iteratorINS9_10device_ptrIiEEEENSB_INSC_ItEEEESG_tNS9_4plusIvEENS9_8equal_toIvEEtEE10hipError_tPvRmT2_T3_T4_T5_mT6_T7_P12ihipStream_tbENKUlT_T0_E_clISt17integral_constantIbLb1EES11_EEDaSW_SX_EUlSW_E_NS1_11comp_targetILNS1_3genE0ELNS1_11target_archE4294967295ELNS1_3gpuE0ELNS1_3repE0EEENS1_30default_config_static_selectorELNS0_4arch9wavefront6targetE1EEEvT1_: ; @_ZN7rocprim17ROCPRIM_400000_NS6detail17trampoline_kernelINS0_14default_configENS1_27scan_by_key_config_selectorIitEEZZNS1_16scan_by_key_implILNS1_25lookback_scan_determinismE0ELb0ES3_N6thrust23THRUST_200600_302600_NS6detail15normal_iteratorINS9_10device_ptrIiEEEENSB_INSC_ItEEEESG_tNS9_4plusIvEENS9_8equal_toIvEEtEE10hipError_tPvRmT2_T3_T4_T5_mT6_T7_P12ihipStream_tbENKUlT_T0_E_clISt17integral_constantIbLb1EES11_EEDaSW_SX_EUlSW_E_NS1_11comp_targetILNS1_3genE0ELNS1_11target_archE4294967295ELNS1_3gpuE0ELNS1_3repE0EEENS1_30default_config_static_selectorELNS0_4arch9wavefront6targetE1EEEvT1_
; %bb.0:
	.section	.rodata,"a",@progbits
	.p2align	6, 0x0
	.amdhsa_kernel _ZN7rocprim17ROCPRIM_400000_NS6detail17trampoline_kernelINS0_14default_configENS1_27scan_by_key_config_selectorIitEEZZNS1_16scan_by_key_implILNS1_25lookback_scan_determinismE0ELb0ES3_N6thrust23THRUST_200600_302600_NS6detail15normal_iteratorINS9_10device_ptrIiEEEENSB_INSC_ItEEEESG_tNS9_4plusIvEENS9_8equal_toIvEEtEE10hipError_tPvRmT2_T3_T4_T5_mT6_T7_P12ihipStream_tbENKUlT_T0_E_clISt17integral_constantIbLb1EES11_EEDaSW_SX_EUlSW_E_NS1_11comp_targetILNS1_3genE0ELNS1_11target_archE4294967295ELNS1_3gpuE0ELNS1_3repE0EEENS1_30default_config_static_selectorELNS0_4arch9wavefront6targetE1EEEvT1_
		.amdhsa_group_segment_fixed_size 0
		.amdhsa_private_segment_fixed_size 0
		.amdhsa_kernarg_size 112
		.amdhsa_user_sgpr_count 6
		.amdhsa_user_sgpr_private_segment_buffer 1
		.amdhsa_user_sgpr_dispatch_ptr 0
		.amdhsa_user_sgpr_queue_ptr 0
		.amdhsa_user_sgpr_kernarg_segment_ptr 1
		.amdhsa_user_sgpr_dispatch_id 0
		.amdhsa_user_sgpr_flat_scratch_init 0
		.amdhsa_user_sgpr_kernarg_preload_length 0
		.amdhsa_user_sgpr_kernarg_preload_offset 0
		.amdhsa_user_sgpr_private_segment_size 0
		.amdhsa_uses_dynamic_stack 0
		.amdhsa_system_sgpr_private_segment_wavefront_offset 0
		.amdhsa_system_sgpr_workgroup_id_x 1
		.amdhsa_system_sgpr_workgroup_id_y 0
		.amdhsa_system_sgpr_workgroup_id_z 0
		.amdhsa_system_sgpr_workgroup_info 0
		.amdhsa_system_vgpr_workitem_id 0
		.amdhsa_next_free_vgpr 1
		.amdhsa_next_free_sgpr 0
		.amdhsa_accum_offset 4
		.amdhsa_reserve_vcc 0
		.amdhsa_reserve_flat_scratch 0
		.amdhsa_float_round_mode_32 0
		.amdhsa_float_round_mode_16_64 0
		.amdhsa_float_denorm_mode_32 3
		.amdhsa_float_denorm_mode_16_64 3
		.amdhsa_dx10_clamp 1
		.amdhsa_ieee_mode 1
		.amdhsa_fp16_overflow 0
		.amdhsa_tg_split 0
		.amdhsa_exception_fp_ieee_invalid_op 0
		.amdhsa_exception_fp_denorm_src 0
		.amdhsa_exception_fp_ieee_div_zero 0
		.amdhsa_exception_fp_ieee_overflow 0
		.amdhsa_exception_fp_ieee_underflow 0
		.amdhsa_exception_fp_ieee_inexact 0
		.amdhsa_exception_int_div_zero 0
	.end_amdhsa_kernel
	.section	.text._ZN7rocprim17ROCPRIM_400000_NS6detail17trampoline_kernelINS0_14default_configENS1_27scan_by_key_config_selectorIitEEZZNS1_16scan_by_key_implILNS1_25lookback_scan_determinismE0ELb0ES3_N6thrust23THRUST_200600_302600_NS6detail15normal_iteratorINS9_10device_ptrIiEEEENSB_INSC_ItEEEESG_tNS9_4plusIvEENS9_8equal_toIvEEtEE10hipError_tPvRmT2_T3_T4_T5_mT6_T7_P12ihipStream_tbENKUlT_T0_E_clISt17integral_constantIbLb1EES11_EEDaSW_SX_EUlSW_E_NS1_11comp_targetILNS1_3genE0ELNS1_11target_archE4294967295ELNS1_3gpuE0ELNS1_3repE0EEENS1_30default_config_static_selectorELNS0_4arch9wavefront6targetE1EEEvT1_,"axG",@progbits,_ZN7rocprim17ROCPRIM_400000_NS6detail17trampoline_kernelINS0_14default_configENS1_27scan_by_key_config_selectorIitEEZZNS1_16scan_by_key_implILNS1_25lookback_scan_determinismE0ELb0ES3_N6thrust23THRUST_200600_302600_NS6detail15normal_iteratorINS9_10device_ptrIiEEEENSB_INSC_ItEEEESG_tNS9_4plusIvEENS9_8equal_toIvEEtEE10hipError_tPvRmT2_T3_T4_T5_mT6_T7_P12ihipStream_tbENKUlT_T0_E_clISt17integral_constantIbLb1EES11_EEDaSW_SX_EUlSW_E_NS1_11comp_targetILNS1_3genE0ELNS1_11target_archE4294967295ELNS1_3gpuE0ELNS1_3repE0EEENS1_30default_config_static_selectorELNS0_4arch9wavefront6targetE1EEEvT1_,comdat
.Lfunc_end1278:
	.size	_ZN7rocprim17ROCPRIM_400000_NS6detail17trampoline_kernelINS0_14default_configENS1_27scan_by_key_config_selectorIitEEZZNS1_16scan_by_key_implILNS1_25lookback_scan_determinismE0ELb0ES3_N6thrust23THRUST_200600_302600_NS6detail15normal_iteratorINS9_10device_ptrIiEEEENSB_INSC_ItEEEESG_tNS9_4plusIvEENS9_8equal_toIvEEtEE10hipError_tPvRmT2_T3_T4_T5_mT6_T7_P12ihipStream_tbENKUlT_T0_E_clISt17integral_constantIbLb1EES11_EEDaSW_SX_EUlSW_E_NS1_11comp_targetILNS1_3genE0ELNS1_11target_archE4294967295ELNS1_3gpuE0ELNS1_3repE0EEENS1_30default_config_static_selectorELNS0_4arch9wavefront6targetE1EEEvT1_, .Lfunc_end1278-_ZN7rocprim17ROCPRIM_400000_NS6detail17trampoline_kernelINS0_14default_configENS1_27scan_by_key_config_selectorIitEEZZNS1_16scan_by_key_implILNS1_25lookback_scan_determinismE0ELb0ES3_N6thrust23THRUST_200600_302600_NS6detail15normal_iteratorINS9_10device_ptrIiEEEENSB_INSC_ItEEEESG_tNS9_4plusIvEENS9_8equal_toIvEEtEE10hipError_tPvRmT2_T3_T4_T5_mT6_T7_P12ihipStream_tbENKUlT_T0_E_clISt17integral_constantIbLb1EES11_EEDaSW_SX_EUlSW_E_NS1_11comp_targetILNS1_3genE0ELNS1_11target_archE4294967295ELNS1_3gpuE0ELNS1_3repE0EEENS1_30default_config_static_selectorELNS0_4arch9wavefront6targetE1EEEvT1_
                                        ; -- End function
	.section	.AMDGPU.csdata,"",@progbits
; Kernel info:
; codeLenInByte = 0
; NumSgprs: 4
; NumVgprs: 0
; NumAgprs: 0
; TotalNumVgprs: 0
; ScratchSize: 0
; MemoryBound: 0
; FloatMode: 240
; IeeeMode: 1
; LDSByteSize: 0 bytes/workgroup (compile time only)
; SGPRBlocks: 0
; VGPRBlocks: 0
; NumSGPRsForWavesPerEU: 4
; NumVGPRsForWavesPerEU: 1
; AccumOffset: 4
; Occupancy: 8
; WaveLimiterHint : 0
; COMPUTE_PGM_RSRC2:SCRATCH_EN: 0
; COMPUTE_PGM_RSRC2:USER_SGPR: 6
; COMPUTE_PGM_RSRC2:TRAP_HANDLER: 0
; COMPUTE_PGM_RSRC2:TGID_X_EN: 1
; COMPUTE_PGM_RSRC2:TGID_Y_EN: 0
; COMPUTE_PGM_RSRC2:TGID_Z_EN: 0
; COMPUTE_PGM_RSRC2:TIDIG_COMP_CNT: 0
; COMPUTE_PGM_RSRC3_GFX90A:ACCUM_OFFSET: 0
; COMPUTE_PGM_RSRC3_GFX90A:TG_SPLIT: 0
	.section	.text._ZN7rocprim17ROCPRIM_400000_NS6detail17trampoline_kernelINS0_14default_configENS1_27scan_by_key_config_selectorIitEEZZNS1_16scan_by_key_implILNS1_25lookback_scan_determinismE0ELb0ES3_N6thrust23THRUST_200600_302600_NS6detail15normal_iteratorINS9_10device_ptrIiEEEENSB_INSC_ItEEEESG_tNS9_4plusIvEENS9_8equal_toIvEEtEE10hipError_tPvRmT2_T3_T4_T5_mT6_T7_P12ihipStream_tbENKUlT_T0_E_clISt17integral_constantIbLb1EES11_EEDaSW_SX_EUlSW_E_NS1_11comp_targetILNS1_3genE10ELNS1_11target_archE1201ELNS1_3gpuE5ELNS1_3repE0EEENS1_30default_config_static_selectorELNS0_4arch9wavefront6targetE1EEEvT1_,"axG",@progbits,_ZN7rocprim17ROCPRIM_400000_NS6detail17trampoline_kernelINS0_14default_configENS1_27scan_by_key_config_selectorIitEEZZNS1_16scan_by_key_implILNS1_25lookback_scan_determinismE0ELb0ES3_N6thrust23THRUST_200600_302600_NS6detail15normal_iteratorINS9_10device_ptrIiEEEENSB_INSC_ItEEEESG_tNS9_4plusIvEENS9_8equal_toIvEEtEE10hipError_tPvRmT2_T3_T4_T5_mT6_T7_P12ihipStream_tbENKUlT_T0_E_clISt17integral_constantIbLb1EES11_EEDaSW_SX_EUlSW_E_NS1_11comp_targetILNS1_3genE10ELNS1_11target_archE1201ELNS1_3gpuE5ELNS1_3repE0EEENS1_30default_config_static_selectorELNS0_4arch9wavefront6targetE1EEEvT1_,comdat
	.protected	_ZN7rocprim17ROCPRIM_400000_NS6detail17trampoline_kernelINS0_14default_configENS1_27scan_by_key_config_selectorIitEEZZNS1_16scan_by_key_implILNS1_25lookback_scan_determinismE0ELb0ES3_N6thrust23THRUST_200600_302600_NS6detail15normal_iteratorINS9_10device_ptrIiEEEENSB_INSC_ItEEEESG_tNS9_4plusIvEENS9_8equal_toIvEEtEE10hipError_tPvRmT2_T3_T4_T5_mT6_T7_P12ihipStream_tbENKUlT_T0_E_clISt17integral_constantIbLb1EES11_EEDaSW_SX_EUlSW_E_NS1_11comp_targetILNS1_3genE10ELNS1_11target_archE1201ELNS1_3gpuE5ELNS1_3repE0EEENS1_30default_config_static_selectorELNS0_4arch9wavefront6targetE1EEEvT1_ ; -- Begin function _ZN7rocprim17ROCPRIM_400000_NS6detail17trampoline_kernelINS0_14default_configENS1_27scan_by_key_config_selectorIitEEZZNS1_16scan_by_key_implILNS1_25lookback_scan_determinismE0ELb0ES3_N6thrust23THRUST_200600_302600_NS6detail15normal_iteratorINS9_10device_ptrIiEEEENSB_INSC_ItEEEESG_tNS9_4plusIvEENS9_8equal_toIvEEtEE10hipError_tPvRmT2_T3_T4_T5_mT6_T7_P12ihipStream_tbENKUlT_T0_E_clISt17integral_constantIbLb1EES11_EEDaSW_SX_EUlSW_E_NS1_11comp_targetILNS1_3genE10ELNS1_11target_archE1201ELNS1_3gpuE5ELNS1_3repE0EEENS1_30default_config_static_selectorELNS0_4arch9wavefront6targetE1EEEvT1_
	.globl	_ZN7rocprim17ROCPRIM_400000_NS6detail17trampoline_kernelINS0_14default_configENS1_27scan_by_key_config_selectorIitEEZZNS1_16scan_by_key_implILNS1_25lookback_scan_determinismE0ELb0ES3_N6thrust23THRUST_200600_302600_NS6detail15normal_iteratorINS9_10device_ptrIiEEEENSB_INSC_ItEEEESG_tNS9_4plusIvEENS9_8equal_toIvEEtEE10hipError_tPvRmT2_T3_T4_T5_mT6_T7_P12ihipStream_tbENKUlT_T0_E_clISt17integral_constantIbLb1EES11_EEDaSW_SX_EUlSW_E_NS1_11comp_targetILNS1_3genE10ELNS1_11target_archE1201ELNS1_3gpuE5ELNS1_3repE0EEENS1_30default_config_static_selectorELNS0_4arch9wavefront6targetE1EEEvT1_
	.p2align	8
	.type	_ZN7rocprim17ROCPRIM_400000_NS6detail17trampoline_kernelINS0_14default_configENS1_27scan_by_key_config_selectorIitEEZZNS1_16scan_by_key_implILNS1_25lookback_scan_determinismE0ELb0ES3_N6thrust23THRUST_200600_302600_NS6detail15normal_iteratorINS9_10device_ptrIiEEEENSB_INSC_ItEEEESG_tNS9_4plusIvEENS9_8equal_toIvEEtEE10hipError_tPvRmT2_T3_T4_T5_mT6_T7_P12ihipStream_tbENKUlT_T0_E_clISt17integral_constantIbLb1EES11_EEDaSW_SX_EUlSW_E_NS1_11comp_targetILNS1_3genE10ELNS1_11target_archE1201ELNS1_3gpuE5ELNS1_3repE0EEENS1_30default_config_static_selectorELNS0_4arch9wavefront6targetE1EEEvT1_,@function
_ZN7rocprim17ROCPRIM_400000_NS6detail17trampoline_kernelINS0_14default_configENS1_27scan_by_key_config_selectorIitEEZZNS1_16scan_by_key_implILNS1_25lookback_scan_determinismE0ELb0ES3_N6thrust23THRUST_200600_302600_NS6detail15normal_iteratorINS9_10device_ptrIiEEEENSB_INSC_ItEEEESG_tNS9_4plusIvEENS9_8equal_toIvEEtEE10hipError_tPvRmT2_T3_T4_T5_mT6_T7_P12ihipStream_tbENKUlT_T0_E_clISt17integral_constantIbLb1EES11_EEDaSW_SX_EUlSW_E_NS1_11comp_targetILNS1_3genE10ELNS1_11target_archE1201ELNS1_3gpuE5ELNS1_3repE0EEENS1_30default_config_static_selectorELNS0_4arch9wavefront6targetE1EEEvT1_: ; @_ZN7rocprim17ROCPRIM_400000_NS6detail17trampoline_kernelINS0_14default_configENS1_27scan_by_key_config_selectorIitEEZZNS1_16scan_by_key_implILNS1_25lookback_scan_determinismE0ELb0ES3_N6thrust23THRUST_200600_302600_NS6detail15normal_iteratorINS9_10device_ptrIiEEEENSB_INSC_ItEEEESG_tNS9_4plusIvEENS9_8equal_toIvEEtEE10hipError_tPvRmT2_T3_T4_T5_mT6_T7_P12ihipStream_tbENKUlT_T0_E_clISt17integral_constantIbLb1EES11_EEDaSW_SX_EUlSW_E_NS1_11comp_targetILNS1_3genE10ELNS1_11target_archE1201ELNS1_3gpuE5ELNS1_3repE0EEENS1_30default_config_static_selectorELNS0_4arch9wavefront6targetE1EEEvT1_
; %bb.0:
	.section	.rodata,"a",@progbits
	.p2align	6, 0x0
	.amdhsa_kernel _ZN7rocprim17ROCPRIM_400000_NS6detail17trampoline_kernelINS0_14default_configENS1_27scan_by_key_config_selectorIitEEZZNS1_16scan_by_key_implILNS1_25lookback_scan_determinismE0ELb0ES3_N6thrust23THRUST_200600_302600_NS6detail15normal_iteratorINS9_10device_ptrIiEEEENSB_INSC_ItEEEESG_tNS9_4plusIvEENS9_8equal_toIvEEtEE10hipError_tPvRmT2_T3_T4_T5_mT6_T7_P12ihipStream_tbENKUlT_T0_E_clISt17integral_constantIbLb1EES11_EEDaSW_SX_EUlSW_E_NS1_11comp_targetILNS1_3genE10ELNS1_11target_archE1201ELNS1_3gpuE5ELNS1_3repE0EEENS1_30default_config_static_selectorELNS0_4arch9wavefront6targetE1EEEvT1_
		.amdhsa_group_segment_fixed_size 0
		.amdhsa_private_segment_fixed_size 0
		.amdhsa_kernarg_size 112
		.amdhsa_user_sgpr_count 6
		.amdhsa_user_sgpr_private_segment_buffer 1
		.amdhsa_user_sgpr_dispatch_ptr 0
		.amdhsa_user_sgpr_queue_ptr 0
		.amdhsa_user_sgpr_kernarg_segment_ptr 1
		.amdhsa_user_sgpr_dispatch_id 0
		.amdhsa_user_sgpr_flat_scratch_init 0
		.amdhsa_user_sgpr_kernarg_preload_length 0
		.amdhsa_user_sgpr_kernarg_preload_offset 0
		.amdhsa_user_sgpr_private_segment_size 0
		.amdhsa_uses_dynamic_stack 0
		.amdhsa_system_sgpr_private_segment_wavefront_offset 0
		.amdhsa_system_sgpr_workgroup_id_x 1
		.amdhsa_system_sgpr_workgroup_id_y 0
		.amdhsa_system_sgpr_workgroup_id_z 0
		.amdhsa_system_sgpr_workgroup_info 0
		.amdhsa_system_vgpr_workitem_id 0
		.amdhsa_next_free_vgpr 1
		.amdhsa_next_free_sgpr 0
		.amdhsa_accum_offset 4
		.amdhsa_reserve_vcc 0
		.amdhsa_reserve_flat_scratch 0
		.amdhsa_float_round_mode_32 0
		.amdhsa_float_round_mode_16_64 0
		.amdhsa_float_denorm_mode_32 3
		.amdhsa_float_denorm_mode_16_64 3
		.amdhsa_dx10_clamp 1
		.amdhsa_ieee_mode 1
		.amdhsa_fp16_overflow 0
		.amdhsa_tg_split 0
		.amdhsa_exception_fp_ieee_invalid_op 0
		.amdhsa_exception_fp_denorm_src 0
		.amdhsa_exception_fp_ieee_div_zero 0
		.amdhsa_exception_fp_ieee_overflow 0
		.amdhsa_exception_fp_ieee_underflow 0
		.amdhsa_exception_fp_ieee_inexact 0
		.amdhsa_exception_int_div_zero 0
	.end_amdhsa_kernel
	.section	.text._ZN7rocprim17ROCPRIM_400000_NS6detail17trampoline_kernelINS0_14default_configENS1_27scan_by_key_config_selectorIitEEZZNS1_16scan_by_key_implILNS1_25lookback_scan_determinismE0ELb0ES3_N6thrust23THRUST_200600_302600_NS6detail15normal_iteratorINS9_10device_ptrIiEEEENSB_INSC_ItEEEESG_tNS9_4plusIvEENS9_8equal_toIvEEtEE10hipError_tPvRmT2_T3_T4_T5_mT6_T7_P12ihipStream_tbENKUlT_T0_E_clISt17integral_constantIbLb1EES11_EEDaSW_SX_EUlSW_E_NS1_11comp_targetILNS1_3genE10ELNS1_11target_archE1201ELNS1_3gpuE5ELNS1_3repE0EEENS1_30default_config_static_selectorELNS0_4arch9wavefront6targetE1EEEvT1_,"axG",@progbits,_ZN7rocprim17ROCPRIM_400000_NS6detail17trampoline_kernelINS0_14default_configENS1_27scan_by_key_config_selectorIitEEZZNS1_16scan_by_key_implILNS1_25lookback_scan_determinismE0ELb0ES3_N6thrust23THRUST_200600_302600_NS6detail15normal_iteratorINS9_10device_ptrIiEEEENSB_INSC_ItEEEESG_tNS9_4plusIvEENS9_8equal_toIvEEtEE10hipError_tPvRmT2_T3_T4_T5_mT6_T7_P12ihipStream_tbENKUlT_T0_E_clISt17integral_constantIbLb1EES11_EEDaSW_SX_EUlSW_E_NS1_11comp_targetILNS1_3genE10ELNS1_11target_archE1201ELNS1_3gpuE5ELNS1_3repE0EEENS1_30default_config_static_selectorELNS0_4arch9wavefront6targetE1EEEvT1_,comdat
.Lfunc_end1279:
	.size	_ZN7rocprim17ROCPRIM_400000_NS6detail17trampoline_kernelINS0_14default_configENS1_27scan_by_key_config_selectorIitEEZZNS1_16scan_by_key_implILNS1_25lookback_scan_determinismE0ELb0ES3_N6thrust23THRUST_200600_302600_NS6detail15normal_iteratorINS9_10device_ptrIiEEEENSB_INSC_ItEEEESG_tNS9_4plusIvEENS9_8equal_toIvEEtEE10hipError_tPvRmT2_T3_T4_T5_mT6_T7_P12ihipStream_tbENKUlT_T0_E_clISt17integral_constantIbLb1EES11_EEDaSW_SX_EUlSW_E_NS1_11comp_targetILNS1_3genE10ELNS1_11target_archE1201ELNS1_3gpuE5ELNS1_3repE0EEENS1_30default_config_static_selectorELNS0_4arch9wavefront6targetE1EEEvT1_, .Lfunc_end1279-_ZN7rocprim17ROCPRIM_400000_NS6detail17trampoline_kernelINS0_14default_configENS1_27scan_by_key_config_selectorIitEEZZNS1_16scan_by_key_implILNS1_25lookback_scan_determinismE0ELb0ES3_N6thrust23THRUST_200600_302600_NS6detail15normal_iteratorINS9_10device_ptrIiEEEENSB_INSC_ItEEEESG_tNS9_4plusIvEENS9_8equal_toIvEEtEE10hipError_tPvRmT2_T3_T4_T5_mT6_T7_P12ihipStream_tbENKUlT_T0_E_clISt17integral_constantIbLb1EES11_EEDaSW_SX_EUlSW_E_NS1_11comp_targetILNS1_3genE10ELNS1_11target_archE1201ELNS1_3gpuE5ELNS1_3repE0EEENS1_30default_config_static_selectorELNS0_4arch9wavefront6targetE1EEEvT1_
                                        ; -- End function
	.section	.AMDGPU.csdata,"",@progbits
; Kernel info:
; codeLenInByte = 0
; NumSgprs: 4
; NumVgprs: 0
; NumAgprs: 0
; TotalNumVgprs: 0
; ScratchSize: 0
; MemoryBound: 0
; FloatMode: 240
; IeeeMode: 1
; LDSByteSize: 0 bytes/workgroup (compile time only)
; SGPRBlocks: 0
; VGPRBlocks: 0
; NumSGPRsForWavesPerEU: 4
; NumVGPRsForWavesPerEU: 1
; AccumOffset: 4
; Occupancy: 8
; WaveLimiterHint : 0
; COMPUTE_PGM_RSRC2:SCRATCH_EN: 0
; COMPUTE_PGM_RSRC2:USER_SGPR: 6
; COMPUTE_PGM_RSRC2:TRAP_HANDLER: 0
; COMPUTE_PGM_RSRC2:TGID_X_EN: 1
; COMPUTE_PGM_RSRC2:TGID_Y_EN: 0
; COMPUTE_PGM_RSRC2:TGID_Z_EN: 0
; COMPUTE_PGM_RSRC2:TIDIG_COMP_CNT: 0
; COMPUTE_PGM_RSRC3_GFX90A:ACCUM_OFFSET: 0
; COMPUTE_PGM_RSRC3_GFX90A:TG_SPLIT: 0
	.section	.text._ZN7rocprim17ROCPRIM_400000_NS6detail17trampoline_kernelINS0_14default_configENS1_27scan_by_key_config_selectorIitEEZZNS1_16scan_by_key_implILNS1_25lookback_scan_determinismE0ELb0ES3_N6thrust23THRUST_200600_302600_NS6detail15normal_iteratorINS9_10device_ptrIiEEEENSB_INSC_ItEEEESG_tNS9_4plusIvEENS9_8equal_toIvEEtEE10hipError_tPvRmT2_T3_T4_T5_mT6_T7_P12ihipStream_tbENKUlT_T0_E_clISt17integral_constantIbLb1EES11_EEDaSW_SX_EUlSW_E_NS1_11comp_targetILNS1_3genE5ELNS1_11target_archE942ELNS1_3gpuE9ELNS1_3repE0EEENS1_30default_config_static_selectorELNS0_4arch9wavefront6targetE1EEEvT1_,"axG",@progbits,_ZN7rocprim17ROCPRIM_400000_NS6detail17trampoline_kernelINS0_14default_configENS1_27scan_by_key_config_selectorIitEEZZNS1_16scan_by_key_implILNS1_25lookback_scan_determinismE0ELb0ES3_N6thrust23THRUST_200600_302600_NS6detail15normal_iteratorINS9_10device_ptrIiEEEENSB_INSC_ItEEEESG_tNS9_4plusIvEENS9_8equal_toIvEEtEE10hipError_tPvRmT2_T3_T4_T5_mT6_T7_P12ihipStream_tbENKUlT_T0_E_clISt17integral_constantIbLb1EES11_EEDaSW_SX_EUlSW_E_NS1_11comp_targetILNS1_3genE5ELNS1_11target_archE942ELNS1_3gpuE9ELNS1_3repE0EEENS1_30default_config_static_selectorELNS0_4arch9wavefront6targetE1EEEvT1_,comdat
	.protected	_ZN7rocprim17ROCPRIM_400000_NS6detail17trampoline_kernelINS0_14default_configENS1_27scan_by_key_config_selectorIitEEZZNS1_16scan_by_key_implILNS1_25lookback_scan_determinismE0ELb0ES3_N6thrust23THRUST_200600_302600_NS6detail15normal_iteratorINS9_10device_ptrIiEEEENSB_INSC_ItEEEESG_tNS9_4plusIvEENS9_8equal_toIvEEtEE10hipError_tPvRmT2_T3_T4_T5_mT6_T7_P12ihipStream_tbENKUlT_T0_E_clISt17integral_constantIbLb1EES11_EEDaSW_SX_EUlSW_E_NS1_11comp_targetILNS1_3genE5ELNS1_11target_archE942ELNS1_3gpuE9ELNS1_3repE0EEENS1_30default_config_static_selectorELNS0_4arch9wavefront6targetE1EEEvT1_ ; -- Begin function _ZN7rocprim17ROCPRIM_400000_NS6detail17trampoline_kernelINS0_14default_configENS1_27scan_by_key_config_selectorIitEEZZNS1_16scan_by_key_implILNS1_25lookback_scan_determinismE0ELb0ES3_N6thrust23THRUST_200600_302600_NS6detail15normal_iteratorINS9_10device_ptrIiEEEENSB_INSC_ItEEEESG_tNS9_4plusIvEENS9_8equal_toIvEEtEE10hipError_tPvRmT2_T3_T4_T5_mT6_T7_P12ihipStream_tbENKUlT_T0_E_clISt17integral_constantIbLb1EES11_EEDaSW_SX_EUlSW_E_NS1_11comp_targetILNS1_3genE5ELNS1_11target_archE942ELNS1_3gpuE9ELNS1_3repE0EEENS1_30default_config_static_selectorELNS0_4arch9wavefront6targetE1EEEvT1_
	.globl	_ZN7rocprim17ROCPRIM_400000_NS6detail17trampoline_kernelINS0_14default_configENS1_27scan_by_key_config_selectorIitEEZZNS1_16scan_by_key_implILNS1_25lookback_scan_determinismE0ELb0ES3_N6thrust23THRUST_200600_302600_NS6detail15normal_iteratorINS9_10device_ptrIiEEEENSB_INSC_ItEEEESG_tNS9_4plusIvEENS9_8equal_toIvEEtEE10hipError_tPvRmT2_T3_T4_T5_mT6_T7_P12ihipStream_tbENKUlT_T0_E_clISt17integral_constantIbLb1EES11_EEDaSW_SX_EUlSW_E_NS1_11comp_targetILNS1_3genE5ELNS1_11target_archE942ELNS1_3gpuE9ELNS1_3repE0EEENS1_30default_config_static_selectorELNS0_4arch9wavefront6targetE1EEEvT1_
	.p2align	8
	.type	_ZN7rocprim17ROCPRIM_400000_NS6detail17trampoline_kernelINS0_14default_configENS1_27scan_by_key_config_selectorIitEEZZNS1_16scan_by_key_implILNS1_25lookback_scan_determinismE0ELb0ES3_N6thrust23THRUST_200600_302600_NS6detail15normal_iteratorINS9_10device_ptrIiEEEENSB_INSC_ItEEEESG_tNS9_4plusIvEENS9_8equal_toIvEEtEE10hipError_tPvRmT2_T3_T4_T5_mT6_T7_P12ihipStream_tbENKUlT_T0_E_clISt17integral_constantIbLb1EES11_EEDaSW_SX_EUlSW_E_NS1_11comp_targetILNS1_3genE5ELNS1_11target_archE942ELNS1_3gpuE9ELNS1_3repE0EEENS1_30default_config_static_selectorELNS0_4arch9wavefront6targetE1EEEvT1_,@function
_ZN7rocprim17ROCPRIM_400000_NS6detail17trampoline_kernelINS0_14default_configENS1_27scan_by_key_config_selectorIitEEZZNS1_16scan_by_key_implILNS1_25lookback_scan_determinismE0ELb0ES3_N6thrust23THRUST_200600_302600_NS6detail15normal_iteratorINS9_10device_ptrIiEEEENSB_INSC_ItEEEESG_tNS9_4plusIvEENS9_8equal_toIvEEtEE10hipError_tPvRmT2_T3_T4_T5_mT6_T7_P12ihipStream_tbENKUlT_T0_E_clISt17integral_constantIbLb1EES11_EEDaSW_SX_EUlSW_E_NS1_11comp_targetILNS1_3genE5ELNS1_11target_archE942ELNS1_3gpuE9ELNS1_3repE0EEENS1_30default_config_static_selectorELNS0_4arch9wavefront6targetE1EEEvT1_: ; @_ZN7rocprim17ROCPRIM_400000_NS6detail17trampoline_kernelINS0_14default_configENS1_27scan_by_key_config_selectorIitEEZZNS1_16scan_by_key_implILNS1_25lookback_scan_determinismE0ELb0ES3_N6thrust23THRUST_200600_302600_NS6detail15normal_iteratorINS9_10device_ptrIiEEEENSB_INSC_ItEEEESG_tNS9_4plusIvEENS9_8equal_toIvEEtEE10hipError_tPvRmT2_T3_T4_T5_mT6_T7_P12ihipStream_tbENKUlT_T0_E_clISt17integral_constantIbLb1EES11_EEDaSW_SX_EUlSW_E_NS1_11comp_targetILNS1_3genE5ELNS1_11target_archE942ELNS1_3gpuE9ELNS1_3repE0EEENS1_30default_config_static_selectorELNS0_4arch9wavefront6targetE1EEEvT1_
; %bb.0:
	.section	.rodata,"a",@progbits
	.p2align	6, 0x0
	.amdhsa_kernel _ZN7rocprim17ROCPRIM_400000_NS6detail17trampoline_kernelINS0_14default_configENS1_27scan_by_key_config_selectorIitEEZZNS1_16scan_by_key_implILNS1_25lookback_scan_determinismE0ELb0ES3_N6thrust23THRUST_200600_302600_NS6detail15normal_iteratorINS9_10device_ptrIiEEEENSB_INSC_ItEEEESG_tNS9_4plusIvEENS9_8equal_toIvEEtEE10hipError_tPvRmT2_T3_T4_T5_mT6_T7_P12ihipStream_tbENKUlT_T0_E_clISt17integral_constantIbLb1EES11_EEDaSW_SX_EUlSW_E_NS1_11comp_targetILNS1_3genE5ELNS1_11target_archE942ELNS1_3gpuE9ELNS1_3repE0EEENS1_30default_config_static_selectorELNS0_4arch9wavefront6targetE1EEEvT1_
		.amdhsa_group_segment_fixed_size 0
		.amdhsa_private_segment_fixed_size 0
		.amdhsa_kernarg_size 112
		.amdhsa_user_sgpr_count 6
		.amdhsa_user_sgpr_private_segment_buffer 1
		.amdhsa_user_sgpr_dispatch_ptr 0
		.amdhsa_user_sgpr_queue_ptr 0
		.amdhsa_user_sgpr_kernarg_segment_ptr 1
		.amdhsa_user_sgpr_dispatch_id 0
		.amdhsa_user_sgpr_flat_scratch_init 0
		.amdhsa_user_sgpr_kernarg_preload_length 0
		.amdhsa_user_sgpr_kernarg_preload_offset 0
		.amdhsa_user_sgpr_private_segment_size 0
		.amdhsa_uses_dynamic_stack 0
		.amdhsa_system_sgpr_private_segment_wavefront_offset 0
		.amdhsa_system_sgpr_workgroup_id_x 1
		.amdhsa_system_sgpr_workgroup_id_y 0
		.amdhsa_system_sgpr_workgroup_id_z 0
		.amdhsa_system_sgpr_workgroup_info 0
		.amdhsa_system_vgpr_workitem_id 0
		.amdhsa_next_free_vgpr 1
		.amdhsa_next_free_sgpr 0
		.amdhsa_accum_offset 4
		.amdhsa_reserve_vcc 0
		.amdhsa_reserve_flat_scratch 0
		.amdhsa_float_round_mode_32 0
		.amdhsa_float_round_mode_16_64 0
		.amdhsa_float_denorm_mode_32 3
		.amdhsa_float_denorm_mode_16_64 3
		.amdhsa_dx10_clamp 1
		.amdhsa_ieee_mode 1
		.amdhsa_fp16_overflow 0
		.amdhsa_tg_split 0
		.amdhsa_exception_fp_ieee_invalid_op 0
		.amdhsa_exception_fp_denorm_src 0
		.amdhsa_exception_fp_ieee_div_zero 0
		.amdhsa_exception_fp_ieee_overflow 0
		.amdhsa_exception_fp_ieee_underflow 0
		.amdhsa_exception_fp_ieee_inexact 0
		.amdhsa_exception_int_div_zero 0
	.end_amdhsa_kernel
	.section	.text._ZN7rocprim17ROCPRIM_400000_NS6detail17trampoline_kernelINS0_14default_configENS1_27scan_by_key_config_selectorIitEEZZNS1_16scan_by_key_implILNS1_25lookback_scan_determinismE0ELb0ES3_N6thrust23THRUST_200600_302600_NS6detail15normal_iteratorINS9_10device_ptrIiEEEENSB_INSC_ItEEEESG_tNS9_4plusIvEENS9_8equal_toIvEEtEE10hipError_tPvRmT2_T3_T4_T5_mT6_T7_P12ihipStream_tbENKUlT_T0_E_clISt17integral_constantIbLb1EES11_EEDaSW_SX_EUlSW_E_NS1_11comp_targetILNS1_3genE5ELNS1_11target_archE942ELNS1_3gpuE9ELNS1_3repE0EEENS1_30default_config_static_selectorELNS0_4arch9wavefront6targetE1EEEvT1_,"axG",@progbits,_ZN7rocprim17ROCPRIM_400000_NS6detail17trampoline_kernelINS0_14default_configENS1_27scan_by_key_config_selectorIitEEZZNS1_16scan_by_key_implILNS1_25lookback_scan_determinismE0ELb0ES3_N6thrust23THRUST_200600_302600_NS6detail15normal_iteratorINS9_10device_ptrIiEEEENSB_INSC_ItEEEESG_tNS9_4plusIvEENS9_8equal_toIvEEtEE10hipError_tPvRmT2_T3_T4_T5_mT6_T7_P12ihipStream_tbENKUlT_T0_E_clISt17integral_constantIbLb1EES11_EEDaSW_SX_EUlSW_E_NS1_11comp_targetILNS1_3genE5ELNS1_11target_archE942ELNS1_3gpuE9ELNS1_3repE0EEENS1_30default_config_static_selectorELNS0_4arch9wavefront6targetE1EEEvT1_,comdat
.Lfunc_end1280:
	.size	_ZN7rocprim17ROCPRIM_400000_NS6detail17trampoline_kernelINS0_14default_configENS1_27scan_by_key_config_selectorIitEEZZNS1_16scan_by_key_implILNS1_25lookback_scan_determinismE0ELb0ES3_N6thrust23THRUST_200600_302600_NS6detail15normal_iteratorINS9_10device_ptrIiEEEENSB_INSC_ItEEEESG_tNS9_4plusIvEENS9_8equal_toIvEEtEE10hipError_tPvRmT2_T3_T4_T5_mT6_T7_P12ihipStream_tbENKUlT_T0_E_clISt17integral_constantIbLb1EES11_EEDaSW_SX_EUlSW_E_NS1_11comp_targetILNS1_3genE5ELNS1_11target_archE942ELNS1_3gpuE9ELNS1_3repE0EEENS1_30default_config_static_selectorELNS0_4arch9wavefront6targetE1EEEvT1_, .Lfunc_end1280-_ZN7rocprim17ROCPRIM_400000_NS6detail17trampoline_kernelINS0_14default_configENS1_27scan_by_key_config_selectorIitEEZZNS1_16scan_by_key_implILNS1_25lookback_scan_determinismE0ELb0ES3_N6thrust23THRUST_200600_302600_NS6detail15normal_iteratorINS9_10device_ptrIiEEEENSB_INSC_ItEEEESG_tNS9_4plusIvEENS9_8equal_toIvEEtEE10hipError_tPvRmT2_T3_T4_T5_mT6_T7_P12ihipStream_tbENKUlT_T0_E_clISt17integral_constantIbLb1EES11_EEDaSW_SX_EUlSW_E_NS1_11comp_targetILNS1_3genE5ELNS1_11target_archE942ELNS1_3gpuE9ELNS1_3repE0EEENS1_30default_config_static_selectorELNS0_4arch9wavefront6targetE1EEEvT1_
                                        ; -- End function
	.section	.AMDGPU.csdata,"",@progbits
; Kernel info:
; codeLenInByte = 0
; NumSgprs: 4
; NumVgprs: 0
; NumAgprs: 0
; TotalNumVgprs: 0
; ScratchSize: 0
; MemoryBound: 0
; FloatMode: 240
; IeeeMode: 1
; LDSByteSize: 0 bytes/workgroup (compile time only)
; SGPRBlocks: 0
; VGPRBlocks: 0
; NumSGPRsForWavesPerEU: 4
; NumVGPRsForWavesPerEU: 1
; AccumOffset: 4
; Occupancy: 8
; WaveLimiterHint : 0
; COMPUTE_PGM_RSRC2:SCRATCH_EN: 0
; COMPUTE_PGM_RSRC2:USER_SGPR: 6
; COMPUTE_PGM_RSRC2:TRAP_HANDLER: 0
; COMPUTE_PGM_RSRC2:TGID_X_EN: 1
; COMPUTE_PGM_RSRC2:TGID_Y_EN: 0
; COMPUTE_PGM_RSRC2:TGID_Z_EN: 0
; COMPUTE_PGM_RSRC2:TIDIG_COMP_CNT: 0
; COMPUTE_PGM_RSRC3_GFX90A:ACCUM_OFFSET: 0
; COMPUTE_PGM_RSRC3_GFX90A:TG_SPLIT: 0
	.section	.text._ZN7rocprim17ROCPRIM_400000_NS6detail17trampoline_kernelINS0_14default_configENS1_27scan_by_key_config_selectorIitEEZZNS1_16scan_by_key_implILNS1_25lookback_scan_determinismE0ELb0ES3_N6thrust23THRUST_200600_302600_NS6detail15normal_iteratorINS9_10device_ptrIiEEEENSB_INSC_ItEEEESG_tNS9_4plusIvEENS9_8equal_toIvEEtEE10hipError_tPvRmT2_T3_T4_T5_mT6_T7_P12ihipStream_tbENKUlT_T0_E_clISt17integral_constantIbLb1EES11_EEDaSW_SX_EUlSW_E_NS1_11comp_targetILNS1_3genE4ELNS1_11target_archE910ELNS1_3gpuE8ELNS1_3repE0EEENS1_30default_config_static_selectorELNS0_4arch9wavefront6targetE1EEEvT1_,"axG",@progbits,_ZN7rocprim17ROCPRIM_400000_NS6detail17trampoline_kernelINS0_14default_configENS1_27scan_by_key_config_selectorIitEEZZNS1_16scan_by_key_implILNS1_25lookback_scan_determinismE0ELb0ES3_N6thrust23THRUST_200600_302600_NS6detail15normal_iteratorINS9_10device_ptrIiEEEENSB_INSC_ItEEEESG_tNS9_4plusIvEENS9_8equal_toIvEEtEE10hipError_tPvRmT2_T3_T4_T5_mT6_T7_P12ihipStream_tbENKUlT_T0_E_clISt17integral_constantIbLb1EES11_EEDaSW_SX_EUlSW_E_NS1_11comp_targetILNS1_3genE4ELNS1_11target_archE910ELNS1_3gpuE8ELNS1_3repE0EEENS1_30default_config_static_selectorELNS0_4arch9wavefront6targetE1EEEvT1_,comdat
	.protected	_ZN7rocprim17ROCPRIM_400000_NS6detail17trampoline_kernelINS0_14default_configENS1_27scan_by_key_config_selectorIitEEZZNS1_16scan_by_key_implILNS1_25lookback_scan_determinismE0ELb0ES3_N6thrust23THRUST_200600_302600_NS6detail15normal_iteratorINS9_10device_ptrIiEEEENSB_INSC_ItEEEESG_tNS9_4plusIvEENS9_8equal_toIvEEtEE10hipError_tPvRmT2_T3_T4_T5_mT6_T7_P12ihipStream_tbENKUlT_T0_E_clISt17integral_constantIbLb1EES11_EEDaSW_SX_EUlSW_E_NS1_11comp_targetILNS1_3genE4ELNS1_11target_archE910ELNS1_3gpuE8ELNS1_3repE0EEENS1_30default_config_static_selectorELNS0_4arch9wavefront6targetE1EEEvT1_ ; -- Begin function _ZN7rocprim17ROCPRIM_400000_NS6detail17trampoline_kernelINS0_14default_configENS1_27scan_by_key_config_selectorIitEEZZNS1_16scan_by_key_implILNS1_25lookback_scan_determinismE0ELb0ES3_N6thrust23THRUST_200600_302600_NS6detail15normal_iteratorINS9_10device_ptrIiEEEENSB_INSC_ItEEEESG_tNS9_4plusIvEENS9_8equal_toIvEEtEE10hipError_tPvRmT2_T3_T4_T5_mT6_T7_P12ihipStream_tbENKUlT_T0_E_clISt17integral_constantIbLb1EES11_EEDaSW_SX_EUlSW_E_NS1_11comp_targetILNS1_3genE4ELNS1_11target_archE910ELNS1_3gpuE8ELNS1_3repE0EEENS1_30default_config_static_selectorELNS0_4arch9wavefront6targetE1EEEvT1_
	.globl	_ZN7rocprim17ROCPRIM_400000_NS6detail17trampoline_kernelINS0_14default_configENS1_27scan_by_key_config_selectorIitEEZZNS1_16scan_by_key_implILNS1_25lookback_scan_determinismE0ELb0ES3_N6thrust23THRUST_200600_302600_NS6detail15normal_iteratorINS9_10device_ptrIiEEEENSB_INSC_ItEEEESG_tNS9_4plusIvEENS9_8equal_toIvEEtEE10hipError_tPvRmT2_T3_T4_T5_mT6_T7_P12ihipStream_tbENKUlT_T0_E_clISt17integral_constantIbLb1EES11_EEDaSW_SX_EUlSW_E_NS1_11comp_targetILNS1_3genE4ELNS1_11target_archE910ELNS1_3gpuE8ELNS1_3repE0EEENS1_30default_config_static_selectorELNS0_4arch9wavefront6targetE1EEEvT1_
	.p2align	8
	.type	_ZN7rocprim17ROCPRIM_400000_NS6detail17trampoline_kernelINS0_14default_configENS1_27scan_by_key_config_selectorIitEEZZNS1_16scan_by_key_implILNS1_25lookback_scan_determinismE0ELb0ES3_N6thrust23THRUST_200600_302600_NS6detail15normal_iteratorINS9_10device_ptrIiEEEENSB_INSC_ItEEEESG_tNS9_4plusIvEENS9_8equal_toIvEEtEE10hipError_tPvRmT2_T3_T4_T5_mT6_T7_P12ihipStream_tbENKUlT_T0_E_clISt17integral_constantIbLb1EES11_EEDaSW_SX_EUlSW_E_NS1_11comp_targetILNS1_3genE4ELNS1_11target_archE910ELNS1_3gpuE8ELNS1_3repE0EEENS1_30default_config_static_selectorELNS0_4arch9wavefront6targetE1EEEvT1_,@function
_ZN7rocprim17ROCPRIM_400000_NS6detail17trampoline_kernelINS0_14default_configENS1_27scan_by_key_config_selectorIitEEZZNS1_16scan_by_key_implILNS1_25lookback_scan_determinismE0ELb0ES3_N6thrust23THRUST_200600_302600_NS6detail15normal_iteratorINS9_10device_ptrIiEEEENSB_INSC_ItEEEESG_tNS9_4plusIvEENS9_8equal_toIvEEtEE10hipError_tPvRmT2_T3_T4_T5_mT6_T7_P12ihipStream_tbENKUlT_T0_E_clISt17integral_constantIbLb1EES11_EEDaSW_SX_EUlSW_E_NS1_11comp_targetILNS1_3genE4ELNS1_11target_archE910ELNS1_3gpuE8ELNS1_3repE0EEENS1_30default_config_static_selectorELNS0_4arch9wavefront6targetE1EEEvT1_: ; @_ZN7rocprim17ROCPRIM_400000_NS6detail17trampoline_kernelINS0_14default_configENS1_27scan_by_key_config_selectorIitEEZZNS1_16scan_by_key_implILNS1_25lookback_scan_determinismE0ELb0ES3_N6thrust23THRUST_200600_302600_NS6detail15normal_iteratorINS9_10device_ptrIiEEEENSB_INSC_ItEEEESG_tNS9_4plusIvEENS9_8equal_toIvEEtEE10hipError_tPvRmT2_T3_T4_T5_mT6_T7_P12ihipStream_tbENKUlT_T0_E_clISt17integral_constantIbLb1EES11_EEDaSW_SX_EUlSW_E_NS1_11comp_targetILNS1_3genE4ELNS1_11target_archE910ELNS1_3gpuE8ELNS1_3repE0EEENS1_30default_config_static_selectorELNS0_4arch9wavefront6targetE1EEEvT1_
; %bb.0:
	s_load_dwordx4 s[76:79], s[4:5], 0x28
	s_load_dwordx2 s[80:81], s[4:5], 0x38
	v_cmp_ne_u32_e64 s[56:57], 0, v0
	v_cmp_eq_u32_e64 s[0:1], 0, v0
	s_and_saveexec_b64 s[2:3], s[0:1]
	s_cbranch_execz .LBB1281_4
; %bb.1:
	s_mov_b64 s[8:9], exec
	v_mbcnt_lo_u32_b32 v1, s8, 0
	v_mbcnt_hi_u32_b32 v1, s9, v1
	v_cmp_eq_u32_e32 vcc, 0, v1
                                        ; implicit-def: $vgpr2
	s_and_saveexec_b64 s[6:7], vcc
	s_cbranch_execz .LBB1281_3
; %bb.2:
	s_load_dwordx2 s[10:11], s[4:5], 0x68
	s_bcnt1_i32_b64 s8, s[8:9]
	v_mov_b32_e32 v2, 0
	v_mov_b32_e32 v3, s8
	s_waitcnt lgkmcnt(0)
	global_atomic_add v2, v2, v3, s[10:11] glc
.LBB1281_3:
	s_or_b64 exec, exec, s[6:7]
	s_waitcnt vmcnt(0)
	v_readfirstlane_b32 s6, v2
	v_add_u32_e32 v1, s6, v1
	v_mov_b32_e32 v2, 0
	ds_write_b32 v2, v1
.LBB1281_4:
	s_or_b64 exec, exec, s[2:3]
	s_load_dwordx8 s[60:67], s[4:5], 0x0
	s_load_dword s2, s[4:5], 0x40
	s_load_dwordx8 s[68:75], s[4:5], 0x48
	v_mov_b32_e32 v1, 0
	s_waitcnt lgkmcnt(0)
	; wave barrier
	s_waitcnt lgkmcnt(0)
	ds_read_b32 v1, v1
	s_lshl_b64 s[4:5], s[62:63], 2
	s_add_u32 s8, s60, s4
	s_addc_u32 s9, s61, s5
	s_lshl_b64 s[58:59], s[62:63], 1
	s_add_u32 s10, s64, s58
	s_mul_i32 s3, s81, s2
	s_mul_hi_u32 s4, s80, s2
	s_addc_u32 s11, s65, s59
	s_add_i32 s12, s4, s3
	s_waitcnt lgkmcnt(0)
	v_readfirstlane_b32 s79, v1
	s_mul_i32 s13, s80, s2
	s_cmp_lg_u64 s[72:73], 0
	s_mov_b32 s3, 0
	s_mul_i32 s2, s79, 0x600
	s_cselect_b64 s[64:65], -1, 0
	s_lshl_b64 s[4:5], s[2:3], 2
	s_add_u32 s62, s8, s4
	s_addc_u32 s63, s9, s5
	s_lshl_b64 s[60:61], s[2:3], 1
	s_add_u32 s84, s10, s60
	s_addc_u32 s85, s11, s61
	s_add_u32 s72, s13, s79
	s_addc_u32 s73, s12, 0
	s_add_u32 s4, s68, -1
	s_addc_u32 s5, s69, -1
	v_pk_mov_b32 v[2:3], s[4:5], s[4:5] op_sel:[0,1]
	v_cmp_ge_u64_e64 s[2:3], s[72:73], v[2:3]
	s_mov_b64 s[6:7], 0
	s_mov_b64 s[28:29], -1
	s_and_b64 vcc, exec, s[2:3]
	s_mul_i32 s33, s4, 0xfffffa00
	s_waitcnt lgkmcnt(0)
	; wave barrier
	s_waitcnt lgkmcnt(0)
	s_waitcnt lgkmcnt(0)
	; wave barrier
	s_cbranch_vccz .LBB1281_131
; %bb.5:
	v_pk_mov_b32 v[2:3], s[62:63], s[62:63] op_sel:[0,1]
	flat_load_dword v1, v[2:3]
	s_add_i32 s86, s33, s78
	v_cmp_gt_u32_e64 s[6:7], s86, v0
	s_waitcnt vmcnt(0) lgkmcnt(0)
	v_mov_b32_e32 v2, v1
	s_and_saveexec_b64 s[4:5], s[6:7]
	s_cbranch_execz .LBB1281_7
; %bb.6:
	v_lshlrev_b32_e32 v2, 2, v0
	v_mov_b32_e32 v3, s63
	v_add_co_u32_e32 v2, vcc, s62, v2
	v_addc_co_u32_e32 v3, vcc, 0, v3, vcc
	flat_load_dword v2, v[2:3]
.LBB1281_7:
	s_or_b64 exec, exec, s[4:5]
	v_or_b32_e32 v3, 64, v0
	v_cmp_gt_u32_e64 s[8:9], s86, v3
	v_mov_b32_e32 v3, v1
	s_and_saveexec_b64 s[4:5], s[8:9]
	s_cbranch_execz .LBB1281_9
; %bb.8:
	v_lshlrev_b32_e32 v3, 2, v0
	v_mov_b32_e32 v5, s63
	v_add_co_u32_e32 v4, vcc, s62, v3
	v_addc_co_u32_e32 v5, vcc, 0, v5, vcc
	flat_load_dword v3, v[4:5] offset:256
.LBB1281_9:
	s_or_b64 exec, exec, s[4:5]
	v_or_b32_e32 v4, 0x80, v0
	v_cmp_gt_u32_e64 s[10:11], s86, v4
	v_mov_b32_e32 v4, v1
	s_and_saveexec_b64 s[4:5], s[10:11]
	s_cbranch_execz .LBB1281_11
; %bb.10:
	v_lshlrev_b32_e32 v4, 2, v0
	v_mov_b32_e32 v5, s63
	v_add_co_u32_e32 v4, vcc, s62, v4
	v_addc_co_u32_e32 v5, vcc, 0, v5, vcc
	flat_load_dword v4, v[4:5] offset:512
.LBB1281_11:
	;; [unrolled: 13-line block ×15, first 2 shown]
	s_or_b64 exec, exec, s[4:5]
	v_or_b32_e32 v19, 0x400, v0
	v_cmp_gt_u32_e64 s[40:41], s86, v19
	v_mov_b32_e32 v18, v1
	s_and_saveexec_b64 s[4:5], s[40:41]
	s_cbranch_execz .LBB1281_39
; %bb.38:
	v_lshlrev_b32_e32 v18, 2, v19
	v_mov_b32_e32 v19, s63
	v_add_co_u32_e32 v18, vcc, s62, v18
	v_addc_co_u32_e32 v19, vcc, 0, v19, vcc
	flat_load_dword v18, v[18:19]
.LBB1281_39:
	s_or_b64 exec, exec, s[4:5]
	v_or_b32_e32 v20, 0x440, v0
	v_cmp_gt_u32_e64 s[42:43], s86, v20
	v_mov_b32_e32 v19, v1
	s_and_saveexec_b64 s[4:5], s[42:43]
	s_cbranch_execz .LBB1281_41
; %bb.40:
	v_lshlrev_b32_e32 v19, 2, v20
	v_mov_b32_e32 v21, s63
	v_add_co_u32_e32 v20, vcc, s62, v19
	v_addc_co_u32_e32 v21, vcc, 0, v21, vcc
	flat_load_dword v19, v[20:21]
.LBB1281_41:
	;; [unrolled: 13-line block ×7, first 2 shown]
	s_or_b64 exec, exec, s[4:5]
	v_or_b32_e32 v25, 0x5c0, v0
	v_cmp_gt_u32_e64 s[54:55], s86, v25
	s_and_saveexec_b64 s[4:5], s[54:55]
	s_cbranch_execz .LBB1281_53
; %bb.52:
	v_lshlrev_b32_e32 v1, 2, v25
	v_mov_b32_e32 v25, s63
	v_add_co_u32_e32 v26, vcc, s62, v1
	v_addc_co_u32_e32 v27, vcc, 0, v25, vcc
	flat_load_dword v1, v[26:27]
.LBB1281_53:
	s_or_b64 exec, exec, s[4:5]
	v_lshlrev_b32_e32 v25, 2, v0
	s_movk_i32 s4, 0x5c
	s_waitcnt vmcnt(0) lgkmcnt(0)
	ds_write2st64_b32 v25, v2, v3 offset1:1
	ds_write2st64_b32 v25, v4, v5 offset0:2 offset1:3
	ds_write2st64_b32 v25, v6, v7 offset0:4 offset1:5
	;; [unrolled: 1-line block ×11, first 2 shown]
	v_mad_u32_u24 v1, v0, s4, v25
	s_waitcnt lgkmcnt(0)
	; wave barrier
	s_waitcnt lgkmcnt(0)
	ds_read_b128 v[42:45], v1
	ds_read_b128 v[38:41], v1 offset:16
	ds_read_b128 v[34:37], v1 offset:32
	ds_read_b128 v[30:33], v1 offset:48
	ds_read_b128 v[26:29], v1 offset:64
	ds_read_b128 v[22:25], v1 offset:80
	s_cmp_eq_u64 s[72:73], 0
	s_mov_b64 s[4:5], s[62:63]
	s_cbranch_scc1 .LBB1281_57
; %bb.54:
	s_andn2_b64 vcc, exec, s[64:65]
	s_cbranch_vccnz .LBB1281_307
; %bb.55:
	s_lshl_b64 s[4:5], s[72:73], 2
	s_add_u32 s4, s74, s4
	s_addc_u32 s5, s75, s5
	s_add_u32 s4, s4, -4
	s_addc_u32 s5, s5, -1
	s_cbranch_execnz .LBB1281_57
.LBB1281_56:
	s_add_u32 s4, s62, -4
	s_addc_u32 s5, s63, -1
.LBB1281_57:
	v_pk_mov_b32 v[2:3], s[4:5], s[4:5] op_sel:[0,1]
	flat_load_dword v46, v[2:3]
	s_movk_i32 s4, 0xffa4
	v_mad_i32_i24 v1, v0, s4, v1
	s_waitcnt lgkmcnt(0)
	ds_write_b32 v1, v25 offset:6144
	s_waitcnt lgkmcnt(0)
	; wave barrier
	s_waitcnt lgkmcnt(0)
	s_and_saveexec_b64 s[4:5], s[56:57]
	s_cbranch_execz .LBB1281_59
; %bb.58:
	s_waitcnt vmcnt(0)
	ds_read_b32 v46, v1 offset:6140
.LBB1281_59:
	s_or_b64 exec, exec, s[4:5]
	s_waitcnt lgkmcnt(0)
	; wave barrier
	s_waitcnt lgkmcnt(0)
                                        ; implicit-def: $vgpr2
	s_and_saveexec_b64 s[4:5], s[6:7]
	s_cbranch_execnz .LBB1281_284
; %bb.60:
	s_or_b64 exec, exec, s[4:5]
                                        ; implicit-def: $vgpr3
	s_and_saveexec_b64 s[4:5], s[8:9]
	s_cbranch_execnz .LBB1281_285
.LBB1281_61:
	s_or_b64 exec, exec, s[4:5]
                                        ; implicit-def: $vgpr4
	s_and_saveexec_b64 s[4:5], s[10:11]
	s_cbranch_execnz .LBB1281_286
.LBB1281_62:
	s_or_b64 exec, exec, s[4:5]
                                        ; implicit-def: $vgpr5
	s_and_saveexec_b64 s[4:5], s[12:13]
	s_cbranch_execnz .LBB1281_287
.LBB1281_63:
	s_or_b64 exec, exec, s[4:5]
                                        ; implicit-def: $vgpr6
	s_and_saveexec_b64 s[4:5], s[14:15]
	s_cbranch_execnz .LBB1281_288
.LBB1281_64:
	s_or_b64 exec, exec, s[4:5]
                                        ; implicit-def: $vgpr7
	s_and_saveexec_b64 s[4:5], s[16:17]
	s_cbranch_execnz .LBB1281_289
.LBB1281_65:
	s_or_b64 exec, exec, s[4:5]
                                        ; implicit-def: $vgpr8
	s_and_saveexec_b64 s[4:5], s[18:19]
	s_cbranch_execnz .LBB1281_290
.LBB1281_66:
	s_or_b64 exec, exec, s[4:5]
                                        ; implicit-def: $vgpr9
	s_and_saveexec_b64 s[4:5], s[20:21]
	s_cbranch_execnz .LBB1281_291
.LBB1281_67:
	s_or_b64 exec, exec, s[4:5]
                                        ; implicit-def: $vgpr10
	s_and_saveexec_b64 s[4:5], s[22:23]
	s_cbranch_execnz .LBB1281_292
.LBB1281_68:
	s_or_b64 exec, exec, s[4:5]
                                        ; implicit-def: $vgpr11
	s_and_saveexec_b64 s[4:5], s[24:25]
	s_cbranch_execnz .LBB1281_293
.LBB1281_69:
	s_or_b64 exec, exec, s[4:5]
                                        ; implicit-def: $vgpr12
	s_and_saveexec_b64 s[4:5], s[26:27]
	s_cbranch_execnz .LBB1281_294
.LBB1281_70:
	s_or_b64 exec, exec, s[4:5]
                                        ; implicit-def: $vgpr13
	s_and_saveexec_b64 s[4:5], s[28:29]
	s_cbranch_execnz .LBB1281_295
.LBB1281_71:
	s_or_b64 exec, exec, s[4:5]
                                        ; implicit-def: $vgpr14
	s_and_saveexec_b64 s[4:5], s[30:31]
	s_cbranch_execnz .LBB1281_296
.LBB1281_72:
	s_or_b64 exec, exec, s[4:5]
                                        ; implicit-def: $vgpr15
	s_and_saveexec_b64 s[4:5], s[34:35]
	s_cbranch_execnz .LBB1281_297
.LBB1281_73:
	s_or_b64 exec, exec, s[4:5]
                                        ; implicit-def: $vgpr16
	s_and_saveexec_b64 s[4:5], s[36:37]
	s_cbranch_execnz .LBB1281_298
.LBB1281_74:
	s_or_b64 exec, exec, s[4:5]
                                        ; implicit-def: $vgpr17
	s_and_saveexec_b64 s[4:5], s[38:39]
	s_cbranch_execnz .LBB1281_299
.LBB1281_75:
	s_or_b64 exec, exec, s[4:5]
                                        ; implicit-def: $vgpr18
	s_and_saveexec_b64 s[4:5], s[40:41]
	s_cbranch_execnz .LBB1281_300
.LBB1281_76:
	s_or_b64 exec, exec, s[4:5]
                                        ; implicit-def: $vgpr19
	s_and_saveexec_b64 s[4:5], s[42:43]
	s_cbranch_execnz .LBB1281_301
.LBB1281_77:
	s_or_b64 exec, exec, s[4:5]
                                        ; implicit-def: $vgpr20
	s_and_saveexec_b64 s[4:5], s[44:45]
	s_cbranch_execnz .LBB1281_302
.LBB1281_78:
	s_or_b64 exec, exec, s[4:5]
                                        ; implicit-def: $vgpr21
	s_and_saveexec_b64 s[4:5], s[46:47]
	s_cbranch_execnz .LBB1281_303
.LBB1281_79:
	s_or_b64 exec, exec, s[4:5]
                                        ; implicit-def: $vgpr48
	s_and_saveexec_b64 s[4:5], s[48:49]
	s_cbranch_execnz .LBB1281_304
.LBB1281_80:
	s_or_b64 exec, exec, s[4:5]
                                        ; implicit-def: $vgpr49
	s_and_saveexec_b64 s[4:5], s[50:51]
	s_cbranch_execnz .LBB1281_305
.LBB1281_81:
	s_or_b64 exec, exec, s[4:5]
                                        ; implicit-def: $vgpr50
	s_and_saveexec_b64 s[4:5], s[52:53]
	s_cbranch_execnz .LBB1281_306
.LBB1281_82:
	s_or_b64 exec, exec, s[4:5]
                                        ; implicit-def: $vgpr51
	s_and_saveexec_b64 s[4:5], s[54:55]
	s_cbranch_execz .LBB1281_84
.LBB1281_83:
	v_lshlrev_b32_e32 v47, 1, v0
	v_mov_b32_e32 v51, s85
	v_add_co_u32_e32 v52, vcc, s84, v47
	v_addc_co_u32_e32 v53, vcc, 0, v51, vcc
	flat_load_ushort v51, v[52:53] offset:2944
.LBB1281_84:
	s_or_b64 exec, exec, s[4:5]
	v_lshlrev_b32_e32 v47, 1, v0
	s_mov_b32 s8, 0
	v_sub_u32_e32 v47, v1, v47
	s_mov_b32 s9, s8
	s_mov_b32 s6, s8
	s_mov_b32 s7, s8
	v_mul_u32_u24_e32 v53, 24, v0
	s_waitcnt vmcnt(0) lgkmcnt(0)
	ds_write_b16 v47, v2
	ds_write_b16 v47, v3 offset:128
	ds_write_b16 v47, v4 offset:256
	;; [unrolled: 1-line block ×23, first 2 shown]
	s_mov_b32 s10, s8
	s_mov_b32 s11, s8
	;; [unrolled: 1-line block ×18, first 2 shown]
	v_pk_mov_b32 v[20:21], s[6:7], s[6:7] op_sel:[0,1]
	v_pk_mov_b32 v[2:3], s[8:9], s[8:9] op_sel:[0,1]
	v_cmp_gt_u32_e32 vcc, s86, v53
	s_mov_b64 s[28:29], 0
	v_pk_mov_b32 v[50:51], s[24:25], s[24:25] op_sel:[0,1]
	v_pk_mov_b32 v[18:19], s[4:5], s[4:5] op_sel:[0,1]
	;; [unrolled: 1-line block ×9, first 2 shown]
	v_mov_b32_e32 v1, 0
	s_mov_b64 s[6:7], 0
	s_waitcnt lgkmcnt(0)
	; wave barrier
	s_waitcnt lgkmcnt(0)
                                        ; implicit-def: $sgpr4_sgpr5
                                        ; implicit-def: $vgpr52
	s_and_saveexec_b64 s[10:11], vcc
	s_cbranch_execz .LBB1281_130
; %bb.85:
	v_mad_u32_u24 v1, v0, 46, v47
	ds_read_u16 v1, v1
	v_cmp_ne_u32_e32 vcc, v46, v42
	s_mov_b32 s12, 0
	v_or_b32_e32 v2, 1, v53
	v_cndmask_b32_e64 v3, 0, 1, vcc
	s_mov_b32 s13, s12
	s_mov_b32 s6, s12
	s_mov_b32 s7, s12
	v_cmp_gt_u32_e32 vcc, s86, v2
	s_waitcnt lgkmcnt(0)
	v_lshl_or_b32 v1, v3, 16, v1
	s_mov_b32 s14, s12
	s_mov_b32 s15, s12
	;; [unrolled: 1-line block ×18, first 2 shown]
	v_pk_mov_b32 v[20:21], s[6:7], s[6:7] op_sel:[0,1]
	v_pk_mov_b32 v[2:3], s[12:13], s[12:13] op_sel:[0,1]
	s_mov_b64 s[34:35], 0
	v_pk_mov_b32 v[50:51], s[30:31], s[30:31] op_sel:[0,1]
	v_pk_mov_b32 v[18:19], s[4:5], s[4:5] op_sel:[0,1]
	;; [unrolled: 1-line block ×9, first 2 shown]
                                        ; implicit-def: $sgpr36_sgpr37
                                        ; implicit-def: $vgpr52
	s_and_saveexec_b64 s[30:31], vcc
	s_cbranch_execz .LBB1281_129
; %bb.86:
	v_mul_u32_u24_e32 v2, 46, v0
	v_add_u32_e32 v54, v47, v2
	ds_read_b128 v[46:49], v54 offset:2
	v_or_b32_e32 v2, 2, v53
	v_cmp_ne_u32_e32 vcc, v42, v43
	v_cndmask_b32_e64 v3, 0, 1, vcc
	v_cmp_gt_u32_e32 vcc, s86, v2
	s_waitcnt lgkmcnt(0)
	v_and_b32_e32 v2, 0xffff, v46
	v_lshl_or_b32 v50, v3, 16, v2
	v_pk_mov_b32 v[20:21], s[6:7], s[6:7] op_sel:[0,1]
	v_pk_mov_b32 v[2:3], s[12:13], s[12:13] op_sel:[0,1]
	v_mov_b32_e32 v51, 0
	v_pk_mov_b32 v[18:19], s[4:5], s[4:5] op_sel:[0,1]
	v_pk_mov_b32 v[4:5], s[14:15], s[14:15] op_sel:[0,1]
	;; [unrolled: 1-line block ×8, first 2 shown]
                                        ; implicit-def: $sgpr12_sgpr13
                                        ; implicit-def: $vgpr52
	s_and_saveexec_b64 s[6:7], vcc
	s_cbranch_execz .LBB1281_128
; %bb.87:
	v_cmp_ne_u32_e32 vcc, v43, v44
	s_mov_b32 s12, 0
	v_or_b32_e32 v2, 3, v53
	v_cndmask_b32_e64 v3, 0, 1, vcc
	s_mov_b32 s13, s12
	s_mov_b32 s36, s12
	;; [unrolled: 1-line block ×3, first 2 shown]
	v_alignbit_b32 v51, v3, v46, 16
	v_cmp_gt_u32_e32 vcc, s86, v2
	s_mov_b32 s14, s12
	s_mov_b32 s15, s12
	;; [unrolled: 1-line block ×16, first 2 shown]
	v_pk_mov_b32 v[18:19], s[36:37], s[36:37] op_sel:[0,1]
	v_pk_mov_b32 v[2:3], s[12:13], s[12:13] op_sel:[0,1]
	s_mov_b64 s[4:5], 0
	v_pk_mov_b32 v[20:21], s[38:39], s[38:39] op_sel:[0,1]
	v_pk_mov_b32 v[4:5], s[14:15], s[14:15] op_sel:[0,1]
	;; [unrolled: 1-line block ×8, first 2 shown]
                                        ; implicit-def: $sgpr36_sgpr37
                                        ; implicit-def: $vgpr52
	s_and_saveexec_b64 s[34:35], vcc
	s_cbranch_execz .LBB1281_127
; %bb.88:
	v_cmp_ne_u32_e32 vcc, v44, v45
	v_and_b32_e32 v2, 0xffff, v47
	v_or_b32_e32 v3, 4, v53
	v_cndmask_b32_e64 v4, 0, 1, vcc
	v_lshl_or_b32 v18, v4, 16, v2
	v_cmp_gt_u32_e32 vcc, s86, v3
	v_mov_b32_e32 v20, 0
	v_pk_mov_b32 v[2:3], s[12:13], s[12:13] op_sel:[0,1]
	v_mov_b32_e32 v19, v20
	v_mov_b32_e32 v21, v20
	v_pk_mov_b32 v[4:5], s[14:15], s[14:15] op_sel:[0,1]
	v_pk_mov_b32 v[6:7], s[16:17], s[16:17] op_sel:[0,1]
	;; [unrolled: 1-line block ×7, first 2 shown]
                                        ; implicit-def: $sgpr12_sgpr13
                                        ; implicit-def: $vgpr52
	s_and_saveexec_b64 s[36:37], vcc
	s_cbranch_execz .LBB1281_126
; %bb.89:
	v_cmp_ne_u32_e32 vcc, v45, v38
	s_mov_b32 s12, 0
	v_or_b32_e32 v2, 5, v53
	v_cndmask_b32_e64 v3, 0, 1, vcc
	s_mov_b32 s13, s12
	v_alignbit_b32 v19, v3, v47, 16
	v_cmp_gt_u32_e32 vcc, s86, v2
	s_mov_b32 s14, s12
	s_mov_b32 s15, s12
	s_mov_b32 s16, s12
	s_mov_b32 s17, s12
	s_mov_b32 s18, s12
	s_mov_b32 s19, s12
	s_mov_b32 s20, s12
	s_mov_b32 s21, s12
	s_mov_b32 s22, s12
	s_mov_b32 s23, s12
	s_mov_b32 s24, s12
	s_mov_b32 s25, s12
	s_mov_b32 s26, s12
	s_mov_b32 s27, s12
	v_pk_mov_b32 v[2:3], s[12:13], s[12:13] op_sel:[0,1]
	v_mov_b32_e32 v21, v20
	v_pk_mov_b32 v[4:5], s[14:15], s[14:15] op_sel:[0,1]
	v_pk_mov_b32 v[6:7], s[16:17], s[16:17] op_sel:[0,1]
	;; [unrolled: 1-line block ×7, first 2 shown]
                                        ; implicit-def: $sgpr40_sgpr41
                                        ; implicit-def: $vgpr52
	s_and_saveexec_b64 s[38:39], vcc
	s_cbranch_execz .LBB1281_125
; %bb.90:
	v_cmp_ne_u32_e32 vcc, v38, v39
	v_and_b32_e32 v2, 0xffff, v48
	v_or_b32_e32 v3, 6, v53
	v_cndmask_b32_e64 v4, 0, 1, vcc
	v_lshl_or_b32 v20, v4, 16, v2
	v_cmp_gt_u32_e32 vcc, s86, v3
	v_pk_mov_b32 v[2:3], s[12:13], s[12:13] op_sel:[0,1]
	v_mov_b32_e32 v21, s12
	v_pk_mov_b32 v[4:5], s[14:15], s[14:15] op_sel:[0,1]
	v_pk_mov_b32 v[6:7], s[16:17], s[16:17] op_sel:[0,1]
	;; [unrolled: 1-line block ×7, first 2 shown]
                                        ; implicit-def: $sgpr12_sgpr13
                                        ; implicit-def: $vgpr52
	s_and_saveexec_b64 s[40:41], vcc
	s_cbranch_execz .LBB1281_124
; %bb.91:
	v_cmp_ne_u32_e32 vcc, v39, v40
	s_mov_b32 s12, 0
	v_or_b32_e32 v2, 7, v53
	v_cndmask_b32_e64 v3, 0, 1, vcc
	s_mov_b32 s13, s12
	v_alignbit_b32 v21, v3, v48, 16
	v_cmp_gt_u32_e32 vcc, s86, v2
	s_mov_b32 s14, s12
	s_mov_b32 s15, s12
	;; [unrolled: 1-line block ×14, first 2 shown]
	v_pk_mov_b32 v[2:3], s[12:13], s[12:13] op_sel:[0,1]
	v_pk_mov_b32 v[4:5], s[14:15], s[14:15] op_sel:[0,1]
	;; [unrolled: 1-line block ×8, first 2 shown]
                                        ; implicit-def: $sgpr14_sgpr15
                                        ; implicit-def: $vgpr52
	s_and_saveexec_b64 s[12:13], vcc
	s_cbranch_execz .LBB1281_123
; %bb.92:
	v_cmp_ne_u32_e32 vcc, v40, v41
	v_and_b32_e32 v2, 0xffff, v49
	v_cndmask_b32_e64 v4, 0, 1, vcc
	v_add_u32_e32 v3, 8, v53
	v_lshl_or_b32 v2, v4, 16, v2
	v_mov_b32_e32 v4, 0
	v_cmp_gt_u32_e32 vcc, s86, v3
	v_mov_b32_e32 v3, v4
	v_mov_b32_e32 v5, v4
	;; [unrolled: 1-line block ×14, first 2 shown]
                                        ; implicit-def: $sgpr16_sgpr17
                                        ; implicit-def: $vgpr52
	s_and_saveexec_b64 s[14:15], vcc
	s_cbranch_execz .LBB1281_122
; %bb.93:
	v_cmp_ne_u32_e32 vcc, v41, v34
	v_add_u32_e32 v5, 9, v53
	v_cndmask_b32_e64 v3, 0, 1, vcc
	v_alignbit_b32 v3, v3, v49, 16
	v_cmp_gt_u32_e32 vcc, s86, v5
	v_mov_b32_e32 v5, v4
	v_mov_b32_e32 v6, v4
	;; [unrolled: 1-line block ×13, first 2 shown]
                                        ; implicit-def: $sgpr18_sgpr19
                                        ; implicit-def: $vgpr52
	s_and_saveexec_b64 s[16:17], vcc
	s_cbranch_execz .LBB1281_121
; %bb.94:
	ds_read_b128 v[38:41], v54 offset:18
	v_add_u32_e32 v4, 10, v53
	v_cmp_ne_u32_e32 vcc, v34, v35
	v_cndmask_b32_e64 v5, 0, 1, vcc
	v_cmp_gt_u32_e32 vcc, s86, v4
	s_waitcnt lgkmcnt(0)
	v_and_b32_e32 v4, 0xffff, v38
	v_mov_b32_e32 v6, 0
	v_lshl_or_b32 v4, v5, 16, v4
	v_mov_b32_e32 v5, v6
	v_mov_b32_e32 v7, v6
	;; [unrolled: 1-line block ×12, first 2 shown]
                                        ; implicit-def: $sgpr20_sgpr21
                                        ; implicit-def: $vgpr52
	s_and_saveexec_b64 s[18:19], vcc
	s_cbranch_execz .LBB1281_120
; %bb.95:
	v_cmp_ne_u32_e32 vcc, v35, v36
	v_add_u32_e32 v7, 11, v53
	v_cndmask_b32_e64 v5, 0, 1, vcc
	v_alignbit_b32 v5, v5, v38, 16
	v_cmp_gt_u32_e32 vcc, s86, v7
	v_mov_b32_e32 v7, v6
	v_mov_b32_e32 v8, v6
	;; [unrolled: 1-line block ×11, first 2 shown]
                                        ; implicit-def: $sgpr22_sgpr23
                                        ; implicit-def: $vgpr52
	s_and_saveexec_b64 s[20:21], vcc
	s_cbranch_execz .LBB1281_119
; %bb.96:
	v_cmp_ne_u32_e32 vcc, v36, v37
	v_and_b32_e32 v6, 0xffff, v39
	v_cndmask_b32_e64 v8, 0, 1, vcc
	v_add_u32_e32 v7, 12, v53
	v_lshl_or_b32 v6, v8, 16, v6
	v_mov_b32_e32 v8, 0
	v_cmp_gt_u32_e32 vcc, s86, v7
	v_mov_b32_e32 v7, v8
	v_mov_b32_e32 v9, v8
	;; [unrolled: 1-line block ×10, first 2 shown]
                                        ; implicit-def: $sgpr24_sgpr25
                                        ; implicit-def: $vgpr52
	s_and_saveexec_b64 s[22:23], vcc
	s_cbranch_execz .LBB1281_118
; %bb.97:
	v_cmp_ne_u32_e32 vcc, v37, v30
	v_add_u32_e32 v9, 13, v53
	v_cndmask_b32_e64 v7, 0, 1, vcc
	v_alignbit_b32 v7, v7, v39, 16
	v_cmp_gt_u32_e32 vcc, s86, v9
	v_mov_b32_e32 v9, v8
	v_mov_b32_e32 v10, v8
	;; [unrolled: 1-line block ×9, first 2 shown]
                                        ; implicit-def: $sgpr26_sgpr27
                                        ; implicit-def: $vgpr52
	s_and_saveexec_b64 s[24:25], vcc
	s_cbranch_execz .LBB1281_117
; %bb.98:
	v_cmp_ne_u32_e32 vcc, v30, v31
	v_and_b32_e32 v8, 0xffff, v40
	v_cndmask_b32_e64 v10, 0, 1, vcc
	v_add_u32_e32 v9, 14, v53
	v_lshl_or_b32 v8, v10, 16, v8
	v_mov_b32_e32 v10, 0
	v_cmp_gt_u32_e32 vcc, s86, v9
	v_mov_b32_e32 v9, v10
	v_mov_b32_e32 v11, v10
	;; [unrolled: 1-line block ×8, first 2 shown]
                                        ; implicit-def: $sgpr42_sgpr43
                                        ; implicit-def: $vgpr52
	s_and_saveexec_b64 s[26:27], vcc
	s_cbranch_execz .LBB1281_116
; %bb.99:
	v_cmp_ne_u32_e32 vcc, v31, v32
	v_add_u32_e32 v11, 15, v53
	v_cndmask_b32_e64 v9, 0, 1, vcc
	v_alignbit_b32 v9, v9, v40, 16
	v_cmp_gt_u32_e32 vcc, s86, v11
	v_mov_b32_e32 v11, v10
	v_mov_b32_e32 v12, v10
	;; [unrolled: 1-line block ×7, first 2 shown]
                                        ; implicit-def: $sgpr44_sgpr45
                                        ; implicit-def: $vgpr52
	s_and_saveexec_b64 s[42:43], vcc
	s_cbranch_execz .LBB1281_115
; %bb.100:
	v_cmp_ne_u32_e32 vcc, v32, v33
	v_and_b32_e32 v10, 0xffff, v41
	v_cndmask_b32_e64 v12, 0, 1, vcc
	v_add_u32_e32 v11, 16, v53
	v_lshl_or_b32 v10, v12, 16, v10
	v_mov_b32_e32 v12, 0
	v_cmp_gt_u32_e32 vcc, s86, v11
	v_mov_b32_e32 v11, v12
	v_mov_b32_e32 v13, v12
	;; [unrolled: 1-line block ×6, first 2 shown]
                                        ; implicit-def: $sgpr46_sgpr47
                                        ; implicit-def: $vgpr52
	s_and_saveexec_b64 s[44:45], vcc
	s_cbranch_execz .LBB1281_114
; %bb.101:
	v_cmp_ne_u32_e32 vcc, v33, v26
	v_add_u32_e32 v13, 17, v53
	v_cndmask_b32_e64 v11, 0, 1, vcc
	v_alignbit_b32 v11, v11, v41, 16
	v_cmp_gt_u32_e32 vcc, s86, v13
	v_mov_b32_e32 v13, v12
	v_mov_b32_e32 v14, v12
	;; [unrolled: 1-line block ×5, first 2 shown]
                                        ; implicit-def: $sgpr48_sgpr49
                                        ; implicit-def: $vgpr52
	s_and_saveexec_b64 s[46:47], vcc
	s_cbranch_execz .LBB1281_113
; %bb.102:
	ds_read_b96 v[30:32], v54 offset:34
	v_add_u32_e32 v12, 18, v53
	v_cmp_ne_u32_e32 vcc, v26, v27
	v_cndmask_b32_e64 v13, 0, 1, vcc
	v_cmp_gt_u32_e32 vcc, s86, v12
	s_waitcnt lgkmcnt(0)
	v_and_b32_e32 v12, 0xffff, v30
	v_mov_b32_e32 v14, 0
	v_lshl_or_b32 v12, v13, 16, v12
	v_mov_b32_e32 v13, v14
	v_mov_b32_e32 v15, v14
	;; [unrolled: 1-line block ×4, first 2 shown]
                                        ; implicit-def: $sgpr50_sgpr51
                                        ; implicit-def: $vgpr52
	s_and_saveexec_b64 s[48:49], vcc
	s_cbranch_execz .LBB1281_112
; %bb.103:
	v_cmp_ne_u32_e32 vcc, v27, v28
	v_add_u32_e32 v15, 19, v53
	v_cndmask_b32_e64 v13, 0, 1, vcc
	v_alignbit_b32 v13, v13, v30, 16
	v_cmp_gt_u32_e32 vcc, s86, v15
	v_mov_b32_e32 v15, v14
	v_mov_b32_e32 v16, v14
	;; [unrolled: 1-line block ×3, first 2 shown]
                                        ; implicit-def: $sgpr52_sgpr53
                                        ; implicit-def: $vgpr52
	s_and_saveexec_b64 s[50:51], vcc
	s_cbranch_execz .LBB1281_111
; %bb.104:
	v_cmp_ne_u32_e32 vcc, v28, v29
	v_and_b32_e32 v14, 0xffff, v31
	v_cndmask_b32_e64 v16, 0, 1, vcc
	v_add_u32_e32 v15, 20, v53
	v_lshl_or_b32 v14, v16, 16, v14
	v_mov_b32_e32 v16, 0
	v_cmp_gt_u32_e32 vcc, s86, v15
	v_mov_b32_e32 v15, v16
	v_mov_b32_e32 v17, v16
                                        ; implicit-def: $sgpr54_sgpr55
                                        ; implicit-def: $vgpr52
	s_and_saveexec_b64 s[52:53], vcc
	s_cbranch_execz .LBB1281_110
; %bb.105:
	v_cmp_ne_u32_e32 vcc, v29, v22
	v_add_u32_e32 v17, 21, v53
	v_cndmask_b32_e64 v15, 0, 1, vcc
	v_alignbit_b32 v15, v15, v31, 16
	v_cmp_gt_u32_e32 vcc, s86, v17
	s_mov_b32 s9, 0
	v_mov_b32_e32 v17, v16
                                        ; implicit-def: $sgpr68_sgpr69
                                        ; implicit-def: $vgpr52
	s_and_saveexec_b64 s[54:55], vcc
	s_cbranch_execz .LBB1281_109
; %bb.106:
	v_cmp_ne_u32_e32 vcc, v22, v23
	v_and_b32_e32 v16, 0xffff, v32
	v_add_u32_e32 v17, 22, v53
	v_cndmask_b32_e64 v22, 0, 1, vcc
	v_lshl_or_b32 v16, v22, 16, v16
	v_cmp_gt_u32_e32 vcc, s86, v17
	v_mov_b32_e32 v17, s9
                                        ; implicit-def: $sgpr68_sgpr69
                                        ; implicit-def: $vgpr52
	s_and_saveexec_b64 s[82:83], vcc
	s_xor_b64 s[82:83], exec, s[82:83]
	s_cbranch_execz .LBB1281_108
; %bb.107:
	ds_read_u16 v52, v54 offset:46
	v_add_u32_e32 v22, 23, v53
	v_cmp_ne_u32_e64 s[4:5], v23, v24
	v_cmp_ne_u32_e32 vcc, v24, v25
	v_cndmask_b32_e64 v17, 0, 1, s[4:5]
	v_cmp_gt_u32_e64 s[4:5], s86, v22
	v_alignbit_b32 v17, v17, v32, 16
	s_and_b64 s[68:69], vcc, exec
	s_and_b64 s[4:5], s[4:5], exec
.LBB1281_108:
	s_or_b64 exec, exec, s[82:83]
	s_and_b64 s[68:69], s[68:69], exec
	s_and_b64 s[4:5], s[4:5], exec
.LBB1281_109:
	s_or_b64 exec, exec, s[54:55]
	s_and_b64 s[54:55], s[68:69], exec
	s_and_b64 s[4:5], s[4:5], exec
.LBB1281_110:
	s_or_b64 exec, exec, s[52:53]
	s_and_b64 s[52:53], s[54:55], exec
	s_and_b64 s[4:5], s[4:5], exec
.LBB1281_111:
	s_or_b64 exec, exec, s[50:51]
	s_and_b64 s[50:51], s[52:53], exec
	s_and_b64 s[4:5], s[4:5], exec
.LBB1281_112:
	s_or_b64 exec, exec, s[48:49]
	s_and_b64 s[48:49], s[50:51], exec
	s_and_b64 s[4:5], s[4:5], exec
.LBB1281_113:
	s_or_b64 exec, exec, s[46:47]
	s_and_b64 s[46:47], s[48:49], exec
	s_and_b64 s[4:5], s[4:5], exec
.LBB1281_114:
	s_or_b64 exec, exec, s[44:45]
	s_and_b64 s[44:45], s[46:47], exec
	s_and_b64 s[4:5], s[4:5], exec
.LBB1281_115:
	s_or_b64 exec, exec, s[42:43]
	s_and_b64 s[42:43], s[44:45], exec
	s_and_b64 s[4:5], s[4:5], exec
.LBB1281_116:
	s_or_b64 exec, exec, s[26:27]
	s_and_b64 s[26:27], s[42:43], exec
	s_and_b64 s[4:5], s[4:5], exec
.LBB1281_117:
	s_or_b64 exec, exec, s[24:25]
	s_and_b64 s[24:25], s[26:27], exec
	s_and_b64 s[4:5], s[4:5], exec
.LBB1281_118:
	s_or_b64 exec, exec, s[22:23]
	s_and_b64 s[22:23], s[24:25], exec
	s_and_b64 s[4:5], s[4:5], exec
.LBB1281_119:
	s_or_b64 exec, exec, s[20:21]
	s_and_b64 s[20:21], s[22:23], exec
	s_and_b64 s[4:5], s[4:5], exec
.LBB1281_120:
	s_or_b64 exec, exec, s[18:19]
	s_and_b64 s[18:19], s[20:21], exec
	s_and_b64 s[4:5], s[4:5], exec
.LBB1281_121:
	s_or_b64 exec, exec, s[16:17]
	s_and_b64 s[16:17], s[18:19], exec
	s_and_b64 s[4:5], s[4:5], exec
.LBB1281_122:
	s_or_b64 exec, exec, s[14:15]
	s_and_b64 s[14:15], s[16:17], exec
	s_and_b64 s[4:5], s[4:5], exec
.LBB1281_123:
	s_or_b64 exec, exec, s[12:13]
	s_and_b64 s[12:13], s[14:15], exec
	s_and_b64 s[4:5], s[4:5], exec
.LBB1281_124:
	s_or_b64 exec, exec, s[40:41]
	s_and_b64 s[40:41], s[12:13], exec
	s_and_b64 s[4:5], s[4:5], exec
.LBB1281_125:
	s_or_b64 exec, exec, s[38:39]
	s_and_b64 s[12:13], s[40:41], exec
	s_and_b64 s[4:5], s[4:5], exec
.LBB1281_126:
	s_or_b64 exec, exec, s[36:37]
	s_and_b64 s[36:37], s[12:13], exec
	s_and_b64 s[4:5], s[4:5], exec
.LBB1281_127:
	s_or_b64 exec, exec, s[34:35]
	s_and_b64 s[12:13], s[36:37], exec
	s_and_b64 s[34:35], s[4:5], exec
.LBB1281_128:
	s_or_b64 exec, exec, s[6:7]
	s_and_b64 s[36:37], s[12:13], exec
	s_and_b64 s[34:35], s[34:35], exec
.LBB1281_129:
	s_or_b64 exec, exec, s[30:31]
	s_and_b64 s[4:5], s[36:37], exec
	s_and_b64 s[6:7], s[34:35], exec
.LBB1281_130:
	s_or_b64 exec, exec, s[10:11]
	s_and_b64 vcc, exec, s[28:29]
	s_cbranch_vccnz .LBB1281_132
	s_branch .LBB1281_140
.LBB1281_131:
                                        ; implicit-def: $sgpr4_sgpr5
                                        ; implicit-def: $vgpr50_vgpr51
                                        ; implicit-def: $vgpr18_vgpr19_vgpr20_vgpr21
                                        ; implicit-def: $vgpr2_vgpr3_vgpr4_vgpr5_vgpr6_vgpr7_vgpr8_vgpr9_vgpr10_vgpr11_vgpr12_vgpr13_vgpr14_vgpr15_vgpr16_vgpr17
                                        ; implicit-def: $vgpr52
                                        ; implicit-def: $vgpr1
                                        ; implicit-def: $sgpr8
	s_and_b64 vcc, exec, s[28:29]
	s_cbranch_vccz .LBB1281_140
.LBB1281_132:
	v_lshlrev_b32_e32 v4, 2, v0
	v_mov_b32_e32 v1, s63
	v_add_co_u32_e32 v2, vcc, s62, v4
	v_addc_co_u32_e32 v3, vcc, 0, v1, vcc
	s_movk_i32 s4, 0x1000
	flat_load_dword v5, v[2:3]
	flat_load_dword v6, v[2:3] offset:256
	flat_load_dword v7, v[2:3] offset:512
	;; [unrolled: 1-line block ×15, first 2 shown]
	v_add_co_u32_e32 v2, vcc, s4, v2
	v_addc_co_u32_e32 v3, vcc, 0, v3, vcc
	flat_load_dword v21, v[2:3]
	flat_load_dword v22, v[2:3] offset:256
	flat_load_dword v23, v[2:3] offset:512
	;; [unrolled: 1-line block ×7, first 2 shown]
	s_movk_i32 s4, 0x5c
	v_mad_u32_u24 v1, v0, s4, v4
	s_cmp_eq_u64 s[72:73], 0
	s_waitcnt vmcnt(0) lgkmcnt(0)
	ds_write2st64_b32 v4, v5, v6 offset1:1
	ds_write2st64_b32 v4, v7, v8 offset0:2 offset1:3
	ds_write2st64_b32 v4, v9, v10 offset0:4 offset1:5
	;; [unrolled: 1-line block ×11, first 2 shown]
	s_waitcnt lgkmcnt(0)
	; wave barrier
	s_waitcnt lgkmcnt(0)
	ds_read2_b64 v[2:5], v1 offset1:11
	ds_read2_b64 v[34:37], v1 offset0:9 offset1:10
	ds_read2_b64 v[30:33], v1 offset0:7 offset1:8
	;; [unrolled: 1-line block ×5, first 2 shown]
	s_cbranch_scc1 .LBB1281_137
; %bb.133:
	s_andn2_b64 vcc, exec, s[64:65]
	s_cbranch_vccnz .LBB1281_308
; %bb.134:
	s_lshl_b64 s[4:5], s[72:73], 2
	s_add_u32 s4, s74, s4
	s_addc_u32 s5, s75, s5
	s_add_u32 s4, s4, -4
	s_addc_u32 s5, s5, -1
	s_cbranch_execnz .LBB1281_136
.LBB1281_135:
	s_add_u32 s4, s62, -4
	s_addc_u32 s5, s63, -1
.LBB1281_136:
	s_mov_b64 s[62:63], s[4:5]
.LBB1281_137:
	v_pk_mov_b32 v[10:11], s[62:63], s[62:63] op_sel:[0,1]
	flat_load_dword v10, v[10:11]
	s_movk_i32 s4, 0xffa4
	v_mad_i32_i24 v1, v0, s4, v1
	s_waitcnt lgkmcnt(0)
	ds_write_b32 v1, v5 offset:6144
	s_waitcnt lgkmcnt(0)
	; wave barrier
	s_waitcnt lgkmcnt(0)
	s_and_saveexec_b64 s[4:5], s[56:57]
	s_cbranch_execz .LBB1281_139
; %bb.138:
	s_waitcnt vmcnt(0)
	ds_read_b32 v10, v1 offset:6140
.LBB1281_139:
	s_or_b64 exec, exec, s[4:5]
	v_lshlrev_b32_e32 v11, 1, v0
	v_mov_b32_e32 v13, s85
	v_add_co_u32_e32 v12, vcc, s84, v11
	v_addc_co_u32_e32 v13, vcc, 0, v13, vcc
	s_waitcnt lgkmcnt(0)
	; wave barrier
	s_waitcnt lgkmcnt(0)
	flat_load_ushort v14, v[12:13]
	flat_load_ushort v15, v[12:13] offset:128
	flat_load_ushort v16, v[12:13] offset:256
	flat_load_ushort v17, v[12:13] offset:384
	flat_load_ushort v18, v[12:13] offset:512
	flat_load_ushort v19, v[12:13] offset:640
	flat_load_ushort v20, v[12:13] offset:768
	flat_load_ushort v21, v[12:13] offset:896
	flat_load_ushort v38, v[12:13] offset:1024
	flat_load_ushort v39, v[12:13] offset:1152
	flat_load_ushort v40, v[12:13] offset:1280
	flat_load_ushort v41, v[12:13] offset:1408
	flat_load_ushort v42, v[12:13] offset:1536
	flat_load_ushort v43, v[12:13] offset:1664
	flat_load_ushort v44, v[12:13] offset:1792
	flat_load_ushort v45, v[12:13] offset:1920
	flat_load_ushort v46, v[12:13] offset:2048
	flat_load_ushort v47, v[12:13] offset:2176
	flat_load_ushort v48, v[12:13] offset:2304
	flat_load_ushort v49, v[12:13] offset:2432
	flat_load_ushort v50, v[12:13] offset:2560
	flat_load_ushort v51, v[12:13] offset:2688
	flat_load_ushort v52, v[12:13] offset:2816
	flat_load_ushort v53, v[12:13] offset:2944
	s_waitcnt vmcnt(0)
	v_cmp_ne_u32_e32 vcc, v10, v2
	v_cmp_ne_u32_e64 s[4:5], v4, v5
	v_cndmask_b32_e64 v5, 0, 1, vcc
	v_cmp_ne_u32_e32 vcc, v3, v6
	v_cndmask_b32_e64 v13, 0, 1, vcc
	v_cmp_ne_u32_e32 vcc, v2, v3
	;; [unrolled: 2-line block ×4, first 2 shown]
	v_sub_u32_e32 v1, v1, v11
	v_cndmask_b32_e64 v54, 0, 1, vcc
	v_cmp_ne_u32_e32 vcc, v8, v9
	v_mad_u32_u24 v57, v0, 46, v1
	v_cndmask_b32_e64 v55, 0, 1, vcc
	v_cmp_ne_u32_e32 vcc, v6, v7
	v_cndmask_b32_e64 v56, 0, 1, vcc
	v_cmp_ne_u32_e32 vcc, v37, v4
	s_mov_b64 s[6:7], -1
                                        ; implicit-def: $sgpr8
	s_waitcnt lgkmcnt(0)
	ds_write_b16 v1, v14
	ds_write_b16 v1, v15 offset:128
	ds_write_b16 v1, v16 offset:256
	;; [unrolled: 1-line block ×23, first 2 shown]
	s_waitcnt lgkmcnt(0)
	; wave barrier
	s_waitcnt lgkmcnt(0)
	ds_read_u16 v1, v57
	ds_read_b96 v[10:12], v57 offset:2
	ds_read_b128 v[38:41], v57 offset:14
	ds_read_b128 v[6:9], v57 offset:30
	ds_read_u16 v52, v57 offset:46
	s_waitcnt lgkmcnt(4)
	v_lshl_or_b32 v1, v5, 16, v1
	s_waitcnt lgkmcnt(3)
	v_alignbit_b32 v21, v3, v12, 16
	v_cndmask_b32_e64 v3, 0, 1, vcc
	v_cmp_ne_u32_e32 vcc, v35, v36
	s_waitcnt lgkmcnt(1)
	v_alignbit_b32 v17, v3, v9, 16
	v_cndmask_b32_e64 v3, 0, 1, vcc
	v_cmp_ne_u32_e32 vcc, v33, v34
	v_alignbit_b32 v51, v13, v10, 16
	v_and_b32_e32 v13, 0xffff, v12
	v_alignbit_b32 v15, v3, v8, 16
	v_cndmask_b32_e64 v3, 0, 1, vcc
	v_cmp_ne_u32_e32 vcc, v31, v32
	v_lshl_or_b32 v20, v55, 16, v13
	v_alignbit_b32 v13, v3, v7, 16
	v_cndmask_b32_e64 v3, 0, 1, vcc
	v_cmp_ne_u32_e32 vcc, v29, v30
	v_and_b32_e32 v5, 0xffff, v10
	v_and_b32_e32 v10, 0xffff, v11
	v_alignbit_b32 v19, v54, v11, 16
	v_alignbit_b32 v11, v3, v6, 16
	v_cndmask_b32_e64 v3, 0, 1, vcc
	v_cmp_ne_u32_e32 vcc, v27, v28
	v_and_b32_e32 v16, 0xffff, v9
	v_alignbit_b32 v9, v3, v41, 16
	v_cndmask_b32_e64 v3, 0, 1, vcc
	v_cmp_ne_u32_e32 vcc, v25, v26
	v_and_b32_e32 v12, 0xffff, v7
	v_alignbit_b32 v7, v3, v40, 16
	v_cndmask_b32_e64 v3, 0, 1, vcc
	v_cmp_ne_u32_e32 vcc, v23, v24
	v_lshl_or_b32 v50, v2, 16, v5
	v_alignbit_b32 v5, v3, v39, 16
	v_cndmask_b32_e64 v3, 0, 1, vcc
	v_cmp_ne_u32_e32 vcc, v36, v37
	v_cndmask_b32_e64 v4, 0, 1, vcc
	v_cmp_ne_u32_e32 vcc, v34, v35
	v_and_b32_e32 v14, 0xffff, v8
	v_lshl_or_b32 v16, v4, 16, v16
	v_cndmask_b32_e64 v4, 0, 1, vcc
	v_cmp_ne_u32_e32 vcc, v32, v33
	v_lshl_or_b32 v14, v4, 16, v14
	v_cndmask_b32_e64 v4, 0, 1, vcc
	v_cmp_ne_u32_e32 vcc, v30, v31
	v_lshl_or_b32 v18, v56, 16, v10
	v_and_b32_e32 v10, 0xffff, v6
	v_lshl_or_b32 v12, v4, 16, v12
	v_cndmask_b32_e64 v4, 0, 1, vcc
	v_cmp_ne_u32_e32 vcc, v28, v29
	v_and_b32_e32 v44, 0xffff, v41
	v_lshl_or_b32 v10, v4, 16, v10
	v_cndmask_b32_e64 v4, 0, 1, vcc
	v_cmp_ne_u32_e32 vcc, v26, v27
	;; [unrolled: 4-line block ×3, first 2 shown]
	v_lshl_or_b32 v6, v4, 16, v43
	v_cndmask_b32_e64 v4, 0, 1, vcc
	v_cmp_ne_u32_e32 vcc, v22, v23
	v_and_b32_e32 v2, 0xffff, v38
	v_and_b32_e32 v42, 0xffff, v39
	v_cndmask_b32_e64 v22, 0, 1, vcc
	v_alignbit_b32 v3, v3, v38, 16
	v_lshl_or_b32 v4, v4, 16, v42
	v_lshl_or_b32 v2, v22, 16, v2
.LBB1281_140:
	v_mov_b32_e32 v32, s8
	s_and_saveexec_b64 s[8:9], s[6:7]
	s_cbranch_execz .LBB1281_142
; %bb.141:
	v_mov_b32_e32 v22, 0x10000
	v_cndmask_b32_e64 v22, 0, v22, s[4:5]
	s_waitcnt lgkmcnt(0)
	v_or_b32_sdwa v32, v22, v52 dst_sel:DWORD dst_unused:UNUSED_PAD src0_sel:DWORD src1_sel:WORD_0
.LBB1281_142:
	s_or_b64 exec, exec, s[8:9]
	s_cmp_lg_u32 s79, 0
	v_mbcnt_lo_u32_b32 v33, -1, 0
	s_waitcnt lgkmcnt(0)
	; wave barrier
	s_waitcnt lgkmcnt(0)
	s_cbranch_scc0 .LBB1281_205
; %bb.143:
	s_mov_b32 s4, 0x10000
	v_cmp_gt_u32_e64 s[6:7], s4, v50
	v_cndmask_b32_e64 v22, 0, v1, s[6:7]
	v_add_u16_e32 v22, v22, v50
	v_cmp_gt_u32_e64 s[8:9], s4, v51
	v_cndmask_b32_e64 v22, 0, v22, s[8:9]
	v_add_u16_e32 v22, v22, v51
	;; [unrolled: 3-line block ×16, first 2 shown]
	v_cmp_gt_u32_e64 s[40:41], s4, v12
	v_cndmask_b32_e64 v22, 0, v22, s[40:41]
	v_or3_b32 v23, v32, v17, v16
	v_add_u16_e32 v22, v22, v12
	v_cmp_gt_u32_e64 s[42:43], s4, v13
	v_or3_b32 v23, v23, v15, v14
	v_cndmask_b32_e64 v22, 0, v22, s[42:43]
	v_or3_b32 v23, v23, v13, v12
	v_add_u16_e32 v22, v22, v13
	v_cmp_gt_u32_e64 s[44:45], s4, v14
	v_or3_b32 v23, v23, v11, v10
	v_cndmask_b32_e64 v22, 0, v22, s[44:45]
	v_or3_b32 v23, v23, v9, v8
	v_add_u16_e32 v22, v22, v14
	v_cmp_gt_u32_e64 s[46:47], s4, v15
	v_or3_b32 v23, v23, v7, v6
	v_cndmask_b32_e64 v22, 0, v22, s[46:47]
	v_or3_b32 v23, v23, v5, v4
	v_add_u16_e32 v22, v22, v15
	v_cmp_gt_u32_e64 s[48:49], s4, v16
	v_or3_b32 v23, v23, v3, v2
	v_cndmask_b32_e64 v22, 0, v22, s[48:49]
	v_or3_b32 v23, v23, v21, v20
	v_add_u16_e32 v22, v22, v16
	v_cmp_gt_u32_e64 s[50:51], s4, v17
	v_or3_b32 v23, v23, v19, v18
	v_cndmask_b32_e64 v22, 0, v22, s[50:51]
	v_or3_b32 v23, v23, v51, v50
	v_add_u16_e32 v22, v22, v17
	v_cmp_gt_u32_e64 s[52:53], s4, v32
	v_and_b32_e32 v23, 0x10000, v23
	v_lshrrev_b32_e32 v34, 16, v1
	v_cndmask_b32_e64 v24, 0, v22, s[52:53]
	v_cmp_eq_u32_e32 vcc, 0, v23
	v_add_u16_e32 v22, v24, v32
	v_cndmask_b32_e32 v23, 1, v34, vcc
	v_mbcnt_hi_u32_b32 v25, -1, v33
	v_add_u16_e32 v24, v24, v32
	v_and_b32_e32 v27, 15, v25
	v_lshl_or_b32 v26, v23, 16, v24
	v_cmp_ne_u32_e32 vcc, 0, v27
	s_nop 0
	v_mov_b32_dpp v24, v26 row_shr:1 row_mask:0xf bank_mask:0xf
	s_and_saveexec_b64 s[4:5], vcc
	s_cbranch_execz .LBB1281_145
; %bb.144:
	v_cmp_eq_u32_e32 vcc, 0, v23
	v_and_b32_e32 v23, 1, v23
	v_mov_b32_e32 v29, 1
	v_cndmask_b32_e32 v26, 0, v24, vcc
	v_and_b32_sdwa v24, v24, v29 dst_sel:DWORD dst_unused:UNUSED_PAD src0_sel:WORD_1 src1_sel:DWORD
	v_cmp_eq_u32_e32 vcc, 1, v23
	v_cndmask_b32_e64 v23, v24, 1, vcc
	v_add_u16_e32 v28, v26, v22
	v_lshlrev_b32_e32 v24, 16, v23
	v_add_u16_e32 v22, v26, v22
	v_or_b32_e32 v26, v24, v22
	v_mov_b32_e32 v22, v28
.LBB1281_145:
	s_or_b64 exec, exec, s[4:5]
	v_lshrrev_b32_e32 v24, 16, v26
	v_mov_b32_dpp v28, v26 row_shr:2 row_mask:0xf bank_mask:0xf
	v_cmp_lt_u32_e32 vcc, 1, v27
	s_and_saveexec_b64 s[4:5], vcc
	s_cbranch_execz .LBB1281_147
; %bb.146:
	s_mov_b32 s54, 0x10000
	v_cmp_gt_u32_e32 vcc, s54, v26
	v_and_b32_e32 v23, 0x10000, v26
	v_mov_b32_e32 v26, 1
	v_cndmask_b32_e32 v24, 0, v28, vcc
	v_and_b32_sdwa v26, v28, v26 dst_sel:DWORD dst_unused:UNUSED_PAD src0_sel:WORD_1 src1_sel:DWORD
	v_cmp_ne_u32_e32 vcc, 0, v23
	v_cndmask_b32_e64 v23, v26, 1, vcc
	v_add_u16_e32 v29, v24, v22
	v_lshlrev_b32_e32 v26, 16, v23
	v_add_u16_e32 v22, v24, v22
	v_or_b32_e32 v26, v26, v22
	v_mov_b32_e32 v22, v29
	v_mov_b32_e32 v24, v23
.LBB1281_147:
	s_or_b64 exec, exec, s[4:5]
	v_mov_b32_dpp v28, v26 row_shr:4 row_mask:0xf bank_mask:0xf
	v_cmp_lt_u32_e32 vcc, 3, v27
	s_and_saveexec_b64 s[4:5], vcc
	s_cbranch_execz .LBB1281_149
; %bb.148:
	v_mov_b32_e32 v23, 0
	v_cmp_eq_u16_sdwa vcc, v24, v23 src0_sel:BYTE_0 src1_sel:DWORD
	v_and_b32_e32 v23, 1, v24
	v_mov_b32_e32 v24, 1
	v_cndmask_b32_e32 v26, 0, v28, vcc
	v_and_b32_sdwa v24, v28, v24 dst_sel:DWORD dst_unused:UNUSED_PAD src0_sel:WORD_1 src1_sel:DWORD
	v_cmp_eq_u32_e32 vcc, 1, v23
	v_cndmask_b32_e64 v23, v24, 1, vcc
	v_add_u16_e32 v29, v26, v22
	v_lshlrev_b32_e32 v24, 16, v23
	v_add_u16_e32 v22, v26, v22
	v_or_b32_e32 v26, v24, v22
	v_mov_b32_e32 v22, v29
	v_mov_b32_e32 v24, v23
.LBB1281_149:
	s_or_b64 exec, exec, s[4:5]
	v_mov_b32_dpp v28, v26 row_shr:8 row_mask:0xf bank_mask:0xf
	v_cmp_lt_u32_e32 vcc, 7, v27
	s_and_saveexec_b64 s[4:5], vcc
	s_cbranch_execz .LBB1281_151
; %bb.150:
	v_mov_b32_e32 v23, 0
	v_cmp_eq_u16_sdwa vcc, v24, v23 src0_sel:BYTE_0 src1_sel:DWORD
	v_and_b32_e32 v23, 1, v24
	v_mov_b32_e32 v24, 1
	v_cndmask_b32_e32 v26, 0, v28, vcc
	v_and_b32_sdwa v24, v28, v24 dst_sel:DWORD dst_unused:UNUSED_PAD src0_sel:WORD_1 src1_sel:DWORD
	v_cmp_eq_u32_e32 vcc, 1, v23
	v_cndmask_b32_e64 v23, v24, 1, vcc
	v_add_u16_e32 v27, v26, v22
	v_lshlrev_b32_e32 v24, 16, v23
	v_add_u16_e32 v22, v26, v22
	v_or_b32_e32 v26, v24, v22
	v_mov_b32_e32 v22, v27
	v_mov_b32_e32 v24, v23
.LBB1281_151:
	s_or_b64 exec, exec, s[4:5]
	v_and_b32_e32 v28, 16, v25
	v_mov_b32_dpp v27, v26 row_bcast:15 row_mask:0xf bank_mask:0xf
	v_cmp_ne_u32_e32 vcc, 0, v28
	s_and_saveexec_b64 s[4:5], vcc
	s_cbranch_execz .LBB1281_153
; %bb.152:
	v_mov_b32_e32 v23, 0
	v_cmp_eq_u16_sdwa vcc, v24, v23 src0_sel:BYTE_0 src1_sel:DWORD
	v_and_b32_e32 v23, 1, v24
	v_mov_b32_e32 v24, 1
	v_cndmask_b32_e32 v26, 0, v27, vcc
	v_and_b32_sdwa v24, v27, v24 dst_sel:DWORD dst_unused:UNUSED_PAD src0_sel:WORD_1 src1_sel:DWORD
	v_cmp_eq_u32_e32 vcc, 1, v23
	v_cndmask_b32_e64 v23, v24, 1, vcc
	v_add_u16_e32 v28, v26, v22
	v_lshlrev_b32_e32 v24, 16, v23
	v_add_u16_e32 v22, v26, v22
	v_or_b32_e32 v26, v24, v22
	v_mov_b32_e32 v22, v28
	v_mov_b32_e32 v24, v23
.LBB1281_153:
	s_or_b64 exec, exec, s[4:5]
	v_mov_b32_dpp v26, v26 row_bcast:31 row_mask:0xf bank_mask:0xf
	v_cmp_lt_u32_e32 vcc, 31, v25
	s_and_saveexec_b64 s[4:5], vcc
; %bb.154:
	v_mov_b32_e32 v23, 0
	v_cmp_eq_u16_sdwa vcc, v24, v23 src0_sel:BYTE_0 src1_sel:DWORD
	v_cndmask_b32_e32 v23, 0, v26, vcc
	v_add_u16_e32 v22, v23, v22
	v_and_b32_e32 v23, 1, v24
	v_mov_b32_e32 v24, 1
	v_and_b32_sdwa v24, v26, v24 dst_sel:DWORD dst_unused:UNUSED_PAD src0_sel:WORD_1 src1_sel:DWORD
	v_cmp_eq_u32_e32 vcc, 1, v23
	v_cndmask_b32_e64 v23, v24, 1, vcc
	v_mov_b32_e32 v24, v23
; %bb.155:
	s_or_b64 exec, exec, s[4:5]
	v_cmp_eq_u32_e32 vcc, 63, v0
	s_and_saveexec_b64 s[4:5], vcc
	s_cbranch_execz .LBB1281_157
; %bb.156:
	v_mov_b32_e32 v26, 0
	ds_write_b16 v26, v22
	ds_write_b8 v26, v24 offset:2
.LBB1281_157:
	s_or_b64 exec, exec, s[4:5]
	v_and_b32_e32 v23, 0xff, v23
	v_and_b32_e32 v22, 0xffff, v22
	v_lshl_or_b32 v22, v23, 16, v22
	v_add_u32_e32 v23, -1, v25
	v_and_b32_e32 v24, 64, v25
	v_cmp_lt_i32_e32 vcc, v23, v24
	v_cndmask_b32_e32 v23, v23, v25, vcc
	v_lshlrev_b32_e32 v23, 2, v23
	ds_bpermute_b32 v35, v23, v22
	v_cmp_gt_u32_e32 vcc, 64, v0
	s_waitcnt lgkmcnt(0)
	; wave barrier
	s_waitcnt lgkmcnt(0)
	s_and_saveexec_b64 s[4:5], vcc
	s_cbranch_execz .LBB1281_204
; %bb.158:
	v_mov_b32_e32 v31, 0
	ds_read_b32 v22, v31
	s_mov_b32 s65, 0
	v_cmp_eq_u32_e64 s[54:55], 0, v25
	s_and_saveexec_b64 s[62:63], s[54:55]
	s_cbranch_execz .LBB1281_160
; %bb.159:
	s_add_i32 s64, s79, 64
	s_lshl_b64 s[64:65], s[64:65], 3
	s_add_u32 s64, s76, s64
	v_mov_b32_e32 v23, 1
	s_addc_u32 s65, s77, s65
	s_waitcnt lgkmcnt(0)
	global_store_dwordx2 v31, v[22:23], s[64:65]
.LBB1281_160:
	s_or_b64 exec, exec, s[62:63]
	v_xad_u32 v24, v25, -1, s79
	v_add_u32_e32 v30, 64, v24
	v_lshlrev_b64 v[26:27], 3, v[30:31]
	v_mov_b32_e32 v23, s77
	v_add_co_u32_e32 v26, vcc, s76, v26
	v_addc_co_u32_e32 v27, vcc, v23, v27, vcc
	global_load_dwordx2 v[28:29], v[26:27], off glc
	s_waitcnt vmcnt(0)
	v_cmp_eq_u16_sdwa s[64:65], v29, v31 src0_sel:BYTE_0 src1_sel:DWORD
	s_and_saveexec_b64 s[62:63], s[64:65]
	s_cbranch_execz .LBB1281_166
; %bb.161:
	s_mov_b32 s68, 1
	s_mov_b64 s[64:65], 0
	v_mov_b32_e32 v23, 0
.LBB1281_162:                           ; =>This Loop Header: Depth=1
                                        ;     Child Loop BB1281_163 Depth 2
	s_max_u32 s69, s68, 1
.LBB1281_163:                           ;   Parent Loop BB1281_162 Depth=1
                                        ; =>  This Inner Loop Header: Depth=2
	s_add_i32 s69, s69, -1
	s_cmp_eq_u32 s69, 0
	s_sleep 1
	s_cbranch_scc0 .LBB1281_163
; %bb.164:                              ;   in Loop: Header=BB1281_162 Depth=1
	global_load_dwordx2 v[28:29], v[26:27], off glc
	s_cmp_lt_u32 s68, 32
	s_cselect_b64 s[72:73], -1, 0
	s_cmp_lg_u64 s[72:73], 0
	s_addc_u32 s68, s68, 0
	s_waitcnt vmcnt(0)
	v_cmp_ne_u16_sdwa s[72:73], v29, v23 src0_sel:BYTE_0 src1_sel:DWORD
	s_or_b64 s[64:65], s[72:73], s[64:65]
	s_andn2_b64 exec, exec, s[64:65]
	s_cbranch_execnz .LBB1281_162
; %bb.165:
	s_or_b64 exec, exec, s[64:65]
.LBB1281_166:
	s_or_b64 exec, exec, s[62:63]
	v_mov_b32_e32 v23, 2
	v_cmp_eq_u16_sdwa s[62:63], v29, v23 src0_sel:BYTE_0 src1_sel:DWORD
	v_lshlrev_b64 v[26:27], v25, -1
	v_and_b32_e32 v23, s63, v27
	v_or_b32_e32 v23, 0x80000000, v23
	v_ffbl_b32_e32 v23, v23
	v_add_u32_e32 v31, 32, v23
	v_and_b32_e32 v23, 63, v25
	v_cmp_ne_u32_e32 vcc, 63, v23
	v_addc_co_u32_e32 v36, vcc, 0, v25, vcc
	v_and_b32_e32 v47, 0xffffff, v28
	v_lshlrev_b32_e32 v36, 2, v36
	ds_bpermute_b32 v37, v36, v47
	v_and_b32_e32 v30, s62, v26
	v_ffbl_b32_e32 v30, v30
	v_min_u32_e32 v31, v30, v31
	v_lshrrev_b32_e32 v30, 16, v28
	v_cmp_lt_u32_e32 vcc, v23, v31
	v_bfe_u32 v45, v28, 16, 8
	s_and_saveexec_b64 s[62:63], vcc
	s_cbranch_execz .LBB1281_168
; %bb.167:
	v_and_b32_e32 v30, 0xff0000, v28
	v_cmp_eq_u32_e32 vcc, 0, v30
	v_and_b32_e32 v30, 0x10000, v30
	v_mov_b32_e32 v40, 1
	s_waitcnt lgkmcnt(0)
	v_cndmask_b32_e32 v38, 0, v37, vcc
	v_and_b32_sdwa v37, v37, v40 dst_sel:DWORD dst_unused:UNUSED_PAD src0_sel:WORD_1 src1_sel:DWORD
	v_cmp_ne_u32_e32 vcc, 0, v30
	v_cndmask_b32_e64 v30, v37, 1, vcc
	v_add_u16_e32 v39, v38, v28
	v_lshlrev_b32_e32 v37, 16, v30
	v_add_u16_e32 v28, v38, v28
	v_or_b32_e32 v47, v37, v28
	v_mov_b32_e32 v28, v39
	v_mov_b32_e32 v45, v30
.LBB1281_168:
	s_or_b64 exec, exec, s[62:63]
	v_cmp_gt_u32_e32 vcc, 62, v23
	s_waitcnt lgkmcnt(0)
	v_cndmask_b32_e64 v37, 0, 1, vcc
	v_lshlrev_b32_e32 v37, 1, v37
	v_add_lshl_u32 v37, v37, v25, 2
	ds_bpermute_b32 v39, v37, v47
	v_add_u32_e32 v38, 2, v23
	v_cmp_le_u32_e32 vcc, v38, v31
	s_and_saveexec_b64 s[62:63], vcc
	s_cbranch_execz .LBB1281_170
; %bb.169:
	v_cmp_eq_u16_e32 vcc, 0, v45
	v_and_b32_e32 v30, 1, v45
	v_mov_b32_e32 v42, 1
	s_waitcnt lgkmcnt(0)
	v_cndmask_b32_e32 v40, 0, v39, vcc
	v_and_b32_sdwa v39, v39, v42 dst_sel:DWORD dst_unused:UNUSED_PAD src0_sel:WORD_1 src1_sel:DWORD
	v_cmp_eq_u32_e32 vcc, 1, v30
	v_cndmask_b32_e64 v30, v39, 1, vcc
	v_add_u16_e32 v41, v40, v28
	v_lshlrev_b32_e32 v39, 16, v30
	v_add_u16_e32 v28, v40, v28
	v_or_b32_e32 v47, v39, v28
	v_mov_b32_e32 v28, v41
	v_mov_b32_e32 v45, v30
.LBB1281_170:
	s_or_b64 exec, exec, s[62:63]
	v_cmp_gt_u32_e32 vcc, 60, v23
	s_waitcnt lgkmcnt(0)
	v_cndmask_b32_e64 v39, 0, 1, vcc
	v_lshlrev_b32_e32 v39, 2, v39
	v_add_lshl_u32 v39, v39, v25, 2
	ds_bpermute_b32 v41, v39, v47
	v_add_u32_e32 v40, 4, v23
	v_cmp_le_u32_e32 vcc, v40, v31
	s_and_saveexec_b64 s[62:63], vcc
	s_cbranch_execz .LBB1281_172
; %bb.171:
	v_cmp_eq_u16_e32 vcc, 0, v45
	v_and_b32_e32 v30, 1, v45
	v_mov_b32_e32 v44, 1
	s_waitcnt lgkmcnt(0)
	v_cndmask_b32_e32 v42, 0, v41, vcc
	v_and_b32_sdwa v41, v41, v44 dst_sel:DWORD dst_unused:UNUSED_PAD src0_sel:WORD_1 src1_sel:DWORD
	v_cmp_eq_u32_e32 vcc, 1, v30
	v_cndmask_b32_e64 v30, v41, 1, vcc
	v_add_u16_e32 v43, v42, v28
	v_lshlrev_b32_e32 v41, 16, v30
	v_add_u16_e32 v28, v42, v28
	v_or_b32_e32 v47, v41, v28
	v_mov_b32_e32 v28, v43
	v_mov_b32_e32 v45, v30
.LBB1281_172:
	;; [unrolled: 27-line block ×4, first 2 shown]
	s_or_b64 exec, exec, s[62:63]
	v_cmp_gt_u32_e32 vcc, 32, v23
	s_waitcnt lgkmcnt(0)
	v_cndmask_b32_e64 v46, 0, 1, vcc
	v_lshlrev_b32_e32 v46, 5, v46
	v_add_lshl_u32 v46, v46, v25, 2
	ds_bpermute_b32 v25, v46, v47
	v_add_u32_e32 v47, 32, v23
	v_cmp_le_u32_e32 vcc, v47, v31
	s_and_saveexec_b64 s[62:63], vcc
	s_cbranch_execz .LBB1281_178
; %bb.177:
	v_cmp_eq_u16_e32 vcc, 0, v45
	s_waitcnt lgkmcnt(0)
	v_cndmask_b32_e32 v30, 0, v25, vcc
	v_add_u16_e32 v28, v30, v28
	v_and_b32_e32 v30, 1, v45
	v_mov_b32_e32 v31, 1
	v_and_b32_sdwa v25, v25, v31 dst_sel:DWORD dst_unused:UNUSED_PAD src0_sel:WORD_1 src1_sel:DWORD
	v_cmp_eq_u32_e32 vcc, 1, v30
	v_cndmask_b32_e64 v30, v25, 1, vcc
.LBB1281_178:
	s_or_b64 exec, exec, s[62:63]
	s_waitcnt lgkmcnt(0)
	v_mov_b32_e32 v25, 0
	v_mov_b32_e32 v49, 2
	;; [unrolled: 1-line block ×3, first 2 shown]
	s_branch .LBB1281_180
.LBB1281_179:                           ;   in Loop: Header=BB1281_180 Depth=1
	s_or_b64 exec, exec, s[62:63]
	v_cmp_eq_u16_sdwa vcc, v45, v25 src0_sel:BYTE_0 src1_sel:DWORD
	v_and_b32_e32 v30, 1, v45
	v_cndmask_b32_e32 v28, 0, v28, vcc
	v_and_b32_e32 v31, 1, v31
	v_cmp_eq_u32_e32 vcc, 1, v30
	v_subrev_u32_e32 v24, 64, v24
	v_add_u16_e32 v28, v28, v48
	v_cndmask_b32_e64 v30, v31, 1, vcc
.LBB1281_180:                           ; =>This Loop Header: Depth=1
                                        ;     Child Loop BB1281_183 Depth 2
                                        ;       Child Loop BB1281_184 Depth 3
	v_cmp_ne_u16_sdwa s[62:63], v29, v49 src0_sel:BYTE_0 src1_sel:DWORD
	v_cndmask_b32_e64 v29, 0, 1, s[62:63]
	;;#ASMSTART
	;;#ASMEND
	v_cmp_ne_u32_e32 vcc, 0, v29
	v_mov_b32_e32 v45, v30
	s_cmp_lg_u64 vcc, exec
	v_mov_b32_e32 v48, v28
	s_cbranch_scc1 .LBB1281_199
; %bb.181:                              ;   in Loop: Header=BB1281_180 Depth=1
	v_lshlrev_b64 v[28:29], 3, v[24:25]
	v_mov_b32_e32 v31, s77
	v_add_co_u32_e32 v30, vcc, s76, v28
	v_addc_co_u32_e32 v31, vcc, v31, v29, vcc
	global_load_dwordx2 v[28:29], v[30:31], off glc
	s_waitcnt vmcnt(0)
	v_cmp_eq_u16_sdwa s[64:65], v29, v25 src0_sel:BYTE_0 src1_sel:DWORD
	s_and_saveexec_b64 s[62:63], s[64:65]
	s_cbranch_execz .LBB1281_187
; %bb.182:                              ;   in Loop: Header=BB1281_180 Depth=1
	s_mov_b32 s68, 1
	s_mov_b64 s[64:65], 0
.LBB1281_183:                           ;   Parent Loop BB1281_180 Depth=1
                                        ; =>  This Loop Header: Depth=2
                                        ;       Child Loop BB1281_184 Depth 3
	s_max_u32 s69, s68, 1
.LBB1281_184:                           ;   Parent Loop BB1281_180 Depth=1
                                        ;     Parent Loop BB1281_183 Depth=2
                                        ; =>    This Inner Loop Header: Depth=3
	s_add_i32 s69, s69, -1
	s_cmp_eq_u32 s69, 0
	s_sleep 1
	s_cbranch_scc0 .LBB1281_184
; %bb.185:                              ;   in Loop: Header=BB1281_183 Depth=2
	global_load_dwordx2 v[28:29], v[30:31], off glc
	s_cmp_lt_u32 s68, 32
	s_cselect_b64 s[72:73], -1, 0
	s_cmp_lg_u64 s[72:73], 0
	s_addc_u32 s68, s68, 0
	s_waitcnt vmcnt(0)
	v_cmp_ne_u16_sdwa s[72:73], v29, v25 src0_sel:BYTE_0 src1_sel:DWORD
	s_or_b64 s[64:65], s[72:73], s[64:65]
	s_andn2_b64 exec, exec, s[64:65]
	s_cbranch_execnz .LBB1281_183
; %bb.186:                              ;   in Loop: Header=BB1281_180 Depth=1
	s_or_b64 exec, exec, s[64:65]
.LBB1281_187:                           ;   in Loop: Header=BB1281_180 Depth=1
	s_or_b64 exec, exec, s[62:63]
	v_cmp_eq_u16_sdwa s[62:63], v29, v49 src0_sel:BYTE_0 src1_sel:DWORD
	v_and_b32_e32 v30, s63, v27
	s_waitcnt lgkmcnt(0)
	v_and_b32_e32 v54, 0xffffff, v28
	v_or_b32_e32 v30, 0x80000000, v30
	ds_bpermute_b32 v55, v36, v54
	v_and_b32_e32 v31, s62, v26
	v_ffbl_b32_e32 v30, v30
	v_add_u32_e32 v30, 32, v30
	v_ffbl_b32_e32 v31, v31
	v_min_u32_e32 v30, v31, v30
	v_lshrrev_b32_e32 v31, 16, v28
	v_cmp_lt_u32_e32 vcc, v23, v30
	v_bfe_u32 v53, v28, 16, 8
	s_and_saveexec_b64 s[62:63], vcc
	s_cbranch_execz .LBB1281_189
; %bb.188:                              ;   in Loop: Header=BB1281_180 Depth=1
	v_and_b32_e32 v31, 0xff0000, v28
	v_cmp_eq_u32_e32 vcc, 0, v31
	v_and_b32_e32 v31, 0x10000, v31
	s_waitcnt lgkmcnt(0)
	v_cndmask_b32_e32 v53, 0, v55, vcc
	v_and_b32_sdwa v54, v55, v52 dst_sel:DWORD dst_unused:UNUSED_PAD src0_sel:WORD_1 src1_sel:DWORD
	v_cmp_ne_u32_e32 vcc, 0, v31
	v_cndmask_b32_e64 v31, v54, 1, vcc
	v_add_u16_e32 v56, v53, v28
	v_lshlrev_b32_e32 v54, 16, v31
	v_add_u16_e32 v28, v53, v28
	v_or_b32_e32 v54, v54, v28
	v_mov_b32_e32 v28, v56
	v_mov_b32_e32 v53, v31
.LBB1281_189:                           ;   in Loop: Header=BB1281_180 Depth=1
	s_or_b64 exec, exec, s[62:63]
	s_waitcnt lgkmcnt(0)
	ds_bpermute_b32 v55, v37, v54
	v_cmp_le_u32_e32 vcc, v38, v30
	s_and_saveexec_b64 s[62:63], vcc
	s_cbranch_execz .LBB1281_191
; %bb.190:                              ;   in Loop: Header=BB1281_180 Depth=1
	v_cmp_eq_u16_e32 vcc, 0, v53
	v_and_b32_e32 v31, 1, v53
	s_waitcnt lgkmcnt(0)
	v_cndmask_b32_e32 v54, 0, v55, vcc
	v_and_b32_sdwa v53, v55, v52 dst_sel:DWORD dst_unused:UNUSED_PAD src0_sel:WORD_1 src1_sel:DWORD
	v_cmp_eq_u32_e32 vcc, 1, v31
	v_cndmask_b32_e64 v31, v53, 1, vcc
	v_add_u16_e32 v56, v54, v28
	v_lshlrev_b32_e32 v53, 16, v31
	v_add_u16_e32 v28, v54, v28
	v_or_b32_e32 v54, v53, v28
	v_mov_b32_e32 v28, v56
	v_mov_b32_e32 v53, v31
.LBB1281_191:                           ;   in Loop: Header=BB1281_180 Depth=1
	s_or_b64 exec, exec, s[62:63]
	s_waitcnt lgkmcnt(0)
	ds_bpermute_b32 v55, v39, v54
	v_cmp_le_u32_e32 vcc, v40, v30
	s_and_saveexec_b64 s[62:63], vcc
	s_cbranch_execz .LBB1281_193
; %bb.192:                              ;   in Loop: Header=BB1281_180 Depth=1
	v_cmp_eq_u16_e32 vcc, 0, v53
	v_and_b32_e32 v31, 1, v53
	s_waitcnt lgkmcnt(0)
	v_cndmask_b32_e32 v54, 0, v55, vcc
	v_and_b32_sdwa v53, v55, v52 dst_sel:DWORD dst_unused:UNUSED_PAD src0_sel:WORD_1 src1_sel:DWORD
	v_cmp_eq_u32_e32 vcc, 1, v31
	v_cndmask_b32_e64 v31, v53, 1, vcc
	v_add_u16_e32 v56, v54, v28
	v_lshlrev_b32_e32 v53, 16, v31
	v_add_u16_e32 v28, v54, v28
	v_or_b32_e32 v54, v53, v28
	v_mov_b32_e32 v28, v56
	v_mov_b32_e32 v53, v31
.LBB1281_193:                           ;   in Loop: Header=BB1281_180 Depth=1
	;; [unrolled: 21-line block ×4, first 2 shown]
	s_or_b64 exec, exec, s[62:63]
	ds_bpermute_b32 v54, v46, v54
	v_cmp_le_u32_e32 vcc, v47, v30
	s_and_saveexec_b64 s[62:63], vcc
	s_cbranch_execz .LBB1281_179
; %bb.198:                              ;   in Loop: Header=BB1281_180 Depth=1
	v_cmp_eq_u16_e32 vcc, 0, v53
	s_waitcnt lgkmcnt(0)
	v_cndmask_b32_e32 v30, 0, v54, vcc
	v_add_u16_e32 v28, v30, v28
	v_and_b32_e32 v30, 1, v53
	v_lshrrev_b32_e32 v31, 16, v54
	v_cmp_eq_u32_e32 vcc, 1, v30
	v_cndmask_b32_e64 v31, v31, 1, vcc
	s_branch .LBB1281_179
.LBB1281_199:                           ;   in Loop: Header=BB1281_180 Depth=1
                                        ; implicit-def: $vgpr30
                                        ; implicit-def: $vgpr28
	s_cbranch_execz .LBB1281_180
; %bb.200:
	s_and_saveexec_b64 s[62:63], s[54:55]
	s_cbranch_execz .LBB1281_202
; %bb.201:
	v_and_b32_e32 v23, 0xff0000, v22
	s_mov_b32 s55, 0
	v_cmp_eq_u32_e32 vcc, 0, v23
	v_and_b32_e32 v24, 0x10000, v22
	v_mov_b32_e32 v25, 1
	s_add_i32 s54, s79, 64
	v_cndmask_b32_e32 v23, 0, v48, vcc
	v_and_b32_sdwa v25, v45, v25 dst_sel:WORD_1 dst_unused:UNUSED_PAD src0_sel:DWORD src1_sel:DWORD
	v_mov_b32_e32 v26, 0x10000
	v_cmp_eq_u32_e32 vcc, 0, v24
	s_lshl_b64 s[54:55], s[54:55], 3
	v_cndmask_b32_e32 v24, v26, v25, vcc
	s_add_u32 s54, s76, s54
	v_add_u16_e32 v22, v23, v22
	s_addc_u32 s55, s77, s55
	v_mov_b32_e32 v25, 0
	v_or_b32_e32 v22, v24, v22
	v_mov_b32_e32 v23, 2
	global_store_dwordx2 v25, v[22:23], s[54:55]
.LBB1281_202:
	s_or_b64 exec, exec, s[62:63]
	s_and_b64 exec, exec, s[0:1]
	s_cbranch_execz .LBB1281_204
; %bb.203:
	v_mov_b32_e32 v22, 0
	ds_write_b16 v22, v48
	ds_write_b8 v22, v45 offset:2
.LBB1281_204:
	s_or_b64 exec, exec, s[4:5]
	v_mov_b32_e32 v22, 0
	s_mov_b32 s4, 0x10000
	s_waitcnt lgkmcnt(0)
	; wave barrier
	s_waitcnt lgkmcnt(0)
	ds_read_b32 v23, v22
	v_cmp_gt_u32_e32 vcc, s4, v1
	v_and_b32_e32 v25, 0x10000, v1
	v_mov_b32_e32 v26, 1
	v_cndmask_b32_e32 v24, 0, v35, vcc
	v_and_b32_sdwa v26, v35, v26 dst_sel:DWORD dst_unused:UNUSED_PAD src0_sel:WORD_1 src1_sel:DWORD
	v_cmp_ne_u32_e32 vcc, 0, v25
	v_cndmask_b32_e64 v25, v26, 1, vcc
	v_cndmask_b32_e64 v25, v25, v34, s[0:1]
	v_cndmask_b32_e64 v24, v24, 0, s[0:1]
	v_cmp_eq_u16_sdwa vcc, v25, v22 src0_sel:BYTE_0 src1_sel:DWORD
	v_add_u16_e32 v24, v24, v1
	s_waitcnt lgkmcnt(0)
	v_cndmask_b32_e32 v22, 0, v23, vcc
	v_add_u16_e32 v47, v24, v22
	v_cndmask_b32_e64 v22, 0, v47, s[6:7]
	v_add_u16_e32 v22, v22, v50
	v_cndmask_b32_e64 v23, 0, v22, s[8:9]
	;; [unrolled: 2-line block ×23, first 2 shown]
	v_add_u16_e32 v46, v46, v32
	s_branch .LBB1281_227
.LBB1281_205:
                                        ; implicit-def: $vgpr47
                                        ; implicit-def: $vgpr22
                                        ; implicit-def: $vgpr23
                                        ; implicit-def: $vgpr24
                                        ; implicit-def: $vgpr25
                                        ; implicit-def: $vgpr26
                                        ; implicit-def: $vgpr27
                                        ; implicit-def: $vgpr29
                                        ; implicit-def: $vgpr28
                                        ; implicit-def: $vgpr30
                                        ; implicit-def: $vgpr31
                                        ; implicit-def: $vgpr34
                                        ; implicit-def: $vgpr35
                                        ; implicit-def: $vgpr36
                                        ; implicit-def: $vgpr37
                                        ; implicit-def: $vgpr39
                                        ; implicit-def: $vgpr38
                                        ; implicit-def: $vgpr40
                                        ; implicit-def: $vgpr41
                                        ; implicit-def: $vgpr42
                                        ; implicit-def: $vgpr43
                                        ; implicit-def: $vgpr44
                                        ; implicit-def: $vgpr45
                                        ; implicit-def: $vgpr46
	s_cbranch_execz .LBB1281_227
; %bb.206:
	s_cmp_lg_u64 s[80:81], 0
	s_cselect_b32 s7, s71, 0
	s_cselect_b32 s6, s70, 0
	s_cmp_lg_u64 s[6:7], 0
	s_cselect_b64 s[4:5], -1, 0
	s_and_b64 s[8:9], s[0:1], s[4:5]
	s_and_saveexec_b64 s[4:5], s[8:9]
	s_cbranch_execz .LBB1281_208
; %bb.207:
	v_mov_b32_e32 v22, 0
	global_load_ushort v23, v22, s[6:7]
	global_load_ubyte v24, v22, s[6:7] offset:2
	s_mov_b32 s6, 0x10000
	v_and_b32_e32 v22, 0x10000, v1
	v_mov_b32_e32 v25, 1
	v_cmp_gt_u32_e32 vcc, s6, v1
	v_mov_b32_e32 v26, 0x10000
	s_waitcnt vmcnt(1)
	v_cndmask_b32_e32 v23, 0, v23, vcc
	s_waitcnt vmcnt(0)
	v_and_b32_sdwa v24, v24, v25 dst_sel:WORD_1 dst_unused:UNUSED_PAD src0_sel:DWORD src1_sel:DWORD
	v_cmp_eq_u32_e32 vcc, 0, v22
	v_add_u16_e32 v1, v23, v1
	v_cndmask_b32_e32 v22, v26, v24, vcc
	v_or_b32_e32 v1, v22, v1
.LBB1281_208:
	s_or_b64 exec, exec, s[4:5]
	s_mov_b32 s4, 0x10000
	v_cmp_gt_u32_e32 vcc, s4, v50
	v_cndmask_b32_e32 v22, 0, v1, vcc
	v_add_u16_e32 v22, v22, v50
	v_cmp_gt_u32_e64 s[6:7], s4, v51
	v_cndmask_b32_e64 v23, 0, v22, s[6:7]
	v_add_u16_e32 v23, v23, v51
	v_cmp_gt_u32_e64 s[8:9], s4, v18
	v_cndmask_b32_e64 v24, 0, v23, s[8:9]
	v_add_u16_e32 v24, v24, v18
	v_cmp_gt_u32_e64 s[10:11], s4, v19
	v_cndmask_b32_e64 v25, 0, v24, s[10:11]
	v_add_u16_e32 v25, v25, v19
	v_cmp_gt_u32_e64 s[12:13], s4, v20
	v_bfe_u32 v28, v19, 16, 1
	v_mov_b32_e32 v52, 1
	v_cndmask_b32_e64 v26, 0, v25, s[12:13]
	v_lshlrev_b16_e32 v28, 1, v28
	v_and_b32_sdwa v29, v18, v52 dst_sel:DWORD dst_unused:UNUSED_PAD src0_sel:WORD_1 src1_sel:DWORD
	v_add_u16_e32 v26, v26, v20
	v_cmp_gt_u32_e64 s[14:15], s4, v21
	v_or_b32_e32 v28, v29, v28
	v_bfe_u32 v29, v21, 16, 1
	v_and_b32_sdwa v30, v20, v52 dst_sel:DWORD dst_unused:UNUSED_PAD src0_sel:WORD_1 src1_sel:DWORD
	v_cndmask_b32_e64 v27, 0, v26, s[14:15]
	v_lshlrev_b16_e32 v29, 3, v29
	v_lshlrev_b16_e32 v30, 2, v30
	v_add_u16_e32 v27, v27, v21
	v_or_b32_e32 v29, v29, v30
	v_cmp_gt_u32_e64 s[16:17], s4, v2
	v_or_b32_e32 v46, v28, v29
	v_cndmask_b32_e64 v28, 0, v27, s[16:17]
	v_add_u16_e32 v29, v28, v2
	v_cmp_gt_u32_e64 s[18:19], s4, v3
	v_cndmask_b32_e64 v28, 0, v29, s[18:19]
	v_bfe_u32 v48, v11, 16, 1
	v_add_u16_e32 v28, v28, v3
	v_cmp_gt_u32_e64 s[20:21], s4, v4
	v_lshlrev_b16_e32 v48, 1, v48
	v_and_b32_sdwa v49, v10, v52 dst_sel:DWORD dst_unused:UNUSED_PAD src0_sel:WORD_1 src1_sel:DWORD
	v_cndmask_b32_e64 v30, 0, v28, s[20:21]
	v_or_b32_e32 v48, v49, v48
	v_bfe_u32 v49, v13, 16, 1
	v_and_b32_sdwa v53, v12, v52 dst_sel:DWORD dst_unused:UNUSED_PAD src0_sel:WORD_1 src1_sel:DWORD
	v_add_u16_e32 v30, v30, v4
	v_cmp_gt_u32_e64 s[22:23], s4, v5
	v_lshlrev_b16_e32 v49, 3, v49
	v_lshlrev_b16_e32 v53, 2, v53
	v_cndmask_b32_e64 v31, 0, v30, s[22:23]
	v_or_b32_e32 v49, v49, v53
	v_add_u16_e32 v31, v31, v5
	v_cmp_gt_u32_e64 s[24:25], s4, v6
	v_or_b32_sdwa v48, v48, v49 dst_sel:BYTE_1 dst_unused:UNUSED_PAD src0_sel:DWORD src1_sel:DWORD
	v_bfe_u32 v49, v15, 16, 1
	v_cndmask_b32_e64 v34, 0, v31, s[24:25]
	v_lshlrev_b16_e32 v49, 1, v49
	v_and_b32_sdwa v53, v14, v52 dst_sel:DWORD dst_unused:UNUSED_PAD src0_sel:WORD_1 src1_sel:DWORD
	v_add_u16_e32 v34, v34, v6
	v_cmp_gt_u32_e64 s[26:27], s4, v7
	v_or_b32_e32 v49, v53, v49
	v_bfe_u32 v53, v17, 16, 1
	v_and_b32_sdwa v54, v16, v52 dst_sel:DWORD dst_unused:UNUSED_PAD src0_sel:WORD_1 src1_sel:DWORD
	v_cndmask_b32_e64 v35, 0, v34, s[26:27]
	v_lshlrev_b16_e32 v53, 3, v53
	v_lshlrev_b16_e32 v54, 2, v54
	v_add_u16_e32 v35, v35, v7
	v_cmp_gt_u32_e64 s[28:29], s4, v8
	v_or_b32_e32 v53, v53, v54
	v_cndmask_b32_e64 v36, 0, v35, s[28:29]
	v_or_b32_e32 v49, v49, v53
	v_add_u16_e32 v36, v36, v8
	v_cmp_gt_u32_e64 s[30:31], s4, v9
	v_lshlrev_b16_e32 v49, 12, v49
	v_cndmask_b32_e64 v37, 0, v36, s[30:31]
	v_or_b32_e32 v48, v49, v48
	v_bfe_u32 v49, v3, 16, 1
	v_add_u16_e32 v37, v37, v9
	v_cmp_gt_u32_e64 s[34:35], s4, v10
	v_lshlrev_b16_e32 v49, 1, v49
	v_and_b32_sdwa v53, v2, v52 dst_sel:DWORD dst_unused:UNUSED_PAD src0_sel:WORD_1 src1_sel:DWORD
	v_cndmask_b32_e64 v38, 0, v37, s[34:35]
	v_or_b32_e32 v49, v53, v49
	v_bfe_u32 v53, v5, 16, 1
	v_and_b32_sdwa v54, v4, v52 dst_sel:DWORD dst_unused:UNUSED_PAD src0_sel:WORD_1 src1_sel:DWORD
	v_add_u16_e32 v39, v38, v10
	v_cmp_gt_u32_e64 s[36:37], s4, v11
	v_lshlrev_b16_e32 v53, 3, v53
	v_lshlrev_b16_e32 v54, 2, v54
	v_cndmask_b32_e64 v38, 0, v39, s[36:37]
	v_or_b32_e32 v53, v53, v54
	v_add_u16_e32 v38, v38, v11
	v_cmp_gt_u32_e64 s[38:39], s4, v12
	v_or_b32_e32 v49, v49, v53
	v_bfe_u32 v53, v7, 16, 1
	v_cndmask_b32_e64 v40, 0, v38, s[38:39]
	v_lshlrev_b16_e32 v53, 1, v53
	v_and_b32_sdwa v54, v6, v52 dst_sel:DWORD dst_unused:UNUSED_PAD src0_sel:WORD_1 src1_sel:DWORD
	v_add_u16_e32 v40, v40, v12
	v_cmp_gt_u32_e64 s[40:41], s4, v13
	v_or_b32_e32 v53, v54, v53
	v_bfe_u32 v54, v9, 16, 1
	v_and_b32_sdwa v55, v8, v52 dst_sel:DWORD dst_unused:UNUSED_PAD src0_sel:WORD_1 src1_sel:DWORD
	v_cndmask_b32_e64 v41, 0, v40, s[40:41]
	v_lshlrev_b16_e32 v54, 3, v54
	v_lshlrev_b16_e32 v55, 2, v55
	v_add_u16_e32 v41, v41, v13
	v_cmp_gt_u32_e64 s[42:43], s4, v14
	v_or_b32_e32 v54, v54, v55
	v_cndmask_b32_e64 v42, 0, v41, s[42:43]
	v_or_b32_e32 v53, v53, v54
	v_add_u16_e32 v42, v42, v14
	v_cmp_gt_u32_e64 s[44:45], s4, v15
	v_lshlrev_b16_e32 v53, 4, v53
	v_cndmask_b32_e64 v43, 0, v42, s[44:45]
	v_or_b32_e32 v49, v49, v53
	v_add_u16_e32 v43, v43, v15
	v_cmp_gt_u32_e64 s[46:47], s4, v16
	v_or_b32_sdwa v49, v49, v48 dst_sel:DWORD dst_unused:UNUSED_PAD src0_sel:BYTE_0 src1_sel:DWORD
	v_cndmask_b32_e64 v44, 0, v43, s[46:47]
	v_or_b32_e32 v46, v49, v46
	v_add_u16_e32 v44, v44, v16
	v_cmp_gt_u32_e64 s[48:49], s4, v17
	v_cmp_gt_u32_e64 s[50:51], s4, v32
	v_cmp_ne_u16_e64 s[4:5], 0, v46
	v_or3_b32 v46, v51, v50, v32
	v_cndmask_b32_e64 v45, 0, v44, s[48:49]
	v_and_b32_e32 v46, 0x10000, v46
	v_add_u16_e32 v45, v45, v17
	v_cmp_ne_u32_e64 s[52:53], 0, v46
	v_lshrrev_b32_e32 v47, 16, v1
	v_cndmask_b32_e64 v53, 0, v45, s[50:51]
	s_or_b64 s[4:5], s[52:53], s[4:5]
	v_cndmask_b32_e64 v49, v47, 1, s[4:5]
	v_mbcnt_hi_u32_b32 v33, -1, v33
	v_add_u16_e32 v46, v53, v32
	v_add_u16_e32 v48, v53, v32
	v_and_b32_e32 v54, 15, v33
	v_lshl_or_b32 v53, v49, 16, v46
	v_cmp_ne_u32_e64 s[4:5], 0, v54
	s_nop 0
	v_mov_b32_dpp v55, v53 row_shr:1 row_mask:0xf bank_mask:0xf
	s_and_saveexec_b64 s[52:53], s[4:5]
; %bb.209:
	v_cmp_eq_u32_e64 s[4:5], 0, v49
	v_and_b32_e32 v49, 1, v49
	v_cndmask_b32_e64 v53, 0, v55, s[4:5]
	v_and_b32_sdwa v52, v55, v52 dst_sel:DWORD dst_unused:UNUSED_PAD src0_sel:WORD_1 src1_sel:DWORD
	v_cmp_eq_u32_e64 s[4:5], 1, v49
	v_cndmask_b32_e64 v49, v52, 1, s[4:5]
	v_add_u16_e32 v56, v48, v53
	v_lshlrev_b32_e32 v52, 16, v49
	v_add_u16_e32 v48, v48, v53
	v_or_b32_e32 v53, v52, v48
	v_mov_b32_e32 v48, v56
; %bb.210:
	s_or_b64 exec, exec, s[52:53]
	v_lshrrev_b32_e32 v52, 16, v53
	v_mov_b32_dpp v55, v53 row_shr:2 row_mask:0xf bank_mask:0xf
	v_cmp_lt_u32_e64 s[4:5], 1, v54
	s_and_saveexec_b64 s[52:53], s[4:5]
	s_cbranch_execz .LBB1281_212
; %bb.211:
	s_mov_b32 s4, 0x10000
	v_cmp_gt_u32_e64 s[4:5], s4, v53
	v_and_b32_e32 v49, 0x10000, v53
	v_mov_b32_e32 v53, 1
	v_cndmask_b32_e64 v52, 0, v55, s[4:5]
	v_and_b32_sdwa v53, v55, v53 dst_sel:DWORD dst_unused:UNUSED_PAD src0_sel:WORD_1 src1_sel:DWORD
	v_cmp_ne_u32_e64 s[4:5], 0, v49
	v_cndmask_b32_e64 v49, v53, 1, s[4:5]
	v_add_u16_e32 v56, v52, v48
	v_lshlrev_b32_e32 v53, 16, v49
	v_add_u16_e32 v48, v52, v48
	v_or_b32_e32 v53, v53, v48
	v_mov_b32_e32 v48, v56
	v_mov_b32_e32 v52, v49
.LBB1281_212:
	s_or_b64 exec, exec, s[52:53]
	v_mov_b32_dpp v55, v53 row_shr:4 row_mask:0xf bank_mask:0xf
	v_cmp_lt_u32_e64 s[4:5], 3, v54
	s_and_saveexec_b64 s[52:53], s[4:5]
	s_cbranch_execz .LBB1281_214
; %bb.213:
	v_mov_b32_e32 v49, 0
	v_cmp_eq_u16_sdwa s[4:5], v52, v49 src0_sel:BYTE_0 src1_sel:DWORD
	v_and_b32_e32 v49, 1, v52
	v_mov_b32_e32 v52, 1
	v_cndmask_b32_e64 v53, 0, v55, s[4:5]
	v_and_b32_sdwa v52, v55, v52 dst_sel:DWORD dst_unused:UNUSED_PAD src0_sel:WORD_1 src1_sel:DWORD
	v_cmp_eq_u32_e64 s[4:5], 1, v49
	v_cndmask_b32_e64 v49, v52, 1, s[4:5]
	v_add_u16_e32 v56, v53, v48
	v_lshlrev_b32_e32 v52, 16, v49
	v_add_u16_e32 v48, v53, v48
	v_or_b32_e32 v53, v52, v48
	v_mov_b32_e32 v48, v56
	v_mov_b32_e32 v52, v49
.LBB1281_214:
	s_or_b64 exec, exec, s[52:53]
	v_mov_b32_dpp v55, v53 row_shr:8 row_mask:0xf bank_mask:0xf
	v_cmp_lt_u32_e64 s[4:5], 7, v54
	s_and_saveexec_b64 s[52:53], s[4:5]
	s_cbranch_execz .LBB1281_216
; %bb.215:
	v_mov_b32_e32 v49, 0
	v_cmp_eq_u16_sdwa s[4:5], v52, v49 src0_sel:BYTE_0 src1_sel:DWORD
	v_and_b32_e32 v49, 1, v52
	v_mov_b32_e32 v52, 1
	v_cndmask_b32_e64 v53, 0, v55, s[4:5]
	v_and_b32_sdwa v52, v55, v52 dst_sel:DWORD dst_unused:UNUSED_PAD src0_sel:WORD_1 src1_sel:DWORD
	v_cmp_eq_u32_e64 s[4:5], 1, v49
	v_cndmask_b32_e64 v49, v52, 1, s[4:5]
	v_add_u16_e32 v54, v53, v48
	v_lshlrev_b32_e32 v52, 16, v49
	v_add_u16_e32 v48, v53, v48
	v_or_b32_e32 v53, v52, v48
	v_mov_b32_e32 v48, v54
	v_mov_b32_e32 v52, v49
.LBB1281_216:
	s_or_b64 exec, exec, s[52:53]
	v_and_b32_e32 v55, 16, v33
	v_mov_b32_dpp v54, v53 row_bcast:15 row_mask:0xf bank_mask:0xf
	v_cmp_ne_u32_e64 s[4:5], 0, v55
	s_and_saveexec_b64 s[52:53], s[4:5]
	s_cbranch_execz .LBB1281_218
; %bb.217:
	v_mov_b32_e32 v49, 0
	v_cmp_eq_u16_sdwa s[4:5], v52, v49 src0_sel:BYTE_0 src1_sel:DWORD
	v_and_b32_e32 v49, 1, v52
	v_mov_b32_e32 v52, 1
	v_cndmask_b32_e64 v53, 0, v54, s[4:5]
	v_and_b32_sdwa v52, v54, v52 dst_sel:DWORD dst_unused:UNUSED_PAD src0_sel:WORD_1 src1_sel:DWORD
	v_cmp_eq_u32_e64 s[4:5], 1, v49
	v_cndmask_b32_e64 v49, v52, 1, s[4:5]
	v_add_u16_e32 v55, v53, v48
	v_lshlrev_b32_e32 v52, 16, v49
	v_add_u16_e32 v48, v53, v48
	v_or_b32_e32 v53, v52, v48
	v_mov_b32_e32 v48, v55
	v_mov_b32_e32 v52, v49
.LBB1281_218:
	s_or_b64 exec, exec, s[52:53]
	v_mov_b32_dpp v53, v53 row_bcast:31 row_mask:0xf bank_mask:0xf
	v_cmp_lt_u32_e64 s[4:5], 31, v33
	s_and_saveexec_b64 s[52:53], s[4:5]
; %bb.219:
	v_mov_b32_e32 v49, 0
	v_cmp_eq_u16_sdwa s[4:5], v52, v49 src0_sel:BYTE_0 src1_sel:DWORD
	v_cndmask_b32_e64 v49, 0, v53, s[4:5]
	v_add_u16_e32 v48, v49, v48
	v_and_b32_e32 v49, 1, v52
	v_mov_b32_e32 v52, 1
	v_and_b32_sdwa v52, v53, v52 dst_sel:DWORD dst_unused:UNUSED_PAD src0_sel:WORD_1 src1_sel:DWORD
	v_cmp_eq_u32_e64 s[4:5], 1, v49
	v_cndmask_b32_e64 v49, v52, 1, s[4:5]
	v_mov_b32_e32 v52, v49
; %bb.220:
	s_or_b64 exec, exec, s[52:53]
	v_cmp_eq_u32_e64 s[4:5], 63, v0
	s_and_saveexec_b64 s[52:53], s[4:5]
	s_cbranch_execz .LBB1281_222
; %bb.221:
	v_mov_b32_e32 v53, 0
	ds_write_b16 v53, v48
	ds_write_b8 v53, v52 offset:2
.LBB1281_222:
	s_or_b64 exec, exec, s[52:53]
	v_and_b32_e32 v49, 0xff, v49
	v_and_b32_e32 v48, 0xffff, v48
	v_lshl_or_b32 v48, v49, 16, v48
	v_add_u32_e32 v49, -1, v33
	v_and_b32_e32 v52, 64, v33
	v_cmp_lt_i32_e64 s[4:5], v49, v52
	v_cndmask_b32_e64 v33, v49, v33, s[4:5]
	v_lshlrev_b32_e32 v33, 2, v33
	ds_bpermute_b32 v33, v33, v48
	s_waitcnt lgkmcnt(0)
	; wave barrier
	s_waitcnt lgkmcnt(0)
	s_and_saveexec_b64 s[52:53], s[56:57]
	s_cbranch_execz .LBB1281_224
; %bb.223:
	v_and_b32_e32 v22, 0xff0000, v1
	v_cmp_eq_u32_e64 s[4:5], 0, v22
	v_cndmask_b32_e64 v22, 0, v33, s[4:5]
	v_add_u32_e32 v1, v22, v1
	v_cndmask_b32_e32 v22, 0, v1, vcc
	v_add_u16_e32 v22, v22, v50
	v_cndmask_b32_e64 v23, 0, v22, s[6:7]
	v_add_u16_e32 v23, v23, v51
	v_cndmask_b32_e64 v24, 0, v23, s[8:9]
	;; [unrolled: 2-line block ×22, first 2 shown]
	v_mov_b32_e32 v47, 0
	v_add_u16_e32 v46, v2, v32
	;;#ASMSTART
	;;#ASMEND
.LBB1281_224:
	s_or_b64 exec, exec, s[52:53]
	s_and_saveexec_b64 s[4:5], s[0:1]
	s_cbranch_execz .LBB1281_226
; %bb.225:
	v_mov_b32_e32 v4, 0
	ds_read_u8 v2, v4 offset:2
	ds_read_u16 v3, v4
	s_waitcnt lgkmcnt(1)
	v_lshlrev_b32_e32 v2, 16, v2
	s_waitcnt lgkmcnt(0)
	v_or_b32_e32 v2, v2, v3
	v_mov_b32_e32 v3, 2
	global_store_dwordx2 v4, v[2:3], s[76:77] offset:512
.LBB1281_226:
	s_or_b64 exec, exec, s[4:5]
	v_lshl_or_b32 v47, v47, 16, v1
.LBB1281_227:
	s_add_u32 s0, s66, s58
	s_addc_u32 s1, s67, s59
	s_add_u32 s4, s0, s60
	s_addc_u32 s5, s1, s61
	s_and_b64 vcc, exec, s[2:3]
	v_mul_u32_u24_e32 v4, 24, v0
	s_cbranch_vccz .LBB1281_279
; %bb.228:
	s_add_i32 s33, s33, s78
	v_cmp_le_u32_e32 vcc, s33, v4
                                        ; implicit-def: $vgpr1
                                        ; implicit-def: $vgpr2
                                        ; implicit-def: $vgpr3
                                        ; implicit-def: $vgpr5
                                        ; implicit-def: $vgpr6
                                        ; implicit-def: $vgpr7
                                        ; implicit-def: $vgpr8
	s_and_saveexec_b64 s[0:1], vcc
	s_xor_b64 s[0:1], exec, s[0:1]
; %bb.229:
	v_or_b32_e32 v1, 1, v4
	v_or_b32_e32 v2, 2, v4
	;; [unrolled: 1-line block ×7, first 2 shown]
; %bb.230:
	s_andn2_saveexec_b64 s[0:1], s[0:1]
; %bb.231:
	v_or_b32_e32 v1, 1, v4
	v_or_b32_e32 v2, 2, v4
	;; [unrolled: 1-line block ×7, first 2 shown]
; %bb.232:
	s_or_b64 exec, exec, s[0:1]
	v_lshlrev_b32_e32 v49, 1, v4
	v_lshlrev_b32_e32 v1, 1, v1
	s_waitcnt lgkmcnt(0)
	; wave barrier
	ds_write_b16 v49, v47
	ds_write_b16 v1, v22
	v_lshlrev_b32_e32 v1, 1, v2
	ds_write_b16 v1, v23
	v_lshlrev_b32_e32 v1, 1, v3
	;; [unrolled: 2-line block ×5, first 2 shown]
	s_mov_b32 s0, 0x5040100
	ds_write_b16 v1, v27
	v_lshlrev_b32_e32 v1, 1, v8
	v_perm_b32 v9, v39, v37, s0
	v_perm_b32 v8, v36, v35, s0
	;; [unrolled: 1-line block ×4, first 2 shown]
	ds_write_b16 v1, v29
	ds_write_b128 v49, v[6:9] offset:16
	v_perm_b32 v9, v46, v45, s0
	v_perm_b32 v8, v44, v43, s0
	;; [unrolled: 1-line block ×4, first 2 shown]
	s_movk_i32 s0, 0xffd2
	v_mad_i32_i24 v2, v0, s0, v49
	ds_write_b128 v49, v[6:9] offset:32
	s_waitcnt lgkmcnt(0)
	; wave barrier
	s_waitcnt lgkmcnt(0)
	ds_read_u16 v52, v2 offset:128
	ds_read_u16 v51, v2 offset:256
	;; [unrolled: 1-line block ×23, first 2 shown]
	v_lshlrev_b32_e32 v2, 1, v0
	v_mov_b32_e32 v3, s5
	v_add_co_u32_e32 v2, vcc, s4, v2
	v_addc_co_u32_e32 v3, vcc, 0, v3, vcc
	v_mov_b32_e32 v1, 0
	v_cmp_gt_u32_e32 vcc, s33, v0
	s_and_saveexec_b64 s[0:1], vcc
	s_cbranch_execz .LBB1281_234
; %bb.233:
	v_mul_i32_i24_e32 v53, 0xffffffd2, v0
	v_add_u32_e32 v49, v49, v53
	ds_read_u16 v49, v49
	s_waitcnt lgkmcnt(0)
	flat_store_short v[2:3], v49
.LBB1281_234:
	s_or_b64 exec, exec, s[0:1]
	v_or_b32_e32 v49, 64, v0
	v_cmp_gt_u32_e32 vcc, s33, v49
	s_and_saveexec_b64 s[0:1], vcc
	s_cbranch_execz .LBB1281_236
; %bb.235:
	s_waitcnt lgkmcnt(0)
	flat_store_short v[2:3], v52 offset:128
.LBB1281_236:
	s_or_b64 exec, exec, s[0:1]
	v_or_b32_e32 v49, 0x80, v0
	v_cmp_gt_u32_e32 vcc, s33, v49
	s_and_saveexec_b64 s[0:1], vcc
	s_cbranch_execz .LBB1281_238
; %bb.237:
	s_waitcnt lgkmcnt(0)
	flat_store_short v[2:3], v51 offset:256
.LBB1281_238:
	;; [unrolled: 9-line block ×4, first 2 shown]
	s_or_b64 exec, exec, s[0:1]
	s_waitcnt lgkmcnt(0)
	v_or_b32_e32 v48, 0x140, v0
	v_cmp_gt_u32_e32 vcc, s33, v48
	s_and_saveexec_b64 s[0:1], vcc
	s_cbranch_execz .LBB1281_244
; %bb.243:
	flat_store_short v[2:3], v33 offset:640
.LBB1281_244:
	s_or_b64 exec, exec, s[0:1]
	v_or_b32_e32 v33, 0x180, v0
	v_cmp_gt_u32_e32 vcc, s33, v33
	s_and_saveexec_b64 s[0:1], vcc
	s_cbranch_execz .LBB1281_246
; %bb.245:
	flat_store_short v[2:3], v32 offset:768
.LBB1281_246:
	s_or_b64 exec, exec, s[0:1]
	;; [unrolled: 8-line block ×18, first 2 shown]
	v_or_b32_e32 v2, 0x5c0, v0
	v_cmp_gt_u32_e64 s[0:1], s33, v2
	s_branch .LBB1281_281
.LBB1281_279:
	s_mov_b64 s[0:1], 0
                                        ; implicit-def: $vgpr5
	s_cbranch_execz .LBB1281_281
; %bb.280:
	s_mov_b32 s2, 0x5040100
	v_lshlrev_b32_e32 v6, 1, v4
	v_perm_b32 v5, v29, v27, s2
	v_perm_b32 v4, v26, v25, s2
	;; [unrolled: 1-line block ×4, first 2 shown]
	s_waitcnt lgkmcnt(0)
	; wave barrier
	s_waitcnt lgkmcnt(0)
	ds_write_b128 v6, v[2:5]
	v_perm_b32 v5, v39, v37, s2
	v_perm_b32 v4, v36, v35, s2
	;; [unrolled: 1-line block ×4, first 2 shown]
	ds_write_b128 v6, v[2:5] offset:16
	v_perm_b32 v4, v44, v43, s2
	v_perm_b32 v3, v42, v41, s2
	;; [unrolled: 1-line block ×4, first 2 shown]
	s_movk_i32 s2, 0xffd2
	ds_write_b128 v6, v[2:5] offset:32
	v_mad_i32_i24 v2, v0, s2, v6
	s_waitcnt lgkmcnt(0)
	; wave barrier
	s_waitcnt lgkmcnt(0)
	ds_read_u16 v4, v2
	ds_read_u16 v6, v2 offset:128
	ds_read_u16 v7, v2 offset:256
	;; [unrolled: 1-line block ×23, first 2 shown]
	v_lshlrev_b32_e32 v2, 1, v0
	v_mov_b32_e32 v3, s5
	v_add_co_u32_e32 v2, vcc, s4, v2
	v_mov_b32_e32 v1, 0
	v_addc_co_u32_e32 v3, vcc, 0, v3, vcc
	s_or_b64 s[0:1], s[0:1], exec
	s_waitcnt lgkmcnt(0)
	flat_store_short v[2:3], v4
	flat_store_short v[2:3], v6 offset:128
	flat_store_short v[2:3], v7 offset:256
	;; [unrolled: 1-line block ×22, first 2 shown]
.LBB1281_281:
	s_and_saveexec_b64 s[2:3], s[0:1]
	s_cbranch_execnz .LBB1281_283
; %bb.282:
	s_endpgm
.LBB1281_283:
	v_lshlrev_b64 v[0:1], 1, v[0:1]
	v_mov_b32_e32 v2, s5
	v_add_co_u32_e32 v0, vcc, s4, v0
	v_addc_co_u32_e32 v1, vcc, v2, v1, vcc
	flat_store_short v[0:1], v5 offset:2944
	s_endpgm
.LBB1281_284:
	v_lshlrev_b32_e32 v2, 1, v0
	v_mov_b32_e32 v3, s85
	v_add_co_u32_e32 v2, vcc, s84, v2
	v_addc_co_u32_e32 v3, vcc, 0, v3, vcc
	flat_load_ushort v2, v[2:3]
	s_or_b64 exec, exec, s[4:5]
                                        ; implicit-def: $vgpr3
	s_and_saveexec_b64 s[4:5], s[8:9]
	s_cbranch_execz .LBB1281_61
.LBB1281_285:
	v_lshlrev_b32_e32 v3, 1, v0
	v_mov_b32_e32 v5, s85
	v_add_co_u32_e32 v4, vcc, s84, v3
	v_addc_co_u32_e32 v5, vcc, 0, v5, vcc
	flat_load_ushort v3, v[4:5] offset:128
	s_or_b64 exec, exec, s[4:5]
                                        ; implicit-def: $vgpr4
	s_and_saveexec_b64 s[4:5], s[10:11]
	s_cbranch_execz .LBB1281_62
.LBB1281_286:
	v_lshlrev_b32_e32 v4, 1, v0
	v_mov_b32_e32 v5, s85
	v_add_co_u32_e32 v4, vcc, s84, v4
	v_addc_co_u32_e32 v5, vcc, 0, v5, vcc
	flat_load_ushort v4, v[4:5] offset:256
	s_or_b64 exec, exec, s[4:5]
                                        ; implicit-def: $vgpr5
	s_and_saveexec_b64 s[4:5], s[12:13]
	s_cbranch_execz .LBB1281_63
.LBB1281_287:
	v_lshlrev_b32_e32 v5, 1, v0
	v_mov_b32_e32 v7, s85
	v_add_co_u32_e32 v6, vcc, s84, v5
	v_addc_co_u32_e32 v7, vcc, 0, v7, vcc
	flat_load_ushort v5, v[6:7] offset:384
	s_or_b64 exec, exec, s[4:5]
                                        ; implicit-def: $vgpr6
	s_and_saveexec_b64 s[4:5], s[14:15]
	s_cbranch_execz .LBB1281_64
.LBB1281_288:
	v_lshlrev_b32_e32 v6, 1, v0
	v_mov_b32_e32 v7, s85
	v_add_co_u32_e32 v6, vcc, s84, v6
	v_addc_co_u32_e32 v7, vcc, 0, v7, vcc
	flat_load_ushort v6, v[6:7] offset:512
	s_or_b64 exec, exec, s[4:5]
                                        ; implicit-def: $vgpr7
	s_and_saveexec_b64 s[4:5], s[16:17]
	s_cbranch_execz .LBB1281_65
.LBB1281_289:
	v_lshlrev_b32_e32 v7, 1, v0
	v_mov_b32_e32 v9, s85
	v_add_co_u32_e32 v8, vcc, s84, v7
	v_addc_co_u32_e32 v9, vcc, 0, v9, vcc
	flat_load_ushort v7, v[8:9] offset:640
	s_or_b64 exec, exec, s[4:5]
                                        ; implicit-def: $vgpr8
	s_and_saveexec_b64 s[4:5], s[18:19]
	s_cbranch_execz .LBB1281_66
.LBB1281_290:
	v_lshlrev_b32_e32 v8, 1, v0
	v_mov_b32_e32 v9, s85
	v_add_co_u32_e32 v8, vcc, s84, v8
	v_addc_co_u32_e32 v9, vcc, 0, v9, vcc
	flat_load_ushort v8, v[8:9] offset:768
	s_or_b64 exec, exec, s[4:5]
                                        ; implicit-def: $vgpr9
	s_and_saveexec_b64 s[4:5], s[20:21]
	s_cbranch_execz .LBB1281_67
.LBB1281_291:
	v_lshlrev_b32_e32 v9, 1, v0
	v_mov_b32_e32 v11, s85
	v_add_co_u32_e32 v10, vcc, s84, v9
	v_addc_co_u32_e32 v11, vcc, 0, v11, vcc
	flat_load_ushort v9, v[10:11] offset:896
	s_or_b64 exec, exec, s[4:5]
                                        ; implicit-def: $vgpr10
	s_and_saveexec_b64 s[4:5], s[22:23]
	s_cbranch_execz .LBB1281_68
.LBB1281_292:
	v_lshlrev_b32_e32 v10, 1, v0
	v_mov_b32_e32 v11, s85
	v_add_co_u32_e32 v10, vcc, s84, v10
	v_addc_co_u32_e32 v11, vcc, 0, v11, vcc
	flat_load_ushort v10, v[10:11] offset:1024
	s_or_b64 exec, exec, s[4:5]
                                        ; implicit-def: $vgpr11
	s_and_saveexec_b64 s[4:5], s[24:25]
	s_cbranch_execz .LBB1281_69
.LBB1281_293:
	v_lshlrev_b32_e32 v11, 1, v0
	v_mov_b32_e32 v13, s85
	v_add_co_u32_e32 v12, vcc, s84, v11
	v_addc_co_u32_e32 v13, vcc, 0, v13, vcc
	flat_load_ushort v11, v[12:13] offset:1152
	s_or_b64 exec, exec, s[4:5]
                                        ; implicit-def: $vgpr12
	s_and_saveexec_b64 s[4:5], s[26:27]
	s_cbranch_execz .LBB1281_70
.LBB1281_294:
	v_lshlrev_b32_e32 v12, 1, v0
	v_mov_b32_e32 v13, s85
	v_add_co_u32_e32 v12, vcc, s84, v12
	v_addc_co_u32_e32 v13, vcc, 0, v13, vcc
	flat_load_ushort v12, v[12:13] offset:1280
	s_or_b64 exec, exec, s[4:5]
                                        ; implicit-def: $vgpr13
	s_and_saveexec_b64 s[4:5], s[28:29]
	s_cbranch_execz .LBB1281_71
.LBB1281_295:
	v_lshlrev_b32_e32 v13, 1, v0
	v_mov_b32_e32 v15, s85
	v_add_co_u32_e32 v14, vcc, s84, v13
	v_addc_co_u32_e32 v15, vcc, 0, v15, vcc
	flat_load_ushort v13, v[14:15] offset:1408
	s_or_b64 exec, exec, s[4:5]
                                        ; implicit-def: $vgpr14
	s_and_saveexec_b64 s[4:5], s[30:31]
	s_cbranch_execz .LBB1281_72
.LBB1281_296:
	v_lshlrev_b32_e32 v14, 1, v0
	v_mov_b32_e32 v15, s85
	v_add_co_u32_e32 v14, vcc, s84, v14
	v_addc_co_u32_e32 v15, vcc, 0, v15, vcc
	flat_load_ushort v14, v[14:15] offset:1536
	s_or_b64 exec, exec, s[4:5]
                                        ; implicit-def: $vgpr15
	s_and_saveexec_b64 s[4:5], s[34:35]
	s_cbranch_execz .LBB1281_73
.LBB1281_297:
	v_lshlrev_b32_e32 v15, 1, v0
	v_mov_b32_e32 v17, s85
	v_add_co_u32_e32 v16, vcc, s84, v15
	v_addc_co_u32_e32 v17, vcc, 0, v17, vcc
	flat_load_ushort v15, v[16:17] offset:1664
	s_or_b64 exec, exec, s[4:5]
                                        ; implicit-def: $vgpr16
	s_and_saveexec_b64 s[4:5], s[36:37]
	s_cbranch_execz .LBB1281_74
.LBB1281_298:
	v_lshlrev_b32_e32 v16, 1, v0
	v_mov_b32_e32 v17, s85
	v_add_co_u32_e32 v16, vcc, s84, v16
	v_addc_co_u32_e32 v17, vcc, 0, v17, vcc
	flat_load_ushort v16, v[16:17] offset:1792
	s_or_b64 exec, exec, s[4:5]
                                        ; implicit-def: $vgpr17
	s_and_saveexec_b64 s[4:5], s[38:39]
	s_cbranch_execz .LBB1281_75
.LBB1281_299:
	v_lshlrev_b32_e32 v17, 1, v0
	v_mov_b32_e32 v19, s85
	v_add_co_u32_e32 v18, vcc, s84, v17
	v_addc_co_u32_e32 v19, vcc, 0, v19, vcc
	flat_load_ushort v17, v[18:19] offset:1920
	s_or_b64 exec, exec, s[4:5]
                                        ; implicit-def: $vgpr18
	s_and_saveexec_b64 s[4:5], s[40:41]
	s_cbranch_execz .LBB1281_76
.LBB1281_300:
	v_lshlrev_b32_e32 v18, 1, v0
	v_mov_b32_e32 v19, s85
	v_add_co_u32_e32 v18, vcc, s84, v18
	v_addc_co_u32_e32 v19, vcc, 0, v19, vcc
	flat_load_ushort v18, v[18:19] offset:2048
	s_or_b64 exec, exec, s[4:5]
                                        ; implicit-def: $vgpr19
	s_and_saveexec_b64 s[4:5], s[42:43]
	s_cbranch_execz .LBB1281_77
.LBB1281_301:
	v_lshlrev_b32_e32 v19, 1, v0
	v_mov_b32_e32 v21, s85
	v_add_co_u32_e32 v20, vcc, s84, v19
	v_addc_co_u32_e32 v21, vcc, 0, v21, vcc
	flat_load_ushort v19, v[20:21] offset:2176
	s_or_b64 exec, exec, s[4:5]
                                        ; implicit-def: $vgpr20
	s_and_saveexec_b64 s[4:5], s[44:45]
	s_cbranch_execz .LBB1281_78
.LBB1281_302:
	v_lshlrev_b32_e32 v20, 1, v0
	v_mov_b32_e32 v21, s85
	v_add_co_u32_e32 v20, vcc, s84, v20
	v_addc_co_u32_e32 v21, vcc, 0, v21, vcc
	flat_load_ushort v20, v[20:21] offset:2304
	s_or_b64 exec, exec, s[4:5]
                                        ; implicit-def: $vgpr21
	s_and_saveexec_b64 s[4:5], s[46:47]
	s_cbranch_execz .LBB1281_79
.LBB1281_303:
	v_lshlrev_b32_e32 v21, 1, v0
	v_mov_b32_e32 v47, s85
	v_add_co_u32_e32 v48, vcc, s84, v21
	v_addc_co_u32_e32 v49, vcc, 0, v47, vcc
	flat_load_ushort v21, v[48:49] offset:2432
	s_or_b64 exec, exec, s[4:5]
                                        ; implicit-def: $vgpr48
	s_and_saveexec_b64 s[4:5], s[48:49]
	s_cbranch_execz .LBB1281_80
.LBB1281_304:
	v_lshlrev_b32_e32 v47, 1, v0
	v_mov_b32_e32 v49, s85
	v_add_co_u32_e32 v48, vcc, s84, v47
	v_addc_co_u32_e32 v49, vcc, 0, v49, vcc
	flat_load_ushort v48, v[48:49] offset:2560
	s_or_b64 exec, exec, s[4:5]
                                        ; implicit-def: $vgpr49
	s_and_saveexec_b64 s[4:5], s[50:51]
	s_cbranch_execz .LBB1281_81
.LBB1281_305:
	v_lshlrev_b32_e32 v47, 1, v0
	v_mov_b32_e32 v49, s85
	v_add_co_u32_e32 v50, vcc, s84, v47
	v_addc_co_u32_e32 v51, vcc, 0, v49, vcc
	flat_load_ushort v49, v[50:51] offset:2688
	s_or_b64 exec, exec, s[4:5]
                                        ; implicit-def: $vgpr50
	s_and_saveexec_b64 s[4:5], s[52:53]
	s_cbranch_execz .LBB1281_82
.LBB1281_306:
	v_lshlrev_b32_e32 v47, 1, v0
	v_mov_b32_e32 v51, s85
	v_add_co_u32_e32 v50, vcc, s84, v47
	v_addc_co_u32_e32 v51, vcc, 0, v51, vcc
	flat_load_ushort v50, v[50:51] offset:2816
	s_or_b64 exec, exec, s[4:5]
                                        ; implicit-def: $vgpr51
	s_and_saveexec_b64 s[4:5], s[54:55]
	s_cbranch_execnz .LBB1281_83
	s_branch .LBB1281_84
.LBB1281_307:
                                        ; implicit-def: $sgpr4_sgpr5
	s_branch .LBB1281_56
.LBB1281_308:
                                        ; implicit-def: $sgpr4_sgpr5
	s_branch .LBB1281_135
	.section	.rodata,"a",@progbits
	.p2align	6, 0x0
	.amdhsa_kernel _ZN7rocprim17ROCPRIM_400000_NS6detail17trampoline_kernelINS0_14default_configENS1_27scan_by_key_config_selectorIitEEZZNS1_16scan_by_key_implILNS1_25lookback_scan_determinismE0ELb0ES3_N6thrust23THRUST_200600_302600_NS6detail15normal_iteratorINS9_10device_ptrIiEEEENSB_INSC_ItEEEESG_tNS9_4plusIvEENS9_8equal_toIvEEtEE10hipError_tPvRmT2_T3_T4_T5_mT6_T7_P12ihipStream_tbENKUlT_T0_E_clISt17integral_constantIbLb1EES11_EEDaSW_SX_EUlSW_E_NS1_11comp_targetILNS1_3genE4ELNS1_11target_archE910ELNS1_3gpuE8ELNS1_3repE0EEENS1_30default_config_static_selectorELNS0_4arch9wavefront6targetE1EEEvT1_
		.amdhsa_group_segment_fixed_size 6656
		.amdhsa_private_segment_fixed_size 0
		.amdhsa_kernarg_size 112
		.amdhsa_user_sgpr_count 6
		.amdhsa_user_sgpr_private_segment_buffer 1
		.amdhsa_user_sgpr_dispatch_ptr 0
		.amdhsa_user_sgpr_queue_ptr 0
		.amdhsa_user_sgpr_kernarg_segment_ptr 1
		.amdhsa_user_sgpr_dispatch_id 0
		.amdhsa_user_sgpr_flat_scratch_init 0
		.amdhsa_user_sgpr_kernarg_preload_length 0
		.amdhsa_user_sgpr_kernarg_preload_offset 0
		.amdhsa_user_sgpr_private_segment_size 0
		.amdhsa_uses_dynamic_stack 0
		.amdhsa_system_sgpr_private_segment_wavefront_offset 0
		.amdhsa_system_sgpr_workgroup_id_x 1
		.amdhsa_system_sgpr_workgroup_id_y 0
		.amdhsa_system_sgpr_workgroup_id_z 0
		.amdhsa_system_sgpr_workgroup_info 0
		.amdhsa_system_vgpr_workitem_id 0
		.amdhsa_next_free_vgpr 58
		.amdhsa_next_free_sgpr 87
		.amdhsa_accum_offset 60
		.amdhsa_reserve_vcc 1
		.amdhsa_reserve_flat_scratch 0
		.amdhsa_float_round_mode_32 0
		.amdhsa_float_round_mode_16_64 0
		.amdhsa_float_denorm_mode_32 3
		.amdhsa_float_denorm_mode_16_64 3
		.amdhsa_dx10_clamp 1
		.amdhsa_ieee_mode 1
		.amdhsa_fp16_overflow 0
		.amdhsa_tg_split 0
		.amdhsa_exception_fp_ieee_invalid_op 0
		.amdhsa_exception_fp_denorm_src 0
		.amdhsa_exception_fp_ieee_div_zero 0
		.amdhsa_exception_fp_ieee_overflow 0
		.amdhsa_exception_fp_ieee_underflow 0
		.amdhsa_exception_fp_ieee_inexact 0
		.amdhsa_exception_int_div_zero 0
	.end_amdhsa_kernel
	.section	.text._ZN7rocprim17ROCPRIM_400000_NS6detail17trampoline_kernelINS0_14default_configENS1_27scan_by_key_config_selectorIitEEZZNS1_16scan_by_key_implILNS1_25lookback_scan_determinismE0ELb0ES3_N6thrust23THRUST_200600_302600_NS6detail15normal_iteratorINS9_10device_ptrIiEEEENSB_INSC_ItEEEESG_tNS9_4plusIvEENS9_8equal_toIvEEtEE10hipError_tPvRmT2_T3_T4_T5_mT6_T7_P12ihipStream_tbENKUlT_T0_E_clISt17integral_constantIbLb1EES11_EEDaSW_SX_EUlSW_E_NS1_11comp_targetILNS1_3genE4ELNS1_11target_archE910ELNS1_3gpuE8ELNS1_3repE0EEENS1_30default_config_static_selectorELNS0_4arch9wavefront6targetE1EEEvT1_,"axG",@progbits,_ZN7rocprim17ROCPRIM_400000_NS6detail17trampoline_kernelINS0_14default_configENS1_27scan_by_key_config_selectorIitEEZZNS1_16scan_by_key_implILNS1_25lookback_scan_determinismE0ELb0ES3_N6thrust23THRUST_200600_302600_NS6detail15normal_iteratorINS9_10device_ptrIiEEEENSB_INSC_ItEEEESG_tNS9_4plusIvEENS9_8equal_toIvEEtEE10hipError_tPvRmT2_T3_T4_T5_mT6_T7_P12ihipStream_tbENKUlT_T0_E_clISt17integral_constantIbLb1EES11_EEDaSW_SX_EUlSW_E_NS1_11comp_targetILNS1_3genE4ELNS1_11target_archE910ELNS1_3gpuE8ELNS1_3repE0EEENS1_30default_config_static_selectorELNS0_4arch9wavefront6targetE1EEEvT1_,comdat
.Lfunc_end1281:
	.size	_ZN7rocprim17ROCPRIM_400000_NS6detail17trampoline_kernelINS0_14default_configENS1_27scan_by_key_config_selectorIitEEZZNS1_16scan_by_key_implILNS1_25lookback_scan_determinismE0ELb0ES3_N6thrust23THRUST_200600_302600_NS6detail15normal_iteratorINS9_10device_ptrIiEEEENSB_INSC_ItEEEESG_tNS9_4plusIvEENS9_8equal_toIvEEtEE10hipError_tPvRmT2_T3_T4_T5_mT6_T7_P12ihipStream_tbENKUlT_T0_E_clISt17integral_constantIbLb1EES11_EEDaSW_SX_EUlSW_E_NS1_11comp_targetILNS1_3genE4ELNS1_11target_archE910ELNS1_3gpuE8ELNS1_3repE0EEENS1_30default_config_static_selectorELNS0_4arch9wavefront6targetE1EEEvT1_, .Lfunc_end1281-_ZN7rocprim17ROCPRIM_400000_NS6detail17trampoline_kernelINS0_14default_configENS1_27scan_by_key_config_selectorIitEEZZNS1_16scan_by_key_implILNS1_25lookback_scan_determinismE0ELb0ES3_N6thrust23THRUST_200600_302600_NS6detail15normal_iteratorINS9_10device_ptrIiEEEENSB_INSC_ItEEEESG_tNS9_4plusIvEENS9_8equal_toIvEEtEE10hipError_tPvRmT2_T3_T4_T5_mT6_T7_P12ihipStream_tbENKUlT_T0_E_clISt17integral_constantIbLb1EES11_EEDaSW_SX_EUlSW_E_NS1_11comp_targetILNS1_3genE4ELNS1_11target_archE910ELNS1_3gpuE8ELNS1_3repE0EEENS1_30default_config_static_selectorELNS0_4arch9wavefront6targetE1EEEvT1_
                                        ; -- End function
	.section	.AMDGPU.csdata,"",@progbits
; Kernel info:
; codeLenInByte = 15336
; NumSgprs: 91
; NumVgprs: 58
; NumAgprs: 0
; TotalNumVgprs: 58
; ScratchSize: 0
; MemoryBound: 0
; FloatMode: 240
; IeeeMode: 1
; LDSByteSize: 6656 bytes/workgroup (compile time only)
; SGPRBlocks: 11
; VGPRBlocks: 7
; NumSGPRsForWavesPerEU: 91
; NumVGPRsForWavesPerEU: 58
; AccumOffset: 60
; Occupancy: 3
; WaveLimiterHint : 1
; COMPUTE_PGM_RSRC2:SCRATCH_EN: 0
; COMPUTE_PGM_RSRC2:USER_SGPR: 6
; COMPUTE_PGM_RSRC2:TRAP_HANDLER: 0
; COMPUTE_PGM_RSRC2:TGID_X_EN: 1
; COMPUTE_PGM_RSRC2:TGID_Y_EN: 0
; COMPUTE_PGM_RSRC2:TGID_Z_EN: 0
; COMPUTE_PGM_RSRC2:TIDIG_COMP_CNT: 0
; COMPUTE_PGM_RSRC3_GFX90A:ACCUM_OFFSET: 14
; COMPUTE_PGM_RSRC3_GFX90A:TG_SPLIT: 0
	.section	.text._ZN7rocprim17ROCPRIM_400000_NS6detail17trampoline_kernelINS0_14default_configENS1_27scan_by_key_config_selectorIitEEZZNS1_16scan_by_key_implILNS1_25lookback_scan_determinismE0ELb0ES3_N6thrust23THRUST_200600_302600_NS6detail15normal_iteratorINS9_10device_ptrIiEEEENSB_INSC_ItEEEESG_tNS9_4plusIvEENS9_8equal_toIvEEtEE10hipError_tPvRmT2_T3_T4_T5_mT6_T7_P12ihipStream_tbENKUlT_T0_E_clISt17integral_constantIbLb1EES11_EEDaSW_SX_EUlSW_E_NS1_11comp_targetILNS1_3genE3ELNS1_11target_archE908ELNS1_3gpuE7ELNS1_3repE0EEENS1_30default_config_static_selectorELNS0_4arch9wavefront6targetE1EEEvT1_,"axG",@progbits,_ZN7rocprim17ROCPRIM_400000_NS6detail17trampoline_kernelINS0_14default_configENS1_27scan_by_key_config_selectorIitEEZZNS1_16scan_by_key_implILNS1_25lookback_scan_determinismE0ELb0ES3_N6thrust23THRUST_200600_302600_NS6detail15normal_iteratorINS9_10device_ptrIiEEEENSB_INSC_ItEEEESG_tNS9_4plusIvEENS9_8equal_toIvEEtEE10hipError_tPvRmT2_T3_T4_T5_mT6_T7_P12ihipStream_tbENKUlT_T0_E_clISt17integral_constantIbLb1EES11_EEDaSW_SX_EUlSW_E_NS1_11comp_targetILNS1_3genE3ELNS1_11target_archE908ELNS1_3gpuE7ELNS1_3repE0EEENS1_30default_config_static_selectorELNS0_4arch9wavefront6targetE1EEEvT1_,comdat
	.protected	_ZN7rocprim17ROCPRIM_400000_NS6detail17trampoline_kernelINS0_14default_configENS1_27scan_by_key_config_selectorIitEEZZNS1_16scan_by_key_implILNS1_25lookback_scan_determinismE0ELb0ES3_N6thrust23THRUST_200600_302600_NS6detail15normal_iteratorINS9_10device_ptrIiEEEENSB_INSC_ItEEEESG_tNS9_4plusIvEENS9_8equal_toIvEEtEE10hipError_tPvRmT2_T3_T4_T5_mT6_T7_P12ihipStream_tbENKUlT_T0_E_clISt17integral_constantIbLb1EES11_EEDaSW_SX_EUlSW_E_NS1_11comp_targetILNS1_3genE3ELNS1_11target_archE908ELNS1_3gpuE7ELNS1_3repE0EEENS1_30default_config_static_selectorELNS0_4arch9wavefront6targetE1EEEvT1_ ; -- Begin function _ZN7rocprim17ROCPRIM_400000_NS6detail17trampoline_kernelINS0_14default_configENS1_27scan_by_key_config_selectorIitEEZZNS1_16scan_by_key_implILNS1_25lookback_scan_determinismE0ELb0ES3_N6thrust23THRUST_200600_302600_NS6detail15normal_iteratorINS9_10device_ptrIiEEEENSB_INSC_ItEEEESG_tNS9_4plusIvEENS9_8equal_toIvEEtEE10hipError_tPvRmT2_T3_T4_T5_mT6_T7_P12ihipStream_tbENKUlT_T0_E_clISt17integral_constantIbLb1EES11_EEDaSW_SX_EUlSW_E_NS1_11comp_targetILNS1_3genE3ELNS1_11target_archE908ELNS1_3gpuE7ELNS1_3repE0EEENS1_30default_config_static_selectorELNS0_4arch9wavefront6targetE1EEEvT1_
	.globl	_ZN7rocprim17ROCPRIM_400000_NS6detail17trampoline_kernelINS0_14default_configENS1_27scan_by_key_config_selectorIitEEZZNS1_16scan_by_key_implILNS1_25lookback_scan_determinismE0ELb0ES3_N6thrust23THRUST_200600_302600_NS6detail15normal_iteratorINS9_10device_ptrIiEEEENSB_INSC_ItEEEESG_tNS9_4plusIvEENS9_8equal_toIvEEtEE10hipError_tPvRmT2_T3_T4_T5_mT6_T7_P12ihipStream_tbENKUlT_T0_E_clISt17integral_constantIbLb1EES11_EEDaSW_SX_EUlSW_E_NS1_11comp_targetILNS1_3genE3ELNS1_11target_archE908ELNS1_3gpuE7ELNS1_3repE0EEENS1_30default_config_static_selectorELNS0_4arch9wavefront6targetE1EEEvT1_
	.p2align	8
	.type	_ZN7rocprim17ROCPRIM_400000_NS6detail17trampoline_kernelINS0_14default_configENS1_27scan_by_key_config_selectorIitEEZZNS1_16scan_by_key_implILNS1_25lookback_scan_determinismE0ELb0ES3_N6thrust23THRUST_200600_302600_NS6detail15normal_iteratorINS9_10device_ptrIiEEEENSB_INSC_ItEEEESG_tNS9_4plusIvEENS9_8equal_toIvEEtEE10hipError_tPvRmT2_T3_T4_T5_mT6_T7_P12ihipStream_tbENKUlT_T0_E_clISt17integral_constantIbLb1EES11_EEDaSW_SX_EUlSW_E_NS1_11comp_targetILNS1_3genE3ELNS1_11target_archE908ELNS1_3gpuE7ELNS1_3repE0EEENS1_30default_config_static_selectorELNS0_4arch9wavefront6targetE1EEEvT1_,@function
_ZN7rocprim17ROCPRIM_400000_NS6detail17trampoline_kernelINS0_14default_configENS1_27scan_by_key_config_selectorIitEEZZNS1_16scan_by_key_implILNS1_25lookback_scan_determinismE0ELb0ES3_N6thrust23THRUST_200600_302600_NS6detail15normal_iteratorINS9_10device_ptrIiEEEENSB_INSC_ItEEEESG_tNS9_4plusIvEENS9_8equal_toIvEEtEE10hipError_tPvRmT2_T3_T4_T5_mT6_T7_P12ihipStream_tbENKUlT_T0_E_clISt17integral_constantIbLb1EES11_EEDaSW_SX_EUlSW_E_NS1_11comp_targetILNS1_3genE3ELNS1_11target_archE908ELNS1_3gpuE7ELNS1_3repE0EEENS1_30default_config_static_selectorELNS0_4arch9wavefront6targetE1EEEvT1_: ; @_ZN7rocprim17ROCPRIM_400000_NS6detail17trampoline_kernelINS0_14default_configENS1_27scan_by_key_config_selectorIitEEZZNS1_16scan_by_key_implILNS1_25lookback_scan_determinismE0ELb0ES3_N6thrust23THRUST_200600_302600_NS6detail15normal_iteratorINS9_10device_ptrIiEEEENSB_INSC_ItEEEESG_tNS9_4plusIvEENS9_8equal_toIvEEtEE10hipError_tPvRmT2_T3_T4_T5_mT6_T7_P12ihipStream_tbENKUlT_T0_E_clISt17integral_constantIbLb1EES11_EEDaSW_SX_EUlSW_E_NS1_11comp_targetILNS1_3genE3ELNS1_11target_archE908ELNS1_3gpuE7ELNS1_3repE0EEENS1_30default_config_static_selectorELNS0_4arch9wavefront6targetE1EEEvT1_
; %bb.0:
	.section	.rodata,"a",@progbits
	.p2align	6, 0x0
	.amdhsa_kernel _ZN7rocprim17ROCPRIM_400000_NS6detail17trampoline_kernelINS0_14default_configENS1_27scan_by_key_config_selectorIitEEZZNS1_16scan_by_key_implILNS1_25lookback_scan_determinismE0ELb0ES3_N6thrust23THRUST_200600_302600_NS6detail15normal_iteratorINS9_10device_ptrIiEEEENSB_INSC_ItEEEESG_tNS9_4plusIvEENS9_8equal_toIvEEtEE10hipError_tPvRmT2_T3_T4_T5_mT6_T7_P12ihipStream_tbENKUlT_T0_E_clISt17integral_constantIbLb1EES11_EEDaSW_SX_EUlSW_E_NS1_11comp_targetILNS1_3genE3ELNS1_11target_archE908ELNS1_3gpuE7ELNS1_3repE0EEENS1_30default_config_static_selectorELNS0_4arch9wavefront6targetE1EEEvT1_
		.amdhsa_group_segment_fixed_size 0
		.amdhsa_private_segment_fixed_size 0
		.amdhsa_kernarg_size 112
		.amdhsa_user_sgpr_count 6
		.amdhsa_user_sgpr_private_segment_buffer 1
		.amdhsa_user_sgpr_dispatch_ptr 0
		.amdhsa_user_sgpr_queue_ptr 0
		.amdhsa_user_sgpr_kernarg_segment_ptr 1
		.amdhsa_user_sgpr_dispatch_id 0
		.amdhsa_user_sgpr_flat_scratch_init 0
		.amdhsa_user_sgpr_kernarg_preload_length 0
		.amdhsa_user_sgpr_kernarg_preload_offset 0
		.amdhsa_user_sgpr_private_segment_size 0
		.amdhsa_uses_dynamic_stack 0
		.amdhsa_system_sgpr_private_segment_wavefront_offset 0
		.amdhsa_system_sgpr_workgroup_id_x 1
		.amdhsa_system_sgpr_workgroup_id_y 0
		.amdhsa_system_sgpr_workgroup_id_z 0
		.amdhsa_system_sgpr_workgroup_info 0
		.amdhsa_system_vgpr_workitem_id 0
		.amdhsa_next_free_vgpr 1
		.amdhsa_next_free_sgpr 0
		.amdhsa_accum_offset 4
		.amdhsa_reserve_vcc 0
		.amdhsa_reserve_flat_scratch 0
		.amdhsa_float_round_mode_32 0
		.amdhsa_float_round_mode_16_64 0
		.amdhsa_float_denorm_mode_32 3
		.amdhsa_float_denorm_mode_16_64 3
		.amdhsa_dx10_clamp 1
		.amdhsa_ieee_mode 1
		.amdhsa_fp16_overflow 0
		.amdhsa_tg_split 0
		.amdhsa_exception_fp_ieee_invalid_op 0
		.amdhsa_exception_fp_denorm_src 0
		.amdhsa_exception_fp_ieee_div_zero 0
		.amdhsa_exception_fp_ieee_overflow 0
		.amdhsa_exception_fp_ieee_underflow 0
		.amdhsa_exception_fp_ieee_inexact 0
		.amdhsa_exception_int_div_zero 0
	.end_amdhsa_kernel
	.section	.text._ZN7rocprim17ROCPRIM_400000_NS6detail17trampoline_kernelINS0_14default_configENS1_27scan_by_key_config_selectorIitEEZZNS1_16scan_by_key_implILNS1_25lookback_scan_determinismE0ELb0ES3_N6thrust23THRUST_200600_302600_NS6detail15normal_iteratorINS9_10device_ptrIiEEEENSB_INSC_ItEEEESG_tNS9_4plusIvEENS9_8equal_toIvEEtEE10hipError_tPvRmT2_T3_T4_T5_mT6_T7_P12ihipStream_tbENKUlT_T0_E_clISt17integral_constantIbLb1EES11_EEDaSW_SX_EUlSW_E_NS1_11comp_targetILNS1_3genE3ELNS1_11target_archE908ELNS1_3gpuE7ELNS1_3repE0EEENS1_30default_config_static_selectorELNS0_4arch9wavefront6targetE1EEEvT1_,"axG",@progbits,_ZN7rocprim17ROCPRIM_400000_NS6detail17trampoline_kernelINS0_14default_configENS1_27scan_by_key_config_selectorIitEEZZNS1_16scan_by_key_implILNS1_25lookback_scan_determinismE0ELb0ES3_N6thrust23THRUST_200600_302600_NS6detail15normal_iteratorINS9_10device_ptrIiEEEENSB_INSC_ItEEEESG_tNS9_4plusIvEENS9_8equal_toIvEEtEE10hipError_tPvRmT2_T3_T4_T5_mT6_T7_P12ihipStream_tbENKUlT_T0_E_clISt17integral_constantIbLb1EES11_EEDaSW_SX_EUlSW_E_NS1_11comp_targetILNS1_3genE3ELNS1_11target_archE908ELNS1_3gpuE7ELNS1_3repE0EEENS1_30default_config_static_selectorELNS0_4arch9wavefront6targetE1EEEvT1_,comdat
.Lfunc_end1282:
	.size	_ZN7rocprim17ROCPRIM_400000_NS6detail17trampoline_kernelINS0_14default_configENS1_27scan_by_key_config_selectorIitEEZZNS1_16scan_by_key_implILNS1_25lookback_scan_determinismE0ELb0ES3_N6thrust23THRUST_200600_302600_NS6detail15normal_iteratorINS9_10device_ptrIiEEEENSB_INSC_ItEEEESG_tNS9_4plusIvEENS9_8equal_toIvEEtEE10hipError_tPvRmT2_T3_T4_T5_mT6_T7_P12ihipStream_tbENKUlT_T0_E_clISt17integral_constantIbLb1EES11_EEDaSW_SX_EUlSW_E_NS1_11comp_targetILNS1_3genE3ELNS1_11target_archE908ELNS1_3gpuE7ELNS1_3repE0EEENS1_30default_config_static_selectorELNS0_4arch9wavefront6targetE1EEEvT1_, .Lfunc_end1282-_ZN7rocprim17ROCPRIM_400000_NS6detail17trampoline_kernelINS0_14default_configENS1_27scan_by_key_config_selectorIitEEZZNS1_16scan_by_key_implILNS1_25lookback_scan_determinismE0ELb0ES3_N6thrust23THRUST_200600_302600_NS6detail15normal_iteratorINS9_10device_ptrIiEEEENSB_INSC_ItEEEESG_tNS9_4plusIvEENS9_8equal_toIvEEtEE10hipError_tPvRmT2_T3_T4_T5_mT6_T7_P12ihipStream_tbENKUlT_T0_E_clISt17integral_constantIbLb1EES11_EEDaSW_SX_EUlSW_E_NS1_11comp_targetILNS1_3genE3ELNS1_11target_archE908ELNS1_3gpuE7ELNS1_3repE0EEENS1_30default_config_static_selectorELNS0_4arch9wavefront6targetE1EEEvT1_
                                        ; -- End function
	.section	.AMDGPU.csdata,"",@progbits
; Kernel info:
; codeLenInByte = 0
; NumSgprs: 4
; NumVgprs: 0
; NumAgprs: 0
; TotalNumVgprs: 0
; ScratchSize: 0
; MemoryBound: 0
; FloatMode: 240
; IeeeMode: 1
; LDSByteSize: 0 bytes/workgroup (compile time only)
; SGPRBlocks: 0
; VGPRBlocks: 0
; NumSGPRsForWavesPerEU: 4
; NumVGPRsForWavesPerEU: 1
; AccumOffset: 4
; Occupancy: 8
; WaveLimiterHint : 0
; COMPUTE_PGM_RSRC2:SCRATCH_EN: 0
; COMPUTE_PGM_RSRC2:USER_SGPR: 6
; COMPUTE_PGM_RSRC2:TRAP_HANDLER: 0
; COMPUTE_PGM_RSRC2:TGID_X_EN: 1
; COMPUTE_PGM_RSRC2:TGID_Y_EN: 0
; COMPUTE_PGM_RSRC2:TGID_Z_EN: 0
; COMPUTE_PGM_RSRC2:TIDIG_COMP_CNT: 0
; COMPUTE_PGM_RSRC3_GFX90A:ACCUM_OFFSET: 0
; COMPUTE_PGM_RSRC3_GFX90A:TG_SPLIT: 0
	.section	.text._ZN7rocprim17ROCPRIM_400000_NS6detail17trampoline_kernelINS0_14default_configENS1_27scan_by_key_config_selectorIitEEZZNS1_16scan_by_key_implILNS1_25lookback_scan_determinismE0ELb0ES3_N6thrust23THRUST_200600_302600_NS6detail15normal_iteratorINS9_10device_ptrIiEEEENSB_INSC_ItEEEESG_tNS9_4plusIvEENS9_8equal_toIvEEtEE10hipError_tPvRmT2_T3_T4_T5_mT6_T7_P12ihipStream_tbENKUlT_T0_E_clISt17integral_constantIbLb1EES11_EEDaSW_SX_EUlSW_E_NS1_11comp_targetILNS1_3genE2ELNS1_11target_archE906ELNS1_3gpuE6ELNS1_3repE0EEENS1_30default_config_static_selectorELNS0_4arch9wavefront6targetE1EEEvT1_,"axG",@progbits,_ZN7rocprim17ROCPRIM_400000_NS6detail17trampoline_kernelINS0_14default_configENS1_27scan_by_key_config_selectorIitEEZZNS1_16scan_by_key_implILNS1_25lookback_scan_determinismE0ELb0ES3_N6thrust23THRUST_200600_302600_NS6detail15normal_iteratorINS9_10device_ptrIiEEEENSB_INSC_ItEEEESG_tNS9_4plusIvEENS9_8equal_toIvEEtEE10hipError_tPvRmT2_T3_T4_T5_mT6_T7_P12ihipStream_tbENKUlT_T0_E_clISt17integral_constantIbLb1EES11_EEDaSW_SX_EUlSW_E_NS1_11comp_targetILNS1_3genE2ELNS1_11target_archE906ELNS1_3gpuE6ELNS1_3repE0EEENS1_30default_config_static_selectorELNS0_4arch9wavefront6targetE1EEEvT1_,comdat
	.protected	_ZN7rocprim17ROCPRIM_400000_NS6detail17trampoline_kernelINS0_14default_configENS1_27scan_by_key_config_selectorIitEEZZNS1_16scan_by_key_implILNS1_25lookback_scan_determinismE0ELb0ES3_N6thrust23THRUST_200600_302600_NS6detail15normal_iteratorINS9_10device_ptrIiEEEENSB_INSC_ItEEEESG_tNS9_4plusIvEENS9_8equal_toIvEEtEE10hipError_tPvRmT2_T3_T4_T5_mT6_T7_P12ihipStream_tbENKUlT_T0_E_clISt17integral_constantIbLb1EES11_EEDaSW_SX_EUlSW_E_NS1_11comp_targetILNS1_3genE2ELNS1_11target_archE906ELNS1_3gpuE6ELNS1_3repE0EEENS1_30default_config_static_selectorELNS0_4arch9wavefront6targetE1EEEvT1_ ; -- Begin function _ZN7rocprim17ROCPRIM_400000_NS6detail17trampoline_kernelINS0_14default_configENS1_27scan_by_key_config_selectorIitEEZZNS1_16scan_by_key_implILNS1_25lookback_scan_determinismE0ELb0ES3_N6thrust23THRUST_200600_302600_NS6detail15normal_iteratorINS9_10device_ptrIiEEEENSB_INSC_ItEEEESG_tNS9_4plusIvEENS9_8equal_toIvEEtEE10hipError_tPvRmT2_T3_T4_T5_mT6_T7_P12ihipStream_tbENKUlT_T0_E_clISt17integral_constantIbLb1EES11_EEDaSW_SX_EUlSW_E_NS1_11comp_targetILNS1_3genE2ELNS1_11target_archE906ELNS1_3gpuE6ELNS1_3repE0EEENS1_30default_config_static_selectorELNS0_4arch9wavefront6targetE1EEEvT1_
	.globl	_ZN7rocprim17ROCPRIM_400000_NS6detail17trampoline_kernelINS0_14default_configENS1_27scan_by_key_config_selectorIitEEZZNS1_16scan_by_key_implILNS1_25lookback_scan_determinismE0ELb0ES3_N6thrust23THRUST_200600_302600_NS6detail15normal_iteratorINS9_10device_ptrIiEEEENSB_INSC_ItEEEESG_tNS9_4plusIvEENS9_8equal_toIvEEtEE10hipError_tPvRmT2_T3_T4_T5_mT6_T7_P12ihipStream_tbENKUlT_T0_E_clISt17integral_constantIbLb1EES11_EEDaSW_SX_EUlSW_E_NS1_11comp_targetILNS1_3genE2ELNS1_11target_archE906ELNS1_3gpuE6ELNS1_3repE0EEENS1_30default_config_static_selectorELNS0_4arch9wavefront6targetE1EEEvT1_
	.p2align	8
	.type	_ZN7rocprim17ROCPRIM_400000_NS6detail17trampoline_kernelINS0_14default_configENS1_27scan_by_key_config_selectorIitEEZZNS1_16scan_by_key_implILNS1_25lookback_scan_determinismE0ELb0ES3_N6thrust23THRUST_200600_302600_NS6detail15normal_iteratorINS9_10device_ptrIiEEEENSB_INSC_ItEEEESG_tNS9_4plusIvEENS9_8equal_toIvEEtEE10hipError_tPvRmT2_T3_T4_T5_mT6_T7_P12ihipStream_tbENKUlT_T0_E_clISt17integral_constantIbLb1EES11_EEDaSW_SX_EUlSW_E_NS1_11comp_targetILNS1_3genE2ELNS1_11target_archE906ELNS1_3gpuE6ELNS1_3repE0EEENS1_30default_config_static_selectorELNS0_4arch9wavefront6targetE1EEEvT1_,@function
_ZN7rocprim17ROCPRIM_400000_NS6detail17trampoline_kernelINS0_14default_configENS1_27scan_by_key_config_selectorIitEEZZNS1_16scan_by_key_implILNS1_25lookback_scan_determinismE0ELb0ES3_N6thrust23THRUST_200600_302600_NS6detail15normal_iteratorINS9_10device_ptrIiEEEENSB_INSC_ItEEEESG_tNS9_4plusIvEENS9_8equal_toIvEEtEE10hipError_tPvRmT2_T3_T4_T5_mT6_T7_P12ihipStream_tbENKUlT_T0_E_clISt17integral_constantIbLb1EES11_EEDaSW_SX_EUlSW_E_NS1_11comp_targetILNS1_3genE2ELNS1_11target_archE906ELNS1_3gpuE6ELNS1_3repE0EEENS1_30default_config_static_selectorELNS0_4arch9wavefront6targetE1EEEvT1_: ; @_ZN7rocprim17ROCPRIM_400000_NS6detail17trampoline_kernelINS0_14default_configENS1_27scan_by_key_config_selectorIitEEZZNS1_16scan_by_key_implILNS1_25lookback_scan_determinismE0ELb0ES3_N6thrust23THRUST_200600_302600_NS6detail15normal_iteratorINS9_10device_ptrIiEEEENSB_INSC_ItEEEESG_tNS9_4plusIvEENS9_8equal_toIvEEtEE10hipError_tPvRmT2_T3_T4_T5_mT6_T7_P12ihipStream_tbENKUlT_T0_E_clISt17integral_constantIbLb1EES11_EEDaSW_SX_EUlSW_E_NS1_11comp_targetILNS1_3genE2ELNS1_11target_archE906ELNS1_3gpuE6ELNS1_3repE0EEENS1_30default_config_static_selectorELNS0_4arch9wavefront6targetE1EEEvT1_
; %bb.0:
	.section	.rodata,"a",@progbits
	.p2align	6, 0x0
	.amdhsa_kernel _ZN7rocprim17ROCPRIM_400000_NS6detail17trampoline_kernelINS0_14default_configENS1_27scan_by_key_config_selectorIitEEZZNS1_16scan_by_key_implILNS1_25lookback_scan_determinismE0ELb0ES3_N6thrust23THRUST_200600_302600_NS6detail15normal_iteratorINS9_10device_ptrIiEEEENSB_INSC_ItEEEESG_tNS9_4plusIvEENS9_8equal_toIvEEtEE10hipError_tPvRmT2_T3_T4_T5_mT6_T7_P12ihipStream_tbENKUlT_T0_E_clISt17integral_constantIbLb1EES11_EEDaSW_SX_EUlSW_E_NS1_11comp_targetILNS1_3genE2ELNS1_11target_archE906ELNS1_3gpuE6ELNS1_3repE0EEENS1_30default_config_static_selectorELNS0_4arch9wavefront6targetE1EEEvT1_
		.amdhsa_group_segment_fixed_size 0
		.amdhsa_private_segment_fixed_size 0
		.amdhsa_kernarg_size 112
		.amdhsa_user_sgpr_count 6
		.amdhsa_user_sgpr_private_segment_buffer 1
		.amdhsa_user_sgpr_dispatch_ptr 0
		.amdhsa_user_sgpr_queue_ptr 0
		.amdhsa_user_sgpr_kernarg_segment_ptr 1
		.amdhsa_user_sgpr_dispatch_id 0
		.amdhsa_user_sgpr_flat_scratch_init 0
		.amdhsa_user_sgpr_kernarg_preload_length 0
		.amdhsa_user_sgpr_kernarg_preload_offset 0
		.amdhsa_user_sgpr_private_segment_size 0
		.amdhsa_uses_dynamic_stack 0
		.amdhsa_system_sgpr_private_segment_wavefront_offset 0
		.amdhsa_system_sgpr_workgroup_id_x 1
		.amdhsa_system_sgpr_workgroup_id_y 0
		.amdhsa_system_sgpr_workgroup_id_z 0
		.amdhsa_system_sgpr_workgroup_info 0
		.amdhsa_system_vgpr_workitem_id 0
		.amdhsa_next_free_vgpr 1
		.amdhsa_next_free_sgpr 0
		.amdhsa_accum_offset 4
		.amdhsa_reserve_vcc 0
		.amdhsa_reserve_flat_scratch 0
		.amdhsa_float_round_mode_32 0
		.amdhsa_float_round_mode_16_64 0
		.amdhsa_float_denorm_mode_32 3
		.amdhsa_float_denorm_mode_16_64 3
		.amdhsa_dx10_clamp 1
		.amdhsa_ieee_mode 1
		.amdhsa_fp16_overflow 0
		.amdhsa_tg_split 0
		.amdhsa_exception_fp_ieee_invalid_op 0
		.amdhsa_exception_fp_denorm_src 0
		.amdhsa_exception_fp_ieee_div_zero 0
		.amdhsa_exception_fp_ieee_overflow 0
		.amdhsa_exception_fp_ieee_underflow 0
		.amdhsa_exception_fp_ieee_inexact 0
		.amdhsa_exception_int_div_zero 0
	.end_amdhsa_kernel
	.section	.text._ZN7rocprim17ROCPRIM_400000_NS6detail17trampoline_kernelINS0_14default_configENS1_27scan_by_key_config_selectorIitEEZZNS1_16scan_by_key_implILNS1_25lookback_scan_determinismE0ELb0ES3_N6thrust23THRUST_200600_302600_NS6detail15normal_iteratorINS9_10device_ptrIiEEEENSB_INSC_ItEEEESG_tNS9_4plusIvEENS9_8equal_toIvEEtEE10hipError_tPvRmT2_T3_T4_T5_mT6_T7_P12ihipStream_tbENKUlT_T0_E_clISt17integral_constantIbLb1EES11_EEDaSW_SX_EUlSW_E_NS1_11comp_targetILNS1_3genE2ELNS1_11target_archE906ELNS1_3gpuE6ELNS1_3repE0EEENS1_30default_config_static_selectorELNS0_4arch9wavefront6targetE1EEEvT1_,"axG",@progbits,_ZN7rocprim17ROCPRIM_400000_NS6detail17trampoline_kernelINS0_14default_configENS1_27scan_by_key_config_selectorIitEEZZNS1_16scan_by_key_implILNS1_25lookback_scan_determinismE0ELb0ES3_N6thrust23THRUST_200600_302600_NS6detail15normal_iteratorINS9_10device_ptrIiEEEENSB_INSC_ItEEEESG_tNS9_4plusIvEENS9_8equal_toIvEEtEE10hipError_tPvRmT2_T3_T4_T5_mT6_T7_P12ihipStream_tbENKUlT_T0_E_clISt17integral_constantIbLb1EES11_EEDaSW_SX_EUlSW_E_NS1_11comp_targetILNS1_3genE2ELNS1_11target_archE906ELNS1_3gpuE6ELNS1_3repE0EEENS1_30default_config_static_selectorELNS0_4arch9wavefront6targetE1EEEvT1_,comdat
.Lfunc_end1283:
	.size	_ZN7rocprim17ROCPRIM_400000_NS6detail17trampoline_kernelINS0_14default_configENS1_27scan_by_key_config_selectorIitEEZZNS1_16scan_by_key_implILNS1_25lookback_scan_determinismE0ELb0ES3_N6thrust23THRUST_200600_302600_NS6detail15normal_iteratorINS9_10device_ptrIiEEEENSB_INSC_ItEEEESG_tNS9_4plusIvEENS9_8equal_toIvEEtEE10hipError_tPvRmT2_T3_T4_T5_mT6_T7_P12ihipStream_tbENKUlT_T0_E_clISt17integral_constantIbLb1EES11_EEDaSW_SX_EUlSW_E_NS1_11comp_targetILNS1_3genE2ELNS1_11target_archE906ELNS1_3gpuE6ELNS1_3repE0EEENS1_30default_config_static_selectorELNS0_4arch9wavefront6targetE1EEEvT1_, .Lfunc_end1283-_ZN7rocprim17ROCPRIM_400000_NS6detail17trampoline_kernelINS0_14default_configENS1_27scan_by_key_config_selectorIitEEZZNS1_16scan_by_key_implILNS1_25lookback_scan_determinismE0ELb0ES3_N6thrust23THRUST_200600_302600_NS6detail15normal_iteratorINS9_10device_ptrIiEEEENSB_INSC_ItEEEESG_tNS9_4plusIvEENS9_8equal_toIvEEtEE10hipError_tPvRmT2_T3_T4_T5_mT6_T7_P12ihipStream_tbENKUlT_T0_E_clISt17integral_constantIbLb1EES11_EEDaSW_SX_EUlSW_E_NS1_11comp_targetILNS1_3genE2ELNS1_11target_archE906ELNS1_3gpuE6ELNS1_3repE0EEENS1_30default_config_static_selectorELNS0_4arch9wavefront6targetE1EEEvT1_
                                        ; -- End function
	.section	.AMDGPU.csdata,"",@progbits
; Kernel info:
; codeLenInByte = 0
; NumSgprs: 4
; NumVgprs: 0
; NumAgprs: 0
; TotalNumVgprs: 0
; ScratchSize: 0
; MemoryBound: 0
; FloatMode: 240
; IeeeMode: 1
; LDSByteSize: 0 bytes/workgroup (compile time only)
; SGPRBlocks: 0
; VGPRBlocks: 0
; NumSGPRsForWavesPerEU: 4
; NumVGPRsForWavesPerEU: 1
; AccumOffset: 4
; Occupancy: 8
; WaveLimiterHint : 0
; COMPUTE_PGM_RSRC2:SCRATCH_EN: 0
; COMPUTE_PGM_RSRC2:USER_SGPR: 6
; COMPUTE_PGM_RSRC2:TRAP_HANDLER: 0
; COMPUTE_PGM_RSRC2:TGID_X_EN: 1
; COMPUTE_PGM_RSRC2:TGID_Y_EN: 0
; COMPUTE_PGM_RSRC2:TGID_Z_EN: 0
; COMPUTE_PGM_RSRC2:TIDIG_COMP_CNT: 0
; COMPUTE_PGM_RSRC3_GFX90A:ACCUM_OFFSET: 0
; COMPUTE_PGM_RSRC3_GFX90A:TG_SPLIT: 0
	.section	.text._ZN7rocprim17ROCPRIM_400000_NS6detail17trampoline_kernelINS0_14default_configENS1_27scan_by_key_config_selectorIitEEZZNS1_16scan_by_key_implILNS1_25lookback_scan_determinismE0ELb0ES3_N6thrust23THRUST_200600_302600_NS6detail15normal_iteratorINS9_10device_ptrIiEEEENSB_INSC_ItEEEESG_tNS9_4plusIvEENS9_8equal_toIvEEtEE10hipError_tPvRmT2_T3_T4_T5_mT6_T7_P12ihipStream_tbENKUlT_T0_E_clISt17integral_constantIbLb1EES11_EEDaSW_SX_EUlSW_E_NS1_11comp_targetILNS1_3genE10ELNS1_11target_archE1200ELNS1_3gpuE4ELNS1_3repE0EEENS1_30default_config_static_selectorELNS0_4arch9wavefront6targetE1EEEvT1_,"axG",@progbits,_ZN7rocprim17ROCPRIM_400000_NS6detail17trampoline_kernelINS0_14default_configENS1_27scan_by_key_config_selectorIitEEZZNS1_16scan_by_key_implILNS1_25lookback_scan_determinismE0ELb0ES3_N6thrust23THRUST_200600_302600_NS6detail15normal_iteratorINS9_10device_ptrIiEEEENSB_INSC_ItEEEESG_tNS9_4plusIvEENS9_8equal_toIvEEtEE10hipError_tPvRmT2_T3_T4_T5_mT6_T7_P12ihipStream_tbENKUlT_T0_E_clISt17integral_constantIbLb1EES11_EEDaSW_SX_EUlSW_E_NS1_11comp_targetILNS1_3genE10ELNS1_11target_archE1200ELNS1_3gpuE4ELNS1_3repE0EEENS1_30default_config_static_selectorELNS0_4arch9wavefront6targetE1EEEvT1_,comdat
	.protected	_ZN7rocprim17ROCPRIM_400000_NS6detail17trampoline_kernelINS0_14default_configENS1_27scan_by_key_config_selectorIitEEZZNS1_16scan_by_key_implILNS1_25lookback_scan_determinismE0ELb0ES3_N6thrust23THRUST_200600_302600_NS6detail15normal_iteratorINS9_10device_ptrIiEEEENSB_INSC_ItEEEESG_tNS9_4plusIvEENS9_8equal_toIvEEtEE10hipError_tPvRmT2_T3_T4_T5_mT6_T7_P12ihipStream_tbENKUlT_T0_E_clISt17integral_constantIbLb1EES11_EEDaSW_SX_EUlSW_E_NS1_11comp_targetILNS1_3genE10ELNS1_11target_archE1200ELNS1_3gpuE4ELNS1_3repE0EEENS1_30default_config_static_selectorELNS0_4arch9wavefront6targetE1EEEvT1_ ; -- Begin function _ZN7rocprim17ROCPRIM_400000_NS6detail17trampoline_kernelINS0_14default_configENS1_27scan_by_key_config_selectorIitEEZZNS1_16scan_by_key_implILNS1_25lookback_scan_determinismE0ELb0ES3_N6thrust23THRUST_200600_302600_NS6detail15normal_iteratorINS9_10device_ptrIiEEEENSB_INSC_ItEEEESG_tNS9_4plusIvEENS9_8equal_toIvEEtEE10hipError_tPvRmT2_T3_T4_T5_mT6_T7_P12ihipStream_tbENKUlT_T0_E_clISt17integral_constantIbLb1EES11_EEDaSW_SX_EUlSW_E_NS1_11comp_targetILNS1_3genE10ELNS1_11target_archE1200ELNS1_3gpuE4ELNS1_3repE0EEENS1_30default_config_static_selectorELNS0_4arch9wavefront6targetE1EEEvT1_
	.globl	_ZN7rocprim17ROCPRIM_400000_NS6detail17trampoline_kernelINS0_14default_configENS1_27scan_by_key_config_selectorIitEEZZNS1_16scan_by_key_implILNS1_25lookback_scan_determinismE0ELb0ES3_N6thrust23THRUST_200600_302600_NS6detail15normal_iteratorINS9_10device_ptrIiEEEENSB_INSC_ItEEEESG_tNS9_4plusIvEENS9_8equal_toIvEEtEE10hipError_tPvRmT2_T3_T4_T5_mT6_T7_P12ihipStream_tbENKUlT_T0_E_clISt17integral_constantIbLb1EES11_EEDaSW_SX_EUlSW_E_NS1_11comp_targetILNS1_3genE10ELNS1_11target_archE1200ELNS1_3gpuE4ELNS1_3repE0EEENS1_30default_config_static_selectorELNS0_4arch9wavefront6targetE1EEEvT1_
	.p2align	8
	.type	_ZN7rocprim17ROCPRIM_400000_NS6detail17trampoline_kernelINS0_14default_configENS1_27scan_by_key_config_selectorIitEEZZNS1_16scan_by_key_implILNS1_25lookback_scan_determinismE0ELb0ES3_N6thrust23THRUST_200600_302600_NS6detail15normal_iteratorINS9_10device_ptrIiEEEENSB_INSC_ItEEEESG_tNS9_4plusIvEENS9_8equal_toIvEEtEE10hipError_tPvRmT2_T3_T4_T5_mT6_T7_P12ihipStream_tbENKUlT_T0_E_clISt17integral_constantIbLb1EES11_EEDaSW_SX_EUlSW_E_NS1_11comp_targetILNS1_3genE10ELNS1_11target_archE1200ELNS1_3gpuE4ELNS1_3repE0EEENS1_30default_config_static_selectorELNS0_4arch9wavefront6targetE1EEEvT1_,@function
_ZN7rocprim17ROCPRIM_400000_NS6detail17trampoline_kernelINS0_14default_configENS1_27scan_by_key_config_selectorIitEEZZNS1_16scan_by_key_implILNS1_25lookback_scan_determinismE0ELb0ES3_N6thrust23THRUST_200600_302600_NS6detail15normal_iteratorINS9_10device_ptrIiEEEENSB_INSC_ItEEEESG_tNS9_4plusIvEENS9_8equal_toIvEEtEE10hipError_tPvRmT2_T3_T4_T5_mT6_T7_P12ihipStream_tbENKUlT_T0_E_clISt17integral_constantIbLb1EES11_EEDaSW_SX_EUlSW_E_NS1_11comp_targetILNS1_3genE10ELNS1_11target_archE1200ELNS1_3gpuE4ELNS1_3repE0EEENS1_30default_config_static_selectorELNS0_4arch9wavefront6targetE1EEEvT1_: ; @_ZN7rocprim17ROCPRIM_400000_NS6detail17trampoline_kernelINS0_14default_configENS1_27scan_by_key_config_selectorIitEEZZNS1_16scan_by_key_implILNS1_25lookback_scan_determinismE0ELb0ES3_N6thrust23THRUST_200600_302600_NS6detail15normal_iteratorINS9_10device_ptrIiEEEENSB_INSC_ItEEEESG_tNS9_4plusIvEENS9_8equal_toIvEEtEE10hipError_tPvRmT2_T3_T4_T5_mT6_T7_P12ihipStream_tbENKUlT_T0_E_clISt17integral_constantIbLb1EES11_EEDaSW_SX_EUlSW_E_NS1_11comp_targetILNS1_3genE10ELNS1_11target_archE1200ELNS1_3gpuE4ELNS1_3repE0EEENS1_30default_config_static_selectorELNS0_4arch9wavefront6targetE1EEEvT1_
; %bb.0:
	.section	.rodata,"a",@progbits
	.p2align	6, 0x0
	.amdhsa_kernel _ZN7rocprim17ROCPRIM_400000_NS6detail17trampoline_kernelINS0_14default_configENS1_27scan_by_key_config_selectorIitEEZZNS1_16scan_by_key_implILNS1_25lookback_scan_determinismE0ELb0ES3_N6thrust23THRUST_200600_302600_NS6detail15normal_iteratorINS9_10device_ptrIiEEEENSB_INSC_ItEEEESG_tNS9_4plusIvEENS9_8equal_toIvEEtEE10hipError_tPvRmT2_T3_T4_T5_mT6_T7_P12ihipStream_tbENKUlT_T0_E_clISt17integral_constantIbLb1EES11_EEDaSW_SX_EUlSW_E_NS1_11comp_targetILNS1_3genE10ELNS1_11target_archE1200ELNS1_3gpuE4ELNS1_3repE0EEENS1_30default_config_static_selectorELNS0_4arch9wavefront6targetE1EEEvT1_
		.amdhsa_group_segment_fixed_size 0
		.amdhsa_private_segment_fixed_size 0
		.amdhsa_kernarg_size 112
		.amdhsa_user_sgpr_count 6
		.amdhsa_user_sgpr_private_segment_buffer 1
		.amdhsa_user_sgpr_dispatch_ptr 0
		.amdhsa_user_sgpr_queue_ptr 0
		.amdhsa_user_sgpr_kernarg_segment_ptr 1
		.amdhsa_user_sgpr_dispatch_id 0
		.amdhsa_user_sgpr_flat_scratch_init 0
		.amdhsa_user_sgpr_kernarg_preload_length 0
		.amdhsa_user_sgpr_kernarg_preload_offset 0
		.amdhsa_user_sgpr_private_segment_size 0
		.amdhsa_uses_dynamic_stack 0
		.amdhsa_system_sgpr_private_segment_wavefront_offset 0
		.amdhsa_system_sgpr_workgroup_id_x 1
		.amdhsa_system_sgpr_workgroup_id_y 0
		.amdhsa_system_sgpr_workgroup_id_z 0
		.amdhsa_system_sgpr_workgroup_info 0
		.amdhsa_system_vgpr_workitem_id 0
		.amdhsa_next_free_vgpr 1
		.amdhsa_next_free_sgpr 0
		.amdhsa_accum_offset 4
		.amdhsa_reserve_vcc 0
		.amdhsa_reserve_flat_scratch 0
		.amdhsa_float_round_mode_32 0
		.amdhsa_float_round_mode_16_64 0
		.amdhsa_float_denorm_mode_32 3
		.amdhsa_float_denorm_mode_16_64 3
		.amdhsa_dx10_clamp 1
		.amdhsa_ieee_mode 1
		.amdhsa_fp16_overflow 0
		.amdhsa_tg_split 0
		.amdhsa_exception_fp_ieee_invalid_op 0
		.amdhsa_exception_fp_denorm_src 0
		.amdhsa_exception_fp_ieee_div_zero 0
		.amdhsa_exception_fp_ieee_overflow 0
		.amdhsa_exception_fp_ieee_underflow 0
		.amdhsa_exception_fp_ieee_inexact 0
		.amdhsa_exception_int_div_zero 0
	.end_amdhsa_kernel
	.section	.text._ZN7rocprim17ROCPRIM_400000_NS6detail17trampoline_kernelINS0_14default_configENS1_27scan_by_key_config_selectorIitEEZZNS1_16scan_by_key_implILNS1_25lookback_scan_determinismE0ELb0ES3_N6thrust23THRUST_200600_302600_NS6detail15normal_iteratorINS9_10device_ptrIiEEEENSB_INSC_ItEEEESG_tNS9_4plusIvEENS9_8equal_toIvEEtEE10hipError_tPvRmT2_T3_T4_T5_mT6_T7_P12ihipStream_tbENKUlT_T0_E_clISt17integral_constantIbLb1EES11_EEDaSW_SX_EUlSW_E_NS1_11comp_targetILNS1_3genE10ELNS1_11target_archE1200ELNS1_3gpuE4ELNS1_3repE0EEENS1_30default_config_static_selectorELNS0_4arch9wavefront6targetE1EEEvT1_,"axG",@progbits,_ZN7rocprim17ROCPRIM_400000_NS6detail17trampoline_kernelINS0_14default_configENS1_27scan_by_key_config_selectorIitEEZZNS1_16scan_by_key_implILNS1_25lookback_scan_determinismE0ELb0ES3_N6thrust23THRUST_200600_302600_NS6detail15normal_iteratorINS9_10device_ptrIiEEEENSB_INSC_ItEEEESG_tNS9_4plusIvEENS9_8equal_toIvEEtEE10hipError_tPvRmT2_T3_T4_T5_mT6_T7_P12ihipStream_tbENKUlT_T0_E_clISt17integral_constantIbLb1EES11_EEDaSW_SX_EUlSW_E_NS1_11comp_targetILNS1_3genE10ELNS1_11target_archE1200ELNS1_3gpuE4ELNS1_3repE0EEENS1_30default_config_static_selectorELNS0_4arch9wavefront6targetE1EEEvT1_,comdat
.Lfunc_end1284:
	.size	_ZN7rocprim17ROCPRIM_400000_NS6detail17trampoline_kernelINS0_14default_configENS1_27scan_by_key_config_selectorIitEEZZNS1_16scan_by_key_implILNS1_25lookback_scan_determinismE0ELb0ES3_N6thrust23THRUST_200600_302600_NS6detail15normal_iteratorINS9_10device_ptrIiEEEENSB_INSC_ItEEEESG_tNS9_4plusIvEENS9_8equal_toIvEEtEE10hipError_tPvRmT2_T3_T4_T5_mT6_T7_P12ihipStream_tbENKUlT_T0_E_clISt17integral_constantIbLb1EES11_EEDaSW_SX_EUlSW_E_NS1_11comp_targetILNS1_3genE10ELNS1_11target_archE1200ELNS1_3gpuE4ELNS1_3repE0EEENS1_30default_config_static_selectorELNS0_4arch9wavefront6targetE1EEEvT1_, .Lfunc_end1284-_ZN7rocprim17ROCPRIM_400000_NS6detail17trampoline_kernelINS0_14default_configENS1_27scan_by_key_config_selectorIitEEZZNS1_16scan_by_key_implILNS1_25lookback_scan_determinismE0ELb0ES3_N6thrust23THRUST_200600_302600_NS6detail15normal_iteratorINS9_10device_ptrIiEEEENSB_INSC_ItEEEESG_tNS9_4plusIvEENS9_8equal_toIvEEtEE10hipError_tPvRmT2_T3_T4_T5_mT6_T7_P12ihipStream_tbENKUlT_T0_E_clISt17integral_constantIbLb1EES11_EEDaSW_SX_EUlSW_E_NS1_11comp_targetILNS1_3genE10ELNS1_11target_archE1200ELNS1_3gpuE4ELNS1_3repE0EEENS1_30default_config_static_selectorELNS0_4arch9wavefront6targetE1EEEvT1_
                                        ; -- End function
	.section	.AMDGPU.csdata,"",@progbits
; Kernel info:
; codeLenInByte = 0
; NumSgprs: 4
; NumVgprs: 0
; NumAgprs: 0
; TotalNumVgprs: 0
; ScratchSize: 0
; MemoryBound: 0
; FloatMode: 240
; IeeeMode: 1
; LDSByteSize: 0 bytes/workgroup (compile time only)
; SGPRBlocks: 0
; VGPRBlocks: 0
; NumSGPRsForWavesPerEU: 4
; NumVGPRsForWavesPerEU: 1
; AccumOffset: 4
; Occupancy: 8
; WaveLimiterHint : 0
; COMPUTE_PGM_RSRC2:SCRATCH_EN: 0
; COMPUTE_PGM_RSRC2:USER_SGPR: 6
; COMPUTE_PGM_RSRC2:TRAP_HANDLER: 0
; COMPUTE_PGM_RSRC2:TGID_X_EN: 1
; COMPUTE_PGM_RSRC2:TGID_Y_EN: 0
; COMPUTE_PGM_RSRC2:TGID_Z_EN: 0
; COMPUTE_PGM_RSRC2:TIDIG_COMP_CNT: 0
; COMPUTE_PGM_RSRC3_GFX90A:ACCUM_OFFSET: 0
; COMPUTE_PGM_RSRC3_GFX90A:TG_SPLIT: 0
	.section	.text._ZN7rocprim17ROCPRIM_400000_NS6detail17trampoline_kernelINS0_14default_configENS1_27scan_by_key_config_selectorIitEEZZNS1_16scan_by_key_implILNS1_25lookback_scan_determinismE0ELb0ES3_N6thrust23THRUST_200600_302600_NS6detail15normal_iteratorINS9_10device_ptrIiEEEENSB_INSC_ItEEEESG_tNS9_4plusIvEENS9_8equal_toIvEEtEE10hipError_tPvRmT2_T3_T4_T5_mT6_T7_P12ihipStream_tbENKUlT_T0_E_clISt17integral_constantIbLb1EES11_EEDaSW_SX_EUlSW_E_NS1_11comp_targetILNS1_3genE9ELNS1_11target_archE1100ELNS1_3gpuE3ELNS1_3repE0EEENS1_30default_config_static_selectorELNS0_4arch9wavefront6targetE1EEEvT1_,"axG",@progbits,_ZN7rocprim17ROCPRIM_400000_NS6detail17trampoline_kernelINS0_14default_configENS1_27scan_by_key_config_selectorIitEEZZNS1_16scan_by_key_implILNS1_25lookback_scan_determinismE0ELb0ES3_N6thrust23THRUST_200600_302600_NS6detail15normal_iteratorINS9_10device_ptrIiEEEENSB_INSC_ItEEEESG_tNS9_4plusIvEENS9_8equal_toIvEEtEE10hipError_tPvRmT2_T3_T4_T5_mT6_T7_P12ihipStream_tbENKUlT_T0_E_clISt17integral_constantIbLb1EES11_EEDaSW_SX_EUlSW_E_NS1_11comp_targetILNS1_3genE9ELNS1_11target_archE1100ELNS1_3gpuE3ELNS1_3repE0EEENS1_30default_config_static_selectorELNS0_4arch9wavefront6targetE1EEEvT1_,comdat
	.protected	_ZN7rocprim17ROCPRIM_400000_NS6detail17trampoline_kernelINS0_14default_configENS1_27scan_by_key_config_selectorIitEEZZNS1_16scan_by_key_implILNS1_25lookback_scan_determinismE0ELb0ES3_N6thrust23THRUST_200600_302600_NS6detail15normal_iteratorINS9_10device_ptrIiEEEENSB_INSC_ItEEEESG_tNS9_4plusIvEENS9_8equal_toIvEEtEE10hipError_tPvRmT2_T3_T4_T5_mT6_T7_P12ihipStream_tbENKUlT_T0_E_clISt17integral_constantIbLb1EES11_EEDaSW_SX_EUlSW_E_NS1_11comp_targetILNS1_3genE9ELNS1_11target_archE1100ELNS1_3gpuE3ELNS1_3repE0EEENS1_30default_config_static_selectorELNS0_4arch9wavefront6targetE1EEEvT1_ ; -- Begin function _ZN7rocprim17ROCPRIM_400000_NS6detail17trampoline_kernelINS0_14default_configENS1_27scan_by_key_config_selectorIitEEZZNS1_16scan_by_key_implILNS1_25lookback_scan_determinismE0ELb0ES3_N6thrust23THRUST_200600_302600_NS6detail15normal_iteratorINS9_10device_ptrIiEEEENSB_INSC_ItEEEESG_tNS9_4plusIvEENS9_8equal_toIvEEtEE10hipError_tPvRmT2_T3_T4_T5_mT6_T7_P12ihipStream_tbENKUlT_T0_E_clISt17integral_constantIbLb1EES11_EEDaSW_SX_EUlSW_E_NS1_11comp_targetILNS1_3genE9ELNS1_11target_archE1100ELNS1_3gpuE3ELNS1_3repE0EEENS1_30default_config_static_selectorELNS0_4arch9wavefront6targetE1EEEvT1_
	.globl	_ZN7rocprim17ROCPRIM_400000_NS6detail17trampoline_kernelINS0_14default_configENS1_27scan_by_key_config_selectorIitEEZZNS1_16scan_by_key_implILNS1_25lookback_scan_determinismE0ELb0ES3_N6thrust23THRUST_200600_302600_NS6detail15normal_iteratorINS9_10device_ptrIiEEEENSB_INSC_ItEEEESG_tNS9_4plusIvEENS9_8equal_toIvEEtEE10hipError_tPvRmT2_T3_T4_T5_mT6_T7_P12ihipStream_tbENKUlT_T0_E_clISt17integral_constantIbLb1EES11_EEDaSW_SX_EUlSW_E_NS1_11comp_targetILNS1_3genE9ELNS1_11target_archE1100ELNS1_3gpuE3ELNS1_3repE0EEENS1_30default_config_static_selectorELNS0_4arch9wavefront6targetE1EEEvT1_
	.p2align	8
	.type	_ZN7rocprim17ROCPRIM_400000_NS6detail17trampoline_kernelINS0_14default_configENS1_27scan_by_key_config_selectorIitEEZZNS1_16scan_by_key_implILNS1_25lookback_scan_determinismE0ELb0ES3_N6thrust23THRUST_200600_302600_NS6detail15normal_iteratorINS9_10device_ptrIiEEEENSB_INSC_ItEEEESG_tNS9_4plusIvEENS9_8equal_toIvEEtEE10hipError_tPvRmT2_T3_T4_T5_mT6_T7_P12ihipStream_tbENKUlT_T0_E_clISt17integral_constantIbLb1EES11_EEDaSW_SX_EUlSW_E_NS1_11comp_targetILNS1_3genE9ELNS1_11target_archE1100ELNS1_3gpuE3ELNS1_3repE0EEENS1_30default_config_static_selectorELNS0_4arch9wavefront6targetE1EEEvT1_,@function
_ZN7rocprim17ROCPRIM_400000_NS6detail17trampoline_kernelINS0_14default_configENS1_27scan_by_key_config_selectorIitEEZZNS1_16scan_by_key_implILNS1_25lookback_scan_determinismE0ELb0ES3_N6thrust23THRUST_200600_302600_NS6detail15normal_iteratorINS9_10device_ptrIiEEEENSB_INSC_ItEEEESG_tNS9_4plusIvEENS9_8equal_toIvEEtEE10hipError_tPvRmT2_T3_T4_T5_mT6_T7_P12ihipStream_tbENKUlT_T0_E_clISt17integral_constantIbLb1EES11_EEDaSW_SX_EUlSW_E_NS1_11comp_targetILNS1_3genE9ELNS1_11target_archE1100ELNS1_3gpuE3ELNS1_3repE0EEENS1_30default_config_static_selectorELNS0_4arch9wavefront6targetE1EEEvT1_: ; @_ZN7rocprim17ROCPRIM_400000_NS6detail17trampoline_kernelINS0_14default_configENS1_27scan_by_key_config_selectorIitEEZZNS1_16scan_by_key_implILNS1_25lookback_scan_determinismE0ELb0ES3_N6thrust23THRUST_200600_302600_NS6detail15normal_iteratorINS9_10device_ptrIiEEEENSB_INSC_ItEEEESG_tNS9_4plusIvEENS9_8equal_toIvEEtEE10hipError_tPvRmT2_T3_T4_T5_mT6_T7_P12ihipStream_tbENKUlT_T0_E_clISt17integral_constantIbLb1EES11_EEDaSW_SX_EUlSW_E_NS1_11comp_targetILNS1_3genE9ELNS1_11target_archE1100ELNS1_3gpuE3ELNS1_3repE0EEENS1_30default_config_static_selectorELNS0_4arch9wavefront6targetE1EEEvT1_
; %bb.0:
	.section	.rodata,"a",@progbits
	.p2align	6, 0x0
	.amdhsa_kernel _ZN7rocprim17ROCPRIM_400000_NS6detail17trampoline_kernelINS0_14default_configENS1_27scan_by_key_config_selectorIitEEZZNS1_16scan_by_key_implILNS1_25lookback_scan_determinismE0ELb0ES3_N6thrust23THRUST_200600_302600_NS6detail15normal_iteratorINS9_10device_ptrIiEEEENSB_INSC_ItEEEESG_tNS9_4plusIvEENS9_8equal_toIvEEtEE10hipError_tPvRmT2_T3_T4_T5_mT6_T7_P12ihipStream_tbENKUlT_T0_E_clISt17integral_constantIbLb1EES11_EEDaSW_SX_EUlSW_E_NS1_11comp_targetILNS1_3genE9ELNS1_11target_archE1100ELNS1_3gpuE3ELNS1_3repE0EEENS1_30default_config_static_selectorELNS0_4arch9wavefront6targetE1EEEvT1_
		.amdhsa_group_segment_fixed_size 0
		.amdhsa_private_segment_fixed_size 0
		.amdhsa_kernarg_size 112
		.amdhsa_user_sgpr_count 6
		.amdhsa_user_sgpr_private_segment_buffer 1
		.amdhsa_user_sgpr_dispatch_ptr 0
		.amdhsa_user_sgpr_queue_ptr 0
		.amdhsa_user_sgpr_kernarg_segment_ptr 1
		.amdhsa_user_sgpr_dispatch_id 0
		.amdhsa_user_sgpr_flat_scratch_init 0
		.amdhsa_user_sgpr_kernarg_preload_length 0
		.amdhsa_user_sgpr_kernarg_preload_offset 0
		.amdhsa_user_sgpr_private_segment_size 0
		.amdhsa_uses_dynamic_stack 0
		.amdhsa_system_sgpr_private_segment_wavefront_offset 0
		.amdhsa_system_sgpr_workgroup_id_x 1
		.amdhsa_system_sgpr_workgroup_id_y 0
		.amdhsa_system_sgpr_workgroup_id_z 0
		.amdhsa_system_sgpr_workgroup_info 0
		.amdhsa_system_vgpr_workitem_id 0
		.amdhsa_next_free_vgpr 1
		.amdhsa_next_free_sgpr 0
		.amdhsa_accum_offset 4
		.amdhsa_reserve_vcc 0
		.amdhsa_reserve_flat_scratch 0
		.amdhsa_float_round_mode_32 0
		.amdhsa_float_round_mode_16_64 0
		.amdhsa_float_denorm_mode_32 3
		.amdhsa_float_denorm_mode_16_64 3
		.amdhsa_dx10_clamp 1
		.amdhsa_ieee_mode 1
		.amdhsa_fp16_overflow 0
		.amdhsa_tg_split 0
		.amdhsa_exception_fp_ieee_invalid_op 0
		.amdhsa_exception_fp_denorm_src 0
		.amdhsa_exception_fp_ieee_div_zero 0
		.amdhsa_exception_fp_ieee_overflow 0
		.amdhsa_exception_fp_ieee_underflow 0
		.amdhsa_exception_fp_ieee_inexact 0
		.amdhsa_exception_int_div_zero 0
	.end_amdhsa_kernel
	.section	.text._ZN7rocprim17ROCPRIM_400000_NS6detail17trampoline_kernelINS0_14default_configENS1_27scan_by_key_config_selectorIitEEZZNS1_16scan_by_key_implILNS1_25lookback_scan_determinismE0ELb0ES3_N6thrust23THRUST_200600_302600_NS6detail15normal_iteratorINS9_10device_ptrIiEEEENSB_INSC_ItEEEESG_tNS9_4plusIvEENS9_8equal_toIvEEtEE10hipError_tPvRmT2_T3_T4_T5_mT6_T7_P12ihipStream_tbENKUlT_T0_E_clISt17integral_constantIbLb1EES11_EEDaSW_SX_EUlSW_E_NS1_11comp_targetILNS1_3genE9ELNS1_11target_archE1100ELNS1_3gpuE3ELNS1_3repE0EEENS1_30default_config_static_selectorELNS0_4arch9wavefront6targetE1EEEvT1_,"axG",@progbits,_ZN7rocprim17ROCPRIM_400000_NS6detail17trampoline_kernelINS0_14default_configENS1_27scan_by_key_config_selectorIitEEZZNS1_16scan_by_key_implILNS1_25lookback_scan_determinismE0ELb0ES3_N6thrust23THRUST_200600_302600_NS6detail15normal_iteratorINS9_10device_ptrIiEEEENSB_INSC_ItEEEESG_tNS9_4plusIvEENS9_8equal_toIvEEtEE10hipError_tPvRmT2_T3_T4_T5_mT6_T7_P12ihipStream_tbENKUlT_T0_E_clISt17integral_constantIbLb1EES11_EEDaSW_SX_EUlSW_E_NS1_11comp_targetILNS1_3genE9ELNS1_11target_archE1100ELNS1_3gpuE3ELNS1_3repE0EEENS1_30default_config_static_selectorELNS0_4arch9wavefront6targetE1EEEvT1_,comdat
.Lfunc_end1285:
	.size	_ZN7rocprim17ROCPRIM_400000_NS6detail17trampoline_kernelINS0_14default_configENS1_27scan_by_key_config_selectorIitEEZZNS1_16scan_by_key_implILNS1_25lookback_scan_determinismE0ELb0ES3_N6thrust23THRUST_200600_302600_NS6detail15normal_iteratorINS9_10device_ptrIiEEEENSB_INSC_ItEEEESG_tNS9_4plusIvEENS9_8equal_toIvEEtEE10hipError_tPvRmT2_T3_T4_T5_mT6_T7_P12ihipStream_tbENKUlT_T0_E_clISt17integral_constantIbLb1EES11_EEDaSW_SX_EUlSW_E_NS1_11comp_targetILNS1_3genE9ELNS1_11target_archE1100ELNS1_3gpuE3ELNS1_3repE0EEENS1_30default_config_static_selectorELNS0_4arch9wavefront6targetE1EEEvT1_, .Lfunc_end1285-_ZN7rocprim17ROCPRIM_400000_NS6detail17trampoline_kernelINS0_14default_configENS1_27scan_by_key_config_selectorIitEEZZNS1_16scan_by_key_implILNS1_25lookback_scan_determinismE0ELb0ES3_N6thrust23THRUST_200600_302600_NS6detail15normal_iteratorINS9_10device_ptrIiEEEENSB_INSC_ItEEEESG_tNS9_4plusIvEENS9_8equal_toIvEEtEE10hipError_tPvRmT2_T3_T4_T5_mT6_T7_P12ihipStream_tbENKUlT_T0_E_clISt17integral_constantIbLb1EES11_EEDaSW_SX_EUlSW_E_NS1_11comp_targetILNS1_3genE9ELNS1_11target_archE1100ELNS1_3gpuE3ELNS1_3repE0EEENS1_30default_config_static_selectorELNS0_4arch9wavefront6targetE1EEEvT1_
                                        ; -- End function
	.section	.AMDGPU.csdata,"",@progbits
; Kernel info:
; codeLenInByte = 0
; NumSgprs: 4
; NumVgprs: 0
; NumAgprs: 0
; TotalNumVgprs: 0
; ScratchSize: 0
; MemoryBound: 0
; FloatMode: 240
; IeeeMode: 1
; LDSByteSize: 0 bytes/workgroup (compile time only)
; SGPRBlocks: 0
; VGPRBlocks: 0
; NumSGPRsForWavesPerEU: 4
; NumVGPRsForWavesPerEU: 1
; AccumOffset: 4
; Occupancy: 8
; WaveLimiterHint : 0
; COMPUTE_PGM_RSRC2:SCRATCH_EN: 0
; COMPUTE_PGM_RSRC2:USER_SGPR: 6
; COMPUTE_PGM_RSRC2:TRAP_HANDLER: 0
; COMPUTE_PGM_RSRC2:TGID_X_EN: 1
; COMPUTE_PGM_RSRC2:TGID_Y_EN: 0
; COMPUTE_PGM_RSRC2:TGID_Z_EN: 0
; COMPUTE_PGM_RSRC2:TIDIG_COMP_CNT: 0
; COMPUTE_PGM_RSRC3_GFX90A:ACCUM_OFFSET: 0
; COMPUTE_PGM_RSRC3_GFX90A:TG_SPLIT: 0
	.section	.text._ZN7rocprim17ROCPRIM_400000_NS6detail17trampoline_kernelINS0_14default_configENS1_27scan_by_key_config_selectorIitEEZZNS1_16scan_by_key_implILNS1_25lookback_scan_determinismE0ELb0ES3_N6thrust23THRUST_200600_302600_NS6detail15normal_iteratorINS9_10device_ptrIiEEEENSB_INSC_ItEEEESG_tNS9_4plusIvEENS9_8equal_toIvEEtEE10hipError_tPvRmT2_T3_T4_T5_mT6_T7_P12ihipStream_tbENKUlT_T0_E_clISt17integral_constantIbLb1EES11_EEDaSW_SX_EUlSW_E_NS1_11comp_targetILNS1_3genE8ELNS1_11target_archE1030ELNS1_3gpuE2ELNS1_3repE0EEENS1_30default_config_static_selectorELNS0_4arch9wavefront6targetE1EEEvT1_,"axG",@progbits,_ZN7rocprim17ROCPRIM_400000_NS6detail17trampoline_kernelINS0_14default_configENS1_27scan_by_key_config_selectorIitEEZZNS1_16scan_by_key_implILNS1_25lookback_scan_determinismE0ELb0ES3_N6thrust23THRUST_200600_302600_NS6detail15normal_iteratorINS9_10device_ptrIiEEEENSB_INSC_ItEEEESG_tNS9_4plusIvEENS9_8equal_toIvEEtEE10hipError_tPvRmT2_T3_T4_T5_mT6_T7_P12ihipStream_tbENKUlT_T0_E_clISt17integral_constantIbLb1EES11_EEDaSW_SX_EUlSW_E_NS1_11comp_targetILNS1_3genE8ELNS1_11target_archE1030ELNS1_3gpuE2ELNS1_3repE0EEENS1_30default_config_static_selectorELNS0_4arch9wavefront6targetE1EEEvT1_,comdat
	.protected	_ZN7rocprim17ROCPRIM_400000_NS6detail17trampoline_kernelINS0_14default_configENS1_27scan_by_key_config_selectorIitEEZZNS1_16scan_by_key_implILNS1_25lookback_scan_determinismE0ELb0ES3_N6thrust23THRUST_200600_302600_NS6detail15normal_iteratorINS9_10device_ptrIiEEEENSB_INSC_ItEEEESG_tNS9_4plusIvEENS9_8equal_toIvEEtEE10hipError_tPvRmT2_T3_T4_T5_mT6_T7_P12ihipStream_tbENKUlT_T0_E_clISt17integral_constantIbLb1EES11_EEDaSW_SX_EUlSW_E_NS1_11comp_targetILNS1_3genE8ELNS1_11target_archE1030ELNS1_3gpuE2ELNS1_3repE0EEENS1_30default_config_static_selectorELNS0_4arch9wavefront6targetE1EEEvT1_ ; -- Begin function _ZN7rocprim17ROCPRIM_400000_NS6detail17trampoline_kernelINS0_14default_configENS1_27scan_by_key_config_selectorIitEEZZNS1_16scan_by_key_implILNS1_25lookback_scan_determinismE0ELb0ES3_N6thrust23THRUST_200600_302600_NS6detail15normal_iteratorINS9_10device_ptrIiEEEENSB_INSC_ItEEEESG_tNS9_4plusIvEENS9_8equal_toIvEEtEE10hipError_tPvRmT2_T3_T4_T5_mT6_T7_P12ihipStream_tbENKUlT_T0_E_clISt17integral_constantIbLb1EES11_EEDaSW_SX_EUlSW_E_NS1_11comp_targetILNS1_3genE8ELNS1_11target_archE1030ELNS1_3gpuE2ELNS1_3repE0EEENS1_30default_config_static_selectorELNS0_4arch9wavefront6targetE1EEEvT1_
	.globl	_ZN7rocprim17ROCPRIM_400000_NS6detail17trampoline_kernelINS0_14default_configENS1_27scan_by_key_config_selectorIitEEZZNS1_16scan_by_key_implILNS1_25lookback_scan_determinismE0ELb0ES3_N6thrust23THRUST_200600_302600_NS6detail15normal_iteratorINS9_10device_ptrIiEEEENSB_INSC_ItEEEESG_tNS9_4plusIvEENS9_8equal_toIvEEtEE10hipError_tPvRmT2_T3_T4_T5_mT6_T7_P12ihipStream_tbENKUlT_T0_E_clISt17integral_constantIbLb1EES11_EEDaSW_SX_EUlSW_E_NS1_11comp_targetILNS1_3genE8ELNS1_11target_archE1030ELNS1_3gpuE2ELNS1_3repE0EEENS1_30default_config_static_selectorELNS0_4arch9wavefront6targetE1EEEvT1_
	.p2align	8
	.type	_ZN7rocprim17ROCPRIM_400000_NS6detail17trampoline_kernelINS0_14default_configENS1_27scan_by_key_config_selectorIitEEZZNS1_16scan_by_key_implILNS1_25lookback_scan_determinismE0ELb0ES3_N6thrust23THRUST_200600_302600_NS6detail15normal_iteratorINS9_10device_ptrIiEEEENSB_INSC_ItEEEESG_tNS9_4plusIvEENS9_8equal_toIvEEtEE10hipError_tPvRmT2_T3_T4_T5_mT6_T7_P12ihipStream_tbENKUlT_T0_E_clISt17integral_constantIbLb1EES11_EEDaSW_SX_EUlSW_E_NS1_11comp_targetILNS1_3genE8ELNS1_11target_archE1030ELNS1_3gpuE2ELNS1_3repE0EEENS1_30default_config_static_selectorELNS0_4arch9wavefront6targetE1EEEvT1_,@function
_ZN7rocprim17ROCPRIM_400000_NS6detail17trampoline_kernelINS0_14default_configENS1_27scan_by_key_config_selectorIitEEZZNS1_16scan_by_key_implILNS1_25lookback_scan_determinismE0ELb0ES3_N6thrust23THRUST_200600_302600_NS6detail15normal_iteratorINS9_10device_ptrIiEEEENSB_INSC_ItEEEESG_tNS9_4plusIvEENS9_8equal_toIvEEtEE10hipError_tPvRmT2_T3_T4_T5_mT6_T7_P12ihipStream_tbENKUlT_T0_E_clISt17integral_constantIbLb1EES11_EEDaSW_SX_EUlSW_E_NS1_11comp_targetILNS1_3genE8ELNS1_11target_archE1030ELNS1_3gpuE2ELNS1_3repE0EEENS1_30default_config_static_selectorELNS0_4arch9wavefront6targetE1EEEvT1_: ; @_ZN7rocprim17ROCPRIM_400000_NS6detail17trampoline_kernelINS0_14default_configENS1_27scan_by_key_config_selectorIitEEZZNS1_16scan_by_key_implILNS1_25lookback_scan_determinismE0ELb0ES3_N6thrust23THRUST_200600_302600_NS6detail15normal_iteratorINS9_10device_ptrIiEEEENSB_INSC_ItEEEESG_tNS9_4plusIvEENS9_8equal_toIvEEtEE10hipError_tPvRmT2_T3_T4_T5_mT6_T7_P12ihipStream_tbENKUlT_T0_E_clISt17integral_constantIbLb1EES11_EEDaSW_SX_EUlSW_E_NS1_11comp_targetILNS1_3genE8ELNS1_11target_archE1030ELNS1_3gpuE2ELNS1_3repE0EEENS1_30default_config_static_selectorELNS0_4arch9wavefront6targetE1EEEvT1_
; %bb.0:
	.section	.rodata,"a",@progbits
	.p2align	6, 0x0
	.amdhsa_kernel _ZN7rocprim17ROCPRIM_400000_NS6detail17trampoline_kernelINS0_14default_configENS1_27scan_by_key_config_selectorIitEEZZNS1_16scan_by_key_implILNS1_25lookback_scan_determinismE0ELb0ES3_N6thrust23THRUST_200600_302600_NS6detail15normal_iteratorINS9_10device_ptrIiEEEENSB_INSC_ItEEEESG_tNS9_4plusIvEENS9_8equal_toIvEEtEE10hipError_tPvRmT2_T3_T4_T5_mT6_T7_P12ihipStream_tbENKUlT_T0_E_clISt17integral_constantIbLb1EES11_EEDaSW_SX_EUlSW_E_NS1_11comp_targetILNS1_3genE8ELNS1_11target_archE1030ELNS1_3gpuE2ELNS1_3repE0EEENS1_30default_config_static_selectorELNS0_4arch9wavefront6targetE1EEEvT1_
		.amdhsa_group_segment_fixed_size 0
		.amdhsa_private_segment_fixed_size 0
		.amdhsa_kernarg_size 112
		.amdhsa_user_sgpr_count 6
		.amdhsa_user_sgpr_private_segment_buffer 1
		.amdhsa_user_sgpr_dispatch_ptr 0
		.amdhsa_user_sgpr_queue_ptr 0
		.amdhsa_user_sgpr_kernarg_segment_ptr 1
		.amdhsa_user_sgpr_dispatch_id 0
		.amdhsa_user_sgpr_flat_scratch_init 0
		.amdhsa_user_sgpr_kernarg_preload_length 0
		.amdhsa_user_sgpr_kernarg_preload_offset 0
		.amdhsa_user_sgpr_private_segment_size 0
		.amdhsa_uses_dynamic_stack 0
		.amdhsa_system_sgpr_private_segment_wavefront_offset 0
		.amdhsa_system_sgpr_workgroup_id_x 1
		.amdhsa_system_sgpr_workgroup_id_y 0
		.amdhsa_system_sgpr_workgroup_id_z 0
		.amdhsa_system_sgpr_workgroup_info 0
		.amdhsa_system_vgpr_workitem_id 0
		.amdhsa_next_free_vgpr 1
		.amdhsa_next_free_sgpr 0
		.amdhsa_accum_offset 4
		.amdhsa_reserve_vcc 0
		.amdhsa_reserve_flat_scratch 0
		.amdhsa_float_round_mode_32 0
		.amdhsa_float_round_mode_16_64 0
		.amdhsa_float_denorm_mode_32 3
		.amdhsa_float_denorm_mode_16_64 3
		.amdhsa_dx10_clamp 1
		.amdhsa_ieee_mode 1
		.amdhsa_fp16_overflow 0
		.amdhsa_tg_split 0
		.amdhsa_exception_fp_ieee_invalid_op 0
		.amdhsa_exception_fp_denorm_src 0
		.amdhsa_exception_fp_ieee_div_zero 0
		.amdhsa_exception_fp_ieee_overflow 0
		.amdhsa_exception_fp_ieee_underflow 0
		.amdhsa_exception_fp_ieee_inexact 0
		.amdhsa_exception_int_div_zero 0
	.end_amdhsa_kernel
	.section	.text._ZN7rocprim17ROCPRIM_400000_NS6detail17trampoline_kernelINS0_14default_configENS1_27scan_by_key_config_selectorIitEEZZNS1_16scan_by_key_implILNS1_25lookback_scan_determinismE0ELb0ES3_N6thrust23THRUST_200600_302600_NS6detail15normal_iteratorINS9_10device_ptrIiEEEENSB_INSC_ItEEEESG_tNS9_4plusIvEENS9_8equal_toIvEEtEE10hipError_tPvRmT2_T3_T4_T5_mT6_T7_P12ihipStream_tbENKUlT_T0_E_clISt17integral_constantIbLb1EES11_EEDaSW_SX_EUlSW_E_NS1_11comp_targetILNS1_3genE8ELNS1_11target_archE1030ELNS1_3gpuE2ELNS1_3repE0EEENS1_30default_config_static_selectorELNS0_4arch9wavefront6targetE1EEEvT1_,"axG",@progbits,_ZN7rocprim17ROCPRIM_400000_NS6detail17trampoline_kernelINS0_14default_configENS1_27scan_by_key_config_selectorIitEEZZNS1_16scan_by_key_implILNS1_25lookback_scan_determinismE0ELb0ES3_N6thrust23THRUST_200600_302600_NS6detail15normal_iteratorINS9_10device_ptrIiEEEENSB_INSC_ItEEEESG_tNS9_4plusIvEENS9_8equal_toIvEEtEE10hipError_tPvRmT2_T3_T4_T5_mT6_T7_P12ihipStream_tbENKUlT_T0_E_clISt17integral_constantIbLb1EES11_EEDaSW_SX_EUlSW_E_NS1_11comp_targetILNS1_3genE8ELNS1_11target_archE1030ELNS1_3gpuE2ELNS1_3repE0EEENS1_30default_config_static_selectorELNS0_4arch9wavefront6targetE1EEEvT1_,comdat
.Lfunc_end1286:
	.size	_ZN7rocprim17ROCPRIM_400000_NS6detail17trampoline_kernelINS0_14default_configENS1_27scan_by_key_config_selectorIitEEZZNS1_16scan_by_key_implILNS1_25lookback_scan_determinismE0ELb0ES3_N6thrust23THRUST_200600_302600_NS6detail15normal_iteratorINS9_10device_ptrIiEEEENSB_INSC_ItEEEESG_tNS9_4plusIvEENS9_8equal_toIvEEtEE10hipError_tPvRmT2_T3_T4_T5_mT6_T7_P12ihipStream_tbENKUlT_T0_E_clISt17integral_constantIbLb1EES11_EEDaSW_SX_EUlSW_E_NS1_11comp_targetILNS1_3genE8ELNS1_11target_archE1030ELNS1_3gpuE2ELNS1_3repE0EEENS1_30default_config_static_selectorELNS0_4arch9wavefront6targetE1EEEvT1_, .Lfunc_end1286-_ZN7rocprim17ROCPRIM_400000_NS6detail17trampoline_kernelINS0_14default_configENS1_27scan_by_key_config_selectorIitEEZZNS1_16scan_by_key_implILNS1_25lookback_scan_determinismE0ELb0ES3_N6thrust23THRUST_200600_302600_NS6detail15normal_iteratorINS9_10device_ptrIiEEEENSB_INSC_ItEEEESG_tNS9_4plusIvEENS9_8equal_toIvEEtEE10hipError_tPvRmT2_T3_T4_T5_mT6_T7_P12ihipStream_tbENKUlT_T0_E_clISt17integral_constantIbLb1EES11_EEDaSW_SX_EUlSW_E_NS1_11comp_targetILNS1_3genE8ELNS1_11target_archE1030ELNS1_3gpuE2ELNS1_3repE0EEENS1_30default_config_static_selectorELNS0_4arch9wavefront6targetE1EEEvT1_
                                        ; -- End function
	.section	.AMDGPU.csdata,"",@progbits
; Kernel info:
; codeLenInByte = 0
; NumSgprs: 4
; NumVgprs: 0
; NumAgprs: 0
; TotalNumVgprs: 0
; ScratchSize: 0
; MemoryBound: 0
; FloatMode: 240
; IeeeMode: 1
; LDSByteSize: 0 bytes/workgroup (compile time only)
; SGPRBlocks: 0
; VGPRBlocks: 0
; NumSGPRsForWavesPerEU: 4
; NumVGPRsForWavesPerEU: 1
; AccumOffset: 4
; Occupancy: 8
; WaveLimiterHint : 0
; COMPUTE_PGM_RSRC2:SCRATCH_EN: 0
; COMPUTE_PGM_RSRC2:USER_SGPR: 6
; COMPUTE_PGM_RSRC2:TRAP_HANDLER: 0
; COMPUTE_PGM_RSRC2:TGID_X_EN: 1
; COMPUTE_PGM_RSRC2:TGID_Y_EN: 0
; COMPUTE_PGM_RSRC2:TGID_Z_EN: 0
; COMPUTE_PGM_RSRC2:TIDIG_COMP_CNT: 0
; COMPUTE_PGM_RSRC3_GFX90A:ACCUM_OFFSET: 0
; COMPUTE_PGM_RSRC3_GFX90A:TG_SPLIT: 0
	.section	.text._ZN7rocprim17ROCPRIM_400000_NS6detail30init_device_scan_by_key_kernelINS1_19lookback_scan_stateINS0_5tupleIJtbEEELb1ELb1EEEN6thrust23THRUST_200600_302600_NS6detail15normal_iteratorINS8_10device_ptrIiEEEEjNS1_16block_id_wrapperIjLb0EEEEEvT_jjPNSG_10value_typeET0_PNSt15iterator_traitsISJ_E10value_typeEmT1_T2_,"axG",@progbits,_ZN7rocprim17ROCPRIM_400000_NS6detail30init_device_scan_by_key_kernelINS1_19lookback_scan_stateINS0_5tupleIJtbEEELb1ELb1EEEN6thrust23THRUST_200600_302600_NS6detail15normal_iteratorINS8_10device_ptrIiEEEEjNS1_16block_id_wrapperIjLb0EEEEEvT_jjPNSG_10value_typeET0_PNSt15iterator_traitsISJ_E10value_typeEmT1_T2_,comdat
	.protected	_ZN7rocprim17ROCPRIM_400000_NS6detail30init_device_scan_by_key_kernelINS1_19lookback_scan_stateINS0_5tupleIJtbEEELb1ELb1EEEN6thrust23THRUST_200600_302600_NS6detail15normal_iteratorINS8_10device_ptrIiEEEEjNS1_16block_id_wrapperIjLb0EEEEEvT_jjPNSG_10value_typeET0_PNSt15iterator_traitsISJ_E10value_typeEmT1_T2_ ; -- Begin function _ZN7rocprim17ROCPRIM_400000_NS6detail30init_device_scan_by_key_kernelINS1_19lookback_scan_stateINS0_5tupleIJtbEEELb1ELb1EEEN6thrust23THRUST_200600_302600_NS6detail15normal_iteratorINS8_10device_ptrIiEEEEjNS1_16block_id_wrapperIjLb0EEEEEvT_jjPNSG_10value_typeET0_PNSt15iterator_traitsISJ_E10value_typeEmT1_T2_
	.globl	_ZN7rocprim17ROCPRIM_400000_NS6detail30init_device_scan_by_key_kernelINS1_19lookback_scan_stateINS0_5tupleIJtbEEELb1ELb1EEEN6thrust23THRUST_200600_302600_NS6detail15normal_iteratorINS8_10device_ptrIiEEEEjNS1_16block_id_wrapperIjLb0EEEEEvT_jjPNSG_10value_typeET0_PNSt15iterator_traitsISJ_E10value_typeEmT1_T2_
	.p2align	8
	.type	_ZN7rocprim17ROCPRIM_400000_NS6detail30init_device_scan_by_key_kernelINS1_19lookback_scan_stateINS0_5tupleIJtbEEELb1ELb1EEEN6thrust23THRUST_200600_302600_NS6detail15normal_iteratorINS8_10device_ptrIiEEEEjNS1_16block_id_wrapperIjLb0EEEEEvT_jjPNSG_10value_typeET0_PNSt15iterator_traitsISJ_E10value_typeEmT1_T2_,@function
_ZN7rocprim17ROCPRIM_400000_NS6detail30init_device_scan_by_key_kernelINS1_19lookback_scan_stateINS0_5tupleIJtbEEELb1ELb1EEEN6thrust23THRUST_200600_302600_NS6detail15normal_iteratorINS8_10device_ptrIiEEEEjNS1_16block_id_wrapperIjLb0EEEEEvT_jjPNSG_10value_typeET0_PNSt15iterator_traitsISJ_E10value_typeEmT1_T2_: ; @_ZN7rocprim17ROCPRIM_400000_NS6detail30init_device_scan_by_key_kernelINS1_19lookback_scan_stateINS0_5tupleIJtbEEELb1ELb1EEEN6thrust23THRUST_200600_302600_NS6detail15normal_iteratorINS8_10device_ptrIiEEEEjNS1_16block_id_wrapperIjLb0EEEEEvT_jjPNSG_10value_typeET0_PNSt15iterator_traitsISJ_E10value_typeEmT1_T2_
; %bb.0:
	s_load_dword s0, s[4:5], 0x44
	s_load_dwordx8 s[8:15], s[4:5], 0x0
	s_load_dword s7, s[4:5], 0x38
	s_waitcnt lgkmcnt(0)
	s_and_b32 s16, s0, 0xffff
	s_mul_i32 s6, s6, s16
	s_cmp_eq_u64 s[12:13], 0
	v_add_u32_e32 v0, s6, v0
	s_cbranch_scc1 .LBB1287_9
; %bb.1:
	s_cmp_lt_u32 s11, s10
	s_cselect_b32 s0, s11, 0
	s_mov_b32 s3, 0
	v_cmp_eq_u32_e32 vcc, s0, v0
	s_and_saveexec_b64 s[0:1], vcc
	s_cbranch_execz .LBB1287_8
; %bb.2:
	s_add_i32 s2, s11, 64
	s_lshl_b64 s[2:3], s[2:3], 3
	s_add_u32 s2, s8, s2
	s_addc_u32 s3, s9, s3
	v_mov_b32_e32 v2, 0
	global_load_dwordx2 v[4:5], v2, s[2:3] glc
	s_waitcnt vmcnt(0)
	v_and_b32_e32 v3, 0xff, v5
	v_cmp_ne_u64_e32 vcc, 0, v[2:3]
	s_cbranch_vccnz .LBB1287_7
; %bb.3:
	s_mov_b32 s6, 1
.LBB1287_4:                             ; =>This Loop Header: Depth=1
                                        ;     Child Loop BB1287_5 Depth 2
	s_max_u32 s11, s6, 1
.LBB1287_5:                             ;   Parent Loop BB1287_4 Depth=1
                                        ; =>  This Inner Loop Header: Depth=2
	s_add_i32 s11, s11, -1
	s_cmp_eq_u32 s11, 0
	s_sleep 1
	s_cbranch_scc0 .LBB1287_5
; %bb.6:                                ;   in Loop: Header=BB1287_4 Depth=1
	global_load_dwordx2 v[4:5], v2, s[2:3] glc
	s_cmp_lt_u32 s6, 32
	s_cselect_b64 s[18:19], -1, 0
	s_cmp_lg_u64 s[18:19], 0
	s_addc_u32 s6, s6, 0
	s_waitcnt vmcnt(0)
	v_and_b32_e32 v3, 0xff, v5
	v_cmp_ne_u64_e32 vcc, 0, v[2:3]
	s_cbranch_vccz .LBB1287_4
.LBB1287_7:
	v_mov_b32_e32 v1, 0
	global_store_short v1, v4, s[12:13]
	global_store_byte_d16_hi v1, v4, s[12:13] offset:2
.LBB1287_8:
	s_or_b64 exec, exec, s[0:1]
.LBB1287_9:
	v_cmp_gt_u32_e32 vcc, s10, v0
	s_and_saveexec_b64 s[0:1], vcc
	s_cbranch_execz .LBB1287_11
; %bb.10:
	v_add_u32_e32 v2, 64, v0
	v_mov_b32_e32 v3, 0
	v_lshlrev_b64 v[4:5], 3, v[2:3]
	v_mov_b32_e32 v1, s9
	v_add_co_u32_e32 v4, vcc, s8, v4
	v_addc_co_u32_e32 v5, vcc, v1, v5, vcc
	v_mov_b32_e32 v2, v3
	global_store_dwordx2 v[4:5], v[2:3], off
.LBB1287_11:
	s_or_b64 exec, exec, s[0:1]
	v_cmp_gt_u32_e32 vcc, 64, v0
	v_mov_b32_e32 v1, 0
	s_and_saveexec_b64 s[0:1], vcc
	s_cbranch_execz .LBB1287_13
; %bb.12:
	v_lshlrev_b64 v[2:3], 3, v[0:1]
	v_mov_b32_e32 v4, s9
	v_add_co_u32_e32 v2, vcc, s8, v2
	v_addc_co_u32_e32 v3, vcc, v4, v3, vcc
	v_mov_b32_e32 v5, 0xff
	v_mov_b32_e32 v4, v1
	global_store_dwordx2 v[2:3], v[4:5], off
.LBB1287_13:
	s_or_b64 exec, exec, s[0:1]
	s_load_dwordx2 s[0:1], s[4:5], 0x28
	s_waitcnt lgkmcnt(0)
	v_cmp_gt_u64_e32 vcc, s[0:1], v[0:1]
	s_and_saveexec_b64 s[2:3], vcc
	s_cbranch_execz .LBB1287_16
; %bb.14:
	s_load_dword s10, s[4:5], 0x30
	s_load_dwordx2 s[8:9], s[4:5], 0x20
	s_mov_b32 s5, 0
	s_mov_b32 s3, s5
	s_mul_i32 s2, s7, s16
	s_waitcnt lgkmcnt(0)
	s_add_i32 s4, s10, -1
	s_lshl_b64 s[4:5], s[4:5], 2
	v_mad_u64_u32 v[2:3], s[6:7], s10, v0, 0
	s_add_u32 s4, s14, s4
	v_lshlrev_b64 v[2:3], 2, v[2:3]
	s_addc_u32 s5, s15, s5
	v_mov_b32_e32 v4, s5
	v_add_co_u32_e32 v2, vcc, s4, v2
	v_addc_co_u32_e32 v3, vcc, v4, v3, vcc
	s_mul_hi_u32 s5, s10, s2
	s_mul_i32 s4, s10, s2
	v_lshlrev_b64 v[4:5], 2, v[0:1]
	s_lshl_b64 s[4:5], s[4:5], 2
	v_mov_b32_e32 v6, s9
	v_add_co_u32_e32 v4, vcc, s8, v4
	s_lshl_b64 s[6:7], s[2:3], 2
	v_addc_co_u32_e32 v5, vcc, v6, v5, vcc
	s_mov_b64 s[8:9], 0
	v_mov_b32_e32 v6, s3
	v_mov_b32_e32 v7, s5
	v_mov_b32_e32 v8, s7
.LBB1287_15:                            ; =>This Inner Loop Header: Depth=1
	global_load_dword v9, v[2:3], off
	v_add_co_u32_e32 v0, vcc, s2, v0
	v_addc_co_u32_e32 v1, vcc, v1, v6, vcc
	v_add_co_u32_e32 v2, vcc, s4, v2
	v_addc_co_u32_e32 v3, vcc, v3, v7, vcc
	v_cmp_le_u64_e32 vcc, s[0:1], v[0:1]
	s_or_b64 s[8:9], vcc, s[8:9]
	s_waitcnt vmcnt(0)
	global_store_dword v[4:5], v9, off
	v_add_co_u32_e32 v4, vcc, s6, v4
	v_addc_co_u32_e32 v5, vcc, v5, v8, vcc
	s_andn2_b64 exec, exec, s[8:9]
	s_cbranch_execnz .LBB1287_15
.LBB1287_16:
	s_endpgm
	.section	.rodata,"a",@progbits
	.p2align	6, 0x0
	.amdhsa_kernel _ZN7rocprim17ROCPRIM_400000_NS6detail30init_device_scan_by_key_kernelINS1_19lookback_scan_stateINS0_5tupleIJtbEEELb1ELb1EEEN6thrust23THRUST_200600_302600_NS6detail15normal_iteratorINS8_10device_ptrIiEEEEjNS1_16block_id_wrapperIjLb0EEEEEvT_jjPNSG_10value_typeET0_PNSt15iterator_traitsISJ_E10value_typeEmT1_T2_
		.amdhsa_group_segment_fixed_size 0
		.amdhsa_private_segment_fixed_size 0
		.amdhsa_kernarg_size 312
		.amdhsa_user_sgpr_count 6
		.amdhsa_user_sgpr_private_segment_buffer 1
		.amdhsa_user_sgpr_dispatch_ptr 0
		.amdhsa_user_sgpr_queue_ptr 0
		.amdhsa_user_sgpr_kernarg_segment_ptr 1
		.amdhsa_user_sgpr_dispatch_id 0
		.amdhsa_user_sgpr_flat_scratch_init 0
		.amdhsa_user_sgpr_kernarg_preload_length 0
		.amdhsa_user_sgpr_kernarg_preload_offset 0
		.amdhsa_user_sgpr_private_segment_size 0
		.amdhsa_uses_dynamic_stack 0
		.amdhsa_system_sgpr_private_segment_wavefront_offset 0
		.amdhsa_system_sgpr_workgroup_id_x 1
		.amdhsa_system_sgpr_workgroup_id_y 0
		.amdhsa_system_sgpr_workgroup_id_z 0
		.amdhsa_system_sgpr_workgroup_info 0
		.amdhsa_system_vgpr_workitem_id 0
		.amdhsa_next_free_vgpr 10
		.amdhsa_next_free_sgpr 20
		.amdhsa_accum_offset 12
		.amdhsa_reserve_vcc 1
		.amdhsa_reserve_flat_scratch 0
		.amdhsa_float_round_mode_32 0
		.amdhsa_float_round_mode_16_64 0
		.amdhsa_float_denorm_mode_32 3
		.amdhsa_float_denorm_mode_16_64 3
		.amdhsa_dx10_clamp 1
		.amdhsa_ieee_mode 1
		.amdhsa_fp16_overflow 0
		.amdhsa_tg_split 0
		.amdhsa_exception_fp_ieee_invalid_op 0
		.amdhsa_exception_fp_denorm_src 0
		.amdhsa_exception_fp_ieee_div_zero 0
		.amdhsa_exception_fp_ieee_overflow 0
		.amdhsa_exception_fp_ieee_underflow 0
		.amdhsa_exception_fp_ieee_inexact 0
		.amdhsa_exception_int_div_zero 0
	.end_amdhsa_kernel
	.section	.text._ZN7rocprim17ROCPRIM_400000_NS6detail30init_device_scan_by_key_kernelINS1_19lookback_scan_stateINS0_5tupleIJtbEEELb1ELb1EEEN6thrust23THRUST_200600_302600_NS6detail15normal_iteratorINS8_10device_ptrIiEEEEjNS1_16block_id_wrapperIjLb0EEEEEvT_jjPNSG_10value_typeET0_PNSt15iterator_traitsISJ_E10value_typeEmT1_T2_,"axG",@progbits,_ZN7rocprim17ROCPRIM_400000_NS6detail30init_device_scan_by_key_kernelINS1_19lookback_scan_stateINS0_5tupleIJtbEEELb1ELb1EEEN6thrust23THRUST_200600_302600_NS6detail15normal_iteratorINS8_10device_ptrIiEEEEjNS1_16block_id_wrapperIjLb0EEEEEvT_jjPNSG_10value_typeET0_PNSt15iterator_traitsISJ_E10value_typeEmT1_T2_,comdat
.Lfunc_end1287:
	.size	_ZN7rocprim17ROCPRIM_400000_NS6detail30init_device_scan_by_key_kernelINS1_19lookback_scan_stateINS0_5tupleIJtbEEELb1ELb1EEEN6thrust23THRUST_200600_302600_NS6detail15normal_iteratorINS8_10device_ptrIiEEEEjNS1_16block_id_wrapperIjLb0EEEEEvT_jjPNSG_10value_typeET0_PNSt15iterator_traitsISJ_E10value_typeEmT1_T2_, .Lfunc_end1287-_ZN7rocprim17ROCPRIM_400000_NS6detail30init_device_scan_by_key_kernelINS1_19lookback_scan_stateINS0_5tupleIJtbEEELb1ELb1EEEN6thrust23THRUST_200600_302600_NS6detail15normal_iteratorINS8_10device_ptrIiEEEEjNS1_16block_id_wrapperIjLb0EEEEEvT_jjPNSG_10value_typeET0_PNSt15iterator_traitsISJ_E10value_typeEmT1_T2_
                                        ; -- End function
	.section	.AMDGPU.csdata,"",@progbits
; Kernel info:
; codeLenInByte = 548
; NumSgprs: 24
; NumVgprs: 10
; NumAgprs: 0
; TotalNumVgprs: 10
; ScratchSize: 0
; MemoryBound: 0
; FloatMode: 240
; IeeeMode: 1
; LDSByteSize: 0 bytes/workgroup (compile time only)
; SGPRBlocks: 2
; VGPRBlocks: 1
; NumSGPRsForWavesPerEU: 24
; NumVGPRsForWavesPerEU: 10
; AccumOffset: 12
; Occupancy: 8
; WaveLimiterHint : 0
; COMPUTE_PGM_RSRC2:SCRATCH_EN: 0
; COMPUTE_PGM_RSRC2:USER_SGPR: 6
; COMPUTE_PGM_RSRC2:TRAP_HANDLER: 0
; COMPUTE_PGM_RSRC2:TGID_X_EN: 1
; COMPUTE_PGM_RSRC2:TGID_Y_EN: 0
; COMPUTE_PGM_RSRC2:TGID_Z_EN: 0
; COMPUTE_PGM_RSRC2:TIDIG_COMP_CNT: 0
; COMPUTE_PGM_RSRC3_GFX90A:ACCUM_OFFSET: 2
; COMPUTE_PGM_RSRC3_GFX90A:TG_SPLIT: 0
	.section	.text._ZN7rocprim17ROCPRIM_400000_NS6detail30init_device_scan_by_key_kernelINS1_19lookback_scan_stateINS0_5tupleIJtbEEELb1ELb1EEENS1_16block_id_wrapperIjLb0EEEEEvT_jjPNS9_10value_typeET0_,"axG",@progbits,_ZN7rocprim17ROCPRIM_400000_NS6detail30init_device_scan_by_key_kernelINS1_19lookback_scan_stateINS0_5tupleIJtbEEELb1ELb1EEENS1_16block_id_wrapperIjLb0EEEEEvT_jjPNS9_10value_typeET0_,comdat
	.protected	_ZN7rocprim17ROCPRIM_400000_NS6detail30init_device_scan_by_key_kernelINS1_19lookback_scan_stateINS0_5tupleIJtbEEELb1ELb1EEENS1_16block_id_wrapperIjLb0EEEEEvT_jjPNS9_10value_typeET0_ ; -- Begin function _ZN7rocprim17ROCPRIM_400000_NS6detail30init_device_scan_by_key_kernelINS1_19lookback_scan_stateINS0_5tupleIJtbEEELb1ELb1EEENS1_16block_id_wrapperIjLb0EEEEEvT_jjPNS9_10value_typeET0_
	.globl	_ZN7rocprim17ROCPRIM_400000_NS6detail30init_device_scan_by_key_kernelINS1_19lookback_scan_stateINS0_5tupleIJtbEEELb1ELb1EEENS1_16block_id_wrapperIjLb0EEEEEvT_jjPNS9_10value_typeET0_
	.p2align	8
	.type	_ZN7rocprim17ROCPRIM_400000_NS6detail30init_device_scan_by_key_kernelINS1_19lookback_scan_stateINS0_5tupleIJtbEEELb1ELb1EEENS1_16block_id_wrapperIjLb0EEEEEvT_jjPNS9_10value_typeET0_,@function
_ZN7rocprim17ROCPRIM_400000_NS6detail30init_device_scan_by_key_kernelINS1_19lookback_scan_stateINS0_5tupleIJtbEEELb1ELb1EEENS1_16block_id_wrapperIjLb0EEEEEvT_jjPNS9_10value_typeET0_: ; @_ZN7rocprim17ROCPRIM_400000_NS6detail30init_device_scan_by_key_kernelINS1_19lookback_scan_stateINS0_5tupleIJtbEEELb1ELb1EEENS1_16block_id_wrapperIjLb0EEEEEvT_jjPNS9_10value_typeET0_
; %bb.0:
	s_load_dword s7, s[4:5], 0x2c
	s_load_dwordx2 s[8:9], s[4:5], 0x10
	s_load_dwordx4 s[0:3], s[4:5], 0x0
	s_waitcnt lgkmcnt(0)
	s_and_b32 s4, s7, 0xffff
	s_mul_i32 s6, s6, s4
	s_cmp_eq_u64 s[8:9], 0
	v_add_u32_e32 v0, s6, v0
	s_cbranch_scc1 .LBB1288_9
; %bb.1:
	s_cmp_lt_u32 s3, s2
	s_cselect_b32 s4, s3, 0
	s_mov_b32 s7, 0
	v_cmp_eq_u32_e32 vcc, s4, v0
	s_and_saveexec_b64 s[4:5], vcc
	s_cbranch_execz .LBB1288_8
; %bb.2:
	s_add_i32 s6, s3, 64
	s_lshl_b64 s[6:7], s[6:7], 3
	s_add_u32 s6, s0, s6
	s_addc_u32 s7, s1, s7
	v_mov_b32_e32 v2, 0
	global_load_dwordx2 v[4:5], v2, s[6:7] glc
	s_waitcnt vmcnt(0)
	v_and_b32_e32 v3, 0xff, v5
	v_cmp_ne_u64_e32 vcc, 0, v[2:3]
	s_cbranch_vccnz .LBB1288_7
; %bb.3:
	s_mov_b32 s3, 1
.LBB1288_4:                             ; =>This Loop Header: Depth=1
                                        ;     Child Loop BB1288_5 Depth 2
	s_max_u32 s10, s3, 1
.LBB1288_5:                             ;   Parent Loop BB1288_4 Depth=1
                                        ; =>  This Inner Loop Header: Depth=2
	s_add_i32 s10, s10, -1
	s_cmp_eq_u32 s10, 0
	s_sleep 1
	s_cbranch_scc0 .LBB1288_5
; %bb.6:                                ;   in Loop: Header=BB1288_4 Depth=1
	global_load_dwordx2 v[4:5], v2, s[6:7] glc
	s_cmp_lt_u32 s3, 32
	s_cselect_b64 s[10:11], -1, 0
	s_cmp_lg_u64 s[10:11], 0
	s_addc_u32 s3, s3, 0
	s_waitcnt vmcnt(0)
	v_and_b32_e32 v3, 0xff, v5
	v_cmp_ne_u64_e32 vcc, 0, v[2:3]
	s_cbranch_vccz .LBB1288_4
.LBB1288_7:
	v_mov_b32_e32 v1, 0
	global_store_short v1, v4, s[8:9]
	global_store_byte_d16_hi v1, v4, s[8:9] offset:2
.LBB1288_8:
	s_or_b64 exec, exec, s[4:5]
.LBB1288_9:
	v_cmp_gt_u32_e32 vcc, s2, v0
	s_and_saveexec_b64 s[2:3], vcc
	s_cbranch_execnz .LBB1288_12
; %bb.10:
	s_or_b64 exec, exec, s[2:3]
	v_cmp_gt_u32_e32 vcc, 64, v0
	s_and_saveexec_b64 s[2:3], vcc
	s_cbranch_execnz .LBB1288_13
.LBB1288_11:
	s_endpgm
.LBB1288_12:
	v_add_u32_e32 v2, 64, v0
	v_mov_b32_e32 v3, 0
	v_lshlrev_b64 v[4:5], 3, v[2:3]
	v_mov_b32_e32 v1, s1
	v_add_co_u32_e32 v4, vcc, s0, v4
	v_addc_co_u32_e32 v5, vcc, v1, v5, vcc
	v_mov_b32_e32 v2, v3
	global_store_dwordx2 v[4:5], v[2:3], off
	s_or_b64 exec, exec, s[2:3]
	v_cmp_gt_u32_e32 vcc, 64, v0
	s_and_saveexec_b64 s[2:3], vcc
	s_cbranch_execz .LBB1288_11
.LBB1288_13:
	v_mov_b32_e32 v1, 0
	v_lshlrev_b64 v[2:3], 3, v[0:1]
	v_mov_b32_e32 v0, s1
	v_add_co_u32_e32 v2, vcc, s0, v2
	v_addc_co_u32_e32 v3, vcc, v0, v3, vcc
	v_mov_b32_e32 v5, 0xff
	v_mov_b32_e32 v4, v1
	global_store_dwordx2 v[2:3], v[4:5], off
	s_endpgm
	.section	.rodata,"a",@progbits
	.p2align	6, 0x0
	.amdhsa_kernel _ZN7rocprim17ROCPRIM_400000_NS6detail30init_device_scan_by_key_kernelINS1_19lookback_scan_stateINS0_5tupleIJtbEEELb1ELb1EEENS1_16block_id_wrapperIjLb0EEEEEvT_jjPNS9_10value_typeET0_
		.amdhsa_group_segment_fixed_size 0
		.amdhsa_private_segment_fixed_size 0
		.amdhsa_kernarg_size 288
		.amdhsa_user_sgpr_count 6
		.amdhsa_user_sgpr_private_segment_buffer 1
		.amdhsa_user_sgpr_dispatch_ptr 0
		.amdhsa_user_sgpr_queue_ptr 0
		.amdhsa_user_sgpr_kernarg_segment_ptr 1
		.amdhsa_user_sgpr_dispatch_id 0
		.amdhsa_user_sgpr_flat_scratch_init 0
		.amdhsa_user_sgpr_kernarg_preload_length 0
		.amdhsa_user_sgpr_kernarg_preload_offset 0
		.amdhsa_user_sgpr_private_segment_size 0
		.amdhsa_uses_dynamic_stack 0
		.amdhsa_system_sgpr_private_segment_wavefront_offset 0
		.amdhsa_system_sgpr_workgroup_id_x 1
		.amdhsa_system_sgpr_workgroup_id_y 0
		.amdhsa_system_sgpr_workgroup_id_z 0
		.amdhsa_system_sgpr_workgroup_info 0
		.amdhsa_system_vgpr_workitem_id 0
		.amdhsa_next_free_vgpr 6
		.amdhsa_next_free_sgpr 12
		.amdhsa_accum_offset 8
		.amdhsa_reserve_vcc 1
		.amdhsa_reserve_flat_scratch 0
		.amdhsa_float_round_mode_32 0
		.amdhsa_float_round_mode_16_64 0
		.amdhsa_float_denorm_mode_32 3
		.amdhsa_float_denorm_mode_16_64 3
		.amdhsa_dx10_clamp 1
		.amdhsa_ieee_mode 1
		.amdhsa_fp16_overflow 0
		.amdhsa_tg_split 0
		.amdhsa_exception_fp_ieee_invalid_op 0
		.amdhsa_exception_fp_denorm_src 0
		.amdhsa_exception_fp_ieee_div_zero 0
		.amdhsa_exception_fp_ieee_overflow 0
		.amdhsa_exception_fp_ieee_underflow 0
		.amdhsa_exception_fp_ieee_inexact 0
		.amdhsa_exception_int_div_zero 0
	.end_amdhsa_kernel
	.section	.text._ZN7rocprim17ROCPRIM_400000_NS6detail30init_device_scan_by_key_kernelINS1_19lookback_scan_stateINS0_5tupleIJtbEEELb1ELb1EEENS1_16block_id_wrapperIjLb0EEEEEvT_jjPNS9_10value_typeET0_,"axG",@progbits,_ZN7rocprim17ROCPRIM_400000_NS6detail30init_device_scan_by_key_kernelINS1_19lookback_scan_stateINS0_5tupleIJtbEEELb1ELb1EEENS1_16block_id_wrapperIjLb0EEEEEvT_jjPNS9_10value_typeET0_,comdat
.Lfunc_end1288:
	.size	_ZN7rocprim17ROCPRIM_400000_NS6detail30init_device_scan_by_key_kernelINS1_19lookback_scan_stateINS0_5tupleIJtbEEELb1ELb1EEENS1_16block_id_wrapperIjLb0EEEEEvT_jjPNS9_10value_typeET0_, .Lfunc_end1288-_ZN7rocprim17ROCPRIM_400000_NS6detail30init_device_scan_by_key_kernelINS1_19lookback_scan_stateINS0_5tupleIJtbEEELb1ELb1EEENS1_16block_id_wrapperIjLb0EEEEEvT_jjPNS9_10value_typeET0_
                                        ; -- End function
	.section	.AMDGPU.csdata,"",@progbits
; Kernel info:
; codeLenInByte = 352
; NumSgprs: 16
; NumVgprs: 6
; NumAgprs: 0
; TotalNumVgprs: 6
; ScratchSize: 0
; MemoryBound: 0
; FloatMode: 240
; IeeeMode: 1
; LDSByteSize: 0 bytes/workgroup (compile time only)
; SGPRBlocks: 1
; VGPRBlocks: 0
; NumSGPRsForWavesPerEU: 16
; NumVGPRsForWavesPerEU: 6
; AccumOffset: 8
; Occupancy: 8
; WaveLimiterHint : 0
; COMPUTE_PGM_RSRC2:SCRATCH_EN: 0
; COMPUTE_PGM_RSRC2:USER_SGPR: 6
; COMPUTE_PGM_RSRC2:TRAP_HANDLER: 0
; COMPUTE_PGM_RSRC2:TGID_X_EN: 1
; COMPUTE_PGM_RSRC2:TGID_Y_EN: 0
; COMPUTE_PGM_RSRC2:TGID_Z_EN: 0
; COMPUTE_PGM_RSRC2:TIDIG_COMP_CNT: 0
; COMPUTE_PGM_RSRC3_GFX90A:ACCUM_OFFSET: 1
; COMPUTE_PGM_RSRC3_GFX90A:TG_SPLIT: 0
	.section	.text._ZN7rocprim17ROCPRIM_400000_NS6detail17trampoline_kernelINS0_14default_configENS1_27scan_by_key_config_selectorIitEEZZNS1_16scan_by_key_implILNS1_25lookback_scan_determinismE0ELb0ES3_N6thrust23THRUST_200600_302600_NS6detail15normal_iteratorINS9_10device_ptrIiEEEENSB_INSC_ItEEEESG_tNS9_4plusIvEENS9_8equal_toIvEEtEE10hipError_tPvRmT2_T3_T4_T5_mT6_T7_P12ihipStream_tbENKUlT_T0_E_clISt17integral_constantIbLb1EES10_IbLb0EEEEDaSW_SX_EUlSW_E_NS1_11comp_targetILNS1_3genE0ELNS1_11target_archE4294967295ELNS1_3gpuE0ELNS1_3repE0EEENS1_30default_config_static_selectorELNS0_4arch9wavefront6targetE1EEEvT1_,"axG",@progbits,_ZN7rocprim17ROCPRIM_400000_NS6detail17trampoline_kernelINS0_14default_configENS1_27scan_by_key_config_selectorIitEEZZNS1_16scan_by_key_implILNS1_25lookback_scan_determinismE0ELb0ES3_N6thrust23THRUST_200600_302600_NS6detail15normal_iteratorINS9_10device_ptrIiEEEENSB_INSC_ItEEEESG_tNS9_4plusIvEENS9_8equal_toIvEEtEE10hipError_tPvRmT2_T3_T4_T5_mT6_T7_P12ihipStream_tbENKUlT_T0_E_clISt17integral_constantIbLb1EES10_IbLb0EEEEDaSW_SX_EUlSW_E_NS1_11comp_targetILNS1_3genE0ELNS1_11target_archE4294967295ELNS1_3gpuE0ELNS1_3repE0EEENS1_30default_config_static_selectorELNS0_4arch9wavefront6targetE1EEEvT1_,comdat
	.protected	_ZN7rocprim17ROCPRIM_400000_NS6detail17trampoline_kernelINS0_14default_configENS1_27scan_by_key_config_selectorIitEEZZNS1_16scan_by_key_implILNS1_25lookback_scan_determinismE0ELb0ES3_N6thrust23THRUST_200600_302600_NS6detail15normal_iteratorINS9_10device_ptrIiEEEENSB_INSC_ItEEEESG_tNS9_4plusIvEENS9_8equal_toIvEEtEE10hipError_tPvRmT2_T3_T4_T5_mT6_T7_P12ihipStream_tbENKUlT_T0_E_clISt17integral_constantIbLb1EES10_IbLb0EEEEDaSW_SX_EUlSW_E_NS1_11comp_targetILNS1_3genE0ELNS1_11target_archE4294967295ELNS1_3gpuE0ELNS1_3repE0EEENS1_30default_config_static_selectorELNS0_4arch9wavefront6targetE1EEEvT1_ ; -- Begin function _ZN7rocprim17ROCPRIM_400000_NS6detail17trampoline_kernelINS0_14default_configENS1_27scan_by_key_config_selectorIitEEZZNS1_16scan_by_key_implILNS1_25lookback_scan_determinismE0ELb0ES3_N6thrust23THRUST_200600_302600_NS6detail15normal_iteratorINS9_10device_ptrIiEEEENSB_INSC_ItEEEESG_tNS9_4plusIvEENS9_8equal_toIvEEtEE10hipError_tPvRmT2_T3_T4_T5_mT6_T7_P12ihipStream_tbENKUlT_T0_E_clISt17integral_constantIbLb1EES10_IbLb0EEEEDaSW_SX_EUlSW_E_NS1_11comp_targetILNS1_3genE0ELNS1_11target_archE4294967295ELNS1_3gpuE0ELNS1_3repE0EEENS1_30default_config_static_selectorELNS0_4arch9wavefront6targetE1EEEvT1_
	.globl	_ZN7rocprim17ROCPRIM_400000_NS6detail17trampoline_kernelINS0_14default_configENS1_27scan_by_key_config_selectorIitEEZZNS1_16scan_by_key_implILNS1_25lookback_scan_determinismE0ELb0ES3_N6thrust23THRUST_200600_302600_NS6detail15normal_iteratorINS9_10device_ptrIiEEEENSB_INSC_ItEEEESG_tNS9_4plusIvEENS9_8equal_toIvEEtEE10hipError_tPvRmT2_T3_T4_T5_mT6_T7_P12ihipStream_tbENKUlT_T0_E_clISt17integral_constantIbLb1EES10_IbLb0EEEEDaSW_SX_EUlSW_E_NS1_11comp_targetILNS1_3genE0ELNS1_11target_archE4294967295ELNS1_3gpuE0ELNS1_3repE0EEENS1_30default_config_static_selectorELNS0_4arch9wavefront6targetE1EEEvT1_
	.p2align	8
	.type	_ZN7rocprim17ROCPRIM_400000_NS6detail17trampoline_kernelINS0_14default_configENS1_27scan_by_key_config_selectorIitEEZZNS1_16scan_by_key_implILNS1_25lookback_scan_determinismE0ELb0ES3_N6thrust23THRUST_200600_302600_NS6detail15normal_iteratorINS9_10device_ptrIiEEEENSB_INSC_ItEEEESG_tNS9_4plusIvEENS9_8equal_toIvEEtEE10hipError_tPvRmT2_T3_T4_T5_mT6_T7_P12ihipStream_tbENKUlT_T0_E_clISt17integral_constantIbLb1EES10_IbLb0EEEEDaSW_SX_EUlSW_E_NS1_11comp_targetILNS1_3genE0ELNS1_11target_archE4294967295ELNS1_3gpuE0ELNS1_3repE0EEENS1_30default_config_static_selectorELNS0_4arch9wavefront6targetE1EEEvT1_,@function
_ZN7rocprim17ROCPRIM_400000_NS6detail17trampoline_kernelINS0_14default_configENS1_27scan_by_key_config_selectorIitEEZZNS1_16scan_by_key_implILNS1_25lookback_scan_determinismE0ELb0ES3_N6thrust23THRUST_200600_302600_NS6detail15normal_iteratorINS9_10device_ptrIiEEEENSB_INSC_ItEEEESG_tNS9_4plusIvEENS9_8equal_toIvEEtEE10hipError_tPvRmT2_T3_T4_T5_mT6_T7_P12ihipStream_tbENKUlT_T0_E_clISt17integral_constantIbLb1EES10_IbLb0EEEEDaSW_SX_EUlSW_E_NS1_11comp_targetILNS1_3genE0ELNS1_11target_archE4294967295ELNS1_3gpuE0ELNS1_3repE0EEENS1_30default_config_static_selectorELNS0_4arch9wavefront6targetE1EEEvT1_: ; @_ZN7rocprim17ROCPRIM_400000_NS6detail17trampoline_kernelINS0_14default_configENS1_27scan_by_key_config_selectorIitEEZZNS1_16scan_by_key_implILNS1_25lookback_scan_determinismE0ELb0ES3_N6thrust23THRUST_200600_302600_NS6detail15normal_iteratorINS9_10device_ptrIiEEEENSB_INSC_ItEEEESG_tNS9_4plusIvEENS9_8equal_toIvEEtEE10hipError_tPvRmT2_T3_T4_T5_mT6_T7_P12ihipStream_tbENKUlT_T0_E_clISt17integral_constantIbLb1EES10_IbLb0EEEEDaSW_SX_EUlSW_E_NS1_11comp_targetILNS1_3genE0ELNS1_11target_archE4294967295ELNS1_3gpuE0ELNS1_3repE0EEENS1_30default_config_static_selectorELNS0_4arch9wavefront6targetE1EEEvT1_
; %bb.0:
	.section	.rodata,"a",@progbits
	.p2align	6, 0x0
	.amdhsa_kernel _ZN7rocprim17ROCPRIM_400000_NS6detail17trampoline_kernelINS0_14default_configENS1_27scan_by_key_config_selectorIitEEZZNS1_16scan_by_key_implILNS1_25lookback_scan_determinismE0ELb0ES3_N6thrust23THRUST_200600_302600_NS6detail15normal_iteratorINS9_10device_ptrIiEEEENSB_INSC_ItEEEESG_tNS9_4plusIvEENS9_8equal_toIvEEtEE10hipError_tPvRmT2_T3_T4_T5_mT6_T7_P12ihipStream_tbENKUlT_T0_E_clISt17integral_constantIbLb1EES10_IbLb0EEEEDaSW_SX_EUlSW_E_NS1_11comp_targetILNS1_3genE0ELNS1_11target_archE4294967295ELNS1_3gpuE0ELNS1_3repE0EEENS1_30default_config_static_selectorELNS0_4arch9wavefront6targetE1EEEvT1_
		.amdhsa_group_segment_fixed_size 0
		.amdhsa_private_segment_fixed_size 0
		.amdhsa_kernarg_size 112
		.amdhsa_user_sgpr_count 6
		.amdhsa_user_sgpr_private_segment_buffer 1
		.amdhsa_user_sgpr_dispatch_ptr 0
		.amdhsa_user_sgpr_queue_ptr 0
		.amdhsa_user_sgpr_kernarg_segment_ptr 1
		.amdhsa_user_sgpr_dispatch_id 0
		.amdhsa_user_sgpr_flat_scratch_init 0
		.amdhsa_user_sgpr_kernarg_preload_length 0
		.amdhsa_user_sgpr_kernarg_preload_offset 0
		.amdhsa_user_sgpr_private_segment_size 0
		.amdhsa_uses_dynamic_stack 0
		.amdhsa_system_sgpr_private_segment_wavefront_offset 0
		.amdhsa_system_sgpr_workgroup_id_x 1
		.amdhsa_system_sgpr_workgroup_id_y 0
		.amdhsa_system_sgpr_workgroup_id_z 0
		.amdhsa_system_sgpr_workgroup_info 0
		.amdhsa_system_vgpr_workitem_id 0
		.amdhsa_next_free_vgpr 1
		.amdhsa_next_free_sgpr 0
		.amdhsa_accum_offset 4
		.amdhsa_reserve_vcc 0
		.amdhsa_reserve_flat_scratch 0
		.amdhsa_float_round_mode_32 0
		.amdhsa_float_round_mode_16_64 0
		.amdhsa_float_denorm_mode_32 3
		.amdhsa_float_denorm_mode_16_64 3
		.amdhsa_dx10_clamp 1
		.amdhsa_ieee_mode 1
		.amdhsa_fp16_overflow 0
		.amdhsa_tg_split 0
		.amdhsa_exception_fp_ieee_invalid_op 0
		.amdhsa_exception_fp_denorm_src 0
		.amdhsa_exception_fp_ieee_div_zero 0
		.amdhsa_exception_fp_ieee_overflow 0
		.amdhsa_exception_fp_ieee_underflow 0
		.amdhsa_exception_fp_ieee_inexact 0
		.amdhsa_exception_int_div_zero 0
	.end_amdhsa_kernel
	.section	.text._ZN7rocprim17ROCPRIM_400000_NS6detail17trampoline_kernelINS0_14default_configENS1_27scan_by_key_config_selectorIitEEZZNS1_16scan_by_key_implILNS1_25lookback_scan_determinismE0ELb0ES3_N6thrust23THRUST_200600_302600_NS6detail15normal_iteratorINS9_10device_ptrIiEEEENSB_INSC_ItEEEESG_tNS9_4plusIvEENS9_8equal_toIvEEtEE10hipError_tPvRmT2_T3_T4_T5_mT6_T7_P12ihipStream_tbENKUlT_T0_E_clISt17integral_constantIbLb1EES10_IbLb0EEEEDaSW_SX_EUlSW_E_NS1_11comp_targetILNS1_3genE0ELNS1_11target_archE4294967295ELNS1_3gpuE0ELNS1_3repE0EEENS1_30default_config_static_selectorELNS0_4arch9wavefront6targetE1EEEvT1_,"axG",@progbits,_ZN7rocprim17ROCPRIM_400000_NS6detail17trampoline_kernelINS0_14default_configENS1_27scan_by_key_config_selectorIitEEZZNS1_16scan_by_key_implILNS1_25lookback_scan_determinismE0ELb0ES3_N6thrust23THRUST_200600_302600_NS6detail15normal_iteratorINS9_10device_ptrIiEEEENSB_INSC_ItEEEESG_tNS9_4plusIvEENS9_8equal_toIvEEtEE10hipError_tPvRmT2_T3_T4_T5_mT6_T7_P12ihipStream_tbENKUlT_T0_E_clISt17integral_constantIbLb1EES10_IbLb0EEEEDaSW_SX_EUlSW_E_NS1_11comp_targetILNS1_3genE0ELNS1_11target_archE4294967295ELNS1_3gpuE0ELNS1_3repE0EEENS1_30default_config_static_selectorELNS0_4arch9wavefront6targetE1EEEvT1_,comdat
.Lfunc_end1289:
	.size	_ZN7rocprim17ROCPRIM_400000_NS6detail17trampoline_kernelINS0_14default_configENS1_27scan_by_key_config_selectorIitEEZZNS1_16scan_by_key_implILNS1_25lookback_scan_determinismE0ELb0ES3_N6thrust23THRUST_200600_302600_NS6detail15normal_iteratorINS9_10device_ptrIiEEEENSB_INSC_ItEEEESG_tNS9_4plusIvEENS9_8equal_toIvEEtEE10hipError_tPvRmT2_T3_T4_T5_mT6_T7_P12ihipStream_tbENKUlT_T0_E_clISt17integral_constantIbLb1EES10_IbLb0EEEEDaSW_SX_EUlSW_E_NS1_11comp_targetILNS1_3genE0ELNS1_11target_archE4294967295ELNS1_3gpuE0ELNS1_3repE0EEENS1_30default_config_static_selectorELNS0_4arch9wavefront6targetE1EEEvT1_, .Lfunc_end1289-_ZN7rocprim17ROCPRIM_400000_NS6detail17trampoline_kernelINS0_14default_configENS1_27scan_by_key_config_selectorIitEEZZNS1_16scan_by_key_implILNS1_25lookback_scan_determinismE0ELb0ES3_N6thrust23THRUST_200600_302600_NS6detail15normal_iteratorINS9_10device_ptrIiEEEENSB_INSC_ItEEEESG_tNS9_4plusIvEENS9_8equal_toIvEEtEE10hipError_tPvRmT2_T3_T4_T5_mT6_T7_P12ihipStream_tbENKUlT_T0_E_clISt17integral_constantIbLb1EES10_IbLb0EEEEDaSW_SX_EUlSW_E_NS1_11comp_targetILNS1_3genE0ELNS1_11target_archE4294967295ELNS1_3gpuE0ELNS1_3repE0EEENS1_30default_config_static_selectorELNS0_4arch9wavefront6targetE1EEEvT1_
                                        ; -- End function
	.section	.AMDGPU.csdata,"",@progbits
; Kernel info:
; codeLenInByte = 0
; NumSgprs: 4
; NumVgprs: 0
; NumAgprs: 0
; TotalNumVgprs: 0
; ScratchSize: 0
; MemoryBound: 0
; FloatMode: 240
; IeeeMode: 1
; LDSByteSize: 0 bytes/workgroup (compile time only)
; SGPRBlocks: 0
; VGPRBlocks: 0
; NumSGPRsForWavesPerEU: 4
; NumVGPRsForWavesPerEU: 1
; AccumOffset: 4
; Occupancy: 8
; WaveLimiterHint : 0
; COMPUTE_PGM_RSRC2:SCRATCH_EN: 0
; COMPUTE_PGM_RSRC2:USER_SGPR: 6
; COMPUTE_PGM_RSRC2:TRAP_HANDLER: 0
; COMPUTE_PGM_RSRC2:TGID_X_EN: 1
; COMPUTE_PGM_RSRC2:TGID_Y_EN: 0
; COMPUTE_PGM_RSRC2:TGID_Z_EN: 0
; COMPUTE_PGM_RSRC2:TIDIG_COMP_CNT: 0
; COMPUTE_PGM_RSRC3_GFX90A:ACCUM_OFFSET: 0
; COMPUTE_PGM_RSRC3_GFX90A:TG_SPLIT: 0
	.section	.text._ZN7rocprim17ROCPRIM_400000_NS6detail17trampoline_kernelINS0_14default_configENS1_27scan_by_key_config_selectorIitEEZZNS1_16scan_by_key_implILNS1_25lookback_scan_determinismE0ELb0ES3_N6thrust23THRUST_200600_302600_NS6detail15normal_iteratorINS9_10device_ptrIiEEEENSB_INSC_ItEEEESG_tNS9_4plusIvEENS9_8equal_toIvEEtEE10hipError_tPvRmT2_T3_T4_T5_mT6_T7_P12ihipStream_tbENKUlT_T0_E_clISt17integral_constantIbLb1EES10_IbLb0EEEEDaSW_SX_EUlSW_E_NS1_11comp_targetILNS1_3genE10ELNS1_11target_archE1201ELNS1_3gpuE5ELNS1_3repE0EEENS1_30default_config_static_selectorELNS0_4arch9wavefront6targetE1EEEvT1_,"axG",@progbits,_ZN7rocprim17ROCPRIM_400000_NS6detail17trampoline_kernelINS0_14default_configENS1_27scan_by_key_config_selectorIitEEZZNS1_16scan_by_key_implILNS1_25lookback_scan_determinismE0ELb0ES3_N6thrust23THRUST_200600_302600_NS6detail15normal_iteratorINS9_10device_ptrIiEEEENSB_INSC_ItEEEESG_tNS9_4plusIvEENS9_8equal_toIvEEtEE10hipError_tPvRmT2_T3_T4_T5_mT6_T7_P12ihipStream_tbENKUlT_T0_E_clISt17integral_constantIbLb1EES10_IbLb0EEEEDaSW_SX_EUlSW_E_NS1_11comp_targetILNS1_3genE10ELNS1_11target_archE1201ELNS1_3gpuE5ELNS1_3repE0EEENS1_30default_config_static_selectorELNS0_4arch9wavefront6targetE1EEEvT1_,comdat
	.protected	_ZN7rocprim17ROCPRIM_400000_NS6detail17trampoline_kernelINS0_14default_configENS1_27scan_by_key_config_selectorIitEEZZNS1_16scan_by_key_implILNS1_25lookback_scan_determinismE0ELb0ES3_N6thrust23THRUST_200600_302600_NS6detail15normal_iteratorINS9_10device_ptrIiEEEENSB_INSC_ItEEEESG_tNS9_4plusIvEENS9_8equal_toIvEEtEE10hipError_tPvRmT2_T3_T4_T5_mT6_T7_P12ihipStream_tbENKUlT_T0_E_clISt17integral_constantIbLb1EES10_IbLb0EEEEDaSW_SX_EUlSW_E_NS1_11comp_targetILNS1_3genE10ELNS1_11target_archE1201ELNS1_3gpuE5ELNS1_3repE0EEENS1_30default_config_static_selectorELNS0_4arch9wavefront6targetE1EEEvT1_ ; -- Begin function _ZN7rocprim17ROCPRIM_400000_NS6detail17trampoline_kernelINS0_14default_configENS1_27scan_by_key_config_selectorIitEEZZNS1_16scan_by_key_implILNS1_25lookback_scan_determinismE0ELb0ES3_N6thrust23THRUST_200600_302600_NS6detail15normal_iteratorINS9_10device_ptrIiEEEENSB_INSC_ItEEEESG_tNS9_4plusIvEENS9_8equal_toIvEEtEE10hipError_tPvRmT2_T3_T4_T5_mT6_T7_P12ihipStream_tbENKUlT_T0_E_clISt17integral_constantIbLb1EES10_IbLb0EEEEDaSW_SX_EUlSW_E_NS1_11comp_targetILNS1_3genE10ELNS1_11target_archE1201ELNS1_3gpuE5ELNS1_3repE0EEENS1_30default_config_static_selectorELNS0_4arch9wavefront6targetE1EEEvT1_
	.globl	_ZN7rocprim17ROCPRIM_400000_NS6detail17trampoline_kernelINS0_14default_configENS1_27scan_by_key_config_selectorIitEEZZNS1_16scan_by_key_implILNS1_25lookback_scan_determinismE0ELb0ES3_N6thrust23THRUST_200600_302600_NS6detail15normal_iteratorINS9_10device_ptrIiEEEENSB_INSC_ItEEEESG_tNS9_4plusIvEENS9_8equal_toIvEEtEE10hipError_tPvRmT2_T3_T4_T5_mT6_T7_P12ihipStream_tbENKUlT_T0_E_clISt17integral_constantIbLb1EES10_IbLb0EEEEDaSW_SX_EUlSW_E_NS1_11comp_targetILNS1_3genE10ELNS1_11target_archE1201ELNS1_3gpuE5ELNS1_3repE0EEENS1_30default_config_static_selectorELNS0_4arch9wavefront6targetE1EEEvT1_
	.p2align	8
	.type	_ZN7rocprim17ROCPRIM_400000_NS6detail17trampoline_kernelINS0_14default_configENS1_27scan_by_key_config_selectorIitEEZZNS1_16scan_by_key_implILNS1_25lookback_scan_determinismE0ELb0ES3_N6thrust23THRUST_200600_302600_NS6detail15normal_iteratorINS9_10device_ptrIiEEEENSB_INSC_ItEEEESG_tNS9_4plusIvEENS9_8equal_toIvEEtEE10hipError_tPvRmT2_T3_T4_T5_mT6_T7_P12ihipStream_tbENKUlT_T0_E_clISt17integral_constantIbLb1EES10_IbLb0EEEEDaSW_SX_EUlSW_E_NS1_11comp_targetILNS1_3genE10ELNS1_11target_archE1201ELNS1_3gpuE5ELNS1_3repE0EEENS1_30default_config_static_selectorELNS0_4arch9wavefront6targetE1EEEvT1_,@function
_ZN7rocprim17ROCPRIM_400000_NS6detail17trampoline_kernelINS0_14default_configENS1_27scan_by_key_config_selectorIitEEZZNS1_16scan_by_key_implILNS1_25lookback_scan_determinismE0ELb0ES3_N6thrust23THRUST_200600_302600_NS6detail15normal_iteratorINS9_10device_ptrIiEEEENSB_INSC_ItEEEESG_tNS9_4plusIvEENS9_8equal_toIvEEtEE10hipError_tPvRmT2_T3_T4_T5_mT6_T7_P12ihipStream_tbENKUlT_T0_E_clISt17integral_constantIbLb1EES10_IbLb0EEEEDaSW_SX_EUlSW_E_NS1_11comp_targetILNS1_3genE10ELNS1_11target_archE1201ELNS1_3gpuE5ELNS1_3repE0EEENS1_30default_config_static_selectorELNS0_4arch9wavefront6targetE1EEEvT1_: ; @_ZN7rocprim17ROCPRIM_400000_NS6detail17trampoline_kernelINS0_14default_configENS1_27scan_by_key_config_selectorIitEEZZNS1_16scan_by_key_implILNS1_25lookback_scan_determinismE0ELb0ES3_N6thrust23THRUST_200600_302600_NS6detail15normal_iteratorINS9_10device_ptrIiEEEENSB_INSC_ItEEEESG_tNS9_4plusIvEENS9_8equal_toIvEEtEE10hipError_tPvRmT2_T3_T4_T5_mT6_T7_P12ihipStream_tbENKUlT_T0_E_clISt17integral_constantIbLb1EES10_IbLb0EEEEDaSW_SX_EUlSW_E_NS1_11comp_targetILNS1_3genE10ELNS1_11target_archE1201ELNS1_3gpuE5ELNS1_3repE0EEENS1_30default_config_static_selectorELNS0_4arch9wavefront6targetE1EEEvT1_
; %bb.0:
	.section	.rodata,"a",@progbits
	.p2align	6, 0x0
	.amdhsa_kernel _ZN7rocprim17ROCPRIM_400000_NS6detail17trampoline_kernelINS0_14default_configENS1_27scan_by_key_config_selectorIitEEZZNS1_16scan_by_key_implILNS1_25lookback_scan_determinismE0ELb0ES3_N6thrust23THRUST_200600_302600_NS6detail15normal_iteratorINS9_10device_ptrIiEEEENSB_INSC_ItEEEESG_tNS9_4plusIvEENS9_8equal_toIvEEtEE10hipError_tPvRmT2_T3_T4_T5_mT6_T7_P12ihipStream_tbENKUlT_T0_E_clISt17integral_constantIbLb1EES10_IbLb0EEEEDaSW_SX_EUlSW_E_NS1_11comp_targetILNS1_3genE10ELNS1_11target_archE1201ELNS1_3gpuE5ELNS1_3repE0EEENS1_30default_config_static_selectorELNS0_4arch9wavefront6targetE1EEEvT1_
		.amdhsa_group_segment_fixed_size 0
		.amdhsa_private_segment_fixed_size 0
		.amdhsa_kernarg_size 112
		.amdhsa_user_sgpr_count 6
		.amdhsa_user_sgpr_private_segment_buffer 1
		.amdhsa_user_sgpr_dispatch_ptr 0
		.amdhsa_user_sgpr_queue_ptr 0
		.amdhsa_user_sgpr_kernarg_segment_ptr 1
		.amdhsa_user_sgpr_dispatch_id 0
		.amdhsa_user_sgpr_flat_scratch_init 0
		.amdhsa_user_sgpr_kernarg_preload_length 0
		.amdhsa_user_sgpr_kernarg_preload_offset 0
		.amdhsa_user_sgpr_private_segment_size 0
		.amdhsa_uses_dynamic_stack 0
		.amdhsa_system_sgpr_private_segment_wavefront_offset 0
		.amdhsa_system_sgpr_workgroup_id_x 1
		.amdhsa_system_sgpr_workgroup_id_y 0
		.amdhsa_system_sgpr_workgroup_id_z 0
		.amdhsa_system_sgpr_workgroup_info 0
		.amdhsa_system_vgpr_workitem_id 0
		.amdhsa_next_free_vgpr 1
		.amdhsa_next_free_sgpr 0
		.amdhsa_accum_offset 4
		.amdhsa_reserve_vcc 0
		.amdhsa_reserve_flat_scratch 0
		.amdhsa_float_round_mode_32 0
		.amdhsa_float_round_mode_16_64 0
		.amdhsa_float_denorm_mode_32 3
		.amdhsa_float_denorm_mode_16_64 3
		.amdhsa_dx10_clamp 1
		.amdhsa_ieee_mode 1
		.amdhsa_fp16_overflow 0
		.amdhsa_tg_split 0
		.amdhsa_exception_fp_ieee_invalid_op 0
		.amdhsa_exception_fp_denorm_src 0
		.amdhsa_exception_fp_ieee_div_zero 0
		.amdhsa_exception_fp_ieee_overflow 0
		.amdhsa_exception_fp_ieee_underflow 0
		.amdhsa_exception_fp_ieee_inexact 0
		.amdhsa_exception_int_div_zero 0
	.end_amdhsa_kernel
	.section	.text._ZN7rocprim17ROCPRIM_400000_NS6detail17trampoline_kernelINS0_14default_configENS1_27scan_by_key_config_selectorIitEEZZNS1_16scan_by_key_implILNS1_25lookback_scan_determinismE0ELb0ES3_N6thrust23THRUST_200600_302600_NS6detail15normal_iteratorINS9_10device_ptrIiEEEENSB_INSC_ItEEEESG_tNS9_4plusIvEENS9_8equal_toIvEEtEE10hipError_tPvRmT2_T3_T4_T5_mT6_T7_P12ihipStream_tbENKUlT_T0_E_clISt17integral_constantIbLb1EES10_IbLb0EEEEDaSW_SX_EUlSW_E_NS1_11comp_targetILNS1_3genE10ELNS1_11target_archE1201ELNS1_3gpuE5ELNS1_3repE0EEENS1_30default_config_static_selectorELNS0_4arch9wavefront6targetE1EEEvT1_,"axG",@progbits,_ZN7rocprim17ROCPRIM_400000_NS6detail17trampoline_kernelINS0_14default_configENS1_27scan_by_key_config_selectorIitEEZZNS1_16scan_by_key_implILNS1_25lookback_scan_determinismE0ELb0ES3_N6thrust23THRUST_200600_302600_NS6detail15normal_iteratorINS9_10device_ptrIiEEEENSB_INSC_ItEEEESG_tNS9_4plusIvEENS9_8equal_toIvEEtEE10hipError_tPvRmT2_T3_T4_T5_mT6_T7_P12ihipStream_tbENKUlT_T0_E_clISt17integral_constantIbLb1EES10_IbLb0EEEEDaSW_SX_EUlSW_E_NS1_11comp_targetILNS1_3genE10ELNS1_11target_archE1201ELNS1_3gpuE5ELNS1_3repE0EEENS1_30default_config_static_selectorELNS0_4arch9wavefront6targetE1EEEvT1_,comdat
.Lfunc_end1290:
	.size	_ZN7rocprim17ROCPRIM_400000_NS6detail17trampoline_kernelINS0_14default_configENS1_27scan_by_key_config_selectorIitEEZZNS1_16scan_by_key_implILNS1_25lookback_scan_determinismE0ELb0ES3_N6thrust23THRUST_200600_302600_NS6detail15normal_iteratorINS9_10device_ptrIiEEEENSB_INSC_ItEEEESG_tNS9_4plusIvEENS9_8equal_toIvEEtEE10hipError_tPvRmT2_T3_T4_T5_mT6_T7_P12ihipStream_tbENKUlT_T0_E_clISt17integral_constantIbLb1EES10_IbLb0EEEEDaSW_SX_EUlSW_E_NS1_11comp_targetILNS1_3genE10ELNS1_11target_archE1201ELNS1_3gpuE5ELNS1_3repE0EEENS1_30default_config_static_selectorELNS0_4arch9wavefront6targetE1EEEvT1_, .Lfunc_end1290-_ZN7rocprim17ROCPRIM_400000_NS6detail17trampoline_kernelINS0_14default_configENS1_27scan_by_key_config_selectorIitEEZZNS1_16scan_by_key_implILNS1_25lookback_scan_determinismE0ELb0ES3_N6thrust23THRUST_200600_302600_NS6detail15normal_iteratorINS9_10device_ptrIiEEEENSB_INSC_ItEEEESG_tNS9_4plusIvEENS9_8equal_toIvEEtEE10hipError_tPvRmT2_T3_T4_T5_mT6_T7_P12ihipStream_tbENKUlT_T0_E_clISt17integral_constantIbLb1EES10_IbLb0EEEEDaSW_SX_EUlSW_E_NS1_11comp_targetILNS1_3genE10ELNS1_11target_archE1201ELNS1_3gpuE5ELNS1_3repE0EEENS1_30default_config_static_selectorELNS0_4arch9wavefront6targetE1EEEvT1_
                                        ; -- End function
	.section	.AMDGPU.csdata,"",@progbits
; Kernel info:
; codeLenInByte = 0
; NumSgprs: 4
; NumVgprs: 0
; NumAgprs: 0
; TotalNumVgprs: 0
; ScratchSize: 0
; MemoryBound: 0
; FloatMode: 240
; IeeeMode: 1
; LDSByteSize: 0 bytes/workgroup (compile time only)
; SGPRBlocks: 0
; VGPRBlocks: 0
; NumSGPRsForWavesPerEU: 4
; NumVGPRsForWavesPerEU: 1
; AccumOffset: 4
; Occupancy: 8
; WaveLimiterHint : 0
; COMPUTE_PGM_RSRC2:SCRATCH_EN: 0
; COMPUTE_PGM_RSRC2:USER_SGPR: 6
; COMPUTE_PGM_RSRC2:TRAP_HANDLER: 0
; COMPUTE_PGM_RSRC2:TGID_X_EN: 1
; COMPUTE_PGM_RSRC2:TGID_Y_EN: 0
; COMPUTE_PGM_RSRC2:TGID_Z_EN: 0
; COMPUTE_PGM_RSRC2:TIDIG_COMP_CNT: 0
; COMPUTE_PGM_RSRC3_GFX90A:ACCUM_OFFSET: 0
; COMPUTE_PGM_RSRC3_GFX90A:TG_SPLIT: 0
	.section	.text._ZN7rocprim17ROCPRIM_400000_NS6detail17trampoline_kernelINS0_14default_configENS1_27scan_by_key_config_selectorIitEEZZNS1_16scan_by_key_implILNS1_25lookback_scan_determinismE0ELb0ES3_N6thrust23THRUST_200600_302600_NS6detail15normal_iteratorINS9_10device_ptrIiEEEENSB_INSC_ItEEEESG_tNS9_4plusIvEENS9_8equal_toIvEEtEE10hipError_tPvRmT2_T3_T4_T5_mT6_T7_P12ihipStream_tbENKUlT_T0_E_clISt17integral_constantIbLb1EES10_IbLb0EEEEDaSW_SX_EUlSW_E_NS1_11comp_targetILNS1_3genE5ELNS1_11target_archE942ELNS1_3gpuE9ELNS1_3repE0EEENS1_30default_config_static_selectorELNS0_4arch9wavefront6targetE1EEEvT1_,"axG",@progbits,_ZN7rocprim17ROCPRIM_400000_NS6detail17trampoline_kernelINS0_14default_configENS1_27scan_by_key_config_selectorIitEEZZNS1_16scan_by_key_implILNS1_25lookback_scan_determinismE0ELb0ES3_N6thrust23THRUST_200600_302600_NS6detail15normal_iteratorINS9_10device_ptrIiEEEENSB_INSC_ItEEEESG_tNS9_4plusIvEENS9_8equal_toIvEEtEE10hipError_tPvRmT2_T3_T4_T5_mT6_T7_P12ihipStream_tbENKUlT_T0_E_clISt17integral_constantIbLb1EES10_IbLb0EEEEDaSW_SX_EUlSW_E_NS1_11comp_targetILNS1_3genE5ELNS1_11target_archE942ELNS1_3gpuE9ELNS1_3repE0EEENS1_30default_config_static_selectorELNS0_4arch9wavefront6targetE1EEEvT1_,comdat
	.protected	_ZN7rocprim17ROCPRIM_400000_NS6detail17trampoline_kernelINS0_14default_configENS1_27scan_by_key_config_selectorIitEEZZNS1_16scan_by_key_implILNS1_25lookback_scan_determinismE0ELb0ES3_N6thrust23THRUST_200600_302600_NS6detail15normal_iteratorINS9_10device_ptrIiEEEENSB_INSC_ItEEEESG_tNS9_4plusIvEENS9_8equal_toIvEEtEE10hipError_tPvRmT2_T3_T4_T5_mT6_T7_P12ihipStream_tbENKUlT_T0_E_clISt17integral_constantIbLb1EES10_IbLb0EEEEDaSW_SX_EUlSW_E_NS1_11comp_targetILNS1_3genE5ELNS1_11target_archE942ELNS1_3gpuE9ELNS1_3repE0EEENS1_30default_config_static_selectorELNS0_4arch9wavefront6targetE1EEEvT1_ ; -- Begin function _ZN7rocprim17ROCPRIM_400000_NS6detail17trampoline_kernelINS0_14default_configENS1_27scan_by_key_config_selectorIitEEZZNS1_16scan_by_key_implILNS1_25lookback_scan_determinismE0ELb0ES3_N6thrust23THRUST_200600_302600_NS6detail15normal_iteratorINS9_10device_ptrIiEEEENSB_INSC_ItEEEESG_tNS9_4plusIvEENS9_8equal_toIvEEtEE10hipError_tPvRmT2_T3_T4_T5_mT6_T7_P12ihipStream_tbENKUlT_T0_E_clISt17integral_constantIbLb1EES10_IbLb0EEEEDaSW_SX_EUlSW_E_NS1_11comp_targetILNS1_3genE5ELNS1_11target_archE942ELNS1_3gpuE9ELNS1_3repE0EEENS1_30default_config_static_selectorELNS0_4arch9wavefront6targetE1EEEvT1_
	.globl	_ZN7rocprim17ROCPRIM_400000_NS6detail17trampoline_kernelINS0_14default_configENS1_27scan_by_key_config_selectorIitEEZZNS1_16scan_by_key_implILNS1_25lookback_scan_determinismE0ELb0ES3_N6thrust23THRUST_200600_302600_NS6detail15normal_iteratorINS9_10device_ptrIiEEEENSB_INSC_ItEEEESG_tNS9_4plusIvEENS9_8equal_toIvEEtEE10hipError_tPvRmT2_T3_T4_T5_mT6_T7_P12ihipStream_tbENKUlT_T0_E_clISt17integral_constantIbLb1EES10_IbLb0EEEEDaSW_SX_EUlSW_E_NS1_11comp_targetILNS1_3genE5ELNS1_11target_archE942ELNS1_3gpuE9ELNS1_3repE0EEENS1_30default_config_static_selectorELNS0_4arch9wavefront6targetE1EEEvT1_
	.p2align	8
	.type	_ZN7rocprim17ROCPRIM_400000_NS6detail17trampoline_kernelINS0_14default_configENS1_27scan_by_key_config_selectorIitEEZZNS1_16scan_by_key_implILNS1_25lookback_scan_determinismE0ELb0ES3_N6thrust23THRUST_200600_302600_NS6detail15normal_iteratorINS9_10device_ptrIiEEEENSB_INSC_ItEEEESG_tNS9_4plusIvEENS9_8equal_toIvEEtEE10hipError_tPvRmT2_T3_T4_T5_mT6_T7_P12ihipStream_tbENKUlT_T0_E_clISt17integral_constantIbLb1EES10_IbLb0EEEEDaSW_SX_EUlSW_E_NS1_11comp_targetILNS1_3genE5ELNS1_11target_archE942ELNS1_3gpuE9ELNS1_3repE0EEENS1_30default_config_static_selectorELNS0_4arch9wavefront6targetE1EEEvT1_,@function
_ZN7rocprim17ROCPRIM_400000_NS6detail17trampoline_kernelINS0_14default_configENS1_27scan_by_key_config_selectorIitEEZZNS1_16scan_by_key_implILNS1_25lookback_scan_determinismE0ELb0ES3_N6thrust23THRUST_200600_302600_NS6detail15normal_iteratorINS9_10device_ptrIiEEEENSB_INSC_ItEEEESG_tNS9_4plusIvEENS9_8equal_toIvEEtEE10hipError_tPvRmT2_T3_T4_T5_mT6_T7_P12ihipStream_tbENKUlT_T0_E_clISt17integral_constantIbLb1EES10_IbLb0EEEEDaSW_SX_EUlSW_E_NS1_11comp_targetILNS1_3genE5ELNS1_11target_archE942ELNS1_3gpuE9ELNS1_3repE0EEENS1_30default_config_static_selectorELNS0_4arch9wavefront6targetE1EEEvT1_: ; @_ZN7rocprim17ROCPRIM_400000_NS6detail17trampoline_kernelINS0_14default_configENS1_27scan_by_key_config_selectorIitEEZZNS1_16scan_by_key_implILNS1_25lookback_scan_determinismE0ELb0ES3_N6thrust23THRUST_200600_302600_NS6detail15normal_iteratorINS9_10device_ptrIiEEEENSB_INSC_ItEEEESG_tNS9_4plusIvEENS9_8equal_toIvEEtEE10hipError_tPvRmT2_T3_T4_T5_mT6_T7_P12ihipStream_tbENKUlT_T0_E_clISt17integral_constantIbLb1EES10_IbLb0EEEEDaSW_SX_EUlSW_E_NS1_11comp_targetILNS1_3genE5ELNS1_11target_archE942ELNS1_3gpuE9ELNS1_3repE0EEENS1_30default_config_static_selectorELNS0_4arch9wavefront6targetE1EEEvT1_
; %bb.0:
	.section	.rodata,"a",@progbits
	.p2align	6, 0x0
	.amdhsa_kernel _ZN7rocprim17ROCPRIM_400000_NS6detail17trampoline_kernelINS0_14default_configENS1_27scan_by_key_config_selectorIitEEZZNS1_16scan_by_key_implILNS1_25lookback_scan_determinismE0ELb0ES3_N6thrust23THRUST_200600_302600_NS6detail15normal_iteratorINS9_10device_ptrIiEEEENSB_INSC_ItEEEESG_tNS9_4plusIvEENS9_8equal_toIvEEtEE10hipError_tPvRmT2_T3_T4_T5_mT6_T7_P12ihipStream_tbENKUlT_T0_E_clISt17integral_constantIbLb1EES10_IbLb0EEEEDaSW_SX_EUlSW_E_NS1_11comp_targetILNS1_3genE5ELNS1_11target_archE942ELNS1_3gpuE9ELNS1_3repE0EEENS1_30default_config_static_selectorELNS0_4arch9wavefront6targetE1EEEvT1_
		.amdhsa_group_segment_fixed_size 0
		.amdhsa_private_segment_fixed_size 0
		.amdhsa_kernarg_size 112
		.amdhsa_user_sgpr_count 6
		.amdhsa_user_sgpr_private_segment_buffer 1
		.amdhsa_user_sgpr_dispatch_ptr 0
		.amdhsa_user_sgpr_queue_ptr 0
		.amdhsa_user_sgpr_kernarg_segment_ptr 1
		.amdhsa_user_sgpr_dispatch_id 0
		.amdhsa_user_sgpr_flat_scratch_init 0
		.amdhsa_user_sgpr_kernarg_preload_length 0
		.amdhsa_user_sgpr_kernarg_preload_offset 0
		.amdhsa_user_sgpr_private_segment_size 0
		.amdhsa_uses_dynamic_stack 0
		.amdhsa_system_sgpr_private_segment_wavefront_offset 0
		.amdhsa_system_sgpr_workgroup_id_x 1
		.amdhsa_system_sgpr_workgroup_id_y 0
		.amdhsa_system_sgpr_workgroup_id_z 0
		.amdhsa_system_sgpr_workgroup_info 0
		.amdhsa_system_vgpr_workitem_id 0
		.amdhsa_next_free_vgpr 1
		.amdhsa_next_free_sgpr 0
		.amdhsa_accum_offset 4
		.amdhsa_reserve_vcc 0
		.amdhsa_reserve_flat_scratch 0
		.amdhsa_float_round_mode_32 0
		.amdhsa_float_round_mode_16_64 0
		.amdhsa_float_denorm_mode_32 3
		.amdhsa_float_denorm_mode_16_64 3
		.amdhsa_dx10_clamp 1
		.amdhsa_ieee_mode 1
		.amdhsa_fp16_overflow 0
		.amdhsa_tg_split 0
		.amdhsa_exception_fp_ieee_invalid_op 0
		.amdhsa_exception_fp_denorm_src 0
		.amdhsa_exception_fp_ieee_div_zero 0
		.amdhsa_exception_fp_ieee_overflow 0
		.amdhsa_exception_fp_ieee_underflow 0
		.amdhsa_exception_fp_ieee_inexact 0
		.amdhsa_exception_int_div_zero 0
	.end_amdhsa_kernel
	.section	.text._ZN7rocprim17ROCPRIM_400000_NS6detail17trampoline_kernelINS0_14default_configENS1_27scan_by_key_config_selectorIitEEZZNS1_16scan_by_key_implILNS1_25lookback_scan_determinismE0ELb0ES3_N6thrust23THRUST_200600_302600_NS6detail15normal_iteratorINS9_10device_ptrIiEEEENSB_INSC_ItEEEESG_tNS9_4plusIvEENS9_8equal_toIvEEtEE10hipError_tPvRmT2_T3_T4_T5_mT6_T7_P12ihipStream_tbENKUlT_T0_E_clISt17integral_constantIbLb1EES10_IbLb0EEEEDaSW_SX_EUlSW_E_NS1_11comp_targetILNS1_3genE5ELNS1_11target_archE942ELNS1_3gpuE9ELNS1_3repE0EEENS1_30default_config_static_selectorELNS0_4arch9wavefront6targetE1EEEvT1_,"axG",@progbits,_ZN7rocprim17ROCPRIM_400000_NS6detail17trampoline_kernelINS0_14default_configENS1_27scan_by_key_config_selectorIitEEZZNS1_16scan_by_key_implILNS1_25lookback_scan_determinismE0ELb0ES3_N6thrust23THRUST_200600_302600_NS6detail15normal_iteratorINS9_10device_ptrIiEEEENSB_INSC_ItEEEESG_tNS9_4plusIvEENS9_8equal_toIvEEtEE10hipError_tPvRmT2_T3_T4_T5_mT6_T7_P12ihipStream_tbENKUlT_T0_E_clISt17integral_constantIbLb1EES10_IbLb0EEEEDaSW_SX_EUlSW_E_NS1_11comp_targetILNS1_3genE5ELNS1_11target_archE942ELNS1_3gpuE9ELNS1_3repE0EEENS1_30default_config_static_selectorELNS0_4arch9wavefront6targetE1EEEvT1_,comdat
.Lfunc_end1291:
	.size	_ZN7rocprim17ROCPRIM_400000_NS6detail17trampoline_kernelINS0_14default_configENS1_27scan_by_key_config_selectorIitEEZZNS1_16scan_by_key_implILNS1_25lookback_scan_determinismE0ELb0ES3_N6thrust23THRUST_200600_302600_NS6detail15normal_iteratorINS9_10device_ptrIiEEEENSB_INSC_ItEEEESG_tNS9_4plusIvEENS9_8equal_toIvEEtEE10hipError_tPvRmT2_T3_T4_T5_mT6_T7_P12ihipStream_tbENKUlT_T0_E_clISt17integral_constantIbLb1EES10_IbLb0EEEEDaSW_SX_EUlSW_E_NS1_11comp_targetILNS1_3genE5ELNS1_11target_archE942ELNS1_3gpuE9ELNS1_3repE0EEENS1_30default_config_static_selectorELNS0_4arch9wavefront6targetE1EEEvT1_, .Lfunc_end1291-_ZN7rocprim17ROCPRIM_400000_NS6detail17trampoline_kernelINS0_14default_configENS1_27scan_by_key_config_selectorIitEEZZNS1_16scan_by_key_implILNS1_25lookback_scan_determinismE0ELb0ES3_N6thrust23THRUST_200600_302600_NS6detail15normal_iteratorINS9_10device_ptrIiEEEENSB_INSC_ItEEEESG_tNS9_4plusIvEENS9_8equal_toIvEEtEE10hipError_tPvRmT2_T3_T4_T5_mT6_T7_P12ihipStream_tbENKUlT_T0_E_clISt17integral_constantIbLb1EES10_IbLb0EEEEDaSW_SX_EUlSW_E_NS1_11comp_targetILNS1_3genE5ELNS1_11target_archE942ELNS1_3gpuE9ELNS1_3repE0EEENS1_30default_config_static_selectorELNS0_4arch9wavefront6targetE1EEEvT1_
                                        ; -- End function
	.section	.AMDGPU.csdata,"",@progbits
; Kernel info:
; codeLenInByte = 0
; NumSgprs: 4
; NumVgprs: 0
; NumAgprs: 0
; TotalNumVgprs: 0
; ScratchSize: 0
; MemoryBound: 0
; FloatMode: 240
; IeeeMode: 1
; LDSByteSize: 0 bytes/workgroup (compile time only)
; SGPRBlocks: 0
; VGPRBlocks: 0
; NumSGPRsForWavesPerEU: 4
; NumVGPRsForWavesPerEU: 1
; AccumOffset: 4
; Occupancy: 8
; WaveLimiterHint : 0
; COMPUTE_PGM_RSRC2:SCRATCH_EN: 0
; COMPUTE_PGM_RSRC2:USER_SGPR: 6
; COMPUTE_PGM_RSRC2:TRAP_HANDLER: 0
; COMPUTE_PGM_RSRC2:TGID_X_EN: 1
; COMPUTE_PGM_RSRC2:TGID_Y_EN: 0
; COMPUTE_PGM_RSRC2:TGID_Z_EN: 0
; COMPUTE_PGM_RSRC2:TIDIG_COMP_CNT: 0
; COMPUTE_PGM_RSRC3_GFX90A:ACCUM_OFFSET: 0
; COMPUTE_PGM_RSRC3_GFX90A:TG_SPLIT: 0
	.section	.text._ZN7rocprim17ROCPRIM_400000_NS6detail17trampoline_kernelINS0_14default_configENS1_27scan_by_key_config_selectorIitEEZZNS1_16scan_by_key_implILNS1_25lookback_scan_determinismE0ELb0ES3_N6thrust23THRUST_200600_302600_NS6detail15normal_iteratorINS9_10device_ptrIiEEEENSB_INSC_ItEEEESG_tNS9_4plusIvEENS9_8equal_toIvEEtEE10hipError_tPvRmT2_T3_T4_T5_mT6_T7_P12ihipStream_tbENKUlT_T0_E_clISt17integral_constantIbLb1EES10_IbLb0EEEEDaSW_SX_EUlSW_E_NS1_11comp_targetILNS1_3genE4ELNS1_11target_archE910ELNS1_3gpuE8ELNS1_3repE0EEENS1_30default_config_static_selectorELNS0_4arch9wavefront6targetE1EEEvT1_,"axG",@progbits,_ZN7rocprim17ROCPRIM_400000_NS6detail17trampoline_kernelINS0_14default_configENS1_27scan_by_key_config_selectorIitEEZZNS1_16scan_by_key_implILNS1_25lookback_scan_determinismE0ELb0ES3_N6thrust23THRUST_200600_302600_NS6detail15normal_iteratorINS9_10device_ptrIiEEEENSB_INSC_ItEEEESG_tNS9_4plusIvEENS9_8equal_toIvEEtEE10hipError_tPvRmT2_T3_T4_T5_mT6_T7_P12ihipStream_tbENKUlT_T0_E_clISt17integral_constantIbLb1EES10_IbLb0EEEEDaSW_SX_EUlSW_E_NS1_11comp_targetILNS1_3genE4ELNS1_11target_archE910ELNS1_3gpuE8ELNS1_3repE0EEENS1_30default_config_static_selectorELNS0_4arch9wavefront6targetE1EEEvT1_,comdat
	.protected	_ZN7rocprim17ROCPRIM_400000_NS6detail17trampoline_kernelINS0_14default_configENS1_27scan_by_key_config_selectorIitEEZZNS1_16scan_by_key_implILNS1_25lookback_scan_determinismE0ELb0ES3_N6thrust23THRUST_200600_302600_NS6detail15normal_iteratorINS9_10device_ptrIiEEEENSB_INSC_ItEEEESG_tNS9_4plusIvEENS9_8equal_toIvEEtEE10hipError_tPvRmT2_T3_T4_T5_mT6_T7_P12ihipStream_tbENKUlT_T0_E_clISt17integral_constantIbLb1EES10_IbLb0EEEEDaSW_SX_EUlSW_E_NS1_11comp_targetILNS1_3genE4ELNS1_11target_archE910ELNS1_3gpuE8ELNS1_3repE0EEENS1_30default_config_static_selectorELNS0_4arch9wavefront6targetE1EEEvT1_ ; -- Begin function _ZN7rocprim17ROCPRIM_400000_NS6detail17trampoline_kernelINS0_14default_configENS1_27scan_by_key_config_selectorIitEEZZNS1_16scan_by_key_implILNS1_25lookback_scan_determinismE0ELb0ES3_N6thrust23THRUST_200600_302600_NS6detail15normal_iteratorINS9_10device_ptrIiEEEENSB_INSC_ItEEEESG_tNS9_4plusIvEENS9_8equal_toIvEEtEE10hipError_tPvRmT2_T3_T4_T5_mT6_T7_P12ihipStream_tbENKUlT_T0_E_clISt17integral_constantIbLb1EES10_IbLb0EEEEDaSW_SX_EUlSW_E_NS1_11comp_targetILNS1_3genE4ELNS1_11target_archE910ELNS1_3gpuE8ELNS1_3repE0EEENS1_30default_config_static_selectorELNS0_4arch9wavefront6targetE1EEEvT1_
	.globl	_ZN7rocprim17ROCPRIM_400000_NS6detail17trampoline_kernelINS0_14default_configENS1_27scan_by_key_config_selectorIitEEZZNS1_16scan_by_key_implILNS1_25lookback_scan_determinismE0ELb0ES3_N6thrust23THRUST_200600_302600_NS6detail15normal_iteratorINS9_10device_ptrIiEEEENSB_INSC_ItEEEESG_tNS9_4plusIvEENS9_8equal_toIvEEtEE10hipError_tPvRmT2_T3_T4_T5_mT6_T7_P12ihipStream_tbENKUlT_T0_E_clISt17integral_constantIbLb1EES10_IbLb0EEEEDaSW_SX_EUlSW_E_NS1_11comp_targetILNS1_3genE4ELNS1_11target_archE910ELNS1_3gpuE8ELNS1_3repE0EEENS1_30default_config_static_selectorELNS0_4arch9wavefront6targetE1EEEvT1_
	.p2align	8
	.type	_ZN7rocprim17ROCPRIM_400000_NS6detail17trampoline_kernelINS0_14default_configENS1_27scan_by_key_config_selectorIitEEZZNS1_16scan_by_key_implILNS1_25lookback_scan_determinismE0ELb0ES3_N6thrust23THRUST_200600_302600_NS6detail15normal_iteratorINS9_10device_ptrIiEEEENSB_INSC_ItEEEESG_tNS9_4plusIvEENS9_8equal_toIvEEtEE10hipError_tPvRmT2_T3_T4_T5_mT6_T7_P12ihipStream_tbENKUlT_T0_E_clISt17integral_constantIbLb1EES10_IbLb0EEEEDaSW_SX_EUlSW_E_NS1_11comp_targetILNS1_3genE4ELNS1_11target_archE910ELNS1_3gpuE8ELNS1_3repE0EEENS1_30default_config_static_selectorELNS0_4arch9wavefront6targetE1EEEvT1_,@function
_ZN7rocprim17ROCPRIM_400000_NS6detail17trampoline_kernelINS0_14default_configENS1_27scan_by_key_config_selectorIitEEZZNS1_16scan_by_key_implILNS1_25lookback_scan_determinismE0ELb0ES3_N6thrust23THRUST_200600_302600_NS6detail15normal_iteratorINS9_10device_ptrIiEEEENSB_INSC_ItEEEESG_tNS9_4plusIvEENS9_8equal_toIvEEtEE10hipError_tPvRmT2_T3_T4_T5_mT6_T7_P12ihipStream_tbENKUlT_T0_E_clISt17integral_constantIbLb1EES10_IbLb0EEEEDaSW_SX_EUlSW_E_NS1_11comp_targetILNS1_3genE4ELNS1_11target_archE910ELNS1_3gpuE8ELNS1_3repE0EEENS1_30default_config_static_selectorELNS0_4arch9wavefront6targetE1EEEvT1_: ; @_ZN7rocprim17ROCPRIM_400000_NS6detail17trampoline_kernelINS0_14default_configENS1_27scan_by_key_config_selectorIitEEZZNS1_16scan_by_key_implILNS1_25lookback_scan_determinismE0ELb0ES3_N6thrust23THRUST_200600_302600_NS6detail15normal_iteratorINS9_10device_ptrIiEEEENSB_INSC_ItEEEESG_tNS9_4plusIvEENS9_8equal_toIvEEtEE10hipError_tPvRmT2_T3_T4_T5_mT6_T7_P12ihipStream_tbENKUlT_T0_E_clISt17integral_constantIbLb1EES10_IbLb0EEEEDaSW_SX_EUlSW_E_NS1_11comp_targetILNS1_3genE4ELNS1_11target_archE910ELNS1_3gpuE8ELNS1_3repE0EEENS1_30default_config_static_selectorELNS0_4arch9wavefront6targetE1EEEvT1_
; %bb.0:
	s_load_dwordx8 s[52:59], s[4:5], 0x0
	s_load_dwordx4 s[68:71], s[4:5], 0x28
	s_load_dwordx2 s[74:75], s[4:5], 0x38
	s_load_dword s2, s[4:5], 0x40
	s_load_dwordx8 s[60:67], s[4:5], 0x48
	s_waitcnt lgkmcnt(0)
	s_lshl_b64 s[0:1], s[54:55], 2
	s_add_u32 s4, s52, s0
	s_addc_u32 s5, s53, s1
	s_lshl_b64 s[72:73], s[54:55], 1
	s_add_u32 s7, s56, s72
	s_mul_i32 s0, s75, s2
	s_mul_hi_u32 s1, s74, s2
	s_addc_u32 s8, s57, s73
	s_add_i32 s9, s1, s0
	s_cmp_lg_u64 s[64:65], 0
	s_mul_i32 s0, s6, 0x600
	s_mov_b32 s1, 0
	s_mul_i32 s10, s74, s2
	s_cselect_b64 s[64:65], -1, 0
	s_lshl_b64 s[2:3], s[0:1], 2
	s_add_u32 s54, s4, s2
	s_addc_u32 s55, s5, s3
	s_lshl_b64 s[56:57], s[0:1], 1
	s_add_u32 s7, s7, s56
	s_addc_u32 s71, s8, s57
	s_add_u32 s76, s10, s6
	s_addc_u32 s77, s9, 0
	s_add_u32 s2, s60, -1
	s_addc_u32 s3, s61, -1
	v_pk_mov_b32 v[2:3], s[2:3], s[2:3] op_sel:[0,1]
	v_cmp_ge_u64_e64 s[0:1], s[76:77], v[2:3]
	s_mov_b64 s[12:13], 0
	s_mov_b64 s[4:5], -1
	s_and_b64 vcc, exec, s[0:1]
	s_mul_i32 s33, s2, 0xfffffa00
	s_waitcnt lgkmcnt(0)
	; wave barrier
	s_cbranch_vccz .LBB1292_127
; %bb.1:
	v_pk_mov_b32 v[2:3], s[54:55], s[54:55] op_sel:[0,1]
	flat_load_dword v1, v[2:3]
	s_add_i32 s82, s33, s70
	v_cmp_gt_u32_e64 s[2:3], s82, v0
	s_waitcnt vmcnt(0) lgkmcnt(0)
	v_mov_b32_e32 v2, v1
	s_and_saveexec_b64 s[4:5], s[2:3]
	s_cbranch_execz .LBB1292_3
; %bb.2:
	v_lshlrev_b32_e32 v2, 2, v0
	v_mov_b32_e32 v3, s55
	v_add_co_u32_e32 v2, vcc, s54, v2
	v_addc_co_u32_e32 v3, vcc, 0, v3, vcc
	flat_load_dword v2, v[2:3]
.LBB1292_3:
	s_or_b64 exec, exec, s[4:5]
	v_or_b32_e32 v3, 64, v0
	v_cmp_gt_u32_e64 s[4:5], s82, v3
	v_mov_b32_e32 v3, v1
	s_and_saveexec_b64 s[8:9], s[4:5]
	s_cbranch_execz .LBB1292_5
; %bb.4:
	v_lshlrev_b32_e32 v3, 2, v0
	v_mov_b32_e32 v5, s55
	v_add_co_u32_e32 v4, vcc, s54, v3
	v_addc_co_u32_e32 v5, vcc, 0, v5, vcc
	flat_load_dword v3, v[4:5] offset:256
.LBB1292_5:
	s_or_b64 exec, exec, s[8:9]
	v_or_b32_e32 v4, 0x80, v0
	v_cmp_gt_u32_e64 s[52:53], s82, v4
	v_mov_b32_e32 v4, v1
	s_and_saveexec_b64 s[8:9], s[52:53]
	s_cbranch_execz .LBB1292_7
; %bb.6:
	v_lshlrev_b32_e32 v4, 2, v0
	v_mov_b32_e32 v5, s55
	v_add_co_u32_e32 v4, vcc, s54, v4
	v_addc_co_u32_e32 v5, vcc, 0, v5, vcc
	flat_load_dword v4, v[4:5] offset:512
.LBB1292_7:
	;; [unrolled: 13-line block ×15, first 2 shown]
	s_or_b64 exec, exec, s[36:37]
	v_or_b32_e32 v19, 0x400, v0
	v_cmp_gt_u32_e64 s[36:37], s82, v19
	v_mov_b32_e32 v18, v1
	s_and_saveexec_b64 s[38:39], s[36:37]
	s_cbranch_execz .LBB1292_35
; %bb.34:
	v_lshlrev_b32_e32 v18, 2, v19
	v_mov_b32_e32 v19, s55
	v_add_co_u32_e32 v18, vcc, s54, v18
	v_addc_co_u32_e32 v19, vcc, 0, v19, vcc
	flat_load_dword v18, v[18:19]
.LBB1292_35:
	s_or_b64 exec, exec, s[38:39]
	v_or_b32_e32 v20, 0x440, v0
	v_cmp_gt_u32_e64 s[38:39], s82, v20
	v_mov_b32_e32 v19, v1
	s_and_saveexec_b64 s[40:41], s[38:39]
	s_cbranch_execz .LBB1292_37
; %bb.36:
	v_lshlrev_b32_e32 v19, 2, v20
	v_mov_b32_e32 v21, s55
	v_add_co_u32_e32 v20, vcc, s54, v19
	v_addc_co_u32_e32 v21, vcc, 0, v21, vcc
	flat_load_dword v19, v[20:21]
.LBB1292_37:
	;; [unrolled: 13-line block ×7, first 2 shown]
	s_or_b64 exec, exec, s[50:51]
	v_or_b32_e32 v25, 0x5c0, v0
	v_cmp_gt_u32_e64 s[50:51], s82, v25
	s_and_saveexec_b64 s[60:61], s[50:51]
	s_cbranch_execz .LBB1292_49
; %bb.48:
	v_lshlrev_b32_e32 v1, 2, v25
	v_mov_b32_e32 v25, s55
	v_add_co_u32_e32 v26, vcc, s54, v1
	v_addc_co_u32_e32 v27, vcc, 0, v25, vcc
	flat_load_dword v1, v[26:27]
.LBB1292_49:
	s_or_b64 exec, exec, s[60:61]
	v_lshlrev_b32_e32 v25, 2, v0
	s_movk_i32 s60, 0x5c
	s_waitcnt vmcnt(0) lgkmcnt(0)
	ds_write2st64_b32 v25, v2, v3 offset1:1
	ds_write2st64_b32 v25, v4, v5 offset0:2 offset1:3
	ds_write2st64_b32 v25, v6, v7 offset0:4 offset1:5
	;; [unrolled: 1-line block ×11, first 2 shown]
	v_mad_u32_u24 v1, v0, s60, v25
	s_waitcnt lgkmcnt(0)
	; wave barrier
	s_waitcnt lgkmcnt(0)
	ds_read_b128 v[42:45], v1
	ds_read_b128 v[38:41], v1 offset:16
	ds_read_b128 v[34:37], v1 offset:32
	;; [unrolled: 1-line block ×5, first 2 shown]
	s_cmp_eq_u64 s[76:77], 0
	s_mov_b64 s[60:61], s[54:55]
	s_cbranch_scc1 .LBB1292_53
; %bb.50:
	s_andn2_b64 vcc, exec, s[64:65]
	s_cbranch_vccnz .LBB1292_303
; %bb.51:
	s_lshl_b64 s[60:61], s[76:77], 2
	s_add_u32 s60, s66, s60
	s_addc_u32 s61, s67, s61
	s_add_u32 s60, s60, -4
	s_addc_u32 s61, s61, -1
	s_cbranch_execnz .LBB1292_53
.LBB1292_52:
	s_add_u32 s60, s54, -4
	s_addc_u32 s61, s55, -1
.LBB1292_53:
	v_pk_mov_b32 v[2:3], s[60:61], s[60:61] op_sel:[0,1]
	flat_load_dword v46, v[2:3]
	s_movk_i32 s60, 0xffa4
	v_mad_i32_i24 v1, v0, s60, v1
	v_cmp_ne_u32_e32 vcc, 0, v0
	s_waitcnt lgkmcnt(0)
	ds_write_b32 v1, v25 offset:6144
	s_waitcnt lgkmcnt(0)
	; wave barrier
	s_waitcnt lgkmcnt(0)
	s_and_saveexec_b64 s[60:61], vcc
	s_cbranch_execz .LBB1292_55
; %bb.54:
	s_waitcnt vmcnt(0)
	ds_read_b32 v46, v1 offset:6140
.LBB1292_55:
	s_or_b64 exec, exec, s[60:61]
	s_waitcnt lgkmcnt(0)
	; wave barrier
	s_waitcnt lgkmcnt(0)
                                        ; implicit-def: $vgpr2
	s_and_saveexec_b64 s[60:61], s[2:3]
	s_cbranch_execnz .LBB1292_280
; %bb.56:
	s_or_b64 exec, exec, s[60:61]
                                        ; implicit-def: $vgpr3
	s_and_saveexec_b64 s[2:3], s[4:5]
	s_cbranch_execnz .LBB1292_281
.LBB1292_57:
	s_or_b64 exec, exec, s[2:3]
                                        ; implicit-def: $vgpr4
	s_and_saveexec_b64 s[2:3], s[52:53]
	s_cbranch_execnz .LBB1292_282
.LBB1292_58:
	s_or_b64 exec, exec, s[2:3]
                                        ; implicit-def: $vgpr5
	s_and_saveexec_b64 s[2:3], s[8:9]
	s_cbranch_execnz .LBB1292_283
.LBB1292_59:
	s_or_b64 exec, exec, s[2:3]
                                        ; implicit-def: $vgpr6
	s_and_saveexec_b64 s[2:3], s[10:11]
	s_cbranch_execnz .LBB1292_284
.LBB1292_60:
	s_or_b64 exec, exec, s[2:3]
                                        ; implicit-def: $vgpr7
	s_and_saveexec_b64 s[2:3], s[12:13]
	s_cbranch_execnz .LBB1292_285
.LBB1292_61:
	s_or_b64 exec, exec, s[2:3]
                                        ; implicit-def: $vgpr8
	s_and_saveexec_b64 s[2:3], s[14:15]
	s_cbranch_execnz .LBB1292_286
.LBB1292_62:
	s_or_b64 exec, exec, s[2:3]
                                        ; implicit-def: $vgpr9
	s_and_saveexec_b64 s[2:3], s[16:17]
	s_cbranch_execnz .LBB1292_287
.LBB1292_63:
	s_or_b64 exec, exec, s[2:3]
                                        ; implicit-def: $vgpr10
	s_and_saveexec_b64 s[2:3], s[18:19]
	s_cbranch_execnz .LBB1292_288
.LBB1292_64:
	s_or_b64 exec, exec, s[2:3]
                                        ; implicit-def: $vgpr11
	s_and_saveexec_b64 s[2:3], s[20:21]
	s_cbranch_execnz .LBB1292_289
.LBB1292_65:
	s_or_b64 exec, exec, s[2:3]
                                        ; implicit-def: $vgpr12
	s_and_saveexec_b64 s[2:3], s[22:23]
	s_cbranch_execnz .LBB1292_290
.LBB1292_66:
	s_or_b64 exec, exec, s[2:3]
                                        ; implicit-def: $vgpr13
	s_and_saveexec_b64 s[2:3], s[24:25]
	s_cbranch_execnz .LBB1292_291
.LBB1292_67:
	s_or_b64 exec, exec, s[2:3]
                                        ; implicit-def: $vgpr14
	s_and_saveexec_b64 s[2:3], s[26:27]
	s_cbranch_execnz .LBB1292_292
.LBB1292_68:
	s_or_b64 exec, exec, s[2:3]
                                        ; implicit-def: $vgpr15
	s_and_saveexec_b64 s[2:3], s[28:29]
	s_cbranch_execnz .LBB1292_293
.LBB1292_69:
	s_or_b64 exec, exec, s[2:3]
                                        ; implicit-def: $vgpr16
	s_and_saveexec_b64 s[2:3], s[30:31]
	s_cbranch_execnz .LBB1292_294
.LBB1292_70:
	s_or_b64 exec, exec, s[2:3]
                                        ; implicit-def: $vgpr17
	s_and_saveexec_b64 s[2:3], s[34:35]
	s_cbranch_execnz .LBB1292_295
.LBB1292_71:
	s_or_b64 exec, exec, s[2:3]
                                        ; implicit-def: $vgpr18
	s_and_saveexec_b64 s[2:3], s[36:37]
	s_cbranch_execnz .LBB1292_296
.LBB1292_72:
	s_or_b64 exec, exec, s[2:3]
                                        ; implicit-def: $vgpr19
	s_and_saveexec_b64 s[2:3], s[38:39]
	s_cbranch_execnz .LBB1292_297
.LBB1292_73:
	s_or_b64 exec, exec, s[2:3]
                                        ; implicit-def: $vgpr20
	s_and_saveexec_b64 s[2:3], s[40:41]
	s_cbranch_execnz .LBB1292_298
.LBB1292_74:
	s_or_b64 exec, exec, s[2:3]
                                        ; implicit-def: $vgpr21
	s_and_saveexec_b64 s[2:3], s[42:43]
	s_cbranch_execnz .LBB1292_299
.LBB1292_75:
	s_or_b64 exec, exec, s[2:3]
                                        ; implicit-def: $vgpr48
	s_and_saveexec_b64 s[2:3], s[44:45]
	s_cbranch_execnz .LBB1292_300
.LBB1292_76:
	s_or_b64 exec, exec, s[2:3]
                                        ; implicit-def: $vgpr49
	s_and_saveexec_b64 s[2:3], s[46:47]
	s_cbranch_execnz .LBB1292_301
.LBB1292_77:
	s_or_b64 exec, exec, s[2:3]
                                        ; implicit-def: $vgpr50
	s_and_saveexec_b64 s[2:3], s[48:49]
	s_cbranch_execnz .LBB1292_302
.LBB1292_78:
	s_or_b64 exec, exec, s[2:3]
                                        ; implicit-def: $vgpr51
	s_and_saveexec_b64 s[2:3], s[50:51]
	s_cbranch_execz .LBB1292_80
.LBB1292_79:
	v_lshlrev_b32_e32 v47, 1, v0
	v_mov_b32_e32 v51, s71
	v_add_co_u32_e32 v52, vcc, s7, v47
	v_addc_co_u32_e32 v53, vcc, 0, v51, vcc
	flat_load_ushort v51, v[52:53] offset:2944
.LBB1292_80:
	s_or_b64 exec, exec, s[2:3]
	v_lshlrev_b32_e32 v47, 1, v0
	s_mov_b32 s8, 0
	v_sub_u32_e32 v47, v1, v47
	s_mov_b32 s9, s8
	s_mov_b32 s24, s8
	;; [unrolled: 1-line block ×3, first 2 shown]
	v_mul_u32_u24_e32 v53, 24, v0
	s_waitcnt vmcnt(0) lgkmcnt(0)
	ds_write_b16 v47, v2
	ds_write_b16 v47, v3 offset:128
	ds_write_b16 v47, v4 offset:256
	;; [unrolled: 1-line block ×23, first 2 shown]
	s_mov_b32 s10, s8
	s_mov_b32 s11, s8
	;; [unrolled: 1-line block ×18, first 2 shown]
	v_pk_mov_b32 v[18:19], s[24:25], s[24:25] op_sel:[0,1]
	v_pk_mov_b32 v[2:3], s[8:9], s[8:9] op_sel:[0,1]
	v_cmp_gt_u32_e32 vcc, s82, v53
	s_mov_b64 s[4:5], 0
	v_pk_mov_b32 v[50:51], s[2:3], s[2:3] op_sel:[0,1]
	v_pk_mov_b32 v[20:21], s[26:27], s[26:27] op_sel:[0,1]
	;; [unrolled: 1-line block ×9, first 2 shown]
	v_mov_b32_e32 v1, 0
	s_mov_b64 s[12:13], 0
	s_waitcnt lgkmcnt(0)
	; wave barrier
	s_waitcnt lgkmcnt(0)
                                        ; implicit-def: $sgpr2_sgpr3
                                        ; implicit-def: $vgpr52
	s_and_saveexec_b64 s[10:11], vcc
	s_cbranch_execz .LBB1292_126
; %bb.81:
	v_mad_u32_u24 v1, v0, 46, v47
	ds_read_u16 v1, v1
	v_cmp_ne_u32_e32 vcc, v46, v42
	s_mov_b32 s12, 0
	v_or_b32_e32 v2, 1, v53
	v_cndmask_b32_e64 v3, 0, 1, vcc
	s_mov_b32 s13, s12
	s_mov_b32 s28, s12
	;; [unrolled: 1-line block ×3, first 2 shown]
	v_cmp_gt_u32_e32 vcc, s82, v2
	s_waitcnt lgkmcnt(0)
	v_lshl_or_b32 v1, v3, 16, v1
	s_mov_b32 s14, s12
	s_mov_b32 s15, s12
	;; [unrolled: 1-line block ×18, first 2 shown]
	v_pk_mov_b32 v[18:19], s[28:29], s[28:29] op_sel:[0,1]
	v_pk_mov_b32 v[2:3], s[12:13], s[12:13] op_sel:[0,1]
	s_mov_b64 s[36:37], 0
	v_pk_mov_b32 v[50:51], s[2:3], s[2:3] op_sel:[0,1]
	v_pk_mov_b32 v[20:21], s[30:31], s[30:31] op_sel:[0,1]
	;; [unrolled: 1-line block ×9, first 2 shown]
                                        ; implicit-def: $sgpr38_sgpr39
                                        ; implicit-def: $vgpr52
	s_and_saveexec_b64 s[34:35], vcc
	s_cbranch_execz .LBB1292_125
; %bb.82:
	v_mul_u32_u24_e32 v2, 46, v0
	v_add_u32_e32 v54, v47, v2
	ds_read_b128 v[46:49], v54 offset:2
	v_or_b32_e32 v2, 2, v53
	v_cmp_ne_u32_e32 vcc, v42, v43
	v_cndmask_b32_e64 v3, 0, 1, vcc
	v_cmp_gt_u32_e32 vcc, s82, v2
	s_waitcnt lgkmcnt(0)
	v_and_b32_e32 v2, 0xffff, v46
	v_lshl_or_b32 v50, v3, 16, v2
	v_pk_mov_b32 v[18:19], s[28:29], s[28:29] op_sel:[0,1]
	v_pk_mov_b32 v[2:3], s[12:13], s[12:13] op_sel:[0,1]
	v_mov_b32_e32 v51, 0
	s_mov_b64 s[2:3], 0
	v_pk_mov_b32 v[20:21], s[30:31], s[30:31] op_sel:[0,1]
	v_pk_mov_b32 v[4:5], s[14:15], s[14:15] op_sel:[0,1]
	;; [unrolled: 1-line block ×8, first 2 shown]
                                        ; implicit-def: $sgpr12_sgpr13
                                        ; implicit-def: $vgpr52
	s_and_saveexec_b64 s[28:29], vcc
	s_cbranch_execz .LBB1292_124
; %bb.83:
	v_cmp_ne_u32_e32 vcc, v43, v44
	s_mov_b32 s12, 0
	v_or_b32_e32 v2, 3, v53
	v_cndmask_b32_e64 v3, 0, 1, vcc
	s_mov_b32 s13, s12
	s_mov_b32 s36, s12
	;; [unrolled: 1-line block ×3, first 2 shown]
	v_alignbit_b32 v51, v3, v46, 16
	v_cmp_gt_u32_e32 vcc, s82, v2
	s_mov_b32 s14, s12
	s_mov_b32 s15, s12
	;; [unrolled: 1-line block ×16, first 2 shown]
	v_pk_mov_b32 v[18:19], s[36:37], s[36:37] op_sel:[0,1]
	v_pk_mov_b32 v[2:3], s[12:13], s[12:13] op_sel:[0,1]
	;; [unrolled: 1-line block ×10, first 2 shown]
                                        ; implicit-def: $sgpr36_sgpr37
                                        ; implicit-def: $vgpr52
	s_and_saveexec_b64 s[30:31], vcc
	s_cbranch_execz .LBB1292_123
; %bb.84:
	v_cmp_ne_u32_e32 vcc, v44, v45
	v_and_b32_e32 v2, 0xffff, v47
	v_or_b32_e32 v3, 4, v53
	v_cndmask_b32_e64 v4, 0, 1, vcc
	v_lshl_or_b32 v18, v4, 16, v2
	v_cmp_gt_u32_e32 vcc, s82, v3
	v_mov_b32_e32 v20, 0
	v_pk_mov_b32 v[2:3], s[12:13], s[12:13] op_sel:[0,1]
	v_mov_b32_e32 v19, v20
	v_mov_b32_e32 v21, v20
	v_pk_mov_b32 v[4:5], s[14:15], s[14:15] op_sel:[0,1]
	v_pk_mov_b32 v[6:7], s[16:17], s[16:17] op_sel:[0,1]
	v_pk_mov_b32 v[8:9], s[18:19], s[18:19] op_sel:[0,1]
	v_pk_mov_b32 v[10:11], s[20:21], s[20:21] op_sel:[0,1]
	v_pk_mov_b32 v[12:13], s[22:23], s[22:23] op_sel:[0,1]
	v_pk_mov_b32 v[14:15], s[24:25], s[24:25] op_sel:[0,1]
	v_pk_mov_b32 v[16:17], s[26:27], s[26:27] op_sel:[0,1]
                                        ; implicit-def: $sgpr12_sgpr13
                                        ; implicit-def: $vgpr52
	s_and_saveexec_b64 s[36:37], vcc
	s_cbranch_execz .LBB1292_122
; %bb.85:
	v_cmp_ne_u32_e32 vcc, v45, v38
	s_mov_b32 s12, 0
	v_or_b32_e32 v2, 5, v53
	v_cndmask_b32_e64 v3, 0, 1, vcc
	s_mov_b32 s13, s12
	v_alignbit_b32 v19, v3, v47, 16
	v_cmp_gt_u32_e32 vcc, s82, v2
	s_mov_b32 s14, s12
	s_mov_b32 s15, s12
	;; [unrolled: 1-line block ×14, first 2 shown]
	v_pk_mov_b32 v[2:3], s[12:13], s[12:13] op_sel:[0,1]
	v_mov_b32_e32 v21, v20
	v_pk_mov_b32 v[4:5], s[14:15], s[14:15] op_sel:[0,1]
	v_pk_mov_b32 v[6:7], s[16:17], s[16:17] op_sel:[0,1]
	;; [unrolled: 1-line block ×7, first 2 shown]
                                        ; implicit-def: $sgpr40_sgpr41
                                        ; implicit-def: $vgpr52
	s_and_saveexec_b64 s[38:39], vcc
	s_cbranch_execz .LBB1292_121
; %bb.86:
	v_cmp_ne_u32_e32 vcc, v38, v39
	v_and_b32_e32 v2, 0xffff, v48
	v_or_b32_e32 v3, 6, v53
	v_cndmask_b32_e64 v4, 0, 1, vcc
	v_lshl_or_b32 v20, v4, 16, v2
	v_cmp_gt_u32_e32 vcc, s82, v3
	v_pk_mov_b32 v[2:3], s[12:13], s[12:13] op_sel:[0,1]
	v_mov_b32_e32 v21, s12
	v_pk_mov_b32 v[4:5], s[14:15], s[14:15] op_sel:[0,1]
	v_pk_mov_b32 v[6:7], s[16:17], s[16:17] op_sel:[0,1]
	;; [unrolled: 1-line block ×7, first 2 shown]
                                        ; implicit-def: $sgpr12_sgpr13
                                        ; implicit-def: $vgpr52
	s_and_saveexec_b64 s[40:41], vcc
	s_cbranch_execz .LBB1292_120
; %bb.87:
	v_cmp_ne_u32_e32 vcc, v39, v40
	s_mov_b32 s12, 0
	v_or_b32_e32 v2, 7, v53
	v_cndmask_b32_e64 v3, 0, 1, vcc
	s_mov_b32 s13, s12
	v_alignbit_b32 v21, v3, v48, 16
	v_cmp_gt_u32_e32 vcc, s82, v2
	s_mov_b32 s14, s12
	s_mov_b32 s15, s12
	;; [unrolled: 1-line block ×14, first 2 shown]
	v_pk_mov_b32 v[2:3], s[12:13], s[12:13] op_sel:[0,1]
	v_pk_mov_b32 v[4:5], s[14:15], s[14:15] op_sel:[0,1]
	;; [unrolled: 1-line block ×8, first 2 shown]
                                        ; implicit-def: $sgpr14_sgpr15
                                        ; implicit-def: $vgpr52
	s_and_saveexec_b64 s[12:13], vcc
	s_cbranch_execz .LBB1292_119
; %bb.88:
	v_cmp_ne_u32_e32 vcc, v40, v41
	v_and_b32_e32 v2, 0xffff, v49
	v_cndmask_b32_e64 v4, 0, 1, vcc
	v_add_u32_e32 v3, 8, v53
	v_lshl_or_b32 v2, v4, 16, v2
	v_mov_b32_e32 v4, 0
	v_cmp_gt_u32_e32 vcc, s82, v3
	v_mov_b32_e32 v3, v4
	v_mov_b32_e32 v5, v4
	;; [unrolled: 1-line block ×14, first 2 shown]
                                        ; implicit-def: $sgpr16_sgpr17
                                        ; implicit-def: $vgpr52
	s_and_saveexec_b64 s[14:15], vcc
	s_cbranch_execz .LBB1292_118
; %bb.89:
	v_cmp_ne_u32_e32 vcc, v41, v34
	v_add_u32_e32 v5, 9, v53
	v_cndmask_b32_e64 v3, 0, 1, vcc
	v_alignbit_b32 v3, v3, v49, 16
	v_cmp_gt_u32_e32 vcc, s82, v5
	v_mov_b32_e32 v5, v4
	v_mov_b32_e32 v6, v4
	;; [unrolled: 1-line block ×13, first 2 shown]
                                        ; implicit-def: $sgpr18_sgpr19
                                        ; implicit-def: $vgpr52
	s_and_saveexec_b64 s[16:17], vcc
	s_cbranch_execz .LBB1292_117
; %bb.90:
	ds_read_b128 v[38:41], v54 offset:18
	v_add_u32_e32 v4, 10, v53
	v_cmp_ne_u32_e32 vcc, v34, v35
	v_cndmask_b32_e64 v5, 0, 1, vcc
	v_cmp_gt_u32_e32 vcc, s82, v4
	s_waitcnt lgkmcnt(0)
	v_and_b32_e32 v4, 0xffff, v38
	v_mov_b32_e32 v6, 0
	v_lshl_or_b32 v4, v5, 16, v4
	v_mov_b32_e32 v5, v6
	v_mov_b32_e32 v7, v6
	;; [unrolled: 1-line block ×12, first 2 shown]
                                        ; implicit-def: $sgpr20_sgpr21
                                        ; implicit-def: $vgpr52
	s_and_saveexec_b64 s[18:19], vcc
	s_cbranch_execz .LBB1292_116
; %bb.91:
	v_cmp_ne_u32_e32 vcc, v35, v36
	v_add_u32_e32 v7, 11, v53
	v_cndmask_b32_e64 v5, 0, 1, vcc
	v_alignbit_b32 v5, v5, v38, 16
	v_cmp_gt_u32_e32 vcc, s82, v7
	v_mov_b32_e32 v7, v6
	v_mov_b32_e32 v8, v6
	;; [unrolled: 1-line block ×11, first 2 shown]
                                        ; implicit-def: $sgpr22_sgpr23
                                        ; implicit-def: $vgpr52
	s_and_saveexec_b64 s[20:21], vcc
	s_cbranch_execz .LBB1292_115
; %bb.92:
	v_cmp_ne_u32_e32 vcc, v36, v37
	v_and_b32_e32 v6, 0xffff, v39
	v_cndmask_b32_e64 v8, 0, 1, vcc
	v_add_u32_e32 v7, 12, v53
	v_lshl_or_b32 v6, v8, 16, v6
	v_mov_b32_e32 v8, 0
	v_cmp_gt_u32_e32 vcc, s82, v7
	v_mov_b32_e32 v7, v8
	v_mov_b32_e32 v9, v8
	v_mov_b32_e32 v10, v8
	v_mov_b32_e32 v11, v8
	v_mov_b32_e32 v12, v8
	v_mov_b32_e32 v13, v8
	v_mov_b32_e32 v14, v8
	v_mov_b32_e32 v15, v8
	v_mov_b32_e32 v16, v8
	v_mov_b32_e32 v17, v8
                                        ; implicit-def: $sgpr24_sgpr25
                                        ; implicit-def: $vgpr52
	s_and_saveexec_b64 s[22:23], vcc
	s_cbranch_execz .LBB1292_114
; %bb.93:
	v_cmp_ne_u32_e32 vcc, v37, v30
	v_add_u32_e32 v9, 13, v53
	v_cndmask_b32_e64 v7, 0, 1, vcc
	v_alignbit_b32 v7, v7, v39, 16
	v_cmp_gt_u32_e32 vcc, s82, v9
	v_mov_b32_e32 v9, v8
	v_mov_b32_e32 v10, v8
	;; [unrolled: 1-line block ×9, first 2 shown]
                                        ; implicit-def: $sgpr26_sgpr27
                                        ; implicit-def: $vgpr52
	s_and_saveexec_b64 s[24:25], vcc
	s_cbranch_execz .LBB1292_113
; %bb.94:
	v_cmp_ne_u32_e32 vcc, v30, v31
	v_and_b32_e32 v8, 0xffff, v40
	v_cndmask_b32_e64 v10, 0, 1, vcc
	v_add_u32_e32 v9, 14, v53
	v_lshl_or_b32 v8, v10, 16, v8
	v_mov_b32_e32 v10, 0
	v_cmp_gt_u32_e32 vcc, s82, v9
	v_mov_b32_e32 v9, v10
	v_mov_b32_e32 v11, v10
	;; [unrolled: 1-line block ×8, first 2 shown]
                                        ; implicit-def: $sgpr42_sgpr43
                                        ; implicit-def: $vgpr52
	s_and_saveexec_b64 s[26:27], vcc
	s_cbranch_execz .LBB1292_112
; %bb.95:
	v_cmp_ne_u32_e32 vcc, v31, v32
	v_add_u32_e32 v11, 15, v53
	v_cndmask_b32_e64 v9, 0, 1, vcc
	v_alignbit_b32 v9, v9, v40, 16
	v_cmp_gt_u32_e32 vcc, s82, v11
	v_mov_b32_e32 v11, v10
	v_mov_b32_e32 v12, v10
	;; [unrolled: 1-line block ×7, first 2 shown]
                                        ; implicit-def: $sgpr44_sgpr45
                                        ; implicit-def: $vgpr52
	s_and_saveexec_b64 s[42:43], vcc
	s_cbranch_execz .LBB1292_111
; %bb.96:
	v_cmp_ne_u32_e32 vcc, v32, v33
	v_and_b32_e32 v10, 0xffff, v41
	v_cndmask_b32_e64 v12, 0, 1, vcc
	v_add_u32_e32 v11, 16, v53
	v_lshl_or_b32 v10, v12, 16, v10
	v_mov_b32_e32 v12, 0
	v_cmp_gt_u32_e32 vcc, s82, v11
	v_mov_b32_e32 v11, v12
	v_mov_b32_e32 v13, v12
	;; [unrolled: 1-line block ×6, first 2 shown]
                                        ; implicit-def: $sgpr46_sgpr47
                                        ; implicit-def: $vgpr52
	s_and_saveexec_b64 s[44:45], vcc
	s_cbranch_execz .LBB1292_110
; %bb.97:
	v_cmp_ne_u32_e32 vcc, v33, v26
	v_add_u32_e32 v13, 17, v53
	v_cndmask_b32_e64 v11, 0, 1, vcc
	v_alignbit_b32 v11, v11, v41, 16
	v_cmp_gt_u32_e32 vcc, s82, v13
	v_mov_b32_e32 v13, v12
	v_mov_b32_e32 v14, v12
	;; [unrolled: 1-line block ×5, first 2 shown]
                                        ; implicit-def: $sgpr48_sgpr49
                                        ; implicit-def: $vgpr52
	s_and_saveexec_b64 s[46:47], vcc
	s_cbranch_execz .LBB1292_109
; %bb.98:
	ds_read_b96 v[30:32], v54 offset:34
	v_add_u32_e32 v12, 18, v53
	v_cmp_ne_u32_e32 vcc, v26, v27
	v_cndmask_b32_e64 v13, 0, 1, vcc
	v_cmp_gt_u32_e32 vcc, s82, v12
	s_waitcnt lgkmcnt(0)
	v_and_b32_e32 v12, 0xffff, v30
	v_mov_b32_e32 v14, 0
	v_lshl_or_b32 v12, v13, 16, v12
	v_mov_b32_e32 v13, v14
	v_mov_b32_e32 v15, v14
	v_mov_b32_e32 v16, v14
	v_mov_b32_e32 v17, v14
                                        ; implicit-def: $sgpr50_sgpr51
                                        ; implicit-def: $vgpr52
	s_and_saveexec_b64 s[48:49], vcc
	s_cbranch_execz .LBB1292_108
; %bb.99:
	v_cmp_ne_u32_e32 vcc, v27, v28
	v_add_u32_e32 v15, 19, v53
	v_cndmask_b32_e64 v13, 0, 1, vcc
	v_alignbit_b32 v13, v13, v30, 16
	v_cmp_gt_u32_e32 vcc, s82, v15
	v_mov_b32_e32 v15, v14
	v_mov_b32_e32 v16, v14
	;; [unrolled: 1-line block ×3, first 2 shown]
                                        ; implicit-def: $sgpr52_sgpr53
                                        ; implicit-def: $vgpr52
	s_and_saveexec_b64 s[50:51], vcc
	s_cbranch_execz .LBB1292_107
; %bb.100:
	v_cmp_ne_u32_e32 vcc, v28, v29
	v_and_b32_e32 v14, 0xffff, v31
	v_cndmask_b32_e64 v16, 0, 1, vcc
	v_add_u32_e32 v15, 20, v53
	v_lshl_or_b32 v14, v16, 16, v14
	v_mov_b32_e32 v16, 0
	v_cmp_gt_u32_e32 vcc, s82, v15
	v_mov_b32_e32 v15, v16
	v_mov_b32_e32 v17, v16
                                        ; implicit-def: $sgpr60_sgpr61
                                        ; implicit-def: $vgpr52
	s_and_saveexec_b64 s[52:53], vcc
	s_cbranch_execz .LBB1292_106
; %bb.101:
	v_cmp_ne_u32_e32 vcc, v29, v22
	v_add_u32_e32 v17, 21, v53
	v_cndmask_b32_e64 v15, 0, 1, vcc
	v_alignbit_b32 v15, v15, v31, 16
	v_cmp_gt_u32_e32 vcc, s82, v17
	s_mov_b32 s9, 0
	v_mov_b32_e32 v17, v16
                                        ; implicit-def: $sgpr78_sgpr79
                                        ; implicit-def: $vgpr52
	s_and_saveexec_b64 s[60:61], vcc
	s_cbranch_execz .LBB1292_105
; %bb.102:
	v_cmp_ne_u32_e32 vcc, v22, v23
	v_and_b32_e32 v16, 0xffff, v32
	v_add_u32_e32 v17, 22, v53
	v_cndmask_b32_e64 v22, 0, 1, vcc
	v_lshl_or_b32 v16, v22, 16, v16
	v_cmp_gt_u32_e32 vcc, s82, v17
	v_mov_b32_e32 v17, s9
                                        ; implicit-def: $sgpr78_sgpr79
                                        ; implicit-def: $vgpr52
	s_and_saveexec_b64 s[80:81], vcc
	s_xor_b64 s[80:81], exec, s[80:81]
	s_cbranch_execz .LBB1292_104
; %bb.103:
	ds_read_u16 v52, v54 offset:46
	v_add_u32_e32 v22, 23, v53
	v_cmp_ne_u32_e64 s[2:3], v23, v24
	v_cmp_ne_u32_e32 vcc, v24, v25
	v_cndmask_b32_e64 v17, 0, 1, s[2:3]
	v_cmp_gt_u32_e64 s[2:3], s82, v22
	v_alignbit_b32 v17, v17, v32, 16
	s_and_b64 s[78:79], vcc, exec
	s_and_b64 s[2:3], s[2:3], exec
.LBB1292_104:
	s_or_b64 exec, exec, s[80:81]
	s_and_b64 s[78:79], s[78:79], exec
	s_and_b64 s[2:3], s[2:3], exec
.LBB1292_105:
	s_or_b64 exec, exec, s[60:61]
	s_and_b64 s[60:61], s[78:79], exec
	s_and_b64 s[2:3], s[2:3], exec
.LBB1292_106:
	s_or_b64 exec, exec, s[52:53]
	s_and_b64 s[52:53], s[60:61], exec
	s_and_b64 s[2:3], s[2:3], exec
.LBB1292_107:
	s_or_b64 exec, exec, s[50:51]
	s_and_b64 s[50:51], s[52:53], exec
	s_and_b64 s[2:3], s[2:3], exec
.LBB1292_108:
	s_or_b64 exec, exec, s[48:49]
	s_and_b64 s[48:49], s[50:51], exec
	s_and_b64 s[2:3], s[2:3], exec
.LBB1292_109:
	s_or_b64 exec, exec, s[46:47]
	s_and_b64 s[46:47], s[48:49], exec
	s_and_b64 s[2:3], s[2:3], exec
.LBB1292_110:
	s_or_b64 exec, exec, s[44:45]
	s_and_b64 s[44:45], s[46:47], exec
	s_and_b64 s[2:3], s[2:3], exec
.LBB1292_111:
	s_or_b64 exec, exec, s[42:43]
	s_and_b64 s[42:43], s[44:45], exec
	s_and_b64 s[2:3], s[2:3], exec
.LBB1292_112:
	s_or_b64 exec, exec, s[26:27]
	s_and_b64 s[26:27], s[42:43], exec
	s_and_b64 s[2:3], s[2:3], exec
.LBB1292_113:
	s_or_b64 exec, exec, s[24:25]
	s_and_b64 s[24:25], s[26:27], exec
	s_and_b64 s[2:3], s[2:3], exec
.LBB1292_114:
	s_or_b64 exec, exec, s[22:23]
	s_and_b64 s[22:23], s[24:25], exec
	s_and_b64 s[2:3], s[2:3], exec
.LBB1292_115:
	s_or_b64 exec, exec, s[20:21]
	s_and_b64 s[20:21], s[22:23], exec
	s_and_b64 s[2:3], s[2:3], exec
.LBB1292_116:
	s_or_b64 exec, exec, s[18:19]
	s_and_b64 s[18:19], s[20:21], exec
	s_and_b64 s[2:3], s[2:3], exec
.LBB1292_117:
	s_or_b64 exec, exec, s[16:17]
	s_and_b64 s[16:17], s[18:19], exec
	s_and_b64 s[2:3], s[2:3], exec
.LBB1292_118:
	s_or_b64 exec, exec, s[14:15]
	s_and_b64 s[14:15], s[16:17], exec
	s_and_b64 s[2:3], s[2:3], exec
.LBB1292_119:
	s_or_b64 exec, exec, s[12:13]
	s_and_b64 s[12:13], s[14:15], exec
	s_and_b64 s[2:3], s[2:3], exec
.LBB1292_120:
	s_or_b64 exec, exec, s[40:41]
	s_and_b64 s[40:41], s[12:13], exec
	s_and_b64 s[2:3], s[2:3], exec
.LBB1292_121:
	s_or_b64 exec, exec, s[38:39]
	s_and_b64 s[12:13], s[40:41], exec
	s_and_b64 s[2:3], s[2:3], exec
.LBB1292_122:
	s_or_b64 exec, exec, s[36:37]
	s_and_b64 s[36:37], s[12:13], exec
	s_and_b64 s[2:3], s[2:3], exec
.LBB1292_123:
	s_or_b64 exec, exec, s[30:31]
	s_and_b64 s[12:13], s[36:37], exec
	s_and_b64 s[2:3], s[2:3], exec
.LBB1292_124:
	s_or_b64 exec, exec, s[28:29]
	s_and_b64 s[38:39], s[12:13], exec
	s_and_b64 s[36:37], s[2:3], exec
.LBB1292_125:
	s_or_b64 exec, exec, s[34:35]
	s_and_b64 s[2:3], s[38:39], exec
	s_and_b64 s[12:13], s[36:37], exec
.LBB1292_126:
	s_or_b64 exec, exec, s[10:11]
	s_and_b64 vcc, exec, s[4:5]
	s_cbranch_vccnz .LBB1292_128
	s_branch .LBB1292_136
.LBB1292_127:
                                        ; implicit-def: $sgpr2_sgpr3
                                        ; implicit-def: $vgpr50_vgpr51
                                        ; implicit-def: $vgpr18_vgpr19_vgpr20_vgpr21
                                        ; implicit-def: $vgpr2_vgpr3_vgpr4_vgpr5_vgpr6_vgpr7_vgpr8_vgpr9_vgpr10_vgpr11_vgpr12_vgpr13_vgpr14_vgpr15_vgpr16_vgpr17
                                        ; implicit-def: $vgpr52
                                        ; implicit-def: $vgpr1
                                        ; implicit-def: $sgpr8
	s_and_b64 vcc, exec, s[4:5]
	s_cbranch_vccz .LBB1292_136
.LBB1292_128:
	v_lshlrev_b32_e32 v4, 2, v0
	v_mov_b32_e32 v1, s55
	v_add_co_u32_e32 v2, vcc, s54, v4
	v_addc_co_u32_e32 v3, vcc, 0, v1, vcc
	s_movk_i32 s2, 0x1000
	flat_load_dword v5, v[2:3]
	flat_load_dword v6, v[2:3] offset:256
	flat_load_dword v7, v[2:3] offset:512
	;; [unrolled: 1-line block ×15, first 2 shown]
	v_add_co_u32_e32 v2, vcc, s2, v2
	v_addc_co_u32_e32 v3, vcc, 0, v3, vcc
	flat_load_dword v21, v[2:3]
	flat_load_dword v22, v[2:3] offset:256
	flat_load_dword v23, v[2:3] offset:512
	;; [unrolled: 1-line block ×7, first 2 shown]
	s_movk_i32 s2, 0x5c
	v_mad_u32_u24 v1, v0, s2, v4
	s_cmp_eq_u64 s[76:77], 0
	s_waitcnt vmcnt(0) lgkmcnt(0)
	ds_write2st64_b32 v4, v5, v6 offset1:1
	ds_write2st64_b32 v4, v7, v8 offset0:2 offset1:3
	ds_write2st64_b32 v4, v9, v10 offset0:4 offset1:5
	;; [unrolled: 1-line block ×11, first 2 shown]
	s_waitcnt lgkmcnt(0)
	; wave barrier
	s_waitcnt lgkmcnt(0)
	ds_read2_b64 v[2:5], v1 offset1:11
	ds_read2_b64 v[34:37], v1 offset0:9 offset1:10
	ds_read2_b64 v[30:33], v1 offset0:7 offset1:8
	;; [unrolled: 1-line block ×5, first 2 shown]
	s_cbranch_scc1 .LBB1292_133
; %bb.129:
	s_andn2_b64 vcc, exec, s[64:65]
	s_cbranch_vccnz .LBB1292_304
; %bb.130:
	s_lshl_b64 s[2:3], s[76:77], 2
	s_add_u32 s2, s66, s2
	s_addc_u32 s3, s67, s3
	s_add_u32 s2, s2, -4
	s_addc_u32 s3, s3, -1
	s_cbranch_execnz .LBB1292_132
.LBB1292_131:
	s_add_u32 s2, s54, -4
	s_addc_u32 s3, s55, -1
.LBB1292_132:
	s_mov_b64 s[54:55], s[2:3]
.LBB1292_133:
	v_pk_mov_b32 v[10:11], s[54:55], s[54:55] op_sel:[0,1]
	flat_load_dword v10, v[10:11]
	s_movk_i32 s2, 0xffa4
	v_mad_i32_i24 v1, v0, s2, v1
	v_cmp_ne_u32_e32 vcc, 0, v0
	s_waitcnt lgkmcnt(0)
	ds_write_b32 v1, v5 offset:6144
	s_waitcnt lgkmcnt(0)
	; wave barrier
	s_waitcnt lgkmcnt(0)
	s_and_saveexec_b64 s[2:3], vcc
	s_cbranch_execz .LBB1292_135
; %bb.134:
	s_waitcnt vmcnt(0)
	ds_read_b32 v10, v1 offset:6140
.LBB1292_135:
	s_or_b64 exec, exec, s[2:3]
	v_lshlrev_b32_e32 v11, 1, v0
	v_mov_b32_e32 v13, s71
	v_add_co_u32_e32 v12, vcc, s7, v11
	v_addc_co_u32_e32 v13, vcc, 0, v13, vcc
	s_waitcnt lgkmcnt(0)
	; wave barrier
	s_waitcnt lgkmcnt(0)
	flat_load_ushort v14, v[12:13]
	flat_load_ushort v15, v[12:13] offset:128
	flat_load_ushort v16, v[12:13] offset:256
	;; [unrolled: 1-line block ×23, first 2 shown]
	s_waitcnt vmcnt(0)
	v_cmp_ne_u32_e32 vcc, v10, v2
	v_cmp_ne_u32_e64 s[2:3], v4, v5
	v_cndmask_b32_e64 v5, 0, 1, vcc
	v_cmp_ne_u32_e32 vcc, v3, v6
	v_cndmask_b32_e64 v13, 0, 1, vcc
	v_cmp_ne_u32_e32 vcc, v2, v3
	;; [unrolled: 2-line block ×4, first 2 shown]
	v_sub_u32_e32 v1, v1, v11
	v_cndmask_b32_e64 v54, 0, 1, vcc
	v_cmp_ne_u32_e32 vcc, v8, v9
	v_mad_u32_u24 v57, v0, 46, v1
	v_cndmask_b32_e64 v55, 0, 1, vcc
	v_cmp_ne_u32_e32 vcc, v6, v7
	v_cndmask_b32_e64 v56, 0, 1, vcc
	v_cmp_ne_u32_e32 vcc, v37, v4
	s_mov_b64 s[12:13], -1
                                        ; implicit-def: $sgpr8
	s_waitcnt lgkmcnt(0)
	ds_write_b16 v1, v14
	ds_write_b16 v1, v15 offset:128
	ds_write_b16 v1, v16 offset:256
	;; [unrolled: 1-line block ×23, first 2 shown]
	s_waitcnt lgkmcnt(0)
	; wave barrier
	s_waitcnt lgkmcnt(0)
	ds_read_u16 v1, v57
	ds_read_b96 v[10:12], v57 offset:2
	ds_read_b128 v[38:41], v57 offset:14
	ds_read_b128 v[6:9], v57 offset:30
	ds_read_u16 v52, v57 offset:46
	s_waitcnt lgkmcnt(4)
	v_lshl_or_b32 v1, v5, 16, v1
	s_waitcnt lgkmcnt(3)
	v_alignbit_b32 v21, v3, v12, 16
	v_cndmask_b32_e64 v3, 0, 1, vcc
	v_cmp_ne_u32_e32 vcc, v35, v36
	s_waitcnt lgkmcnt(1)
	v_alignbit_b32 v17, v3, v9, 16
	v_cndmask_b32_e64 v3, 0, 1, vcc
	v_cmp_ne_u32_e32 vcc, v33, v34
	v_alignbit_b32 v51, v13, v10, 16
	v_and_b32_e32 v13, 0xffff, v12
	v_alignbit_b32 v15, v3, v8, 16
	v_cndmask_b32_e64 v3, 0, 1, vcc
	v_cmp_ne_u32_e32 vcc, v31, v32
	v_lshl_or_b32 v20, v55, 16, v13
	v_alignbit_b32 v13, v3, v7, 16
	v_cndmask_b32_e64 v3, 0, 1, vcc
	v_cmp_ne_u32_e32 vcc, v29, v30
	v_and_b32_e32 v5, 0xffff, v10
	v_and_b32_e32 v10, 0xffff, v11
	v_alignbit_b32 v19, v54, v11, 16
	v_alignbit_b32 v11, v3, v6, 16
	v_cndmask_b32_e64 v3, 0, 1, vcc
	v_cmp_ne_u32_e32 vcc, v27, v28
	v_and_b32_e32 v16, 0xffff, v9
	v_alignbit_b32 v9, v3, v41, 16
	v_cndmask_b32_e64 v3, 0, 1, vcc
	v_cmp_ne_u32_e32 vcc, v25, v26
	v_and_b32_e32 v12, 0xffff, v7
	v_alignbit_b32 v7, v3, v40, 16
	v_cndmask_b32_e64 v3, 0, 1, vcc
	v_cmp_ne_u32_e32 vcc, v23, v24
	v_lshl_or_b32 v50, v2, 16, v5
	v_alignbit_b32 v5, v3, v39, 16
	v_cndmask_b32_e64 v3, 0, 1, vcc
	v_cmp_ne_u32_e32 vcc, v36, v37
	v_cndmask_b32_e64 v4, 0, 1, vcc
	v_cmp_ne_u32_e32 vcc, v34, v35
	v_and_b32_e32 v14, 0xffff, v8
	v_lshl_or_b32 v16, v4, 16, v16
	v_cndmask_b32_e64 v4, 0, 1, vcc
	v_cmp_ne_u32_e32 vcc, v32, v33
	v_lshl_or_b32 v14, v4, 16, v14
	v_cndmask_b32_e64 v4, 0, 1, vcc
	v_cmp_ne_u32_e32 vcc, v30, v31
	v_lshl_or_b32 v18, v56, 16, v10
	v_and_b32_e32 v10, 0xffff, v6
	v_lshl_or_b32 v12, v4, 16, v12
	v_cndmask_b32_e64 v4, 0, 1, vcc
	v_cmp_ne_u32_e32 vcc, v28, v29
	v_and_b32_e32 v44, 0xffff, v41
	v_lshl_or_b32 v10, v4, 16, v10
	v_cndmask_b32_e64 v4, 0, 1, vcc
	v_cmp_ne_u32_e32 vcc, v26, v27
	v_and_b32_e32 v43, 0xffff, v40
	v_lshl_or_b32 v8, v4, 16, v44
	v_cndmask_b32_e64 v4, 0, 1, vcc
	v_cmp_ne_u32_e32 vcc, v24, v25
	v_lshl_or_b32 v6, v4, 16, v43
	v_cndmask_b32_e64 v4, 0, 1, vcc
	v_cmp_ne_u32_e32 vcc, v22, v23
	v_and_b32_e32 v2, 0xffff, v38
	v_and_b32_e32 v42, 0xffff, v39
	v_cndmask_b32_e64 v22, 0, 1, vcc
	v_alignbit_b32 v3, v3, v38, 16
	v_lshl_or_b32 v4, v4, 16, v42
	v_lshl_or_b32 v2, v22, 16, v2
.LBB1292_136:
	v_mov_b32_e32 v32, s8
	s_and_saveexec_b64 s[4:5], s[12:13]
	s_cbranch_execz .LBB1292_138
; %bb.137:
	v_mov_b32_e32 v22, 0x10000
	v_cndmask_b32_e64 v22, 0, v22, s[2:3]
	s_waitcnt lgkmcnt(0)
	v_or_b32_sdwa v32, v22, v52 dst_sel:DWORD dst_unused:UNUSED_PAD src0_sel:DWORD src1_sel:WORD_0
.LBB1292_138:
	s_or_b64 exec, exec, s[4:5]
	s_cmp_lg_u32 s6, 0
	v_mbcnt_lo_u32_b32 v33, -1, 0
	s_waitcnt lgkmcnt(0)
	; wave barrier
	s_waitcnt lgkmcnt(0)
	s_cbranch_scc0 .LBB1292_201
; %bb.139:
	s_mov_b32 s7, 0x10000
	v_cmp_gt_u32_e64 s[2:3], s7, v50
	v_cndmask_b32_e64 v22, 0, v1, s[2:3]
	v_add_u16_e32 v22, v22, v50
	v_cmp_gt_u32_e64 s[4:5], s7, v51
	v_cndmask_b32_e64 v22, 0, v22, s[4:5]
	v_add_u16_e32 v22, v22, v51
	;; [unrolled: 3-line block ×16, first 2 shown]
	v_cmp_gt_u32_e64 s[36:37], s7, v12
	v_cndmask_b32_e64 v22, 0, v22, s[36:37]
	v_or3_b32 v23, v32, v17, v16
	v_add_u16_e32 v22, v22, v12
	v_cmp_gt_u32_e64 s[38:39], s7, v13
	v_or3_b32 v23, v23, v15, v14
	v_cndmask_b32_e64 v22, 0, v22, s[38:39]
	v_or3_b32 v23, v23, v13, v12
	v_add_u16_e32 v22, v22, v13
	v_cmp_gt_u32_e64 s[40:41], s7, v14
	v_or3_b32 v23, v23, v11, v10
	;; [unrolled: 5-line block ×5, first 2 shown]
	v_cndmask_b32_e64 v22, 0, v22, s[46:47]
	v_or3_b32 v23, v23, v51, v50
	v_add_u16_e32 v22, v22, v17
	v_cmp_gt_u32_e64 s[48:49], s7, v32
	v_and_b32_e32 v23, 0x10000, v23
	v_lshrrev_b32_e32 v34, 16, v1
	v_cndmask_b32_e64 v24, 0, v22, s[48:49]
	v_cmp_eq_u32_e32 vcc, 0, v23
	v_add_u16_e32 v22, v24, v32
	v_cndmask_b32_e32 v23, 1, v34, vcc
	v_mbcnt_hi_u32_b32 v25, -1, v33
	v_add_u16_e32 v24, v24, v32
	v_and_b32_e32 v27, 15, v25
	v_lshl_or_b32 v26, v23, 16, v24
	v_cmp_ne_u32_e32 vcc, 0, v27
	s_nop 0
	v_mov_b32_dpp v24, v26 row_shr:1 row_mask:0xf bank_mask:0xf
	s_and_saveexec_b64 s[50:51], vcc
	s_cbranch_execz .LBB1292_141
; %bb.140:
	v_cmp_eq_u32_e32 vcc, 0, v23
	v_and_b32_e32 v23, 1, v23
	v_mov_b32_e32 v29, 1
	v_cndmask_b32_e32 v26, 0, v24, vcc
	v_and_b32_sdwa v24, v24, v29 dst_sel:DWORD dst_unused:UNUSED_PAD src0_sel:WORD_1 src1_sel:DWORD
	v_cmp_eq_u32_e32 vcc, 1, v23
	v_cndmask_b32_e64 v23, v24, 1, vcc
	v_add_u16_e32 v28, v26, v22
	v_lshlrev_b32_e32 v24, 16, v23
	v_add_u16_e32 v22, v26, v22
	v_or_b32_e32 v26, v24, v22
	v_mov_b32_e32 v22, v28
.LBB1292_141:
	s_or_b64 exec, exec, s[50:51]
	v_lshrrev_b32_e32 v24, 16, v26
	v_mov_b32_dpp v28, v26 row_shr:2 row_mask:0xf bank_mask:0xf
	v_cmp_lt_u32_e32 vcc, 1, v27
	s_and_saveexec_b64 s[50:51], vcc
	s_cbranch_execz .LBB1292_143
; %bb.142:
	v_cmp_gt_u32_e32 vcc, s7, v26
	v_and_b32_e32 v23, 0x10000, v26
	v_mov_b32_e32 v26, 1
	v_cndmask_b32_e32 v24, 0, v28, vcc
	v_and_b32_sdwa v26, v28, v26 dst_sel:DWORD dst_unused:UNUSED_PAD src0_sel:WORD_1 src1_sel:DWORD
	v_cmp_ne_u32_e32 vcc, 0, v23
	v_cndmask_b32_e64 v23, v26, 1, vcc
	v_add_u16_e32 v29, v24, v22
	v_lshlrev_b32_e32 v26, 16, v23
	v_add_u16_e32 v22, v24, v22
	v_or_b32_e32 v26, v26, v22
	v_mov_b32_e32 v22, v29
	v_mov_b32_e32 v24, v23
.LBB1292_143:
	s_or_b64 exec, exec, s[50:51]
	v_mov_b32_dpp v28, v26 row_shr:4 row_mask:0xf bank_mask:0xf
	v_cmp_lt_u32_e32 vcc, 3, v27
	s_and_saveexec_b64 s[50:51], vcc
	s_cbranch_execz .LBB1292_145
; %bb.144:
	v_mov_b32_e32 v23, 0
	v_cmp_eq_u16_sdwa vcc, v24, v23 src0_sel:BYTE_0 src1_sel:DWORD
	v_and_b32_e32 v23, 1, v24
	v_mov_b32_e32 v24, 1
	v_cndmask_b32_e32 v26, 0, v28, vcc
	v_and_b32_sdwa v24, v28, v24 dst_sel:DWORD dst_unused:UNUSED_PAD src0_sel:WORD_1 src1_sel:DWORD
	v_cmp_eq_u32_e32 vcc, 1, v23
	v_cndmask_b32_e64 v23, v24, 1, vcc
	v_add_u16_e32 v29, v26, v22
	v_lshlrev_b32_e32 v24, 16, v23
	v_add_u16_e32 v22, v26, v22
	v_or_b32_e32 v26, v24, v22
	v_mov_b32_e32 v22, v29
	v_mov_b32_e32 v24, v23
.LBB1292_145:
	s_or_b64 exec, exec, s[50:51]
	v_mov_b32_dpp v28, v26 row_shr:8 row_mask:0xf bank_mask:0xf
	v_cmp_lt_u32_e32 vcc, 7, v27
	s_and_saveexec_b64 s[50:51], vcc
	s_cbranch_execz .LBB1292_147
; %bb.146:
	v_mov_b32_e32 v23, 0
	v_cmp_eq_u16_sdwa vcc, v24, v23 src0_sel:BYTE_0 src1_sel:DWORD
	v_and_b32_e32 v23, 1, v24
	v_mov_b32_e32 v24, 1
	v_cndmask_b32_e32 v26, 0, v28, vcc
	v_and_b32_sdwa v24, v28, v24 dst_sel:DWORD dst_unused:UNUSED_PAD src0_sel:WORD_1 src1_sel:DWORD
	v_cmp_eq_u32_e32 vcc, 1, v23
	v_cndmask_b32_e64 v23, v24, 1, vcc
	v_add_u16_e32 v27, v26, v22
	v_lshlrev_b32_e32 v24, 16, v23
	v_add_u16_e32 v22, v26, v22
	v_or_b32_e32 v26, v24, v22
	v_mov_b32_e32 v22, v27
	v_mov_b32_e32 v24, v23
.LBB1292_147:
	s_or_b64 exec, exec, s[50:51]
	v_and_b32_e32 v28, 16, v25
	v_mov_b32_dpp v27, v26 row_bcast:15 row_mask:0xf bank_mask:0xf
	v_cmp_ne_u32_e32 vcc, 0, v28
	s_and_saveexec_b64 s[50:51], vcc
	s_cbranch_execz .LBB1292_149
; %bb.148:
	v_mov_b32_e32 v23, 0
	v_cmp_eq_u16_sdwa vcc, v24, v23 src0_sel:BYTE_0 src1_sel:DWORD
	v_and_b32_e32 v23, 1, v24
	v_mov_b32_e32 v24, 1
	v_cndmask_b32_e32 v26, 0, v27, vcc
	v_and_b32_sdwa v24, v27, v24 dst_sel:DWORD dst_unused:UNUSED_PAD src0_sel:WORD_1 src1_sel:DWORD
	v_cmp_eq_u32_e32 vcc, 1, v23
	v_cndmask_b32_e64 v23, v24, 1, vcc
	v_add_u16_e32 v28, v26, v22
	v_lshlrev_b32_e32 v24, 16, v23
	v_add_u16_e32 v22, v26, v22
	v_or_b32_e32 v26, v24, v22
	v_mov_b32_e32 v22, v28
	v_mov_b32_e32 v24, v23
.LBB1292_149:
	s_or_b64 exec, exec, s[50:51]
	v_mov_b32_dpp v26, v26 row_bcast:31 row_mask:0xf bank_mask:0xf
	v_cmp_lt_u32_e32 vcc, 31, v25
	s_and_saveexec_b64 s[50:51], vcc
; %bb.150:
	v_mov_b32_e32 v23, 0
	v_cmp_eq_u16_sdwa vcc, v24, v23 src0_sel:BYTE_0 src1_sel:DWORD
	v_cndmask_b32_e32 v23, 0, v26, vcc
	v_add_u16_e32 v22, v23, v22
	v_and_b32_e32 v23, 1, v24
	v_mov_b32_e32 v24, 1
	v_and_b32_sdwa v24, v26, v24 dst_sel:DWORD dst_unused:UNUSED_PAD src0_sel:WORD_1 src1_sel:DWORD
	v_cmp_eq_u32_e32 vcc, 1, v23
	v_cndmask_b32_e64 v23, v24, 1, vcc
	v_mov_b32_e32 v24, v23
; %bb.151:
	s_or_b64 exec, exec, s[50:51]
	v_cmp_eq_u32_e32 vcc, 63, v0
	s_and_saveexec_b64 s[50:51], vcc
	s_cbranch_execz .LBB1292_153
; %bb.152:
	v_mov_b32_e32 v26, 0
	ds_write_b16 v26, v22
	ds_write_b8 v26, v24 offset:2
.LBB1292_153:
	s_or_b64 exec, exec, s[50:51]
	v_and_b32_e32 v23, 0xff, v23
	v_and_b32_e32 v22, 0xffff, v22
	v_lshl_or_b32 v22, v23, 16, v22
	v_add_u32_e32 v23, -1, v25
	v_and_b32_e32 v24, 64, v25
	v_cmp_lt_i32_e32 vcc, v23, v24
	v_cndmask_b32_e32 v23, v23, v25, vcc
	v_lshlrev_b32_e32 v23, 2, v23
	ds_bpermute_b32 v35, v23, v22
	v_cmp_gt_u32_e32 vcc, 64, v0
	s_waitcnt lgkmcnt(0)
	; wave barrier
	s_waitcnt lgkmcnt(0)
	s_and_saveexec_b64 s[54:55], vcc
	s_cbranch_execz .LBB1292_200
; %bb.154:
	v_mov_b32_e32 v31, 0
	ds_read_b32 v22, v31
	s_mov_b32 s65, 0
	v_cmp_eq_u32_e64 s[50:51], 0, v25
	s_and_saveexec_b64 s[60:61], s[50:51]
	s_cbranch_execz .LBB1292_156
; %bb.155:
	s_add_i32 s64, s6, 64
	s_lshl_b64 s[64:65], s[64:65], 3
	s_add_u32 s64, s68, s64
	v_mov_b32_e32 v23, 1
	s_addc_u32 s65, s69, s65
	s_waitcnt lgkmcnt(0)
	global_store_dwordx2 v31, v[22:23], s[64:65]
.LBB1292_156:
	s_or_b64 exec, exec, s[60:61]
	v_xad_u32 v24, v25, -1, s6
	v_add_u32_e32 v30, 64, v24
	v_lshlrev_b64 v[26:27], 3, v[30:31]
	v_mov_b32_e32 v23, s69
	v_add_co_u32_e32 v26, vcc, s68, v26
	v_addc_co_u32_e32 v27, vcc, v23, v27, vcc
	global_load_dwordx2 v[28:29], v[26:27], off glc
	s_waitcnt vmcnt(0)
	v_cmp_eq_u16_sdwa s[64:65], v29, v31 src0_sel:BYTE_0 src1_sel:DWORD
	s_and_saveexec_b64 s[60:61], s[64:65]
	s_cbranch_execz .LBB1292_162
; %bb.157:
	s_mov_b32 s7, 1
	s_mov_b64 s[64:65], 0
	v_mov_b32_e32 v23, 0
.LBB1292_158:                           ; =>This Loop Header: Depth=1
                                        ;     Child Loop BB1292_159 Depth 2
	s_max_u32 s66, s7, 1
.LBB1292_159:                           ;   Parent Loop BB1292_158 Depth=1
                                        ; =>  This Inner Loop Header: Depth=2
	s_add_i32 s66, s66, -1
	s_cmp_eq_u32 s66, 0
	s_sleep 1
	s_cbranch_scc0 .LBB1292_159
; %bb.160:                              ;   in Loop: Header=BB1292_158 Depth=1
	global_load_dwordx2 v[28:29], v[26:27], off glc
	s_cmp_lt_u32 s7, 32
	s_cselect_b64 s[66:67], -1, 0
	s_cmp_lg_u64 s[66:67], 0
	s_addc_u32 s7, s7, 0
	s_waitcnt vmcnt(0)
	v_cmp_ne_u16_sdwa s[66:67], v29, v23 src0_sel:BYTE_0 src1_sel:DWORD
	s_or_b64 s[64:65], s[66:67], s[64:65]
	s_andn2_b64 exec, exec, s[64:65]
	s_cbranch_execnz .LBB1292_158
; %bb.161:
	s_or_b64 exec, exec, s[64:65]
.LBB1292_162:
	s_or_b64 exec, exec, s[60:61]
	v_mov_b32_e32 v23, 2
	v_cmp_eq_u16_sdwa s[60:61], v29, v23 src0_sel:BYTE_0 src1_sel:DWORD
	v_lshlrev_b64 v[26:27], v25, -1
	v_and_b32_e32 v23, s61, v27
	v_or_b32_e32 v23, 0x80000000, v23
	v_ffbl_b32_e32 v23, v23
	v_add_u32_e32 v31, 32, v23
	v_and_b32_e32 v23, 63, v25
	v_cmp_ne_u32_e32 vcc, 63, v23
	v_addc_co_u32_e32 v36, vcc, 0, v25, vcc
	v_and_b32_e32 v47, 0xffffff, v28
	v_lshlrev_b32_e32 v36, 2, v36
	ds_bpermute_b32 v37, v36, v47
	v_and_b32_e32 v30, s60, v26
	v_ffbl_b32_e32 v30, v30
	v_min_u32_e32 v31, v30, v31
	v_lshrrev_b32_e32 v30, 16, v28
	v_cmp_lt_u32_e32 vcc, v23, v31
	v_bfe_u32 v45, v28, 16, 8
	s_and_saveexec_b64 s[60:61], vcc
	s_cbranch_execz .LBB1292_164
; %bb.163:
	v_and_b32_e32 v30, 0xff0000, v28
	v_cmp_eq_u32_e32 vcc, 0, v30
	v_and_b32_e32 v30, 0x10000, v30
	v_mov_b32_e32 v40, 1
	s_waitcnt lgkmcnt(0)
	v_cndmask_b32_e32 v38, 0, v37, vcc
	v_and_b32_sdwa v37, v37, v40 dst_sel:DWORD dst_unused:UNUSED_PAD src0_sel:WORD_1 src1_sel:DWORD
	v_cmp_ne_u32_e32 vcc, 0, v30
	v_cndmask_b32_e64 v30, v37, 1, vcc
	v_add_u16_e32 v39, v38, v28
	v_lshlrev_b32_e32 v37, 16, v30
	v_add_u16_e32 v28, v38, v28
	v_or_b32_e32 v47, v37, v28
	v_mov_b32_e32 v28, v39
	v_mov_b32_e32 v45, v30
.LBB1292_164:
	s_or_b64 exec, exec, s[60:61]
	v_cmp_gt_u32_e32 vcc, 62, v23
	s_waitcnt lgkmcnt(0)
	v_cndmask_b32_e64 v37, 0, 1, vcc
	v_lshlrev_b32_e32 v37, 1, v37
	v_add_lshl_u32 v37, v37, v25, 2
	ds_bpermute_b32 v39, v37, v47
	v_add_u32_e32 v38, 2, v23
	v_cmp_le_u32_e32 vcc, v38, v31
	s_and_saveexec_b64 s[60:61], vcc
	s_cbranch_execz .LBB1292_166
; %bb.165:
	v_cmp_eq_u16_e32 vcc, 0, v45
	v_and_b32_e32 v30, 1, v45
	v_mov_b32_e32 v42, 1
	s_waitcnt lgkmcnt(0)
	v_cndmask_b32_e32 v40, 0, v39, vcc
	v_and_b32_sdwa v39, v39, v42 dst_sel:DWORD dst_unused:UNUSED_PAD src0_sel:WORD_1 src1_sel:DWORD
	v_cmp_eq_u32_e32 vcc, 1, v30
	v_cndmask_b32_e64 v30, v39, 1, vcc
	v_add_u16_e32 v41, v40, v28
	v_lshlrev_b32_e32 v39, 16, v30
	v_add_u16_e32 v28, v40, v28
	v_or_b32_e32 v47, v39, v28
	v_mov_b32_e32 v28, v41
	v_mov_b32_e32 v45, v30
.LBB1292_166:
	s_or_b64 exec, exec, s[60:61]
	v_cmp_gt_u32_e32 vcc, 60, v23
	s_waitcnt lgkmcnt(0)
	v_cndmask_b32_e64 v39, 0, 1, vcc
	v_lshlrev_b32_e32 v39, 2, v39
	v_add_lshl_u32 v39, v39, v25, 2
	ds_bpermute_b32 v41, v39, v47
	v_add_u32_e32 v40, 4, v23
	v_cmp_le_u32_e32 vcc, v40, v31
	s_and_saveexec_b64 s[60:61], vcc
	s_cbranch_execz .LBB1292_168
; %bb.167:
	v_cmp_eq_u16_e32 vcc, 0, v45
	v_and_b32_e32 v30, 1, v45
	v_mov_b32_e32 v44, 1
	s_waitcnt lgkmcnt(0)
	v_cndmask_b32_e32 v42, 0, v41, vcc
	v_and_b32_sdwa v41, v41, v44 dst_sel:DWORD dst_unused:UNUSED_PAD src0_sel:WORD_1 src1_sel:DWORD
	v_cmp_eq_u32_e32 vcc, 1, v30
	v_cndmask_b32_e64 v30, v41, 1, vcc
	v_add_u16_e32 v43, v42, v28
	v_lshlrev_b32_e32 v41, 16, v30
	v_add_u16_e32 v28, v42, v28
	v_or_b32_e32 v47, v41, v28
	v_mov_b32_e32 v28, v43
	v_mov_b32_e32 v45, v30
.LBB1292_168:
	s_or_b64 exec, exec, s[60:61]
	v_cmp_gt_u32_e32 vcc, 56, v23
	s_waitcnt lgkmcnt(0)
	v_cndmask_b32_e64 v41, 0, 1, vcc
	v_lshlrev_b32_e32 v41, 3, v41
	v_add_lshl_u32 v41, v41, v25, 2
	ds_bpermute_b32 v43, v41, v47
	v_add_u32_e32 v42, 8, v23
	v_cmp_le_u32_e32 vcc, v42, v31
	s_and_saveexec_b64 s[60:61], vcc
	s_cbranch_execz .LBB1292_170
; %bb.169:
	v_cmp_eq_u16_e32 vcc, 0, v45
	v_and_b32_e32 v30, 1, v45
	v_mov_b32_e32 v45, 1
	s_waitcnt lgkmcnt(0)
	v_cndmask_b32_e32 v44, 0, v43, vcc
	v_and_b32_sdwa v43, v43, v45 dst_sel:DWORD dst_unused:UNUSED_PAD src0_sel:WORD_1 src1_sel:DWORD
	v_cmp_eq_u32_e32 vcc, 1, v30
	v_cndmask_b32_e64 v30, v43, 1, vcc
	v_add_u16_e32 v46, v44, v28
	v_lshlrev_b32_e32 v43, 16, v30
	v_add_u16_e32 v28, v44, v28
	v_or_b32_e32 v47, v43, v28
	v_mov_b32_e32 v28, v46
	v_mov_b32_e32 v45, v30
.LBB1292_170:
	s_or_b64 exec, exec, s[60:61]
	v_cmp_gt_u32_e32 vcc, 48, v23
	s_waitcnt lgkmcnt(0)
	v_cndmask_b32_e64 v43, 0, 1, vcc
	v_lshlrev_b32_e32 v43, 4, v43
	v_add_lshl_u32 v43, v43, v25, 2
	ds_bpermute_b32 v46, v43, v47
	v_add_u32_e32 v44, 16, v23
	v_cmp_le_u32_e32 vcc, v44, v31
	s_and_saveexec_b64 s[60:61], vcc
	s_cbranch_execz .LBB1292_172
; %bb.171:
	v_cmp_eq_u16_e32 vcc, 0, v45
	v_and_b32_e32 v30, 1, v45
	v_mov_b32_e32 v45, 1
	s_waitcnt lgkmcnt(0)
	v_cndmask_b32_e32 v47, 0, v46, vcc
	v_and_b32_sdwa v45, v46, v45 dst_sel:DWORD dst_unused:UNUSED_PAD src0_sel:WORD_1 src1_sel:DWORD
	v_cmp_eq_u32_e32 vcc, 1, v30
	v_cndmask_b32_e64 v30, v45, 1, vcc
	v_add_u16_e32 v48, v47, v28
	v_lshlrev_b32_e32 v45, 16, v30
	v_add_u16_e32 v28, v47, v28
	v_or_b32_e32 v47, v45, v28
	v_mov_b32_e32 v28, v48
	v_mov_b32_e32 v45, v30
.LBB1292_172:
	s_or_b64 exec, exec, s[60:61]
	v_cmp_gt_u32_e32 vcc, 32, v23
	s_waitcnt lgkmcnt(0)
	v_cndmask_b32_e64 v46, 0, 1, vcc
	v_lshlrev_b32_e32 v46, 5, v46
	v_add_lshl_u32 v46, v46, v25, 2
	ds_bpermute_b32 v25, v46, v47
	v_add_u32_e32 v48, 32, v23
	v_cmp_le_u32_e32 vcc, v48, v31
	s_and_saveexec_b64 s[60:61], vcc
	s_cbranch_execz .LBB1292_174
; %bb.173:
	v_cmp_eq_u16_e32 vcc, 0, v45
	s_waitcnt lgkmcnt(0)
	v_cndmask_b32_e32 v30, 0, v25, vcc
	v_add_u16_e32 v28, v30, v28
	v_and_b32_e32 v30, 1, v45
	v_mov_b32_e32 v31, 1
	v_and_b32_sdwa v25, v25, v31 dst_sel:DWORD dst_unused:UNUSED_PAD src0_sel:WORD_1 src1_sel:DWORD
	v_cmp_eq_u32_e32 vcc, 1, v30
	v_cndmask_b32_e64 v30, v25, 1, vcc
.LBB1292_174:
	s_or_b64 exec, exec, s[60:61]
	s_waitcnt lgkmcnt(0)
	v_mov_b32_e32 v25, 0
	v_mov_b32_e32 v49, 2
	;; [unrolled: 1-line block ×3, first 2 shown]
	s_branch .LBB1292_176
.LBB1292_175:                           ;   in Loop: Header=BB1292_176 Depth=1
	s_or_b64 exec, exec, s[60:61]
	v_cmp_eq_u16_sdwa vcc, v45, v25 src0_sel:BYTE_0 src1_sel:DWORD
	v_and_b32_e32 v30, 1, v45
	v_cndmask_b32_e32 v28, 0, v28, vcc
	v_and_b32_e32 v31, 1, v31
	v_cmp_eq_u32_e32 vcc, 1, v30
	v_subrev_u32_e32 v24, 64, v24
	v_add_u16_e32 v28, v28, v47
	v_cndmask_b32_e64 v30, v31, 1, vcc
.LBB1292_176:                           ; =>This Loop Header: Depth=1
                                        ;     Child Loop BB1292_179 Depth 2
                                        ;       Child Loop BB1292_180 Depth 3
	v_cmp_ne_u16_sdwa s[60:61], v29, v49 src0_sel:BYTE_0 src1_sel:DWORD
	v_cndmask_b32_e64 v29, 0, 1, s[60:61]
	;;#ASMSTART
	;;#ASMEND
	v_cmp_ne_u32_e32 vcc, 0, v29
	v_mov_b32_e32 v45, v30
	s_cmp_lg_u64 vcc, exec
	v_mov_b32_e32 v47, v28
	s_cbranch_scc1 .LBB1292_195
; %bb.177:                              ;   in Loop: Header=BB1292_176 Depth=1
	v_lshlrev_b64 v[28:29], 3, v[24:25]
	v_mov_b32_e32 v31, s69
	v_add_co_u32_e32 v30, vcc, s68, v28
	v_addc_co_u32_e32 v31, vcc, v31, v29, vcc
	global_load_dwordx2 v[28:29], v[30:31], off glc
	s_waitcnt vmcnt(0)
	v_cmp_eq_u16_sdwa s[64:65], v29, v25 src0_sel:BYTE_0 src1_sel:DWORD
	s_and_saveexec_b64 s[60:61], s[64:65]
	s_cbranch_execz .LBB1292_183
; %bb.178:                              ;   in Loop: Header=BB1292_176 Depth=1
	s_mov_b32 s7, 1
	s_mov_b64 s[64:65], 0
.LBB1292_179:                           ;   Parent Loop BB1292_176 Depth=1
                                        ; =>  This Loop Header: Depth=2
                                        ;       Child Loop BB1292_180 Depth 3
	s_max_u32 s66, s7, 1
.LBB1292_180:                           ;   Parent Loop BB1292_176 Depth=1
                                        ;     Parent Loop BB1292_179 Depth=2
                                        ; =>    This Inner Loop Header: Depth=3
	s_add_i32 s66, s66, -1
	s_cmp_eq_u32 s66, 0
	s_sleep 1
	s_cbranch_scc0 .LBB1292_180
; %bb.181:                              ;   in Loop: Header=BB1292_179 Depth=2
	global_load_dwordx2 v[28:29], v[30:31], off glc
	s_cmp_lt_u32 s7, 32
	s_cselect_b64 s[66:67], -1, 0
	s_cmp_lg_u64 s[66:67], 0
	s_addc_u32 s7, s7, 0
	s_waitcnt vmcnt(0)
	v_cmp_ne_u16_sdwa s[66:67], v29, v25 src0_sel:BYTE_0 src1_sel:DWORD
	s_or_b64 s[64:65], s[66:67], s[64:65]
	s_andn2_b64 exec, exec, s[64:65]
	s_cbranch_execnz .LBB1292_179
; %bb.182:                              ;   in Loop: Header=BB1292_176 Depth=1
	s_or_b64 exec, exec, s[64:65]
.LBB1292_183:                           ;   in Loop: Header=BB1292_176 Depth=1
	s_or_b64 exec, exec, s[60:61]
	v_cmp_eq_u16_sdwa s[60:61], v29, v49 src0_sel:BYTE_0 src1_sel:DWORD
	v_and_b32_e32 v30, s61, v27
	s_waitcnt lgkmcnt(0)
	v_and_b32_e32 v54, 0xffffff, v28
	v_or_b32_e32 v30, 0x80000000, v30
	ds_bpermute_b32 v55, v36, v54
	v_and_b32_e32 v31, s60, v26
	v_ffbl_b32_e32 v30, v30
	v_add_u32_e32 v30, 32, v30
	v_ffbl_b32_e32 v31, v31
	v_min_u32_e32 v30, v31, v30
	v_lshrrev_b32_e32 v31, 16, v28
	v_cmp_lt_u32_e32 vcc, v23, v30
	v_bfe_u32 v53, v28, 16, 8
	s_and_saveexec_b64 s[60:61], vcc
	s_cbranch_execz .LBB1292_185
; %bb.184:                              ;   in Loop: Header=BB1292_176 Depth=1
	v_and_b32_e32 v31, 0xff0000, v28
	v_cmp_eq_u32_e32 vcc, 0, v31
	v_and_b32_e32 v31, 0x10000, v31
	s_waitcnt lgkmcnt(0)
	v_cndmask_b32_e32 v53, 0, v55, vcc
	v_and_b32_sdwa v54, v55, v52 dst_sel:DWORD dst_unused:UNUSED_PAD src0_sel:WORD_1 src1_sel:DWORD
	v_cmp_ne_u32_e32 vcc, 0, v31
	v_cndmask_b32_e64 v31, v54, 1, vcc
	v_add_u16_e32 v56, v53, v28
	v_lshlrev_b32_e32 v54, 16, v31
	v_add_u16_e32 v28, v53, v28
	v_or_b32_e32 v54, v54, v28
	v_mov_b32_e32 v28, v56
	v_mov_b32_e32 v53, v31
.LBB1292_185:                           ;   in Loop: Header=BB1292_176 Depth=1
	s_or_b64 exec, exec, s[60:61]
	s_waitcnt lgkmcnt(0)
	ds_bpermute_b32 v55, v37, v54
	v_cmp_le_u32_e32 vcc, v38, v30
	s_and_saveexec_b64 s[60:61], vcc
	s_cbranch_execz .LBB1292_187
; %bb.186:                              ;   in Loop: Header=BB1292_176 Depth=1
	v_cmp_eq_u16_e32 vcc, 0, v53
	v_and_b32_e32 v31, 1, v53
	s_waitcnt lgkmcnt(0)
	v_cndmask_b32_e32 v54, 0, v55, vcc
	v_and_b32_sdwa v53, v55, v52 dst_sel:DWORD dst_unused:UNUSED_PAD src0_sel:WORD_1 src1_sel:DWORD
	v_cmp_eq_u32_e32 vcc, 1, v31
	v_cndmask_b32_e64 v31, v53, 1, vcc
	v_add_u16_e32 v56, v54, v28
	v_lshlrev_b32_e32 v53, 16, v31
	v_add_u16_e32 v28, v54, v28
	v_or_b32_e32 v54, v53, v28
	v_mov_b32_e32 v28, v56
	v_mov_b32_e32 v53, v31
.LBB1292_187:                           ;   in Loop: Header=BB1292_176 Depth=1
	s_or_b64 exec, exec, s[60:61]
	s_waitcnt lgkmcnt(0)
	ds_bpermute_b32 v55, v39, v54
	v_cmp_le_u32_e32 vcc, v40, v30
	s_and_saveexec_b64 s[60:61], vcc
	s_cbranch_execz .LBB1292_189
; %bb.188:                              ;   in Loop: Header=BB1292_176 Depth=1
	v_cmp_eq_u16_e32 vcc, 0, v53
	v_and_b32_e32 v31, 1, v53
	s_waitcnt lgkmcnt(0)
	v_cndmask_b32_e32 v54, 0, v55, vcc
	v_and_b32_sdwa v53, v55, v52 dst_sel:DWORD dst_unused:UNUSED_PAD src0_sel:WORD_1 src1_sel:DWORD
	v_cmp_eq_u32_e32 vcc, 1, v31
	v_cndmask_b32_e64 v31, v53, 1, vcc
	v_add_u16_e32 v56, v54, v28
	v_lshlrev_b32_e32 v53, 16, v31
	v_add_u16_e32 v28, v54, v28
	v_or_b32_e32 v54, v53, v28
	v_mov_b32_e32 v28, v56
	v_mov_b32_e32 v53, v31
.LBB1292_189:                           ;   in Loop: Header=BB1292_176 Depth=1
	;; [unrolled: 21-line block ×4, first 2 shown]
	s_or_b64 exec, exec, s[60:61]
	ds_bpermute_b32 v54, v46, v54
	v_cmp_le_u32_e32 vcc, v48, v30
	s_and_saveexec_b64 s[60:61], vcc
	s_cbranch_execz .LBB1292_175
; %bb.194:                              ;   in Loop: Header=BB1292_176 Depth=1
	v_cmp_eq_u16_e32 vcc, 0, v53
	s_waitcnt lgkmcnt(0)
	v_cndmask_b32_e32 v30, 0, v54, vcc
	v_add_u16_e32 v28, v30, v28
	v_and_b32_e32 v30, 1, v53
	v_lshrrev_b32_e32 v31, 16, v54
	v_cmp_eq_u32_e32 vcc, 1, v30
	v_cndmask_b32_e64 v31, v31, 1, vcc
	s_branch .LBB1292_175
.LBB1292_195:                           ;   in Loop: Header=BB1292_176 Depth=1
                                        ; implicit-def: $vgpr30
                                        ; implicit-def: $vgpr28
	s_cbranch_execz .LBB1292_176
; %bb.196:
	s_and_saveexec_b64 s[60:61], s[50:51]
	s_cbranch_execz .LBB1292_198
; %bb.197:
	v_and_b32_e32 v23, 0xff0000, v22
	s_mov_b32 s7, 0
	v_cmp_eq_u32_e32 vcc, 0, v23
	v_and_b32_e32 v24, 0x10000, v22
	v_mov_b32_e32 v25, 1
	s_add_i32 s6, s6, 64
	v_cndmask_b32_e32 v23, 0, v47, vcc
	v_and_b32_sdwa v25, v45, v25 dst_sel:WORD_1 dst_unused:UNUSED_PAD src0_sel:DWORD src1_sel:DWORD
	v_mov_b32_e32 v26, 0x10000
	v_cmp_eq_u32_e32 vcc, 0, v24
	s_lshl_b64 s[6:7], s[6:7], 3
	v_cndmask_b32_e32 v24, v26, v25, vcc
	s_add_u32 s6, s68, s6
	v_add_u16_e32 v22, v23, v22
	s_addc_u32 s7, s69, s7
	v_mov_b32_e32 v25, 0
	v_or_b32_e32 v22, v24, v22
	v_mov_b32_e32 v23, 2
	global_store_dwordx2 v25, v[22:23], s[6:7]
.LBB1292_198:
	s_or_b64 exec, exec, s[60:61]
	v_cmp_eq_u32_e32 vcc, 0, v0
	s_and_b64 exec, exec, vcc
	s_cbranch_execz .LBB1292_200
; %bb.199:
	v_mov_b32_e32 v22, 0
	ds_write_b16 v22, v47
	ds_write_b8 v22, v45 offset:2
.LBB1292_200:
	s_or_b64 exec, exec, s[54:55]
	v_mov_b32_e32 v22, 0
	s_mov_b32 s6, 0x10000
	s_waitcnt lgkmcnt(0)
	; wave barrier
	s_waitcnt lgkmcnt(0)
	ds_read_b32 v23, v22
	v_cmp_gt_u32_e32 vcc, s6, v1
	v_and_b32_e32 v25, 0x10000, v1
	v_mov_b32_e32 v26, 1
	v_cndmask_b32_e32 v24, 0, v35, vcc
	v_and_b32_sdwa v26, v35, v26 dst_sel:DWORD dst_unused:UNUSED_PAD src0_sel:WORD_1 src1_sel:DWORD
	v_cmp_ne_u32_e32 vcc, 0, v25
	v_cndmask_b32_e64 v25, v26, 1, vcc
	v_cmp_eq_u32_e32 vcc, 0, v0
	v_cndmask_b32_e32 v25, v25, v34, vcc
	v_cndmask_b32_e64 v24, v24, 0, vcc
	v_cmp_eq_u16_sdwa vcc, v25, v22 src0_sel:BYTE_0 src1_sel:DWORD
	v_add_u16_e32 v24, v24, v1
	s_waitcnt lgkmcnt(0)
	v_cndmask_b32_e32 v22, 0, v23, vcc
	v_add_u16_e32 v47, v24, v22
	v_cndmask_b32_e64 v22, 0, v47, s[2:3]
	v_add_u16_e32 v22, v22, v50
	v_cndmask_b32_e64 v23, 0, v22, s[4:5]
	;; [unrolled: 2-line block ×23, first 2 shown]
	v_add_u16_e32 v46, v46, v32
	s_branch .LBB1292_223
.LBB1292_201:
                                        ; implicit-def: $vgpr47
                                        ; implicit-def: $vgpr22
                                        ; implicit-def: $vgpr23
                                        ; implicit-def: $vgpr24
                                        ; implicit-def: $vgpr25
                                        ; implicit-def: $vgpr26
                                        ; implicit-def: $vgpr27
                                        ; implicit-def: $vgpr29
                                        ; implicit-def: $vgpr28
                                        ; implicit-def: $vgpr30
                                        ; implicit-def: $vgpr31
                                        ; implicit-def: $vgpr34
                                        ; implicit-def: $vgpr35
                                        ; implicit-def: $vgpr36
                                        ; implicit-def: $vgpr37
                                        ; implicit-def: $vgpr39
                                        ; implicit-def: $vgpr38
                                        ; implicit-def: $vgpr40
                                        ; implicit-def: $vgpr41
                                        ; implicit-def: $vgpr42
                                        ; implicit-def: $vgpr43
                                        ; implicit-def: $vgpr44
                                        ; implicit-def: $vgpr45
                                        ; implicit-def: $vgpr46
	s_cbranch_execz .LBB1292_223
; %bb.202:
	s_cmp_lg_u64 s[74:75], 0
	s_cselect_b32 s5, s63, 0
	s_cselect_b32 s4, s62, 0
	s_cmp_lg_u64 s[4:5], 0
	s_cselect_b64 s[6:7], -1, 0
	v_cmp_eq_u32_e32 vcc, 0, v0
	v_cmp_ne_u32_e64 s[2:3], 0, v0
	s_and_b64 s[8:9], vcc, s[6:7]
	s_and_saveexec_b64 s[6:7], s[8:9]
	s_cbranch_execz .LBB1292_204
; %bb.203:
	v_mov_b32_e32 v22, 0
	global_load_ushort v23, v22, s[4:5]
	global_load_ubyte v24, v22, s[4:5] offset:2
	s_mov_b32 s4, 0x10000
	v_and_b32_e32 v22, 0x10000, v1
	v_mov_b32_e32 v25, 1
	v_cmp_gt_u32_e64 s[4:5], s4, v1
	v_mov_b32_e32 v26, 0x10000
	s_waitcnt vmcnt(1)
	v_cndmask_b32_e64 v23, 0, v23, s[4:5]
	s_waitcnt vmcnt(0)
	v_and_b32_sdwa v24, v24, v25 dst_sel:WORD_1 dst_unused:UNUSED_PAD src0_sel:DWORD src1_sel:DWORD
	v_cmp_eq_u32_e64 s[4:5], 0, v22
	v_add_u16_e32 v1, v23, v1
	v_cndmask_b32_e64 v22, v26, v24, s[4:5]
	v_or_b32_e32 v1, v22, v1
.LBB1292_204:
	s_or_b64 exec, exec, s[6:7]
	s_mov_b32 s50, 0x10000
	v_cmp_gt_u32_e64 s[4:5], s50, v50
	v_cndmask_b32_e64 v22, 0, v1, s[4:5]
	v_add_u16_e32 v22, v22, v50
	v_cmp_gt_u32_e64 s[6:7], s50, v51
	v_cndmask_b32_e64 v23, 0, v22, s[6:7]
	v_add_u16_e32 v23, v23, v51
	;; [unrolled: 3-line block ×4, first 2 shown]
	v_cmp_gt_u32_e64 s[12:13], s50, v20
	v_bfe_u32 v28, v19, 16, 1
	v_mov_b32_e32 v52, 1
	v_cndmask_b32_e64 v26, 0, v25, s[12:13]
	v_lshlrev_b16_e32 v28, 1, v28
	v_and_b32_sdwa v29, v18, v52 dst_sel:DWORD dst_unused:UNUSED_PAD src0_sel:WORD_1 src1_sel:DWORD
	v_add_u16_e32 v26, v26, v20
	v_cmp_gt_u32_e64 s[14:15], s50, v21
	v_or_b32_e32 v28, v29, v28
	v_bfe_u32 v29, v21, 16, 1
	v_and_b32_sdwa v30, v20, v52 dst_sel:DWORD dst_unused:UNUSED_PAD src0_sel:WORD_1 src1_sel:DWORD
	v_cndmask_b32_e64 v27, 0, v26, s[14:15]
	v_lshlrev_b16_e32 v29, 3, v29
	v_lshlrev_b16_e32 v30, 2, v30
	v_add_u16_e32 v27, v27, v21
	v_or_b32_e32 v29, v29, v30
	v_cmp_gt_u32_e64 s[16:17], s50, v2
	v_or_b32_e32 v46, v28, v29
	v_cndmask_b32_e64 v28, 0, v27, s[16:17]
	v_add_u16_e32 v29, v28, v2
	v_cmp_gt_u32_e64 s[18:19], s50, v3
	v_cndmask_b32_e64 v28, 0, v29, s[18:19]
	v_bfe_u32 v48, v11, 16, 1
	v_add_u16_e32 v28, v28, v3
	v_cmp_gt_u32_e64 s[20:21], s50, v4
	v_lshlrev_b16_e32 v48, 1, v48
	v_and_b32_sdwa v49, v10, v52 dst_sel:DWORD dst_unused:UNUSED_PAD src0_sel:WORD_1 src1_sel:DWORD
	v_cndmask_b32_e64 v30, 0, v28, s[20:21]
	v_or_b32_e32 v48, v49, v48
	v_bfe_u32 v49, v13, 16, 1
	v_and_b32_sdwa v53, v12, v52 dst_sel:DWORD dst_unused:UNUSED_PAD src0_sel:WORD_1 src1_sel:DWORD
	v_add_u16_e32 v30, v30, v4
	v_cmp_gt_u32_e64 s[22:23], s50, v5
	v_lshlrev_b16_e32 v49, 3, v49
	v_lshlrev_b16_e32 v53, 2, v53
	v_cndmask_b32_e64 v31, 0, v30, s[22:23]
	v_or_b32_e32 v49, v49, v53
	v_add_u16_e32 v31, v31, v5
	v_cmp_gt_u32_e64 s[24:25], s50, v6
	v_or_b32_sdwa v48, v48, v49 dst_sel:BYTE_1 dst_unused:UNUSED_PAD src0_sel:DWORD src1_sel:DWORD
	v_bfe_u32 v49, v15, 16, 1
	v_cndmask_b32_e64 v34, 0, v31, s[24:25]
	v_lshlrev_b16_e32 v49, 1, v49
	v_and_b32_sdwa v53, v14, v52 dst_sel:DWORD dst_unused:UNUSED_PAD src0_sel:WORD_1 src1_sel:DWORD
	v_add_u16_e32 v34, v34, v6
	v_cmp_gt_u32_e64 s[26:27], s50, v7
	v_or_b32_e32 v49, v53, v49
	v_bfe_u32 v53, v17, 16, 1
	v_and_b32_sdwa v54, v16, v52 dst_sel:DWORD dst_unused:UNUSED_PAD src0_sel:WORD_1 src1_sel:DWORD
	v_cndmask_b32_e64 v35, 0, v34, s[26:27]
	v_lshlrev_b16_e32 v53, 3, v53
	v_lshlrev_b16_e32 v54, 2, v54
	v_add_u16_e32 v35, v35, v7
	v_cmp_gt_u32_e64 s[28:29], s50, v8
	v_or_b32_e32 v53, v53, v54
	v_cndmask_b32_e64 v36, 0, v35, s[28:29]
	v_or_b32_e32 v49, v49, v53
	v_add_u16_e32 v36, v36, v8
	v_cmp_gt_u32_e64 s[30:31], s50, v9
	v_lshlrev_b16_e32 v49, 12, v49
	v_cndmask_b32_e64 v37, 0, v36, s[30:31]
	v_or_b32_e32 v48, v49, v48
	v_bfe_u32 v49, v3, 16, 1
	v_add_u16_e32 v37, v37, v9
	v_cmp_gt_u32_e64 s[34:35], s50, v10
	v_lshlrev_b16_e32 v49, 1, v49
	v_and_b32_sdwa v53, v2, v52 dst_sel:DWORD dst_unused:UNUSED_PAD src0_sel:WORD_1 src1_sel:DWORD
	v_cndmask_b32_e64 v38, 0, v37, s[34:35]
	v_or_b32_e32 v49, v53, v49
	v_bfe_u32 v53, v5, 16, 1
	v_and_b32_sdwa v54, v4, v52 dst_sel:DWORD dst_unused:UNUSED_PAD src0_sel:WORD_1 src1_sel:DWORD
	v_add_u16_e32 v39, v38, v10
	v_cmp_gt_u32_e64 s[36:37], s50, v11
	v_lshlrev_b16_e32 v53, 3, v53
	v_lshlrev_b16_e32 v54, 2, v54
	v_cndmask_b32_e64 v38, 0, v39, s[36:37]
	v_or_b32_e32 v53, v53, v54
	v_add_u16_e32 v38, v38, v11
	v_cmp_gt_u32_e64 s[38:39], s50, v12
	v_or_b32_e32 v49, v49, v53
	v_bfe_u32 v53, v7, 16, 1
	v_cndmask_b32_e64 v40, 0, v38, s[38:39]
	v_lshlrev_b16_e32 v53, 1, v53
	v_and_b32_sdwa v54, v6, v52 dst_sel:DWORD dst_unused:UNUSED_PAD src0_sel:WORD_1 src1_sel:DWORD
	v_add_u16_e32 v40, v40, v12
	v_cmp_gt_u32_e64 s[40:41], s50, v13
	v_or_b32_e32 v53, v54, v53
	v_bfe_u32 v54, v9, 16, 1
	v_and_b32_sdwa v55, v8, v52 dst_sel:DWORD dst_unused:UNUSED_PAD src0_sel:WORD_1 src1_sel:DWORD
	v_cndmask_b32_e64 v41, 0, v40, s[40:41]
	v_lshlrev_b16_e32 v54, 3, v54
	v_lshlrev_b16_e32 v55, 2, v55
	v_add_u16_e32 v41, v41, v13
	v_cmp_gt_u32_e64 s[42:43], s50, v14
	v_or_b32_e32 v54, v54, v55
	v_cndmask_b32_e64 v42, 0, v41, s[42:43]
	v_or_b32_e32 v53, v53, v54
	v_add_u16_e32 v42, v42, v14
	v_cmp_gt_u32_e64 s[44:45], s50, v15
	v_lshlrev_b16_e32 v53, 4, v53
	v_cndmask_b32_e64 v43, 0, v42, s[44:45]
	v_or_b32_e32 v49, v49, v53
	v_add_u16_e32 v43, v43, v15
	v_cmp_gt_u32_e64 s[46:47], s50, v16
	v_or_b32_sdwa v49, v49, v48 dst_sel:DWORD dst_unused:UNUSED_PAD src0_sel:BYTE_0 src1_sel:DWORD
	v_cndmask_b32_e64 v44, 0, v43, s[46:47]
	v_or_b32_e32 v46, v49, v46
	v_add_u16_e32 v44, v44, v16
	v_cmp_gt_u32_e64 s[48:49], s50, v17
	v_cmp_ne_u16_e64 s[52:53], 0, v46
	v_or3_b32 v46, v51, v50, v32
	v_cndmask_b32_e64 v45, 0, v44, s[48:49]
	v_and_b32_e32 v46, 0x10000, v46
	v_add_u16_e32 v45, v45, v17
	v_cmp_gt_u32_e64 s[50:51], s50, v32
	v_cmp_ne_u32_e64 s[54:55], 0, v46
	v_lshrrev_b32_e32 v47, 16, v1
	v_cndmask_b32_e64 v53, 0, v45, s[50:51]
	s_or_b64 s[52:53], s[54:55], s[52:53]
	v_cndmask_b32_e64 v49, v47, 1, s[52:53]
	v_mbcnt_hi_u32_b32 v33, -1, v33
	v_add_u16_e32 v46, v53, v32
	v_add_u16_e32 v48, v53, v32
	v_and_b32_e32 v54, 15, v33
	v_lshl_or_b32 v53, v49, 16, v46
	v_cmp_ne_u32_e64 s[52:53], 0, v54
	s_nop 0
	v_mov_b32_dpp v55, v53 row_shr:1 row_mask:0xf bank_mask:0xf
	s_and_saveexec_b64 s[54:55], s[52:53]
; %bb.205:
	v_cmp_eq_u32_e64 s[52:53], 0, v49
	v_and_b32_e32 v49, 1, v49
	v_cndmask_b32_e64 v53, 0, v55, s[52:53]
	v_and_b32_sdwa v52, v55, v52 dst_sel:DWORD dst_unused:UNUSED_PAD src0_sel:WORD_1 src1_sel:DWORD
	v_cmp_eq_u32_e64 s[52:53], 1, v49
	v_cndmask_b32_e64 v49, v52, 1, s[52:53]
	v_add_u16_e32 v56, v48, v53
	v_lshlrev_b32_e32 v52, 16, v49
	v_add_u16_e32 v48, v48, v53
	v_or_b32_e32 v53, v52, v48
	v_mov_b32_e32 v48, v56
; %bb.206:
	s_or_b64 exec, exec, s[54:55]
	v_lshrrev_b32_e32 v52, 16, v53
	v_mov_b32_dpp v55, v53 row_shr:2 row_mask:0xf bank_mask:0xf
	v_cmp_lt_u32_e64 s[52:53], 1, v54
	s_and_saveexec_b64 s[54:55], s[52:53]
	s_cbranch_execz .LBB1292_208
; %bb.207:
	s_mov_b32 s52, 0x10000
	v_cmp_gt_u32_e64 s[52:53], s52, v53
	v_and_b32_e32 v49, 0x10000, v53
	v_mov_b32_e32 v53, 1
	v_cndmask_b32_e64 v52, 0, v55, s[52:53]
	v_and_b32_sdwa v53, v55, v53 dst_sel:DWORD dst_unused:UNUSED_PAD src0_sel:WORD_1 src1_sel:DWORD
	v_cmp_ne_u32_e64 s[52:53], 0, v49
	v_cndmask_b32_e64 v49, v53, 1, s[52:53]
	v_add_u16_e32 v56, v52, v48
	v_lshlrev_b32_e32 v53, 16, v49
	v_add_u16_e32 v48, v52, v48
	v_or_b32_e32 v53, v53, v48
	v_mov_b32_e32 v48, v56
	v_mov_b32_e32 v52, v49
.LBB1292_208:
	s_or_b64 exec, exec, s[54:55]
	v_mov_b32_dpp v55, v53 row_shr:4 row_mask:0xf bank_mask:0xf
	v_cmp_lt_u32_e64 s[52:53], 3, v54
	s_and_saveexec_b64 s[54:55], s[52:53]
	s_cbranch_execz .LBB1292_210
; %bb.209:
	v_mov_b32_e32 v49, 0
	v_cmp_eq_u16_sdwa s[52:53], v52, v49 src0_sel:BYTE_0 src1_sel:DWORD
	v_and_b32_e32 v49, 1, v52
	v_mov_b32_e32 v52, 1
	v_cndmask_b32_e64 v53, 0, v55, s[52:53]
	v_and_b32_sdwa v52, v55, v52 dst_sel:DWORD dst_unused:UNUSED_PAD src0_sel:WORD_1 src1_sel:DWORD
	v_cmp_eq_u32_e64 s[52:53], 1, v49
	v_cndmask_b32_e64 v49, v52, 1, s[52:53]
	v_add_u16_e32 v56, v53, v48
	v_lshlrev_b32_e32 v52, 16, v49
	v_add_u16_e32 v48, v53, v48
	v_or_b32_e32 v53, v52, v48
	v_mov_b32_e32 v48, v56
	v_mov_b32_e32 v52, v49
.LBB1292_210:
	s_or_b64 exec, exec, s[54:55]
	v_mov_b32_dpp v55, v53 row_shr:8 row_mask:0xf bank_mask:0xf
	v_cmp_lt_u32_e64 s[52:53], 7, v54
	s_and_saveexec_b64 s[54:55], s[52:53]
	s_cbranch_execz .LBB1292_212
; %bb.211:
	v_mov_b32_e32 v49, 0
	v_cmp_eq_u16_sdwa s[52:53], v52, v49 src0_sel:BYTE_0 src1_sel:DWORD
	v_and_b32_e32 v49, 1, v52
	v_mov_b32_e32 v52, 1
	v_cndmask_b32_e64 v53, 0, v55, s[52:53]
	v_and_b32_sdwa v52, v55, v52 dst_sel:DWORD dst_unused:UNUSED_PAD src0_sel:WORD_1 src1_sel:DWORD
	v_cmp_eq_u32_e64 s[52:53], 1, v49
	v_cndmask_b32_e64 v49, v52, 1, s[52:53]
	v_add_u16_e32 v54, v53, v48
	v_lshlrev_b32_e32 v52, 16, v49
	v_add_u16_e32 v48, v53, v48
	v_or_b32_e32 v53, v52, v48
	v_mov_b32_e32 v48, v54
	v_mov_b32_e32 v52, v49
.LBB1292_212:
	s_or_b64 exec, exec, s[54:55]
	v_and_b32_e32 v55, 16, v33
	v_mov_b32_dpp v54, v53 row_bcast:15 row_mask:0xf bank_mask:0xf
	v_cmp_ne_u32_e64 s[52:53], 0, v55
	s_and_saveexec_b64 s[54:55], s[52:53]
	s_cbranch_execz .LBB1292_214
; %bb.213:
	v_mov_b32_e32 v49, 0
	v_cmp_eq_u16_sdwa s[52:53], v52, v49 src0_sel:BYTE_0 src1_sel:DWORD
	v_and_b32_e32 v49, 1, v52
	v_mov_b32_e32 v52, 1
	v_cndmask_b32_e64 v53, 0, v54, s[52:53]
	v_and_b32_sdwa v52, v54, v52 dst_sel:DWORD dst_unused:UNUSED_PAD src0_sel:WORD_1 src1_sel:DWORD
	v_cmp_eq_u32_e64 s[52:53], 1, v49
	v_cndmask_b32_e64 v49, v52, 1, s[52:53]
	v_add_u16_e32 v55, v53, v48
	v_lshlrev_b32_e32 v52, 16, v49
	v_add_u16_e32 v48, v53, v48
	v_or_b32_e32 v53, v52, v48
	v_mov_b32_e32 v48, v55
	v_mov_b32_e32 v52, v49
.LBB1292_214:
	s_or_b64 exec, exec, s[54:55]
	v_mov_b32_dpp v53, v53 row_bcast:31 row_mask:0xf bank_mask:0xf
	v_cmp_lt_u32_e64 s[52:53], 31, v33
	s_and_saveexec_b64 s[54:55], s[52:53]
; %bb.215:
	v_mov_b32_e32 v49, 0
	v_cmp_eq_u16_sdwa s[52:53], v52, v49 src0_sel:BYTE_0 src1_sel:DWORD
	v_cndmask_b32_e64 v49, 0, v53, s[52:53]
	v_add_u16_e32 v48, v49, v48
	v_and_b32_e32 v49, 1, v52
	v_mov_b32_e32 v52, 1
	v_and_b32_sdwa v52, v53, v52 dst_sel:DWORD dst_unused:UNUSED_PAD src0_sel:WORD_1 src1_sel:DWORD
	v_cmp_eq_u32_e64 s[52:53], 1, v49
	v_cndmask_b32_e64 v49, v52, 1, s[52:53]
	v_mov_b32_e32 v52, v49
; %bb.216:
	s_or_b64 exec, exec, s[54:55]
	v_cmp_eq_u32_e64 s[52:53], 63, v0
	s_and_saveexec_b64 s[54:55], s[52:53]
	s_cbranch_execz .LBB1292_218
; %bb.217:
	v_mov_b32_e32 v53, 0
	ds_write_b16 v53, v48
	ds_write_b8 v53, v52 offset:2
.LBB1292_218:
	s_or_b64 exec, exec, s[54:55]
	v_and_b32_e32 v49, 0xff, v49
	v_and_b32_e32 v48, 0xffff, v48
	v_lshl_or_b32 v48, v49, 16, v48
	v_add_u32_e32 v49, -1, v33
	v_and_b32_e32 v52, 64, v33
	v_cmp_lt_i32_e64 s[52:53], v49, v52
	v_cndmask_b32_e64 v33, v49, v33, s[52:53]
	v_lshlrev_b32_e32 v33, 2, v33
	ds_bpermute_b32 v33, v33, v48
	s_waitcnt lgkmcnt(0)
	; wave barrier
	s_waitcnt lgkmcnt(0)
	s_and_saveexec_b64 s[52:53], s[2:3]
	s_cbranch_execz .LBB1292_220
; %bb.219:
	v_and_b32_e32 v22, 0xff0000, v1
	v_cmp_eq_u32_e64 s[2:3], 0, v22
	v_cndmask_b32_e64 v22, 0, v33, s[2:3]
	v_add_u32_e32 v1, v22, v1
	v_cndmask_b32_e64 v22, 0, v1, s[4:5]
	v_add_u16_e32 v22, v22, v50
	v_cndmask_b32_e64 v23, 0, v22, s[6:7]
	v_add_u16_e32 v23, v23, v51
	v_cndmask_b32_e64 v24, 0, v23, s[8:9]
	v_add_u16_e32 v24, v24, v18
	v_cndmask_b32_e64 v18, 0, v24, s[10:11]
	v_add_u16_e32 v25, v18, v19
	v_cndmask_b32_e64 v18, 0, v25, s[12:13]
	v_add_u16_e32 v26, v18, v20
	v_cndmask_b32_e64 v18, 0, v26, s[14:15]
	v_add_u16_e32 v27, v18, v21
	v_cndmask_b32_e64 v18, 0, v27, s[16:17]
	v_add_u16_e32 v29, v18, v2
	v_cndmask_b32_e64 v2, 0, v29, s[18:19]
	v_add_u16_e32 v28, v2, v3
	v_cndmask_b32_e64 v2, 0, v28, s[20:21]
	v_add_u16_e32 v30, v2, v4
	v_cndmask_b32_e64 v2, 0, v30, s[22:23]
	v_add_u16_e32 v31, v2, v5
	v_cndmask_b32_e64 v2, 0, v31, s[24:25]
	v_add_u16_e32 v34, v2, v6
	v_cndmask_b32_e64 v2, 0, v34, s[26:27]
	v_add_u16_e32 v35, v2, v7
	v_cndmask_b32_e64 v2, 0, v35, s[28:29]
	v_add_u16_e32 v36, v2, v8
	v_cndmask_b32_e64 v2, 0, v36, s[30:31]
	v_add_u16_e32 v37, v2, v9
	v_cndmask_b32_e64 v2, 0, v37, s[34:35]
	v_add_u16_e32 v39, v2, v10
	v_cndmask_b32_e64 v2, 0, v39, s[36:37]
	v_add_u16_e32 v38, v2, v11
	v_cndmask_b32_e64 v2, 0, v38, s[38:39]
	v_add_u16_e32 v40, v2, v12
	v_cndmask_b32_e64 v2, 0, v40, s[40:41]
	v_add_u16_e32 v41, v2, v13
	v_cndmask_b32_e64 v2, 0, v41, s[42:43]
	v_add_u16_e32 v42, v2, v14
	v_cndmask_b32_e64 v2, 0, v42, s[44:45]
	v_add_u16_e32 v43, v2, v15
	v_cndmask_b32_e64 v2, 0, v43, s[46:47]
	v_add_u16_e32 v44, v2, v16
	v_cndmask_b32_e64 v2, 0, v44, s[48:49]
	v_add_u16_e32 v45, v2, v17
	v_cndmask_b32_e64 v2, 0, v45, s[50:51]
	v_mov_b32_e32 v47, 0
	v_add_u16_e32 v46, v2, v32
	;;#ASMSTART
	;;#ASMEND
.LBB1292_220:
	s_or_b64 exec, exec, s[52:53]
	s_and_saveexec_b64 s[2:3], vcc
	s_cbranch_execz .LBB1292_222
; %bb.221:
	v_mov_b32_e32 v4, 0
	ds_read_u8 v2, v4 offset:2
	ds_read_u16 v3, v4
	s_waitcnt lgkmcnt(1)
	v_lshlrev_b32_e32 v2, 16, v2
	s_waitcnt lgkmcnt(0)
	v_or_b32_e32 v2, v2, v3
	v_mov_b32_e32 v3, 2
	global_store_dwordx2 v4, v[2:3], s[68:69] offset:512
.LBB1292_222:
	s_or_b64 exec, exec, s[2:3]
	v_lshl_or_b32 v47, v47, 16, v1
.LBB1292_223:
	s_add_u32 s2, s58, s72
	s_addc_u32 s3, s59, s73
	s_add_u32 s4, s2, s56
	s_addc_u32 s5, s3, s57
	s_and_b64 vcc, exec, s[0:1]
	v_mul_u32_u24_e32 v4, 24, v0
	s_cbranch_vccz .LBB1292_275
; %bb.224:
	s_add_i32 s33, s33, s70
	v_cmp_le_u32_e32 vcc, s33, v4
                                        ; implicit-def: $vgpr1
                                        ; implicit-def: $vgpr2
                                        ; implicit-def: $vgpr3
                                        ; implicit-def: $vgpr5
                                        ; implicit-def: $vgpr6
                                        ; implicit-def: $vgpr7
                                        ; implicit-def: $vgpr8
	s_and_saveexec_b64 s[0:1], vcc
	s_xor_b64 s[0:1], exec, s[0:1]
; %bb.225:
	v_or_b32_e32 v1, 1, v4
	v_or_b32_e32 v2, 2, v4
	;; [unrolled: 1-line block ×7, first 2 shown]
; %bb.226:
	s_andn2_saveexec_b64 s[0:1], s[0:1]
; %bb.227:
	v_or_b32_e32 v1, 1, v4
	v_or_b32_e32 v2, 2, v4
	;; [unrolled: 1-line block ×7, first 2 shown]
; %bb.228:
	s_or_b64 exec, exec, s[0:1]
	v_lshlrev_b32_e32 v49, 1, v4
	v_lshlrev_b32_e32 v1, 1, v1
	s_waitcnt lgkmcnt(0)
	; wave barrier
	ds_write_b16 v49, v47
	ds_write_b16 v1, v22
	v_lshlrev_b32_e32 v1, 1, v2
	ds_write_b16 v1, v23
	v_lshlrev_b32_e32 v1, 1, v3
	;; [unrolled: 2-line block ×5, first 2 shown]
	s_mov_b32 s0, 0x5040100
	ds_write_b16 v1, v27
	v_lshlrev_b32_e32 v1, 1, v8
	v_perm_b32 v9, v39, v37, s0
	v_perm_b32 v8, v36, v35, s0
	;; [unrolled: 1-line block ×4, first 2 shown]
	ds_write_b16 v1, v29
	ds_write_b128 v49, v[6:9] offset:16
	v_perm_b32 v9, v46, v45, s0
	v_perm_b32 v8, v44, v43, s0
	;; [unrolled: 1-line block ×4, first 2 shown]
	s_movk_i32 s0, 0xffd2
	v_mad_i32_i24 v2, v0, s0, v49
	ds_write_b128 v49, v[6:9] offset:32
	s_waitcnt lgkmcnt(0)
	; wave barrier
	s_waitcnt lgkmcnt(0)
	ds_read_u16 v52, v2 offset:128
	ds_read_u16 v51, v2 offset:256
	ds_read_u16 v50, v2 offset:384
	ds_read_u16 v48, v2 offset:512
	ds_read_u16 v33, v2 offset:640
	ds_read_u16 v32, v2 offset:768
	ds_read_u16 v21, v2 offset:896
	ds_read_u16 v20, v2 offset:1024
	ds_read_u16 v19, v2 offset:1152
	ds_read_u16 v18, v2 offset:1280
	ds_read_u16 v17, v2 offset:1408
	ds_read_u16 v16, v2 offset:1536
	ds_read_u16 v15, v2 offset:1664
	ds_read_u16 v14, v2 offset:1792
	ds_read_u16 v13, v2 offset:1920
	ds_read_u16 v12, v2 offset:2048
	ds_read_u16 v11, v2 offset:2176
	ds_read_u16 v10, v2 offset:2304
	ds_read_u16 v9, v2 offset:2432
	ds_read_u16 v8, v2 offset:2560
	ds_read_u16 v7, v2 offset:2688
	ds_read_u16 v6, v2 offset:2816
	ds_read_u16 v5, v2 offset:2944
	v_lshlrev_b32_e32 v2, 1, v0
	v_mov_b32_e32 v3, s5
	v_add_co_u32_e32 v2, vcc, s4, v2
	v_addc_co_u32_e32 v3, vcc, 0, v3, vcc
	v_mov_b32_e32 v1, 0
	v_cmp_gt_u32_e32 vcc, s33, v0
	s_and_saveexec_b64 s[0:1], vcc
	s_cbranch_execz .LBB1292_230
; %bb.229:
	v_mul_i32_i24_e32 v53, 0xffffffd2, v0
	v_add_u32_e32 v49, v49, v53
	ds_read_u16 v49, v49
	s_waitcnt lgkmcnt(0)
	flat_store_short v[2:3], v49
.LBB1292_230:
	s_or_b64 exec, exec, s[0:1]
	v_or_b32_e32 v49, 64, v0
	v_cmp_gt_u32_e32 vcc, s33, v49
	s_and_saveexec_b64 s[0:1], vcc
	s_cbranch_execz .LBB1292_232
; %bb.231:
	s_waitcnt lgkmcnt(0)
	flat_store_short v[2:3], v52 offset:128
.LBB1292_232:
	s_or_b64 exec, exec, s[0:1]
	v_or_b32_e32 v49, 0x80, v0
	v_cmp_gt_u32_e32 vcc, s33, v49
	s_and_saveexec_b64 s[0:1], vcc
	s_cbranch_execz .LBB1292_234
; %bb.233:
	s_waitcnt lgkmcnt(0)
	flat_store_short v[2:3], v51 offset:256
.LBB1292_234:
	;; [unrolled: 9-line block ×4, first 2 shown]
	s_or_b64 exec, exec, s[0:1]
	s_waitcnt lgkmcnt(0)
	v_or_b32_e32 v48, 0x140, v0
	v_cmp_gt_u32_e32 vcc, s33, v48
	s_and_saveexec_b64 s[0:1], vcc
	s_cbranch_execz .LBB1292_240
; %bb.239:
	flat_store_short v[2:3], v33 offset:640
.LBB1292_240:
	s_or_b64 exec, exec, s[0:1]
	v_or_b32_e32 v33, 0x180, v0
	v_cmp_gt_u32_e32 vcc, s33, v33
	s_and_saveexec_b64 s[0:1], vcc
	s_cbranch_execz .LBB1292_242
; %bb.241:
	flat_store_short v[2:3], v32 offset:768
.LBB1292_242:
	s_or_b64 exec, exec, s[0:1]
	;; [unrolled: 8-line block ×18, first 2 shown]
	v_or_b32_e32 v2, 0x5c0, v0
	v_cmp_gt_u32_e64 s[0:1], s33, v2
	s_branch .LBB1292_277
.LBB1292_275:
	s_mov_b64 s[0:1], 0
                                        ; implicit-def: $vgpr5
	s_cbranch_execz .LBB1292_277
; %bb.276:
	s_mov_b32 s2, 0x5040100
	v_lshlrev_b32_e32 v6, 1, v4
	v_perm_b32 v5, v29, v27, s2
	v_perm_b32 v4, v26, v25, s2
	;; [unrolled: 1-line block ×4, first 2 shown]
	s_waitcnt lgkmcnt(0)
	; wave barrier
	s_waitcnt lgkmcnt(0)
	ds_write_b128 v6, v[2:5]
	v_perm_b32 v5, v39, v37, s2
	v_perm_b32 v4, v36, v35, s2
	;; [unrolled: 1-line block ×4, first 2 shown]
	ds_write_b128 v6, v[2:5] offset:16
	v_perm_b32 v4, v44, v43, s2
	v_perm_b32 v3, v42, v41, s2
	;; [unrolled: 1-line block ×4, first 2 shown]
	s_movk_i32 s2, 0xffd2
	ds_write_b128 v6, v[2:5] offset:32
	v_mad_i32_i24 v2, v0, s2, v6
	s_waitcnt lgkmcnt(0)
	; wave barrier
	s_waitcnt lgkmcnt(0)
	ds_read_u16 v4, v2
	ds_read_u16 v6, v2 offset:128
	ds_read_u16 v7, v2 offset:256
	;; [unrolled: 1-line block ×23, first 2 shown]
	v_lshlrev_b32_e32 v2, 1, v0
	v_mov_b32_e32 v3, s5
	v_add_co_u32_e32 v2, vcc, s4, v2
	v_mov_b32_e32 v1, 0
	v_addc_co_u32_e32 v3, vcc, 0, v3, vcc
	s_or_b64 s[0:1], s[0:1], exec
	s_waitcnt lgkmcnt(0)
	flat_store_short v[2:3], v4
	flat_store_short v[2:3], v6 offset:128
	flat_store_short v[2:3], v7 offset:256
	;; [unrolled: 1-line block ×22, first 2 shown]
.LBB1292_277:
	s_and_saveexec_b64 s[2:3], s[0:1]
	s_cbranch_execnz .LBB1292_279
; %bb.278:
	s_endpgm
.LBB1292_279:
	v_lshlrev_b64 v[0:1], 1, v[0:1]
	v_mov_b32_e32 v2, s5
	v_add_co_u32_e32 v0, vcc, s4, v0
	v_addc_co_u32_e32 v1, vcc, v2, v1, vcc
	flat_store_short v[0:1], v5 offset:2944
	s_endpgm
.LBB1292_280:
	v_lshlrev_b32_e32 v2, 1, v0
	v_mov_b32_e32 v3, s71
	v_add_co_u32_e32 v2, vcc, s7, v2
	v_addc_co_u32_e32 v3, vcc, 0, v3, vcc
	flat_load_ushort v2, v[2:3]
	s_or_b64 exec, exec, s[60:61]
                                        ; implicit-def: $vgpr3
	s_and_saveexec_b64 s[2:3], s[4:5]
	s_cbranch_execz .LBB1292_57
.LBB1292_281:
	v_lshlrev_b32_e32 v3, 1, v0
	v_mov_b32_e32 v5, s71
	v_add_co_u32_e32 v4, vcc, s7, v3
	v_addc_co_u32_e32 v5, vcc, 0, v5, vcc
	flat_load_ushort v3, v[4:5] offset:128
	s_or_b64 exec, exec, s[2:3]
                                        ; implicit-def: $vgpr4
	s_and_saveexec_b64 s[2:3], s[52:53]
	s_cbranch_execz .LBB1292_58
.LBB1292_282:
	v_lshlrev_b32_e32 v4, 1, v0
	v_mov_b32_e32 v5, s71
	v_add_co_u32_e32 v4, vcc, s7, v4
	v_addc_co_u32_e32 v5, vcc, 0, v5, vcc
	flat_load_ushort v4, v[4:5] offset:256
	s_or_b64 exec, exec, s[2:3]
                                        ; implicit-def: $vgpr5
	s_and_saveexec_b64 s[2:3], s[8:9]
	s_cbranch_execz .LBB1292_59
.LBB1292_283:
	v_lshlrev_b32_e32 v5, 1, v0
	v_mov_b32_e32 v7, s71
	v_add_co_u32_e32 v6, vcc, s7, v5
	v_addc_co_u32_e32 v7, vcc, 0, v7, vcc
	flat_load_ushort v5, v[6:7] offset:384
	s_or_b64 exec, exec, s[2:3]
                                        ; implicit-def: $vgpr6
	s_and_saveexec_b64 s[2:3], s[10:11]
	s_cbranch_execz .LBB1292_60
.LBB1292_284:
	v_lshlrev_b32_e32 v6, 1, v0
	v_mov_b32_e32 v7, s71
	v_add_co_u32_e32 v6, vcc, s7, v6
	v_addc_co_u32_e32 v7, vcc, 0, v7, vcc
	flat_load_ushort v6, v[6:7] offset:512
	s_or_b64 exec, exec, s[2:3]
                                        ; implicit-def: $vgpr7
	s_and_saveexec_b64 s[2:3], s[12:13]
	s_cbranch_execz .LBB1292_61
.LBB1292_285:
	v_lshlrev_b32_e32 v7, 1, v0
	v_mov_b32_e32 v9, s71
	v_add_co_u32_e32 v8, vcc, s7, v7
	v_addc_co_u32_e32 v9, vcc, 0, v9, vcc
	flat_load_ushort v7, v[8:9] offset:640
	s_or_b64 exec, exec, s[2:3]
                                        ; implicit-def: $vgpr8
	s_and_saveexec_b64 s[2:3], s[14:15]
	s_cbranch_execz .LBB1292_62
.LBB1292_286:
	v_lshlrev_b32_e32 v8, 1, v0
	v_mov_b32_e32 v9, s71
	v_add_co_u32_e32 v8, vcc, s7, v8
	v_addc_co_u32_e32 v9, vcc, 0, v9, vcc
	flat_load_ushort v8, v[8:9] offset:768
	s_or_b64 exec, exec, s[2:3]
                                        ; implicit-def: $vgpr9
	s_and_saveexec_b64 s[2:3], s[16:17]
	s_cbranch_execz .LBB1292_63
.LBB1292_287:
	v_lshlrev_b32_e32 v9, 1, v0
	v_mov_b32_e32 v11, s71
	v_add_co_u32_e32 v10, vcc, s7, v9
	v_addc_co_u32_e32 v11, vcc, 0, v11, vcc
	flat_load_ushort v9, v[10:11] offset:896
	s_or_b64 exec, exec, s[2:3]
                                        ; implicit-def: $vgpr10
	s_and_saveexec_b64 s[2:3], s[18:19]
	s_cbranch_execz .LBB1292_64
.LBB1292_288:
	v_lshlrev_b32_e32 v10, 1, v0
	v_mov_b32_e32 v11, s71
	v_add_co_u32_e32 v10, vcc, s7, v10
	v_addc_co_u32_e32 v11, vcc, 0, v11, vcc
	flat_load_ushort v10, v[10:11] offset:1024
	s_or_b64 exec, exec, s[2:3]
                                        ; implicit-def: $vgpr11
	s_and_saveexec_b64 s[2:3], s[20:21]
	s_cbranch_execz .LBB1292_65
.LBB1292_289:
	v_lshlrev_b32_e32 v11, 1, v0
	v_mov_b32_e32 v13, s71
	v_add_co_u32_e32 v12, vcc, s7, v11
	v_addc_co_u32_e32 v13, vcc, 0, v13, vcc
	flat_load_ushort v11, v[12:13] offset:1152
	s_or_b64 exec, exec, s[2:3]
                                        ; implicit-def: $vgpr12
	s_and_saveexec_b64 s[2:3], s[22:23]
	s_cbranch_execz .LBB1292_66
.LBB1292_290:
	v_lshlrev_b32_e32 v12, 1, v0
	v_mov_b32_e32 v13, s71
	v_add_co_u32_e32 v12, vcc, s7, v12
	v_addc_co_u32_e32 v13, vcc, 0, v13, vcc
	flat_load_ushort v12, v[12:13] offset:1280
	s_or_b64 exec, exec, s[2:3]
                                        ; implicit-def: $vgpr13
	s_and_saveexec_b64 s[2:3], s[24:25]
	s_cbranch_execz .LBB1292_67
.LBB1292_291:
	v_lshlrev_b32_e32 v13, 1, v0
	v_mov_b32_e32 v15, s71
	v_add_co_u32_e32 v14, vcc, s7, v13
	v_addc_co_u32_e32 v15, vcc, 0, v15, vcc
	flat_load_ushort v13, v[14:15] offset:1408
	s_or_b64 exec, exec, s[2:3]
                                        ; implicit-def: $vgpr14
	s_and_saveexec_b64 s[2:3], s[26:27]
	s_cbranch_execz .LBB1292_68
.LBB1292_292:
	v_lshlrev_b32_e32 v14, 1, v0
	v_mov_b32_e32 v15, s71
	v_add_co_u32_e32 v14, vcc, s7, v14
	v_addc_co_u32_e32 v15, vcc, 0, v15, vcc
	flat_load_ushort v14, v[14:15] offset:1536
	s_or_b64 exec, exec, s[2:3]
                                        ; implicit-def: $vgpr15
	s_and_saveexec_b64 s[2:3], s[28:29]
	s_cbranch_execz .LBB1292_69
.LBB1292_293:
	v_lshlrev_b32_e32 v15, 1, v0
	v_mov_b32_e32 v17, s71
	v_add_co_u32_e32 v16, vcc, s7, v15
	v_addc_co_u32_e32 v17, vcc, 0, v17, vcc
	flat_load_ushort v15, v[16:17] offset:1664
	s_or_b64 exec, exec, s[2:3]
                                        ; implicit-def: $vgpr16
	s_and_saveexec_b64 s[2:3], s[30:31]
	s_cbranch_execz .LBB1292_70
.LBB1292_294:
	v_lshlrev_b32_e32 v16, 1, v0
	v_mov_b32_e32 v17, s71
	v_add_co_u32_e32 v16, vcc, s7, v16
	v_addc_co_u32_e32 v17, vcc, 0, v17, vcc
	flat_load_ushort v16, v[16:17] offset:1792
	s_or_b64 exec, exec, s[2:3]
                                        ; implicit-def: $vgpr17
	s_and_saveexec_b64 s[2:3], s[34:35]
	s_cbranch_execz .LBB1292_71
.LBB1292_295:
	v_lshlrev_b32_e32 v17, 1, v0
	v_mov_b32_e32 v19, s71
	v_add_co_u32_e32 v18, vcc, s7, v17
	v_addc_co_u32_e32 v19, vcc, 0, v19, vcc
	flat_load_ushort v17, v[18:19] offset:1920
	s_or_b64 exec, exec, s[2:3]
                                        ; implicit-def: $vgpr18
	s_and_saveexec_b64 s[2:3], s[36:37]
	s_cbranch_execz .LBB1292_72
.LBB1292_296:
	v_lshlrev_b32_e32 v18, 1, v0
	v_mov_b32_e32 v19, s71
	v_add_co_u32_e32 v18, vcc, s7, v18
	v_addc_co_u32_e32 v19, vcc, 0, v19, vcc
	flat_load_ushort v18, v[18:19] offset:2048
	s_or_b64 exec, exec, s[2:3]
                                        ; implicit-def: $vgpr19
	s_and_saveexec_b64 s[2:3], s[38:39]
	s_cbranch_execz .LBB1292_73
.LBB1292_297:
	v_lshlrev_b32_e32 v19, 1, v0
	v_mov_b32_e32 v21, s71
	v_add_co_u32_e32 v20, vcc, s7, v19
	v_addc_co_u32_e32 v21, vcc, 0, v21, vcc
	flat_load_ushort v19, v[20:21] offset:2176
	s_or_b64 exec, exec, s[2:3]
                                        ; implicit-def: $vgpr20
	s_and_saveexec_b64 s[2:3], s[40:41]
	s_cbranch_execz .LBB1292_74
.LBB1292_298:
	v_lshlrev_b32_e32 v20, 1, v0
	v_mov_b32_e32 v21, s71
	v_add_co_u32_e32 v20, vcc, s7, v20
	v_addc_co_u32_e32 v21, vcc, 0, v21, vcc
	flat_load_ushort v20, v[20:21] offset:2304
	s_or_b64 exec, exec, s[2:3]
                                        ; implicit-def: $vgpr21
	s_and_saveexec_b64 s[2:3], s[42:43]
	s_cbranch_execz .LBB1292_75
.LBB1292_299:
	v_lshlrev_b32_e32 v21, 1, v0
	v_mov_b32_e32 v47, s71
	v_add_co_u32_e32 v48, vcc, s7, v21
	v_addc_co_u32_e32 v49, vcc, 0, v47, vcc
	flat_load_ushort v21, v[48:49] offset:2432
	s_or_b64 exec, exec, s[2:3]
                                        ; implicit-def: $vgpr48
	s_and_saveexec_b64 s[2:3], s[44:45]
	s_cbranch_execz .LBB1292_76
.LBB1292_300:
	v_lshlrev_b32_e32 v47, 1, v0
	v_mov_b32_e32 v49, s71
	v_add_co_u32_e32 v48, vcc, s7, v47
	v_addc_co_u32_e32 v49, vcc, 0, v49, vcc
	flat_load_ushort v48, v[48:49] offset:2560
	s_or_b64 exec, exec, s[2:3]
                                        ; implicit-def: $vgpr49
	s_and_saveexec_b64 s[2:3], s[46:47]
	s_cbranch_execz .LBB1292_77
.LBB1292_301:
	v_lshlrev_b32_e32 v47, 1, v0
	v_mov_b32_e32 v49, s71
	v_add_co_u32_e32 v50, vcc, s7, v47
	v_addc_co_u32_e32 v51, vcc, 0, v49, vcc
	flat_load_ushort v49, v[50:51] offset:2688
	s_or_b64 exec, exec, s[2:3]
                                        ; implicit-def: $vgpr50
	s_and_saveexec_b64 s[2:3], s[48:49]
	s_cbranch_execz .LBB1292_78
.LBB1292_302:
	v_lshlrev_b32_e32 v47, 1, v0
	v_mov_b32_e32 v51, s71
	v_add_co_u32_e32 v50, vcc, s7, v47
	v_addc_co_u32_e32 v51, vcc, 0, v51, vcc
	flat_load_ushort v50, v[50:51] offset:2816
	s_or_b64 exec, exec, s[2:3]
                                        ; implicit-def: $vgpr51
	s_and_saveexec_b64 s[2:3], s[50:51]
	s_cbranch_execnz .LBB1292_79
	s_branch .LBB1292_80
.LBB1292_303:
                                        ; implicit-def: $sgpr60_sgpr61
	s_branch .LBB1292_52
.LBB1292_304:
                                        ; implicit-def: $sgpr2_sgpr3
	s_branch .LBB1292_131
	.section	.rodata,"a",@progbits
	.p2align	6, 0x0
	.amdhsa_kernel _ZN7rocprim17ROCPRIM_400000_NS6detail17trampoline_kernelINS0_14default_configENS1_27scan_by_key_config_selectorIitEEZZNS1_16scan_by_key_implILNS1_25lookback_scan_determinismE0ELb0ES3_N6thrust23THRUST_200600_302600_NS6detail15normal_iteratorINS9_10device_ptrIiEEEENSB_INSC_ItEEEESG_tNS9_4plusIvEENS9_8equal_toIvEEtEE10hipError_tPvRmT2_T3_T4_T5_mT6_T7_P12ihipStream_tbENKUlT_T0_E_clISt17integral_constantIbLb1EES10_IbLb0EEEEDaSW_SX_EUlSW_E_NS1_11comp_targetILNS1_3genE4ELNS1_11target_archE910ELNS1_3gpuE8ELNS1_3repE0EEENS1_30default_config_static_selectorELNS0_4arch9wavefront6targetE1EEEvT1_
		.amdhsa_group_segment_fixed_size 6656
		.amdhsa_private_segment_fixed_size 0
		.amdhsa_kernarg_size 112
		.amdhsa_user_sgpr_count 6
		.amdhsa_user_sgpr_private_segment_buffer 1
		.amdhsa_user_sgpr_dispatch_ptr 0
		.amdhsa_user_sgpr_queue_ptr 0
		.amdhsa_user_sgpr_kernarg_segment_ptr 1
		.amdhsa_user_sgpr_dispatch_id 0
		.amdhsa_user_sgpr_flat_scratch_init 0
		.amdhsa_user_sgpr_kernarg_preload_length 0
		.amdhsa_user_sgpr_kernarg_preload_offset 0
		.amdhsa_user_sgpr_private_segment_size 0
		.amdhsa_uses_dynamic_stack 0
		.amdhsa_system_sgpr_private_segment_wavefront_offset 0
		.amdhsa_system_sgpr_workgroup_id_x 1
		.amdhsa_system_sgpr_workgroup_id_y 0
		.amdhsa_system_sgpr_workgroup_id_z 0
		.amdhsa_system_sgpr_workgroup_info 0
		.amdhsa_system_vgpr_workitem_id 0
		.amdhsa_next_free_vgpr 58
		.amdhsa_next_free_sgpr 83
		.amdhsa_accum_offset 60
		.amdhsa_reserve_vcc 1
		.amdhsa_reserve_flat_scratch 0
		.amdhsa_float_round_mode_32 0
		.amdhsa_float_round_mode_16_64 0
		.amdhsa_float_denorm_mode_32 3
		.amdhsa_float_denorm_mode_16_64 3
		.amdhsa_dx10_clamp 1
		.amdhsa_ieee_mode 1
		.amdhsa_fp16_overflow 0
		.amdhsa_tg_split 0
		.amdhsa_exception_fp_ieee_invalid_op 0
		.amdhsa_exception_fp_denorm_src 0
		.amdhsa_exception_fp_ieee_div_zero 0
		.amdhsa_exception_fp_ieee_overflow 0
		.amdhsa_exception_fp_ieee_underflow 0
		.amdhsa_exception_fp_ieee_inexact 0
		.amdhsa_exception_int_div_zero 0
	.end_amdhsa_kernel
	.section	.text._ZN7rocprim17ROCPRIM_400000_NS6detail17trampoline_kernelINS0_14default_configENS1_27scan_by_key_config_selectorIitEEZZNS1_16scan_by_key_implILNS1_25lookback_scan_determinismE0ELb0ES3_N6thrust23THRUST_200600_302600_NS6detail15normal_iteratorINS9_10device_ptrIiEEEENSB_INSC_ItEEEESG_tNS9_4plusIvEENS9_8equal_toIvEEtEE10hipError_tPvRmT2_T3_T4_T5_mT6_T7_P12ihipStream_tbENKUlT_T0_E_clISt17integral_constantIbLb1EES10_IbLb0EEEEDaSW_SX_EUlSW_E_NS1_11comp_targetILNS1_3genE4ELNS1_11target_archE910ELNS1_3gpuE8ELNS1_3repE0EEENS1_30default_config_static_selectorELNS0_4arch9wavefront6targetE1EEEvT1_,"axG",@progbits,_ZN7rocprim17ROCPRIM_400000_NS6detail17trampoline_kernelINS0_14default_configENS1_27scan_by_key_config_selectorIitEEZZNS1_16scan_by_key_implILNS1_25lookback_scan_determinismE0ELb0ES3_N6thrust23THRUST_200600_302600_NS6detail15normal_iteratorINS9_10device_ptrIiEEEENSB_INSC_ItEEEESG_tNS9_4plusIvEENS9_8equal_toIvEEtEE10hipError_tPvRmT2_T3_T4_T5_mT6_T7_P12ihipStream_tbENKUlT_T0_E_clISt17integral_constantIbLb1EES10_IbLb0EEEEDaSW_SX_EUlSW_E_NS1_11comp_targetILNS1_3genE4ELNS1_11target_archE910ELNS1_3gpuE8ELNS1_3repE0EEENS1_30default_config_static_selectorELNS0_4arch9wavefront6targetE1EEEvT1_,comdat
.Lfunc_end1292:
	.size	_ZN7rocprim17ROCPRIM_400000_NS6detail17trampoline_kernelINS0_14default_configENS1_27scan_by_key_config_selectorIitEEZZNS1_16scan_by_key_implILNS1_25lookback_scan_determinismE0ELb0ES3_N6thrust23THRUST_200600_302600_NS6detail15normal_iteratorINS9_10device_ptrIiEEEENSB_INSC_ItEEEESG_tNS9_4plusIvEENS9_8equal_toIvEEtEE10hipError_tPvRmT2_T3_T4_T5_mT6_T7_P12ihipStream_tbENKUlT_T0_E_clISt17integral_constantIbLb1EES10_IbLb0EEEEDaSW_SX_EUlSW_E_NS1_11comp_targetILNS1_3genE4ELNS1_11target_archE910ELNS1_3gpuE8ELNS1_3repE0EEENS1_30default_config_static_selectorELNS0_4arch9wavefront6targetE1EEEvT1_, .Lfunc_end1292-_ZN7rocprim17ROCPRIM_400000_NS6detail17trampoline_kernelINS0_14default_configENS1_27scan_by_key_config_selectorIitEEZZNS1_16scan_by_key_implILNS1_25lookback_scan_determinismE0ELb0ES3_N6thrust23THRUST_200600_302600_NS6detail15normal_iteratorINS9_10device_ptrIiEEEENSB_INSC_ItEEEESG_tNS9_4plusIvEENS9_8equal_toIvEEtEE10hipError_tPvRmT2_T3_T4_T5_mT6_T7_P12ihipStream_tbENKUlT_T0_E_clISt17integral_constantIbLb1EES10_IbLb0EEEEDaSW_SX_EUlSW_E_NS1_11comp_targetILNS1_3genE4ELNS1_11target_archE910ELNS1_3gpuE8ELNS1_3repE0EEENS1_30default_config_static_selectorELNS0_4arch9wavefront6targetE1EEEvT1_
                                        ; -- End function
	.section	.AMDGPU.csdata,"",@progbits
; Kernel info:
; codeLenInByte = 15228
; NumSgprs: 87
; NumVgprs: 58
; NumAgprs: 0
; TotalNumVgprs: 58
; ScratchSize: 0
; MemoryBound: 0
; FloatMode: 240
; IeeeMode: 1
; LDSByteSize: 6656 bytes/workgroup (compile time only)
; SGPRBlocks: 10
; VGPRBlocks: 7
; NumSGPRsForWavesPerEU: 87
; NumVGPRsForWavesPerEU: 58
; AccumOffset: 60
; Occupancy: 3
; WaveLimiterHint : 1
; COMPUTE_PGM_RSRC2:SCRATCH_EN: 0
; COMPUTE_PGM_RSRC2:USER_SGPR: 6
; COMPUTE_PGM_RSRC2:TRAP_HANDLER: 0
; COMPUTE_PGM_RSRC2:TGID_X_EN: 1
; COMPUTE_PGM_RSRC2:TGID_Y_EN: 0
; COMPUTE_PGM_RSRC2:TGID_Z_EN: 0
; COMPUTE_PGM_RSRC2:TIDIG_COMP_CNT: 0
; COMPUTE_PGM_RSRC3_GFX90A:ACCUM_OFFSET: 14
; COMPUTE_PGM_RSRC3_GFX90A:TG_SPLIT: 0
	.section	.text._ZN7rocprim17ROCPRIM_400000_NS6detail17trampoline_kernelINS0_14default_configENS1_27scan_by_key_config_selectorIitEEZZNS1_16scan_by_key_implILNS1_25lookback_scan_determinismE0ELb0ES3_N6thrust23THRUST_200600_302600_NS6detail15normal_iteratorINS9_10device_ptrIiEEEENSB_INSC_ItEEEESG_tNS9_4plusIvEENS9_8equal_toIvEEtEE10hipError_tPvRmT2_T3_T4_T5_mT6_T7_P12ihipStream_tbENKUlT_T0_E_clISt17integral_constantIbLb1EES10_IbLb0EEEEDaSW_SX_EUlSW_E_NS1_11comp_targetILNS1_3genE3ELNS1_11target_archE908ELNS1_3gpuE7ELNS1_3repE0EEENS1_30default_config_static_selectorELNS0_4arch9wavefront6targetE1EEEvT1_,"axG",@progbits,_ZN7rocprim17ROCPRIM_400000_NS6detail17trampoline_kernelINS0_14default_configENS1_27scan_by_key_config_selectorIitEEZZNS1_16scan_by_key_implILNS1_25lookback_scan_determinismE0ELb0ES3_N6thrust23THRUST_200600_302600_NS6detail15normal_iteratorINS9_10device_ptrIiEEEENSB_INSC_ItEEEESG_tNS9_4plusIvEENS9_8equal_toIvEEtEE10hipError_tPvRmT2_T3_T4_T5_mT6_T7_P12ihipStream_tbENKUlT_T0_E_clISt17integral_constantIbLb1EES10_IbLb0EEEEDaSW_SX_EUlSW_E_NS1_11comp_targetILNS1_3genE3ELNS1_11target_archE908ELNS1_3gpuE7ELNS1_3repE0EEENS1_30default_config_static_selectorELNS0_4arch9wavefront6targetE1EEEvT1_,comdat
	.protected	_ZN7rocprim17ROCPRIM_400000_NS6detail17trampoline_kernelINS0_14default_configENS1_27scan_by_key_config_selectorIitEEZZNS1_16scan_by_key_implILNS1_25lookback_scan_determinismE0ELb0ES3_N6thrust23THRUST_200600_302600_NS6detail15normal_iteratorINS9_10device_ptrIiEEEENSB_INSC_ItEEEESG_tNS9_4plusIvEENS9_8equal_toIvEEtEE10hipError_tPvRmT2_T3_T4_T5_mT6_T7_P12ihipStream_tbENKUlT_T0_E_clISt17integral_constantIbLb1EES10_IbLb0EEEEDaSW_SX_EUlSW_E_NS1_11comp_targetILNS1_3genE3ELNS1_11target_archE908ELNS1_3gpuE7ELNS1_3repE0EEENS1_30default_config_static_selectorELNS0_4arch9wavefront6targetE1EEEvT1_ ; -- Begin function _ZN7rocprim17ROCPRIM_400000_NS6detail17trampoline_kernelINS0_14default_configENS1_27scan_by_key_config_selectorIitEEZZNS1_16scan_by_key_implILNS1_25lookback_scan_determinismE0ELb0ES3_N6thrust23THRUST_200600_302600_NS6detail15normal_iteratorINS9_10device_ptrIiEEEENSB_INSC_ItEEEESG_tNS9_4plusIvEENS9_8equal_toIvEEtEE10hipError_tPvRmT2_T3_T4_T5_mT6_T7_P12ihipStream_tbENKUlT_T0_E_clISt17integral_constantIbLb1EES10_IbLb0EEEEDaSW_SX_EUlSW_E_NS1_11comp_targetILNS1_3genE3ELNS1_11target_archE908ELNS1_3gpuE7ELNS1_3repE0EEENS1_30default_config_static_selectorELNS0_4arch9wavefront6targetE1EEEvT1_
	.globl	_ZN7rocprim17ROCPRIM_400000_NS6detail17trampoline_kernelINS0_14default_configENS1_27scan_by_key_config_selectorIitEEZZNS1_16scan_by_key_implILNS1_25lookback_scan_determinismE0ELb0ES3_N6thrust23THRUST_200600_302600_NS6detail15normal_iteratorINS9_10device_ptrIiEEEENSB_INSC_ItEEEESG_tNS9_4plusIvEENS9_8equal_toIvEEtEE10hipError_tPvRmT2_T3_T4_T5_mT6_T7_P12ihipStream_tbENKUlT_T0_E_clISt17integral_constantIbLb1EES10_IbLb0EEEEDaSW_SX_EUlSW_E_NS1_11comp_targetILNS1_3genE3ELNS1_11target_archE908ELNS1_3gpuE7ELNS1_3repE0EEENS1_30default_config_static_selectorELNS0_4arch9wavefront6targetE1EEEvT1_
	.p2align	8
	.type	_ZN7rocprim17ROCPRIM_400000_NS6detail17trampoline_kernelINS0_14default_configENS1_27scan_by_key_config_selectorIitEEZZNS1_16scan_by_key_implILNS1_25lookback_scan_determinismE0ELb0ES3_N6thrust23THRUST_200600_302600_NS6detail15normal_iteratorINS9_10device_ptrIiEEEENSB_INSC_ItEEEESG_tNS9_4plusIvEENS9_8equal_toIvEEtEE10hipError_tPvRmT2_T3_T4_T5_mT6_T7_P12ihipStream_tbENKUlT_T0_E_clISt17integral_constantIbLb1EES10_IbLb0EEEEDaSW_SX_EUlSW_E_NS1_11comp_targetILNS1_3genE3ELNS1_11target_archE908ELNS1_3gpuE7ELNS1_3repE0EEENS1_30default_config_static_selectorELNS0_4arch9wavefront6targetE1EEEvT1_,@function
_ZN7rocprim17ROCPRIM_400000_NS6detail17trampoline_kernelINS0_14default_configENS1_27scan_by_key_config_selectorIitEEZZNS1_16scan_by_key_implILNS1_25lookback_scan_determinismE0ELb0ES3_N6thrust23THRUST_200600_302600_NS6detail15normal_iteratorINS9_10device_ptrIiEEEENSB_INSC_ItEEEESG_tNS9_4plusIvEENS9_8equal_toIvEEtEE10hipError_tPvRmT2_T3_T4_T5_mT6_T7_P12ihipStream_tbENKUlT_T0_E_clISt17integral_constantIbLb1EES10_IbLb0EEEEDaSW_SX_EUlSW_E_NS1_11comp_targetILNS1_3genE3ELNS1_11target_archE908ELNS1_3gpuE7ELNS1_3repE0EEENS1_30default_config_static_selectorELNS0_4arch9wavefront6targetE1EEEvT1_: ; @_ZN7rocprim17ROCPRIM_400000_NS6detail17trampoline_kernelINS0_14default_configENS1_27scan_by_key_config_selectorIitEEZZNS1_16scan_by_key_implILNS1_25lookback_scan_determinismE0ELb0ES3_N6thrust23THRUST_200600_302600_NS6detail15normal_iteratorINS9_10device_ptrIiEEEENSB_INSC_ItEEEESG_tNS9_4plusIvEENS9_8equal_toIvEEtEE10hipError_tPvRmT2_T3_T4_T5_mT6_T7_P12ihipStream_tbENKUlT_T0_E_clISt17integral_constantIbLb1EES10_IbLb0EEEEDaSW_SX_EUlSW_E_NS1_11comp_targetILNS1_3genE3ELNS1_11target_archE908ELNS1_3gpuE7ELNS1_3repE0EEENS1_30default_config_static_selectorELNS0_4arch9wavefront6targetE1EEEvT1_
; %bb.0:
	.section	.rodata,"a",@progbits
	.p2align	6, 0x0
	.amdhsa_kernel _ZN7rocprim17ROCPRIM_400000_NS6detail17trampoline_kernelINS0_14default_configENS1_27scan_by_key_config_selectorIitEEZZNS1_16scan_by_key_implILNS1_25lookback_scan_determinismE0ELb0ES3_N6thrust23THRUST_200600_302600_NS6detail15normal_iteratorINS9_10device_ptrIiEEEENSB_INSC_ItEEEESG_tNS9_4plusIvEENS9_8equal_toIvEEtEE10hipError_tPvRmT2_T3_T4_T5_mT6_T7_P12ihipStream_tbENKUlT_T0_E_clISt17integral_constantIbLb1EES10_IbLb0EEEEDaSW_SX_EUlSW_E_NS1_11comp_targetILNS1_3genE3ELNS1_11target_archE908ELNS1_3gpuE7ELNS1_3repE0EEENS1_30default_config_static_selectorELNS0_4arch9wavefront6targetE1EEEvT1_
		.amdhsa_group_segment_fixed_size 0
		.amdhsa_private_segment_fixed_size 0
		.amdhsa_kernarg_size 112
		.amdhsa_user_sgpr_count 6
		.amdhsa_user_sgpr_private_segment_buffer 1
		.amdhsa_user_sgpr_dispatch_ptr 0
		.amdhsa_user_sgpr_queue_ptr 0
		.amdhsa_user_sgpr_kernarg_segment_ptr 1
		.amdhsa_user_sgpr_dispatch_id 0
		.amdhsa_user_sgpr_flat_scratch_init 0
		.amdhsa_user_sgpr_kernarg_preload_length 0
		.amdhsa_user_sgpr_kernarg_preload_offset 0
		.amdhsa_user_sgpr_private_segment_size 0
		.amdhsa_uses_dynamic_stack 0
		.amdhsa_system_sgpr_private_segment_wavefront_offset 0
		.amdhsa_system_sgpr_workgroup_id_x 1
		.amdhsa_system_sgpr_workgroup_id_y 0
		.amdhsa_system_sgpr_workgroup_id_z 0
		.amdhsa_system_sgpr_workgroup_info 0
		.amdhsa_system_vgpr_workitem_id 0
		.amdhsa_next_free_vgpr 1
		.amdhsa_next_free_sgpr 0
		.amdhsa_accum_offset 4
		.amdhsa_reserve_vcc 0
		.amdhsa_reserve_flat_scratch 0
		.amdhsa_float_round_mode_32 0
		.amdhsa_float_round_mode_16_64 0
		.amdhsa_float_denorm_mode_32 3
		.amdhsa_float_denorm_mode_16_64 3
		.amdhsa_dx10_clamp 1
		.amdhsa_ieee_mode 1
		.amdhsa_fp16_overflow 0
		.amdhsa_tg_split 0
		.amdhsa_exception_fp_ieee_invalid_op 0
		.amdhsa_exception_fp_denorm_src 0
		.amdhsa_exception_fp_ieee_div_zero 0
		.amdhsa_exception_fp_ieee_overflow 0
		.amdhsa_exception_fp_ieee_underflow 0
		.amdhsa_exception_fp_ieee_inexact 0
		.amdhsa_exception_int_div_zero 0
	.end_amdhsa_kernel
	.section	.text._ZN7rocprim17ROCPRIM_400000_NS6detail17trampoline_kernelINS0_14default_configENS1_27scan_by_key_config_selectorIitEEZZNS1_16scan_by_key_implILNS1_25lookback_scan_determinismE0ELb0ES3_N6thrust23THRUST_200600_302600_NS6detail15normal_iteratorINS9_10device_ptrIiEEEENSB_INSC_ItEEEESG_tNS9_4plusIvEENS9_8equal_toIvEEtEE10hipError_tPvRmT2_T3_T4_T5_mT6_T7_P12ihipStream_tbENKUlT_T0_E_clISt17integral_constantIbLb1EES10_IbLb0EEEEDaSW_SX_EUlSW_E_NS1_11comp_targetILNS1_3genE3ELNS1_11target_archE908ELNS1_3gpuE7ELNS1_3repE0EEENS1_30default_config_static_selectorELNS0_4arch9wavefront6targetE1EEEvT1_,"axG",@progbits,_ZN7rocprim17ROCPRIM_400000_NS6detail17trampoline_kernelINS0_14default_configENS1_27scan_by_key_config_selectorIitEEZZNS1_16scan_by_key_implILNS1_25lookback_scan_determinismE0ELb0ES3_N6thrust23THRUST_200600_302600_NS6detail15normal_iteratorINS9_10device_ptrIiEEEENSB_INSC_ItEEEESG_tNS9_4plusIvEENS9_8equal_toIvEEtEE10hipError_tPvRmT2_T3_T4_T5_mT6_T7_P12ihipStream_tbENKUlT_T0_E_clISt17integral_constantIbLb1EES10_IbLb0EEEEDaSW_SX_EUlSW_E_NS1_11comp_targetILNS1_3genE3ELNS1_11target_archE908ELNS1_3gpuE7ELNS1_3repE0EEENS1_30default_config_static_selectorELNS0_4arch9wavefront6targetE1EEEvT1_,comdat
.Lfunc_end1293:
	.size	_ZN7rocprim17ROCPRIM_400000_NS6detail17trampoline_kernelINS0_14default_configENS1_27scan_by_key_config_selectorIitEEZZNS1_16scan_by_key_implILNS1_25lookback_scan_determinismE0ELb0ES3_N6thrust23THRUST_200600_302600_NS6detail15normal_iteratorINS9_10device_ptrIiEEEENSB_INSC_ItEEEESG_tNS9_4plusIvEENS9_8equal_toIvEEtEE10hipError_tPvRmT2_T3_T4_T5_mT6_T7_P12ihipStream_tbENKUlT_T0_E_clISt17integral_constantIbLb1EES10_IbLb0EEEEDaSW_SX_EUlSW_E_NS1_11comp_targetILNS1_3genE3ELNS1_11target_archE908ELNS1_3gpuE7ELNS1_3repE0EEENS1_30default_config_static_selectorELNS0_4arch9wavefront6targetE1EEEvT1_, .Lfunc_end1293-_ZN7rocprim17ROCPRIM_400000_NS6detail17trampoline_kernelINS0_14default_configENS1_27scan_by_key_config_selectorIitEEZZNS1_16scan_by_key_implILNS1_25lookback_scan_determinismE0ELb0ES3_N6thrust23THRUST_200600_302600_NS6detail15normal_iteratorINS9_10device_ptrIiEEEENSB_INSC_ItEEEESG_tNS9_4plusIvEENS9_8equal_toIvEEtEE10hipError_tPvRmT2_T3_T4_T5_mT6_T7_P12ihipStream_tbENKUlT_T0_E_clISt17integral_constantIbLb1EES10_IbLb0EEEEDaSW_SX_EUlSW_E_NS1_11comp_targetILNS1_3genE3ELNS1_11target_archE908ELNS1_3gpuE7ELNS1_3repE0EEENS1_30default_config_static_selectorELNS0_4arch9wavefront6targetE1EEEvT1_
                                        ; -- End function
	.section	.AMDGPU.csdata,"",@progbits
; Kernel info:
; codeLenInByte = 0
; NumSgprs: 4
; NumVgprs: 0
; NumAgprs: 0
; TotalNumVgprs: 0
; ScratchSize: 0
; MemoryBound: 0
; FloatMode: 240
; IeeeMode: 1
; LDSByteSize: 0 bytes/workgroup (compile time only)
; SGPRBlocks: 0
; VGPRBlocks: 0
; NumSGPRsForWavesPerEU: 4
; NumVGPRsForWavesPerEU: 1
; AccumOffset: 4
; Occupancy: 8
; WaveLimiterHint : 0
; COMPUTE_PGM_RSRC2:SCRATCH_EN: 0
; COMPUTE_PGM_RSRC2:USER_SGPR: 6
; COMPUTE_PGM_RSRC2:TRAP_HANDLER: 0
; COMPUTE_PGM_RSRC2:TGID_X_EN: 1
; COMPUTE_PGM_RSRC2:TGID_Y_EN: 0
; COMPUTE_PGM_RSRC2:TGID_Z_EN: 0
; COMPUTE_PGM_RSRC2:TIDIG_COMP_CNT: 0
; COMPUTE_PGM_RSRC3_GFX90A:ACCUM_OFFSET: 0
; COMPUTE_PGM_RSRC3_GFX90A:TG_SPLIT: 0
	.section	.text._ZN7rocprim17ROCPRIM_400000_NS6detail17trampoline_kernelINS0_14default_configENS1_27scan_by_key_config_selectorIitEEZZNS1_16scan_by_key_implILNS1_25lookback_scan_determinismE0ELb0ES3_N6thrust23THRUST_200600_302600_NS6detail15normal_iteratorINS9_10device_ptrIiEEEENSB_INSC_ItEEEESG_tNS9_4plusIvEENS9_8equal_toIvEEtEE10hipError_tPvRmT2_T3_T4_T5_mT6_T7_P12ihipStream_tbENKUlT_T0_E_clISt17integral_constantIbLb1EES10_IbLb0EEEEDaSW_SX_EUlSW_E_NS1_11comp_targetILNS1_3genE2ELNS1_11target_archE906ELNS1_3gpuE6ELNS1_3repE0EEENS1_30default_config_static_selectorELNS0_4arch9wavefront6targetE1EEEvT1_,"axG",@progbits,_ZN7rocprim17ROCPRIM_400000_NS6detail17trampoline_kernelINS0_14default_configENS1_27scan_by_key_config_selectorIitEEZZNS1_16scan_by_key_implILNS1_25lookback_scan_determinismE0ELb0ES3_N6thrust23THRUST_200600_302600_NS6detail15normal_iteratorINS9_10device_ptrIiEEEENSB_INSC_ItEEEESG_tNS9_4plusIvEENS9_8equal_toIvEEtEE10hipError_tPvRmT2_T3_T4_T5_mT6_T7_P12ihipStream_tbENKUlT_T0_E_clISt17integral_constantIbLb1EES10_IbLb0EEEEDaSW_SX_EUlSW_E_NS1_11comp_targetILNS1_3genE2ELNS1_11target_archE906ELNS1_3gpuE6ELNS1_3repE0EEENS1_30default_config_static_selectorELNS0_4arch9wavefront6targetE1EEEvT1_,comdat
	.protected	_ZN7rocprim17ROCPRIM_400000_NS6detail17trampoline_kernelINS0_14default_configENS1_27scan_by_key_config_selectorIitEEZZNS1_16scan_by_key_implILNS1_25lookback_scan_determinismE0ELb0ES3_N6thrust23THRUST_200600_302600_NS6detail15normal_iteratorINS9_10device_ptrIiEEEENSB_INSC_ItEEEESG_tNS9_4plusIvEENS9_8equal_toIvEEtEE10hipError_tPvRmT2_T3_T4_T5_mT6_T7_P12ihipStream_tbENKUlT_T0_E_clISt17integral_constantIbLb1EES10_IbLb0EEEEDaSW_SX_EUlSW_E_NS1_11comp_targetILNS1_3genE2ELNS1_11target_archE906ELNS1_3gpuE6ELNS1_3repE0EEENS1_30default_config_static_selectorELNS0_4arch9wavefront6targetE1EEEvT1_ ; -- Begin function _ZN7rocprim17ROCPRIM_400000_NS6detail17trampoline_kernelINS0_14default_configENS1_27scan_by_key_config_selectorIitEEZZNS1_16scan_by_key_implILNS1_25lookback_scan_determinismE0ELb0ES3_N6thrust23THRUST_200600_302600_NS6detail15normal_iteratorINS9_10device_ptrIiEEEENSB_INSC_ItEEEESG_tNS9_4plusIvEENS9_8equal_toIvEEtEE10hipError_tPvRmT2_T3_T4_T5_mT6_T7_P12ihipStream_tbENKUlT_T0_E_clISt17integral_constantIbLb1EES10_IbLb0EEEEDaSW_SX_EUlSW_E_NS1_11comp_targetILNS1_3genE2ELNS1_11target_archE906ELNS1_3gpuE6ELNS1_3repE0EEENS1_30default_config_static_selectorELNS0_4arch9wavefront6targetE1EEEvT1_
	.globl	_ZN7rocprim17ROCPRIM_400000_NS6detail17trampoline_kernelINS0_14default_configENS1_27scan_by_key_config_selectorIitEEZZNS1_16scan_by_key_implILNS1_25lookback_scan_determinismE0ELb0ES3_N6thrust23THRUST_200600_302600_NS6detail15normal_iteratorINS9_10device_ptrIiEEEENSB_INSC_ItEEEESG_tNS9_4plusIvEENS9_8equal_toIvEEtEE10hipError_tPvRmT2_T3_T4_T5_mT6_T7_P12ihipStream_tbENKUlT_T0_E_clISt17integral_constantIbLb1EES10_IbLb0EEEEDaSW_SX_EUlSW_E_NS1_11comp_targetILNS1_3genE2ELNS1_11target_archE906ELNS1_3gpuE6ELNS1_3repE0EEENS1_30default_config_static_selectorELNS0_4arch9wavefront6targetE1EEEvT1_
	.p2align	8
	.type	_ZN7rocprim17ROCPRIM_400000_NS6detail17trampoline_kernelINS0_14default_configENS1_27scan_by_key_config_selectorIitEEZZNS1_16scan_by_key_implILNS1_25lookback_scan_determinismE0ELb0ES3_N6thrust23THRUST_200600_302600_NS6detail15normal_iteratorINS9_10device_ptrIiEEEENSB_INSC_ItEEEESG_tNS9_4plusIvEENS9_8equal_toIvEEtEE10hipError_tPvRmT2_T3_T4_T5_mT6_T7_P12ihipStream_tbENKUlT_T0_E_clISt17integral_constantIbLb1EES10_IbLb0EEEEDaSW_SX_EUlSW_E_NS1_11comp_targetILNS1_3genE2ELNS1_11target_archE906ELNS1_3gpuE6ELNS1_3repE0EEENS1_30default_config_static_selectorELNS0_4arch9wavefront6targetE1EEEvT1_,@function
_ZN7rocprim17ROCPRIM_400000_NS6detail17trampoline_kernelINS0_14default_configENS1_27scan_by_key_config_selectorIitEEZZNS1_16scan_by_key_implILNS1_25lookback_scan_determinismE0ELb0ES3_N6thrust23THRUST_200600_302600_NS6detail15normal_iteratorINS9_10device_ptrIiEEEENSB_INSC_ItEEEESG_tNS9_4plusIvEENS9_8equal_toIvEEtEE10hipError_tPvRmT2_T3_T4_T5_mT6_T7_P12ihipStream_tbENKUlT_T0_E_clISt17integral_constantIbLb1EES10_IbLb0EEEEDaSW_SX_EUlSW_E_NS1_11comp_targetILNS1_3genE2ELNS1_11target_archE906ELNS1_3gpuE6ELNS1_3repE0EEENS1_30default_config_static_selectorELNS0_4arch9wavefront6targetE1EEEvT1_: ; @_ZN7rocprim17ROCPRIM_400000_NS6detail17trampoline_kernelINS0_14default_configENS1_27scan_by_key_config_selectorIitEEZZNS1_16scan_by_key_implILNS1_25lookback_scan_determinismE0ELb0ES3_N6thrust23THRUST_200600_302600_NS6detail15normal_iteratorINS9_10device_ptrIiEEEENSB_INSC_ItEEEESG_tNS9_4plusIvEENS9_8equal_toIvEEtEE10hipError_tPvRmT2_T3_T4_T5_mT6_T7_P12ihipStream_tbENKUlT_T0_E_clISt17integral_constantIbLb1EES10_IbLb0EEEEDaSW_SX_EUlSW_E_NS1_11comp_targetILNS1_3genE2ELNS1_11target_archE906ELNS1_3gpuE6ELNS1_3repE0EEENS1_30default_config_static_selectorELNS0_4arch9wavefront6targetE1EEEvT1_
; %bb.0:
	.section	.rodata,"a",@progbits
	.p2align	6, 0x0
	.amdhsa_kernel _ZN7rocprim17ROCPRIM_400000_NS6detail17trampoline_kernelINS0_14default_configENS1_27scan_by_key_config_selectorIitEEZZNS1_16scan_by_key_implILNS1_25lookback_scan_determinismE0ELb0ES3_N6thrust23THRUST_200600_302600_NS6detail15normal_iteratorINS9_10device_ptrIiEEEENSB_INSC_ItEEEESG_tNS9_4plusIvEENS9_8equal_toIvEEtEE10hipError_tPvRmT2_T3_T4_T5_mT6_T7_P12ihipStream_tbENKUlT_T0_E_clISt17integral_constantIbLb1EES10_IbLb0EEEEDaSW_SX_EUlSW_E_NS1_11comp_targetILNS1_3genE2ELNS1_11target_archE906ELNS1_3gpuE6ELNS1_3repE0EEENS1_30default_config_static_selectorELNS0_4arch9wavefront6targetE1EEEvT1_
		.amdhsa_group_segment_fixed_size 0
		.amdhsa_private_segment_fixed_size 0
		.amdhsa_kernarg_size 112
		.amdhsa_user_sgpr_count 6
		.amdhsa_user_sgpr_private_segment_buffer 1
		.amdhsa_user_sgpr_dispatch_ptr 0
		.amdhsa_user_sgpr_queue_ptr 0
		.amdhsa_user_sgpr_kernarg_segment_ptr 1
		.amdhsa_user_sgpr_dispatch_id 0
		.amdhsa_user_sgpr_flat_scratch_init 0
		.amdhsa_user_sgpr_kernarg_preload_length 0
		.amdhsa_user_sgpr_kernarg_preload_offset 0
		.amdhsa_user_sgpr_private_segment_size 0
		.amdhsa_uses_dynamic_stack 0
		.amdhsa_system_sgpr_private_segment_wavefront_offset 0
		.amdhsa_system_sgpr_workgroup_id_x 1
		.amdhsa_system_sgpr_workgroup_id_y 0
		.amdhsa_system_sgpr_workgroup_id_z 0
		.amdhsa_system_sgpr_workgroup_info 0
		.amdhsa_system_vgpr_workitem_id 0
		.amdhsa_next_free_vgpr 1
		.amdhsa_next_free_sgpr 0
		.amdhsa_accum_offset 4
		.amdhsa_reserve_vcc 0
		.amdhsa_reserve_flat_scratch 0
		.amdhsa_float_round_mode_32 0
		.amdhsa_float_round_mode_16_64 0
		.amdhsa_float_denorm_mode_32 3
		.amdhsa_float_denorm_mode_16_64 3
		.amdhsa_dx10_clamp 1
		.amdhsa_ieee_mode 1
		.amdhsa_fp16_overflow 0
		.amdhsa_tg_split 0
		.amdhsa_exception_fp_ieee_invalid_op 0
		.amdhsa_exception_fp_denorm_src 0
		.amdhsa_exception_fp_ieee_div_zero 0
		.amdhsa_exception_fp_ieee_overflow 0
		.amdhsa_exception_fp_ieee_underflow 0
		.amdhsa_exception_fp_ieee_inexact 0
		.amdhsa_exception_int_div_zero 0
	.end_amdhsa_kernel
	.section	.text._ZN7rocprim17ROCPRIM_400000_NS6detail17trampoline_kernelINS0_14default_configENS1_27scan_by_key_config_selectorIitEEZZNS1_16scan_by_key_implILNS1_25lookback_scan_determinismE0ELb0ES3_N6thrust23THRUST_200600_302600_NS6detail15normal_iteratorINS9_10device_ptrIiEEEENSB_INSC_ItEEEESG_tNS9_4plusIvEENS9_8equal_toIvEEtEE10hipError_tPvRmT2_T3_T4_T5_mT6_T7_P12ihipStream_tbENKUlT_T0_E_clISt17integral_constantIbLb1EES10_IbLb0EEEEDaSW_SX_EUlSW_E_NS1_11comp_targetILNS1_3genE2ELNS1_11target_archE906ELNS1_3gpuE6ELNS1_3repE0EEENS1_30default_config_static_selectorELNS0_4arch9wavefront6targetE1EEEvT1_,"axG",@progbits,_ZN7rocprim17ROCPRIM_400000_NS6detail17trampoline_kernelINS0_14default_configENS1_27scan_by_key_config_selectorIitEEZZNS1_16scan_by_key_implILNS1_25lookback_scan_determinismE0ELb0ES3_N6thrust23THRUST_200600_302600_NS6detail15normal_iteratorINS9_10device_ptrIiEEEENSB_INSC_ItEEEESG_tNS9_4plusIvEENS9_8equal_toIvEEtEE10hipError_tPvRmT2_T3_T4_T5_mT6_T7_P12ihipStream_tbENKUlT_T0_E_clISt17integral_constantIbLb1EES10_IbLb0EEEEDaSW_SX_EUlSW_E_NS1_11comp_targetILNS1_3genE2ELNS1_11target_archE906ELNS1_3gpuE6ELNS1_3repE0EEENS1_30default_config_static_selectorELNS0_4arch9wavefront6targetE1EEEvT1_,comdat
.Lfunc_end1294:
	.size	_ZN7rocprim17ROCPRIM_400000_NS6detail17trampoline_kernelINS0_14default_configENS1_27scan_by_key_config_selectorIitEEZZNS1_16scan_by_key_implILNS1_25lookback_scan_determinismE0ELb0ES3_N6thrust23THRUST_200600_302600_NS6detail15normal_iteratorINS9_10device_ptrIiEEEENSB_INSC_ItEEEESG_tNS9_4plusIvEENS9_8equal_toIvEEtEE10hipError_tPvRmT2_T3_T4_T5_mT6_T7_P12ihipStream_tbENKUlT_T0_E_clISt17integral_constantIbLb1EES10_IbLb0EEEEDaSW_SX_EUlSW_E_NS1_11comp_targetILNS1_3genE2ELNS1_11target_archE906ELNS1_3gpuE6ELNS1_3repE0EEENS1_30default_config_static_selectorELNS0_4arch9wavefront6targetE1EEEvT1_, .Lfunc_end1294-_ZN7rocprim17ROCPRIM_400000_NS6detail17trampoline_kernelINS0_14default_configENS1_27scan_by_key_config_selectorIitEEZZNS1_16scan_by_key_implILNS1_25lookback_scan_determinismE0ELb0ES3_N6thrust23THRUST_200600_302600_NS6detail15normal_iteratorINS9_10device_ptrIiEEEENSB_INSC_ItEEEESG_tNS9_4plusIvEENS9_8equal_toIvEEtEE10hipError_tPvRmT2_T3_T4_T5_mT6_T7_P12ihipStream_tbENKUlT_T0_E_clISt17integral_constantIbLb1EES10_IbLb0EEEEDaSW_SX_EUlSW_E_NS1_11comp_targetILNS1_3genE2ELNS1_11target_archE906ELNS1_3gpuE6ELNS1_3repE0EEENS1_30default_config_static_selectorELNS0_4arch9wavefront6targetE1EEEvT1_
                                        ; -- End function
	.section	.AMDGPU.csdata,"",@progbits
; Kernel info:
; codeLenInByte = 0
; NumSgprs: 4
; NumVgprs: 0
; NumAgprs: 0
; TotalNumVgprs: 0
; ScratchSize: 0
; MemoryBound: 0
; FloatMode: 240
; IeeeMode: 1
; LDSByteSize: 0 bytes/workgroup (compile time only)
; SGPRBlocks: 0
; VGPRBlocks: 0
; NumSGPRsForWavesPerEU: 4
; NumVGPRsForWavesPerEU: 1
; AccumOffset: 4
; Occupancy: 8
; WaveLimiterHint : 0
; COMPUTE_PGM_RSRC2:SCRATCH_EN: 0
; COMPUTE_PGM_RSRC2:USER_SGPR: 6
; COMPUTE_PGM_RSRC2:TRAP_HANDLER: 0
; COMPUTE_PGM_RSRC2:TGID_X_EN: 1
; COMPUTE_PGM_RSRC2:TGID_Y_EN: 0
; COMPUTE_PGM_RSRC2:TGID_Z_EN: 0
; COMPUTE_PGM_RSRC2:TIDIG_COMP_CNT: 0
; COMPUTE_PGM_RSRC3_GFX90A:ACCUM_OFFSET: 0
; COMPUTE_PGM_RSRC3_GFX90A:TG_SPLIT: 0
	.section	.text._ZN7rocprim17ROCPRIM_400000_NS6detail17trampoline_kernelINS0_14default_configENS1_27scan_by_key_config_selectorIitEEZZNS1_16scan_by_key_implILNS1_25lookback_scan_determinismE0ELb0ES3_N6thrust23THRUST_200600_302600_NS6detail15normal_iteratorINS9_10device_ptrIiEEEENSB_INSC_ItEEEESG_tNS9_4plusIvEENS9_8equal_toIvEEtEE10hipError_tPvRmT2_T3_T4_T5_mT6_T7_P12ihipStream_tbENKUlT_T0_E_clISt17integral_constantIbLb1EES10_IbLb0EEEEDaSW_SX_EUlSW_E_NS1_11comp_targetILNS1_3genE10ELNS1_11target_archE1200ELNS1_3gpuE4ELNS1_3repE0EEENS1_30default_config_static_selectorELNS0_4arch9wavefront6targetE1EEEvT1_,"axG",@progbits,_ZN7rocprim17ROCPRIM_400000_NS6detail17trampoline_kernelINS0_14default_configENS1_27scan_by_key_config_selectorIitEEZZNS1_16scan_by_key_implILNS1_25lookback_scan_determinismE0ELb0ES3_N6thrust23THRUST_200600_302600_NS6detail15normal_iteratorINS9_10device_ptrIiEEEENSB_INSC_ItEEEESG_tNS9_4plusIvEENS9_8equal_toIvEEtEE10hipError_tPvRmT2_T3_T4_T5_mT6_T7_P12ihipStream_tbENKUlT_T0_E_clISt17integral_constantIbLb1EES10_IbLb0EEEEDaSW_SX_EUlSW_E_NS1_11comp_targetILNS1_3genE10ELNS1_11target_archE1200ELNS1_3gpuE4ELNS1_3repE0EEENS1_30default_config_static_selectorELNS0_4arch9wavefront6targetE1EEEvT1_,comdat
	.protected	_ZN7rocprim17ROCPRIM_400000_NS6detail17trampoline_kernelINS0_14default_configENS1_27scan_by_key_config_selectorIitEEZZNS1_16scan_by_key_implILNS1_25lookback_scan_determinismE0ELb0ES3_N6thrust23THRUST_200600_302600_NS6detail15normal_iteratorINS9_10device_ptrIiEEEENSB_INSC_ItEEEESG_tNS9_4plusIvEENS9_8equal_toIvEEtEE10hipError_tPvRmT2_T3_T4_T5_mT6_T7_P12ihipStream_tbENKUlT_T0_E_clISt17integral_constantIbLb1EES10_IbLb0EEEEDaSW_SX_EUlSW_E_NS1_11comp_targetILNS1_3genE10ELNS1_11target_archE1200ELNS1_3gpuE4ELNS1_3repE0EEENS1_30default_config_static_selectorELNS0_4arch9wavefront6targetE1EEEvT1_ ; -- Begin function _ZN7rocprim17ROCPRIM_400000_NS6detail17trampoline_kernelINS0_14default_configENS1_27scan_by_key_config_selectorIitEEZZNS1_16scan_by_key_implILNS1_25lookback_scan_determinismE0ELb0ES3_N6thrust23THRUST_200600_302600_NS6detail15normal_iteratorINS9_10device_ptrIiEEEENSB_INSC_ItEEEESG_tNS9_4plusIvEENS9_8equal_toIvEEtEE10hipError_tPvRmT2_T3_T4_T5_mT6_T7_P12ihipStream_tbENKUlT_T0_E_clISt17integral_constantIbLb1EES10_IbLb0EEEEDaSW_SX_EUlSW_E_NS1_11comp_targetILNS1_3genE10ELNS1_11target_archE1200ELNS1_3gpuE4ELNS1_3repE0EEENS1_30default_config_static_selectorELNS0_4arch9wavefront6targetE1EEEvT1_
	.globl	_ZN7rocprim17ROCPRIM_400000_NS6detail17trampoline_kernelINS0_14default_configENS1_27scan_by_key_config_selectorIitEEZZNS1_16scan_by_key_implILNS1_25lookback_scan_determinismE0ELb0ES3_N6thrust23THRUST_200600_302600_NS6detail15normal_iteratorINS9_10device_ptrIiEEEENSB_INSC_ItEEEESG_tNS9_4plusIvEENS9_8equal_toIvEEtEE10hipError_tPvRmT2_T3_T4_T5_mT6_T7_P12ihipStream_tbENKUlT_T0_E_clISt17integral_constantIbLb1EES10_IbLb0EEEEDaSW_SX_EUlSW_E_NS1_11comp_targetILNS1_3genE10ELNS1_11target_archE1200ELNS1_3gpuE4ELNS1_3repE0EEENS1_30default_config_static_selectorELNS0_4arch9wavefront6targetE1EEEvT1_
	.p2align	8
	.type	_ZN7rocprim17ROCPRIM_400000_NS6detail17trampoline_kernelINS0_14default_configENS1_27scan_by_key_config_selectorIitEEZZNS1_16scan_by_key_implILNS1_25lookback_scan_determinismE0ELb0ES3_N6thrust23THRUST_200600_302600_NS6detail15normal_iteratorINS9_10device_ptrIiEEEENSB_INSC_ItEEEESG_tNS9_4plusIvEENS9_8equal_toIvEEtEE10hipError_tPvRmT2_T3_T4_T5_mT6_T7_P12ihipStream_tbENKUlT_T0_E_clISt17integral_constantIbLb1EES10_IbLb0EEEEDaSW_SX_EUlSW_E_NS1_11comp_targetILNS1_3genE10ELNS1_11target_archE1200ELNS1_3gpuE4ELNS1_3repE0EEENS1_30default_config_static_selectorELNS0_4arch9wavefront6targetE1EEEvT1_,@function
_ZN7rocprim17ROCPRIM_400000_NS6detail17trampoline_kernelINS0_14default_configENS1_27scan_by_key_config_selectorIitEEZZNS1_16scan_by_key_implILNS1_25lookback_scan_determinismE0ELb0ES3_N6thrust23THRUST_200600_302600_NS6detail15normal_iteratorINS9_10device_ptrIiEEEENSB_INSC_ItEEEESG_tNS9_4plusIvEENS9_8equal_toIvEEtEE10hipError_tPvRmT2_T3_T4_T5_mT6_T7_P12ihipStream_tbENKUlT_T0_E_clISt17integral_constantIbLb1EES10_IbLb0EEEEDaSW_SX_EUlSW_E_NS1_11comp_targetILNS1_3genE10ELNS1_11target_archE1200ELNS1_3gpuE4ELNS1_3repE0EEENS1_30default_config_static_selectorELNS0_4arch9wavefront6targetE1EEEvT1_: ; @_ZN7rocprim17ROCPRIM_400000_NS6detail17trampoline_kernelINS0_14default_configENS1_27scan_by_key_config_selectorIitEEZZNS1_16scan_by_key_implILNS1_25lookback_scan_determinismE0ELb0ES3_N6thrust23THRUST_200600_302600_NS6detail15normal_iteratorINS9_10device_ptrIiEEEENSB_INSC_ItEEEESG_tNS9_4plusIvEENS9_8equal_toIvEEtEE10hipError_tPvRmT2_T3_T4_T5_mT6_T7_P12ihipStream_tbENKUlT_T0_E_clISt17integral_constantIbLb1EES10_IbLb0EEEEDaSW_SX_EUlSW_E_NS1_11comp_targetILNS1_3genE10ELNS1_11target_archE1200ELNS1_3gpuE4ELNS1_3repE0EEENS1_30default_config_static_selectorELNS0_4arch9wavefront6targetE1EEEvT1_
; %bb.0:
	.section	.rodata,"a",@progbits
	.p2align	6, 0x0
	.amdhsa_kernel _ZN7rocprim17ROCPRIM_400000_NS6detail17trampoline_kernelINS0_14default_configENS1_27scan_by_key_config_selectorIitEEZZNS1_16scan_by_key_implILNS1_25lookback_scan_determinismE0ELb0ES3_N6thrust23THRUST_200600_302600_NS6detail15normal_iteratorINS9_10device_ptrIiEEEENSB_INSC_ItEEEESG_tNS9_4plusIvEENS9_8equal_toIvEEtEE10hipError_tPvRmT2_T3_T4_T5_mT6_T7_P12ihipStream_tbENKUlT_T0_E_clISt17integral_constantIbLb1EES10_IbLb0EEEEDaSW_SX_EUlSW_E_NS1_11comp_targetILNS1_3genE10ELNS1_11target_archE1200ELNS1_3gpuE4ELNS1_3repE0EEENS1_30default_config_static_selectorELNS0_4arch9wavefront6targetE1EEEvT1_
		.amdhsa_group_segment_fixed_size 0
		.amdhsa_private_segment_fixed_size 0
		.amdhsa_kernarg_size 112
		.amdhsa_user_sgpr_count 6
		.amdhsa_user_sgpr_private_segment_buffer 1
		.amdhsa_user_sgpr_dispatch_ptr 0
		.amdhsa_user_sgpr_queue_ptr 0
		.amdhsa_user_sgpr_kernarg_segment_ptr 1
		.amdhsa_user_sgpr_dispatch_id 0
		.amdhsa_user_sgpr_flat_scratch_init 0
		.amdhsa_user_sgpr_kernarg_preload_length 0
		.amdhsa_user_sgpr_kernarg_preload_offset 0
		.amdhsa_user_sgpr_private_segment_size 0
		.amdhsa_uses_dynamic_stack 0
		.amdhsa_system_sgpr_private_segment_wavefront_offset 0
		.amdhsa_system_sgpr_workgroup_id_x 1
		.amdhsa_system_sgpr_workgroup_id_y 0
		.amdhsa_system_sgpr_workgroup_id_z 0
		.amdhsa_system_sgpr_workgroup_info 0
		.amdhsa_system_vgpr_workitem_id 0
		.amdhsa_next_free_vgpr 1
		.amdhsa_next_free_sgpr 0
		.amdhsa_accum_offset 4
		.amdhsa_reserve_vcc 0
		.amdhsa_reserve_flat_scratch 0
		.amdhsa_float_round_mode_32 0
		.amdhsa_float_round_mode_16_64 0
		.amdhsa_float_denorm_mode_32 3
		.amdhsa_float_denorm_mode_16_64 3
		.amdhsa_dx10_clamp 1
		.amdhsa_ieee_mode 1
		.amdhsa_fp16_overflow 0
		.amdhsa_tg_split 0
		.amdhsa_exception_fp_ieee_invalid_op 0
		.amdhsa_exception_fp_denorm_src 0
		.amdhsa_exception_fp_ieee_div_zero 0
		.amdhsa_exception_fp_ieee_overflow 0
		.amdhsa_exception_fp_ieee_underflow 0
		.amdhsa_exception_fp_ieee_inexact 0
		.amdhsa_exception_int_div_zero 0
	.end_amdhsa_kernel
	.section	.text._ZN7rocprim17ROCPRIM_400000_NS6detail17trampoline_kernelINS0_14default_configENS1_27scan_by_key_config_selectorIitEEZZNS1_16scan_by_key_implILNS1_25lookback_scan_determinismE0ELb0ES3_N6thrust23THRUST_200600_302600_NS6detail15normal_iteratorINS9_10device_ptrIiEEEENSB_INSC_ItEEEESG_tNS9_4plusIvEENS9_8equal_toIvEEtEE10hipError_tPvRmT2_T3_T4_T5_mT6_T7_P12ihipStream_tbENKUlT_T0_E_clISt17integral_constantIbLb1EES10_IbLb0EEEEDaSW_SX_EUlSW_E_NS1_11comp_targetILNS1_3genE10ELNS1_11target_archE1200ELNS1_3gpuE4ELNS1_3repE0EEENS1_30default_config_static_selectorELNS0_4arch9wavefront6targetE1EEEvT1_,"axG",@progbits,_ZN7rocprim17ROCPRIM_400000_NS6detail17trampoline_kernelINS0_14default_configENS1_27scan_by_key_config_selectorIitEEZZNS1_16scan_by_key_implILNS1_25lookback_scan_determinismE0ELb0ES3_N6thrust23THRUST_200600_302600_NS6detail15normal_iteratorINS9_10device_ptrIiEEEENSB_INSC_ItEEEESG_tNS9_4plusIvEENS9_8equal_toIvEEtEE10hipError_tPvRmT2_T3_T4_T5_mT6_T7_P12ihipStream_tbENKUlT_T0_E_clISt17integral_constantIbLb1EES10_IbLb0EEEEDaSW_SX_EUlSW_E_NS1_11comp_targetILNS1_3genE10ELNS1_11target_archE1200ELNS1_3gpuE4ELNS1_3repE0EEENS1_30default_config_static_selectorELNS0_4arch9wavefront6targetE1EEEvT1_,comdat
.Lfunc_end1295:
	.size	_ZN7rocprim17ROCPRIM_400000_NS6detail17trampoline_kernelINS0_14default_configENS1_27scan_by_key_config_selectorIitEEZZNS1_16scan_by_key_implILNS1_25lookback_scan_determinismE0ELb0ES3_N6thrust23THRUST_200600_302600_NS6detail15normal_iteratorINS9_10device_ptrIiEEEENSB_INSC_ItEEEESG_tNS9_4plusIvEENS9_8equal_toIvEEtEE10hipError_tPvRmT2_T3_T4_T5_mT6_T7_P12ihipStream_tbENKUlT_T0_E_clISt17integral_constantIbLb1EES10_IbLb0EEEEDaSW_SX_EUlSW_E_NS1_11comp_targetILNS1_3genE10ELNS1_11target_archE1200ELNS1_3gpuE4ELNS1_3repE0EEENS1_30default_config_static_selectorELNS0_4arch9wavefront6targetE1EEEvT1_, .Lfunc_end1295-_ZN7rocprim17ROCPRIM_400000_NS6detail17trampoline_kernelINS0_14default_configENS1_27scan_by_key_config_selectorIitEEZZNS1_16scan_by_key_implILNS1_25lookback_scan_determinismE0ELb0ES3_N6thrust23THRUST_200600_302600_NS6detail15normal_iteratorINS9_10device_ptrIiEEEENSB_INSC_ItEEEESG_tNS9_4plusIvEENS9_8equal_toIvEEtEE10hipError_tPvRmT2_T3_T4_T5_mT6_T7_P12ihipStream_tbENKUlT_T0_E_clISt17integral_constantIbLb1EES10_IbLb0EEEEDaSW_SX_EUlSW_E_NS1_11comp_targetILNS1_3genE10ELNS1_11target_archE1200ELNS1_3gpuE4ELNS1_3repE0EEENS1_30default_config_static_selectorELNS0_4arch9wavefront6targetE1EEEvT1_
                                        ; -- End function
	.section	.AMDGPU.csdata,"",@progbits
; Kernel info:
; codeLenInByte = 0
; NumSgprs: 4
; NumVgprs: 0
; NumAgprs: 0
; TotalNumVgprs: 0
; ScratchSize: 0
; MemoryBound: 0
; FloatMode: 240
; IeeeMode: 1
; LDSByteSize: 0 bytes/workgroup (compile time only)
; SGPRBlocks: 0
; VGPRBlocks: 0
; NumSGPRsForWavesPerEU: 4
; NumVGPRsForWavesPerEU: 1
; AccumOffset: 4
; Occupancy: 8
; WaveLimiterHint : 0
; COMPUTE_PGM_RSRC2:SCRATCH_EN: 0
; COMPUTE_PGM_RSRC2:USER_SGPR: 6
; COMPUTE_PGM_RSRC2:TRAP_HANDLER: 0
; COMPUTE_PGM_RSRC2:TGID_X_EN: 1
; COMPUTE_PGM_RSRC2:TGID_Y_EN: 0
; COMPUTE_PGM_RSRC2:TGID_Z_EN: 0
; COMPUTE_PGM_RSRC2:TIDIG_COMP_CNT: 0
; COMPUTE_PGM_RSRC3_GFX90A:ACCUM_OFFSET: 0
; COMPUTE_PGM_RSRC3_GFX90A:TG_SPLIT: 0
	.section	.text._ZN7rocprim17ROCPRIM_400000_NS6detail17trampoline_kernelINS0_14default_configENS1_27scan_by_key_config_selectorIitEEZZNS1_16scan_by_key_implILNS1_25lookback_scan_determinismE0ELb0ES3_N6thrust23THRUST_200600_302600_NS6detail15normal_iteratorINS9_10device_ptrIiEEEENSB_INSC_ItEEEESG_tNS9_4plusIvEENS9_8equal_toIvEEtEE10hipError_tPvRmT2_T3_T4_T5_mT6_T7_P12ihipStream_tbENKUlT_T0_E_clISt17integral_constantIbLb1EES10_IbLb0EEEEDaSW_SX_EUlSW_E_NS1_11comp_targetILNS1_3genE9ELNS1_11target_archE1100ELNS1_3gpuE3ELNS1_3repE0EEENS1_30default_config_static_selectorELNS0_4arch9wavefront6targetE1EEEvT1_,"axG",@progbits,_ZN7rocprim17ROCPRIM_400000_NS6detail17trampoline_kernelINS0_14default_configENS1_27scan_by_key_config_selectorIitEEZZNS1_16scan_by_key_implILNS1_25lookback_scan_determinismE0ELb0ES3_N6thrust23THRUST_200600_302600_NS6detail15normal_iteratorINS9_10device_ptrIiEEEENSB_INSC_ItEEEESG_tNS9_4plusIvEENS9_8equal_toIvEEtEE10hipError_tPvRmT2_T3_T4_T5_mT6_T7_P12ihipStream_tbENKUlT_T0_E_clISt17integral_constantIbLb1EES10_IbLb0EEEEDaSW_SX_EUlSW_E_NS1_11comp_targetILNS1_3genE9ELNS1_11target_archE1100ELNS1_3gpuE3ELNS1_3repE0EEENS1_30default_config_static_selectorELNS0_4arch9wavefront6targetE1EEEvT1_,comdat
	.protected	_ZN7rocprim17ROCPRIM_400000_NS6detail17trampoline_kernelINS0_14default_configENS1_27scan_by_key_config_selectorIitEEZZNS1_16scan_by_key_implILNS1_25lookback_scan_determinismE0ELb0ES3_N6thrust23THRUST_200600_302600_NS6detail15normal_iteratorINS9_10device_ptrIiEEEENSB_INSC_ItEEEESG_tNS9_4plusIvEENS9_8equal_toIvEEtEE10hipError_tPvRmT2_T3_T4_T5_mT6_T7_P12ihipStream_tbENKUlT_T0_E_clISt17integral_constantIbLb1EES10_IbLb0EEEEDaSW_SX_EUlSW_E_NS1_11comp_targetILNS1_3genE9ELNS1_11target_archE1100ELNS1_3gpuE3ELNS1_3repE0EEENS1_30default_config_static_selectorELNS0_4arch9wavefront6targetE1EEEvT1_ ; -- Begin function _ZN7rocprim17ROCPRIM_400000_NS6detail17trampoline_kernelINS0_14default_configENS1_27scan_by_key_config_selectorIitEEZZNS1_16scan_by_key_implILNS1_25lookback_scan_determinismE0ELb0ES3_N6thrust23THRUST_200600_302600_NS6detail15normal_iteratorINS9_10device_ptrIiEEEENSB_INSC_ItEEEESG_tNS9_4plusIvEENS9_8equal_toIvEEtEE10hipError_tPvRmT2_T3_T4_T5_mT6_T7_P12ihipStream_tbENKUlT_T0_E_clISt17integral_constantIbLb1EES10_IbLb0EEEEDaSW_SX_EUlSW_E_NS1_11comp_targetILNS1_3genE9ELNS1_11target_archE1100ELNS1_3gpuE3ELNS1_3repE0EEENS1_30default_config_static_selectorELNS0_4arch9wavefront6targetE1EEEvT1_
	.globl	_ZN7rocprim17ROCPRIM_400000_NS6detail17trampoline_kernelINS0_14default_configENS1_27scan_by_key_config_selectorIitEEZZNS1_16scan_by_key_implILNS1_25lookback_scan_determinismE0ELb0ES3_N6thrust23THRUST_200600_302600_NS6detail15normal_iteratorINS9_10device_ptrIiEEEENSB_INSC_ItEEEESG_tNS9_4plusIvEENS9_8equal_toIvEEtEE10hipError_tPvRmT2_T3_T4_T5_mT6_T7_P12ihipStream_tbENKUlT_T0_E_clISt17integral_constantIbLb1EES10_IbLb0EEEEDaSW_SX_EUlSW_E_NS1_11comp_targetILNS1_3genE9ELNS1_11target_archE1100ELNS1_3gpuE3ELNS1_3repE0EEENS1_30default_config_static_selectorELNS0_4arch9wavefront6targetE1EEEvT1_
	.p2align	8
	.type	_ZN7rocprim17ROCPRIM_400000_NS6detail17trampoline_kernelINS0_14default_configENS1_27scan_by_key_config_selectorIitEEZZNS1_16scan_by_key_implILNS1_25lookback_scan_determinismE0ELb0ES3_N6thrust23THRUST_200600_302600_NS6detail15normal_iteratorINS9_10device_ptrIiEEEENSB_INSC_ItEEEESG_tNS9_4plusIvEENS9_8equal_toIvEEtEE10hipError_tPvRmT2_T3_T4_T5_mT6_T7_P12ihipStream_tbENKUlT_T0_E_clISt17integral_constantIbLb1EES10_IbLb0EEEEDaSW_SX_EUlSW_E_NS1_11comp_targetILNS1_3genE9ELNS1_11target_archE1100ELNS1_3gpuE3ELNS1_3repE0EEENS1_30default_config_static_selectorELNS0_4arch9wavefront6targetE1EEEvT1_,@function
_ZN7rocprim17ROCPRIM_400000_NS6detail17trampoline_kernelINS0_14default_configENS1_27scan_by_key_config_selectorIitEEZZNS1_16scan_by_key_implILNS1_25lookback_scan_determinismE0ELb0ES3_N6thrust23THRUST_200600_302600_NS6detail15normal_iteratorINS9_10device_ptrIiEEEENSB_INSC_ItEEEESG_tNS9_4plusIvEENS9_8equal_toIvEEtEE10hipError_tPvRmT2_T3_T4_T5_mT6_T7_P12ihipStream_tbENKUlT_T0_E_clISt17integral_constantIbLb1EES10_IbLb0EEEEDaSW_SX_EUlSW_E_NS1_11comp_targetILNS1_3genE9ELNS1_11target_archE1100ELNS1_3gpuE3ELNS1_3repE0EEENS1_30default_config_static_selectorELNS0_4arch9wavefront6targetE1EEEvT1_: ; @_ZN7rocprim17ROCPRIM_400000_NS6detail17trampoline_kernelINS0_14default_configENS1_27scan_by_key_config_selectorIitEEZZNS1_16scan_by_key_implILNS1_25lookback_scan_determinismE0ELb0ES3_N6thrust23THRUST_200600_302600_NS6detail15normal_iteratorINS9_10device_ptrIiEEEENSB_INSC_ItEEEESG_tNS9_4plusIvEENS9_8equal_toIvEEtEE10hipError_tPvRmT2_T3_T4_T5_mT6_T7_P12ihipStream_tbENKUlT_T0_E_clISt17integral_constantIbLb1EES10_IbLb0EEEEDaSW_SX_EUlSW_E_NS1_11comp_targetILNS1_3genE9ELNS1_11target_archE1100ELNS1_3gpuE3ELNS1_3repE0EEENS1_30default_config_static_selectorELNS0_4arch9wavefront6targetE1EEEvT1_
; %bb.0:
	.section	.rodata,"a",@progbits
	.p2align	6, 0x0
	.amdhsa_kernel _ZN7rocprim17ROCPRIM_400000_NS6detail17trampoline_kernelINS0_14default_configENS1_27scan_by_key_config_selectorIitEEZZNS1_16scan_by_key_implILNS1_25lookback_scan_determinismE0ELb0ES3_N6thrust23THRUST_200600_302600_NS6detail15normal_iteratorINS9_10device_ptrIiEEEENSB_INSC_ItEEEESG_tNS9_4plusIvEENS9_8equal_toIvEEtEE10hipError_tPvRmT2_T3_T4_T5_mT6_T7_P12ihipStream_tbENKUlT_T0_E_clISt17integral_constantIbLb1EES10_IbLb0EEEEDaSW_SX_EUlSW_E_NS1_11comp_targetILNS1_3genE9ELNS1_11target_archE1100ELNS1_3gpuE3ELNS1_3repE0EEENS1_30default_config_static_selectorELNS0_4arch9wavefront6targetE1EEEvT1_
		.amdhsa_group_segment_fixed_size 0
		.amdhsa_private_segment_fixed_size 0
		.amdhsa_kernarg_size 112
		.amdhsa_user_sgpr_count 6
		.amdhsa_user_sgpr_private_segment_buffer 1
		.amdhsa_user_sgpr_dispatch_ptr 0
		.amdhsa_user_sgpr_queue_ptr 0
		.amdhsa_user_sgpr_kernarg_segment_ptr 1
		.amdhsa_user_sgpr_dispatch_id 0
		.amdhsa_user_sgpr_flat_scratch_init 0
		.amdhsa_user_sgpr_kernarg_preload_length 0
		.amdhsa_user_sgpr_kernarg_preload_offset 0
		.amdhsa_user_sgpr_private_segment_size 0
		.amdhsa_uses_dynamic_stack 0
		.amdhsa_system_sgpr_private_segment_wavefront_offset 0
		.amdhsa_system_sgpr_workgroup_id_x 1
		.amdhsa_system_sgpr_workgroup_id_y 0
		.amdhsa_system_sgpr_workgroup_id_z 0
		.amdhsa_system_sgpr_workgroup_info 0
		.amdhsa_system_vgpr_workitem_id 0
		.amdhsa_next_free_vgpr 1
		.amdhsa_next_free_sgpr 0
		.amdhsa_accum_offset 4
		.amdhsa_reserve_vcc 0
		.amdhsa_reserve_flat_scratch 0
		.amdhsa_float_round_mode_32 0
		.amdhsa_float_round_mode_16_64 0
		.amdhsa_float_denorm_mode_32 3
		.amdhsa_float_denorm_mode_16_64 3
		.amdhsa_dx10_clamp 1
		.amdhsa_ieee_mode 1
		.amdhsa_fp16_overflow 0
		.amdhsa_tg_split 0
		.amdhsa_exception_fp_ieee_invalid_op 0
		.amdhsa_exception_fp_denorm_src 0
		.amdhsa_exception_fp_ieee_div_zero 0
		.amdhsa_exception_fp_ieee_overflow 0
		.amdhsa_exception_fp_ieee_underflow 0
		.amdhsa_exception_fp_ieee_inexact 0
		.amdhsa_exception_int_div_zero 0
	.end_amdhsa_kernel
	.section	.text._ZN7rocprim17ROCPRIM_400000_NS6detail17trampoline_kernelINS0_14default_configENS1_27scan_by_key_config_selectorIitEEZZNS1_16scan_by_key_implILNS1_25lookback_scan_determinismE0ELb0ES3_N6thrust23THRUST_200600_302600_NS6detail15normal_iteratorINS9_10device_ptrIiEEEENSB_INSC_ItEEEESG_tNS9_4plusIvEENS9_8equal_toIvEEtEE10hipError_tPvRmT2_T3_T4_T5_mT6_T7_P12ihipStream_tbENKUlT_T0_E_clISt17integral_constantIbLb1EES10_IbLb0EEEEDaSW_SX_EUlSW_E_NS1_11comp_targetILNS1_3genE9ELNS1_11target_archE1100ELNS1_3gpuE3ELNS1_3repE0EEENS1_30default_config_static_selectorELNS0_4arch9wavefront6targetE1EEEvT1_,"axG",@progbits,_ZN7rocprim17ROCPRIM_400000_NS6detail17trampoline_kernelINS0_14default_configENS1_27scan_by_key_config_selectorIitEEZZNS1_16scan_by_key_implILNS1_25lookback_scan_determinismE0ELb0ES3_N6thrust23THRUST_200600_302600_NS6detail15normal_iteratorINS9_10device_ptrIiEEEENSB_INSC_ItEEEESG_tNS9_4plusIvEENS9_8equal_toIvEEtEE10hipError_tPvRmT2_T3_T4_T5_mT6_T7_P12ihipStream_tbENKUlT_T0_E_clISt17integral_constantIbLb1EES10_IbLb0EEEEDaSW_SX_EUlSW_E_NS1_11comp_targetILNS1_3genE9ELNS1_11target_archE1100ELNS1_3gpuE3ELNS1_3repE0EEENS1_30default_config_static_selectorELNS0_4arch9wavefront6targetE1EEEvT1_,comdat
.Lfunc_end1296:
	.size	_ZN7rocprim17ROCPRIM_400000_NS6detail17trampoline_kernelINS0_14default_configENS1_27scan_by_key_config_selectorIitEEZZNS1_16scan_by_key_implILNS1_25lookback_scan_determinismE0ELb0ES3_N6thrust23THRUST_200600_302600_NS6detail15normal_iteratorINS9_10device_ptrIiEEEENSB_INSC_ItEEEESG_tNS9_4plusIvEENS9_8equal_toIvEEtEE10hipError_tPvRmT2_T3_T4_T5_mT6_T7_P12ihipStream_tbENKUlT_T0_E_clISt17integral_constantIbLb1EES10_IbLb0EEEEDaSW_SX_EUlSW_E_NS1_11comp_targetILNS1_3genE9ELNS1_11target_archE1100ELNS1_3gpuE3ELNS1_3repE0EEENS1_30default_config_static_selectorELNS0_4arch9wavefront6targetE1EEEvT1_, .Lfunc_end1296-_ZN7rocprim17ROCPRIM_400000_NS6detail17trampoline_kernelINS0_14default_configENS1_27scan_by_key_config_selectorIitEEZZNS1_16scan_by_key_implILNS1_25lookback_scan_determinismE0ELb0ES3_N6thrust23THRUST_200600_302600_NS6detail15normal_iteratorINS9_10device_ptrIiEEEENSB_INSC_ItEEEESG_tNS9_4plusIvEENS9_8equal_toIvEEtEE10hipError_tPvRmT2_T3_T4_T5_mT6_T7_P12ihipStream_tbENKUlT_T0_E_clISt17integral_constantIbLb1EES10_IbLb0EEEEDaSW_SX_EUlSW_E_NS1_11comp_targetILNS1_3genE9ELNS1_11target_archE1100ELNS1_3gpuE3ELNS1_3repE0EEENS1_30default_config_static_selectorELNS0_4arch9wavefront6targetE1EEEvT1_
                                        ; -- End function
	.section	.AMDGPU.csdata,"",@progbits
; Kernel info:
; codeLenInByte = 0
; NumSgprs: 4
; NumVgprs: 0
; NumAgprs: 0
; TotalNumVgprs: 0
; ScratchSize: 0
; MemoryBound: 0
; FloatMode: 240
; IeeeMode: 1
; LDSByteSize: 0 bytes/workgroup (compile time only)
; SGPRBlocks: 0
; VGPRBlocks: 0
; NumSGPRsForWavesPerEU: 4
; NumVGPRsForWavesPerEU: 1
; AccumOffset: 4
; Occupancy: 8
; WaveLimiterHint : 0
; COMPUTE_PGM_RSRC2:SCRATCH_EN: 0
; COMPUTE_PGM_RSRC2:USER_SGPR: 6
; COMPUTE_PGM_RSRC2:TRAP_HANDLER: 0
; COMPUTE_PGM_RSRC2:TGID_X_EN: 1
; COMPUTE_PGM_RSRC2:TGID_Y_EN: 0
; COMPUTE_PGM_RSRC2:TGID_Z_EN: 0
; COMPUTE_PGM_RSRC2:TIDIG_COMP_CNT: 0
; COMPUTE_PGM_RSRC3_GFX90A:ACCUM_OFFSET: 0
; COMPUTE_PGM_RSRC3_GFX90A:TG_SPLIT: 0
	.section	.text._ZN7rocprim17ROCPRIM_400000_NS6detail17trampoline_kernelINS0_14default_configENS1_27scan_by_key_config_selectorIitEEZZNS1_16scan_by_key_implILNS1_25lookback_scan_determinismE0ELb0ES3_N6thrust23THRUST_200600_302600_NS6detail15normal_iteratorINS9_10device_ptrIiEEEENSB_INSC_ItEEEESG_tNS9_4plusIvEENS9_8equal_toIvEEtEE10hipError_tPvRmT2_T3_T4_T5_mT6_T7_P12ihipStream_tbENKUlT_T0_E_clISt17integral_constantIbLb1EES10_IbLb0EEEEDaSW_SX_EUlSW_E_NS1_11comp_targetILNS1_3genE8ELNS1_11target_archE1030ELNS1_3gpuE2ELNS1_3repE0EEENS1_30default_config_static_selectorELNS0_4arch9wavefront6targetE1EEEvT1_,"axG",@progbits,_ZN7rocprim17ROCPRIM_400000_NS6detail17trampoline_kernelINS0_14default_configENS1_27scan_by_key_config_selectorIitEEZZNS1_16scan_by_key_implILNS1_25lookback_scan_determinismE0ELb0ES3_N6thrust23THRUST_200600_302600_NS6detail15normal_iteratorINS9_10device_ptrIiEEEENSB_INSC_ItEEEESG_tNS9_4plusIvEENS9_8equal_toIvEEtEE10hipError_tPvRmT2_T3_T4_T5_mT6_T7_P12ihipStream_tbENKUlT_T0_E_clISt17integral_constantIbLb1EES10_IbLb0EEEEDaSW_SX_EUlSW_E_NS1_11comp_targetILNS1_3genE8ELNS1_11target_archE1030ELNS1_3gpuE2ELNS1_3repE0EEENS1_30default_config_static_selectorELNS0_4arch9wavefront6targetE1EEEvT1_,comdat
	.protected	_ZN7rocprim17ROCPRIM_400000_NS6detail17trampoline_kernelINS0_14default_configENS1_27scan_by_key_config_selectorIitEEZZNS1_16scan_by_key_implILNS1_25lookback_scan_determinismE0ELb0ES3_N6thrust23THRUST_200600_302600_NS6detail15normal_iteratorINS9_10device_ptrIiEEEENSB_INSC_ItEEEESG_tNS9_4plusIvEENS9_8equal_toIvEEtEE10hipError_tPvRmT2_T3_T4_T5_mT6_T7_P12ihipStream_tbENKUlT_T0_E_clISt17integral_constantIbLb1EES10_IbLb0EEEEDaSW_SX_EUlSW_E_NS1_11comp_targetILNS1_3genE8ELNS1_11target_archE1030ELNS1_3gpuE2ELNS1_3repE0EEENS1_30default_config_static_selectorELNS0_4arch9wavefront6targetE1EEEvT1_ ; -- Begin function _ZN7rocprim17ROCPRIM_400000_NS6detail17trampoline_kernelINS0_14default_configENS1_27scan_by_key_config_selectorIitEEZZNS1_16scan_by_key_implILNS1_25lookback_scan_determinismE0ELb0ES3_N6thrust23THRUST_200600_302600_NS6detail15normal_iteratorINS9_10device_ptrIiEEEENSB_INSC_ItEEEESG_tNS9_4plusIvEENS9_8equal_toIvEEtEE10hipError_tPvRmT2_T3_T4_T5_mT6_T7_P12ihipStream_tbENKUlT_T0_E_clISt17integral_constantIbLb1EES10_IbLb0EEEEDaSW_SX_EUlSW_E_NS1_11comp_targetILNS1_3genE8ELNS1_11target_archE1030ELNS1_3gpuE2ELNS1_3repE0EEENS1_30default_config_static_selectorELNS0_4arch9wavefront6targetE1EEEvT1_
	.globl	_ZN7rocprim17ROCPRIM_400000_NS6detail17trampoline_kernelINS0_14default_configENS1_27scan_by_key_config_selectorIitEEZZNS1_16scan_by_key_implILNS1_25lookback_scan_determinismE0ELb0ES3_N6thrust23THRUST_200600_302600_NS6detail15normal_iteratorINS9_10device_ptrIiEEEENSB_INSC_ItEEEESG_tNS9_4plusIvEENS9_8equal_toIvEEtEE10hipError_tPvRmT2_T3_T4_T5_mT6_T7_P12ihipStream_tbENKUlT_T0_E_clISt17integral_constantIbLb1EES10_IbLb0EEEEDaSW_SX_EUlSW_E_NS1_11comp_targetILNS1_3genE8ELNS1_11target_archE1030ELNS1_3gpuE2ELNS1_3repE0EEENS1_30default_config_static_selectorELNS0_4arch9wavefront6targetE1EEEvT1_
	.p2align	8
	.type	_ZN7rocprim17ROCPRIM_400000_NS6detail17trampoline_kernelINS0_14default_configENS1_27scan_by_key_config_selectorIitEEZZNS1_16scan_by_key_implILNS1_25lookback_scan_determinismE0ELb0ES3_N6thrust23THRUST_200600_302600_NS6detail15normal_iteratorINS9_10device_ptrIiEEEENSB_INSC_ItEEEESG_tNS9_4plusIvEENS9_8equal_toIvEEtEE10hipError_tPvRmT2_T3_T4_T5_mT6_T7_P12ihipStream_tbENKUlT_T0_E_clISt17integral_constantIbLb1EES10_IbLb0EEEEDaSW_SX_EUlSW_E_NS1_11comp_targetILNS1_3genE8ELNS1_11target_archE1030ELNS1_3gpuE2ELNS1_3repE0EEENS1_30default_config_static_selectorELNS0_4arch9wavefront6targetE1EEEvT1_,@function
_ZN7rocprim17ROCPRIM_400000_NS6detail17trampoline_kernelINS0_14default_configENS1_27scan_by_key_config_selectorIitEEZZNS1_16scan_by_key_implILNS1_25lookback_scan_determinismE0ELb0ES3_N6thrust23THRUST_200600_302600_NS6detail15normal_iteratorINS9_10device_ptrIiEEEENSB_INSC_ItEEEESG_tNS9_4plusIvEENS9_8equal_toIvEEtEE10hipError_tPvRmT2_T3_T4_T5_mT6_T7_P12ihipStream_tbENKUlT_T0_E_clISt17integral_constantIbLb1EES10_IbLb0EEEEDaSW_SX_EUlSW_E_NS1_11comp_targetILNS1_3genE8ELNS1_11target_archE1030ELNS1_3gpuE2ELNS1_3repE0EEENS1_30default_config_static_selectorELNS0_4arch9wavefront6targetE1EEEvT1_: ; @_ZN7rocprim17ROCPRIM_400000_NS6detail17trampoline_kernelINS0_14default_configENS1_27scan_by_key_config_selectorIitEEZZNS1_16scan_by_key_implILNS1_25lookback_scan_determinismE0ELb0ES3_N6thrust23THRUST_200600_302600_NS6detail15normal_iteratorINS9_10device_ptrIiEEEENSB_INSC_ItEEEESG_tNS9_4plusIvEENS9_8equal_toIvEEtEE10hipError_tPvRmT2_T3_T4_T5_mT6_T7_P12ihipStream_tbENKUlT_T0_E_clISt17integral_constantIbLb1EES10_IbLb0EEEEDaSW_SX_EUlSW_E_NS1_11comp_targetILNS1_3genE8ELNS1_11target_archE1030ELNS1_3gpuE2ELNS1_3repE0EEENS1_30default_config_static_selectorELNS0_4arch9wavefront6targetE1EEEvT1_
; %bb.0:
	.section	.rodata,"a",@progbits
	.p2align	6, 0x0
	.amdhsa_kernel _ZN7rocprim17ROCPRIM_400000_NS6detail17trampoline_kernelINS0_14default_configENS1_27scan_by_key_config_selectorIitEEZZNS1_16scan_by_key_implILNS1_25lookback_scan_determinismE0ELb0ES3_N6thrust23THRUST_200600_302600_NS6detail15normal_iteratorINS9_10device_ptrIiEEEENSB_INSC_ItEEEESG_tNS9_4plusIvEENS9_8equal_toIvEEtEE10hipError_tPvRmT2_T3_T4_T5_mT6_T7_P12ihipStream_tbENKUlT_T0_E_clISt17integral_constantIbLb1EES10_IbLb0EEEEDaSW_SX_EUlSW_E_NS1_11comp_targetILNS1_3genE8ELNS1_11target_archE1030ELNS1_3gpuE2ELNS1_3repE0EEENS1_30default_config_static_selectorELNS0_4arch9wavefront6targetE1EEEvT1_
		.amdhsa_group_segment_fixed_size 0
		.amdhsa_private_segment_fixed_size 0
		.amdhsa_kernarg_size 112
		.amdhsa_user_sgpr_count 6
		.amdhsa_user_sgpr_private_segment_buffer 1
		.amdhsa_user_sgpr_dispatch_ptr 0
		.amdhsa_user_sgpr_queue_ptr 0
		.amdhsa_user_sgpr_kernarg_segment_ptr 1
		.amdhsa_user_sgpr_dispatch_id 0
		.amdhsa_user_sgpr_flat_scratch_init 0
		.amdhsa_user_sgpr_kernarg_preload_length 0
		.amdhsa_user_sgpr_kernarg_preload_offset 0
		.amdhsa_user_sgpr_private_segment_size 0
		.amdhsa_uses_dynamic_stack 0
		.amdhsa_system_sgpr_private_segment_wavefront_offset 0
		.amdhsa_system_sgpr_workgroup_id_x 1
		.amdhsa_system_sgpr_workgroup_id_y 0
		.amdhsa_system_sgpr_workgroup_id_z 0
		.amdhsa_system_sgpr_workgroup_info 0
		.amdhsa_system_vgpr_workitem_id 0
		.amdhsa_next_free_vgpr 1
		.amdhsa_next_free_sgpr 0
		.amdhsa_accum_offset 4
		.amdhsa_reserve_vcc 0
		.amdhsa_reserve_flat_scratch 0
		.amdhsa_float_round_mode_32 0
		.amdhsa_float_round_mode_16_64 0
		.amdhsa_float_denorm_mode_32 3
		.amdhsa_float_denorm_mode_16_64 3
		.amdhsa_dx10_clamp 1
		.amdhsa_ieee_mode 1
		.amdhsa_fp16_overflow 0
		.amdhsa_tg_split 0
		.amdhsa_exception_fp_ieee_invalid_op 0
		.amdhsa_exception_fp_denorm_src 0
		.amdhsa_exception_fp_ieee_div_zero 0
		.amdhsa_exception_fp_ieee_overflow 0
		.amdhsa_exception_fp_ieee_underflow 0
		.amdhsa_exception_fp_ieee_inexact 0
		.amdhsa_exception_int_div_zero 0
	.end_amdhsa_kernel
	.section	.text._ZN7rocprim17ROCPRIM_400000_NS6detail17trampoline_kernelINS0_14default_configENS1_27scan_by_key_config_selectorIitEEZZNS1_16scan_by_key_implILNS1_25lookback_scan_determinismE0ELb0ES3_N6thrust23THRUST_200600_302600_NS6detail15normal_iteratorINS9_10device_ptrIiEEEENSB_INSC_ItEEEESG_tNS9_4plusIvEENS9_8equal_toIvEEtEE10hipError_tPvRmT2_T3_T4_T5_mT6_T7_P12ihipStream_tbENKUlT_T0_E_clISt17integral_constantIbLb1EES10_IbLb0EEEEDaSW_SX_EUlSW_E_NS1_11comp_targetILNS1_3genE8ELNS1_11target_archE1030ELNS1_3gpuE2ELNS1_3repE0EEENS1_30default_config_static_selectorELNS0_4arch9wavefront6targetE1EEEvT1_,"axG",@progbits,_ZN7rocprim17ROCPRIM_400000_NS6detail17trampoline_kernelINS0_14default_configENS1_27scan_by_key_config_selectorIitEEZZNS1_16scan_by_key_implILNS1_25lookback_scan_determinismE0ELb0ES3_N6thrust23THRUST_200600_302600_NS6detail15normal_iteratorINS9_10device_ptrIiEEEENSB_INSC_ItEEEESG_tNS9_4plusIvEENS9_8equal_toIvEEtEE10hipError_tPvRmT2_T3_T4_T5_mT6_T7_P12ihipStream_tbENKUlT_T0_E_clISt17integral_constantIbLb1EES10_IbLb0EEEEDaSW_SX_EUlSW_E_NS1_11comp_targetILNS1_3genE8ELNS1_11target_archE1030ELNS1_3gpuE2ELNS1_3repE0EEENS1_30default_config_static_selectorELNS0_4arch9wavefront6targetE1EEEvT1_,comdat
.Lfunc_end1297:
	.size	_ZN7rocprim17ROCPRIM_400000_NS6detail17trampoline_kernelINS0_14default_configENS1_27scan_by_key_config_selectorIitEEZZNS1_16scan_by_key_implILNS1_25lookback_scan_determinismE0ELb0ES3_N6thrust23THRUST_200600_302600_NS6detail15normal_iteratorINS9_10device_ptrIiEEEENSB_INSC_ItEEEESG_tNS9_4plusIvEENS9_8equal_toIvEEtEE10hipError_tPvRmT2_T3_T4_T5_mT6_T7_P12ihipStream_tbENKUlT_T0_E_clISt17integral_constantIbLb1EES10_IbLb0EEEEDaSW_SX_EUlSW_E_NS1_11comp_targetILNS1_3genE8ELNS1_11target_archE1030ELNS1_3gpuE2ELNS1_3repE0EEENS1_30default_config_static_selectorELNS0_4arch9wavefront6targetE1EEEvT1_, .Lfunc_end1297-_ZN7rocprim17ROCPRIM_400000_NS6detail17trampoline_kernelINS0_14default_configENS1_27scan_by_key_config_selectorIitEEZZNS1_16scan_by_key_implILNS1_25lookback_scan_determinismE0ELb0ES3_N6thrust23THRUST_200600_302600_NS6detail15normal_iteratorINS9_10device_ptrIiEEEENSB_INSC_ItEEEESG_tNS9_4plusIvEENS9_8equal_toIvEEtEE10hipError_tPvRmT2_T3_T4_T5_mT6_T7_P12ihipStream_tbENKUlT_T0_E_clISt17integral_constantIbLb1EES10_IbLb0EEEEDaSW_SX_EUlSW_E_NS1_11comp_targetILNS1_3genE8ELNS1_11target_archE1030ELNS1_3gpuE2ELNS1_3repE0EEENS1_30default_config_static_selectorELNS0_4arch9wavefront6targetE1EEEvT1_
                                        ; -- End function
	.section	.AMDGPU.csdata,"",@progbits
; Kernel info:
; codeLenInByte = 0
; NumSgprs: 4
; NumVgprs: 0
; NumAgprs: 0
; TotalNumVgprs: 0
; ScratchSize: 0
; MemoryBound: 0
; FloatMode: 240
; IeeeMode: 1
; LDSByteSize: 0 bytes/workgroup (compile time only)
; SGPRBlocks: 0
; VGPRBlocks: 0
; NumSGPRsForWavesPerEU: 4
; NumVGPRsForWavesPerEU: 1
; AccumOffset: 4
; Occupancy: 8
; WaveLimiterHint : 0
; COMPUTE_PGM_RSRC2:SCRATCH_EN: 0
; COMPUTE_PGM_RSRC2:USER_SGPR: 6
; COMPUTE_PGM_RSRC2:TRAP_HANDLER: 0
; COMPUTE_PGM_RSRC2:TGID_X_EN: 1
; COMPUTE_PGM_RSRC2:TGID_Y_EN: 0
; COMPUTE_PGM_RSRC2:TGID_Z_EN: 0
; COMPUTE_PGM_RSRC2:TIDIG_COMP_CNT: 0
; COMPUTE_PGM_RSRC3_GFX90A:ACCUM_OFFSET: 0
; COMPUTE_PGM_RSRC3_GFX90A:TG_SPLIT: 0
	.section	.text._ZN7rocprim17ROCPRIM_400000_NS6detail30init_device_scan_by_key_kernelINS1_19lookback_scan_stateINS0_5tupleIJtbEEELb0ELb1EEEN6thrust23THRUST_200600_302600_NS6detail15normal_iteratorINS8_10device_ptrIiEEEEjNS1_16block_id_wrapperIjLb1EEEEEvT_jjPNSG_10value_typeET0_PNSt15iterator_traitsISJ_E10value_typeEmT1_T2_,"axG",@progbits,_ZN7rocprim17ROCPRIM_400000_NS6detail30init_device_scan_by_key_kernelINS1_19lookback_scan_stateINS0_5tupleIJtbEEELb0ELb1EEEN6thrust23THRUST_200600_302600_NS6detail15normal_iteratorINS8_10device_ptrIiEEEEjNS1_16block_id_wrapperIjLb1EEEEEvT_jjPNSG_10value_typeET0_PNSt15iterator_traitsISJ_E10value_typeEmT1_T2_,comdat
	.protected	_ZN7rocprim17ROCPRIM_400000_NS6detail30init_device_scan_by_key_kernelINS1_19lookback_scan_stateINS0_5tupleIJtbEEELb0ELb1EEEN6thrust23THRUST_200600_302600_NS6detail15normal_iteratorINS8_10device_ptrIiEEEEjNS1_16block_id_wrapperIjLb1EEEEEvT_jjPNSG_10value_typeET0_PNSt15iterator_traitsISJ_E10value_typeEmT1_T2_ ; -- Begin function _ZN7rocprim17ROCPRIM_400000_NS6detail30init_device_scan_by_key_kernelINS1_19lookback_scan_stateINS0_5tupleIJtbEEELb0ELb1EEEN6thrust23THRUST_200600_302600_NS6detail15normal_iteratorINS8_10device_ptrIiEEEEjNS1_16block_id_wrapperIjLb1EEEEEvT_jjPNSG_10value_typeET0_PNSt15iterator_traitsISJ_E10value_typeEmT1_T2_
	.globl	_ZN7rocprim17ROCPRIM_400000_NS6detail30init_device_scan_by_key_kernelINS1_19lookback_scan_stateINS0_5tupleIJtbEEELb0ELb1EEEN6thrust23THRUST_200600_302600_NS6detail15normal_iteratorINS8_10device_ptrIiEEEEjNS1_16block_id_wrapperIjLb1EEEEEvT_jjPNSG_10value_typeET0_PNSt15iterator_traitsISJ_E10value_typeEmT1_T2_
	.p2align	8
	.type	_ZN7rocprim17ROCPRIM_400000_NS6detail30init_device_scan_by_key_kernelINS1_19lookback_scan_stateINS0_5tupleIJtbEEELb0ELb1EEEN6thrust23THRUST_200600_302600_NS6detail15normal_iteratorINS8_10device_ptrIiEEEEjNS1_16block_id_wrapperIjLb1EEEEEvT_jjPNSG_10value_typeET0_PNSt15iterator_traitsISJ_E10value_typeEmT1_T2_,@function
_ZN7rocprim17ROCPRIM_400000_NS6detail30init_device_scan_by_key_kernelINS1_19lookback_scan_stateINS0_5tupleIJtbEEELb0ELb1EEEN6thrust23THRUST_200600_302600_NS6detail15normal_iteratorINS8_10device_ptrIiEEEEjNS1_16block_id_wrapperIjLb1EEEEEvT_jjPNSG_10value_typeET0_PNSt15iterator_traitsISJ_E10value_typeEmT1_T2_: ; @_ZN7rocprim17ROCPRIM_400000_NS6detail30init_device_scan_by_key_kernelINS1_19lookback_scan_stateINS0_5tupleIJtbEEELb0ELb1EEEN6thrust23THRUST_200600_302600_NS6detail15normal_iteratorINS8_10device_ptrIiEEEEjNS1_16block_id_wrapperIjLb1EEEEEvT_jjPNSG_10value_typeET0_PNSt15iterator_traitsISJ_E10value_typeEmT1_T2_
; %bb.0:
	s_load_dword s0, s[4:5], 0x4c
	s_load_dwordx8 s[8:15], s[4:5], 0x0
	s_load_dword s7, s[4:5], 0x40
	s_waitcnt lgkmcnt(0)
	s_and_b32 s16, s0, 0xffff
	s_mul_i32 s6, s6, s16
	s_cmp_eq_u64 s[12:13], 0
	v_add_u32_e32 v0, s6, v0
	s_cbranch_scc1 .LBB1298_6
; %bb.1:
	s_cmp_lt_u32 s11, s10
	s_cselect_b32 s0, s11, 0
	s_mov_b32 s3, 0
	v_cmp_eq_u32_e32 vcc, s0, v0
	s_and_saveexec_b64 s[0:1], vcc
	s_cbranch_execz .LBB1298_5
; %bb.2:
	s_add_i32 s2, s11, 64
	s_lshl_b64 s[2:3], s[2:3], 3
	s_add_u32 s2, s8, s2
	s_addc_u32 s3, s9, s3
	v_mov_b32_e32 v4, 0
	global_load_dwordx2 v[2:3], v4, s[2:3] glc
	s_waitcnt vmcnt(0)
	v_and_b32_e32 v5, 0xff, v3
	v_cmp_ne_u64_e32 vcc, 0, v[4:5]
	s_cbranch_vccnz .LBB1298_4
.LBB1298_3:                             ; =>This Inner Loop Header: Depth=1
	global_load_dwordx2 v[2:3], v4, s[2:3] glc
	s_waitcnt vmcnt(0)
	v_and_b32_e32 v5, 0xff, v3
	v_cmp_eq_u64_e32 vcc, 0, v[4:5]
	s_cbranch_vccnz .LBB1298_3
.LBB1298_4:
	v_mov_b32_e32 v1, 0
	global_store_short v1, v2, s[12:13]
	global_store_byte_d16_hi v1, v2, s[12:13] offset:2
.LBB1298_5:
	s_or_b64 exec, exec, s[0:1]
.LBB1298_6:
	v_cmp_eq_u32_e32 vcc, 0, v0
	s_and_saveexec_b64 s[0:1], vcc
	s_cbranch_execz .LBB1298_8
; %bb.7:
	s_load_dwordx2 s[2:3], s[4:5], 0x38
	v_mov_b32_e32 v1, 0
	s_waitcnt lgkmcnt(0)
	global_store_dword v1, v1, s[2:3]
.LBB1298_8:
	s_or_b64 exec, exec, s[0:1]
	v_cmp_gt_u32_e32 vcc, s10, v0
	s_and_saveexec_b64 s[0:1], vcc
	s_cbranch_execz .LBB1298_10
; %bb.9:
	v_add_u32_e32 v2, 64, v0
	v_mov_b32_e32 v3, 0
	v_lshlrev_b64 v[4:5], 3, v[2:3]
	v_mov_b32_e32 v1, s9
	v_add_co_u32_e32 v4, vcc, s8, v4
	v_addc_co_u32_e32 v5, vcc, v1, v5, vcc
	v_mov_b32_e32 v2, v3
	global_store_dwordx2 v[4:5], v[2:3], off
.LBB1298_10:
	s_or_b64 exec, exec, s[0:1]
	v_cmp_gt_u32_e32 vcc, 64, v0
	v_mov_b32_e32 v1, 0
	s_and_saveexec_b64 s[0:1], vcc
	s_cbranch_execz .LBB1298_12
; %bb.11:
	v_lshlrev_b64 v[2:3], 3, v[0:1]
	v_mov_b32_e32 v4, s9
	v_add_co_u32_e32 v2, vcc, s8, v2
	v_addc_co_u32_e32 v3, vcc, v4, v3, vcc
	v_mov_b32_e32 v5, 0xff
	v_mov_b32_e32 v4, v1
	global_store_dwordx2 v[2:3], v[4:5], off
.LBB1298_12:
	s_or_b64 exec, exec, s[0:1]
	s_load_dwordx2 s[0:1], s[4:5], 0x28
	s_waitcnt lgkmcnt(0)
	v_cmp_gt_u64_e32 vcc, s[0:1], v[0:1]
	s_and_saveexec_b64 s[2:3], vcc
	s_cbranch_execz .LBB1298_15
; %bb.13:
	s_load_dword s10, s[4:5], 0x30
	s_load_dwordx2 s[8:9], s[4:5], 0x20
	s_mov_b32 s5, 0
	s_mov_b32 s3, s5
	s_mul_i32 s2, s7, s16
	s_waitcnt lgkmcnt(0)
	s_add_i32 s4, s10, -1
	s_lshl_b64 s[4:5], s[4:5], 2
	v_mad_u64_u32 v[2:3], s[6:7], s10, v0, 0
	s_add_u32 s4, s14, s4
	v_lshlrev_b64 v[2:3], 2, v[2:3]
	s_addc_u32 s5, s15, s5
	v_mov_b32_e32 v4, s5
	v_add_co_u32_e32 v2, vcc, s4, v2
	v_addc_co_u32_e32 v3, vcc, v4, v3, vcc
	s_mul_hi_u32 s5, s10, s2
	s_mul_i32 s4, s10, s2
	v_lshlrev_b64 v[4:5], 2, v[0:1]
	s_lshl_b64 s[4:5], s[4:5], 2
	v_mov_b32_e32 v6, s9
	v_add_co_u32_e32 v4, vcc, s8, v4
	s_lshl_b64 s[6:7], s[2:3], 2
	v_addc_co_u32_e32 v5, vcc, v6, v5, vcc
	s_mov_b64 s[8:9], 0
	v_mov_b32_e32 v6, s3
	v_mov_b32_e32 v7, s5
	v_mov_b32_e32 v8, s7
.LBB1298_14:                            ; =>This Inner Loop Header: Depth=1
	global_load_dword v9, v[2:3], off
	v_add_co_u32_e32 v0, vcc, s2, v0
	v_addc_co_u32_e32 v1, vcc, v1, v6, vcc
	v_add_co_u32_e32 v2, vcc, s4, v2
	v_addc_co_u32_e32 v3, vcc, v3, v7, vcc
	v_cmp_le_u64_e32 vcc, s[0:1], v[0:1]
	s_or_b64 s[8:9], vcc, s[8:9]
	s_waitcnt vmcnt(0)
	global_store_dword v[4:5], v9, off
	v_add_co_u32_e32 v4, vcc, s6, v4
	v_addc_co_u32_e32 v5, vcc, v5, v8, vcc
	s_andn2_b64 exec, exec, s[8:9]
	s_cbranch_execnz .LBB1298_14
.LBB1298_15:
	s_endpgm
	.section	.rodata,"a",@progbits
	.p2align	6, 0x0
	.amdhsa_kernel _ZN7rocprim17ROCPRIM_400000_NS6detail30init_device_scan_by_key_kernelINS1_19lookback_scan_stateINS0_5tupleIJtbEEELb0ELb1EEEN6thrust23THRUST_200600_302600_NS6detail15normal_iteratorINS8_10device_ptrIiEEEEjNS1_16block_id_wrapperIjLb1EEEEEvT_jjPNSG_10value_typeET0_PNSt15iterator_traitsISJ_E10value_typeEmT1_T2_
		.amdhsa_group_segment_fixed_size 0
		.amdhsa_private_segment_fixed_size 0
		.amdhsa_kernarg_size 320
		.amdhsa_user_sgpr_count 6
		.amdhsa_user_sgpr_private_segment_buffer 1
		.amdhsa_user_sgpr_dispatch_ptr 0
		.amdhsa_user_sgpr_queue_ptr 0
		.amdhsa_user_sgpr_kernarg_segment_ptr 1
		.amdhsa_user_sgpr_dispatch_id 0
		.amdhsa_user_sgpr_flat_scratch_init 0
		.amdhsa_user_sgpr_kernarg_preload_length 0
		.amdhsa_user_sgpr_kernarg_preload_offset 0
		.amdhsa_user_sgpr_private_segment_size 0
		.amdhsa_uses_dynamic_stack 0
		.amdhsa_system_sgpr_private_segment_wavefront_offset 0
		.amdhsa_system_sgpr_workgroup_id_x 1
		.amdhsa_system_sgpr_workgroup_id_y 0
		.amdhsa_system_sgpr_workgroup_id_z 0
		.amdhsa_system_sgpr_workgroup_info 0
		.amdhsa_system_vgpr_workitem_id 0
		.amdhsa_next_free_vgpr 10
		.amdhsa_next_free_sgpr 17
		.amdhsa_accum_offset 12
		.amdhsa_reserve_vcc 1
		.amdhsa_reserve_flat_scratch 0
		.amdhsa_float_round_mode_32 0
		.amdhsa_float_round_mode_16_64 0
		.amdhsa_float_denorm_mode_32 3
		.amdhsa_float_denorm_mode_16_64 3
		.amdhsa_dx10_clamp 1
		.amdhsa_ieee_mode 1
		.amdhsa_fp16_overflow 0
		.amdhsa_tg_split 0
		.amdhsa_exception_fp_ieee_invalid_op 0
		.amdhsa_exception_fp_denorm_src 0
		.amdhsa_exception_fp_ieee_div_zero 0
		.amdhsa_exception_fp_ieee_overflow 0
		.amdhsa_exception_fp_ieee_underflow 0
		.amdhsa_exception_fp_ieee_inexact 0
		.amdhsa_exception_int_div_zero 0
	.end_amdhsa_kernel
	.section	.text._ZN7rocprim17ROCPRIM_400000_NS6detail30init_device_scan_by_key_kernelINS1_19lookback_scan_stateINS0_5tupleIJtbEEELb0ELb1EEEN6thrust23THRUST_200600_302600_NS6detail15normal_iteratorINS8_10device_ptrIiEEEEjNS1_16block_id_wrapperIjLb1EEEEEvT_jjPNSG_10value_typeET0_PNSt15iterator_traitsISJ_E10value_typeEmT1_T2_,"axG",@progbits,_ZN7rocprim17ROCPRIM_400000_NS6detail30init_device_scan_by_key_kernelINS1_19lookback_scan_stateINS0_5tupleIJtbEEELb0ELb1EEEN6thrust23THRUST_200600_302600_NS6detail15normal_iteratorINS8_10device_ptrIiEEEEjNS1_16block_id_wrapperIjLb1EEEEEvT_jjPNSG_10value_typeET0_PNSt15iterator_traitsISJ_E10value_typeEmT1_T2_,comdat
.Lfunc_end1298:
	.size	_ZN7rocprim17ROCPRIM_400000_NS6detail30init_device_scan_by_key_kernelINS1_19lookback_scan_stateINS0_5tupleIJtbEEELb0ELb1EEEN6thrust23THRUST_200600_302600_NS6detail15normal_iteratorINS8_10device_ptrIiEEEEjNS1_16block_id_wrapperIjLb1EEEEEvT_jjPNSG_10value_typeET0_PNSt15iterator_traitsISJ_E10value_typeEmT1_T2_, .Lfunc_end1298-_ZN7rocprim17ROCPRIM_400000_NS6detail30init_device_scan_by_key_kernelINS1_19lookback_scan_stateINS0_5tupleIJtbEEELb0ELb1EEEN6thrust23THRUST_200600_302600_NS6detail15normal_iteratorINS8_10device_ptrIiEEEEjNS1_16block_id_wrapperIjLb1EEEEEvT_jjPNSG_10value_typeET0_PNSt15iterator_traitsISJ_E10value_typeEmT1_T2_
                                        ; -- End function
	.section	.AMDGPU.csdata,"",@progbits
; Kernel info:
; codeLenInByte = 548
; NumSgprs: 21
; NumVgprs: 10
; NumAgprs: 0
; TotalNumVgprs: 10
; ScratchSize: 0
; MemoryBound: 0
; FloatMode: 240
; IeeeMode: 1
; LDSByteSize: 0 bytes/workgroup (compile time only)
; SGPRBlocks: 2
; VGPRBlocks: 1
; NumSGPRsForWavesPerEU: 21
; NumVGPRsForWavesPerEU: 10
; AccumOffset: 12
; Occupancy: 8
; WaveLimiterHint : 0
; COMPUTE_PGM_RSRC2:SCRATCH_EN: 0
; COMPUTE_PGM_RSRC2:USER_SGPR: 6
; COMPUTE_PGM_RSRC2:TRAP_HANDLER: 0
; COMPUTE_PGM_RSRC2:TGID_X_EN: 1
; COMPUTE_PGM_RSRC2:TGID_Y_EN: 0
; COMPUTE_PGM_RSRC2:TGID_Z_EN: 0
; COMPUTE_PGM_RSRC2:TIDIG_COMP_CNT: 0
; COMPUTE_PGM_RSRC3_GFX90A:ACCUM_OFFSET: 2
; COMPUTE_PGM_RSRC3_GFX90A:TG_SPLIT: 0
	.section	.text._ZN7rocprim17ROCPRIM_400000_NS6detail30init_device_scan_by_key_kernelINS1_19lookback_scan_stateINS0_5tupleIJtbEEELb0ELb1EEENS1_16block_id_wrapperIjLb1EEEEEvT_jjPNS9_10value_typeET0_,"axG",@progbits,_ZN7rocprim17ROCPRIM_400000_NS6detail30init_device_scan_by_key_kernelINS1_19lookback_scan_stateINS0_5tupleIJtbEEELb0ELb1EEENS1_16block_id_wrapperIjLb1EEEEEvT_jjPNS9_10value_typeET0_,comdat
	.protected	_ZN7rocprim17ROCPRIM_400000_NS6detail30init_device_scan_by_key_kernelINS1_19lookback_scan_stateINS0_5tupleIJtbEEELb0ELb1EEENS1_16block_id_wrapperIjLb1EEEEEvT_jjPNS9_10value_typeET0_ ; -- Begin function _ZN7rocprim17ROCPRIM_400000_NS6detail30init_device_scan_by_key_kernelINS1_19lookback_scan_stateINS0_5tupleIJtbEEELb0ELb1EEENS1_16block_id_wrapperIjLb1EEEEEvT_jjPNS9_10value_typeET0_
	.globl	_ZN7rocprim17ROCPRIM_400000_NS6detail30init_device_scan_by_key_kernelINS1_19lookback_scan_stateINS0_5tupleIJtbEEELb0ELb1EEENS1_16block_id_wrapperIjLb1EEEEEvT_jjPNS9_10value_typeET0_
	.p2align	8
	.type	_ZN7rocprim17ROCPRIM_400000_NS6detail30init_device_scan_by_key_kernelINS1_19lookback_scan_stateINS0_5tupleIJtbEEELb0ELb1EEENS1_16block_id_wrapperIjLb1EEEEEvT_jjPNS9_10value_typeET0_,@function
_ZN7rocprim17ROCPRIM_400000_NS6detail30init_device_scan_by_key_kernelINS1_19lookback_scan_stateINS0_5tupleIJtbEEELb0ELb1EEENS1_16block_id_wrapperIjLb1EEEEEvT_jjPNS9_10value_typeET0_: ; @_ZN7rocprim17ROCPRIM_400000_NS6detail30init_device_scan_by_key_kernelINS1_19lookback_scan_stateINS0_5tupleIJtbEEELb0ELb1EEENS1_16block_id_wrapperIjLb1EEEEEvT_jjPNS9_10value_typeET0_
; %bb.0:
	s_load_dword s0, s[4:5], 0x2c
	s_load_dwordx8 s[8:15], s[4:5], 0x0
	s_waitcnt lgkmcnt(0)
	s_and_b32 s0, s0, 0xffff
	s_mul_i32 s6, s6, s0
	s_cmp_eq_u64 s[12:13], 0
	v_add_u32_e32 v0, s6, v0
	s_cbranch_scc1 .LBB1299_6
; %bb.1:
	s_cmp_lt_u32 s11, s10
	s_cselect_b32 s0, s11, 0
	s_mov_b32 s3, 0
	v_cmp_eq_u32_e32 vcc, s0, v0
	s_and_saveexec_b64 s[0:1], vcc
	s_cbranch_execz .LBB1299_5
; %bb.2:
	s_add_i32 s2, s11, 64
	s_lshl_b64 s[2:3], s[2:3], 3
	s_add_u32 s2, s8, s2
	s_addc_u32 s3, s9, s3
	v_mov_b32_e32 v4, 0
	global_load_dwordx2 v[2:3], v4, s[2:3] glc
	s_waitcnt vmcnt(0)
	v_and_b32_e32 v5, 0xff, v3
	v_cmp_ne_u64_e32 vcc, 0, v[4:5]
	s_cbranch_vccnz .LBB1299_4
.LBB1299_3:                             ; =>This Inner Loop Header: Depth=1
	global_load_dwordx2 v[2:3], v4, s[2:3] glc
	s_waitcnt vmcnt(0)
	v_and_b32_e32 v5, 0xff, v3
	v_cmp_eq_u64_e32 vcc, 0, v[4:5]
	s_cbranch_vccnz .LBB1299_3
.LBB1299_4:
	v_mov_b32_e32 v1, 0
	global_store_short v1, v2, s[12:13]
	global_store_byte_d16_hi v1, v2, s[12:13] offset:2
.LBB1299_5:
	s_or_b64 exec, exec, s[0:1]
.LBB1299_6:
	v_cmp_eq_u32_e32 vcc, 0, v0
	s_and_saveexec_b64 s[0:1], vcc
	s_cbranch_execnz .LBB1299_10
; %bb.7:
	s_or_b64 exec, exec, s[0:1]
	v_cmp_gt_u32_e32 vcc, s10, v0
	s_and_saveexec_b64 s[0:1], vcc
	s_cbranch_execnz .LBB1299_11
.LBB1299_8:
	s_or_b64 exec, exec, s[0:1]
	v_cmp_gt_u32_e32 vcc, 64, v0
	s_and_saveexec_b64 s[0:1], vcc
	s_cbranch_execnz .LBB1299_12
.LBB1299_9:
	s_endpgm
.LBB1299_10:
	v_mov_b32_e32 v1, 0
	global_store_dword v1, v1, s[14:15]
	s_or_b64 exec, exec, s[0:1]
	v_cmp_gt_u32_e32 vcc, s10, v0
	s_and_saveexec_b64 s[0:1], vcc
	s_cbranch_execz .LBB1299_8
.LBB1299_11:
	v_add_u32_e32 v2, 64, v0
	v_mov_b32_e32 v3, 0
	v_lshlrev_b64 v[4:5], 3, v[2:3]
	v_mov_b32_e32 v1, s9
	v_add_co_u32_e32 v4, vcc, s8, v4
	v_addc_co_u32_e32 v5, vcc, v1, v5, vcc
	v_mov_b32_e32 v2, v3
	global_store_dwordx2 v[4:5], v[2:3], off
	s_or_b64 exec, exec, s[0:1]
	v_cmp_gt_u32_e32 vcc, 64, v0
	s_and_saveexec_b64 s[0:1], vcc
	s_cbranch_execz .LBB1299_9
.LBB1299_12:
	v_mov_b32_e32 v1, 0
	v_lshlrev_b64 v[2:3], 3, v[0:1]
	v_mov_b32_e32 v0, s9
	v_add_co_u32_e32 v2, vcc, s8, v2
	v_addc_co_u32_e32 v3, vcc, v0, v3, vcc
	v_mov_b32_e32 v5, 0xff
	v_mov_b32_e32 v4, v1
	global_store_dwordx2 v[2:3], v[4:5], off
	s_endpgm
	.section	.rodata,"a",@progbits
	.p2align	6, 0x0
	.amdhsa_kernel _ZN7rocprim17ROCPRIM_400000_NS6detail30init_device_scan_by_key_kernelINS1_19lookback_scan_stateINS0_5tupleIJtbEEELb0ELb1EEENS1_16block_id_wrapperIjLb1EEEEEvT_jjPNS9_10value_typeET0_
		.amdhsa_group_segment_fixed_size 0
		.amdhsa_private_segment_fixed_size 0
		.amdhsa_kernarg_size 288
		.amdhsa_user_sgpr_count 6
		.amdhsa_user_sgpr_private_segment_buffer 1
		.amdhsa_user_sgpr_dispatch_ptr 0
		.amdhsa_user_sgpr_queue_ptr 0
		.amdhsa_user_sgpr_kernarg_segment_ptr 1
		.amdhsa_user_sgpr_dispatch_id 0
		.amdhsa_user_sgpr_flat_scratch_init 0
		.amdhsa_user_sgpr_kernarg_preload_length 0
		.amdhsa_user_sgpr_kernarg_preload_offset 0
		.amdhsa_user_sgpr_private_segment_size 0
		.amdhsa_uses_dynamic_stack 0
		.amdhsa_system_sgpr_private_segment_wavefront_offset 0
		.amdhsa_system_sgpr_workgroup_id_x 1
		.amdhsa_system_sgpr_workgroup_id_y 0
		.amdhsa_system_sgpr_workgroup_id_z 0
		.amdhsa_system_sgpr_workgroup_info 0
		.amdhsa_system_vgpr_workitem_id 0
		.amdhsa_next_free_vgpr 6
		.amdhsa_next_free_sgpr 16
		.amdhsa_accum_offset 8
		.amdhsa_reserve_vcc 1
		.amdhsa_reserve_flat_scratch 0
		.amdhsa_float_round_mode_32 0
		.amdhsa_float_round_mode_16_64 0
		.amdhsa_float_denorm_mode_32 3
		.amdhsa_float_denorm_mode_16_64 3
		.amdhsa_dx10_clamp 1
		.amdhsa_ieee_mode 1
		.amdhsa_fp16_overflow 0
		.amdhsa_tg_split 0
		.amdhsa_exception_fp_ieee_invalid_op 0
		.amdhsa_exception_fp_denorm_src 0
		.amdhsa_exception_fp_ieee_div_zero 0
		.amdhsa_exception_fp_ieee_overflow 0
		.amdhsa_exception_fp_ieee_underflow 0
		.amdhsa_exception_fp_ieee_inexact 0
		.amdhsa_exception_int_div_zero 0
	.end_amdhsa_kernel
	.section	.text._ZN7rocprim17ROCPRIM_400000_NS6detail30init_device_scan_by_key_kernelINS1_19lookback_scan_stateINS0_5tupleIJtbEEELb0ELb1EEENS1_16block_id_wrapperIjLb1EEEEEvT_jjPNS9_10value_typeET0_,"axG",@progbits,_ZN7rocprim17ROCPRIM_400000_NS6detail30init_device_scan_by_key_kernelINS1_19lookback_scan_stateINS0_5tupleIJtbEEELb0ELb1EEENS1_16block_id_wrapperIjLb1EEEEEvT_jjPNS9_10value_typeET0_,comdat
.Lfunc_end1299:
	.size	_ZN7rocprim17ROCPRIM_400000_NS6detail30init_device_scan_by_key_kernelINS1_19lookback_scan_stateINS0_5tupleIJtbEEELb0ELb1EEENS1_16block_id_wrapperIjLb1EEEEEvT_jjPNS9_10value_typeET0_, .Lfunc_end1299-_ZN7rocprim17ROCPRIM_400000_NS6detail30init_device_scan_by_key_kernelINS1_19lookback_scan_stateINS0_5tupleIJtbEEELb0ELb1EEENS1_16block_id_wrapperIjLb1EEEEEvT_jjPNS9_10value_typeET0_
                                        ; -- End function
	.section	.AMDGPU.csdata,"",@progbits
; Kernel info:
; codeLenInByte = 348
; NumSgprs: 20
; NumVgprs: 6
; NumAgprs: 0
; TotalNumVgprs: 6
; ScratchSize: 0
; MemoryBound: 0
; FloatMode: 240
; IeeeMode: 1
; LDSByteSize: 0 bytes/workgroup (compile time only)
; SGPRBlocks: 2
; VGPRBlocks: 0
; NumSGPRsForWavesPerEU: 20
; NumVGPRsForWavesPerEU: 6
; AccumOffset: 8
; Occupancy: 8
; WaveLimiterHint : 0
; COMPUTE_PGM_RSRC2:SCRATCH_EN: 0
; COMPUTE_PGM_RSRC2:USER_SGPR: 6
; COMPUTE_PGM_RSRC2:TRAP_HANDLER: 0
; COMPUTE_PGM_RSRC2:TGID_X_EN: 1
; COMPUTE_PGM_RSRC2:TGID_Y_EN: 0
; COMPUTE_PGM_RSRC2:TGID_Z_EN: 0
; COMPUTE_PGM_RSRC2:TIDIG_COMP_CNT: 0
; COMPUTE_PGM_RSRC3_GFX90A:ACCUM_OFFSET: 1
; COMPUTE_PGM_RSRC3_GFX90A:TG_SPLIT: 0
	.section	.text._ZN7rocprim17ROCPRIM_400000_NS6detail17trampoline_kernelINS0_14default_configENS1_27scan_by_key_config_selectorIitEEZZNS1_16scan_by_key_implILNS1_25lookback_scan_determinismE0ELb0ES3_N6thrust23THRUST_200600_302600_NS6detail15normal_iteratorINS9_10device_ptrIiEEEENSB_INSC_ItEEEESG_tNS9_4plusIvEENS9_8equal_toIvEEtEE10hipError_tPvRmT2_T3_T4_T5_mT6_T7_P12ihipStream_tbENKUlT_T0_E_clISt17integral_constantIbLb0EES10_IbLb1EEEEDaSW_SX_EUlSW_E_NS1_11comp_targetILNS1_3genE0ELNS1_11target_archE4294967295ELNS1_3gpuE0ELNS1_3repE0EEENS1_30default_config_static_selectorELNS0_4arch9wavefront6targetE1EEEvT1_,"axG",@progbits,_ZN7rocprim17ROCPRIM_400000_NS6detail17trampoline_kernelINS0_14default_configENS1_27scan_by_key_config_selectorIitEEZZNS1_16scan_by_key_implILNS1_25lookback_scan_determinismE0ELb0ES3_N6thrust23THRUST_200600_302600_NS6detail15normal_iteratorINS9_10device_ptrIiEEEENSB_INSC_ItEEEESG_tNS9_4plusIvEENS9_8equal_toIvEEtEE10hipError_tPvRmT2_T3_T4_T5_mT6_T7_P12ihipStream_tbENKUlT_T0_E_clISt17integral_constantIbLb0EES10_IbLb1EEEEDaSW_SX_EUlSW_E_NS1_11comp_targetILNS1_3genE0ELNS1_11target_archE4294967295ELNS1_3gpuE0ELNS1_3repE0EEENS1_30default_config_static_selectorELNS0_4arch9wavefront6targetE1EEEvT1_,comdat
	.protected	_ZN7rocprim17ROCPRIM_400000_NS6detail17trampoline_kernelINS0_14default_configENS1_27scan_by_key_config_selectorIitEEZZNS1_16scan_by_key_implILNS1_25lookback_scan_determinismE0ELb0ES3_N6thrust23THRUST_200600_302600_NS6detail15normal_iteratorINS9_10device_ptrIiEEEENSB_INSC_ItEEEESG_tNS9_4plusIvEENS9_8equal_toIvEEtEE10hipError_tPvRmT2_T3_T4_T5_mT6_T7_P12ihipStream_tbENKUlT_T0_E_clISt17integral_constantIbLb0EES10_IbLb1EEEEDaSW_SX_EUlSW_E_NS1_11comp_targetILNS1_3genE0ELNS1_11target_archE4294967295ELNS1_3gpuE0ELNS1_3repE0EEENS1_30default_config_static_selectorELNS0_4arch9wavefront6targetE1EEEvT1_ ; -- Begin function _ZN7rocprim17ROCPRIM_400000_NS6detail17trampoline_kernelINS0_14default_configENS1_27scan_by_key_config_selectorIitEEZZNS1_16scan_by_key_implILNS1_25lookback_scan_determinismE0ELb0ES3_N6thrust23THRUST_200600_302600_NS6detail15normal_iteratorINS9_10device_ptrIiEEEENSB_INSC_ItEEEESG_tNS9_4plusIvEENS9_8equal_toIvEEtEE10hipError_tPvRmT2_T3_T4_T5_mT6_T7_P12ihipStream_tbENKUlT_T0_E_clISt17integral_constantIbLb0EES10_IbLb1EEEEDaSW_SX_EUlSW_E_NS1_11comp_targetILNS1_3genE0ELNS1_11target_archE4294967295ELNS1_3gpuE0ELNS1_3repE0EEENS1_30default_config_static_selectorELNS0_4arch9wavefront6targetE1EEEvT1_
	.globl	_ZN7rocprim17ROCPRIM_400000_NS6detail17trampoline_kernelINS0_14default_configENS1_27scan_by_key_config_selectorIitEEZZNS1_16scan_by_key_implILNS1_25lookback_scan_determinismE0ELb0ES3_N6thrust23THRUST_200600_302600_NS6detail15normal_iteratorINS9_10device_ptrIiEEEENSB_INSC_ItEEEESG_tNS9_4plusIvEENS9_8equal_toIvEEtEE10hipError_tPvRmT2_T3_T4_T5_mT6_T7_P12ihipStream_tbENKUlT_T0_E_clISt17integral_constantIbLb0EES10_IbLb1EEEEDaSW_SX_EUlSW_E_NS1_11comp_targetILNS1_3genE0ELNS1_11target_archE4294967295ELNS1_3gpuE0ELNS1_3repE0EEENS1_30default_config_static_selectorELNS0_4arch9wavefront6targetE1EEEvT1_
	.p2align	8
	.type	_ZN7rocprim17ROCPRIM_400000_NS6detail17trampoline_kernelINS0_14default_configENS1_27scan_by_key_config_selectorIitEEZZNS1_16scan_by_key_implILNS1_25lookback_scan_determinismE0ELb0ES3_N6thrust23THRUST_200600_302600_NS6detail15normal_iteratorINS9_10device_ptrIiEEEENSB_INSC_ItEEEESG_tNS9_4plusIvEENS9_8equal_toIvEEtEE10hipError_tPvRmT2_T3_T4_T5_mT6_T7_P12ihipStream_tbENKUlT_T0_E_clISt17integral_constantIbLb0EES10_IbLb1EEEEDaSW_SX_EUlSW_E_NS1_11comp_targetILNS1_3genE0ELNS1_11target_archE4294967295ELNS1_3gpuE0ELNS1_3repE0EEENS1_30default_config_static_selectorELNS0_4arch9wavefront6targetE1EEEvT1_,@function
_ZN7rocprim17ROCPRIM_400000_NS6detail17trampoline_kernelINS0_14default_configENS1_27scan_by_key_config_selectorIitEEZZNS1_16scan_by_key_implILNS1_25lookback_scan_determinismE0ELb0ES3_N6thrust23THRUST_200600_302600_NS6detail15normal_iteratorINS9_10device_ptrIiEEEENSB_INSC_ItEEEESG_tNS9_4plusIvEENS9_8equal_toIvEEtEE10hipError_tPvRmT2_T3_T4_T5_mT6_T7_P12ihipStream_tbENKUlT_T0_E_clISt17integral_constantIbLb0EES10_IbLb1EEEEDaSW_SX_EUlSW_E_NS1_11comp_targetILNS1_3genE0ELNS1_11target_archE4294967295ELNS1_3gpuE0ELNS1_3repE0EEENS1_30default_config_static_selectorELNS0_4arch9wavefront6targetE1EEEvT1_: ; @_ZN7rocprim17ROCPRIM_400000_NS6detail17trampoline_kernelINS0_14default_configENS1_27scan_by_key_config_selectorIitEEZZNS1_16scan_by_key_implILNS1_25lookback_scan_determinismE0ELb0ES3_N6thrust23THRUST_200600_302600_NS6detail15normal_iteratorINS9_10device_ptrIiEEEENSB_INSC_ItEEEESG_tNS9_4plusIvEENS9_8equal_toIvEEtEE10hipError_tPvRmT2_T3_T4_T5_mT6_T7_P12ihipStream_tbENKUlT_T0_E_clISt17integral_constantIbLb0EES10_IbLb1EEEEDaSW_SX_EUlSW_E_NS1_11comp_targetILNS1_3genE0ELNS1_11target_archE4294967295ELNS1_3gpuE0ELNS1_3repE0EEENS1_30default_config_static_selectorELNS0_4arch9wavefront6targetE1EEEvT1_
; %bb.0:
	.section	.rodata,"a",@progbits
	.p2align	6, 0x0
	.amdhsa_kernel _ZN7rocprim17ROCPRIM_400000_NS6detail17trampoline_kernelINS0_14default_configENS1_27scan_by_key_config_selectorIitEEZZNS1_16scan_by_key_implILNS1_25lookback_scan_determinismE0ELb0ES3_N6thrust23THRUST_200600_302600_NS6detail15normal_iteratorINS9_10device_ptrIiEEEENSB_INSC_ItEEEESG_tNS9_4plusIvEENS9_8equal_toIvEEtEE10hipError_tPvRmT2_T3_T4_T5_mT6_T7_P12ihipStream_tbENKUlT_T0_E_clISt17integral_constantIbLb0EES10_IbLb1EEEEDaSW_SX_EUlSW_E_NS1_11comp_targetILNS1_3genE0ELNS1_11target_archE4294967295ELNS1_3gpuE0ELNS1_3repE0EEENS1_30default_config_static_selectorELNS0_4arch9wavefront6targetE1EEEvT1_
		.amdhsa_group_segment_fixed_size 0
		.amdhsa_private_segment_fixed_size 0
		.amdhsa_kernarg_size 112
		.amdhsa_user_sgpr_count 6
		.amdhsa_user_sgpr_private_segment_buffer 1
		.amdhsa_user_sgpr_dispatch_ptr 0
		.amdhsa_user_sgpr_queue_ptr 0
		.amdhsa_user_sgpr_kernarg_segment_ptr 1
		.amdhsa_user_sgpr_dispatch_id 0
		.amdhsa_user_sgpr_flat_scratch_init 0
		.amdhsa_user_sgpr_kernarg_preload_length 0
		.amdhsa_user_sgpr_kernarg_preload_offset 0
		.amdhsa_user_sgpr_private_segment_size 0
		.amdhsa_uses_dynamic_stack 0
		.amdhsa_system_sgpr_private_segment_wavefront_offset 0
		.amdhsa_system_sgpr_workgroup_id_x 1
		.amdhsa_system_sgpr_workgroup_id_y 0
		.amdhsa_system_sgpr_workgroup_id_z 0
		.amdhsa_system_sgpr_workgroup_info 0
		.amdhsa_system_vgpr_workitem_id 0
		.amdhsa_next_free_vgpr 1
		.amdhsa_next_free_sgpr 0
		.amdhsa_accum_offset 4
		.amdhsa_reserve_vcc 0
		.amdhsa_reserve_flat_scratch 0
		.amdhsa_float_round_mode_32 0
		.amdhsa_float_round_mode_16_64 0
		.amdhsa_float_denorm_mode_32 3
		.amdhsa_float_denorm_mode_16_64 3
		.amdhsa_dx10_clamp 1
		.amdhsa_ieee_mode 1
		.amdhsa_fp16_overflow 0
		.amdhsa_tg_split 0
		.amdhsa_exception_fp_ieee_invalid_op 0
		.amdhsa_exception_fp_denorm_src 0
		.amdhsa_exception_fp_ieee_div_zero 0
		.amdhsa_exception_fp_ieee_overflow 0
		.amdhsa_exception_fp_ieee_underflow 0
		.amdhsa_exception_fp_ieee_inexact 0
		.amdhsa_exception_int_div_zero 0
	.end_amdhsa_kernel
	.section	.text._ZN7rocprim17ROCPRIM_400000_NS6detail17trampoline_kernelINS0_14default_configENS1_27scan_by_key_config_selectorIitEEZZNS1_16scan_by_key_implILNS1_25lookback_scan_determinismE0ELb0ES3_N6thrust23THRUST_200600_302600_NS6detail15normal_iteratorINS9_10device_ptrIiEEEENSB_INSC_ItEEEESG_tNS9_4plusIvEENS9_8equal_toIvEEtEE10hipError_tPvRmT2_T3_T4_T5_mT6_T7_P12ihipStream_tbENKUlT_T0_E_clISt17integral_constantIbLb0EES10_IbLb1EEEEDaSW_SX_EUlSW_E_NS1_11comp_targetILNS1_3genE0ELNS1_11target_archE4294967295ELNS1_3gpuE0ELNS1_3repE0EEENS1_30default_config_static_selectorELNS0_4arch9wavefront6targetE1EEEvT1_,"axG",@progbits,_ZN7rocprim17ROCPRIM_400000_NS6detail17trampoline_kernelINS0_14default_configENS1_27scan_by_key_config_selectorIitEEZZNS1_16scan_by_key_implILNS1_25lookback_scan_determinismE0ELb0ES3_N6thrust23THRUST_200600_302600_NS6detail15normal_iteratorINS9_10device_ptrIiEEEENSB_INSC_ItEEEESG_tNS9_4plusIvEENS9_8equal_toIvEEtEE10hipError_tPvRmT2_T3_T4_T5_mT6_T7_P12ihipStream_tbENKUlT_T0_E_clISt17integral_constantIbLb0EES10_IbLb1EEEEDaSW_SX_EUlSW_E_NS1_11comp_targetILNS1_3genE0ELNS1_11target_archE4294967295ELNS1_3gpuE0ELNS1_3repE0EEENS1_30default_config_static_selectorELNS0_4arch9wavefront6targetE1EEEvT1_,comdat
.Lfunc_end1300:
	.size	_ZN7rocprim17ROCPRIM_400000_NS6detail17trampoline_kernelINS0_14default_configENS1_27scan_by_key_config_selectorIitEEZZNS1_16scan_by_key_implILNS1_25lookback_scan_determinismE0ELb0ES3_N6thrust23THRUST_200600_302600_NS6detail15normal_iteratorINS9_10device_ptrIiEEEENSB_INSC_ItEEEESG_tNS9_4plusIvEENS9_8equal_toIvEEtEE10hipError_tPvRmT2_T3_T4_T5_mT6_T7_P12ihipStream_tbENKUlT_T0_E_clISt17integral_constantIbLb0EES10_IbLb1EEEEDaSW_SX_EUlSW_E_NS1_11comp_targetILNS1_3genE0ELNS1_11target_archE4294967295ELNS1_3gpuE0ELNS1_3repE0EEENS1_30default_config_static_selectorELNS0_4arch9wavefront6targetE1EEEvT1_, .Lfunc_end1300-_ZN7rocprim17ROCPRIM_400000_NS6detail17trampoline_kernelINS0_14default_configENS1_27scan_by_key_config_selectorIitEEZZNS1_16scan_by_key_implILNS1_25lookback_scan_determinismE0ELb0ES3_N6thrust23THRUST_200600_302600_NS6detail15normal_iteratorINS9_10device_ptrIiEEEENSB_INSC_ItEEEESG_tNS9_4plusIvEENS9_8equal_toIvEEtEE10hipError_tPvRmT2_T3_T4_T5_mT6_T7_P12ihipStream_tbENKUlT_T0_E_clISt17integral_constantIbLb0EES10_IbLb1EEEEDaSW_SX_EUlSW_E_NS1_11comp_targetILNS1_3genE0ELNS1_11target_archE4294967295ELNS1_3gpuE0ELNS1_3repE0EEENS1_30default_config_static_selectorELNS0_4arch9wavefront6targetE1EEEvT1_
                                        ; -- End function
	.section	.AMDGPU.csdata,"",@progbits
; Kernel info:
; codeLenInByte = 0
; NumSgprs: 4
; NumVgprs: 0
; NumAgprs: 0
; TotalNumVgprs: 0
; ScratchSize: 0
; MemoryBound: 0
; FloatMode: 240
; IeeeMode: 1
; LDSByteSize: 0 bytes/workgroup (compile time only)
; SGPRBlocks: 0
; VGPRBlocks: 0
; NumSGPRsForWavesPerEU: 4
; NumVGPRsForWavesPerEU: 1
; AccumOffset: 4
; Occupancy: 8
; WaveLimiterHint : 0
; COMPUTE_PGM_RSRC2:SCRATCH_EN: 0
; COMPUTE_PGM_RSRC2:USER_SGPR: 6
; COMPUTE_PGM_RSRC2:TRAP_HANDLER: 0
; COMPUTE_PGM_RSRC2:TGID_X_EN: 1
; COMPUTE_PGM_RSRC2:TGID_Y_EN: 0
; COMPUTE_PGM_RSRC2:TGID_Z_EN: 0
; COMPUTE_PGM_RSRC2:TIDIG_COMP_CNT: 0
; COMPUTE_PGM_RSRC3_GFX90A:ACCUM_OFFSET: 0
; COMPUTE_PGM_RSRC3_GFX90A:TG_SPLIT: 0
	.section	.text._ZN7rocprim17ROCPRIM_400000_NS6detail17trampoline_kernelINS0_14default_configENS1_27scan_by_key_config_selectorIitEEZZNS1_16scan_by_key_implILNS1_25lookback_scan_determinismE0ELb0ES3_N6thrust23THRUST_200600_302600_NS6detail15normal_iteratorINS9_10device_ptrIiEEEENSB_INSC_ItEEEESG_tNS9_4plusIvEENS9_8equal_toIvEEtEE10hipError_tPvRmT2_T3_T4_T5_mT6_T7_P12ihipStream_tbENKUlT_T0_E_clISt17integral_constantIbLb0EES10_IbLb1EEEEDaSW_SX_EUlSW_E_NS1_11comp_targetILNS1_3genE10ELNS1_11target_archE1201ELNS1_3gpuE5ELNS1_3repE0EEENS1_30default_config_static_selectorELNS0_4arch9wavefront6targetE1EEEvT1_,"axG",@progbits,_ZN7rocprim17ROCPRIM_400000_NS6detail17trampoline_kernelINS0_14default_configENS1_27scan_by_key_config_selectorIitEEZZNS1_16scan_by_key_implILNS1_25lookback_scan_determinismE0ELb0ES3_N6thrust23THRUST_200600_302600_NS6detail15normal_iteratorINS9_10device_ptrIiEEEENSB_INSC_ItEEEESG_tNS9_4plusIvEENS9_8equal_toIvEEtEE10hipError_tPvRmT2_T3_T4_T5_mT6_T7_P12ihipStream_tbENKUlT_T0_E_clISt17integral_constantIbLb0EES10_IbLb1EEEEDaSW_SX_EUlSW_E_NS1_11comp_targetILNS1_3genE10ELNS1_11target_archE1201ELNS1_3gpuE5ELNS1_3repE0EEENS1_30default_config_static_selectorELNS0_4arch9wavefront6targetE1EEEvT1_,comdat
	.protected	_ZN7rocprim17ROCPRIM_400000_NS6detail17trampoline_kernelINS0_14default_configENS1_27scan_by_key_config_selectorIitEEZZNS1_16scan_by_key_implILNS1_25lookback_scan_determinismE0ELb0ES3_N6thrust23THRUST_200600_302600_NS6detail15normal_iteratorINS9_10device_ptrIiEEEENSB_INSC_ItEEEESG_tNS9_4plusIvEENS9_8equal_toIvEEtEE10hipError_tPvRmT2_T3_T4_T5_mT6_T7_P12ihipStream_tbENKUlT_T0_E_clISt17integral_constantIbLb0EES10_IbLb1EEEEDaSW_SX_EUlSW_E_NS1_11comp_targetILNS1_3genE10ELNS1_11target_archE1201ELNS1_3gpuE5ELNS1_3repE0EEENS1_30default_config_static_selectorELNS0_4arch9wavefront6targetE1EEEvT1_ ; -- Begin function _ZN7rocprim17ROCPRIM_400000_NS6detail17trampoline_kernelINS0_14default_configENS1_27scan_by_key_config_selectorIitEEZZNS1_16scan_by_key_implILNS1_25lookback_scan_determinismE0ELb0ES3_N6thrust23THRUST_200600_302600_NS6detail15normal_iteratorINS9_10device_ptrIiEEEENSB_INSC_ItEEEESG_tNS9_4plusIvEENS9_8equal_toIvEEtEE10hipError_tPvRmT2_T3_T4_T5_mT6_T7_P12ihipStream_tbENKUlT_T0_E_clISt17integral_constantIbLb0EES10_IbLb1EEEEDaSW_SX_EUlSW_E_NS1_11comp_targetILNS1_3genE10ELNS1_11target_archE1201ELNS1_3gpuE5ELNS1_3repE0EEENS1_30default_config_static_selectorELNS0_4arch9wavefront6targetE1EEEvT1_
	.globl	_ZN7rocprim17ROCPRIM_400000_NS6detail17trampoline_kernelINS0_14default_configENS1_27scan_by_key_config_selectorIitEEZZNS1_16scan_by_key_implILNS1_25lookback_scan_determinismE0ELb0ES3_N6thrust23THRUST_200600_302600_NS6detail15normal_iteratorINS9_10device_ptrIiEEEENSB_INSC_ItEEEESG_tNS9_4plusIvEENS9_8equal_toIvEEtEE10hipError_tPvRmT2_T3_T4_T5_mT6_T7_P12ihipStream_tbENKUlT_T0_E_clISt17integral_constantIbLb0EES10_IbLb1EEEEDaSW_SX_EUlSW_E_NS1_11comp_targetILNS1_3genE10ELNS1_11target_archE1201ELNS1_3gpuE5ELNS1_3repE0EEENS1_30default_config_static_selectorELNS0_4arch9wavefront6targetE1EEEvT1_
	.p2align	8
	.type	_ZN7rocprim17ROCPRIM_400000_NS6detail17trampoline_kernelINS0_14default_configENS1_27scan_by_key_config_selectorIitEEZZNS1_16scan_by_key_implILNS1_25lookback_scan_determinismE0ELb0ES3_N6thrust23THRUST_200600_302600_NS6detail15normal_iteratorINS9_10device_ptrIiEEEENSB_INSC_ItEEEESG_tNS9_4plusIvEENS9_8equal_toIvEEtEE10hipError_tPvRmT2_T3_T4_T5_mT6_T7_P12ihipStream_tbENKUlT_T0_E_clISt17integral_constantIbLb0EES10_IbLb1EEEEDaSW_SX_EUlSW_E_NS1_11comp_targetILNS1_3genE10ELNS1_11target_archE1201ELNS1_3gpuE5ELNS1_3repE0EEENS1_30default_config_static_selectorELNS0_4arch9wavefront6targetE1EEEvT1_,@function
_ZN7rocprim17ROCPRIM_400000_NS6detail17trampoline_kernelINS0_14default_configENS1_27scan_by_key_config_selectorIitEEZZNS1_16scan_by_key_implILNS1_25lookback_scan_determinismE0ELb0ES3_N6thrust23THRUST_200600_302600_NS6detail15normal_iteratorINS9_10device_ptrIiEEEENSB_INSC_ItEEEESG_tNS9_4plusIvEENS9_8equal_toIvEEtEE10hipError_tPvRmT2_T3_T4_T5_mT6_T7_P12ihipStream_tbENKUlT_T0_E_clISt17integral_constantIbLb0EES10_IbLb1EEEEDaSW_SX_EUlSW_E_NS1_11comp_targetILNS1_3genE10ELNS1_11target_archE1201ELNS1_3gpuE5ELNS1_3repE0EEENS1_30default_config_static_selectorELNS0_4arch9wavefront6targetE1EEEvT1_: ; @_ZN7rocprim17ROCPRIM_400000_NS6detail17trampoline_kernelINS0_14default_configENS1_27scan_by_key_config_selectorIitEEZZNS1_16scan_by_key_implILNS1_25lookback_scan_determinismE0ELb0ES3_N6thrust23THRUST_200600_302600_NS6detail15normal_iteratorINS9_10device_ptrIiEEEENSB_INSC_ItEEEESG_tNS9_4plusIvEENS9_8equal_toIvEEtEE10hipError_tPvRmT2_T3_T4_T5_mT6_T7_P12ihipStream_tbENKUlT_T0_E_clISt17integral_constantIbLb0EES10_IbLb1EEEEDaSW_SX_EUlSW_E_NS1_11comp_targetILNS1_3genE10ELNS1_11target_archE1201ELNS1_3gpuE5ELNS1_3repE0EEENS1_30default_config_static_selectorELNS0_4arch9wavefront6targetE1EEEvT1_
; %bb.0:
	.section	.rodata,"a",@progbits
	.p2align	6, 0x0
	.amdhsa_kernel _ZN7rocprim17ROCPRIM_400000_NS6detail17trampoline_kernelINS0_14default_configENS1_27scan_by_key_config_selectorIitEEZZNS1_16scan_by_key_implILNS1_25lookback_scan_determinismE0ELb0ES3_N6thrust23THRUST_200600_302600_NS6detail15normal_iteratorINS9_10device_ptrIiEEEENSB_INSC_ItEEEESG_tNS9_4plusIvEENS9_8equal_toIvEEtEE10hipError_tPvRmT2_T3_T4_T5_mT6_T7_P12ihipStream_tbENKUlT_T0_E_clISt17integral_constantIbLb0EES10_IbLb1EEEEDaSW_SX_EUlSW_E_NS1_11comp_targetILNS1_3genE10ELNS1_11target_archE1201ELNS1_3gpuE5ELNS1_3repE0EEENS1_30default_config_static_selectorELNS0_4arch9wavefront6targetE1EEEvT1_
		.amdhsa_group_segment_fixed_size 0
		.amdhsa_private_segment_fixed_size 0
		.amdhsa_kernarg_size 112
		.amdhsa_user_sgpr_count 6
		.amdhsa_user_sgpr_private_segment_buffer 1
		.amdhsa_user_sgpr_dispatch_ptr 0
		.amdhsa_user_sgpr_queue_ptr 0
		.amdhsa_user_sgpr_kernarg_segment_ptr 1
		.amdhsa_user_sgpr_dispatch_id 0
		.amdhsa_user_sgpr_flat_scratch_init 0
		.amdhsa_user_sgpr_kernarg_preload_length 0
		.amdhsa_user_sgpr_kernarg_preload_offset 0
		.amdhsa_user_sgpr_private_segment_size 0
		.amdhsa_uses_dynamic_stack 0
		.amdhsa_system_sgpr_private_segment_wavefront_offset 0
		.amdhsa_system_sgpr_workgroup_id_x 1
		.amdhsa_system_sgpr_workgroup_id_y 0
		.amdhsa_system_sgpr_workgroup_id_z 0
		.amdhsa_system_sgpr_workgroup_info 0
		.amdhsa_system_vgpr_workitem_id 0
		.amdhsa_next_free_vgpr 1
		.amdhsa_next_free_sgpr 0
		.amdhsa_accum_offset 4
		.amdhsa_reserve_vcc 0
		.amdhsa_reserve_flat_scratch 0
		.amdhsa_float_round_mode_32 0
		.amdhsa_float_round_mode_16_64 0
		.amdhsa_float_denorm_mode_32 3
		.amdhsa_float_denorm_mode_16_64 3
		.amdhsa_dx10_clamp 1
		.amdhsa_ieee_mode 1
		.amdhsa_fp16_overflow 0
		.amdhsa_tg_split 0
		.amdhsa_exception_fp_ieee_invalid_op 0
		.amdhsa_exception_fp_denorm_src 0
		.amdhsa_exception_fp_ieee_div_zero 0
		.amdhsa_exception_fp_ieee_overflow 0
		.amdhsa_exception_fp_ieee_underflow 0
		.amdhsa_exception_fp_ieee_inexact 0
		.amdhsa_exception_int_div_zero 0
	.end_amdhsa_kernel
	.section	.text._ZN7rocprim17ROCPRIM_400000_NS6detail17trampoline_kernelINS0_14default_configENS1_27scan_by_key_config_selectorIitEEZZNS1_16scan_by_key_implILNS1_25lookback_scan_determinismE0ELb0ES3_N6thrust23THRUST_200600_302600_NS6detail15normal_iteratorINS9_10device_ptrIiEEEENSB_INSC_ItEEEESG_tNS9_4plusIvEENS9_8equal_toIvEEtEE10hipError_tPvRmT2_T3_T4_T5_mT6_T7_P12ihipStream_tbENKUlT_T0_E_clISt17integral_constantIbLb0EES10_IbLb1EEEEDaSW_SX_EUlSW_E_NS1_11comp_targetILNS1_3genE10ELNS1_11target_archE1201ELNS1_3gpuE5ELNS1_3repE0EEENS1_30default_config_static_selectorELNS0_4arch9wavefront6targetE1EEEvT1_,"axG",@progbits,_ZN7rocprim17ROCPRIM_400000_NS6detail17trampoline_kernelINS0_14default_configENS1_27scan_by_key_config_selectorIitEEZZNS1_16scan_by_key_implILNS1_25lookback_scan_determinismE0ELb0ES3_N6thrust23THRUST_200600_302600_NS6detail15normal_iteratorINS9_10device_ptrIiEEEENSB_INSC_ItEEEESG_tNS9_4plusIvEENS9_8equal_toIvEEtEE10hipError_tPvRmT2_T3_T4_T5_mT6_T7_P12ihipStream_tbENKUlT_T0_E_clISt17integral_constantIbLb0EES10_IbLb1EEEEDaSW_SX_EUlSW_E_NS1_11comp_targetILNS1_3genE10ELNS1_11target_archE1201ELNS1_3gpuE5ELNS1_3repE0EEENS1_30default_config_static_selectorELNS0_4arch9wavefront6targetE1EEEvT1_,comdat
.Lfunc_end1301:
	.size	_ZN7rocprim17ROCPRIM_400000_NS6detail17trampoline_kernelINS0_14default_configENS1_27scan_by_key_config_selectorIitEEZZNS1_16scan_by_key_implILNS1_25lookback_scan_determinismE0ELb0ES3_N6thrust23THRUST_200600_302600_NS6detail15normal_iteratorINS9_10device_ptrIiEEEENSB_INSC_ItEEEESG_tNS9_4plusIvEENS9_8equal_toIvEEtEE10hipError_tPvRmT2_T3_T4_T5_mT6_T7_P12ihipStream_tbENKUlT_T0_E_clISt17integral_constantIbLb0EES10_IbLb1EEEEDaSW_SX_EUlSW_E_NS1_11comp_targetILNS1_3genE10ELNS1_11target_archE1201ELNS1_3gpuE5ELNS1_3repE0EEENS1_30default_config_static_selectorELNS0_4arch9wavefront6targetE1EEEvT1_, .Lfunc_end1301-_ZN7rocprim17ROCPRIM_400000_NS6detail17trampoline_kernelINS0_14default_configENS1_27scan_by_key_config_selectorIitEEZZNS1_16scan_by_key_implILNS1_25lookback_scan_determinismE0ELb0ES3_N6thrust23THRUST_200600_302600_NS6detail15normal_iteratorINS9_10device_ptrIiEEEENSB_INSC_ItEEEESG_tNS9_4plusIvEENS9_8equal_toIvEEtEE10hipError_tPvRmT2_T3_T4_T5_mT6_T7_P12ihipStream_tbENKUlT_T0_E_clISt17integral_constantIbLb0EES10_IbLb1EEEEDaSW_SX_EUlSW_E_NS1_11comp_targetILNS1_3genE10ELNS1_11target_archE1201ELNS1_3gpuE5ELNS1_3repE0EEENS1_30default_config_static_selectorELNS0_4arch9wavefront6targetE1EEEvT1_
                                        ; -- End function
	.section	.AMDGPU.csdata,"",@progbits
; Kernel info:
; codeLenInByte = 0
; NumSgprs: 4
; NumVgprs: 0
; NumAgprs: 0
; TotalNumVgprs: 0
; ScratchSize: 0
; MemoryBound: 0
; FloatMode: 240
; IeeeMode: 1
; LDSByteSize: 0 bytes/workgroup (compile time only)
; SGPRBlocks: 0
; VGPRBlocks: 0
; NumSGPRsForWavesPerEU: 4
; NumVGPRsForWavesPerEU: 1
; AccumOffset: 4
; Occupancy: 8
; WaveLimiterHint : 0
; COMPUTE_PGM_RSRC2:SCRATCH_EN: 0
; COMPUTE_PGM_RSRC2:USER_SGPR: 6
; COMPUTE_PGM_RSRC2:TRAP_HANDLER: 0
; COMPUTE_PGM_RSRC2:TGID_X_EN: 1
; COMPUTE_PGM_RSRC2:TGID_Y_EN: 0
; COMPUTE_PGM_RSRC2:TGID_Z_EN: 0
; COMPUTE_PGM_RSRC2:TIDIG_COMP_CNT: 0
; COMPUTE_PGM_RSRC3_GFX90A:ACCUM_OFFSET: 0
; COMPUTE_PGM_RSRC3_GFX90A:TG_SPLIT: 0
	.section	.text._ZN7rocprim17ROCPRIM_400000_NS6detail17trampoline_kernelINS0_14default_configENS1_27scan_by_key_config_selectorIitEEZZNS1_16scan_by_key_implILNS1_25lookback_scan_determinismE0ELb0ES3_N6thrust23THRUST_200600_302600_NS6detail15normal_iteratorINS9_10device_ptrIiEEEENSB_INSC_ItEEEESG_tNS9_4plusIvEENS9_8equal_toIvEEtEE10hipError_tPvRmT2_T3_T4_T5_mT6_T7_P12ihipStream_tbENKUlT_T0_E_clISt17integral_constantIbLb0EES10_IbLb1EEEEDaSW_SX_EUlSW_E_NS1_11comp_targetILNS1_3genE5ELNS1_11target_archE942ELNS1_3gpuE9ELNS1_3repE0EEENS1_30default_config_static_selectorELNS0_4arch9wavefront6targetE1EEEvT1_,"axG",@progbits,_ZN7rocprim17ROCPRIM_400000_NS6detail17trampoline_kernelINS0_14default_configENS1_27scan_by_key_config_selectorIitEEZZNS1_16scan_by_key_implILNS1_25lookback_scan_determinismE0ELb0ES3_N6thrust23THRUST_200600_302600_NS6detail15normal_iteratorINS9_10device_ptrIiEEEENSB_INSC_ItEEEESG_tNS9_4plusIvEENS9_8equal_toIvEEtEE10hipError_tPvRmT2_T3_T4_T5_mT6_T7_P12ihipStream_tbENKUlT_T0_E_clISt17integral_constantIbLb0EES10_IbLb1EEEEDaSW_SX_EUlSW_E_NS1_11comp_targetILNS1_3genE5ELNS1_11target_archE942ELNS1_3gpuE9ELNS1_3repE0EEENS1_30default_config_static_selectorELNS0_4arch9wavefront6targetE1EEEvT1_,comdat
	.protected	_ZN7rocprim17ROCPRIM_400000_NS6detail17trampoline_kernelINS0_14default_configENS1_27scan_by_key_config_selectorIitEEZZNS1_16scan_by_key_implILNS1_25lookback_scan_determinismE0ELb0ES3_N6thrust23THRUST_200600_302600_NS6detail15normal_iteratorINS9_10device_ptrIiEEEENSB_INSC_ItEEEESG_tNS9_4plusIvEENS9_8equal_toIvEEtEE10hipError_tPvRmT2_T3_T4_T5_mT6_T7_P12ihipStream_tbENKUlT_T0_E_clISt17integral_constantIbLb0EES10_IbLb1EEEEDaSW_SX_EUlSW_E_NS1_11comp_targetILNS1_3genE5ELNS1_11target_archE942ELNS1_3gpuE9ELNS1_3repE0EEENS1_30default_config_static_selectorELNS0_4arch9wavefront6targetE1EEEvT1_ ; -- Begin function _ZN7rocprim17ROCPRIM_400000_NS6detail17trampoline_kernelINS0_14default_configENS1_27scan_by_key_config_selectorIitEEZZNS1_16scan_by_key_implILNS1_25lookback_scan_determinismE0ELb0ES3_N6thrust23THRUST_200600_302600_NS6detail15normal_iteratorINS9_10device_ptrIiEEEENSB_INSC_ItEEEESG_tNS9_4plusIvEENS9_8equal_toIvEEtEE10hipError_tPvRmT2_T3_T4_T5_mT6_T7_P12ihipStream_tbENKUlT_T0_E_clISt17integral_constantIbLb0EES10_IbLb1EEEEDaSW_SX_EUlSW_E_NS1_11comp_targetILNS1_3genE5ELNS1_11target_archE942ELNS1_3gpuE9ELNS1_3repE0EEENS1_30default_config_static_selectorELNS0_4arch9wavefront6targetE1EEEvT1_
	.globl	_ZN7rocprim17ROCPRIM_400000_NS6detail17trampoline_kernelINS0_14default_configENS1_27scan_by_key_config_selectorIitEEZZNS1_16scan_by_key_implILNS1_25lookback_scan_determinismE0ELb0ES3_N6thrust23THRUST_200600_302600_NS6detail15normal_iteratorINS9_10device_ptrIiEEEENSB_INSC_ItEEEESG_tNS9_4plusIvEENS9_8equal_toIvEEtEE10hipError_tPvRmT2_T3_T4_T5_mT6_T7_P12ihipStream_tbENKUlT_T0_E_clISt17integral_constantIbLb0EES10_IbLb1EEEEDaSW_SX_EUlSW_E_NS1_11comp_targetILNS1_3genE5ELNS1_11target_archE942ELNS1_3gpuE9ELNS1_3repE0EEENS1_30default_config_static_selectorELNS0_4arch9wavefront6targetE1EEEvT1_
	.p2align	8
	.type	_ZN7rocprim17ROCPRIM_400000_NS6detail17trampoline_kernelINS0_14default_configENS1_27scan_by_key_config_selectorIitEEZZNS1_16scan_by_key_implILNS1_25lookback_scan_determinismE0ELb0ES3_N6thrust23THRUST_200600_302600_NS6detail15normal_iteratorINS9_10device_ptrIiEEEENSB_INSC_ItEEEESG_tNS9_4plusIvEENS9_8equal_toIvEEtEE10hipError_tPvRmT2_T3_T4_T5_mT6_T7_P12ihipStream_tbENKUlT_T0_E_clISt17integral_constantIbLb0EES10_IbLb1EEEEDaSW_SX_EUlSW_E_NS1_11comp_targetILNS1_3genE5ELNS1_11target_archE942ELNS1_3gpuE9ELNS1_3repE0EEENS1_30default_config_static_selectorELNS0_4arch9wavefront6targetE1EEEvT1_,@function
_ZN7rocprim17ROCPRIM_400000_NS6detail17trampoline_kernelINS0_14default_configENS1_27scan_by_key_config_selectorIitEEZZNS1_16scan_by_key_implILNS1_25lookback_scan_determinismE0ELb0ES3_N6thrust23THRUST_200600_302600_NS6detail15normal_iteratorINS9_10device_ptrIiEEEENSB_INSC_ItEEEESG_tNS9_4plusIvEENS9_8equal_toIvEEtEE10hipError_tPvRmT2_T3_T4_T5_mT6_T7_P12ihipStream_tbENKUlT_T0_E_clISt17integral_constantIbLb0EES10_IbLb1EEEEDaSW_SX_EUlSW_E_NS1_11comp_targetILNS1_3genE5ELNS1_11target_archE942ELNS1_3gpuE9ELNS1_3repE0EEENS1_30default_config_static_selectorELNS0_4arch9wavefront6targetE1EEEvT1_: ; @_ZN7rocprim17ROCPRIM_400000_NS6detail17trampoline_kernelINS0_14default_configENS1_27scan_by_key_config_selectorIitEEZZNS1_16scan_by_key_implILNS1_25lookback_scan_determinismE0ELb0ES3_N6thrust23THRUST_200600_302600_NS6detail15normal_iteratorINS9_10device_ptrIiEEEENSB_INSC_ItEEEESG_tNS9_4plusIvEENS9_8equal_toIvEEtEE10hipError_tPvRmT2_T3_T4_T5_mT6_T7_P12ihipStream_tbENKUlT_T0_E_clISt17integral_constantIbLb0EES10_IbLb1EEEEDaSW_SX_EUlSW_E_NS1_11comp_targetILNS1_3genE5ELNS1_11target_archE942ELNS1_3gpuE9ELNS1_3repE0EEENS1_30default_config_static_selectorELNS0_4arch9wavefront6targetE1EEEvT1_
; %bb.0:
	.section	.rodata,"a",@progbits
	.p2align	6, 0x0
	.amdhsa_kernel _ZN7rocprim17ROCPRIM_400000_NS6detail17trampoline_kernelINS0_14default_configENS1_27scan_by_key_config_selectorIitEEZZNS1_16scan_by_key_implILNS1_25lookback_scan_determinismE0ELb0ES3_N6thrust23THRUST_200600_302600_NS6detail15normal_iteratorINS9_10device_ptrIiEEEENSB_INSC_ItEEEESG_tNS9_4plusIvEENS9_8equal_toIvEEtEE10hipError_tPvRmT2_T3_T4_T5_mT6_T7_P12ihipStream_tbENKUlT_T0_E_clISt17integral_constantIbLb0EES10_IbLb1EEEEDaSW_SX_EUlSW_E_NS1_11comp_targetILNS1_3genE5ELNS1_11target_archE942ELNS1_3gpuE9ELNS1_3repE0EEENS1_30default_config_static_selectorELNS0_4arch9wavefront6targetE1EEEvT1_
		.amdhsa_group_segment_fixed_size 0
		.amdhsa_private_segment_fixed_size 0
		.amdhsa_kernarg_size 112
		.amdhsa_user_sgpr_count 6
		.amdhsa_user_sgpr_private_segment_buffer 1
		.amdhsa_user_sgpr_dispatch_ptr 0
		.amdhsa_user_sgpr_queue_ptr 0
		.amdhsa_user_sgpr_kernarg_segment_ptr 1
		.amdhsa_user_sgpr_dispatch_id 0
		.amdhsa_user_sgpr_flat_scratch_init 0
		.amdhsa_user_sgpr_kernarg_preload_length 0
		.amdhsa_user_sgpr_kernarg_preload_offset 0
		.amdhsa_user_sgpr_private_segment_size 0
		.amdhsa_uses_dynamic_stack 0
		.amdhsa_system_sgpr_private_segment_wavefront_offset 0
		.amdhsa_system_sgpr_workgroup_id_x 1
		.amdhsa_system_sgpr_workgroup_id_y 0
		.amdhsa_system_sgpr_workgroup_id_z 0
		.amdhsa_system_sgpr_workgroup_info 0
		.amdhsa_system_vgpr_workitem_id 0
		.amdhsa_next_free_vgpr 1
		.amdhsa_next_free_sgpr 0
		.amdhsa_accum_offset 4
		.amdhsa_reserve_vcc 0
		.amdhsa_reserve_flat_scratch 0
		.amdhsa_float_round_mode_32 0
		.amdhsa_float_round_mode_16_64 0
		.amdhsa_float_denorm_mode_32 3
		.amdhsa_float_denorm_mode_16_64 3
		.amdhsa_dx10_clamp 1
		.amdhsa_ieee_mode 1
		.amdhsa_fp16_overflow 0
		.amdhsa_tg_split 0
		.amdhsa_exception_fp_ieee_invalid_op 0
		.amdhsa_exception_fp_denorm_src 0
		.amdhsa_exception_fp_ieee_div_zero 0
		.amdhsa_exception_fp_ieee_overflow 0
		.amdhsa_exception_fp_ieee_underflow 0
		.amdhsa_exception_fp_ieee_inexact 0
		.amdhsa_exception_int_div_zero 0
	.end_amdhsa_kernel
	.section	.text._ZN7rocprim17ROCPRIM_400000_NS6detail17trampoline_kernelINS0_14default_configENS1_27scan_by_key_config_selectorIitEEZZNS1_16scan_by_key_implILNS1_25lookback_scan_determinismE0ELb0ES3_N6thrust23THRUST_200600_302600_NS6detail15normal_iteratorINS9_10device_ptrIiEEEENSB_INSC_ItEEEESG_tNS9_4plusIvEENS9_8equal_toIvEEtEE10hipError_tPvRmT2_T3_T4_T5_mT6_T7_P12ihipStream_tbENKUlT_T0_E_clISt17integral_constantIbLb0EES10_IbLb1EEEEDaSW_SX_EUlSW_E_NS1_11comp_targetILNS1_3genE5ELNS1_11target_archE942ELNS1_3gpuE9ELNS1_3repE0EEENS1_30default_config_static_selectorELNS0_4arch9wavefront6targetE1EEEvT1_,"axG",@progbits,_ZN7rocprim17ROCPRIM_400000_NS6detail17trampoline_kernelINS0_14default_configENS1_27scan_by_key_config_selectorIitEEZZNS1_16scan_by_key_implILNS1_25lookback_scan_determinismE0ELb0ES3_N6thrust23THRUST_200600_302600_NS6detail15normal_iteratorINS9_10device_ptrIiEEEENSB_INSC_ItEEEESG_tNS9_4plusIvEENS9_8equal_toIvEEtEE10hipError_tPvRmT2_T3_T4_T5_mT6_T7_P12ihipStream_tbENKUlT_T0_E_clISt17integral_constantIbLb0EES10_IbLb1EEEEDaSW_SX_EUlSW_E_NS1_11comp_targetILNS1_3genE5ELNS1_11target_archE942ELNS1_3gpuE9ELNS1_3repE0EEENS1_30default_config_static_selectorELNS0_4arch9wavefront6targetE1EEEvT1_,comdat
.Lfunc_end1302:
	.size	_ZN7rocprim17ROCPRIM_400000_NS6detail17trampoline_kernelINS0_14default_configENS1_27scan_by_key_config_selectorIitEEZZNS1_16scan_by_key_implILNS1_25lookback_scan_determinismE0ELb0ES3_N6thrust23THRUST_200600_302600_NS6detail15normal_iteratorINS9_10device_ptrIiEEEENSB_INSC_ItEEEESG_tNS9_4plusIvEENS9_8equal_toIvEEtEE10hipError_tPvRmT2_T3_T4_T5_mT6_T7_P12ihipStream_tbENKUlT_T0_E_clISt17integral_constantIbLb0EES10_IbLb1EEEEDaSW_SX_EUlSW_E_NS1_11comp_targetILNS1_3genE5ELNS1_11target_archE942ELNS1_3gpuE9ELNS1_3repE0EEENS1_30default_config_static_selectorELNS0_4arch9wavefront6targetE1EEEvT1_, .Lfunc_end1302-_ZN7rocprim17ROCPRIM_400000_NS6detail17trampoline_kernelINS0_14default_configENS1_27scan_by_key_config_selectorIitEEZZNS1_16scan_by_key_implILNS1_25lookback_scan_determinismE0ELb0ES3_N6thrust23THRUST_200600_302600_NS6detail15normal_iteratorINS9_10device_ptrIiEEEENSB_INSC_ItEEEESG_tNS9_4plusIvEENS9_8equal_toIvEEtEE10hipError_tPvRmT2_T3_T4_T5_mT6_T7_P12ihipStream_tbENKUlT_T0_E_clISt17integral_constantIbLb0EES10_IbLb1EEEEDaSW_SX_EUlSW_E_NS1_11comp_targetILNS1_3genE5ELNS1_11target_archE942ELNS1_3gpuE9ELNS1_3repE0EEENS1_30default_config_static_selectorELNS0_4arch9wavefront6targetE1EEEvT1_
                                        ; -- End function
	.section	.AMDGPU.csdata,"",@progbits
; Kernel info:
; codeLenInByte = 0
; NumSgprs: 4
; NumVgprs: 0
; NumAgprs: 0
; TotalNumVgprs: 0
; ScratchSize: 0
; MemoryBound: 0
; FloatMode: 240
; IeeeMode: 1
; LDSByteSize: 0 bytes/workgroup (compile time only)
; SGPRBlocks: 0
; VGPRBlocks: 0
; NumSGPRsForWavesPerEU: 4
; NumVGPRsForWavesPerEU: 1
; AccumOffset: 4
; Occupancy: 8
; WaveLimiterHint : 0
; COMPUTE_PGM_RSRC2:SCRATCH_EN: 0
; COMPUTE_PGM_RSRC2:USER_SGPR: 6
; COMPUTE_PGM_RSRC2:TRAP_HANDLER: 0
; COMPUTE_PGM_RSRC2:TGID_X_EN: 1
; COMPUTE_PGM_RSRC2:TGID_Y_EN: 0
; COMPUTE_PGM_RSRC2:TGID_Z_EN: 0
; COMPUTE_PGM_RSRC2:TIDIG_COMP_CNT: 0
; COMPUTE_PGM_RSRC3_GFX90A:ACCUM_OFFSET: 0
; COMPUTE_PGM_RSRC3_GFX90A:TG_SPLIT: 0
	.section	.text._ZN7rocprim17ROCPRIM_400000_NS6detail17trampoline_kernelINS0_14default_configENS1_27scan_by_key_config_selectorIitEEZZNS1_16scan_by_key_implILNS1_25lookback_scan_determinismE0ELb0ES3_N6thrust23THRUST_200600_302600_NS6detail15normal_iteratorINS9_10device_ptrIiEEEENSB_INSC_ItEEEESG_tNS9_4plusIvEENS9_8equal_toIvEEtEE10hipError_tPvRmT2_T3_T4_T5_mT6_T7_P12ihipStream_tbENKUlT_T0_E_clISt17integral_constantIbLb0EES10_IbLb1EEEEDaSW_SX_EUlSW_E_NS1_11comp_targetILNS1_3genE4ELNS1_11target_archE910ELNS1_3gpuE8ELNS1_3repE0EEENS1_30default_config_static_selectorELNS0_4arch9wavefront6targetE1EEEvT1_,"axG",@progbits,_ZN7rocprim17ROCPRIM_400000_NS6detail17trampoline_kernelINS0_14default_configENS1_27scan_by_key_config_selectorIitEEZZNS1_16scan_by_key_implILNS1_25lookback_scan_determinismE0ELb0ES3_N6thrust23THRUST_200600_302600_NS6detail15normal_iteratorINS9_10device_ptrIiEEEENSB_INSC_ItEEEESG_tNS9_4plusIvEENS9_8equal_toIvEEtEE10hipError_tPvRmT2_T3_T4_T5_mT6_T7_P12ihipStream_tbENKUlT_T0_E_clISt17integral_constantIbLb0EES10_IbLb1EEEEDaSW_SX_EUlSW_E_NS1_11comp_targetILNS1_3genE4ELNS1_11target_archE910ELNS1_3gpuE8ELNS1_3repE0EEENS1_30default_config_static_selectorELNS0_4arch9wavefront6targetE1EEEvT1_,comdat
	.protected	_ZN7rocprim17ROCPRIM_400000_NS6detail17trampoline_kernelINS0_14default_configENS1_27scan_by_key_config_selectorIitEEZZNS1_16scan_by_key_implILNS1_25lookback_scan_determinismE0ELb0ES3_N6thrust23THRUST_200600_302600_NS6detail15normal_iteratorINS9_10device_ptrIiEEEENSB_INSC_ItEEEESG_tNS9_4plusIvEENS9_8equal_toIvEEtEE10hipError_tPvRmT2_T3_T4_T5_mT6_T7_P12ihipStream_tbENKUlT_T0_E_clISt17integral_constantIbLb0EES10_IbLb1EEEEDaSW_SX_EUlSW_E_NS1_11comp_targetILNS1_3genE4ELNS1_11target_archE910ELNS1_3gpuE8ELNS1_3repE0EEENS1_30default_config_static_selectorELNS0_4arch9wavefront6targetE1EEEvT1_ ; -- Begin function _ZN7rocprim17ROCPRIM_400000_NS6detail17trampoline_kernelINS0_14default_configENS1_27scan_by_key_config_selectorIitEEZZNS1_16scan_by_key_implILNS1_25lookback_scan_determinismE0ELb0ES3_N6thrust23THRUST_200600_302600_NS6detail15normal_iteratorINS9_10device_ptrIiEEEENSB_INSC_ItEEEESG_tNS9_4plusIvEENS9_8equal_toIvEEtEE10hipError_tPvRmT2_T3_T4_T5_mT6_T7_P12ihipStream_tbENKUlT_T0_E_clISt17integral_constantIbLb0EES10_IbLb1EEEEDaSW_SX_EUlSW_E_NS1_11comp_targetILNS1_3genE4ELNS1_11target_archE910ELNS1_3gpuE8ELNS1_3repE0EEENS1_30default_config_static_selectorELNS0_4arch9wavefront6targetE1EEEvT1_
	.globl	_ZN7rocprim17ROCPRIM_400000_NS6detail17trampoline_kernelINS0_14default_configENS1_27scan_by_key_config_selectorIitEEZZNS1_16scan_by_key_implILNS1_25lookback_scan_determinismE0ELb0ES3_N6thrust23THRUST_200600_302600_NS6detail15normal_iteratorINS9_10device_ptrIiEEEENSB_INSC_ItEEEESG_tNS9_4plusIvEENS9_8equal_toIvEEtEE10hipError_tPvRmT2_T3_T4_T5_mT6_T7_P12ihipStream_tbENKUlT_T0_E_clISt17integral_constantIbLb0EES10_IbLb1EEEEDaSW_SX_EUlSW_E_NS1_11comp_targetILNS1_3genE4ELNS1_11target_archE910ELNS1_3gpuE8ELNS1_3repE0EEENS1_30default_config_static_selectorELNS0_4arch9wavefront6targetE1EEEvT1_
	.p2align	8
	.type	_ZN7rocprim17ROCPRIM_400000_NS6detail17trampoline_kernelINS0_14default_configENS1_27scan_by_key_config_selectorIitEEZZNS1_16scan_by_key_implILNS1_25lookback_scan_determinismE0ELb0ES3_N6thrust23THRUST_200600_302600_NS6detail15normal_iteratorINS9_10device_ptrIiEEEENSB_INSC_ItEEEESG_tNS9_4plusIvEENS9_8equal_toIvEEtEE10hipError_tPvRmT2_T3_T4_T5_mT6_T7_P12ihipStream_tbENKUlT_T0_E_clISt17integral_constantIbLb0EES10_IbLb1EEEEDaSW_SX_EUlSW_E_NS1_11comp_targetILNS1_3genE4ELNS1_11target_archE910ELNS1_3gpuE8ELNS1_3repE0EEENS1_30default_config_static_selectorELNS0_4arch9wavefront6targetE1EEEvT1_,@function
_ZN7rocprim17ROCPRIM_400000_NS6detail17trampoline_kernelINS0_14default_configENS1_27scan_by_key_config_selectorIitEEZZNS1_16scan_by_key_implILNS1_25lookback_scan_determinismE0ELb0ES3_N6thrust23THRUST_200600_302600_NS6detail15normal_iteratorINS9_10device_ptrIiEEEENSB_INSC_ItEEEESG_tNS9_4plusIvEENS9_8equal_toIvEEtEE10hipError_tPvRmT2_T3_T4_T5_mT6_T7_P12ihipStream_tbENKUlT_T0_E_clISt17integral_constantIbLb0EES10_IbLb1EEEEDaSW_SX_EUlSW_E_NS1_11comp_targetILNS1_3genE4ELNS1_11target_archE910ELNS1_3gpuE8ELNS1_3repE0EEENS1_30default_config_static_selectorELNS0_4arch9wavefront6targetE1EEEvT1_: ; @_ZN7rocprim17ROCPRIM_400000_NS6detail17trampoline_kernelINS0_14default_configENS1_27scan_by_key_config_selectorIitEEZZNS1_16scan_by_key_implILNS1_25lookback_scan_determinismE0ELb0ES3_N6thrust23THRUST_200600_302600_NS6detail15normal_iteratorINS9_10device_ptrIiEEEENSB_INSC_ItEEEESG_tNS9_4plusIvEENS9_8equal_toIvEEtEE10hipError_tPvRmT2_T3_T4_T5_mT6_T7_P12ihipStream_tbENKUlT_T0_E_clISt17integral_constantIbLb0EES10_IbLb1EEEEDaSW_SX_EUlSW_E_NS1_11comp_targetILNS1_3genE4ELNS1_11target_archE910ELNS1_3gpuE8ELNS1_3repE0EEENS1_30default_config_static_selectorELNS0_4arch9wavefront6targetE1EEEvT1_
; %bb.0:
	s_load_dwordx4 s[76:79], s[4:5], 0x28
	s_load_dwordx2 s[80:81], s[4:5], 0x38
	v_cmp_ne_u32_e64 s[56:57], 0, v0
	v_cmp_eq_u32_e64 s[0:1], 0, v0
	s_and_saveexec_b64 s[2:3], s[0:1]
	s_cbranch_execz .LBB1303_4
; %bb.1:
	s_mov_b64 s[8:9], exec
	v_mbcnt_lo_u32_b32 v1, s8, 0
	v_mbcnt_hi_u32_b32 v1, s9, v1
	v_cmp_eq_u32_e32 vcc, 0, v1
                                        ; implicit-def: $vgpr2
	s_and_saveexec_b64 s[6:7], vcc
	s_cbranch_execz .LBB1303_3
; %bb.2:
	s_load_dwordx2 s[10:11], s[4:5], 0x68
	s_bcnt1_i32_b64 s8, s[8:9]
	v_mov_b32_e32 v2, 0
	v_mov_b32_e32 v3, s8
	s_waitcnt lgkmcnt(0)
	global_atomic_add v2, v2, v3, s[10:11] glc
.LBB1303_3:
	s_or_b64 exec, exec, s[6:7]
	s_waitcnt vmcnt(0)
	v_readfirstlane_b32 s6, v2
	v_add_u32_e32 v1, s6, v1
	v_mov_b32_e32 v2, 0
	ds_write_b32 v2, v1
.LBB1303_4:
	s_or_b64 exec, exec, s[2:3]
	s_load_dwordx8 s[60:67], s[4:5], 0x0
	s_load_dword s2, s[4:5], 0x40
	s_load_dwordx8 s[68:75], s[4:5], 0x48
	v_mov_b32_e32 v1, 0
	s_waitcnt lgkmcnt(0)
	; wave barrier
	s_waitcnt lgkmcnt(0)
	ds_read_b32 v1, v1
	s_lshl_b64 s[4:5], s[62:63], 2
	s_add_u32 s8, s60, s4
	s_addc_u32 s9, s61, s5
	s_lshl_b64 s[58:59], s[62:63], 1
	s_add_u32 s10, s64, s58
	s_mul_i32 s3, s81, s2
	s_mul_hi_u32 s4, s80, s2
	s_addc_u32 s11, s65, s59
	s_add_i32 s12, s4, s3
	s_waitcnt lgkmcnt(0)
	v_readfirstlane_b32 s79, v1
	s_mul_i32 s13, s80, s2
	s_cmp_lg_u64 s[72:73], 0
	s_mov_b32 s3, 0
	s_mul_i32 s2, s79, 0x600
	s_cselect_b64 s[64:65], -1, 0
	s_lshl_b64 s[4:5], s[2:3], 2
	s_add_u32 s62, s8, s4
	s_addc_u32 s63, s9, s5
	s_lshl_b64 s[60:61], s[2:3], 1
	s_add_u32 s84, s10, s60
	s_addc_u32 s85, s11, s61
	s_add_u32 s72, s13, s79
	s_addc_u32 s73, s12, 0
	s_add_u32 s4, s68, -1
	s_addc_u32 s5, s69, -1
	v_pk_mov_b32 v[2:3], s[4:5], s[4:5] op_sel:[0,1]
	v_cmp_ge_u64_e64 s[2:3], s[72:73], v[2:3]
	s_mov_b64 s[6:7], 0
	s_mov_b64 s[28:29], -1
	s_and_b64 vcc, exec, s[2:3]
	s_mul_i32 s33, s4, 0xfffffa00
	s_waitcnt lgkmcnt(0)
	; wave barrier
	s_waitcnt lgkmcnt(0)
	s_waitcnt lgkmcnt(0)
	; wave barrier
	s_cbranch_vccz .LBB1303_131
; %bb.5:
	v_pk_mov_b32 v[2:3], s[62:63], s[62:63] op_sel:[0,1]
	flat_load_dword v1, v[2:3]
	s_add_i32 s86, s33, s78
	v_cmp_gt_u32_e64 s[6:7], s86, v0
	s_waitcnt vmcnt(0) lgkmcnt(0)
	v_mov_b32_e32 v2, v1
	s_and_saveexec_b64 s[4:5], s[6:7]
	s_cbranch_execz .LBB1303_7
; %bb.6:
	v_lshlrev_b32_e32 v2, 2, v0
	v_mov_b32_e32 v3, s63
	v_add_co_u32_e32 v2, vcc, s62, v2
	v_addc_co_u32_e32 v3, vcc, 0, v3, vcc
	flat_load_dword v2, v[2:3]
.LBB1303_7:
	s_or_b64 exec, exec, s[4:5]
	v_or_b32_e32 v3, 64, v0
	v_cmp_gt_u32_e64 s[8:9], s86, v3
	v_mov_b32_e32 v3, v1
	s_and_saveexec_b64 s[4:5], s[8:9]
	s_cbranch_execz .LBB1303_9
; %bb.8:
	v_lshlrev_b32_e32 v3, 2, v0
	v_mov_b32_e32 v5, s63
	v_add_co_u32_e32 v4, vcc, s62, v3
	v_addc_co_u32_e32 v5, vcc, 0, v5, vcc
	flat_load_dword v3, v[4:5] offset:256
.LBB1303_9:
	s_or_b64 exec, exec, s[4:5]
	v_or_b32_e32 v4, 0x80, v0
	v_cmp_gt_u32_e64 s[10:11], s86, v4
	v_mov_b32_e32 v4, v1
	s_and_saveexec_b64 s[4:5], s[10:11]
	s_cbranch_execz .LBB1303_11
; %bb.10:
	v_lshlrev_b32_e32 v4, 2, v0
	v_mov_b32_e32 v5, s63
	v_add_co_u32_e32 v4, vcc, s62, v4
	v_addc_co_u32_e32 v5, vcc, 0, v5, vcc
	flat_load_dword v4, v[4:5] offset:512
.LBB1303_11:
	;; [unrolled: 13-line block ×15, first 2 shown]
	s_or_b64 exec, exec, s[4:5]
	v_or_b32_e32 v19, 0x400, v0
	v_cmp_gt_u32_e64 s[40:41], s86, v19
	v_mov_b32_e32 v18, v1
	s_and_saveexec_b64 s[4:5], s[40:41]
	s_cbranch_execz .LBB1303_39
; %bb.38:
	v_lshlrev_b32_e32 v18, 2, v19
	v_mov_b32_e32 v19, s63
	v_add_co_u32_e32 v18, vcc, s62, v18
	v_addc_co_u32_e32 v19, vcc, 0, v19, vcc
	flat_load_dword v18, v[18:19]
.LBB1303_39:
	s_or_b64 exec, exec, s[4:5]
	v_or_b32_e32 v20, 0x440, v0
	v_cmp_gt_u32_e64 s[42:43], s86, v20
	v_mov_b32_e32 v19, v1
	s_and_saveexec_b64 s[4:5], s[42:43]
	s_cbranch_execz .LBB1303_41
; %bb.40:
	v_lshlrev_b32_e32 v19, 2, v20
	v_mov_b32_e32 v21, s63
	v_add_co_u32_e32 v20, vcc, s62, v19
	v_addc_co_u32_e32 v21, vcc, 0, v21, vcc
	flat_load_dword v19, v[20:21]
.LBB1303_41:
	;; [unrolled: 13-line block ×7, first 2 shown]
	s_or_b64 exec, exec, s[4:5]
	v_or_b32_e32 v25, 0x5c0, v0
	v_cmp_gt_u32_e64 s[54:55], s86, v25
	s_and_saveexec_b64 s[4:5], s[54:55]
	s_cbranch_execz .LBB1303_53
; %bb.52:
	v_lshlrev_b32_e32 v1, 2, v25
	v_mov_b32_e32 v25, s63
	v_add_co_u32_e32 v26, vcc, s62, v1
	v_addc_co_u32_e32 v27, vcc, 0, v25, vcc
	flat_load_dword v1, v[26:27]
.LBB1303_53:
	s_or_b64 exec, exec, s[4:5]
	v_lshlrev_b32_e32 v25, 2, v0
	s_movk_i32 s4, 0x5c
	s_waitcnt vmcnt(0) lgkmcnt(0)
	ds_write2st64_b32 v25, v2, v3 offset1:1
	ds_write2st64_b32 v25, v4, v5 offset0:2 offset1:3
	ds_write2st64_b32 v25, v6, v7 offset0:4 offset1:5
	;; [unrolled: 1-line block ×11, first 2 shown]
	v_mad_u32_u24 v1, v0, s4, v25
	s_waitcnt lgkmcnt(0)
	; wave barrier
	s_waitcnt lgkmcnt(0)
	ds_read_b128 v[42:45], v1
	ds_read_b128 v[38:41], v1 offset:16
	ds_read_b128 v[34:37], v1 offset:32
	ds_read_b128 v[30:33], v1 offset:48
	ds_read_b128 v[26:29], v1 offset:64
	ds_read_b128 v[22:25], v1 offset:80
	s_cmp_eq_u64 s[72:73], 0
	s_mov_b64 s[4:5], s[62:63]
	s_cbranch_scc1 .LBB1303_57
; %bb.54:
	s_andn2_b64 vcc, exec, s[64:65]
	s_cbranch_vccnz .LBB1303_301
; %bb.55:
	s_lshl_b64 s[4:5], s[72:73], 2
	s_add_u32 s4, s74, s4
	s_addc_u32 s5, s75, s5
	s_add_u32 s4, s4, -4
	s_addc_u32 s5, s5, -1
	s_cbranch_execnz .LBB1303_57
.LBB1303_56:
	s_add_u32 s4, s62, -4
	s_addc_u32 s5, s63, -1
.LBB1303_57:
	v_pk_mov_b32 v[2:3], s[4:5], s[4:5] op_sel:[0,1]
	flat_load_dword v46, v[2:3]
	s_movk_i32 s4, 0xffa4
	v_mad_i32_i24 v1, v0, s4, v1
	s_waitcnt lgkmcnt(0)
	ds_write_b32 v1, v25 offset:6144
	s_waitcnt lgkmcnt(0)
	; wave barrier
	s_waitcnt lgkmcnt(0)
	s_and_saveexec_b64 s[4:5], s[56:57]
	s_cbranch_execz .LBB1303_59
; %bb.58:
	s_waitcnt vmcnt(0)
	ds_read_b32 v46, v1 offset:6140
.LBB1303_59:
	s_or_b64 exec, exec, s[4:5]
	s_waitcnt lgkmcnt(0)
	; wave barrier
	s_waitcnt lgkmcnt(0)
                                        ; implicit-def: $vgpr2
	s_and_saveexec_b64 s[4:5], s[6:7]
	s_cbranch_execnz .LBB1303_278
; %bb.60:
	s_or_b64 exec, exec, s[4:5]
                                        ; implicit-def: $vgpr3
	s_and_saveexec_b64 s[4:5], s[8:9]
	s_cbranch_execnz .LBB1303_279
.LBB1303_61:
	s_or_b64 exec, exec, s[4:5]
                                        ; implicit-def: $vgpr4
	s_and_saveexec_b64 s[4:5], s[10:11]
	s_cbranch_execnz .LBB1303_280
.LBB1303_62:
	s_or_b64 exec, exec, s[4:5]
                                        ; implicit-def: $vgpr5
	s_and_saveexec_b64 s[4:5], s[12:13]
	s_cbranch_execnz .LBB1303_281
.LBB1303_63:
	s_or_b64 exec, exec, s[4:5]
                                        ; implicit-def: $vgpr6
	s_and_saveexec_b64 s[4:5], s[14:15]
	s_cbranch_execnz .LBB1303_282
.LBB1303_64:
	s_or_b64 exec, exec, s[4:5]
                                        ; implicit-def: $vgpr7
	s_and_saveexec_b64 s[4:5], s[16:17]
	s_cbranch_execnz .LBB1303_283
.LBB1303_65:
	s_or_b64 exec, exec, s[4:5]
                                        ; implicit-def: $vgpr8
	s_and_saveexec_b64 s[4:5], s[18:19]
	s_cbranch_execnz .LBB1303_284
.LBB1303_66:
	s_or_b64 exec, exec, s[4:5]
                                        ; implicit-def: $vgpr9
	s_and_saveexec_b64 s[4:5], s[20:21]
	s_cbranch_execnz .LBB1303_285
.LBB1303_67:
	s_or_b64 exec, exec, s[4:5]
                                        ; implicit-def: $vgpr10
	s_and_saveexec_b64 s[4:5], s[22:23]
	s_cbranch_execnz .LBB1303_286
.LBB1303_68:
	s_or_b64 exec, exec, s[4:5]
                                        ; implicit-def: $vgpr11
	s_and_saveexec_b64 s[4:5], s[24:25]
	s_cbranch_execnz .LBB1303_287
.LBB1303_69:
	s_or_b64 exec, exec, s[4:5]
                                        ; implicit-def: $vgpr12
	s_and_saveexec_b64 s[4:5], s[26:27]
	s_cbranch_execnz .LBB1303_288
.LBB1303_70:
	s_or_b64 exec, exec, s[4:5]
                                        ; implicit-def: $vgpr13
	s_and_saveexec_b64 s[4:5], s[28:29]
	s_cbranch_execnz .LBB1303_289
.LBB1303_71:
	s_or_b64 exec, exec, s[4:5]
                                        ; implicit-def: $vgpr14
	s_and_saveexec_b64 s[4:5], s[30:31]
	s_cbranch_execnz .LBB1303_290
.LBB1303_72:
	s_or_b64 exec, exec, s[4:5]
                                        ; implicit-def: $vgpr15
	s_and_saveexec_b64 s[4:5], s[34:35]
	s_cbranch_execnz .LBB1303_291
.LBB1303_73:
	s_or_b64 exec, exec, s[4:5]
                                        ; implicit-def: $vgpr16
	s_and_saveexec_b64 s[4:5], s[36:37]
	s_cbranch_execnz .LBB1303_292
.LBB1303_74:
	s_or_b64 exec, exec, s[4:5]
                                        ; implicit-def: $vgpr17
	s_and_saveexec_b64 s[4:5], s[38:39]
	s_cbranch_execnz .LBB1303_293
.LBB1303_75:
	s_or_b64 exec, exec, s[4:5]
                                        ; implicit-def: $vgpr18
	s_and_saveexec_b64 s[4:5], s[40:41]
	s_cbranch_execnz .LBB1303_294
.LBB1303_76:
	s_or_b64 exec, exec, s[4:5]
                                        ; implicit-def: $vgpr19
	s_and_saveexec_b64 s[4:5], s[42:43]
	s_cbranch_execnz .LBB1303_295
.LBB1303_77:
	s_or_b64 exec, exec, s[4:5]
                                        ; implicit-def: $vgpr20
	s_and_saveexec_b64 s[4:5], s[44:45]
	s_cbranch_execnz .LBB1303_296
.LBB1303_78:
	s_or_b64 exec, exec, s[4:5]
                                        ; implicit-def: $vgpr21
	s_and_saveexec_b64 s[4:5], s[46:47]
	s_cbranch_execnz .LBB1303_297
.LBB1303_79:
	s_or_b64 exec, exec, s[4:5]
                                        ; implicit-def: $vgpr48
	s_and_saveexec_b64 s[4:5], s[48:49]
	s_cbranch_execnz .LBB1303_298
.LBB1303_80:
	s_or_b64 exec, exec, s[4:5]
                                        ; implicit-def: $vgpr49
	s_and_saveexec_b64 s[4:5], s[50:51]
	s_cbranch_execnz .LBB1303_299
.LBB1303_81:
	s_or_b64 exec, exec, s[4:5]
                                        ; implicit-def: $vgpr50
	s_and_saveexec_b64 s[4:5], s[52:53]
	s_cbranch_execnz .LBB1303_300
.LBB1303_82:
	s_or_b64 exec, exec, s[4:5]
                                        ; implicit-def: $vgpr51
	s_and_saveexec_b64 s[4:5], s[54:55]
	s_cbranch_execz .LBB1303_84
.LBB1303_83:
	v_lshlrev_b32_e32 v47, 1, v0
	v_mov_b32_e32 v51, s85
	v_add_co_u32_e32 v52, vcc, s84, v47
	v_addc_co_u32_e32 v53, vcc, 0, v51, vcc
	flat_load_ushort v51, v[52:53] offset:2944
.LBB1303_84:
	s_or_b64 exec, exec, s[4:5]
	v_lshlrev_b32_e32 v47, 1, v0
	s_mov_b32 s8, 0
	v_sub_u32_e32 v47, v1, v47
	s_mov_b32 s9, s8
	s_mov_b32 s6, s8
	;; [unrolled: 1-line block ×3, first 2 shown]
	v_mul_u32_u24_e32 v53, 24, v0
	s_waitcnt vmcnt(0) lgkmcnt(0)
	ds_write_b16 v47, v2
	ds_write_b16 v47, v3 offset:128
	ds_write_b16 v47, v4 offset:256
	;; [unrolled: 1-line block ×23, first 2 shown]
	s_mov_b32 s10, s8
	s_mov_b32 s11, s8
	;; [unrolled: 1-line block ×18, first 2 shown]
	v_pk_mov_b32 v[20:21], s[6:7], s[6:7] op_sel:[0,1]
	v_pk_mov_b32 v[2:3], s[8:9], s[8:9] op_sel:[0,1]
	v_cmp_gt_u32_e32 vcc, s86, v53
	s_mov_b64 s[28:29], 0
	v_pk_mov_b32 v[50:51], s[24:25], s[24:25] op_sel:[0,1]
	v_pk_mov_b32 v[18:19], s[4:5], s[4:5] op_sel:[0,1]
	;; [unrolled: 1-line block ×9, first 2 shown]
	v_mov_b32_e32 v1, 0
	s_mov_b64 s[6:7], 0
	s_waitcnt lgkmcnt(0)
	; wave barrier
	s_waitcnt lgkmcnt(0)
                                        ; implicit-def: $sgpr4_sgpr5
                                        ; implicit-def: $vgpr52
	s_and_saveexec_b64 s[10:11], vcc
	s_cbranch_execz .LBB1303_130
; %bb.85:
	v_mad_u32_u24 v1, v0, 46, v47
	ds_read_u16 v1, v1
	v_cmp_ne_u32_e32 vcc, v46, v42
	s_mov_b32 s12, 0
	v_or_b32_e32 v2, 1, v53
	v_cndmask_b32_e64 v3, 0, 1, vcc
	s_mov_b32 s13, s12
	s_mov_b32 s6, s12
	;; [unrolled: 1-line block ×3, first 2 shown]
	v_cmp_gt_u32_e32 vcc, s86, v2
	s_waitcnt lgkmcnt(0)
	v_lshl_or_b32 v1, v3, 16, v1
	s_mov_b32 s14, s12
	s_mov_b32 s15, s12
	;; [unrolled: 1-line block ×18, first 2 shown]
	v_pk_mov_b32 v[20:21], s[6:7], s[6:7] op_sel:[0,1]
	v_pk_mov_b32 v[2:3], s[12:13], s[12:13] op_sel:[0,1]
	s_mov_b64 s[34:35], 0
	v_pk_mov_b32 v[50:51], s[30:31], s[30:31] op_sel:[0,1]
	v_pk_mov_b32 v[18:19], s[4:5], s[4:5] op_sel:[0,1]
	;; [unrolled: 1-line block ×9, first 2 shown]
                                        ; implicit-def: $sgpr36_sgpr37
                                        ; implicit-def: $vgpr52
	s_and_saveexec_b64 s[30:31], vcc
	s_cbranch_execz .LBB1303_129
; %bb.86:
	v_mul_u32_u24_e32 v2, 46, v0
	v_add_u32_e32 v54, v47, v2
	ds_read_b128 v[46:49], v54 offset:2
	v_or_b32_e32 v2, 2, v53
	v_cmp_ne_u32_e32 vcc, v42, v43
	v_cndmask_b32_e64 v3, 0, 1, vcc
	v_cmp_gt_u32_e32 vcc, s86, v2
	s_waitcnt lgkmcnt(0)
	v_and_b32_e32 v2, 0xffff, v46
	v_lshl_or_b32 v50, v3, 16, v2
	v_pk_mov_b32 v[20:21], s[6:7], s[6:7] op_sel:[0,1]
	v_pk_mov_b32 v[2:3], s[12:13], s[12:13] op_sel:[0,1]
	v_mov_b32_e32 v51, 0
	v_pk_mov_b32 v[18:19], s[4:5], s[4:5] op_sel:[0,1]
	v_pk_mov_b32 v[4:5], s[14:15], s[14:15] op_sel:[0,1]
	;; [unrolled: 1-line block ×8, first 2 shown]
                                        ; implicit-def: $sgpr12_sgpr13
                                        ; implicit-def: $vgpr52
	s_and_saveexec_b64 s[6:7], vcc
	s_cbranch_execz .LBB1303_128
; %bb.87:
	v_cmp_ne_u32_e32 vcc, v43, v44
	s_mov_b32 s12, 0
	v_or_b32_e32 v2, 3, v53
	v_cndmask_b32_e64 v3, 0, 1, vcc
	s_mov_b32 s13, s12
	s_mov_b32 s36, s12
	;; [unrolled: 1-line block ×3, first 2 shown]
	v_alignbit_b32 v51, v3, v46, 16
	v_cmp_gt_u32_e32 vcc, s86, v2
	s_mov_b32 s14, s12
	s_mov_b32 s15, s12
	;; [unrolled: 1-line block ×16, first 2 shown]
	v_pk_mov_b32 v[18:19], s[36:37], s[36:37] op_sel:[0,1]
	v_pk_mov_b32 v[2:3], s[12:13], s[12:13] op_sel:[0,1]
	s_mov_b64 s[4:5], 0
	v_pk_mov_b32 v[20:21], s[38:39], s[38:39] op_sel:[0,1]
	v_pk_mov_b32 v[4:5], s[14:15], s[14:15] op_sel:[0,1]
	;; [unrolled: 1-line block ×8, first 2 shown]
                                        ; implicit-def: $sgpr36_sgpr37
                                        ; implicit-def: $vgpr52
	s_and_saveexec_b64 s[34:35], vcc
	s_cbranch_execz .LBB1303_127
; %bb.88:
	v_cmp_ne_u32_e32 vcc, v44, v45
	v_and_b32_e32 v2, 0xffff, v47
	v_or_b32_e32 v3, 4, v53
	v_cndmask_b32_e64 v4, 0, 1, vcc
	v_lshl_or_b32 v18, v4, 16, v2
	v_cmp_gt_u32_e32 vcc, s86, v3
	v_mov_b32_e32 v20, 0
	v_pk_mov_b32 v[2:3], s[12:13], s[12:13] op_sel:[0,1]
	v_mov_b32_e32 v19, v20
	v_mov_b32_e32 v21, v20
	v_pk_mov_b32 v[4:5], s[14:15], s[14:15] op_sel:[0,1]
	v_pk_mov_b32 v[6:7], s[16:17], s[16:17] op_sel:[0,1]
	;; [unrolled: 1-line block ×7, first 2 shown]
                                        ; implicit-def: $sgpr12_sgpr13
                                        ; implicit-def: $vgpr52
	s_and_saveexec_b64 s[36:37], vcc
	s_cbranch_execz .LBB1303_126
; %bb.89:
	v_cmp_ne_u32_e32 vcc, v45, v38
	s_mov_b32 s12, 0
	v_or_b32_e32 v2, 5, v53
	v_cndmask_b32_e64 v3, 0, 1, vcc
	s_mov_b32 s13, s12
	v_alignbit_b32 v19, v3, v47, 16
	v_cmp_gt_u32_e32 vcc, s86, v2
	s_mov_b32 s14, s12
	s_mov_b32 s15, s12
	;; [unrolled: 1-line block ×14, first 2 shown]
	v_pk_mov_b32 v[2:3], s[12:13], s[12:13] op_sel:[0,1]
	v_mov_b32_e32 v21, v20
	v_pk_mov_b32 v[4:5], s[14:15], s[14:15] op_sel:[0,1]
	v_pk_mov_b32 v[6:7], s[16:17], s[16:17] op_sel:[0,1]
	;; [unrolled: 1-line block ×7, first 2 shown]
                                        ; implicit-def: $sgpr40_sgpr41
                                        ; implicit-def: $vgpr52
	s_and_saveexec_b64 s[38:39], vcc
	s_cbranch_execz .LBB1303_125
; %bb.90:
	v_cmp_ne_u32_e32 vcc, v38, v39
	v_and_b32_e32 v2, 0xffff, v48
	v_or_b32_e32 v3, 6, v53
	v_cndmask_b32_e64 v4, 0, 1, vcc
	v_lshl_or_b32 v20, v4, 16, v2
	v_cmp_gt_u32_e32 vcc, s86, v3
	v_pk_mov_b32 v[2:3], s[12:13], s[12:13] op_sel:[0,1]
	v_mov_b32_e32 v21, s12
	v_pk_mov_b32 v[4:5], s[14:15], s[14:15] op_sel:[0,1]
	v_pk_mov_b32 v[6:7], s[16:17], s[16:17] op_sel:[0,1]
	;; [unrolled: 1-line block ×7, first 2 shown]
                                        ; implicit-def: $sgpr12_sgpr13
                                        ; implicit-def: $vgpr52
	s_and_saveexec_b64 s[40:41], vcc
	s_cbranch_execz .LBB1303_124
; %bb.91:
	v_cmp_ne_u32_e32 vcc, v39, v40
	s_mov_b32 s12, 0
	v_or_b32_e32 v2, 7, v53
	v_cndmask_b32_e64 v3, 0, 1, vcc
	s_mov_b32 s13, s12
	v_alignbit_b32 v21, v3, v48, 16
	v_cmp_gt_u32_e32 vcc, s86, v2
	s_mov_b32 s14, s12
	s_mov_b32 s15, s12
	s_mov_b32 s16, s12
	s_mov_b32 s17, s12
	s_mov_b32 s18, s12
	s_mov_b32 s19, s12
	s_mov_b32 s20, s12
	s_mov_b32 s21, s12
	s_mov_b32 s22, s12
	s_mov_b32 s23, s12
	s_mov_b32 s24, s12
	s_mov_b32 s25, s12
	s_mov_b32 s26, s12
	s_mov_b32 s27, s12
	v_pk_mov_b32 v[2:3], s[12:13], s[12:13] op_sel:[0,1]
	v_pk_mov_b32 v[4:5], s[14:15], s[14:15] op_sel:[0,1]
	;; [unrolled: 1-line block ×8, first 2 shown]
                                        ; implicit-def: $sgpr14_sgpr15
                                        ; implicit-def: $vgpr52
	s_and_saveexec_b64 s[12:13], vcc
	s_cbranch_execz .LBB1303_123
; %bb.92:
	v_cmp_ne_u32_e32 vcc, v40, v41
	v_and_b32_e32 v2, 0xffff, v49
	v_cndmask_b32_e64 v4, 0, 1, vcc
	v_add_u32_e32 v3, 8, v53
	v_lshl_or_b32 v2, v4, 16, v2
	v_mov_b32_e32 v4, 0
	v_cmp_gt_u32_e32 vcc, s86, v3
	v_mov_b32_e32 v3, v4
	v_mov_b32_e32 v5, v4
	v_mov_b32_e32 v6, v4
	v_mov_b32_e32 v7, v4
	v_mov_b32_e32 v8, v4
	v_mov_b32_e32 v9, v4
	v_mov_b32_e32 v10, v4
	v_mov_b32_e32 v11, v4
	v_mov_b32_e32 v12, v4
	v_mov_b32_e32 v13, v4
	v_mov_b32_e32 v14, v4
	v_mov_b32_e32 v15, v4
	v_mov_b32_e32 v16, v4
	v_mov_b32_e32 v17, v4
                                        ; implicit-def: $sgpr16_sgpr17
                                        ; implicit-def: $vgpr52
	s_and_saveexec_b64 s[14:15], vcc
	s_cbranch_execz .LBB1303_122
; %bb.93:
	v_cmp_ne_u32_e32 vcc, v41, v34
	v_add_u32_e32 v5, 9, v53
	v_cndmask_b32_e64 v3, 0, 1, vcc
	v_alignbit_b32 v3, v3, v49, 16
	v_cmp_gt_u32_e32 vcc, s86, v5
	v_mov_b32_e32 v5, v4
	v_mov_b32_e32 v6, v4
	;; [unrolled: 1-line block ×13, first 2 shown]
                                        ; implicit-def: $sgpr18_sgpr19
                                        ; implicit-def: $vgpr52
	s_and_saveexec_b64 s[16:17], vcc
	s_cbranch_execz .LBB1303_121
; %bb.94:
	ds_read_b128 v[38:41], v54 offset:18
	v_add_u32_e32 v4, 10, v53
	v_cmp_ne_u32_e32 vcc, v34, v35
	v_cndmask_b32_e64 v5, 0, 1, vcc
	v_cmp_gt_u32_e32 vcc, s86, v4
	s_waitcnt lgkmcnt(0)
	v_and_b32_e32 v4, 0xffff, v38
	v_mov_b32_e32 v6, 0
	v_lshl_or_b32 v4, v5, 16, v4
	v_mov_b32_e32 v5, v6
	v_mov_b32_e32 v7, v6
	;; [unrolled: 1-line block ×12, first 2 shown]
                                        ; implicit-def: $sgpr20_sgpr21
                                        ; implicit-def: $vgpr52
	s_and_saveexec_b64 s[18:19], vcc
	s_cbranch_execz .LBB1303_120
; %bb.95:
	v_cmp_ne_u32_e32 vcc, v35, v36
	v_add_u32_e32 v7, 11, v53
	v_cndmask_b32_e64 v5, 0, 1, vcc
	v_alignbit_b32 v5, v5, v38, 16
	v_cmp_gt_u32_e32 vcc, s86, v7
	v_mov_b32_e32 v7, v6
	v_mov_b32_e32 v8, v6
	;; [unrolled: 1-line block ×11, first 2 shown]
                                        ; implicit-def: $sgpr22_sgpr23
                                        ; implicit-def: $vgpr52
	s_and_saveexec_b64 s[20:21], vcc
	s_cbranch_execz .LBB1303_119
; %bb.96:
	v_cmp_ne_u32_e32 vcc, v36, v37
	v_and_b32_e32 v6, 0xffff, v39
	v_cndmask_b32_e64 v8, 0, 1, vcc
	v_add_u32_e32 v7, 12, v53
	v_lshl_or_b32 v6, v8, 16, v6
	v_mov_b32_e32 v8, 0
	v_cmp_gt_u32_e32 vcc, s86, v7
	v_mov_b32_e32 v7, v8
	v_mov_b32_e32 v9, v8
	;; [unrolled: 1-line block ×10, first 2 shown]
                                        ; implicit-def: $sgpr24_sgpr25
                                        ; implicit-def: $vgpr52
	s_and_saveexec_b64 s[22:23], vcc
	s_cbranch_execz .LBB1303_118
; %bb.97:
	v_cmp_ne_u32_e32 vcc, v37, v30
	v_add_u32_e32 v9, 13, v53
	v_cndmask_b32_e64 v7, 0, 1, vcc
	v_alignbit_b32 v7, v7, v39, 16
	v_cmp_gt_u32_e32 vcc, s86, v9
	v_mov_b32_e32 v9, v8
	v_mov_b32_e32 v10, v8
	;; [unrolled: 1-line block ×9, first 2 shown]
                                        ; implicit-def: $sgpr26_sgpr27
                                        ; implicit-def: $vgpr52
	s_and_saveexec_b64 s[24:25], vcc
	s_cbranch_execz .LBB1303_117
; %bb.98:
	v_cmp_ne_u32_e32 vcc, v30, v31
	v_and_b32_e32 v8, 0xffff, v40
	v_cndmask_b32_e64 v10, 0, 1, vcc
	v_add_u32_e32 v9, 14, v53
	v_lshl_or_b32 v8, v10, 16, v8
	v_mov_b32_e32 v10, 0
	v_cmp_gt_u32_e32 vcc, s86, v9
	v_mov_b32_e32 v9, v10
	v_mov_b32_e32 v11, v10
	;; [unrolled: 1-line block ×8, first 2 shown]
                                        ; implicit-def: $sgpr42_sgpr43
                                        ; implicit-def: $vgpr52
	s_and_saveexec_b64 s[26:27], vcc
	s_cbranch_execz .LBB1303_116
; %bb.99:
	v_cmp_ne_u32_e32 vcc, v31, v32
	v_add_u32_e32 v11, 15, v53
	v_cndmask_b32_e64 v9, 0, 1, vcc
	v_alignbit_b32 v9, v9, v40, 16
	v_cmp_gt_u32_e32 vcc, s86, v11
	v_mov_b32_e32 v11, v10
	v_mov_b32_e32 v12, v10
	;; [unrolled: 1-line block ×7, first 2 shown]
                                        ; implicit-def: $sgpr44_sgpr45
                                        ; implicit-def: $vgpr52
	s_and_saveexec_b64 s[42:43], vcc
	s_cbranch_execz .LBB1303_115
; %bb.100:
	v_cmp_ne_u32_e32 vcc, v32, v33
	v_and_b32_e32 v10, 0xffff, v41
	v_cndmask_b32_e64 v12, 0, 1, vcc
	v_add_u32_e32 v11, 16, v53
	v_lshl_or_b32 v10, v12, 16, v10
	v_mov_b32_e32 v12, 0
	v_cmp_gt_u32_e32 vcc, s86, v11
	v_mov_b32_e32 v11, v12
	v_mov_b32_e32 v13, v12
	v_mov_b32_e32 v14, v12
	v_mov_b32_e32 v15, v12
	v_mov_b32_e32 v16, v12
	v_mov_b32_e32 v17, v12
                                        ; implicit-def: $sgpr46_sgpr47
                                        ; implicit-def: $vgpr52
	s_and_saveexec_b64 s[44:45], vcc
	s_cbranch_execz .LBB1303_114
; %bb.101:
	v_cmp_ne_u32_e32 vcc, v33, v26
	v_add_u32_e32 v13, 17, v53
	v_cndmask_b32_e64 v11, 0, 1, vcc
	v_alignbit_b32 v11, v11, v41, 16
	v_cmp_gt_u32_e32 vcc, s86, v13
	v_mov_b32_e32 v13, v12
	v_mov_b32_e32 v14, v12
	;; [unrolled: 1-line block ×5, first 2 shown]
                                        ; implicit-def: $sgpr48_sgpr49
                                        ; implicit-def: $vgpr52
	s_and_saveexec_b64 s[46:47], vcc
	s_cbranch_execz .LBB1303_113
; %bb.102:
	ds_read_b96 v[30:32], v54 offset:34
	v_add_u32_e32 v12, 18, v53
	v_cmp_ne_u32_e32 vcc, v26, v27
	v_cndmask_b32_e64 v13, 0, 1, vcc
	v_cmp_gt_u32_e32 vcc, s86, v12
	s_waitcnt lgkmcnt(0)
	v_and_b32_e32 v12, 0xffff, v30
	v_mov_b32_e32 v14, 0
	v_lshl_or_b32 v12, v13, 16, v12
	v_mov_b32_e32 v13, v14
	v_mov_b32_e32 v15, v14
	;; [unrolled: 1-line block ×4, first 2 shown]
                                        ; implicit-def: $sgpr50_sgpr51
                                        ; implicit-def: $vgpr52
	s_and_saveexec_b64 s[48:49], vcc
	s_cbranch_execz .LBB1303_112
; %bb.103:
	v_cmp_ne_u32_e32 vcc, v27, v28
	v_add_u32_e32 v15, 19, v53
	v_cndmask_b32_e64 v13, 0, 1, vcc
	v_alignbit_b32 v13, v13, v30, 16
	v_cmp_gt_u32_e32 vcc, s86, v15
	v_mov_b32_e32 v15, v14
	v_mov_b32_e32 v16, v14
	;; [unrolled: 1-line block ×3, first 2 shown]
                                        ; implicit-def: $sgpr52_sgpr53
                                        ; implicit-def: $vgpr52
	s_and_saveexec_b64 s[50:51], vcc
	s_cbranch_execz .LBB1303_111
; %bb.104:
	v_cmp_ne_u32_e32 vcc, v28, v29
	v_and_b32_e32 v14, 0xffff, v31
	v_cndmask_b32_e64 v16, 0, 1, vcc
	v_add_u32_e32 v15, 20, v53
	v_lshl_or_b32 v14, v16, 16, v14
	v_mov_b32_e32 v16, 0
	v_cmp_gt_u32_e32 vcc, s86, v15
	v_mov_b32_e32 v15, v16
	v_mov_b32_e32 v17, v16
                                        ; implicit-def: $sgpr54_sgpr55
                                        ; implicit-def: $vgpr52
	s_and_saveexec_b64 s[52:53], vcc
	s_cbranch_execz .LBB1303_110
; %bb.105:
	v_cmp_ne_u32_e32 vcc, v29, v22
	v_add_u32_e32 v17, 21, v53
	v_cndmask_b32_e64 v15, 0, 1, vcc
	v_alignbit_b32 v15, v15, v31, 16
	v_cmp_gt_u32_e32 vcc, s86, v17
	s_mov_b32 s9, 0
	v_mov_b32_e32 v17, v16
                                        ; implicit-def: $sgpr68_sgpr69
                                        ; implicit-def: $vgpr52
	s_and_saveexec_b64 s[54:55], vcc
	s_cbranch_execz .LBB1303_109
; %bb.106:
	v_cmp_ne_u32_e32 vcc, v22, v23
	v_and_b32_e32 v16, 0xffff, v32
	v_add_u32_e32 v17, 22, v53
	v_cndmask_b32_e64 v22, 0, 1, vcc
	v_lshl_or_b32 v16, v22, 16, v16
	v_cmp_gt_u32_e32 vcc, s86, v17
	v_mov_b32_e32 v17, s9
                                        ; implicit-def: $sgpr68_sgpr69
                                        ; implicit-def: $vgpr52
	s_and_saveexec_b64 s[82:83], vcc
	s_xor_b64 s[82:83], exec, s[82:83]
	s_cbranch_execz .LBB1303_108
; %bb.107:
	ds_read_u16 v52, v54 offset:46
	v_add_u32_e32 v22, 23, v53
	v_cmp_ne_u32_e64 s[4:5], v23, v24
	v_cmp_ne_u32_e32 vcc, v24, v25
	v_cndmask_b32_e64 v17, 0, 1, s[4:5]
	v_cmp_gt_u32_e64 s[4:5], s86, v22
	v_alignbit_b32 v17, v17, v32, 16
	s_and_b64 s[68:69], vcc, exec
	s_and_b64 s[4:5], s[4:5], exec
.LBB1303_108:
	s_or_b64 exec, exec, s[82:83]
	s_and_b64 s[68:69], s[68:69], exec
	s_and_b64 s[4:5], s[4:5], exec
.LBB1303_109:
	s_or_b64 exec, exec, s[54:55]
	s_and_b64 s[54:55], s[68:69], exec
	s_and_b64 s[4:5], s[4:5], exec
.LBB1303_110:
	s_or_b64 exec, exec, s[52:53]
	s_and_b64 s[52:53], s[54:55], exec
	s_and_b64 s[4:5], s[4:5], exec
.LBB1303_111:
	s_or_b64 exec, exec, s[50:51]
	s_and_b64 s[50:51], s[52:53], exec
	s_and_b64 s[4:5], s[4:5], exec
.LBB1303_112:
	s_or_b64 exec, exec, s[48:49]
	s_and_b64 s[48:49], s[50:51], exec
	s_and_b64 s[4:5], s[4:5], exec
.LBB1303_113:
	s_or_b64 exec, exec, s[46:47]
	s_and_b64 s[46:47], s[48:49], exec
	s_and_b64 s[4:5], s[4:5], exec
.LBB1303_114:
	s_or_b64 exec, exec, s[44:45]
	s_and_b64 s[44:45], s[46:47], exec
	s_and_b64 s[4:5], s[4:5], exec
.LBB1303_115:
	s_or_b64 exec, exec, s[42:43]
	s_and_b64 s[42:43], s[44:45], exec
	s_and_b64 s[4:5], s[4:5], exec
.LBB1303_116:
	s_or_b64 exec, exec, s[26:27]
	s_and_b64 s[26:27], s[42:43], exec
	s_and_b64 s[4:5], s[4:5], exec
.LBB1303_117:
	s_or_b64 exec, exec, s[24:25]
	s_and_b64 s[24:25], s[26:27], exec
	s_and_b64 s[4:5], s[4:5], exec
.LBB1303_118:
	s_or_b64 exec, exec, s[22:23]
	s_and_b64 s[22:23], s[24:25], exec
	s_and_b64 s[4:5], s[4:5], exec
.LBB1303_119:
	s_or_b64 exec, exec, s[20:21]
	s_and_b64 s[20:21], s[22:23], exec
	s_and_b64 s[4:5], s[4:5], exec
.LBB1303_120:
	s_or_b64 exec, exec, s[18:19]
	s_and_b64 s[18:19], s[20:21], exec
	s_and_b64 s[4:5], s[4:5], exec
.LBB1303_121:
	s_or_b64 exec, exec, s[16:17]
	s_and_b64 s[16:17], s[18:19], exec
	s_and_b64 s[4:5], s[4:5], exec
.LBB1303_122:
	s_or_b64 exec, exec, s[14:15]
	s_and_b64 s[14:15], s[16:17], exec
	s_and_b64 s[4:5], s[4:5], exec
.LBB1303_123:
	s_or_b64 exec, exec, s[12:13]
	s_and_b64 s[12:13], s[14:15], exec
	s_and_b64 s[4:5], s[4:5], exec
.LBB1303_124:
	s_or_b64 exec, exec, s[40:41]
	s_and_b64 s[40:41], s[12:13], exec
	s_and_b64 s[4:5], s[4:5], exec
.LBB1303_125:
	s_or_b64 exec, exec, s[38:39]
	s_and_b64 s[12:13], s[40:41], exec
	s_and_b64 s[4:5], s[4:5], exec
.LBB1303_126:
	s_or_b64 exec, exec, s[36:37]
	s_and_b64 s[36:37], s[12:13], exec
	s_and_b64 s[4:5], s[4:5], exec
.LBB1303_127:
	s_or_b64 exec, exec, s[34:35]
	s_and_b64 s[12:13], s[36:37], exec
	s_and_b64 s[34:35], s[4:5], exec
.LBB1303_128:
	s_or_b64 exec, exec, s[6:7]
	s_and_b64 s[36:37], s[12:13], exec
	s_and_b64 s[34:35], s[34:35], exec
.LBB1303_129:
	s_or_b64 exec, exec, s[30:31]
	s_and_b64 s[4:5], s[36:37], exec
	s_and_b64 s[6:7], s[34:35], exec
.LBB1303_130:
	s_or_b64 exec, exec, s[10:11]
	s_and_b64 vcc, exec, s[28:29]
	s_cbranch_vccnz .LBB1303_132
	s_branch .LBB1303_140
.LBB1303_131:
                                        ; implicit-def: $sgpr4_sgpr5
                                        ; implicit-def: $vgpr50_vgpr51
                                        ; implicit-def: $vgpr18_vgpr19_vgpr20_vgpr21
                                        ; implicit-def: $vgpr2_vgpr3_vgpr4_vgpr5_vgpr6_vgpr7_vgpr8_vgpr9_vgpr10_vgpr11_vgpr12_vgpr13_vgpr14_vgpr15_vgpr16_vgpr17
                                        ; implicit-def: $vgpr52
                                        ; implicit-def: $vgpr1
                                        ; implicit-def: $sgpr8
	s_and_b64 vcc, exec, s[28:29]
	s_cbranch_vccz .LBB1303_140
.LBB1303_132:
	v_lshlrev_b32_e32 v4, 2, v0
	v_mov_b32_e32 v1, s63
	v_add_co_u32_e32 v2, vcc, s62, v4
	v_addc_co_u32_e32 v3, vcc, 0, v1, vcc
	s_movk_i32 s4, 0x1000
	flat_load_dword v5, v[2:3]
	flat_load_dword v6, v[2:3] offset:256
	flat_load_dword v7, v[2:3] offset:512
	;; [unrolled: 1-line block ×15, first 2 shown]
	v_add_co_u32_e32 v2, vcc, s4, v2
	v_addc_co_u32_e32 v3, vcc, 0, v3, vcc
	flat_load_dword v21, v[2:3]
	flat_load_dword v22, v[2:3] offset:256
	flat_load_dword v23, v[2:3] offset:512
	;; [unrolled: 1-line block ×7, first 2 shown]
	s_movk_i32 s4, 0x5c
	v_mad_u32_u24 v1, v0, s4, v4
	s_cmp_eq_u64 s[72:73], 0
	s_waitcnt vmcnt(0) lgkmcnt(0)
	ds_write2st64_b32 v4, v5, v6 offset1:1
	ds_write2st64_b32 v4, v7, v8 offset0:2 offset1:3
	ds_write2st64_b32 v4, v9, v10 offset0:4 offset1:5
	;; [unrolled: 1-line block ×11, first 2 shown]
	s_waitcnt lgkmcnt(0)
	; wave barrier
	s_waitcnt lgkmcnt(0)
	ds_read2_b64 v[2:5], v1 offset1:11
	ds_read2_b64 v[34:37], v1 offset0:9 offset1:10
	ds_read2_b64 v[30:33], v1 offset0:7 offset1:8
	ds_read2_b64 v[26:29], v1 offset0:5 offset1:6
	ds_read2_b64 v[6:9], v1 offset0:1 offset1:2
	ds_read2_b64 v[22:25], v1 offset0:3 offset1:4
	s_cbranch_scc1 .LBB1303_137
; %bb.133:
	s_andn2_b64 vcc, exec, s[64:65]
	s_cbranch_vccnz .LBB1303_302
; %bb.134:
	s_lshl_b64 s[4:5], s[72:73], 2
	s_add_u32 s4, s74, s4
	s_addc_u32 s5, s75, s5
	s_add_u32 s4, s4, -4
	s_addc_u32 s5, s5, -1
	s_cbranch_execnz .LBB1303_136
.LBB1303_135:
	s_add_u32 s4, s62, -4
	s_addc_u32 s5, s63, -1
.LBB1303_136:
	s_mov_b64 s[62:63], s[4:5]
.LBB1303_137:
	v_pk_mov_b32 v[10:11], s[62:63], s[62:63] op_sel:[0,1]
	flat_load_dword v10, v[10:11]
	s_movk_i32 s4, 0xffa4
	v_mad_i32_i24 v1, v0, s4, v1
	s_waitcnt lgkmcnt(0)
	ds_write_b32 v1, v5 offset:6144
	s_waitcnt lgkmcnt(0)
	; wave barrier
	s_waitcnt lgkmcnt(0)
	s_and_saveexec_b64 s[4:5], s[56:57]
	s_cbranch_execz .LBB1303_139
; %bb.138:
	s_waitcnt vmcnt(0)
	ds_read_b32 v10, v1 offset:6140
.LBB1303_139:
	s_or_b64 exec, exec, s[4:5]
	v_lshlrev_b32_e32 v11, 1, v0
	v_mov_b32_e32 v13, s85
	v_add_co_u32_e32 v12, vcc, s84, v11
	v_addc_co_u32_e32 v13, vcc, 0, v13, vcc
	s_waitcnt lgkmcnt(0)
	; wave barrier
	s_waitcnt lgkmcnt(0)
	flat_load_ushort v14, v[12:13]
	flat_load_ushort v15, v[12:13] offset:128
	flat_load_ushort v16, v[12:13] offset:256
	;; [unrolled: 1-line block ×23, first 2 shown]
	s_waitcnt vmcnt(0)
	v_cmp_ne_u32_e32 vcc, v10, v2
	v_cmp_ne_u32_e64 s[4:5], v4, v5
	v_cndmask_b32_e64 v5, 0, 1, vcc
	v_cmp_ne_u32_e32 vcc, v3, v6
	v_cndmask_b32_e64 v13, 0, 1, vcc
	v_cmp_ne_u32_e32 vcc, v2, v3
	v_cndmask_b32_e64 v2, 0, 1, vcc
	v_cmp_ne_u32_e32 vcc, v9, v22
	v_cndmask_b32_e64 v3, 0, 1, vcc
	v_cmp_ne_u32_e32 vcc, v7, v8
	v_sub_u32_e32 v1, v1, v11
	v_cndmask_b32_e64 v54, 0, 1, vcc
	v_cmp_ne_u32_e32 vcc, v8, v9
	v_mad_u32_u24 v57, v0, 46, v1
	v_cndmask_b32_e64 v55, 0, 1, vcc
	v_cmp_ne_u32_e32 vcc, v6, v7
	v_cndmask_b32_e64 v56, 0, 1, vcc
	v_cmp_ne_u32_e32 vcc, v37, v4
	s_mov_b64 s[6:7], -1
                                        ; implicit-def: $sgpr8
	s_waitcnt lgkmcnt(0)
	ds_write_b16 v1, v14
	ds_write_b16 v1, v15 offset:128
	ds_write_b16 v1, v16 offset:256
	;; [unrolled: 1-line block ×23, first 2 shown]
	s_waitcnt lgkmcnt(0)
	; wave barrier
	s_waitcnt lgkmcnt(0)
	ds_read_u16 v1, v57
	ds_read_b96 v[10:12], v57 offset:2
	ds_read_b128 v[38:41], v57 offset:14
	ds_read_b128 v[6:9], v57 offset:30
	ds_read_u16 v52, v57 offset:46
	s_waitcnt lgkmcnt(4)
	v_lshl_or_b32 v1, v5, 16, v1
	s_waitcnt lgkmcnt(3)
	v_alignbit_b32 v21, v3, v12, 16
	v_cndmask_b32_e64 v3, 0, 1, vcc
	v_cmp_ne_u32_e32 vcc, v35, v36
	s_waitcnt lgkmcnt(1)
	v_alignbit_b32 v17, v3, v9, 16
	v_cndmask_b32_e64 v3, 0, 1, vcc
	v_cmp_ne_u32_e32 vcc, v33, v34
	v_alignbit_b32 v51, v13, v10, 16
	v_and_b32_e32 v13, 0xffff, v12
	v_alignbit_b32 v15, v3, v8, 16
	v_cndmask_b32_e64 v3, 0, 1, vcc
	v_cmp_ne_u32_e32 vcc, v31, v32
	v_lshl_or_b32 v20, v55, 16, v13
	v_alignbit_b32 v13, v3, v7, 16
	v_cndmask_b32_e64 v3, 0, 1, vcc
	v_cmp_ne_u32_e32 vcc, v29, v30
	v_and_b32_e32 v5, 0xffff, v10
	v_and_b32_e32 v10, 0xffff, v11
	v_alignbit_b32 v19, v54, v11, 16
	v_alignbit_b32 v11, v3, v6, 16
	v_cndmask_b32_e64 v3, 0, 1, vcc
	v_cmp_ne_u32_e32 vcc, v27, v28
	v_and_b32_e32 v16, 0xffff, v9
	v_alignbit_b32 v9, v3, v41, 16
	v_cndmask_b32_e64 v3, 0, 1, vcc
	v_cmp_ne_u32_e32 vcc, v25, v26
	v_and_b32_e32 v12, 0xffff, v7
	v_alignbit_b32 v7, v3, v40, 16
	v_cndmask_b32_e64 v3, 0, 1, vcc
	v_cmp_ne_u32_e32 vcc, v23, v24
	v_lshl_or_b32 v50, v2, 16, v5
	v_alignbit_b32 v5, v3, v39, 16
	v_cndmask_b32_e64 v3, 0, 1, vcc
	v_cmp_ne_u32_e32 vcc, v36, v37
	v_cndmask_b32_e64 v4, 0, 1, vcc
	v_cmp_ne_u32_e32 vcc, v34, v35
	v_and_b32_e32 v14, 0xffff, v8
	v_lshl_or_b32 v16, v4, 16, v16
	v_cndmask_b32_e64 v4, 0, 1, vcc
	v_cmp_ne_u32_e32 vcc, v32, v33
	v_lshl_or_b32 v14, v4, 16, v14
	v_cndmask_b32_e64 v4, 0, 1, vcc
	v_cmp_ne_u32_e32 vcc, v30, v31
	v_lshl_or_b32 v18, v56, 16, v10
	v_and_b32_e32 v10, 0xffff, v6
	v_lshl_or_b32 v12, v4, 16, v12
	v_cndmask_b32_e64 v4, 0, 1, vcc
	v_cmp_ne_u32_e32 vcc, v28, v29
	v_and_b32_e32 v44, 0xffff, v41
	v_lshl_or_b32 v10, v4, 16, v10
	v_cndmask_b32_e64 v4, 0, 1, vcc
	v_cmp_ne_u32_e32 vcc, v26, v27
	;; [unrolled: 4-line block ×3, first 2 shown]
	v_lshl_or_b32 v6, v4, 16, v43
	v_cndmask_b32_e64 v4, 0, 1, vcc
	v_cmp_ne_u32_e32 vcc, v22, v23
	v_and_b32_e32 v2, 0xffff, v38
	v_and_b32_e32 v42, 0xffff, v39
	v_cndmask_b32_e64 v22, 0, 1, vcc
	v_alignbit_b32 v3, v3, v38, 16
	v_lshl_or_b32 v4, v4, 16, v42
	v_lshl_or_b32 v2, v22, 16, v2
.LBB1303_140:
	v_mov_b32_e32 v32, s8
	s_and_saveexec_b64 s[8:9], s[6:7]
	s_cbranch_execz .LBB1303_142
; %bb.141:
	v_mov_b32_e32 v22, 0x10000
	v_cndmask_b32_e64 v22, 0, v22, s[4:5]
	s_waitcnt lgkmcnt(0)
	v_or_b32_sdwa v32, v22, v52 dst_sel:DWORD dst_unused:UNUSED_PAD src0_sel:DWORD src1_sel:WORD_0
.LBB1303_142:
	s_or_b64 exec, exec, s[8:9]
	s_cmp_lg_u32 s79, 0
	v_mbcnt_lo_u32_b32 v33, -1, 0
	s_waitcnt lgkmcnt(0)
	; wave barrier
	s_waitcnt lgkmcnt(0)
	s_cbranch_scc0 .LBB1303_201
; %bb.143:
	s_mov_b32 s4, 0x10000
	v_cmp_gt_u32_e64 s[6:7], s4, v50
	v_cndmask_b32_e64 v22, 0, v1, s[6:7]
	v_add_u16_e32 v22, v22, v50
	v_cmp_gt_u32_e64 s[8:9], s4, v51
	v_cndmask_b32_e64 v22, 0, v22, s[8:9]
	v_add_u16_e32 v22, v22, v51
	v_cmp_gt_u32_e64 s[10:11], s4, v18
	v_cndmask_b32_e64 v22, 0, v22, s[10:11]
	v_add_u16_e32 v22, v22, v18
	v_cmp_gt_u32_e64 s[12:13], s4, v19
	v_cndmask_b32_e64 v22, 0, v22, s[12:13]
	v_add_u16_e32 v22, v22, v19
	v_cmp_gt_u32_e64 s[14:15], s4, v20
	v_cndmask_b32_e64 v22, 0, v22, s[14:15]
	v_add_u16_e32 v22, v22, v20
	v_cmp_gt_u32_e64 s[16:17], s4, v21
	v_cndmask_b32_e64 v22, 0, v22, s[16:17]
	v_add_u16_e32 v22, v22, v21
	v_cmp_gt_u32_e64 s[18:19], s4, v2
	v_cndmask_b32_e64 v22, 0, v22, s[18:19]
	v_add_u16_e32 v22, v22, v2
	v_cmp_gt_u32_e64 s[20:21], s4, v3
	v_cndmask_b32_e64 v22, 0, v22, s[20:21]
	v_add_u16_e32 v22, v22, v3
	v_cmp_gt_u32_e64 s[22:23], s4, v4
	v_cndmask_b32_e64 v22, 0, v22, s[22:23]
	v_add_u16_e32 v22, v22, v4
	v_cmp_gt_u32_e64 s[24:25], s4, v5
	v_cndmask_b32_e64 v22, 0, v22, s[24:25]
	v_add_u16_e32 v22, v22, v5
	v_cmp_gt_u32_e64 s[26:27], s4, v6
	v_cndmask_b32_e64 v22, 0, v22, s[26:27]
	v_add_u16_e32 v22, v22, v6
	v_cmp_gt_u32_e64 s[28:29], s4, v7
	v_cndmask_b32_e64 v22, 0, v22, s[28:29]
	v_add_u16_e32 v22, v22, v7
	v_cmp_gt_u32_e64 s[30:31], s4, v8
	v_cndmask_b32_e64 v22, 0, v22, s[30:31]
	v_add_u16_e32 v22, v22, v8
	v_cmp_gt_u32_e64 s[34:35], s4, v9
	v_cndmask_b32_e64 v22, 0, v22, s[34:35]
	v_add_u16_e32 v22, v22, v9
	v_cmp_gt_u32_e64 s[36:37], s4, v10
	v_cndmask_b32_e64 v22, 0, v22, s[36:37]
	v_add_u16_e32 v22, v22, v10
	v_cmp_gt_u32_e64 s[38:39], s4, v11
	v_cndmask_b32_e64 v22, 0, v22, s[38:39]
	v_add_u16_e32 v22, v22, v11
	v_cmp_gt_u32_e64 s[40:41], s4, v12
	v_cndmask_b32_e64 v22, 0, v22, s[40:41]
	v_or3_b32 v23, v32, v17, v16
	v_add_u16_e32 v22, v22, v12
	v_cmp_gt_u32_e64 s[42:43], s4, v13
	v_or3_b32 v23, v23, v15, v14
	v_cndmask_b32_e64 v22, 0, v22, s[42:43]
	v_or3_b32 v23, v23, v13, v12
	v_add_u16_e32 v22, v22, v13
	v_cmp_gt_u32_e64 s[44:45], s4, v14
	v_or3_b32 v23, v23, v11, v10
	v_cndmask_b32_e64 v22, 0, v22, s[44:45]
	v_or3_b32 v23, v23, v9, v8
	v_add_u16_e32 v22, v22, v14
	v_cmp_gt_u32_e64 s[46:47], s4, v15
	v_or3_b32 v23, v23, v7, v6
	v_cndmask_b32_e64 v22, 0, v22, s[46:47]
	v_or3_b32 v23, v23, v5, v4
	v_add_u16_e32 v22, v22, v15
	v_cmp_gt_u32_e64 s[48:49], s4, v16
	v_or3_b32 v23, v23, v3, v2
	v_cndmask_b32_e64 v22, 0, v22, s[48:49]
	v_or3_b32 v23, v23, v21, v20
	v_add_u16_e32 v22, v22, v16
	v_cmp_gt_u32_e64 s[50:51], s4, v17
	v_or3_b32 v23, v23, v19, v18
	v_cndmask_b32_e64 v22, 0, v22, s[50:51]
	v_or3_b32 v23, v23, v51, v50
	v_add_u16_e32 v22, v22, v17
	v_cmp_gt_u32_e64 s[52:53], s4, v32
	v_and_b32_e32 v23, 0x10000, v23
	v_lshrrev_b32_e32 v34, 16, v1
	v_cndmask_b32_e64 v24, 0, v22, s[52:53]
	v_cmp_eq_u32_e32 vcc, 0, v23
	v_add_u16_e32 v22, v24, v32
	v_cndmask_b32_e32 v23, 1, v34, vcc
	v_mbcnt_hi_u32_b32 v25, -1, v33
	v_add_u16_e32 v24, v24, v32
	v_and_b32_e32 v27, 15, v25
	v_lshl_or_b32 v26, v23, 16, v24
	v_cmp_ne_u32_e32 vcc, 0, v27
	s_nop 0
	v_mov_b32_dpp v24, v26 row_shr:1 row_mask:0xf bank_mask:0xf
	s_and_saveexec_b64 s[4:5], vcc
	s_cbranch_execz .LBB1303_145
; %bb.144:
	v_cmp_eq_u32_e32 vcc, 0, v23
	v_and_b32_e32 v23, 1, v23
	v_mov_b32_e32 v29, 1
	v_cndmask_b32_e32 v26, 0, v24, vcc
	v_and_b32_sdwa v24, v24, v29 dst_sel:DWORD dst_unused:UNUSED_PAD src0_sel:WORD_1 src1_sel:DWORD
	v_cmp_eq_u32_e32 vcc, 1, v23
	v_cndmask_b32_e64 v23, v24, 1, vcc
	v_add_u16_e32 v28, v26, v22
	v_lshlrev_b32_e32 v24, 16, v23
	v_add_u16_e32 v22, v26, v22
	v_or_b32_e32 v26, v24, v22
	v_mov_b32_e32 v22, v28
.LBB1303_145:
	s_or_b64 exec, exec, s[4:5]
	v_lshrrev_b32_e32 v24, 16, v26
	v_mov_b32_dpp v28, v26 row_shr:2 row_mask:0xf bank_mask:0xf
	v_cmp_lt_u32_e32 vcc, 1, v27
	s_and_saveexec_b64 s[4:5], vcc
	s_cbranch_execz .LBB1303_147
; %bb.146:
	s_mov_b32 s54, 0x10000
	v_cmp_gt_u32_e32 vcc, s54, v26
	v_and_b32_e32 v23, 0x10000, v26
	v_mov_b32_e32 v26, 1
	v_cndmask_b32_e32 v24, 0, v28, vcc
	v_and_b32_sdwa v26, v28, v26 dst_sel:DWORD dst_unused:UNUSED_PAD src0_sel:WORD_1 src1_sel:DWORD
	v_cmp_ne_u32_e32 vcc, 0, v23
	v_cndmask_b32_e64 v23, v26, 1, vcc
	v_add_u16_e32 v29, v24, v22
	v_lshlrev_b32_e32 v26, 16, v23
	v_add_u16_e32 v22, v24, v22
	v_or_b32_e32 v26, v26, v22
	v_mov_b32_e32 v22, v29
	v_mov_b32_e32 v24, v23
.LBB1303_147:
	s_or_b64 exec, exec, s[4:5]
	v_mov_b32_dpp v28, v26 row_shr:4 row_mask:0xf bank_mask:0xf
	v_cmp_lt_u32_e32 vcc, 3, v27
	s_and_saveexec_b64 s[4:5], vcc
	s_cbranch_execz .LBB1303_149
; %bb.148:
	v_mov_b32_e32 v23, 0
	v_cmp_eq_u16_sdwa vcc, v24, v23 src0_sel:BYTE_0 src1_sel:DWORD
	v_and_b32_e32 v23, 1, v24
	v_mov_b32_e32 v24, 1
	v_cndmask_b32_e32 v26, 0, v28, vcc
	v_and_b32_sdwa v24, v28, v24 dst_sel:DWORD dst_unused:UNUSED_PAD src0_sel:WORD_1 src1_sel:DWORD
	v_cmp_eq_u32_e32 vcc, 1, v23
	v_cndmask_b32_e64 v23, v24, 1, vcc
	v_add_u16_e32 v29, v26, v22
	v_lshlrev_b32_e32 v24, 16, v23
	v_add_u16_e32 v22, v26, v22
	v_or_b32_e32 v26, v24, v22
	v_mov_b32_e32 v22, v29
	v_mov_b32_e32 v24, v23
.LBB1303_149:
	s_or_b64 exec, exec, s[4:5]
	v_mov_b32_dpp v28, v26 row_shr:8 row_mask:0xf bank_mask:0xf
	v_cmp_lt_u32_e32 vcc, 7, v27
	s_and_saveexec_b64 s[4:5], vcc
	s_cbranch_execz .LBB1303_151
; %bb.150:
	v_mov_b32_e32 v23, 0
	v_cmp_eq_u16_sdwa vcc, v24, v23 src0_sel:BYTE_0 src1_sel:DWORD
	v_and_b32_e32 v23, 1, v24
	v_mov_b32_e32 v24, 1
	v_cndmask_b32_e32 v26, 0, v28, vcc
	v_and_b32_sdwa v24, v28, v24 dst_sel:DWORD dst_unused:UNUSED_PAD src0_sel:WORD_1 src1_sel:DWORD
	v_cmp_eq_u32_e32 vcc, 1, v23
	v_cndmask_b32_e64 v23, v24, 1, vcc
	v_add_u16_e32 v27, v26, v22
	v_lshlrev_b32_e32 v24, 16, v23
	v_add_u16_e32 v22, v26, v22
	v_or_b32_e32 v26, v24, v22
	v_mov_b32_e32 v22, v27
	v_mov_b32_e32 v24, v23
.LBB1303_151:
	s_or_b64 exec, exec, s[4:5]
	v_and_b32_e32 v28, 16, v25
	v_mov_b32_dpp v27, v26 row_bcast:15 row_mask:0xf bank_mask:0xf
	v_cmp_ne_u32_e32 vcc, 0, v28
	s_and_saveexec_b64 s[4:5], vcc
	s_cbranch_execz .LBB1303_153
; %bb.152:
	v_mov_b32_e32 v23, 0
	v_cmp_eq_u16_sdwa vcc, v24, v23 src0_sel:BYTE_0 src1_sel:DWORD
	v_and_b32_e32 v23, 1, v24
	v_mov_b32_e32 v24, 1
	v_cndmask_b32_e32 v26, 0, v27, vcc
	v_and_b32_sdwa v24, v27, v24 dst_sel:DWORD dst_unused:UNUSED_PAD src0_sel:WORD_1 src1_sel:DWORD
	v_cmp_eq_u32_e32 vcc, 1, v23
	v_cndmask_b32_e64 v23, v24, 1, vcc
	v_add_u16_e32 v28, v26, v22
	v_lshlrev_b32_e32 v24, 16, v23
	v_add_u16_e32 v22, v26, v22
	v_or_b32_e32 v26, v24, v22
	v_mov_b32_e32 v22, v28
	v_mov_b32_e32 v24, v23
.LBB1303_153:
	s_or_b64 exec, exec, s[4:5]
	v_mov_b32_dpp v26, v26 row_bcast:31 row_mask:0xf bank_mask:0xf
	v_cmp_lt_u32_e32 vcc, 31, v25
	s_and_saveexec_b64 s[4:5], vcc
; %bb.154:
	v_mov_b32_e32 v23, 0
	v_cmp_eq_u16_sdwa vcc, v24, v23 src0_sel:BYTE_0 src1_sel:DWORD
	v_cndmask_b32_e32 v23, 0, v26, vcc
	v_add_u16_e32 v22, v23, v22
	v_and_b32_e32 v23, 1, v24
	v_mov_b32_e32 v24, 1
	v_and_b32_sdwa v24, v26, v24 dst_sel:DWORD dst_unused:UNUSED_PAD src0_sel:WORD_1 src1_sel:DWORD
	v_cmp_eq_u32_e32 vcc, 1, v23
	v_cndmask_b32_e64 v23, v24, 1, vcc
	v_mov_b32_e32 v24, v23
; %bb.155:
	s_or_b64 exec, exec, s[4:5]
	v_cmp_eq_u32_e32 vcc, 63, v0
	s_and_saveexec_b64 s[4:5], vcc
	s_cbranch_execz .LBB1303_157
; %bb.156:
	v_mov_b32_e32 v26, 0
	ds_write_b16 v26, v22
	ds_write_b8 v26, v24 offset:2
.LBB1303_157:
	s_or_b64 exec, exec, s[4:5]
	v_and_b32_e32 v23, 0xff, v23
	v_and_b32_e32 v22, 0xffff, v22
	v_lshl_or_b32 v22, v23, 16, v22
	v_add_u32_e32 v23, -1, v25
	v_and_b32_e32 v24, 64, v25
	v_cmp_lt_i32_e32 vcc, v23, v24
	v_cndmask_b32_e32 v23, v23, v25, vcc
	v_lshlrev_b32_e32 v23, 2, v23
	ds_bpermute_b32 v35, v23, v22
	v_cmp_gt_u32_e32 vcc, 64, v0
	s_waitcnt lgkmcnt(0)
	; wave barrier
	s_waitcnt lgkmcnt(0)
	s_and_saveexec_b64 s[4:5], vcc
	s_cbranch_execz .LBB1303_200
; %bb.158:
	v_mov_b32_e32 v29, 0
	ds_read_b32 v22, v29
	s_mov_b32 s65, 0
	v_cmp_eq_u32_e64 s[54:55], 0, v25
	s_and_saveexec_b64 s[62:63], s[54:55]
	s_cbranch_execz .LBB1303_160
; %bb.159:
	s_add_i32 s64, s79, 64
	s_lshl_b64 s[64:65], s[64:65], 3
	s_add_u32 s64, s76, s64
	v_mov_b32_e32 v23, 1
	s_addc_u32 s65, s77, s65
	s_waitcnt lgkmcnt(0)
	global_store_dwordx2 v29, v[22:23], s[64:65]
.LBB1303_160:
	s_or_b64 exec, exec, s[62:63]
	v_xad_u32 v24, v25, -1, s79
	v_add_u32_e32 v28, 64, v24
	v_lshlrev_b64 v[26:27], 3, v[28:29]
	v_mov_b32_e32 v23, s77
	v_add_co_u32_e32 v30, vcc, s76, v26
	v_addc_co_u32_e32 v31, vcc, v23, v27, vcc
	global_load_dwordx2 v[26:27], v[30:31], off glc
	s_waitcnt vmcnt(0)
	v_cmp_eq_u16_sdwa s[64:65], v27, v29 src0_sel:BYTE_0 src1_sel:DWORD
	s_and_saveexec_b64 s[62:63], s[64:65]
	s_cbranch_execz .LBB1303_164
; %bb.161:
	s_mov_b64 s[64:65], 0
	v_mov_b32_e32 v23, 0
.LBB1303_162:                           ; =>This Inner Loop Header: Depth=1
	global_load_dwordx2 v[26:27], v[30:31], off glc
	s_waitcnt vmcnt(0)
	v_cmp_ne_u16_sdwa s[68:69], v27, v23 src0_sel:BYTE_0 src1_sel:DWORD
	s_or_b64 s[64:65], s[68:69], s[64:65]
	s_andn2_b64 exec, exec, s[64:65]
	s_cbranch_execnz .LBB1303_162
; %bb.163:
	s_or_b64 exec, exec, s[64:65]
.LBB1303_164:
	s_or_b64 exec, exec, s[62:63]
	v_mov_b32_e32 v23, 2
	v_cmp_eq_u16_sdwa s[62:63], v27, v23 src0_sel:BYTE_0 src1_sel:DWORD
	v_lshlrev_b64 v[28:29], v25, -1
	v_and_b32_e32 v23, s63, v29
	v_or_b32_e32 v23, 0x80000000, v23
	v_ffbl_b32_e32 v23, v23
	v_add_u32_e32 v31, 32, v23
	v_and_b32_e32 v23, 63, v25
	v_cmp_ne_u32_e32 vcc, 63, v23
	v_addc_co_u32_e32 v36, vcc, 0, v25, vcc
	v_and_b32_e32 v47, 0xffffff, v26
	v_lshlrev_b32_e32 v36, 2, v36
	ds_bpermute_b32 v37, v36, v47
	v_and_b32_e32 v30, s62, v28
	v_ffbl_b32_e32 v30, v30
	v_min_u32_e32 v31, v30, v31
	v_lshrrev_b32_e32 v30, 16, v26
	v_cmp_lt_u32_e32 vcc, v23, v31
	v_bfe_u32 v45, v26, 16, 8
	s_and_saveexec_b64 s[62:63], vcc
	s_cbranch_execz .LBB1303_166
; %bb.165:
	v_and_b32_e32 v30, 0xff0000, v26
	v_cmp_eq_u32_e32 vcc, 0, v30
	v_and_b32_e32 v30, 0x10000, v30
	v_mov_b32_e32 v40, 1
	s_waitcnt lgkmcnt(0)
	v_cndmask_b32_e32 v38, 0, v37, vcc
	v_and_b32_sdwa v37, v37, v40 dst_sel:DWORD dst_unused:UNUSED_PAD src0_sel:WORD_1 src1_sel:DWORD
	v_cmp_ne_u32_e32 vcc, 0, v30
	v_cndmask_b32_e64 v30, v37, 1, vcc
	v_add_u16_e32 v39, v38, v26
	v_lshlrev_b32_e32 v37, 16, v30
	v_add_u16_e32 v26, v38, v26
	v_or_b32_e32 v47, v37, v26
	v_mov_b32_e32 v26, v39
	v_mov_b32_e32 v45, v30
.LBB1303_166:
	s_or_b64 exec, exec, s[62:63]
	v_cmp_gt_u32_e32 vcc, 62, v23
	s_waitcnt lgkmcnt(0)
	v_cndmask_b32_e64 v37, 0, 1, vcc
	v_lshlrev_b32_e32 v37, 1, v37
	v_add_lshl_u32 v37, v37, v25, 2
	ds_bpermute_b32 v39, v37, v47
	v_add_u32_e32 v38, 2, v23
	v_cmp_le_u32_e32 vcc, v38, v31
	s_and_saveexec_b64 s[62:63], vcc
	s_cbranch_execz .LBB1303_168
; %bb.167:
	v_cmp_eq_u16_e32 vcc, 0, v45
	v_and_b32_e32 v30, 1, v45
	v_mov_b32_e32 v42, 1
	s_waitcnt lgkmcnt(0)
	v_cndmask_b32_e32 v40, 0, v39, vcc
	v_and_b32_sdwa v39, v39, v42 dst_sel:DWORD dst_unused:UNUSED_PAD src0_sel:WORD_1 src1_sel:DWORD
	v_cmp_eq_u32_e32 vcc, 1, v30
	v_cndmask_b32_e64 v30, v39, 1, vcc
	v_add_u16_e32 v41, v40, v26
	v_lshlrev_b32_e32 v39, 16, v30
	v_add_u16_e32 v26, v40, v26
	v_or_b32_e32 v47, v39, v26
	v_mov_b32_e32 v26, v41
	v_mov_b32_e32 v45, v30
.LBB1303_168:
	s_or_b64 exec, exec, s[62:63]
	v_cmp_gt_u32_e32 vcc, 60, v23
	s_waitcnt lgkmcnt(0)
	v_cndmask_b32_e64 v39, 0, 1, vcc
	v_lshlrev_b32_e32 v39, 2, v39
	v_add_lshl_u32 v39, v39, v25, 2
	ds_bpermute_b32 v41, v39, v47
	v_add_u32_e32 v40, 4, v23
	v_cmp_le_u32_e32 vcc, v40, v31
	s_and_saveexec_b64 s[62:63], vcc
	s_cbranch_execz .LBB1303_170
; %bb.169:
	v_cmp_eq_u16_e32 vcc, 0, v45
	v_and_b32_e32 v30, 1, v45
	v_mov_b32_e32 v44, 1
	s_waitcnt lgkmcnt(0)
	v_cndmask_b32_e32 v42, 0, v41, vcc
	v_and_b32_sdwa v41, v41, v44 dst_sel:DWORD dst_unused:UNUSED_PAD src0_sel:WORD_1 src1_sel:DWORD
	v_cmp_eq_u32_e32 vcc, 1, v30
	v_cndmask_b32_e64 v30, v41, 1, vcc
	v_add_u16_e32 v43, v42, v26
	v_lshlrev_b32_e32 v41, 16, v30
	v_add_u16_e32 v26, v42, v26
	v_or_b32_e32 v47, v41, v26
	v_mov_b32_e32 v26, v43
	v_mov_b32_e32 v45, v30
.LBB1303_170:
	;; [unrolled: 27-line block ×4, first 2 shown]
	s_or_b64 exec, exec, s[62:63]
	v_cmp_gt_u32_e32 vcc, 32, v23
	s_waitcnt lgkmcnt(0)
	v_cndmask_b32_e64 v46, 0, 1, vcc
	v_lshlrev_b32_e32 v46, 5, v46
	v_add_lshl_u32 v46, v46, v25, 2
	ds_bpermute_b32 v25, v46, v47
	v_add_u32_e32 v47, 32, v23
	v_cmp_le_u32_e32 vcc, v47, v31
	s_and_saveexec_b64 s[62:63], vcc
	s_cbranch_execz .LBB1303_176
; %bb.175:
	v_cmp_eq_u16_e32 vcc, 0, v45
	s_waitcnt lgkmcnt(0)
	v_cndmask_b32_e32 v30, 0, v25, vcc
	v_add_u16_e32 v26, v30, v26
	v_and_b32_e32 v30, 1, v45
	v_mov_b32_e32 v31, 1
	v_and_b32_sdwa v25, v25, v31 dst_sel:DWORD dst_unused:UNUSED_PAD src0_sel:WORD_1 src1_sel:DWORD
	v_cmp_eq_u32_e32 vcc, 1, v30
	v_cndmask_b32_e64 v30, v25, 1, vcc
.LBB1303_176:
	s_or_b64 exec, exec, s[62:63]
	s_waitcnt lgkmcnt(0)
	v_mov_b32_e32 v25, 0
	v_mov_b32_e32 v49, 2
	;; [unrolled: 1-line block ×3, first 2 shown]
	s_branch .LBB1303_178
.LBB1303_177:                           ;   in Loop: Header=BB1303_178 Depth=1
	s_or_b64 exec, exec, s[62:63]
	v_cmp_eq_u16_sdwa vcc, v45, v25 src0_sel:BYTE_0 src1_sel:DWORD
	v_and_b32_e32 v30, 1, v45
	v_cndmask_b32_e32 v26, 0, v26, vcc
	v_and_b32_e32 v31, 1, v31
	v_cmp_eq_u32_e32 vcc, 1, v30
	v_subrev_u32_e32 v24, 64, v24
	v_add_u16_e32 v26, v26, v48
	v_cndmask_b32_e64 v30, v31, 1, vcc
.LBB1303_178:                           ; =>This Loop Header: Depth=1
                                        ;     Child Loop BB1303_181 Depth 2
	v_cmp_ne_u16_sdwa s[62:63], v27, v49 src0_sel:BYTE_0 src1_sel:DWORD
	v_cndmask_b32_e64 v27, 0, 1, s[62:63]
	;;#ASMSTART
	;;#ASMEND
	v_cmp_ne_u32_e32 vcc, 0, v27
	v_mov_b32_e32 v45, v30
	s_cmp_lg_u64 vcc, exec
	v_mov_b32_e32 v48, v26
	s_cbranch_scc1 .LBB1303_195
; %bb.179:                              ;   in Loop: Header=BB1303_178 Depth=1
	v_lshlrev_b64 v[26:27], 3, v[24:25]
	v_mov_b32_e32 v31, s77
	v_add_co_u32_e32 v30, vcc, s76, v26
	v_addc_co_u32_e32 v31, vcc, v31, v27, vcc
	global_load_dwordx2 v[26:27], v[30:31], off glc
	s_waitcnt vmcnt(0)
	v_cmp_eq_u16_sdwa s[64:65], v27, v25 src0_sel:BYTE_0 src1_sel:DWORD
	s_and_saveexec_b64 s[62:63], s[64:65]
	s_cbranch_execz .LBB1303_183
; %bb.180:                              ;   in Loop: Header=BB1303_178 Depth=1
	s_mov_b64 s[64:65], 0
.LBB1303_181:                           ;   Parent Loop BB1303_178 Depth=1
                                        ; =>  This Inner Loop Header: Depth=2
	global_load_dwordx2 v[26:27], v[30:31], off glc
	s_waitcnt vmcnt(0)
	v_cmp_ne_u16_sdwa s[68:69], v27, v25 src0_sel:BYTE_0 src1_sel:DWORD
	s_or_b64 s[64:65], s[68:69], s[64:65]
	s_andn2_b64 exec, exec, s[64:65]
	s_cbranch_execnz .LBB1303_181
; %bb.182:                              ;   in Loop: Header=BB1303_178 Depth=1
	s_or_b64 exec, exec, s[64:65]
.LBB1303_183:                           ;   in Loop: Header=BB1303_178 Depth=1
	s_or_b64 exec, exec, s[62:63]
	v_cmp_eq_u16_sdwa s[62:63], v27, v49 src0_sel:BYTE_0 src1_sel:DWORD
	v_and_b32_e32 v30, s63, v29
	s_waitcnt lgkmcnt(0)
	v_and_b32_e32 v54, 0xffffff, v26
	v_or_b32_e32 v30, 0x80000000, v30
	ds_bpermute_b32 v55, v36, v54
	v_and_b32_e32 v31, s62, v28
	v_ffbl_b32_e32 v30, v30
	v_add_u32_e32 v30, 32, v30
	v_ffbl_b32_e32 v31, v31
	v_min_u32_e32 v30, v31, v30
	v_lshrrev_b32_e32 v31, 16, v26
	v_cmp_lt_u32_e32 vcc, v23, v30
	v_bfe_u32 v53, v26, 16, 8
	s_and_saveexec_b64 s[62:63], vcc
	s_cbranch_execz .LBB1303_185
; %bb.184:                              ;   in Loop: Header=BB1303_178 Depth=1
	v_and_b32_e32 v31, 0xff0000, v26
	v_cmp_eq_u32_e32 vcc, 0, v31
	v_and_b32_e32 v31, 0x10000, v31
	s_waitcnt lgkmcnt(0)
	v_cndmask_b32_e32 v53, 0, v55, vcc
	v_and_b32_sdwa v54, v55, v52 dst_sel:DWORD dst_unused:UNUSED_PAD src0_sel:WORD_1 src1_sel:DWORD
	v_cmp_ne_u32_e32 vcc, 0, v31
	v_cndmask_b32_e64 v31, v54, 1, vcc
	v_add_u16_e32 v56, v53, v26
	v_lshlrev_b32_e32 v54, 16, v31
	v_add_u16_e32 v26, v53, v26
	v_or_b32_e32 v54, v54, v26
	v_mov_b32_e32 v26, v56
	v_mov_b32_e32 v53, v31
.LBB1303_185:                           ;   in Loop: Header=BB1303_178 Depth=1
	s_or_b64 exec, exec, s[62:63]
	s_waitcnt lgkmcnt(0)
	ds_bpermute_b32 v55, v37, v54
	v_cmp_le_u32_e32 vcc, v38, v30
	s_and_saveexec_b64 s[62:63], vcc
	s_cbranch_execz .LBB1303_187
; %bb.186:                              ;   in Loop: Header=BB1303_178 Depth=1
	v_cmp_eq_u16_e32 vcc, 0, v53
	v_and_b32_e32 v31, 1, v53
	s_waitcnt lgkmcnt(0)
	v_cndmask_b32_e32 v54, 0, v55, vcc
	v_and_b32_sdwa v53, v55, v52 dst_sel:DWORD dst_unused:UNUSED_PAD src0_sel:WORD_1 src1_sel:DWORD
	v_cmp_eq_u32_e32 vcc, 1, v31
	v_cndmask_b32_e64 v31, v53, 1, vcc
	v_add_u16_e32 v56, v54, v26
	v_lshlrev_b32_e32 v53, 16, v31
	v_add_u16_e32 v26, v54, v26
	v_or_b32_e32 v54, v53, v26
	v_mov_b32_e32 v26, v56
	v_mov_b32_e32 v53, v31
.LBB1303_187:                           ;   in Loop: Header=BB1303_178 Depth=1
	s_or_b64 exec, exec, s[62:63]
	s_waitcnt lgkmcnt(0)
	ds_bpermute_b32 v55, v39, v54
	v_cmp_le_u32_e32 vcc, v40, v30
	s_and_saveexec_b64 s[62:63], vcc
	s_cbranch_execz .LBB1303_189
; %bb.188:                              ;   in Loop: Header=BB1303_178 Depth=1
	v_cmp_eq_u16_e32 vcc, 0, v53
	v_and_b32_e32 v31, 1, v53
	s_waitcnt lgkmcnt(0)
	v_cndmask_b32_e32 v54, 0, v55, vcc
	v_and_b32_sdwa v53, v55, v52 dst_sel:DWORD dst_unused:UNUSED_PAD src0_sel:WORD_1 src1_sel:DWORD
	v_cmp_eq_u32_e32 vcc, 1, v31
	v_cndmask_b32_e64 v31, v53, 1, vcc
	v_add_u16_e32 v56, v54, v26
	v_lshlrev_b32_e32 v53, 16, v31
	v_add_u16_e32 v26, v54, v26
	v_or_b32_e32 v54, v53, v26
	v_mov_b32_e32 v26, v56
	v_mov_b32_e32 v53, v31
.LBB1303_189:                           ;   in Loop: Header=BB1303_178 Depth=1
	;; [unrolled: 21-line block ×4, first 2 shown]
	s_or_b64 exec, exec, s[62:63]
	ds_bpermute_b32 v54, v46, v54
	v_cmp_le_u32_e32 vcc, v47, v30
	s_and_saveexec_b64 s[62:63], vcc
	s_cbranch_execz .LBB1303_177
; %bb.194:                              ;   in Loop: Header=BB1303_178 Depth=1
	v_cmp_eq_u16_e32 vcc, 0, v53
	s_waitcnt lgkmcnt(0)
	v_cndmask_b32_e32 v30, 0, v54, vcc
	v_add_u16_e32 v26, v30, v26
	v_and_b32_e32 v30, 1, v53
	v_lshrrev_b32_e32 v31, 16, v54
	v_cmp_eq_u32_e32 vcc, 1, v30
	v_cndmask_b32_e64 v31, v31, 1, vcc
	s_branch .LBB1303_177
.LBB1303_195:                           ;   in Loop: Header=BB1303_178 Depth=1
                                        ; implicit-def: $vgpr30
                                        ; implicit-def: $vgpr26
	s_cbranch_execz .LBB1303_178
; %bb.196:
	s_and_saveexec_b64 s[62:63], s[54:55]
	s_cbranch_execz .LBB1303_198
; %bb.197:
	v_and_b32_e32 v23, 0xff0000, v22
	s_mov_b32 s55, 0
	v_cmp_eq_u32_e32 vcc, 0, v23
	v_and_b32_e32 v24, 0x10000, v22
	v_mov_b32_e32 v25, 1
	s_add_i32 s54, s79, 64
	v_cndmask_b32_e32 v23, 0, v48, vcc
	v_and_b32_sdwa v25, v45, v25 dst_sel:WORD_1 dst_unused:UNUSED_PAD src0_sel:DWORD src1_sel:DWORD
	v_mov_b32_e32 v26, 0x10000
	v_cmp_eq_u32_e32 vcc, 0, v24
	s_lshl_b64 s[54:55], s[54:55], 3
	v_cndmask_b32_e32 v24, v26, v25, vcc
	s_add_u32 s54, s76, s54
	v_add_u16_e32 v22, v23, v22
	s_addc_u32 s55, s77, s55
	v_mov_b32_e32 v25, 0
	v_or_b32_e32 v22, v24, v22
	v_mov_b32_e32 v23, 2
	global_store_dwordx2 v25, v[22:23], s[54:55]
.LBB1303_198:
	s_or_b64 exec, exec, s[62:63]
	s_and_b64 exec, exec, s[0:1]
	s_cbranch_execz .LBB1303_200
; %bb.199:
	v_mov_b32_e32 v22, 0
	ds_write_b16 v22, v48
	ds_write_b8 v22, v45 offset:2
.LBB1303_200:
	s_or_b64 exec, exec, s[4:5]
	v_mov_b32_e32 v22, 0
	s_mov_b32 s4, 0x10000
	s_waitcnt lgkmcnt(0)
	; wave barrier
	s_waitcnt lgkmcnt(0)
	ds_read_b32 v23, v22
	v_cmp_gt_u32_e32 vcc, s4, v1
	v_and_b32_e32 v25, 0x10000, v1
	v_mov_b32_e32 v26, 1
	v_cndmask_b32_e32 v24, 0, v35, vcc
	v_and_b32_sdwa v26, v35, v26 dst_sel:DWORD dst_unused:UNUSED_PAD src0_sel:WORD_1 src1_sel:DWORD
	v_cmp_ne_u32_e32 vcc, 0, v25
	v_cndmask_b32_e64 v25, v26, 1, vcc
	v_cndmask_b32_e64 v25, v25, v34, s[0:1]
	v_cndmask_b32_e64 v24, v24, 0, s[0:1]
	v_cmp_eq_u16_sdwa vcc, v25, v22 src0_sel:BYTE_0 src1_sel:DWORD
	v_add_u16_e32 v24, v24, v1
	s_waitcnt lgkmcnt(0)
	v_cndmask_b32_e32 v22, 0, v23, vcc
	v_add_u16_e32 v47, v24, v22
	v_cndmask_b32_e64 v22, 0, v47, s[6:7]
	v_add_u16_e32 v22, v22, v50
	v_cndmask_b32_e64 v23, 0, v22, s[8:9]
	;; [unrolled: 2-line block ×23, first 2 shown]
	v_add_u16_e32 v46, v46, v32
	s_branch .LBB1303_223
.LBB1303_201:
                                        ; implicit-def: $vgpr47
                                        ; implicit-def: $vgpr22
                                        ; implicit-def: $vgpr23
                                        ; implicit-def: $vgpr24
                                        ; implicit-def: $vgpr25
                                        ; implicit-def: $vgpr26
                                        ; implicit-def: $vgpr27
                                        ; implicit-def: $vgpr29
                                        ; implicit-def: $vgpr28
                                        ; implicit-def: $vgpr30
                                        ; implicit-def: $vgpr31
                                        ; implicit-def: $vgpr34
                                        ; implicit-def: $vgpr35
                                        ; implicit-def: $vgpr36
                                        ; implicit-def: $vgpr37
                                        ; implicit-def: $vgpr39
                                        ; implicit-def: $vgpr38
                                        ; implicit-def: $vgpr40
                                        ; implicit-def: $vgpr41
                                        ; implicit-def: $vgpr42
                                        ; implicit-def: $vgpr43
                                        ; implicit-def: $vgpr44
                                        ; implicit-def: $vgpr45
                                        ; implicit-def: $vgpr46
	s_cbranch_execz .LBB1303_223
; %bb.202:
	s_cmp_lg_u64 s[80:81], 0
	s_cselect_b32 s7, s71, 0
	s_cselect_b32 s6, s70, 0
	s_cmp_lg_u64 s[6:7], 0
	s_cselect_b64 s[4:5], -1, 0
	s_and_b64 s[8:9], s[0:1], s[4:5]
	s_and_saveexec_b64 s[4:5], s[8:9]
	s_cbranch_execz .LBB1303_204
; %bb.203:
	v_mov_b32_e32 v22, 0
	global_load_ushort v23, v22, s[6:7]
	global_load_ubyte v24, v22, s[6:7] offset:2
	s_mov_b32 s6, 0x10000
	v_and_b32_e32 v22, 0x10000, v1
	v_mov_b32_e32 v25, 1
	v_cmp_gt_u32_e32 vcc, s6, v1
	v_mov_b32_e32 v26, 0x10000
	s_waitcnt vmcnt(1)
	v_cndmask_b32_e32 v23, 0, v23, vcc
	s_waitcnt vmcnt(0)
	v_and_b32_sdwa v24, v24, v25 dst_sel:WORD_1 dst_unused:UNUSED_PAD src0_sel:DWORD src1_sel:DWORD
	v_cmp_eq_u32_e32 vcc, 0, v22
	v_add_u16_e32 v1, v23, v1
	v_cndmask_b32_e32 v22, v26, v24, vcc
	v_or_b32_e32 v1, v22, v1
.LBB1303_204:
	s_or_b64 exec, exec, s[4:5]
	s_mov_b32 s4, 0x10000
	v_cmp_gt_u32_e32 vcc, s4, v50
	v_cndmask_b32_e32 v22, 0, v1, vcc
	v_add_u16_e32 v22, v22, v50
	v_cmp_gt_u32_e64 s[6:7], s4, v51
	v_cndmask_b32_e64 v23, 0, v22, s[6:7]
	v_add_u16_e32 v23, v23, v51
	v_cmp_gt_u32_e64 s[8:9], s4, v18
	v_cndmask_b32_e64 v24, 0, v23, s[8:9]
	;; [unrolled: 3-line block ×3, first 2 shown]
	v_add_u16_e32 v25, v25, v19
	v_cmp_gt_u32_e64 s[12:13], s4, v20
	v_bfe_u32 v28, v19, 16, 1
	v_mov_b32_e32 v52, 1
	v_cndmask_b32_e64 v26, 0, v25, s[12:13]
	v_lshlrev_b16_e32 v28, 1, v28
	v_and_b32_sdwa v29, v18, v52 dst_sel:DWORD dst_unused:UNUSED_PAD src0_sel:WORD_1 src1_sel:DWORD
	v_add_u16_e32 v26, v26, v20
	v_cmp_gt_u32_e64 s[14:15], s4, v21
	v_or_b32_e32 v28, v29, v28
	v_bfe_u32 v29, v21, 16, 1
	v_and_b32_sdwa v30, v20, v52 dst_sel:DWORD dst_unused:UNUSED_PAD src0_sel:WORD_1 src1_sel:DWORD
	v_cndmask_b32_e64 v27, 0, v26, s[14:15]
	v_lshlrev_b16_e32 v29, 3, v29
	v_lshlrev_b16_e32 v30, 2, v30
	v_add_u16_e32 v27, v27, v21
	v_or_b32_e32 v29, v29, v30
	v_cmp_gt_u32_e64 s[16:17], s4, v2
	v_or_b32_e32 v46, v28, v29
	v_cndmask_b32_e64 v28, 0, v27, s[16:17]
	v_add_u16_e32 v29, v28, v2
	v_cmp_gt_u32_e64 s[18:19], s4, v3
	v_cndmask_b32_e64 v28, 0, v29, s[18:19]
	v_bfe_u32 v48, v11, 16, 1
	v_add_u16_e32 v28, v28, v3
	v_cmp_gt_u32_e64 s[20:21], s4, v4
	v_lshlrev_b16_e32 v48, 1, v48
	v_and_b32_sdwa v49, v10, v52 dst_sel:DWORD dst_unused:UNUSED_PAD src0_sel:WORD_1 src1_sel:DWORD
	v_cndmask_b32_e64 v30, 0, v28, s[20:21]
	v_or_b32_e32 v48, v49, v48
	v_bfe_u32 v49, v13, 16, 1
	v_and_b32_sdwa v53, v12, v52 dst_sel:DWORD dst_unused:UNUSED_PAD src0_sel:WORD_1 src1_sel:DWORD
	v_add_u16_e32 v30, v30, v4
	v_cmp_gt_u32_e64 s[22:23], s4, v5
	v_lshlrev_b16_e32 v49, 3, v49
	v_lshlrev_b16_e32 v53, 2, v53
	v_cndmask_b32_e64 v31, 0, v30, s[22:23]
	v_or_b32_e32 v49, v49, v53
	v_add_u16_e32 v31, v31, v5
	v_cmp_gt_u32_e64 s[24:25], s4, v6
	v_or_b32_sdwa v48, v48, v49 dst_sel:BYTE_1 dst_unused:UNUSED_PAD src0_sel:DWORD src1_sel:DWORD
	v_bfe_u32 v49, v15, 16, 1
	v_cndmask_b32_e64 v34, 0, v31, s[24:25]
	v_lshlrev_b16_e32 v49, 1, v49
	v_and_b32_sdwa v53, v14, v52 dst_sel:DWORD dst_unused:UNUSED_PAD src0_sel:WORD_1 src1_sel:DWORD
	v_add_u16_e32 v34, v34, v6
	v_cmp_gt_u32_e64 s[26:27], s4, v7
	v_or_b32_e32 v49, v53, v49
	v_bfe_u32 v53, v17, 16, 1
	v_and_b32_sdwa v54, v16, v52 dst_sel:DWORD dst_unused:UNUSED_PAD src0_sel:WORD_1 src1_sel:DWORD
	v_cndmask_b32_e64 v35, 0, v34, s[26:27]
	v_lshlrev_b16_e32 v53, 3, v53
	v_lshlrev_b16_e32 v54, 2, v54
	v_add_u16_e32 v35, v35, v7
	v_cmp_gt_u32_e64 s[28:29], s4, v8
	v_or_b32_e32 v53, v53, v54
	v_cndmask_b32_e64 v36, 0, v35, s[28:29]
	v_or_b32_e32 v49, v49, v53
	v_add_u16_e32 v36, v36, v8
	v_cmp_gt_u32_e64 s[30:31], s4, v9
	v_lshlrev_b16_e32 v49, 12, v49
	v_cndmask_b32_e64 v37, 0, v36, s[30:31]
	v_or_b32_e32 v48, v49, v48
	v_bfe_u32 v49, v3, 16, 1
	v_add_u16_e32 v37, v37, v9
	v_cmp_gt_u32_e64 s[34:35], s4, v10
	v_lshlrev_b16_e32 v49, 1, v49
	v_and_b32_sdwa v53, v2, v52 dst_sel:DWORD dst_unused:UNUSED_PAD src0_sel:WORD_1 src1_sel:DWORD
	v_cndmask_b32_e64 v38, 0, v37, s[34:35]
	v_or_b32_e32 v49, v53, v49
	v_bfe_u32 v53, v5, 16, 1
	v_and_b32_sdwa v54, v4, v52 dst_sel:DWORD dst_unused:UNUSED_PAD src0_sel:WORD_1 src1_sel:DWORD
	v_add_u16_e32 v39, v38, v10
	v_cmp_gt_u32_e64 s[36:37], s4, v11
	v_lshlrev_b16_e32 v53, 3, v53
	v_lshlrev_b16_e32 v54, 2, v54
	v_cndmask_b32_e64 v38, 0, v39, s[36:37]
	v_or_b32_e32 v53, v53, v54
	v_add_u16_e32 v38, v38, v11
	v_cmp_gt_u32_e64 s[38:39], s4, v12
	v_or_b32_e32 v49, v49, v53
	v_bfe_u32 v53, v7, 16, 1
	v_cndmask_b32_e64 v40, 0, v38, s[38:39]
	v_lshlrev_b16_e32 v53, 1, v53
	v_and_b32_sdwa v54, v6, v52 dst_sel:DWORD dst_unused:UNUSED_PAD src0_sel:WORD_1 src1_sel:DWORD
	v_add_u16_e32 v40, v40, v12
	v_cmp_gt_u32_e64 s[40:41], s4, v13
	v_or_b32_e32 v53, v54, v53
	v_bfe_u32 v54, v9, 16, 1
	v_and_b32_sdwa v55, v8, v52 dst_sel:DWORD dst_unused:UNUSED_PAD src0_sel:WORD_1 src1_sel:DWORD
	v_cndmask_b32_e64 v41, 0, v40, s[40:41]
	v_lshlrev_b16_e32 v54, 3, v54
	v_lshlrev_b16_e32 v55, 2, v55
	v_add_u16_e32 v41, v41, v13
	v_cmp_gt_u32_e64 s[42:43], s4, v14
	v_or_b32_e32 v54, v54, v55
	v_cndmask_b32_e64 v42, 0, v41, s[42:43]
	v_or_b32_e32 v53, v53, v54
	v_add_u16_e32 v42, v42, v14
	v_cmp_gt_u32_e64 s[44:45], s4, v15
	v_lshlrev_b16_e32 v53, 4, v53
	v_cndmask_b32_e64 v43, 0, v42, s[44:45]
	v_or_b32_e32 v49, v49, v53
	v_add_u16_e32 v43, v43, v15
	v_cmp_gt_u32_e64 s[46:47], s4, v16
	v_or_b32_sdwa v49, v49, v48 dst_sel:DWORD dst_unused:UNUSED_PAD src0_sel:BYTE_0 src1_sel:DWORD
	v_cndmask_b32_e64 v44, 0, v43, s[46:47]
	v_or_b32_e32 v46, v49, v46
	v_add_u16_e32 v44, v44, v16
	v_cmp_gt_u32_e64 s[48:49], s4, v17
	v_cmp_gt_u32_e64 s[50:51], s4, v32
	v_cmp_ne_u16_e64 s[4:5], 0, v46
	v_or3_b32 v46, v51, v50, v32
	v_cndmask_b32_e64 v45, 0, v44, s[48:49]
	v_and_b32_e32 v46, 0x10000, v46
	v_add_u16_e32 v45, v45, v17
	v_cmp_ne_u32_e64 s[52:53], 0, v46
	v_lshrrev_b32_e32 v47, 16, v1
	v_cndmask_b32_e64 v53, 0, v45, s[50:51]
	s_or_b64 s[4:5], s[52:53], s[4:5]
	v_cndmask_b32_e64 v49, v47, 1, s[4:5]
	v_mbcnt_hi_u32_b32 v33, -1, v33
	v_add_u16_e32 v46, v53, v32
	v_add_u16_e32 v48, v53, v32
	v_and_b32_e32 v54, 15, v33
	v_lshl_or_b32 v53, v49, 16, v46
	v_cmp_ne_u32_e64 s[4:5], 0, v54
	s_nop 0
	v_mov_b32_dpp v55, v53 row_shr:1 row_mask:0xf bank_mask:0xf
	s_and_saveexec_b64 s[52:53], s[4:5]
; %bb.205:
	v_cmp_eq_u32_e64 s[4:5], 0, v49
	v_and_b32_e32 v49, 1, v49
	v_cndmask_b32_e64 v53, 0, v55, s[4:5]
	v_and_b32_sdwa v52, v55, v52 dst_sel:DWORD dst_unused:UNUSED_PAD src0_sel:WORD_1 src1_sel:DWORD
	v_cmp_eq_u32_e64 s[4:5], 1, v49
	v_cndmask_b32_e64 v49, v52, 1, s[4:5]
	v_add_u16_e32 v56, v48, v53
	v_lshlrev_b32_e32 v52, 16, v49
	v_add_u16_e32 v48, v48, v53
	v_or_b32_e32 v53, v52, v48
	v_mov_b32_e32 v48, v56
; %bb.206:
	s_or_b64 exec, exec, s[52:53]
	v_lshrrev_b32_e32 v52, 16, v53
	v_mov_b32_dpp v55, v53 row_shr:2 row_mask:0xf bank_mask:0xf
	v_cmp_lt_u32_e64 s[4:5], 1, v54
	s_and_saveexec_b64 s[52:53], s[4:5]
	s_cbranch_execz .LBB1303_208
; %bb.207:
	s_mov_b32 s4, 0x10000
	v_cmp_gt_u32_e64 s[4:5], s4, v53
	v_and_b32_e32 v49, 0x10000, v53
	v_mov_b32_e32 v53, 1
	v_cndmask_b32_e64 v52, 0, v55, s[4:5]
	v_and_b32_sdwa v53, v55, v53 dst_sel:DWORD dst_unused:UNUSED_PAD src0_sel:WORD_1 src1_sel:DWORD
	v_cmp_ne_u32_e64 s[4:5], 0, v49
	v_cndmask_b32_e64 v49, v53, 1, s[4:5]
	v_add_u16_e32 v56, v52, v48
	v_lshlrev_b32_e32 v53, 16, v49
	v_add_u16_e32 v48, v52, v48
	v_or_b32_e32 v53, v53, v48
	v_mov_b32_e32 v48, v56
	v_mov_b32_e32 v52, v49
.LBB1303_208:
	s_or_b64 exec, exec, s[52:53]
	v_mov_b32_dpp v55, v53 row_shr:4 row_mask:0xf bank_mask:0xf
	v_cmp_lt_u32_e64 s[4:5], 3, v54
	s_and_saveexec_b64 s[52:53], s[4:5]
	s_cbranch_execz .LBB1303_210
; %bb.209:
	v_mov_b32_e32 v49, 0
	v_cmp_eq_u16_sdwa s[4:5], v52, v49 src0_sel:BYTE_0 src1_sel:DWORD
	v_and_b32_e32 v49, 1, v52
	v_mov_b32_e32 v52, 1
	v_cndmask_b32_e64 v53, 0, v55, s[4:5]
	v_and_b32_sdwa v52, v55, v52 dst_sel:DWORD dst_unused:UNUSED_PAD src0_sel:WORD_1 src1_sel:DWORD
	v_cmp_eq_u32_e64 s[4:5], 1, v49
	v_cndmask_b32_e64 v49, v52, 1, s[4:5]
	v_add_u16_e32 v56, v53, v48
	v_lshlrev_b32_e32 v52, 16, v49
	v_add_u16_e32 v48, v53, v48
	v_or_b32_e32 v53, v52, v48
	v_mov_b32_e32 v48, v56
	v_mov_b32_e32 v52, v49
.LBB1303_210:
	s_or_b64 exec, exec, s[52:53]
	v_mov_b32_dpp v55, v53 row_shr:8 row_mask:0xf bank_mask:0xf
	v_cmp_lt_u32_e64 s[4:5], 7, v54
	s_and_saveexec_b64 s[52:53], s[4:5]
	s_cbranch_execz .LBB1303_212
; %bb.211:
	v_mov_b32_e32 v49, 0
	v_cmp_eq_u16_sdwa s[4:5], v52, v49 src0_sel:BYTE_0 src1_sel:DWORD
	v_and_b32_e32 v49, 1, v52
	v_mov_b32_e32 v52, 1
	v_cndmask_b32_e64 v53, 0, v55, s[4:5]
	v_and_b32_sdwa v52, v55, v52 dst_sel:DWORD dst_unused:UNUSED_PAD src0_sel:WORD_1 src1_sel:DWORD
	v_cmp_eq_u32_e64 s[4:5], 1, v49
	v_cndmask_b32_e64 v49, v52, 1, s[4:5]
	v_add_u16_e32 v54, v53, v48
	v_lshlrev_b32_e32 v52, 16, v49
	v_add_u16_e32 v48, v53, v48
	v_or_b32_e32 v53, v52, v48
	v_mov_b32_e32 v48, v54
	v_mov_b32_e32 v52, v49
.LBB1303_212:
	s_or_b64 exec, exec, s[52:53]
	v_and_b32_e32 v55, 16, v33
	v_mov_b32_dpp v54, v53 row_bcast:15 row_mask:0xf bank_mask:0xf
	v_cmp_ne_u32_e64 s[4:5], 0, v55
	s_and_saveexec_b64 s[52:53], s[4:5]
	s_cbranch_execz .LBB1303_214
; %bb.213:
	v_mov_b32_e32 v49, 0
	v_cmp_eq_u16_sdwa s[4:5], v52, v49 src0_sel:BYTE_0 src1_sel:DWORD
	v_and_b32_e32 v49, 1, v52
	v_mov_b32_e32 v52, 1
	v_cndmask_b32_e64 v53, 0, v54, s[4:5]
	v_and_b32_sdwa v52, v54, v52 dst_sel:DWORD dst_unused:UNUSED_PAD src0_sel:WORD_1 src1_sel:DWORD
	v_cmp_eq_u32_e64 s[4:5], 1, v49
	v_cndmask_b32_e64 v49, v52, 1, s[4:5]
	v_add_u16_e32 v55, v53, v48
	v_lshlrev_b32_e32 v52, 16, v49
	v_add_u16_e32 v48, v53, v48
	v_or_b32_e32 v53, v52, v48
	v_mov_b32_e32 v48, v55
	v_mov_b32_e32 v52, v49
.LBB1303_214:
	s_or_b64 exec, exec, s[52:53]
	v_mov_b32_dpp v53, v53 row_bcast:31 row_mask:0xf bank_mask:0xf
	v_cmp_lt_u32_e64 s[4:5], 31, v33
	s_and_saveexec_b64 s[52:53], s[4:5]
; %bb.215:
	v_mov_b32_e32 v49, 0
	v_cmp_eq_u16_sdwa s[4:5], v52, v49 src0_sel:BYTE_0 src1_sel:DWORD
	v_cndmask_b32_e64 v49, 0, v53, s[4:5]
	v_add_u16_e32 v48, v49, v48
	v_and_b32_e32 v49, 1, v52
	v_mov_b32_e32 v52, 1
	v_and_b32_sdwa v52, v53, v52 dst_sel:DWORD dst_unused:UNUSED_PAD src0_sel:WORD_1 src1_sel:DWORD
	v_cmp_eq_u32_e64 s[4:5], 1, v49
	v_cndmask_b32_e64 v49, v52, 1, s[4:5]
	v_mov_b32_e32 v52, v49
; %bb.216:
	s_or_b64 exec, exec, s[52:53]
	v_cmp_eq_u32_e64 s[4:5], 63, v0
	s_and_saveexec_b64 s[52:53], s[4:5]
	s_cbranch_execz .LBB1303_218
; %bb.217:
	v_mov_b32_e32 v53, 0
	ds_write_b16 v53, v48
	ds_write_b8 v53, v52 offset:2
.LBB1303_218:
	s_or_b64 exec, exec, s[52:53]
	v_and_b32_e32 v49, 0xff, v49
	v_and_b32_e32 v48, 0xffff, v48
	v_lshl_or_b32 v48, v49, 16, v48
	v_add_u32_e32 v49, -1, v33
	v_and_b32_e32 v52, 64, v33
	v_cmp_lt_i32_e64 s[4:5], v49, v52
	v_cndmask_b32_e64 v33, v49, v33, s[4:5]
	v_lshlrev_b32_e32 v33, 2, v33
	ds_bpermute_b32 v33, v33, v48
	s_waitcnt lgkmcnt(0)
	; wave barrier
	s_waitcnt lgkmcnt(0)
	s_and_saveexec_b64 s[52:53], s[56:57]
	s_cbranch_execz .LBB1303_220
; %bb.219:
	v_and_b32_e32 v22, 0xff0000, v1
	v_cmp_eq_u32_e64 s[4:5], 0, v22
	v_cndmask_b32_e64 v22, 0, v33, s[4:5]
	v_add_u32_e32 v1, v22, v1
	v_cndmask_b32_e32 v22, 0, v1, vcc
	v_add_u16_e32 v22, v22, v50
	v_cndmask_b32_e64 v23, 0, v22, s[6:7]
	v_add_u16_e32 v23, v23, v51
	v_cndmask_b32_e64 v24, 0, v23, s[8:9]
	v_add_u16_e32 v24, v24, v18
	v_cndmask_b32_e64 v18, 0, v24, s[10:11]
	v_add_u16_e32 v25, v18, v19
	v_cndmask_b32_e64 v18, 0, v25, s[12:13]
	v_add_u16_e32 v26, v18, v20
	v_cndmask_b32_e64 v18, 0, v26, s[14:15]
	v_add_u16_e32 v27, v18, v21
	v_cndmask_b32_e64 v18, 0, v27, s[16:17]
	v_add_u16_e32 v29, v18, v2
	v_cndmask_b32_e64 v2, 0, v29, s[18:19]
	v_add_u16_e32 v28, v2, v3
	v_cndmask_b32_e64 v2, 0, v28, s[20:21]
	v_add_u16_e32 v30, v2, v4
	v_cndmask_b32_e64 v2, 0, v30, s[22:23]
	v_add_u16_e32 v31, v2, v5
	v_cndmask_b32_e64 v2, 0, v31, s[24:25]
	v_add_u16_e32 v34, v2, v6
	v_cndmask_b32_e64 v2, 0, v34, s[26:27]
	v_add_u16_e32 v35, v2, v7
	v_cndmask_b32_e64 v2, 0, v35, s[28:29]
	v_add_u16_e32 v36, v2, v8
	v_cndmask_b32_e64 v2, 0, v36, s[30:31]
	v_add_u16_e32 v37, v2, v9
	v_cndmask_b32_e64 v2, 0, v37, s[34:35]
	v_add_u16_e32 v39, v2, v10
	v_cndmask_b32_e64 v2, 0, v39, s[36:37]
	v_add_u16_e32 v38, v2, v11
	v_cndmask_b32_e64 v2, 0, v38, s[38:39]
	v_add_u16_e32 v40, v2, v12
	v_cndmask_b32_e64 v2, 0, v40, s[40:41]
	v_add_u16_e32 v41, v2, v13
	v_cndmask_b32_e64 v2, 0, v41, s[42:43]
	v_add_u16_e32 v42, v2, v14
	v_cndmask_b32_e64 v2, 0, v42, s[44:45]
	v_add_u16_e32 v43, v2, v15
	v_cndmask_b32_e64 v2, 0, v43, s[46:47]
	v_add_u16_e32 v44, v2, v16
	v_cndmask_b32_e64 v2, 0, v44, s[48:49]
	v_add_u16_e32 v45, v2, v17
	v_cndmask_b32_e64 v2, 0, v45, s[50:51]
	v_mov_b32_e32 v47, 0
	v_add_u16_e32 v46, v2, v32
	;;#ASMSTART
	;;#ASMEND
.LBB1303_220:
	s_or_b64 exec, exec, s[52:53]
	s_and_saveexec_b64 s[4:5], s[0:1]
	s_cbranch_execz .LBB1303_222
; %bb.221:
	v_mov_b32_e32 v4, 0
	ds_read_u8 v2, v4 offset:2
	ds_read_u16 v3, v4
	s_waitcnt lgkmcnt(1)
	v_lshlrev_b32_e32 v2, 16, v2
	s_waitcnt lgkmcnt(0)
	v_or_b32_e32 v2, v2, v3
	v_mov_b32_e32 v3, 2
	global_store_dwordx2 v4, v[2:3], s[76:77] offset:512
.LBB1303_222:
	s_or_b64 exec, exec, s[4:5]
	v_lshl_or_b32 v47, v47, 16, v1
.LBB1303_223:
	s_add_u32 s0, s66, s58
	s_addc_u32 s1, s67, s59
	s_add_u32 s4, s0, s60
	s_addc_u32 s5, s1, s61
	s_and_b64 vcc, exec, s[2:3]
	v_mul_u32_u24_e32 v4, 24, v0
	s_cbranch_vccz .LBB1303_273
; %bb.224:
	s_add_i32 s33, s33, s78
	v_cmp_le_u32_e32 vcc, s33, v4
	v_or_b32_e32 v8, 1, v4
	v_or_b32_e32 v7, 2, v4
	;; [unrolled: 1-line block ×7, first 2 shown]
	s_and_saveexec_b64 s[0:1], vcc
	s_xor_b64 s[0:1], exec, s[0:1]
; %bb.225:
	v_or_b32_e32 v8, 1, v4
	v_or_b32_e32 v7, 2, v4
	;; [unrolled: 1-line block ×7, first 2 shown]
; %bb.226:
	s_andn2_saveexec_b64 s[0:1], s[0:1]
	s_or_b64 exec, exec, s[0:1]
	v_lshlrev_b32_e32 v49, 1, v4
	v_lshlrev_b32_e32 v8, 1, v8
	;; [unrolled: 1-line block ×4, first 2 shown]
	s_mov_b32 s0, 0x5040100
	s_waitcnt lgkmcnt(0)
	; wave barrier
	ds_write_b16 v49, v47
	ds_write_b16 v8, v22
	ds_write_b16 v7, v23
	ds_write_b16 v6, v24
	v_lshlrev_b32_e32 v5, 1, v5
	v_lshlrev_b32_e32 v3, 1, v3
	;; [unrolled: 1-line block ×4, first 2 shown]
	v_perm_b32 v9, v39, v37, s0
	v_perm_b32 v8, v36, v35, s0
	;; [unrolled: 1-line block ×4, first 2 shown]
	ds_write_b16 v5, v25
	ds_write_b16 v3, v26
	;; [unrolled: 1-line block ×4, first 2 shown]
	ds_write_b128 v49, v[6:9] offset:16
	v_perm_b32 v9, v46, v45, s0
	v_perm_b32 v8, v44, v43, s0
	;; [unrolled: 1-line block ×4, first 2 shown]
	s_movk_i32 s0, 0xffd2
	v_mad_i32_i24 v2, v0, s0, v49
	ds_write_b128 v49, v[6:9] offset:32
	s_waitcnt lgkmcnt(0)
	; wave barrier
	s_waitcnt lgkmcnt(0)
	ds_read_u16 v52, v2 offset:128
	ds_read_u16 v51, v2 offset:256
	;; [unrolled: 1-line block ×23, first 2 shown]
	v_lshlrev_b32_e32 v2, 1, v0
	v_mov_b32_e32 v3, s5
	v_add_co_u32_e32 v2, vcc, s4, v2
	v_addc_co_u32_e32 v3, vcc, 0, v3, vcc
	v_mov_b32_e32 v1, 0
	v_cmp_gt_u32_e32 vcc, s33, v0
	s_and_saveexec_b64 s[0:1], vcc
	s_cbranch_execz .LBB1303_228
; %bb.227:
	v_mul_i32_i24_e32 v53, 0xffffffd2, v0
	v_add_u32_e32 v49, v49, v53
	ds_read_u16 v49, v49
	s_waitcnt lgkmcnt(0)
	flat_store_short v[2:3], v49
.LBB1303_228:
	s_or_b64 exec, exec, s[0:1]
	v_or_b32_e32 v49, 64, v0
	v_cmp_gt_u32_e32 vcc, s33, v49
	s_and_saveexec_b64 s[0:1], vcc
	s_cbranch_execz .LBB1303_230
; %bb.229:
	s_waitcnt lgkmcnt(0)
	flat_store_short v[2:3], v52 offset:128
.LBB1303_230:
	s_or_b64 exec, exec, s[0:1]
	v_or_b32_e32 v49, 0x80, v0
	v_cmp_gt_u32_e32 vcc, s33, v49
	s_and_saveexec_b64 s[0:1], vcc
	s_cbranch_execz .LBB1303_232
; %bb.231:
	s_waitcnt lgkmcnt(0)
	flat_store_short v[2:3], v51 offset:256
.LBB1303_232:
	s_or_b64 exec, exec, s[0:1]
	v_or_b32_e32 v49, 0xc0, v0
	v_cmp_gt_u32_e32 vcc, s33, v49
	s_and_saveexec_b64 s[0:1], vcc
	s_cbranch_execz .LBB1303_234
; %bb.233:
	s_waitcnt lgkmcnt(0)
	flat_store_short v[2:3], v50 offset:384
.LBB1303_234:
	s_or_b64 exec, exec, s[0:1]
	v_or_b32_e32 v49, 0x100, v0
	v_cmp_gt_u32_e32 vcc, s33, v49
	s_and_saveexec_b64 s[0:1], vcc
	s_cbranch_execz .LBB1303_236
; %bb.235:
	s_waitcnt lgkmcnt(0)
	flat_store_short v[2:3], v48 offset:512
.LBB1303_236:
	s_or_b64 exec, exec, s[0:1]
	s_waitcnt lgkmcnt(0)
	v_or_b32_e32 v48, 0x140, v0
	v_cmp_gt_u32_e32 vcc, s33, v48
	s_and_saveexec_b64 s[0:1], vcc
	s_cbranch_execz .LBB1303_238
; %bb.237:
	flat_store_short v[2:3], v33 offset:640
.LBB1303_238:
	s_or_b64 exec, exec, s[0:1]
	v_or_b32_e32 v33, 0x180, v0
	v_cmp_gt_u32_e32 vcc, s33, v33
	s_and_saveexec_b64 s[0:1], vcc
	s_cbranch_execz .LBB1303_240
; %bb.239:
	flat_store_short v[2:3], v32 offset:768
.LBB1303_240:
	s_or_b64 exec, exec, s[0:1]
	v_or_b32_e32 v32, 0x1c0, v0
	v_cmp_gt_u32_e32 vcc, s33, v32
	s_and_saveexec_b64 s[0:1], vcc
	s_cbranch_execz .LBB1303_242
; %bb.241:
	flat_store_short v[2:3], v21 offset:896
.LBB1303_242:
	s_or_b64 exec, exec, s[0:1]
	v_or_b32_e32 v21, 0x200, v0
	v_cmp_gt_u32_e32 vcc, s33, v21
	s_and_saveexec_b64 s[0:1], vcc
	s_cbranch_execz .LBB1303_244
; %bb.243:
	flat_store_short v[2:3], v20 offset:1024
.LBB1303_244:
	s_or_b64 exec, exec, s[0:1]
	v_or_b32_e32 v20, 0x240, v0
	v_cmp_gt_u32_e32 vcc, s33, v20
	s_and_saveexec_b64 s[0:1], vcc
	s_cbranch_execz .LBB1303_246
; %bb.245:
	flat_store_short v[2:3], v19 offset:1152
.LBB1303_246:
	s_or_b64 exec, exec, s[0:1]
	v_or_b32_e32 v19, 0x280, v0
	v_cmp_gt_u32_e32 vcc, s33, v19
	s_and_saveexec_b64 s[0:1], vcc
	s_cbranch_execz .LBB1303_248
; %bb.247:
	flat_store_short v[2:3], v18 offset:1280
.LBB1303_248:
	s_or_b64 exec, exec, s[0:1]
	v_or_b32_e32 v18, 0x2c0, v0
	v_cmp_gt_u32_e32 vcc, s33, v18
	s_and_saveexec_b64 s[0:1], vcc
	s_cbranch_execz .LBB1303_250
; %bb.249:
	flat_store_short v[2:3], v17 offset:1408
.LBB1303_250:
	s_or_b64 exec, exec, s[0:1]
	v_or_b32_e32 v17, 0x300, v0
	v_cmp_gt_u32_e32 vcc, s33, v17
	s_and_saveexec_b64 s[0:1], vcc
	s_cbranch_execz .LBB1303_252
; %bb.251:
	flat_store_short v[2:3], v16 offset:1536
.LBB1303_252:
	s_or_b64 exec, exec, s[0:1]
	v_or_b32_e32 v16, 0x340, v0
	v_cmp_gt_u32_e32 vcc, s33, v16
	s_and_saveexec_b64 s[0:1], vcc
	s_cbranch_execz .LBB1303_254
; %bb.253:
	flat_store_short v[2:3], v15 offset:1664
.LBB1303_254:
	s_or_b64 exec, exec, s[0:1]
	v_or_b32_e32 v15, 0x380, v0
	v_cmp_gt_u32_e32 vcc, s33, v15
	s_and_saveexec_b64 s[0:1], vcc
	s_cbranch_execz .LBB1303_256
; %bb.255:
	flat_store_short v[2:3], v14 offset:1792
.LBB1303_256:
	s_or_b64 exec, exec, s[0:1]
	v_or_b32_e32 v14, 0x3c0, v0
	v_cmp_gt_u32_e32 vcc, s33, v14
	s_and_saveexec_b64 s[0:1], vcc
	s_cbranch_execz .LBB1303_258
; %bb.257:
	flat_store_short v[2:3], v13 offset:1920
.LBB1303_258:
	s_or_b64 exec, exec, s[0:1]
	v_or_b32_e32 v13, 0x400, v0
	v_cmp_gt_u32_e32 vcc, s33, v13
	s_and_saveexec_b64 s[0:1], vcc
	s_cbranch_execz .LBB1303_260
; %bb.259:
	flat_store_short v[2:3], v12 offset:2048
.LBB1303_260:
	s_or_b64 exec, exec, s[0:1]
	v_or_b32_e32 v12, 0x440, v0
	v_cmp_gt_u32_e32 vcc, s33, v12
	s_and_saveexec_b64 s[0:1], vcc
	s_cbranch_execz .LBB1303_262
; %bb.261:
	flat_store_short v[2:3], v11 offset:2176
.LBB1303_262:
	s_or_b64 exec, exec, s[0:1]
	v_or_b32_e32 v11, 0x480, v0
	v_cmp_gt_u32_e32 vcc, s33, v11
	s_and_saveexec_b64 s[0:1], vcc
	s_cbranch_execz .LBB1303_264
; %bb.263:
	flat_store_short v[2:3], v10 offset:2304
.LBB1303_264:
	s_or_b64 exec, exec, s[0:1]
	v_or_b32_e32 v10, 0x4c0, v0
	v_cmp_gt_u32_e32 vcc, s33, v10
	s_and_saveexec_b64 s[0:1], vcc
	s_cbranch_execz .LBB1303_266
; %bb.265:
	flat_store_short v[2:3], v9 offset:2432
.LBB1303_266:
	s_or_b64 exec, exec, s[0:1]
	v_or_b32_e32 v9, 0x500, v0
	v_cmp_gt_u32_e32 vcc, s33, v9
	s_and_saveexec_b64 s[0:1], vcc
	s_cbranch_execz .LBB1303_268
; %bb.267:
	flat_store_short v[2:3], v8 offset:2560
.LBB1303_268:
	s_or_b64 exec, exec, s[0:1]
	v_or_b32_e32 v8, 0x540, v0
	v_cmp_gt_u32_e32 vcc, s33, v8
	s_and_saveexec_b64 s[0:1], vcc
	s_cbranch_execz .LBB1303_270
; %bb.269:
	flat_store_short v[2:3], v7 offset:2688
.LBB1303_270:
	s_or_b64 exec, exec, s[0:1]
	v_or_b32_e32 v7, 0x580, v0
	v_cmp_gt_u32_e32 vcc, s33, v7
	s_and_saveexec_b64 s[0:1], vcc
	s_cbranch_execz .LBB1303_272
; %bb.271:
	flat_store_short v[2:3], v6 offset:2816
.LBB1303_272:
	s_or_b64 exec, exec, s[0:1]
	v_or_b32_e32 v2, 0x5c0, v0
	v_cmp_gt_u32_e64 s[0:1], s33, v2
	s_branch .LBB1303_275
.LBB1303_273:
	s_mov_b64 s[0:1], 0
                                        ; implicit-def: $vgpr5
	s_cbranch_execz .LBB1303_275
; %bb.274:
	s_mov_b32 s2, 0x5040100
	v_lshlrev_b32_e32 v6, 1, v4
	v_perm_b32 v5, v29, v27, s2
	v_perm_b32 v4, v26, v25, s2
	;; [unrolled: 1-line block ×4, first 2 shown]
	s_waitcnt lgkmcnt(0)
	; wave barrier
	s_waitcnt lgkmcnt(0)
	ds_write_b128 v6, v[2:5]
	v_perm_b32 v5, v39, v37, s2
	v_perm_b32 v4, v36, v35, s2
	;; [unrolled: 1-line block ×4, first 2 shown]
	ds_write_b128 v6, v[2:5] offset:16
	v_perm_b32 v4, v44, v43, s2
	v_perm_b32 v3, v42, v41, s2
	;; [unrolled: 1-line block ×4, first 2 shown]
	s_movk_i32 s2, 0xffd2
	ds_write_b128 v6, v[2:5] offset:32
	v_mad_i32_i24 v2, v0, s2, v6
	s_waitcnt lgkmcnt(0)
	; wave barrier
	s_waitcnt lgkmcnt(0)
	ds_read_u16 v4, v2
	ds_read_u16 v6, v2 offset:128
	ds_read_u16 v7, v2 offset:256
	;; [unrolled: 1-line block ×23, first 2 shown]
	v_lshlrev_b32_e32 v2, 1, v0
	v_mov_b32_e32 v3, s5
	v_add_co_u32_e32 v2, vcc, s4, v2
	v_mov_b32_e32 v1, 0
	v_addc_co_u32_e32 v3, vcc, 0, v3, vcc
	s_or_b64 s[0:1], s[0:1], exec
	s_waitcnt lgkmcnt(0)
	flat_store_short v[2:3], v4
	flat_store_short v[2:3], v6 offset:128
	flat_store_short v[2:3], v7 offset:256
	;; [unrolled: 1-line block ×22, first 2 shown]
.LBB1303_275:
	s_and_saveexec_b64 s[2:3], s[0:1]
	s_cbranch_execnz .LBB1303_277
; %bb.276:
	s_endpgm
.LBB1303_277:
	v_lshlrev_b64 v[0:1], 1, v[0:1]
	v_mov_b32_e32 v2, s5
	v_add_co_u32_e32 v0, vcc, s4, v0
	v_addc_co_u32_e32 v1, vcc, v2, v1, vcc
	flat_store_short v[0:1], v5 offset:2944
	s_endpgm
.LBB1303_278:
	v_lshlrev_b32_e32 v2, 1, v0
	v_mov_b32_e32 v3, s85
	v_add_co_u32_e32 v2, vcc, s84, v2
	v_addc_co_u32_e32 v3, vcc, 0, v3, vcc
	flat_load_ushort v2, v[2:3]
	s_or_b64 exec, exec, s[4:5]
                                        ; implicit-def: $vgpr3
	s_and_saveexec_b64 s[4:5], s[8:9]
	s_cbranch_execz .LBB1303_61
.LBB1303_279:
	v_lshlrev_b32_e32 v3, 1, v0
	v_mov_b32_e32 v5, s85
	v_add_co_u32_e32 v4, vcc, s84, v3
	v_addc_co_u32_e32 v5, vcc, 0, v5, vcc
	flat_load_ushort v3, v[4:5] offset:128
	s_or_b64 exec, exec, s[4:5]
                                        ; implicit-def: $vgpr4
	s_and_saveexec_b64 s[4:5], s[10:11]
	s_cbranch_execz .LBB1303_62
.LBB1303_280:
	v_lshlrev_b32_e32 v4, 1, v0
	v_mov_b32_e32 v5, s85
	v_add_co_u32_e32 v4, vcc, s84, v4
	v_addc_co_u32_e32 v5, vcc, 0, v5, vcc
	flat_load_ushort v4, v[4:5] offset:256
	s_or_b64 exec, exec, s[4:5]
                                        ; implicit-def: $vgpr5
	s_and_saveexec_b64 s[4:5], s[12:13]
	s_cbranch_execz .LBB1303_63
.LBB1303_281:
	v_lshlrev_b32_e32 v5, 1, v0
	v_mov_b32_e32 v7, s85
	v_add_co_u32_e32 v6, vcc, s84, v5
	v_addc_co_u32_e32 v7, vcc, 0, v7, vcc
	flat_load_ushort v5, v[6:7] offset:384
	s_or_b64 exec, exec, s[4:5]
                                        ; implicit-def: $vgpr6
	s_and_saveexec_b64 s[4:5], s[14:15]
	s_cbranch_execz .LBB1303_64
.LBB1303_282:
	v_lshlrev_b32_e32 v6, 1, v0
	v_mov_b32_e32 v7, s85
	v_add_co_u32_e32 v6, vcc, s84, v6
	v_addc_co_u32_e32 v7, vcc, 0, v7, vcc
	flat_load_ushort v6, v[6:7] offset:512
	s_or_b64 exec, exec, s[4:5]
                                        ; implicit-def: $vgpr7
	s_and_saveexec_b64 s[4:5], s[16:17]
	s_cbranch_execz .LBB1303_65
.LBB1303_283:
	v_lshlrev_b32_e32 v7, 1, v0
	v_mov_b32_e32 v9, s85
	v_add_co_u32_e32 v8, vcc, s84, v7
	v_addc_co_u32_e32 v9, vcc, 0, v9, vcc
	flat_load_ushort v7, v[8:9] offset:640
	s_or_b64 exec, exec, s[4:5]
                                        ; implicit-def: $vgpr8
	s_and_saveexec_b64 s[4:5], s[18:19]
	s_cbranch_execz .LBB1303_66
.LBB1303_284:
	v_lshlrev_b32_e32 v8, 1, v0
	v_mov_b32_e32 v9, s85
	v_add_co_u32_e32 v8, vcc, s84, v8
	v_addc_co_u32_e32 v9, vcc, 0, v9, vcc
	flat_load_ushort v8, v[8:9] offset:768
	s_or_b64 exec, exec, s[4:5]
                                        ; implicit-def: $vgpr9
	s_and_saveexec_b64 s[4:5], s[20:21]
	s_cbranch_execz .LBB1303_67
.LBB1303_285:
	v_lshlrev_b32_e32 v9, 1, v0
	v_mov_b32_e32 v11, s85
	v_add_co_u32_e32 v10, vcc, s84, v9
	v_addc_co_u32_e32 v11, vcc, 0, v11, vcc
	flat_load_ushort v9, v[10:11] offset:896
	s_or_b64 exec, exec, s[4:5]
                                        ; implicit-def: $vgpr10
	s_and_saveexec_b64 s[4:5], s[22:23]
	s_cbranch_execz .LBB1303_68
.LBB1303_286:
	v_lshlrev_b32_e32 v10, 1, v0
	v_mov_b32_e32 v11, s85
	v_add_co_u32_e32 v10, vcc, s84, v10
	v_addc_co_u32_e32 v11, vcc, 0, v11, vcc
	flat_load_ushort v10, v[10:11] offset:1024
	s_or_b64 exec, exec, s[4:5]
                                        ; implicit-def: $vgpr11
	s_and_saveexec_b64 s[4:5], s[24:25]
	s_cbranch_execz .LBB1303_69
.LBB1303_287:
	v_lshlrev_b32_e32 v11, 1, v0
	v_mov_b32_e32 v13, s85
	v_add_co_u32_e32 v12, vcc, s84, v11
	v_addc_co_u32_e32 v13, vcc, 0, v13, vcc
	flat_load_ushort v11, v[12:13] offset:1152
	s_or_b64 exec, exec, s[4:5]
                                        ; implicit-def: $vgpr12
	s_and_saveexec_b64 s[4:5], s[26:27]
	s_cbranch_execz .LBB1303_70
.LBB1303_288:
	v_lshlrev_b32_e32 v12, 1, v0
	v_mov_b32_e32 v13, s85
	v_add_co_u32_e32 v12, vcc, s84, v12
	v_addc_co_u32_e32 v13, vcc, 0, v13, vcc
	flat_load_ushort v12, v[12:13] offset:1280
	s_or_b64 exec, exec, s[4:5]
                                        ; implicit-def: $vgpr13
	s_and_saveexec_b64 s[4:5], s[28:29]
	s_cbranch_execz .LBB1303_71
.LBB1303_289:
	v_lshlrev_b32_e32 v13, 1, v0
	v_mov_b32_e32 v15, s85
	v_add_co_u32_e32 v14, vcc, s84, v13
	v_addc_co_u32_e32 v15, vcc, 0, v15, vcc
	flat_load_ushort v13, v[14:15] offset:1408
	s_or_b64 exec, exec, s[4:5]
                                        ; implicit-def: $vgpr14
	s_and_saveexec_b64 s[4:5], s[30:31]
	s_cbranch_execz .LBB1303_72
.LBB1303_290:
	v_lshlrev_b32_e32 v14, 1, v0
	v_mov_b32_e32 v15, s85
	v_add_co_u32_e32 v14, vcc, s84, v14
	v_addc_co_u32_e32 v15, vcc, 0, v15, vcc
	flat_load_ushort v14, v[14:15] offset:1536
	s_or_b64 exec, exec, s[4:5]
                                        ; implicit-def: $vgpr15
	s_and_saveexec_b64 s[4:5], s[34:35]
	s_cbranch_execz .LBB1303_73
.LBB1303_291:
	v_lshlrev_b32_e32 v15, 1, v0
	v_mov_b32_e32 v17, s85
	v_add_co_u32_e32 v16, vcc, s84, v15
	v_addc_co_u32_e32 v17, vcc, 0, v17, vcc
	flat_load_ushort v15, v[16:17] offset:1664
	s_or_b64 exec, exec, s[4:5]
                                        ; implicit-def: $vgpr16
	s_and_saveexec_b64 s[4:5], s[36:37]
	s_cbranch_execz .LBB1303_74
.LBB1303_292:
	v_lshlrev_b32_e32 v16, 1, v0
	v_mov_b32_e32 v17, s85
	v_add_co_u32_e32 v16, vcc, s84, v16
	v_addc_co_u32_e32 v17, vcc, 0, v17, vcc
	flat_load_ushort v16, v[16:17] offset:1792
	s_or_b64 exec, exec, s[4:5]
                                        ; implicit-def: $vgpr17
	s_and_saveexec_b64 s[4:5], s[38:39]
	s_cbranch_execz .LBB1303_75
.LBB1303_293:
	v_lshlrev_b32_e32 v17, 1, v0
	v_mov_b32_e32 v19, s85
	v_add_co_u32_e32 v18, vcc, s84, v17
	v_addc_co_u32_e32 v19, vcc, 0, v19, vcc
	flat_load_ushort v17, v[18:19] offset:1920
	s_or_b64 exec, exec, s[4:5]
                                        ; implicit-def: $vgpr18
	s_and_saveexec_b64 s[4:5], s[40:41]
	s_cbranch_execz .LBB1303_76
.LBB1303_294:
	v_lshlrev_b32_e32 v18, 1, v0
	v_mov_b32_e32 v19, s85
	v_add_co_u32_e32 v18, vcc, s84, v18
	v_addc_co_u32_e32 v19, vcc, 0, v19, vcc
	flat_load_ushort v18, v[18:19] offset:2048
	s_or_b64 exec, exec, s[4:5]
                                        ; implicit-def: $vgpr19
	s_and_saveexec_b64 s[4:5], s[42:43]
	s_cbranch_execz .LBB1303_77
.LBB1303_295:
	v_lshlrev_b32_e32 v19, 1, v0
	v_mov_b32_e32 v21, s85
	v_add_co_u32_e32 v20, vcc, s84, v19
	v_addc_co_u32_e32 v21, vcc, 0, v21, vcc
	flat_load_ushort v19, v[20:21] offset:2176
	s_or_b64 exec, exec, s[4:5]
                                        ; implicit-def: $vgpr20
	s_and_saveexec_b64 s[4:5], s[44:45]
	s_cbranch_execz .LBB1303_78
.LBB1303_296:
	v_lshlrev_b32_e32 v20, 1, v0
	v_mov_b32_e32 v21, s85
	v_add_co_u32_e32 v20, vcc, s84, v20
	v_addc_co_u32_e32 v21, vcc, 0, v21, vcc
	flat_load_ushort v20, v[20:21] offset:2304
	s_or_b64 exec, exec, s[4:5]
                                        ; implicit-def: $vgpr21
	s_and_saveexec_b64 s[4:5], s[46:47]
	s_cbranch_execz .LBB1303_79
.LBB1303_297:
	v_lshlrev_b32_e32 v21, 1, v0
	v_mov_b32_e32 v47, s85
	v_add_co_u32_e32 v48, vcc, s84, v21
	v_addc_co_u32_e32 v49, vcc, 0, v47, vcc
	flat_load_ushort v21, v[48:49] offset:2432
	s_or_b64 exec, exec, s[4:5]
                                        ; implicit-def: $vgpr48
	s_and_saveexec_b64 s[4:5], s[48:49]
	s_cbranch_execz .LBB1303_80
.LBB1303_298:
	v_lshlrev_b32_e32 v47, 1, v0
	v_mov_b32_e32 v49, s85
	v_add_co_u32_e32 v48, vcc, s84, v47
	v_addc_co_u32_e32 v49, vcc, 0, v49, vcc
	flat_load_ushort v48, v[48:49] offset:2560
	s_or_b64 exec, exec, s[4:5]
                                        ; implicit-def: $vgpr49
	s_and_saveexec_b64 s[4:5], s[50:51]
	s_cbranch_execz .LBB1303_81
.LBB1303_299:
	v_lshlrev_b32_e32 v47, 1, v0
	v_mov_b32_e32 v49, s85
	v_add_co_u32_e32 v50, vcc, s84, v47
	v_addc_co_u32_e32 v51, vcc, 0, v49, vcc
	flat_load_ushort v49, v[50:51] offset:2688
	s_or_b64 exec, exec, s[4:5]
                                        ; implicit-def: $vgpr50
	s_and_saveexec_b64 s[4:5], s[52:53]
	s_cbranch_execz .LBB1303_82
.LBB1303_300:
	v_lshlrev_b32_e32 v47, 1, v0
	v_mov_b32_e32 v51, s85
	v_add_co_u32_e32 v50, vcc, s84, v47
	v_addc_co_u32_e32 v51, vcc, 0, v51, vcc
	flat_load_ushort v50, v[50:51] offset:2816
	s_or_b64 exec, exec, s[4:5]
                                        ; implicit-def: $vgpr51
	s_and_saveexec_b64 s[4:5], s[54:55]
	s_cbranch_execnz .LBB1303_83
	s_branch .LBB1303_84
.LBB1303_301:
                                        ; implicit-def: $sgpr4_sgpr5
	s_branch .LBB1303_56
.LBB1303_302:
                                        ; implicit-def: $sgpr4_sgpr5
	s_branch .LBB1303_135
	.section	.rodata,"a",@progbits
	.p2align	6, 0x0
	.amdhsa_kernel _ZN7rocprim17ROCPRIM_400000_NS6detail17trampoline_kernelINS0_14default_configENS1_27scan_by_key_config_selectorIitEEZZNS1_16scan_by_key_implILNS1_25lookback_scan_determinismE0ELb0ES3_N6thrust23THRUST_200600_302600_NS6detail15normal_iteratorINS9_10device_ptrIiEEEENSB_INSC_ItEEEESG_tNS9_4plusIvEENS9_8equal_toIvEEtEE10hipError_tPvRmT2_T3_T4_T5_mT6_T7_P12ihipStream_tbENKUlT_T0_E_clISt17integral_constantIbLb0EES10_IbLb1EEEEDaSW_SX_EUlSW_E_NS1_11comp_targetILNS1_3genE4ELNS1_11target_archE910ELNS1_3gpuE8ELNS1_3repE0EEENS1_30default_config_static_selectorELNS0_4arch9wavefront6targetE1EEEvT1_
		.amdhsa_group_segment_fixed_size 6656
		.amdhsa_private_segment_fixed_size 0
		.amdhsa_kernarg_size 112
		.amdhsa_user_sgpr_count 6
		.amdhsa_user_sgpr_private_segment_buffer 1
		.amdhsa_user_sgpr_dispatch_ptr 0
		.amdhsa_user_sgpr_queue_ptr 0
		.amdhsa_user_sgpr_kernarg_segment_ptr 1
		.amdhsa_user_sgpr_dispatch_id 0
		.amdhsa_user_sgpr_flat_scratch_init 0
		.amdhsa_user_sgpr_kernarg_preload_length 0
		.amdhsa_user_sgpr_kernarg_preload_offset 0
		.amdhsa_user_sgpr_private_segment_size 0
		.amdhsa_uses_dynamic_stack 0
		.amdhsa_system_sgpr_private_segment_wavefront_offset 0
		.amdhsa_system_sgpr_workgroup_id_x 1
		.amdhsa_system_sgpr_workgroup_id_y 0
		.amdhsa_system_sgpr_workgroup_id_z 0
		.amdhsa_system_sgpr_workgroup_info 0
		.amdhsa_system_vgpr_workitem_id 0
		.amdhsa_next_free_vgpr 58
		.amdhsa_next_free_sgpr 87
		.amdhsa_accum_offset 60
		.amdhsa_reserve_vcc 1
		.amdhsa_reserve_flat_scratch 0
		.amdhsa_float_round_mode_32 0
		.amdhsa_float_round_mode_16_64 0
		.amdhsa_float_denorm_mode_32 3
		.amdhsa_float_denorm_mode_16_64 3
		.amdhsa_dx10_clamp 1
		.amdhsa_ieee_mode 1
		.amdhsa_fp16_overflow 0
		.amdhsa_tg_split 0
		.amdhsa_exception_fp_ieee_invalid_op 0
		.amdhsa_exception_fp_denorm_src 0
		.amdhsa_exception_fp_ieee_div_zero 0
		.amdhsa_exception_fp_ieee_overflow 0
		.amdhsa_exception_fp_ieee_underflow 0
		.amdhsa_exception_fp_ieee_inexact 0
		.amdhsa_exception_int_div_zero 0
	.end_amdhsa_kernel
	.section	.text._ZN7rocprim17ROCPRIM_400000_NS6detail17trampoline_kernelINS0_14default_configENS1_27scan_by_key_config_selectorIitEEZZNS1_16scan_by_key_implILNS1_25lookback_scan_determinismE0ELb0ES3_N6thrust23THRUST_200600_302600_NS6detail15normal_iteratorINS9_10device_ptrIiEEEENSB_INSC_ItEEEESG_tNS9_4plusIvEENS9_8equal_toIvEEtEE10hipError_tPvRmT2_T3_T4_T5_mT6_T7_P12ihipStream_tbENKUlT_T0_E_clISt17integral_constantIbLb0EES10_IbLb1EEEEDaSW_SX_EUlSW_E_NS1_11comp_targetILNS1_3genE4ELNS1_11target_archE910ELNS1_3gpuE8ELNS1_3repE0EEENS1_30default_config_static_selectorELNS0_4arch9wavefront6targetE1EEEvT1_,"axG",@progbits,_ZN7rocprim17ROCPRIM_400000_NS6detail17trampoline_kernelINS0_14default_configENS1_27scan_by_key_config_selectorIitEEZZNS1_16scan_by_key_implILNS1_25lookback_scan_determinismE0ELb0ES3_N6thrust23THRUST_200600_302600_NS6detail15normal_iteratorINS9_10device_ptrIiEEEENSB_INSC_ItEEEESG_tNS9_4plusIvEENS9_8equal_toIvEEtEE10hipError_tPvRmT2_T3_T4_T5_mT6_T7_P12ihipStream_tbENKUlT_T0_E_clISt17integral_constantIbLb0EES10_IbLb1EEEEDaSW_SX_EUlSW_E_NS1_11comp_targetILNS1_3genE4ELNS1_11target_archE910ELNS1_3gpuE8ELNS1_3repE0EEENS1_30default_config_static_selectorELNS0_4arch9wavefront6targetE1EEEvT1_,comdat
.Lfunc_end1303:
	.size	_ZN7rocprim17ROCPRIM_400000_NS6detail17trampoline_kernelINS0_14default_configENS1_27scan_by_key_config_selectorIitEEZZNS1_16scan_by_key_implILNS1_25lookback_scan_determinismE0ELb0ES3_N6thrust23THRUST_200600_302600_NS6detail15normal_iteratorINS9_10device_ptrIiEEEENSB_INSC_ItEEEESG_tNS9_4plusIvEENS9_8equal_toIvEEtEE10hipError_tPvRmT2_T3_T4_T5_mT6_T7_P12ihipStream_tbENKUlT_T0_E_clISt17integral_constantIbLb0EES10_IbLb1EEEEDaSW_SX_EUlSW_E_NS1_11comp_targetILNS1_3genE4ELNS1_11target_archE910ELNS1_3gpuE8ELNS1_3repE0EEENS1_30default_config_static_selectorELNS0_4arch9wavefront6targetE1EEEvT1_, .Lfunc_end1303-_ZN7rocprim17ROCPRIM_400000_NS6detail17trampoline_kernelINS0_14default_configENS1_27scan_by_key_config_selectorIitEEZZNS1_16scan_by_key_implILNS1_25lookback_scan_determinismE0ELb0ES3_N6thrust23THRUST_200600_302600_NS6detail15normal_iteratorINS9_10device_ptrIiEEEENSB_INSC_ItEEEESG_tNS9_4plusIvEENS9_8equal_toIvEEtEE10hipError_tPvRmT2_T3_T4_T5_mT6_T7_P12ihipStream_tbENKUlT_T0_E_clISt17integral_constantIbLb0EES10_IbLb1EEEEDaSW_SX_EUlSW_E_NS1_11comp_targetILNS1_3genE4ELNS1_11target_archE910ELNS1_3gpuE8ELNS1_3repE0EEENS1_30default_config_static_selectorELNS0_4arch9wavefront6targetE1EEEvT1_
                                        ; -- End function
	.section	.AMDGPU.csdata,"",@progbits
; Kernel info:
; codeLenInByte = 15256
; NumSgprs: 91
; NumVgprs: 58
; NumAgprs: 0
; TotalNumVgprs: 58
; ScratchSize: 0
; MemoryBound: 0
; FloatMode: 240
; IeeeMode: 1
; LDSByteSize: 6656 bytes/workgroup (compile time only)
; SGPRBlocks: 11
; VGPRBlocks: 7
; NumSGPRsForWavesPerEU: 91
; NumVGPRsForWavesPerEU: 58
; AccumOffset: 60
; Occupancy: 3
; WaveLimiterHint : 1
; COMPUTE_PGM_RSRC2:SCRATCH_EN: 0
; COMPUTE_PGM_RSRC2:USER_SGPR: 6
; COMPUTE_PGM_RSRC2:TRAP_HANDLER: 0
; COMPUTE_PGM_RSRC2:TGID_X_EN: 1
; COMPUTE_PGM_RSRC2:TGID_Y_EN: 0
; COMPUTE_PGM_RSRC2:TGID_Z_EN: 0
; COMPUTE_PGM_RSRC2:TIDIG_COMP_CNT: 0
; COMPUTE_PGM_RSRC3_GFX90A:ACCUM_OFFSET: 14
; COMPUTE_PGM_RSRC3_GFX90A:TG_SPLIT: 0
	.section	.text._ZN7rocprim17ROCPRIM_400000_NS6detail17trampoline_kernelINS0_14default_configENS1_27scan_by_key_config_selectorIitEEZZNS1_16scan_by_key_implILNS1_25lookback_scan_determinismE0ELb0ES3_N6thrust23THRUST_200600_302600_NS6detail15normal_iteratorINS9_10device_ptrIiEEEENSB_INSC_ItEEEESG_tNS9_4plusIvEENS9_8equal_toIvEEtEE10hipError_tPvRmT2_T3_T4_T5_mT6_T7_P12ihipStream_tbENKUlT_T0_E_clISt17integral_constantIbLb0EES10_IbLb1EEEEDaSW_SX_EUlSW_E_NS1_11comp_targetILNS1_3genE3ELNS1_11target_archE908ELNS1_3gpuE7ELNS1_3repE0EEENS1_30default_config_static_selectorELNS0_4arch9wavefront6targetE1EEEvT1_,"axG",@progbits,_ZN7rocprim17ROCPRIM_400000_NS6detail17trampoline_kernelINS0_14default_configENS1_27scan_by_key_config_selectorIitEEZZNS1_16scan_by_key_implILNS1_25lookback_scan_determinismE0ELb0ES3_N6thrust23THRUST_200600_302600_NS6detail15normal_iteratorINS9_10device_ptrIiEEEENSB_INSC_ItEEEESG_tNS9_4plusIvEENS9_8equal_toIvEEtEE10hipError_tPvRmT2_T3_T4_T5_mT6_T7_P12ihipStream_tbENKUlT_T0_E_clISt17integral_constantIbLb0EES10_IbLb1EEEEDaSW_SX_EUlSW_E_NS1_11comp_targetILNS1_3genE3ELNS1_11target_archE908ELNS1_3gpuE7ELNS1_3repE0EEENS1_30default_config_static_selectorELNS0_4arch9wavefront6targetE1EEEvT1_,comdat
	.protected	_ZN7rocprim17ROCPRIM_400000_NS6detail17trampoline_kernelINS0_14default_configENS1_27scan_by_key_config_selectorIitEEZZNS1_16scan_by_key_implILNS1_25lookback_scan_determinismE0ELb0ES3_N6thrust23THRUST_200600_302600_NS6detail15normal_iteratorINS9_10device_ptrIiEEEENSB_INSC_ItEEEESG_tNS9_4plusIvEENS9_8equal_toIvEEtEE10hipError_tPvRmT2_T3_T4_T5_mT6_T7_P12ihipStream_tbENKUlT_T0_E_clISt17integral_constantIbLb0EES10_IbLb1EEEEDaSW_SX_EUlSW_E_NS1_11comp_targetILNS1_3genE3ELNS1_11target_archE908ELNS1_3gpuE7ELNS1_3repE0EEENS1_30default_config_static_selectorELNS0_4arch9wavefront6targetE1EEEvT1_ ; -- Begin function _ZN7rocprim17ROCPRIM_400000_NS6detail17trampoline_kernelINS0_14default_configENS1_27scan_by_key_config_selectorIitEEZZNS1_16scan_by_key_implILNS1_25lookback_scan_determinismE0ELb0ES3_N6thrust23THRUST_200600_302600_NS6detail15normal_iteratorINS9_10device_ptrIiEEEENSB_INSC_ItEEEESG_tNS9_4plusIvEENS9_8equal_toIvEEtEE10hipError_tPvRmT2_T3_T4_T5_mT6_T7_P12ihipStream_tbENKUlT_T0_E_clISt17integral_constantIbLb0EES10_IbLb1EEEEDaSW_SX_EUlSW_E_NS1_11comp_targetILNS1_3genE3ELNS1_11target_archE908ELNS1_3gpuE7ELNS1_3repE0EEENS1_30default_config_static_selectorELNS0_4arch9wavefront6targetE1EEEvT1_
	.globl	_ZN7rocprim17ROCPRIM_400000_NS6detail17trampoline_kernelINS0_14default_configENS1_27scan_by_key_config_selectorIitEEZZNS1_16scan_by_key_implILNS1_25lookback_scan_determinismE0ELb0ES3_N6thrust23THRUST_200600_302600_NS6detail15normal_iteratorINS9_10device_ptrIiEEEENSB_INSC_ItEEEESG_tNS9_4plusIvEENS9_8equal_toIvEEtEE10hipError_tPvRmT2_T3_T4_T5_mT6_T7_P12ihipStream_tbENKUlT_T0_E_clISt17integral_constantIbLb0EES10_IbLb1EEEEDaSW_SX_EUlSW_E_NS1_11comp_targetILNS1_3genE3ELNS1_11target_archE908ELNS1_3gpuE7ELNS1_3repE0EEENS1_30default_config_static_selectorELNS0_4arch9wavefront6targetE1EEEvT1_
	.p2align	8
	.type	_ZN7rocprim17ROCPRIM_400000_NS6detail17trampoline_kernelINS0_14default_configENS1_27scan_by_key_config_selectorIitEEZZNS1_16scan_by_key_implILNS1_25lookback_scan_determinismE0ELb0ES3_N6thrust23THRUST_200600_302600_NS6detail15normal_iteratorINS9_10device_ptrIiEEEENSB_INSC_ItEEEESG_tNS9_4plusIvEENS9_8equal_toIvEEtEE10hipError_tPvRmT2_T3_T4_T5_mT6_T7_P12ihipStream_tbENKUlT_T0_E_clISt17integral_constantIbLb0EES10_IbLb1EEEEDaSW_SX_EUlSW_E_NS1_11comp_targetILNS1_3genE3ELNS1_11target_archE908ELNS1_3gpuE7ELNS1_3repE0EEENS1_30default_config_static_selectorELNS0_4arch9wavefront6targetE1EEEvT1_,@function
_ZN7rocprim17ROCPRIM_400000_NS6detail17trampoline_kernelINS0_14default_configENS1_27scan_by_key_config_selectorIitEEZZNS1_16scan_by_key_implILNS1_25lookback_scan_determinismE0ELb0ES3_N6thrust23THRUST_200600_302600_NS6detail15normal_iteratorINS9_10device_ptrIiEEEENSB_INSC_ItEEEESG_tNS9_4plusIvEENS9_8equal_toIvEEtEE10hipError_tPvRmT2_T3_T4_T5_mT6_T7_P12ihipStream_tbENKUlT_T0_E_clISt17integral_constantIbLb0EES10_IbLb1EEEEDaSW_SX_EUlSW_E_NS1_11comp_targetILNS1_3genE3ELNS1_11target_archE908ELNS1_3gpuE7ELNS1_3repE0EEENS1_30default_config_static_selectorELNS0_4arch9wavefront6targetE1EEEvT1_: ; @_ZN7rocprim17ROCPRIM_400000_NS6detail17trampoline_kernelINS0_14default_configENS1_27scan_by_key_config_selectorIitEEZZNS1_16scan_by_key_implILNS1_25lookback_scan_determinismE0ELb0ES3_N6thrust23THRUST_200600_302600_NS6detail15normal_iteratorINS9_10device_ptrIiEEEENSB_INSC_ItEEEESG_tNS9_4plusIvEENS9_8equal_toIvEEtEE10hipError_tPvRmT2_T3_T4_T5_mT6_T7_P12ihipStream_tbENKUlT_T0_E_clISt17integral_constantIbLb0EES10_IbLb1EEEEDaSW_SX_EUlSW_E_NS1_11comp_targetILNS1_3genE3ELNS1_11target_archE908ELNS1_3gpuE7ELNS1_3repE0EEENS1_30default_config_static_selectorELNS0_4arch9wavefront6targetE1EEEvT1_
; %bb.0:
	.section	.rodata,"a",@progbits
	.p2align	6, 0x0
	.amdhsa_kernel _ZN7rocprim17ROCPRIM_400000_NS6detail17trampoline_kernelINS0_14default_configENS1_27scan_by_key_config_selectorIitEEZZNS1_16scan_by_key_implILNS1_25lookback_scan_determinismE0ELb0ES3_N6thrust23THRUST_200600_302600_NS6detail15normal_iteratorINS9_10device_ptrIiEEEENSB_INSC_ItEEEESG_tNS9_4plusIvEENS9_8equal_toIvEEtEE10hipError_tPvRmT2_T3_T4_T5_mT6_T7_P12ihipStream_tbENKUlT_T0_E_clISt17integral_constantIbLb0EES10_IbLb1EEEEDaSW_SX_EUlSW_E_NS1_11comp_targetILNS1_3genE3ELNS1_11target_archE908ELNS1_3gpuE7ELNS1_3repE0EEENS1_30default_config_static_selectorELNS0_4arch9wavefront6targetE1EEEvT1_
		.amdhsa_group_segment_fixed_size 0
		.amdhsa_private_segment_fixed_size 0
		.amdhsa_kernarg_size 112
		.amdhsa_user_sgpr_count 6
		.amdhsa_user_sgpr_private_segment_buffer 1
		.amdhsa_user_sgpr_dispatch_ptr 0
		.amdhsa_user_sgpr_queue_ptr 0
		.amdhsa_user_sgpr_kernarg_segment_ptr 1
		.amdhsa_user_sgpr_dispatch_id 0
		.amdhsa_user_sgpr_flat_scratch_init 0
		.amdhsa_user_sgpr_kernarg_preload_length 0
		.amdhsa_user_sgpr_kernarg_preload_offset 0
		.amdhsa_user_sgpr_private_segment_size 0
		.amdhsa_uses_dynamic_stack 0
		.amdhsa_system_sgpr_private_segment_wavefront_offset 0
		.amdhsa_system_sgpr_workgroup_id_x 1
		.amdhsa_system_sgpr_workgroup_id_y 0
		.amdhsa_system_sgpr_workgroup_id_z 0
		.amdhsa_system_sgpr_workgroup_info 0
		.amdhsa_system_vgpr_workitem_id 0
		.amdhsa_next_free_vgpr 1
		.amdhsa_next_free_sgpr 0
		.amdhsa_accum_offset 4
		.amdhsa_reserve_vcc 0
		.amdhsa_reserve_flat_scratch 0
		.amdhsa_float_round_mode_32 0
		.amdhsa_float_round_mode_16_64 0
		.amdhsa_float_denorm_mode_32 3
		.amdhsa_float_denorm_mode_16_64 3
		.amdhsa_dx10_clamp 1
		.amdhsa_ieee_mode 1
		.amdhsa_fp16_overflow 0
		.amdhsa_tg_split 0
		.amdhsa_exception_fp_ieee_invalid_op 0
		.amdhsa_exception_fp_denorm_src 0
		.amdhsa_exception_fp_ieee_div_zero 0
		.amdhsa_exception_fp_ieee_overflow 0
		.amdhsa_exception_fp_ieee_underflow 0
		.amdhsa_exception_fp_ieee_inexact 0
		.amdhsa_exception_int_div_zero 0
	.end_amdhsa_kernel
	.section	.text._ZN7rocprim17ROCPRIM_400000_NS6detail17trampoline_kernelINS0_14default_configENS1_27scan_by_key_config_selectorIitEEZZNS1_16scan_by_key_implILNS1_25lookback_scan_determinismE0ELb0ES3_N6thrust23THRUST_200600_302600_NS6detail15normal_iteratorINS9_10device_ptrIiEEEENSB_INSC_ItEEEESG_tNS9_4plusIvEENS9_8equal_toIvEEtEE10hipError_tPvRmT2_T3_T4_T5_mT6_T7_P12ihipStream_tbENKUlT_T0_E_clISt17integral_constantIbLb0EES10_IbLb1EEEEDaSW_SX_EUlSW_E_NS1_11comp_targetILNS1_3genE3ELNS1_11target_archE908ELNS1_3gpuE7ELNS1_3repE0EEENS1_30default_config_static_selectorELNS0_4arch9wavefront6targetE1EEEvT1_,"axG",@progbits,_ZN7rocprim17ROCPRIM_400000_NS6detail17trampoline_kernelINS0_14default_configENS1_27scan_by_key_config_selectorIitEEZZNS1_16scan_by_key_implILNS1_25lookback_scan_determinismE0ELb0ES3_N6thrust23THRUST_200600_302600_NS6detail15normal_iteratorINS9_10device_ptrIiEEEENSB_INSC_ItEEEESG_tNS9_4plusIvEENS9_8equal_toIvEEtEE10hipError_tPvRmT2_T3_T4_T5_mT6_T7_P12ihipStream_tbENKUlT_T0_E_clISt17integral_constantIbLb0EES10_IbLb1EEEEDaSW_SX_EUlSW_E_NS1_11comp_targetILNS1_3genE3ELNS1_11target_archE908ELNS1_3gpuE7ELNS1_3repE0EEENS1_30default_config_static_selectorELNS0_4arch9wavefront6targetE1EEEvT1_,comdat
.Lfunc_end1304:
	.size	_ZN7rocprim17ROCPRIM_400000_NS6detail17trampoline_kernelINS0_14default_configENS1_27scan_by_key_config_selectorIitEEZZNS1_16scan_by_key_implILNS1_25lookback_scan_determinismE0ELb0ES3_N6thrust23THRUST_200600_302600_NS6detail15normal_iteratorINS9_10device_ptrIiEEEENSB_INSC_ItEEEESG_tNS9_4plusIvEENS9_8equal_toIvEEtEE10hipError_tPvRmT2_T3_T4_T5_mT6_T7_P12ihipStream_tbENKUlT_T0_E_clISt17integral_constantIbLb0EES10_IbLb1EEEEDaSW_SX_EUlSW_E_NS1_11comp_targetILNS1_3genE3ELNS1_11target_archE908ELNS1_3gpuE7ELNS1_3repE0EEENS1_30default_config_static_selectorELNS0_4arch9wavefront6targetE1EEEvT1_, .Lfunc_end1304-_ZN7rocprim17ROCPRIM_400000_NS6detail17trampoline_kernelINS0_14default_configENS1_27scan_by_key_config_selectorIitEEZZNS1_16scan_by_key_implILNS1_25lookback_scan_determinismE0ELb0ES3_N6thrust23THRUST_200600_302600_NS6detail15normal_iteratorINS9_10device_ptrIiEEEENSB_INSC_ItEEEESG_tNS9_4plusIvEENS9_8equal_toIvEEtEE10hipError_tPvRmT2_T3_T4_T5_mT6_T7_P12ihipStream_tbENKUlT_T0_E_clISt17integral_constantIbLb0EES10_IbLb1EEEEDaSW_SX_EUlSW_E_NS1_11comp_targetILNS1_3genE3ELNS1_11target_archE908ELNS1_3gpuE7ELNS1_3repE0EEENS1_30default_config_static_selectorELNS0_4arch9wavefront6targetE1EEEvT1_
                                        ; -- End function
	.section	.AMDGPU.csdata,"",@progbits
; Kernel info:
; codeLenInByte = 0
; NumSgprs: 4
; NumVgprs: 0
; NumAgprs: 0
; TotalNumVgprs: 0
; ScratchSize: 0
; MemoryBound: 0
; FloatMode: 240
; IeeeMode: 1
; LDSByteSize: 0 bytes/workgroup (compile time only)
; SGPRBlocks: 0
; VGPRBlocks: 0
; NumSGPRsForWavesPerEU: 4
; NumVGPRsForWavesPerEU: 1
; AccumOffset: 4
; Occupancy: 8
; WaveLimiterHint : 0
; COMPUTE_PGM_RSRC2:SCRATCH_EN: 0
; COMPUTE_PGM_RSRC2:USER_SGPR: 6
; COMPUTE_PGM_RSRC2:TRAP_HANDLER: 0
; COMPUTE_PGM_RSRC2:TGID_X_EN: 1
; COMPUTE_PGM_RSRC2:TGID_Y_EN: 0
; COMPUTE_PGM_RSRC2:TGID_Z_EN: 0
; COMPUTE_PGM_RSRC2:TIDIG_COMP_CNT: 0
; COMPUTE_PGM_RSRC3_GFX90A:ACCUM_OFFSET: 0
; COMPUTE_PGM_RSRC3_GFX90A:TG_SPLIT: 0
	.section	.text._ZN7rocprim17ROCPRIM_400000_NS6detail17trampoline_kernelINS0_14default_configENS1_27scan_by_key_config_selectorIitEEZZNS1_16scan_by_key_implILNS1_25lookback_scan_determinismE0ELb0ES3_N6thrust23THRUST_200600_302600_NS6detail15normal_iteratorINS9_10device_ptrIiEEEENSB_INSC_ItEEEESG_tNS9_4plusIvEENS9_8equal_toIvEEtEE10hipError_tPvRmT2_T3_T4_T5_mT6_T7_P12ihipStream_tbENKUlT_T0_E_clISt17integral_constantIbLb0EES10_IbLb1EEEEDaSW_SX_EUlSW_E_NS1_11comp_targetILNS1_3genE2ELNS1_11target_archE906ELNS1_3gpuE6ELNS1_3repE0EEENS1_30default_config_static_selectorELNS0_4arch9wavefront6targetE1EEEvT1_,"axG",@progbits,_ZN7rocprim17ROCPRIM_400000_NS6detail17trampoline_kernelINS0_14default_configENS1_27scan_by_key_config_selectorIitEEZZNS1_16scan_by_key_implILNS1_25lookback_scan_determinismE0ELb0ES3_N6thrust23THRUST_200600_302600_NS6detail15normal_iteratorINS9_10device_ptrIiEEEENSB_INSC_ItEEEESG_tNS9_4plusIvEENS9_8equal_toIvEEtEE10hipError_tPvRmT2_T3_T4_T5_mT6_T7_P12ihipStream_tbENKUlT_T0_E_clISt17integral_constantIbLb0EES10_IbLb1EEEEDaSW_SX_EUlSW_E_NS1_11comp_targetILNS1_3genE2ELNS1_11target_archE906ELNS1_3gpuE6ELNS1_3repE0EEENS1_30default_config_static_selectorELNS0_4arch9wavefront6targetE1EEEvT1_,comdat
	.protected	_ZN7rocprim17ROCPRIM_400000_NS6detail17trampoline_kernelINS0_14default_configENS1_27scan_by_key_config_selectorIitEEZZNS1_16scan_by_key_implILNS1_25lookback_scan_determinismE0ELb0ES3_N6thrust23THRUST_200600_302600_NS6detail15normal_iteratorINS9_10device_ptrIiEEEENSB_INSC_ItEEEESG_tNS9_4plusIvEENS9_8equal_toIvEEtEE10hipError_tPvRmT2_T3_T4_T5_mT6_T7_P12ihipStream_tbENKUlT_T0_E_clISt17integral_constantIbLb0EES10_IbLb1EEEEDaSW_SX_EUlSW_E_NS1_11comp_targetILNS1_3genE2ELNS1_11target_archE906ELNS1_3gpuE6ELNS1_3repE0EEENS1_30default_config_static_selectorELNS0_4arch9wavefront6targetE1EEEvT1_ ; -- Begin function _ZN7rocprim17ROCPRIM_400000_NS6detail17trampoline_kernelINS0_14default_configENS1_27scan_by_key_config_selectorIitEEZZNS1_16scan_by_key_implILNS1_25lookback_scan_determinismE0ELb0ES3_N6thrust23THRUST_200600_302600_NS6detail15normal_iteratorINS9_10device_ptrIiEEEENSB_INSC_ItEEEESG_tNS9_4plusIvEENS9_8equal_toIvEEtEE10hipError_tPvRmT2_T3_T4_T5_mT6_T7_P12ihipStream_tbENKUlT_T0_E_clISt17integral_constantIbLb0EES10_IbLb1EEEEDaSW_SX_EUlSW_E_NS1_11comp_targetILNS1_3genE2ELNS1_11target_archE906ELNS1_3gpuE6ELNS1_3repE0EEENS1_30default_config_static_selectorELNS0_4arch9wavefront6targetE1EEEvT1_
	.globl	_ZN7rocprim17ROCPRIM_400000_NS6detail17trampoline_kernelINS0_14default_configENS1_27scan_by_key_config_selectorIitEEZZNS1_16scan_by_key_implILNS1_25lookback_scan_determinismE0ELb0ES3_N6thrust23THRUST_200600_302600_NS6detail15normal_iteratorINS9_10device_ptrIiEEEENSB_INSC_ItEEEESG_tNS9_4plusIvEENS9_8equal_toIvEEtEE10hipError_tPvRmT2_T3_T4_T5_mT6_T7_P12ihipStream_tbENKUlT_T0_E_clISt17integral_constantIbLb0EES10_IbLb1EEEEDaSW_SX_EUlSW_E_NS1_11comp_targetILNS1_3genE2ELNS1_11target_archE906ELNS1_3gpuE6ELNS1_3repE0EEENS1_30default_config_static_selectorELNS0_4arch9wavefront6targetE1EEEvT1_
	.p2align	8
	.type	_ZN7rocprim17ROCPRIM_400000_NS6detail17trampoline_kernelINS0_14default_configENS1_27scan_by_key_config_selectorIitEEZZNS1_16scan_by_key_implILNS1_25lookback_scan_determinismE0ELb0ES3_N6thrust23THRUST_200600_302600_NS6detail15normal_iteratorINS9_10device_ptrIiEEEENSB_INSC_ItEEEESG_tNS9_4plusIvEENS9_8equal_toIvEEtEE10hipError_tPvRmT2_T3_T4_T5_mT6_T7_P12ihipStream_tbENKUlT_T0_E_clISt17integral_constantIbLb0EES10_IbLb1EEEEDaSW_SX_EUlSW_E_NS1_11comp_targetILNS1_3genE2ELNS1_11target_archE906ELNS1_3gpuE6ELNS1_3repE0EEENS1_30default_config_static_selectorELNS0_4arch9wavefront6targetE1EEEvT1_,@function
_ZN7rocprim17ROCPRIM_400000_NS6detail17trampoline_kernelINS0_14default_configENS1_27scan_by_key_config_selectorIitEEZZNS1_16scan_by_key_implILNS1_25lookback_scan_determinismE0ELb0ES3_N6thrust23THRUST_200600_302600_NS6detail15normal_iteratorINS9_10device_ptrIiEEEENSB_INSC_ItEEEESG_tNS9_4plusIvEENS9_8equal_toIvEEtEE10hipError_tPvRmT2_T3_T4_T5_mT6_T7_P12ihipStream_tbENKUlT_T0_E_clISt17integral_constantIbLb0EES10_IbLb1EEEEDaSW_SX_EUlSW_E_NS1_11comp_targetILNS1_3genE2ELNS1_11target_archE906ELNS1_3gpuE6ELNS1_3repE0EEENS1_30default_config_static_selectorELNS0_4arch9wavefront6targetE1EEEvT1_: ; @_ZN7rocprim17ROCPRIM_400000_NS6detail17trampoline_kernelINS0_14default_configENS1_27scan_by_key_config_selectorIitEEZZNS1_16scan_by_key_implILNS1_25lookback_scan_determinismE0ELb0ES3_N6thrust23THRUST_200600_302600_NS6detail15normal_iteratorINS9_10device_ptrIiEEEENSB_INSC_ItEEEESG_tNS9_4plusIvEENS9_8equal_toIvEEtEE10hipError_tPvRmT2_T3_T4_T5_mT6_T7_P12ihipStream_tbENKUlT_T0_E_clISt17integral_constantIbLb0EES10_IbLb1EEEEDaSW_SX_EUlSW_E_NS1_11comp_targetILNS1_3genE2ELNS1_11target_archE906ELNS1_3gpuE6ELNS1_3repE0EEENS1_30default_config_static_selectorELNS0_4arch9wavefront6targetE1EEEvT1_
; %bb.0:
	.section	.rodata,"a",@progbits
	.p2align	6, 0x0
	.amdhsa_kernel _ZN7rocprim17ROCPRIM_400000_NS6detail17trampoline_kernelINS0_14default_configENS1_27scan_by_key_config_selectorIitEEZZNS1_16scan_by_key_implILNS1_25lookback_scan_determinismE0ELb0ES3_N6thrust23THRUST_200600_302600_NS6detail15normal_iteratorINS9_10device_ptrIiEEEENSB_INSC_ItEEEESG_tNS9_4plusIvEENS9_8equal_toIvEEtEE10hipError_tPvRmT2_T3_T4_T5_mT6_T7_P12ihipStream_tbENKUlT_T0_E_clISt17integral_constantIbLb0EES10_IbLb1EEEEDaSW_SX_EUlSW_E_NS1_11comp_targetILNS1_3genE2ELNS1_11target_archE906ELNS1_3gpuE6ELNS1_3repE0EEENS1_30default_config_static_selectorELNS0_4arch9wavefront6targetE1EEEvT1_
		.amdhsa_group_segment_fixed_size 0
		.amdhsa_private_segment_fixed_size 0
		.amdhsa_kernarg_size 112
		.amdhsa_user_sgpr_count 6
		.amdhsa_user_sgpr_private_segment_buffer 1
		.amdhsa_user_sgpr_dispatch_ptr 0
		.amdhsa_user_sgpr_queue_ptr 0
		.amdhsa_user_sgpr_kernarg_segment_ptr 1
		.amdhsa_user_sgpr_dispatch_id 0
		.amdhsa_user_sgpr_flat_scratch_init 0
		.amdhsa_user_sgpr_kernarg_preload_length 0
		.amdhsa_user_sgpr_kernarg_preload_offset 0
		.amdhsa_user_sgpr_private_segment_size 0
		.amdhsa_uses_dynamic_stack 0
		.amdhsa_system_sgpr_private_segment_wavefront_offset 0
		.amdhsa_system_sgpr_workgroup_id_x 1
		.amdhsa_system_sgpr_workgroup_id_y 0
		.amdhsa_system_sgpr_workgroup_id_z 0
		.amdhsa_system_sgpr_workgroup_info 0
		.amdhsa_system_vgpr_workitem_id 0
		.amdhsa_next_free_vgpr 1
		.amdhsa_next_free_sgpr 0
		.amdhsa_accum_offset 4
		.amdhsa_reserve_vcc 0
		.amdhsa_reserve_flat_scratch 0
		.amdhsa_float_round_mode_32 0
		.amdhsa_float_round_mode_16_64 0
		.amdhsa_float_denorm_mode_32 3
		.amdhsa_float_denorm_mode_16_64 3
		.amdhsa_dx10_clamp 1
		.amdhsa_ieee_mode 1
		.amdhsa_fp16_overflow 0
		.amdhsa_tg_split 0
		.amdhsa_exception_fp_ieee_invalid_op 0
		.amdhsa_exception_fp_denorm_src 0
		.amdhsa_exception_fp_ieee_div_zero 0
		.amdhsa_exception_fp_ieee_overflow 0
		.amdhsa_exception_fp_ieee_underflow 0
		.amdhsa_exception_fp_ieee_inexact 0
		.amdhsa_exception_int_div_zero 0
	.end_amdhsa_kernel
	.section	.text._ZN7rocprim17ROCPRIM_400000_NS6detail17trampoline_kernelINS0_14default_configENS1_27scan_by_key_config_selectorIitEEZZNS1_16scan_by_key_implILNS1_25lookback_scan_determinismE0ELb0ES3_N6thrust23THRUST_200600_302600_NS6detail15normal_iteratorINS9_10device_ptrIiEEEENSB_INSC_ItEEEESG_tNS9_4plusIvEENS9_8equal_toIvEEtEE10hipError_tPvRmT2_T3_T4_T5_mT6_T7_P12ihipStream_tbENKUlT_T0_E_clISt17integral_constantIbLb0EES10_IbLb1EEEEDaSW_SX_EUlSW_E_NS1_11comp_targetILNS1_3genE2ELNS1_11target_archE906ELNS1_3gpuE6ELNS1_3repE0EEENS1_30default_config_static_selectorELNS0_4arch9wavefront6targetE1EEEvT1_,"axG",@progbits,_ZN7rocprim17ROCPRIM_400000_NS6detail17trampoline_kernelINS0_14default_configENS1_27scan_by_key_config_selectorIitEEZZNS1_16scan_by_key_implILNS1_25lookback_scan_determinismE0ELb0ES3_N6thrust23THRUST_200600_302600_NS6detail15normal_iteratorINS9_10device_ptrIiEEEENSB_INSC_ItEEEESG_tNS9_4plusIvEENS9_8equal_toIvEEtEE10hipError_tPvRmT2_T3_T4_T5_mT6_T7_P12ihipStream_tbENKUlT_T0_E_clISt17integral_constantIbLb0EES10_IbLb1EEEEDaSW_SX_EUlSW_E_NS1_11comp_targetILNS1_3genE2ELNS1_11target_archE906ELNS1_3gpuE6ELNS1_3repE0EEENS1_30default_config_static_selectorELNS0_4arch9wavefront6targetE1EEEvT1_,comdat
.Lfunc_end1305:
	.size	_ZN7rocprim17ROCPRIM_400000_NS6detail17trampoline_kernelINS0_14default_configENS1_27scan_by_key_config_selectorIitEEZZNS1_16scan_by_key_implILNS1_25lookback_scan_determinismE0ELb0ES3_N6thrust23THRUST_200600_302600_NS6detail15normal_iteratorINS9_10device_ptrIiEEEENSB_INSC_ItEEEESG_tNS9_4plusIvEENS9_8equal_toIvEEtEE10hipError_tPvRmT2_T3_T4_T5_mT6_T7_P12ihipStream_tbENKUlT_T0_E_clISt17integral_constantIbLb0EES10_IbLb1EEEEDaSW_SX_EUlSW_E_NS1_11comp_targetILNS1_3genE2ELNS1_11target_archE906ELNS1_3gpuE6ELNS1_3repE0EEENS1_30default_config_static_selectorELNS0_4arch9wavefront6targetE1EEEvT1_, .Lfunc_end1305-_ZN7rocprim17ROCPRIM_400000_NS6detail17trampoline_kernelINS0_14default_configENS1_27scan_by_key_config_selectorIitEEZZNS1_16scan_by_key_implILNS1_25lookback_scan_determinismE0ELb0ES3_N6thrust23THRUST_200600_302600_NS6detail15normal_iteratorINS9_10device_ptrIiEEEENSB_INSC_ItEEEESG_tNS9_4plusIvEENS9_8equal_toIvEEtEE10hipError_tPvRmT2_T3_T4_T5_mT6_T7_P12ihipStream_tbENKUlT_T0_E_clISt17integral_constantIbLb0EES10_IbLb1EEEEDaSW_SX_EUlSW_E_NS1_11comp_targetILNS1_3genE2ELNS1_11target_archE906ELNS1_3gpuE6ELNS1_3repE0EEENS1_30default_config_static_selectorELNS0_4arch9wavefront6targetE1EEEvT1_
                                        ; -- End function
	.section	.AMDGPU.csdata,"",@progbits
; Kernel info:
; codeLenInByte = 0
; NumSgprs: 4
; NumVgprs: 0
; NumAgprs: 0
; TotalNumVgprs: 0
; ScratchSize: 0
; MemoryBound: 0
; FloatMode: 240
; IeeeMode: 1
; LDSByteSize: 0 bytes/workgroup (compile time only)
; SGPRBlocks: 0
; VGPRBlocks: 0
; NumSGPRsForWavesPerEU: 4
; NumVGPRsForWavesPerEU: 1
; AccumOffset: 4
; Occupancy: 8
; WaveLimiterHint : 0
; COMPUTE_PGM_RSRC2:SCRATCH_EN: 0
; COMPUTE_PGM_RSRC2:USER_SGPR: 6
; COMPUTE_PGM_RSRC2:TRAP_HANDLER: 0
; COMPUTE_PGM_RSRC2:TGID_X_EN: 1
; COMPUTE_PGM_RSRC2:TGID_Y_EN: 0
; COMPUTE_PGM_RSRC2:TGID_Z_EN: 0
; COMPUTE_PGM_RSRC2:TIDIG_COMP_CNT: 0
; COMPUTE_PGM_RSRC3_GFX90A:ACCUM_OFFSET: 0
; COMPUTE_PGM_RSRC3_GFX90A:TG_SPLIT: 0
	.section	.text._ZN7rocprim17ROCPRIM_400000_NS6detail17trampoline_kernelINS0_14default_configENS1_27scan_by_key_config_selectorIitEEZZNS1_16scan_by_key_implILNS1_25lookback_scan_determinismE0ELb0ES3_N6thrust23THRUST_200600_302600_NS6detail15normal_iteratorINS9_10device_ptrIiEEEENSB_INSC_ItEEEESG_tNS9_4plusIvEENS9_8equal_toIvEEtEE10hipError_tPvRmT2_T3_T4_T5_mT6_T7_P12ihipStream_tbENKUlT_T0_E_clISt17integral_constantIbLb0EES10_IbLb1EEEEDaSW_SX_EUlSW_E_NS1_11comp_targetILNS1_3genE10ELNS1_11target_archE1200ELNS1_3gpuE4ELNS1_3repE0EEENS1_30default_config_static_selectorELNS0_4arch9wavefront6targetE1EEEvT1_,"axG",@progbits,_ZN7rocprim17ROCPRIM_400000_NS6detail17trampoline_kernelINS0_14default_configENS1_27scan_by_key_config_selectorIitEEZZNS1_16scan_by_key_implILNS1_25lookback_scan_determinismE0ELb0ES3_N6thrust23THRUST_200600_302600_NS6detail15normal_iteratorINS9_10device_ptrIiEEEENSB_INSC_ItEEEESG_tNS9_4plusIvEENS9_8equal_toIvEEtEE10hipError_tPvRmT2_T3_T4_T5_mT6_T7_P12ihipStream_tbENKUlT_T0_E_clISt17integral_constantIbLb0EES10_IbLb1EEEEDaSW_SX_EUlSW_E_NS1_11comp_targetILNS1_3genE10ELNS1_11target_archE1200ELNS1_3gpuE4ELNS1_3repE0EEENS1_30default_config_static_selectorELNS0_4arch9wavefront6targetE1EEEvT1_,comdat
	.protected	_ZN7rocprim17ROCPRIM_400000_NS6detail17trampoline_kernelINS0_14default_configENS1_27scan_by_key_config_selectorIitEEZZNS1_16scan_by_key_implILNS1_25lookback_scan_determinismE0ELb0ES3_N6thrust23THRUST_200600_302600_NS6detail15normal_iteratorINS9_10device_ptrIiEEEENSB_INSC_ItEEEESG_tNS9_4plusIvEENS9_8equal_toIvEEtEE10hipError_tPvRmT2_T3_T4_T5_mT6_T7_P12ihipStream_tbENKUlT_T0_E_clISt17integral_constantIbLb0EES10_IbLb1EEEEDaSW_SX_EUlSW_E_NS1_11comp_targetILNS1_3genE10ELNS1_11target_archE1200ELNS1_3gpuE4ELNS1_3repE0EEENS1_30default_config_static_selectorELNS0_4arch9wavefront6targetE1EEEvT1_ ; -- Begin function _ZN7rocprim17ROCPRIM_400000_NS6detail17trampoline_kernelINS0_14default_configENS1_27scan_by_key_config_selectorIitEEZZNS1_16scan_by_key_implILNS1_25lookback_scan_determinismE0ELb0ES3_N6thrust23THRUST_200600_302600_NS6detail15normal_iteratorINS9_10device_ptrIiEEEENSB_INSC_ItEEEESG_tNS9_4plusIvEENS9_8equal_toIvEEtEE10hipError_tPvRmT2_T3_T4_T5_mT6_T7_P12ihipStream_tbENKUlT_T0_E_clISt17integral_constantIbLb0EES10_IbLb1EEEEDaSW_SX_EUlSW_E_NS1_11comp_targetILNS1_3genE10ELNS1_11target_archE1200ELNS1_3gpuE4ELNS1_3repE0EEENS1_30default_config_static_selectorELNS0_4arch9wavefront6targetE1EEEvT1_
	.globl	_ZN7rocprim17ROCPRIM_400000_NS6detail17trampoline_kernelINS0_14default_configENS1_27scan_by_key_config_selectorIitEEZZNS1_16scan_by_key_implILNS1_25lookback_scan_determinismE0ELb0ES3_N6thrust23THRUST_200600_302600_NS6detail15normal_iteratorINS9_10device_ptrIiEEEENSB_INSC_ItEEEESG_tNS9_4plusIvEENS9_8equal_toIvEEtEE10hipError_tPvRmT2_T3_T4_T5_mT6_T7_P12ihipStream_tbENKUlT_T0_E_clISt17integral_constantIbLb0EES10_IbLb1EEEEDaSW_SX_EUlSW_E_NS1_11comp_targetILNS1_3genE10ELNS1_11target_archE1200ELNS1_3gpuE4ELNS1_3repE0EEENS1_30default_config_static_selectorELNS0_4arch9wavefront6targetE1EEEvT1_
	.p2align	8
	.type	_ZN7rocprim17ROCPRIM_400000_NS6detail17trampoline_kernelINS0_14default_configENS1_27scan_by_key_config_selectorIitEEZZNS1_16scan_by_key_implILNS1_25lookback_scan_determinismE0ELb0ES3_N6thrust23THRUST_200600_302600_NS6detail15normal_iteratorINS9_10device_ptrIiEEEENSB_INSC_ItEEEESG_tNS9_4plusIvEENS9_8equal_toIvEEtEE10hipError_tPvRmT2_T3_T4_T5_mT6_T7_P12ihipStream_tbENKUlT_T0_E_clISt17integral_constantIbLb0EES10_IbLb1EEEEDaSW_SX_EUlSW_E_NS1_11comp_targetILNS1_3genE10ELNS1_11target_archE1200ELNS1_3gpuE4ELNS1_3repE0EEENS1_30default_config_static_selectorELNS0_4arch9wavefront6targetE1EEEvT1_,@function
_ZN7rocprim17ROCPRIM_400000_NS6detail17trampoline_kernelINS0_14default_configENS1_27scan_by_key_config_selectorIitEEZZNS1_16scan_by_key_implILNS1_25lookback_scan_determinismE0ELb0ES3_N6thrust23THRUST_200600_302600_NS6detail15normal_iteratorINS9_10device_ptrIiEEEENSB_INSC_ItEEEESG_tNS9_4plusIvEENS9_8equal_toIvEEtEE10hipError_tPvRmT2_T3_T4_T5_mT6_T7_P12ihipStream_tbENKUlT_T0_E_clISt17integral_constantIbLb0EES10_IbLb1EEEEDaSW_SX_EUlSW_E_NS1_11comp_targetILNS1_3genE10ELNS1_11target_archE1200ELNS1_3gpuE4ELNS1_3repE0EEENS1_30default_config_static_selectorELNS0_4arch9wavefront6targetE1EEEvT1_: ; @_ZN7rocprim17ROCPRIM_400000_NS6detail17trampoline_kernelINS0_14default_configENS1_27scan_by_key_config_selectorIitEEZZNS1_16scan_by_key_implILNS1_25lookback_scan_determinismE0ELb0ES3_N6thrust23THRUST_200600_302600_NS6detail15normal_iteratorINS9_10device_ptrIiEEEENSB_INSC_ItEEEESG_tNS9_4plusIvEENS9_8equal_toIvEEtEE10hipError_tPvRmT2_T3_T4_T5_mT6_T7_P12ihipStream_tbENKUlT_T0_E_clISt17integral_constantIbLb0EES10_IbLb1EEEEDaSW_SX_EUlSW_E_NS1_11comp_targetILNS1_3genE10ELNS1_11target_archE1200ELNS1_3gpuE4ELNS1_3repE0EEENS1_30default_config_static_selectorELNS0_4arch9wavefront6targetE1EEEvT1_
; %bb.0:
	.section	.rodata,"a",@progbits
	.p2align	6, 0x0
	.amdhsa_kernel _ZN7rocprim17ROCPRIM_400000_NS6detail17trampoline_kernelINS0_14default_configENS1_27scan_by_key_config_selectorIitEEZZNS1_16scan_by_key_implILNS1_25lookback_scan_determinismE0ELb0ES3_N6thrust23THRUST_200600_302600_NS6detail15normal_iteratorINS9_10device_ptrIiEEEENSB_INSC_ItEEEESG_tNS9_4plusIvEENS9_8equal_toIvEEtEE10hipError_tPvRmT2_T3_T4_T5_mT6_T7_P12ihipStream_tbENKUlT_T0_E_clISt17integral_constantIbLb0EES10_IbLb1EEEEDaSW_SX_EUlSW_E_NS1_11comp_targetILNS1_3genE10ELNS1_11target_archE1200ELNS1_3gpuE4ELNS1_3repE0EEENS1_30default_config_static_selectorELNS0_4arch9wavefront6targetE1EEEvT1_
		.amdhsa_group_segment_fixed_size 0
		.amdhsa_private_segment_fixed_size 0
		.amdhsa_kernarg_size 112
		.amdhsa_user_sgpr_count 6
		.amdhsa_user_sgpr_private_segment_buffer 1
		.amdhsa_user_sgpr_dispatch_ptr 0
		.amdhsa_user_sgpr_queue_ptr 0
		.amdhsa_user_sgpr_kernarg_segment_ptr 1
		.amdhsa_user_sgpr_dispatch_id 0
		.amdhsa_user_sgpr_flat_scratch_init 0
		.amdhsa_user_sgpr_kernarg_preload_length 0
		.amdhsa_user_sgpr_kernarg_preload_offset 0
		.amdhsa_user_sgpr_private_segment_size 0
		.amdhsa_uses_dynamic_stack 0
		.amdhsa_system_sgpr_private_segment_wavefront_offset 0
		.amdhsa_system_sgpr_workgroup_id_x 1
		.amdhsa_system_sgpr_workgroup_id_y 0
		.amdhsa_system_sgpr_workgroup_id_z 0
		.amdhsa_system_sgpr_workgroup_info 0
		.amdhsa_system_vgpr_workitem_id 0
		.amdhsa_next_free_vgpr 1
		.amdhsa_next_free_sgpr 0
		.amdhsa_accum_offset 4
		.amdhsa_reserve_vcc 0
		.amdhsa_reserve_flat_scratch 0
		.amdhsa_float_round_mode_32 0
		.amdhsa_float_round_mode_16_64 0
		.amdhsa_float_denorm_mode_32 3
		.amdhsa_float_denorm_mode_16_64 3
		.amdhsa_dx10_clamp 1
		.amdhsa_ieee_mode 1
		.amdhsa_fp16_overflow 0
		.amdhsa_tg_split 0
		.amdhsa_exception_fp_ieee_invalid_op 0
		.amdhsa_exception_fp_denorm_src 0
		.amdhsa_exception_fp_ieee_div_zero 0
		.amdhsa_exception_fp_ieee_overflow 0
		.amdhsa_exception_fp_ieee_underflow 0
		.amdhsa_exception_fp_ieee_inexact 0
		.amdhsa_exception_int_div_zero 0
	.end_amdhsa_kernel
	.section	.text._ZN7rocprim17ROCPRIM_400000_NS6detail17trampoline_kernelINS0_14default_configENS1_27scan_by_key_config_selectorIitEEZZNS1_16scan_by_key_implILNS1_25lookback_scan_determinismE0ELb0ES3_N6thrust23THRUST_200600_302600_NS6detail15normal_iteratorINS9_10device_ptrIiEEEENSB_INSC_ItEEEESG_tNS9_4plusIvEENS9_8equal_toIvEEtEE10hipError_tPvRmT2_T3_T4_T5_mT6_T7_P12ihipStream_tbENKUlT_T0_E_clISt17integral_constantIbLb0EES10_IbLb1EEEEDaSW_SX_EUlSW_E_NS1_11comp_targetILNS1_3genE10ELNS1_11target_archE1200ELNS1_3gpuE4ELNS1_3repE0EEENS1_30default_config_static_selectorELNS0_4arch9wavefront6targetE1EEEvT1_,"axG",@progbits,_ZN7rocprim17ROCPRIM_400000_NS6detail17trampoline_kernelINS0_14default_configENS1_27scan_by_key_config_selectorIitEEZZNS1_16scan_by_key_implILNS1_25lookback_scan_determinismE0ELb0ES3_N6thrust23THRUST_200600_302600_NS6detail15normal_iteratorINS9_10device_ptrIiEEEENSB_INSC_ItEEEESG_tNS9_4plusIvEENS9_8equal_toIvEEtEE10hipError_tPvRmT2_T3_T4_T5_mT6_T7_P12ihipStream_tbENKUlT_T0_E_clISt17integral_constantIbLb0EES10_IbLb1EEEEDaSW_SX_EUlSW_E_NS1_11comp_targetILNS1_3genE10ELNS1_11target_archE1200ELNS1_3gpuE4ELNS1_3repE0EEENS1_30default_config_static_selectorELNS0_4arch9wavefront6targetE1EEEvT1_,comdat
.Lfunc_end1306:
	.size	_ZN7rocprim17ROCPRIM_400000_NS6detail17trampoline_kernelINS0_14default_configENS1_27scan_by_key_config_selectorIitEEZZNS1_16scan_by_key_implILNS1_25lookback_scan_determinismE0ELb0ES3_N6thrust23THRUST_200600_302600_NS6detail15normal_iteratorINS9_10device_ptrIiEEEENSB_INSC_ItEEEESG_tNS9_4plusIvEENS9_8equal_toIvEEtEE10hipError_tPvRmT2_T3_T4_T5_mT6_T7_P12ihipStream_tbENKUlT_T0_E_clISt17integral_constantIbLb0EES10_IbLb1EEEEDaSW_SX_EUlSW_E_NS1_11comp_targetILNS1_3genE10ELNS1_11target_archE1200ELNS1_3gpuE4ELNS1_3repE0EEENS1_30default_config_static_selectorELNS0_4arch9wavefront6targetE1EEEvT1_, .Lfunc_end1306-_ZN7rocprim17ROCPRIM_400000_NS6detail17trampoline_kernelINS0_14default_configENS1_27scan_by_key_config_selectorIitEEZZNS1_16scan_by_key_implILNS1_25lookback_scan_determinismE0ELb0ES3_N6thrust23THRUST_200600_302600_NS6detail15normal_iteratorINS9_10device_ptrIiEEEENSB_INSC_ItEEEESG_tNS9_4plusIvEENS9_8equal_toIvEEtEE10hipError_tPvRmT2_T3_T4_T5_mT6_T7_P12ihipStream_tbENKUlT_T0_E_clISt17integral_constantIbLb0EES10_IbLb1EEEEDaSW_SX_EUlSW_E_NS1_11comp_targetILNS1_3genE10ELNS1_11target_archE1200ELNS1_3gpuE4ELNS1_3repE0EEENS1_30default_config_static_selectorELNS0_4arch9wavefront6targetE1EEEvT1_
                                        ; -- End function
	.section	.AMDGPU.csdata,"",@progbits
; Kernel info:
; codeLenInByte = 0
; NumSgprs: 4
; NumVgprs: 0
; NumAgprs: 0
; TotalNumVgprs: 0
; ScratchSize: 0
; MemoryBound: 0
; FloatMode: 240
; IeeeMode: 1
; LDSByteSize: 0 bytes/workgroup (compile time only)
; SGPRBlocks: 0
; VGPRBlocks: 0
; NumSGPRsForWavesPerEU: 4
; NumVGPRsForWavesPerEU: 1
; AccumOffset: 4
; Occupancy: 8
; WaveLimiterHint : 0
; COMPUTE_PGM_RSRC2:SCRATCH_EN: 0
; COMPUTE_PGM_RSRC2:USER_SGPR: 6
; COMPUTE_PGM_RSRC2:TRAP_HANDLER: 0
; COMPUTE_PGM_RSRC2:TGID_X_EN: 1
; COMPUTE_PGM_RSRC2:TGID_Y_EN: 0
; COMPUTE_PGM_RSRC2:TGID_Z_EN: 0
; COMPUTE_PGM_RSRC2:TIDIG_COMP_CNT: 0
; COMPUTE_PGM_RSRC3_GFX90A:ACCUM_OFFSET: 0
; COMPUTE_PGM_RSRC3_GFX90A:TG_SPLIT: 0
	.section	.text._ZN7rocprim17ROCPRIM_400000_NS6detail17trampoline_kernelINS0_14default_configENS1_27scan_by_key_config_selectorIitEEZZNS1_16scan_by_key_implILNS1_25lookback_scan_determinismE0ELb0ES3_N6thrust23THRUST_200600_302600_NS6detail15normal_iteratorINS9_10device_ptrIiEEEENSB_INSC_ItEEEESG_tNS9_4plusIvEENS9_8equal_toIvEEtEE10hipError_tPvRmT2_T3_T4_T5_mT6_T7_P12ihipStream_tbENKUlT_T0_E_clISt17integral_constantIbLb0EES10_IbLb1EEEEDaSW_SX_EUlSW_E_NS1_11comp_targetILNS1_3genE9ELNS1_11target_archE1100ELNS1_3gpuE3ELNS1_3repE0EEENS1_30default_config_static_selectorELNS0_4arch9wavefront6targetE1EEEvT1_,"axG",@progbits,_ZN7rocprim17ROCPRIM_400000_NS6detail17trampoline_kernelINS0_14default_configENS1_27scan_by_key_config_selectorIitEEZZNS1_16scan_by_key_implILNS1_25lookback_scan_determinismE0ELb0ES3_N6thrust23THRUST_200600_302600_NS6detail15normal_iteratorINS9_10device_ptrIiEEEENSB_INSC_ItEEEESG_tNS9_4plusIvEENS9_8equal_toIvEEtEE10hipError_tPvRmT2_T3_T4_T5_mT6_T7_P12ihipStream_tbENKUlT_T0_E_clISt17integral_constantIbLb0EES10_IbLb1EEEEDaSW_SX_EUlSW_E_NS1_11comp_targetILNS1_3genE9ELNS1_11target_archE1100ELNS1_3gpuE3ELNS1_3repE0EEENS1_30default_config_static_selectorELNS0_4arch9wavefront6targetE1EEEvT1_,comdat
	.protected	_ZN7rocprim17ROCPRIM_400000_NS6detail17trampoline_kernelINS0_14default_configENS1_27scan_by_key_config_selectorIitEEZZNS1_16scan_by_key_implILNS1_25lookback_scan_determinismE0ELb0ES3_N6thrust23THRUST_200600_302600_NS6detail15normal_iteratorINS9_10device_ptrIiEEEENSB_INSC_ItEEEESG_tNS9_4plusIvEENS9_8equal_toIvEEtEE10hipError_tPvRmT2_T3_T4_T5_mT6_T7_P12ihipStream_tbENKUlT_T0_E_clISt17integral_constantIbLb0EES10_IbLb1EEEEDaSW_SX_EUlSW_E_NS1_11comp_targetILNS1_3genE9ELNS1_11target_archE1100ELNS1_3gpuE3ELNS1_3repE0EEENS1_30default_config_static_selectorELNS0_4arch9wavefront6targetE1EEEvT1_ ; -- Begin function _ZN7rocprim17ROCPRIM_400000_NS6detail17trampoline_kernelINS0_14default_configENS1_27scan_by_key_config_selectorIitEEZZNS1_16scan_by_key_implILNS1_25lookback_scan_determinismE0ELb0ES3_N6thrust23THRUST_200600_302600_NS6detail15normal_iteratorINS9_10device_ptrIiEEEENSB_INSC_ItEEEESG_tNS9_4plusIvEENS9_8equal_toIvEEtEE10hipError_tPvRmT2_T3_T4_T5_mT6_T7_P12ihipStream_tbENKUlT_T0_E_clISt17integral_constantIbLb0EES10_IbLb1EEEEDaSW_SX_EUlSW_E_NS1_11comp_targetILNS1_3genE9ELNS1_11target_archE1100ELNS1_3gpuE3ELNS1_3repE0EEENS1_30default_config_static_selectorELNS0_4arch9wavefront6targetE1EEEvT1_
	.globl	_ZN7rocprim17ROCPRIM_400000_NS6detail17trampoline_kernelINS0_14default_configENS1_27scan_by_key_config_selectorIitEEZZNS1_16scan_by_key_implILNS1_25lookback_scan_determinismE0ELb0ES3_N6thrust23THRUST_200600_302600_NS6detail15normal_iteratorINS9_10device_ptrIiEEEENSB_INSC_ItEEEESG_tNS9_4plusIvEENS9_8equal_toIvEEtEE10hipError_tPvRmT2_T3_T4_T5_mT6_T7_P12ihipStream_tbENKUlT_T0_E_clISt17integral_constantIbLb0EES10_IbLb1EEEEDaSW_SX_EUlSW_E_NS1_11comp_targetILNS1_3genE9ELNS1_11target_archE1100ELNS1_3gpuE3ELNS1_3repE0EEENS1_30default_config_static_selectorELNS0_4arch9wavefront6targetE1EEEvT1_
	.p2align	8
	.type	_ZN7rocprim17ROCPRIM_400000_NS6detail17trampoline_kernelINS0_14default_configENS1_27scan_by_key_config_selectorIitEEZZNS1_16scan_by_key_implILNS1_25lookback_scan_determinismE0ELb0ES3_N6thrust23THRUST_200600_302600_NS6detail15normal_iteratorINS9_10device_ptrIiEEEENSB_INSC_ItEEEESG_tNS9_4plusIvEENS9_8equal_toIvEEtEE10hipError_tPvRmT2_T3_T4_T5_mT6_T7_P12ihipStream_tbENKUlT_T0_E_clISt17integral_constantIbLb0EES10_IbLb1EEEEDaSW_SX_EUlSW_E_NS1_11comp_targetILNS1_3genE9ELNS1_11target_archE1100ELNS1_3gpuE3ELNS1_3repE0EEENS1_30default_config_static_selectorELNS0_4arch9wavefront6targetE1EEEvT1_,@function
_ZN7rocprim17ROCPRIM_400000_NS6detail17trampoline_kernelINS0_14default_configENS1_27scan_by_key_config_selectorIitEEZZNS1_16scan_by_key_implILNS1_25lookback_scan_determinismE0ELb0ES3_N6thrust23THRUST_200600_302600_NS6detail15normal_iteratorINS9_10device_ptrIiEEEENSB_INSC_ItEEEESG_tNS9_4plusIvEENS9_8equal_toIvEEtEE10hipError_tPvRmT2_T3_T4_T5_mT6_T7_P12ihipStream_tbENKUlT_T0_E_clISt17integral_constantIbLb0EES10_IbLb1EEEEDaSW_SX_EUlSW_E_NS1_11comp_targetILNS1_3genE9ELNS1_11target_archE1100ELNS1_3gpuE3ELNS1_3repE0EEENS1_30default_config_static_selectorELNS0_4arch9wavefront6targetE1EEEvT1_: ; @_ZN7rocprim17ROCPRIM_400000_NS6detail17trampoline_kernelINS0_14default_configENS1_27scan_by_key_config_selectorIitEEZZNS1_16scan_by_key_implILNS1_25lookback_scan_determinismE0ELb0ES3_N6thrust23THRUST_200600_302600_NS6detail15normal_iteratorINS9_10device_ptrIiEEEENSB_INSC_ItEEEESG_tNS9_4plusIvEENS9_8equal_toIvEEtEE10hipError_tPvRmT2_T3_T4_T5_mT6_T7_P12ihipStream_tbENKUlT_T0_E_clISt17integral_constantIbLb0EES10_IbLb1EEEEDaSW_SX_EUlSW_E_NS1_11comp_targetILNS1_3genE9ELNS1_11target_archE1100ELNS1_3gpuE3ELNS1_3repE0EEENS1_30default_config_static_selectorELNS0_4arch9wavefront6targetE1EEEvT1_
; %bb.0:
	.section	.rodata,"a",@progbits
	.p2align	6, 0x0
	.amdhsa_kernel _ZN7rocprim17ROCPRIM_400000_NS6detail17trampoline_kernelINS0_14default_configENS1_27scan_by_key_config_selectorIitEEZZNS1_16scan_by_key_implILNS1_25lookback_scan_determinismE0ELb0ES3_N6thrust23THRUST_200600_302600_NS6detail15normal_iteratorINS9_10device_ptrIiEEEENSB_INSC_ItEEEESG_tNS9_4plusIvEENS9_8equal_toIvEEtEE10hipError_tPvRmT2_T3_T4_T5_mT6_T7_P12ihipStream_tbENKUlT_T0_E_clISt17integral_constantIbLb0EES10_IbLb1EEEEDaSW_SX_EUlSW_E_NS1_11comp_targetILNS1_3genE9ELNS1_11target_archE1100ELNS1_3gpuE3ELNS1_3repE0EEENS1_30default_config_static_selectorELNS0_4arch9wavefront6targetE1EEEvT1_
		.amdhsa_group_segment_fixed_size 0
		.amdhsa_private_segment_fixed_size 0
		.amdhsa_kernarg_size 112
		.amdhsa_user_sgpr_count 6
		.amdhsa_user_sgpr_private_segment_buffer 1
		.amdhsa_user_sgpr_dispatch_ptr 0
		.amdhsa_user_sgpr_queue_ptr 0
		.amdhsa_user_sgpr_kernarg_segment_ptr 1
		.amdhsa_user_sgpr_dispatch_id 0
		.amdhsa_user_sgpr_flat_scratch_init 0
		.amdhsa_user_sgpr_kernarg_preload_length 0
		.amdhsa_user_sgpr_kernarg_preload_offset 0
		.amdhsa_user_sgpr_private_segment_size 0
		.amdhsa_uses_dynamic_stack 0
		.amdhsa_system_sgpr_private_segment_wavefront_offset 0
		.amdhsa_system_sgpr_workgroup_id_x 1
		.amdhsa_system_sgpr_workgroup_id_y 0
		.amdhsa_system_sgpr_workgroup_id_z 0
		.amdhsa_system_sgpr_workgroup_info 0
		.amdhsa_system_vgpr_workitem_id 0
		.amdhsa_next_free_vgpr 1
		.amdhsa_next_free_sgpr 0
		.amdhsa_accum_offset 4
		.amdhsa_reserve_vcc 0
		.amdhsa_reserve_flat_scratch 0
		.amdhsa_float_round_mode_32 0
		.amdhsa_float_round_mode_16_64 0
		.amdhsa_float_denorm_mode_32 3
		.amdhsa_float_denorm_mode_16_64 3
		.amdhsa_dx10_clamp 1
		.amdhsa_ieee_mode 1
		.amdhsa_fp16_overflow 0
		.amdhsa_tg_split 0
		.amdhsa_exception_fp_ieee_invalid_op 0
		.amdhsa_exception_fp_denorm_src 0
		.amdhsa_exception_fp_ieee_div_zero 0
		.amdhsa_exception_fp_ieee_overflow 0
		.amdhsa_exception_fp_ieee_underflow 0
		.amdhsa_exception_fp_ieee_inexact 0
		.amdhsa_exception_int_div_zero 0
	.end_amdhsa_kernel
	.section	.text._ZN7rocprim17ROCPRIM_400000_NS6detail17trampoline_kernelINS0_14default_configENS1_27scan_by_key_config_selectorIitEEZZNS1_16scan_by_key_implILNS1_25lookback_scan_determinismE0ELb0ES3_N6thrust23THRUST_200600_302600_NS6detail15normal_iteratorINS9_10device_ptrIiEEEENSB_INSC_ItEEEESG_tNS9_4plusIvEENS9_8equal_toIvEEtEE10hipError_tPvRmT2_T3_T4_T5_mT6_T7_P12ihipStream_tbENKUlT_T0_E_clISt17integral_constantIbLb0EES10_IbLb1EEEEDaSW_SX_EUlSW_E_NS1_11comp_targetILNS1_3genE9ELNS1_11target_archE1100ELNS1_3gpuE3ELNS1_3repE0EEENS1_30default_config_static_selectorELNS0_4arch9wavefront6targetE1EEEvT1_,"axG",@progbits,_ZN7rocprim17ROCPRIM_400000_NS6detail17trampoline_kernelINS0_14default_configENS1_27scan_by_key_config_selectorIitEEZZNS1_16scan_by_key_implILNS1_25lookback_scan_determinismE0ELb0ES3_N6thrust23THRUST_200600_302600_NS6detail15normal_iteratorINS9_10device_ptrIiEEEENSB_INSC_ItEEEESG_tNS9_4plusIvEENS9_8equal_toIvEEtEE10hipError_tPvRmT2_T3_T4_T5_mT6_T7_P12ihipStream_tbENKUlT_T0_E_clISt17integral_constantIbLb0EES10_IbLb1EEEEDaSW_SX_EUlSW_E_NS1_11comp_targetILNS1_3genE9ELNS1_11target_archE1100ELNS1_3gpuE3ELNS1_3repE0EEENS1_30default_config_static_selectorELNS0_4arch9wavefront6targetE1EEEvT1_,comdat
.Lfunc_end1307:
	.size	_ZN7rocprim17ROCPRIM_400000_NS6detail17trampoline_kernelINS0_14default_configENS1_27scan_by_key_config_selectorIitEEZZNS1_16scan_by_key_implILNS1_25lookback_scan_determinismE0ELb0ES3_N6thrust23THRUST_200600_302600_NS6detail15normal_iteratorINS9_10device_ptrIiEEEENSB_INSC_ItEEEESG_tNS9_4plusIvEENS9_8equal_toIvEEtEE10hipError_tPvRmT2_T3_T4_T5_mT6_T7_P12ihipStream_tbENKUlT_T0_E_clISt17integral_constantIbLb0EES10_IbLb1EEEEDaSW_SX_EUlSW_E_NS1_11comp_targetILNS1_3genE9ELNS1_11target_archE1100ELNS1_3gpuE3ELNS1_3repE0EEENS1_30default_config_static_selectorELNS0_4arch9wavefront6targetE1EEEvT1_, .Lfunc_end1307-_ZN7rocprim17ROCPRIM_400000_NS6detail17trampoline_kernelINS0_14default_configENS1_27scan_by_key_config_selectorIitEEZZNS1_16scan_by_key_implILNS1_25lookback_scan_determinismE0ELb0ES3_N6thrust23THRUST_200600_302600_NS6detail15normal_iteratorINS9_10device_ptrIiEEEENSB_INSC_ItEEEESG_tNS9_4plusIvEENS9_8equal_toIvEEtEE10hipError_tPvRmT2_T3_T4_T5_mT6_T7_P12ihipStream_tbENKUlT_T0_E_clISt17integral_constantIbLb0EES10_IbLb1EEEEDaSW_SX_EUlSW_E_NS1_11comp_targetILNS1_3genE9ELNS1_11target_archE1100ELNS1_3gpuE3ELNS1_3repE0EEENS1_30default_config_static_selectorELNS0_4arch9wavefront6targetE1EEEvT1_
                                        ; -- End function
	.section	.AMDGPU.csdata,"",@progbits
; Kernel info:
; codeLenInByte = 0
; NumSgprs: 4
; NumVgprs: 0
; NumAgprs: 0
; TotalNumVgprs: 0
; ScratchSize: 0
; MemoryBound: 0
; FloatMode: 240
; IeeeMode: 1
; LDSByteSize: 0 bytes/workgroup (compile time only)
; SGPRBlocks: 0
; VGPRBlocks: 0
; NumSGPRsForWavesPerEU: 4
; NumVGPRsForWavesPerEU: 1
; AccumOffset: 4
; Occupancy: 8
; WaveLimiterHint : 0
; COMPUTE_PGM_RSRC2:SCRATCH_EN: 0
; COMPUTE_PGM_RSRC2:USER_SGPR: 6
; COMPUTE_PGM_RSRC2:TRAP_HANDLER: 0
; COMPUTE_PGM_RSRC2:TGID_X_EN: 1
; COMPUTE_PGM_RSRC2:TGID_Y_EN: 0
; COMPUTE_PGM_RSRC2:TGID_Z_EN: 0
; COMPUTE_PGM_RSRC2:TIDIG_COMP_CNT: 0
; COMPUTE_PGM_RSRC3_GFX90A:ACCUM_OFFSET: 0
; COMPUTE_PGM_RSRC3_GFX90A:TG_SPLIT: 0
	.section	.text._ZN7rocprim17ROCPRIM_400000_NS6detail17trampoline_kernelINS0_14default_configENS1_27scan_by_key_config_selectorIitEEZZNS1_16scan_by_key_implILNS1_25lookback_scan_determinismE0ELb0ES3_N6thrust23THRUST_200600_302600_NS6detail15normal_iteratorINS9_10device_ptrIiEEEENSB_INSC_ItEEEESG_tNS9_4plusIvEENS9_8equal_toIvEEtEE10hipError_tPvRmT2_T3_T4_T5_mT6_T7_P12ihipStream_tbENKUlT_T0_E_clISt17integral_constantIbLb0EES10_IbLb1EEEEDaSW_SX_EUlSW_E_NS1_11comp_targetILNS1_3genE8ELNS1_11target_archE1030ELNS1_3gpuE2ELNS1_3repE0EEENS1_30default_config_static_selectorELNS0_4arch9wavefront6targetE1EEEvT1_,"axG",@progbits,_ZN7rocprim17ROCPRIM_400000_NS6detail17trampoline_kernelINS0_14default_configENS1_27scan_by_key_config_selectorIitEEZZNS1_16scan_by_key_implILNS1_25lookback_scan_determinismE0ELb0ES3_N6thrust23THRUST_200600_302600_NS6detail15normal_iteratorINS9_10device_ptrIiEEEENSB_INSC_ItEEEESG_tNS9_4plusIvEENS9_8equal_toIvEEtEE10hipError_tPvRmT2_T3_T4_T5_mT6_T7_P12ihipStream_tbENKUlT_T0_E_clISt17integral_constantIbLb0EES10_IbLb1EEEEDaSW_SX_EUlSW_E_NS1_11comp_targetILNS1_3genE8ELNS1_11target_archE1030ELNS1_3gpuE2ELNS1_3repE0EEENS1_30default_config_static_selectorELNS0_4arch9wavefront6targetE1EEEvT1_,comdat
	.protected	_ZN7rocprim17ROCPRIM_400000_NS6detail17trampoline_kernelINS0_14default_configENS1_27scan_by_key_config_selectorIitEEZZNS1_16scan_by_key_implILNS1_25lookback_scan_determinismE0ELb0ES3_N6thrust23THRUST_200600_302600_NS6detail15normal_iteratorINS9_10device_ptrIiEEEENSB_INSC_ItEEEESG_tNS9_4plusIvEENS9_8equal_toIvEEtEE10hipError_tPvRmT2_T3_T4_T5_mT6_T7_P12ihipStream_tbENKUlT_T0_E_clISt17integral_constantIbLb0EES10_IbLb1EEEEDaSW_SX_EUlSW_E_NS1_11comp_targetILNS1_3genE8ELNS1_11target_archE1030ELNS1_3gpuE2ELNS1_3repE0EEENS1_30default_config_static_selectorELNS0_4arch9wavefront6targetE1EEEvT1_ ; -- Begin function _ZN7rocprim17ROCPRIM_400000_NS6detail17trampoline_kernelINS0_14default_configENS1_27scan_by_key_config_selectorIitEEZZNS1_16scan_by_key_implILNS1_25lookback_scan_determinismE0ELb0ES3_N6thrust23THRUST_200600_302600_NS6detail15normal_iteratorINS9_10device_ptrIiEEEENSB_INSC_ItEEEESG_tNS9_4plusIvEENS9_8equal_toIvEEtEE10hipError_tPvRmT2_T3_T4_T5_mT6_T7_P12ihipStream_tbENKUlT_T0_E_clISt17integral_constantIbLb0EES10_IbLb1EEEEDaSW_SX_EUlSW_E_NS1_11comp_targetILNS1_3genE8ELNS1_11target_archE1030ELNS1_3gpuE2ELNS1_3repE0EEENS1_30default_config_static_selectorELNS0_4arch9wavefront6targetE1EEEvT1_
	.globl	_ZN7rocprim17ROCPRIM_400000_NS6detail17trampoline_kernelINS0_14default_configENS1_27scan_by_key_config_selectorIitEEZZNS1_16scan_by_key_implILNS1_25lookback_scan_determinismE0ELb0ES3_N6thrust23THRUST_200600_302600_NS6detail15normal_iteratorINS9_10device_ptrIiEEEENSB_INSC_ItEEEESG_tNS9_4plusIvEENS9_8equal_toIvEEtEE10hipError_tPvRmT2_T3_T4_T5_mT6_T7_P12ihipStream_tbENKUlT_T0_E_clISt17integral_constantIbLb0EES10_IbLb1EEEEDaSW_SX_EUlSW_E_NS1_11comp_targetILNS1_3genE8ELNS1_11target_archE1030ELNS1_3gpuE2ELNS1_3repE0EEENS1_30default_config_static_selectorELNS0_4arch9wavefront6targetE1EEEvT1_
	.p2align	8
	.type	_ZN7rocprim17ROCPRIM_400000_NS6detail17trampoline_kernelINS0_14default_configENS1_27scan_by_key_config_selectorIitEEZZNS1_16scan_by_key_implILNS1_25lookback_scan_determinismE0ELb0ES3_N6thrust23THRUST_200600_302600_NS6detail15normal_iteratorINS9_10device_ptrIiEEEENSB_INSC_ItEEEESG_tNS9_4plusIvEENS9_8equal_toIvEEtEE10hipError_tPvRmT2_T3_T4_T5_mT6_T7_P12ihipStream_tbENKUlT_T0_E_clISt17integral_constantIbLb0EES10_IbLb1EEEEDaSW_SX_EUlSW_E_NS1_11comp_targetILNS1_3genE8ELNS1_11target_archE1030ELNS1_3gpuE2ELNS1_3repE0EEENS1_30default_config_static_selectorELNS0_4arch9wavefront6targetE1EEEvT1_,@function
_ZN7rocprim17ROCPRIM_400000_NS6detail17trampoline_kernelINS0_14default_configENS1_27scan_by_key_config_selectorIitEEZZNS1_16scan_by_key_implILNS1_25lookback_scan_determinismE0ELb0ES3_N6thrust23THRUST_200600_302600_NS6detail15normal_iteratorINS9_10device_ptrIiEEEENSB_INSC_ItEEEESG_tNS9_4plusIvEENS9_8equal_toIvEEtEE10hipError_tPvRmT2_T3_T4_T5_mT6_T7_P12ihipStream_tbENKUlT_T0_E_clISt17integral_constantIbLb0EES10_IbLb1EEEEDaSW_SX_EUlSW_E_NS1_11comp_targetILNS1_3genE8ELNS1_11target_archE1030ELNS1_3gpuE2ELNS1_3repE0EEENS1_30default_config_static_selectorELNS0_4arch9wavefront6targetE1EEEvT1_: ; @_ZN7rocprim17ROCPRIM_400000_NS6detail17trampoline_kernelINS0_14default_configENS1_27scan_by_key_config_selectorIitEEZZNS1_16scan_by_key_implILNS1_25lookback_scan_determinismE0ELb0ES3_N6thrust23THRUST_200600_302600_NS6detail15normal_iteratorINS9_10device_ptrIiEEEENSB_INSC_ItEEEESG_tNS9_4plusIvEENS9_8equal_toIvEEtEE10hipError_tPvRmT2_T3_T4_T5_mT6_T7_P12ihipStream_tbENKUlT_T0_E_clISt17integral_constantIbLb0EES10_IbLb1EEEEDaSW_SX_EUlSW_E_NS1_11comp_targetILNS1_3genE8ELNS1_11target_archE1030ELNS1_3gpuE2ELNS1_3repE0EEENS1_30default_config_static_selectorELNS0_4arch9wavefront6targetE1EEEvT1_
; %bb.0:
	.section	.rodata,"a",@progbits
	.p2align	6, 0x0
	.amdhsa_kernel _ZN7rocprim17ROCPRIM_400000_NS6detail17trampoline_kernelINS0_14default_configENS1_27scan_by_key_config_selectorIitEEZZNS1_16scan_by_key_implILNS1_25lookback_scan_determinismE0ELb0ES3_N6thrust23THRUST_200600_302600_NS6detail15normal_iteratorINS9_10device_ptrIiEEEENSB_INSC_ItEEEESG_tNS9_4plusIvEENS9_8equal_toIvEEtEE10hipError_tPvRmT2_T3_T4_T5_mT6_T7_P12ihipStream_tbENKUlT_T0_E_clISt17integral_constantIbLb0EES10_IbLb1EEEEDaSW_SX_EUlSW_E_NS1_11comp_targetILNS1_3genE8ELNS1_11target_archE1030ELNS1_3gpuE2ELNS1_3repE0EEENS1_30default_config_static_selectorELNS0_4arch9wavefront6targetE1EEEvT1_
		.amdhsa_group_segment_fixed_size 0
		.amdhsa_private_segment_fixed_size 0
		.amdhsa_kernarg_size 112
		.amdhsa_user_sgpr_count 6
		.amdhsa_user_sgpr_private_segment_buffer 1
		.amdhsa_user_sgpr_dispatch_ptr 0
		.amdhsa_user_sgpr_queue_ptr 0
		.amdhsa_user_sgpr_kernarg_segment_ptr 1
		.amdhsa_user_sgpr_dispatch_id 0
		.amdhsa_user_sgpr_flat_scratch_init 0
		.amdhsa_user_sgpr_kernarg_preload_length 0
		.amdhsa_user_sgpr_kernarg_preload_offset 0
		.amdhsa_user_sgpr_private_segment_size 0
		.amdhsa_uses_dynamic_stack 0
		.amdhsa_system_sgpr_private_segment_wavefront_offset 0
		.amdhsa_system_sgpr_workgroup_id_x 1
		.amdhsa_system_sgpr_workgroup_id_y 0
		.amdhsa_system_sgpr_workgroup_id_z 0
		.amdhsa_system_sgpr_workgroup_info 0
		.amdhsa_system_vgpr_workitem_id 0
		.amdhsa_next_free_vgpr 1
		.amdhsa_next_free_sgpr 0
		.amdhsa_accum_offset 4
		.amdhsa_reserve_vcc 0
		.amdhsa_reserve_flat_scratch 0
		.amdhsa_float_round_mode_32 0
		.amdhsa_float_round_mode_16_64 0
		.amdhsa_float_denorm_mode_32 3
		.amdhsa_float_denorm_mode_16_64 3
		.amdhsa_dx10_clamp 1
		.amdhsa_ieee_mode 1
		.amdhsa_fp16_overflow 0
		.amdhsa_tg_split 0
		.amdhsa_exception_fp_ieee_invalid_op 0
		.amdhsa_exception_fp_denorm_src 0
		.amdhsa_exception_fp_ieee_div_zero 0
		.amdhsa_exception_fp_ieee_overflow 0
		.amdhsa_exception_fp_ieee_underflow 0
		.amdhsa_exception_fp_ieee_inexact 0
		.amdhsa_exception_int_div_zero 0
	.end_amdhsa_kernel
	.section	.text._ZN7rocprim17ROCPRIM_400000_NS6detail17trampoline_kernelINS0_14default_configENS1_27scan_by_key_config_selectorIitEEZZNS1_16scan_by_key_implILNS1_25lookback_scan_determinismE0ELb0ES3_N6thrust23THRUST_200600_302600_NS6detail15normal_iteratorINS9_10device_ptrIiEEEENSB_INSC_ItEEEESG_tNS9_4plusIvEENS9_8equal_toIvEEtEE10hipError_tPvRmT2_T3_T4_T5_mT6_T7_P12ihipStream_tbENKUlT_T0_E_clISt17integral_constantIbLb0EES10_IbLb1EEEEDaSW_SX_EUlSW_E_NS1_11comp_targetILNS1_3genE8ELNS1_11target_archE1030ELNS1_3gpuE2ELNS1_3repE0EEENS1_30default_config_static_selectorELNS0_4arch9wavefront6targetE1EEEvT1_,"axG",@progbits,_ZN7rocprim17ROCPRIM_400000_NS6detail17trampoline_kernelINS0_14default_configENS1_27scan_by_key_config_selectorIitEEZZNS1_16scan_by_key_implILNS1_25lookback_scan_determinismE0ELb0ES3_N6thrust23THRUST_200600_302600_NS6detail15normal_iteratorINS9_10device_ptrIiEEEENSB_INSC_ItEEEESG_tNS9_4plusIvEENS9_8equal_toIvEEtEE10hipError_tPvRmT2_T3_T4_T5_mT6_T7_P12ihipStream_tbENKUlT_T0_E_clISt17integral_constantIbLb0EES10_IbLb1EEEEDaSW_SX_EUlSW_E_NS1_11comp_targetILNS1_3genE8ELNS1_11target_archE1030ELNS1_3gpuE2ELNS1_3repE0EEENS1_30default_config_static_selectorELNS0_4arch9wavefront6targetE1EEEvT1_,comdat
.Lfunc_end1308:
	.size	_ZN7rocprim17ROCPRIM_400000_NS6detail17trampoline_kernelINS0_14default_configENS1_27scan_by_key_config_selectorIitEEZZNS1_16scan_by_key_implILNS1_25lookback_scan_determinismE0ELb0ES3_N6thrust23THRUST_200600_302600_NS6detail15normal_iteratorINS9_10device_ptrIiEEEENSB_INSC_ItEEEESG_tNS9_4plusIvEENS9_8equal_toIvEEtEE10hipError_tPvRmT2_T3_T4_T5_mT6_T7_P12ihipStream_tbENKUlT_T0_E_clISt17integral_constantIbLb0EES10_IbLb1EEEEDaSW_SX_EUlSW_E_NS1_11comp_targetILNS1_3genE8ELNS1_11target_archE1030ELNS1_3gpuE2ELNS1_3repE0EEENS1_30default_config_static_selectorELNS0_4arch9wavefront6targetE1EEEvT1_, .Lfunc_end1308-_ZN7rocprim17ROCPRIM_400000_NS6detail17trampoline_kernelINS0_14default_configENS1_27scan_by_key_config_selectorIitEEZZNS1_16scan_by_key_implILNS1_25lookback_scan_determinismE0ELb0ES3_N6thrust23THRUST_200600_302600_NS6detail15normal_iteratorINS9_10device_ptrIiEEEENSB_INSC_ItEEEESG_tNS9_4plusIvEENS9_8equal_toIvEEtEE10hipError_tPvRmT2_T3_T4_T5_mT6_T7_P12ihipStream_tbENKUlT_T0_E_clISt17integral_constantIbLb0EES10_IbLb1EEEEDaSW_SX_EUlSW_E_NS1_11comp_targetILNS1_3genE8ELNS1_11target_archE1030ELNS1_3gpuE2ELNS1_3repE0EEENS1_30default_config_static_selectorELNS0_4arch9wavefront6targetE1EEEvT1_
                                        ; -- End function
	.section	.AMDGPU.csdata,"",@progbits
; Kernel info:
; codeLenInByte = 0
; NumSgprs: 4
; NumVgprs: 0
; NumAgprs: 0
; TotalNumVgprs: 0
; ScratchSize: 0
; MemoryBound: 0
; FloatMode: 240
; IeeeMode: 1
; LDSByteSize: 0 bytes/workgroup (compile time only)
; SGPRBlocks: 0
; VGPRBlocks: 0
; NumSGPRsForWavesPerEU: 4
; NumVGPRsForWavesPerEU: 1
; AccumOffset: 4
; Occupancy: 8
; WaveLimiterHint : 0
; COMPUTE_PGM_RSRC2:SCRATCH_EN: 0
; COMPUTE_PGM_RSRC2:USER_SGPR: 6
; COMPUTE_PGM_RSRC2:TRAP_HANDLER: 0
; COMPUTE_PGM_RSRC2:TGID_X_EN: 1
; COMPUTE_PGM_RSRC2:TGID_Y_EN: 0
; COMPUTE_PGM_RSRC2:TGID_Z_EN: 0
; COMPUTE_PGM_RSRC2:TIDIG_COMP_CNT: 0
; COMPUTE_PGM_RSRC3_GFX90A:ACCUM_OFFSET: 0
; COMPUTE_PGM_RSRC3_GFX90A:TG_SPLIT: 0
	.section	.text._ZN6thrust23THRUST_200600_302600_NS11hip_rocprim14__parallel_for6kernelILj256ENS1_11__transform17unary_transform_fINS0_7pointerIiNS1_3tagENS0_11use_defaultES8_EENS0_10device_ptrIxEENS4_14no_stencil_tagENS0_8identityIiEENS4_21always_true_predicateEEElLj1EEEvT0_T1_SI_,"axG",@progbits,_ZN6thrust23THRUST_200600_302600_NS11hip_rocprim14__parallel_for6kernelILj256ENS1_11__transform17unary_transform_fINS0_7pointerIiNS1_3tagENS0_11use_defaultES8_EENS0_10device_ptrIxEENS4_14no_stencil_tagENS0_8identityIiEENS4_21always_true_predicateEEElLj1EEEvT0_T1_SI_,comdat
	.protected	_ZN6thrust23THRUST_200600_302600_NS11hip_rocprim14__parallel_for6kernelILj256ENS1_11__transform17unary_transform_fINS0_7pointerIiNS1_3tagENS0_11use_defaultES8_EENS0_10device_ptrIxEENS4_14no_stencil_tagENS0_8identityIiEENS4_21always_true_predicateEEElLj1EEEvT0_T1_SI_ ; -- Begin function _ZN6thrust23THRUST_200600_302600_NS11hip_rocprim14__parallel_for6kernelILj256ENS1_11__transform17unary_transform_fINS0_7pointerIiNS1_3tagENS0_11use_defaultES8_EENS0_10device_ptrIxEENS4_14no_stencil_tagENS0_8identityIiEENS4_21always_true_predicateEEElLj1EEEvT0_T1_SI_
	.globl	_ZN6thrust23THRUST_200600_302600_NS11hip_rocprim14__parallel_for6kernelILj256ENS1_11__transform17unary_transform_fINS0_7pointerIiNS1_3tagENS0_11use_defaultES8_EENS0_10device_ptrIxEENS4_14no_stencil_tagENS0_8identityIiEENS4_21always_true_predicateEEElLj1EEEvT0_T1_SI_
	.p2align	8
	.type	_ZN6thrust23THRUST_200600_302600_NS11hip_rocprim14__parallel_for6kernelILj256ENS1_11__transform17unary_transform_fINS0_7pointerIiNS1_3tagENS0_11use_defaultES8_EENS0_10device_ptrIxEENS4_14no_stencil_tagENS0_8identityIiEENS4_21always_true_predicateEEElLj1EEEvT0_T1_SI_,@function
_ZN6thrust23THRUST_200600_302600_NS11hip_rocprim14__parallel_for6kernelILj256ENS1_11__transform17unary_transform_fINS0_7pointerIiNS1_3tagENS0_11use_defaultES8_EENS0_10device_ptrIxEENS4_14no_stencil_tagENS0_8identityIiEENS4_21always_true_predicateEEElLj1EEEvT0_T1_SI_: ; @_ZN6thrust23THRUST_200600_302600_NS11hip_rocprim14__parallel_for6kernelILj256ENS1_11__transform17unary_transform_fINS0_7pointerIiNS1_3tagENS0_11use_defaultES8_EENS0_10device_ptrIxEENS4_14no_stencil_tagENS0_8identityIiEENS4_21always_true_predicateEEElLj1EEEvT0_T1_SI_
; %bb.0:
	s_load_dwordx4 s[8:11], s[4:5], 0x18
	s_load_dwordx4 s[0:3], s[4:5], 0x0
	s_lshl_b32 s4, s6, 8
	v_mov_b32_e32 v2, 0x100
	v_mov_b32_e32 v3, 0
	s_waitcnt lgkmcnt(0)
	s_add_u32 s6, s4, s10
	s_addc_u32 s7, 0, s11
	s_sub_u32 s4, s8, s6
	s_subb_u32 s5, s9, s7
	v_cmp_lt_i64_e32 vcc, s[4:5], v[2:3]
	s_and_b64 s[8:9], vcc, exec
	s_cselect_b32 s8, s4, 0x100
	s_cmpk_lg_i32 s8, 0x100
	s_mov_b64 s[4:5], -1
	s_cbranch_scc1 .LBB1309_3
; %bb.1:
	s_andn2_b64 vcc, exec, s[4:5]
	s_cbranch_vccz .LBB1309_6
.LBB1309_2:
	s_endpgm
.LBB1309_3:
	v_cmp_gt_u32_e32 vcc, s8, v0
	s_and_saveexec_b64 s[4:5], vcc
	s_cbranch_execz .LBB1309_5
; %bb.4:
	v_mov_b32_e32 v1, s7
	v_add_co_u32_e32 v2, vcc, s6, v0
	v_addc_co_u32_e32 v3, vcc, 0, v1, vcc
	v_lshlrev_b64 v[4:5], 2, v[2:3]
	v_mov_b32_e32 v1, s1
	v_add_co_u32_e32 v4, vcc, s0, v4
	v_addc_co_u32_e32 v5, vcc, v1, v5, vcc
	flat_load_dword v4, v[4:5]
	v_lshlrev_b64 v[2:3], 3, v[2:3]
	v_mov_b32_e32 v1, s3
	v_add_co_u32_e32 v2, vcc, s2, v2
	v_addc_co_u32_e32 v3, vcc, v1, v3, vcc
	s_waitcnt vmcnt(0) lgkmcnt(0)
	v_ashrrev_i32_e32 v5, 31, v4
	flat_store_dwordx2 v[2:3], v[4:5]
.LBB1309_5:
	s_or_b64 exec, exec, s[4:5]
	s_cbranch_execnz .LBB1309_2
.LBB1309_6:
	v_mov_b32_e32 v1, s7
	v_add_co_u32_e32 v0, vcc, s6, v0
	v_addc_co_u32_e32 v1, vcc, 0, v1, vcc
	v_lshlrev_b64 v[2:3], 2, v[0:1]
	v_mov_b32_e32 v4, s1
	v_add_co_u32_e32 v2, vcc, s0, v2
	v_addc_co_u32_e32 v3, vcc, v4, v3, vcc
	flat_load_dword v2, v[2:3]
	v_lshlrev_b64 v[0:1], 3, v[0:1]
	v_mov_b32_e32 v4, s3
	v_add_co_u32_e32 v0, vcc, s2, v0
	v_addc_co_u32_e32 v1, vcc, v4, v1, vcc
	s_waitcnt vmcnt(0) lgkmcnt(0)
	v_ashrrev_i32_e32 v3, 31, v2
	flat_store_dwordx2 v[0:1], v[2:3]
	s_endpgm
	.section	.rodata,"a",@progbits
	.p2align	6, 0x0
	.amdhsa_kernel _ZN6thrust23THRUST_200600_302600_NS11hip_rocprim14__parallel_for6kernelILj256ENS1_11__transform17unary_transform_fINS0_7pointerIiNS1_3tagENS0_11use_defaultES8_EENS0_10device_ptrIxEENS4_14no_stencil_tagENS0_8identityIiEENS4_21always_true_predicateEEElLj1EEEvT0_T1_SI_
		.amdhsa_group_segment_fixed_size 0
		.amdhsa_private_segment_fixed_size 0
		.amdhsa_kernarg_size 40
		.amdhsa_user_sgpr_count 6
		.amdhsa_user_sgpr_private_segment_buffer 1
		.amdhsa_user_sgpr_dispatch_ptr 0
		.amdhsa_user_sgpr_queue_ptr 0
		.amdhsa_user_sgpr_kernarg_segment_ptr 1
		.amdhsa_user_sgpr_dispatch_id 0
		.amdhsa_user_sgpr_flat_scratch_init 0
		.amdhsa_user_sgpr_kernarg_preload_length 0
		.amdhsa_user_sgpr_kernarg_preload_offset 0
		.amdhsa_user_sgpr_private_segment_size 0
		.amdhsa_uses_dynamic_stack 0
		.amdhsa_system_sgpr_private_segment_wavefront_offset 0
		.amdhsa_system_sgpr_workgroup_id_x 1
		.amdhsa_system_sgpr_workgroup_id_y 0
		.amdhsa_system_sgpr_workgroup_id_z 0
		.amdhsa_system_sgpr_workgroup_info 0
		.amdhsa_system_vgpr_workitem_id 0
		.amdhsa_next_free_vgpr 6
		.amdhsa_next_free_sgpr 12
		.amdhsa_accum_offset 8
		.amdhsa_reserve_vcc 1
		.amdhsa_reserve_flat_scratch 0
		.amdhsa_float_round_mode_32 0
		.amdhsa_float_round_mode_16_64 0
		.amdhsa_float_denorm_mode_32 3
		.amdhsa_float_denorm_mode_16_64 3
		.amdhsa_dx10_clamp 1
		.amdhsa_ieee_mode 1
		.amdhsa_fp16_overflow 0
		.amdhsa_tg_split 0
		.amdhsa_exception_fp_ieee_invalid_op 0
		.amdhsa_exception_fp_denorm_src 0
		.amdhsa_exception_fp_ieee_div_zero 0
		.amdhsa_exception_fp_ieee_overflow 0
		.amdhsa_exception_fp_ieee_underflow 0
		.amdhsa_exception_fp_ieee_inexact 0
		.amdhsa_exception_int_div_zero 0
	.end_amdhsa_kernel
	.section	.text._ZN6thrust23THRUST_200600_302600_NS11hip_rocprim14__parallel_for6kernelILj256ENS1_11__transform17unary_transform_fINS0_7pointerIiNS1_3tagENS0_11use_defaultES8_EENS0_10device_ptrIxEENS4_14no_stencil_tagENS0_8identityIiEENS4_21always_true_predicateEEElLj1EEEvT0_T1_SI_,"axG",@progbits,_ZN6thrust23THRUST_200600_302600_NS11hip_rocprim14__parallel_for6kernelILj256ENS1_11__transform17unary_transform_fINS0_7pointerIiNS1_3tagENS0_11use_defaultES8_EENS0_10device_ptrIxEENS4_14no_stencil_tagENS0_8identityIiEENS4_21always_true_predicateEEElLj1EEEvT0_T1_SI_,comdat
.Lfunc_end1309:
	.size	_ZN6thrust23THRUST_200600_302600_NS11hip_rocprim14__parallel_for6kernelILj256ENS1_11__transform17unary_transform_fINS0_7pointerIiNS1_3tagENS0_11use_defaultES8_EENS0_10device_ptrIxEENS4_14no_stencil_tagENS0_8identityIiEENS4_21always_true_predicateEEElLj1EEEvT0_T1_SI_, .Lfunc_end1309-_ZN6thrust23THRUST_200600_302600_NS11hip_rocprim14__parallel_for6kernelILj256ENS1_11__transform17unary_transform_fINS0_7pointerIiNS1_3tagENS0_11use_defaultES8_EENS0_10device_ptrIxEENS4_14no_stencil_tagENS0_8identityIiEENS4_21always_true_predicateEEElLj1EEEvT0_T1_SI_
                                        ; -- End function
	.section	.AMDGPU.csdata,"",@progbits
; Kernel info:
; codeLenInByte = 268
; NumSgprs: 16
; NumVgprs: 6
; NumAgprs: 0
; TotalNumVgprs: 6
; ScratchSize: 0
; MemoryBound: 0
; FloatMode: 240
; IeeeMode: 1
; LDSByteSize: 0 bytes/workgroup (compile time only)
; SGPRBlocks: 1
; VGPRBlocks: 0
; NumSGPRsForWavesPerEU: 16
; NumVGPRsForWavesPerEU: 6
; AccumOffset: 8
; Occupancy: 8
; WaveLimiterHint : 0
; COMPUTE_PGM_RSRC2:SCRATCH_EN: 0
; COMPUTE_PGM_RSRC2:USER_SGPR: 6
; COMPUTE_PGM_RSRC2:TRAP_HANDLER: 0
; COMPUTE_PGM_RSRC2:TGID_X_EN: 1
; COMPUTE_PGM_RSRC2:TGID_Y_EN: 0
; COMPUTE_PGM_RSRC2:TGID_Z_EN: 0
; COMPUTE_PGM_RSRC2:TIDIG_COMP_CNT: 0
; COMPUTE_PGM_RSRC3_GFX90A:ACCUM_OFFSET: 1
; COMPUTE_PGM_RSRC3_GFX90A:TG_SPLIT: 0
	.section	.text._ZN7rocprim17ROCPRIM_400000_NS6detail30init_device_scan_by_key_kernelINS1_19lookback_scan_stateINS0_5tupleIJxbEEELb0ELb0EEEN6thrust23THRUST_200600_302600_NS6detail15normal_iteratorINS8_10device_ptrIiEEEEjNS1_16block_id_wrapperIjLb0EEEEEvT_jjPNSG_10value_typeET0_PNSt15iterator_traitsISJ_E10value_typeEmT1_T2_,"axG",@progbits,_ZN7rocprim17ROCPRIM_400000_NS6detail30init_device_scan_by_key_kernelINS1_19lookback_scan_stateINS0_5tupleIJxbEEELb0ELb0EEEN6thrust23THRUST_200600_302600_NS6detail15normal_iteratorINS8_10device_ptrIiEEEEjNS1_16block_id_wrapperIjLb0EEEEEvT_jjPNSG_10value_typeET0_PNSt15iterator_traitsISJ_E10value_typeEmT1_T2_,comdat
	.protected	_ZN7rocprim17ROCPRIM_400000_NS6detail30init_device_scan_by_key_kernelINS1_19lookback_scan_stateINS0_5tupleIJxbEEELb0ELb0EEEN6thrust23THRUST_200600_302600_NS6detail15normal_iteratorINS8_10device_ptrIiEEEEjNS1_16block_id_wrapperIjLb0EEEEEvT_jjPNSG_10value_typeET0_PNSt15iterator_traitsISJ_E10value_typeEmT1_T2_ ; -- Begin function _ZN7rocprim17ROCPRIM_400000_NS6detail30init_device_scan_by_key_kernelINS1_19lookback_scan_stateINS0_5tupleIJxbEEELb0ELb0EEEN6thrust23THRUST_200600_302600_NS6detail15normal_iteratorINS8_10device_ptrIiEEEEjNS1_16block_id_wrapperIjLb0EEEEEvT_jjPNSG_10value_typeET0_PNSt15iterator_traitsISJ_E10value_typeEmT1_T2_
	.globl	_ZN7rocprim17ROCPRIM_400000_NS6detail30init_device_scan_by_key_kernelINS1_19lookback_scan_stateINS0_5tupleIJxbEEELb0ELb0EEEN6thrust23THRUST_200600_302600_NS6detail15normal_iteratorINS8_10device_ptrIiEEEEjNS1_16block_id_wrapperIjLb0EEEEEvT_jjPNSG_10value_typeET0_PNSt15iterator_traitsISJ_E10value_typeEmT1_T2_
	.p2align	8
	.type	_ZN7rocprim17ROCPRIM_400000_NS6detail30init_device_scan_by_key_kernelINS1_19lookback_scan_stateINS0_5tupleIJxbEEELb0ELb0EEEN6thrust23THRUST_200600_302600_NS6detail15normal_iteratorINS8_10device_ptrIiEEEEjNS1_16block_id_wrapperIjLb0EEEEEvT_jjPNSG_10value_typeET0_PNSt15iterator_traitsISJ_E10value_typeEmT1_T2_,@function
_ZN7rocprim17ROCPRIM_400000_NS6detail30init_device_scan_by_key_kernelINS1_19lookback_scan_stateINS0_5tupleIJxbEEELb0ELb0EEEN6thrust23THRUST_200600_302600_NS6detail15normal_iteratorINS8_10device_ptrIiEEEEjNS1_16block_id_wrapperIjLb0EEEEEvT_jjPNSG_10value_typeET0_PNSt15iterator_traitsISJ_E10value_typeEmT1_T2_: ; @_ZN7rocprim17ROCPRIM_400000_NS6detail30init_device_scan_by_key_kernelINS1_19lookback_scan_stateINS0_5tupleIJxbEEELb0ELb0EEEN6thrust23THRUST_200600_302600_NS6detail15normal_iteratorINS8_10device_ptrIiEEEEjNS1_16block_id_wrapperIjLb0EEEEEvT_jjPNSG_10value_typeET0_PNSt15iterator_traitsISJ_E10value_typeEmT1_T2_
; %bb.0:
	s_load_dword s0, s[4:5], 0x54
	s_load_dwordx8 s[8:15], s[4:5], 0x10
	s_load_dword s20, s[4:5], 0x48
	s_waitcnt lgkmcnt(0)
	s_and_b32 s21, s0, 0xffff
	s_mul_i32 s6, s6, s21
	s_cmp_eq_u64 s[12:13], 0
	v_add_u32_e32 v0, s6, v0
	s_cbranch_scc1 .LBB1310_7
; %bb.1:
	s_cmp_lt_u32 s11, s10
	s_cselect_b32 s0, s11, 0
	s_mov_b32 s17, 0
	v_cmp_eq_u32_e32 vcc, s0, v0
	s_and_saveexec_b64 s[6:7], vcc
	s_cbranch_execz .LBB1310_6
; %bb.2:
	s_add_i32 s16, s11, 64
	v_mov_b32_e32 v1, s16
	global_load_ubyte v1, v1, s[8:9] glc
	s_load_dwordx4 s[0:3], s[4:5], 0x0
	s_add_u32 s18, s8, s16
	s_addc_u32 s19, s9, 0
	s_waitcnt vmcnt(0)
	v_cmp_ne_u16_e32 vcc, 0, v1
	v_readfirstlane_b32 s11, v1
	s_cbranch_vccnz .LBB1310_5
; %bb.3:
	v_mov_b32_e32 v1, 0
.LBB1310_4:                             ; =>This Inner Loop Header: Depth=1
	global_load_ubyte v2, v1, s[18:19] glc
	s_waitcnt vmcnt(0)
	v_cmp_eq_u16_e32 vcc, 0, v2
	v_readfirstlane_b32 s11, v2
	s_cbranch_vccnz .LBB1310_4
.LBB1310_5:
	s_and_b32 s11, 0xffff, s11
	s_cmp_eq_u32 s11, 1
	s_waitcnt lgkmcnt(0)
	s_cselect_b32 s3, s1, s3
	s_cselect_b32 s2, s0, s2
	s_lshl_b64 s[0:1], s[16:17], 4
	s_add_u32 s0, s2, s0
	s_addc_u32 s1, s3, s1
	v_mov_b32_e32 v1, 0
	buffer_wbinvl1_vol
	global_load_dwordx2 v[2:3], v1, s[0:1]
	global_load_ubyte v4, v1, s[0:1] offset:8
	s_waitcnt vmcnt(1)
	global_store_dwordx2 v1, v[2:3], s[12:13]
	s_waitcnt vmcnt(1)
	global_store_byte v1, v4, s[12:13] offset:8
.LBB1310_6:
	s_or_b64 exec, exec, s[6:7]
.LBB1310_7:
	v_cmp_gt_u32_e32 vcc, s10, v0
	s_and_saveexec_b64 s[0:1], vcc
	s_cbranch_execz .LBB1310_9
; %bb.8:
	v_add_u32_e32 v1, 64, v0
	v_mov_b32_e32 v2, 0
	global_store_byte v1, v2, s[8:9]
.LBB1310_9:
	s_or_b64 exec, exec, s[0:1]
	v_cmp_gt_u32_e32 vcc, 64, v0
	v_mov_b32_e32 v1, 0
	s_and_saveexec_b64 s[0:1], vcc
	s_cbranch_execz .LBB1310_11
; %bb.10:
	v_mov_b32_e32 v3, s9
	v_add_co_u32_e32 v2, vcc, s8, v0
	v_addc_co_u32_e32 v3, vcc, 0, v3, vcc
	v_mov_b32_e32 v4, 0xff
	global_store_byte v[2:3], v4, off
.LBB1310_11:
	s_or_b64 exec, exec, s[0:1]
	s_load_dwordx2 s[0:1], s[4:5], 0x38
	s_waitcnt lgkmcnt(0)
	v_cmp_gt_u64_e32 vcc, s[0:1], v[0:1]
	s_and_saveexec_b64 s[2:3], vcc
	s_cbranch_execz .LBB1310_14
; %bb.12:
	s_load_dword s10, s[4:5], 0x40
	s_load_dwordx2 s[6:7], s[4:5], 0x30
	s_mov_b32 s5, 0
	s_mov_b32 s3, s5
	s_mul_i32 s2, s20, s21
	s_waitcnt lgkmcnt(0)
	s_add_i32 s4, s10, -1
	s_lshl_b64 s[4:5], s[4:5], 2
	v_mad_u64_u32 v[2:3], s[8:9], s10, v0, 0
	s_add_u32 s4, s14, s4
	v_lshlrev_b64 v[2:3], 2, v[2:3]
	s_addc_u32 s5, s15, s5
	v_mov_b32_e32 v4, s5
	v_add_co_u32_e32 v2, vcc, s4, v2
	v_addc_co_u32_e32 v3, vcc, v4, v3, vcc
	s_mul_hi_u32 s5, s10, s2
	s_mul_i32 s4, s10, s2
	v_lshlrev_b64 v[4:5], 2, v[0:1]
	s_lshl_b64 s[4:5], s[4:5], 2
	v_mov_b32_e32 v6, s7
	v_add_co_u32_e32 v4, vcc, s6, v4
	s_lshl_b64 s[6:7], s[2:3], 2
	v_addc_co_u32_e32 v5, vcc, v6, v5, vcc
	s_mov_b64 s[8:9], 0
	v_mov_b32_e32 v6, s3
	v_mov_b32_e32 v7, s5
	;; [unrolled: 1-line block ×3, first 2 shown]
.LBB1310_13:                            ; =>This Inner Loop Header: Depth=1
	global_load_dword v9, v[2:3], off
	v_add_co_u32_e32 v0, vcc, s2, v0
	v_addc_co_u32_e32 v1, vcc, v1, v6, vcc
	v_add_co_u32_e32 v2, vcc, s4, v2
	v_addc_co_u32_e32 v3, vcc, v3, v7, vcc
	v_cmp_le_u64_e32 vcc, s[0:1], v[0:1]
	s_or_b64 s[8:9], vcc, s[8:9]
	s_waitcnt vmcnt(0)
	global_store_dword v[4:5], v9, off
	v_add_co_u32_e32 v4, vcc, s6, v4
	v_addc_co_u32_e32 v5, vcc, v5, v8, vcc
	s_andn2_b64 exec, exec, s[8:9]
	s_cbranch_execnz .LBB1310_13
.LBB1310_14:
	s_endpgm
	.section	.rodata,"a",@progbits
	.p2align	6, 0x0
	.amdhsa_kernel _ZN7rocprim17ROCPRIM_400000_NS6detail30init_device_scan_by_key_kernelINS1_19lookback_scan_stateINS0_5tupleIJxbEEELb0ELb0EEEN6thrust23THRUST_200600_302600_NS6detail15normal_iteratorINS8_10device_ptrIiEEEEjNS1_16block_id_wrapperIjLb0EEEEEvT_jjPNSG_10value_typeET0_PNSt15iterator_traitsISJ_E10value_typeEmT1_T2_
		.amdhsa_group_segment_fixed_size 0
		.amdhsa_private_segment_fixed_size 0
		.amdhsa_kernarg_size 328
		.amdhsa_user_sgpr_count 6
		.amdhsa_user_sgpr_private_segment_buffer 1
		.amdhsa_user_sgpr_dispatch_ptr 0
		.amdhsa_user_sgpr_queue_ptr 0
		.amdhsa_user_sgpr_kernarg_segment_ptr 1
		.amdhsa_user_sgpr_dispatch_id 0
		.amdhsa_user_sgpr_flat_scratch_init 0
		.amdhsa_user_sgpr_kernarg_preload_length 0
		.amdhsa_user_sgpr_kernarg_preload_offset 0
		.amdhsa_user_sgpr_private_segment_size 0
		.amdhsa_uses_dynamic_stack 0
		.amdhsa_system_sgpr_private_segment_wavefront_offset 0
		.amdhsa_system_sgpr_workgroup_id_x 1
		.amdhsa_system_sgpr_workgroup_id_y 0
		.amdhsa_system_sgpr_workgroup_id_z 0
		.amdhsa_system_sgpr_workgroup_info 0
		.amdhsa_system_vgpr_workitem_id 0
		.amdhsa_next_free_vgpr 10
		.amdhsa_next_free_sgpr 22
		.amdhsa_accum_offset 12
		.amdhsa_reserve_vcc 1
		.amdhsa_reserve_flat_scratch 0
		.amdhsa_float_round_mode_32 0
		.amdhsa_float_round_mode_16_64 0
		.amdhsa_float_denorm_mode_32 3
		.amdhsa_float_denorm_mode_16_64 3
		.amdhsa_dx10_clamp 1
		.amdhsa_ieee_mode 1
		.amdhsa_fp16_overflow 0
		.amdhsa_tg_split 0
		.amdhsa_exception_fp_ieee_invalid_op 0
		.amdhsa_exception_fp_denorm_src 0
		.amdhsa_exception_fp_ieee_div_zero 0
		.amdhsa_exception_fp_ieee_overflow 0
		.amdhsa_exception_fp_ieee_underflow 0
		.amdhsa_exception_fp_ieee_inexact 0
		.amdhsa_exception_int_div_zero 0
	.end_amdhsa_kernel
	.section	.text._ZN7rocprim17ROCPRIM_400000_NS6detail30init_device_scan_by_key_kernelINS1_19lookback_scan_stateINS0_5tupleIJxbEEELb0ELb0EEEN6thrust23THRUST_200600_302600_NS6detail15normal_iteratorINS8_10device_ptrIiEEEEjNS1_16block_id_wrapperIjLb0EEEEEvT_jjPNSG_10value_typeET0_PNSt15iterator_traitsISJ_E10value_typeEmT1_T2_,"axG",@progbits,_ZN7rocprim17ROCPRIM_400000_NS6detail30init_device_scan_by_key_kernelINS1_19lookback_scan_stateINS0_5tupleIJxbEEELb0ELb0EEEN6thrust23THRUST_200600_302600_NS6detail15normal_iteratorINS8_10device_ptrIiEEEEjNS1_16block_id_wrapperIjLb0EEEEEvT_jjPNSG_10value_typeET0_PNSt15iterator_traitsISJ_E10value_typeEmT1_T2_,comdat
.Lfunc_end1310:
	.size	_ZN7rocprim17ROCPRIM_400000_NS6detail30init_device_scan_by_key_kernelINS1_19lookback_scan_stateINS0_5tupleIJxbEEELb0ELb0EEEN6thrust23THRUST_200600_302600_NS6detail15normal_iteratorINS8_10device_ptrIiEEEEjNS1_16block_id_wrapperIjLb0EEEEEvT_jjPNSG_10value_typeET0_PNSt15iterator_traitsISJ_E10value_typeEmT1_T2_, .Lfunc_end1310-_ZN7rocprim17ROCPRIM_400000_NS6detail30init_device_scan_by_key_kernelINS1_19lookback_scan_stateINS0_5tupleIJxbEEELb0ELb0EEEN6thrust23THRUST_200600_302600_NS6detail15normal_iteratorINS8_10device_ptrIiEEEEjNS1_16block_id_wrapperIjLb0EEEEEvT_jjPNSG_10value_typeET0_PNSt15iterator_traitsISJ_E10value_typeEmT1_T2_
                                        ; -- End function
	.section	.AMDGPU.csdata,"",@progbits
; Kernel info:
; codeLenInByte = 540
; NumSgprs: 26
; NumVgprs: 10
; NumAgprs: 0
; TotalNumVgprs: 10
; ScratchSize: 0
; MemoryBound: 0
; FloatMode: 240
; IeeeMode: 1
; LDSByteSize: 0 bytes/workgroup (compile time only)
; SGPRBlocks: 3
; VGPRBlocks: 1
; NumSGPRsForWavesPerEU: 26
; NumVGPRsForWavesPerEU: 10
; AccumOffset: 12
; Occupancy: 8
; WaveLimiterHint : 0
; COMPUTE_PGM_RSRC2:SCRATCH_EN: 0
; COMPUTE_PGM_RSRC2:USER_SGPR: 6
; COMPUTE_PGM_RSRC2:TRAP_HANDLER: 0
; COMPUTE_PGM_RSRC2:TGID_X_EN: 1
; COMPUTE_PGM_RSRC2:TGID_Y_EN: 0
; COMPUTE_PGM_RSRC2:TGID_Z_EN: 0
; COMPUTE_PGM_RSRC2:TIDIG_COMP_CNT: 0
; COMPUTE_PGM_RSRC3_GFX90A:ACCUM_OFFSET: 2
; COMPUTE_PGM_RSRC3_GFX90A:TG_SPLIT: 0
	.section	.text._ZN7rocprim17ROCPRIM_400000_NS6detail17trampoline_kernelINS0_14default_configENS1_27scan_by_key_config_selectorIixEEZZNS1_16scan_by_key_implILNS1_25lookback_scan_determinismE0ELb0ES3_N6thrust23THRUST_200600_302600_NS6detail15normal_iteratorINS9_10device_ptrIiEEEENSB_INSC_IxEEEESG_xNS9_4plusIvEENS9_8equal_toIvEExEE10hipError_tPvRmT2_T3_T4_T5_mT6_T7_P12ihipStream_tbENKUlT_T0_E_clISt17integral_constantIbLb0EES11_EEDaSW_SX_EUlSW_E_NS1_11comp_targetILNS1_3genE0ELNS1_11target_archE4294967295ELNS1_3gpuE0ELNS1_3repE0EEENS1_30default_config_static_selectorELNS0_4arch9wavefront6targetE1EEEvT1_,"axG",@progbits,_ZN7rocprim17ROCPRIM_400000_NS6detail17trampoline_kernelINS0_14default_configENS1_27scan_by_key_config_selectorIixEEZZNS1_16scan_by_key_implILNS1_25lookback_scan_determinismE0ELb0ES3_N6thrust23THRUST_200600_302600_NS6detail15normal_iteratorINS9_10device_ptrIiEEEENSB_INSC_IxEEEESG_xNS9_4plusIvEENS9_8equal_toIvEExEE10hipError_tPvRmT2_T3_T4_T5_mT6_T7_P12ihipStream_tbENKUlT_T0_E_clISt17integral_constantIbLb0EES11_EEDaSW_SX_EUlSW_E_NS1_11comp_targetILNS1_3genE0ELNS1_11target_archE4294967295ELNS1_3gpuE0ELNS1_3repE0EEENS1_30default_config_static_selectorELNS0_4arch9wavefront6targetE1EEEvT1_,comdat
	.protected	_ZN7rocprim17ROCPRIM_400000_NS6detail17trampoline_kernelINS0_14default_configENS1_27scan_by_key_config_selectorIixEEZZNS1_16scan_by_key_implILNS1_25lookback_scan_determinismE0ELb0ES3_N6thrust23THRUST_200600_302600_NS6detail15normal_iteratorINS9_10device_ptrIiEEEENSB_INSC_IxEEEESG_xNS9_4plusIvEENS9_8equal_toIvEExEE10hipError_tPvRmT2_T3_T4_T5_mT6_T7_P12ihipStream_tbENKUlT_T0_E_clISt17integral_constantIbLb0EES11_EEDaSW_SX_EUlSW_E_NS1_11comp_targetILNS1_3genE0ELNS1_11target_archE4294967295ELNS1_3gpuE0ELNS1_3repE0EEENS1_30default_config_static_selectorELNS0_4arch9wavefront6targetE1EEEvT1_ ; -- Begin function _ZN7rocprim17ROCPRIM_400000_NS6detail17trampoline_kernelINS0_14default_configENS1_27scan_by_key_config_selectorIixEEZZNS1_16scan_by_key_implILNS1_25lookback_scan_determinismE0ELb0ES3_N6thrust23THRUST_200600_302600_NS6detail15normal_iteratorINS9_10device_ptrIiEEEENSB_INSC_IxEEEESG_xNS9_4plusIvEENS9_8equal_toIvEExEE10hipError_tPvRmT2_T3_T4_T5_mT6_T7_P12ihipStream_tbENKUlT_T0_E_clISt17integral_constantIbLb0EES11_EEDaSW_SX_EUlSW_E_NS1_11comp_targetILNS1_3genE0ELNS1_11target_archE4294967295ELNS1_3gpuE0ELNS1_3repE0EEENS1_30default_config_static_selectorELNS0_4arch9wavefront6targetE1EEEvT1_
	.globl	_ZN7rocprim17ROCPRIM_400000_NS6detail17trampoline_kernelINS0_14default_configENS1_27scan_by_key_config_selectorIixEEZZNS1_16scan_by_key_implILNS1_25lookback_scan_determinismE0ELb0ES3_N6thrust23THRUST_200600_302600_NS6detail15normal_iteratorINS9_10device_ptrIiEEEENSB_INSC_IxEEEESG_xNS9_4plusIvEENS9_8equal_toIvEExEE10hipError_tPvRmT2_T3_T4_T5_mT6_T7_P12ihipStream_tbENKUlT_T0_E_clISt17integral_constantIbLb0EES11_EEDaSW_SX_EUlSW_E_NS1_11comp_targetILNS1_3genE0ELNS1_11target_archE4294967295ELNS1_3gpuE0ELNS1_3repE0EEENS1_30default_config_static_selectorELNS0_4arch9wavefront6targetE1EEEvT1_
	.p2align	8
	.type	_ZN7rocprim17ROCPRIM_400000_NS6detail17trampoline_kernelINS0_14default_configENS1_27scan_by_key_config_selectorIixEEZZNS1_16scan_by_key_implILNS1_25lookback_scan_determinismE0ELb0ES3_N6thrust23THRUST_200600_302600_NS6detail15normal_iteratorINS9_10device_ptrIiEEEENSB_INSC_IxEEEESG_xNS9_4plusIvEENS9_8equal_toIvEExEE10hipError_tPvRmT2_T3_T4_T5_mT6_T7_P12ihipStream_tbENKUlT_T0_E_clISt17integral_constantIbLb0EES11_EEDaSW_SX_EUlSW_E_NS1_11comp_targetILNS1_3genE0ELNS1_11target_archE4294967295ELNS1_3gpuE0ELNS1_3repE0EEENS1_30default_config_static_selectorELNS0_4arch9wavefront6targetE1EEEvT1_,@function
_ZN7rocprim17ROCPRIM_400000_NS6detail17trampoline_kernelINS0_14default_configENS1_27scan_by_key_config_selectorIixEEZZNS1_16scan_by_key_implILNS1_25lookback_scan_determinismE0ELb0ES3_N6thrust23THRUST_200600_302600_NS6detail15normal_iteratorINS9_10device_ptrIiEEEENSB_INSC_IxEEEESG_xNS9_4plusIvEENS9_8equal_toIvEExEE10hipError_tPvRmT2_T3_T4_T5_mT6_T7_P12ihipStream_tbENKUlT_T0_E_clISt17integral_constantIbLb0EES11_EEDaSW_SX_EUlSW_E_NS1_11comp_targetILNS1_3genE0ELNS1_11target_archE4294967295ELNS1_3gpuE0ELNS1_3repE0EEENS1_30default_config_static_selectorELNS0_4arch9wavefront6targetE1EEEvT1_: ; @_ZN7rocprim17ROCPRIM_400000_NS6detail17trampoline_kernelINS0_14default_configENS1_27scan_by_key_config_selectorIixEEZZNS1_16scan_by_key_implILNS1_25lookback_scan_determinismE0ELb0ES3_N6thrust23THRUST_200600_302600_NS6detail15normal_iteratorINS9_10device_ptrIiEEEENSB_INSC_IxEEEESG_xNS9_4plusIvEENS9_8equal_toIvEExEE10hipError_tPvRmT2_T3_T4_T5_mT6_T7_P12ihipStream_tbENKUlT_T0_E_clISt17integral_constantIbLb0EES11_EEDaSW_SX_EUlSW_E_NS1_11comp_targetILNS1_3genE0ELNS1_11target_archE4294967295ELNS1_3gpuE0ELNS1_3repE0EEENS1_30default_config_static_selectorELNS0_4arch9wavefront6targetE1EEEvT1_
; %bb.0:
	.section	.rodata,"a",@progbits
	.p2align	6, 0x0
	.amdhsa_kernel _ZN7rocprim17ROCPRIM_400000_NS6detail17trampoline_kernelINS0_14default_configENS1_27scan_by_key_config_selectorIixEEZZNS1_16scan_by_key_implILNS1_25lookback_scan_determinismE0ELb0ES3_N6thrust23THRUST_200600_302600_NS6detail15normal_iteratorINS9_10device_ptrIiEEEENSB_INSC_IxEEEESG_xNS9_4plusIvEENS9_8equal_toIvEExEE10hipError_tPvRmT2_T3_T4_T5_mT6_T7_P12ihipStream_tbENKUlT_T0_E_clISt17integral_constantIbLb0EES11_EEDaSW_SX_EUlSW_E_NS1_11comp_targetILNS1_3genE0ELNS1_11target_archE4294967295ELNS1_3gpuE0ELNS1_3repE0EEENS1_30default_config_static_selectorELNS0_4arch9wavefront6targetE1EEEvT1_
		.amdhsa_group_segment_fixed_size 0
		.amdhsa_private_segment_fixed_size 0
		.amdhsa_kernarg_size 136
		.amdhsa_user_sgpr_count 6
		.amdhsa_user_sgpr_private_segment_buffer 1
		.amdhsa_user_sgpr_dispatch_ptr 0
		.amdhsa_user_sgpr_queue_ptr 0
		.amdhsa_user_sgpr_kernarg_segment_ptr 1
		.amdhsa_user_sgpr_dispatch_id 0
		.amdhsa_user_sgpr_flat_scratch_init 0
		.amdhsa_user_sgpr_kernarg_preload_length 0
		.amdhsa_user_sgpr_kernarg_preload_offset 0
		.amdhsa_user_sgpr_private_segment_size 0
		.amdhsa_uses_dynamic_stack 0
		.amdhsa_system_sgpr_private_segment_wavefront_offset 0
		.amdhsa_system_sgpr_workgroup_id_x 1
		.amdhsa_system_sgpr_workgroup_id_y 0
		.amdhsa_system_sgpr_workgroup_id_z 0
		.amdhsa_system_sgpr_workgroup_info 0
		.amdhsa_system_vgpr_workitem_id 0
		.amdhsa_next_free_vgpr 1
		.amdhsa_next_free_sgpr 0
		.amdhsa_accum_offset 4
		.amdhsa_reserve_vcc 0
		.amdhsa_reserve_flat_scratch 0
		.amdhsa_float_round_mode_32 0
		.amdhsa_float_round_mode_16_64 0
		.amdhsa_float_denorm_mode_32 3
		.amdhsa_float_denorm_mode_16_64 3
		.amdhsa_dx10_clamp 1
		.amdhsa_ieee_mode 1
		.amdhsa_fp16_overflow 0
		.amdhsa_tg_split 0
		.amdhsa_exception_fp_ieee_invalid_op 0
		.amdhsa_exception_fp_denorm_src 0
		.amdhsa_exception_fp_ieee_div_zero 0
		.amdhsa_exception_fp_ieee_overflow 0
		.amdhsa_exception_fp_ieee_underflow 0
		.amdhsa_exception_fp_ieee_inexact 0
		.amdhsa_exception_int_div_zero 0
	.end_amdhsa_kernel
	.section	.text._ZN7rocprim17ROCPRIM_400000_NS6detail17trampoline_kernelINS0_14default_configENS1_27scan_by_key_config_selectorIixEEZZNS1_16scan_by_key_implILNS1_25lookback_scan_determinismE0ELb0ES3_N6thrust23THRUST_200600_302600_NS6detail15normal_iteratorINS9_10device_ptrIiEEEENSB_INSC_IxEEEESG_xNS9_4plusIvEENS9_8equal_toIvEExEE10hipError_tPvRmT2_T3_T4_T5_mT6_T7_P12ihipStream_tbENKUlT_T0_E_clISt17integral_constantIbLb0EES11_EEDaSW_SX_EUlSW_E_NS1_11comp_targetILNS1_3genE0ELNS1_11target_archE4294967295ELNS1_3gpuE0ELNS1_3repE0EEENS1_30default_config_static_selectorELNS0_4arch9wavefront6targetE1EEEvT1_,"axG",@progbits,_ZN7rocprim17ROCPRIM_400000_NS6detail17trampoline_kernelINS0_14default_configENS1_27scan_by_key_config_selectorIixEEZZNS1_16scan_by_key_implILNS1_25lookback_scan_determinismE0ELb0ES3_N6thrust23THRUST_200600_302600_NS6detail15normal_iteratorINS9_10device_ptrIiEEEENSB_INSC_IxEEEESG_xNS9_4plusIvEENS9_8equal_toIvEExEE10hipError_tPvRmT2_T3_T4_T5_mT6_T7_P12ihipStream_tbENKUlT_T0_E_clISt17integral_constantIbLb0EES11_EEDaSW_SX_EUlSW_E_NS1_11comp_targetILNS1_3genE0ELNS1_11target_archE4294967295ELNS1_3gpuE0ELNS1_3repE0EEENS1_30default_config_static_selectorELNS0_4arch9wavefront6targetE1EEEvT1_,comdat
.Lfunc_end1311:
	.size	_ZN7rocprim17ROCPRIM_400000_NS6detail17trampoline_kernelINS0_14default_configENS1_27scan_by_key_config_selectorIixEEZZNS1_16scan_by_key_implILNS1_25lookback_scan_determinismE0ELb0ES3_N6thrust23THRUST_200600_302600_NS6detail15normal_iteratorINS9_10device_ptrIiEEEENSB_INSC_IxEEEESG_xNS9_4plusIvEENS9_8equal_toIvEExEE10hipError_tPvRmT2_T3_T4_T5_mT6_T7_P12ihipStream_tbENKUlT_T0_E_clISt17integral_constantIbLb0EES11_EEDaSW_SX_EUlSW_E_NS1_11comp_targetILNS1_3genE0ELNS1_11target_archE4294967295ELNS1_3gpuE0ELNS1_3repE0EEENS1_30default_config_static_selectorELNS0_4arch9wavefront6targetE1EEEvT1_, .Lfunc_end1311-_ZN7rocprim17ROCPRIM_400000_NS6detail17trampoline_kernelINS0_14default_configENS1_27scan_by_key_config_selectorIixEEZZNS1_16scan_by_key_implILNS1_25lookback_scan_determinismE0ELb0ES3_N6thrust23THRUST_200600_302600_NS6detail15normal_iteratorINS9_10device_ptrIiEEEENSB_INSC_IxEEEESG_xNS9_4plusIvEENS9_8equal_toIvEExEE10hipError_tPvRmT2_T3_T4_T5_mT6_T7_P12ihipStream_tbENKUlT_T0_E_clISt17integral_constantIbLb0EES11_EEDaSW_SX_EUlSW_E_NS1_11comp_targetILNS1_3genE0ELNS1_11target_archE4294967295ELNS1_3gpuE0ELNS1_3repE0EEENS1_30default_config_static_selectorELNS0_4arch9wavefront6targetE1EEEvT1_
                                        ; -- End function
	.section	.AMDGPU.csdata,"",@progbits
; Kernel info:
; codeLenInByte = 0
; NumSgprs: 4
; NumVgprs: 0
; NumAgprs: 0
; TotalNumVgprs: 0
; ScratchSize: 0
; MemoryBound: 0
; FloatMode: 240
; IeeeMode: 1
; LDSByteSize: 0 bytes/workgroup (compile time only)
; SGPRBlocks: 0
; VGPRBlocks: 0
; NumSGPRsForWavesPerEU: 4
; NumVGPRsForWavesPerEU: 1
; AccumOffset: 4
; Occupancy: 8
; WaveLimiterHint : 0
; COMPUTE_PGM_RSRC2:SCRATCH_EN: 0
; COMPUTE_PGM_RSRC2:USER_SGPR: 6
; COMPUTE_PGM_RSRC2:TRAP_HANDLER: 0
; COMPUTE_PGM_RSRC2:TGID_X_EN: 1
; COMPUTE_PGM_RSRC2:TGID_Y_EN: 0
; COMPUTE_PGM_RSRC2:TGID_Z_EN: 0
; COMPUTE_PGM_RSRC2:TIDIG_COMP_CNT: 0
; COMPUTE_PGM_RSRC3_GFX90A:ACCUM_OFFSET: 0
; COMPUTE_PGM_RSRC3_GFX90A:TG_SPLIT: 0
	.section	.text._ZN7rocprim17ROCPRIM_400000_NS6detail17trampoline_kernelINS0_14default_configENS1_27scan_by_key_config_selectorIixEEZZNS1_16scan_by_key_implILNS1_25lookback_scan_determinismE0ELb0ES3_N6thrust23THRUST_200600_302600_NS6detail15normal_iteratorINS9_10device_ptrIiEEEENSB_INSC_IxEEEESG_xNS9_4plusIvEENS9_8equal_toIvEExEE10hipError_tPvRmT2_T3_T4_T5_mT6_T7_P12ihipStream_tbENKUlT_T0_E_clISt17integral_constantIbLb0EES11_EEDaSW_SX_EUlSW_E_NS1_11comp_targetILNS1_3genE10ELNS1_11target_archE1201ELNS1_3gpuE5ELNS1_3repE0EEENS1_30default_config_static_selectorELNS0_4arch9wavefront6targetE1EEEvT1_,"axG",@progbits,_ZN7rocprim17ROCPRIM_400000_NS6detail17trampoline_kernelINS0_14default_configENS1_27scan_by_key_config_selectorIixEEZZNS1_16scan_by_key_implILNS1_25lookback_scan_determinismE0ELb0ES3_N6thrust23THRUST_200600_302600_NS6detail15normal_iteratorINS9_10device_ptrIiEEEENSB_INSC_IxEEEESG_xNS9_4plusIvEENS9_8equal_toIvEExEE10hipError_tPvRmT2_T3_T4_T5_mT6_T7_P12ihipStream_tbENKUlT_T0_E_clISt17integral_constantIbLb0EES11_EEDaSW_SX_EUlSW_E_NS1_11comp_targetILNS1_3genE10ELNS1_11target_archE1201ELNS1_3gpuE5ELNS1_3repE0EEENS1_30default_config_static_selectorELNS0_4arch9wavefront6targetE1EEEvT1_,comdat
	.protected	_ZN7rocprim17ROCPRIM_400000_NS6detail17trampoline_kernelINS0_14default_configENS1_27scan_by_key_config_selectorIixEEZZNS1_16scan_by_key_implILNS1_25lookback_scan_determinismE0ELb0ES3_N6thrust23THRUST_200600_302600_NS6detail15normal_iteratorINS9_10device_ptrIiEEEENSB_INSC_IxEEEESG_xNS9_4plusIvEENS9_8equal_toIvEExEE10hipError_tPvRmT2_T3_T4_T5_mT6_T7_P12ihipStream_tbENKUlT_T0_E_clISt17integral_constantIbLb0EES11_EEDaSW_SX_EUlSW_E_NS1_11comp_targetILNS1_3genE10ELNS1_11target_archE1201ELNS1_3gpuE5ELNS1_3repE0EEENS1_30default_config_static_selectorELNS0_4arch9wavefront6targetE1EEEvT1_ ; -- Begin function _ZN7rocprim17ROCPRIM_400000_NS6detail17trampoline_kernelINS0_14default_configENS1_27scan_by_key_config_selectorIixEEZZNS1_16scan_by_key_implILNS1_25lookback_scan_determinismE0ELb0ES3_N6thrust23THRUST_200600_302600_NS6detail15normal_iteratorINS9_10device_ptrIiEEEENSB_INSC_IxEEEESG_xNS9_4plusIvEENS9_8equal_toIvEExEE10hipError_tPvRmT2_T3_T4_T5_mT6_T7_P12ihipStream_tbENKUlT_T0_E_clISt17integral_constantIbLb0EES11_EEDaSW_SX_EUlSW_E_NS1_11comp_targetILNS1_3genE10ELNS1_11target_archE1201ELNS1_3gpuE5ELNS1_3repE0EEENS1_30default_config_static_selectorELNS0_4arch9wavefront6targetE1EEEvT1_
	.globl	_ZN7rocprim17ROCPRIM_400000_NS6detail17trampoline_kernelINS0_14default_configENS1_27scan_by_key_config_selectorIixEEZZNS1_16scan_by_key_implILNS1_25lookback_scan_determinismE0ELb0ES3_N6thrust23THRUST_200600_302600_NS6detail15normal_iteratorINS9_10device_ptrIiEEEENSB_INSC_IxEEEESG_xNS9_4plusIvEENS9_8equal_toIvEExEE10hipError_tPvRmT2_T3_T4_T5_mT6_T7_P12ihipStream_tbENKUlT_T0_E_clISt17integral_constantIbLb0EES11_EEDaSW_SX_EUlSW_E_NS1_11comp_targetILNS1_3genE10ELNS1_11target_archE1201ELNS1_3gpuE5ELNS1_3repE0EEENS1_30default_config_static_selectorELNS0_4arch9wavefront6targetE1EEEvT1_
	.p2align	8
	.type	_ZN7rocprim17ROCPRIM_400000_NS6detail17trampoline_kernelINS0_14default_configENS1_27scan_by_key_config_selectorIixEEZZNS1_16scan_by_key_implILNS1_25lookback_scan_determinismE0ELb0ES3_N6thrust23THRUST_200600_302600_NS6detail15normal_iteratorINS9_10device_ptrIiEEEENSB_INSC_IxEEEESG_xNS9_4plusIvEENS9_8equal_toIvEExEE10hipError_tPvRmT2_T3_T4_T5_mT6_T7_P12ihipStream_tbENKUlT_T0_E_clISt17integral_constantIbLb0EES11_EEDaSW_SX_EUlSW_E_NS1_11comp_targetILNS1_3genE10ELNS1_11target_archE1201ELNS1_3gpuE5ELNS1_3repE0EEENS1_30default_config_static_selectorELNS0_4arch9wavefront6targetE1EEEvT1_,@function
_ZN7rocprim17ROCPRIM_400000_NS6detail17trampoline_kernelINS0_14default_configENS1_27scan_by_key_config_selectorIixEEZZNS1_16scan_by_key_implILNS1_25lookback_scan_determinismE0ELb0ES3_N6thrust23THRUST_200600_302600_NS6detail15normal_iteratorINS9_10device_ptrIiEEEENSB_INSC_IxEEEESG_xNS9_4plusIvEENS9_8equal_toIvEExEE10hipError_tPvRmT2_T3_T4_T5_mT6_T7_P12ihipStream_tbENKUlT_T0_E_clISt17integral_constantIbLb0EES11_EEDaSW_SX_EUlSW_E_NS1_11comp_targetILNS1_3genE10ELNS1_11target_archE1201ELNS1_3gpuE5ELNS1_3repE0EEENS1_30default_config_static_selectorELNS0_4arch9wavefront6targetE1EEEvT1_: ; @_ZN7rocprim17ROCPRIM_400000_NS6detail17trampoline_kernelINS0_14default_configENS1_27scan_by_key_config_selectorIixEEZZNS1_16scan_by_key_implILNS1_25lookback_scan_determinismE0ELb0ES3_N6thrust23THRUST_200600_302600_NS6detail15normal_iteratorINS9_10device_ptrIiEEEENSB_INSC_IxEEEESG_xNS9_4plusIvEENS9_8equal_toIvEExEE10hipError_tPvRmT2_T3_T4_T5_mT6_T7_P12ihipStream_tbENKUlT_T0_E_clISt17integral_constantIbLb0EES11_EEDaSW_SX_EUlSW_E_NS1_11comp_targetILNS1_3genE10ELNS1_11target_archE1201ELNS1_3gpuE5ELNS1_3repE0EEENS1_30default_config_static_selectorELNS0_4arch9wavefront6targetE1EEEvT1_
; %bb.0:
	.section	.rodata,"a",@progbits
	.p2align	6, 0x0
	.amdhsa_kernel _ZN7rocprim17ROCPRIM_400000_NS6detail17trampoline_kernelINS0_14default_configENS1_27scan_by_key_config_selectorIixEEZZNS1_16scan_by_key_implILNS1_25lookback_scan_determinismE0ELb0ES3_N6thrust23THRUST_200600_302600_NS6detail15normal_iteratorINS9_10device_ptrIiEEEENSB_INSC_IxEEEESG_xNS9_4plusIvEENS9_8equal_toIvEExEE10hipError_tPvRmT2_T3_T4_T5_mT6_T7_P12ihipStream_tbENKUlT_T0_E_clISt17integral_constantIbLb0EES11_EEDaSW_SX_EUlSW_E_NS1_11comp_targetILNS1_3genE10ELNS1_11target_archE1201ELNS1_3gpuE5ELNS1_3repE0EEENS1_30default_config_static_selectorELNS0_4arch9wavefront6targetE1EEEvT1_
		.amdhsa_group_segment_fixed_size 0
		.amdhsa_private_segment_fixed_size 0
		.amdhsa_kernarg_size 136
		.amdhsa_user_sgpr_count 6
		.amdhsa_user_sgpr_private_segment_buffer 1
		.amdhsa_user_sgpr_dispatch_ptr 0
		.amdhsa_user_sgpr_queue_ptr 0
		.amdhsa_user_sgpr_kernarg_segment_ptr 1
		.amdhsa_user_sgpr_dispatch_id 0
		.amdhsa_user_sgpr_flat_scratch_init 0
		.amdhsa_user_sgpr_kernarg_preload_length 0
		.amdhsa_user_sgpr_kernarg_preload_offset 0
		.amdhsa_user_sgpr_private_segment_size 0
		.amdhsa_uses_dynamic_stack 0
		.amdhsa_system_sgpr_private_segment_wavefront_offset 0
		.amdhsa_system_sgpr_workgroup_id_x 1
		.amdhsa_system_sgpr_workgroup_id_y 0
		.amdhsa_system_sgpr_workgroup_id_z 0
		.amdhsa_system_sgpr_workgroup_info 0
		.amdhsa_system_vgpr_workitem_id 0
		.amdhsa_next_free_vgpr 1
		.amdhsa_next_free_sgpr 0
		.amdhsa_accum_offset 4
		.amdhsa_reserve_vcc 0
		.amdhsa_reserve_flat_scratch 0
		.amdhsa_float_round_mode_32 0
		.amdhsa_float_round_mode_16_64 0
		.amdhsa_float_denorm_mode_32 3
		.amdhsa_float_denorm_mode_16_64 3
		.amdhsa_dx10_clamp 1
		.amdhsa_ieee_mode 1
		.amdhsa_fp16_overflow 0
		.amdhsa_tg_split 0
		.amdhsa_exception_fp_ieee_invalid_op 0
		.amdhsa_exception_fp_denorm_src 0
		.amdhsa_exception_fp_ieee_div_zero 0
		.amdhsa_exception_fp_ieee_overflow 0
		.amdhsa_exception_fp_ieee_underflow 0
		.amdhsa_exception_fp_ieee_inexact 0
		.amdhsa_exception_int_div_zero 0
	.end_amdhsa_kernel
	.section	.text._ZN7rocprim17ROCPRIM_400000_NS6detail17trampoline_kernelINS0_14default_configENS1_27scan_by_key_config_selectorIixEEZZNS1_16scan_by_key_implILNS1_25lookback_scan_determinismE0ELb0ES3_N6thrust23THRUST_200600_302600_NS6detail15normal_iteratorINS9_10device_ptrIiEEEENSB_INSC_IxEEEESG_xNS9_4plusIvEENS9_8equal_toIvEExEE10hipError_tPvRmT2_T3_T4_T5_mT6_T7_P12ihipStream_tbENKUlT_T0_E_clISt17integral_constantIbLb0EES11_EEDaSW_SX_EUlSW_E_NS1_11comp_targetILNS1_3genE10ELNS1_11target_archE1201ELNS1_3gpuE5ELNS1_3repE0EEENS1_30default_config_static_selectorELNS0_4arch9wavefront6targetE1EEEvT1_,"axG",@progbits,_ZN7rocprim17ROCPRIM_400000_NS6detail17trampoline_kernelINS0_14default_configENS1_27scan_by_key_config_selectorIixEEZZNS1_16scan_by_key_implILNS1_25lookback_scan_determinismE0ELb0ES3_N6thrust23THRUST_200600_302600_NS6detail15normal_iteratorINS9_10device_ptrIiEEEENSB_INSC_IxEEEESG_xNS9_4plusIvEENS9_8equal_toIvEExEE10hipError_tPvRmT2_T3_T4_T5_mT6_T7_P12ihipStream_tbENKUlT_T0_E_clISt17integral_constantIbLb0EES11_EEDaSW_SX_EUlSW_E_NS1_11comp_targetILNS1_3genE10ELNS1_11target_archE1201ELNS1_3gpuE5ELNS1_3repE0EEENS1_30default_config_static_selectorELNS0_4arch9wavefront6targetE1EEEvT1_,comdat
.Lfunc_end1312:
	.size	_ZN7rocprim17ROCPRIM_400000_NS6detail17trampoline_kernelINS0_14default_configENS1_27scan_by_key_config_selectorIixEEZZNS1_16scan_by_key_implILNS1_25lookback_scan_determinismE0ELb0ES3_N6thrust23THRUST_200600_302600_NS6detail15normal_iteratorINS9_10device_ptrIiEEEENSB_INSC_IxEEEESG_xNS9_4plusIvEENS9_8equal_toIvEExEE10hipError_tPvRmT2_T3_T4_T5_mT6_T7_P12ihipStream_tbENKUlT_T0_E_clISt17integral_constantIbLb0EES11_EEDaSW_SX_EUlSW_E_NS1_11comp_targetILNS1_3genE10ELNS1_11target_archE1201ELNS1_3gpuE5ELNS1_3repE0EEENS1_30default_config_static_selectorELNS0_4arch9wavefront6targetE1EEEvT1_, .Lfunc_end1312-_ZN7rocprim17ROCPRIM_400000_NS6detail17trampoline_kernelINS0_14default_configENS1_27scan_by_key_config_selectorIixEEZZNS1_16scan_by_key_implILNS1_25lookback_scan_determinismE0ELb0ES3_N6thrust23THRUST_200600_302600_NS6detail15normal_iteratorINS9_10device_ptrIiEEEENSB_INSC_IxEEEESG_xNS9_4plusIvEENS9_8equal_toIvEExEE10hipError_tPvRmT2_T3_T4_T5_mT6_T7_P12ihipStream_tbENKUlT_T0_E_clISt17integral_constantIbLb0EES11_EEDaSW_SX_EUlSW_E_NS1_11comp_targetILNS1_3genE10ELNS1_11target_archE1201ELNS1_3gpuE5ELNS1_3repE0EEENS1_30default_config_static_selectorELNS0_4arch9wavefront6targetE1EEEvT1_
                                        ; -- End function
	.section	.AMDGPU.csdata,"",@progbits
; Kernel info:
; codeLenInByte = 0
; NumSgprs: 4
; NumVgprs: 0
; NumAgprs: 0
; TotalNumVgprs: 0
; ScratchSize: 0
; MemoryBound: 0
; FloatMode: 240
; IeeeMode: 1
; LDSByteSize: 0 bytes/workgroup (compile time only)
; SGPRBlocks: 0
; VGPRBlocks: 0
; NumSGPRsForWavesPerEU: 4
; NumVGPRsForWavesPerEU: 1
; AccumOffset: 4
; Occupancy: 8
; WaveLimiterHint : 0
; COMPUTE_PGM_RSRC2:SCRATCH_EN: 0
; COMPUTE_PGM_RSRC2:USER_SGPR: 6
; COMPUTE_PGM_RSRC2:TRAP_HANDLER: 0
; COMPUTE_PGM_RSRC2:TGID_X_EN: 1
; COMPUTE_PGM_RSRC2:TGID_Y_EN: 0
; COMPUTE_PGM_RSRC2:TGID_Z_EN: 0
; COMPUTE_PGM_RSRC2:TIDIG_COMP_CNT: 0
; COMPUTE_PGM_RSRC3_GFX90A:ACCUM_OFFSET: 0
; COMPUTE_PGM_RSRC3_GFX90A:TG_SPLIT: 0
	.section	.text._ZN7rocprim17ROCPRIM_400000_NS6detail17trampoline_kernelINS0_14default_configENS1_27scan_by_key_config_selectorIixEEZZNS1_16scan_by_key_implILNS1_25lookback_scan_determinismE0ELb0ES3_N6thrust23THRUST_200600_302600_NS6detail15normal_iteratorINS9_10device_ptrIiEEEENSB_INSC_IxEEEESG_xNS9_4plusIvEENS9_8equal_toIvEExEE10hipError_tPvRmT2_T3_T4_T5_mT6_T7_P12ihipStream_tbENKUlT_T0_E_clISt17integral_constantIbLb0EES11_EEDaSW_SX_EUlSW_E_NS1_11comp_targetILNS1_3genE5ELNS1_11target_archE942ELNS1_3gpuE9ELNS1_3repE0EEENS1_30default_config_static_selectorELNS0_4arch9wavefront6targetE1EEEvT1_,"axG",@progbits,_ZN7rocprim17ROCPRIM_400000_NS6detail17trampoline_kernelINS0_14default_configENS1_27scan_by_key_config_selectorIixEEZZNS1_16scan_by_key_implILNS1_25lookback_scan_determinismE0ELb0ES3_N6thrust23THRUST_200600_302600_NS6detail15normal_iteratorINS9_10device_ptrIiEEEENSB_INSC_IxEEEESG_xNS9_4plusIvEENS9_8equal_toIvEExEE10hipError_tPvRmT2_T3_T4_T5_mT6_T7_P12ihipStream_tbENKUlT_T0_E_clISt17integral_constantIbLb0EES11_EEDaSW_SX_EUlSW_E_NS1_11comp_targetILNS1_3genE5ELNS1_11target_archE942ELNS1_3gpuE9ELNS1_3repE0EEENS1_30default_config_static_selectorELNS0_4arch9wavefront6targetE1EEEvT1_,comdat
	.protected	_ZN7rocprim17ROCPRIM_400000_NS6detail17trampoline_kernelINS0_14default_configENS1_27scan_by_key_config_selectorIixEEZZNS1_16scan_by_key_implILNS1_25lookback_scan_determinismE0ELb0ES3_N6thrust23THRUST_200600_302600_NS6detail15normal_iteratorINS9_10device_ptrIiEEEENSB_INSC_IxEEEESG_xNS9_4plusIvEENS9_8equal_toIvEExEE10hipError_tPvRmT2_T3_T4_T5_mT6_T7_P12ihipStream_tbENKUlT_T0_E_clISt17integral_constantIbLb0EES11_EEDaSW_SX_EUlSW_E_NS1_11comp_targetILNS1_3genE5ELNS1_11target_archE942ELNS1_3gpuE9ELNS1_3repE0EEENS1_30default_config_static_selectorELNS0_4arch9wavefront6targetE1EEEvT1_ ; -- Begin function _ZN7rocprim17ROCPRIM_400000_NS6detail17trampoline_kernelINS0_14default_configENS1_27scan_by_key_config_selectorIixEEZZNS1_16scan_by_key_implILNS1_25lookback_scan_determinismE0ELb0ES3_N6thrust23THRUST_200600_302600_NS6detail15normal_iteratorINS9_10device_ptrIiEEEENSB_INSC_IxEEEESG_xNS9_4plusIvEENS9_8equal_toIvEExEE10hipError_tPvRmT2_T3_T4_T5_mT6_T7_P12ihipStream_tbENKUlT_T0_E_clISt17integral_constantIbLb0EES11_EEDaSW_SX_EUlSW_E_NS1_11comp_targetILNS1_3genE5ELNS1_11target_archE942ELNS1_3gpuE9ELNS1_3repE0EEENS1_30default_config_static_selectorELNS0_4arch9wavefront6targetE1EEEvT1_
	.globl	_ZN7rocprim17ROCPRIM_400000_NS6detail17trampoline_kernelINS0_14default_configENS1_27scan_by_key_config_selectorIixEEZZNS1_16scan_by_key_implILNS1_25lookback_scan_determinismE0ELb0ES3_N6thrust23THRUST_200600_302600_NS6detail15normal_iteratorINS9_10device_ptrIiEEEENSB_INSC_IxEEEESG_xNS9_4plusIvEENS9_8equal_toIvEExEE10hipError_tPvRmT2_T3_T4_T5_mT6_T7_P12ihipStream_tbENKUlT_T0_E_clISt17integral_constantIbLb0EES11_EEDaSW_SX_EUlSW_E_NS1_11comp_targetILNS1_3genE5ELNS1_11target_archE942ELNS1_3gpuE9ELNS1_3repE0EEENS1_30default_config_static_selectorELNS0_4arch9wavefront6targetE1EEEvT1_
	.p2align	8
	.type	_ZN7rocprim17ROCPRIM_400000_NS6detail17trampoline_kernelINS0_14default_configENS1_27scan_by_key_config_selectorIixEEZZNS1_16scan_by_key_implILNS1_25lookback_scan_determinismE0ELb0ES3_N6thrust23THRUST_200600_302600_NS6detail15normal_iteratorINS9_10device_ptrIiEEEENSB_INSC_IxEEEESG_xNS9_4plusIvEENS9_8equal_toIvEExEE10hipError_tPvRmT2_T3_T4_T5_mT6_T7_P12ihipStream_tbENKUlT_T0_E_clISt17integral_constantIbLb0EES11_EEDaSW_SX_EUlSW_E_NS1_11comp_targetILNS1_3genE5ELNS1_11target_archE942ELNS1_3gpuE9ELNS1_3repE0EEENS1_30default_config_static_selectorELNS0_4arch9wavefront6targetE1EEEvT1_,@function
_ZN7rocprim17ROCPRIM_400000_NS6detail17trampoline_kernelINS0_14default_configENS1_27scan_by_key_config_selectorIixEEZZNS1_16scan_by_key_implILNS1_25lookback_scan_determinismE0ELb0ES3_N6thrust23THRUST_200600_302600_NS6detail15normal_iteratorINS9_10device_ptrIiEEEENSB_INSC_IxEEEESG_xNS9_4plusIvEENS9_8equal_toIvEExEE10hipError_tPvRmT2_T3_T4_T5_mT6_T7_P12ihipStream_tbENKUlT_T0_E_clISt17integral_constantIbLb0EES11_EEDaSW_SX_EUlSW_E_NS1_11comp_targetILNS1_3genE5ELNS1_11target_archE942ELNS1_3gpuE9ELNS1_3repE0EEENS1_30default_config_static_selectorELNS0_4arch9wavefront6targetE1EEEvT1_: ; @_ZN7rocprim17ROCPRIM_400000_NS6detail17trampoline_kernelINS0_14default_configENS1_27scan_by_key_config_selectorIixEEZZNS1_16scan_by_key_implILNS1_25lookback_scan_determinismE0ELb0ES3_N6thrust23THRUST_200600_302600_NS6detail15normal_iteratorINS9_10device_ptrIiEEEENSB_INSC_IxEEEESG_xNS9_4plusIvEENS9_8equal_toIvEExEE10hipError_tPvRmT2_T3_T4_T5_mT6_T7_P12ihipStream_tbENKUlT_T0_E_clISt17integral_constantIbLb0EES11_EEDaSW_SX_EUlSW_E_NS1_11comp_targetILNS1_3genE5ELNS1_11target_archE942ELNS1_3gpuE9ELNS1_3repE0EEENS1_30default_config_static_selectorELNS0_4arch9wavefront6targetE1EEEvT1_
; %bb.0:
	.section	.rodata,"a",@progbits
	.p2align	6, 0x0
	.amdhsa_kernel _ZN7rocprim17ROCPRIM_400000_NS6detail17trampoline_kernelINS0_14default_configENS1_27scan_by_key_config_selectorIixEEZZNS1_16scan_by_key_implILNS1_25lookback_scan_determinismE0ELb0ES3_N6thrust23THRUST_200600_302600_NS6detail15normal_iteratorINS9_10device_ptrIiEEEENSB_INSC_IxEEEESG_xNS9_4plusIvEENS9_8equal_toIvEExEE10hipError_tPvRmT2_T3_T4_T5_mT6_T7_P12ihipStream_tbENKUlT_T0_E_clISt17integral_constantIbLb0EES11_EEDaSW_SX_EUlSW_E_NS1_11comp_targetILNS1_3genE5ELNS1_11target_archE942ELNS1_3gpuE9ELNS1_3repE0EEENS1_30default_config_static_selectorELNS0_4arch9wavefront6targetE1EEEvT1_
		.amdhsa_group_segment_fixed_size 0
		.amdhsa_private_segment_fixed_size 0
		.amdhsa_kernarg_size 136
		.amdhsa_user_sgpr_count 6
		.amdhsa_user_sgpr_private_segment_buffer 1
		.amdhsa_user_sgpr_dispatch_ptr 0
		.amdhsa_user_sgpr_queue_ptr 0
		.amdhsa_user_sgpr_kernarg_segment_ptr 1
		.amdhsa_user_sgpr_dispatch_id 0
		.amdhsa_user_sgpr_flat_scratch_init 0
		.amdhsa_user_sgpr_kernarg_preload_length 0
		.amdhsa_user_sgpr_kernarg_preload_offset 0
		.amdhsa_user_sgpr_private_segment_size 0
		.amdhsa_uses_dynamic_stack 0
		.amdhsa_system_sgpr_private_segment_wavefront_offset 0
		.amdhsa_system_sgpr_workgroup_id_x 1
		.amdhsa_system_sgpr_workgroup_id_y 0
		.amdhsa_system_sgpr_workgroup_id_z 0
		.amdhsa_system_sgpr_workgroup_info 0
		.amdhsa_system_vgpr_workitem_id 0
		.amdhsa_next_free_vgpr 1
		.amdhsa_next_free_sgpr 0
		.amdhsa_accum_offset 4
		.amdhsa_reserve_vcc 0
		.amdhsa_reserve_flat_scratch 0
		.amdhsa_float_round_mode_32 0
		.amdhsa_float_round_mode_16_64 0
		.amdhsa_float_denorm_mode_32 3
		.amdhsa_float_denorm_mode_16_64 3
		.amdhsa_dx10_clamp 1
		.amdhsa_ieee_mode 1
		.amdhsa_fp16_overflow 0
		.amdhsa_tg_split 0
		.amdhsa_exception_fp_ieee_invalid_op 0
		.amdhsa_exception_fp_denorm_src 0
		.amdhsa_exception_fp_ieee_div_zero 0
		.amdhsa_exception_fp_ieee_overflow 0
		.amdhsa_exception_fp_ieee_underflow 0
		.amdhsa_exception_fp_ieee_inexact 0
		.amdhsa_exception_int_div_zero 0
	.end_amdhsa_kernel
	.section	.text._ZN7rocprim17ROCPRIM_400000_NS6detail17trampoline_kernelINS0_14default_configENS1_27scan_by_key_config_selectorIixEEZZNS1_16scan_by_key_implILNS1_25lookback_scan_determinismE0ELb0ES3_N6thrust23THRUST_200600_302600_NS6detail15normal_iteratorINS9_10device_ptrIiEEEENSB_INSC_IxEEEESG_xNS9_4plusIvEENS9_8equal_toIvEExEE10hipError_tPvRmT2_T3_T4_T5_mT6_T7_P12ihipStream_tbENKUlT_T0_E_clISt17integral_constantIbLb0EES11_EEDaSW_SX_EUlSW_E_NS1_11comp_targetILNS1_3genE5ELNS1_11target_archE942ELNS1_3gpuE9ELNS1_3repE0EEENS1_30default_config_static_selectorELNS0_4arch9wavefront6targetE1EEEvT1_,"axG",@progbits,_ZN7rocprim17ROCPRIM_400000_NS6detail17trampoline_kernelINS0_14default_configENS1_27scan_by_key_config_selectorIixEEZZNS1_16scan_by_key_implILNS1_25lookback_scan_determinismE0ELb0ES3_N6thrust23THRUST_200600_302600_NS6detail15normal_iteratorINS9_10device_ptrIiEEEENSB_INSC_IxEEEESG_xNS9_4plusIvEENS9_8equal_toIvEExEE10hipError_tPvRmT2_T3_T4_T5_mT6_T7_P12ihipStream_tbENKUlT_T0_E_clISt17integral_constantIbLb0EES11_EEDaSW_SX_EUlSW_E_NS1_11comp_targetILNS1_3genE5ELNS1_11target_archE942ELNS1_3gpuE9ELNS1_3repE0EEENS1_30default_config_static_selectorELNS0_4arch9wavefront6targetE1EEEvT1_,comdat
.Lfunc_end1313:
	.size	_ZN7rocprim17ROCPRIM_400000_NS6detail17trampoline_kernelINS0_14default_configENS1_27scan_by_key_config_selectorIixEEZZNS1_16scan_by_key_implILNS1_25lookback_scan_determinismE0ELb0ES3_N6thrust23THRUST_200600_302600_NS6detail15normal_iteratorINS9_10device_ptrIiEEEENSB_INSC_IxEEEESG_xNS9_4plusIvEENS9_8equal_toIvEExEE10hipError_tPvRmT2_T3_T4_T5_mT6_T7_P12ihipStream_tbENKUlT_T0_E_clISt17integral_constantIbLb0EES11_EEDaSW_SX_EUlSW_E_NS1_11comp_targetILNS1_3genE5ELNS1_11target_archE942ELNS1_3gpuE9ELNS1_3repE0EEENS1_30default_config_static_selectorELNS0_4arch9wavefront6targetE1EEEvT1_, .Lfunc_end1313-_ZN7rocprim17ROCPRIM_400000_NS6detail17trampoline_kernelINS0_14default_configENS1_27scan_by_key_config_selectorIixEEZZNS1_16scan_by_key_implILNS1_25lookback_scan_determinismE0ELb0ES3_N6thrust23THRUST_200600_302600_NS6detail15normal_iteratorINS9_10device_ptrIiEEEENSB_INSC_IxEEEESG_xNS9_4plusIvEENS9_8equal_toIvEExEE10hipError_tPvRmT2_T3_T4_T5_mT6_T7_P12ihipStream_tbENKUlT_T0_E_clISt17integral_constantIbLb0EES11_EEDaSW_SX_EUlSW_E_NS1_11comp_targetILNS1_3genE5ELNS1_11target_archE942ELNS1_3gpuE9ELNS1_3repE0EEENS1_30default_config_static_selectorELNS0_4arch9wavefront6targetE1EEEvT1_
                                        ; -- End function
	.section	.AMDGPU.csdata,"",@progbits
; Kernel info:
; codeLenInByte = 0
; NumSgprs: 4
; NumVgprs: 0
; NumAgprs: 0
; TotalNumVgprs: 0
; ScratchSize: 0
; MemoryBound: 0
; FloatMode: 240
; IeeeMode: 1
; LDSByteSize: 0 bytes/workgroup (compile time only)
; SGPRBlocks: 0
; VGPRBlocks: 0
; NumSGPRsForWavesPerEU: 4
; NumVGPRsForWavesPerEU: 1
; AccumOffset: 4
; Occupancy: 8
; WaveLimiterHint : 0
; COMPUTE_PGM_RSRC2:SCRATCH_EN: 0
; COMPUTE_PGM_RSRC2:USER_SGPR: 6
; COMPUTE_PGM_RSRC2:TRAP_HANDLER: 0
; COMPUTE_PGM_RSRC2:TGID_X_EN: 1
; COMPUTE_PGM_RSRC2:TGID_Y_EN: 0
; COMPUTE_PGM_RSRC2:TGID_Z_EN: 0
; COMPUTE_PGM_RSRC2:TIDIG_COMP_CNT: 0
; COMPUTE_PGM_RSRC3_GFX90A:ACCUM_OFFSET: 0
; COMPUTE_PGM_RSRC3_GFX90A:TG_SPLIT: 0
	.section	.text._ZN7rocprim17ROCPRIM_400000_NS6detail17trampoline_kernelINS0_14default_configENS1_27scan_by_key_config_selectorIixEEZZNS1_16scan_by_key_implILNS1_25lookback_scan_determinismE0ELb0ES3_N6thrust23THRUST_200600_302600_NS6detail15normal_iteratorINS9_10device_ptrIiEEEENSB_INSC_IxEEEESG_xNS9_4plusIvEENS9_8equal_toIvEExEE10hipError_tPvRmT2_T3_T4_T5_mT6_T7_P12ihipStream_tbENKUlT_T0_E_clISt17integral_constantIbLb0EES11_EEDaSW_SX_EUlSW_E_NS1_11comp_targetILNS1_3genE4ELNS1_11target_archE910ELNS1_3gpuE8ELNS1_3repE0EEENS1_30default_config_static_selectorELNS0_4arch9wavefront6targetE1EEEvT1_,"axG",@progbits,_ZN7rocprim17ROCPRIM_400000_NS6detail17trampoline_kernelINS0_14default_configENS1_27scan_by_key_config_selectorIixEEZZNS1_16scan_by_key_implILNS1_25lookback_scan_determinismE0ELb0ES3_N6thrust23THRUST_200600_302600_NS6detail15normal_iteratorINS9_10device_ptrIiEEEENSB_INSC_IxEEEESG_xNS9_4plusIvEENS9_8equal_toIvEExEE10hipError_tPvRmT2_T3_T4_T5_mT6_T7_P12ihipStream_tbENKUlT_T0_E_clISt17integral_constantIbLb0EES11_EEDaSW_SX_EUlSW_E_NS1_11comp_targetILNS1_3genE4ELNS1_11target_archE910ELNS1_3gpuE8ELNS1_3repE0EEENS1_30default_config_static_selectorELNS0_4arch9wavefront6targetE1EEEvT1_,comdat
	.protected	_ZN7rocprim17ROCPRIM_400000_NS6detail17trampoline_kernelINS0_14default_configENS1_27scan_by_key_config_selectorIixEEZZNS1_16scan_by_key_implILNS1_25lookback_scan_determinismE0ELb0ES3_N6thrust23THRUST_200600_302600_NS6detail15normal_iteratorINS9_10device_ptrIiEEEENSB_INSC_IxEEEESG_xNS9_4plusIvEENS9_8equal_toIvEExEE10hipError_tPvRmT2_T3_T4_T5_mT6_T7_P12ihipStream_tbENKUlT_T0_E_clISt17integral_constantIbLb0EES11_EEDaSW_SX_EUlSW_E_NS1_11comp_targetILNS1_3genE4ELNS1_11target_archE910ELNS1_3gpuE8ELNS1_3repE0EEENS1_30default_config_static_selectorELNS0_4arch9wavefront6targetE1EEEvT1_ ; -- Begin function _ZN7rocprim17ROCPRIM_400000_NS6detail17trampoline_kernelINS0_14default_configENS1_27scan_by_key_config_selectorIixEEZZNS1_16scan_by_key_implILNS1_25lookback_scan_determinismE0ELb0ES3_N6thrust23THRUST_200600_302600_NS6detail15normal_iteratorINS9_10device_ptrIiEEEENSB_INSC_IxEEEESG_xNS9_4plusIvEENS9_8equal_toIvEExEE10hipError_tPvRmT2_T3_T4_T5_mT6_T7_P12ihipStream_tbENKUlT_T0_E_clISt17integral_constantIbLb0EES11_EEDaSW_SX_EUlSW_E_NS1_11comp_targetILNS1_3genE4ELNS1_11target_archE910ELNS1_3gpuE8ELNS1_3repE0EEENS1_30default_config_static_selectorELNS0_4arch9wavefront6targetE1EEEvT1_
	.globl	_ZN7rocprim17ROCPRIM_400000_NS6detail17trampoline_kernelINS0_14default_configENS1_27scan_by_key_config_selectorIixEEZZNS1_16scan_by_key_implILNS1_25lookback_scan_determinismE0ELb0ES3_N6thrust23THRUST_200600_302600_NS6detail15normal_iteratorINS9_10device_ptrIiEEEENSB_INSC_IxEEEESG_xNS9_4plusIvEENS9_8equal_toIvEExEE10hipError_tPvRmT2_T3_T4_T5_mT6_T7_P12ihipStream_tbENKUlT_T0_E_clISt17integral_constantIbLb0EES11_EEDaSW_SX_EUlSW_E_NS1_11comp_targetILNS1_3genE4ELNS1_11target_archE910ELNS1_3gpuE8ELNS1_3repE0EEENS1_30default_config_static_selectorELNS0_4arch9wavefront6targetE1EEEvT1_
	.p2align	8
	.type	_ZN7rocprim17ROCPRIM_400000_NS6detail17trampoline_kernelINS0_14default_configENS1_27scan_by_key_config_selectorIixEEZZNS1_16scan_by_key_implILNS1_25lookback_scan_determinismE0ELb0ES3_N6thrust23THRUST_200600_302600_NS6detail15normal_iteratorINS9_10device_ptrIiEEEENSB_INSC_IxEEEESG_xNS9_4plusIvEENS9_8equal_toIvEExEE10hipError_tPvRmT2_T3_T4_T5_mT6_T7_P12ihipStream_tbENKUlT_T0_E_clISt17integral_constantIbLb0EES11_EEDaSW_SX_EUlSW_E_NS1_11comp_targetILNS1_3genE4ELNS1_11target_archE910ELNS1_3gpuE8ELNS1_3repE0EEENS1_30default_config_static_selectorELNS0_4arch9wavefront6targetE1EEEvT1_,@function
_ZN7rocprim17ROCPRIM_400000_NS6detail17trampoline_kernelINS0_14default_configENS1_27scan_by_key_config_selectorIixEEZZNS1_16scan_by_key_implILNS1_25lookback_scan_determinismE0ELb0ES3_N6thrust23THRUST_200600_302600_NS6detail15normal_iteratorINS9_10device_ptrIiEEEENSB_INSC_IxEEEESG_xNS9_4plusIvEENS9_8equal_toIvEExEE10hipError_tPvRmT2_T3_T4_T5_mT6_T7_P12ihipStream_tbENKUlT_T0_E_clISt17integral_constantIbLb0EES11_EEDaSW_SX_EUlSW_E_NS1_11comp_targetILNS1_3genE4ELNS1_11target_archE910ELNS1_3gpuE8ELNS1_3repE0EEENS1_30default_config_static_selectorELNS0_4arch9wavefront6targetE1EEEvT1_: ; @_ZN7rocprim17ROCPRIM_400000_NS6detail17trampoline_kernelINS0_14default_configENS1_27scan_by_key_config_selectorIixEEZZNS1_16scan_by_key_implILNS1_25lookback_scan_determinismE0ELb0ES3_N6thrust23THRUST_200600_302600_NS6detail15normal_iteratorINS9_10device_ptrIiEEEENSB_INSC_IxEEEESG_xNS9_4plusIvEENS9_8equal_toIvEExEE10hipError_tPvRmT2_T3_T4_T5_mT6_T7_P12ihipStream_tbENKUlT_T0_E_clISt17integral_constantIbLb0EES11_EEDaSW_SX_EUlSW_E_NS1_11comp_targetILNS1_3genE4ELNS1_11target_archE910ELNS1_3gpuE8ELNS1_3repE0EEENS1_30default_config_static_selectorELNS0_4arch9wavefront6targetE1EEEvT1_
; %bb.0:
	s_load_dwordx8 s[52:59], s[4:5], 0x0
	s_load_dwordx8 s[68:75], s[4:5], 0x30
	s_load_dwordx2 s[8:9], s[4:5], 0x50
	s_load_dword s2, s[4:5], 0x58
	s_load_dwordx8 s[88:95], s[4:5], 0x60
	s_waitcnt lgkmcnt(0)
	s_lshl_b64 s[0:1], s[54:55], 2
	s_add_u32 s7, s52, s0
	s_addc_u32 s10, s53, s1
	s_lshl_b64 s[0:1], s[54:55], 3
	s_add_u32 s11, s56, s0
	s_mul_i32 s3, s9, s2
	s_mul_hi_u32 s4, s8, s2
	s_addc_u32 s12, s57, s1
	s_add_i32 s13, s4, s3
                                        ; implicit-def: $vgpr131 : SGPR spill to VGPR lane
	s_cmp_lg_u64 s[92:93], 0
	v_writelane_b32 v131, s8, 0
	s_mul_i32 s14, s8, s2
	s_mul_i32 s2, s6, 0x540
	s_mov_b32 s3, 0
	v_writelane_b32 v131, s9, 1
	s_cselect_b64 s[50:51], -1, 0
	s_lshl_b64 s[8:9], s[2:3], 2
	s_add_u32 s48, s7, s8
	s_addc_u32 s49, s10, s9
	s_lshl_b64 s[86:87], s[2:3], 3
	s_add_u32 s7, s11, s86
	s_addc_u32 s62, s12, s87
	s_add_u32 s52, s14, s6
	s_addc_u32 s53, s13, 0
	s_add_u32 s2, s88, -1
	s_addc_u32 s3, s89, -1
	v_pk_mov_b32 v[2:3], s[2:3], s[2:3] op_sel:[0,1]
	v_cmp_ge_u64_e64 s[88:89], s[52:53], v[2:3]
	s_mov_b64 s[4:5], 0
	s_mov_b64 s[10:11], -1
	s_and_b64 vcc, exec, s[88:89]
	s_mul_i32 s33, s2, 0xfffffac0
	s_waitcnt lgkmcnt(0)
	; wave barrier
	s_cbranch_vccz .LBB1314_112
; %bb.1:
	v_pk_mov_b32 v[2:3], s[48:49], s[48:49] op_sel:[0,1]
	flat_load_dword v2, v[2:3]
	s_add_i32 s64, s33, s74
	v_cmp_gt_u32_e64 s[2:3], s64, v0
	s_waitcnt vmcnt(0) lgkmcnt(0)
	v_mov_b32_e32 v3, v2
	s_and_saveexec_b64 s[4:5], s[2:3]
	s_cbranch_execz .LBB1314_3
; %bb.2:
	v_lshlrev_b32_e32 v1, 2, v0
	v_mov_b32_e32 v3, s49
	v_add_co_u32_e32 v4, vcc, s48, v1
	v_addc_co_u32_e32 v5, vcc, 0, v3, vcc
	flat_load_dword v3, v[4:5]
.LBB1314_3:
	s_or_b64 exec, exec, s[4:5]
	v_or_b32_e32 v1, 64, v0
	v_cmp_gt_u32_e64 s[4:5], s64, v1
	v_mov_b32_e32 v4, v2
	s_and_saveexec_b64 s[8:9], s[4:5]
	s_cbranch_execz .LBB1314_5
; %bb.4:
	v_lshlrev_b32_e32 v1, 2, v0
	v_mov_b32_e32 v5, s49
	v_add_co_u32_e32 v4, vcc, s48, v1
	v_addc_co_u32_e32 v5, vcc, 0, v5, vcc
	flat_load_dword v4, v[4:5] offset:256
.LBB1314_5:
	s_or_b64 exec, exec, s[8:9]
	v_or_b32_e32 v1, 0x80, v0
	v_cmp_gt_u32_e64 s[46:47], s64, v1
	v_mov_b32_e32 v5, v2
	s_and_saveexec_b64 s[8:9], s[46:47]
	s_cbranch_execz .LBB1314_7
; %bb.6:
	v_lshlrev_b32_e32 v1, 2, v0
	v_mov_b32_e32 v5, s49
	v_add_co_u32_e32 v6, vcc, s48, v1
	v_addc_co_u32_e32 v7, vcc, 0, v5, vcc
	flat_load_dword v5, v[6:7] offset:512
.LBB1314_7:
	;; [unrolled: 13-line block ×15, first 2 shown]
	s_or_b64 exec, exec, s[36:37]
	v_or_b32_e32 v56, 0x400, v0
	v_cmp_gt_u32_e64 s[36:37], s64, v56
	v_mov_b32_e32 v19, v2
	s_and_saveexec_b64 s[38:39], s[36:37]
	s_cbranch_execz .LBB1314_35
; %bb.34:
	v_lshlrev_b32_e32 v19, 2, v56
	v_mov_b32_e32 v21, s49
	v_add_co_u32_e32 v20, vcc, s48, v19
	v_addc_co_u32_e32 v21, vcc, 0, v21, vcc
	flat_load_dword v19, v[20:21]
.LBB1314_35:
	s_or_b64 exec, exec, s[38:39]
	v_or_b32_e32 v58, 0x440, v0
	v_cmp_gt_u32_e64 s[38:39], s64, v58
	v_mov_b32_e32 v20, v2
	s_and_saveexec_b64 s[40:41], s[38:39]
	s_cbranch_execz .LBB1314_37
; %bb.36:
	v_lshlrev_b32_e32 v20, 2, v58
	v_mov_b32_e32 v21, s49
	v_add_co_u32_e32 v20, vcc, s48, v20
	v_addc_co_u32_e32 v21, vcc, 0, v21, vcc
	flat_load_dword v20, v[20:21]
.LBB1314_37:
	;; [unrolled: 13-line block ×4, first 2 shown]
	s_or_b64 exec, exec, s[44:45]
	v_or_b32_e32 v65, 0x500, v0
	v_cmp_gt_u32_e64 s[44:45], s64, v65
	s_and_saveexec_b64 s[54:55], s[44:45]
	s_cbranch_execz .LBB1314_43
; %bb.42:
	v_lshlrev_b32_e32 v2, 2, v65
	v_mov_b32_e32 v23, s49
	v_add_co_u32_e32 v24, vcc, s48, v2
	v_addc_co_u32_e32 v25, vcc, 0, v23, vcc
	flat_load_dword v2, v[24:25]
.LBB1314_43:
	s_or_b64 exec, exec, s[54:55]
	v_lshlrev_b32_e32 v23, 2, v0
	s_movk_i32 s54, 0x50
	s_waitcnt vmcnt(0) lgkmcnt(0)
	ds_write2st64_b32 v23, v3, v4 offset1:1
	ds_write2st64_b32 v23, v5, v6 offset0:2 offset1:3
	ds_write2st64_b32 v23, v7, v8 offset0:4 offset1:5
	;; [unrolled: 1-line block ×9, first 2 shown]
	ds_write_b32 v23, v2 offset:5120
	v_mad_u32_u24 v2, v0, s54, v23
	s_waitcnt lgkmcnt(0)
	; wave barrier
	s_waitcnt lgkmcnt(0)
	ds_read2_b32 v[40:41], v2 offset0:7 offset1:8
	ds_read2_b32 v[44:45], v2 offset0:5 offset1:6
	;; [unrolled: 1-line block ×3, first 2 shown]
	ds_read2_b32 v[36:37], v2 offset1:1
	ds_read2_b32 v[32:33], v2 offset0:4 offset1:9
	ds_read2_b32 v[8:9], v2 offset0:15 offset1:16
	ds_read_b32 v64, v2 offset:56
	ds_read2_b32 v[16:17], v2 offset0:12 offset1:13
	ds_read2_b32 v[24:25], v2 offset0:10 offset1:11
	;; [unrolled: 1-line block ×4, first 2 shown]
	s_cmp_eq_u64 s[52:53], 0
	s_mov_b64 s[54:55], s[48:49]
	s_cbranch_scc1 .LBB1314_47
; %bb.44:
	s_andn2_b64 vcc, exec, s[50:51]
	s_cbranch_vccnz .LBB1314_271
; %bb.45:
	s_lshl_b64 s[54:55], s[52:53], 2
	s_add_u32 s54, s94, s54
	s_addc_u32 s55, s95, s55
	s_add_u32 s54, s54, -4
	s_addc_u32 s55, s55, -1
	s_cbranch_execnz .LBB1314_47
.LBB1314_46:
	s_add_u32 s54, s48, -4
	s_addc_u32 s55, s49, -1
.LBB1314_47:
	v_pk_mov_b32 v[6:7], s[54:55], s[54:55] op_sel:[0,1]
	flat_load_dword v68, v[6:7]
	s_movk_i32 s54, 0xffb0
	v_mad_i32_i24 v66, v0, s54, v2
	v_cmp_ne_u32_e32 vcc, 0, v0
	s_waitcnt lgkmcnt(0)
	ds_write_b32 v66, v5 offset:5376
	s_waitcnt lgkmcnt(0)
	; wave barrier
	s_waitcnt lgkmcnt(0)
	s_and_saveexec_b64 s[54:55], vcc
	s_cbranch_execz .LBB1314_49
; %bb.48:
	s_waitcnt vmcnt(0)
	ds_read_b32 v68, v66 offset:5372
.LBB1314_49:
	s_or_b64 exec, exec, s[54:55]
	s_waitcnt lgkmcnt(0)
	; wave barrier
	s_waitcnt lgkmcnt(0)
                                        ; implicit-def: $vgpr2_vgpr3
	s_and_saveexec_b64 s[54:55], s[2:3]
	s_cbranch_execnz .LBB1314_251
; %bb.50:
	s_or_b64 exec, exec, s[54:55]
                                        ; implicit-def: $vgpr6_vgpr7
	s_and_saveexec_b64 s[2:3], s[4:5]
	s_cbranch_execnz .LBB1314_252
.LBB1314_51:
	s_or_b64 exec, exec, s[2:3]
                                        ; implicit-def: $vgpr10_vgpr11
	s_and_saveexec_b64 s[2:3], s[46:47]
	s_cbranch_execnz .LBB1314_253
.LBB1314_52:
	s_or_b64 exec, exec, s[2:3]
                                        ; implicit-def: $vgpr14_vgpr15
	s_and_saveexec_b64 s[2:3], s[8:9]
	s_cbranch_execnz .LBB1314_254
.LBB1314_53:
	s_or_b64 exec, exec, s[2:3]
                                        ; implicit-def: $vgpr18_vgpr19
	s_and_saveexec_b64 s[2:3], s[10:11]
	s_cbranch_execnz .LBB1314_255
.LBB1314_54:
	s_or_b64 exec, exec, s[2:3]
                                        ; implicit-def: $vgpr20_vgpr21
	s_and_saveexec_b64 s[2:3], s[12:13]
	s_cbranch_execnz .LBB1314_256
.LBB1314_55:
	s_or_b64 exec, exec, s[2:3]
                                        ; implicit-def: $vgpr22_vgpr23
	s_and_saveexec_b64 s[2:3], s[14:15]
	s_cbranch_execnz .LBB1314_257
.LBB1314_56:
	s_or_b64 exec, exec, s[2:3]
                                        ; implicit-def: $vgpr26_vgpr27
	s_and_saveexec_b64 s[2:3], s[16:17]
	s_cbranch_execnz .LBB1314_258
.LBB1314_57:
	s_or_b64 exec, exec, s[2:3]
                                        ; implicit-def: $vgpr30_vgpr31
	s_and_saveexec_b64 s[2:3], s[18:19]
	s_cbranch_execnz .LBB1314_259
.LBB1314_58:
	s_or_b64 exec, exec, s[2:3]
                                        ; implicit-def: $vgpr34_vgpr35
	s_and_saveexec_b64 s[2:3], s[20:21]
	s_cbranch_execnz .LBB1314_260
.LBB1314_59:
	s_or_b64 exec, exec, s[2:3]
                                        ; implicit-def: $vgpr38_vgpr39
	s_and_saveexec_b64 s[2:3], s[22:23]
	s_cbranch_execnz .LBB1314_261
.LBB1314_60:
	s_or_b64 exec, exec, s[2:3]
                                        ; implicit-def: $vgpr42_vgpr43
	s_and_saveexec_b64 s[2:3], s[24:25]
	s_cbranch_execnz .LBB1314_262
.LBB1314_61:
	s_or_b64 exec, exec, s[2:3]
                                        ; implicit-def: $vgpr46_vgpr47
	s_and_saveexec_b64 s[2:3], s[26:27]
	s_cbranch_execnz .LBB1314_263
.LBB1314_62:
	s_or_b64 exec, exec, s[2:3]
                                        ; implicit-def: $vgpr48_vgpr49
	s_and_saveexec_b64 s[2:3], s[28:29]
	s_cbranch_execnz .LBB1314_264
.LBB1314_63:
	s_or_b64 exec, exec, s[2:3]
                                        ; implicit-def: $vgpr50_vgpr51
	s_and_saveexec_b64 s[2:3], s[30:31]
	s_cbranch_execnz .LBB1314_265
.LBB1314_64:
	s_or_b64 exec, exec, s[2:3]
                                        ; implicit-def: $vgpr52_vgpr53
	s_and_saveexec_b64 s[2:3], s[34:35]
	s_cbranch_execnz .LBB1314_266
.LBB1314_65:
	s_or_b64 exec, exec, s[2:3]
                                        ; implicit-def: $vgpr54_vgpr55
	s_and_saveexec_b64 s[2:3], s[36:37]
	s_cbranch_execnz .LBB1314_267
.LBB1314_66:
	s_or_b64 exec, exec, s[2:3]
                                        ; implicit-def: $vgpr56_vgpr57
	s_and_saveexec_b64 s[2:3], s[38:39]
	s_cbranch_execnz .LBB1314_268
.LBB1314_67:
	s_or_b64 exec, exec, s[2:3]
                                        ; implicit-def: $vgpr58_vgpr59
	s_and_saveexec_b64 s[2:3], s[40:41]
	s_cbranch_execnz .LBB1314_269
.LBB1314_68:
	s_or_b64 exec, exec, s[2:3]
                                        ; implicit-def: $vgpr60_vgpr61
	s_and_saveexec_b64 s[2:3], s[42:43]
	s_cbranch_execnz .LBB1314_270
.LBB1314_69:
	s_or_b64 exec, exec, s[2:3]
                                        ; implicit-def: $vgpr62_vgpr63
	s_and_saveexec_b64 s[2:3], s[44:45]
	s_cbranch_execz .LBB1314_71
.LBB1314_70:
	v_lshlrev_b32_e32 v1, 3, v65
	v_mov_b32_e32 v63, s62
	v_add_co_u32_e32 v62, vcc, s7, v1
	v_addc_co_u32_e32 v63, vcc, 0, v63, vcc
	flat_load_dwordx2 v[62:63], v[62:63]
.LBB1314_71:
	s_or_b64 exec, exec, s[2:3]
	v_lshl_add_u32 v69, v0, 2, v66
	v_mul_u32_u24_e32 v65, 21, v0
	s_waitcnt vmcnt(0) lgkmcnt(0)
	ds_write2st64_b64 v69, v[2:3], v[6:7] offset1:1
	ds_write2st64_b64 v69, v[10:11], v[14:15] offset0:2 offset1:3
	ds_write2st64_b64 v69, v[18:19], v[20:21] offset0:4 offset1:5
	;; [unrolled: 1-line block ×9, first 2 shown]
	ds_write_b64 v69, v[62:63] offset:10240
	v_pk_mov_b32 v[10:11], 0, 0
	v_cmp_gt_u32_e32 vcc, s64, v65
	s_mov_b64 s[4:5], 0
	s_mov_b64 s[10:11], 0
	s_mov_b32 s63, 0
	v_mov_b32_e32 v128, 0
	v_mov_b32_e32 v122, 0
	;; [unrolled: 1-line block ×5, first 2 shown]
	v_pk_mov_b32 v[70:71], v[10:11], v[10:11] op_sel:[0,1]
	v_pk_mov_b32 v[78:79], v[10:11], v[10:11] op_sel:[0,1]
	;; [unrolled: 1-line block ×8, first 2 shown]
	v_mov_b32_e32 v124, 0
	v_pk_mov_b32 v[38:39], v[10:11], v[10:11] op_sel:[0,1]
	v_pk_mov_b32 v[50:51], v[10:11], v[10:11] op_sel:[0,1]
	;; [unrolled: 1-line block ×5, first 2 shown]
	v_mov_b32_e32 v123, 0
	v_pk_mov_b32 v[34:35], v[10:11], v[10:11] op_sel:[0,1]
	v_pk_mov_b32 v[14:15], v[10:11], v[10:11] op_sel:[0,1]
	;; [unrolled: 1-line block ×5, first 2 shown]
	v_mov_b32_e32 v1, 0
	v_pk_mov_b32 v[2:3], v[10:11], v[10:11] op_sel:[0,1]
	s_waitcnt lgkmcnt(0)
	; wave barrier
	s_waitcnt lgkmcnt(0)
                                        ; implicit-def: $sgpr2_sgpr3
                                        ; implicit-def: $vgpr83
                                        ; implicit-def: $vgpr82
                                        ; implicit-def: $vgpr84
                                        ; implicit-def: $vgpr85
	s_and_saveexec_b64 s[12:13], vcc
	s_cbranch_execz .LBB1314_111
; %bb.72:
	s_movk_i32 s2, 0xa0
	v_mad_u32_u24 v2, v0, s2, v69
	ds_read_b64 v[2:3], v2
	v_cmp_ne_u32_e32 vcc, v68, v36
	v_add_u32_e32 v6, 1, v65
	v_pk_mov_b32 v[10:11], 0, 0
	v_cndmask_b32_e64 v1, 0, 1, vcc
	v_cmp_gt_u32_e32 vcc, s64, v6
	s_mov_b64 s[18:19], 0
	v_mov_b32_e32 v128, 0
	v_mov_b32_e32 v122, 0
	;; [unrolled: 1-line block ×5, first 2 shown]
	v_pk_mov_b32 v[70:71], v[10:11], v[10:11] op_sel:[0,1]
	v_pk_mov_b32 v[78:79], v[10:11], v[10:11] op_sel:[0,1]
	;; [unrolled: 1-line block ×8, first 2 shown]
	v_mov_b32_e32 v124, 0
	v_pk_mov_b32 v[38:39], v[10:11], v[10:11] op_sel:[0,1]
	v_pk_mov_b32 v[50:51], v[10:11], v[10:11] op_sel:[0,1]
	;; [unrolled: 1-line block ×5, first 2 shown]
	v_mov_b32_e32 v123, 0
	v_pk_mov_b32 v[34:35], v[10:11], v[10:11] op_sel:[0,1]
	v_pk_mov_b32 v[14:15], v[10:11], v[10:11] op_sel:[0,1]
	;; [unrolled: 1-line block ×5, first 2 shown]
                                        ; implicit-def: $sgpr2_sgpr3
                                        ; implicit-def: $vgpr83
                                        ; implicit-def: $vgpr82
                                        ; implicit-def: $vgpr84
                                        ; implicit-def: $vgpr85
	s_and_saveexec_b64 s[14:15], vcc
	s_cbranch_execz .LBB1314_110
; %bb.73:
	v_mul_u32_u24_e32 v6, 0xa0, v0
	v_add_u32_e32 v48, v69, v6
	ds_read2_b64 v[18:21], v48 offset0:1 offset1:2
	v_cmp_ne_u32_e64 s[8:9], v36, v37
	v_add_u32_e32 v6, 2, v65
	v_pk_mov_b32 v[10:11], 0, 0
	v_cmp_ne_u32_e32 vcc, v28, v29
	v_cmp_ne_u32_e64 s[2:3], v29, v32
	v_cmp_ne_u32_e64 s[4:5], v37, v28
	v_cndmask_b32_e64 v128, 0, 1, s[8:9]
	v_cmp_gt_u32_e64 s[8:9], s64, v6
	s_mov_b64 s[20:21], 0
	v_mov_b32_e32 v127, 0
	v_mov_b32_e32 v122, 0
	;; [unrolled: 1-line block ×4, first 2 shown]
	v_pk_mov_b32 v[70:71], v[10:11], v[10:11] op_sel:[0,1]
	v_pk_mov_b32 v[78:79], v[10:11], v[10:11] op_sel:[0,1]
	;; [unrolled: 1-line block ×8, first 2 shown]
	v_mov_b32_e32 v124, 0
	v_pk_mov_b32 v[38:39], v[10:11], v[10:11] op_sel:[0,1]
	v_pk_mov_b32 v[50:51], v[10:11], v[10:11] op_sel:[0,1]
	;; [unrolled: 1-line block ×5, first 2 shown]
	v_mov_b32_e32 v123, 0
	v_pk_mov_b32 v[34:35], v[10:11], v[10:11] op_sel:[0,1]
	v_pk_mov_b32 v[14:15], v[10:11], v[10:11] op_sel:[0,1]
	;; [unrolled: 1-line block ×4, first 2 shown]
                                        ; implicit-def: $sgpr22_sgpr23
                                        ; implicit-def: $vgpr83
                                        ; implicit-def: $vgpr82
                                        ; implicit-def: $vgpr84
                                        ; implicit-def: $vgpr85
	s_and_saveexec_b64 s[16:17], s[8:9]
	s_cbranch_execz .LBB1314_109
; %bb.74:
	v_cndmask_b32_e64 v6, 0, 1, s[4:5]
	v_cndmask_b32_e64 v7, 0, 1, s[2:3]
	v_lshlrev_b16_e32 v6, 8, v6
	v_lshlrev_b16_e32 v7, 8, v7
	v_cndmask_b32_e64 v10, 0, 1, vcc
	v_or_b32_e32 v6, v128, v6
	v_or_b32_sdwa v7, v10, v7 dst_sel:WORD_1 dst_unused:UNUSED_PAD src0_sel:DWORD src1_sel:DWORD
	v_add_u32_e32 v10, 3, v65
	v_or_b32_sdwa v83, v6, v7 dst_sel:DWORD dst_unused:UNUSED_PAD src0_sel:WORD_0 src1_sel:DWORD
	v_cmp_gt_u32_e32 vcc, s64, v10
	v_pk_mov_b32 v[10:11], 0, 0
	v_and_b32_e32 v128, 0xffff, v83
	s_waitcnt lgkmcnt(0)
	v_mov_b32_e32 v6, v20
	v_mov_b32_e32 v7, v21
	s_mov_b64 s[2:3], 0
	v_mov_b32_e32 v127, 0
	v_mov_b32_e32 v122, 0
	;; [unrolled: 1-line block ×4, first 2 shown]
	v_pk_mov_b32 v[70:71], v[10:11], v[10:11] op_sel:[0,1]
	v_pk_mov_b32 v[78:79], v[10:11], v[10:11] op_sel:[0,1]
	;; [unrolled: 1-line block ×8, first 2 shown]
	v_mov_b32_e32 v124, 0
	v_pk_mov_b32 v[38:39], v[10:11], v[10:11] op_sel:[0,1]
	v_pk_mov_b32 v[50:51], v[10:11], v[10:11] op_sel:[0,1]
	;; [unrolled: 1-line block ×5, first 2 shown]
	v_mov_b32_e32 v123, 0
	v_pk_mov_b32 v[34:35], v[10:11], v[10:11] op_sel:[0,1]
	v_pk_mov_b32 v[14:15], v[10:11], v[10:11] op_sel:[0,1]
	;; [unrolled: 1-line block ×3, first 2 shown]
                                        ; implicit-def: $sgpr4_sgpr5
                                        ; implicit-def: $vgpr82
                                        ; implicit-def: $vgpr84
                                        ; implicit-def: $vgpr85
	s_and_saveexec_b64 s[18:19], vcc
	s_cbranch_execz .LBB1314_108
; %bb.75:
	ds_read2_b64 v[26:29], v48 offset0:3 offset1:4
	v_add_u32_e32 v10, 4, v65
	v_cmp_gt_u32_e32 vcc, s64, v10
	v_pk_mov_b32 v[10:11], 0, 0
	v_and_b32_e32 v128, 0xffffff, v83
	s_mov_b64 s[4:5], 0
	v_mov_b32_e32 v127, 0
	v_mov_b32_e32 v122, 0
	;; [unrolled: 1-line block ×4, first 2 shown]
	v_pk_mov_b32 v[70:71], v[10:11], v[10:11] op_sel:[0,1]
	v_pk_mov_b32 v[78:79], v[10:11], v[10:11] op_sel:[0,1]
	;; [unrolled: 1-line block ×8, first 2 shown]
	v_mov_b32_e32 v124, 0
	v_pk_mov_b32 v[38:39], v[10:11], v[10:11] op_sel:[0,1]
	v_pk_mov_b32 v[50:51], v[10:11], v[10:11] op_sel:[0,1]
	;; [unrolled: 1-line block ×5, first 2 shown]
	v_mov_b32_e32 v123, 0
	v_pk_mov_b32 v[34:35], v[10:11], v[10:11] op_sel:[0,1]
	v_pk_mov_b32 v[14:15], v[10:11], v[10:11] op_sel:[0,1]
                                        ; implicit-def: $sgpr8_sgpr9
                                        ; implicit-def: $vgpr82
                                        ; implicit-def: $vgpr84
                                        ; implicit-def: $vgpr85
	s_and_saveexec_b64 s[20:21], vcc
	s_cbranch_execz .LBB1314_107
; %bb.76:
	v_add_u32_e32 v10, 5, v65
	v_cmp_gt_u32_e32 vcc, s64, v10
	v_pk_mov_b32 v[10:11], 0, 0
	s_waitcnt lgkmcnt(0)
	v_mov_b32_e32 v14, v28
	v_mov_b32_e32 v15, v29
	;; [unrolled: 1-line block ×6, first 2 shown]
	v_pk_mov_b32 v[70:71], v[10:11], v[10:11] op_sel:[0,1]
	v_pk_mov_b32 v[78:79], v[10:11], v[10:11] op_sel:[0,1]
	v_pk_mov_b32 v[62:63], v[10:11], v[10:11] op_sel:[0,1]
	v_pk_mov_b32 v[74:75], v[10:11], v[10:11] op_sel:[0,1]
	v_pk_mov_b32 v[54:55], v[10:11], v[10:11] op_sel:[0,1]
	v_pk_mov_b32 v[66:67], v[10:11], v[10:11] op_sel:[0,1]
	v_pk_mov_b32 v[46:47], v[10:11], v[10:11] op_sel:[0,1]
	v_pk_mov_b32 v[58:59], v[10:11], v[10:11] op_sel:[0,1]
	v_mov_b32_e32 v124, 0
	v_pk_mov_b32 v[38:39], v[10:11], v[10:11] op_sel:[0,1]
	v_pk_mov_b32 v[50:51], v[10:11], v[10:11] op_sel:[0,1]
	;; [unrolled: 1-line block ×5, first 2 shown]
	v_mov_b32_e32 v123, 0
	v_pk_mov_b32 v[34:35], v[10:11], v[10:11] op_sel:[0,1]
                                        ; implicit-def: $sgpr8_sgpr9
                                        ; implicit-def: $vgpr82
                                        ; implicit-def: $vgpr84
                                        ; implicit-def: $vgpr85
	s_and_saveexec_b64 s[22:23], vcc
	s_cbranch_execz .LBB1314_106
; %bb.77:
	ds_read2_b64 v[34:37], v48 offset0:5 offset1:6
	v_cmp_ne_u32_e32 vcc, v32, v44
	v_add_u32_e32 v10, 6, v65
	v_cndmask_b32_e64 v123, 0, 1, vcc
	v_cmp_gt_u32_e32 vcc, s64, v10
	v_pk_mov_b32 v[10:11], 0, 0
	s_mov_b64 s[28:29], 0
	v_mov_b32_e32 v127, 0
	v_mov_b32_e32 v122, 0
	;; [unrolled: 1-line block ×4, first 2 shown]
	v_pk_mov_b32 v[70:71], v[10:11], v[10:11] op_sel:[0,1]
	v_pk_mov_b32 v[78:79], v[10:11], v[10:11] op_sel:[0,1]
	;; [unrolled: 1-line block ×8, first 2 shown]
	v_mov_b32_e32 v124, 0
	v_pk_mov_b32 v[38:39], v[10:11], v[10:11] op_sel:[0,1]
	v_pk_mov_b32 v[50:51], v[10:11], v[10:11] op_sel:[0,1]
	;; [unrolled: 1-line block ×5, first 2 shown]
                                        ; implicit-def: $sgpr4_sgpr5
                                        ; implicit-def: $vgpr82
                                        ; implicit-def: $vgpr84
                                        ; implicit-def: $vgpr85
	s_and_saveexec_b64 s[24:25], vcc
	s_cbranch_execz .LBB1314_105
; %bb.78:
	v_cmp_ne_u32_e64 s[8:9], v44, v45
	v_add_u32_e32 v10, 7, v65
	v_cndmask_b32_e64 v127, 0, 1, s[8:9]
	v_cmp_gt_u32_e64 s[8:9], s64, v10
	v_pk_mov_b32 v[10:11], 0, 0
	s_waitcnt lgkmcnt(0)
	v_mov_b32_e32 v22, v36
	v_mov_b32_e32 v23, v37
	v_cmp_ne_u32_e32 vcc, v40, v41
	v_cmp_ne_u32_e64 s[2:3], v41, v33
	v_cmp_ne_u32_e64 s[4:5], v45, v40
	s_mov_b64 s[30:31], 0
	v_mov_b32_e32 v126, 0
	v_mov_b32_e32 v122, 0
	;; [unrolled: 1-line block ×3, first 2 shown]
	v_pk_mov_b32 v[70:71], v[10:11], v[10:11] op_sel:[0,1]
	v_pk_mov_b32 v[78:79], v[10:11], v[10:11] op_sel:[0,1]
	;; [unrolled: 1-line block ×8, first 2 shown]
	v_mov_b32_e32 v124, 0
	v_pk_mov_b32 v[38:39], v[10:11], v[10:11] op_sel:[0,1]
	v_pk_mov_b32 v[50:51], v[10:11], v[10:11] op_sel:[0,1]
	;; [unrolled: 1-line block ×4, first 2 shown]
                                        ; implicit-def: $sgpr34_sgpr35
                                        ; implicit-def: $vgpr82
                                        ; implicit-def: $vgpr84
                                        ; implicit-def: $vgpr85
	s_and_saveexec_b64 s[26:27], s[8:9]
	s_cbranch_execz .LBB1314_104
; %bb.79:
	v_cndmask_b32_e64 v10, 0, 1, s[4:5]
	v_cndmask_b32_e64 v11, 0, 1, s[2:3]
	v_lshlrev_b16_e32 v10, 8, v10
	v_lshlrev_b16_e32 v11, 8, v11
	v_cndmask_b32_e64 v20, 0, 1, vcc
	ds_read2_b64 v[42:45], v48 offset0:7 offset1:8
	v_or_b32_e32 v10, v127, v10
	v_or_b32_sdwa v11, v20, v11 dst_sel:WORD_1 dst_unused:UNUSED_PAD src0_sel:DWORD src1_sel:DWORD
	v_or_b32_sdwa v82, v10, v11 dst_sel:DWORD dst_unused:UNUSED_PAD src0_sel:WORD_0 src1_sel:DWORD
	v_add_u32_e32 v10, 8, v65
	v_cmp_gt_u32_e32 vcc, s64, v10
	v_pk_mov_b32 v[10:11], 0, 0
	v_and_b32_e32 v127, 0xffff, v82
	s_mov_b64 s[2:3], 0
	v_mov_b32_e32 v126, 0
	v_mov_b32_e32 v122, 0
	;; [unrolled: 1-line block ×3, first 2 shown]
	v_pk_mov_b32 v[70:71], v[10:11], v[10:11] op_sel:[0,1]
	v_pk_mov_b32 v[78:79], v[10:11], v[10:11] op_sel:[0,1]
	;; [unrolled: 1-line block ×8, first 2 shown]
	v_mov_b32_e32 v124, 0
	v_pk_mov_b32 v[38:39], v[10:11], v[10:11] op_sel:[0,1]
	v_pk_mov_b32 v[50:51], v[10:11], v[10:11] op_sel:[0,1]
	;; [unrolled: 1-line block ×3, first 2 shown]
                                        ; implicit-def: $sgpr4_sgpr5
                                        ; implicit-def: $vgpr84
                                        ; implicit-def: $vgpr85
	s_and_saveexec_b64 s[28:29], vcc
	s_cbranch_execz .LBB1314_103
; %bb.80:
	v_add_u32_e32 v10, 9, v65
	v_cmp_gt_u32_e32 vcc, s64, v10
	v_pk_mov_b32 v[10:11], 0, 0
	s_waitcnt lgkmcnt(0)
	v_mov_b32_e32 v30, v44
	v_mov_b32_e32 v31, v45
	v_and_b32_e32 v127, 0xffffff, v82
	s_mov_b64 s[4:5], 0
	v_mov_b32_e32 v126, 0
	v_mov_b32_e32 v122, 0
	;; [unrolled: 1-line block ×3, first 2 shown]
	v_pk_mov_b32 v[70:71], v[10:11], v[10:11] op_sel:[0,1]
	v_pk_mov_b32 v[78:79], v[10:11], v[10:11] op_sel:[0,1]
	;; [unrolled: 1-line block ×8, first 2 shown]
	v_mov_b32_e32 v124, 0
	v_pk_mov_b32 v[38:39], v[10:11], v[10:11] op_sel:[0,1]
	v_pk_mov_b32 v[50:51], v[10:11], v[10:11] op_sel:[0,1]
                                        ; implicit-def: $sgpr8_sgpr9
                                        ; implicit-def: $vgpr84
                                        ; implicit-def: $vgpr85
	s_and_saveexec_b64 s[30:31], vcc
	s_cbranch_execz .LBB1314_102
; %bb.81:
	ds_read2_b64 v[50:53], v48 offset0:9 offset1:10
	v_add_u32_e32 v10, 10, v65
	v_cmp_gt_u32_e32 vcc, s64, v10
	v_pk_mov_b32 v[10:11], 0, 0
	v_mov_b32_e32 v126, 0
	v_mov_b32_e32 v122, 0
	;; [unrolled: 1-line block ×3, first 2 shown]
	v_pk_mov_b32 v[70:71], v[10:11], v[10:11] op_sel:[0,1]
	v_pk_mov_b32 v[78:79], v[10:11], v[10:11] op_sel:[0,1]
	;; [unrolled: 1-line block ×8, first 2 shown]
	v_mov_b32_e32 v124, 0
	v_pk_mov_b32 v[38:39], v[10:11], v[10:11] op_sel:[0,1]
                                        ; implicit-def: $sgpr8_sgpr9
                                        ; implicit-def: $vgpr84
                                        ; implicit-def: $vgpr85
	s_and_saveexec_b64 s[34:35], vcc
	s_cbranch_execz .LBB1314_101
; %bb.82:
	v_cmp_ne_u32_e32 vcc, v33, v24
	v_add_u32_e32 v10, 11, v65
	v_cndmask_b32_e64 v124, 0, 1, vcc
	v_cmp_gt_u32_e32 vcc, s64, v10
	v_pk_mov_b32 v[10:11], 0, 0
	s_waitcnt lgkmcnt(0)
	v_mov_b32_e32 v38, v52
	v_mov_b32_e32 v39, v53
	s_mov_b64 s[40:41], 0
	v_mov_b32_e32 v126, 0
	v_mov_b32_e32 v122, 0
	;; [unrolled: 1-line block ×3, first 2 shown]
	v_pk_mov_b32 v[70:71], v[10:11], v[10:11] op_sel:[0,1]
	v_pk_mov_b32 v[78:79], v[10:11], v[10:11] op_sel:[0,1]
	;; [unrolled: 1-line block ×8, first 2 shown]
                                        ; implicit-def: $sgpr4_sgpr5
                                        ; implicit-def: $vgpr84
                                        ; implicit-def: $vgpr85
	s_and_saveexec_b64 s[36:37], vcc
	s_cbranch_execz .LBB1314_100
; %bb.83:
	ds_read2_b64 v[58:61], v48 offset0:11 offset1:12
	v_cmp_ne_u32_e64 s[8:9], v24, v25
	v_add_u32_e32 v10, 12, v65
	v_cndmask_b32_e64 v126, 0, 1, s[8:9]
	v_cmp_gt_u32_e64 s[8:9], s64, v10
	v_pk_mov_b32 v[10:11], 0, 0
	v_cmp_ne_u32_e32 vcc, v16, v17
	v_cmp_ne_u32_e64 s[2:3], v17, v64
	v_cmp_ne_u32_e64 s[4:5], v25, v16
	s_mov_b64 s[42:43], 0
	v_mov_b32_e32 v125, 0
	v_mov_b32_e32 v122, 0
	v_pk_mov_b32 v[70:71], v[10:11], v[10:11] op_sel:[0,1]
	v_pk_mov_b32 v[78:79], v[10:11], v[10:11] op_sel:[0,1]
	;; [unrolled: 1-line block ×7, first 2 shown]
                                        ; implicit-def: $sgpr44_sgpr45
                                        ; implicit-def: $vgpr84
                                        ; implicit-def: $vgpr85
	s_and_saveexec_b64 s[38:39], s[8:9]
	s_cbranch_execz .LBB1314_99
; %bb.84:
	v_cndmask_b32_e64 v10, 0, 1, s[4:5]
	v_cndmask_b32_e64 v11, 0, 1, s[2:3]
	v_lshlrev_b16_e32 v10, 8, v10
	v_lshlrev_b16_e32 v11, 8, v11
	v_cndmask_b32_e64 v16, 0, 1, vcc
	v_or_b32_e32 v10, v126, v10
	v_or_b32_sdwa v11, v16, v11 dst_sel:WORD_1 dst_unused:UNUSED_PAD src0_sel:DWORD src1_sel:DWORD
	v_or_b32_sdwa v84, v10, v11 dst_sel:DWORD dst_unused:UNUSED_PAD src0_sel:WORD_0 src1_sel:DWORD
	v_add_u32_e32 v10, 13, v65
	v_cmp_gt_u32_e32 vcc, s64, v10
	v_pk_mov_b32 v[10:11], 0, 0
	v_and_b32_e32 v126, 0xffff, v84
	s_waitcnt lgkmcnt(0)
	v_mov_b32_e32 v46, v60
	v_mov_b32_e32 v47, v61
	s_mov_b64 s[2:3], 0
	v_mov_b32_e32 v125, 0
	v_mov_b32_e32 v122, 0
	v_pk_mov_b32 v[70:71], v[10:11], v[10:11] op_sel:[0,1]
	v_pk_mov_b32 v[78:79], v[10:11], v[10:11] op_sel:[0,1]
	;; [unrolled: 1-line block ×6, first 2 shown]
                                        ; implicit-def: $sgpr4_sgpr5
                                        ; implicit-def: $vgpr85
	s_and_saveexec_b64 s[40:41], vcc
	s_cbranch_execz .LBB1314_98
; %bb.85:
	ds_read2_b64 v[66:69], v48 offset0:13 offset1:14
	v_add_u32_e32 v10, 14, v65
	v_cmp_gt_u32_e32 vcc, s64, v10
	v_pk_mov_b32 v[10:11], 0, 0
	s_mov_b64 s[66:67], s[58:59]
	v_and_b32_e32 v126, 0xffffff, v84
	s_mov_b64 s[4:5], 0
	v_mov_b32_e32 v125, 0
	v_mov_b32_e32 v122, 0
	v_pk_mov_b32 v[70:71], v[10:11], v[10:11] op_sel:[0,1]
	v_pk_mov_b32 v[78:79], v[10:11], v[10:11] op_sel:[0,1]
	;; [unrolled: 1-line block ×5, first 2 shown]
                                        ; implicit-def: $sgpr8_sgpr9
                                        ; implicit-def: $vgpr85
	s_and_saveexec_b64 s[42:43], vcc
	s_cbranch_execz .LBB1314_97
; %bb.86:
	v_add_u32_e32 v10, 15, v65
	v_cmp_gt_u32_e32 vcc, s64, v10
	v_pk_mov_b32 v[10:11], 0, 0
	s_waitcnt lgkmcnt(0)
	v_mov_b32_e32 v54, v68
	v_mov_b32_e32 v55, v69
	;; [unrolled: 1-line block ×4, first 2 shown]
	v_pk_mov_b32 v[70:71], v[10:11], v[10:11] op_sel:[0,1]
	v_pk_mov_b32 v[78:79], v[10:11], v[10:11] op_sel:[0,1]
	;; [unrolled: 1-line block ×4, first 2 shown]
                                        ; implicit-def: $sgpr8_sgpr9
                                        ; implicit-def: $vgpr85
	s_and_saveexec_b64 s[44:45], vcc
	s_cbranch_execz .LBB1314_96
; %bb.87:
	ds_read2_b64 v[74:77], v48 offset0:15 offset1:16
	v_cmp_ne_u32_e32 vcc, v64, v8
	v_add_u32_e32 v10, 16, v65
	v_cndmask_b32_e64 v122, 0, 1, vcc
	v_cmp_gt_u32_e32 vcc, s64, v10
	v_pk_mov_b32 v[10:11], 0, 0
	s_mov_b64 s[56:57], 0
	v_mov_b32_e32 v125, 0
	v_pk_mov_b32 v[70:71], v[10:11], v[10:11] op_sel:[0,1]
	v_pk_mov_b32 v[78:79], v[10:11], v[10:11] op_sel:[0,1]
	;; [unrolled: 1-line block ×3, first 2 shown]
                                        ; implicit-def: $sgpr4_sgpr5
                                        ; implicit-def: $vgpr85
	s_and_saveexec_b64 s[46:47], vcc
	s_cbranch_execz .LBB1314_95
; %bb.88:
	v_cmp_ne_u32_e64 s[8:9], v8, v9
	v_add_u32_e32 v8, 17, v65
	v_pk_mov_b32 v[10:11], 0, 0
	s_waitcnt lgkmcnt(0)
	v_mov_b32_e32 v62, v76
	v_mov_b32_e32 v63, v77
	v_cmp_ne_u32_e32 vcc, v12, v13
	v_cmp_ne_u32_e64 s[2:3], v13, v4
	v_cmp_ne_u32_e64 s[4:5], v9, v12
	v_cndmask_b32_e64 v125, 0, 1, s[8:9]
	v_cmp_gt_u32_e64 s[8:9], s64, v8
	s_mov_b64 s[58:59], 0
	v_pk_mov_b32 v[70:71], v[10:11], v[10:11] op_sel:[0,1]
	v_pk_mov_b32 v[78:79], v[10:11], v[10:11] op_sel:[0,1]
                                        ; implicit-def: $sgpr60_sgpr61
                                        ; implicit-def: $vgpr85
	s_and_saveexec_b64 s[54:55], s[8:9]
	s_cbranch_execz .LBB1314_94
; %bb.89:
	v_cndmask_b32_e64 v8, 0, 1, s[4:5]
	v_cndmask_b32_e64 v9, 0, 1, s[2:3]
	ds_read2_b64 v[78:81], v48 offset0:17 offset1:18
	v_lshlrev_b16_e32 v8, 8, v8
	v_lshlrev_b16_e32 v9, 8, v9
	v_cndmask_b32_e64 v10, 0, 1, vcc
	v_or_b32_e32 v8, v125, v8
	v_or_b32_sdwa v9, v10, v9 dst_sel:WORD_1 dst_unused:UNUSED_PAD src0_sel:DWORD src1_sel:DWORD
	v_or_b32_sdwa v85, v8, v9 dst_sel:DWORD dst_unused:UNUSED_PAD src0_sel:WORD_0 src1_sel:DWORD
	v_add_u32_e32 v8, 18, v65
	v_pk_mov_b32 v[10:11], 0, 0
	v_and_b32_e32 v125, 0xffff, v85
	v_cmp_gt_u32_e32 vcc, s64, v8
	s_mov_b64 s[2:3], 0
	v_pk_mov_b32 v[70:71], v[10:11], v[10:11] op_sel:[0,1]
                                        ; implicit-def: $sgpr8_sgpr9
	s_and_saveexec_b64 s[4:5], vcc
	s_cbranch_execz .LBB1314_93
; %bb.90:
	v_add_u32_e32 v8, 19, v65
	s_waitcnt lgkmcnt(0)
	v_mov_b32_e32 v70, v80
	v_mov_b32_e32 v71, v81
	v_cmp_gt_u32_e32 vcc, s64, v8
	v_and_b32_e32 v125, 0xffffff, v85
	v_pk_mov_b32 v[10:11], 0, 0
                                        ; implicit-def: $sgpr8_sgpr9
	s_and_saveexec_b64 s[56:57], vcc
	s_xor_b64 s[56:57], exec, s[56:57]
	s_cbranch_execz .LBB1314_92
; %bb.91:
	ds_read2_b64 v[10:13], v48 offset0:19 offset1:20
	v_cmp_ne_u32_e32 vcc, v4, v5
	v_add_u32_e32 v4, 20, v65
	v_cmp_gt_u32_e64 s[2:3], s64, v4
	s_and_b64 s[8:9], vcc, exec
	s_and_b64 s[2:3], s[2:3], exec
	s_waitcnt lgkmcnt(0)
	v_pk_mov_b32 v[72:73], v[10:11], v[10:11] op_sel:[0,1]
	v_mov_b32_e32 v125, v85
.LBB1314_92:
	s_or_b64 exec, exec, s[56:57]
	s_and_b64 s[8:9], s[8:9], exec
	s_and_b64 s[58:59], s[2:3], exec
.LBB1314_93:
	s_or_b64 exec, exec, s[4:5]
	s_and_b64 s[60:61], s[8:9], exec
	s_and_b64 s[56:57], s[58:59], exec
	s_waitcnt lgkmcnt(0)
	v_pk_mov_b32 v[64:65], v[78:79], v[78:79] op_sel:[0,1]
	v_pk_mov_b32 v[56:57], v[74:75], v[74:75] op_sel:[0,1]
	;; [unrolled: 1-line block ×9, first 2 shown]
.LBB1314_94:
	s_or_b64 exec, exec, s[54:55]
	s_and_b64 s[4:5], s[60:61], exec
	s_and_b64 s[2:3], s[56:57], exec
.LBB1314_95:
	s_or_b64 exec, exec, s[46:47]
	s_and_b64 s[8:9], s[4:5], exec
	s_and_b64 s[4:5], s[2:3], exec
.LBB1314_96:
	s_or_b64 exec, exec, s[44:45]
	s_and_b64 s[8:9], s[8:9], exec
	s_and_b64 s[2:3], s[4:5], exec
	v_mov_b32_e32 v126, v84
.LBB1314_97:
	s_or_b64 exec, exec, s[42:43]
	s_and_b64 s[4:5], s[8:9], exec
	s_and_b64 s[42:43], s[2:3], exec
	s_mov_b64 s[58:59], s[66:67]
.LBB1314_98:
	s_or_b64 exec, exec, s[40:41]
	s_and_b64 s[44:45], s[4:5], exec
	s_and_b64 s[40:41], s[42:43], exec
.LBB1314_99:
	s_or_b64 exec, exec, s[38:39]
	s_and_b64 s[4:5], s[44:45], exec
	s_and_b64 s[2:3], s[40:41], exec
.LBB1314_100:
	s_or_b64 exec, exec, s[36:37]
	s_and_b64 s[8:9], s[4:5], exec
	s_and_b64 s[4:5], s[2:3], exec
.LBB1314_101:
	s_or_b64 exec, exec, s[34:35]
	s_and_b64 s[8:9], s[8:9], exec
	s_and_b64 s[2:3], s[4:5], exec
	v_mov_b32_e32 v127, v82
.LBB1314_102:
	s_or_b64 exec, exec, s[30:31]
	s_and_b64 s[4:5], s[8:9], exec
	s_and_b64 s[30:31], s[2:3], exec
.LBB1314_103:
	s_or_b64 exec, exec, s[28:29]
	s_and_b64 s[34:35], s[4:5], exec
	s_and_b64 s[28:29], s[30:31], exec
.LBB1314_104:
	s_or_b64 exec, exec, s[26:27]
	s_and_b64 s[4:5], s[34:35], exec
	s_and_b64 s[2:3], s[28:29], exec
.LBB1314_105:
	s_or_b64 exec, exec, s[24:25]
	s_and_b64 s[8:9], s[4:5], exec
	s_and_b64 s[4:5], s[2:3], exec
.LBB1314_106:
	s_or_b64 exec, exec, s[22:23]
	s_and_b64 s[8:9], s[8:9], exec
	s_and_b64 s[2:3], s[4:5], exec
	v_mov_b32_e32 v128, v83
.LBB1314_107:
	s_or_b64 exec, exec, s[20:21]
	s_and_b64 s[4:5], s[8:9], exec
	s_and_b64 s[20:21], s[2:3], exec
.LBB1314_108:
	s_or_b64 exec, exec, s[18:19]
	s_and_b64 s[22:23], s[4:5], exec
	s_and_b64 s[18:19], s[20:21], exec
.LBB1314_109:
	s_or_b64 exec, exec, s[16:17]
	s_and_b64 s[2:3], s[22:23], exec
	s_and_b64 s[4:5], s[18:19], exec
.LBB1314_110:
	s_or_b64 exec, exec, s[14:15]
	s_and_b64 s[2:3], s[2:3], exec
	s_and_b64 s[4:5], s[4:5], exec
.LBB1314_111:
	s_or_b64 exec, exec, s[12:13]
	s_mov_b64 s[8:9], 0
	s_and_b64 vcc, exec, s[10:11]
	s_cbranch_vccnz .LBB1314_113
	s_branch .LBB1314_121
.LBB1314_112:
                                        ; implicit-def: $sgpr2_sgpr3
                                        ; implicit-def: $vgpr83
                                        ; implicit-def: $vgpr82
                                        ; implicit-def: $vgpr84
                                        ; implicit-def: $vgpr85
                                        ; implicit-def: $vgpr12_vgpr13
                                        ; implicit-def: $vgpr72_vgpr73
                                        ; implicit-def: $vgpr64_vgpr65
                                        ; implicit-def: $vgpr122
                                        ; implicit-def: $vgpr56_vgpr57
                                        ; implicit-def: $vgpr48_vgpr49
                                        ; implicit-def: $vgpr40_vgpr41
                                        ; implicit-def: $vgpr124
                                        ; implicit-def: $vgpr32_vgpr33
                                        ; implicit-def: $vgpr24_vgpr25
                                        ; implicit-def: $vgpr123
                                        ; implicit-def: $vgpr16_vgpr17
                                        ; implicit-def: $vgpr8_vgpr9
                                        ; implicit-def: $vgpr4_vgpr5
                                        ; implicit-def: $vgpr1
                                        ; implicit-def: $vgpr128
                                        ; implicit-def: $vgpr127
                                        ; implicit-def: $vgpr126
                                        ; implicit-def: $vgpr125
                                        ; implicit-def: $sgpr63
                                        ; implicit-def: $sgpr8_sgpr9
                                        ; implicit-def: $vgpr78_vgpr79
                                        ; implicit-def: $vgpr74_vgpr75
                                        ; implicit-def: $vgpr66_vgpr67
                                        ; implicit-def: $vgpr58_vgpr59
                                        ; implicit-def: $vgpr50_vgpr51
                                        ; implicit-def: $vgpr42_vgpr43
                                        ; implicit-def: $vgpr34_vgpr35
                                        ; implicit-def: $vgpr26_vgpr27
                                        ; implicit-def: $vgpr18_vgpr19
	s_and_b64 vcc, exec, s[10:11]
	s_cbranch_vccz .LBB1314_121
.LBB1314_113:
	v_lshlrev_b32_e32 v1, 2, v0
	s_waitcnt lgkmcnt(0)
	v_mov_b32_e32 v3, s49
	v_add_co_u32_e32 v2, vcc, s48, v1
	v_addc_co_u32_e32 v3, vcc, 0, v3, vcc
	s_movk_i32 s2, 0x1000
	flat_load_dword v4, v[2:3]
	flat_load_dword v5, v[2:3] offset:256
	flat_load_dword v6, v[2:3] offset:512
	;; [unrolled: 1-line block ×15, first 2 shown]
	v_add_co_u32_e32 v2, vcc, s2, v2
	v_addc_co_u32_e32 v3, vcc, 0, v3, vcc
	flat_load_dword v20, v[2:3]
	flat_load_dword v21, v[2:3] offset:256
	flat_load_dword v22, v[2:3] offset:512
	;; [unrolled: 1-line block ×4, first 2 shown]
	s_movk_i32 s2, 0x50
	v_mad_u32_u24 v23, v0, s2, v1
	s_cmp_eq_u64 s[52:53], 0
	s_waitcnt vmcnt(0) lgkmcnt(0)
	ds_write2st64_b32 v1, v4, v5 offset1:1
	ds_write2st64_b32 v1, v6, v7 offset0:2 offset1:3
	ds_write2st64_b32 v1, v8, v9 offset0:4 offset1:5
	;; [unrolled: 1-line block ×9, first 2 shown]
	ds_write_b32 v1, v25 offset:5120
	s_waitcnt lgkmcnt(0)
	; wave barrier
	s_waitcnt lgkmcnt(0)
	ds_read2_b32 v[8:9], v23 offset0:7 offset1:8
	ds_read2_b32 v[6:7], v23 offset0:5 offset1:6
	;; [unrolled: 1-line block ×3, first 2 shown]
	ds_read2_b32 v[10:11], v23 offset1:1
	ds_read2_b32 v[4:5], v23 offset0:4 offset1:9
	ds_read2_b32 v[16:17], v23 offset0:15 offset1:16
	ds_read_b32 v22, v23 offset:56
	ds_read2_b32 v[14:15], v23 offset0:12 offset1:13
	ds_read2_b32 v[12:13], v23 offset0:10 offset1:11
	;; [unrolled: 1-line block ×4, first 2 shown]
	s_cbranch_scc1 .LBB1314_118
; %bb.114:
	s_andn2_b64 vcc, exec, s[50:51]
	s_cbranch_vccnz .LBB1314_272
; %bb.115:
	s_lshl_b64 s[2:3], s[52:53], 2
	s_add_u32 s2, s94, s2
	s_addc_u32 s3, s95, s3
	s_add_u32 s2, s2, -4
	s_addc_u32 s3, s3, -1
	s_cbranch_execnz .LBB1314_117
.LBB1314_116:
	s_add_u32 s2, s48, -4
	s_addc_u32 s3, s49, -1
.LBB1314_117:
	s_mov_b64 s[48:49], s[2:3]
.LBB1314_118:
	v_pk_mov_b32 v[24:25], s[48:49], s[48:49] op_sel:[0,1]
	flat_load_dword v1, v[24:25]
	s_movk_i32 s2, 0xffb0
	v_mad_i32_i24 v23, v0, s2, v23
	v_cmp_ne_u32_e32 vcc, 0, v0
	s_waitcnt lgkmcnt(0)
	ds_write_b32 v23, v21 offset:5376
	s_waitcnt lgkmcnt(0)
	; wave barrier
	s_waitcnt lgkmcnt(0)
	s_and_saveexec_b64 s[2:3], vcc
	s_cbranch_execz .LBB1314_120
; %bb.119:
	s_waitcnt vmcnt(0)
	ds_read_b32 v1, v23 offset:5372
.LBB1314_120:
	s_or_b64 exec, exec, s[2:3]
	v_lshlrev_b32_e32 v24, 3, v0
	v_mov_b32_e32 v25, s62
	v_add_co_u32_e32 v24, vcc, s7, v24
	v_addc_co_u32_e32 v25, vcc, 0, v25, vcc
	s_movk_i32 s2, 0x1000
	v_add_co_u32_e32 v42, vcc, s2, v24
	v_addc_co_u32_e32 v43, vcc, 0, v25, vcc
	s_movk_i32 s2, 0x2000
	s_waitcnt lgkmcnt(0)
	; wave barrier
	s_waitcnt lgkmcnt(0)
	flat_load_dwordx2 v[26:27], v[24:25]
	flat_load_dwordx2 v[28:29], v[24:25] offset:512
	flat_load_dwordx2 v[30:31], v[24:25] offset:1024
	;; [unrolled: 1-line block ×7, first 2 shown]
	v_add_co_u32_e32 v24, vcc, s2, v24
	v_addc_co_u32_e32 v25, vcc, 0, v25, vcc
	flat_load_dwordx2 v[44:45], v[42:43]
	flat_load_dwordx2 v[46:47], v[42:43] offset:512
	flat_load_dwordx2 v[48:49], v[42:43] offset:1024
	;; [unrolled: 1-line block ×7, first 2 shown]
	s_nop 0
	flat_load_dwordx2 v[42:43], v[24:25]
	flat_load_dwordx2 v[60:61], v[24:25] offset:512
	flat_load_dwordx2 v[62:63], v[24:25] offset:1024
	;; [unrolled: 1-line block ×4, first 2 shown]
	v_cmp_ne_u32_e32 vcc, v17, v18
	v_cmp_ne_u32_e64 s[2:3], v20, v21
	v_cndmask_b32_e64 v21, 0, 1, vcc
	v_cmp_ne_u32_e32 vcc, v16, v17
	v_cndmask_b32_e64 v17, 0, 1, vcc
	v_cmp_ne_u32_e32 vcc, v19, v20
	;; [unrolled: 2-line block ×6, first 2 shown]
	v_lshlrev_b16_e32 v16, 8, v16
	v_cndmask_b32_e64 v13, 0, 1, vcc
	v_cmp_ne_u32_e32 vcc, v15, v22
	v_or_b32_e32 v13, v13, v16
	v_cndmask_b32_e64 v16, 0, 1, vcc
	v_cmp_ne_u32_e32 vcc, v14, v15
	v_cndmask_b32_e64 v14, 0, 1, vcc
	v_cmp_ne_u32_e32 vcc, v5, v12
	;; [unrolled: 2-line block ×6, first 2 shown]
	v_lshlrev_b16_e32 v12, 8, v12
	v_lshlrev_b16_e32 v5, 8, v5
	v_cndmask_b32_e64 v8, 0, 1, vcc
	v_cmp_ne_u32_e32 vcc, v4, v6
	v_or_b32_e32 v7, v7, v12
	v_or_b32_sdwa v5, v8, v5 dst_sel:WORD_1 dst_unused:UNUSED_PAD src0_sel:DWORD src1_sel:DWORD
	v_cndmask_b32_e64 v123, 0, 1, vcc
	v_cmp_ne_u32_e32 vcc, v11, v2
	v_or_b32_sdwa v82, v7, v5 dst_sel:DWORD dst_unused:UNUSED_PAD src0_sel:WORD_0 src1_sel:DWORD
	v_cndmask_b32_e64 v5, 0, 1, vcc
	v_cmp_ne_u32_e32 vcc, v10, v11
	v_cndmask_b32_e64 v6, 0, 1, vcc
	v_cmp_ne_u32_e32 vcc, v3, v4
	v_lshlrev_b16_e32 v21, 8, v21
	v_lshlrev_b16_e32 v20, 8, v20
	v_cndmask_b32_e64 v4, 0, 1, vcc
	v_cmp_ne_u32_e32 vcc, v2, v3
	v_or_b32_e32 v17, v17, v21
	v_or_b32_sdwa v18, v18, v20 dst_sel:WORD_1 dst_unused:UNUSED_PAD src0_sel:DWORD src1_sel:DWORD
	v_lshlrev_b16_e32 v4, 8, v4
	v_cndmask_b32_e64 v2, 0, 1, vcc
	v_or_b32_sdwa v85, v17, v18 dst_sel:DWORD dst_unused:UNUSED_PAD src0_sel:WORD_0 src1_sel:DWORD
	v_lshlrev_b16_e32 v16, 8, v16
	v_or_b32_sdwa v18, v2, v4 dst_sel:WORD_1 dst_unused:UNUSED_PAD src0_sel:DWORD src1_sel:DWORD
	v_lshl_add_u32 v2, v0, 2, v23
	s_movk_i32 s4, 0xa0
	v_or_b32_sdwa v14, v14, v16 dst_sel:WORD_1 dst_unused:UNUSED_PAD src0_sel:DWORD src1_sel:DWORD
	v_lshlrev_b16_e32 v5, 8, v5
	v_mad_u32_u24 v12, v0, s4, v2
	v_or_b32_sdwa v84, v13, v14 dst_sel:DWORD dst_unused:UNUSED_PAD src0_sel:WORD_0 src1_sel:DWORD
	v_or_b32_e32 v11, v6, v5
	s_waitcnt vmcnt(0)
	v_cmp_ne_u32_e32 vcc, v1, v10
	v_or_b32_sdwa v83, v11, v18 dst_sel:DWORD dst_unused:UNUSED_PAD src0_sel:WORD_0 src1_sel:DWORD
	v_cndmask_b32_e64 v1, 0, 1, vcc
	s_mov_b64 s[4:5], -1
                                        ; implicit-def: $vgpr128
                                        ; implicit-def: $vgpr127
                                        ; implicit-def: $vgpr126
                                        ; implicit-def: $vgpr125
                                        ; implicit-def: $sgpr63
                                        ; implicit-def: $sgpr8_sgpr9
                                        ; implicit-def: $vgpr78_vgpr79
                                        ; implicit-def: $vgpr74_vgpr75
                                        ; implicit-def: $vgpr18_vgpr19
	s_waitcnt lgkmcnt(0)
	ds_write2st64_b64 v2, v[26:27], v[28:29] offset1:1
	ds_write2st64_b64 v2, v[30:31], v[32:33] offset0:2 offset1:3
	ds_write2st64_b64 v2, v[34:35], v[36:37] offset0:4 offset1:5
	;; [unrolled: 1-line block ×9, first 2 shown]
	ds_write_b64 v2, v[66:67] offset:10240
	s_waitcnt lgkmcnt(0)
	; wave barrier
	s_waitcnt lgkmcnt(0)
	ds_read2_b64 v[2:5], v12 offset1:1
	ds_read2_b64 v[6:9], v12 offset0:2 offset1:3
	ds_read2_b64 v[14:17], v12 offset0:4 offset1:5
	;; [unrolled: 1-line block ×9, first 2 shown]
	ds_read_b64 v[12:13], v12 offset:160
                                        ; implicit-def: $vgpr66_vgpr67
                                        ; implicit-def: $vgpr58_vgpr59
                                        ; implicit-def: $vgpr50_vgpr51
                                        ; implicit-def: $vgpr42_vgpr43
                                        ; implicit-def: $vgpr34_vgpr35
                                        ; implicit-def: $vgpr26_vgpr27
.LBB1314_121:
	s_waitcnt lgkmcnt(0)
	v_pk_mov_b32 v[20:21], s[8:9], s[8:9] op_sel:[0,1]
	v_mov_b32_e32 v28, s63
	s_and_saveexec_b64 s[8:9], s[4:5]
	s_cbranch_execz .LBB1314_123
; %bb.122:
	v_cndmask_b32_e64 v28, 0, 1, s[2:3]
	v_pk_mov_b32 v[18:19], v[4:5], v[4:5] op_sel:[0,1]
	v_pk_mov_b32 v[26:27], v[8:9], v[8:9] op_sel:[0,1]
	v_pk_mov_b32 v[34:35], v[16:17], v[16:17] op_sel:[0,1]
	v_pk_mov_b32 v[42:43], v[24:25], v[24:25] op_sel:[0,1]
	v_pk_mov_b32 v[50:51], v[32:33], v[32:33] op_sel:[0,1]
	v_pk_mov_b32 v[58:59], v[40:41], v[40:41] op_sel:[0,1]
	v_pk_mov_b32 v[66:67], v[48:49], v[48:49] op_sel:[0,1]
	v_pk_mov_b32 v[74:75], v[56:57], v[56:57] op_sel:[0,1]
	v_pk_mov_b32 v[78:79], v[64:65], v[64:65] op_sel:[0,1]
	v_pk_mov_b32 v[10:11], v[72:73], v[72:73] op_sel:[0,1]
	v_pk_mov_b32 v[20:21], v[12:13], v[12:13] op_sel:[0,1]
	v_mov_b32_e32 v125, v85
	v_mov_b32_e32 v126, v84
	v_mov_b32_e32 v127, v82
	v_mov_b32_e32 v128, v83
.LBB1314_123:
	s_or_b64 exec, exec, s[8:9]
	v_and_b32_e32 v129, 1, v123
	v_and_b32_e32 v40, 1, v124
	v_and_b32_e32 v33, 1, v122
	v_and_b32_e32 v32, 1, v28
	s_cmp_lg_u32 s6, 0
	v_lshrrev_b32_e32 v130, 8, v128
	v_cmp_eq_u32_e32 vcc, 1, v129
	v_lshrrev_b32_e32 v41, 8, v127
	v_cmp_eq_u32_e64 s[44:45], 1, v40
	v_lshrrev_b32_e32 v37, 8, v126
	v_cmp_eq_u32_e64 s[46:47], 1, v33
	;; [unrolled: 2-line block ×3, first 2 shown]
	v_mbcnt_lo_u32_b32 v29, -1, 0
	s_waitcnt lgkmcnt(0)
	; wave barrier
	s_cbranch_scc0 .LBB1314_182
; %bb.124:
	v_mov_b32_e32 v4, 0
	v_cmp_eq_u16_sdwa s[2:3], v128, v4 src0_sel:BYTE_0 src1_sel:DWORD
	v_cndmask_b32_e64 v9, 0, v2, s[2:3]
	v_cndmask_b32_e64 v5, 0, v3, s[2:3]
	v_add_co_u32_e64 v9, s[4:5], v9, v18
	v_addc_co_u32_e64 v5, s[4:5], v5, v19, s[4:5]
	v_and_b32_e32 v12, 1, v128
	s_movk_i32 s7, 0xff
	v_cmp_eq_u32_e64 s[48:49], 1, v12
	v_cmp_eq_u16_sdwa s[4:5], v130, v4 src0_sel:BYTE_0 src1_sel:DWORD
	v_and_b32_e32 v12, 0x100, v128
	v_cndmask_b32_e64 v9, 0, v9, s[4:5]
	v_cmp_ne_u32_e64 s[52:53], 0, v12
	v_and_b32_sdwa v12, v128, s7 dst_sel:DWORD dst_unused:UNUSED_PAD src0_sel:WORD_1 src1_sel:DWORD
	v_cndmask_b32_e64 v5, 0, v5, s[4:5]
	v_add_co_u32_e64 v9, s[8:9], v9, v6
	v_cmp_eq_u16_e64 s[62:63], 0, v12
	v_addc_co_u32_e64 v5, s[8:9], v5, v7, s[8:9]
	v_cndmask_b32_e64 v9, 0, v9, s[62:63]
	v_cndmask_b32_e64 v5, 0, v5, s[62:63]
	v_add_co_u32_e64 v9, s[8:9], v9, v26
	v_addc_co_u32_e64 v5, s[8:9], v5, v27, s[8:9]
	v_cmp_eq_u16_sdwa s[8:9], v128, v4 src0_sel:BYTE_3 src1_sel:DWORD
	v_cndmask_b32_e64 v9, 0, v9, s[8:9]
	v_cndmask_b32_e64 v5, 0, v5, s[8:9]
	v_add_co_u32_e64 v9, s[10:11], v9, v14
	v_cmp_eq_u16_sdwa s[12:13], v123, v4 src0_sel:BYTE_0 src1_sel:DWORD
	v_addc_co_u32_e64 v5, s[10:11], v5, v15, s[10:11]
	v_cndmask_b32_e64 v9, 0, v9, s[12:13]
	v_cndmask_b32_e64 v5, 0, v5, s[12:13]
	v_add_co_u32_e64 v9, s[10:11], v9, v34
	v_addc_co_u32_e64 v5, s[10:11], v5, v35, s[10:11]
	v_cmp_eq_u16_sdwa s[10:11], v127, v4 src0_sel:BYTE_0 src1_sel:DWORD
	v_cndmask_b32_e64 v9, 0, v9, s[10:11]
	v_cndmask_b32_e64 v5, 0, v5, s[10:11]
	v_add_co_u32_e64 v9, s[14:15], v9, v22
	v_and_b32_e32 v12, 0x10000, v128
	v_addc_co_u32_e64 v5, s[14:15], v5, v23, s[14:15]
	v_cmp_ne_u32_e64 s[54:55], 0, v12
	v_and_b32_e32 v12, 0x1000000, v128
	v_cmp_eq_u16_sdwa s[14:15], v41, v4 src0_sel:BYTE_0 src1_sel:DWORD
	v_cmp_ne_u32_e64 s[56:57], 0, v12
	v_and_b32_e32 v12, 1, v127
	v_cndmask_b32_e64 v9, 0, v9, s[14:15]
	s_mov_b64 s[94:95], s[58:59]
	v_cmp_eq_u32_e64 s[58:59], 1, v12
	v_cndmask_b32_e64 v5, 0, v5, s[14:15]
	v_add_co_u32_e64 v9, s[16:17], v9, v42
	v_and_b32_e32 v12, 0x100, v127
	v_addc_co_u32_e64 v5, s[16:17], v5, v43, s[16:17]
	v_cmp_ne_u32_e64 s[60:61], 0, v12
	v_and_b32_sdwa v12, v127, s7 dst_sel:DWORD dst_unused:UNUSED_PAD src0_sel:WORD_1 src1_sel:DWORD
	v_cmp_eq_u16_e64 s[16:17], 0, v12
	v_cndmask_b32_e64 v9, 0, v9, s[16:17]
	v_cndmask_b32_e64 v5, 0, v5, s[16:17]
	v_add_co_u32_e64 v9, s[18:19], v9, v30
	v_addc_co_u32_e64 v5, s[18:19], v5, v31, s[18:19]
	v_cmp_eq_u16_sdwa s[18:19], v127, v4 src0_sel:BYTE_3 src1_sel:DWORD
	v_cndmask_b32_e64 v9, 0, v9, s[18:19]
	v_cndmask_b32_e64 v5, 0, v5, s[18:19]
	v_add_co_u32_e64 v9, s[20:21], v9, v50
	v_cmp_eq_u16_sdwa s[22:23], v124, v4 src0_sel:BYTE_0 src1_sel:DWORD
	v_addc_co_u32_e64 v5, s[20:21], v5, v51, s[20:21]
	v_cndmask_b32_e64 v9, 0, v9, s[22:23]
	v_cndmask_b32_e64 v5, 0, v5, s[22:23]
	v_add_co_u32_e64 v9, s[20:21], v9, v38
	v_writelane_b32 v131, s68, 2
	v_addc_co_u32_e64 v5, s[20:21], v5, v39, s[20:21]
	v_writelane_b32 v131, s69, 3
	v_cmp_eq_u16_sdwa s[20:21], v126, v4 src0_sel:BYTE_0 src1_sel:DWORD
	v_writelane_b32 v131, s70, 4
	v_cndmask_b32_e64 v9, 0, v9, s[20:21]
	v_writelane_b32 v131, s71, 5
	v_cndmask_b32_e64 v5, 0, v5, s[20:21]
	v_add_co_u32_e64 v9, s[24:25], v9, v58
	v_writelane_b32 v131, s72, 6
	v_and_b32_e32 v12, 0x10000, v127
	v_addc_co_u32_e64 v5, s[24:25], v5, v59, s[24:25]
	v_writelane_b32 v131, s73, 7
	v_cmp_ne_u32_e64 s[64:65], 0, v12
	v_and_b32_e32 v12, 0x1000000, v127
	v_cmp_eq_u16_sdwa s[24:25], v37, v4 src0_sel:BYTE_0 src1_sel:DWORD
	v_writelane_b32 v131, s74, 8
	v_cmp_ne_u32_e64 s[66:67], 0, v12
	v_and_b32_e32 v12, 1, v126
	v_cndmask_b32_e64 v9, 0, v9, s[24:25]
	v_writelane_b32 v131, s75, 9
	v_cmp_eq_u32_e64 s[68:69], 1, v12
	v_cndmask_b32_e64 v5, 0, v5, s[24:25]
	v_add_co_u32_e64 v9, s[26:27], v9, v46
	v_and_b32_e32 v12, 0x100, v126
	v_addc_co_u32_e64 v5, s[26:27], v5, v47, s[26:27]
	v_cmp_ne_u32_e64 s[70:71], 0, v12
	v_and_b32_sdwa v12, v126, s7 dst_sel:DWORD dst_unused:UNUSED_PAD src0_sel:WORD_1 src1_sel:DWORD
	v_cmp_eq_u16_e64 s[26:27], 0, v12
	v_cndmask_b32_e64 v9, 0, v9, s[26:27]
	v_cndmask_b32_e64 v5, 0, v5, s[26:27]
	v_add_co_u32_e64 v9, s[28:29], v9, v66
	v_addc_co_u32_e64 v5, s[28:29], v5, v67, s[28:29]
	v_cmp_eq_u16_sdwa s[28:29], v126, v4 src0_sel:BYTE_3 src1_sel:DWORD
	v_cndmask_b32_e64 v9, 0, v9, s[28:29]
	v_cndmask_b32_e64 v5, 0, v5, s[28:29]
	v_add_co_u32_e64 v9, s[30:31], v9, v54
	v_cmp_eq_u16_sdwa s[34:35], v122, v4 src0_sel:BYTE_0 src1_sel:DWORD
	v_addc_co_u32_e64 v5, s[30:31], v5, v55, s[30:31]
	v_cndmask_b32_e64 v9, 0, v9, s[34:35]
	v_cndmask_b32_e64 v5, 0, v5, s[34:35]
	v_add_co_u32_e64 v9, s[30:31], v9, v74
	v_addc_co_u32_e64 v5, s[30:31], v5, v75, s[30:31]
	v_cmp_eq_u16_sdwa s[30:31], v125, v4 src0_sel:BYTE_0 src1_sel:DWORD
	v_cndmask_b32_e64 v9, 0, v9, s[30:31]
	v_cndmask_b32_e64 v5, 0, v5, s[30:31]
	v_add_co_u32_e64 v9, s[36:37], v9, v62
	v_and_b32_e32 v12, 0x10000, v126
	v_addc_co_u32_e64 v5, s[36:37], v5, v63, s[36:37]
	v_cmp_ne_u32_e64 s[72:73], 0, v12
	v_and_b32_e32 v12, 0x1000000, v126
	v_cmp_eq_u16_sdwa s[36:37], v36, v4 src0_sel:BYTE_0 src1_sel:DWORD
	v_cmp_ne_u32_e64 s[74:75], 0, v12
	v_and_b32_e32 v12, 1, v125
	v_cndmask_b32_e64 v9, 0, v9, s[36:37]
	v_cmp_eq_u32_e64 s[76:77], 1, v12
	v_cndmask_b32_e64 v5, 0, v5, s[36:37]
	v_add_co_u32_e64 v9, s[38:39], v9, v78
	v_and_b32_e32 v12, 0x100, v125
	v_addc_co_u32_e64 v5, s[38:39], v5, v79, s[38:39]
	v_cmp_ne_u32_e64 s[78:79], 0, v12
	v_and_b32_sdwa v12, v125, s7 dst_sel:DWORD dst_unused:UNUSED_PAD src0_sel:WORD_1 src1_sel:DWORD
	v_cmp_eq_u16_e64 s[38:39], 0, v12
	v_and_b32_e32 v12, 0x10000, v125
	v_cmp_ne_u32_e64 s[80:81], 0, v12
	v_and_b32_e32 v12, 0x1000000, v125
	v_cmp_ne_u32_e64 s[82:83], 0, v12
	s_or_b64 s[50:51], s[50:51], s[82:83]
	s_or_b64 s[50:51], s[50:51], s[80:81]
	;; [unrolled: 1-line block ×9, first 2 shown]
	v_cndmask_b32_e64 v9, 0, v9, s[38:39]
	s_or_b64 s[44:45], s[46:47], s[44:45]
	v_cndmask_b32_e64 v5, 0, v5, s[38:39]
	v_add_co_u32_e64 v9, s[40:41], v9, v70
	s_or_b64 s[44:45], s[44:45], s[66:67]
	v_addc_co_u32_e64 v5, s[40:41], v5, v71, s[40:41]
	s_or_b64 s[44:45], s[44:45], s[64:65]
	v_cmp_eq_u16_sdwa s[40:41], v125, v4 src0_sel:BYTE_3 src1_sel:DWORD
	s_or_b64 s[44:45], s[44:45], s[60:61]
	v_cndmask_b32_e64 v9, 0, v9, s[40:41]
	s_or_b64 s[44:45], s[44:45], s[58:59]
	v_cndmask_b32_e64 v5, 0, v5, s[40:41]
	v_add_co_u32_e64 v9, s[42:43], v9, v10
	s_or_b64 s[44:45], s[44:45], vcc
	v_addc_co_u32_e64 v5, s[42:43], v5, v11, s[42:43]
	s_or_b64 s[44:45], s[44:45], s[56:57]
	v_cmp_eq_u16_sdwa s[42:43], v28, v4 src0_sel:BYTE_0 src1_sel:DWORD
	s_or_b64 s[44:45], s[44:45], s[54:55]
	v_cndmask_b32_e64 v4, 0, v9, s[42:43]
	s_or_b64 s[44:45], s[44:45], s[52:53]
	v_and_b32_e32 v8, 0xff, v1
	v_cndmask_b32_e64 v5, 0, v5, s[42:43]
	v_add_co_u32_e64 v4, s[84:85], v4, v20
	s_or_b64 s[44:45], s[44:45], s[48:49]
	v_mbcnt_hi_u32_b32 v9, -1, v29
	v_addc_co_u32_e64 v5, s[84:85], v5, v21, s[84:85]
	v_cndmask_b32_e64 v8, v8, 1, s[44:45]
	v_and_b32_e32 v12, 15, v9
	v_mov_b32_dpp v16, v4 row_shr:1 row_mask:0xf bank_mask:0xf
	v_mov_b32_dpp v17, v5 row_shr:1 row_mask:0xf bank_mask:0xf
	;; [unrolled: 1-line block ×3, first 2 shown]
	v_cmp_ne_u32_e32 vcc, 0, v12
	s_and_saveexec_b64 s[44:45], vcc
; %bb.125:
	v_cmp_eq_u32_e32 vcc, 0, v8
	v_cndmask_b32_e32 v16, 0, v16, vcc
	v_cndmask_b32_e32 v17, 0, v17, vcc
	v_add_co_u32_e32 v4, vcc, v16, v4
	v_addc_co_u32_e32 v5, vcc, v17, v5, vcc
	v_and_or_b32 v8, v13, 1, v8
; %bb.126:
	s_or_b64 exec, exec, s[44:45]
	v_mov_b32_dpp v16, v4 row_shr:2 row_mask:0xf bank_mask:0xf
	v_mov_b32_dpp v17, v5 row_shr:2 row_mask:0xf bank_mask:0xf
	;; [unrolled: 1-line block ×3, first 2 shown]
	v_cmp_lt_u32_e32 vcc, 1, v12
	s_and_saveexec_b64 s[44:45], vcc
; %bb.127:
	v_cmp_eq_u32_e32 vcc, 0, v8
	v_cndmask_b32_e32 v16, 0, v16, vcc
	v_cndmask_b32_e32 v17, 0, v17, vcc
	v_add_co_u32_e32 v4, vcc, v16, v4
	v_or_b32_e32 v8, v13, v8
	v_addc_co_u32_e32 v5, vcc, v17, v5, vcc
	v_and_b32_e32 v8, 1, v8
; %bb.128:
	s_or_b64 exec, exec, s[44:45]
	v_mov_b32_dpp v16, v4 row_shr:4 row_mask:0xf bank_mask:0xf
	v_mov_b32_dpp v17, v5 row_shr:4 row_mask:0xf bank_mask:0xf
	;; [unrolled: 1-line block ×3, first 2 shown]
	v_cmp_lt_u32_e32 vcc, 3, v12
	s_and_saveexec_b64 s[44:45], vcc
	v_readlane_b32 s68, v131, 2
	s_mov_b64 s[58:59], s[94:95]
	v_readlane_b32 s69, v131, 3
	v_readlane_b32 s70, v131, 4
	;; [unrolled: 1-line block ×7, first 2 shown]
; %bb.129:
	v_cmp_eq_u32_e32 vcc, 0, v8
	v_cndmask_b32_e32 v16, 0, v16, vcc
	v_cndmask_b32_e32 v17, 0, v17, vcc
	v_add_co_u32_e32 v4, vcc, v16, v4
	v_or_b32_e32 v8, v13, v8
	v_addc_co_u32_e32 v5, vcc, v17, v5, vcc
	v_and_b32_e32 v8, 1, v8
; %bb.130:
	s_or_b64 exec, exec, s[44:45]
	v_mov_b32_dpp v16, v4 row_shr:8 row_mask:0xf bank_mask:0xf
	v_mov_b32_dpp v17, v5 row_shr:8 row_mask:0xf bank_mask:0xf
	v_mov_b32_dpp v13, v8 row_shr:8 row_mask:0xf bank_mask:0xf
	v_cmp_lt_u32_e32 vcc, 7, v12
	s_and_saveexec_b64 s[44:45], vcc
; %bb.131:
	v_cmp_eq_u32_e32 vcc, 0, v8
	v_cndmask_b32_e32 v16, 0, v16, vcc
	v_cndmask_b32_e32 v12, 0, v17, vcc
	v_add_co_u32_e32 v4, vcc, v16, v4
	v_or_b32_e32 v8, v13, v8
	v_addc_co_u32_e32 v5, vcc, v12, v5, vcc
	v_and_b32_e32 v8, 1, v8
; %bb.132:
	s_or_b64 exec, exec, s[44:45]
	v_and_b32_e32 v17, 16, v9
	v_mov_b32_dpp v13, v4 row_bcast:15 row_mask:0xf bank_mask:0xf
	v_mov_b32_dpp v16, v5 row_bcast:15 row_mask:0xf bank_mask:0xf
	;; [unrolled: 1-line block ×3, first 2 shown]
	v_cmp_ne_u32_e32 vcc, 0, v17
	s_and_saveexec_b64 s[44:45], vcc
; %bb.133:
	v_cmp_eq_u32_e32 vcc, 0, v8
	v_cndmask_b32_e32 v13, 0, v13, vcc
	v_cndmask_b32_e32 v16, 0, v16, vcc
	v_add_co_u32_e32 v4, vcc, v13, v4
	v_or_b32_e32 v8, v12, v8
	v_addc_co_u32_e32 v5, vcc, v16, v5, vcc
	v_and_b32_e32 v8, 1, v8
; %bb.134:
	s_or_b64 exec, exec, s[44:45]
	v_mov_b32_dpp v16, v4 row_bcast:31 row_mask:0xf bank_mask:0xf
	v_mov_b32_dpp v17, v5 row_bcast:31 row_mask:0xf bank_mask:0xf
	;; [unrolled: 1-line block ×3, first 2 shown]
	v_cmp_lt_u32_e32 vcc, 31, v9
	v_mov_b32_e32 v12, v8
	s_and_saveexec_b64 s[44:45], vcc
; %bb.135:
	v_cmp_eq_u32_e32 vcc, 0, v8
	v_cndmask_b32_e32 v16, 0, v16, vcc
	v_cndmask_b32_e32 v12, 0, v17, vcc
	v_add_co_u32_e32 v4, vcc, v16, v4
	v_or_b32_e32 v8, v13, v8
	v_addc_co_u32_e32 v5, vcc, v12, v5, vcc
	v_and_b32_e32 v12, 1, v8
	v_and_b32_e32 v8, 1, v8
; %bb.136:
	s_or_b64 exec, exec, s[44:45]
	v_cmp_eq_u32_e32 vcc, 63, v0
	s_and_saveexec_b64 s[44:45], vcc
	s_cbranch_execz .LBB1314_138
; %bb.137:
	v_mov_b32_e32 v13, 0
	ds_write_b64 v13, v[4:5]
	ds_write_b8 v13, v12 offset:8
.LBB1314_138:
	s_or_b64 exec, exec, s[44:45]
	v_add_u32_e32 v12, -1, v9
	v_and_b32_e32 v13, 64, v9
	v_cmp_lt_i32_e32 vcc, v12, v13
	v_cndmask_b32_e32 v12, v12, v9, vcc
	v_lshlrev_b32_e32 v12, 2, v12
	ds_bpermute_b32 v45, v12, v4
	ds_bpermute_b32 v48, v12, v5
	;; [unrolled: 1-line block ×3, first 2 shown]
	v_cmp_gt_u32_e32 vcc, 64, v0
	s_waitcnt lgkmcnt(0)
	; wave barrier
	s_waitcnt lgkmcnt(0)
	s_and_saveexec_b64 s[48:49], vcc
	s_cbranch_execz .LBB1314_181
; %bb.139:
	v_mov_b32_e32 v13, 0
	ds_read_b64 v[4:5], v13
	ds_read_u8 v49, v13 offset:8
	s_mov_b32 s51, 0
	v_cmp_eq_u32_e64 s[44:45], 0, v9
	s_and_saveexec_b64 s[46:47], s[44:45]
	s_cbranch_execz .LBB1314_141
; %bb.140:
	s_add_i32 s50, s6, 64
	s_lshl_b64 s[52:53], s[50:51], 4
	s_add_u32 s52, s68, s52
	s_addc_u32 s53, s69, s53
	v_mov_b32_e32 v8, s50
	v_mov_b32_e32 v12, 1
	s_waitcnt lgkmcnt(1)
	global_store_dwordx2 v13, v[4:5], s[52:53]
	s_waitcnt lgkmcnt(0)
	global_store_byte v13, v49, s[52:53] offset:8
	s_waitcnt vmcnt(0)
	buffer_wbinvl1_vol
	global_store_byte v8, v12, s[72:73]
.LBB1314_141:
	s_or_b64 exec, exec, s[46:47]
	v_xad_u32 v8, v9, -1, s6
	v_add_u32_e32 v12, 64, v8
	global_load_ubyte v52, v12, s[72:73] glc
	s_waitcnt vmcnt(0)
	v_cmp_eq_u16_e32 vcc, 0, v52
	s_and_saveexec_b64 s[46:47], vcc
	s_cbranch_execz .LBB1314_145
; %bb.142:
	v_mov_b32_e32 v17, s73
	v_add_co_u32_e32 v16, vcc, s72, v12
	v_addc_co_u32_e32 v17, vcc, 0, v17, vcc
	s_mov_b64 s[50:51], 0
.LBB1314_143:                           ; =>This Inner Loop Header: Depth=1
	global_load_ubyte v52, v[16:17], off glc
	s_waitcnt vmcnt(0)
	v_cmp_ne_u16_e32 vcc, 0, v52
	s_or_b64 s[50:51], vcc, s[50:51]
	s_andn2_b64 exec, exec, s[50:51]
	s_cbranch_execnz .LBB1314_143
; %bb.144:
	s_or_b64 exec, exec, s[50:51]
.LBB1314_145:
	s_or_b64 exec, exec, s[46:47]
	v_mov_b32_e32 v16, s71
	v_mov_b32_e32 v17, s69
	v_cmp_eq_u16_e32 vcc, 1, v52
	v_cndmask_b32_e32 v16, v16, v17, vcc
	v_mov_b32_e32 v17, s70
	v_mov_b32_e32 v24, s68
	v_cndmask_b32_e32 v17, v17, v24, vcc
	v_lshlrev_b64 v[12:13], 4, v[12:13]
	v_add_co_u32_e32 v12, vcc, v17, v12
	v_addc_co_u32_e32 v13, vcc, v16, v13, vcc
	s_waitcnt lgkmcnt(0)
	buffer_wbinvl1_vol
	global_load_dwordx2 v[24:25], v[12:13], off
	global_load_ubyte v81, v[12:13], off offset:8
	v_cmp_eq_u16_e32 vcc, 2, v52
	v_lshlrev_b64 v[12:13], v9, -1
	v_and_b32_e32 v53, 63, v9
	v_and_b32_e32 v16, vcc_hi, v13
	v_and_b32_e32 v64, vcc_lo, v12
	v_cmp_ne_u32_e32 vcc, 63, v53
	v_addc_co_u32_e32 v17, vcc, 0, v9, vcc
	v_lshlrev_b32_e32 v56, 2, v17
	v_or_b32_e32 v16, 0x80000000, v16
	v_ffbl_b32_e32 v16, v16
	v_add_u32_e32 v16, 32, v16
	v_ffbl_b32_e32 v64, v64
	v_min_u32_e32 v16, v64, v16
	v_cmp_lt_u32_e32 vcc, v53, v16
	s_waitcnt vmcnt(1)
	ds_bpermute_b32 v60, v56, v24
	s_waitcnt vmcnt(0)
	v_and_b32_e32 v17, 1, v81
	ds_bpermute_b32 v61, v56, v25
	ds_bpermute_b32 v57, v56, v17
	s_and_saveexec_b64 s[46:47], vcc
	s_cbranch_execz .LBB1314_147
; %bb.146:
	v_mov_b32_e32 v17, 0
	v_cmp_eq_u16_sdwa vcc, v81, v17 src0_sel:BYTE_0 src1_sel:DWORD
	s_waitcnt lgkmcnt(2)
	v_cndmask_b32_e32 v60, 0, v60, vcc
	s_waitcnt lgkmcnt(1)
	v_cndmask_b32_e32 v17, 0, v61, vcc
	v_add_co_u32_e32 v24, vcc, v60, v24
	v_addc_co_u32_e32 v25, vcc, v17, v25, vcc
	s_waitcnt lgkmcnt(0)
	v_and_b32_e32 v17, 1, v57
	v_or_b32_e32 v81, v17, v81
	v_and_b32_e32 v17, 0xff, v81
.LBB1314_147:
	s_or_b64 exec, exec, s[46:47]
	v_cmp_gt_u32_e32 vcc, 62, v53
	s_waitcnt lgkmcnt(0)
	v_cndmask_b32_e64 v57, 0, 1, vcc
	v_lshlrev_b32_e32 v57, 1, v57
	v_add_lshl_u32 v57, v57, v9, 2
	ds_bpermute_b32 v64, v57, v24
	ds_bpermute_b32 v65, v57, v25
	ds_bpermute_b32 v61, v57, v17
	v_add_u32_e32 v60, 2, v53
	v_cmp_le_u32_e32 vcc, v60, v16
	s_and_saveexec_b64 s[50:51], vcc
	s_cbranch_execz .LBB1314_149
; %bb.148:
	v_mov_b32_e32 v17, 0
	v_cmp_eq_u16_sdwa vcc, v81, v17 src0_sel:BYTE_0 src1_sel:DWORD
	s_waitcnt lgkmcnt(2)
	v_cndmask_b32_e32 v64, 0, v64, vcc
	s_waitcnt lgkmcnt(1)
	v_cndmask_b32_e32 v17, 0, v65, vcc
	v_add_co_u32_e32 v24, vcc, v64, v24
	v_addc_co_u32_e32 v25, vcc, v17, v25, vcc
	v_and_b32_e32 v17, 1, v81
	v_cmp_eq_u32_e32 vcc, 1, v17
	s_waitcnt lgkmcnt(0)
	v_and_b32_e32 v17, 1, v61
	v_cmp_eq_u32_e64 s[46:47], 1, v17
	s_or_b64 s[46:47], vcc, s[46:47]
	v_cndmask_b32_e64 v81, 0, 1, s[46:47]
	v_cndmask_b32_e64 v17, 0, 1, s[46:47]
.LBB1314_149:
	s_or_b64 exec, exec, s[50:51]
	v_cmp_gt_u32_e32 vcc, 60, v53
	s_waitcnt lgkmcnt(0)
	v_cndmask_b32_e64 v61, 0, 1, vcc
	v_lshlrev_b32_e32 v61, 2, v61
	v_add_lshl_u32 v61, v61, v9, 2
	ds_bpermute_b32 v68, v61, v24
	ds_bpermute_b32 v69, v61, v25
	ds_bpermute_b32 v65, v61, v17
	v_add_u32_e32 v64, 4, v53
	v_cmp_le_u32_e32 vcc, v64, v16
	s_and_saveexec_b64 s[50:51], vcc
	s_cbranch_execz .LBB1314_151
; %bb.150:
	v_mov_b32_e32 v17, 0
	v_cmp_eq_u16_sdwa vcc, v81, v17 src0_sel:BYTE_0 src1_sel:DWORD
	s_waitcnt lgkmcnt(2)
	v_cndmask_b32_e32 v68, 0, v68, vcc
	s_waitcnt lgkmcnt(1)
	v_cndmask_b32_e32 v17, 0, v69, vcc
	v_add_co_u32_e32 v24, vcc, v68, v24
	v_addc_co_u32_e32 v25, vcc, v17, v25, vcc
	v_and_b32_e32 v17, 1, v81
	v_cmp_eq_u32_e32 vcc, 1, v17
	s_waitcnt lgkmcnt(0)
	v_and_b32_e32 v17, 1, v65
	v_cmp_eq_u32_e64 s[46:47], 1, v17
	s_or_b64 s[46:47], vcc, s[46:47]
	v_cndmask_b32_e64 v81, 0, 1, s[46:47]
	v_cndmask_b32_e64 v17, 0, 1, s[46:47]
.LBB1314_151:
	;; [unrolled: 31-line block ×4, first 2 shown]
	s_or_b64 exec, exec, s[50:51]
	v_cmp_gt_u32_e32 vcc, 32, v53
	s_waitcnt lgkmcnt(0)
	v_cndmask_b32_e64 v73, 0, 1, vcc
	v_lshlrev_b32_e32 v73, 5, v73
	v_add_lshl_u32 v76, v73, v9, 2
	ds_bpermute_b32 v73, v76, v24
	ds_bpermute_b32 v80, v76, v25
	;; [unrolled: 1-line block ×3, first 2 shown]
	v_add_u32_e32 v77, 32, v53
	v_cmp_le_u32_e32 vcc, v77, v16
	s_and_saveexec_b64 s[50:51], vcc
	s_cbranch_execz .LBB1314_157
; %bb.156:
	v_mov_b32_e32 v16, 0
	v_cmp_eq_u16_sdwa vcc, v81, v16 src0_sel:BYTE_0 src1_sel:DWORD
	s_waitcnt lgkmcnt(2)
	v_cndmask_b32_e32 v17, 0, v73, vcc
	s_waitcnt lgkmcnt(1)
	v_cndmask_b32_e32 v16, 0, v80, vcc
	v_add_co_u32_e32 v24, vcc, v17, v24
	v_addc_co_u32_e32 v25, vcc, v16, v25, vcc
	v_and_b32_e32 v16, 1, v81
	s_waitcnt lgkmcnt(0)
	v_and_b32_e32 v9, 1, v9
	v_cmp_eq_u32_e32 vcc, 1, v16
	v_cmp_eq_u32_e64 s[46:47], 1, v9
	s_or_b64 s[46:47], vcc, s[46:47]
	v_cndmask_b32_e64 v81, 0, 1, s[46:47]
.LBB1314_157:
	s_or_b64 exec, exec, s[50:51]
	s_waitcnt lgkmcnt(0)
	v_mov_b32_e32 v9, 0
	v_mov_b32_e32 v80, 2
	s_branch .LBB1314_159
.LBB1314_158:                           ;   in Loop: Header=BB1314_159 Depth=1
	s_or_b64 exec, exec, s[52:53]
	v_cmp_eq_u16_sdwa vcc, v73, v9 src0_sel:BYTE_0 src1_sel:DWORD
	v_cndmask_b32_e32 v24, 0, v24, vcc
	v_cndmask_b32_e32 v25, 0, v25, vcc
	v_add_co_u32_e32 v24, vcc, v24, v16
	v_addc_co_u32_e32 v25, vcc, v25, v17, vcc
	v_and_b32_e32 v81, 1, v73
	v_cmp_eq_u32_e32 vcc, 1, v81
	s_or_b64 s[46:47], vcc, s[50:51]
	v_subrev_u32_e32 v8, 64, v8
	v_cndmask_b32_e64 v81, 0, 1, s[46:47]
.LBB1314_159:                           ; =>This Loop Header: Depth=1
                                        ;     Child Loop BB1314_162 Depth 2
	v_cmp_ne_u16_sdwa s[46:47], v52, v80 src0_sel:BYTE_0 src1_sel:DWORD
	v_cndmask_b32_e64 v16, 0, 1, s[46:47]
	;;#ASMSTART
	;;#ASMEND
	v_cmp_ne_u32_e32 vcc, 0, v16
	v_mov_b32_e32 v73, v81
	s_cmp_lg_u64 vcc, exec
	v_pk_mov_b32 v[16:17], v[24:25], v[24:25] op_sel:[0,1]
	s_cbranch_scc1 .LBB1314_176
; %bb.160:                              ;   in Loop: Header=BB1314_159 Depth=1
	global_load_ubyte v52, v8, s[72:73] glc
	s_waitcnt vmcnt(0)
	v_cmp_eq_u16_e32 vcc, 0, v52
	s_and_saveexec_b64 s[46:47], vcc
	s_cbranch_execz .LBB1314_164
; %bb.161:                              ;   in Loop: Header=BB1314_159 Depth=1
	v_mov_b32_e32 v25, s73
	v_add_co_u32_e32 v24, vcc, s72, v8
	v_addc_co_u32_e32 v25, vcc, 0, v25, vcc
	s_mov_b64 s[50:51], 0
.LBB1314_162:                           ;   Parent Loop BB1314_159 Depth=1
                                        ; =>  This Inner Loop Header: Depth=2
	global_load_ubyte v52, v[24:25], off glc
	s_waitcnt vmcnt(0)
	v_cmp_ne_u16_e32 vcc, 0, v52
	s_or_b64 s[50:51], vcc, s[50:51]
	s_andn2_b64 exec, exec, s[50:51]
	s_cbranch_execnz .LBB1314_162
; %bb.163:                              ;   in Loop: Header=BB1314_159 Depth=1
	s_or_b64 exec, exec, s[50:51]
.LBB1314_164:                           ;   in Loop: Header=BB1314_159 Depth=1
	s_or_b64 exec, exec, s[46:47]
	v_mov_b32_e32 v24, s71
	v_mov_b32_e32 v25, s69
	v_cmp_eq_u16_e32 vcc, 1, v52
	v_cndmask_b32_e32 v81, v24, v25, vcc
	v_mov_b32_e32 v24, s70
	v_mov_b32_e32 v25, s68
	v_cndmask_b32_e32 v82, v24, v25, vcc
	v_lshlrev_b64 v[24:25], 4, v[8:9]
	v_add_co_u32_e32 v82, vcc, v82, v24
	s_waitcnt lgkmcnt(0)
	v_addc_co_u32_e32 v83, vcc, v81, v25, vcc
	buffer_wbinvl1_vol
	global_load_dwordx2 v[24:25], v[82:83], off
	global_load_ubyte v81, v[82:83], off offset:8
	v_cmp_eq_u16_e32 vcc, 2, v52
	v_and_b32_e32 v82, vcc_hi, v13
	v_or_b32_e32 v82, 0x80000000, v82
	v_and_b32_e32 v87, vcc_lo, v12
	v_ffbl_b32_e32 v82, v82
	v_add_u32_e32 v82, 32, v82
	v_ffbl_b32_e32 v87, v87
	v_min_u32_e32 v82, v87, v82
	v_cmp_lt_u32_e32 vcc, v53, v82
	s_waitcnt vmcnt(1)
	ds_bpermute_b32 v85, v56, v24
	s_waitcnt vmcnt(0)
	v_and_b32_e32 v83, 1, v81
	ds_bpermute_b32 v86, v56, v25
	ds_bpermute_b32 v84, v56, v83
	s_and_saveexec_b64 s[46:47], vcc
	s_cbranch_execz .LBB1314_166
; %bb.165:                              ;   in Loop: Header=BB1314_159 Depth=1
	v_cmp_eq_u16_sdwa vcc, v81, v9 src0_sel:BYTE_0 src1_sel:DWORD
	s_waitcnt lgkmcnt(2)
	v_cndmask_b32_e32 v85, 0, v85, vcc
	s_waitcnt lgkmcnt(1)
	v_cndmask_b32_e32 v83, 0, v86, vcc
	v_add_co_u32_e32 v24, vcc, v85, v24
	v_addc_co_u32_e32 v25, vcc, v83, v25, vcc
	s_waitcnt lgkmcnt(0)
	v_and_b32_e32 v83, 1, v84
	v_or_b32_e32 v81, v83, v81
	v_and_b32_e32 v83, 0xff, v81
.LBB1314_166:                           ;   in Loop: Header=BB1314_159 Depth=1
	s_or_b64 exec, exec, s[46:47]
	s_waitcnt lgkmcnt(2)
	ds_bpermute_b32 v85, v57, v24
	s_waitcnt lgkmcnt(2)
	ds_bpermute_b32 v86, v57, v25
	;; [unrolled: 2-line block ×3, first 2 shown]
	v_and_b32_e32 v87, 1, v81
	v_cmp_le_u32_e32 vcc, v60, v82
	v_cmp_eq_u32_e64 s[50:51], 1, v87
	s_and_saveexec_b64 s[46:47], vcc
	s_cbranch_execz .LBB1314_168
; %bb.167:                              ;   in Loop: Header=BB1314_159 Depth=1
	v_cmp_eq_u16_sdwa vcc, v81, v9 src0_sel:BYTE_0 src1_sel:DWORD
	s_waitcnt lgkmcnt(2)
	v_cndmask_b32_e32 v83, 0, v85, vcc
	s_waitcnt lgkmcnt(1)
	v_cndmask_b32_e32 v81, 0, v86, vcc
	v_add_co_u32_e32 v24, vcc, v83, v24
	v_addc_co_u32_e32 v25, vcc, v81, v25, vcc
	s_waitcnt lgkmcnt(0)
	v_and_b32_e32 v81, 1, v84
	v_cmp_eq_u32_e32 vcc, 1, v81
	s_or_b64 s[52:53], s[50:51], vcc
	v_cndmask_b32_e64 v81, 0, 1, s[52:53]
	v_cndmask_b32_e64 v83, 0, 1, s[52:53]
	s_andn2_b64 s[50:51], s[50:51], exec
	s_and_b64 s[52:53], s[52:53], exec
	s_or_b64 s[50:51], s[50:51], s[52:53]
.LBB1314_168:                           ;   in Loop: Header=BB1314_159 Depth=1
	s_or_b64 exec, exec, s[46:47]
	s_waitcnt lgkmcnt(2)
	ds_bpermute_b32 v85, v61, v24
	s_waitcnt lgkmcnt(2)
	ds_bpermute_b32 v86, v61, v25
	s_waitcnt lgkmcnt(2)
	ds_bpermute_b32 v84, v61, v83
	v_cmp_le_u32_e32 vcc, v64, v82
	s_and_saveexec_b64 s[52:53], vcc
	s_cbranch_execz .LBB1314_170
; %bb.169:                              ;   in Loop: Header=BB1314_159 Depth=1
	v_cmp_eq_u16_sdwa vcc, v81, v9 src0_sel:BYTE_0 src1_sel:DWORD
	s_waitcnt lgkmcnt(2)
	v_cndmask_b32_e32 v85, 0, v85, vcc
	s_waitcnt lgkmcnt(1)
	v_cndmask_b32_e32 v83, 0, v86, vcc
	v_add_co_u32_e32 v24, vcc, v85, v24
	v_addc_co_u32_e32 v25, vcc, v83, v25, vcc
	v_and_b32_e32 v81, 1, v81
	v_cmp_eq_u32_e32 vcc, 1, v81
	s_waitcnt lgkmcnt(0)
	v_and_b32_e32 v81, 1, v84
	v_cmp_eq_u32_e64 s[46:47], 1, v81
	s_or_b64 s[46:47], vcc, s[46:47]
	v_cndmask_b32_e64 v81, 0, 1, s[46:47]
	v_cndmask_b32_e64 v83, 0, 1, s[46:47]
	s_andn2_b64 s[50:51], s[50:51], exec
	s_and_b64 s[46:47], s[46:47], exec
	s_or_b64 s[50:51], s[50:51], s[46:47]
.LBB1314_170:                           ;   in Loop: Header=BB1314_159 Depth=1
	s_or_b64 exec, exec, s[52:53]
	s_waitcnt lgkmcnt(2)
	ds_bpermute_b32 v85, v65, v24
	s_waitcnt lgkmcnt(2)
	ds_bpermute_b32 v86, v65, v25
	s_waitcnt lgkmcnt(2)
	ds_bpermute_b32 v84, v65, v83
	v_cmp_le_u32_e32 vcc, v68, v82
	s_and_saveexec_b64 s[52:53], vcc
	s_cbranch_execz .LBB1314_172
; %bb.171:                              ;   in Loop: Header=BB1314_159 Depth=1
	v_cmp_eq_u16_sdwa vcc, v81, v9 src0_sel:BYTE_0 src1_sel:DWORD
	s_waitcnt lgkmcnt(2)
	v_cndmask_b32_e32 v85, 0, v85, vcc
	s_waitcnt lgkmcnt(1)
	v_cndmask_b32_e32 v83, 0, v86, vcc
	v_add_co_u32_e32 v24, vcc, v85, v24
	v_addc_co_u32_e32 v25, vcc, v83, v25, vcc
	v_and_b32_e32 v81, 1, v81
	v_cmp_eq_u32_e32 vcc, 1, v81
	s_waitcnt lgkmcnt(0)
	v_and_b32_e32 v81, 1, v84
	v_cmp_eq_u32_e64 s[46:47], 1, v81
	s_or_b64 s[46:47], vcc, s[46:47]
	v_cndmask_b32_e64 v81, 0, 1, s[46:47]
	v_cndmask_b32_e64 v83, 0, 1, s[46:47]
	s_andn2_b64 s[50:51], s[50:51], exec
	s_and_b64 s[46:47], s[46:47], exec
	s_or_b64 s[50:51], s[50:51], s[46:47]
.LBB1314_172:                           ;   in Loop: Header=BB1314_159 Depth=1
	s_or_b64 exec, exec, s[52:53]
	s_waitcnt lgkmcnt(2)
	ds_bpermute_b32 v85, v69, v24
	s_waitcnt lgkmcnt(2)
	ds_bpermute_b32 v86, v69, v25
	s_waitcnt lgkmcnt(2)
	ds_bpermute_b32 v84, v69, v83
	v_cmp_le_u32_e32 vcc, v72, v82
	s_and_saveexec_b64 s[52:53], vcc
	s_cbranch_execz .LBB1314_174
; %bb.173:                              ;   in Loop: Header=BB1314_159 Depth=1
	v_cmp_eq_u16_sdwa vcc, v81, v9 src0_sel:BYTE_0 src1_sel:DWORD
	s_waitcnt lgkmcnt(2)
	v_cndmask_b32_e32 v85, 0, v85, vcc
	s_waitcnt lgkmcnt(1)
	v_cndmask_b32_e32 v83, 0, v86, vcc
	v_add_co_u32_e32 v24, vcc, v85, v24
	v_addc_co_u32_e32 v25, vcc, v83, v25, vcc
	v_and_b32_e32 v81, 1, v81
	v_cmp_eq_u32_e32 vcc, 1, v81
	s_waitcnt lgkmcnt(0)
	v_and_b32_e32 v81, 1, v84
	v_cmp_eq_u32_e64 s[46:47], 1, v81
	s_or_b64 s[46:47], vcc, s[46:47]
	v_cndmask_b32_e64 v81, 0, 1, s[46:47]
	v_cndmask_b32_e64 v83, 0, 1, s[46:47]
	s_andn2_b64 s[50:51], s[50:51], exec
	s_and_b64 s[46:47], s[46:47], exec
	s_or_b64 s[50:51], s[50:51], s[46:47]
.LBB1314_174:                           ;   in Loop: Header=BB1314_159 Depth=1
	s_or_b64 exec, exec, s[52:53]
	s_waitcnt lgkmcnt(0)
	ds_bpermute_b32 v84, v76, v24
	ds_bpermute_b32 v85, v76, v25
	;; [unrolled: 1-line block ×3, first 2 shown]
	v_cmp_le_u32_e32 vcc, v77, v82
	s_and_saveexec_b64 s[52:53], vcc
	s_cbranch_execz .LBB1314_158
; %bb.175:                              ;   in Loop: Header=BB1314_159 Depth=1
	v_cmp_eq_u16_sdwa vcc, v81, v9 src0_sel:BYTE_0 src1_sel:DWORD
	s_waitcnt lgkmcnt(2)
	v_cndmask_b32_e32 v84, 0, v84, vcc
	s_waitcnt lgkmcnt(1)
	v_cndmask_b32_e32 v82, 0, v85, vcc
	v_add_co_u32_e32 v24, vcc, v84, v24
	v_addc_co_u32_e32 v25, vcc, v82, v25, vcc
	v_and_b32_e32 v81, 1, v81
	v_cmp_eq_u32_e32 vcc, 1, v81
	s_waitcnt lgkmcnt(0)
	v_and_b32_e32 v81, 1, v83
	v_cmp_eq_u32_e64 s[46:47], 1, v81
	s_or_b64 s[46:47], vcc, s[46:47]
	s_andn2_b64 s[50:51], s[50:51], exec
	s_and_b64 s[46:47], s[46:47], exec
	s_or_b64 s[50:51], s[50:51], s[46:47]
	s_branch .LBB1314_158
.LBB1314_176:                           ;   in Loop: Header=BB1314_159 Depth=1
                                        ; implicit-def: $vgpr81
                                        ; implicit-def: $vgpr24_vgpr25
                                        ; implicit-def: $vgpr52
	s_cbranch_execz .LBB1314_159
; %bb.177:
	s_and_saveexec_b64 s[46:47], s[44:45]
	s_cbranch_execz .LBB1314_179
; %bb.178:
	v_mov_b32_e32 v8, 0
	s_mov_b32 s7, 0
	v_cmp_eq_u16_sdwa vcc, v49, v8 src0_sel:BYTE_0 src1_sel:DWORD
	s_add_i32 s6, s6, 64
	v_cndmask_b32_e32 v12, 0, v16, vcc
	s_lshl_b64 s[44:45], s[6:7], 4
	v_cndmask_b32_e32 v9, 0, v17, vcc
	v_add_co_u32_e32 v4, vcc, v12, v4
	s_add_u32 s44, s70, s44
	v_addc_co_u32_e32 v5, vcc, v9, v5, vcc
	v_or_b32_e32 v9, v49, v73
	s_addc_u32 s45, s71, s45
	v_and_b32_e32 v9, 1, v9
	global_store_dwordx2 v8, v[4:5], s[44:45]
	global_store_byte v8, v9, s[44:45] offset:8
	v_mov_b32_e32 v4, s6
	v_mov_b32_e32 v5, 2
	s_waitcnt vmcnt(0) lgkmcnt(0)
	buffer_wbinvl1_vol
	global_store_byte v4, v5, s[72:73]
.LBB1314_179:
	s_or_b64 exec, exec, s[46:47]
	v_cmp_eq_u32_e32 vcc, 0, v0
	s_and_b64 exec, exec, vcc
	s_cbranch_execz .LBB1314_181
; %bb.180:
	v_mov_b32_e32 v4, 0
	ds_write_b64 v4, v[16:17]
	ds_write_b8 v4, v73 offset:8
.LBB1314_181:
	s_or_b64 exec, exec, s[48:49]
	v_mov_b32_e32 v8, 0
	v_cmp_eq_u16_sdwa vcc, v1, v8 src0_sel:BYTE_0 src1_sel:DWORD
	v_and_b32_e32 v13, 1, v1
	v_cndmask_b32_e32 v9, 0, v45, vcc
	v_cndmask_b32_e32 v12, 0, v48, vcc
	v_cmp_eq_u32_e32 vcc, 1, v13
	v_and_b32_e32 v13, 1, v44
	v_cmp_eq_u32_e64 s[6:7], 1, v13
	s_waitcnt lgkmcnt(0)
	; wave barrier
	s_waitcnt lgkmcnt(0)
	ds_read_b64 v[4:5], v8
	s_or_b64 s[6:7], vcc, s[6:7]
	v_cmp_eq_u32_e32 vcc, 0, v0
	v_cndmask_b32_e64 v13, 0, 1, s[6:7]
	v_cndmask_b32_e64 v9, v9, 0, vcc
	v_cndmask_b32_e32 v13, v13, v1, vcc
	v_cndmask_b32_e64 v12, v12, 0, vcc
	v_add_co_u32_e32 v9, vcc, v9, v2
	v_addc_co_u32_e32 v12, vcc, v12, v3, vcc
	v_cmp_eq_u16_sdwa vcc, v13, v8 src0_sel:BYTE_0 src1_sel:DWORD
	s_waitcnt lgkmcnt(0)
	v_cndmask_b32_e32 v4, 0, v4, vcc
	v_cndmask_b32_e32 v5, 0, v5, vcc
	v_add_co_u32_e32 v114, vcc, v9, v4
	v_addc_co_u32_e32 v115, vcc, v12, v5, vcc
	v_cndmask_b32_e64 v5, 0, v114, s[2:3]
	v_cndmask_b32_e64 v4, 0, v115, s[2:3]
	v_add_co_u32_e32 v44, vcc, v5, v18
	v_addc_co_u32_e32 v45, vcc, v4, v19, vcc
	v_cndmask_b32_e64 v5, 0, v44, s[4:5]
	v_cndmask_b32_e64 v4, 0, v45, s[4:5]
	;; [unrolled: 4-line block ×20, first 2 shown]
	v_add_co_u32_e32 v120, vcc, v5, v20
	v_addc_co_u32_e32 v121, vcc, v4, v21, vcc
	s_branch .LBB1314_204
.LBB1314_182:
                                        ; implicit-def: $vgpr112_vgpr113_vgpr114_vgpr115
                                        ; implicit-def: $vgpr120_vgpr121
                                        ; implicit-def: $vgpr118_vgpr119
                                        ; implicit-def: $vgpr76_vgpr77
                                        ; implicit-def: $vgpr72_vgpr73
                                        ; implicit-def: $vgpr68_vgpr69
                                        ; implicit-def: $vgpr64_vgpr65
                                        ; implicit-def: $vgpr60_vgpr61
                                        ; implicit-def: $vgpr56_vgpr57
                                        ; implicit-def: $vgpr52_vgpr53
                                        ; implicit-def: $vgpr48_vgpr49
                                        ; implicit-def: $vgpr44_vgpr45
                                        ; implicit-def: $vgpr108_vgpr109_vgpr110_vgpr111
                                        ; implicit-def: $vgpr104_vgpr105_vgpr106_vgpr107
                                        ; implicit-def: $vgpr100_vgpr101_vgpr102_vgpr103
                                        ; implicit-def: $vgpr96_vgpr97_vgpr98_vgpr99
                                        ; implicit-def: $vgpr92_vgpr93_vgpr94_vgpr95
                                        ; implicit-def: $vgpr88_vgpr89_vgpr90_vgpr91
                                        ; implicit-def: $vgpr84_vgpr85_vgpr86_vgpr87
                                        ; implicit-def: $vgpr80_vgpr81_vgpr82_vgpr83
                                        ; implicit-def: $vgpr114_vgpr115_vgpr116_vgpr117
	s_cbranch_execz .LBB1314_204
; %bb.183:
	v_readlane_b32 s2, v131, 0
	v_readlane_b32 s3, v131, 1
	s_cmp_lg_u64 s[2:3], 0
	s_cselect_b32 s5, s91, 0
	s_cselect_b32 s4, s90, 0
	s_cmp_lg_u64 s[4:5], 0
	s_cselect_b64 s[6:7], -1, 0
	v_cmp_eq_u32_e32 vcc, 0, v0
	v_cmp_ne_u32_e64 s[2:3], 0, v0
	s_and_b64 s[8:9], vcc, s[6:7]
	s_and_saveexec_b64 s[6:7], s[8:9]
	s_cbranch_execz .LBB1314_185
; %bb.184:
	v_mov_b32_e32 v8, 0
	global_load_dwordx2 v[4:5], v8, s[4:5]
	global_load_ubyte v9, v8, s[4:5] offset:8
	v_cmp_eq_u16_sdwa s[4:5], v1, v8 src0_sel:BYTE_0 src1_sel:DWORD
	s_waitcnt vmcnt(1)
	v_cndmask_b32_e64 v4, 0, v4, s[4:5]
	v_cndmask_b32_e64 v5, 0, v5, s[4:5]
	s_waitcnt vmcnt(0)
	v_or_b32_e32 v1, v1, v9
	v_add_co_u32_e64 v2, s[4:5], v4, v2
	v_addc_co_u32_e64 v3, s[4:5], v5, v3, s[4:5]
	v_and_b32_e32 v1, 1, v1
.LBB1314_185:
	s_or_b64 exec, exec, s[6:7]
	v_mov_b32_e32 v5, 0
	v_cmp_eq_u16_sdwa s[4:5], v128, v5 src0_sel:BYTE_0 src1_sel:DWORD
	v_cndmask_b32_e64 v9, 0, v2, s[4:5]
	v_cndmask_b32_e64 v8, 0, v3, s[4:5]
	v_add_co_u32_e64 v44, s[6:7], v9, v18
	v_addc_co_u32_e64 v45, s[6:7], v8, v19, s[6:7]
	v_cmp_eq_u16_sdwa s[6:7], v130, v5 src0_sel:BYTE_0 src1_sel:DWORD
	v_cndmask_b32_e64 v9, 0, v44, s[6:7]
	s_movk_i32 s42, 0xff
	v_cndmask_b32_e64 v8, 0, v45, s[6:7]
	v_add_co_u32_e64 v80, s[8:9], v9, v6
	v_addc_co_u32_e64 v81, s[8:9], v8, v7, s[8:9]
	v_and_b32_sdwa v8, v128, s42 dst_sel:DWORD dst_unused:UNUSED_PAD src0_sel:WORD_1 src1_sel:DWORD
	v_cmp_eq_u16_e64 s[8:9], 0, v8
	v_cndmask_b32_e64 v9, 0, v80, s[8:9]
	v_cndmask_b32_e64 v8, 0, v81, s[8:9]
	v_add_co_u32_e64 v48, s[10:11], v9, v26
	v_addc_co_u32_e64 v49, s[10:11], v8, v27, s[10:11]
	v_cmp_eq_u16_sdwa s[10:11], v128, v5 src0_sel:BYTE_3 src1_sel:DWORD
	v_cndmask_b32_e64 v9, 0, v48, s[10:11]
	v_cndmask_b32_e64 v8, 0, v49, s[10:11]
	v_add_co_u32_e64 v84, s[12:13], v9, v14
	v_addc_co_u32_e64 v85, s[12:13], v8, v15, s[12:13]
	v_cmp_eq_u16_sdwa s[12:13], v123, v5 src0_sel:BYTE_0 src1_sel:DWORD
	v_cndmask_b32_e64 v9, 0, v84, s[12:13]
	v_cndmask_b32_e64 v8, 0, v85, s[12:13]
	v_add_co_u32_e64 v52, s[14:15], v9, v34
	v_addc_co_u32_e64 v53, s[14:15], v8, v35, s[14:15]
	v_cmp_eq_u16_sdwa s[14:15], v127, v5 src0_sel:BYTE_0 src1_sel:DWORD
	v_cndmask_b32_e64 v9, 0, v52, s[14:15]
	v_cndmask_b32_e64 v8, 0, v53, s[14:15]
	v_add_co_u32_e64 v88, s[16:17], v9, v22
	v_addc_co_u32_e64 v89, s[16:17], v8, v23, s[16:17]
	v_cmp_eq_u16_sdwa s[16:17], v41, v5 src0_sel:BYTE_0 src1_sel:DWORD
	v_cndmask_b32_e64 v9, 0, v88, s[16:17]
	v_cndmask_b32_e64 v8, 0, v89, s[16:17]
	v_add_co_u32_e64 v56, s[18:19], v9, v42
	v_addc_co_u32_e64 v57, s[18:19], v8, v43, s[18:19]
	v_and_b32_sdwa v8, v127, s42 dst_sel:DWORD dst_unused:UNUSED_PAD src0_sel:WORD_1 src1_sel:DWORD
	v_cmp_eq_u16_e64 s[18:19], 0, v8
	v_cndmask_b32_e64 v9, 0, v56, s[18:19]
	v_cndmask_b32_e64 v8, 0, v57, s[18:19]
	v_add_co_u32_e64 v92, s[20:21], v9, v30
	v_addc_co_u32_e64 v93, s[20:21], v8, v31, s[20:21]
	v_cmp_eq_u16_sdwa s[20:21], v127, v5 src0_sel:BYTE_3 src1_sel:DWORD
	v_cndmask_b32_e64 v9, 0, v92, s[20:21]
	v_cndmask_b32_e64 v8, 0, v93, s[20:21]
	v_add_co_u32_e64 v60, s[22:23], v9, v50
	v_addc_co_u32_e64 v61, s[22:23], v8, v51, s[22:23]
	v_cmp_eq_u16_sdwa s[22:23], v124, v5 src0_sel:BYTE_0 src1_sel:DWORD
	v_cndmask_b32_e64 v9, 0, v60, s[22:23]
	v_cndmask_b32_e64 v8, 0, v61, s[22:23]
	v_add_co_u32_e64 v96, s[24:25], v9, v38
	v_addc_co_u32_e64 v97, s[24:25], v8, v39, s[24:25]
	v_cmp_eq_u16_sdwa s[24:25], v126, v5 src0_sel:BYTE_0 src1_sel:DWORD
	v_cndmask_b32_e64 v9, 0, v96, s[24:25]
	v_cndmask_b32_e64 v8, 0, v97, s[24:25]
	v_add_co_u32_e64 v64, s[26:27], v9, v58
	v_addc_co_u32_e64 v65, s[26:27], v8, v59, s[26:27]
	v_cmp_eq_u16_sdwa s[26:27], v37, v5 src0_sel:BYTE_0 src1_sel:DWORD
	v_cndmask_b32_e64 v9, 0, v64, s[26:27]
	;; [unrolled: 26-line block ×3, first 2 shown]
	v_cndmask_b32_e64 v8, 0, v109, s[38:39]
	v_add_co_u32_e64 v76, s[40:41], v9, v78
	v_addc_co_u32_e64 v77, s[40:41], v8, v79, s[40:41]
	v_and_b32_sdwa v8, v125, s42 dst_sel:DWORD dst_unused:UNUSED_PAD src0_sel:WORD_1 src1_sel:DWORD
	v_cmp_eq_u16_e64 s[40:41], 0, v8
	v_cndmask_b32_e64 v9, 0, v76, s[40:41]
	v_cndmask_b32_e64 v8, 0, v77, s[40:41]
	v_add_co_u32_e64 v112, s[42:43], v9, v70
	v_addc_co_u32_e64 v113, s[42:43], v8, v71, s[42:43]
	v_cmp_eq_u16_sdwa s[42:43], v125, v5 src0_sel:BYTE_3 src1_sel:DWORD
	v_cndmask_b32_e64 v9, 0, v112, s[42:43]
	v_cndmask_b32_e64 v8, 0, v113, s[42:43]
	v_add_co_u32_e64 v118, s[44:45], v9, v10
	v_addc_co_u32_e64 v119, s[44:45], v8, v11, s[44:45]
	v_cmp_eq_u16_sdwa s[44:45], v28, v5 src0_sel:BYTE_0 src1_sel:DWORD
	v_cndmask_b32_e64 v8, 0, v118, s[44:45]
	v_cndmask_b32_e64 v5, 0, v119, s[44:45]
	v_add_co_u32_e64 v120, s[52:53], v8, v20
	v_addc_co_u32_e64 v121, s[52:53], v5, v21, s[52:53]
	v_or_b32_e32 v5, v125, v126
	v_or3_b32 v5, v5, v127, v128
	v_lshrrev_b16_e32 v9, 7, v5
	v_and_b32_e32 v8, 1, v5
	v_and_b32_e32 v9, 2, v9
	v_or_b32_e32 v8, v8, v9
	v_lshrrev_b32_e32 v9, 23, v5
	v_mov_b32_e32 v12, 1
	v_and_b32_e32 v9, 2, v9
	v_and_b32_sdwa v5, v5, v12 dst_sel:DWORD dst_unused:UNUSED_PAD src0_sel:WORD_1 src1_sel:DWORD
	v_or_b32_e32 v5, v5, v9
	v_lshlrev_b16_e32 v5, 2, v5
	v_or_b32_e32 v5, v8, v5
	v_cmp_eq_u32_e64 s[52:53], 1, v32
	v_cmp_ne_u16_e64 s[54:55], 0, v5
	v_cmp_eq_u32_e64 s[50:51], 1, v33
	s_or_b64 s[52:53], s[54:55], s[52:53]
	v_cmp_eq_u32_e64 s[48:49], 1, v40
	s_or_b64 s[50:51], s[52:53], s[50:51]
	;; [unrolled: 2-line block ×3, first 2 shown]
	v_and_b32_e32 v4, 0xff, v1
	s_or_b64 s[46:47], s[48:49], s[46:47]
	v_mbcnt_hi_u32_b32 v12, -1, v29
	v_cndmask_b32_e64 v13, v4, 1, s[46:47]
	v_and_b32_e32 v16, 15, v12
	v_mov_b32_dpp v24, v120 row_shr:1 row_mask:0xf bank_mask:0xf
	v_mov_b32_dpp v25, v121 row_shr:1 row_mask:0xf bank_mask:0xf
	;; [unrolled: 1-line block ×3, first 2 shown]
	v_cmp_ne_u32_e64 s[46:47], 0, v16
	v_pk_mov_b32 v[4:5], v[120:121], v[120:121] op_sel:[0,1]
	v_mov_b32_e32 v9, v121
	v_mov_b32_e32 v8, v120
	s_and_saveexec_b64 s[48:49], s[46:47]
; %bb.186:
	v_cmp_eq_u32_e64 s[46:47], 0, v13
	v_cndmask_b32_e64 v4, 0, v24, s[46:47]
	v_cndmask_b32_e64 v5, 0, v25, s[46:47]
	v_add_co_u32_e64 v4, s[46:47], v120, v4
	v_addc_co_u32_e64 v5, s[46:47], v121, v5, s[46:47]
	v_and_or_b32 v13, v17, 1, v13
	v_mov_b32_e32 v9, v5
	v_mov_b32_e32 v8, v4
; %bb.187:
	s_or_b64 exec, exec, s[48:49]
	s_nop 0
	v_mov_b32_dpp v24, v8 row_shr:2 row_mask:0xf bank_mask:0xf
	v_mov_b32_dpp v25, v9 row_shr:2 row_mask:0xf bank_mask:0xf
	v_mov_b32_dpp v17, v13 row_shr:2 row_mask:0xf bank_mask:0xf
	v_cmp_lt_u32_e64 s[46:47], 1, v16
	s_and_saveexec_b64 s[48:49], s[46:47]
; %bb.188:
	v_cmp_eq_u32_e64 s[46:47], 0, v13
	v_cndmask_b32_e64 v8, 0, v24, s[46:47]
	v_cndmask_b32_e64 v9, 0, v25, s[46:47]
	v_add_co_u32_e64 v8, s[46:47], v8, v4
	v_addc_co_u32_e64 v9, s[46:47], v9, v5, s[46:47]
	v_or_b32_e32 v4, v17, v13
	v_and_b32_e32 v13, 1, v4
	v_pk_mov_b32 v[4:5], v[8:9], v[8:9] op_sel:[0,1]
; %bb.189:
	s_or_b64 exec, exec, s[48:49]
	v_mov_b32_dpp v24, v8 row_shr:4 row_mask:0xf bank_mask:0xf
	v_mov_b32_dpp v25, v9 row_shr:4 row_mask:0xf bank_mask:0xf
	v_mov_b32_dpp v17, v13 row_shr:4 row_mask:0xf bank_mask:0xf
	v_cmp_lt_u32_e64 s[46:47], 3, v16
	s_and_saveexec_b64 s[48:49], s[46:47]
; %bb.190:
	v_cmp_eq_u32_e64 s[46:47], 0, v13
	v_cndmask_b32_e64 v8, 0, v24, s[46:47]
	v_cndmask_b32_e64 v9, 0, v25, s[46:47]
	v_add_co_u32_e64 v8, s[46:47], v8, v4
	v_addc_co_u32_e64 v9, s[46:47], v9, v5, s[46:47]
	v_or_b32_e32 v4, v17, v13
	v_and_b32_e32 v13, 1, v4
	v_pk_mov_b32 v[4:5], v[8:9], v[8:9] op_sel:[0,1]
; %bb.191:
	s_or_b64 exec, exec, s[48:49]
	;; [unrolled: 16-line block ×3, first 2 shown]
	v_and_b32_e32 v25, 16, v12
	v_mov_b32_dpp v17, v8 row_bcast:15 row_mask:0xf bank_mask:0xf
	v_mov_b32_dpp v24, v9 row_bcast:15 row_mask:0xf bank_mask:0xf
	;; [unrolled: 1-line block ×3, first 2 shown]
	v_cmp_ne_u32_e64 s[46:47], 0, v25
	s_and_saveexec_b64 s[48:49], s[46:47]
; %bb.194:
	v_cmp_eq_u32_e64 s[46:47], 0, v13
	v_cndmask_b32_e64 v9, 0, v17, s[46:47]
	v_cndmask_b32_e64 v8, 0, v24, s[46:47]
	v_add_co_u32_e64 v4, s[46:47], v9, v4
	v_addc_co_u32_e64 v5, s[46:47], v8, v5, s[46:47]
	v_or_b32_e32 v8, v16, v13
	v_and_b32_e32 v13, 1, v8
	v_mov_b32_e32 v9, v5
	v_mov_b32_e32 v8, v4
; %bb.195:
	s_or_b64 exec, exec, s[48:49]
	s_nop 0
	v_mov_b32_dpp v16, v8 row_bcast:31 row_mask:0xf bank_mask:0xf
	v_mov_b32_dpp v9, v9 row_bcast:31 row_mask:0xf bank_mask:0xf
	v_mov_b32_dpp v8, v13 row_bcast:31 row_mask:0xf bank_mask:0xf
	v_cmp_lt_u32_e64 s[46:47], 31, v12
	s_and_saveexec_b64 s[48:49], s[46:47]
; %bb.196:
	v_cmp_eq_u32_e64 s[46:47], 0, v13
	v_cndmask_b32_e64 v16, 0, v16, s[46:47]
	v_cndmask_b32_e64 v9, 0, v9, s[46:47]
	v_add_co_u32_e64 v4, s[46:47], v16, v4
	v_or_b32_e32 v8, v8, v13
	v_addc_co_u32_e64 v5, s[46:47], v9, v5, s[46:47]
	v_and_b32_e32 v13, 1, v8
; %bb.197:
	s_or_b64 exec, exec, s[48:49]
	v_cmp_eq_u32_e64 s[46:47], 63, v0
	s_and_saveexec_b64 s[48:49], s[46:47]
	s_cbranch_execz .LBB1314_199
; %bb.198:
	v_mov_b32_e32 v8, 0
	ds_write_b64 v8, v[4:5]
	ds_write_b8 v8, v13 offset:8
.LBB1314_199:
	s_or_b64 exec, exec, s[48:49]
	v_add_u32_e32 v8, -1, v12
	v_and_b32_e32 v9, 64, v12
	v_cmp_lt_i32_e64 s[46:47], v8, v9
	v_cndmask_b32_e64 v8, v8, v12, s[46:47]
	v_lshlrev_b32_e32 v8, 2, v8
	ds_bpermute_b32 v4, v8, v4
	ds_bpermute_b32 v5, v8, v5
	s_waitcnt lgkmcnt(0)
	; wave barrier
	s_waitcnt lgkmcnt(0)
	s_and_saveexec_b64 s[46:47], s[2:3]
	s_cbranch_execz .LBB1314_201
; %bb.200:
	v_mov_b32_e32 v8, 0
	v_cmp_eq_u16_sdwa s[2:3], v1, v8 src0_sel:BYTE_0 src1_sel:DWORD
	v_cndmask_b32_e64 v4, 0, v4, s[2:3]
	v_cndmask_b32_e64 v1, 0, v5, s[2:3]
	v_add_co_u32_e64 v2, s[2:3], v4, v2
	v_addc_co_u32_e64 v3, s[2:3], v1, v3, s[2:3]
	v_cndmask_b32_e64 v4, 0, v2, s[4:5]
	v_cndmask_b32_e64 v1, 0, v3, s[4:5]
	v_add_co_u32_e64 v44, s[2:3], v4, v18
	v_addc_co_u32_e64 v45, s[2:3], v1, v19, s[2:3]
	;; [unrolled: 4-line block ×21, first 2 shown]
	;;#ASMSTART
	;;#ASMEND
.LBB1314_201:
	s_or_b64 exec, exec, s[46:47]
	s_and_saveexec_b64 s[2:3], vcc
	s_cbranch_execz .LBB1314_203
; %bb.202:
	v_mov_b32_e32 v1, 0
	ds_read_b64 v[4:5], v1
	ds_read_u8 v6, v1 offset:8
	v_mov_b32_e32 v7, 2
	s_waitcnt lgkmcnt(1)
	global_store_dwordx2 v1, v[4:5], s[70:71] offset:1024
	s_waitcnt lgkmcnt(0)
	global_store_byte v1, v6, s[70:71] offset:1032
	s_waitcnt vmcnt(0)
	buffer_wbinvl1_vol
	global_store_byte v1, v7, s[72:73] offset:64
.LBB1314_203:
	s_or_b64 exec, exec, s[2:3]
	v_pk_mov_b32 v[114:115], v[2:3], v[2:3] op_sel:[0,1]
.LBB1314_204:
	s_add_u32 s0, s58, s0
	s_addc_u32 s1, s59, s1
	s_add_u32 s4, s0, s86
	s_addc_u32 s5, s1, s87
	s_and_b64 vcc, exec, s[88:89]
	v_lshlrev_b32_e32 v46, 3, v0
	s_cbranch_vccz .LBB1314_246
; %bb.205:
	s_movk_i32 s0, 0xa8
	v_mul_i32_i24_e32 v50, 0xffffff60, v0
	v_mul_u32_u24_e32 v47, 0xa8, v0
	v_mad_u32_u24 v2, v0, s0, v50
	s_waitcnt lgkmcnt(0)
	; wave barrier
	ds_write2_b64 v47, v[114:115], v[44:45] offset1:1
	ds_write2_b64 v47, v[80:81], v[48:49] offset0:2 offset1:3
	ds_write2_b64 v47, v[84:85], v[52:53] offset0:4 offset1:5
	;; [unrolled: 1-line block ×9, first 2 shown]
	ds_write_b64 v47, v[120:121] offset:160
	s_waitcnt lgkmcnt(0)
	; wave barrier
	s_waitcnt lgkmcnt(0)
	ds_read2st64_b64 v[38:41], v2 offset0:1 offset1:2
	ds_read2st64_b64 v[34:37], v2 offset0:3 offset1:4
	;; [unrolled: 1-line block ×10, first 2 shown]
	v_mov_b32_e32 v43, s5
	v_add_co_u32_e32 v42, vcc, s4, v46
	s_add_i32 s33, s33, s74
	v_addc_co_u32_e32 v43, vcc, 0, v43, vcc
	v_mov_b32_e32 v1, 0
	v_cmp_gt_u32_e32 vcc, s33, v0
	s_and_saveexec_b64 s[0:1], vcc
	s_cbranch_execz .LBB1314_207
; %bb.206:
	v_add_u32_e32 v47, v47, v50
	ds_read_b64 v[50:51], v47
	s_waitcnt lgkmcnt(0)
	flat_store_dwordx2 v[42:43], v[50:51]
.LBB1314_207:
	s_or_b64 exec, exec, s[0:1]
	v_or_b32_e32 v47, 64, v0
	v_cmp_gt_u32_e32 vcc, s33, v47
	s_and_saveexec_b64 s[0:1], vcc
	s_cbranch_execz .LBB1314_209
; %bb.208:
	s_waitcnt lgkmcnt(0)
	flat_store_dwordx2 v[42:43], v[38:39] offset:512
.LBB1314_209:
	s_or_b64 exec, exec, s[0:1]
	s_waitcnt lgkmcnt(0)
	v_or_b32_e32 v38, 0x80, v0
	v_cmp_gt_u32_e32 vcc, s33, v38
	s_and_saveexec_b64 s[0:1], vcc
	s_cbranch_execz .LBB1314_211
; %bb.210:
	flat_store_dwordx2 v[42:43], v[40:41] offset:1024
.LBB1314_211:
	s_or_b64 exec, exec, s[0:1]
	v_or_b32_e32 v38, 0xc0, v0
	v_cmp_gt_u32_e32 vcc, s33, v38
	s_and_saveexec_b64 s[0:1], vcc
	s_cbranch_execz .LBB1314_213
; %bb.212:
	flat_store_dwordx2 v[42:43], v[34:35] offset:1536
.LBB1314_213:
	s_or_b64 exec, exec, s[0:1]
	;; [unrolled: 8-line block ×6, first 2 shown]
	v_or_b32_e32 v26, 0x200, v0
	v_cmp_gt_u32_e32 vcc, s33, v26
	s_and_saveexec_b64 s[0:1], vcc
	s_cbranch_execz .LBB1314_223
; %bb.222:
	v_add_co_u32_e32 v26, vcc, 0x1000, v42
	v_addc_co_u32_e32 v27, vcc, 0, v43, vcc
	flat_store_dwordx2 v[26:27], v[28:29]
.LBB1314_223:
	s_or_b64 exec, exec, s[0:1]
	v_or_b32_e32 v26, 0x240, v0
	v_cmp_gt_u32_e32 vcc, s33, v26
	s_and_saveexec_b64 s[0:1], vcc
	s_cbranch_execz .LBB1314_225
; %bb.224:
	v_add_co_u32_e32 v26, vcc, 0x1000, v42
	v_addc_co_u32_e32 v27, vcc, 0, v43, vcc
	flat_store_dwordx2 v[26:27], v[22:23] offset:512
.LBB1314_225:
	s_or_b64 exec, exec, s[0:1]
	v_or_b32_e32 v22, 0x280, v0
	v_cmp_gt_u32_e32 vcc, s33, v22
	s_and_saveexec_b64 s[0:1], vcc
	s_cbranch_execz .LBB1314_227
; %bb.226:
	v_add_co_u32_e32 v22, vcc, 0x1000, v42
	v_addc_co_u32_e32 v23, vcc, 0, v43, vcc
	flat_store_dwordx2 v[22:23], v[24:25] offset:1024
.LBB1314_227:
	;; [unrolled: 10-line block ×7, first 2 shown]
	s_or_b64 exec, exec, s[0:1]
	v_or_b32_e32 v10, 0x400, v0
	v_cmp_gt_u32_e32 vcc, s33, v10
	s_and_saveexec_b64 s[0:1], vcc
	s_cbranch_execz .LBB1314_239
; %bb.238:
	v_add_co_u32_e32 v10, vcc, 0x2000, v42
	v_addc_co_u32_e32 v11, vcc, 0, v43, vcc
	flat_store_dwordx2 v[10:11], v[12:13]
.LBB1314_239:
	s_or_b64 exec, exec, s[0:1]
	v_or_b32_e32 v10, 0x440, v0
	v_cmp_gt_u32_e32 vcc, s33, v10
	s_and_saveexec_b64 s[0:1], vcc
	s_cbranch_execz .LBB1314_241
; %bb.240:
	v_add_co_u32_e32 v10, vcc, 0x2000, v42
	v_addc_co_u32_e32 v11, vcc, 0, v43, vcc
	flat_store_dwordx2 v[10:11], v[6:7] offset:512
.LBB1314_241:
	s_or_b64 exec, exec, s[0:1]
	v_or_b32_e32 v6, 0x480, v0
	v_cmp_gt_u32_e32 vcc, s33, v6
	s_and_saveexec_b64 s[0:1], vcc
	s_cbranch_execz .LBB1314_243
; %bb.242:
	v_add_co_u32_e32 v6, vcc, 0x2000, v42
	v_addc_co_u32_e32 v7, vcc, 0, v43, vcc
	flat_store_dwordx2 v[6:7], v[8:9] offset:1024
.LBB1314_243:
	s_or_b64 exec, exec, s[0:1]
	v_or_b32_e32 v6, 0x4c0, v0
	v_cmp_gt_u32_e32 vcc, s33, v6
	s_and_saveexec_b64 s[0:1], vcc
	s_cbranch_execz .LBB1314_245
; %bb.244:
	v_add_co_u32_e32 v6, vcc, 0x2000, v42
	v_addc_co_u32_e32 v7, vcc, 0, v43, vcc
	flat_store_dwordx2 v[6:7], v[2:3] offset:1536
.LBB1314_245:
	s_or_b64 exec, exec, s[0:1]
	v_or_b32_e32 v2, 0x500, v0
	v_cmp_gt_u32_e64 s[0:1], s33, v2
	s_branch .LBB1314_248
.LBB1314_246:
	s_mov_b64 s[0:1], 0
                                        ; implicit-def: $vgpr4_vgpr5
	s_cbranch_execz .LBB1314_248
; %bb.247:
	s_movk_i32 s2, 0xa8
	v_mul_i32_i24_e32 v2, 0xffffff60, v0
	v_mul_u32_u24_e32 v1, 0xa8, v0
	v_mad_u32_u24 v2, v0, s2, v2
	s_waitcnt lgkmcnt(0)
	; wave barrier
	s_waitcnt lgkmcnt(0)
	ds_write2_b64 v1, v[114:115], v[44:45] offset1:1
	ds_write2_b64 v1, v[80:81], v[48:49] offset0:2 offset1:3
	ds_write2_b64 v1, v[84:85], v[52:53] offset0:4 offset1:5
	ds_write2_b64 v1, v[88:89], v[56:57] offset0:6 offset1:7
	ds_write2_b64 v1, v[92:93], v[60:61] offset0:8 offset1:9
	ds_write2_b64 v1, v[96:97], v[64:65] offset0:10 offset1:11
	ds_write2_b64 v1, v[100:101], v[68:69] offset0:12 offset1:13
	ds_write2_b64 v1, v[104:105], v[72:73] offset0:14 offset1:15
	ds_write2_b64 v1, v[108:109], v[76:77] offset0:16 offset1:17
	ds_write2_b64 v1, v[112:113], v[118:119] offset0:18 offset1:19
	ds_write_b64 v1, v[120:121] offset:160
	s_waitcnt lgkmcnt(0)
	; wave barrier
	s_waitcnt lgkmcnt(0)
	ds_read2st64_b64 v[6:9], v2 offset1:1
	ds_read2st64_b64 v[10:13], v2 offset0:2 offset1:3
	ds_read2st64_b64 v[14:17], v2 offset0:4 offset1:5
	ds_read2st64_b64 v[18:21], v2 offset0:6 offset1:7
	ds_read2st64_b64 v[22:25], v2 offset0:8 offset1:9
	ds_read2st64_b64 v[26:29], v2 offset0:10 offset1:11
	ds_read2st64_b64 v[30:33], v2 offset0:12 offset1:13
	ds_read2st64_b64 v[34:37], v2 offset0:14 offset1:15
	ds_read2st64_b64 v[38:41], v2 offset0:16 offset1:17
	ds_read2st64_b64 v[42:45], v2 offset0:18 offset1:19
	ds_read_b64 v[4:5], v2 offset:10240
	v_mov_b32_e32 v3, s5
	v_add_co_u32_e32 v2, vcc, s4, v46
	v_addc_co_u32_e32 v3, vcc, 0, v3, vcc
	s_movk_i32 s2, 0x1000
	s_waitcnt lgkmcnt(0)
	flat_store_dwordx2 v[2:3], v[6:7]
	flat_store_dwordx2 v[2:3], v[8:9] offset:512
	flat_store_dwordx2 v[2:3], v[10:11] offset:1024
	;; [unrolled: 1-line block ×7, first 2 shown]
	v_add_co_u32_e32 v6, vcc, s2, v2
	v_addc_co_u32_e32 v7, vcc, 0, v3, vcc
	v_add_co_u32_e32 v2, vcc, 0x2000, v2
	v_mov_b32_e32 v1, 0
	v_addc_co_u32_e32 v3, vcc, 0, v3, vcc
	s_or_b64 s[0:1], s[0:1], exec
	flat_store_dwordx2 v[6:7], v[22:23]
	flat_store_dwordx2 v[6:7], v[24:25] offset:512
	flat_store_dwordx2 v[6:7], v[26:27] offset:1024
	;; [unrolled: 1-line block ×7, first 2 shown]
	flat_store_dwordx2 v[2:3], v[38:39]
	flat_store_dwordx2 v[2:3], v[40:41] offset:512
	flat_store_dwordx2 v[2:3], v[42:43] offset:1024
	;; [unrolled: 1-line block ×3, first 2 shown]
.LBB1314_248:
	s_and_saveexec_b64 s[2:3], s[0:1]
	s_cbranch_execnz .LBB1314_250
; %bb.249:
	s_endpgm
.LBB1314_250:
	v_lshlrev_b64 v[0:1], 3, v[0:1]
	v_mov_b32_e32 v2, s5
	v_add_co_u32_e32 v0, vcc, s4, v0
	v_addc_co_u32_e32 v1, vcc, v2, v1, vcc
	v_add_co_u32_e32 v0, vcc, 0x2000, v0
	v_addc_co_u32_e32 v1, vcc, 0, v1, vcc
	flat_store_dwordx2 v[0:1], v[4:5] offset:2048
	s_endpgm
.LBB1314_251:
	v_lshlrev_b32_e32 v2, 3, v0
	v_mov_b32_e32 v3, s62
	v_add_co_u32_e32 v2, vcc, s7, v2
	v_addc_co_u32_e32 v3, vcc, 0, v3, vcc
	flat_load_dwordx2 v[2:3], v[2:3]
	s_or_b64 exec, exec, s[54:55]
                                        ; implicit-def: $vgpr6_vgpr7
	s_and_saveexec_b64 s[2:3], s[4:5]
	s_cbranch_execz .LBB1314_51
.LBB1314_252:
	v_lshlrev_b32_e32 v6, 3, v0
	v_mov_b32_e32 v7, s62
	v_add_co_u32_e32 v6, vcc, s7, v6
	v_addc_co_u32_e32 v7, vcc, 0, v7, vcc
	flat_load_dwordx2 v[6:7], v[6:7] offset:512
	s_or_b64 exec, exec, s[2:3]
                                        ; implicit-def: $vgpr10_vgpr11
	s_and_saveexec_b64 s[2:3], s[46:47]
	s_cbranch_execz .LBB1314_52
.LBB1314_253:
	v_lshlrev_b32_e32 v10, 3, v0
	v_mov_b32_e32 v11, s62
	v_add_co_u32_e32 v10, vcc, s7, v10
	v_addc_co_u32_e32 v11, vcc, 0, v11, vcc
	flat_load_dwordx2 v[10:11], v[10:11] offset:1024
	s_or_b64 exec, exec, s[2:3]
                                        ; implicit-def: $vgpr14_vgpr15
	s_and_saveexec_b64 s[2:3], s[8:9]
	s_cbranch_execz .LBB1314_53
.LBB1314_254:
	v_lshlrev_b32_e32 v14, 3, v0
	v_mov_b32_e32 v15, s62
	v_add_co_u32_e32 v14, vcc, s7, v14
	v_addc_co_u32_e32 v15, vcc, 0, v15, vcc
	flat_load_dwordx2 v[14:15], v[14:15] offset:1536
	s_or_b64 exec, exec, s[2:3]
                                        ; implicit-def: $vgpr18_vgpr19
	s_and_saveexec_b64 s[2:3], s[10:11]
	s_cbranch_execz .LBB1314_54
.LBB1314_255:
	v_lshlrev_b32_e32 v18, 3, v0
	v_mov_b32_e32 v19, s62
	v_add_co_u32_e32 v18, vcc, s7, v18
	v_addc_co_u32_e32 v19, vcc, 0, v19, vcc
	flat_load_dwordx2 v[18:19], v[18:19] offset:2048
	s_or_b64 exec, exec, s[2:3]
                                        ; implicit-def: $vgpr20_vgpr21
	s_and_saveexec_b64 s[2:3], s[12:13]
	s_cbranch_execz .LBB1314_55
.LBB1314_256:
	v_lshlrev_b32_e32 v20, 3, v0
	v_mov_b32_e32 v21, s62
	v_add_co_u32_e32 v20, vcc, s7, v20
	v_addc_co_u32_e32 v21, vcc, 0, v21, vcc
	flat_load_dwordx2 v[20:21], v[20:21] offset:2560
	s_or_b64 exec, exec, s[2:3]
                                        ; implicit-def: $vgpr22_vgpr23
	s_and_saveexec_b64 s[2:3], s[14:15]
	s_cbranch_execz .LBB1314_56
.LBB1314_257:
	v_lshlrev_b32_e32 v22, 3, v0
	v_mov_b32_e32 v23, s62
	v_add_co_u32_e32 v22, vcc, s7, v22
	v_addc_co_u32_e32 v23, vcc, 0, v23, vcc
	flat_load_dwordx2 v[22:23], v[22:23] offset:3072
	s_or_b64 exec, exec, s[2:3]
                                        ; implicit-def: $vgpr26_vgpr27
	s_and_saveexec_b64 s[2:3], s[16:17]
	s_cbranch_execz .LBB1314_57
.LBB1314_258:
	v_lshlrev_b32_e32 v26, 3, v0
	v_mov_b32_e32 v27, s62
	v_add_co_u32_e32 v26, vcc, s7, v26
	v_addc_co_u32_e32 v27, vcc, 0, v27, vcc
	flat_load_dwordx2 v[26:27], v[26:27] offset:3584
	s_or_b64 exec, exec, s[2:3]
                                        ; implicit-def: $vgpr30_vgpr31
	s_and_saveexec_b64 s[2:3], s[18:19]
	s_cbranch_execz .LBB1314_58
.LBB1314_259:
	v_lshlrev_b32_e32 v1, 3, v1
	v_mov_b32_e32 v31, s62
	v_add_co_u32_e32 v30, vcc, s7, v1
	v_addc_co_u32_e32 v31, vcc, 0, v31, vcc
	flat_load_dwordx2 v[30:31], v[30:31]
	s_or_b64 exec, exec, s[2:3]
                                        ; implicit-def: $vgpr34_vgpr35
	s_and_saveexec_b64 s[2:3], s[20:21]
	s_cbranch_execz .LBB1314_59
.LBB1314_260:
	v_lshlrev_b32_e32 v1, 3, v38
	v_mov_b32_e32 v35, s62
	v_add_co_u32_e32 v34, vcc, s7, v1
	v_addc_co_u32_e32 v35, vcc, 0, v35, vcc
	flat_load_dwordx2 v[34:35], v[34:35]
	s_or_b64 exec, exec, s[2:3]
                                        ; implicit-def: $vgpr38_vgpr39
	s_and_saveexec_b64 s[2:3], s[22:23]
	s_cbranch_execz .LBB1314_60
.LBB1314_261:
	v_lshlrev_b32_e32 v1, 3, v42
	v_mov_b32_e32 v39, s62
	v_add_co_u32_e32 v38, vcc, s7, v1
	v_addc_co_u32_e32 v39, vcc, 0, v39, vcc
	flat_load_dwordx2 v[38:39], v[38:39]
	s_or_b64 exec, exec, s[2:3]
                                        ; implicit-def: $vgpr42_vgpr43
	s_and_saveexec_b64 s[2:3], s[24:25]
	s_cbranch_execz .LBB1314_61
.LBB1314_262:
	v_lshlrev_b32_e32 v1, 3, v46
	v_mov_b32_e32 v43, s62
	v_add_co_u32_e32 v42, vcc, s7, v1
	v_addc_co_u32_e32 v43, vcc, 0, v43, vcc
	flat_load_dwordx2 v[42:43], v[42:43]
	s_or_b64 exec, exec, s[2:3]
                                        ; implicit-def: $vgpr46_vgpr47
	s_and_saveexec_b64 s[2:3], s[26:27]
	s_cbranch_execz .LBB1314_62
.LBB1314_263:
	v_lshlrev_b32_e32 v1, 3, v48
	v_mov_b32_e32 v47, s62
	v_add_co_u32_e32 v46, vcc, s7, v1
	v_addc_co_u32_e32 v47, vcc, 0, v47, vcc
	flat_load_dwordx2 v[46:47], v[46:47]
	s_or_b64 exec, exec, s[2:3]
                                        ; implicit-def: $vgpr48_vgpr49
	s_and_saveexec_b64 s[2:3], s[28:29]
	s_cbranch_execz .LBB1314_63
.LBB1314_264:
	v_lshlrev_b32_e32 v1, 3, v50
	v_mov_b32_e32 v49, s62
	v_add_co_u32_e32 v48, vcc, s7, v1
	v_addc_co_u32_e32 v49, vcc, 0, v49, vcc
	flat_load_dwordx2 v[48:49], v[48:49]
	s_or_b64 exec, exec, s[2:3]
                                        ; implicit-def: $vgpr50_vgpr51
	s_and_saveexec_b64 s[2:3], s[30:31]
	s_cbranch_execz .LBB1314_64
.LBB1314_265:
	v_lshlrev_b32_e32 v1, 3, v52
	v_mov_b32_e32 v51, s62
	v_add_co_u32_e32 v50, vcc, s7, v1
	v_addc_co_u32_e32 v51, vcc, 0, v51, vcc
	flat_load_dwordx2 v[50:51], v[50:51]
	s_or_b64 exec, exec, s[2:3]
                                        ; implicit-def: $vgpr52_vgpr53
	s_and_saveexec_b64 s[2:3], s[34:35]
	s_cbranch_execz .LBB1314_65
.LBB1314_266:
	v_lshlrev_b32_e32 v1, 3, v54
	v_mov_b32_e32 v53, s62
	v_add_co_u32_e32 v52, vcc, s7, v1
	v_addc_co_u32_e32 v53, vcc, 0, v53, vcc
	flat_load_dwordx2 v[52:53], v[52:53]
	s_or_b64 exec, exec, s[2:3]
                                        ; implicit-def: $vgpr54_vgpr55
	s_and_saveexec_b64 s[2:3], s[36:37]
	s_cbranch_execz .LBB1314_66
.LBB1314_267:
	v_lshlrev_b32_e32 v1, 3, v56
	v_mov_b32_e32 v55, s62
	v_add_co_u32_e32 v54, vcc, s7, v1
	v_addc_co_u32_e32 v55, vcc, 0, v55, vcc
	flat_load_dwordx2 v[54:55], v[54:55]
	s_or_b64 exec, exec, s[2:3]
                                        ; implicit-def: $vgpr56_vgpr57
	s_and_saveexec_b64 s[2:3], s[38:39]
	s_cbranch_execz .LBB1314_67
.LBB1314_268:
	v_lshlrev_b32_e32 v1, 3, v58
	v_mov_b32_e32 v57, s62
	v_add_co_u32_e32 v56, vcc, s7, v1
	v_addc_co_u32_e32 v57, vcc, 0, v57, vcc
	flat_load_dwordx2 v[56:57], v[56:57]
	s_or_b64 exec, exec, s[2:3]
                                        ; implicit-def: $vgpr58_vgpr59
	s_and_saveexec_b64 s[2:3], s[40:41]
	s_cbranch_execz .LBB1314_68
.LBB1314_269:
	v_lshlrev_b32_e32 v1, 3, v60
	v_mov_b32_e32 v59, s62
	v_add_co_u32_e32 v58, vcc, s7, v1
	v_addc_co_u32_e32 v59, vcc, 0, v59, vcc
	flat_load_dwordx2 v[58:59], v[58:59]
	s_or_b64 exec, exec, s[2:3]
                                        ; implicit-def: $vgpr60_vgpr61
	s_and_saveexec_b64 s[2:3], s[42:43]
	s_cbranch_execz .LBB1314_69
.LBB1314_270:
	v_lshlrev_b32_e32 v1, 3, v62
	v_mov_b32_e32 v61, s62
	v_add_co_u32_e32 v60, vcc, s7, v1
	v_addc_co_u32_e32 v61, vcc, 0, v61, vcc
	flat_load_dwordx2 v[60:61], v[60:61]
	s_or_b64 exec, exec, s[2:3]
                                        ; implicit-def: $vgpr62_vgpr63
	s_and_saveexec_b64 s[2:3], s[44:45]
	s_cbranch_execnz .LBB1314_70
	s_branch .LBB1314_71
.LBB1314_271:
                                        ; implicit-def: $sgpr54_sgpr55
	s_branch .LBB1314_46
.LBB1314_272:
                                        ; implicit-def: $sgpr2_sgpr3
	s_branch .LBB1314_116
	.section	.rodata,"a",@progbits
	.p2align	6, 0x0
	.amdhsa_kernel _ZN7rocprim17ROCPRIM_400000_NS6detail17trampoline_kernelINS0_14default_configENS1_27scan_by_key_config_selectorIixEEZZNS1_16scan_by_key_implILNS1_25lookback_scan_determinismE0ELb0ES3_N6thrust23THRUST_200600_302600_NS6detail15normal_iteratorINS9_10device_ptrIiEEEENSB_INSC_IxEEEESG_xNS9_4plusIvEENS9_8equal_toIvEExEE10hipError_tPvRmT2_T3_T4_T5_mT6_T7_P12ihipStream_tbENKUlT_T0_E_clISt17integral_constantIbLb0EES11_EEDaSW_SX_EUlSW_E_NS1_11comp_targetILNS1_3genE4ELNS1_11target_archE910ELNS1_3gpuE8ELNS1_3repE0EEENS1_30default_config_static_selectorELNS0_4arch9wavefront6targetE1EEEvT1_
		.amdhsa_group_segment_fixed_size 10752
		.amdhsa_private_segment_fixed_size 0
		.amdhsa_kernarg_size 136
		.amdhsa_user_sgpr_count 6
		.amdhsa_user_sgpr_private_segment_buffer 1
		.amdhsa_user_sgpr_dispatch_ptr 0
		.amdhsa_user_sgpr_queue_ptr 0
		.amdhsa_user_sgpr_kernarg_segment_ptr 1
		.amdhsa_user_sgpr_dispatch_id 0
		.amdhsa_user_sgpr_flat_scratch_init 0
		.amdhsa_user_sgpr_kernarg_preload_length 0
		.amdhsa_user_sgpr_kernarg_preload_offset 0
		.amdhsa_user_sgpr_private_segment_size 0
		.amdhsa_uses_dynamic_stack 0
		.amdhsa_system_sgpr_private_segment_wavefront_offset 0
		.amdhsa_system_sgpr_workgroup_id_x 1
		.amdhsa_system_sgpr_workgroup_id_y 0
		.amdhsa_system_sgpr_workgroup_id_z 0
		.amdhsa_system_sgpr_workgroup_info 0
		.amdhsa_system_vgpr_workitem_id 0
		.amdhsa_next_free_vgpr 132
		.amdhsa_next_free_sgpr 96
		.amdhsa_accum_offset 132
		.amdhsa_reserve_vcc 1
		.amdhsa_reserve_flat_scratch 0
		.amdhsa_float_round_mode_32 0
		.amdhsa_float_round_mode_16_64 0
		.amdhsa_float_denorm_mode_32 3
		.amdhsa_float_denorm_mode_16_64 3
		.amdhsa_dx10_clamp 1
		.amdhsa_ieee_mode 1
		.amdhsa_fp16_overflow 0
		.amdhsa_tg_split 0
		.amdhsa_exception_fp_ieee_invalid_op 0
		.amdhsa_exception_fp_denorm_src 0
		.amdhsa_exception_fp_ieee_div_zero 0
		.amdhsa_exception_fp_ieee_overflow 0
		.amdhsa_exception_fp_ieee_underflow 0
		.amdhsa_exception_fp_ieee_inexact 0
		.amdhsa_exception_int_div_zero 0
	.end_amdhsa_kernel
	.section	.text._ZN7rocprim17ROCPRIM_400000_NS6detail17trampoline_kernelINS0_14default_configENS1_27scan_by_key_config_selectorIixEEZZNS1_16scan_by_key_implILNS1_25lookback_scan_determinismE0ELb0ES3_N6thrust23THRUST_200600_302600_NS6detail15normal_iteratorINS9_10device_ptrIiEEEENSB_INSC_IxEEEESG_xNS9_4plusIvEENS9_8equal_toIvEExEE10hipError_tPvRmT2_T3_T4_T5_mT6_T7_P12ihipStream_tbENKUlT_T0_E_clISt17integral_constantIbLb0EES11_EEDaSW_SX_EUlSW_E_NS1_11comp_targetILNS1_3genE4ELNS1_11target_archE910ELNS1_3gpuE8ELNS1_3repE0EEENS1_30default_config_static_selectorELNS0_4arch9wavefront6targetE1EEEvT1_,"axG",@progbits,_ZN7rocprim17ROCPRIM_400000_NS6detail17trampoline_kernelINS0_14default_configENS1_27scan_by_key_config_selectorIixEEZZNS1_16scan_by_key_implILNS1_25lookback_scan_determinismE0ELb0ES3_N6thrust23THRUST_200600_302600_NS6detail15normal_iteratorINS9_10device_ptrIiEEEENSB_INSC_IxEEEESG_xNS9_4plusIvEENS9_8equal_toIvEExEE10hipError_tPvRmT2_T3_T4_T5_mT6_T7_P12ihipStream_tbENKUlT_T0_E_clISt17integral_constantIbLb0EES11_EEDaSW_SX_EUlSW_E_NS1_11comp_targetILNS1_3genE4ELNS1_11target_archE910ELNS1_3gpuE8ELNS1_3repE0EEENS1_30default_config_static_selectorELNS0_4arch9wavefront6targetE1EEEvT1_,comdat
.Lfunc_end1314:
	.size	_ZN7rocprim17ROCPRIM_400000_NS6detail17trampoline_kernelINS0_14default_configENS1_27scan_by_key_config_selectorIixEEZZNS1_16scan_by_key_implILNS1_25lookback_scan_determinismE0ELb0ES3_N6thrust23THRUST_200600_302600_NS6detail15normal_iteratorINS9_10device_ptrIiEEEENSB_INSC_IxEEEESG_xNS9_4plusIvEENS9_8equal_toIvEExEE10hipError_tPvRmT2_T3_T4_T5_mT6_T7_P12ihipStream_tbENKUlT_T0_E_clISt17integral_constantIbLb0EES11_EEDaSW_SX_EUlSW_E_NS1_11comp_targetILNS1_3genE4ELNS1_11target_archE910ELNS1_3gpuE8ELNS1_3repE0EEENS1_30default_config_static_selectorELNS0_4arch9wavefront6targetE1EEEvT1_, .Lfunc_end1314-_ZN7rocprim17ROCPRIM_400000_NS6detail17trampoline_kernelINS0_14default_configENS1_27scan_by_key_config_selectorIixEEZZNS1_16scan_by_key_implILNS1_25lookback_scan_determinismE0ELb0ES3_N6thrust23THRUST_200600_302600_NS6detail15normal_iteratorINS9_10device_ptrIiEEEENSB_INSC_IxEEEESG_xNS9_4plusIvEENS9_8equal_toIvEExEE10hipError_tPvRmT2_T3_T4_T5_mT6_T7_P12ihipStream_tbENKUlT_T0_E_clISt17integral_constantIbLb0EES11_EEDaSW_SX_EUlSW_E_NS1_11comp_targetILNS1_3genE4ELNS1_11target_archE910ELNS1_3gpuE8ELNS1_3repE0EEENS1_30default_config_static_selectorELNS0_4arch9wavefront6targetE1EEEvT1_
                                        ; -- End function
	.section	.AMDGPU.csdata,"",@progbits
; Kernel info:
; codeLenInByte = 16852
; NumSgprs: 100
; NumVgprs: 132
; NumAgprs: 0
; TotalNumVgprs: 132
; ScratchSize: 0
; MemoryBound: 0
; FloatMode: 240
; IeeeMode: 1
; LDSByteSize: 10752 bytes/workgroup (compile time only)
; SGPRBlocks: 12
; VGPRBlocks: 16
; NumSGPRsForWavesPerEU: 100
; NumVGPRsForWavesPerEU: 132
; AccumOffset: 132
; Occupancy: 2
; WaveLimiterHint : 1
; COMPUTE_PGM_RSRC2:SCRATCH_EN: 0
; COMPUTE_PGM_RSRC2:USER_SGPR: 6
; COMPUTE_PGM_RSRC2:TRAP_HANDLER: 0
; COMPUTE_PGM_RSRC2:TGID_X_EN: 1
; COMPUTE_PGM_RSRC2:TGID_Y_EN: 0
; COMPUTE_PGM_RSRC2:TGID_Z_EN: 0
; COMPUTE_PGM_RSRC2:TIDIG_COMP_CNT: 0
; COMPUTE_PGM_RSRC3_GFX90A:ACCUM_OFFSET: 32
; COMPUTE_PGM_RSRC3_GFX90A:TG_SPLIT: 0
	.section	.text._ZN7rocprim17ROCPRIM_400000_NS6detail17trampoline_kernelINS0_14default_configENS1_27scan_by_key_config_selectorIixEEZZNS1_16scan_by_key_implILNS1_25lookback_scan_determinismE0ELb0ES3_N6thrust23THRUST_200600_302600_NS6detail15normal_iteratorINS9_10device_ptrIiEEEENSB_INSC_IxEEEESG_xNS9_4plusIvEENS9_8equal_toIvEExEE10hipError_tPvRmT2_T3_T4_T5_mT6_T7_P12ihipStream_tbENKUlT_T0_E_clISt17integral_constantIbLb0EES11_EEDaSW_SX_EUlSW_E_NS1_11comp_targetILNS1_3genE3ELNS1_11target_archE908ELNS1_3gpuE7ELNS1_3repE0EEENS1_30default_config_static_selectorELNS0_4arch9wavefront6targetE1EEEvT1_,"axG",@progbits,_ZN7rocprim17ROCPRIM_400000_NS6detail17trampoline_kernelINS0_14default_configENS1_27scan_by_key_config_selectorIixEEZZNS1_16scan_by_key_implILNS1_25lookback_scan_determinismE0ELb0ES3_N6thrust23THRUST_200600_302600_NS6detail15normal_iteratorINS9_10device_ptrIiEEEENSB_INSC_IxEEEESG_xNS9_4plusIvEENS9_8equal_toIvEExEE10hipError_tPvRmT2_T3_T4_T5_mT6_T7_P12ihipStream_tbENKUlT_T0_E_clISt17integral_constantIbLb0EES11_EEDaSW_SX_EUlSW_E_NS1_11comp_targetILNS1_3genE3ELNS1_11target_archE908ELNS1_3gpuE7ELNS1_3repE0EEENS1_30default_config_static_selectorELNS0_4arch9wavefront6targetE1EEEvT1_,comdat
	.protected	_ZN7rocprim17ROCPRIM_400000_NS6detail17trampoline_kernelINS0_14default_configENS1_27scan_by_key_config_selectorIixEEZZNS1_16scan_by_key_implILNS1_25lookback_scan_determinismE0ELb0ES3_N6thrust23THRUST_200600_302600_NS6detail15normal_iteratorINS9_10device_ptrIiEEEENSB_INSC_IxEEEESG_xNS9_4plusIvEENS9_8equal_toIvEExEE10hipError_tPvRmT2_T3_T4_T5_mT6_T7_P12ihipStream_tbENKUlT_T0_E_clISt17integral_constantIbLb0EES11_EEDaSW_SX_EUlSW_E_NS1_11comp_targetILNS1_3genE3ELNS1_11target_archE908ELNS1_3gpuE7ELNS1_3repE0EEENS1_30default_config_static_selectorELNS0_4arch9wavefront6targetE1EEEvT1_ ; -- Begin function _ZN7rocprim17ROCPRIM_400000_NS6detail17trampoline_kernelINS0_14default_configENS1_27scan_by_key_config_selectorIixEEZZNS1_16scan_by_key_implILNS1_25lookback_scan_determinismE0ELb0ES3_N6thrust23THRUST_200600_302600_NS6detail15normal_iteratorINS9_10device_ptrIiEEEENSB_INSC_IxEEEESG_xNS9_4plusIvEENS9_8equal_toIvEExEE10hipError_tPvRmT2_T3_T4_T5_mT6_T7_P12ihipStream_tbENKUlT_T0_E_clISt17integral_constantIbLb0EES11_EEDaSW_SX_EUlSW_E_NS1_11comp_targetILNS1_3genE3ELNS1_11target_archE908ELNS1_3gpuE7ELNS1_3repE0EEENS1_30default_config_static_selectorELNS0_4arch9wavefront6targetE1EEEvT1_
	.globl	_ZN7rocprim17ROCPRIM_400000_NS6detail17trampoline_kernelINS0_14default_configENS1_27scan_by_key_config_selectorIixEEZZNS1_16scan_by_key_implILNS1_25lookback_scan_determinismE0ELb0ES3_N6thrust23THRUST_200600_302600_NS6detail15normal_iteratorINS9_10device_ptrIiEEEENSB_INSC_IxEEEESG_xNS9_4plusIvEENS9_8equal_toIvEExEE10hipError_tPvRmT2_T3_T4_T5_mT6_T7_P12ihipStream_tbENKUlT_T0_E_clISt17integral_constantIbLb0EES11_EEDaSW_SX_EUlSW_E_NS1_11comp_targetILNS1_3genE3ELNS1_11target_archE908ELNS1_3gpuE7ELNS1_3repE0EEENS1_30default_config_static_selectorELNS0_4arch9wavefront6targetE1EEEvT1_
	.p2align	8
	.type	_ZN7rocprim17ROCPRIM_400000_NS6detail17trampoline_kernelINS0_14default_configENS1_27scan_by_key_config_selectorIixEEZZNS1_16scan_by_key_implILNS1_25lookback_scan_determinismE0ELb0ES3_N6thrust23THRUST_200600_302600_NS6detail15normal_iteratorINS9_10device_ptrIiEEEENSB_INSC_IxEEEESG_xNS9_4plusIvEENS9_8equal_toIvEExEE10hipError_tPvRmT2_T3_T4_T5_mT6_T7_P12ihipStream_tbENKUlT_T0_E_clISt17integral_constantIbLb0EES11_EEDaSW_SX_EUlSW_E_NS1_11comp_targetILNS1_3genE3ELNS1_11target_archE908ELNS1_3gpuE7ELNS1_3repE0EEENS1_30default_config_static_selectorELNS0_4arch9wavefront6targetE1EEEvT1_,@function
_ZN7rocprim17ROCPRIM_400000_NS6detail17trampoline_kernelINS0_14default_configENS1_27scan_by_key_config_selectorIixEEZZNS1_16scan_by_key_implILNS1_25lookback_scan_determinismE0ELb0ES3_N6thrust23THRUST_200600_302600_NS6detail15normal_iteratorINS9_10device_ptrIiEEEENSB_INSC_IxEEEESG_xNS9_4plusIvEENS9_8equal_toIvEExEE10hipError_tPvRmT2_T3_T4_T5_mT6_T7_P12ihipStream_tbENKUlT_T0_E_clISt17integral_constantIbLb0EES11_EEDaSW_SX_EUlSW_E_NS1_11comp_targetILNS1_3genE3ELNS1_11target_archE908ELNS1_3gpuE7ELNS1_3repE0EEENS1_30default_config_static_selectorELNS0_4arch9wavefront6targetE1EEEvT1_: ; @_ZN7rocprim17ROCPRIM_400000_NS6detail17trampoline_kernelINS0_14default_configENS1_27scan_by_key_config_selectorIixEEZZNS1_16scan_by_key_implILNS1_25lookback_scan_determinismE0ELb0ES3_N6thrust23THRUST_200600_302600_NS6detail15normal_iteratorINS9_10device_ptrIiEEEENSB_INSC_IxEEEESG_xNS9_4plusIvEENS9_8equal_toIvEExEE10hipError_tPvRmT2_T3_T4_T5_mT6_T7_P12ihipStream_tbENKUlT_T0_E_clISt17integral_constantIbLb0EES11_EEDaSW_SX_EUlSW_E_NS1_11comp_targetILNS1_3genE3ELNS1_11target_archE908ELNS1_3gpuE7ELNS1_3repE0EEENS1_30default_config_static_selectorELNS0_4arch9wavefront6targetE1EEEvT1_
; %bb.0:
	.section	.rodata,"a",@progbits
	.p2align	6, 0x0
	.amdhsa_kernel _ZN7rocprim17ROCPRIM_400000_NS6detail17trampoline_kernelINS0_14default_configENS1_27scan_by_key_config_selectorIixEEZZNS1_16scan_by_key_implILNS1_25lookback_scan_determinismE0ELb0ES3_N6thrust23THRUST_200600_302600_NS6detail15normal_iteratorINS9_10device_ptrIiEEEENSB_INSC_IxEEEESG_xNS9_4plusIvEENS9_8equal_toIvEExEE10hipError_tPvRmT2_T3_T4_T5_mT6_T7_P12ihipStream_tbENKUlT_T0_E_clISt17integral_constantIbLb0EES11_EEDaSW_SX_EUlSW_E_NS1_11comp_targetILNS1_3genE3ELNS1_11target_archE908ELNS1_3gpuE7ELNS1_3repE0EEENS1_30default_config_static_selectorELNS0_4arch9wavefront6targetE1EEEvT1_
		.amdhsa_group_segment_fixed_size 0
		.amdhsa_private_segment_fixed_size 0
		.amdhsa_kernarg_size 136
		.amdhsa_user_sgpr_count 6
		.amdhsa_user_sgpr_private_segment_buffer 1
		.amdhsa_user_sgpr_dispatch_ptr 0
		.amdhsa_user_sgpr_queue_ptr 0
		.amdhsa_user_sgpr_kernarg_segment_ptr 1
		.amdhsa_user_sgpr_dispatch_id 0
		.amdhsa_user_sgpr_flat_scratch_init 0
		.amdhsa_user_sgpr_kernarg_preload_length 0
		.amdhsa_user_sgpr_kernarg_preload_offset 0
		.amdhsa_user_sgpr_private_segment_size 0
		.amdhsa_uses_dynamic_stack 0
		.amdhsa_system_sgpr_private_segment_wavefront_offset 0
		.amdhsa_system_sgpr_workgroup_id_x 1
		.amdhsa_system_sgpr_workgroup_id_y 0
		.amdhsa_system_sgpr_workgroup_id_z 0
		.amdhsa_system_sgpr_workgroup_info 0
		.amdhsa_system_vgpr_workitem_id 0
		.amdhsa_next_free_vgpr 1
		.amdhsa_next_free_sgpr 0
		.amdhsa_accum_offset 4
		.amdhsa_reserve_vcc 0
		.amdhsa_reserve_flat_scratch 0
		.amdhsa_float_round_mode_32 0
		.amdhsa_float_round_mode_16_64 0
		.amdhsa_float_denorm_mode_32 3
		.amdhsa_float_denorm_mode_16_64 3
		.amdhsa_dx10_clamp 1
		.amdhsa_ieee_mode 1
		.amdhsa_fp16_overflow 0
		.amdhsa_tg_split 0
		.amdhsa_exception_fp_ieee_invalid_op 0
		.amdhsa_exception_fp_denorm_src 0
		.amdhsa_exception_fp_ieee_div_zero 0
		.amdhsa_exception_fp_ieee_overflow 0
		.amdhsa_exception_fp_ieee_underflow 0
		.amdhsa_exception_fp_ieee_inexact 0
		.amdhsa_exception_int_div_zero 0
	.end_amdhsa_kernel
	.section	.text._ZN7rocprim17ROCPRIM_400000_NS6detail17trampoline_kernelINS0_14default_configENS1_27scan_by_key_config_selectorIixEEZZNS1_16scan_by_key_implILNS1_25lookback_scan_determinismE0ELb0ES3_N6thrust23THRUST_200600_302600_NS6detail15normal_iteratorINS9_10device_ptrIiEEEENSB_INSC_IxEEEESG_xNS9_4plusIvEENS9_8equal_toIvEExEE10hipError_tPvRmT2_T3_T4_T5_mT6_T7_P12ihipStream_tbENKUlT_T0_E_clISt17integral_constantIbLb0EES11_EEDaSW_SX_EUlSW_E_NS1_11comp_targetILNS1_3genE3ELNS1_11target_archE908ELNS1_3gpuE7ELNS1_3repE0EEENS1_30default_config_static_selectorELNS0_4arch9wavefront6targetE1EEEvT1_,"axG",@progbits,_ZN7rocprim17ROCPRIM_400000_NS6detail17trampoline_kernelINS0_14default_configENS1_27scan_by_key_config_selectorIixEEZZNS1_16scan_by_key_implILNS1_25lookback_scan_determinismE0ELb0ES3_N6thrust23THRUST_200600_302600_NS6detail15normal_iteratorINS9_10device_ptrIiEEEENSB_INSC_IxEEEESG_xNS9_4plusIvEENS9_8equal_toIvEExEE10hipError_tPvRmT2_T3_T4_T5_mT6_T7_P12ihipStream_tbENKUlT_T0_E_clISt17integral_constantIbLb0EES11_EEDaSW_SX_EUlSW_E_NS1_11comp_targetILNS1_3genE3ELNS1_11target_archE908ELNS1_3gpuE7ELNS1_3repE0EEENS1_30default_config_static_selectorELNS0_4arch9wavefront6targetE1EEEvT1_,comdat
.Lfunc_end1315:
	.size	_ZN7rocprim17ROCPRIM_400000_NS6detail17trampoline_kernelINS0_14default_configENS1_27scan_by_key_config_selectorIixEEZZNS1_16scan_by_key_implILNS1_25lookback_scan_determinismE0ELb0ES3_N6thrust23THRUST_200600_302600_NS6detail15normal_iteratorINS9_10device_ptrIiEEEENSB_INSC_IxEEEESG_xNS9_4plusIvEENS9_8equal_toIvEExEE10hipError_tPvRmT2_T3_T4_T5_mT6_T7_P12ihipStream_tbENKUlT_T0_E_clISt17integral_constantIbLb0EES11_EEDaSW_SX_EUlSW_E_NS1_11comp_targetILNS1_3genE3ELNS1_11target_archE908ELNS1_3gpuE7ELNS1_3repE0EEENS1_30default_config_static_selectorELNS0_4arch9wavefront6targetE1EEEvT1_, .Lfunc_end1315-_ZN7rocprim17ROCPRIM_400000_NS6detail17trampoline_kernelINS0_14default_configENS1_27scan_by_key_config_selectorIixEEZZNS1_16scan_by_key_implILNS1_25lookback_scan_determinismE0ELb0ES3_N6thrust23THRUST_200600_302600_NS6detail15normal_iteratorINS9_10device_ptrIiEEEENSB_INSC_IxEEEESG_xNS9_4plusIvEENS9_8equal_toIvEExEE10hipError_tPvRmT2_T3_T4_T5_mT6_T7_P12ihipStream_tbENKUlT_T0_E_clISt17integral_constantIbLb0EES11_EEDaSW_SX_EUlSW_E_NS1_11comp_targetILNS1_3genE3ELNS1_11target_archE908ELNS1_3gpuE7ELNS1_3repE0EEENS1_30default_config_static_selectorELNS0_4arch9wavefront6targetE1EEEvT1_
                                        ; -- End function
	.section	.AMDGPU.csdata,"",@progbits
; Kernel info:
; codeLenInByte = 0
; NumSgprs: 4
; NumVgprs: 0
; NumAgprs: 0
; TotalNumVgprs: 0
; ScratchSize: 0
; MemoryBound: 0
; FloatMode: 240
; IeeeMode: 1
; LDSByteSize: 0 bytes/workgroup (compile time only)
; SGPRBlocks: 0
; VGPRBlocks: 0
; NumSGPRsForWavesPerEU: 4
; NumVGPRsForWavesPerEU: 1
; AccumOffset: 4
; Occupancy: 8
; WaveLimiterHint : 0
; COMPUTE_PGM_RSRC2:SCRATCH_EN: 0
; COMPUTE_PGM_RSRC2:USER_SGPR: 6
; COMPUTE_PGM_RSRC2:TRAP_HANDLER: 0
; COMPUTE_PGM_RSRC2:TGID_X_EN: 1
; COMPUTE_PGM_RSRC2:TGID_Y_EN: 0
; COMPUTE_PGM_RSRC2:TGID_Z_EN: 0
; COMPUTE_PGM_RSRC2:TIDIG_COMP_CNT: 0
; COMPUTE_PGM_RSRC3_GFX90A:ACCUM_OFFSET: 0
; COMPUTE_PGM_RSRC3_GFX90A:TG_SPLIT: 0
	.section	.text._ZN7rocprim17ROCPRIM_400000_NS6detail17trampoline_kernelINS0_14default_configENS1_27scan_by_key_config_selectorIixEEZZNS1_16scan_by_key_implILNS1_25lookback_scan_determinismE0ELb0ES3_N6thrust23THRUST_200600_302600_NS6detail15normal_iteratorINS9_10device_ptrIiEEEENSB_INSC_IxEEEESG_xNS9_4plusIvEENS9_8equal_toIvEExEE10hipError_tPvRmT2_T3_T4_T5_mT6_T7_P12ihipStream_tbENKUlT_T0_E_clISt17integral_constantIbLb0EES11_EEDaSW_SX_EUlSW_E_NS1_11comp_targetILNS1_3genE2ELNS1_11target_archE906ELNS1_3gpuE6ELNS1_3repE0EEENS1_30default_config_static_selectorELNS0_4arch9wavefront6targetE1EEEvT1_,"axG",@progbits,_ZN7rocprim17ROCPRIM_400000_NS6detail17trampoline_kernelINS0_14default_configENS1_27scan_by_key_config_selectorIixEEZZNS1_16scan_by_key_implILNS1_25lookback_scan_determinismE0ELb0ES3_N6thrust23THRUST_200600_302600_NS6detail15normal_iteratorINS9_10device_ptrIiEEEENSB_INSC_IxEEEESG_xNS9_4plusIvEENS9_8equal_toIvEExEE10hipError_tPvRmT2_T3_T4_T5_mT6_T7_P12ihipStream_tbENKUlT_T0_E_clISt17integral_constantIbLb0EES11_EEDaSW_SX_EUlSW_E_NS1_11comp_targetILNS1_3genE2ELNS1_11target_archE906ELNS1_3gpuE6ELNS1_3repE0EEENS1_30default_config_static_selectorELNS0_4arch9wavefront6targetE1EEEvT1_,comdat
	.protected	_ZN7rocprim17ROCPRIM_400000_NS6detail17trampoline_kernelINS0_14default_configENS1_27scan_by_key_config_selectorIixEEZZNS1_16scan_by_key_implILNS1_25lookback_scan_determinismE0ELb0ES3_N6thrust23THRUST_200600_302600_NS6detail15normal_iteratorINS9_10device_ptrIiEEEENSB_INSC_IxEEEESG_xNS9_4plusIvEENS9_8equal_toIvEExEE10hipError_tPvRmT2_T3_T4_T5_mT6_T7_P12ihipStream_tbENKUlT_T0_E_clISt17integral_constantIbLb0EES11_EEDaSW_SX_EUlSW_E_NS1_11comp_targetILNS1_3genE2ELNS1_11target_archE906ELNS1_3gpuE6ELNS1_3repE0EEENS1_30default_config_static_selectorELNS0_4arch9wavefront6targetE1EEEvT1_ ; -- Begin function _ZN7rocprim17ROCPRIM_400000_NS6detail17trampoline_kernelINS0_14default_configENS1_27scan_by_key_config_selectorIixEEZZNS1_16scan_by_key_implILNS1_25lookback_scan_determinismE0ELb0ES3_N6thrust23THRUST_200600_302600_NS6detail15normal_iteratorINS9_10device_ptrIiEEEENSB_INSC_IxEEEESG_xNS9_4plusIvEENS9_8equal_toIvEExEE10hipError_tPvRmT2_T3_T4_T5_mT6_T7_P12ihipStream_tbENKUlT_T0_E_clISt17integral_constantIbLb0EES11_EEDaSW_SX_EUlSW_E_NS1_11comp_targetILNS1_3genE2ELNS1_11target_archE906ELNS1_3gpuE6ELNS1_3repE0EEENS1_30default_config_static_selectorELNS0_4arch9wavefront6targetE1EEEvT1_
	.globl	_ZN7rocprim17ROCPRIM_400000_NS6detail17trampoline_kernelINS0_14default_configENS1_27scan_by_key_config_selectorIixEEZZNS1_16scan_by_key_implILNS1_25lookback_scan_determinismE0ELb0ES3_N6thrust23THRUST_200600_302600_NS6detail15normal_iteratorINS9_10device_ptrIiEEEENSB_INSC_IxEEEESG_xNS9_4plusIvEENS9_8equal_toIvEExEE10hipError_tPvRmT2_T3_T4_T5_mT6_T7_P12ihipStream_tbENKUlT_T0_E_clISt17integral_constantIbLb0EES11_EEDaSW_SX_EUlSW_E_NS1_11comp_targetILNS1_3genE2ELNS1_11target_archE906ELNS1_3gpuE6ELNS1_3repE0EEENS1_30default_config_static_selectorELNS0_4arch9wavefront6targetE1EEEvT1_
	.p2align	8
	.type	_ZN7rocprim17ROCPRIM_400000_NS6detail17trampoline_kernelINS0_14default_configENS1_27scan_by_key_config_selectorIixEEZZNS1_16scan_by_key_implILNS1_25lookback_scan_determinismE0ELb0ES3_N6thrust23THRUST_200600_302600_NS6detail15normal_iteratorINS9_10device_ptrIiEEEENSB_INSC_IxEEEESG_xNS9_4plusIvEENS9_8equal_toIvEExEE10hipError_tPvRmT2_T3_T4_T5_mT6_T7_P12ihipStream_tbENKUlT_T0_E_clISt17integral_constantIbLb0EES11_EEDaSW_SX_EUlSW_E_NS1_11comp_targetILNS1_3genE2ELNS1_11target_archE906ELNS1_3gpuE6ELNS1_3repE0EEENS1_30default_config_static_selectorELNS0_4arch9wavefront6targetE1EEEvT1_,@function
_ZN7rocprim17ROCPRIM_400000_NS6detail17trampoline_kernelINS0_14default_configENS1_27scan_by_key_config_selectorIixEEZZNS1_16scan_by_key_implILNS1_25lookback_scan_determinismE0ELb0ES3_N6thrust23THRUST_200600_302600_NS6detail15normal_iteratorINS9_10device_ptrIiEEEENSB_INSC_IxEEEESG_xNS9_4plusIvEENS9_8equal_toIvEExEE10hipError_tPvRmT2_T3_T4_T5_mT6_T7_P12ihipStream_tbENKUlT_T0_E_clISt17integral_constantIbLb0EES11_EEDaSW_SX_EUlSW_E_NS1_11comp_targetILNS1_3genE2ELNS1_11target_archE906ELNS1_3gpuE6ELNS1_3repE0EEENS1_30default_config_static_selectorELNS0_4arch9wavefront6targetE1EEEvT1_: ; @_ZN7rocprim17ROCPRIM_400000_NS6detail17trampoline_kernelINS0_14default_configENS1_27scan_by_key_config_selectorIixEEZZNS1_16scan_by_key_implILNS1_25lookback_scan_determinismE0ELb0ES3_N6thrust23THRUST_200600_302600_NS6detail15normal_iteratorINS9_10device_ptrIiEEEENSB_INSC_IxEEEESG_xNS9_4plusIvEENS9_8equal_toIvEExEE10hipError_tPvRmT2_T3_T4_T5_mT6_T7_P12ihipStream_tbENKUlT_T0_E_clISt17integral_constantIbLb0EES11_EEDaSW_SX_EUlSW_E_NS1_11comp_targetILNS1_3genE2ELNS1_11target_archE906ELNS1_3gpuE6ELNS1_3repE0EEENS1_30default_config_static_selectorELNS0_4arch9wavefront6targetE1EEEvT1_
; %bb.0:
	.section	.rodata,"a",@progbits
	.p2align	6, 0x0
	.amdhsa_kernel _ZN7rocprim17ROCPRIM_400000_NS6detail17trampoline_kernelINS0_14default_configENS1_27scan_by_key_config_selectorIixEEZZNS1_16scan_by_key_implILNS1_25lookback_scan_determinismE0ELb0ES3_N6thrust23THRUST_200600_302600_NS6detail15normal_iteratorINS9_10device_ptrIiEEEENSB_INSC_IxEEEESG_xNS9_4plusIvEENS9_8equal_toIvEExEE10hipError_tPvRmT2_T3_T4_T5_mT6_T7_P12ihipStream_tbENKUlT_T0_E_clISt17integral_constantIbLb0EES11_EEDaSW_SX_EUlSW_E_NS1_11comp_targetILNS1_3genE2ELNS1_11target_archE906ELNS1_3gpuE6ELNS1_3repE0EEENS1_30default_config_static_selectorELNS0_4arch9wavefront6targetE1EEEvT1_
		.amdhsa_group_segment_fixed_size 0
		.amdhsa_private_segment_fixed_size 0
		.amdhsa_kernarg_size 136
		.amdhsa_user_sgpr_count 6
		.amdhsa_user_sgpr_private_segment_buffer 1
		.amdhsa_user_sgpr_dispatch_ptr 0
		.amdhsa_user_sgpr_queue_ptr 0
		.amdhsa_user_sgpr_kernarg_segment_ptr 1
		.amdhsa_user_sgpr_dispatch_id 0
		.amdhsa_user_sgpr_flat_scratch_init 0
		.amdhsa_user_sgpr_kernarg_preload_length 0
		.amdhsa_user_sgpr_kernarg_preload_offset 0
		.amdhsa_user_sgpr_private_segment_size 0
		.amdhsa_uses_dynamic_stack 0
		.amdhsa_system_sgpr_private_segment_wavefront_offset 0
		.amdhsa_system_sgpr_workgroup_id_x 1
		.amdhsa_system_sgpr_workgroup_id_y 0
		.amdhsa_system_sgpr_workgroup_id_z 0
		.amdhsa_system_sgpr_workgroup_info 0
		.amdhsa_system_vgpr_workitem_id 0
		.amdhsa_next_free_vgpr 1
		.amdhsa_next_free_sgpr 0
		.amdhsa_accum_offset 4
		.amdhsa_reserve_vcc 0
		.amdhsa_reserve_flat_scratch 0
		.amdhsa_float_round_mode_32 0
		.amdhsa_float_round_mode_16_64 0
		.amdhsa_float_denorm_mode_32 3
		.amdhsa_float_denorm_mode_16_64 3
		.amdhsa_dx10_clamp 1
		.amdhsa_ieee_mode 1
		.amdhsa_fp16_overflow 0
		.amdhsa_tg_split 0
		.amdhsa_exception_fp_ieee_invalid_op 0
		.amdhsa_exception_fp_denorm_src 0
		.amdhsa_exception_fp_ieee_div_zero 0
		.amdhsa_exception_fp_ieee_overflow 0
		.amdhsa_exception_fp_ieee_underflow 0
		.amdhsa_exception_fp_ieee_inexact 0
		.amdhsa_exception_int_div_zero 0
	.end_amdhsa_kernel
	.section	.text._ZN7rocprim17ROCPRIM_400000_NS6detail17trampoline_kernelINS0_14default_configENS1_27scan_by_key_config_selectorIixEEZZNS1_16scan_by_key_implILNS1_25lookback_scan_determinismE0ELb0ES3_N6thrust23THRUST_200600_302600_NS6detail15normal_iteratorINS9_10device_ptrIiEEEENSB_INSC_IxEEEESG_xNS9_4plusIvEENS9_8equal_toIvEExEE10hipError_tPvRmT2_T3_T4_T5_mT6_T7_P12ihipStream_tbENKUlT_T0_E_clISt17integral_constantIbLb0EES11_EEDaSW_SX_EUlSW_E_NS1_11comp_targetILNS1_3genE2ELNS1_11target_archE906ELNS1_3gpuE6ELNS1_3repE0EEENS1_30default_config_static_selectorELNS0_4arch9wavefront6targetE1EEEvT1_,"axG",@progbits,_ZN7rocprim17ROCPRIM_400000_NS6detail17trampoline_kernelINS0_14default_configENS1_27scan_by_key_config_selectorIixEEZZNS1_16scan_by_key_implILNS1_25lookback_scan_determinismE0ELb0ES3_N6thrust23THRUST_200600_302600_NS6detail15normal_iteratorINS9_10device_ptrIiEEEENSB_INSC_IxEEEESG_xNS9_4plusIvEENS9_8equal_toIvEExEE10hipError_tPvRmT2_T3_T4_T5_mT6_T7_P12ihipStream_tbENKUlT_T0_E_clISt17integral_constantIbLb0EES11_EEDaSW_SX_EUlSW_E_NS1_11comp_targetILNS1_3genE2ELNS1_11target_archE906ELNS1_3gpuE6ELNS1_3repE0EEENS1_30default_config_static_selectorELNS0_4arch9wavefront6targetE1EEEvT1_,comdat
.Lfunc_end1316:
	.size	_ZN7rocprim17ROCPRIM_400000_NS6detail17trampoline_kernelINS0_14default_configENS1_27scan_by_key_config_selectorIixEEZZNS1_16scan_by_key_implILNS1_25lookback_scan_determinismE0ELb0ES3_N6thrust23THRUST_200600_302600_NS6detail15normal_iteratorINS9_10device_ptrIiEEEENSB_INSC_IxEEEESG_xNS9_4plusIvEENS9_8equal_toIvEExEE10hipError_tPvRmT2_T3_T4_T5_mT6_T7_P12ihipStream_tbENKUlT_T0_E_clISt17integral_constantIbLb0EES11_EEDaSW_SX_EUlSW_E_NS1_11comp_targetILNS1_3genE2ELNS1_11target_archE906ELNS1_3gpuE6ELNS1_3repE0EEENS1_30default_config_static_selectorELNS0_4arch9wavefront6targetE1EEEvT1_, .Lfunc_end1316-_ZN7rocprim17ROCPRIM_400000_NS6detail17trampoline_kernelINS0_14default_configENS1_27scan_by_key_config_selectorIixEEZZNS1_16scan_by_key_implILNS1_25lookback_scan_determinismE0ELb0ES3_N6thrust23THRUST_200600_302600_NS6detail15normal_iteratorINS9_10device_ptrIiEEEENSB_INSC_IxEEEESG_xNS9_4plusIvEENS9_8equal_toIvEExEE10hipError_tPvRmT2_T3_T4_T5_mT6_T7_P12ihipStream_tbENKUlT_T0_E_clISt17integral_constantIbLb0EES11_EEDaSW_SX_EUlSW_E_NS1_11comp_targetILNS1_3genE2ELNS1_11target_archE906ELNS1_3gpuE6ELNS1_3repE0EEENS1_30default_config_static_selectorELNS0_4arch9wavefront6targetE1EEEvT1_
                                        ; -- End function
	.section	.AMDGPU.csdata,"",@progbits
; Kernel info:
; codeLenInByte = 0
; NumSgprs: 4
; NumVgprs: 0
; NumAgprs: 0
; TotalNumVgprs: 0
; ScratchSize: 0
; MemoryBound: 0
; FloatMode: 240
; IeeeMode: 1
; LDSByteSize: 0 bytes/workgroup (compile time only)
; SGPRBlocks: 0
; VGPRBlocks: 0
; NumSGPRsForWavesPerEU: 4
; NumVGPRsForWavesPerEU: 1
; AccumOffset: 4
; Occupancy: 8
; WaveLimiterHint : 0
; COMPUTE_PGM_RSRC2:SCRATCH_EN: 0
; COMPUTE_PGM_RSRC2:USER_SGPR: 6
; COMPUTE_PGM_RSRC2:TRAP_HANDLER: 0
; COMPUTE_PGM_RSRC2:TGID_X_EN: 1
; COMPUTE_PGM_RSRC2:TGID_Y_EN: 0
; COMPUTE_PGM_RSRC2:TGID_Z_EN: 0
; COMPUTE_PGM_RSRC2:TIDIG_COMP_CNT: 0
; COMPUTE_PGM_RSRC3_GFX90A:ACCUM_OFFSET: 0
; COMPUTE_PGM_RSRC3_GFX90A:TG_SPLIT: 0
	.section	.text._ZN7rocprim17ROCPRIM_400000_NS6detail17trampoline_kernelINS0_14default_configENS1_27scan_by_key_config_selectorIixEEZZNS1_16scan_by_key_implILNS1_25lookback_scan_determinismE0ELb0ES3_N6thrust23THRUST_200600_302600_NS6detail15normal_iteratorINS9_10device_ptrIiEEEENSB_INSC_IxEEEESG_xNS9_4plusIvEENS9_8equal_toIvEExEE10hipError_tPvRmT2_T3_T4_T5_mT6_T7_P12ihipStream_tbENKUlT_T0_E_clISt17integral_constantIbLb0EES11_EEDaSW_SX_EUlSW_E_NS1_11comp_targetILNS1_3genE10ELNS1_11target_archE1200ELNS1_3gpuE4ELNS1_3repE0EEENS1_30default_config_static_selectorELNS0_4arch9wavefront6targetE1EEEvT1_,"axG",@progbits,_ZN7rocprim17ROCPRIM_400000_NS6detail17trampoline_kernelINS0_14default_configENS1_27scan_by_key_config_selectorIixEEZZNS1_16scan_by_key_implILNS1_25lookback_scan_determinismE0ELb0ES3_N6thrust23THRUST_200600_302600_NS6detail15normal_iteratorINS9_10device_ptrIiEEEENSB_INSC_IxEEEESG_xNS9_4plusIvEENS9_8equal_toIvEExEE10hipError_tPvRmT2_T3_T4_T5_mT6_T7_P12ihipStream_tbENKUlT_T0_E_clISt17integral_constantIbLb0EES11_EEDaSW_SX_EUlSW_E_NS1_11comp_targetILNS1_3genE10ELNS1_11target_archE1200ELNS1_3gpuE4ELNS1_3repE0EEENS1_30default_config_static_selectorELNS0_4arch9wavefront6targetE1EEEvT1_,comdat
	.protected	_ZN7rocprim17ROCPRIM_400000_NS6detail17trampoline_kernelINS0_14default_configENS1_27scan_by_key_config_selectorIixEEZZNS1_16scan_by_key_implILNS1_25lookback_scan_determinismE0ELb0ES3_N6thrust23THRUST_200600_302600_NS6detail15normal_iteratorINS9_10device_ptrIiEEEENSB_INSC_IxEEEESG_xNS9_4plusIvEENS9_8equal_toIvEExEE10hipError_tPvRmT2_T3_T4_T5_mT6_T7_P12ihipStream_tbENKUlT_T0_E_clISt17integral_constantIbLb0EES11_EEDaSW_SX_EUlSW_E_NS1_11comp_targetILNS1_3genE10ELNS1_11target_archE1200ELNS1_3gpuE4ELNS1_3repE0EEENS1_30default_config_static_selectorELNS0_4arch9wavefront6targetE1EEEvT1_ ; -- Begin function _ZN7rocprim17ROCPRIM_400000_NS6detail17trampoline_kernelINS0_14default_configENS1_27scan_by_key_config_selectorIixEEZZNS1_16scan_by_key_implILNS1_25lookback_scan_determinismE0ELb0ES3_N6thrust23THRUST_200600_302600_NS6detail15normal_iteratorINS9_10device_ptrIiEEEENSB_INSC_IxEEEESG_xNS9_4plusIvEENS9_8equal_toIvEExEE10hipError_tPvRmT2_T3_T4_T5_mT6_T7_P12ihipStream_tbENKUlT_T0_E_clISt17integral_constantIbLb0EES11_EEDaSW_SX_EUlSW_E_NS1_11comp_targetILNS1_3genE10ELNS1_11target_archE1200ELNS1_3gpuE4ELNS1_3repE0EEENS1_30default_config_static_selectorELNS0_4arch9wavefront6targetE1EEEvT1_
	.globl	_ZN7rocprim17ROCPRIM_400000_NS6detail17trampoline_kernelINS0_14default_configENS1_27scan_by_key_config_selectorIixEEZZNS1_16scan_by_key_implILNS1_25lookback_scan_determinismE0ELb0ES3_N6thrust23THRUST_200600_302600_NS6detail15normal_iteratorINS9_10device_ptrIiEEEENSB_INSC_IxEEEESG_xNS9_4plusIvEENS9_8equal_toIvEExEE10hipError_tPvRmT2_T3_T4_T5_mT6_T7_P12ihipStream_tbENKUlT_T0_E_clISt17integral_constantIbLb0EES11_EEDaSW_SX_EUlSW_E_NS1_11comp_targetILNS1_3genE10ELNS1_11target_archE1200ELNS1_3gpuE4ELNS1_3repE0EEENS1_30default_config_static_selectorELNS0_4arch9wavefront6targetE1EEEvT1_
	.p2align	8
	.type	_ZN7rocprim17ROCPRIM_400000_NS6detail17trampoline_kernelINS0_14default_configENS1_27scan_by_key_config_selectorIixEEZZNS1_16scan_by_key_implILNS1_25lookback_scan_determinismE0ELb0ES3_N6thrust23THRUST_200600_302600_NS6detail15normal_iteratorINS9_10device_ptrIiEEEENSB_INSC_IxEEEESG_xNS9_4plusIvEENS9_8equal_toIvEExEE10hipError_tPvRmT2_T3_T4_T5_mT6_T7_P12ihipStream_tbENKUlT_T0_E_clISt17integral_constantIbLb0EES11_EEDaSW_SX_EUlSW_E_NS1_11comp_targetILNS1_3genE10ELNS1_11target_archE1200ELNS1_3gpuE4ELNS1_3repE0EEENS1_30default_config_static_selectorELNS0_4arch9wavefront6targetE1EEEvT1_,@function
_ZN7rocprim17ROCPRIM_400000_NS6detail17trampoline_kernelINS0_14default_configENS1_27scan_by_key_config_selectorIixEEZZNS1_16scan_by_key_implILNS1_25lookback_scan_determinismE0ELb0ES3_N6thrust23THRUST_200600_302600_NS6detail15normal_iteratorINS9_10device_ptrIiEEEENSB_INSC_IxEEEESG_xNS9_4plusIvEENS9_8equal_toIvEExEE10hipError_tPvRmT2_T3_T4_T5_mT6_T7_P12ihipStream_tbENKUlT_T0_E_clISt17integral_constantIbLb0EES11_EEDaSW_SX_EUlSW_E_NS1_11comp_targetILNS1_3genE10ELNS1_11target_archE1200ELNS1_3gpuE4ELNS1_3repE0EEENS1_30default_config_static_selectorELNS0_4arch9wavefront6targetE1EEEvT1_: ; @_ZN7rocprim17ROCPRIM_400000_NS6detail17trampoline_kernelINS0_14default_configENS1_27scan_by_key_config_selectorIixEEZZNS1_16scan_by_key_implILNS1_25lookback_scan_determinismE0ELb0ES3_N6thrust23THRUST_200600_302600_NS6detail15normal_iteratorINS9_10device_ptrIiEEEENSB_INSC_IxEEEESG_xNS9_4plusIvEENS9_8equal_toIvEExEE10hipError_tPvRmT2_T3_T4_T5_mT6_T7_P12ihipStream_tbENKUlT_T0_E_clISt17integral_constantIbLb0EES11_EEDaSW_SX_EUlSW_E_NS1_11comp_targetILNS1_3genE10ELNS1_11target_archE1200ELNS1_3gpuE4ELNS1_3repE0EEENS1_30default_config_static_selectorELNS0_4arch9wavefront6targetE1EEEvT1_
; %bb.0:
	.section	.rodata,"a",@progbits
	.p2align	6, 0x0
	.amdhsa_kernel _ZN7rocprim17ROCPRIM_400000_NS6detail17trampoline_kernelINS0_14default_configENS1_27scan_by_key_config_selectorIixEEZZNS1_16scan_by_key_implILNS1_25lookback_scan_determinismE0ELb0ES3_N6thrust23THRUST_200600_302600_NS6detail15normal_iteratorINS9_10device_ptrIiEEEENSB_INSC_IxEEEESG_xNS9_4plusIvEENS9_8equal_toIvEExEE10hipError_tPvRmT2_T3_T4_T5_mT6_T7_P12ihipStream_tbENKUlT_T0_E_clISt17integral_constantIbLb0EES11_EEDaSW_SX_EUlSW_E_NS1_11comp_targetILNS1_3genE10ELNS1_11target_archE1200ELNS1_3gpuE4ELNS1_3repE0EEENS1_30default_config_static_selectorELNS0_4arch9wavefront6targetE1EEEvT1_
		.amdhsa_group_segment_fixed_size 0
		.amdhsa_private_segment_fixed_size 0
		.amdhsa_kernarg_size 136
		.amdhsa_user_sgpr_count 6
		.amdhsa_user_sgpr_private_segment_buffer 1
		.amdhsa_user_sgpr_dispatch_ptr 0
		.amdhsa_user_sgpr_queue_ptr 0
		.amdhsa_user_sgpr_kernarg_segment_ptr 1
		.amdhsa_user_sgpr_dispatch_id 0
		.amdhsa_user_sgpr_flat_scratch_init 0
		.amdhsa_user_sgpr_kernarg_preload_length 0
		.amdhsa_user_sgpr_kernarg_preload_offset 0
		.amdhsa_user_sgpr_private_segment_size 0
		.amdhsa_uses_dynamic_stack 0
		.amdhsa_system_sgpr_private_segment_wavefront_offset 0
		.amdhsa_system_sgpr_workgroup_id_x 1
		.amdhsa_system_sgpr_workgroup_id_y 0
		.amdhsa_system_sgpr_workgroup_id_z 0
		.amdhsa_system_sgpr_workgroup_info 0
		.amdhsa_system_vgpr_workitem_id 0
		.amdhsa_next_free_vgpr 1
		.amdhsa_next_free_sgpr 0
		.amdhsa_accum_offset 4
		.amdhsa_reserve_vcc 0
		.amdhsa_reserve_flat_scratch 0
		.amdhsa_float_round_mode_32 0
		.amdhsa_float_round_mode_16_64 0
		.amdhsa_float_denorm_mode_32 3
		.amdhsa_float_denorm_mode_16_64 3
		.amdhsa_dx10_clamp 1
		.amdhsa_ieee_mode 1
		.amdhsa_fp16_overflow 0
		.amdhsa_tg_split 0
		.amdhsa_exception_fp_ieee_invalid_op 0
		.amdhsa_exception_fp_denorm_src 0
		.amdhsa_exception_fp_ieee_div_zero 0
		.amdhsa_exception_fp_ieee_overflow 0
		.amdhsa_exception_fp_ieee_underflow 0
		.amdhsa_exception_fp_ieee_inexact 0
		.amdhsa_exception_int_div_zero 0
	.end_amdhsa_kernel
	.section	.text._ZN7rocprim17ROCPRIM_400000_NS6detail17trampoline_kernelINS0_14default_configENS1_27scan_by_key_config_selectorIixEEZZNS1_16scan_by_key_implILNS1_25lookback_scan_determinismE0ELb0ES3_N6thrust23THRUST_200600_302600_NS6detail15normal_iteratorINS9_10device_ptrIiEEEENSB_INSC_IxEEEESG_xNS9_4plusIvEENS9_8equal_toIvEExEE10hipError_tPvRmT2_T3_T4_T5_mT6_T7_P12ihipStream_tbENKUlT_T0_E_clISt17integral_constantIbLb0EES11_EEDaSW_SX_EUlSW_E_NS1_11comp_targetILNS1_3genE10ELNS1_11target_archE1200ELNS1_3gpuE4ELNS1_3repE0EEENS1_30default_config_static_selectorELNS0_4arch9wavefront6targetE1EEEvT1_,"axG",@progbits,_ZN7rocprim17ROCPRIM_400000_NS6detail17trampoline_kernelINS0_14default_configENS1_27scan_by_key_config_selectorIixEEZZNS1_16scan_by_key_implILNS1_25lookback_scan_determinismE0ELb0ES3_N6thrust23THRUST_200600_302600_NS6detail15normal_iteratorINS9_10device_ptrIiEEEENSB_INSC_IxEEEESG_xNS9_4plusIvEENS9_8equal_toIvEExEE10hipError_tPvRmT2_T3_T4_T5_mT6_T7_P12ihipStream_tbENKUlT_T0_E_clISt17integral_constantIbLb0EES11_EEDaSW_SX_EUlSW_E_NS1_11comp_targetILNS1_3genE10ELNS1_11target_archE1200ELNS1_3gpuE4ELNS1_3repE0EEENS1_30default_config_static_selectorELNS0_4arch9wavefront6targetE1EEEvT1_,comdat
.Lfunc_end1317:
	.size	_ZN7rocprim17ROCPRIM_400000_NS6detail17trampoline_kernelINS0_14default_configENS1_27scan_by_key_config_selectorIixEEZZNS1_16scan_by_key_implILNS1_25lookback_scan_determinismE0ELb0ES3_N6thrust23THRUST_200600_302600_NS6detail15normal_iteratorINS9_10device_ptrIiEEEENSB_INSC_IxEEEESG_xNS9_4plusIvEENS9_8equal_toIvEExEE10hipError_tPvRmT2_T3_T4_T5_mT6_T7_P12ihipStream_tbENKUlT_T0_E_clISt17integral_constantIbLb0EES11_EEDaSW_SX_EUlSW_E_NS1_11comp_targetILNS1_3genE10ELNS1_11target_archE1200ELNS1_3gpuE4ELNS1_3repE0EEENS1_30default_config_static_selectorELNS0_4arch9wavefront6targetE1EEEvT1_, .Lfunc_end1317-_ZN7rocprim17ROCPRIM_400000_NS6detail17trampoline_kernelINS0_14default_configENS1_27scan_by_key_config_selectorIixEEZZNS1_16scan_by_key_implILNS1_25lookback_scan_determinismE0ELb0ES3_N6thrust23THRUST_200600_302600_NS6detail15normal_iteratorINS9_10device_ptrIiEEEENSB_INSC_IxEEEESG_xNS9_4plusIvEENS9_8equal_toIvEExEE10hipError_tPvRmT2_T3_T4_T5_mT6_T7_P12ihipStream_tbENKUlT_T0_E_clISt17integral_constantIbLb0EES11_EEDaSW_SX_EUlSW_E_NS1_11comp_targetILNS1_3genE10ELNS1_11target_archE1200ELNS1_3gpuE4ELNS1_3repE0EEENS1_30default_config_static_selectorELNS0_4arch9wavefront6targetE1EEEvT1_
                                        ; -- End function
	.section	.AMDGPU.csdata,"",@progbits
; Kernel info:
; codeLenInByte = 0
; NumSgprs: 4
; NumVgprs: 0
; NumAgprs: 0
; TotalNumVgprs: 0
; ScratchSize: 0
; MemoryBound: 0
; FloatMode: 240
; IeeeMode: 1
; LDSByteSize: 0 bytes/workgroup (compile time only)
; SGPRBlocks: 0
; VGPRBlocks: 0
; NumSGPRsForWavesPerEU: 4
; NumVGPRsForWavesPerEU: 1
; AccumOffset: 4
; Occupancy: 8
; WaveLimiterHint : 0
; COMPUTE_PGM_RSRC2:SCRATCH_EN: 0
; COMPUTE_PGM_RSRC2:USER_SGPR: 6
; COMPUTE_PGM_RSRC2:TRAP_HANDLER: 0
; COMPUTE_PGM_RSRC2:TGID_X_EN: 1
; COMPUTE_PGM_RSRC2:TGID_Y_EN: 0
; COMPUTE_PGM_RSRC2:TGID_Z_EN: 0
; COMPUTE_PGM_RSRC2:TIDIG_COMP_CNT: 0
; COMPUTE_PGM_RSRC3_GFX90A:ACCUM_OFFSET: 0
; COMPUTE_PGM_RSRC3_GFX90A:TG_SPLIT: 0
	.section	.text._ZN7rocprim17ROCPRIM_400000_NS6detail17trampoline_kernelINS0_14default_configENS1_27scan_by_key_config_selectorIixEEZZNS1_16scan_by_key_implILNS1_25lookback_scan_determinismE0ELb0ES3_N6thrust23THRUST_200600_302600_NS6detail15normal_iteratorINS9_10device_ptrIiEEEENSB_INSC_IxEEEESG_xNS9_4plusIvEENS9_8equal_toIvEExEE10hipError_tPvRmT2_T3_T4_T5_mT6_T7_P12ihipStream_tbENKUlT_T0_E_clISt17integral_constantIbLb0EES11_EEDaSW_SX_EUlSW_E_NS1_11comp_targetILNS1_3genE9ELNS1_11target_archE1100ELNS1_3gpuE3ELNS1_3repE0EEENS1_30default_config_static_selectorELNS0_4arch9wavefront6targetE1EEEvT1_,"axG",@progbits,_ZN7rocprim17ROCPRIM_400000_NS6detail17trampoline_kernelINS0_14default_configENS1_27scan_by_key_config_selectorIixEEZZNS1_16scan_by_key_implILNS1_25lookback_scan_determinismE0ELb0ES3_N6thrust23THRUST_200600_302600_NS6detail15normal_iteratorINS9_10device_ptrIiEEEENSB_INSC_IxEEEESG_xNS9_4plusIvEENS9_8equal_toIvEExEE10hipError_tPvRmT2_T3_T4_T5_mT6_T7_P12ihipStream_tbENKUlT_T0_E_clISt17integral_constantIbLb0EES11_EEDaSW_SX_EUlSW_E_NS1_11comp_targetILNS1_3genE9ELNS1_11target_archE1100ELNS1_3gpuE3ELNS1_3repE0EEENS1_30default_config_static_selectorELNS0_4arch9wavefront6targetE1EEEvT1_,comdat
	.protected	_ZN7rocprim17ROCPRIM_400000_NS6detail17trampoline_kernelINS0_14default_configENS1_27scan_by_key_config_selectorIixEEZZNS1_16scan_by_key_implILNS1_25lookback_scan_determinismE0ELb0ES3_N6thrust23THRUST_200600_302600_NS6detail15normal_iteratorINS9_10device_ptrIiEEEENSB_INSC_IxEEEESG_xNS9_4plusIvEENS9_8equal_toIvEExEE10hipError_tPvRmT2_T3_T4_T5_mT6_T7_P12ihipStream_tbENKUlT_T0_E_clISt17integral_constantIbLb0EES11_EEDaSW_SX_EUlSW_E_NS1_11comp_targetILNS1_3genE9ELNS1_11target_archE1100ELNS1_3gpuE3ELNS1_3repE0EEENS1_30default_config_static_selectorELNS0_4arch9wavefront6targetE1EEEvT1_ ; -- Begin function _ZN7rocprim17ROCPRIM_400000_NS6detail17trampoline_kernelINS0_14default_configENS1_27scan_by_key_config_selectorIixEEZZNS1_16scan_by_key_implILNS1_25lookback_scan_determinismE0ELb0ES3_N6thrust23THRUST_200600_302600_NS6detail15normal_iteratorINS9_10device_ptrIiEEEENSB_INSC_IxEEEESG_xNS9_4plusIvEENS9_8equal_toIvEExEE10hipError_tPvRmT2_T3_T4_T5_mT6_T7_P12ihipStream_tbENKUlT_T0_E_clISt17integral_constantIbLb0EES11_EEDaSW_SX_EUlSW_E_NS1_11comp_targetILNS1_3genE9ELNS1_11target_archE1100ELNS1_3gpuE3ELNS1_3repE0EEENS1_30default_config_static_selectorELNS0_4arch9wavefront6targetE1EEEvT1_
	.globl	_ZN7rocprim17ROCPRIM_400000_NS6detail17trampoline_kernelINS0_14default_configENS1_27scan_by_key_config_selectorIixEEZZNS1_16scan_by_key_implILNS1_25lookback_scan_determinismE0ELb0ES3_N6thrust23THRUST_200600_302600_NS6detail15normal_iteratorINS9_10device_ptrIiEEEENSB_INSC_IxEEEESG_xNS9_4plusIvEENS9_8equal_toIvEExEE10hipError_tPvRmT2_T3_T4_T5_mT6_T7_P12ihipStream_tbENKUlT_T0_E_clISt17integral_constantIbLb0EES11_EEDaSW_SX_EUlSW_E_NS1_11comp_targetILNS1_3genE9ELNS1_11target_archE1100ELNS1_3gpuE3ELNS1_3repE0EEENS1_30default_config_static_selectorELNS0_4arch9wavefront6targetE1EEEvT1_
	.p2align	8
	.type	_ZN7rocprim17ROCPRIM_400000_NS6detail17trampoline_kernelINS0_14default_configENS1_27scan_by_key_config_selectorIixEEZZNS1_16scan_by_key_implILNS1_25lookback_scan_determinismE0ELb0ES3_N6thrust23THRUST_200600_302600_NS6detail15normal_iteratorINS9_10device_ptrIiEEEENSB_INSC_IxEEEESG_xNS9_4plusIvEENS9_8equal_toIvEExEE10hipError_tPvRmT2_T3_T4_T5_mT6_T7_P12ihipStream_tbENKUlT_T0_E_clISt17integral_constantIbLb0EES11_EEDaSW_SX_EUlSW_E_NS1_11comp_targetILNS1_3genE9ELNS1_11target_archE1100ELNS1_3gpuE3ELNS1_3repE0EEENS1_30default_config_static_selectorELNS0_4arch9wavefront6targetE1EEEvT1_,@function
_ZN7rocprim17ROCPRIM_400000_NS6detail17trampoline_kernelINS0_14default_configENS1_27scan_by_key_config_selectorIixEEZZNS1_16scan_by_key_implILNS1_25lookback_scan_determinismE0ELb0ES3_N6thrust23THRUST_200600_302600_NS6detail15normal_iteratorINS9_10device_ptrIiEEEENSB_INSC_IxEEEESG_xNS9_4plusIvEENS9_8equal_toIvEExEE10hipError_tPvRmT2_T3_T4_T5_mT6_T7_P12ihipStream_tbENKUlT_T0_E_clISt17integral_constantIbLb0EES11_EEDaSW_SX_EUlSW_E_NS1_11comp_targetILNS1_3genE9ELNS1_11target_archE1100ELNS1_3gpuE3ELNS1_3repE0EEENS1_30default_config_static_selectorELNS0_4arch9wavefront6targetE1EEEvT1_: ; @_ZN7rocprim17ROCPRIM_400000_NS6detail17trampoline_kernelINS0_14default_configENS1_27scan_by_key_config_selectorIixEEZZNS1_16scan_by_key_implILNS1_25lookback_scan_determinismE0ELb0ES3_N6thrust23THRUST_200600_302600_NS6detail15normal_iteratorINS9_10device_ptrIiEEEENSB_INSC_IxEEEESG_xNS9_4plusIvEENS9_8equal_toIvEExEE10hipError_tPvRmT2_T3_T4_T5_mT6_T7_P12ihipStream_tbENKUlT_T0_E_clISt17integral_constantIbLb0EES11_EEDaSW_SX_EUlSW_E_NS1_11comp_targetILNS1_3genE9ELNS1_11target_archE1100ELNS1_3gpuE3ELNS1_3repE0EEENS1_30default_config_static_selectorELNS0_4arch9wavefront6targetE1EEEvT1_
; %bb.0:
	.section	.rodata,"a",@progbits
	.p2align	6, 0x0
	.amdhsa_kernel _ZN7rocprim17ROCPRIM_400000_NS6detail17trampoline_kernelINS0_14default_configENS1_27scan_by_key_config_selectorIixEEZZNS1_16scan_by_key_implILNS1_25lookback_scan_determinismE0ELb0ES3_N6thrust23THRUST_200600_302600_NS6detail15normal_iteratorINS9_10device_ptrIiEEEENSB_INSC_IxEEEESG_xNS9_4plusIvEENS9_8equal_toIvEExEE10hipError_tPvRmT2_T3_T4_T5_mT6_T7_P12ihipStream_tbENKUlT_T0_E_clISt17integral_constantIbLb0EES11_EEDaSW_SX_EUlSW_E_NS1_11comp_targetILNS1_3genE9ELNS1_11target_archE1100ELNS1_3gpuE3ELNS1_3repE0EEENS1_30default_config_static_selectorELNS0_4arch9wavefront6targetE1EEEvT1_
		.amdhsa_group_segment_fixed_size 0
		.amdhsa_private_segment_fixed_size 0
		.amdhsa_kernarg_size 136
		.amdhsa_user_sgpr_count 6
		.amdhsa_user_sgpr_private_segment_buffer 1
		.amdhsa_user_sgpr_dispatch_ptr 0
		.amdhsa_user_sgpr_queue_ptr 0
		.amdhsa_user_sgpr_kernarg_segment_ptr 1
		.amdhsa_user_sgpr_dispatch_id 0
		.amdhsa_user_sgpr_flat_scratch_init 0
		.amdhsa_user_sgpr_kernarg_preload_length 0
		.amdhsa_user_sgpr_kernarg_preload_offset 0
		.amdhsa_user_sgpr_private_segment_size 0
		.amdhsa_uses_dynamic_stack 0
		.amdhsa_system_sgpr_private_segment_wavefront_offset 0
		.amdhsa_system_sgpr_workgroup_id_x 1
		.amdhsa_system_sgpr_workgroup_id_y 0
		.amdhsa_system_sgpr_workgroup_id_z 0
		.amdhsa_system_sgpr_workgroup_info 0
		.amdhsa_system_vgpr_workitem_id 0
		.amdhsa_next_free_vgpr 1
		.amdhsa_next_free_sgpr 0
		.amdhsa_accum_offset 4
		.amdhsa_reserve_vcc 0
		.amdhsa_reserve_flat_scratch 0
		.amdhsa_float_round_mode_32 0
		.amdhsa_float_round_mode_16_64 0
		.amdhsa_float_denorm_mode_32 3
		.amdhsa_float_denorm_mode_16_64 3
		.amdhsa_dx10_clamp 1
		.amdhsa_ieee_mode 1
		.amdhsa_fp16_overflow 0
		.amdhsa_tg_split 0
		.amdhsa_exception_fp_ieee_invalid_op 0
		.amdhsa_exception_fp_denorm_src 0
		.amdhsa_exception_fp_ieee_div_zero 0
		.amdhsa_exception_fp_ieee_overflow 0
		.amdhsa_exception_fp_ieee_underflow 0
		.amdhsa_exception_fp_ieee_inexact 0
		.amdhsa_exception_int_div_zero 0
	.end_amdhsa_kernel
	.section	.text._ZN7rocprim17ROCPRIM_400000_NS6detail17trampoline_kernelINS0_14default_configENS1_27scan_by_key_config_selectorIixEEZZNS1_16scan_by_key_implILNS1_25lookback_scan_determinismE0ELb0ES3_N6thrust23THRUST_200600_302600_NS6detail15normal_iteratorINS9_10device_ptrIiEEEENSB_INSC_IxEEEESG_xNS9_4plusIvEENS9_8equal_toIvEExEE10hipError_tPvRmT2_T3_T4_T5_mT6_T7_P12ihipStream_tbENKUlT_T0_E_clISt17integral_constantIbLb0EES11_EEDaSW_SX_EUlSW_E_NS1_11comp_targetILNS1_3genE9ELNS1_11target_archE1100ELNS1_3gpuE3ELNS1_3repE0EEENS1_30default_config_static_selectorELNS0_4arch9wavefront6targetE1EEEvT1_,"axG",@progbits,_ZN7rocprim17ROCPRIM_400000_NS6detail17trampoline_kernelINS0_14default_configENS1_27scan_by_key_config_selectorIixEEZZNS1_16scan_by_key_implILNS1_25lookback_scan_determinismE0ELb0ES3_N6thrust23THRUST_200600_302600_NS6detail15normal_iteratorINS9_10device_ptrIiEEEENSB_INSC_IxEEEESG_xNS9_4plusIvEENS9_8equal_toIvEExEE10hipError_tPvRmT2_T3_T4_T5_mT6_T7_P12ihipStream_tbENKUlT_T0_E_clISt17integral_constantIbLb0EES11_EEDaSW_SX_EUlSW_E_NS1_11comp_targetILNS1_3genE9ELNS1_11target_archE1100ELNS1_3gpuE3ELNS1_3repE0EEENS1_30default_config_static_selectorELNS0_4arch9wavefront6targetE1EEEvT1_,comdat
.Lfunc_end1318:
	.size	_ZN7rocprim17ROCPRIM_400000_NS6detail17trampoline_kernelINS0_14default_configENS1_27scan_by_key_config_selectorIixEEZZNS1_16scan_by_key_implILNS1_25lookback_scan_determinismE0ELb0ES3_N6thrust23THRUST_200600_302600_NS6detail15normal_iteratorINS9_10device_ptrIiEEEENSB_INSC_IxEEEESG_xNS9_4plusIvEENS9_8equal_toIvEExEE10hipError_tPvRmT2_T3_T4_T5_mT6_T7_P12ihipStream_tbENKUlT_T0_E_clISt17integral_constantIbLb0EES11_EEDaSW_SX_EUlSW_E_NS1_11comp_targetILNS1_3genE9ELNS1_11target_archE1100ELNS1_3gpuE3ELNS1_3repE0EEENS1_30default_config_static_selectorELNS0_4arch9wavefront6targetE1EEEvT1_, .Lfunc_end1318-_ZN7rocprim17ROCPRIM_400000_NS6detail17trampoline_kernelINS0_14default_configENS1_27scan_by_key_config_selectorIixEEZZNS1_16scan_by_key_implILNS1_25lookback_scan_determinismE0ELb0ES3_N6thrust23THRUST_200600_302600_NS6detail15normal_iteratorINS9_10device_ptrIiEEEENSB_INSC_IxEEEESG_xNS9_4plusIvEENS9_8equal_toIvEExEE10hipError_tPvRmT2_T3_T4_T5_mT6_T7_P12ihipStream_tbENKUlT_T0_E_clISt17integral_constantIbLb0EES11_EEDaSW_SX_EUlSW_E_NS1_11comp_targetILNS1_3genE9ELNS1_11target_archE1100ELNS1_3gpuE3ELNS1_3repE0EEENS1_30default_config_static_selectorELNS0_4arch9wavefront6targetE1EEEvT1_
                                        ; -- End function
	.section	.AMDGPU.csdata,"",@progbits
; Kernel info:
; codeLenInByte = 0
; NumSgprs: 4
; NumVgprs: 0
; NumAgprs: 0
; TotalNumVgprs: 0
; ScratchSize: 0
; MemoryBound: 0
; FloatMode: 240
; IeeeMode: 1
; LDSByteSize: 0 bytes/workgroup (compile time only)
; SGPRBlocks: 0
; VGPRBlocks: 0
; NumSGPRsForWavesPerEU: 4
; NumVGPRsForWavesPerEU: 1
; AccumOffset: 4
; Occupancy: 8
; WaveLimiterHint : 0
; COMPUTE_PGM_RSRC2:SCRATCH_EN: 0
; COMPUTE_PGM_RSRC2:USER_SGPR: 6
; COMPUTE_PGM_RSRC2:TRAP_HANDLER: 0
; COMPUTE_PGM_RSRC2:TGID_X_EN: 1
; COMPUTE_PGM_RSRC2:TGID_Y_EN: 0
; COMPUTE_PGM_RSRC2:TGID_Z_EN: 0
; COMPUTE_PGM_RSRC2:TIDIG_COMP_CNT: 0
; COMPUTE_PGM_RSRC3_GFX90A:ACCUM_OFFSET: 0
; COMPUTE_PGM_RSRC3_GFX90A:TG_SPLIT: 0
	.section	.text._ZN7rocprim17ROCPRIM_400000_NS6detail17trampoline_kernelINS0_14default_configENS1_27scan_by_key_config_selectorIixEEZZNS1_16scan_by_key_implILNS1_25lookback_scan_determinismE0ELb0ES3_N6thrust23THRUST_200600_302600_NS6detail15normal_iteratorINS9_10device_ptrIiEEEENSB_INSC_IxEEEESG_xNS9_4plusIvEENS9_8equal_toIvEExEE10hipError_tPvRmT2_T3_T4_T5_mT6_T7_P12ihipStream_tbENKUlT_T0_E_clISt17integral_constantIbLb0EES11_EEDaSW_SX_EUlSW_E_NS1_11comp_targetILNS1_3genE8ELNS1_11target_archE1030ELNS1_3gpuE2ELNS1_3repE0EEENS1_30default_config_static_selectorELNS0_4arch9wavefront6targetE1EEEvT1_,"axG",@progbits,_ZN7rocprim17ROCPRIM_400000_NS6detail17trampoline_kernelINS0_14default_configENS1_27scan_by_key_config_selectorIixEEZZNS1_16scan_by_key_implILNS1_25lookback_scan_determinismE0ELb0ES3_N6thrust23THRUST_200600_302600_NS6detail15normal_iteratorINS9_10device_ptrIiEEEENSB_INSC_IxEEEESG_xNS9_4plusIvEENS9_8equal_toIvEExEE10hipError_tPvRmT2_T3_T4_T5_mT6_T7_P12ihipStream_tbENKUlT_T0_E_clISt17integral_constantIbLb0EES11_EEDaSW_SX_EUlSW_E_NS1_11comp_targetILNS1_3genE8ELNS1_11target_archE1030ELNS1_3gpuE2ELNS1_3repE0EEENS1_30default_config_static_selectorELNS0_4arch9wavefront6targetE1EEEvT1_,comdat
	.protected	_ZN7rocprim17ROCPRIM_400000_NS6detail17trampoline_kernelINS0_14default_configENS1_27scan_by_key_config_selectorIixEEZZNS1_16scan_by_key_implILNS1_25lookback_scan_determinismE0ELb0ES3_N6thrust23THRUST_200600_302600_NS6detail15normal_iteratorINS9_10device_ptrIiEEEENSB_INSC_IxEEEESG_xNS9_4plusIvEENS9_8equal_toIvEExEE10hipError_tPvRmT2_T3_T4_T5_mT6_T7_P12ihipStream_tbENKUlT_T0_E_clISt17integral_constantIbLb0EES11_EEDaSW_SX_EUlSW_E_NS1_11comp_targetILNS1_3genE8ELNS1_11target_archE1030ELNS1_3gpuE2ELNS1_3repE0EEENS1_30default_config_static_selectorELNS0_4arch9wavefront6targetE1EEEvT1_ ; -- Begin function _ZN7rocprim17ROCPRIM_400000_NS6detail17trampoline_kernelINS0_14default_configENS1_27scan_by_key_config_selectorIixEEZZNS1_16scan_by_key_implILNS1_25lookback_scan_determinismE0ELb0ES3_N6thrust23THRUST_200600_302600_NS6detail15normal_iteratorINS9_10device_ptrIiEEEENSB_INSC_IxEEEESG_xNS9_4plusIvEENS9_8equal_toIvEExEE10hipError_tPvRmT2_T3_T4_T5_mT6_T7_P12ihipStream_tbENKUlT_T0_E_clISt17integral_constantIbLb0EES11_EEDaSW_SX_EUlSW_E_NS1_11comp_targetILNS1_3genE8ELNS1_11target_archE1030ELNS1_3gpuE2ELNS1_3repE0EEENS1_30default_config_static_selectorELNS0_4arch9wavefront6targetE1EEEvT1_
	.globl	_ZN7rocprim17ROCPRIM_400000_NS6detail17trampoline_kernelINS0_14default_configENS1_27scan_by_key_config_selectorIixEEZZNS1_16scan_by_key_implILNS1_25lookback_scan_determinismE0ELb0ES3_N6thrust23THRUST_200600_302600_NS6detail15normal_iteratorINS9_10device_ptrIiEEEENSB_INSC_IxEEEESG_xNS9_4plusIvEENS9_8equal_toIvEExEE10hipError_tPvRmT2_T3_T4_T5_mT6_T7_P12ihipStream_tbENKUlT_T0_E_clISt17integral_constantIbLb0EES11_EEDaSW_SX_EUlSW_E_NS1_11comp_targetILNS1_3genE8ELNS1_11target_archE1030ELNS1_3gpuE2ELNS1_3repE0EEENS1_30default_config_static_selectorELNS0_4arch9wavefront6targetE1EEEvT1_
	.p2align	8
	.type	_ZN7rocprim17ROCPRIM_400000_NS6detail17trampoline_kernelINS0_14default_configENS1_27scan_by_key_config_selectorIixEEZZNS1_16scan_by_key_implILNS1_25lookback_scan_determinismE0ELb0ES3_N6thrust23THRUST_200600_302600_NS6detail15normal_iteratorINS9_10device_ptrIiEEEENSB_INSC_IxEEEESG_xNS9_4plusIvEENS9_8equal_toIvEExEE10hipError_tPvRmT2_T3_T4_T5_mT6_T7_P12ihipStream_tbENKUlT_T0_E_clISt17integral_constantIbLb0EES11_EEDaSW_SX_EUlSW_E_NS1_11comp_targetILNS1_3genE8ELNS1_11target_archE1030ELNS1_3gpuE2ELNS1_3repE0EEENS1_30default_config_static_selectorELNS0_4arch9wavefront6targetE1EEEvT1_,@function
_ZN7rocprim17ROCPRIM_400000_NS6detail17trampoline_kernelINS0_14default_configENS1_27scan_by_key_config_selectorIixEEZZNS1_16scan_by_key_implILNS1_25lookback_scan_determinismE0ELb0ES3_N6thrust23THRUST_200600_302600_NS6detail15normal_iteratorINS9_10device_ptrIiEEEENSB_INSC_IxEEEESG_xNS9_4plusIvEENS9_8equal_toIvEExEE10hipError_tPvRmT2_T3_T4_T5_mT6_T7_P12ihipStream_tbENKUlT_T0_E_clISt17integral_constantIbLb0EES11_EEDaSW_SX_EUlSW_E_NS1_11comp_targetILNS1_3genE8ELNS1_11target_archE1030ELNS1_3gpuE2ELNS1_3repE0EEENS1_30default_config_static_selectorELNS0_4arch9wavefront6targetE1EEEvT1_: ; @_ZN7rocprim17ROCPRIM_400000_NS6detail17trampoline_kernelINS0_14default_configENS1_27scan_by_key_config_selectorIixEEZZNS1_16scan_by_key_implILNS1_25lookback_scan_determinismE0ELb0ES3_N6thrust23THRUST_200600_302600_NS6detail15normal_iteratorINS9_10device_ptrIiEEEENSB_INSC_IxEEEESG_xNS9_4plusIvEENS9_8equal_toIvEExEE10hipError_tPvRmT2_T3_T4_T5_mT6_T7_P12ihipStream_tbENKUlT_T0_E_clISt17integral_constantIbLb0EES11_EEDaSW_SX_EUlSW_E_NS1_11comp_targetILNS1_3genE8ELNS1_11target_archE1030ELNS1_3gpuE2ELNS1_3repE0EEENS1_30default_config_static_selectorELNS0_4arch9wavefront6targetE1EEEvT1_
; %bb.0:
	.section	.rodata,"a",@progbits
	.p2align	6, 0x0
	.amdhsa_kernel _ZN7rocprim17ROCPRIM_400000_NS6detail17trampoline_kernelINS0_14default_configENS1_27scan_by_key_config_selectorIixEEZZNS1_16scan_by_key_implILNS1_25lookback_scan_determinismE0ELb0ES3_N6thrust23THRUST_200600_302600_NS6detail15normal_iteratorINS9_10device_ptrIiEEEENSB_INSC_IxEEEESG_xNS9_4plusIvEENS9_8equal_toIvEExEE10hipError_tPvRmT2_T3_T4_T5_mT6_T7_P12ihipStream_tbENKUlT_T0_E_clISt17integral_constantIbLb0EES11_EEDaSW_SX_EUlSW_E_NS1_11comp_targetILNS1_3genE8ELNS1_11target_archE1030ELNS1_3gpuE2ELNS1_3repE0EEENS1_30default_config_static_selectorELNS0_4arch9wavefront6targetE1EEEvT1_
		.amdhsa_group_segment_fixed_size 0
		.amdhsa_private_segment_fixed_size 0
		.amdhsa_kernarg_size 136
		.amdhsa_user_sgpr_count 6
		.amdhsa_user_sgpr_private_segment_buffer 1
		.amdhsa_user_sgpr_dispatch_ptr 0
		.amdhsa_user_sgpr_queue_ptr 0
		.amdhsa_user_sgpr_kernarg_segment_ptr 1
		.amdhsa_user_sgpr_dispatch_id 0
		.amdhsa_user_sgpr_flat_scratch_init 0
		.amdhsa_user_sgpr_kernarg_preload_length 0
		.amdhsa_user_sgpr_kernarg_preload_offset 0
		.amdhsa_user_sgpr_private_segment_size 0
		.amdhsa_uses_dynamic_stack 0
		.amdhsa_system_sgpr_private_segment_wavefront_offset 0
		.amdhsa_system_sgpr_workgroup_id_x 1
		.amdhsa_system_sgpr_workgroup_id_y 0
		.amdhsa_system_sgpr_workgroup_id_z 0
		.amdhsa_system_sgpr_workgroup_info 0
		.amdhsa_system_vgpr_workitem_id 0
		.amdhsa_next_free_vgpr 1
		.amdhsa_next_free_sgpr 0
		.amdhsa_accum_offset 4
		.amdhsa_reserve_vcc 0
		.amdhsa_reserve_flat_scratch 0
		.amdhsa_float_round_mode_32 0
		.amdhsa_float_round_mode_16_64 0
		.amdhsa_float_denorm_mode_32 3
		.amdhsa_float_denorm_mode_16_64 3
		.amdhsa_dx10_clamp 1
		.amdhsa_ieee_mode 1
		.amdhsa_fp16_overflow 0
		.amdhsa_tg_split 0
		.amdhsa_exception_fp_ieee_invalid_op 0
		.amdhsa_exception_fp_denorm_src 0
		.amdhsa_exception_fp_ieee_div_zero 0
		.amdhsa_exception_fp_ieee_overflow 0
		.amdhsa_exception_fp_ieee_underflow 0
		.amdhsa_exception_fp_ieee_inexact 0
		.amdhsa_exception_int_div_zero 0
	.end_amdhsa_kernel
	.section	.text._ZN7rocprim17ROCPRIM_400000_NS6detail17trampoline_kernelINS0_14default_configENS1_27scan_by_key_config_selectorIixEEZZNS1_16scan_by_key_implILNS1_25lookback_scan_determinismE0ELb0ES3_N6thrust23THRUST_200600_302600_NS6detail15normal_iteratorINS9_10device_ptrIiEEEENSB_INSC_IxEEEESG_xNS9_4plusIvEENS9_8equal_toIvEExEE10hipError_tPvRmT2_T3_T4_T5_mT6_T7_P12ihipStream_tbENKUlT_T0_E_clISt17integral_constantIbLb0EES11_EEDaSW_SX_EUlSW_E_NS1_11comp_targetILNS1_3genE8ELNS1_11target_archE1030ELNS1_3gpuE2ELNS1_3repE0EEENS1_30default_config_static_selectorELNS0_4arch9wavefront6targetE1EEEvT1_,"axG",@progbits,_ZN7rocprim17ROCPRIM_400000_NS6detail17trampoline_kernelINS0_14default_configENS1_27scan_by_key_config_selectorIixEEZZNS1_16scan_by_key_implILNS1_25lookback_scan_determinismE0ELb0ES3_N6thrust23THRUST_200600_302600_NS6detail15normal_iteratorINS9_10device_ptrIiEEEENSB_INSC_IxEEEESG_xNS9_4plusIvEENS9_8equal_toIvEExEE10hipError_tPvRmT2_T3_T4_T5_mT6_T7_P12ihipStream_tbENKUlT_T0_E_clISt17integral_constantIbLb0EES11_EEDaSW_SX_EUlSW_E_NS1_11comp_targetILNS1_3genE8ELNS1_11target_archE1030ELNS1_3gpuE2ELNS1_3repE0EEENS1_30default_config_static_selectorELNS0_4arch9wavefront6targetE1EEEvT1_,comdat
.Lfunc_end1319:
	.size	_ZN7rocprim17ROCPRIM_400000_NS6detail17trampoline_kernelINS0_14default_configENS1_27scan_by_key_config_selectorIixEEZZNS1_16scan_by_key_implILNS1_25lookback_scan_determinismE0ELb0ES3_N6thrust23THRUST_200600_302600_NS6detail15normal_iteratorINS9_10device_ptrIiEEEENSB_INSC_IxEEEESG_xNS9_4plusIvEENS9_8equal_toIvEExEE10hipError_tPvRmT2_T3_T4_T5_mT6_T7_P12ihipStream_tbENKUlT_T0_E_clISt17integral_constantIbLb0EES11_EEDaSW_SX_EUlSW_E_NS1_11comp_targetILNS1_3genE8ELNS1_11target_archE1030ELNS1_3gpuE2ELNS1_3repE0EEENS1_30default_config_static_selectorELNS0_4arch9wavefront6targetE1EEEvT1_, .Lfunc_end1319-_ZN7rocprim17ROCPRIM_400000_NS6detail17trampoline_kernelINS0_14default_configENS1_27scan_by_key_config_selectorIixEEZZNS1_16scan_by_key_implILNS1_25lookback_scan_determinismE0ELb0ES3_N6thrust23THRUST_200600_302600_NS6detail15normal_iteratorINS9_10device_ptrIiEEEENSB_INSC_IxEEEESG_xNS9_4plusIvEENS9_8equal_toIvEExEE10hipError_tPvRmT2_T3_T4_T5_mT6_T7_P12ihipStream_tbENKUlT_T0_E_clISt17integral_constantIbLb0EES11_EEDaSW_SX_EUlSW_E_NS1_11comp_targetILNS1_3genE8ELNS1_11target_archE1030ELNS1_3gpuE2ELNS1_3repE0EEENS1_30default_config_static_selectorELNS0_4arch9wavefront6targetE1EEEvT1_
                                        ; -- End function
	.section	.AMDGPU.csdata,"",@progbits
; Kernel info:
; codeLenInByte = 0
; NumSgprs: 4
; NumVgprs: 0
; NumAgprs: 0
; TotalNumVgprs: 0
; ScratchSize: 0
; MemoryBound: 0
; FloatMode: 240
; IeeeMode: 1
; LDSByteSize: 0 bytes/workgroup (compile time only)
; SGPRBlocks: 0
; VGPRBlocks: 0
; NumSGPRsForWavesPerEU: 4
; NumVGPRsForWavesPerEU: 1
; AccumOffset: 4
; Occupancy: 8
; WaveLimiterHint : 0
; COMPUTE_PGM_RSRC2:SCRATCH_EN: 0
; COMPUTE_PGM_RSRC2:USER_SGPR: 6
; COMPUTE_PGM_RSRC2:TRAP_HANDLER: 0
; COMPUTE_PGM_RSRC2:TGID_X_EN: 1
; COMPUTE_PGM_RSRC2:TGID_Y_EN: 0
; COMPUTE_PGM_RSRC2:TGID_Z_EN: 0
; COMPUTE_PGM_RSRC2:TIDIG_COMP_CNT: 0
; COMPUTE_PGM_RSRC3_GFX90A:ACCUM_OFFSET: 0
; COMPUTE_PGM_RSRC3_GFX90A:TG_SPLIT: 0
	.section	.text._ZN7rocprim17ROCPRIM_400000_NS6detail30init_device_scan_by_key_kernelINS1_19lookback_scan_stateINS0_5tupleIJxbEEELb1ELb0EEEN6thrust23THRUST_200600_302600_NS6detail15normal_iteratorINS8_10device_ptrIiEEEEjNS1_16block_id_wrapperIjLb1EEEEEvT_jjPNSG_10value_typeET0_PNSt15iterator_traitsISJ_E10value_typeEmT1_T2_,"axG",@progbits,_ZN7rocprim17ROCPRIM_400000_NS6detail30init_device_scan_by_key_kernelINS1_19lookback_scan_stateINS0_5tupleIJxbEEELb1ELb0EEEN6thrust23THRUST_200600_302600_NS6detail15normal_iteratorINS8_10device_ptrIiEEEEjNS1_16block_id_wrapperIjLb1EEEEEvT_jjPNSG_10value_typeET0_PNSt15iterator_traitsISJ_E10value_typeEmT1_T2_,comdat
	.protected	_ZN7rocprim17ROCPRIM_400000_NS6detail30init_device_scan_by_key_kernelINS1_19lookback_scan_stateINS0_5tupleIJxbEEELb1ELb0EEEN6thrust23THRUST_200600_302600_NS6detail15normal_iteratorINS8_10device_ptrIiEEEEjNS1_16block_id_wrapperIjLb1EEEEEvT_jjPNSG_10value_typeET0_PNSt15iterator_traitsISJ_E10value_typeEmT1_T2_ ; -- Begin function _ZN7rocprim17ROCPRIM_400000_NS6detail30init_device_scan_by_key_kernelINS1_19lookback_scan_stateINS0_5tupleIJxbEEELb1ELb0EEEN6thrust23THRUST_200600_302600_NS6detail15normal_iteratorINS8_10device_ptrIiEEEEjNS1_16block_id_wrapperIjLb1EEEEEvT_jjPNSG_10value_typeET0_PNSt15iterator_traitsISJ_E10value_typeEmT1_T2_
	.globl	_ZN7rocprim17ROCPRIM_400000_NS6detail30init_device_scan_by_key_kernelINS1_19lookback_scan_stateINS0_5tupleIJxbEEELb1ELb0EEEN6thrust23THRUST_200600_302600_NS6detail15normal_iteratorINS8_10device_ptrIiEEEEjNS1_16block_id_wrapperIjLb1EEEEEvT_jjPNSG_10value_typeET0_PNSt15iterator_traitsISJ_E10value_typeEmT1_T2_
	.p2align	8
	.type	_ZN7rocprim17ROCPRIM_400000_NS6detail30init_device_scan_by_key_kernelINS1_19lookback_scan_stateINS0_5tupleIJxbEEELb1ELb0EEEN6thrust23THRUST_200600_302600_NS6detail15normal_iteratorINS8_10device_ptrIiEEEEjNS1_16block_id_wrapperIjLb1EEEEEvT_jjPNSG_10value_typeET0_PNSt15iterator_traitsISJ_E10value_typeEmT1_T2_,@function
_ZN7rocprim17ROCPRIM_400000_NS6detail30init_device_scan_by_key_kernelINS1_19lookback_scan_stateINS0_5tupleIJxbEEELb1ELb0EEEN6thrust23THRUST_200600_302600_NS6detail15normal_iteratorINS8_10device_ptrIiEEEEjNS1_16block_id_wrapperIjLb1EEEEEvT_jjPNSG_10value_typeET0_PNSt15iterator_traitsISJ_E10value_typeEmT1_T2_: ; @_ZN7rocprim17ROCPRIM_400000_NS6detail30init_device_scan_by_key_kernelINS1_19lookback_scan_stateINS0_5tupleIJxbEEELb1ELb0EEEN6thrust23THRUST_200600_302600_NS6detail15normal_iteratorINS8_10device_ptrIiEEEEjNS1_16block_id_wrapperIjLb1EEEEEvT_jjPNSG_10value_typeET0_PNSt15iterator_traitsISJ_E10value_typeEmT1_T2_
; %bb.0:
	s_load_dword s0, s[4:5], 0x5c
	s_load_dwordx8 s[8:15], s[4:5], 0x10
	s_load_dword s20, s[4:5], 0x50
	s_waitcnt lgkmcnt(0)
	s_and_b32 s21, s0, 0xffff
	s_mul_i32 s6, s6, s21
	s_cmp_eq_u64 s[12:13], 0
	v_add_u32_e32 v0, s6, v0
	s_cbranch_scc1 .LBB1320_11
; %bb.1:
	s_cmp_lt_u32 s11, s10
	s_cselect_b32 s0, s11, 0
	s_mov_b32 s17, 0
	v_cmp_eq_u32_e32 vcc, s0, v0
	s_and_saveexec_b64 s[6:7], vcc
	s_cbranch_execz .LBB1320_10
; %bb.2:
	s_add_i32 s16, s11, 64
	v_mov_b32_e32 v1, s16
	global_load_ubyte v1, v1, s[8:9] glc
	s_load_dwordx4 s[0:3], s[4:5], 0x0
	s_add_u32 s18, s8, s16
	s_addc_u32 s19, s9, 0
	s_waitcnt vmcnt(0)
	v_cmp_ne_u16_e32 vcc, 0, v1
	v_readfirstlane_b32 s11, v1
	s_cbranch_vccz .LBB1320_4
; %bb.3:
	s_and_b32 s11, 0xffff, s11
	s_branch .LBB1320_9
.LBB1320_4:
	s_mov_b32 s11, 1
	v_mov_b32_e32 v1, 0
.LBB1320_5:                             ; =>This Loop Header: Depth=1
                                        ;     Child Loop BB1320_6 Depth 2
	s_max_u32 s22, s11, 1
.LBB1320_6:                             ;   Parent Loop BB1320_5 Depth=1
                                        ; =>  This Inner Loop Header: Depth=2
	s_add_i32 s22, s22, -1
	s_cmp_eq_u32 s22, 0
	s_sleep 1
	s_cbranch_scc0 .LBB1320_6
; %bb.7:                                ;   in Loop: Header=BB1320_5 Depth=1
	global_load_ubyte v2, v1, s[18:19] glc
	s_cmp_lt_u32 s11, 32
	s_cselect_b64 s[22:23], -1, 0
	s_cmp_lg_u64 s[22:23], 0
	s_addc_u32 s11, s11, 0
	s_waitcnt vmcnt(0)
	v_cmp_ne_u16_e32 vcc, 0, v2
	v_readfirstlane_b32 s22, v2
	s_cbranch_vccz .LBB1320_5
; %bb.8:
	s_and_b32 s11, 0xffff, s22
.LBB1320_9:
	s_cmp_eq_u32 s11, 1
	s_waitcnt lgkmcnt(0)
	s_cselect_b32 s3, s1, s3
	s_cselect_b32 s2, s0, s2
	s_lshl_b64 s[0:1], s[16:17], 4
	s_add_u32 s0, s2, s0
	s_addc_u32 s1, s3, s1
	v_mov_b32_e32 v1, 0
	buffer_wbinvl1_vol
	global_load_dwordx2 v[2:3], v1, s[0:1]
	global_load_ubyte v4, v1, s[0:1] offset:8
	s_waitcnt vmcnt(1)
	global_store_dwordx2 v1, v[2:3], s[12:13]
	s_waitcnt vmcnt(1)
	global_store_byte v1, v4, s[12:13] offset:8
.LBB1320_10:
	s_or_b64 exec, exec, s[6:7]
.LBB1320_11:
	v_cmp_eq_u32_e32 vcc, 0, v0
	s_and_saveexec_b64 s[0:1], vcc
	s_cbranch_execz .LBB1320_13
; %bb.12:
	s_load_dwordx2 s[2:3], s[4:5], 0x48
	v_mov_b32_e32 v1, 0
	s_waitcnt lgkmcnt(0)
	global_store_dword v1, v1, s[2:3]
.LBB1320_13:
	s_or_b64 exec, exec, s[0:1]
	v_cmp_gt_u32_e32 vcc, s10, v0
	s_and_saveexec_b64 s[0:1], vcc
	s_cbranch_execz .LBB1320_15
; %bb.14:
	v_add_u32_e32 v1, 64, v0
	v_mov_b32_e32 v2, 0
	global_store_byte v1, v2, s[8:9]
.LBB1320_15:
	s_or_b64 exec, exec, s[0:1]
	v_cmp_gt_u32_e32 vcc, 64, v0
	v_mov_b32_e32 v1, 0
	s_and_saveexec_b64 s[0:1], vcc
	s_cbranch_execz .LBB1320_17
; %bb.16:
	v_mov_b32_e32 v3, s9
	v_add_co_u32_e32 v2, vcc, s8, v0
	v_addc_co_u32_e32 v3, vcc, 0, v3, vcc
	v_mov_b32_e32 v4, 0xff
	global_store_byte v[2:3], v4, off
.LBB1320_17:
	s_or_b64 exec, exec, s[0:1]
	s_load_dwordx2 s[0:1], s[4:5], 0x38
	s_waitcnt lgkmcnt(0)
	v_cmp_gt_u64_e32 vcc, s[0:1], v[0:1]
	s_and_saveexec_b64 s[2:3], vcc
	s_cbranch_execz .LBB1320_20
; %bb.18:
	s_load_dword s10, s[4:5], 0x40
	s_load_dwordx2 s[6:7], s[4:5], 0x30
	s_mov_b32 s5, 0
	s_mov_b32 s3, s5
	s_mul_i32 s2, s20, s21
	s_waitcnt lgkmcnt(0)
	s_add_i32 s4, s10, -1
	s_lshl_b64 s[4:5], s[4:5], 2
	v_mad_u64_u32 v[2:3], s[8:9], s10, v0, 0
	s_add_u32 s4, s14, s4
	v_lshlrev_b64 v[2:3], 2, v[2:3]
	s_addc_u32 s5, s15, s5
	v_mov_b32_e32 v4, s5
	v_add_co_u32_e32 v2, vcc, s4, v2
	v_addc_co_u32_e32 v3, vcc, v4, v3, vcc
	s_mul_hi_u32 s5, s10, s2
	s_mul_i32 s4, s10, s2
	v_lshlrev_b64 v[4:5], 2, v[0:1]
	s_lshl_b64 s[4:5], s[4:5], 2
	v_mov_b32_e32 v6, s7
	v_add_co_u32_e32 v4, vcc, s6, v4
	s_lshl_b64 s[6:7], s[2:3], 2
	v_addc_co_u32_e32 v5, vcc, v6, v5, vcc
	s_mov_b64 s[8:9], 0
	v_mov_b32_e32 v6, s3
	v_mov_b32_e32 v7, s5
	;; [unrolled: 1-line block ×3, first 2 shown]
.LBB1320_19:                            ; =>This Inner Loop Header: Depth=1
	global_load_dword v9, v[2:3], off
	v_add_co_u32_e32 v0, vcc, s2, v0
	v_addc_co_u32_e32 v1, vcc, v1, v6, vcc
	v_add_co_u32_e32 v2, vcc, s4, v2
	v_addc_co_u32_e32 v3, vcc, v3, v7, vcc
	v_cmp_le_u64_e32 vcc, s[0:1], v[0:1]
	s_or_b64 s[8:9], vcc, s[8:9]
	s_waitcnt vmcnt(0)
	global_store_dword v[4:5], v9, off
	v_add_co_u32_e32 v4, vcc, s6, v4
	v_addc_co_u32_e32 v5, vcc, v5, v8, vcc
	s_andn2_b64 exec, exec, s[8:9]
	s_cbranch_execnz .LBB1320_19
.LBB1320_20:
	s_endpgm
	.section	.rodata,"a",@progbits
	.p2align	6, 0x0
	.amdhsa_kernel _ZN7rocprim17ROCPRIM_400000_NS6detail30init_device_scan_by_key_kernelINS1_19lookback_scan_stateINS0_5tupleIJxbEEELb1ELb0EEEN6thrust23THRUST_200600_302600_NS6detail15normal_iteratorINS8_10device_ptrIiEEEEjNS1_16block_id_wrapperIjLb1EEEEEvT_jjPNSG_10value_typeET0_PNSt15iterator_traitsISJ_E10value_typeEmT1_T2_
		.amdhsa_group_segment_fixed_size 0
		.amdhsa_private_segment_fixed_size 0
		.amdhsa_kernarg_size 336
		.amdhsa_user_sgpr_count 6
		.amdhsa_user_sgpr_private_segment_buffer 1
		.amdhsa_user_sgpr_dispatch_ptr 0
		.amdhsa_user_sgpr_queue_ptr 0
		.amdhsa_user_sgpr_kernarg_segment_ptr 1
		.amdhsa_user_sgpr_dispatch_id 0
		.amdhsa_user_sgpr_flat_scratch_init 0
		.amdhsa_user_sgpr_kernarg_preload_length 0
		.amdhsa_user_sgpr_kernarg_preload_offset 0
		.amdhsa_user_sgpr_private_segment_size 0
		.amdhsa_uses_dynamic_stack 0
		.amdhsa_system_sgpr_private_segment_wavefront_offset 0
		.amdhsa_system_sgpr_workgroup_id_x 1
		.amdhsa_system_sgpr_workgroup_id_y 0
		.amdhsa_system_sgpr_workgroup_id_z 0
		.amdhsa_system_sgpr_workgroup_info 0
		.amdhsa_system_vgpr_workitem_id 0
		.amdhsa_next_free_vgpr 10
		.amdhsa_next_free_sgpr 24
		.amdhsa_accum_offset 12
		.amdhsa_reserve_vcc 1
		.amdhsa_reserve_flat_scratch 0
		.amdhsa_float_round_mode_32 0
		.amdhsa_float_round_mode_16_64 0
		.amdhsa_float_denorm_mode_32 3
		.amdhsa_float_denorm_mode_16_64 3
		.amdhsa_dx10_clamp 1
		.amdhsa_ieee_mode 1
		.amdhsa_fp16_overflow 0
		.amdhsa_tg_split 0
		.amdhsa_exception_fp_ieee_invalid_op 0
		.amdhsa_exception_fp_denorm_src 0
		.amdhsa_exception_fp_ieee_div_zero 0
		.amdhsa_exception_fp_ieee_overflow 0
		.amdhsa_exception_fp_ieee_underflow 0
		.amdhsa_exception_fp_ieee_inexact 0
		.amdhsa_exception_int_div_zero 0
	.end_amdhsa_kernel
	.section	.text._ZN7rocprim17ROCPRIM_400000_NS6detail30init_device_scan_by_key_kernelINS1_19lookback_scan_stateINS0_5tupleIJxbEEELb1ELb0EEEN6thrust23THRUST_200600_302600_NS6detail15normal_iteratorINS8_10device_ptrIiEEEEjNS1_16block_id_wrapperIjLb1EEEEEvT_jjPNSG_10value_typeET0_PNSt15iterator_traitsISJ_E10value_typeEmT1_T2_,"axG",@progbits,_ZN7rocprim17ROCPRIM_400000_NS6detail30init_device_scan_by_key_kernelINS1_19lookback_scan_stateINS0_5tupleIJxbEEELb1ELb0EEEN6thrust23THRUST_200600_302600_NS6detail15normal_iteratorINS8_10device_ptrIiEEEEjNS1_16block_id_wrapperIjLb1EEEEEvT_jjPNSG_10value_typeET0_PNSt15iterator_traitsISJ_E10value_typeEmT1_T2_,comdat
.Lfunc_end1320:
	.size	_ZN7rocprim17ROCPRIM_400000_NS6detail30init_device_scan_by_key_kernelINS1_19lookback_scan_stateINS0_5tupleIJxbEEELb1ELb0EEEN6thrust23THRUST_200600_302600_NS6detail15normal_iteratorINS8_10device_ptrIiEEEEjNS1_16block_id_wrapperIjLb1EEEEEvT_jjPNSG_10value_typeET0_PNSt15iterator_traitsISJ_E10value_typeEmT1_T2_, .Lfunc_end1320-_ZN7rocprim17ROCPRIM_400000_NS6detail30init_device_scan_by_key_kernelINS1_19lookback_scan_stateINS0_5tupleIJxbEEELb1ELb0EEEN6thrust23THRUST_200600_302600_NS6detail15normal_iteratorINS8_10device_ptrIiEEEEjNS1_16block_id_wrapperIjLb1EEEEEvT_jjPNSG_10value_typeET0_PNSt15iterator_traitsISJ_E10value_typeEmT1_T2_
                                        ; -- End function
	.section	.AMDGPU.csdata,"",@progbits
; Kernel info:
; codeLenInByte = 632
; NumSgprs: 28
; NumVgprs: 10
; NumAgprs: 0
; TotalNumVgprs: 10
; ScratchSize: 0
; MemoryBound: 0
; FloatMode: 240
; IeeeMode: 1
; LDSByteSize: 0 bytes/workgroup (compile time only)
; SGPRBlocks: 3
; VGPRBlocks: 1
; NumSGPRsForWavesPerEU: 28
; NumVGPRsForWavesPerEU: 10
; AccumOffset: 12
; Occupancy: 8
; WaveLimiterHint : 0
; COMPUTE_PGM_RSRC2:SCRATCH_EN: 0
; COMPUTE_PGM_RSRC2:USER_SGPR: 6
; COMPUTE_PGM_RSRC2:TRAP_HANDLER: 0
; COMPUTE_PGM_RSRC2:TGID_X_EN: 1
; COMPUTE_PGM_RSRC2:TGID_Y_EN: 0
; COMPUTE_PGM_RSRC2:TGID_Z_EN: 0
; COMPUTE_PGM_RSRC2:TIDIG_COMP_CNT: 0
; COMPUTE_PGM_RSRC3_GFX90A:ACCUM_OFFSET: 2
; COMPUTE_PGM_RSRC3_GFX90A:TG_SPLIT: 0
	.section	.text._ZN7rocprim17ROCPRIM_400000_NS6detail17trampoline_kernelINS0_14default_configENS1_27scan_by_key_config_selectorIixEEZZNS1_16scan_by_key_implILNS1_25lookback_scan_determinismE0ELb0ES3_N6thrust23THRUST_200600_302600_NS6detail15normal_iteratorINS9_10device_ptrIiEEEENSB_INSC_IxEEEESG_xNS9_4plusIvEENS9_8equal_toIvEExEE10hipError_tPvRmT2_T3_T4_T5_mT6_T7_P12ihipStream_tbENKUlT_T0_E_clISt17integral_constantIbLb1EES11_EEDaSW_SX_EUlSW_E_NS1_11comp_targetILNS1_3genE0ELNS1_11target_archE4294967295ELNS1_3gpuE0ELNS1_3repE0EEENS1_30default_config_static_selectorELNS0_4arch9wavefront6targetE1EEEvT1_,"axG",@progbits,_ZN7rocprim17ROCPRIM_400000_NS6detail17trampoline_kernelINS0_14default_configENS1_27scan_by_key_config_selectorIixEEZZNS1_16scan_by_key_implILNS1_25lookback_scan_determinismE0ELb0ES3_N6thrust23THRUST_200600_302600_NS6detail15normal_iteratorINS9_10device_ptrIiEEEENSB_INSC_IxEEEESG_xNS9_4plusIvEENS9_8equal_toIvEExEE10hipError_tPvRmT2_T3_T4_T5_mT6_T7_P12ihipStream_tbENKUlT_T0_E_clISt17integral_constantIbLb1EES11_EEDaSW_SX_EUlSW_E_NS1_11comp_targetILNS1_3genE0ELNS1_11target_archE4294967295ELNS1_3gpuE0ELNS1_3repE0EEENS1_30default_config_static_selectorELNS0_4arch9wavefront6targetE1EEEvT1_,comdat
	.protected	_ZN7rocprim17ROCPRIM_400000_NS6detail17trampoline_kernelINS0_14default_configENS1_27scan_by_key_config_selectorIixEEZZNS1_16scan_by_key_implILNS1_25lookback_scan_determinismE0ELb0ES3_N6thrust23THRUST_200600_302600_NS6detail15normal_iteratorINS9_10device_ptrIiEEEENSB_INSC_IxEEEESG_xNS9_4plusIvEENS9_8equal_toIvEExEE10hipError_tPvRmT2_T3_T4_T5_mT6_T7_P12ihipStream_tbENKUlT_T0_E_clISt17integral_constantIbLb1EES11_EEDaSW_SX_EUlSW_E_NS1_11comp_targetILNS1_3genE0ELNS1_11target_archE4294967295ELNS1_3gpuE0ELNS1_3repE0EEENS1_30default_config_static_selectorELNS0_4arch9wavefront6targetE1EEEvT1_ ; -- Begin function _ZN7rocprim17ROCPRIM_400000_NS6detail17trampoline_kernelINS0_14default_configENS1_27scan_by_key_config_selectorIixEEZZNS1_16scan_by_key_implILNS1_25lookback_scan_determinismE0ELb0ES3_N6thrust23THRUST_200600_302600_NS6detail15normal_iteratorINS9_10device_ptrIiEEEENSB_INSC_IxEEEESG_xNS9_4plusIvEENS9_8equal_toIvEExEE10hipError_tPvRmT2_T3_T4_T5_mT6_T7_P12ihipStream_tbENKUlT_T0_E_clISt17integral_constantIbLb1EES11_EEDaSW_SX_EUlSW_E_NS1_11comp_targetILNS1_3genE0ELNS1_11target_archE4294967295ELNS1_3gpuE0ELNS1_3repE0EEENS1_30default_config_static_selectorELNS0_4arch9wavefront6targetE1EEEvT1_
	.globl	_ZN7rocprim17ROCPRIM_400000_NS6detail17trampoline_kernelINS0_14default_configENS1_27scan_by_key_config_selectorIixEEZZNS1_16scan_by_key_implILNS1_25lookback_scan_determinismE0ELb0ES3_N6thrust23THRUST_200600_302600_NS6detail15normal_iteratorINS9_10device_ptrIiEEEENSB_INSC_IxEEEESG_xNS9_4plusIvEENS9_8equal_toIvEExEE10hipError_tPvRmT2_T3_T4_T5_mT6_T7_P12ihipStream_tbENKUlT_T0_E_clISt17integral_constantIbLb1EES11_EEDaSW_SX_EUlSW_E_NS1_11comp_targetILNS1_3genE0ELNS1_11target_archE4294967295ELNS1_3gpuE0ELNS1_3repE0EEENS1_30default_config_static_selectorELNS0_4arch9wavefront6targetE1EEEvT1_
	.p2align	8
	.type	_ZN7rocprim17ROCPRIM_400000_NS6detail17trampoline_kernelINS0_14default_configENS1_27scan_by_key_config_selectorIixEEZZNS1_16scan_by_key_implILNS1_25lookback_scan_determinismE0ELb0ES3_N6thrust23THRUST_200600_302600_NS6detail15normal_iteratorINS9_10device_ptrIiEEEENSB_INSC_IxEEEESG_xNS9_4plusIvEENS9_8equal_toIvEExEE10hipError_tPvRmT2_T3_T4_T5_mT6_T7_P12ihipStream_tbENKUlT_T0_E_clISt17integral_constantIbLb1EES11_EEDaSW_SX_EUlSW_E_NS1_11comp_targetILNS1_3genE0ELNS1_11target_archE4294967295ELNS1_3gpuE0ELNS1_3repE0EEENS1_30default_config_static_selectorELNS0_4arch9wavefront6targetE1EEEvT1_,@function
_ZN7rocprim17ROCPRIM_400000_NS6detail17trampoline_kernelINS0_14default_configENS1_27scan_by_key_config_selectorIixEEZZNS1_16scan_by_key_implILNS1_25lookback_scan_determinismE0ELb0ES3_N6thrust23THRUST_200600_302600_NS6detail15normal_iteratorINS9_10device_ptrIiEEEENSB_INSC_IxEEEESG_xNS9_4plusIvEENS9_8equal_toIvEExEE10hipError_tPvRmT2_T3_T4_T5_mT6_T7_P12ihipStream_tbENKUlT_T0_E_clISt17integral_constantIbLb1EES11_EEDaSW_SX_EUlSW_E_NS1_11comp_targetILNS1_3genE0ELNS1_11target_archE4294967295ELNS1_3gpuE0ELNS1_3repE0EEENS1_30default_config_static_selectorELNS0_4arch9wavefront6targetE1EEEvT1_: ; @_ZN7rocprim17ROCPRIM_400000_NS6detail17trampoline_kernelINS0_14default_configENS1_27scan_by_key_config_selectorIixEEZZNS1_16scan_by_key_implILNS1_25lookback_scan_determinismE0ELb0ES3_N6thrust23THRUST_200600_302600_NS6detail15normal_iteratorINS9_10device_ptrIiEEEENSB_INSC_IxEEEESG_xNS9_4plusIvEENS9_8equal_toIvEExEE10hipError_tPvRmT2_T3_T4_T5_mT6_T7_P12ihipStream_tbENKUlT_T0_E_clISt17integral_constantIbLb1EES11_EEDaSW_SX_EUlSW_E_NS1_11comp_targetILNS1_3genE0ELNS1_11target_archE4294967295ELNS1_3gpuE0ELNS1_3repE0EEENS1_30default_config_static_selectorELNS0_4arch9wavefront6targetE1EEEvT1_
; %bb.0:
	.section	.rodata,"a",@progbits
	.p2align	6, 0x0
	.amdhsa_kernel _ZN7rocprim17ROCPRIM_400000_NS6detail17trampoline_kernelINS0_14default_configENS1_27scan_by_key_config_selectorIixEEZZNS1_16scan_by_key_implILNS1_25lookback_scan_determinismE0ELb0ES3_N6thrust23THRUST_200600_302600_NS6detail15normal_iteratorINS9_10device_ptrIiEEEENSB_INSC_IxEEEESG_xNS9_4plusIvEENS9_8equal_toIvEExEE10hipError_tPvRmT2_T3_T4_T5_mT6_T7_P12ihipStream_tbENKUlT_T0_E_clISt17integral_constantIbLb1EES11_EEDaSW_SX_EUlSW_E_NS1_11comp_targetILNS1_3genE0ELNS1_11target_archE4294967295ELNS1_3gpuE0ELNS1_3repE0EEENS1_30default_config_static_selectorELNS0_4arch9wavefront6targetE1EEEvT1_
		.amdhsa_group_segment_fixed_size 0
		.amdhsa_private_segment_fixed_size 0
		.amdhsa_kernarg_size 136
		.amdhsa_user_sgpr_count 6
		.amdhsa_user_sgpr_private_segment_buffer 1
		.amdhsa_user_sgpr_dispatch_ptr 0
		.amdhsa_user_sgpr_queue_ptr 0
		.amdhsa_user_sgpr_kernarg_segment_ptr 1
		.amdhsa_user_sgpr_dispatch_id 0
		.amdhsa_user_sgpr_flat_scratch_init 0
		.amdhsa_user_sgpr_kernarg_preload_length 0
		.amdhsa_user_sgpr_kernarg_preload_offset 0
		.amdhsa_user_sgpr_private_segment_size 0
		.amdhsa_uses_dynamic_stack 0
		.amdhsa_system_sgpr_private_segment_wavefront_offset 0
		.amdhsa_system_sgpr_workgroup_id_x 1
		.amdhsa_system_sgpr_workgroup_id_y 0
		.amdhsa_system_sgpr_workgroup_id_z 0
		.amdhsa_system_sgpr_workgroup_info 0
		.amdhsa_system_vgpr_workitem_id 0
		.amdhsa_next_free_vgpr 1
		.amdhsa_next_free_sgpr 0
		.amdhsa_accum_offset 4
		.amdhsa_reserve_vcc 0
		.amdhsa_reserve_flat_scratch 0
		.amdhsa_float_round_mode_32 0
		.amdhsa_float_round_mode_16_64 0
		.amdhsa_float_denorm_mode_32 3
		.amdhsa_float_denorm_mode_16_64 3
		.amdhsa_dx10_clamp 1
		.amdhsa_ieee_mode 1
		.amdhsa_fp16_overflow 0
		.amdhsa_tg_split 0
		.amdhsa_exception_fp_ieee_invalid_op 0
		.amdhsa_exception_fp_denorm_src 0
		.amdhsa_exception_fp_ieee_div_zero 0
		.amdhsa_exception_fp_ieee_overflow 0
		.amdhsa_exception_fp_ieee_underflow 0
		.amdhsa_exception_fp_ieee_inexact 0
		.amdhsa_exception_int_div_zero 0
	.end_amdhsa_kernel
	.section	.text._ZN7rocprim17ROCPRIM_400000_NS6detail17trampoline_kernelINS0_14default_configENS1_27scan_by_key_config_selectorIixEEZZNS1_16scan_by_key_implILNS1_25lookback_scan_determinismE0ELb0ES3_N6thrust23THRUST_200600_302600_NS6detail15normal_iteratorINS9_10device_ptrIiEEEENSB_INSC_IxEEEESG_xNS9_4plusIvEENS9_8equal_toIvEExEE10hipError_tPvRmT2_T3_T4_T5_mT6_T7_P12ihipStream_tbENKUlT_T0_E_clISt17integral_constantIbLb1EES11_EEDaSW_SX_EUlSW_E_NS1_11comp_targetILNS1_3genE0ELNS1_11target_archE4294967295ELNS1_3gpuE0ELNS1_3repE0EEENS1_30default_config_static_selectorELNS0_4arch9wavefront6targetE1EEEvT1_,"axG",@progbits,_ZN7rocprim17ROCPRIM_400000_NS6detail17trampoline_kernelINS0_14default_configENS1_27scan_by_key_config_selectorIixEEZZNS1_16scan_by_key_implILNS1_25lookback_scan_determinismE0ELb0ES3_N6thrust23THRUST_200600_302600_NS6detail15normal_iteratorINS9_10device_ptrIiEEEENSB_INSC_IxEEEESG_xNS9_4plusIvEENS9_8equal_toIvEExEE10hipError_tPvRmT2_T3_T4_T5_mT6_T7_P12ihipStream_tbENKUlT_T0_E_clISt17integral_constantIbLb1EES11_EEDaSW_SX_EUlSW_E_NS1_11comp_targetILNS1_3genE0ELNS1_11target_archE4294967295ELNS1_3gpuE0ELNS1_3repE0EEENS1_30default_config_static_selectorELNS0_4arch9wavefront6targetE1EEEvT1_,comdat
.Lfunc_end1321:
	.size	_ZN7rocprim17ROCPRIM_400000_NS6detail17trampoline_kernelINS0_14default_configENS1_27scan_by_key_config_selectorIixEEZZNS1_16scan_by_key_implILNS1_25lookback_scan_determinismE0ELb0ES3_N6thrust23THRUST_200600_302600_NS6detail15normal_iteratorINS9_10device_ptrIiEEEENSB_INSC_IxEEEESG_xNS9_4plusIvEENS9_8equal_toIvEExEE10hipError_tPvRmT2_T3_T4_T5_mT6_T7_P12ihipStream_tbENKUlT_T0_E_clISt17integral_constantIbLb1EES11_EEDaSW_SX_EUlSW_E_NS1_11comp_targetILNS1_3genE0ELNS1_11target_archE4294967295ELNS1_3gpuE0ELNS1_3repE0EEENS1_30default_config_static_selectorELNS0_4arch9wavefront6targetE1EEEvT1_, .Lfunc_end1321-_ZN7rocprim17ROCPRIM_400000_NS6detail17trampoline_kernelINS0_14default_configENS1_27scan_by_key_config_selectorIixEEZZNS1_16scan_by_key_implILNS1_25lookback_scan_determinismE0ELb0ES3_N6thrust23THRUST_200600_302600_NS6detail15normal_iteratorINS9_10device_ptrIiEEEENSB_INSC_IxEEEESG_xNS9_4plusIvEENS9_8equal_toIvEExEE10hipError_tPvRmT2_T3_T4_T5_mT6_T7_P12ihipStream_tbENKUlT_T0_E_clISt17integral_constantIbLb1EES11_EEDaSW_SX_EUlSW_E_NS1_11comp_targetILNS1_3genE0ELNS1_11target_archE4294967295ELNS1_3gpuE0ELNS1_3repE0EEENS1_30default_config_static_selectorELNS0_4arch9wavefront6targetE1EEEvT1_
                                        ; -- End function
	.section	.AMDGPU.csdata,"",@progbits
; Kernel info:
; codeLenInByte = 0
; NumSgprs: 4
; NumVgprs: 0
; NumAgprs: 0
; TotalNumVgprs: 0
; ScratchSize: 0
; MemoryBound: 0
; FloatMode: 240
; IeeeMode: 1
; LDSByteSize: 0 bytes/workgroup (compile time only)
; SGPRBlocks: 0
; VGPRBlocks: 0
; NumSGPRsForWavesPerEU: 4
; NumVGPRsForWavesPerEU: 1
; AccumOffset: 4
; Occupancy: 8
; WaveLimiterHint : 0
; COMPUTE_PGM_RSRC2:SCRATCH_EN: 0
; COMPUTE_PGM_RSRC2:USER_SGPR: 6
; COMPUTE_PGM_RSRC2:TRAP_HANDLER: 0
; COMPUTE_PGM_RSRC2:TGID_X_EN: 1
; COMPUTE_PGM_RSRC2:TGID_Y_EN: 0
; COMPUTE_PGM_RSRC2:TGID_Z_EN: 0
; COMPUTE_PGM_RSRC2:TIDIG_COMP_CNT: 0
; COMPUTE_PGM_RSRC3_GFX90A:ACCUM_OFFSET: 0
; COMPUTE_PGM_RSRC3_GFX90A:TG_SPLIT: 0
	.section	.text._ZN7rocprim17ROCPRIM_400000_NS6detail17trampoline_kernelINS0_14default_configENS1_27scan_by_key_config_selectorIixEEZZNS1_16scan_by_key_implILNS1_25lookback_scan_determinismE0ELb0ES3_N6thrust23THRUST_200600_302600_NS6detail15normal_iteratorINS9_10device_ptrIiEEEENSB_INSC_IxEEEESG_xNS9_4plusIvEENS9_8equal_toIvEExEE10hipError_tPvRmT2_T3_T4_T5_mT6_T7_P12ihipStream_tbENKUlT_T0_E_clISt17integral_constantIbLb1EES11_EEDaSW_SX_EUlSW_E_NS1_11comp_targetILNS1_3genE10ELNS1_11target_archE1201ELNS1_3gpuE5ELNS1_3repE0EEENS1_30default_config_static_selectorELNS0_4arch9wavefront6targetE1EEEvT1_,"axG",@progbits,_ZN7rocprim17ROCPRIM_400000_NS6detail17trampoline_kernelINS0_14default_configENS1_27scan_by_key_config_selectorIixEEZZNS1_16scan_by_key_implILNS1_25lookback_scan_determinismE0ELb0ES3_N6thrust23THRUST_200600_302600_NS6detail15normal_iteratorINS9_10device_ptrIiEEEENSB_INSC_IxEEEESG_xNS9_4plusIvEENS9_8equal_toIvEExEE10hipError_tPvRmT2_T3_T4_T5_mT6_T7_P12ihipStream_tbENKUlT_T0_E_clISt17integral_constantIbLb1EES11_EEDaSW_SX_EUlSW_E_NS1_11comp_targetILNS1_3genE10ELNS1_11target_archE1201ELNS1_3gpuE5ELNS1_3repE0EEENS1_30default_config_static_selectorELNS0_4arch9wavefront6targetE1EEEvT1_,comdat
	.protected	_ZN7rocprim17ROCPRIM_400000_NS6detail17trampoline_kernelINS0_14default_configENS1_27scan_by_key_config_selectorIixEEZZNS1_16scan_by_key_implILNS1_25lookback_scan_determinismE0ELb0ES3_N6thrust23THRUST_200600_302600_NS6detail15normal_iteratorINS9_10device_ptrIiEEEENSB_INSC_IxEEEESG_xNS9_4plusIvEENS9_8equal_toIvEExEE10hipError_tPvRmT2_T3_T4_T5_mT6_T7_P12ihipStream_tbENKUlT_T0_E_clISt17integral_constantIbLb1EES11_EEDaSW_SX_EUlSW_E_NS1_11comp_targetILNS1_3genE10ELNS1_11target_archE1201ELNS1_3gpuE5ELNS1_3repE0EEENS1_30default_config_static_selectorELNS0_4arch9wavefront6targetE1EEEvT1_ ; -- Begin function _ZN7rocprim17ROCPRIM_400000_NS6detail17trampoline_kernelINS0_14default_configENS1_27scan_by_key_config_selectorIixEEZZNS1_16scan_by_key_implILNS1_25lookback_scan_determinismE0ELb0ES3_N6thrust23THRUST_200600_302600_NS6detail15normal_iteratorINS9_10device_ptrIiEEEENSB_INSC_IxEEEESG_xNS9_4plusIvEENS9_8equal_toIvEExEE10hipError_tPvRmT2_T3_T4_T5_mT6_T7_P12ihipStream_tbENKUlT_T0_E_clISt17integral_constantIbLb1EES11_EEDaSW_SX_EUlSW_E_NS1_11comp_targetILNS1_3genE10ELNS1_11target_archE1201ELNS1_3gpuE5ELNS1_3repE0EEENS1_30default_config_static_selectorELNS0_4arch9wavefront6targetE1EEEvT1_
	.globl	_ZN7rocprim17ROCPRIM_400000_NS6detail17trampoline_kernelINS0_14default_configENS1_27scan_by_key_config_selectorIixEEZZNS1_16scan_by_key_implILNS1_25lookback_scan_determinismE0ELb0ES3_N6thrust23THRUST_200600_302600_NS6detail15normal_iteratorINS9_10device_ptrIiEEEENSB_INSC_IxEEEESG_xNS9_4plusIvEENS9_8equal_toIvEExEE10hipError_tPvRmT2_T3_T4_T5_mT6_T7_P12ihipStream_tbENKUlT_T0_E_clISt17integral_constantIbLb1EES11_EEDaSW_SX_EUlSW_E_NS1_11comp_targetILNS1_3genE10ELNS1_11target_archE1201ELNS1_3gpuE5ELNS1_3repE0EEENS1_30default_config_static_selectorELNS0_4arch9wavefront6targetE1EEEvT1_
	.p2align	8
	.type	_ZN7rocprim17ROCPRIM_400000_NS6detail17trampoline_kernelINS0_14default_configENS1_27scan_by_key_config_selectorIixEEZZNS1_16scan_by_key_implILNS1_25lookback_scan_determinismE0ELb0ES3_N6thrust23THRUST_200600_302600_NS6detail15normal_iteratorINS9_10device_ptrIiEEEENSB_INSC_IxEEEESG_xNS9_4plusIvEENS9_8equal_toIvEExEE10hipError_tPvRmT2_T3_T4_T5_mT6_T7_P12ihipStream_tbENKUlT_T0_E_clISt17integral_constantIbLb1EES11_EEDaSW_SX_EUlSW_E_NS1_11comp_targetILNS1_3genE10ELNS1_11target_archE1201ELNS1_3gpuE5ELNS1_3repE0EEENS1_30default_config_static_selectorELNS0_4arch9wavefront6targetE1EEEvT1_,@function
_ZN7rocprim17ROCPRIM_400000_NS6detail17trampoline_kernelINS0_14default_configENS1_27scan_by_key_config_selectorIixEEZZNS1_16scan_by_key_implILNS1_25lookback_scan_determinismE0ELb0ES3_N6thrust23THRUST_200600_302600_NS6detail15normal_iteratorINS9_10device_ptrIiEEEENSB_INSC_IxEEEESG_xNS9_4plusIvEENS9_8equal_toIvEExEE10hipError_tPvRmT2_T3_T4_T5_mT6_T7_P12ihipStream_tbENKUlT_T0_E_clISt17integral_constantIbLb1EES11_EEDaSW_SX_EUlSW_E_NS1_11comp_targetILNS1_3genE10ELNS1_11target_archE1201ELNS1_3gpuE5ELNS1_3repE0EEENS1_30default_config_static_selectorELNS0_4arch9wavefront6targetE1EEEvT1_: ; @_ZN7rocprim17ROCPRIM_400000_NS6detail17trampoline_kernelINS0_14default_configENS1_27scan_by_key_config_selectorIixEEZZNS1_16scan_by_key_implILNS1_25lookback_scan_determinismE0ELb0ES3_N6thrust23THRUST_200600_302600_NS6detail15normal_iteratorINS9_10device_ptrIiEEEENSB_INSC_IxEEEESG_xNS9_4plusIvEENS9_8equal_toIvEExEE10hipError_tPvRmT2_T3_T4_T5_mT6_T7_P12ihipStream_tbENKUlT_T0_E_clISt17integral_constantIbLb1EES11_EEDaSW_SX_EUlSW_E_NS1_11comp_targetILNS1_3genE10ELNS1_11target_archE1201ELNS1_3gpuE5ELNS1_3repE0EEENS1_30default_config_static_selectorELNS0_4arch9wavefront6targetE1EEEvT1_
; %bb.0:
	.section	.rodata,"a",@progbits
	.p2align	6, 0x0
	.amdhsa_kernel _ZN7rocprim17ROCPRIM_400000_NS6detail17trampoline_kernelINS0_14default_configENS1_27scan_by_key_config_selectorIixEEZZNS1_16scan_by_key_implILNS1_25lookback_scan_determinismE0ELb0ES3_N6thrust23THRUST_200600_302600_NS6detail15normal_iteratorINS9_10device_ptrIiEEEENSB_INSC_IxEEEESG_xNS9_4plusIvEENS9_8equal_toIvEExEE10hipError_tPvRmT2_T3_T4_T5_mT6_T7_P12ihipStream_tbENKUlT_T0_E_clISt17integral_constantIbLb1EES11_EEDaSW_SX_EUlSW_E_NS1_11comp_targetILNS1_3genE10ELNS1_11target_archE1201ELNS1_3gpuE5ELNS1_3repE0EEENS1_30default_config_static_selectorELNS0_4arch9wavefront6targetE1EEEvT1_
		.amdhsa_group_segment_fixed_size 0
		.amdhsa_private_segment_fixed_size 0
		.amdhsa_kernarg_size 136
		.amdhsa_user_sgpr_count 6
		.amdhsa_user_sgpr_private_segment_buffer 1
		.amdhsa_user_sgpr_dispatch_ptr 0
		.amdhsa_user_sgpr_queue_ptr 0
		.amdhsa_user_sgpr_kernarg_segment_ptr 1
		.amdhsa_user_sgpr_dispatch_id 0
		.amdhsa_user_sgpr_flat_scratch_init 0
		.amdhsa_user_sgpr_kernarg_preload_length 0
		.amdhsa_user_sgpr_kernarg_preload_offset 0
		.amdhsa_user_sgpr_private_segment_size 0
		.amdhsa_uses_dynamic_stack 0
		.amdhsa_system_sgpr_private_segment_wavefront_offset 0
		.amdhsa_system_sgpr_workgroup_id_x 1
		.amdhsa_system_sgpr_workgroup_id_y 0
		.amdhsa_system_sgpr_workgroup_id_z 0
		.amdhsa_system_sgpr_workgroup_info 0
		.amdhsa_system_vgpr_workitem_id 0
		.amdhsa_next_free_vgpr 1
		.amdhsa_next_free_sgpr 0
		.amdhsa_accum_offset 4
		.amdhsa_reserve_vcc 0
		.amdhsa_reserve_flat_scratch 0
		.amdhsa_float_round_mode_32 0
		.amdhsa_float_round_mode_16_64 0
		.amdhsa_float_denorm_mode_32 3
		.amdhsa_float_denorm_mode_16_64 3
		.amdhsa_dx10_clamp 1
		.amdhsa_ieee_mode 1
		.amdhsa_fp16_overflow 0
		.amdhsa_tg_split 0
		.amdhsa_exception_fp_ieee_invalid_op 0
		.amdhsa_exception_fp_denorm_src 0
		.amdhsa_exception_fp_ieee_div_zero 0
		.amdhsa_exception_fp_ieee_overflow 0
		.amdhsa_exception_fp_ieee_underflow 0
		.amdhsa_exception_fp_ieee_inexact 0
		.amdhsa_exception_int_div_zero 0
	.end_amdhsa_kernel
	.section	.text._ZN7rocprim17ROCPRIM_400000_NS6detail17trampoline_kernelINS0_14default_configENS1_27scan_by_key_config_selectorIixEEZZNS1_16scan_by_key_implILNS1_25lookback_scan_determinismE0ELb0ES3_N6thrust23THRUST_200600_302600_NS6detail15normal_iteratorINS9_10device_ptrIiEEEENSB_INSC_IxEEEESG_xNS9_4plusIvEENS9_8equal_toIvEExEE10hipError_tPvRmT2_T3_T4_T5_mT6_T7_P12ihipStream_tbENKUlT_T0_E_clISt17integral_constantIbLb1EES11_EEDaSW_SX_EUlSW_E_NS1_11comp_targetILNS1_3genE10ELNS1_11target_archE1201ELNS1_3gpuE5ELNS1_3repE0EEENS1_30default_config_static_selectorELNS0_4arch9wavefront6targetE1EEEvT1_,"axG",@progbits,_ZN7rocprim17ROCPRIM_400000_NS6detail17trampoline_kernelINS0_14default_configENS1_27scan_by_key_config_selectorIixEEZZNS1_16scan_by_key_implILNS1_25lookback_scan_determinismE0ELb0ES3_N6thrust23THRUST_200600_302600_NS6detail15normal_iteratorINS9_10device_ptrIiEEEENSB_INSC_IxEEEESG_xNS9_4plusIvEENS9_8equal_toIvEExEE10hipError_tPvRmT2_T3_T4_T5_mT6_T7_P12ihipStream_tbENKUlT_T0_E_clISt17integral_constantIbLb1EES11_EEDaSW_SX_EUlSW_E_NS1_11comp_targetILNS1_3genE10ELNS1_11target_archE1201ELNS1_3gpuE5ELNS1_3repE0EEENS1_30default_config_static_selectorELNS0_4arch9wavefront6targetE1EEEvT1_,comdat
.Lfunc_end1322:
	.size	_ZN7rocprim17ROCPRIM_400000_NS6detail17trampoline_kernelINS0_14default_configENS1_27scan_by_key_config_selectorIixEEZZNS1_16scan_by_key_implILNS1_25lookback_scan_determinismE0ELb0ES3_N6thrust23THRUST_200600_302600_NS6detail15normal_iteratorINS9_10device_ptrIiEEEENSB_INSC_IxEEEESG_xNS9_4plusIvEENS9_8equal_toIvEExEE10hipError_tPvRmT2_T3_T4_T5_mT6_T7_P12ihipStream_tbENKUlT_T0_E_clISt17integral_constantIbLb1EES11_EEDaSW_SX_EUlSW_E_NS1_11comp_targetILNS1_3genE10ELNS1_11target_archE1201ELNS1_3gpuE5ELNS1_3repE0EEENS1_30default_config_static_selectorELNS0_4arch9wavefront6targetE1EEEvT1_, .Lfunc_end1322-_ZN7rocprim17ROCPRIM_400000_NS6detail17trampoline_kernelINS0_14default_configENS1_27scan_by_key_config_selectorIixEEZZNS1_16scan_by_key_implILNS1_25lookback_scan_determinismE0ELb0ES3_N6thrust23THRUST_200600_302600_NS6detail15normal_iteratorINS9_10device_ptrIiEEEENSB_INSC_IxEEEESG_xNS9_4plusIvEENS9_8equal_toIvEExEE10hipError_tPvRmT2_T3_T4_T5_mT6_T7_P12ihipStream_tbENKUlT_T0_E_clISt17integral_constantIbLb1EES11_EEDaSW_SX_EUlSW_E_NS1_11comp_targetILNS1_3genE10ELNS1_11target_archE1201ELNS1_3gpuE5ELNS1_3repE0EEENS1_30default_config_static_selectorELNS0_4arch9wavefront6targetE1EEEvT1_
                                        ; -- End function
	.section	.AMDGPU.csdata,"",@progbits
; Kernel info:
; codeLenInByte = 0
; NumSgprs: 4
; NumVgprs: 0
; NumAgprs: 0
; TotalNumVgprs: 0
; ScratchSize: 0
; MemoryBound: 0
; FloatMode: 240
; IeeeMode: 1
; LDSByteSize: 0 bytes/workgroup (compile time only)
; SGPRBlocks: 0
; VGPRBlocks: 0
; NumSGPRsForWavesPerEU: 4
; NumVGPRsForWavesPerEU: 1
; AccumOffset: 4
; Occupancy: 8
; WaveLimiterHint : 0
; COMPUTE_PGM_RSRC2:SCRATCH_EN: 0
; COMPUTE_PGM_RSRC2:USER_SGPR: 6
; COMPUTE_PGM_RSRC2:TRAP_HANDLER: 0
; COMPUTE_PGM_RSRC2:TGID_X_EN: 1
; COMPUTE_PGM_RSRC2:TGID_Y_EN: 0
; COMPUTE_PGM_RSRC2:TGID_Z_EN: 0
; COMPUTE_PGM_RSRC2:TIDIG_COMP_CNT: 0
; COMPUTE_PGM_RSRC3_GFX90A:ACCUM_OFFSET: 0
; COMPUTE_PGM_RSRC3_GFX90A:TG_SPLIT: 0
	.section	.text._ZN7rocprim17ROCPRIM_400000_NS6detail17trampoline_kernelINS0_14default_configENS1_27scan_by_key_config_selectorIixEEZZNS1_16scan_by_key_implILNS1_25lookback_scan_determinismE0ELb0ES3_N6thrust23THRUST_200600_302600_NS6detail15normal_iteratorINS9_10device_ptrIiEEEENSB_INSC_IxEEEESG_xNS9_4plusIvEENS9_8equal_toIvEExEE10hipError_tPvRmT2_T3_T4_T5_mT6_T7_P12ihipStream_tbENKUlT_T0_E_clISt17integral_constantIbLb1EES11_EEDaSW_SX_EUlSW_E_NS1_11comp_targetILNS1_3genE5ELNS1_11target_archE942ELNS1_3gpuE9ELNS1_3repE0EEENS1_30default_config_static_selectorELNS0_4arch9wavefront6targetE1EEEvT1_,"axG",@progbits,_ZN7rocprim17ROCPRIM_400000_NS6detail17trampoline_kernelINS0_14default_configENS1_27scan_by_key_config_selectorIixEEZZNS1_16scan_by_key_implILNS1_25lookback_scan_determinismE0ELb0ES3_N6thrust23THRUST_200600_302600_NS6detail15normal_iteratorINS9_10device_ptrIiEEEENSB_INSC_IxEEEESG_xNS9_4plusIvEENS9_8equal_toIvEExEE10hipError_tPvRmT2_T3_T4_T5_mT6_T7_P12ihipStream_tbENKUlT_T0_E_clISt17integral_constantIbLb1EES11_EEDaSW_SX_EUlSW_E_NS1_11comp_targetILNS1_3genE5ELNS1_11target_archE942ELNS1_3gpuE9ELNS1_3repE0EEENS1_30default_config_static_selectorELNS0_4arch9wavefront6targetE1EEEvT1_,comdat
	.protected	_ZN7rocprim17ROCPRIM_400000_NS6detail17trampoline_kernelINS0_14default_configENS1_27scan_by_key_config_selectorIixEEZZNS1_16scan_by_key_implILNS1_25lookback_scan_determinismE0ELb0ES3_N6thrust23THRUST_200600_302600_NS6detail15normal_iteratorINS9_10device_ptrIiEEEENSB_INSC_IxEEEESG_xNS9_4plusIvEENS9_8equal_toIvEExEE10hipError_tPvRmT2_T3_T4_T5_mT6_T7_P12ihipStream_tbENKUlT_T0_E_clISt17integral_constantIbLb1EES11_EEDaSW_SX_EUlSW_E_NS1_11comp_targetILNS1_3genE5ELNS1_11target_archE942ELNS1_3gpuE9ELNS1_3repE0EEENS1_30default_config_static_selectorELNS0_4arch9wavefront6targetE1EEEvT1_ ; -- Begin function _ZN7rocprim17ROCPRIM_400000_NS6detail17trampoline_kernelINS0_14default_configENS1_27scan_by_key_config_selectorIixEEZZNS1_16scan_by_key_implILNS1_25lookback_scan_determinismE0ELb0ES3_N6thrust23THRUST_200600_302600_NS6detail15normal_iteratorINS9_10device_ptrIiEEEENSB_INSC_IxEEEESG_xNS9_4plusIvEENS9_8equal_toIvEExEE10hipError_tPvRmT2_T3_T4_T5_mT6_T7_P12ihipStream_tbENKUlT_T0_E_clISt17integral_constantIbLb1EES11_EEDaSW_SX_EUlSW_E_NS1_11comp_targetILNS1_3genE5ELNS1_11target_archE942ELNS1_3gpuE9ELNS1_3repE0EEENS1_30default_config_static_selectorELNS0_4arch9wavefront6targetE1EEEvT1_
	.globl	_ZN7rocprim17ROCPRIM_400000_NS6detail17trampoline_kernelINS0_14default_configENS1_27scan_by_key_config_selectorIixEEZZNS1_16scan_by_key_implILNS1_25lookback_scan_determinismE0ELb0ES3_N6thrust23THRUST_200600_302600_NS6detail15normal_iteratorINS9_10device_ptrIiEEEENSB_INSC_IxEEEESG_xNS9_4plusIvEENS9_8equal_toIvEExEE10hipError_tPvRmT2_T3_T4_T5_mT6_T7_P12ihipStream_tbENKUlT_T0_E_clISt17integral_constantIbLb1EES11_EEDaSW_SX_EUlSW_E_NS1_11comp_targetILNS1_3genE5ELNS1_11target_archE942ELNS1_3gpuE9ELNS1_3repE0EEENS1_30default_config_static_selectorELNS0_4arch9wavefront6targetE1EEEvT1_
	.p2align	8
	.type	_ZN7rocprim17ROCPRIM_400000_NS6detail17trampoline_kernelINS0_14default_configENS1_27scan_by_key_config_selectorIixEEZZNS1_16scan_by_key_implILNS1_25lookback_scan_determinismE0ELb0ES3_N6thrust23THRUST_200600_302600_NS6detail15normal_iteratorINS9_10device_ptrIiEEEENSB_INSC_IxEEEESG_xNS9_4plusIvEENS9_8equal_toIvEExEE10hipError_tPvRmT2_T3_T4_T5_mT6_T7_P12ihipStream_tbENKUlT_T0_E_clISt17integral_constantIbLb1EES11_EEDaSW_SX_EUlSW_E_NS1_11comp_targetILNS1_3genE5ELNS1_11target_archE942ELNS1_3gpuE9ELNS1_3repE0EEENS1_30default_config_static_selectorELNS0_4arch9wavefront6targetE1EEEvT1_,@function
_ZN7rocprim17ROCPRIM_400000_NS6detail17trampoline_kernelINS0_14default_configENS1_27scan_by_key_config_selectorIixEEZZNS1_16scan_by_key_implILNS1_25lookback_scan_determinismE0ELb0ES3_N6thrust23THRUST_200600_302600_NS6detail15normal_iteratorINS9_10device_ptrIiEEEENSB_INSC_IxEEEESG_xNS9_4plusIvEENS9_8equal_toIvEExEE10hipError_tPvRmT2_T3_T4_T5_mT6_T7_P12ihipStream_tbENKUlT_T0_E_clISt17integral_constantIbLb1EES11_EEDaSW_SX_EUlSW_E_NS1_11comp_targetILNS1_3genE5ELNS1_11target_archE942ELNS1_3gpuE9ELNS1_3repE0EEENS1_30default_config_static_selectorELNS0_4arch9wavefront6targetE1EEEvT1_: ; @_ZN7rocprim17ROCPRIM_400000_NS6detail17trampoline_kernelINS0_14default_configENS1_27scan_by_key_config_selectorIixEEZZNS1_16scan_by_key_implILNS1_25lookback_scan_determinismE0ELb0ES3_N6thrust23THRUST_200600_302600_NS6detail15normal_iteratorINS9_10device_ptrIiEEEENSB_INSC_IxEEEESG_xNS9_4plusIvEENS9_8equal_toIvEExEE10hipError_tPvRmT2_T3_T4_T5_mT6_T7_P12ihipStream_tbENKUlT_T0_E_clISt17integral_constantIbLb1EES11_EEDaSW_SX_EUlSW_E_NS1_11comp_targetILNS1_3genE5ELNS1_11target_archE942ELNS1_3gpuE9ELNS1_3repE0EEENS1_30default_config_static_selectorELNS0_4arch9wavefront6targetE1EEEvT1_
; %bb.0:
	.section	.rodata,"a",@progbits
	.p2align	6, 0x0
	.amdhsa_kernel _ZN7rocprim17ROCPRIM_400000_NS6detail17trampoline_kernelINS0_14default_configENS1_27scan_by_key_config_selectorIixEEZZNS1_16scan_by_key_implILNS1_25lookback_scan_determinismE0ELb0ES3_N6thrust23THRUST_200600_302600_NS6detail15normal_iteratorINS9_10device_ptrIiEEEENSB_INSC_IxEEEESG_xNS9_4plusIvEENS9_8equal_toIvEExEE10hipError_tPvRmT2_T3_T4_T5_mT6_T7_P12ihipStream_tbENKUlT_T0_E_clISt17integral_constantIbLb1EES11_EEDaSW_SX_EUlSW_E_NS1_11comp_targetILNS1_3genE5ELNS1_11target_archE942ELNS1_3gpuE9ELNS1_3repE0EEENS1_30default_config_static_selectorELNS0_4arch9wavefront6targetE1EEEvT1_
		.amdhsa_group_segment_fixed_size 0
		.amdhsa_private_segment_fixed_size 0
		.amdhsa_kernarg_size 136
		.amdhsa_user_sgpr_count 6
		.amdhsa_user_sgpr_private_segment_buffer 1
		.amdhsa_user_sgpr_dispatch_ptr 0
		.amdhsa_user_sgpr_queue_ptr 0
		.amdhsa_user_sgpr_kernarg_segment_ptr 1
		.amdhsa_user_sgpr_dispatch_id 0
		.amdhsa_user_sgpr_flat_scratch_init 0
		.amdhsa_user_sgpr_kernarg_preload_length 0
		.amdhsa_user_sgpr_kernarg_preload_offset 0
		.amdhsa_user_sgpr_private_segment_size 0
		.amdhsa_uses_dynamic_stack 0
		.amdhsa_system_sgpr_private_segment_wavefront_offset 0
		.amdhsa_system_sgpr_workgroup_id_x 1
		.amdhsa_system_sgpr_workgroup_id_y 0
		.amdhsa_system_sgpr_workgroup_id_z 0
		.amdhsa_system_sgpr_workgroup_info 0
		.amdhsa_system_vgpr_workitem_id 0
		.amdhsa_next_free_vgpr 1
		.amdhsa_next_free_sgpr 0
		.amdhsa_accum_offset 4
		.amdhsa_reserve_vcc 0
		.amdhsa_reserve_flat_scratch 0
		.amdhsa_float_round_mode_32 0
		.amdhsa_float_round_mode_16_64 0
		.amdhsa_float_denorm_mode_32 3
		.amdhsa_float_denorm_mode_16_64 3
		.amdhsa_dx10_clamp 1
		.amdhsa_ieee_mode 1
		.amdhsa_fp16_overflow 0
		.amdhsa_tg_split 0
		.amdhsa_exception_fp_ieee_invalid_op 0
		.amdhsa_exception_fp_denorm_src 0
		.amdhsa_exception_fp_ieee_div_zero 0
		.amdhsa_exception_fp_ieee_overflow 0
		.amdhsa_exception_fp_ieee_underflow 0
		.amdhsa_exception_fp_ieee_inexact 0
		.amdhsa_exception_int_div_zero 0
	.end_amdhsa_kernel
	.section	.text._ZN7rocprim17ROCPRIM_400000_NS6detail17trampoline_kernelINS0_14default_configENS1_27scan_by_key_config_selectorIixEEZZNS1_16scan_by_key_implILNS1_25lookback_scan_determinismE0ELb0ES3_N6thrust23THRUST_200600_302600_NS6detail15normal_iteratorINS9_10device_ptrIiEEEENSB_INSC_IxEEEESG_xNS9_4plusIvEENS9_8equal_toIvEExEE10hipError_tPvRmT2_T3_T4_T5_mT6_T7_P12ihipStream_tbENKUlT_T0_E_clISt17integral_constantIbLb1EES11_EEDaSW_SX_EUlSW_E_NS1_11comp_targetILNS1_3genE5ELNS1_11target_archE942ELNS1_3gpuE9ELNS1_3repE0EEENS1_30default_config_static_selectorELNS0_4arch9wavefront6targetE1EEEvT1_,"axG",@progbits,_ZN7rocprim17ROCPRIM_400000_NS6detail17trampoline_kernelINS0_14default_configENS1_27scan_by_key_config_selectorIixEEZZNS1_16scan_by_key_implILNS1_25lookback_scan_determinismE0ELb0ES3_N6thrust23THRUST_200600_302600_NS6detail15normal_iteratorINS9_10device_ptrIiEEEENSB_INSC_IxEEEESG_xNS9_4plusIvEENS9_8equal_toIvEExEE10hipError_tPvRmT2_T3_T4_T5_mT6_T7_P12ihipStream_tbENKUlT_T0_E_clISt17integral_constantIbLb1EES11_EEDaSW_SX_EUlSW_E_NS1_11comp_targetILNS1_3genE5ELNS1_11target_archE942ELNS1_3gpuE9ELNS1_3repE0EEENS1_30default_config_static_selectorELNS0_4arch9wavefront6targetE1EEEvT1_,comdat
.Lfunc_end1323:
	.size	_ZN7rocprim17ROCPRIM_400000_NS6detail17trampoline_kernelINS0_14default_configENS1_27scan_by_key_config_selectorIixEEZZNS1_16scan_by_key_implILNS1_25lookback_scan_determinismE0ELb0ES3_N6thrust23THRUST_200600_302600_NS6detail15normal_iteratorINS9_10device_ptrIiEEEENSB_INSC_IxEEEESG_xNS9_4plusIvEENS9_8equal_toIvEExEE10hipError_tPvRmT2_T3_T4_T5_mT6_T7_P12ihipStream_tbENKUlT_T0_E_clISt17integral_constantIbLb1EES11_EEDaSW_SX_EUlSW_E_NS1_11comp_targetILNS1_3genE5ELNS1_11target_archE942ELNS1_3gpuE9ELNS1_3repE0EEENS1_30default_config_static_selectorELNS0_4arch9wavefront6targetE1EEEvT1_, .Lfunc_end1323-_ZN7rocprim17ROCPRIM_400000_NS6detail17trampoline_kernelINS0_14default_configENS1_27scan_by_key_config_selectorIixEEZZNS1_16scan_by_key_implILNS1_25lookback_scan_determinismE0ELb0ES3_N6thrust23THRUST_200600_302600_NS6detail15normal_iteratorINS9_10device_ptrIiEEEENSB_INSC_IxEEEESG_xNS9_4plusIvEENS9_8equal_toIvEExEE10hipError_tPvRmT2_T3_T4_T5_mT6_T7_P12ihipStream_tbENKUlT_T0_E_clISt17integral_constantIbLb1EES11_EEDaSW_SX_EUlSW_E_NS1_11comp_targetILNS1_3genE5ELNS1_11target_archE942ELNS1_3gpuE9ELNS1_3repE0EEENS1_30default_config_static_selectorELNS0_4arch9wavefront6targetE1EEEvT1_
                                        ; -- End function
	.section	.AMDGPU.csdata,"",@progbits
; Kernel info:
; codeLenInByte = 0
; NumSgprs: 4
; NumVgprs: 0
; NumAgprs: 0
; TotalNumVgprs: 0
; ScratchSize: 0
; MemoryBound: 0
; FloatMode: 240
; IeeeMode: 1
; LDSByteSize: 0 bytes/workgroup (compile time only)
; SGPRBlocks: 0
; VGPRBlocks: 0
; NumSGPRsForWavesPerEU: 4
; NumVGPRsForWavesPerEU: 1
; AccumOffset: 4
; Occupancy: 8
; WaveLimiterHint : 0
; COMPUTE_PGM_RSRC2:SCRATCH_EN: 0
; COMPUTE_PGM_RSRC2:USER_SGPR: 6
; COMPUTE_PGM_RSRC2:TRAP_HANDLER: 0
; COMPUTE_PGM_RSRC2:TGID_X_EN: 1
; COMPUTE_PGM_RSRC2:TGID_Y_EN: 0
; COMPUTE_PGM_RSRC2:TGID_Z_EN: 0
; COMPUTE_PGM_RSRC2:TIDIG_COMP_CNT: 0
; COMPUTE_PGM_RSRC3_GFX90A:ACCUM_OFFSET: 0
; COMPUTE_PGM_RSRC3_GFX90A:TG_SPLIT: 0
	.section	.text._ZN7rocprim17ROCPRIM_400000_NS6detail17trampoline_kernelINS0_14default_configENS1_27scan_by_key_config_selectorIixEEZZNS1_16scan_by_key_implILNS1_25lookback_scan_determinismE0ELb0ES3_N6thrust23THRUST_200600_302600_NS6detail15normal_iteratorINS9_10device_ptrIiEEEENSB_INSC_IxEEEESG_xNS9_4plusIvEENS9_8equal_toIvEExEE10hipError_tPvRmT2_T3_T4_T5_mT6_T7_P12ihipStream_tbENKUlT_T0_E_clISt17integral_constantIbLb1EES11_EEDaSW_SX_EUlSW_E_NS1_11comp_targetILNS1_3genE4ELNS1_11target_archE910ELNS1_3gpuE8ELNS1_3repE0EEENS1_30default_config_static_selectorELNS0_4arch9wavefront6targetE1EEEvT1_,"axG",@progbits,_ZN7rocprim17ROCPRIM_400000_NS6detail17trampoline_kernelINS0_14default_configENS1_27scan_by_key_config_selectorIixEEZZNS1_16scan_by_key_implILNS1_25lookback_scan_determinismE0ELb0ES3_N6thrust23THRUST_200600_302600_NS6detail15normal_iteratorINS9_10device_ptrIiEEEENSB_INSC_IxEEEESG_xNS9_4plusIvEENS9_8equal_toIvEExEE10hipError_tPvRmT2_T3_T4_T5_mT6_T7_P12ihipStream_tbENKUlT_T0_E_clISt17integral_constantIbLb1EES11_EEDaSW_SX_EUlSW_E_NS1_11comp_targetILNS1_3genE4ELNS1_11target_archE910ELNS1_3gpuE8ELNS1_3repE0EEENS1_30default_config_static_selectorELNS0_4arch9wavefront6targetE1EEEvT1_,comdat
	.protected	_ZN7rocprim17ROCPRIM_400000_NS6detail17trampoline_kernelINS0_14default_configENS1_27scan_by_key_config_selectorIixEEZZNS1_16scan_by_key_implILNS1_25lookback_scan_determinismE0ELb0ES3_N6thrust23THRUST_200600_302600_NS6detail15normal_iteratorINS9_10device_ptrIiEEEENSB_INSC_IxEEEESG_xNS9_4plusIvEENS9_8equal_toIvEExEE10hipError_tPvRmT2_T3_T4_T5_mT6_T7_P12ihipStream_tbENKUlT_T0_E_clISt17integral_constantIbLb1EES11_EEDaSW_SX_EUlSW_E_NS1_11comp_targetILNS1_3genE4ELNS1_11target_archE910ELNS1_3gpuE8ELNS1_3repE0EEENS1_30default_config_static_selectorELNS0_4arch9wavefront6targetE1EEEvT1_ ; -- Begin function _ZN7rocprim17ROCPRIM_400000_NS6detail17trampoline_kernelINS0_14default_configENS1_27scan_by_key_config_selectorIixEEZZNS1_16scan_by_key_implILNS1_25lookback_scan_determinismE0ELb0ES3_N6thrust23THRUST_200600_302600_NS6detail15normal_iteratorINS9_10device_ptrIiEEEENSB_INSC_IxEEEESG_xNS9_4plusIvEENS9_8equal_toIvEExEE10hipError_tPvRmT2_T3_T4_T5_mT6_T7_P12ihipStream_tbENKUlT_T0_E_clISt17integral_constantIbLb1EES11_EEDaSW_SX_EUlSW_E_NS1_11comp_targetILNS1_3genE4ELNS1_11target_archE910ELNS1_3gpuE8ELNS1_3repE0EEENS1_30default_config_static_selectorELNS0_4arch9wavefront6targetE1EEEvT1_
	.globl	_ZN7rocprim17ROCPRIM_400000_NS6detail17trampoline_kernelINS0_14default_configENS1_27scan_by_key_config_selectorIixEEZZNS1_16scan_by_key_implILNS1_25lookback_scan_determinismE0ELb0ES3_N6thrust23THRUST_200600_302600_NS6detail15normal_iteratorINS9_10device_ptrIiEEEENSB_INSC_IxEEEESG_xNS9_4plusIvEENS9_8equal_toIvEExEE10hipError_tPvRmT2_T3_T4_T5_mT6_T7_P12ihipStream_tbENKUlT_T0_E_clISt17integral_constantIbLb1EES11_EEDaSW_SX_EUlSW_E_NS1_11comp_targetILNS1_3genE4ELNS1_11target_archE910ELNS1_3gpuE8ELNS1_3repE0EEENS1_30default_config_static_selectorELNS0_4arch9wavefront6targetE1EEEvT1_
	.p2align	8
	.type	_ZN7rocprim17ROCPRIM_400000_NS6detail17trampoline_kernelINS0_14default_configENS1_27scan_by_key_config_selectorIixEEZZNS1_16scan_by_key_implILNS1_25lookback_scan_determinismE0ELb0ES3_N6thrust23THRUST_200600_302600_NS6detail15normal_iteratorINS9_10device_ptrIiEEEENSB_INSC_IxEEEESG_xNS9_4plusIvEENS9_8equal_toIvEExEE10hipError_tPvRmT2_T3_T4_T5_mT6_T7_P12ihipStream_tbENKUlT_T0_E_clISt17integral_constantIbLb1EES11_EEDaSW_SX_EUlSW_E_NS1_11comp_targetILNS1_3genE4ELNS1_11target_archE910ELNS1_3gpuE8ELNS1_3repE0EEENS1_30default_config_static_selectorELNS0_4arch9wavefront6targetE1EEEvT1_,@function
_ZN7rocprim17ROCPRIM_400000_NS6detail17trampoline_kernelINS0_14default_configENS1_27scan_by_key_config_selectorIixEEZZNS1_16scan_by_key_implILNS1_25lookback_scan_determinismE0ELb0ES3_N6thrust23THRUST_200600_302600_NS6detail15normal_iteratorINS9_10device_ptrIiEEEENSB_INSC_IxEEEESG_xNS9_4plusIvEENS9_8equal_toIvEExEE10hipError_tPvRmT2_T3_T4_T5_mT6_T7_P12ihipStream_tbENKUlT_T0_E_clISt17integral_constantIbLb1EES11_EEDaSW_SX_EUlSW_E_NS1_11comp_targetILNS1_3genE4ELNS1_11target_archE910ELNS1_3gpuE8ELNS1_3repE0EEENS1_30default_config_static_selectorELNS0_4arch9wavefront6targetE1EEEvT1_: ; @_ZN7rocprim17ROCPRIM_400000_NS6detail17trampoline_kernelINS0_14default_configENS1_27scan_by_key_config_selectorIixEEZZNS1_16scan_by_key_implILNS1_25lookback_scan_determinismE0ELb0ES3_N6thrust23THRUST_200600_302600_NS6detail15normal_iteratorINS9_10device_ptrIiEEEENSB_INSC_IxEEEESG_xNS9_4plusIvEENS9_8equal_toIvEExEE10hipError_tPvRmT2_T3_T4_T5_mT6_T7_P12ihipStream_tbENKUlT_T0_E_clISt17integral_constantIbLb1EES11_EEDaSW_SX_EUlSW_E_NS1_11comp_targetILNS1_3genE4ELNS1_11target_archE910ELNS1_3gpuE8ELNS1_3repE0EEENS1_30default_config_static_selectorELNS0_4arch9wavefront6targetE1EEEvT1_
; %bb.0:
	s_load_dwordx8 s[68:75], s[4:5], 0x30
	s_load_dwordx2 s[0:1], s[4:5], 0x50
                                        ; implicit-def: $vgpr131 : SGPR spill to VGPR lane
	v_cmp_eq_u32_e64 s[88:89], 0, v0
	s_waitcnt lgkmcnt(0)
	v_writelane_b32 v131, s0, 0
	v_writelane_b32 v131, s1, 1
	v_cmp_ne_u32_e64 s[0:1], 0, v0
	v_writelane_b32 v131, s0, 2
	v_writelane_b32 v131, s1, 3
	s_and_saveexec_b64 s[2:3], s[88:89]
	s_cbranch_execz .LBB1324_4
; %bb.1:
	s_mov_b64 s[8:9], exec
	v_mbcnt_lo_u32_b32 v1, s8, 0
	v_mbcnt_hi_u32_b32 v1, s9, v1
	v_cmp_eq_u32_e32 vcc, 0, v1
                                        ; implicit-def: $vgpr2
	s_and_saveexec_b64 s[6:7], vcc
	s_cbranch_execz .LBB1324_3
; %bb.2:
	s_load_dwordx2 s[10:11], s[4:5], 0x80
	s_bcnt1_i32_b64 s8, s[8:9]
	v_mov_b32_e32 v2, 0
	v_mov_b32_e32 v3, s8
	s_waitcnt lgkmcnt(0)
	global_atomic_add v2, v2, v3, s[10:11] glc
.LBB1324_3:
	s_or_b64 exec, exec, s[6:7]
	s_waitcnt vmcnt(0)
	v_readfirstlane_b32 s6, v2
	v_add_u32_e32 v1, s6, v1
	v_mov_b32_e32 v2, 0
	ds_write_b32 v2, v1
.LBB1324_4:
	s_or_b64 exec, exec, s[2:3]
	s_load_dwordx8 s[52:59], s[4:5], 0x0
	s_load_dword s2, s[4:5], 0x58
	s_load_dwordx8 s[16:23], s[4:5], 0x60
	v_mov_b32_e32 v1, 0
	s_waitcnt lgkmcnt(0)
	; wave barrier
	s_waitcnt lgkmcnt(0)
	ds_read_b32 v1, v1
	s_lshl_b64 s[4:5], s[54:55], 2
	s_add_u32 s8, s52, s4
	v_readlane_b32 s6, v131, 0
	s_addc_u32 s9, s53, s5
	s_lshl_b64 s[60:61], s[54:55], 3
	v_readlane_b32 s7, v131, 1
	s_add_u32 s10, s56, s60
	s_mul_i32 s3, s7, s2
	s_mul_hi_u32 s4, s6, s2
	s_addc_u32 s11, s57, s61
	s_add_i32 s12, s4, s3
	s_waitcnt lgkmcnt(0)
	v_readfirstlane_b32 s33, v1
	s_mul_i32 s13, s6, s2
	s_cmp_lg_u64 s[20:21], 0
	s_mov_b32 s3, 0
	s_mul_i32 s2, s33, 0x540
	s_cselect_b64 s[52:53], -1, 0
	s_lshl_b64 s[4:5], s[2:3], 2
	s_add_u32 s50, s8, s4
	s_addc_u32 s51, s9, s5
	s_lshl_b64 s[2:3], s[2:3], 3
	s_add_u32 s62, s10, s2
	s_addc_u32 s63, s11, s3
	s_add_u32 s54, s13, s33
	s_addc_u32 s55, s12, 0
	s_add_u32 s4, s16, -1
	v_writelane_b32 v131, s16, 4
	v_writelane_b32 v131, s17, 5
	v_writelane_b32 v131, s18, 6
	v_writelane_b32 v131, s19, 7
	v_writelane_b32 v131, s20, 8
	v_writelane_b32 v131, s21, 9
	s_addc_u32 s5, s17, -1
	v_writelane_b32 v131, s22, 10
	v_pk_mov_b32 v[2:3], s[4:5], s[4:5] op_sel:[0,1]
	v_writelane_b32 v131, s23, 11
	v_cmp_ge_u64_e64 s[8:9], s[54:55], v[2:3]
	v_writelane_b32 v131, s8, 12
	s_mov_b64 s[6:7], 0
	s_mov_b64 s[10:11], -1
	v_writelane_b32 v131, s9, 13
	s_and_b64 vcc, exec, s[8:9]
	s_mulk_i32 s4, 0xfac0
	s_waitcnt lgkmcnt(0)
	; wave barrier
	s_waitcnt lgkmcnt(0)
	s_waitcnt lgkmcnt(0)
	; wave barrier
	v_writelane_b32 v131, s4, 14
	s_cbranch_vccz .LBB1324_116
; %bb.5:
	v_pk_mov_b32 v[2:3], s[50:51], s[50:51] op_sel:[0,1]
	flat_load_dword v2, v[2:3]
	s_add_i32 s65, s4, s74
	v_cmp_gt_u32_e64 s[6:7], s65, v0
	s_waitcnt vmcnt(0) lgkmcnt(0)
	v_mov_b32_e32 v3, v2
	s_and_saveexec_b64 s[4:5], s[6:7]
	s_cbranch_execz .LBB1324_7
; %bb.6:
	v_lshlrev_b32_e32 v1, 2, v0
	v_mov_b32_e32 v3, s51
	v_add_co_u32_e32 v4, vcc, s50, v1
	v_addc_co_u32_e32 v5, vcc, 0, v3, vcc
	flat_load_dword v3, v[4:5]
.LBB1324_7:
	s_or_b64 exec, exec, s[4:5]
	v_or_b32_e32 v1, 64, v0
	v_cmp_gt_u32_e64 s[8:9], s65, v1
	v_mov_b32_e32 v4, v2
	s_and_saveexec_b64 s[4:5], s[8:9]
	s_cbranch_execz .LBB1324_9
; %bb.8:
	v_lshlrev_b32_e32 v1, 2, v0
	v_mov_b32_e32 v5, s51
	v_add_co_u32_e32 v4, vcc, s50, v1
	v_addc_co_u32_e32 v5, vcc, 0, v5, vcc
	flat_load_dword v4, v[4:5] offset:256
.LBB1324_9:
	s_or_b64 exec, exec, s[4:5]
	v_or_b32_e32 v1, 0x80, v0
	v_cmp_gt_u32_e64 s[10:11], s65, v1
	v_mov_b32_e32 v5, v2
	s_and_saveexec_b64 s[4:5], s[10:11]
	s_cbranch_execz .LBB1324_11
; %bb.10:
	v_lshlrev_b32_e32 v1, 2, v0
	v_mov_b32_e32 v5, s51
	v_add_co_u32_e32 v6, vcc, s50, v1
	v_addc_co_u32_e32 v7, vcc, 0, v5, vcc
	flat_load_dword v5, v[6:7] offset:512
.LBB1324_11:
	;; [unrolled: 13-line block ×15, first 2 shown]
	s_or_b64 exec, exec, s[4:5]
	v_or_b32_e32 v56, 0x400, v0
	v_cmp_gt_u32_e64 s[40:41], s65, v56
	v_mov_b32_e32 v19, v2
	s_and_saveexec_b64 s[4:5], s[40:41]
	s_cbranch_execz .LBB1324_39
; %bb.38:
	v_lshlrev_b32_e32 v19, 2, v56
	v_mov_b32_e32 v21, s51
	v_add_co_u32_e32 v20, vcc, s50, v19
	v_addc_co_u32_e32 v21, vcc, 0, v21, vcc
	flat_load_dword v19, v[20:21]
.LBB1324_39:
	s_or_b64 exec, exec, s[4:5]
	v_or_b32_e32 v58, 0x440, v0
	v_cmp_gt_u32_e64 s[42:43], s65, v58
	v_mov_b32_e32 v20, v2
	s_and_saveexec_b64 s[4:5], s[42:43]
	s_cbranch_execz .LBB1324_41
; %bb.40:
	v_lshlrev_b32_e32 v20, 2, v58
	v_mov_b32_e32 v21, s51
	v_add_co_u32_e32 v20, vcc, s50, v20
	v_addc_co_u32_e32 v21, vcc, 0, v21, vcc
	flat_load_dword v20, v[20:21]
.LBB1324_41:
	;; [unrolled: 13-line block ×4, first 2 shown]
	s_or_b64 exec, exec, s[4:5]
	v_or_b32_e32 v65, 0x500, v0
	v_cmp_gt_u32_e64 s[48:49], s65, v65
	s_and_saveexec_b64 s[4:5], s[48:49]
	s_cbranch_execz .LBB1324_47
; %bb.46:
	v_lshlrev_b32_e32 v2, 2, v65
	v_mov_b32_e32 v23, s51
	v_add_co_u32_e32 v24, vcc, s50, v2
	v_addc_co_u32_e32 v25, vcc, 0, v23, vcc
	flat_load_dword v2, v[24:25]
.LBB1324_47:
	s_or_b64 exec, exec, s[4:5]
	v_lshlrev_b32_e32 v23, 2, v0
	s_movk_i32 s4, 0x50
	s_waitcnt vmcnt(0) lgkmcnt(0)
	ds_write2st64_b32 v23, v3, v4 offset1:1
	ds_write2st64_b32 v23, v5, v6 offset0:2 offset1:3
	ds_write2st64_b32 v23, v7, v8 offset0:4 offset1:5
	;; [unrolled: 1-line block ×9, first 2 shown]
	ds_write_b32 v23, v2 offset:5120
	v_mad_u32_u24 v2, v0, s4, v23
	s_waitcnt lgkmcnt(0)
	; wave barrier
	s_waitcnt lgkmcnt(0)
	ds_read2_b32 v[40:41], v2 offset0:7 offset1:8
	ds_read2_b32 v[44:45], v2 offset0:5 offset1:6
	;; [unrolled: 1-line block ×3, first 2 shown]
	ds_read2_b32 v[36:37], v2 offset1:1
	ds_read2_b32 v[32:33], v2 offset0:4 offset1:9
	ds_read2_b32 v[8:9], v2 offset0:15 offset1:16
	ds_read_b32 v64, v2 offset:56
	ds_read2_b32 v[16:17], v2 offset0:12 offset1:13
	ds_read2_b32 v[24:25], v2 offset0:10 offset1:11
	;; [unrolled: 1-line block ×4, first 2 shown]
	s_cmp_eq_u64 s[54:55], 0
	s_mov_b64 s[4:5], s[50:51]
	s_cbranch_scc1 .LBB1324_51
; %bb.48:
	s_andn2_b64 vcc, exec, s[52:53]
	s_cbranch_vccnz .LBB1324_279
; %bb.49:
	v_readlane_b32 s76, v131, 4
	s_lshl_b64 s[4:5], s[54:55], 2
	v_readlane_b32 s82, v131, 10
	v_readlane_b32 s83, v131, 11
	s_add_u32 s4, s82, s4
	s_addc_u32 s5, s83, s5
	s_add_u32 s4, s4, -4
	s_addc_u32 s5, s5, -1
	v_readlane_b32 s77, v131, 5
	v_readlane_b32 s78, v131, 6
	;; [unrolled: 1-line block ×5, first 2 shown]
	s_cbranch_execnz .LBB1324_51
.LBB1324_50:
	s_add_u32 s4, s50, -4
	s_addc_u32 s5, s51, -1
.LBB1324_51:
	v_pk_mov_b32 v[6:7], s[4:5], s[4:5] op_sel:[0,1]
	flat_load_dword v68, v[6:7]
	s_movk_i32 s4, 0xffb0
	v_mad_i32_i24 v66, v0, s4, v2
	s_waitcnt lgkmcnt(0)
	ds_write_b32 v66, v5 offset:5376
	s_waitcnt lgkmcnt(0)
	; wave barrier
	s_waitcnt lgkmcnt(0)
	s_mov_b64 s[4:5], exec
	v_readlane_b32 s56, v131, 2
	v_readlane_b32 s57, v131, 3
	s_and_b64 s[56:57], s[4:5], s[56:57]
	s_mov_b64 exec, s[56:57]
	s_cbranch_execz .LBB1324_53
; %bb.52:
	s_waitcnt vmcnt(0)
	ds_read_b32 v68, v66 offset:5372
.LBB1324_53:
	s_or_b64 exec, exec, s[4:5]
	s_waitcnt lgkmcnt(0)
	; wave barrier
	s_waitcnt lgkmcnt(0)
                                        ; implicit-def: $vgpr2_vgpr3
	s_and_saveexec_b64 s[4:5], s[6:7]
	s_cbranch_execnz .LBB1324_259
; %bb.54:
	s_or_b64 exec, exec, s[4:5]
                                        ; implicit-def: $vgpr6_vgpr7
	s_and_saveexec_b64 s[4:5], s[8:9]
	s_cbranch_execnz .LBB1324_260
.LBB1324_55:
	s_or_b64 exec, exec, s[4:5]
                                        ; implicit-def: $vgpr10_vgpr11
	s_and_saveexec_b64 s[4:5], s[10:11]
	s_cbranch_execnz .LBB1324_261
.LBB1324_56:
	s_or_b64 exec, exec, s[4:5]
                                        ; implicit-def: $vgpr14_vgpr15
	s_and_saveexec_b64 s[4:5], s[12:13]
	s_cbranch_execnz .LBB1324_262
.LBB1324_57:
	s_or_b64 exec, exec, s[4:5]
                                        ; implicit-def: $vgpr18_vgpr19
	s_and_saveexec_b64 s[4:5], s[14:15]
	s_cbranch_execnz .LBB1324_263
.LBB1324_58:
	s_or_b64 exec, exec, s[4:5]
                                        ; implicit-def: $vgpr20_vgpr21
	s_and_saveexec_b64 s[4:5], s[16:17]
	s_cbranch_execnz .LBB1324_264
.LBB1324_59:
	s_or_b64 exec, exec, s[4:5]
                                        ; implicit-def: $vgpr22_vgpr23
	s_and_saveexec_b64 s[4:5], s[18:19]
	s_cbranch_execnz .LBB1324_265
.LBB1324_60:
	s_or_b64 exec, exec, s[4:5]
                                        ; implicit-def: $vgpr26_vgpr27
	s_and_saveexec_b64 s[4:5], s[20:21]
	s_cbranch_execnz .LBB1324_266
.LBB1324_61:
	s_or_b64 exec, exec, s[4:5]
                                        ; implicit-def: $vgpr30_vgpr31
	s_and_saveexec_b64 s[4:5], s[22:23]
	s_cbranch_execnz .LBB1324_267
.LBB1324_62:
	s_or_b64 exec, exec, s[4:5]
                                        ; implicit-def: $vgpr34_vgpr35
	s_and_saveexec_b64 s[4:5], s[24:25]
	s_cbranch_execnz .LBB1324_268
.LBB1324_63:
	s_or_b64 exec, exec, s[4:5]
                                        ; implicit-def: $vgpr38_vgpr39
	s_and_saveexec_b64 s[4:5], s[26:27]
	s_cbranch_execnz .LBB1324_269
.LBB1324_64:
	s_or_b64 exec, exec, s[4:5]
                                        ; implicit-def: $vgpr42_vgpr43
	s_and_saveexec_b64 s[4:5], s[28:29]
	s_cbranch_execnz .LBB1324_270
.LBB1324_65:
	s_or_b64 exec, exec, s[4:5]
                                        ; implicit-def: $vgpr46_vgpr47
	s_and_saveexec_b64 s[4:5], s[30:31]
	s_cbranch_execnz .LBB1324_271
.LBB1324_66:
	s_or_b64 exec, exec, s[4:5]
                                        ; implicit-def: $vgpr48_vgpr49
	s_and_saveexec_b64 s[4:5], s[34:35]
	s_cbranch_execnz .LBB1324_272
.LBB1324_67:
	s_or_b64 exec, exec, s[4:5]
                                        ; implicit-def: $vgpr50_vgpr51
	s_and_saveexec_b64 s[4:5], s[36:37]
	s_cbranch_execnz .LBB1324_273
.LBB1324_68:
	s_or_b64 exec, exec, s[4:5]
                                        ; implicit-def: $vgpr52_vgpr53
	s_and_saveexec_b64 s[4:5], s[38:39]
	s_cbranch_execnz .LBB1324_274
.LBB1324_69:
	s_or_b64 exec, exec, s[4:5]
                                        ; implicit-def: $vgpr54_vgpr55
	s_and_saveexec_b64 s[4:5], s[40:41]
	s_cbranch_execnz .LBB1324_275
.LBB1324_70:
	s_or_b64 exec, exec, s[4:5]
                                        ; implicit-def: $vgpr56_vgpr57
	s_and_saveexec_b64 s[4:5], s[42:43]
	s_cbranch_execnz .LBB1324_276
.LBB1324_71:
	s_or_b64 exec, exec, s[4:5]
                                        ; implicit-def: $vgpr58_vgpr59
	s_and_saveexec_b64 s[4:5], s[44:45]
	s_cbranch_execnz .LBB1324_277
.LBB1324_72:
	s_or_b64 exec, exec, s[4:5]
                                        ; implicit-def: $vgpr60_vgpr61
	s_and_saveexec_b64 s[4:5], s[46:47]
	s_cbranch_execnz .LBB1324_278
.LBB1324_73:
	s_or_b64 exec, exec, s[4:5]
                                        ; implicit-def: $vgpr62_vgpr63
	s_and_saveexec_b64 s[4:5], s[48:49]
	s_cbranch_execz .LBB1324_75
.LBB1324_74:
	v_lshlrev_b32_e32 v1, 3, v65
	v_mov_b32_e32 v63, s63
	v_add_co_u32_e32 v62, vcc, s62, v1
	v_addc_co_u32_e32 v63, vcc, 0, v63, vcc
	flat_load_dwordx2 v[62:63], v[62:63]
.LBB1324_75:
	s_or_b64 exec, exec, s[4:5]
	v_lshl_add_u32 v69, v0, 2, v66
	v_mul_u32_u24_e32 v65, 21, v0
	s_waitcnt vmcnt(0) lgkmcnt(0)
	ds_write2st64_b64 v69, v[2:3], v[6:7] offset1:1
	ds_write2st64_b64 v69, v[10:11], v[14:15] offset0:2 offset1:3
	ds_write2st64_b64 v69, v[18:19], v[20:21] offset0:4 offset1:5
	;; [unrolled: 1-line block ×9, first 2 shown]
	ds_write_b64 v69, v[62:63] offset:10240
	v_pk_mov_b32 v[10:11], 0, 0
	v_cmp_gt_u32_e32 vcc, s65, v65
	s_mov_b64 s[6:7], 0
	s_mov_b64 s[10:11], 0
	s_mov_b32 s64, 0
	v_mov_b32_e32 v128, 0
	v_mov_b32_e32 v122, 0
	;; [unrolled: 1-line block ×5, first 2 shown]
	v_pk_mov_b32 v[70:71], v[10:11], v[10:11] op_sel:[0,1]
	v_pk_mov_b32 v[78:79], v[10:11], v[10:11] op_sel:[0,1]
	;; [unrolled: 1-line block ×8, first 2 shown]
	v_mov_b32_e32 v124, 0
	v_pk_mov_b32 v[38:39], v[10:11], v[10:11] op_sel:[0,1]
	v_pk_mov_b32 v[50:51], v[10:11], v[10:11] op_sel:[0,1]
	;; [unrolled: 1-line block ×5, first 2 shown]
	v_mov_b32_e32 v123, 0
	v_pk_mov_b32 v[34:35], v[10:11], v[10:11] op_sel:[0,1]
	v_pk_mov_b32 v[14:15], v[10:11], v[10:11] op_sel:[0,1]
	;; [unrolled: 1-line block ×5, first 2 shown]
	v_mov_b32_e32 v1, 0
	v_pk_mov_b32 v[2:3], v[10:11], v[10:11] op_sel:[0,1]
	s_waitcnt lgkmcnt(0)
	; wave barrier
	s_waitcnt lgkmcnt(0)
                                        ; implicit-def: $sgpr4_sgpr5
                                        ; implicit-def: $vgpr83
                                        ; implicit-def: $vgpr82
                                        ; implicit-def: $vgpr84
                                        ; implicit-def: $vgpr85
	s_and_saveexec_b64 s[12:13], vcc
	s_cbranch_execz .LBB1324_115
; %bb.76:
	s_movk_i32 s4, 0xa0
	v_mad_u32_u24 v2, v0, s4, v69
	ds_read_b64 v[2:3], v2
	v_cmp_ne_u32_e32 vcc, v68, v36
	v_add_u32_e32 v6, 1, v65
	v_pk_mov_b32 v[10:11], 0, 0
	v_cndmask_b32_e64 v1, 0, 1, vcc
	v_cmp_gt_u32_e32 vcc, s65, v6
	s_mov_b64 s[18:19], 0
	v_mov_b32_e32 v128, 0
	v_mov_b32_e32 v122, 0
	;; [unrolled: 1-line block ×5, first 2 shown]
	v_pk_mov_b32 v[70:71], v[10:11], v[10:11] op_sel:[0,1]
	v_pk_mov_b32 v[78:79], v[10:11], v[10:11] op_sel:[0,1]
	;; [unrolled: 1-line block ×8, first 2 shown]
	v_mov_b32_e32 v124, 0
	v_pk_mov_b32 v[38:39], v[10:11], v[10:11] op_sel:[0,1]
	v_pk_mov_b32 v[50:51], v[10:11], v[10:11] op_sel:[0,1]
	v_pk_mov_b32 v[30:31], v[10:11], v[10:11] op_sel:[0,1]
	v_pk_mov_b32 v[42:43], v[10:11], v[10:11] op_sel:[0,1]
	v_pk_mov_b32 v[22:23], v[10:11], v[10:11] op_sel:[0,1]
	v_mov_b32_e32 v123, 0
	v_pk_mov_b32 v[34:35], v[10:11], v[10:11] op_sel:[0,1]
	v_pk_mov_b32 v[14:15], v[10:11], v[10:11] op_sel:[0,1]
	;; [unrolled: 1-line block ×5, first 2 shown]
                                        ; implicit-def: $sgpr4_sgpr5
                                        ; implicit-def: $vgpr83
                                        ; implicit-def: $vgpr82
                                        ; implicit-def: $vgpr84
                                        ; implicit-def: $vgpr85
	s_and_saveexec_b64 s[14:15], vcc
	s_cbranch_execz .LBB1324_114
; %bb.77:
	v_mul_u32_u24_e32 v6, 0xa0, v0
	v_add_u32_e32 v48, v69, v6
	ds_read2_b64 v[18:21], v48 offset0:1 offset1:2
	v_cmp_ne_u32_e64 s[4:5], v36, v37
	v_add_u32_e32 v6, 2, v65
	v_pk_mov_b32 v[10:11], 0, 0
	v_cmp_ne_u32_e32 vcc, v28, v29
	v_cmp_ne_u32_e64 s[6:7], v29, v32
	v_cmp_ne_u32_e64 s[8:9], v37, v28
	v_cndmask_b32_e64 v128, 0, 1, s[4:5]
	v_cmp_gt_u32_e64 s[4:5], s65, v6
	s_mov_b64 s[20:21], 0
	v_mov_b32_e32 v127, 0
	v_mov_b32_e32 v122, 0
	;; [unrolled: 1-line block ×4, first 2 shown]
	v_pk_mov_b32 v[70:71], v[10:11], v[10:11] op_sel:[0,1]
	v_pk_mov_b32 v[78:79], v[10:11], v[10:11] op_sel:[0,1]
	;; [unrolled: 1-line block ×8, first 2 shown]
	v_mov_b32_e32 v124, 0
	v_pk_mov_b32 v[38:39], v[10:11], v[10:11] op_sel:[0,1]
	v_pk_mov_b32 v[50:51], v[10:11], v[10:11] op_sel:[0,1]
	v_pk_mov_b32 v[30:31], v[10:11], v[10:11] op_sel:[0,1]
	v_pk_mov_b32 v[42:43], v[10:11], v[10:11] op_sel:[0,1]
	v_pk_mov_b32 v[22:23], v[10:11], v[10:11] op_sel:[0,1]
	v_mov_b32_e32 v123, 0
	v_pk_mov_b32 v[34:35], v[10:11], v[10:11] op_sel:[0,1]
	v_pk_mov_b32 v[14:15], v[10:11], v[10:11] op_sel:[0,1]
	;; [unrolled: 1-line block ×4, first 2 shown]
                                        ; implicit-def: $sgpr22_sgpr23
                                        ; implicit-def: $vgpr83
                                        ; implicit-def: $vgpr82
                                        ; implicit-def: $vgpr84
                                        ; implicit-def: $vgpr85
	s_and_saveexec_b64 s[16:17], s[4:5]
	s_cbranch_execz .LBB1324_113
; %bb.78:
	v_cndmask_b32_e64 v6, 0, 1, s[8:9]
	v_cndmask_b32_e64 v7, 0, 1, s[6:7]
	v_lshlrev_b16_e32 v6, 8, v6
	v_lshlrev_b16_e32 v7, 8, v7
	v_cndmask_b32_e64 v10, 0, 1, vcc
	v_or_b32_e32 v6, v128, v6
	v_or_b32_sdwa v7, v10, v7 dst_sel:WORD_1 dst_unused:UNUSED_PAD src0_sel:DWORD src1_sel:DWORD
	v_add_u32_e32 v10, 3, v65
	v_or_b32_sdwa v83, v6, v7 dst_sel:DWORD dst_unused:UNUSED_PAD src0_sel:WORD_0 src1_sel:DWORD
	v_cmp_gt_u32_e32 vcc, s65, v10
	v_pk_mov_b32 v[10:11], 0, 0
	v_and_b32_e32 v128, 0xffff, v83
	s_waitcnt lgkmcnt(0)
	v_mov_b32_e32 v6, v20
	v_mov_b32_e32 v7, v21
	s_mov_b64 s[4:5], 0
	v_mov_b32_e32 v127, 0
	v_mov_b32_e32 v122, 0
	;; [unrolled: 1-line block ×4, first 2 shown]
	v_pk_mov_b32 v[70:71], v[10:11], v[10:11] op_sel:[0,1]
	v_pk_mov_b32 v[78:79], v[10:11], v[10:11] op_sel:[0,1]
	;; [unrolled: 1-line block ×8, first 2 shown]
	v_mov_b32_e32 v124, 0
	v_pk_mov_b32 v[38:39], v[10:11], v[10:11] op_sel:[0,1]
	v_pk_mov_b32 v[50:51], v[10:11], v[10:11] op_sel:[0,1]
	;; [unrolled: 1-line block ×5, first 2 shown]
	v_mov_b32_e32 v123, 0
	v_pk_mov_b32 v[34:35], v[10:11], v[10:11] op_sel:[0,1]
	v_pk_mov_b32 v[14:15], v[10:11], v[10:11] op_sel:[0,1]
	;; [unrolled: 1-line block ×3, first 2 shown]
                                        ; implicit-def: $sgpr6_sgpr7
                                        ; implicit-def: $vgpr82
                                        ; implicit-def: $vgpr84
                                        ; implicit-def: $vgpr85
	s_and_saveexec_b64 s[18:19], vcc
	s_cbranch_execz .LBB1324_112
; %bb.79:
	ds_read2_b64 v[26:29], v48 offset0:3 offset1:4
	v_add_u32_e32 v10, 4, v65
	v_cmp_gt_u32_e32 vcc, s65, v10
	v_pk_mov_b32 v[10:11], 0, 0
	v_and_b32_e32 v128, 0xffffff, v83
	s_mov_b64 s[6:7], 0
	v_mov_b32_e32 v127, 0
	v_mov_b32_e32 v122, 0
	;; [unrolled: 1-line block ×4, first 2 shown]
	v_pk_mov_b32 v[70:71], v[10:11], v[10:11] op_sel:[0,1]
	v_pk_mov_b32 v[78:79], v[10:11], v[10:11] op_sel:[0,1]
	;; [unrolled: 1-line block ×8, first 2 shown]
	v_mov_b32_e32 v124, 0
	v_pk_mov_b32 v[38:39], v[10:11], v[10:11] op_sel:[0,1]
	v_pk_mov_b32 v[50:51], v[10:11], v[10:11] op_sel:[0,1]
	;; [unrolled: 1-line block ×5, first 2 shown]
	v_mov_b32_e32 v123, 0
	v_pk_mov_b32 v[34:35], v[10:11], v[10:11] op_sel:[0,1]
	v_pk_mov_b32 v[14:15], v[10:11], v[10:11] op_sel:[0,1]
                                        ; implicit-def: $sgpr8_sgpr9
                                        ; implicit-def: $vgpr82
                                        ; implicit-def: $vgpr84
                                        ; implicit-def: $vgpr85
	s_and_saveexec_b64 s[20:21], vcc
	s_cbranch_execz .LBB1324_111
; %bb.80:
	v_add_u32_e32 v10, 5, v65
	v_cmp_gt_u32_e32 vcc, s65, v10
	v_pk_mov_b32 v[10:11], 0, 0
	s_waitcnt lgkmcnt(0)
	v_mov_b32_e32 v14, v28
	v_mov_b32_e32 v15, v29
	;; [unrolled: 1-line block ×6, first 2 shown]
	v_pk_mov_b32 v[70:71], v[10:11], v[10:11] op_sel:[0,1]
	v_pk_mov_b32 v[78:79], v[10:11], v[10:11] op_sel:[0,1]
	;; [unrolled: 1-line block ×8, first 2 shown]
	v_mov_b32_e32 v124, 0
	v_pk_mov_b32 v[38:39], v[10:11], v[10:11] op_sel:[0,1]
	v_pk_mov_b32 v[50:51], v[10:11], v[10:11] op_sel:[0,1]
	;; [unrolled: 1-line block ×5, first 2 shown]
	v_mov_b32_e32 v123, 0
	v_pk_mov_b32 v[34:35], v[10:11], v[10:11] op_sel:[0,1]
                                        ; implicit-def: $sgpr8_sgpr9
                                        ; implicit-def: $vgpr82
                                        ; implicit-def: $vgpr84
                                        ; implicit-def: $vgpr85
	s_and_saveexec_b64 s[22:23], vcc
	s_cbranch_execz .LBB1324_110
; %bb.81:
	ds_read2_b64 v[34:37], v48 offset0:5 offset1:6
	v_cmp_ne_u32_e32 vcc, v32, v44
	v_add_u32_e32 v10, 6, v65
	v_cndmask_b32_e64 v123, 0, 1, vcc
	v_cmp_gt_u32_e32 vcc, s65, v10
	v_pk_mov_b32 v[10:11], 0, 0
	s_mov_b64 s[28:29], 0
	v_mov_b32_e32 v127, 0
	v_mov_b32_e32 v122, 0
	;; [unrolled: 1-line block ×4, first 2 shown]
	v_pk_mov_b32 v[70:71], v[10:11], v[10:11] op_sel:[0,1]
	v_pk_mov_b32 v[78:79], v[10:11], v[10:11] op_sel:[0,1]
	;; [unrolled: 1-line block ×8, first 2 shown]
	v_mov_b32_e32 v124, 0
	v_pk_mov_b32 v[38:39], v[10:11], v[10:11] op_sel:[0,1]
	v_pk_mov_b32 v[50:51], v[10:11], v[10:11] op_sel:[0,1]
	;; [unrolled: 1-line block ×5, first 2 shown]
                                        ; implicit-def: $sgpr6_sgpr7
                                        ; implicit-def: $vgpr82
                                        ; implicit-def: $vgpr84
                                        ; implicit-def: $vgpr85
	s_and_saveexec_b64 s[24:25], vcc
	s_cbranch_execz .LBB1324_109
; %bb.82:
	v_cmp_ne_u32_e64 s[4:5], v44, v45
	v_add_u32_e32 v10, 7, v65
	v_cndmask_b32_e64 v127, 0, 1, s[4:5]
	v_cmp_gt_u32_e64 s[4:5], s65, v10
	v_pk_mov_b32 v[10:11], 0, 0
	s_waitcnt lgkmcnt(0)
	v_mov_b32_e32 v22, v36
	v_mov_b32_e32 v23, v37
	v_cmp_ne_u32_e32 vcc, v40, v41
	v_cmp_ne_u32_e64 s[6:7], v41, v33
	v_cmp_ne_u32_e64 s[8:9], v45, v40
	s_mov_b64 s[30:31], 0
	v_mov_b32_e32 v126, 0
	v_mov_b32_e32 v122, 0
	;; [unrolled: 1-line block ×3, first 2 shown]
	v_pk_mov_b32 v[70:71], v[10:11], v[10:11] op_sel:[0,1]
	v_pk_mov_b32 v[78:79], v[10:11], v[10:11] op_sel:[0,1]
	;; [unrolled: 1-line block ×8, first 2 shown]
	v_mov_b32_e32 v124, 0
	v_pk_mov_b32 v[38:39], v[10:11], v[10:11] op_sel:[0,1]
	v_pk_mov_b32 v[50:51], v[10:11], v[10:11] op_sel:[0,1]
	;; [unrolled: 1-line block ×4, first 2 shown]
                                        ; implicit-def: $sgpr34_sgpr35
                                        ; implicit-def: $vgpr82
                                        ; implicit-def: $vgpr84
                                        ; implicit-def: $vgpr85
	s_and_saveexec_b64 s[26:27], s[4:5]
	s_cbranch_execz .LBB1324_108
; %bb.83:
	v_cndmask_b32_e64 v10, 0, 1, s[8:9]
	v_cndmask_b32_e64 v11, 0, 1, s[6:7]
	v_lshlrev_b16_e32 v10, 8, v10
	v_lshlrev_b16_e32 v11, 8, v11
	v_cndmask_b32_e64 v20, 0, 1, vcc
	ds_read2_b64 v[42:45], v48 offset0:7 offset1:8
	v_or_b32_e32 v10, v127, v10
	v_or_b32_sdwa v11, v20, v11 dst_sel:WORD_1 dst_unused:UNUSED_PAD src0_sel:DWORD src1_sel:DWORD
	v_or_b32_sdwa v82, v10, v11 dst_sel:DWORD dst_unused:UNUSED_PAD src0_sel:WORD_0 src1_sel:DWORD
	v_add_u32_e32 v10, 8, v65
	v_cmp_gt_u32_e32 vcc, s65, v10
	v_pk_mov_b32 v[10:11], 0, 0
	v_and_b32_e32 v127, 0xffff, v82
	s_mov_b64 s[4:5], 0
	v_mov_b32_e32 v126, 0
	v_mov_b32_e32 v122, 0
	;; [unrolled: 1-line block ×3, first 2 shown]
	v_pk_mov_b32 v[70:71], v[10:11], v[10:11] op_sel:[0,1]
	v_pk_mov_b32 v[78:79], v[10:11], v[10:11] op_sel:[0,1]
	;; [unrolled: 1-line block ×8, first 2 shown]
	v_mov_b32_e32 v124, 0
	v_pk_mov_b32 v[38:39], v[10:11], v[10:11] op_sel:[0,1]
	v_pk_mov_b32 v[50:51], v[10:11], v[10:11] op_sel:[0,1]
	;; [unrolled: 1-line block ×3, first 2 shown]
                                        ; implicit-def: $sgpr6_sgpr7
                                        ; implicit-def: $vgpr84
                                        ; implicit-def: $vgpr85
	s_and_saveexec_b64 s[28:29], vcc
	s_cbranch_execz .LBB1324_107
; %bb.84:
	v_add_u32_e32 v10, 9, v65
	v_cmp_gt_u32_e32 vcc, s65, v10
	v_pk_mov_b32 v[10:11], 0, 0
	s_waitcnt lgkmcnt(0)
	v_mov_b32_e32 v30, v44
	v_mov_b32_e32 v31, v45
	v_and_b32_e32 v127, 0xffffff, v82
	s_mov_b64 s[6:7], 0
	v_mov_b32_e32 v126, 0
	v_mov_b32_e32 v122, 0
	;; [unrolled: 1-line block ×3, first 2 shown]
	v_pk_mov_b32 v[70:71], v[10:11], v[10:11] op_sel:[0,1]
	v_pk_mov_b32 v[78:79], v[10:11], v[10:11] op_sel:[0,1]
	;; [unrolled: 1-line block ×8, first 2 shown]
	v_mov_b32_e32 v124, 0
	v_pk_mov_b32 v[38:39], v[10:11], v[10:11] op_sel:[0,1]
	v_pk_mov_b32 v[50:51], v[10:11], v[10:11] op_sel:[0,1]
                                        ; implicit-def: $sgpr8_sgpr9
                                        ; implicit-def: $vgpr84
                                        ; implicit-def: $vgpr85
	s_and_saveexec_b64 s[30:31], vcc
	s_cbranch_execz .LBB1324_106
; %bb.85:
	ds_read2_b64 v[50:53], v48 offset0:9 offset1:10
	v_add_u32_e32 v10, 10, v65
	v_cmp_gt_u32_e32 vcc, s65, v10
	v_pk_mov_b32 v[10:11], 0, 0
	v_mov_b32_e32 v126, 0
	v_mov_b32_e32 v122, 0
	;; [unrolled: 1-line block ×3, first 2 shown]
	v_pk_mov_b32 v[70:71], v[10:11], v[10:11] op_sel:[0,1]
	v_pk_mov_b32 v[78:79], v[10:11], v[10:11] op_sel:[0,1]
	;; [unrolled: 1-line block ×8, first 2 shown]
	v_mov_b32_e32 v124, 0
	v_pk_mov_b32 v[38:39], v[10:11], v[10:11] op_sel:[0,1]
                                        ; implicit-def: $sgpr8_sgpr9
                                        ; implicit-def: $vgpr84
                                        ; implicit-def: $vgpr85
	s_and_saveexec_b64 s[34:35], vcc
	s_cbranch_execz .LBB1324_105
; %bb.86:
	v_cmp_ne_u32_e32 vcc, v33, v24
	v_add_u32_e32 v10, 11, v65
	v_cndmask_b32_e64 v124, 0, 1, vcc
	v_cmp_gt_u32_e32 vcc, s65, v10
	v_pk_mov_b32 v[10:11], 0, 0
	s_waitcnt lgkmcnt(0)
	v_mov_b32_e32 v38, v52
	v_mov_b32_e32 v39, v53
	s_mov_b64 s[40:41], 0
	v_mov_b32_e32 v126, 0
	v_mov_b32_e32 v122, 0
	;; [unrolled: 1-line block ×3, first 2 shown]
	v_pk_mov_b32 v[70:71], v[10:11], v[10:11] op_sel:[0,1]
	v_pk_mov_b32 v[78:79], v[10:11], v[10:11] op_sel:[0,1]
	;; [unrolled: 1-line block ×8, first 2 shown]
                                        ; implicit-def: $sgpr6_sgpr7
                                        ; implicit-def: $vgpr84
                                        ; implicit-def: $vgpr85
	s_and_saveexec_b64 s[36:37], vcc
	s_cbranch_execz .LBB1324_104
; %bb.87:
	ds_read2_b64 v[58:61], v48 offset0:11 offset1:12
	v_cmp_ne_u32_e64 s[4:5], v24, v25
	v_add_u32_e32 v10, 12, v65
	v_cndmask_b32_e64 v126, 0, 1, s[4:5]
	v_cmp_gt_u32_e64 s[4:5], s65, v10
	v_pk_mov_b32 v[10:11], 0, 0
	v_cmp_ne_u32_e32 vcc, v16, v17
	v_cmp_ne_u32_e64 s[6:7], v17, v64
	v_cmp_ne_u32_e64 s[8:9], v25, v16
	s_mov_b64 s[42:43], 0
	v_mov_b32_e32 v125, 0
	v_mov_b32_e32 v122, 0
	v_pk_mov_b32 v[70:71], v[10:11], v[10:11] op_sel:[0,1]
	v_pk_mov_b32 v[78:79], v[10:11], v[10:11] op_sel:[0,1]
	;; [unrolled: 1-line block ×7, first 2 shown]
                                        ; implicit-def: $sgpr44_sgpr45
                                        ; implicit-def: $vgpr84
                                        ; implicit-def: $vgpr85
	s_and_saveexec_b64 s[38:39], s[4:5]
	s_cbranch_execz .LBB1324_103
; %bb.88:
	v_cndmask_b32_e64 v10, 0, 1, s[8:9]
	v_cndmask_b32_e64 v11, 0, 1, s[6:7]
	v_lshlrev_b16_e32 v10, 8, v10
	v_lshlrev_b16_e32 v11, 8, v11
	v_cndmask_b32_e64 v16, 0, 1, vcc
	v_or_b32_e32 v10, v126, v10
	v_or_b32_sdwa v11, v16, v11 dst_sel:WORD_1 dst_unused:UNUSED_PAD src0_sel:DWORD src1_sel:DWORD
	v_or_b32_sdwa v84, v10, v11 dst_sel:DWORD dst_unused:UNUSED_PAD src0_sel:WORD_0 src1_sel:DWORD
	v_add_u32_e32 v10, 13, v65
	s_mov_b32 s78, s74
	v_cmp_gt_u32_e32 vcc, s65, v10
	v_pk_mov_b32 v[10:11], 0, 0
	s_mov_b64 s[66:67], s[2:3]
	s_mov_b64 s[2:3], s[60:61]
	;; [unrolled: 1-line block ×6, first 2 shown]
	v_and_b32_e32 v126, 0xffff, v84
	s_waitcnt lgkmcnt(0)
	v_mov_b32_e32 v46, v60
	v_mov_b32_e32 v47, v61
	s_mov_b64 s[4:5], 0
	v_mov_b32_e32 v125, 0
	v_mov_b32_e32 v122, 0
	v_pk_mov_b32 v[70:71], v[10:11], v[10:11] op_sel:[0,1]
	v_pk_mov_b32 v[78:79], v[10:11], v[10:11] op_sel:[0,1]
	;; [unrolled: 1-line block ×6, first 2 shown]
                                        ; implicit-def: $sgpr6_sgpr7
                                        ; implicit-def: $vgpr85
	s_and_saveexec_b64 s[40:41], vcc
	s_cbranch_execz .LBB1324_102
; %bb.89:
	ds_read2_b64 v[66:69], v48 offset0:13 offset1:14
	v_add_u32_e32 v10, 14, v65
	v_cmp_gt_u32_e32 vcc, s65, v10
	v_pk_mov_b32 v[10:11], 0, 0
	v_and_b32_e32 v126, 0xffffff, v84
	s_mov_b64 s[6:7], 0
	v_mov_b32_e32 v125, 0
	v_mov_b32_e32 v122, 0
	v_pk_mov_b32 v[70:71], v[10:11], v[10:11] op_sel:[0,1]
	v_pk_mov_b32 v[78:79], v[10:11], v[10:11] op_sel:[0,1]
	;; [unrolled: 1-line block ×5, first 2 shown]
                                        ; implicit-def: $sgpr8_sgpr9
                                        ; implicit-def: $vgpr85
	s_and_saveexec_b64 s[42:43], vcc
	s_cbranch_execz .LBB1324_101
; %bb.90:
	v_add_u32_e32 v10, 15, v65
	v_cmp_gt_u32_e32 vcc, s65, v10
	v_pk_mov_b32 v[10:11], 0, 0
	s_waitcnt lgkmcnt(0)
	v_mov_b32_e32 v54, v68
	v_mov_b32_e32 v55, v69
	;; [unrolled: 1-line block ×4, first 2 shown]
	v_pk_mov_b32 v[70:71], v[10:11], v[10:11] op_sel:[0,1]
	v_pk_mov_b32 v[78:79], v[10:11], v[10:11] op_sel:[0,1]
	;; [unrolled: 1-line block ×4, first 2 shown]
                                        ; implicit-def: $sgpr8_sgpr9
                                        ; implicit-def: $vgpr85
	s_and_saveexec_b64 s[44:45], vcc
	s_cbranch_execz .LBB1324_100
; %bb.91:
	ds_read2_b64 v[74:77], v48 offset0:15 offset1:16
	v_cmp_ne_u32_e32 vcc, v64, v8
	v_add_u32_e32 v10, 16, v65
	v_cndmask_b32_e64 v122, 0, 1, vcc
	v_cmp_gt_u32_e32 vcc, s65, v10
	v_pk_mov_b32 v[10:11], 0, 0
	s_mov_b64 s[56:57], 0
	v_mov_b32_e32 v125, 0
	v_pk_mov_b32 v[70:71], v[10:11], v[10:11] op_sel:[0,1]
	v_pk_mov_b32 v[78:79], v[10:11], v[10:11] op_sel:[0,1]
	;; [unrolled: 1-line block ×3, first 2 shown]
                                        ; implicit-def: $sgpr6_sgpr7
                                        ; implicit-def: $vgpr85
	s_and_saveexec_b64 s[46:47], vcc
	s_cbranch_execz .LBB1324_99
; %bb.92:
	v_cmp_ne_u32_e64 s[4:5], v8, v9
	v_add_u32_e32 v8, 17, v65
	v_pk_mov_b32 v[10:11], 0, 0
	s_waitcnt lgkmcnt(0)
	v_mov_b32_e32 v62, v76
	v_mov_b32_e32 v63, v77
	v_cmp_ne_u32_e32 vcc, v12, v13
	v_cmp_ne_u32_e64 s[6:7], v13, v4
	v_cmp_ne_u32_e64 s[8:9], v9, v12
	v_cndmask_b32_e64 v125, 0, 1, s[4:5]
	v_cmp_gt_u32_e64 s[4:5], s65, v8
	s_mov_b64 s[58:59], 0
	v_pk_mov_b32 v[70:71], v[10:11], v[10:11] op_sel:[0,1]
	v_pk_mov_b32 v[78:79], v[10:11], v[10:11] op_sel:[0,1]
                                        ; implicit-def: $sgpr60_sgpr61
                                        ; implicit-def: $vgpr85
	s_and_saveexec_b64 s[48:49], s[4:5]
	s_cbranch_execz .LBB1324_98
; %bb.93:
	v_cndmask_b32_e64 v8, 0, 1, s[8:9]
	v_cndmask_b32_e64 v9, 0, 1, s[6:7]
	ds_read2_b64 v[78:81], v48 offset0:17 offset1:18
	v_lshlrev_b16_e32 v8, 8, v8
	v_lshlrev_b16_e32 v9, 8, v9
	v_cndmask_b32_e64 v10, 0, 1, vcc
	v_or_b32_e32 v8, v125, v8
	v_or_b32_sdwa v9, v10, v9 dst_sel:WORD_1 dst_unused:UNUSED_PAD src0_sel:DWORD src1_sel:DWORD
	v_or_b32_sdwa v85, v8, v9 dst_sel:DWORD dst_unused:UNUSED_PAD src0_sel:WORD_0 src1_sel:DWORD
	v_add_u32_e32 v8, 18, v65
	v_pk_mov_b32 v[10:11], 0, 0
	v_and_b32_e32 v125, 0xffff, v85
	v_cmp_gt_u32_e32 vcc, s65, v8
	s_mov_b64 s[4:5], 0
	v_pk_mov_b32 v[70:71], v[10:11], v[10:11] op_sel:[0,1]
                                        ; implicit-def: $sgpr8_sgpr9
	s_and_saveexec_b64 s[6:7], vcc
	s_cbranch_execz .LBB1324_97
; %bb.94:
	v_add_u32_e32 v8, 19, v65
	s_waitcnt lgkmcnt(0)
	v_mov_b32_e32 v70, v80
	v_mov_b32_e32 v71, v81
	v_cmp_gt_u32_e32 vcc, s65, v8
	v_and_b32_e32 v125, 0xffffff, v85
	v_pk_mov_b32 v[10:11], 0, 0
                                        ; implicit-def: $sgpr8_sgpr9
	s_and_saveexec_b64 s[56:57], vcc
	s_xor_b64 s[56:57], exec, s[56:57]
	s_cbranch_execz .LBB1324_96
; %bb.95:
	ds_read2_b64 v[10:13], v48 offset0:19 offset1:20
	v_cmp_ne_u32_e32 vcc, v4, v5
	v_add_u32_e32 v4, 20, v65
	v_cmp_gt_u32_e64 s[4:5], s65, v4
	s_and_b64 s[8:9], vcc, exec
	s_and_b64 s[4:5], s[4:5], exec
	s_waitcnt lgkmcnt(0)
	v_pk_mov_b32 v[72:73], v[10:11], v[10:11] op_sel:[0,1]
	v_mov_b32_e32 v125, v85
.LBB1324_96:
	s_or_b64 exec, exec, s[56:57]
	s_and_b64 s[8:9], s[8:9], exec
	s_and_b64 s[58:59], s[4:5], exec
.LBB1324_97:
	s_or_b64 exec, exec, s[6:7]
	s_and_b64 s[60:61], s[8:9], exec
	s_and_b64 s[56:57], s[58:59], exec
	s_waitcnt lgkmcnt(0)
	v_pk_mov_b32 v[64:65], v[78:79], v[78:79] op_sel:[0,1]
	v_pk_mov_b32 v[56:57], v[74:75], v[74:75] op_sel:[0,1]
	;; [unrolled: 1-line block ×9, first 2 shown]
.LBB1324_98:
	s_or_b64 exec, exec, s[48:49]
	s_and_b64 s[6:7], s[60:61], exec
	s_and_b64 s[4:5], s[56:57], exec
.LBB1324_99:
	s_or_b64 exec, exec, s[46:47]
	s_and_b64 s[8:9], s[6:7], exec
	s_and_b64 s[6:7], s[4:5], exec
.LBB1324_100:
	s_or_b64 exec, exec, s[44:45]
	s_and_b64 s[8:9], s[8:9], exec
	s_and_b64 s[4:5], s[6:7], exec
	v_mov_b32_e32 v126, v84
.LBB1324_101:
	s_or_b64 exec, exec, s[42:43]
	s_and_b64 s[6:7], s[8:9], exec
	s_and_b64 s[42:43], s[4:5], exec
.LBB1324_102:
	s_or_b64 exec, exec, s[40:41]
	s_mov_b64 s[58:59], s[70:71]
	s_mov_b64 s[68:69], s[72:73]
	s_and_b64 s[44:45], s[6:7], exec
	s_and_b64 s[40:41], s[42:43], exec
	s_mov_b64 s[70:71], s[74:75]
	s_mov_b64 s[72:73], s[76:77]
	s_mov_b32 s74, s78
	s_mov_b64 s[60:61], s[2:3]
	s_mov_b64 s[2:3], s[66:67]
.LBB1324_103:
	s_or_b64 exec, exec, s[38:39]
	s_and_b64 s[6:7], s[44:45], exec
	s_and_b64 s[4:5], s[40:41], exec
.LBB1324_104:
	s_or_b64 exec, exec, s[36:37]
	s_and_b64 s[8:9], s[6:7], exec
	s_and_b64 s[6:7], s[4:5], exec
.LBB1324_105:
	s_or_b64 exec, exec, s[34:35]
	s_and_b64 s[8:9], s[8:9], exec
	s_and_b64 s[4:5], s[6:7], exec
	v_mov_b32_e32 v127, v82
.LBB1324_106:
	s_or_b64 exec, exec, s[30:31]
	s_and_b64 s[6:7], s[8:9], exec
	s_and_b64 s[30:31], s[4:5], exec
.LBB1324_107:
	s_or_b64 exec, exec, s[28:29]
	s_and_b64 s[34:35], s[6:7], exec
	s_and_b64 s[28:29], s[30:31], exec
.LBB1324_108:
	s_or_b64 exec, exec, s[26:27]
	s_and_b64 s[6:7], s[34:35], exec
	s_and_b64 s[4:5], s[28:29], exec
.LBB1324_109:
	s_or_b64 exec, exec, s[24:25]
	s_and_b64 s[8:9], s[6:7], exec
	s_and_b64 s[6:7], s[4:5], exec
.LBB1324_110:
	s_or_b64 exec, exec, s[22:23]
	s_and_b64 s[8:9], s[8:9], exec
	s_and_b64 s[4:5], s[6:7], exec
	v_mov_b32_e32 v128, v83
.LBB1324_111:
	s_or_b64 exec, exec, s[20:21]
	s_and_b64 s[6:7], s[8:9], exec
	s_and_b64 s[20:21], s[4:5], exec
.LBB1324_112:
	s_or_b64 exec, exec, s[18:19]
	s_and_b64 s[22:23], s[6:7], exec
	s_and_b64 s[18:19], s[20:21], exec
.LBB1324_113:
	s_or_b64 exec, exec, s[16:17]
	s_and_b64 s[4:5], s[22:23], exec
	s_and_b64 s[6:7], s[18:19], exec
.LBB1324_114:
	s_or_b64 exec, exec, s[14:15]
	s_and_b64 s[4:5], s[4:5], exec
	s_and_b64 s[6:7], s[6:7], exec
.LBB1324_115:
	s_or_b64 exec, exec, s[12:13]
	s_mov_b64 s[8:9], 0
	s_and_b64 vcc, exec, s[10:11]
	s_cbranch_vccnz .LBB1324_117
	s_branch .LBB1324_125
.LBB1324_116:
                                        ; implicit-def: $sgpr4_sgpr5
                                        ; implicit-def: $vgpr83
                                        ; implicit-def: $vgpr82
                                        ; implicit-def: $vgpr84
                                        ; implicit-def: $vgpr85
                                        ; implicit-def: $vgpr12_vgpr13
                                        ; implicit-def: $vgpr72_vgpr73
                                        ; implicit-def: $vgpr64_vgpr65
                                        ; implicit-def: $vgpr122
                                        ; implicit-def: $vgpr56_vgpr57
                                        ; implicit-def: $vgpr48_vgpr49
                                        ; implicit-def: $vgpr40_vgpr41
                                        ; implicit-def: $vgpr124
                                        ; implicit-def: $vgpr32_vgpr33
                                        ; implicit-def: $vgpr24_vgpr25
                                        ; implicit-def: $vgpr123
                                        ; implicit-def: $vgpr16_vgpr17
                                        ; implicit-def: $vgpr8_vgpr9
                                        ; implicit-def: $vgpr4_vgpr5
                                        ; implicit-def: $vgpr1
                                        ; implicit-def: $vgpr128
                                        ; implicit-def: $vgpr127
                                        ; implicit-def: $vgpr126
                                        ; implicit-def: $vgpr125
                                        ; implicit-def: $sgpr64
                                        ; implicit-def: $sgpr8_sgpr9
                                        ; implicit-def: $vgpr78_vgpr79
                                        ; implicit-def: $vgpr74_vgpr75
                                        ; implicit-def: $vgpr66_vgpr67
                                        ; implicit-def: $vgpr58_vgpr59
                                        ; implicit-def: $vgpr50_vgpr51
                                        ; implicit-def: $vgpr42_vgpr43
                                        ; implicit-def: $vgpr34_vgpr35
                                        ; implicit-def: $vgpr26_vgpr27
                                        ; implicit-def: $vgpr18_vgpr19
	s_and_b64 vcc, exec, s[10:11]
	s_cbranch_vccz .LBB1324_125
.LBB1324_117:
	v_lshlrev_b32_e32 v1, 2, v0
	s_waitcnt lgkmcnt(0)
	v_mov_b32_e32 v3, s51
	v_add_co_u32_e32 v2, vcc, s50, v1
	v_addc_co_u32_e32 v3, vcc, 0, v3, vcc
	s_movk_i32 s4, 0x1000
	flat_load_dword v4, v[2:3]
	flat_load_dword v5, v[2:3] offset:256
	flat_load_dword v6, v[2:3] offset:512
	;; [unrolled: 1-line block ×15, first 2 shown]
	v_add_co_u32_e32 v2, vcc, s4, v2
	v_addc_co_u32_e32 v3, vcc, 0, v3, vcc
	flat_load_dword v20, v[2:3]
	flat_load_dword v21, v[2:3] offset:256
	flat_load_dword v22, v[2:3] offset:512
	;; [unrolled: 1-line block ×4, first 2 shown]
	s_movk_i32 s4, 0x50
	v_mad_u32_u24 v23, v0, s4, v1
	s_cmp_eq_u64 s[54:55], 0
	s_waitcnt vmcnt(0) lgkmcnt(0)
	ds_write2st64_b32 v1, v4, v5 offset1:1
	ds_write2st64_b32 v1, v6, v7 offset0:2 offset1:3
	ds_write2st64_b32 v1, v8, v9 offset0:4 offset1:5
	;; [unrolled: 1-line block ×9, first 2 shown]
	ds_write_b32 v1, v25 offset:5120
	s_waitcnt lgkmcnt(0)
	; wave barrier
	s_waitcnt lgkmcnt(0)
	ds_read2_b32 v[8:9], v23 offset0:7 offset1:8
	ds_read2_b32 v[6:7], v23 offset0:5 offset1:6
	;; [unrolled: 1-line block ×3, first 2 shown]
	ds_read2_b32 v[10:11], v23 offset1:1
	ds_read2_b32 v[4:5], v23 offset0:4 offset1:9
	ds_read2_b32 v[16:17], v23 offset0:15 offset1:16
	ds_read_b32 v22, v23 offset:56
	ds_read2_b32 v[14:15], v23 offset0:12 offset1:13
	ds_read2_b32 v[12:13], v23 offset0:10 offset1:11
	;; [unrolled: 1-line block ×4, first 2 shown]
	s_cbranch_scc1 .LBB1324_122
; %bb.118:
	s_andn2_b64 vcc, exec, s[52:53]
	s_cbranch_vccnz .LBB1324_280
; %bb.119:
	v_readlane_b32 s8, v131, 4
	v_readlane_b32 s10, v131, 6
	;; [unrolled: 1-line block ×5, first 2 shown]
	s_lshl_b64 s[4:5], s[54:55], 2
	s_mov_b64 s[10:11], s[14:15]
	s_add_u32 s4, s10, s4
	s_addc_u32 s5, s11, s5
	s_add_u32 s4, s4, -4
	s_addc_u32 s5, s5, -1
	v_readlane_b32 s9, v131, 5
	v_readlane_b32 s12, v131, 8
	;; [unrolled: 1-line block ×3, first 2 shown]
	s_cbranch_execnz .LBB1324_121
.LBB1324_120:
	s_add_u32 s4, s50, -4
	s_addc_u32 s5, s51, -1
.LBB1324_121:
	s_mov_b64 s[50:51], s[4:5]
.LBB1324_122:
	v_pk_mov_b32 v[24:25], s[50:51], s[50:51] op_sel:[0,1]
	flat_load_dword v1, v[24:25]
	s_movk_i32 s4, 0xffb0
	v_mad_i32_i24 v23, v0, s4, v23
	s_waitcnt lgkmcnt(0)
	ds_write_b32 v23, v21 offset:5376
	s_waitcnt lgkmcnt(0)
	; wave barrier
	s_waitcnt lgkmcnt(0)
	s_mov_b64 s[4:5], exec
	v_readlane_b32 s6, v131, 2
	v_readlane_b32 s7, v131, 3
	s_and_b64 s[6:7], s[4:5], s[6:7]
	s_mov_b64 exec, s[6:7]
	s_cbranch_execz .LBB1324_124
; %bb.123:
	s_waitcnt vmcnt(0)
	ds_read_b32 v1, v23 offset:5372
.LBB1324_124:
	s_or_b64 exec, exec, s[4:5]
	v_lshlrev_b32_e32 v24, 3, v0
	v_mov_b32_e32 v25, s63
	v_add_co_u32_e32 v24, vcc, s62, v24
	v_addc_co_u32_e32 v25, vcc, 0, v25, vcc
	s_movk_i32 s4, 0x1000
	v_add_co_u32_e32 v42, vcc, s4, v24
	v_addc_co_u32_e32 v43, vcc, 0, v25, vcc
	s_movk_i32 s4, 0x2000
	s_waitcnt lgkmcnt(0)
	; wave barrier
	s_waitcnt lgkmcnt(0)
	flat_load_dwordx2 v[26:27], v[24:25]
	flat_load_dwordx2 v[28:29], v[24:25] offset:512
	flat_load_dwordx2 v[30:31], v[24:25] offset:1024
	;; [unrolled: 1-line block ×7, first 2 shown]
	v_add_co_u32_e32 v24, vcc, s4, v24
	v_addc_co_u32_e32 v25, vcc, 0, v25, vcc
	flat_load_dwordx2 v[44:45], v[42:43]
	flat_load_dwordx2 v[46:47], v[42:43] offset:512
	flat_load_dwordx2 v[48:49], v[42:43] offset:1024
	;; [unrolled: 1-line block ×7, first 2 shown]
	s_nop 0
	flat_load_dwordx2 v[42:43], v[24:25]
	flat_load_dwordx2 v[60:61], v[24:25] offset:512
	flat_load_dwordx2 v[62:63], v[24:25] offset:1024
	;; [unrolled: 1-line block ×4, first 2 shown]
	v_cmp_ne_u32_e32 vcc, v17, v18
	v_cmp_ne_u32_e64 s[4:5], v20, v21
	v_cndmask_b32_e64 v21, 0, 1, vcc
	v_cmp_ne_u32_e32 vcc, v16, v17
	v_cndmask_b32_e64 v17, 0, 1, vcc
	v_cmp_ne_u32_e32 vcc, v19, v20
	;; [unrolled: 2-line block ×6, first 2 shown]
	v_lshlrev_b16_e32 v16, 8, v16
	v_cndmask_b32_e64 v13, 0, 1, vcc
	v_cmp_ne_u32_e32 vcc, v15, v22
	v_or_b32_e32 v13, v13, v16
	v_cndmask_b32_e64 v16, 0, 1, vcc
	v_cmp_ne_u32_e32 vcc, v14, v15
	v_cndmask_b32_e64 v14, 0, 1, vcc
	v_cmp_ne_u32_e32 vcc, v5, v12
	;; [unrolled: 2-line block ×6, first 2 shown]
	v_lshlrev_b16_e32 v12, 8, v12
	v_lshlrev_b16_e32 v5, 8, v5
	v_cndmask_b32_e64 v8, 0, 1, vcc
	v_cmp_ne_u32_e32 vcc, v4, v6
	v_or_b32_e32 v7, v7, v12
	v_or_b32_sdwa v5, v8, v5 dst_sel:WORD_1 dst_unused:UNUSED_PAD src0_sel:DWORD src1_sel:DWORD
	v_cndmask_b32_e64 v123, 0, 1, vcc
	v_cmp_ne_u32_e32 vcc, v11, v2
	v_or_b32_sdwa v82, v7, v5 dst_sel:DWORD dst_unused:UNUSED_PAD src0_sel:WORD_0 src1_sel:DWORD
	v_cndmask_b32_e64 v5, 0, 1, vcc
	v_cmp_ne_u32_e32 vcc, v10, v11
	v_cndmask_b32_e64 v6, 0, 1, vcc
	v_cmp_ne_u32_e32 vcc, v3, v4
	v_lshlrev_b16_e32 v21, 8, v21
	v_lshlrev_b16_e32 v20, 8, v20
	v_cndmask_b32_e64 v4, 0, 1, vcc
	v_cmp_ne_u32_e32 vcc, v2, v3
	v_or_b32_e32 v17, v17, v21
	v_or_b32_sdwa v18, v18, v20 dst_sel:WORD_1 dst_unused:UNUSED_PAD src0_sel:DWORD src1_sel:DWORD
	v_lshlrev_b16_e32 v4, 8, v4
	v_cndmask_b32_e64 v2, 0, 1, vcc
	v_or_b32_sdwa v85, v17, v18 dst_sel:DWORD dst_unused:UNUSED_PAD src0_sel:WORD_0 src1_sel:DWORD
	v_lshlrev_b16_e32 v16, 8, v16
	v_or_b32_sdwa v18, v2, v4 dst_sel:WORD_1 dst_unused:UNUSED_PAD src0_sel:DWORD src1_sel:DWORD
	v_lshl_add_u32 v2, v0, 2, v23
	s_movk_i32 s6, 0xa0
	v_or_b32_sdwa v14, v14, v16 dst_sel:WORD_1 dst_unused:UNUSED_PAD src0_sel:DWORD src1_sel:DWORD
	v_lshlrev_b16_e32 v5, 8, v5
	v_mad_u32_u24 v12, v0, s6, v2
	v_or_b32_sdwa v84, v13, v14 dst_sel:DWORD dst_unused:UNUSED_PAD src0_sel:WORD_0 src1_sel:DWORD
	v_or_b32_e32 v11, v6, v5
	s_waitcnt vmcnt(0)
	v_cmp_ne_u32_e32 vcc, v1, v10
	v_or_b32_sdwa v83, v11, v18 dst_sel:DWORD dst_unused:UNUSED_PAD src0_sel:WORD_0 src1_sel:DWORD
	v_cndmask_b32_e64 v1, 0, 1, vcc
	s_mov_b64 s[6:7], -1
                                        ; implicit-def: $vgpr128
                                        ; implicit-def: $vgpr127
                                        ; implicit-def: $vgpr126
                                        ; implicit-def: $vgpr125
                                        ; implicit-def: $sgpr64
                                        ; implicit-def: $sgpr8_sgpr9
                                        ; implicit-def: $vgpr78_vgpr79
                                        ; implicit-def: $vgpr74_vgpr75
                                        ; implicit-def: $vgpr18_vgpr19
	s_waitcnt lgkmcnt(0)
	ds_write2st64_b64 v2, v[26:27], v[28:29] offset1:1
	ds_write2st64_b64 v2, v[30:31], v[32:33] offset0:2 offset1:3
	ds_write2st64_b64 v2, v[34:35], v[36:37] offset0:4 offset1:5
	ds_write2st64_b64 v2, v[38:39], v[40:41] offset0:6 offset1:7
	ds_write2st64_b64 v2, v[44:45], v[46:47] offset0:8 offset1:9
	ds_write2st64_b64 v2, v[48:49], v[50:51] offset0:10 offset1:11
	ds_write2st64_b64 v2, v[52:53], v[54:55] offset0:12 offset1:13
	ds_write2st64_b64 v2, v[56:57], v[58:59] offset0:14 offset1:15
	ds_write2st64_b64 v2, v[42:43], v[60:61] offset0:16 offset1:17
	ds_write2st64_b64 v2, v[62:63], v[64:65] offset0:18 offset1:19
	ds_write_b64 v2, v[66:67] offset:10240
	s_waitcnt lgkmcnt(0)
	; wave barrier
	s_waitcnt lgkmcnt(0)
	ds_read2_b64 v[2:5], v12 offset1:1
	ds_read2_b64 v[6:9], v12 offset0:2 offset1:3
	ds_read2_b64 v[14:17], v12 offset0:4 offset1:5
	;; [unrolled: 1-line block ×9, first 2 shown]
	ds_read_b64 v[12:13], v12 offset:160
                                        ; implicit-def: $vgpr66_vgpr67
                                        ; implicit-def: $vgpr58_vgpr59
                                        ; implicit-def: $vgpr50_vgpr51
                                        ; implicit-def: $vgpr42_vgpr43
                                        ; implicit-def: $vgpr34_vgpr35
                                        ; implicit-def: $vgpr26_vgpr27
.LBB1324_125:
	s_waitcnt lgkmcnt(0)
	v_pk_mov_b32 v[20:21], s[8:9], s[8:9] op_sel:[0,1]
	v_mov_b32_e32 v28, s64
	s_and_saveexec_b64 s[8:9], s[6:7]
	s_cbranch_execz .LBB1324_127
; %bb.126:
	v_cndmask_b32_e64 v28, 0, 1, s[4:5]
	v_pk_mov_b32 v[18:19], v[4:5], v[4:5] op_sel:[0,1]
	v_pk_mov_b32 v[26:27], v[8:9], v[8:9] op_sel:[0,1]
	;; [unrolled: 1-line block ×11, first 2 shown]
	v_mov_b32_e32 v125, v85
	v_mov_b32_e32 v126, v84
	;; [unrolled: 1-line block ×4, first 2 shown]
.LBB1324_127:
	s_or_b64 exec, exec, s[8:9]
	v_and_b32_e32 v129, 1, v123
	v_and_b32_e32 v40, 1, v124
	;; [unrolled: 1-line block ×4, first 2 shown]
	s_cmp_lg_u32 s33, 0
	v_lshrrev_b32_e32 v130, 8, v128
	v_cmp_eq_u32_e32 vcc, 1, v129
	v_lshrrev_b32_e32 v41, 8, v127
	v_cmp_eq_u32_e64 s[48:49], 1, v40
	v_lshrrev_b32_e32 v37, 8, v126
	v_cmp_eq_u32_e64 s[50:51], 1, v33
	;; [unrolled: 2-line block ×3, first 2 shown]
	v_mbcnt_lo_u32_b32 v29, -1, 0
	s_waitcnt lgkmcnt(0)
	; wave barrier
	s_cbranch_scc0 .LBB1324_190
; %bb.128:
	v_mov_b32_e32 v4, 0
	v_cmp_eq_u16_sdwa s[6:7], v128, v4 src0_sel:BYTE_0 src1_sel:DWORD
	v_cndmask_b32_e64 v9, 0, v2, s[6:7]
	v_and_b32_e32 v12, 1, v128
	s_movk_i32 s44, 0xff
	v_cndmask_b32_e64 v5, 0, v3, s[6:7]
	v_add_co_u32_e64 v9, s[4:5], v9, v18
	v_cmp_eq_u32_e64 s[52:53], 1, v12
	v_cmp_eq_u16_sdwa s[90:91], v130, v4 src0_sel:BYTE_0 src1_sel:DWORD
	v_and_b32_e32 v12, 0x100, v128
	v_addc_co_u32_e64 v5, s[4:5], v5, v19, s[4:5]
	v_cndmask_b32_e64 v9, 0, v9, s[90:91]
	v_cmp_ne_u32_e64 s[56:57], 0, v12
	v_and_b32_sdwa v12, v128, s44 dst_sel:DWORD dst_unused:UNUSED_PAD src0_sel:WORD_1 src1_sel:DWORD
	v_cndmask_b32_e64 v5, 0, v5, s[90:91]
	v_add_co_u32_e64 v9, s[4:5], v9, v6
	v_cmp_eq_u16_e64 s[92:93], 0, v12
	v_addc_co_u32_e64 v5, s[4:5], v5, v7, s[4:5]
	v_cndmask_b32_e64 v9, 0, v9, s[92:93]
	v_cndmask_b32_e64 v5, 0, v5, s[92:93]
	v_add_co_u32_e64 v9, s[4:5], v9, v26
	v_cmp_eq_u16_sdwa s[66:67], v128, v4 src0_sel:BYTE_3 src1_sel:DWORD
	v_addc_co_u32_e64 v5, s[4:5], v5, v27, s[4:5]
	v_cndmask_b32_e64 v9, 0, v9, s[66:67]
	v_cndmask_b32_e64 v5, 0, v5, s[66:67]
	v_add_co_u32_e64 v9, s[4:5], v9, v14
	v_cmp_eq_u16_sdwa s[16:17], v123, v4 src0_sel:BYTE_0 src1_sel:DWORD
	v_writelane_b32 v131, s2, 15
	v_and_b32_e32 v12, 0x10000, v128
	v_addc_co_u32_e64 v5, s[4:5], v5, v15, s[4:5]
	v_cndmask_b32_e64 v9, 0, v9, s[16:17]
	v_writelane_b32 v131, s3, 16
	s_mov_b64 s[94:95], s[58:59]
	v_cmp_ne_u32_e64 s[58:59], 0, v12
	v_and_b32_e32 v12, 0x1000000, v128
	v_cndmask_b32_e64 v5, 0, v5, s[16:17]
	v_add_co_u32_e64 v9, s[4:5], v9, v34
	v_cmp_eq_u16_sdwa s[2:3], v127, v4 src0_sel:BYTE_0 src1_sel:DWORD
	s_mov_b64 s[0:1], s[60:61]
	v_cmp_ne_u32_e64 s[60:61], 0, v12
	v_addc_co_u32_e64 v5, s[4:5], v5, v35, s[4:5]
	v_cndmask_b32_e64 v9, 0, v9, s[2:3]
	v_and_b32_e32 v12, 1, v127
	v_cndmask_b32_e64 v5, 0, v5, s[2:3]
	v_add_co_u32_e64 v9, s[4:5], v9, v22
	v_cmp_eq_u32_e64 s[62:63], 1, v12
	v_cmp_eq_u16_sdwa s[18:19], v41, v4 src0_sel:BYTE_0 src1_sel:DWORD
	v_and_b32_e32 v12, 0x100, v127
	v_addc_co_u32_e64 v5, s[4:5], v5, v23, s[4:5]
	v_cndmask_b32_e64 v9, 0, v9, s[18:19]
	v_cmp_ne_u32_e64 s[64:65], 0, v12
	v_and_b32_sdwa v12, v127, s44 dst_sel:DWORD dst_unused:UNUSED_PAD src0_sel:WORD_1 src1_sel:DWORD
	v_cndmask_b32_e64 v5, 0, v5, s[18:19]
	v_add_co_u32_e64 v9, s[4:5], v9, v42
	v_cmp_eq_u16_e64 s[20:21], 0, v12
	v_addc_co_u32_e64 v5, s[4:5], v5, v43, s[4:5]
	v_cndmask_b32_e64 v9, 0, v9, s[20:21]
	v_cndmask_b32_e64 v5, 0, v5, s[20:21]
	v_add_co_u32_e64 v9, s[4:5], v9, v30
	v_cmp_eq_u16_sdwa s[22:23], v127, v4 src0_sel:BYTE_3 src1_sel:DWORD
	v_addc_co_u32_e64 v5, s[4:5], v5, v31, s[4:5]
	v_cndmask_b32_e64 v9, 0, v9, s[22:23]
	v_cndmask_b32_e64 v5, 0, v5, s[22:23]
	v_add_co_u32_e64 v9, s[24:25], v9, v50
	v_cmp_eq_u16_sdwa s[26:27], v124, v4 src0_sel:BYTE_0 src1_sel:DWORD
	v_addc_co_u32_e64 v5, s[24:25], v5, v51, s[24:25]
	v_cndmask_b32_e64 v9, 0, v9, s[26:27]
	v_cndmask_b32_e64 v5, 0, v5, s[26:27]
	v_add_co_u32_e64 v9, s[24:25], v9, v38
	v_addc_co_u32_e64 v5, s[24:25], v5, v39, s[24:25]
	v_cmp_eq_u16_sdwa s[24:25], v126, v4 src0_sel:BYTE_0 src1_sel:DWORD
	v_cndmask_b32_e64 v9, 0, v9, s[24:25]
	v_cndmask_b32_e64 v5, 0, v5, s[24:25]
	v_add_co_u32_e64 v9, s[28:29], v9, v58
	v_and_b32_e32 v12, 0x10000, v127
	v_addc_co_u32_e64 v5, s[28:29], v5, v59, s[28:29]
	s_mov_b64 s[8:9], s[68:69]
	v_cmp_ne_u32_e64 s[4:5], 0, v12
	v_and_b32_e32 v12, 0x1000000, v127
	v_cmp_eq_u16_sdwa s[28:29], v37, v4 src0_sel:BYTE_0 src1_sel:DWORD
	s_mov_b64 s[10:11], s[70:71]
	s_mov_b64 s[12:13], s[72:73]
	s_mov_b32 s14, s74
	v_cmp_ne_u32_e64 s[68:69], 0, v12
	v_and_b32_e32 v12, 1, v126
	v_cndmask_b32_e64 v9, 0, v9, s[28:29]
	v_cmp_eq_u32_e64 s[70:71], 1, v12
	v_cndmask_b32_e64 v5, 0, v5, s[28:29]
	v_add_co_u32_e64 v9, s[30:31], v9, v46
	v_and_b32_e32 v12, 0x100, v126
	v_addc_co_u32_e64 v5, s[30:31], v5, v47, s[30:31]
	v_cmp_ne_u32_e64 s[72:73], 0, v12
	v_and_b32_sdwa v12, v126, s44 dst_sel:DWORD dst_unused:UNUSED_PAD src0_sel:WORD_1 src1_sel:DWORD
	v_cmp_eq_u16_e64 s[30:31], 0, v12
	v_cndmask_b32_e64 v9, 0, v9, s[30:31]
	v_cndmask_b32_e64 v5, 0, v5, s[30:31]
	v_add_co_u32_e64 v9, s[34:35], v9, v66
	v_addc_co_u32_e64 v5, s[34:35], v5, v67, s[34:35]
	v_cmp_eq_u16_sdwa s[34:35], v126, v4 src0_sel:BYTE_3 src1_sel:DWORD
	v_cndmask_b32_e64 v9, 0, v9, s[34:35]
	v_cndmask_b32_e64 v5, 0, v5, s[34:35]
	v_add_co_u32_e64 v9, s[36:37], v9, v54
	v_cmp_eq_u16_sdwa s[38:39], v122, v4 src0_sel:BYTE_0 src1_sel:DWORD
	v_addc_co_u32_e64 v5, s[36:37], v5, v55, s[36:37]
	v_cndmask_b32_e64 v9, 0, v9, s[38:39]
	v_cndmask_b32_e64 v5, 0, v5, s[38:39]
	v_add_co_u32_e64 v9, s[36:37], v9, v74
	v_addc_co_u32_e64 v5, s[36:37], v5, v75, s[36:37]
	v_cmp_eq_u16_sdwa s[36:37], v125, v4 src0_sel:BYTE_0 src1_sel:DWORD
	v_cndmask_b32_e64 v9, 0, v9, s[36:37]
	v_cndmask_b32_e64 v5, 0, v5, s[36:37]
	v_add_co_u32_e64 v9, s[40:41], v9, v62
	v_and_b32_e32 v12, 0x10000, v126
	v_addc_co_u32_e64 v5, s[40:41], v5, v63, s[40:41]
	v_cmp_ne_u32_e64 s[74:75], 0, v12
	v_and_b32_e32 v12, 0x1000000, v126
	v_cmp_eq_u16_sdwa s[40:41], v36, v4 src0_sel:BYTE_0 src1_sel:DWORD
	v_cmp_ne_u32_e64 s[76:77], 0, v12
	v_and_b32_e32 v12, 1, v125
	v_cndmask_b32_e64 v9, 0, v9, s[40:41]
	v_cmp_eq_u32_e64 s[78:79], 1, v12
	v_cndmask_b32_e64 v5, 0, v5, s[40:41]
	v_add_co_u32_e64 v9, s[42:43], v9, v78
	v_and_b32_e32 v12, 0x100, v125
	v_addc_co_u32_e64 v5, s[42:43], v5, v79, s[42:43]
	v_cmp_ne_u32_e64 s[80:81], 0, v12
	v_and_b32_sdwa v12, v125, s44 dst_sel:DWORD dst_unused:UNUSED_PAD src0_sel:WORD_1 src1_sel:DWORD
	v_cmp_eq_u16_e64 s[42:43], 0, v12
	v_and_b32_e32 v12, 0x10000, v125
	v_cmp_ne_u32_e64 s[82:83], 0, v12
	v_and_b32_e32 v12, 0x1000000, v125
	v_cmp_ne_u32_e64 s[84:85], 0, v12
	s_or_b64 s[54:55], s[54:55], s[84:85]
	s_or_b64 s[54:55], s[54:55], s[82:83]
	;; [unrolled: 1-line block ×9, first 2 shown]
	v_cndmask_b32_e64 v9, 0, v9, s[42:43]
	s_or_b64 s[48:49], s[50:51], s[48:49]
	v_cndmask_b32_e64 v5, 0, v5, s[42:43]
	v_add_co_u32_e64 v9, s[44:45], v9, v70
	s_or_b64 s[48:49], s[48:49], s[68:69]
	v_addc_co_u32_e64 v5, s[44:45], v5, v71, s[44:45]
	s_or_b64 s[4:5], s[48:49], s[4:5]
	v_cmp_eq_u16_sdwa s[44:45], v125, v4 src0_sel:BYTE_3 src1_sel:DWORD
	s_or_b64 s[4:5], s[4:5], s[64:65]
	v_cndmask_b32_e64 v9, 0, v9, s[44:45]
	s_or_b64 s[4:5], s[4:5], s[62:63]
	v_cndmask_b32_e64 v5, 0, v5, s[44:45]
	v_add_co_u32_e64 v9, s[46:47], v9, v10
	s_or_b64 s[4:5], s[4:5], vcc
	v_addc_co_u32_e64 v5, s[46:47], v5, v11, s[46:47]
	s_or_b64 s[4:5], s[4:5], s[60:61]
	v_cmp_eq_u16_sdwa s[46:47], v28, v4 src0_sel:BYTE_0 src1_sel:DWORD
	s_or_b64 s[4:5], s[4:5], s[58:59]
	v_cndmask_b32_e64 v4, 0, v9, s[46:47]
	s_or_b64 s[4:5], s[4:5], s[56:57]
	v_and_b32_e32 v8, 0xff, v1
	v_cndmask_b32_e64 v5, 0, v5, s[46:47]
	v_add_co_u32_e64 v4, s[86:87], v4, v20
	s_or_b64 s[4:5], s[4:5], s[52:53]
	v_mbcnt_hi_u32_b32 v9, -1, v29
	v_addc_co_u32_e64 v5, s[86:87], v5, v21, s[86:87]
	v_cndmask_b32_e64 v8, v8, 1, s[4:5]
	v_and_b32_e32 v12, 15, v9
	v_mov_b32_dpp v16, v4 row_shr:1 row_mask:0xf bank_mask:0xf
	v_mov_b32_dpp v17, v5 row_shr:1 row_mask:0xf bank_mask:0xf
	;; [unrolled: 1-line block ×3, first 2 shown]
	v_cmp_ne_u32_e32 vcc, 0, v12
	s_and_saveexec_b64 s[4:5], vcc
; %bb.129:
	v_cmp_eq_u32_e32 vcc, 0, v8
	v_cndmask_b32_e32 v16, 0, v16, vcc
	v_cndmask_b32_e32 v17, 0, v17, vcc
	v_add_co_u32_e32 v4, vcc, v16, v4
	v_addc_co_u32_e32 v5, vcc, v17, v5, vcc
	v_and_or_b32 v8, v13, 1, v8
; %bb.130:
	s_or_b64 exec, exec, s[4:5]
	v_mov_b32_dpp v16, v4 row_shr:2 row_mask:0xf bank_mask:0xf
	v_mov_b32_dpp v17, v5 row_shr:2 row_mask:0xf bank_mask:0xf
	v_mov_b32_dpp v13, v8 row_shr:2 row_mask:0xf bank_mask:0xf
	v_cmp_lt_u32_e32 vcc, 1, v12
	s_and_saveexec_b64 s[4:5], vcc
; %bb.131:
	v_cmp_eq_u32_e32 vcc, 0, v8
	v_cndmask_b32_e32 v16, 0, v16, vcc
	v_cndmask_b32_e32 v17, 0, v17, vcc
	v_add_co_u32_e32 v4, vcc, v16, v4
	v_or_b32_e32 v8, v13, v8
	v_addc_co_u32_e32 v5, vcc, v17, v5, vcc
	v_and_b32_e32 v8, 1, v8
; %bb.132:
	s_or_b64 exec, exec, s[4:5]
	v_mov_b32_dpp v16, v4 row_shr:4 row_mask:0xf bank_mask:0xf
	v_mov_b32_dpp v17, v5 row_shr:4 row_mask:0xf bank_mask:0xf
	;; [unrolled: 1-line block ×3, first 2 shown]
	v_cmp_lt_u32_e32 vcc, 3, v12
	s_and_saveexec_b64 s[4:5], vcc
	s_mov_b32 s74, s14
	s_mov_b64 s[58:59], s[94:95]
	s_mov_b64 s[72:73], s[12:13]
	;; [unrolled: 1-line block ×5, first 2 shown]
; %bb.133:
	v_cmp_eq_u32_e32 vcc, 0, v8
	v_cndmask_b32_e32 v16, 0, v16, vcc
	v_cndmask_b32_e32 v17, 0, v17, vcc
	v_add_co_u32_e32 v4, vcc, v16, v4
	v_or_b32_e32 v8, v13, v8
	v_addc_co_u32_e32 v5, vcc, v17, v5, vcc
	v_and_b32_e32 v8, 1, v8
; %bb.134:
	s_or_b64 exec, exec, s[4:5]
	v_mov_b32_dpp v16, v4 row_shr:8 row_mask:0xf bank_mask:0xf
	v_mov_b32_dpp v17, v5 row_shr:8 row_mask:0xf bank_mask:0xf
	v_mov_b32_dpp v13, v8 row_shr:8 row_mask:0xf bank_mask:0xf
	v_cmp_lt_u32_e32 vcc, 7, v12
	s_and_saveexec_b64 s[4:5], vcc
; %bb.135:
	v_cmp_eq_u32_e32 vcc, 0, v8
	v_cndmask_b32_e32 v16, 0, v16, vcc
	v_cndmask_b32_e32 v12, 0, v17, vcc
	v_add_co_u32_e32 v4, vcc, v16, v4
	v_or_b32_e32 v8, v13, v8
	v_addc_co_u32_e32 v5, vcc, v12, v5, vcc
	v_and_b32_e32 v8, 1, v8
; %bb.136:
	s_or_b64 exec, exec, s[4:5]
	v_and_b32_e32 v17, 16, v9
	v_mov_b32_dpp v13, v4 row_bcast:15 row_mask:0xf bank_mask:0xf
	v_mov_b32_dpp v16, v5 row_bcast:15 row_mask:0xf bank_mask:0xf
	;; [unrolled: 1-line block ×3, first 2 shown]
	v_cmp_ne_u32_e32 vcc, 0, v17
	s_and_saveexec_b64 s[4:5], vcc
; %bb.137:
	v_cmp_eq_u32_e32 vcc, 0, v8
	v_cndmask_b32_e32 v13, 0, v13, vcc
	v_cndmask_b32_e32 v16, 0, v16, vcc
	v_add_co_u32_e32 v4, vcc, v13, v4
	v_or_b32_e32 v8, v12, v8
	v_addc_co_u32_e32 v5, vcc, v16, v5, vcc
	v_and_b32_e32 v8, 1, v8
; %bb.138:
	s_or_b64 exec, exec, s[4:5]
	v_mov_b32_dpp v16, v4 row_bcast:31 row_mask:0xf bank_mask:0xf
	v_mov_b32_dpp v17, v5 row_bcast:31 row_mask:0xf bank_mask:0xf
	;; [unrolled: 1-line block ×3, first 2 shown]
	v_cmp_lt_u32_e32 vcc, 31, v9
	v_mov_b32_e32 v12, v8
	s_and_saveexec_b64 s[4:5], vcc
; %bb.139:
	v_cmp_eq_u32_e32 vcc, 0, v8
	v_cndmask_b32_e32 v16, 0, v16, vcc
	v_cndmask_b32_e32 v12, 0, v17, vcc
	v_add_co_u32_e32 v4, vcc, v16, v4
	v_or_b32_e32 v8, v13, v8
	v_addc_co_u32_e32 v5, vcc, v12, v5, vcc
	v_and_b32_e32 v12, 1, v8
	v_and_b32_e32 v8, 1, v8
; %bb.140:
	s_or_b64 exec, exec, s[4:5]
	v_cmp_eq_u32_e32 vcc, 63, v0
	s_and_saveexec_b64 s[4:5], vcc
	s_cbranch_execz .LBB1324_142
; %bb.141:
	v_mov_b32_e32 v13, 0
	ds_write_b64 v13, v[4:5]
	ds_write_b8 v13, v12 offset:8
.LBB1324_142:
	s_or_b64 exec, exec, s[4:5]
	v_add_u32_e32 v12, -1, v9
	v_and_b32_e32 v13, 64, v9
	v_cmp_lt_i32_e32 vcc, v12, v13
	v_cndmask_b32_e32 v12, v12, v9, vcc
	v_lshlrev_b32_e32 v12, 2, v12
	ds_bpermute_b32 v45, v12, v4
	ds_bpermute_b32 v48, v12, v5
	ds_bpermute_b32 v44, v12, v8
	v_cmp_gt_u32_e32 vcc, 64, v0
	s_waitcnt lgkmcnt(0)
	; wave barrier
	s_waitcnt lgkmcnt(0)
	s_and_saveexec_b64 s[50:51], vcc
	s_cbranch_execz .LBB1324_189
; %bb.143:
	v_mov_b32_e32 v13, 0
	ds_read_b64 v[4:5], v13
	ds_read_u8 v49, v13 offset:8
	s_mov_b32 s53, 0
	v_cmp_eq_u32_e64 s[48:49], 0, v9
	s_and_saveexec_b64 s[4:5], s[48:49]
	s_cbranch_execz .LBB1324_145
; %bb.144:
	s_add_i32 s52, s33, 64
	s_lshl_b64 s[54:55], s[52:53], 4
	s_add_u32 s54, s68, s54
	s_addc_u32 s55, s69, s55
	v_mov_b32_e32 v8, s52
	v_mov_b32_e32 v12, 1
	s_waitcnt lgkmcnt(1)
	global_store_dwordx2 v13, v[4:5], s[54:55]
	s_waitcnt lgkmcnt(0)
	global_store_byte v13, v49, s[54:55] offset:8
	s_waitcnt vmcnt(0)
	buffer_wbinvl1_vol
	global_store_byte v8, v12, s[72:73]
.LBB1324_145:
	s_or_b64 exec, exec, s[4:5]
	v_xad_u32 v8, v9, -1, s33
	v_add_u32_e32 v12, 64, v8
	global_load_ubyte v52, v12, s[72:73] glc
	s_waitcnt vmcnt(0)
	v_cmp_eq_u16_e32 vcc, 0, v52
	s_and_saveexec_b64 s[4:5], vcc
	s_cbranch_execz .LBB1324_151
; %bb.146:
	v_mov_b32_e32 v17, s73
	v_add_co_u32_e32 v16, vcc, s72, v12
	v_addc_co_u32_e32 v17, vcc, 0, v17, vcc
	s_mov_b32 s54, 1
	s_mov_b64 s[52:53], 0
.LBB1324_147:                           ; =>This Loop Header: Depth=1
                                        ;     Child Loop BB1324_148 Depth 2
	s_max_u32 s55, s54, 1
.LBB1324_148:                           ;   Parent Loop BB1324_147 Depth=1
                                        ; =>  This Inner Loop Header: Depth=2
	s_add_i32 s55, s55, -1
	s_cmp_eq_u32 s55, 0
	s_sleep 1
	s_cbranch_scc0 .LBB1324_148
; %bb.149:                              ;   in Loop: Header=BB1324_147 Depth=1
	global_load_ubyte v52, v[16:17], off glc
	s_cmp_lt_u32 s54, 32
	s_cselect_b64 s[56:57], -1, 0
	s_cmp_lg_u64 s[56:57], 0
	s_addc_u32 s54, s54, 0
	s_waitcnt vmcnt(0)
	v_cmp_ne_u16_e32 vcc, 0, v52
	s_or_b64 s[52:53], vcc, s[52:53]
	s_andn2_b64 exec, exec, s[52:53]
	s_cbranch_execnz .LBB1324_147
; %bb.150:
	s_or_b64 exec, exec, s[52:53]
.LBB1324_151:
	s_or_b64 exec, exec, s[4:5]
	v_mov_b32_e32 v16, s71
	v_mov_b32_e32 v17, s69
	v_cmp_eq_u16_e32 vcc, 1, v52
	v_cndmask_b32_e32 v16, v16, v17, vcc
	v_mov_b32_e32 v17, s70
	v_mov_b32_e32 v24, s68
	v_cndmask_b32_e32 v17, v17, v24, vcc
	v_lshlrev_b64 v[12:13], 4, v[12:13]
	v_add_co_u32_e32 v12, vcc, v17, v12
	v_addc_co_u32_e32 v13, vcc, v16, v13, vcc
	s_waitcnt lgkmcnt(0)
	buffer_wbinvl1_vol
	global_load_dwordx2 v[24:25], v[12:13], off
	global_load_ubyte v81, v[12:13], off offset:8
	v_cmp_eq_u16_e32 vcc, 2, v52
	v_lshlrev_b64 v[12:13], v9, -1
	v_and_b32_e32 v53, 63, v9
	v_and_b32_e32 v16, vcc_hi, v13
	v_and_b32_e32 v64, vcc_lo, v12
	v_cmp_ne_u32_e32 vcc, 63, v53
	v_addc_co_u32_e32 v17, vcc, 0, v9, vcc
	v_lshlrev_b32_e32 v56, 2, v17
	v_or_b32_e32 v16, 0x80000000, v16
	v_ffbl_b32_e32 v16, v16
	v_add_u32_e32 v16, 32, v16
	v_ffbl_b32_e32 v64, v64
	v_min_u32_e32 v16, v64, v16
	v_cmp_lt_u32_e32 vcc, v53, v16
	s_waitcnt vmcnt(1)
	ds_bpermute_b32 v60, v56, v24
	s_waitcnt vmcnt(0)
	v_and_b32_e32 v17, 1, v81
	ds_bpermute_b32 v61, v56, v25
	ds_bpermute_b32 v57, v56, v17
	s_and_saveexec_b64 s[4:5], vcc
	s_cbranch_execz .LBB1324_153
; %bb.152:
	v_mov_b32_e32 v17, 0
	v_cmp_eq_u16_sdwa vcc, v81, v17 src0_sel:BYTE_0 src1_sel:DWORD
	s_waitcnt lgkmcnt(2)
	v_cndmask_b32_e32 v60, 0, v60, vcc
	s_waitcnt lgkmcnt(1)
	v_cndmask_b32_e32 v17, 0, v61, vcc
	v_add_co_u32_e32 v24, vcc, v60, v24
	v_addc_co_u32_e32 v25, vcc, v17, v25, vcc
	s_waitcnt lgkmcnt(0)
	v_and_b32_e32 v17, 1, v57
	v_or_b32_e32 v81, v17, v81
	v_and_b32_e32 v17, 0xff, v81
.LBB1324_153:
	s_or_b64 exec, exec, s[4:5]
	v_cmp_gt_u32_e32 vcc, 62, v53
	s_waitcnt lgkmcnt(0)
	v_cndmask_b32_e64 v57, 0, 1, vcc
	v_lshlrev_b32_e32 v57, 1, v57
	v_add_lshl_u32 v57, v57, v9, 2
	ds_bpermute_b32 v64, v57, v24
	ds_bpermute_b32 v65, v57, v25
	ds_bpermute_b32 v61, v57, v17
	v_add_u32_e32 v60, 2, v53
	v_cmp_le_u32_e32 vcc, v60, v16
	s_and_saveexec_b64 s[52:53], vcc
	s_cbranch_execz .LBB1324_155
; %bb.154:
	v_mov_b32_e32 v17, 0
	v_cmp_eq_u16_sdwa vcc, v81, v17 src0_sel:BYTE_0 src1_sel:DWORD
	s_waitcnt lgkmcnt(2)
	v_cndmask_b32_e32 v64, 0, v64, vcc
	s_waitcnt lgkmcnt(1)
	v_cndmask_b32_e32 v17, 0, v65, vcc
	v_add_co_u32_e32 v24, vcc, v64, v24
	v_addc_co_u32_e32 v25, vcc, v17, v25, vcc
	v_and_b32_e32 v17, 1, v81
	v_cmp_eq_u32_e32 vcc, 1, v17
	s_waitcnt lgkmcnt(0)
	v_and_b32_e32 v17, 1, v61
	v_cmp_eq_u32_e64 s[4:5], 1, v17
	s_or_b64 s[4:5], vcc, s[4:5]
	v_cndmask_b32_e64 v81, 0, 1, s[4:5]
	v_cndmask_b32_e64 v17, 0, 1, s[4:5]
.LBB1324_155:
	s_or_b64 exec, exec, s[52:53]
	v_cmp_gt_u32_e32 vcc, 60, v53
	s_waitcnt lgkmcnt(0)
	v_cndmask_b32_e64 v61, 0, 1, vcc
	v_lshlrev_b32_e32 v61, 2, v61
	v_add_lshl_u32 v61, v61, v9, 2
	ds_bpermute_b32 v68, v61, v24
	ds_bpermute_b32 v69, v61, v25
	ds_bpermute_b32 v65, v61, v17
	v_add_u32_e32 v64, 4, v53
	v_cmp_le_u32_e32 vcc, v64, v16
	s_and_saveexec_b64 s[52:53], vcc
	s_cbranch_execz .LBB1324_157
; %bb.156:
	v_mov_b32_e32 v17, 0
	v_cmp_eq_u16_sdwa vcc, v81, v17 src0_sel:BYTE_0 src1_sel:DWORD
	s_waitcnt lgkmcnt(2)
	v_cndmask_b32_e32 v68, 0, v68, vcc
	s_waitcnt lgkmcnt(1)
	v_cndmask_b32_e32 v17, 0, v69, vcc
	v_add_co_u32_e32 v24, vcc, v68, v24
	v_addc_co_u32_e32 v25, vcc, v17, v25, vcc
	v_and_b32_e32 v17, 1, v81
	v_cmp_eq_u32_e32 vcc, 1, v17
	s_waitcnt lgkmcnt(0)
	v_and_b32_e32 v17, 1, v65
	v_cmp_eq_u32_e64 s[4:5], 1, v17
	s_or_b64 s[4:5], vcc, s[4:5]
	v_cndmask_b32_e64 v81, 0, 1, s[4:5]
	v_cndmask_b32_e64 v17, 0, 1, s[4:5]
.LBB1324_157:
	;; [unrolled: 31-line block ×4, first 2 shown]
	s_or_b64 exec, exec, s[52:53]
	v_cmp_gt_u32_e32 vcc, 32, v53
	s_waitcnt lgkmcnt(0)
	v_cndmask_b32_e64 v73, 0, 1, vcc
	v_lshlrev_b32_e32 v73, 5, v73
	v_add_lshl_u32 v76, v73, v9, 2
	ds_bpermute_b32 v73, v76, v24
	ds_bpermute_b32 v80, v76, v25
	;; [unrolled: 1-line block ×3, first 2 shown]
	v_add_u32_e32 v77, 32, v53
	v_cmp_le_u32_e32 vcc, v77, v16
	s_and_saveexec_b64 s[52:53], vcc
	s_cbranch_execz .LBB1324_163
; %bb.162:
	v_mov_b32_e32 v16, 0
	v_cmp_eq_u16_sdwa vcc, v81, v16 src0_sel:BYTE_0 src1_sel:DWORD
	s_waitcnt lgkmcnt(2)
	v_cndmask_b32_e32 v17, 0, v73, vcc
	s_waitcnt lgkmcnt(1)
	v_cndmask_b32_e32 v16, 0, v80, vcc
	v_add_co_u32_e32 v24, vcc, v17, v24
	v_addc_co_u32_e32 v25, vcc, v16, v25, vcc
	v_and_b32_e32 v16, 1, v81
	s_waitcnt lgkmcnt(0)
	v_and_b32_e32 v9, 1, v9
	v_cmp_eq_u32_e32 vcc, 1, v16
	v_cmp_eq_u32_e64 s[4:5], 1, v9
	s_or_b64 s[4:5], vcc, s[4:5]
	v_cndmask_b32_e64 v81, 0, 1, s[4:5]
.LBB1324_163:
	s_or_b64 exec, exec, s[52:53]
	s_waitcnt lgkmcnt(0)
	v_mov_b32_e32 v9, 0
	v_mov_b32_e32 v80, 2
	s_branch .LBB1324_165
.LBB1324_164:                           ;   in Loop: Header=BB1324_165 Depth=1
	s_or_b64 exec, exec, s[54:55]
	v_cmp_eq_u16_sdwa vcc, v73, v9 src0_sel:BYTE_0 src1_sel:DWORD
	v_cndmask_b32_e32 v24, 0, v24, vcc
	v_cndmask_b32_e32 v25, 0, v25, vcc
	v_add_co_u32_e32 v24, vcc, v24, v16
	v_addc_co_u32_e32 v25, vcc, v25, v17, vcc
	v_and_b32_e32 v81, 1, v73
	v_cmp_eq_u32_e32 vcc, 1, v81
	s_or_b64 s[4:5], vcc, s[52:53]
	v_subrev_u32_e32 v8, 64, v8
	v_cndmask_b32_e64 v81, 0, 1, s[4:5]
.LBB1324_165:                           ; =>This Loop Header: Depth=1
                                        ;     Child Loop BB1324_168 Depth 2
                                        ;       Child Loop BB1324_169 Depth 3
	v_cmp_ne_u16_sdwa s[4:5], v52, v80 src0_sel:BYTE_0 src1_sel:DWORD
	v_cndmask_b32_e64 v16, 0, 1, s[4:5]
	;;#ASMSTART
	;;#ASMEND
	v_cmp_ne_u32_e32 vcc, 0, v16
	v_mov_b32_e32 v73, v81
	s_cmp_lg_u64 vcc, exec
	v_pk_mov_b32 v[16:17], v[24:25], v[24:25] op_sel:[0,1]
	s_cbranch_scc1 .LBB1324_184
; %bb.166:                              ;   in Loop: Header=BB1324_165 Depth=1
	global_load_ubyte v52, v8, s[72:73] glc
	s_waitcnt vmcnt(0)
	v_cmp_eq_u16_e32 vcc, 0, v52
	s_and_saveexec_b64 s[4:5], vcc
	s_cbranch_execz .LBB1324_172
; %bb.167:                              ;   in Loop: Header=BB1324_165 Depth=1
	v_mov_b32_e32 v25, s73
	v_add_co_u32_e32 v24, vcc, s72, v8
	v_addc_co_u32_e32 v25, vcc, 0, v25, vcc
	s_mov_b32 s54, 1
	s_mov_b64 s[52:53], 0
.LBB1324_168:                           ;   Parent Loop BB1324_165 Depth=1
                                        ; =>  This Loop Header: Depth=2
                                        ;       Child Loop BB1324_169 Depth 3
	s_max_u32 s55, s54, 1
.LBB1324_169:                           ;   Parent Loop BB1324_165 Depth=1
                                        ;     Parent Loop BB1324_168 Depth=2
                                        ; =>    This Inner Loop Header: Depth=3
	s_add_i32 s55, s55, -1
	s_cmp_eq_u32 s55, 0
	s_sleep 1
	s_cbranch_scc0 .LBB1324_169
; %bb.170:                              ;   in Loop: Header=BB1324_168 Depth=2
	global_load_ubyte v52, v[24:25], off glc
	s_cmp_lt_u32 s54, 32
	s_cselect_b64 s[56:57], -1, 0
	s_cmp_lg_u64 s[56:57], 0
	s_addc_u32 s54, s54, 0
	s_waitcnt vmcnt(0)
	v_cmp_ne_u16_e32 vcc, 0, v52
	s_or_b64 s[52:53], vcc, s[52:53]
	s_andn2_b64 exec, exec, s[52:53]
	s_cbranch_execnz .LBB1324_168
; %bb.171:                              ;   in Loop: Header=BB1324_165 Depth=1
	s_or_b64 exec, exec, s[52:53]
.LBB1324_172:                           ;   in Loop: Header=BB1324_165 Depth=1
	s_or_b64 exec, exec, s[4:5]
	v_mov_b32_e32 v24, s71
	v_mov_b32_e32 v25, s69
	v_cmp_eq_u16_e32 vcc, 1, v52
	v_cndmask_b32_e32 v81, v24, v25, vcc
	v_mov_b32_e32 v24, s70
	v_mov_b32_e32 v25, s68
	v_cndmask_b32_e32 v82, v24, v25, vcc
	v_lshlrev_b64 v[24:25], 4, v[8:9]
	v_add_co_u32_e32 v82, vcc, v82, v24
	s_waitcnt lgkmcnt(0)
	v_addc_co_u32_e32 v83, vcc, v81, v25, vcc
	buffer_wbinvl1_vol
	global_load_dwordx2 v[24:25], v[82:83], off
	global_load_ubyte v81, v[82:83], off offset:8
	v_cmp_eq_u16_e32 vcc, 2, v52
	v_and_b32_e32 v82, vcc_hi, v13
	v_or_b32_e32 v82, 0x80000000, v82
	v_and_b32_e32 v87, vcc_lo, v12
	v_ffbl_b32_e32 v82, v82
	v_add_u32_e32 v82, 32, v82
	v_ffbl_b32_e32 v87, v87
	v_min_u32_e32 v82, v87, v82
	v_cmp_lt_u32_e32 vcc, v53, v82
	s_waitcnt vmcnt(1)
	ds_bpermute_b32 v85, v56, v24
	s_waitcnt vmcnt(0)
	v_and_b32_e32 v83, 1, v81
	ds_bpermute_b32 v86, v56, v25
	ds_bpermute_b32 v84, v56, v83
	s_and_saveexec_b64 s[4:5], vcc
	s_cbranch_execz .LBB1324_174
; %bb.173:                              ;   in Loop: Header=BB1324_165 Depth=1
	v_cmp_eq_u16_sdwa vcc, v81, v9 src0_sel:BYTE_0 src1_sel:DWORD
	s_waitcnt lgkmcnt(2)
	v_cndmask_b32_e32 v85, 0, v85, vcc
	s_waitcnt lgkmcnt(1)
	v_cndmask_b32_e32 v83, 0, v86, vcc
	v_add_co_u32_e32 v24, vcc, v85, v24
	v_addc_co_u32_e32 v25, vcc, v83, v25, vcc
	s_waitcnt lgkmcnt(0)
	v_and_b32_e32 v83, 1, v84
	v_or_b32_e32 v81, v83, v81
	v_and_b32_e32 v83, 0xff, v81
.LBB1324_174:                           ;   in Loop: Header=BB1324_165 Depth=1
	s_or_b64 exec, exec, s[4:5]
	s_waitcnt lgkmcnt(2)
	ds_bpermute_b32 v85, v57, v24
	s_waitcnt lgkmcnt(2)
	ds_bpermute_b32 v86, v57, v25
	;; [unrolled: 2-line block ×3, first 2 shown]
	v_and_b32_e32 v87, 1, v81
	v_cmp_le_u32_e32 vcc, v60, v82
	v_cmp_eq_u32_e64 s[52:53], 1, v87
	s_and_saveexec_b64 s[4:5], vcc
	s_cbranch_execz .LBB1324_176
; %bb.175:                              ;   in Loop: Header=BB1324_165 Depth=1
	v_cmp_eq_u16_sdwa vcc, v81, v9 src0_sel:BYTE_0 src1_sel:DWORD
	s_waitcnt lgkmcnt(2)
	v_cndmask_b32_e32 v83, 0, v85, vcc
	s_waitcnt lgkmcnt(1)
	v_cndmask_b32_e32 v81, 0, v86, vcc
	v_add_co_u32_e32 v24, vcc, v83, v24
	v_addc_co_u32_e32 v25, vcc, v81, v25, vcc
	s_waitcnt lgkmcnt(0)
	v_and_b32_e32 v81, 1, v84
	v_cmp_eq_u32_e32 vcc, 1, v81
	s_or_b64 s[54:55], s[52:53], vcc
	v_cndmask_b32_e64 v81, 0, 1, s[54:55]
	v_cndmask_b32_e64 v83, 0, 1, s[54:55]
	s_andn2_b64 s[52:53], s[52:53], exec
	s_and_b64 s[54:55], s[54:55], exec
	s_or_b64 s[52:53], s[52:53], s[54:55]
.LBB1324_176:                           ;   in Loop: Header=BB1324_165 Depth=1
	s_or_b64 exec, exec, s[4:5]
	s_waitcnt lgkmcnt(2)
	ds_bpermute_b32 v85, v61, v24
	s_waitcnt lgkmcnt(2)
	ds_bpermute_b32 v86, v61, v25
	s_waitcnt lgkmcnt(2)
	ds_bpermute_b32 v84, v61, v83
	v_cmp_le_u32_e32 vcc, v64, v82
	s_and_saveexec_b64 s[54:55], vcc
	s_cbranch_execz .LBB1324_178
; %bb.177:                              ;   in Loop: Header=BB1324_165 Depth=1
	v_cmp_eq_u16_sdwa vcc, v81, v9 src0_sel:BYTE_0 src1_sel:DWORD
	s_waitcnt lgkmcnt(2)
	v_cndmask_b32_e32 v85, 0, v85, vcc
	s_waitcnt lgkmcnt(1)
	v_cndmask_b32_e32 v83, 0, v86, vcc
	v_add_co_u32_e32 v24, vcc, v85, v24
	v_addc_co_u32_e32 v25, vcc, v83, v25, vcc
	v_and_b32_e32 v81, 1, v81
	v_cmp_eq_u32_e32 vcc, 1, v81
	s_waitcnt lgkmcnt(0)
	v_and_b32_e32 v81, 1, v84
	v_cmp_eq_u32_e64 s[4:5], 1, v81
	s_or_b64 s[4:5], vcc, s[4:5]
	v_cndmask_b32_e64 v81, 0, 1, s[4:5]
	v_cndmask_b32_e64 v83, 0, 1, s[4:5]
	s_andn2_b64 s[52:53], s[52:53], exec
	s_and_b64 s[4:5], s[4:5], exec
	s_or_b64 s[52:53], s[52:53], s[4:5]
.LBB1324_178:                           ;   in Loop: Header=BB1324_165 Depth=1
	s_or_b64 exec, exec, s[54:55]
	s_waitcnt lgkmcnt(2)
	ds_bpermute_b32 v85, v65, v24
	s_waitcnt lgkmcnt(2)
	ds_bpermute_b32 v86, v65, v25
	s_waitcnt lgkmcnt(2)
	ds_bpermute_b32 v84, v65, v83
	v_cmp_le_u32_e32 vcc, v68, v82
	s_and_saveexec_b64 s[54:55], vcc
	s_cbranch_execz .LBB1324_180
; %bb.179:                              ;   in Loop: Header=BB1324_165 Depth=1
	v_cmp_eq_u16_sdwa vcc, v81, v9 src0_sel:BYTE_0 src1_sel:DWORD
	s_waitcnt lgkmcnt(2)
	v_cndmask_b32_e32 v85, 0, v85, vcc
	s_waitcnt lgkmcnt(1)
	v_cndmask_b32_e32 v83, 0, v86, vcc
	v_add_co_u32_e32 v24, vcc, v85, v24
	v_addc_co_u32_e32 v25, vcc, v83, v25, vcc
	v_and_b32_e32 v81, 1, v81
	v_cmp_eq_u32_e32 vcc, 1, v81
	s_waitcnt lgkmcnt(0)
	v_and_b32_e32 v81, 1, v84
	v_cmp_eq_u32_e64 s[4:5], 1, v81
	s_or_b64 s[4:5], vcc, s[4:5]
	v_cndmask_b32_e64 v81, 0, 1, s[4:5]
	v_cndmask_b32_e64 v83, 0, 1, s[4:5]
	s_andn2_b64 s[52:53], s[52:53], exec
	s_and_b64 s[4:5], s[4:5], exec
	s_or_b64 s[52:53], s[52:53], s[4:5]
.LBB1324_180:                           ;   in Loop: Header=BB1324_165 Depth=1
	;; [unrolled: 30-line block ×3, first 2 shown]
	s_or_b64 exec, exec, s[54:55]
	s_waitcnt lgkmcnt(0)
	ds_bpermute_b32 v84, v76, v24
	ds_bpermute_b32 v85, v76, v25
	;; [unrolled: 1-line block ×3, first 2 shown]
	v_cmp_le_u32_e32 vcc, v77, v82
	s_and_saveexec_b64 s[54:55], vcc
	s_cbranch_execz .LBB1324_164
; %bb.183:                              ;   in Loop: Header=BB1324_165 Depth=1
	v_cmp_eq_u16_sdwa vcc, v81, v9 src0_sel:BYTE_0 src1_sel:DWORD
	s_waitcnt lgkmcnt(2)
	v_cndmask_b32_e32 v84, 0, v84, vcc
	s_waitcnt lgkmcnt(1)
	v_cndmask_b32_e32 v82, 0, v85, vcc
	v_add_co_u32_e32 v24, vcc, v84, v24
	v_addc_co_u32_e32 v25, vcc, v82, v25, vcc
	v_and_b32_e32 v81, 1, v81
	v_cmp_eq_u32_e32 vcc, 1, v81
	s_waitcnt lgkmcnt(0)
	v_and_b32_e32 v81, 1, v83
	v_cmp_eq_u32_e64 s[4:5], 1, v81
	s_or_b64 s[4:5], vcc, s[4:5]
	s_andn2_b64 s[52:53], s[52:53], exec
	s_and_b64 s[4:5], s[4:5], exec
	s_or_b64 s[52:53], s[52:53], s[4:5]
	s_branch .LBB1324_164
.LBB1324_184:                           ;   in Loop: Header=BB1324_165 Depth=1
                                        ; implicit-def: $vgpr81
                                        ; implicit-def: $vgpr24_vgpr25
                                        ; implicit-def: $vgpr52
	s_cbranch_execz .LBB1324_165
; %bb.185:
	s_and_saveexec_b64 s[4:5], s[48:49]
	s_cbranch_execz .LBB1324_187
; %bb.186:
	v_mov_b32_e32 v8, 0
	s_mov_b32 s49, 0
	v_cmp_eq_u16_sdwa vcc, v49, v8 src0_sel:BYTE_0 src1_sel:DWORD
	s_add_i32 s48, s33, 64
	v_cndmask_b32_e32 v12, 0, v16, vcc
	s_lshl_b64 s[52:53], s[48:49], 4
	v_cndmask_b32_e32 v9, 0, v17, vcc
	v_add_co_u32_e32 v4, vcc, v12, v4
	s_add_u32 s52, s70, s52
	v_addc_co_u32_e32 v5, vcc, v9, v5, vcc
	v_or_b32_e32 v9, v49, v73
	s_addc_u32 s53, s71, s53
	v_and_b32_e32 v9, 1, v9
	global_store_dwordx2 v8, v[4:5], s[52:53]
	global_store_byte v8, v9, s[52:53] offset:8
	v_mov_b32_e32 v4, s48
	v_mov_b32_e32 v5, 2
	s_waitcnt vmcnt(0) lgkmcnt(0)
	buffer_wbinvl1_vol
	global_store_byte v4, v5, s[72:73]
.LBB1324_187:
	s_or_b64 exec, exec, s[4:5]
	s_and_b64 exec, exec, s[88:89]
	s_cbranch_execz .LBB1324_189
; %bb.188:
	v_mov_b32_e32 v4, 0
	ds_write_b64 v4, v[16:17]
	ds_write_b8 v4, v73 offset:8
.LBB1324_189:
	s_or_b64 exec, exec, s[50:51]
	v_mov_b32_e32 v8, 0
	v_cmp_eq_u16_sdwa vcc, v1, v8 src0_sel:BYTE_0 src1_sel:DWORD
	v_and_b32_e32 v13, 1, v1
	v_cndmask_b32_e32 v9, 0, v45, vcc
	v_cndmask_b32_e32 v12, 0, v48, vcc
	v_cmp_eq_u32_e32 vcc, 1, v13
	v_and_b32_e32 v13, 1, v44
	s_waitcnt lgkmcnt(0)
	; wave barrier
	s_waitcnt lgkmcnt(0)
	ds_read_b64 v[4:5], v8
	v_cmp_eq_u32_e64 s[4:5], 1, v13
	s_or_b64 s[4:5], vcc, s[4:5]
	v_cndmask_b32_e64 v9, v9, 0, s[88:89]
	v_cndmask_b32_e64 v13, 0, 1, s[4:5]
	v_cndmask_b32_e64 v12, v12, 0, s[88:89]
	v_add_co_u32_e32 v9, vcc, v9, v2
	v_cndmask_b32_e64 v13, v13, v1, s[88:89]
	v_addc_co_u32_e32 v12, vcc, v12, v3, vcc
	v_cmp_eq_u16_sdwa vcc, v13, v8 src0_sel:BYTE_0 src1_sel:DWORD
	s_waitcnt lgkmcnt(0)
	v_cndmask_b32_e32 v4, 0, v4, vcc
	v_cndmask_b32_e32 v5, 0, v5, vcc
	v_add_co_u32_e32 v114, vcc, v9, v4
	v_addc_co_u32_e32 v115, vcc, v12, v5, vcc
	v_cndmask_b32_e64 v5, 0, v114, s[6:7]
	v_cndmask_b32_e64 v4, 0, v115, s[6:7]
	v_add_co_u32_e32 v44, vcc, v5, v18
	v_addc_co_u32_e32 v45, vcc, v4, v19, vcc
	v_cndmask_b32_e64 v5, 0, v44, s[90:91]
	v_cndmask_b32_e64 v4, 0, v45, s[90:91]
	;; [unrolled: 4-line block ×20, first 2 shown]
	v_add_co_u32_e32 v120, vcc, v5, v20
	v_readlane_b32 s2, v131, 15
	v_addc_co_u32_e32 v121, vcc, v4, v21, vcc
	v_readlane_b32 s3, v131, 16
	s_branch .LBB1324_212
.LBB1324_190:
                                        ; implicit-def: $vgpr112_vgpr113_vgpr114_vgpr115
                                        ; implicit-def: $vgpr120_vgpr121
                                        ; implicit-def: $vgpr118_vgpr119
                                        ; implicit-def: $vgpr76_vgpr77
                                        ; implicit-def: $vgpr72_vgpr73
                                        ; implicit-def: $vgpr68_vgpr69
                                        ; implicit-def: $vgpr64_vgpr65
                                        ; implicit-def: $vgpr60_vgpr61
                                        ; implicit-def: $vgpr56_vgpr57
                                        ; implicit-def: $vgpr52_vgpr53
                                        ; implicit-def: $vgpr48_vgpr49
                                        ; implicit-def: $vgpr44_vgpr45
                                        ; implicit-def: $vgpr108_vgpr109_vgpr110_vgpr111
                                        ; implicit-def: $vgpr104_vgpr105_vgpr106_vgpr107
                                        ; implicit-def: $vgpr100_vgpr101_vgpr102_vgpr103
                                        ; implicit-def: $vgpr96_vgpr97_vgpr98_vgpr99
                                        ; implicit-def: $vgpr92_vgpr93_vgpr94_vgpr95
                                        ; implicit-def: $vgpr88_vgpr89_vgpr90_vgpr91
                                        ; implicit-def: $vgpr84_vgpr85_vgpr86_vgpr87
                                        ; implicit-def: $vgpr80_vgpr81_vgpr82_vgpr83
                                        ; implicit-def: $vgpr114_vgpr115_vgpr116_vgpr117
	s_cbranch_execz .LBB1324_212
; %bb.191:
	v_readlane_b32 s4, v131, 0
	v_readlane_b32 s5, v131, 1
	s_cmp_lg_u64 s[4:5], 0
	v_readlane_b32 s4, v131, 4
	v_readlane_b32 s6, v131, 6
	;; [unrolled: 1-line block ×3, first 2 shown]
	s_cselect_b32 s7, s7, 0
	s_cselect_b32 s6, s6, 0
	v_readlane_b32 s5, v131, 5
	s_cmp_lg_u64 s[6:7], 0
	v_readlane_b32 s8, v131, 8
	v_readlane_b32 s9, v131, 9
	s_cselect_b64 s[4:5], -1, 0
	s_and_b64 s[8:9], s[88:89], s[4:5]
	v_readlane_b32 s10, v131, 10
	v_readlane_b32 s11, v131, 11
	s_and_saveexec_b64 s[4:5], s[8:9]
	s_cbranch_execz .LBB1324_193
; %bb.192:
	v_mov_b32_e32 v8, 0
	global_load_dwordx2 v[4:5], v8, s[6:7]
	global_load_ubyte v9, v8, s[6:7] offset:8
	v_cmp_eq_u16_sdwa vcc, v1, v8 src0_sel:BYTE_0 src1_sel:DWORD
	s_waitcnt vmcnt(1)
	v_cndmask_b32_e32 v4, 0, v4, vcc
	v_cndmask_b32_e32 v5, 0, v5, vcc
	s_waitcnt vmcnt(0)
	v_or_b32_e32 v1, v1, v9
	v_add_co_u32_e32 v2, vcc, v4, v2
	v_addc_co_u32_e32 v3, vcc, v5, v3, vcc
	v_and_b32_e32 v1, 1, v1
.LBB1324_193:
	s_or_b64 exec, exec, s[4:5]
	v_mov_b32_e32 v5, 0
	v_cmp_eq_u16_sdwa vcc, v128, v5 src0_sel:BYTE_0 src1_sel:DWORD
	v_cndmask_b32_e32 v9, 0, v2, vcc
	v_cndmask_b32_e32 v8, 0, v3, vcc
	v_add_co_u32_e64 v44, s[4:5], v9, v18
	v_cmp_eq_u16_sdwa s[6:7], v130, v5 src0_sel:BYTE_0 src1_sel:DWORD
	v_addc_co_u32_e64 v45, s[4:5], v8, v19, s[4:5]
	v_cndmask_b32_e64 v9, 0, v44, s[6:7]
	s_movk_i32 s42, 0xff
	v_cndmask_b32_e64 v8, 0, v45, s[6:7]
	v_add_co_u32_e64 v80, s[4:5], v9, v6
	v_addc_co_u32_e64 v81, s[4:5], v8, v7, s[4:5]
	v_and_b32_sdwa v8, v128, s42 dst_sel:DWORD dst_unused:UNUSED_PAD src0_sel:WORD_1 src1_sel:DWORD
	v_cmp_eq_u16_e64 s[8:9], 0, v8
	v_cndmask_b32_e64 v9, 0, v80, s[8:9]
	v_cndmask_b32_e64 v8, 0, v81, s[8:9]
	v_add_co_u32_e64 v48, s[4:5], v9, v26
	v_cmp_eq_u16_sdwa s[10:11], v128, v5 src0_sel:BYTE_3 src1_sel:DWORD
	v_addc_co_u32_e64 v49, s[4:5], v8, v27, s[4:5]
	v_cndmask_b32_e64 v9, 0, v48, s[10:11]
	v_cndmask_b32_e64 v8, 0, v49, s[10:11]
	v_add_co_u32_e64 v84, s[4:5], v9, v14
	v_cmp_eq_u16_sdwa s[12:13], v123, v5 src0_sel:BYTE_0 src1_sel:DWORD
	v_addc_co_u32_e64 v85, s[4:5], v8, v15, s[4:5]
	v_cndmask_b32_e64 v9, 0, v84, s[12:13]
	v_cndmask_b32_e64 v8, 0, v85, s[12:13]
	v_add_co_u32_e64 v52, s[4:5], v9, v34
	v_cmp_eq_u16_sdwa s[14:15], v127, v5 src0_sel:BYTE_0 src1_sel:DWORD
	;; [unrolled: 5-line block ×3, first 2 shown]
	v_addc_co_u32_e64 v89, s[4:5], v8, v23, s[4:5]
	v_cndmask_b32_e64 v9, 0, v88, s[16:17]
	v_cndmask_b32_e64 v8, 0, v89, s[16:17]
	v_add_co_u32_e64 v56, s[4:5], v9, v42
	v_addc_co_u32_e64 v57, s[4:5], v8, v43, s[4:5]
	v_and_b32_sdwa v8, v127, s42 dst_sel:DWORD dst_unused:UNUSED_PAD src0_sel:WORD_1 src1_sel:DWORD
	v_cmp_eq_u16_e64 s[18:19], 0, v8
	v_cndmask_b32_e64 v9, 0, v56, s[18:19]
	v_cndmask_b32_e64 v8, 0, v57, s[18:19]
	v_add_co_u32_e64 v92, s[4:5], v9, v30
	v_cmp_eq_u16_sdwa s[20:21], v127, v5 src0_sel:BYTE_3 src1_sel:DWORD
	v_addc_co_u32_e64 v93, s[4:5], v8, v31, s[4:5]
	v_cndmask_b32_e64 v9, 0, v92, s[20:21]
	v_cndmask_b32_e64 v8, 0, v93, s[20:21]
	v_add_co_u32_e64 v60, s[4:5], v9, v50
	v_cmp_eq_u16_sdwa s[22:23], v124, v5 src0_sel:BYTE_0 src1_sel:DWORD
	v_addc_co_u32_e64 v61, s[4:5], v8, v51, s[4:5]
	v_cndmask_b32_e64 v9, 0, v60, s[22:23]
	v_cndmask_b32_e64 v8, 0, v61, s[22:23]
	v_add_co_u32_e64 v96, s[4:5], v9, v38
	v_cmp_eq_u16_sdwa s[24:25], v126, v5 src0_sel:BYTE_0 src1_sel:DWORD
	v_addc_co_u32_e64 v97, s[4:5], v8, v39, s[4:5]
	v_cndmask_b32_e64 v9, 0, v96, s[24:25]
	v_cndmask_b32_e64 v8, 0, v97, s[24:25]
	v_add_co_u32_e64 v64, s[26:27], v9, v58
	v_addc_co_u32_e64 v65, s[26:27], v8, v59, s[26:27]
	v_cmp_eq_u16_sdwa s[26:27], v37, v5 src0_sel:BYTE_0 src1_sel:DWORD
	v_cndmask_b32_e64 v9, 0, v64, s[26:27]
	v_cndmask_b32_e64 v8, 0, v65, s[26:27]
	v_add_co_u32_e64 v100, s[28:29], v9, v46
	v_addc_co_u32_e64 v101, s[28:29], v8, v47, s[28:29]
	v_and_b32_sdwa v8, v126, s42 dst_sel:DWORD dst_unused:UNUSED_PAD src0_sel:WORD_1 src1_sel:DWORD
	v_cmp_eq_u16_e64 s[28:29], 0, v8
	v_cndmask_b32_e64 v9, 0, v100, s[28:29]
	v_cndmask_b32_e64 v8, 0, v101, s[28:29]
	v_add_co_u32_e64 v68, s[30:31], v9, v66
	v_addc_co_u32_e64 v69, s[30:31], v8, v67, s[30:31]
	v_cmp_eq_u16_sdwa s[30:31], v126, v5 src0_sel:BYTE_3 src1_sel:DWORD
	v_cndmask_b32_e64 v9, 0, v68, s[30:31]
	v_cndmask_b32_e64 v8, 0, v69, s[30:31]
	v_add_co_u32_e64 v104, s[34:35], v9, v54
	v_addc_co_u32_e64 v105, s[34:35], v8, v55, s[34:35]
	v_cmp_eq_u16_sdwa s[34:35], v122, v5 src0_sel:BYTE_0 src1_sel:DWORD
	v_cndmask_b32_e64 v9, 0, v104, s[34:35]
	v_cndmask_b32_e64 v8, 0, v105, s[34:35]
	v_add_co_u32_e64 v72, s[36:37], v9, v74
	v_addc_co_u32_e64 v73, s[36:37], v8, v75, s[36:37]
	v_cmp_eq_u16_sdwa s[36:37], v125, v5 src0_sel:BYTE_0 src1_sel:DWORD
	;; [unrolled: 5-line block ×3, first 2 shown]
	v_cndmask_b32_e64 v9, 0, v108, s[38:39]
	v_cndmask_b32_e64 v8, 0, v109, s[38:39]
	v_add_co_u32_e64 v76, s[40:41], v9, v78
	v_addc_co_u32_e64 v77, s[40:41], v8, v79, s[40:41]
	v_and_b32_sdwa v8, v125, s42 dst_sel:DWORD dst_unused:UNUSED_PAD src0_sel:WORD_1 src1_sel:DWORD
	v_cmp_eq_u16_e64 s[40:41], 0, v8
	v_cndmask_b32_e64 v9, 0, v76, s[40:41]
	v_cndmask_b32_e64 v8, 0, v77, s[40:41]
	v_add_co_u32_e64 v112, s[42:43], v9, v70
	v_addc_co_u32_e64 v113, s[42:43], v8, v71, s[42:43]
	v_cmp_eq_u16_sdwa s[42:43], v125, v5 src0_sel:BYTE_3 src1_sel:DWORD
	v_cndmask_b32_e64 v9, 0, v112, s[42:43]
	v_cndmask_b32_e64 v8, 0, v113, s[42:43]
	v_add_co_u32_e64 v118, s[44:45], v9, v10
	v_addc_co_u32_e64 v119, s[44:45], v8, v11, s[44:45]
	v_cmp_eq_u16_sdwa s[44:45], v28, v5 src0_sel:BYTE_0 src1_sel:DWORD
	v_cndmask_b32_e64 v8, 0, v118, s[44:45]
	v_cndmask_b32_e64 v5, 0, v119, s[44:45]
	v_add_co_u32_e64 v120, s[50:51], v8, v20
	v_addc_co_u32_e64 v121, s[50:51], v5, v21, s[50:51]
	v_or_b32_e32 v5, v125, v126
	v_or3_b32 v5, v5, v127, v128
	v_lshrrev_b16_e32 v9, 7, v5
	v_and_b32_e32 v8, 1, v5
	v_and_b32_e32 v9, 2, v9
	v_or_b32_e32 v8, v8, v9
	v_lshrrev_b32_e32 v9, 23, v5
	v_mov_b32_e32 v12, 1
	v_and_b32_e32 v9, 2, v9
	v_and_b32_sdwa v5, v5, v12 dst_sel:DWORD dst_unused:UNUSED_PAD src0_sel:WORD_1 src1_sel:DWORD
	v_or_b32_e32 v5, v5, v9
	v_lshlrev_b16_e32 v5, 2, v5
	v_or_b32_e32 v5, v8, v5
	v_cmp_eq_u32_e64 s[50:51], 1, v32
	v_cmp_ne_u16_e64 s[52:53], 0, v5
	v_cmp_eq_u32_e64 s[48:49], 1, v33
	s_or_b64 s[50:51], s[52:53], s[50:51]
	v_cmp_eq_u32_e64 s[4:5], 1, v40
	s_or_b64 s[48:49], s[50:51], s[48:49]
	;; [unrolled: 2-line block ×3, first 2 shown]
	v_and_b32_e32 v4, 0xff, v1
	s_or_b64 s[4:5], s[4:5], s[46:47]
	v_mbcnt_hi_u32_b32 v12, -1, v29
	v_cndmask_b32_e64 v13, v4, 1, s[4:5]
	v_and_b32_e32 v16, 15, v12
	v_mov_b32_dpp v24, v120 row_shr:1 row_mask:0xf bank_mask:0xf
	v_mov_b32_dpp v25, v121 row_shr:1 row_mask:0xf bank_mask:0xf
	;; [unrolled: 1-line block ×3, first 2 shown]
	v_cmp_ne_u32_e64 s[4:5], 0, v16
	v_pk_mov_b32 v[4:5], v[120:121], v[120:121] op_sel:[0,1]
	v_mov_b32_e32 v9, v121
	v_mov_b32_e32 v8, v120
	s_and_saveexec_b64 s[46:47], s[4:5]
; %bb.194:
	v_cmp_eq_u32_e64 s[4:5], 0, v13
	v_cndmask_b32_e64 v4, 0, v24, s[4:5]
	v_cndmask_b32_e64 v5, 0, v25, s[4:5]
	v_add_co_u32_e64 v4, s[4:5], v120, v4
	v_addc_co_u32_e64 v5, s[4:5], v121, v5, s[4:5]
	v_and_or_b32 v13, v17, 1, v13
	v_mov_b32_e32 v9, v5
	v_mov_b32_e32 v8, v4
; %bb.195:
	s_or_b64 exec, exec, s[46:47]
	s_nop 0
	v_mov_b32_dpp v24, v8 row_shr:2 row_mask:0xf bank_mask:0xf
	v_mov_b32_dpp v25, v9 row_shr:2 row_mask:0xf bank_mask:0xf
	v_mov_b32_dpp v17, v13 row_shr:2 row_mask:0xf bank_mask:0xf
	v_cmp_lt_u32_e64 s[4:5], 1, v16
	s_and_saveexec_b64 s[46:47], s[4:5]
; %bb.196:
	v_cmp_eq_u32_e64 s[4:5], 0, v13
	v_cndmask_b32_e64 v8, 0, v24, s[4:5]
	v_cndmask_b32_e64 v9, 0, v25, s[4:5]
	v_add_co_u32_e64 v8, s[4:5], v8, v4
	v_addc_co_u32_e64 v9, s[4:5], v9, v5, s[4:5]
	v_or_b32_e32 v4, v17, v13
	v_and_b32_e32 v13, 1, v4
	v_pk_mov_b32 v[4:5], v[8:9], v[8:9] op_sel:[0,1]
; %bb.197:
	s_or_b64 exec, exec, s[46:47]
	v_mov_b32_dpp v24, v8 row_shr:4 row_mask:0xf bank_mask:0xf
	v_mov_b32_dpp v25, v9 row_shr:4 row_mask:0xf bank_mask:0xf
	v_mov_b32_dpp v17, v13 row_shr:4 row_mask:0xf bank_mask:0xf
	v_cmp_lt_u32_e64 s[4:5], 3, v16
	s_and_saveexec_b64 s[46:47], s[4:5]
; %bb.198:
	v_cmp_eq_u32_e64 s[4:5], 0, v13
	v_cndmask_b32_e64 v8, 0, v24, s[4:5]
	v_cndmask_b32_e64 v9, 0, v25, s[4:5]
	v_add_co_u32_e64 v8, s[4:5], v8, v4
	v_addc_co_u32_e64 v9, s[4:5], v9, v5, s[4:5]
	v_or_b32_e32 v4, v17, v13
	v_and_b32_e32 v13, 1, v4
	v_pk_mov_b32 v[4:5], v[8:9], v[8:9] op_sel:[0,1]
; %bb.199:
	s_or_b64 exec, exec, s[46:47]
	;; [unrolled: 16-line block ×3, first 2 shown]
	v_and_b32_e32 v25, 16, v12
	v_mov_b32_dpp v17, v8 row_bcast:15 row_mask:0xf bank_mask:0xf
	v_mov_b32_dpp v24, v9 row_bcast:15 row_mask:0xf bank_mask:0xf
	v_mov_b32_dpp v16, v13 row_bcast:15 row_mask:0xf bank_mask:0xf
	v_cmp_ne_u32_e64 s[4:5], 0, v25
	s_and_saveexec_b64 s[46:47], s[4:5]
; %bb.202:
	v_cmp_eq_u32_e64 s[4:5], 0, v13
	v_cndmask_b32_e64 v9, 0, v17, s[4:5]
	v_cndmask_b32_e64 v8, 0, v24, s[4:5]
	v_add_co_u32_e64 v4, s[4:5], v9, v4
	v_addc_co_u32_e64 v5, s[4:5], v8, v5, s[4:5]
	v_or_b32_e32 v8, v16, v13
	v_and_b32_e32 v13, 1, v8
	v_mov_b32_e32 v9, v5
	v_mov_b32_e32 v8, v4
; %bb.203:
	s_or_b64 exec, exec, s[46:47]
	s_nop 0
	v_mov_b32_dpp v16, v8 row_bcast:31 row_mask:0xf bank_mask:0xf
	v_mov_b32_dpp v9, v9 row_bcast:31 row_mask:0xf bank_mask:0xf
	;; [unrolled: 1-line block ×3, first 2 shown]
	v_cmp_lt_u32_e64 s[4:5], 31, v12
	s_and_saveexec_b64 s[46:47], s[4:5]
; %bb.204:
	v_cmp_eq_u32_e64 s[4:5], 0, v13
	v_cndmask_b32_e64 v16, 0, v16, s[4:5]
	v_cndmask_b32_e64 v9, 0, v9, s[4:5]
	v_add_co_u32_e64 v4, s[4:5], v16, v4
	v_or_b32_e32 v8, v8, v13
	v_addc_co_u32_e64 v5, s[4:5], v9, v5, s[4:5]
	v_and_b32_e32 v13, 1, v8
; %bb.205:
	s_or_b64 exec, exec, s[46:47]
	v_cmp_eq_u32_e64 s[4:5], 63, v0
	s_and_saveexec_b64 s[46:47], s[4:5]
	s_cbranch_execz .LBB1324_207
; %bb.206:
	v_mov_b32_e32 v8, 0
	ds_write_b64 v8, v[4:5]
	ds_write_b8 v8, v13 offset:8
.LBB1324_207:
	s_or_b64 exec, exec, s[46:47]
	v_add_u32_e32 v8, -1, v12
	v_and_b32_e32 v9, 64, v12
	v_cmp_lt_i32_e64 s[4:5], v8, v9
	v_cndmask_b32_e64 v8, v8, v12, s[4:5]
	v_lshlrev_b32_e32 v8, 2, v8
	ds_bpermute_b32 v4, v8, v4
	ds_bpermute_b32 v5, v8, v5
	s_waitcnt lgkmcnt(0)
	; wave barrier
	s_waitcnt lgkmcnt(0)
	s_mov_b64 s[46:47], exec
	v_readlane_b32 s4, v131, 2
	v_readlane_b32 s5, v131, 3
	s_and_b64 s[4:5], s[46:47], s[4:5]
	s_mov_b64 exec, s[4:5]
	s_cbranch_execz .LBB1324_209
; %bb.208:
	v_mov_b32_e32 v8, 0
	v_cmp_eq_u16_sdwa s[4:5], v1, v8 src0_sel:BYTE_0 src1_sel:DWORD
	v_cndmask_b32_e64 v4, 0, v4, s[4:5]
	v_cndmask_b32_e64 v1, 0, v5, s[4:5]
	v_add_co_u32_e64 v2, s[4:5], v4, v2
	v_addc_co_u32_e64 v3, s[4:5], v1, v3, s[4:5]
	v_cndmask_b32_e32 v4, 0, v2, vcc
	v_cndmask_b32_e32 v1, 0, v3, vcc
	v_add_co_u32_e32 v44, vcc, v4, v18
	v_addc_co_u32_e32 v45, vcc, v1, v19, vcc
	v_cndmask_b32_e64 v4, 0, v44, s[6:7]
	v_cndmask_b32_e64 v1, 0, v45, s[6:7]
	v_add_co_u32_e32 v80, vcc, v4, v6
	v_addc_co_u32_e32 v81, vcc, v1, v7, vcc
	v_cndmask_b32_e64 v4, 0, v80, s[8:9]
	v_cndmask_b32_e64 v1, 0, v81, s[8:9]
	;; [unrolled: 4-line block ×19, first 2 shown]
	v_add_co_u32_e32 v120, vcc, v4, v20
	v_addc_co_u32_e32 v121, vcc, v1, v21, vcc
	;;#ASMSTART
	;;#ASMEND
.LBB1324_209:
	s_or_b64 exec, exec, s[46:47]
	s_and_saveexec_b64 s[4:5], s[88:89]
	s_cbranch_execz .LBB1324_211
; %bb.210:
	v_mov_b32_e32 v1, 0
	ds_read_b64 v[4:5], v1
	ds_read_u8 v6, v1 offset:8
	v_mov_b32_e32 v7, 2
	s_waitcnt lgkmcnt(1)
	global_store_dwordx2 v1, v[4:5], s[70:71] offset:1024
	s_waitcnt lgkmcnt(0)
	global_store_byte v1, v6, s[70:71] offset:1032
	s_waitcnt vmcnt(0)
	buffer_wbinvl1_vol
	global_store_byte v1, v7, s[72:73] offset:64
.LBB1324_211:
	s_or_b64 exec, exec, s[4:5]
	v_pk_mov_b32 v[114:115], v[2:3], v[2:3] op_sel:[0,1]
.LBB1324_212:
	s_add_u32 s0, s58, s60
	s_addc_u32 s1, s59, s61
	s_add_u32 s4, s0, s2
	s_addc_u32 s5, s1, s3
	v_readlane_b32 s0, v131, 12
	v_readlane_b32 s1, v131, 13
	s_and_b64 vcc, exec, s[0:1]
	v_lshlrev_b32_e32 v46, 3, v0
	s_cbranch_vccz .LBB1324_254
; %bb.213:
	v_readlane_b32 s0, v131, 14
	s_add_i32 s33, s0, s74
	s_movk_i32 s0, 0xa8
	v_mul_i32_i24_e32 v50, 0xffffff60, v0
	v_mul_u32_u24_e32 v47, 0xa8, v0
	v_mad_u32_u24 v2, v0, s0, v50
	s_waitcnt lgkmcnt(0)
	; wave barrier
	ds_write2_b64 v47, v[114:115], v[44:45] offset1:1
	ds_write2_b64 v47, v[80:81], v[48:49] offset0:2 offset1:3
	ds_write2_b64 v47, v[84:85], v[52:53] offset0:4 offset1:5
	;; [unrolled: 1-line block ×9, first 2 shown]
	ds_write_b64 v47, v[120:121] offset:160
	s_waitcnt lgkmcnt(0)
	; wave barrier
	s_waitcnt lgkmcnt(0)
	ds_read2st64_b64 v[38:41], v2 offset0:1 offset1:2
	ds_read2st64_b64 v[34:37], v2 offset0:3 offset1:4
	;; [unrolled: 1-line block ×10, first 2 shown]
	v_mov_b32_e32 v43, s5
	v_add_co_u32_e32 v42, vcc, s4, v46
	v_addc_co_u32_e32 v43, vcc, 0, v43, vcc
	v_mov_b32_e32 v1, 0
	v_cmp_gt_u32_e32 vcc, s33, v0
	s_and_saveexec_b64 s[0:1], vcc
	s_cbranch_execz .LBB1324_215
; %bb.214:
	v_add_u32_e32 v47, v47, v50
	ds_read_b64 v[50:51], v47
	s_waitcnt lgkmcnt(0)
	flat_store_dwordx2 v[42:43], v[50:51]
.LBB1324_215:
	s_or_b64 exec, exec, s[0:1]
	v_or_b32_e32 v47, 64, v0
	v_cmp_gt_u32_e32 vcc, s33, v47
	s_and_saveexec_b64 s[0:1], vcc
	s_cbranch_execz .LBB1324_217
; %bb.216:
	s_waitcnt lgkmcnt(0)
	flat_store_dwordx2 v[42:43], v[38:39] offset:512
.LBB1324_217:
	s_or_b64 exec, exec, s[0:1]
	s_waitcnt lgkmcnt(0)
	v_or_b32_e32 v38, 0x80, v0
	v_cmp_gt_u32_e32 vcc, s33, v38
	s_and_saveexec_b64 s[0:1], vcc
	s_cbranch_execz .LBB1324_219
; %bb.218:
	flat_store_dwordx2 v[42:43], v[40:41] offset:1024
.LBB1324_219:
	s_or_b64 exec, exec, s[0:1]
	v_or_b32_e32 v38, 0xc0, v0
	v_cmp_gt_u32_e32 vcc, s33, v38
	s_and_saveexec_b64 s[0:1], vcc
	s_cbranch_execz .LBB1324_221
; %bb.220:
	flat_store_dwordx2 v[42:43], v[34:35] offset:1536
.LBB1324_221:
	s_or_b64 exec, exec, s[0:1]
	;; [unrolled: 8-line block ×6, first 2 shown]
	v_or_b32_e32 v26, 0x200, v0
	v_cmp_gt_u32_e32 vcc, s33, v26
	s_and_saveexec_b64 s[0:1], vcc
	s_cbranch_execz .LBB1324_231
; %bb.230:
	v_add_co_u32_e32 v26, vcc, 0x1000, v42
	v_addc_co_u32_e32 v27, vcc, 0, v43, vcc
	flat_store_dwordx2 v[26:27], v[28:29]
.LBB1324_231:
	s_or_b64 exec, exec, s[0:1]
	v_or_b32_e32 v26, 0x240, v0
	v_cmp_gt_u32_e32 vcc, s33, v26
	s_and_saveexec_b64 s[0:1], vcc
	s_cbranch_execz .LBB1324_233
; %bb.232:
	v_add_co_u32_e32 v26, vcc, 0x1000, v42
	v_addc_co_u32_e32 v27, vcc, 0, v43, vcc
	flat_store_dwordx2 v[26:27], v[22:23] offset:512
.LBB1324_233:
	s_or_b64 exec, exec, s[0:1]
	v_or_b32_e32 v22, 0x280, v0
	v_cmp_gt_u32_e32 vcc, s33, v22
	s_and_saveexec_b64 s[0:1], vcc
	s_cbranch_execz .LBB1324_235
; %bb.234:
	v_add_co_u32_e32 v22, vcc, 0x1000, v42
	v_addc_co_u32_e32 v23, vcc, 0, v43, vcc
	flat_store_dwordx2 v[22:23], v[24:25] offset:1024
.LBB1324_235:
	;; [unrolled: 10-line block ×7, first 2 shown]
	s_or_b64 exec, exec, s[0:1]
	v_or_b32_e32 v10, 0x400, v0
	v_cmp_gt_u32_e32 vcc, s33, v10
	s_and_saveexec_b64 s[0:1], vcc
	s_cbranch_execz .LBB1324_247
; %bb.246:
	v_add_co_u32_e32 v10, vcc, 0x2000, v42
	v_addc_co_u32_e32 v11, vcc, 0, v43, vcc
	flat_store_dwordx2 v[10:11], v[12:13]
.LBB1324_247:
	s_or_b64 exec, exec, s[0:1]
	v_or_b32_e32 v10, 0x440, v0
	v_cmp_gt_u32_e32 vcc, s33, v10
	s_and_saveexec_b64 s[0:1], vcc
	s_cbranch_execz .LBB1324_249
; %bb.248:
	v_add_co_u32_e32 v10, vcc, 0x2000, v42
	v_addc_co_u32_e32 v11, vcc, 0, v43, vcc
	flat_store_dwordx2 v[10:11], v[6:7] offset:512
.LBB1324_249:
	s_or_b64 exec, exec, s[0:1]
	v_or_b32_e32 v6, 0x480, v0
	v_cmp_gt_u32_e32 vcc, s33, v6
	s_and_saveexec_b64 s[0:1], vcc
	s_cbranch_execz .LBB1324_251
; %bb.250:
	v_add_co_u32_e32 v6, vcc, 0x2000, v42
	v_addc_co_u32_e32 v7, vcc, 0, v43, vcc
	flat_store_dwordx2 v[6:7], v[8:9] offset:1024
.LBB1324_251:
	;; [unrolled: 10-line block ×3, first 2 shown]
	s_or_b64 exec, exec, s[0:1]
	v_or_b32_e32 v2, 0x500, v0
	v_cmp_gt_u32_e64 s[0:1], s33, v2
	s_branch .LBB1324_256
.LBB1324_254:
	s_mov_b64 s[0:1], 0
                                        ; implicit-def: $vgpr4_vgpr5
	s_cbranch_execz .LBB1324_256
; %bb.255:
	s_movk_i32 s2, 0xa8
	v_mul_i32_i24_e32 v2, 0xffffff60, v0
	v_mul_u32_u24_e32 v1, 0xa8, v0
	v_mad_u32_u24 v2, v0, s2, v2
	s_waitcnt lgkmcnt(0)
	; wave barrier
	s_waitcnt lgkmcnt(0)
	ds_write2_b64 v1, v[114:115], v[44:45] offset1:1
	ds_write2_b64 v1, v[80:81], v[48:49] offset0:2 offset1:3
	ds_write2_b64 v1, v[84:85], v[52:53] offset0:4 offset1:5
	;; [unrolled: 1-line block ×9, first 2 shown]
	ds_write_b64 v1, v[120:121] offset:160
	s_waitcnt lgkmcnt(0)
	; wave barrier
	s_waitcnt lgkmcnt(0)
	ds_read2st64_b64 v[6:9], v2 offset1:1
	ds_read2st64_b64 v[10:13], v2 offset0:2 offset1:3
	ds_read2st64_b64 v[14:17], v2 offset0:4 offset1:5
	;; [unrolled: 1-line block ×9, first 2 shown]
	ds_read_b64 v[4:5], v2 offset:10240
	v_mov_b32_e32 v3, s5
	v_add_co_u32_e32 v2, vcc, s4, v46
	v_addc_co_u32_e32 v3, vcc, 0, v3, vcc
	s_movk_i32 s2, 0x1000
	s_waitcnt lgkmcnt(0)
	flat_store_dwordx2 v[2:3], v[6:7]
	flat_store_dwordx2 v[2:3], v[8:9] offset:512
	flat_store_dwordx2 v[2:3], v[10:11] offset:1024
	;; [unrolled: 1-line block ×7, first 2 shown]
	v_add_co_u32_e32 v6, vcc, s2, v2
	v_addc_co_u32_e32 v7, vcc, 0, v3, vcc
	v_add_co_u32_e32 v2, vcc, 0x2000, v2
	v_mov_b32_e32 v1, 0
	v_addc_co_u32_e32 v3, vcc, 0, v3, vcc
	s_or_b64 s[0:1], s[0:1], exec
	flat_store_dwordx2 v[6:7], v[22:23]
	flat_store_dwordx2 v[6:7], v[24:25] offset:512
	flat_store_dwordx2 v[6:7], v[26:27] offset:1024
	;; [unrolled: 1-line block ×7, first 2 shown]
	flat_store_dwordx2 v[2:3], v[38:39]
	flat_store_dwordx2 v[2:3], v[40:41] offset:512
	flat_store_dwordx2 v[2:3], v[42:43] offset:1024
	;; [unrolled: 1-line block ×3, first 2 shown]
.LBB1324_256:
	s_and_saveexec_b64 s[2:3], s[0:1]
	s_cbranch_execnz .LBB1324_258
; %bb.257:
	s_endpgm
.LBB1324_258:
	v_lshlrev_b64 v[0:1], 3, v[0:1]
	v_mov_b32_e32 v2, s5
	v_add_co_u32_e32 v0, vcc, s4, v0
	v_addc_co_u32_e32 v1, vcc, v2, v1, vcc
	v_add_co_u32_e32 v0, vcc, 0x2000, v0
	v_addc_co_u32_e32 v1, vcc, 0, v1, vcc
	flat_store_dwordx2 v[0:1], v[4:5] offset:2048
	s_endpgm
.LBB1324_259:
	v_lshlrev_b32_e32 v2, 3, v0
	v_mov_b32_e32 v3, s63
	v_add_co_u32_e32 v2, vcc, s62, v2
	v_addc_co_u32_e32 v3, vcc, 0, v3, vcc
	flat_load_dwordx2 v[2:3], v[2:3]
	s_or_b64 exec, exec, s[4:5]
                                        ; implicit-def: $vgpr6_vgpr7
	s_and_saveexec_b64 s[4:5], s[8:9]
	s_cbranch_execz .LBB1324_55
.LBB1324_260:
	v_lshlrev_b32_e32 v6, 3, v0
	v_mov_b32_e32 v7, s63
	v_add_co_u32_e32 v6, vcc, s62, v6
	v_addc_co_u32_e32 v7, vcc, 0, v7, vcc
	flat_load_dwordx2 v[6:7], v[6:7] offset:512
	s_or_b64 exec, exec, s[4:5]
                                        ; implicit-def: $vgpr10_vgpr11
	s_and_saveexec_b64 s[4:5], s[10:11]
	s_cbranch_execz .LBB1324_56
.LBB1324_261:
	v_lshlrev_b32_e32 v10, 3, v0
	v_mov_b32_e32 v11, s63
	v_add_co_u32_e32 v10, vcc, s62, v10
	v_addc_co_u32_e32 v11, vcc, 0, v11, vcc
	flat_load_dwordx2 v[10:11], v[10:11] offset:1024
	s_or_b64 exec, exec, s[4:5]
                                        ; implicit-def: $vgpr14_vgpr15
	s_and_saveexec_b64 s[4:5], s[12:13]
	s_cbranch_execz .LBB1324_57
.LBB1324_262:
	v_lshlrev_b32_e32 v14, 3, v0
	v_mov_b32_e32 v15, s63
	v_add_co_u32_e32 v14, vcc, s62, v14
	v_addc_co_u32_e32 v15, vcc, 0, v15, vcc
	flat_load_dwordx2 v[14:15], v[14:15] offset:1536
	s_or_b64 exec, exec, s[4:5]
                                        ; implicit-def: $vgpr18_vgpr19
	s_and_saveexec_b64 s[4:5], s[14:15]
	s_cbranch_execz .LBB1324_58
.LBB1324_263:
	v_lshlrev_b32_e32 v18, 3, v0
	v_mov_b32_e32 v19, s63
	v_add_co_u32_e32 v18, vcc, s62, v18
	v_addc_co_u32_e32 v19, vcc, 0, v19, vcc
	flat_load_dwordx2 v[18:19], v[18:19] offset:2048
	s_or_b64 exec, exec, s[4:5]
                                        ; implicit-def: $vgpr20_vgpr21
	s_and_saveexec_b64 s[4:5], s[16:17]
	s_cbranch_execz .LBB1324_59
.LBB1324_264:
	v_lshlrev_b32_e32 v20, 3, v0
	v_mov_b32_e32 v21, s63
	v_add_co_u32_e32 v20, vcc, s62, v20
	v_addc_co_u32_e32 v21, vcc, 0, v21, vcc
	flat_load_dwordx2 v[20:21], v[20:21] offset:2560
	s_or_b64 exec, exec, s[4:5]
                                        ; implicit-def: $vgpr22_vgpr23
	s_and_saveexec_b64 s[4:5], s[18:19]
	s_cbranch_execz .LBB1324_60
.LBB1324_265:
	v_lshlrev_b32_e32 v22, 3, v0
	v_mov_b32_e32 v23, s63
	v_add_co_u32_e32 v22, vcc, s62, v22
	v_addc_co_u32_e32 v23, vcc, 0, v23, vcc
	flat_load_dwordx2 v[22:23], v[22:23] offset:3072
	s_or_b64 exec, exec, s[4:5]
                                        ; implicit-def: $vgpr26_vgpr27
	s_and_saveexec_b64 s[4:5], s[20:21]
	s_cbranch_execz .LBB1324_61
.LBB1324_266:
	v_lshlrev_b32_e32 v26, 3, v0
	v_mov_b32_e32 v27, s63
	v_add_co_u32_e32 v26, vcc, s62, v26
	v_addc_co_u32_e32 v27, vcc, 0, v27, vcc
	flat_load_dwordx2 v[26:27], v[26:27] offset:3584
	s_or_b64 exec, exec, s[4:5]
                                        ; implicit-def: $vgpr30_vgpr31
	s_and_saveexec_b64 s[4:5], s[22:23]
	s_cbranch_execz .LBB1324_62
.LBB1324_267:
	v_lshlrev_b32_e32 v1, 3, v1
	v_mov_b32_e32 v31, s63
	v_add_co_u32_e32 v30, vcc, s62, v1
	v_addc_co_u32_e32 v31, vcc, 0, v31, vcc
	flat_load_dwordx2 v[30:31], v[30:31]
	s_or_b64 exec, exec, s[4:5]
                                        ; implicit-def: $vgpr34_vgpr35
	s_and_saveexec_b64 s[4:5], s[24:25]
	s_cbranch_execz .LBB1324_63
.LBB1324_268:
	v_lshlrev_b32_e32 v1, 3, v38
	v_mov_b32_e32 v35, s63
	v_add_co_u32_e32 v34, vcc, s62, v1
	v_addc_co_u32_e32 v35, vcc, 0, v35, vcc
	flat_load_dwordx2 v[34:35], v[34:35]
	s_or_b64 exec, exec, s[4:5]
                                        ; implicit-def: $vgpr38_vgpr39
	s_and_saveexec_b64 s[4:5], s[26:27]
	s_cbranch_execz .LBB1324_64
.LBB1324_269:
	v_lshlrev_b32_e32 v1, 3, v42
	v_mov_b32_e32 v39, s63
	v_add_co_u32_e32 v38, vcc, s62, v1
	v_addc_co_u32_e32 v39, vcc, 0, v39, vcc
	flat_load_dwordx2 v[38:39], v[38:39]
	s_or_b64 exec, exec, s[4:5]
                                        ; implicit-def: $vgpr42_vgpr43
	s_and_saveexec_b64 s[4:5], s[28:29]
	s_cbranch_execz .LBB1324_65
.LBB1324_270:
	v_lshlrev_b32_e32 v1, 3, v46
	v_mov_b32_e32 v43, s63
	v_add_co_u32_e32 v42, vcc, s62, v1
	v_addc_co_u32_e32 v43, vcc, 0, v43, vcc
	flat_load_dwordx2 v[42:43], v[42:43]
	s_or_b64 exec, exec, s[4:5]
                                        ; implicit-def: $vgpr46_vgpr47
	s_and_saveexec_b64 s[4:5], s[30:31]
	s_cbranch_execz .LBB1324_66
.LBB1324_271:
	v_lshlrev_b32_e32 v1, 3, v48
	v_mov_b32_e32 v47, s63
	v_add_co_u32_e32 v46, vcc, s62, v1
	v_addc_co_u32_e32 v47, vcc, 0, v47, vcc
	flat_load_dwordx2 v[46:47], v[46:47]
	s_or_b64 exec, exec, s[4:5]
                                        ; implicit-def: $vgpr48_vgpr49
	s_and_saveexec_b64 s[4:5], s[34:35]
	s_cbranch_execz .LBB1324_67
.LBB1324_272:
	v_lshlrev_b32_e32 v1, 3, v50
	v_mov_b32_e32 v49, s63
	v_add_co_u32_e32 v48, vcc, s62, v1
	v_addc_co_u32_e32 v49, vcc, 0, v49, vcc
	flat_load_dwordx2 v[48:49], v[48:49]
	s_or_b64 exec, exec, s[4:5]
                                        ; implicit-def: $vgpr50_vgpr51
	s_and_saveexec_b64 s[4:5], s[36:37]
	s_cbranch_execz .LBB1324_68
.LBB1324_273:
	v_lshlrev_b32_e32 v1, 3, v52
	v_mov_b32_e32 v51, s63
	v_add_co_u32_e32 v50, vcc, s62, v1
	v_addc_co_u32_e32 v51, vcc, 0, v51, vcc
	flat_load_dwordx2 v[50:51], v[50:51]
	s_or_b64 exec, exec, s[4:5]
                                        ; implicit-def: $vgpr52_vgpr53
	s_and_saveexec_b64 s[4:5], s[38:39]
	s_cbranch_execz .LBB1324_69
.LBB1324_274:
	v_lshlrev_b32_e32 v1, 3, v54
	v_mov_b32_e32 v53, s63
	v_add_co_u32_e32 v52, vcc, s62, v1
	v_addc_co_u32_e32 v53, vcc, 0, v53, vcc
	flat_load_dwordx2 v[52:53], v[52:53]
	s_or_b64 exec, exec, s[4:5]
                                        ; implicit-def: $vgpr54_vgpr55
	s_and_saveexec_b64 s[4:5], s[40:41]
	s_cbranch_execz .LBB1324_70
.LBB1324_275:
	v_lshlrev_b32_e32 v1, 3, v56
	v_mov_b32_e32 v55, s63
	v_add_co_u32_e32 v54, vcc, s62, v1
	v_addc_co_u32_e32 v55, vcc, 0, v55, vcc
	flat_load_dwordx2 v[54:55], v[54:55]
	s_or_b64 exec, exec, s[4:5]
                                        ; implicit-def: $vgpr56_vgpr57
	s_and_saveexec_b64 s[4:5], s[42:43]
	s_cbranch_execz .LBB1324_71
.LBB1324_276:
	v_lshlrev_b32_e32 v1, 3, v58
	v_mov_b32_e32 v57, s63
	v_add_co_u32_e32 v56, vcc, s62, v1
	v_addc_co_u32_e32 v57, vcc, 0, v57, vcc
	flat_load_dwordx2 v[56:57], v[56:57]
	s_or_b64 exec, exec, s[4:5]
                                        ; implicit-def: $vgpr58_vgpr59
	s_and_saveexec_b64 s[4:5], s[44:45]
	s_cbranch_execz .LBB1324_72
.LBB1324_277:
	v_lshlrev_b32_e32 v1, 3, v60
	v_mov_b32_e32 v59, s63
	v_add_co_u32_e32 v58, vcc, s62, v1
	v_addc_co_u32_e32 v59, vcc, 0, v59, vcc
	flat_load_dwordx2 v[58:59], v[58:59]
	s_or_b64 exec, exec, s[4:5]
                                        ; implicit-def: $vgpr60_vgpr61
	s_and_saveexec_b64 s[4:5], s[46:47]
	s_cbranch_execz .LBB1324_73
.LBB1324_278:
	v_lshlrev_b32_e32 v1, 3, v62
	v_mov_b32_e32 v61, s63
	v_add_co_u32_e32 v60, vcc, s62, v1
	v_addc_co_u32_e32 v61, vcc, 0, v61, vcc
	flat_load_dwordx2 v[60:61], v[60:61]
	s_or_b64 exec, exec, s[4:5]
                                        ; implicit-def: $vgpr62_vgpr63
	s_and_saveexec_b64 s[4:5], s[48:49]
	s_cbranch_execnz .LBB1324_74
	s_branch .LBB1324_75
.LBB1324_279:
                                        ; implicit-def: $sgpr4_sgpr5
	s_branch .LBB1324_50
.LBB1324_280:
                                        ; implicit-def: $sgpr4_sgpr5
	s_branch .LBB1324_120
	.section	.rodata,"a",@progbits
	.p2align	6, 0x0
	.amdhsa_kernel _ZN7rocprim17ROCPRIM_400000_NS6detail17trampoline_kernelINS0_14default_configENS1_27scan_by_key_config_selectorIixEEZZNS1_16scan_by_key_implILNS1_25lookback_scan_determinismE0ELb0ES3_N6thrust23THRUST_200600_302600_NS6detail15normal_iteratorINS9_10device_ptrIiEEEENSB_INSC_IxEEEESG_xNS9_4plusIvEENS9_8equal_toIvEExEE10hipError_tPvRmT2_T3_T4_T5_mT6_T7_P12ihipStream_tbENKUlT_T0_E_clISt17integral_constantIbLb1EES11_EEDaSW_SX_EUlSW_E_NS1_11comp_targetILNS1_3genE4ELNS1_11target_archE910ELNS1_3gpuE8ELNS1_3repE0EEENS1_30default_config_static_selectorELNS0_4arch9wavefront6targetE1EEEvT1_
		.amdhsa_group_segment_fixed_size 10752
		.amdhsa_private_segment_fixed_size 0
		.amdhsa_kernarg_size 136
		.amdhsa_user_sgpr_count 6
		.amdhsa_user_sgpr_private_segment_buffer 1
		.amdhsa_user_sgpr_dispatch_ptr 0
		.amdhsa_user_sgpr_queue_ptr 0
		.amdhsa_user_sgpr_kernarg_segment_ptr 1
		.amdhsa_user_sgpr_dispatch_id 0
		.amdhsa_user_sgpr_flat_scratch_init 0
		.amdhsa_user_sgpr_kernarg_preload_length 0
		.amdhsa_user_sgpr_kernarg_preload_offset 0
		.amdhsa_user_sgpr_private_segment_size 0
		.amdhsa_uses_dynamic_stack 0
		.amdhsa_system_sgpr_private_segment_wavefront_offset 0
		.amdhsa_system_sgpr_workgroup_id_x 1
		.amdhsa_system_sgpr_workgroup_id_y 0
		.amdhsa_system_sgpr_workgroup_id_z 0
		.amdhsa_system_sgpr_workgroup_info 0
		.amdhsa_system_vgpr_workitem_id 0
		.amdhsa_next_free_vgpr 132
		.amdhsa_next_free_sgpr 96
		.amdhsa_accum_offset 132
		.amdhsa_reserve_vcc 1
		.amdhsa_reserve_flat_scratch 0
		.amdhsa_float_round_mode_32 0
		.amdhsa_float_round_mode_16_64 0
		.amdhsa_float_denorm_mode_32 3
		.amdhsa_float_denorm_mode_16_64 3
		.amdhsa_dx10_clamp 1
		.amdhsa_ieee_mode 1
		.amdhsa_fp16_overflow 0
		.amdhsa_tg_split 0
		.amdhsa_exception_fp_ieee_invalid_op 0
		.amdhsa_exception_fp_denorm_src 0
		.amdhsa_exception_fp_ieee_div_zero 0
		.amdhsa_exception_fp_ieee_overflow 0
		.amdhsa_exception_fp_ieee_underflow 0
		.amdhsa_exception_fp_ieee_inexact 0
		.amdhsa_exception_int_div_zero 0
	.end_amdhsa_kernel
	.section	.text._ZN7rocprim17ROCPRIM_400000_NS6detail17trampoline_kernelINS0_14default_configENS1_27scan_by_key_config_selectorIixEEZZNS1_16scan_by_key_implILNS1_25lookback_scan_determinismE0ELb0ES3_N6thrust23THRUST_200600_302600_NS6detail15normal_iteratorINS9_10device_ptrIiEEEENSB_INSC_IxEEEESG_xNS9_4plusIvEENS9_8equal_toIvEExEE10hipError_tPvRmT2_T3_T4_T5_mT6_T7_P12ihipStream_tbENKUlT_T0_E_clISt17integral_constantIbLb1EES11_EEDaSW_SX_EUlSW_E_NS1_11comp_targetILNS1_3genE4ELNS1_11target_archE910ELNS1_3gpuE8ELNS1_3repE0EEENS1_30default_config_static_selectorELNS0_4arch9wavefront6targetE1EEEvT1_,"axG",@progbits,_ZN7rocprim17ROCPRIM_400000_NS6detail17trampoline_kernelINS0_14default_configENS1_27scan_by_key_config_selectorIixEEZZNS1_16scan_by_key_implILNS1_25lookback_scan_determinismE0ELb0ES3_N6thrust23THRUST_200600_302600_NS6detail15normal_iteratorINS9_10device_ptrIiEEEENSB_INSC_IxEEEESG_xNS9_4plusIvEENS9_8equal_toIvEExEE10hipError_tPvRmT2_T3_T4_T5_mT6_T7_P12ihipStream_tbENKUlT_T0_E_clISt17integral_constantIbLb1EES11_EEDaSW_SX_EUlSW_E_NS1_11comp_targetILNS1_3genE4ELNS1_11target_archE910ELNS1_3gpuE8ELNS1_3repE0EEENS1_30default_config_static_selectorELNS0_4arch9wavefront6targetE1EEEvT1_,comdat
.Lfunc_end1324:
	.size	_ZN7rocprim17ROCPRIM_400000_NS6detail17trampoline_kernelINS0_14default_configENS1_27scan_by_key_config_selectorIixEEZZNS1_16scan_by_key_implILNS1_25lookback_scan_determinismE0ELb0ES3_N6thrust23THRUST_200600_302600_NS6detail15normal_iteratorINS9_10device_ptrIiEEEENSB_INSC_IxEEEESG_xNS9_4plusIvEENS9_8equal_toIvEExEE10hipError_tPvRmT2_T3_T4_T5_mT6_T7_P12ihipStream_tbENKUlT_T0_E_clISt17integral_constantIbLb1EES11_EEDaSW_SX_EUlSW_E_NS1_11comp_targetILNS1_3genE4ELNS1_11target_archE910ELNS1_3gpuE8ELNS1_3repE0EEENS1_30default_config_static_selectorELNS0_4arch9wavefront6targetE1EEEvT1_, .Lfunc_end1324-_ZN7rocprim17ROCPRIM_400000_NS6detail17trampoline_kernelINS0_14default_configENS1_27scan_by_key_config_selectorIixEEZZNS1_16scan_by_key_implILNS1_25lookback_scan_determinismE0ELb0ES3_N6thrust23THRUST_200600_302600_NS6detail15normal_iteratorINS9_10device_ptrIiEEEENSB_INSC_IxEEEESG_xNS9_4plusIvEENS9_8equal_toIvEExEE10hipError_tPvRmT2_T3_T4_T5_mT6_T7_P12ihipStream_tbENKUlT_T0_E_clISt17integral_constantIbLb1EES11_EEDaSW_SX_EUlSW_E_NS1_11comp_targetILNS1_3genE4ELNS1_11target_archE910ELNS1_3gpuE8ELNS1_3repE0EEENS1_30default_config_static_selectorELNS0_4arch9wavefront6targetE1EEEvT1_
                                        ; -- End function
	.section	.AMDGPU.csdata,"",@progbits
; Kernel info:
; codeLenInByte = 17272
; NumSgprs: 100
; NumVgprs: 132
; NumAgprs: 0
; TotalNumVgprs: 132
; ScratchSize: 0
; MemoryBound: 0
; FloatMode: 240
; IeeeMode: 1
; LDSByteSize: 10752 bytes/workgroup (compile time only)
; SGPRBlocks: 12
; VGPRBlocks: 16
; NumSGPRsForWavesPerEU: 100
; NumVGPRsForWavesPerEU: 132
; AccumOffset: 132
; Occupancy: 2
; WaveLimiterHint : 1
; COMPUTE_PGM_RSRC2:SCRATCH_EN: 0
; COMPUTE_PGM_RSRC2:USER_SGPR: 6
; COMPUTE_PGM_RSRC2:TRAP_HANDLER: 0
; COMPUTE_PGM_RSRC2:TGID_X_EN: 1
; COMPUTE_PGM_RSRC2:TGID_Y_EN: 0
; COMPUTE_PGM_RSRC2:TGID_Z_EN: 0
; COMPUTE_PGM_RSRC2:TIDIG_COMP_CNT: 0
; COMPUTE_PGM_RSRC3_GFX90A:ACCUM_OFFSET: 32
; COMPUTE_PGM_RSRC3_GFX90A:TG_SPLIT: 0
	.section	.text._ZN7rocprim17ROCPRIM_400000_NS6detail17trampoline_kernelINS0_14default_configENS1_27scan_by_key_config_selectorIixEEZZNS1_16scan_by_key_implILNS1_25lookback_scan_determinismE0ELb0ES3_N6thrust23THRUST_200600_302600_NS6detail15normal_iteratorINS9_10device_ptrIiEEEENSB_INSC_IxEEEESG_xNS9_4plusIvEENS9_8equal_toIvEExEE10hipError_tPvRmT2_T3_T4_T5_mT6_T7_P12ihipStream_tbENKUlT_T0_E_clISt17integral_constantIbLb1EES11_EEDaSW_SX_EUlSW_E_NS1_11comp_targetILNS1_3genE3ELNS1_11target_archE908ELNS1_3gpuE7ELNS1_3repE0EEENS1_30default_config_static_selectorELNS0_4arch9wavefront6targetE1EEEvT1_,"axG",@progbits,_ZN7rocprim17ROCPRIM_400000_NS6detail17trampoline_kernelINS0_14default_configENS1_27scan_by_key_config_selectorIixEEZZNS1_16scan_by_key_implILNS1_25lookback_scan_determinismE0ELb0ES3_N6thrust23THRUST_200600_302600_NS6detail15normal_iteratorINS9_10device_ptrIiEEEENSB_INSC_IxEEEESG_xNS9_4plusIvEENS9_8equal_toIvEExEE10hipError_tPvRmT2_T3_T4_T5_mT6_T7_P12ihipStream_tbENKUlT_T0_E_clISt17integral_constantIbLb1EES11_EEDaSW_SX_EUlSW_E_NS1_11comp_targetILNS1_3genE3ELNS1_11target_archE908ELNS1_3gpuE7ELNS1_3repE0EEENS1_30default_config_static_selectorELNS0_4arch9wavefront6targetE1EEEvT1_,comdat
	.protected	_ZN7rocprim17ROCPRIM_400000_NS6detail17trampoline_kernelINS0_14default_configENS1_27scan_by_key_config_selectorIixEEZZNS1_16scan_by_key_implILNS1_25lookback_scan_determinismE0ELb0ES3_N6thrust23THRUST_200600_302600_NS6detail15normal_iteratorINS9_10device_ptrIiEEEENSB_INSC_IxEEEESG_xNS9_4plusIvEENS9_8equal_toIvEExEE10hipError_tPvRmT2_T3_T4_T5_mT6_T7_P12ihipStream_tbENKUlT_T0_E_clISt17integral_constantIbLb1EES11_EEDaSW_SX_EUlSW_E_NS1_11comp_targetILNS1_3genE3ELNS1_11target_archE908ELNS1_3gpuE7ELNS1_3repE0EEENS1_30default_config_static_selectorELNS0_4arch9wavefront6targetE1EEEvT1_ ; -- Begin function _ZN7rocprim17ROCPRIM_400000_NS6detail17trampoline_kernelINS0_14default_configENS1_27scan_by_key_config_selectorIixEEZZNS1_16scan_by_key_implILNS1_25lookback_scan_determinismE0ELb0ES3_N6thrust23THRUST_200600_302600_NS6detail15normal_iteratorINS9_10device_ptrIiEEEENSB_INSC_IxEEEESG_xNS9_4plusIvEENS9_8equal_toIvEExEE10hipError_tPvRmT2_T3_T4_T5_mT6_T7_P12ihipStream_tbENKUlT_T0_E_clISt17integral_constantIbLb1EES11_EEDaSW_SX_EUlSW_E_NS1_11comp_targetILNS1_3genE3ELNS1_11target_archE908ELNS1_3gpuE7ELNS1_3repE0EEENS1_30default_config_static_selectorELNS0_4arch9wavefront6targetE1EEEvT1_
	.globl	_ZN7rocprim17ROCPRIM_400000_NS6detail17trampoline_kernelINS0_14default_configENS1_27scan_by_key_config_selectorIixEEZZNS1_16scan_by_key_implILNS1_25lookback_scan_determinismE0ELb0ES3_N6thrust23THRUST_200600_302600_NS6detail15normal_iteratorINS9_10device_ptrIiEEEENSB_INSC_IxEEEESG_xNS9_4plusIvEENS9_8equal_toIvEExEE10hipError_tPvRmT2_T3_T4_T5_mT6_T7_P12ihipStream_tbENKUlT_T0_E_clISt17integral_constantIbLb1EES11_EEDaSW_SX_EUlSW_E_NS1_11comp_targetILNS1_3genE3ELNS1_11target_archE908ELNS1_3gpuE7ELNS1_3repE0EEENS1_30default_config_static_selectorELNS0_4arch9wavefront6targetE1EEEvT1_
	.p2align	8
	.type	_ZN7rocprim17ROCPRIM_400000_NS6detail17trampoline_kernelINS0_14default_configENS1_27scan_by_key_config_selectorIixEEZZNS1_16scan_by_key_implILNS1_25lookback_scan_determinismE0ELb0ES3_N6thrust23THRUST_200600_302600_NS6detail15normal_iteratorINS9_10device_ptrIiEEEENSB_INSC_IxEEEESG_xNS9_4plusIvEENS9_8equal_toIvEExEE10hipError_tPvRmT2_T3_T4_T5_mT6_T7_P12ihipStream_tbENKUlT_T0_E_clISt17integral_constantIbLb1EES11_EEDaSW_SX_EUlSW_E_NS1_11comp_targetILNS1_3genE3ELNS1_11target_archE908ELNS1_3gpuE7ELNS1_3repE0EEENS1_30default_config_static_selectorELNS0_4arch9wavefront6targetE1EEEvT1_,@function
_ZN7rocprim17ROCPRIM_400000_NS6detail17trampoline_kernelINS0_14default_configENS1_27scan_by_key_config_selectorIixEEZZNS1_16scan_by_key_implILNS1_25lookback_scan_determinismE0ELb0ES3_N6thrust23THRUST_200600_302600_NS6detail15normal_iteratorINS9_10device_ptrIiEEEENSB_INSC_IxEEEESG_xNS9_4plusIvEENS9_8equal_toIvEExEE10hipError_tPvRmT2_T3_T4_T5_mT6_T7_P12ihipStream_tbENKUlT_T0_E_clISt17integral_constantIbLb1EES11_EEDaSW_SX_EUlSW_E_NS1_11comp_targetILNS1_3genE3ELNS1_11target_archE908ELNS1_3gpuE7ELNS1_3repE0EEENS1_30default_config_static_selectorELNS0_4arch9wavefront6targetE1EEEvT1_: ; @_ZN7rocprim17ROCPRIM_400000_NS6detail17trampoline_kernelINS0_14default_configENS1_27scan_by_key_config_selectorIixEEZZNS1_16scan_by_key_implILNS1_25lookback_scan_determinismE0ELb0ES3_N6thrust23THRUST_200600_302600_NS6detail15normal_iteratorINS9_10device_ptrIiEEEENSB_INSC_IxEEEESG_xNS9_4plusIvEENS9_8equal_toIvEExEE10hipError_tPvRmT2_T3_T4_T5_mT6_T7_P12ihipStream_tbENKUlT_T0_E_clISt17integral_constantIbLb1EES11_EEDaSW_SX_EUlSW_E_NS1_11comp_targetILNS1_3genE3ELNS1_11target_archE908ELNS1_3gpuE7ELNS1_3repE0EEENS1_30default_config_static_selectorELNS0_4arch9wavefront6targetE1EEEvT1_
; %bb.0:
	.section	.rodata,"a",@progbits
	.p2align	6, 0x0
	.amdhsa_kernel _ZN7rocprim17ROCPRIM_400000_NS6detail17trampoline_kernelINS0_14default_configENS1_27scan_by_key_config_selectorIixEEZZNS1_16scan_by_key_implILNS1_25lookback_scan_determinismE0ELb0ES3_N6thrust23THRUST_200600_302600_NS6detail15normal_iteratorINS9_10device_ptrIiEEEENSB_INSC_IxEEEESG_xNS9_4plusIvEENS9_8equal_toIvEExEE10hipError_tPvRmT2_T3_T4_T5_mT6_T7_P12ihipStream_tbENKUlT_T0_E_clISt17integral_constantIbLb1EES11_EEDaSW_SX_EUlSW_E_NS1_11comp_targetILNS1_3genE3ELNS1_11target_archE908ELNS1_3gpuE7ELNS1_3repE0EEENS1_30default_config_static_selectorELNS0_4arch9wavefront6targetE1EEEvT1_
		.amdhsa_group_segment_fixed_size 0
		.amdhsa_private_segment_fixed_size 0
		.amdhsa_kernarg_size 136
		.amdhsa_user_sgpr_count 6
		.amdhsa_user_sgpr_private_segment_buffer 1
		.amdhsa_user_sgpr_dispatch_ptr 0
		.amdhsa_user_sgpr_queue_ptr 0
		.amdhsa_user_sgpr_kernarg_segment_ptr 1
		.amdhsa_user_sgpr_dispatch_id 0
		.amdhsa_user_sgpr_flat_scratch_init 0
		.amdhsa_user_sgpr_kernarg_preload_length 0
		.amdhsa_user_sgpr_kernarg_preload_offset 0
		.amdhsa_user_sgpr_private_segment_size 0
		.amdhsa_uses_dynamic_stack 0
		.amdhsa_system_sgpr_private_segment_wavefront_offset 0
		.amdhsa_system_sgpr_workgroup_id_x 1
		.amdhsa_system_sgpr_workgroup_id_y 0
		.amdhsa_system_sgpr_workgroup_id_z 0
		.amdhsa_system_sgpr_workgroup_info 0
		.amdhsa_system_vgpr_workitem_id 0
		.amdhsa_next_free_vgpr 1
		.amdhsa_next_free_sgpr 0
		.amdhsa_accum_offset 4
		.amdhsa_reserve_vcc 0
		.amdhsa_reserve_flat_scratch 0
		.amdhsa_float_round_mode_32 0
		.amdhsa_float_round_mode_16_64 0
		.amdhsa_float_denorm_mode_32 3
		.amdhsa_float_denorm_mode_16_64 3
		.amdhsa_dx10_clamp 1
		.amdhsa_ieee_mode 1
		.amdhsa_fp16_overflow 0
		.amdhsa_tg_split 0
		.amdhsa_exception_fp_ieee_invalid_op 0
		.amdhsa_exception_fp_denorm_src 0
		.amdhsa_exception_fp_ieee_div_zero 0
		.amdhsa_exception_fp_ieee_overflow 0
		.amdhsa_exception_fp_ieee_underflow 0
		.amdhsa_exception_fp_ieee_inexact 0
		.amdhsa_exception_int_div_zero 0
	.end_amdhsa_kernel
	.section	.text._ZN7rocprim17ROCPRIM_400000_NS6detail17trampoline_kernelINS0_14default_configENS1_27scan_by_key_config_selectorIixEEZZNS1_16scan_by_key_implILNS1_25lookback_scan_determinismE0ELb0ES3_N6thrust23THRUST_200600_302600_NS6detail15normal_iteratorINS9_10device_ptrIiEEEENSB_INSC_IxEEEESG_xNS9_4plusIvEENS9_8equal_toIvEExEE10hipError_tPvRmT2_T3_T4_T5_mT6_T7_P12ihipStream_tbENKUlT_T0_E_clISt17integral_constantIbLb1EES11_EEDaSW_SX_EUlSW_E_NS1_11comp_targetILNS1_3genE3ELNS1_11target_archE908ELNS1_3gpuE7ELNS1_3repE0EEENS1_30default_config_static_selectorELNS0_4arch9wavefront6targetE1EEEvT1_,"axG",@progbits,_ZN7rocprim17ROCPRIM_400000_NS6detail17trampoline_kernelINS0_14default_configENS1_27scan_by_key_config_selectorIixEEZZNS1_16scan_by_key_implILNS1_25lookback_scan_determinismE0ELb0ES3_N6thrust23THRUST_200600_302600_NS6detail15normal_iteratorINS9_10device_ptrIiEEEENSB_INSC_IxEEEESG_xNS9_4plusIvEENS9_8equal_toIvEExEE10hipError_tPvRmT2_T3_T4_T5_mT6_T7_P12ihipStream_tbENKUlT_T0_E_clISt17integral_constantIbLb1EES11_EEDaSW_SX_EUlSW_E_NS1_11comp_targetILNS1_3genE3ELNS1_11target_archE908ELNS1_3gpuE7ELNS1_3repE0EEENS1_30default_config_static_selectorELNS0_4arch9wavefront6targetE1EEEvT1_,comdat
.Lfunc_end1325:
	.size	_ZN7rocprim17ROCPRIM_400000_NS6detail17trampoline_kernelINS0_14default_configENS1_27scan_by_key_config_selectorIixEEZZNS1_16scan_by_key_implILNS1_25lookback_scan_determinismE0ELb0ES3_N6thrust23THRUST_200600_302600_NS6detail15normal_iteratorINS9_10device_ptrIiEEEENSB_INSC_IxEEEESG_xNS9_4plusIvEENS9_8equal_toIvEExEE10hipError_tPvRmT2_T3_T4_T5_mT6_T7_P12ihipStream_tbENKUlT_T0_E_clISt17integral_constantIbLb1EES11_EEDaSW_SX_EUlSW_E_NS1_11comp_targetILNS1_3genE3ELNS1_11target_archE908ELNS1_3gpuE7ELNS1_3repE0EEENS1_30default_config_static_selectorELNS0_4arch9wavefront6targetE1EEEvT1_, .Lfunc_end1325-_ZN7rocprim17ROCPRIM_400000_NS6detail17trampoline_kernelINS0_14default_configENS1_27scan_by_key_config_selectorIixEEZZNS1_16scan_by_key_implILNS1_25lookback_scan_determinismE0ELb0ES3_N6thrust23THRUST_200600_302600_NS6detail15normal_iteratorINS9_10device_ptrIiEEEENSB_INSC_IxEEEESG_xNS9_4plusIvEENS9_8equal_toIvEExEE10hipError_tPvRmT2_T3_T4_T5_mT6_T7_P12ihipStream_tbENKUlT_T0_E_clISt17integral_constantIbLb1EES11_EEDaSW_SX_EUlSW_E_NS1_11comp_targetILNS1_3genE3ELNS1_11target_archE908ELNS1_3gpuE7ELNS1_3repE0EEENS1_30default_config_static_selectorELNS0_4arch9wavefront6targetE1EEEvT1_
                                        ; -- End function
	.section	.AMDGPU.csdata,"",@progbits
; Kernel info:
; codeLenInByte = 0
; NumSgprs: 4
; NumVgprs: 0
; NumAgprs: 0
; TotalNumVgprs: 0
; ScratchSize: 0
; MemoryBound: 0
; FloatMode: 240
; IeeeMode: 1
; LDSByteSize: 0 bytes/workgroup (compile time only)
; SGPRBlocks: 0
; VGPRBlocks: 0
; NumSGPRsForWavesPerEU: 4
; NumVGPRsForWavesPerEU: 1
; AccumOffset: 4
; Occupancy: 8
; WaveLimiterHint : 0
; COMPUTE_PGM_RSRC2:SCRATCH_EN: 0
; COMPUTE_PGM_RSRC2:USER_SGPR: 6
; COMPUTE_PGM_RSRC2:TRAP_HANDLER: 0
; COMPUTE_PGM_RSRC2:TGID_X_EN: 1
; COMPUTE_PGM_RSRC2:TGID_Y_EN: 0
; COMPUTE_PGM_RSRC2:TGID_Z_EN: 0
; COMPUTE_PGM_RSRC2:TIDIG_COMP_CNT: 0
; COMPUTE_PGM_RSRC3_GFX90A:ACCUM_OFFSET: 0
; COMPUTE_PGM_RSRC3_GFX90A:TG_SPLIT: 0
	.section	.text._ZN7rocprim17ROCPRIM_400000_NS6detail17trampoline_kernelINS0_14default_configENS1_27scan_by_key_config_selectorIixEEZZNS1_16scan_by_key_implILNS1_25lookback_scan_determinismE0ELb0ES3_N6thrust23THRUST_200600_302600_NS6detail15normal_iteratorINS9_10device_ptrIiEEEENSB_INSC_IxEEEESG_xNS9_4plusIvEENS9_8equal_toIvEExEE10hipError_tPvRmT2_T3_T4_T5_mT6_T7_P12ihipStream_tbENKUlT_T0_E_clISt17integral_constantIbLb1EES11_EEDaSW_SX_EUlSW_E_NS1_11comp_targetILNS1_3genE2ELNS1_11target_archE906ELNS1_3gpuE6ELNS1_3repE0EEENS1_30default_config_static_selectorELNS0_4arch9wavefront6targetE1EEEvT1_,"axG",@progbits,_ZN7rocprim17ROCPRIM_400000_NS6detail17trampoline_kernelINS0_14default_configENS1_27scan_by_key_config_selectorIixEEZZNS1_16scan_by_key_implILNS1_25lookback_scan_determinismE0ELb0ES3_N6thrust23THRUST_200600_302600_NS6detail15normal_iteratorINS9_10device_ptrIiEEEENSB_INSC_IxEEEESG_xNS9_4plusIvEENS9_8equal_toIvEExEE10hipError_tPvRmT2_T3_T4_T5_mT6_T7_P12ihipStream_tbENKUlT_T0_E_clISt17integral_constantIbLb1EES11_EEDaSW_SX_EUlSW_E_NS1_11comp_targetILNS1_3genE2ELNS1_11target_archE906ELNS1_3gpuE6ELNS1_3repE0EEENS1_30default_config_static_selectorELNS0_4arch9wavefront6targetE1EEEvT1_,comdat
	.protected	_ZN7rocprim17ROCPRIM_400000_NS6detail17trampoline_kernelINS0_14default_configENS1_27scan_by_key_config_selectorIixEEZZNS1_16scan_by_key_implILNS1_25lookback_scan_determinismE0ELb0ES3_N6thrust23THRUST_200600_302600_NS6detail15normal_iteratorINS9_10device_ptrIiEEEENSB_INSC_IxEEEESG_xNS9_4plusIvEENS9_8equal_toIvEExEE10hipError_tPvRmT2_T3_T4_T5_mT6_T7_P12ihipStream_tbENKUlT_T0_E_clISt17integral_constantIbLb1EES11_EEDaSW_SX_EUlSW_E_NS1_11comp_targetILNS1_3genE2ELNS1_11target_archE906ELNS1_3gpuE6ELNS1_3repE0EEENS1_30default_config_static_selectorELNS0_4arch9wavefront6targetE1EEEvT1_ ; -- Begin function _ZN7rocprim17ROCPRIM_400000_NS6detail17trampoline_kernelINS0_14default_configENS1_27scan_by_key_config_selectorIixEEZZNS1_16scan_by_key_implILNS1_25lookback_scan_determinismE0ELb0ES3_N6thrust23THRUST_200600_302600_NS6detail15normal_iteratorINS9_10device_ptrIiEEEENSB_INSC_IxEEEESG_xNS9_4plusIvEENS9_8equal_toIvEExEE10hipError_tPvRmT2_T3_T4_T5_mT6_T7_P12ihipStream_tbENKUlT_T0_E_clISt17integral_constantIbLb1EES11_EEDaSW_SX_EUlSW_E_NS1_11comp_targetILNS1_3genE2ELNS1_11target_archE906ELNS1_3gpuE6ELNS1_3repE0EEENS1_30default_config_static_selectorELNS0_4arch9wavefront6targetE1EEEvT1_
	.globl	_ZN7rocprim17ROCPRIM_400000_NS6detail17trampoline_kernelINS0_14default_configENS1_27scan_by_key_config_selectorIixEEZZNS1_16scan_by_key_implILNS1_25lookback_scan_determinismE0ELb0ES3_N6thrust23THRUST_200600_302600_NS6detail15normal_iteratorINS9_10device_ptrIiEEEENSB_INSC_IxEEEESG_xNS9_4plusIvEENS9_8equal_toIvEExEE10hipError_tPvRmT2_T3_T4_T5_mT6_T7_P12ihipStream_tbENKUlT_T0_E_clISt17integral_constantIbLb1EES11_EEDaSW_SX_EUlSW_E_NS1_11comp_targetILNS1_3genE2ELNS1_11target_archE906ELNS1_3gpuE6ELNS1_3repE0EEENS1_30default_config_static_selectorELNS0_4arch9wavefront6targetE1EEEvT1_
	.p2align	8
	.type	_ZN7rocprim17ROCPRIM_400000_NS6detail17trampoline_kernelINS0_14default_configENS1_27scan_by_key_config_selectorIixEEZZNS1_16scan_by_key_implILNS1_25lookback_scan_determinismE0ELb0ES3_N6thrust23THRUST_200600_302600_NS6detail15normal_iteratorINS9_10device_ptrIiEEEENSB_INSC_IxEEEESG_xNS9_4plusIvEENS9_8equal_toIvEExEE10hipError_tPvRmT2_T3_T4_T5_mT6_T7_P12ihipStream_tbENKUlT_T0_E_clISt17integral_constantIbLb1EES11_EEDaSW_SX_EUlSW_E_NS1_11comp_targetILNS1_3genE2ELNS1_11target_archE906ELNS1_3gpuE6ELNS1_3repE0EEENS1_30default_config_static_selectorELNS0_4arch9wavefront6targetE1EEEvT1_,@function
_ZN7rocprim17ROCPRIM_400000_NS6detail17trampoline_kernelINS0_14default_configENS1_27scan_by_key_config_selectorIixEEZZNS1_16scan_by_key_implILNS1_25lookback_scan_determinismE0ELb0ES3_N6thrust23THRUST_200600_302600_NS6detail15normal_iteratorINS9_10device_ptrIiEEEENSB_INSC_IxEEEESG_xNS9_4plusIvEENS9_8equal_toIvEExEE10hipError_tPvRmT2_T3_T4_T5_mT6_T7_P12ihipStream_tbENKUlT_T0_E_clISt17integral_constantIbLb1EES11_EEDaSW_SX_EUlSW_E_NS1_11comp_targetILNS1_3genE2ELNS1_11target_archE906ELNS1_3gpuE6ELNS1_3repE0EEENS1_30default_config_static_selectorELNS0_4arch9wavefront6targetE1EEEvT1_: ; @_ZN7rocprim17ROCPRIM_400000_NS6detail17trampoline_kernelINS0_14default_configENS1_27scan_by_key_config_selectorIixEEZZNS1_16scan_by_key_implILNS1_25lookback_scan_determinismE0ELb0ES3_N6thrust23THRUST_200600_302600_NS6detail15normal_iteratorINS9_10device_ptrIiEEEENSB_INSC_IxEEEESG_xNS9_4plusIvEENS9_8equal_toIvEExEE10hipError_tPvRmT2_T3_T4_T5_mT6_T7_P12ihipStream_tbENKUlT_T0_E_clISt17integral_constantIbLb1EES11_EEDaSW_SX_EUlSW_E_NS1_11comp_targetILNS1_3genE2ELNS1_11target_archE906ELNS1_3gpuE6ELNS1_3repE0EEENS1_30default_config_static_selectorELNS0_4arch9wavefront6targetE1EEEvT1_
; %bb.0:
	.section	.rodata,"a",@progbits
	.p2align	6, 0x0
	.amdhsa_kernel _ZN7rocprim17ROCPRIM_400000_NS6detail17trampoline_kernelINS0_14default_configENS1_27scan_by_key_config_selectorIixEEZZNS1_16scan_by_key_implILNS1_25lookback_scan_determinismE0ELb0ES3_N6thrust23THRUST_200600_302600_NS6detail15normal_iteratorINS9_10device_ptrIiEEEENSB_INSC_IxEEEESG_xNS9_4plusIvEENS9_8equal_toIvEExEE10hipError_tPvRmT2_T3_T4_T5_mT6_T7_P12ihipStream_tbENKUlT_T0_E_clISt17integral_constantIbLb1EES11_EEDaSW_SX_EUlSW_E_NS1_11comp_targetILNS1_3genE2ELNS1_11target_archE906ELNS1_3gpuE6ELNS1_3repE0EEENS1_30default_config_static_selectorELNS0_4arch9wavefront6targetE1EEEvT1_
		.amdhsa_group_segment_fixed_size 0
		.amdhsa_private_segment_fixed_size 0
		.amdhsa_kernarg_size 136
		.amdhsa_user_sgpr_count 6
		.amdhsa_user_sgpr_private_segment_buffer 1
		.amdhsa_user_sgpr_dispatch_ptr 0
		.amdhsa_user_sgpr_queue_ptr 0
		.amdhsa_user_sgpr_kernarg_segment_ptr 1
		.amdhsa_user_sgpr_dispatch_id 0
		.amdhsa_user_sgpr_flat_scratch_init 0
		.amdhsa_user_sgpr_kernarg_preload_length 0
		.amdhsa_user_sgpr_kernarg_preload_offset 0
		.amdhsa_user_sgpr_private_segment_size 0
		.amdhsa_uses_dynamic_stack 0
		.amdhsa_system_sgpr_private_segment_wavefront_offset 0
		.amdhsa_system_sgpr_workgroup_id_x 1
		.amdhsa_system_sgpr_workgroup_id_y 0
		.amdhsa_system_sgpr_workgroup_id_z 0
		.amdhsa_system_sgpr_workgroup_info 0
		.amdhsa_system_vgpr_workitem_id 0
		.amdhsa_next_free_vgpr 1
		.amdhsa_next_free_sgpr 0
		.amdhsa_accum_offset 4
		.amdhsa_reserve_vcc 0
		.amdhsa_reserve_flat_scratch 0
		.amdhsa_float_round_mode_32 0
		.amdhsa_float_round_mode_16_64 0
		.amdhsa_float_denorm_mode_32 3
		.amdhsa_float_denorm_mode_16_64 3
		.amdhsa_dx10_clamp 1
		.amdhsa_ieee_mode 1
		.amdhsa_fp16_overflow 0
		.amdhsa_tg_split 0
		.amdhsa_exception_fp_ieee_invalid_op 0
		.amdhsa_exception_fp_denorm_src 0
		.amdhsa_exception_fp_ieee_div_zero 0
		.amdhsa_exception_fp_ieee_overflow 0
		.amdhsa_exception_fp_ieee_underflow 0
		.amdhsa_exception_fp_ieee_inexact 0
		.amdhsa_exception_int_div_zero 0
	.end_amdhsa_kernel
	.section	.text._ZN7rocprim17ROCPRIM_400000_NS6detail17trampoline_kernelINS0_14default_configENS1_27scan_by_key_config_selectorIixEEZZNS1_16scan_by_key_implILNS1_25lookback_scan_determinismE0ELb0ES3_N6thrust23THRUST_200600_302600_NS6detail15normal_iteratorINS9_10device_ptrIiEEEENSB_INSC_IxEEEESG_xNS9_4plusIvEENS9_8equal_toIvEExEE10hipError_tPvRmT2_T3_T4_T5_mT6_T7_P12ihipStream_tbENKUlT_T0_E_clISt17integral_constantIbLb1EES11_EEDaSW_SX_EUlSW_E_NS1_11comp_targetILNS1_3genE2ELNS1_11target_archE906ELNS1_3gpuE6ELNS1_3repE0EEENS1_30default_config_static_selectorELNS0_4arch9wavefront6targetE1EEEvT1_,"axG",@progbits,_ZN7rocprim17ROCPRIM_400000_NS6detail17trampoline_kernelINS0_14default_configENS1_27scan_by_key_config_selectorIixEEZZNS1_16scan_by_key_implILNS1_25lookback_scan_determinismE0ELb0ES3_N6thrust23THRUST_200600_302600_NS6detail15normal_iteratorINS9_10device_ptrIiEEEENSB_INSC_IxEEEESG_xNS9_4plusIvEENS9_8equal_toIvEExEE10hipError_tPvRmT2_T3_T4_T5_mT6_T7_P12ihipStream_tbENKUlT_T0_E_clISt17integral_constantIbLb1EES11_EEDaSW_SX_EUlSW_E_NS1_11comp_targetILNS1_3genE2ELNS1_11target_archE906ELNS1_3gpuE6ELNS1_3repE0EEENS1_30default_config_static_selectorELNS0_4arch9wavefront6targetE1EEEvT1_,comdat
.Lfunc_end1326:
	.size	_ZN7rocprim17ROCPRIM_400000_NS6detail17trampoline_kernelINS0_14default_configENS1_27scan_by_key_config_selectorIixEEZZNS1_16scan_by_key_implILNS1_25lookback_scan_determinismE0ELb0ES3_N6thrust23THRUST_200600_302600_NS6detail15normal_iteratorINS9_10device_ptrIiEEEENSB_INSC_IxEEEESG_xNS9_4plusIvEENS9_8equal_toIvEExEE10hipError_tPvRmT2_T3_T4_T5_mT6_T7_P12ihipStream_tbENKUlT_T0_E_clISt17integral_constantIbLb1EES11_EEDaSW_SX_EUlSW_E_NS1_11comp_targetILNS1_3genE2ELNS1_11target_archE906ELNS1_3gpuE6ELNS1_3repE0EEENS1_30default_config_static_selectorELNS0_4arch9wavefront6targetE1EEEvT1_, .Lfunc_end1326-_ZN7rocprim17ROCPRIM_400000_NS6detail17trampoline_kernelINS0_14default_configENS1_27scan_by_key_config_selectorIixEEZZNS1_16scan_by_key_implILNS1_25lookback_scan_determinismE0ELb0ES3_N6thrust23THRUST_200600_302600_NS6detail15normal_iteratorINS9_10device_ptrIiEEEENSB_INSC_IxEEEESG_xNS9_4plusIvEENS9_8equal_toIvEExEE10hipError_tPvRmT2_T3_T4_T5_mT6_T7_P12ihipStream_tbENKUlT_T0_E_clISt17integral_constantIbLb1EES11_EEDaSW_SX_EUlSW_E_NS1_11comp_targetILNS1_3genE2ELNS1_11target_archE906ELNS1_3gpuE6ELNS1_3repE0EEENS1_30default_config_static_selectorELNS0_4arch9wavefront6targetE1EEEvT1_
                                        ; -- End function
	.section	.AMDGPU.csdata,"",@progbits
; Kernel info:
; codeLenInByte = 0
; NumSgprs: 4
; NumVgprs: 0
; NumAgprs: 0
; TotalNumVgprs: 0
; ScratchSize: 0
; MemoryBound: 0
; FloatMode: 240
; IeeeMode: 1
; LDSByteSize: 0 bytes/workgroup (compile time only)
; SGPRBlocks: 0
; VGPRBlocks: 0
; NumSGPRsForWavesPerEU: 4
; NumVGPRsForWavesPerEU: 1
; AccumOffset: 4
; Occupancy: 8
; WaveLimiterHint : 0
; COMPUTE_PGM_RSRC2:SCRATCH_EN: 0
; COMPUTE_PGM_RSRC2:USER_SGPR: 6
; COMPUTE_PGM_RSRC2:TRAP_HANDLER: 0
; COMPUTE_PGM_RSRC2:TGID_X_EN: 1
; COMPUTE_PGM_RSRC2:TGID_Y_EN: 0
; COMPUTE_PGM_RSRC2:TGID_Z_EN: 0
; COMPUTE_PGM_RSRC2:TIDIG_COMP_CNT: 0
; COMPUTE_PGM_RSRC3_GFX90A:ACCUM_OFFSET: 0
; COMPUTE_PGM_RSRC3_GFX90A:TG_SPLIT: 0
	.section	.text._ZN7rocprim17ROCPRIM_400000_NS6detail17trampoline_kernelINS0_14default_configENS1_27scan_by_key_config_selectorIixEEZZNS1_16scan_by_key_implILNS1_25lookback_scan_determinismE0ELb0ES3_N6thrust23THRUST_200600_302600_NS6detail15normal_iteratorINS9_10device_ptrIiEEEENSB_INSC_IxEEEESG_xNS9_4plusIvEENS9_8equal_toIvEExEE10hipError_tPvRmT2_T3_T4_T5_mT6_T7_P12ihipStream_tbENKUlT_T0_E_clISt17integral_constantIbLb1EES11_EEDaSW_SX_EUlSW_E_NS1_11comp_targetILNS1_3genE10ELNS1_11target_archE1200ELNS1_3gpuE4ELNS1_3repE0EEENS1_30default_config_static_selectorELNS0_4arch9wavefront6targetE1EEEvT1_,"axG",@progbits,_ZN7rocprim17ROCPRIM_400000_NS6detail17trampoline_kernelINS0_14default_configENS1_27scan_by_key_config_selectorIixEEZZNS1_16scan_by_key_implILNS1_25lookback_scan_determinismE0ELb0ES3_N6thrust23THRUST_200600_302600_NS6detail15normal_iteratorINS9_10device_ptrIiEEEENSB_INSC_IxEEEESG_xNS9_4plusIvEENS9_8equal_toIvEExEE10hipError_tPvRmT2_T3_T4_T5_mT6_T7_P12ihipStream_tbENKUlT_T0_E_clISt17integral_constantIbLb1EES11_EEDaSW_SX_EUlSW_E_NS1_11comp_targetILNS1_3genE10ELNS1_11target_archE1200ELNS1_3gpuE4ELNS1_3repE0EEENS1_30default_config_static_selectorELNS0_4arch9wavefront6targetE1EEEvT1_,comdat
	.protected	_ZN7rocprim17ROCPRIM_400000_NS6detail17trampoline_kernelINS0_14default_configENS1_27scan_by_key_config_selectorIixEEZZNS1_16scan_by_key_implILNS1_25lookback_scan_determinismE0ELb0ES3_N6thrust23THRUST_200600_302600_NS6detail15normal_iteratorINS9_10device_ptrIiEEEENSB_INSC_IxEEEESG_xNS9_4plusIvEENS9_8equal_toIvEExEE10hipError_tPvRmT2_T3_T4_T5_mT6_T7_P12ihipStream_tbENKUlT_T0_E_clISt17integral_constantIbLb1EES11_EEDaSW_SX_EUlSW_E_NS1_11comp_targetILNS1_3genE10ELNS1_11target_archE1200ELNS1_3gpuE4ELNS1_3repE0EEENS1_30default_config_static_selectorELNS0_4arch9wavefront6targetE1EEEvT1_ ; -- Begin function _ZN7rocprim17ROCPRIM_400000_NS6detail17trampoline_kernelINS0_14default_configENS1_27scan_by_key_config_selectorIixEEZZNS1_16scan_by_key_implILNS1_25lookback_scan_determinismE0ELb0ES3_N6thrust23THRUST_200600_302600_NS6detail15normal_iteratorINS9_10device_ptrIiEEEENSB_INSC_IxEEEESG_xNS9_4plusIvEENS9_8equal_toIvEExEE10hipError_tPvRmT2_T3_T4_T5_mT6_T7_P12ihipStream_tbENKUlT_T0_E_clISt17integral_constantIbLb1EES11_EEDaSW_SX_EUlSW_E_NS1_11comp_targetILNS1_3genE10ELNS1_11target_archE1200ELNS1_3gpuE4ELNS1_3repE0EEENS1_30default_config_static_selectorELNS0_4arch9wavefront6targetE1EEEvT1_
	.globl	_ZN7rocprim17ROCPRIM_400000_NS6detail17trampoline_kernelINS0_14default_configENS1_27scan_by_key_config_selectorIixEEZZNS1_16scan_by_key_implILNS1_25lookback_scan_determinismE0ELb0ES3_N6thrust23THRUST_200600_302600_NS6detail15normal_iteratorINS9_10device_ptrIiEEEENSB_INSC_IxEEEESG_xNS9_4plusIvEENS9_8equal_toIvEExEE10hipError_tPvRmT2_T3_T4_T5_mT6_T7_P12ihipStream_tbENKUlT_T0_E_clISt17integral_constantIbLb1EES11_EEDaSW_SX_EUlSW_E_NS1_11comp_targetILNS1_3genE10ELNS1_11target_archE1200ELNS1_3gpuE4ELNS1_3repE0EEENS1_30default_config_static_selectorELNS0_4arch9wavefront6targetE1EEEvT1_
	.p2align	8
	.type	_ZN7rocprim17ROCPRIM_400000_NS6detail17trampoline_kernelINS0_14default_configENS1_27scan_by_key_config_selectorIixEEZZNS1_16scan_by_key_implILNS1_25lookback_scan_determinismE0ELb0ES3_N6thrust23THRUST_200600_302600_NS6detail15normal_iteratorINS9_10device_ptrIiEEEENSB_INSC_IxEEEESG_xNS9_4plusIvEENS9_8equal_toIvEExEE10hipError_tPvRmT2_T3_T4_T5_mT6_T7_P12ihipStream_tbENKUlT_T0_E_clISt17integral_constantIbLb1EES11_EEDaSW_SX_EUlSW_E_NS1_11comp_targetILNS1_3genE10ELNS1_11target_archE1200ELNS1_3gpuE4ELNS1_3repE0EEENS1_30default_config_static_selectorELNS0_4arch9wavefront6targetE1EEEvT1_,@function
_ZN7rocprim17ROCPRIM_400000_NS6detail17trampoline_kernelINS0_14default_configENS1_27scan_by_key_config_selectorIixEEZZNS1_16scan_by_key_implILNS1_25lookback_scan_determinismE0ELb0ES3_N6thrust23THRUST_200600_302600_NS6detail15normal_iteratorINS9_10device_ptrIiEEEENSB_INSC_IxEEEESG_xNS9_4plusIvEENS9_8equal_toIvEExEE10hipError_tPvRmT2_T3_T4_T5_mT6_T7_P12ihipStream_tbENKUlT_T0_E_clISt17integral_constantIbLb1EES11_EEDaSW_SX_EUlSW_E_NS1_11comp_targetILNS1_3genE10ELNS1_11target_archE1200ELNS1_3gpuE4ELNS1_3repE0EEENS1_30default_config_static_selectorELNS0_4arch9wavefront6targetE1EEEvT1_: ; @_ZN7rocprim17ROCPRIM_400000_NS6detail17trampoline_kernelINS0_14default_configENS1_27scan_by_key_config_selectorIixEEZZNS1_16scan_by_key_implILNS1_25lookback_scan_determinismE0ELb0ES3_N6thrust23THRUST_200600_302600_NS6detail15normal_iteratorINS9_10device_ptrIiEEEENSB_INSC_IxEEEESG_xNS9_4plusIvEENS9_8equal_toIvEExEE10hipError_tPvRmT2_T3_T4_T5_mT6_T7_P12ihipStream_tbENKUlT_T0_E_clISt17integral_constantIbLb1EES11_EEDaSW_SX_EUlSW_E_NS1_11comp_targetILNS1_3genE10ELNS1_11target_archE1200ELNS1_3gpuE4ELNS1_3repE0EEENS1_30default_config_static_selectorELNS0_4arch9wavefront6targetE1EEEvT1_
; %bb.0:
	.section	.rodata,"a",@progbits
	.p2align	6, 0x0
	.amdhsa_kernel _ZN7rocprim17ROCPRIM_400000_NS6detail17trampoline_kernelINS0_14default_configENS1_27scan_by_key_config_selectorIixEEZZNS1_16scan_by_key_implILNS1_25lookback_scan_determinismE0ELb0ES3_N6thrust23THRUST_200600_302600_NS6detail15normal_iteratorINS9_10device_ptrIiEEEENSB_INSC_IxEEEESG_xNS9_4plusIvEENS9_8equal_toIvEExEE10hipError_tPvRmT2_T3_T4_T5_mT6_T7_P12ihipStream_tbENKUlT_T0_E_clISt17integral_constantIbLb1EES11_EEDaSW_SX_EUlSW_E_NS1_11comp_targetILNS1_3genE10ELNS1_11target_archE1200ELNS1_3gpuE4ELNS1_3repE0EEENS1_30default_config_static_selectorELNS0_4arch9wavefront6targetE1EEEvT1_
		.amdhsa_group_segment_fixed_size 0
		.amdhsa_private_segment_fixed_size 0
		.amdhsa_kernarg_size 136
		.amdhsa_user_sgpr_count 6
		.amdhsa_user_sgpr_private_segment_buffer 1
		.amdhsa_user_sgpr_dispatch_ptr 0
		.amdhsa_user_sgpr_queue_ptr 0
		.amdhsa_user_sgpr_kernarg_segment_ptr 1
		.amdhsa_user_sgpr_dispatch_id 0
		.amdhsa_user_sgpr_flat_scratch_init 0
		.amdhsa_user_sgpr_kernarg_preload_length 0
		.amdhsa_user_sgpr_kernarg_preload_offset 0
		.amdhsa_user_sgpr_private_segment_size 0
		.amdhsa_uses_dynamic_stack 0
		.amdhsa_system_sgpr_private_segment_wavefront_offset 0
		.amdhsa_system_sgpr_workgroup_id_x 1
		.amdhsa_system_sgpr_workgroup_id_y 0
		.amdhsa_system_sgpr_workgroup_id_z 0
		.amdhsa_system_sgpr_workgroup_info 0
		.amdhsa_system_vgpr_workitem_id 0
		.amdhsa_next_free_vgpr 1
		.amdhsa_next_free_sgpr 0
		.amdhsa_accum_offset 4
		.amdhsa_reserve_vcc 0
		.amdhsa_reserve_flat_scratch 0
		.amdhsa_float_round_mode_32 0
		.amdhsa_float_round_mode_16_64 0
		.amdhsa_float_denorm_mode_32 3
		.amdhsa_float_denorm_mode_16_64 3
		.amdhsa_dx10_clamp 1
		.amdhsa_ieee_mode 1
		.amdhsa_fp16_overflow 0
		.amdhsa_tg_split 0
		.amdhsa_exception_fp_ieee_invalid_op 0
		.amdhsa_exception_fp_denorm_src 0
		.amdhsa_exception_fp_ieee_div_zero 0
		.amdhsa_exception_fp_ieee_overflow 0
		.amdhsa_exception_fp_ieee_underflow 0
		.amdhsa_exception_fp_ieee_inexact 0
		.amdhsa_exception_int_div_zero 0
	.end_amdhsa_kernel
	.section	.text._ZN7rocprim17ROCPRIM_400000_NS6detail17trampoline_kernelINS0_14default_configENS1_27scan_by_key_config_selectorIixEEZZNS1_16scan_by_key_implILNS1_25lookback_scan_determinismE0ELb0ES3_N6thrust23THRUST_200600_302600_NS6detail15normal_iteratorINS9_10device_ptrIiEEEENSB_INSC_IxEEEESG_xNS9_4plusIvEENS9_8equal_toIvEExEE10hipError_tPvRmT2_T3_T4_T5_mT6_T7_P12ihipStream_tbENKUlT_T0_E_clISt17integral_constantIbLb1EES11_EEDaSW_SX_EUlSW_E_NS1_11comp_targetILNS1_3genE10ELNS1_11target_archE1200ELNS1_3gpuE4ELNS1_3repE0EEENS1_30default_config_static_selectorELNS0_4arch9wavefront6targetE1EEEvT1_,"axG",@progbits,_ZN7rocprim17ROCPRIM_400000_NS6detail17trampoline_kernelINS0_14default_configENS1_27scan_by_key_config_selectorIixEEZZNS1_16scan_by_key_implILNS1_25lookback_scan_determinismE0ELb0ES3_N6thrust23THRUST_200600_302600_NS6detail15normal_iteratorINS9_10device_ptrIiEEEENSB_INSC_IxEEEESG_xNS9_4plusIvEENS9_8equal_toIvEExEE10hipError_tPvRmT2_T3_T4_T5_mT6_T7_P12ihipStream_tbENKUlT_T0_E_clISt17integral_constantIbLb1EES11_EEDaSW_SX_EUlSW_E_NS1_11comp_targetILNS1_3genE10ELNS1_11target_archE1200ELNS1_3gpuE4ELNS1_3repE0EEENS1_30default_config_static_selectorELNS0_4arch9wavefront6targetE1EEEvT1_,comdat
.Lfunc_end1327:
	.size	_ZN7rocprim17ROCPRIM_400000_NS6detail17trampoline_kernelINS0_14default_configENS1_27scan_by_key_config_selectorIixEEZZNS1_16scan_by_key_implILNS1_25lookback_scan_determinismE0ELb0ES3_N6thrust23THRUST_200600_302600_NS6detail15normal_iteratorINS9_10device_ptrIiEEEENSB_INSC_IxEEEESG_xNS9_4plusIvEENS9_8equal_toIvEExEE10hipError_tPvRmT2_T3_T4_T5_mT6_T7_P12ihipStream_tbENKUlT_T0_E_clISt17integral_constantIbLb1EES11_EEDaSW_SX_EUlSW_E_NS1_11comp_targetILNS1_3genE10ELNS1_11target_archE1200ELNS1_3gpuE4ELNS1_3repE0EEENS1_30default_config_static_selectorELNS0_4arch9wavefront6targetE1EEEvT1_, .Lfunc_end1327-_ZN7rocprim17ROCPRIM_400000_NS6detail17trampoline_kernelINS0_14default_configENS1_27scan_by_key_config_selectorIixEEZZNS1_16scan_by_key_implILNS1_25lookback_scan_determinismE0ELb0ES3_N6thrust23THRUST_200600_302600_NS6detail15normal_iteratorINS9_10device_ptrIiEEEENSB_INSC_IxEEEESG_xNS9_4plusIvEENS9_8equal_toIvEExEE10hipError_tPvRmT2_T3_T4_T5_mT6_T7_P12ihipStream_tbENKUlT_T0_E_clISt17integral_constantIbLb1EES11_EEDaSW_SX_EUlSW_E_NS1_11comp_targetILNS1_3genE10ELNS1_11target_archE1200ELNS1_3gpuE4ELNS1_3repE0EEENS1_30default_config_static_selectorELNS0_4arch9wavefront6targetE1EEEvT1_
                                        ; -- End function
	.section	.AMDGPU.csdata,"",@progbits
; Kernel info:
; codeLenInByte = 0
; NumSgprs: 4
; NumVgprs: 0
; NumAgprs: 0
; TotalNumVgprs: 0
; ScratchSize: 0
; MemoryBound: 0
; FloatMode: 240
; IeeeMode: 1
; LDSByteSize: 0 bytes/workgroup (compile time only)
; SGPRBlocks: 0
; VGPRBlocks: 0
; NumSGPRsForWavesPerEU: 4
; NumVGPRsForWavesPerEU: 1
; AccumOffset: 4
; Occupancy: 8
; WaveLimiterHint : 0
; COMPUTE_PGM_RSRC2:SCRATCH_EN: 0
; COMPUTE_PGM_RSRC2:USER_SGPR: 6
; COMPUTE_PGM_RSRC2:TRAP_HANDLER: 0
; COMPUTE_PGM_RSRC2:TGID_X_EN: 1
; COMPUTE_PGM_RSRC2:TGID_Y_EN: 0
; COMPUTE_PGM_RSRC2:TGID_Z_EN: 0
; COMPUTE_PGM_RSRC2:TIDIG_COMP_CNT: 0
; COMPUTE_PGM_RSRC3_GFX90A:ACCUM_OFFSET: 0
; COMPUTE_PGM_RSRC3_GFX90A:TG_SPLIT: 0
	.section	.text._ZN7rocprim17ROCPRIM_400000_NS6detail17trampoline_kernelINS0_14default_configENS1_27scan_by_key_config_selectorIixEEZZNS1_16scan_by_key_implILNS1_25lookback_scan_determinismE0ELb0ES3_N6thrust23THRUST_200600_302600_NS6detail15normal_iteratorINS9_10device_ptrIiEEEENSB_INSC_IxEEEESG_xNS9_4plusIvEENS9_8equal_toIvEExEE10hipError_tPvRmT2_T3_T4_T5_mT6_T7_P12ihipStream_tbENKUlT_T0_E_clISt17integral_constantIbLb1EES11_EEDaSW_SX_EUlSW_E_NS1_11comp_targetILNS1_3genE9ELNS1_11target_archE1100ELNS1_3gpuE3ELNS1_3repE0EEENS1_30default_config_static_selectorELNS0_4arch9wavefront6targetE1EEEvT1_,"axG",@progbits,_ZN7rocprim17ROCPRIM_400000_NS6detail17trampoline_kernelINS0_14default_configENS1_27scan_by_key_config_selectorIixEEZZNS1_16scan_by_key_implILNS1_25lookback_scan_determinismE0ELb0ES3_N6thrust23THRUST_200600_302600_NS6detail15normal_iteratorINS9_10device_ptrIiEEEENSB_INSC_IxEEEESG_xNS9_4plusIvEENS9_8equal_toIvEExEE10hipError_tPvRmT2_T3_T4_T5_mT6_T7_P12ihipStream_tbENKUlT_T0_E_clISt17integral_constantIbLb1EES11_EEDaSW_SX_EUlSW_E_NS1_11comp_targetILNS1_3genE9ELNS1_11target_archE1100ELNS1_3gpuE3ELNS1_3repE0EEENS1_30default_config_static_selectorELNS0_4arch9wavefront6targetE1EEEvT1_,comdat
	.protected	_ZN7rocprim17ROCPRIM_400000_NS6detail17trampoline_kernelINS0_14default_configENS1_27scan_by_key_config_selectorIixEEZZNS1_16scan_by_key_implILNS1_25lookback_scan_determinismE0ELb0ES3_N6thrust23THRUST_200600_302600_NS6detail15normal_iteratorINS9_10device_ptrIiEEEENSB_INSC_IxEEEESG_xNS9_4plusIvEENS9_8equal_toIvEExEE10hipError_tPvRmT2_T3_T4_T5_mT6_T7_P12ihipStream_tbENKUlT_T0_E_clISt17integral_constantIbLb1EES11_EEDaSW_SX_EUlSW_E_NS1_11comp_targetILNS1_3genE9ELNS1_11target_archE1100ELNS1_3gpuE3ELNS1_3repE0EEENS1_30default_config_static_selectorELNS0_4arch9wavefront6targetE1EEEvT1_ ; -- Begin function _ZN7rocprim17ROCPRIM_400000_NS6detail17trampoline_kernelINS0_14default_configENS1_27scan_by_key_config_selectorIixEEZZNS1_16scan_by_key_implILNS1_25lookback_scan_determinismE0ELb0ES3_N6thrust23THRUST_200600_302600_NS6detail15normal_iteratorINS9_10device_ptrIiEEEENSB_INSC_IxEEEESG_xNS9_4plusIvEENS9_8equal_toIvEExEE10hipError_tPvRmT2_T3_T4_T5_mT6_T7_P12ihipStream_tbENKUlT_T0_E_clISt17integral_constantIbLb1EES11_EEDaSW_SX_EUlSW_E_NS1_11comp_targetILNS1_3genE9ELNS1_11target_archE1100ELNS1_3gpuE3ELNS1_3repE0EEENS1_30default_config_static_selectorELNS0_4arch9wavefront6targetE1EEEvT1_
	.globl	_ZN7rocprim17ROCPRIM_400000_NS6detail17trampoline_kernelINS0_14default_configENS1_27scan_by_key_config_selectorIixEEZZNS1_16scan_by_key_implILNS1_25lookback_scan_determinismE0ELb0ES3_N6thrust23THRUST_200600_302600_NS6detail15normal_iteratorINS9_10device_ptrIiEEEENSB_INSC_IxEEEESG_xNS9_4plusIvEENS9_8equal_toIvEExEE10hipError_tPvRmT2_T3_T4_T5_mT6_T7_P12ihipStream_tbENKUlT_T0_E_clISt17integral_constantIbLb1EES11_EEDaSW_SX_EUlSW_E_NS1_11comp_targetILNS1_3genE9ELNS1_11target_archE1100ELNS1_3gpuE3ELNS1_3repE0EEENS1_30default_config_static_selectorELNS0_4arch9wavefront6targetE1EEEvT1_
	.p2align	8
	.type	_ZN7rocprim17ROCPRIM_400000_NS6detail17trampoline_kernelINS0_14default_configENS1_27scan_by_key_config_selectorIixEEZZNS1_16scan_by_key_implILNS1_25lookback_scan_determinismE0ELb0ES3_N6thrust23THRUST_200600_302600_NS6detail15normal_iteratorINS9_10device_ptrIiEEEENSB_INSC_IxEEEESG_xNS9_4plusIvEENS9_8equal_toIvEExEE10hipError_tPvRmT2_T3_T4_T5_mT6_T7_P12ihipStream_tbENKUlT_T0_E_clISt17integral_constantIbLb1EES11_EEDaSW_SX_EUlSW_E_NS1_11comp_targetILNS1_3genE9ELNS1_11target_archE1100ELNS1_3gpuE3ELNS1_3repE0EEENS1_30default_config_static_selectorELNS0_4arch9wavefront6targetE1EEEvT1_,@function
_ZN7rocprim17ROCPRIM_400000_NS6detail17trampoline_kernelINS0_14default_configENS1_27scan_by_key_config_selectorIixEEZZNS1_16scan_by_key_implILNS1_25lookback_scan_determinismE0ELb0ES3_N6thrust23THRUST_200600_302600_NS6detail15normal_iteratorINS9_10device_ptrIiEEEENSB_INSC_IxEEEESG_xNS9_4plusIvEENS9_8equal_toIvEExEE10hipError_tPvRmT2_T3_T4_T5_mT6_T7_P12ihipStream_tbENKUlT_T0_E_clISt17integral_constantIbLb1EES11_EEDaSW_SX_EUlSW_E_NS1_11comp_targetILNS1_3genE9ELNS1_11target_archE1100ELNS1_3gpuE3ELNS1_3repE0EEENS1_30default_config_static_selectorELNS0_4arch9wavefront6targetE1EEEvT1_: ; @_ZN7rocprim17ROCPRIM_400000_NS6detail17trampoline_kernelINS0_14default_configENS1_27scan_by_key_config_selectorIixEEZZNS1_16scan_by_key_implILNS1_25lookback_scan_determinismE0ELb0ES3_N6thrust23THRUST_200600_302600_NS6detail15normal_iteratorINS9_10device_ptrIiEEEENSB_INSC_IxEEEESG_xNS9_4plusIvEENS9_8equal_toIvEExEE10hipError_tPvRmT2_T3_T4_T5_mT6_T7_P12ihipStream_tbENKUlT_T0_E_clISt17integral_constantIbLb1EES11_EEDaSW_SX_EUlSW_E_NS1_11comp_targetILNS1_3genE9ELNS1_11target_archE1100ELNS1_3gpuE3ELNS1_3repE0EEENS1_30default_config_static_selectorELNS0_4arch9wavefront6targetE1EEEvT1_
; %bb.0:
	.section	.rodata,"a",@progbits
	.p2align	6, 0x0
	.amdhsa_kernel _ZN7rocprim17ROCPRIM_400000_NS6detail17trampoline_kernelINS0_14default_configENS1_27scan_by_key_config_selectorIixEEZZNS1_16scan_by_key_implILNS1_25lookback_scan_determinismE0ELb0ES3_N6thrust23THRUST_200600_302600_NS6detail15normal_iteratorINS9_10device_ptrIiEEEENSB_INSC_IxEEEESG_xNS9_4plusIvEENS9_8equal_toIvEExEE10hipError_tPvRmT2_T3_T4_T5_mT6_T7_P12ihipStream_tbENKUlT_T0_E_clISt17integral_constantIbLb1EES11_EEDaSW_SX_EUlSW_E_NS1_11comp_targetILNS1_3genE9ELNS1_11target_archE1100ELNS1_3gpuE3ELNS1_3repE0EEENS1_30default_config_static_selectorELNS0_4arch9wavefront6targetE1EEEvT1_
		.amdhsa_group_segment_fixed_size 0
		.amdhsa_private_segment_fixed_size 0
		.amdhsa_kernarg_size 136
		.amdhsa_user_sgpr_count 6
		.amdhsa_user_sgpr_private_segment_buffer 1
		.amdhsa_user_sgpr_dispatch_ptr 0
		.amdhsa_user_sgpr_queue_ptr 0
		.amdhsa_user_sgpr_kernarg_segment_ptr 1
		.amdhsa_user_sgpr_dispatch_id 0
		.amdhsa_user_sgpr_flat_scratch_init 0
		.amdhsa_user_sgpr_kernarg_preload_length 0
		.amdhsa_user_sgpr_kernarg_preload_offset 0
		.amdhsa_user_sgpr_private_segment_size 0
		.amdhsa_uses_dynamic_stack 0
		.amdhsa_system_sgpr_private_segment_wavefront_offset 0
		.amdhsa_system_sgpr_workgroup_id_x 1
		.amdhsa_system_sgpr_workgroup_id_y 0
		.amdhsa_system_sgpr_workgroup_id_z 0
		.amdhsa_system_sgpr_workgroup_info 0
		.amdhsa_system_vgpr_workitem_id 0
		.amdhsa_next_free_vgpr 1
		.amdhsa_next_free_sgpr 0
		.amdhsa_accum_offset 4
		.amdhsa_reserve_vcc 0
		.amdhsa_reserve_flat_scratch 0
		.amdhsa_float_round_mode_32 0
		.amdhsa_float_round_mode_16_64 0
		.amdhsa_float_denorm_mode_32 3
		.amdhsa_float_denorm_mode_16_64 3
		.amdhsa_dx10_clamp 1
		.amdhsa_ieee_mode 1
		.amdhsa_fp16_overflow 0
		.amdhsa_tg_split 0
		.amdhsa_exception_fp_ieee_invalid_op 0
		.amdhsa_exception_fp_denorm_src 0
		.amdhsa_exception_fp_ieee_div_zero 0
		.amdhsa_exception_fp_ieee_overflow 0
		.amdhsa_exception_fp_ieee_underflow 0
		.amdhsa_exception_fp_ieee_inexact 0
		.amdhsa_exception_int_div_zero 0
	.end_amdhsa_kernel
	.section	.text._ZN7rocprim17ROCPRIM_400000_NS6detail17trampoline_kernelINS0_14default_configENS1_27scan_by_key_config_selectorIixEEZZNS1_16scan_by_key_implILNS1_25lookback_scan_determinismE0ELb0ES3_N6thrust23THRUST_200600_302600_NS6detail15normal_iteratorINS9_10device_ptrIiEEEENSB_INSC_IxEEEESG_xNS9_4plusIvEENS9_8equal_toIvEExEE10hipError_tPvRmT2_T3_T4_T5_mT6_T7_P12ihipStream_tbENKUlT_T0_E_clISt17integral_constantIbLb1EES11_EEDaSW_SX_EUlSW_E_NS1_11comp_targetILNS1_3genE9ELNS1_11target_archE1100ELNS1_3gpuE3ELNS1_3repE0EEENS1_30default_config_static_selectorELNS0_4arch9wavefront6targetE1EEEvT1_,"axG",@progbits,_ZN7rocprim17ROCPRIM_400000_NS6detail17trampoline_kernelINS0_14default_configENS1_27scan_by_key_config_selectorIixEEZZNS1_16scan_by_key_implILNS1_25lookback_scan_determinismE0ELb0ES3_N6thrust23THRUST_200600_302600_NS6detail15normal_iteratorINS9_10device_ptrIiEEEENSB_INSC_IxEEEESG_xNS9_4plusIvEENS9_8equal_toIvEExEE10hipError_tPvRmT2_T3_T4_T5_mT6_T7_P12ihipStream_tbENKUlT_T0_E_clISt17integral_constantIbLb1EES11_EEDaSW_SX_EUlSW_E_NS1_11comp_targetILNS1_3genE9ELNS1_11target_archE1100ELNS1_3gpuE3ELNS1_3repE0EEENS1_30default_config_static_selectorELNS0_4arch9wavefront6targetE1EEEvT1_,comdat
.Lfunc_end1328:
	.size	_ZN7rocprim17ROCPRIM_400000_NS6detail17trampoline_kernelINS0_14default_configENS1_27scan_by_key_config_selectorIixEEZZNS1_16scan_by_key_implILNS1_25lookback_scan_determinismE0ELb0ES3_N6thrust23THRUST_200600_302600_NS6detail15normal_iteratorINS9_10device_ptrIiEEEENSB_INSC_IxEEEESG_xNS9_4plusIvEENS9_8equal_toIvEExEE10hipError_tPvRmT2_T3_T4_T5_mT6_T7_P12ihipStream_tbENKUlT_T0_E_clISt17integral_constantIbLb1EES11_EEDaSW_SX_EUlSW_E_NS1_11comp_targetILNS1_3genE9ELNS1_11target_archE1100ELNS1_3gpuE3ELNS1_3repE0EEENS1_30default_config_static_selectorELNS0_4arch9wavefront6targetE1EEEvT1_, .Lfunc_end1328-_ZN7rocprim17ROCPRIM_400000_NS6detail17trampoline_kernelINS0_14default_configENS1_27scan_by_key_config_selectorIixEEZZNS1_16scan_by_key_implILNS1_25lookback_scan_determinismE0ELb0ES3_N6thrust23THRUST_200600_302600_NS6detail15normal_iteratorINS9_10device_ptrIiEEEENSB_INSC_IxEEEESG_xNS9_4plusIvEENS9_8equal_toIvEExEE10hipError_tPvRmT2_T3_T4_T5_mT6_T7_P12ihipStream_tbENKUlT_T0_E_clISt17integral_constantIbLb1EES11_EEDaSW_SX_EUlSW_E_NS1_11comp_targetILNS1_3genE9ELNS1_11target_archE1100ELNS1_3gpuE3ELNS1_3repE0EEENS1_30default_config_static_selectorELNS0_4arch9wavefront6targetE1EEEvT1_
                                        ; -- End function
	.section	.AMDGPU.csdata,"",@progbits
; Kernel info:
; codeLenInByte = 0
; NumSgprs: 4
; NumVgprs: 0
; NumAgprs: 0
; TotalNumVgprs: 0
; ScratchSize: 0
; MemoryBound: 0
; FloatMode: 240
; IeeeMode: 1
; LDSByteSize: 0 bytes/workgroup (compile time only)
; SGPRBlocks: 0
; VGPRBlocks: 0
; NumSGPRsForWavesPerEU: 4
; NumVGPRsForWavesPerEU: 1
; AccumOffset: 4
; Occupancy: 8
; WaveLimiterHint : 0
; COMPUTE_PGM_RSRC2:SCRATCH_EN: 0
; COMPUTE_PGM_RSRC2:USER_SGPR: 6
; COMPUTE_PGM_RSRC2:TRAP_HANDLER: 0
; COMPUTE_PGM_RSRC2:TGID_X_EN: 1
; COMPUTE_PGM_RSRC2:TGID_Y_EN: 0
; COMPUTE_PGM_RSRC2:TGID_Z_EN: 0
; COMPUTE_PGM_RSRC2:TIDIG_COMP_CNT: 0
; COMPUTE_PGM_RSRC3_GFX90A:ACCUM_OFFSET: 0
; COMPUTE_PGM_RSRC3_GFX90A:TG_SPLIT: 0
	.section	.text._ZN7rocprim17ROCPRIM_400000_NS6detail17trampoline_kernelINS0_14default_configENS1_27scan_by_key_config_selectorIixEEZZNS1_16scan_by_key_implILNS1_25lookback_scan_determinismE0ELb0ES3_N6thrust23THRUST_200600_302600_NS6detail15normal_iteratorINS9_10device_ptrIiEEEENSB_INSC_IxEEEESG_xNS9_4plusIvEENS9_8equal_toIvEExEE10hipError_tPvRmT2_T3_T4_T5_mT6_T7_P12ihipStream_tbENKUlT_T0_E_clISt17integral_constantIbLb1EES11_EEDaSW_SX_EUlSW_E_NS1_11comp_targetILNS1_3genE8ELNS1_11target_archE1030ELNS1_3gpuE2ELNS1_3repE0EEENS1_30default_config_static_selectorELNS0_4arch9wavefront6targetE1EEEvT1_,"axG",@progbits,_ZN7rocprim17ROCPRIM_400000_NS6detail17trampoline_kernelINS0_14default_configENS1_27scan_by_key_config_selectorIixEEZZNS1_16scan_by_key_implILNS1_25lookback_scan_determinismE0ELb0ES3_N6thrust23THRUST_200600_302600_NS6detail15normal_iteratorINS9_10device_ptrIiEEEENSB_INSC_IxEEEESG_xNS9_4plusIvEENS9_8equal_toIvEExEE10hipError_tPvRmT2_T3_T4_T5_mT6_T7_P12ihipStream_tbENKUlT_T0_E_clISt17integral_constantIbLb1EES11_EEDaSW_SX_EUlSW_E_NS1_11comp_targetILNS1_3genE8ELNS1_11target_archE1030ELNS1_3gpuE2ELNS1_3repE0EEENS1_30default_config_static_selectorELNS0_4arch9wavefront6targetE1EEEvT1_,comdat
	.protected	_ZN7rocprim17ROCPRIM_400000_NS6detail17trampoline_kernelINS0_14default_configENS1_27scan_by_key_config_selectorIixEEZZNS1_16scan_by_key_implILNS1_25lookback_scan_determinismE0ELb0ES3_N6thrust23THRUST_200600_302600_NS6detail15normal_iteratorINS9_10device_ptrIiEEEENSB_INSC_IxEEEESG_xNS9_4plusIvEENS9_8equal_toIvEExEE10hipError_tPvRmT2_T3_T4_T5_mT6_T7_P12ihipStream_tbENKUlT_T0_E_clISt17integral_constantIbLb1EES11_EEDaSW_SX_EUlSW_E_NS1_11comp_targetILNS1_3genE8ELNS1_11target_archE1030ELNS1_3gpuE2ELNS1_3repE0EEENS1_30default_config_static_selectorELNS0_4arch9wavefront6targetE1EEEvT1_ ; -- Begin function _ZN7rocprim17ROCPRIM_400000_NS6detail17trampoline_kernelINS0_14default_configENS1_27scan_by_key_config_selectorIixEEZZNS1_16scan_by_key_implILNS1_25lookback_scan_determinismE0ELb0ES3_N6thrust23THRUST_200600_302600_NS6detail15normal_iteratorINS9_10device_ptrIiEEEENSB_INSC_IxEEEESG_xNS9_4plusIvEENS9_8equal_toIvEExEE10hipError_tPvRmT2_T3_T4_T5_mT6_T7_P12ihipStream_tbENKUlT_T0_E_clISt17integral_constantIbLb1EES11_EEDaSW_SX_EUlSW_E_NS1_11comp_targetILNS1_3genE8ELNS1_11target_archE1030ELNS1_3gpuE2ELNS1_3repE0EEENS1_30default_config_static_selectorELNS0_4arch9wavefront6targetE1EEEvT1_
	.globl	_ZN7rocprim17ROCPRIM_400000_NS6detail17trampoline_kernelINS0_14default_configENS1_27scan_by_key_config_selectorIixEEZZNS1_16scan_by_key_implILNS1_25lookback_scan_determinismE0ELb0ES3_N6thrust23THRUST_200600_302600_NS6detail15normal_iteratorINS9_10device_ptrIiEEEENSB_INSC_IxEEEESG_xNS9_4plusIvEENS9_8equal_toIvEExEE10hipError_tPvRmT2_T3_T4_T5_mT6_T7_P12ihipStream_tbENKUlT_T0_E_clISt17integral_constantIbLb1EES11_EEDaSW_SX_EUlSW_E_NS1_11comp_targetILNS1_3genE8ELNS1_11target_archE1030ELNS1_3gpuE2ELNS1_3repE0EEENS1_30default_config_static_selectorELNS0_4arch9wavefront6targetE1EEEvT1_
	.p2align	8
	.type	_ZN7rocprim17ROCPRIM_400000_NS6detail17trampoline_kernelINS0_14default_configENS1_27scan_by_key_config_selectorIixEEZZNS1_16scan_by_key_implILNS1_25lookback_scan_determinismE0ELb0ES3_N6thrust23THRUST_200600_302600_NS6detail15normal_iteratorINS9_10device_ptrIiEEEENSB_INSC_IxEEEESG_xNS9_4plusIvEENS9_8equal_toIvEExEE10hipError_tPvRmT2_T3_T4_T5_mT6_T7_P12ihipStream_tbENKUlT_T0_E_clISt17integral_constantIbLb1EES11_EEDaSW_SX_EUlSW_E_NS1_11comp_targetILNS1_3genE8ELNS1_11target_archE1030ELNS1_3gpuE2ELNS1_3repE0EEENS1_30default_config_static_selectorELNS0_4arch9wavefront6targetE1EEEvT1_,@function
_ZN7rocprim17ROCPRIM_400000_NS6detail17trampoline_kernelINS0_14default_configENS1_27scan_by_key_config_selectorIixEEZZNS1_16scan_by_key_implILNS1_25lookback_scan_determinismE0ELb0ES3_N6thrust23THRUST_200600_302600_NS6detail15normal_iteratorINS9_10device_ptrIiEEEENSB_INSC_IxEEEESG_xNS9_4plusIvEENS9_8equal_toIvEExEE10hipError_tPvRmT2_T3_T4_T5_mT6_T7_P12ihipStream_tbENKUlT_T0_E_clISt17integral_constantIbLb1EES11_EEDaSW_SX_EUlSW_E_NS1_11comp_targetILNS1_3genE8ELNS1_11target_archE1030ELNS1_3gpuE2ELNS1_3repE0EEENS1_30default_config_static_selectorELNS0_4arch9wavefront6targetE1EEEvT1_: ; @_ZN7rocprim17ROCPRIM_400000_NS6detail17trampoline_kernelINS0_14default_configENS1_27scan_by_key_config_selectorIixEEZZNS1_16scan_by_key_implILNS1_25lookback_scan_determinismE0ELb0ES3_N6thrust23THRUST_200600_302600_NS6detail15normal_iteratorINS9_10device_ptrIiEEEENSB_INSC_IxEEEESG_xNS9_4plusIvEENS9_8equal_toIvEExEE10hipError_tPvRmT2_T3_T4_T5_mT6_T7_P12ihipStream_tbENKUlT_T0_E_clISt17integral_constantIbLb1EES11_EEDaSW_SX_EUlSW_E_NS1_11comp_targetILNS1_3genE8ELNS1_11target_archE1030ELNS1_3gpuE2ELNS1_3repE0EEENS1_30default_config_static_selectorELNS0_4arch9wavefront6targetE1EEEvT1_
; %bb.0:
	.section	.rodata,"a",@progbits
	.p2align	6, 0x0
	.amdhsa_kernel _ZN7rocprim17ROCPRIM_400000_NS6detail17trampoline_kernelINS0_14default_configENS1_27scan_by_key_config_selectorIixEEZZNS1_16scan_by_key_implILNS1_25lookback_scan_determinismE0ELb0ES3_N6thrust23THRUST_200600_302600_NS6detail15normal_iteratorINS9_10device_ptrIiEEEENSB_INSC_IxEEEESG_xNS9_4plusIvEENS9_8equal_toIvEExEE10hipError_tPvRmT2_T3_T4_T5_mT6_T7_P12ihipStream_tbENKUlT_T0_E_clISt17integral_constantIbLb1EES11_EEDaSW_SX_EUlSW_E_NS1_11comp_targetILNS1_3genE8ELNS1_11target_archE1030ELNS1_3gpuE2ELNS1_3repE0EEENS1_30default_config_static_selectorELNS0_4arch9wavefront6targetE1EEEvT1_
		.amdhsa_group_segment_fixed_size 0
		.amdhsa_private_segment_fixed_size 0
		.amdhsa_kernarg_size 136
		.amdhsa_user_sgpr_count 6
		.amdhsa_user_sgpr_private_segment_buffer 1
		.amdhsa_user_sgpr_dispatch_ptr 0
		.amdhsa_user_sgpr_queue_ptr 0
		.amdhsa_user_sgpr_kernarg_segment_ptr 1
		.amdhsa_user_sgpr_dispatch_id 0
		.amdhsa_user_sgpr_flat_scratch_init 0
		.amdhsa_user_sgpr_kernarg_preload_length 0
		.amdhsa_user_sgpr_kernarg_preload_offset 0
		.amdhsa_user_sgpr_private_segment_size 0
		.amdhsa_uses_dynamic_stack 0
		.amdhsa_system_sgpr_private_segment_wavefront_offset 0
		.amdhsa_system_sgpr_workgroup_id_x 1
		.amdhsa_system_sgpr_workgroup_id_y 0
		.amdhsa_system_sgpr_workgroup_id_z 0
		.amdhsa_system_sgpr_workgroup_info 0
		.amdhsa_system_vgpr_workitem_id 0
		.amdhsa_next_free_vgpr 1
		.amdhsa_next_free_sgpr 0
		.amdhsa_accum_offset 4
		.amdhsa_reserve_vcc 0
		.amdhsa_reserve_flat_scratch 0
		.amdhsa_float_round_mode_32 0
		.amdhsa_float_round_mode_16_64 0
		.amdhsa_float_denorm_mode_32 3
		.amdhsa_float_denorm_mode_16_64 3
		.amdhsa_dx10_clamp 1
		.amdhsa_ieee_mode 1
		.amdhsa_fp16_overflow 0
		.amdhsa_tg_split 0
		.amdhsa_exception_fp_ieee_invalid_op 0
		.amdhsa_exception_fp_denorm_src 0
		.amdhsa_exception_fp_ieee_div_zero 0
		.amdhsa_exception_fp_ieee_overflow 0
		.amdhsa_exception_fp_ieee_underflow 0
		.amdhsa_exception_fp_ieee_inexact 0
		.amdhsa_exception_int_div_zero 0
	.end_amdhsa_kernel
	.section	.text._ZN7rocprim17ROCPRIM_400000_NS6detail17trampoline_kernelINS0_14default_configENS1_27scan_by_key_config_selectorIixEEZZNS1_16scan_by_key_implILNS1_25lookback_scan_determinismE0ELb0ES3_N6thrust23THRUST_200600_302600_NS6detail15normal_iteratorINS9_10device_ptrIiEEEENSB_INSC_IxEEEESG_xNS9_4plusIvEENS9_8equal_toIvEExEE10hipError_tPvRmT2_T3_T4_T5_mT6_T7_P12ihipStream_tbENKUlT_T0_E_clISt17integral_constantIbLb1EES11_EEDaSW_SX_EUlSW_E_NS1_11comp_targetILNS1_3genE8ELNS1_11target_archE1030ELNS1_3gpuE2ELNS1_3repE0EEENS1_30default_config_static_selectorELNS0_4arch9wavefront6targetE1EEEvT1_,"axG",@progbits,_ZN7rocprim17ROCPRIM_400000_NS6detail17trampoline_kernelINS0_14default_configENS1_27scan_by_key_config_selectorIixEEZZNS1_16scan_by_key_implILNS1_25lookback_scan_determinismE0ELb0ES3_N6thrust23THRUST_200600_302600_NS6detail15normal_iteratorINS9_10device_ptrIiEEEENSB_INSC_IxEEEESG_xNS9_4plusIvEENS9_8equal_toIvEExEE10hipError_tPvRmT2_T3_T4_T5_mT6_T7_P12ihipStream_tbENKUlT_T0_E_clISt17integral_constantIbLb1EES11_EEDaSW_SX_EUlSW_E_NS1_11comp_targetILNS1_3genE8ELNS1_11target_archE1030ELNS1_3gpuE2ELNS1_3repE0EEENS1_30default_config_static_selectorELNS0_4arch9wavefront6targetE1EEEvT1_,comdat
.Lfunc_end1329:
	.size	_ZN7rocprim17ROCPRIM_400000_NS6detail17trampoline_kernelINS0_14default_configENS1_27scan_by_key_config_selectorIixEEZZNS1_16scan_by_key_implILNS1_25lookback_scan_determinismE0ELb0ES3_N6thrust23THRUST_200600_302600_NS6detail15normal_iteratorINS9_10device_ptrIiEEEENSB_INSC_IxEEEESG_xNS9_4plusIvEENS9_8equal_toIvEExEE10hipError_tPvRmT2_T3_T4_T5_mT6_T7_P12ihipStream_tbENKUlT_T0_E_clISt17integral_constantIbLb1EES11_EEDaSW_SX_EUlSW_E_NS1_11comp_targetILNS1_3genE8ELNS1_11target_archE1030ELNS1_3gpuE2ELNS1_3repE0EEENS1_30default_config_static_selectorELNS0_4arch9wavefront6targetE1EEEvT1_, .Lfunc_end1329-_ZN7rocprim17ROCPRIM_400000_NS6detail17trampoline_kernelINS0_14default_configENS1_27scan_by_key_config_selectorIixEEZZNS1_16scan_by_key_implILNS1_25lookback_scan_determinismE0ELb0ES3_N6thrust23THRUST_200600_302600_NS6detail15normal_iteratorINS9_10device_ptrIiEEEENSB_INSC_IxEEEESG_xNS9_4plusIvEENS9_8equal_toIvEExEE10hipError_tPvRmT2_T3_T4_T5_mT6_T7_P12ihipStream_tbENKUlT_T0_E_clISt17integral_constantIbLb1EES11_EEDaSW_SX_EUlSW_E_NS1_11comp_targetILNS1_3genE8ELNS1_11target_archE1030ELNS1_3gpuE2ELNS1_3repE0EEENS1_30default_config_static_selectorELNS0_4arch9wavefront6targetE1EEEvT1_
                                        ; -- End function
	.section	.AMDGPU.csdata,"",@progbits
; Kernel info:
; codeLenInByte = 0
; NumSgprs: 4
; NumVgprs: 0
; NumAgprs: 0
; TotalNumVgprs: 0
; ScratchSize: 0
; MemoryBound: 0
; FloatMode: 240
; IeeeMode: 1
; LDSByteSize: 0 bytes/workgroup (compile time only)
; SGPRBlocks: 0
; VGPRBlocks: 0
; NumSGPRsForWavesPerEU: 4
; NumVGPRsForWavesPerEU: 1
; AccumOffset: 4
; Occupancy: 8
; WaveLimiterHint : 0
; COMPUTE_PGM_RSRC2:SCRATCH_EN: 0
; COMPUTE_PGM_RSRC2:USER_SGPR: 6
; COMPUTE_PGM_RSRC2:TRAP_HANDLER: 0
; COMPUTE_PGM_RSRC2:TGID_X_EN: 1
; COMPUTE_PGM_RSRC2:TGID_Y_EN: 0
; COMPUTE_PGM_RSRC2:TGID_Z_EN: 0
; COMPUTE_PGM_RSRC2:TIDIG_COMP_CNT: 0
; COMPUTE_PGM_RSRC3_GFX90A:ACCUM_OFFSET: 0
; COMPUTE_PGM_RSRC3_GFX90A:TG_SPLIT: 0
	.section	.text._ZN7rocprim17ROCPRIM_400000_NS6detail30init_device_scan_by_key_kernelINS1_19lookback_scan_stateINS0_5tupleIJxbEEELb1ELb0EEEN6thrust23THRUST_200600_302600_NS6detail15normal_iteratorINS8_10device_ptrIiEEEEjNS1_16block_id_wrapperIjLb0EEEEEvT_jjPNSG_10value_typeET0_PNSt15iterator_traitsISJ_E10value_typeEmT1_T2_,"axG",@progbits,_ZN7rocprim17ROCPRIM_400000_NS6detail30init_device_scan_by_key_kernelINS1_19lookback_scan_stateINS0_5tupleIJxbEEELb1ELb0EEEN6thrust23THRUST_200600_302600_NS6detail15normal_iteratorINS8_10device_ptrIiEEEEjNS1_16block_id_wrapperIjLb0EEEEEvT_jjPNSG_10value_typeET0_PNSt15iterator_traitsISJ_E10value_typeEmT1_T2_,comdat
	.protected	_ZN7rocprim17ROCPRIM_400000_NS6detail30init_device_scan_by_key_kernelINS1_19lookback_scan_stateINS0_5tupleIJxbEEELb1ELb0EEEN6thrust23THRUST_200600_302600_NS6detail15normal_iteratorINS8_10device_ptrIiEEEEjNS1_16block_id_wrapperIjLb0EEEEEvT_jjPNSG_10value_typeET0_PNSt15iterator_traitsISJ_E10value_typeEmT1_T2_ ; -- Begin function _ZN7rocprim17ROCPRIM_400000_NS6detail30init_device_scan_by_key_kernelINS1_19lookback_scan_stateINS0_5tupleIJxbEEELb1ELb0EEEN6thrust23THRUST_200600_302600_NS6detail15normal_iteratorINS8_10device_ptrIiEEEEjNS1_16block_id_wrapperIjLb0EEEEEvT_jjPNSG_10value_typeET0_PNSt15iterator_traitsISJ_E10value_typeEmT1_T2_
	.globl	_ZN7rocprim17ROCPRIM_400000_NS6detail30init_device_scan_by_key_kernelINS1_19lookback_scan_stateINS0_5tupleIJxbEEELb1ELb0EEEN6thrust23THRUST_200600_302600_NS6detail15normal_iteratorINS8_10device_ptrIiEEEEjNS1_16block_id_wrapperIjLb0EEEEEvT_jjPNSG_10value_typeET0_PNSt15iterator_traitsISJ_E10value_typeEmT1_T2_
	.p2align	8
	.type	_ZN7rocprim17ROCPRIM_400000_NS6detail30init_device_scan_by_key_kernelINS1_19lookback_scan_stateINS0_5tupleIJxbEEELb1ELb0EEEN6thrust23THRUST_200600_302600_NS6detail15normal_iteratorINS8_10device_ptrIiEEEEjNS1_16block_id_wrapperIjLb0EEEEEvT_jjPNSG_10value_typeET0_PNSt15iterator_traitsISJ_E10value_typeEmT1_T2_,@function
_ZN7rocprim17ROCPRIM_400000_NS6detail30init_device_scan_by_key_kernelINS1_19lookback_scan_stateINS0_5tupleIJxbEEELb1ELb0EEEN6thrust23THRUST_200600_302600_NS6detail15normal_iteratorINS8_10device_ptrIiEEEEjNS1_16block_id_wrapperIjLb0EEEEEvT_jjPNSG_10value_typeET0_PNSt15iterator_traitsISJ_E10value_typeEmT1_T2_: ; @_ZN7rocprim17ROCPRIM_400000_NS6detail30init_device_scan_by_key_kernelINS1_19lookback_scan_stateINS0_5tupleIJxbEEELb1ELb0EEEN6thrust23THRUST_200600_302600_NS6detail15normal_iteratorINS8_10device_ptrIiEEEEjNS1_16block_id_wrapperIjLb0EEEEEvT_jjPNSG_10value_typeET0_PNSt15iterator_traitsISJ_E10value_typeEmT1_T2_
; %bb.0:
	s_load_dword s0, s[4:5], 0x54
	s_load_dwordx8 s[8:15], s[4:5], 0x10
	s_load_dword s20, s[4:5], 0x48
	s_waitcnt lgkmcnt(0)
	s_and_b32 s21, s0, 0xffff
	s_mul_i32 s6, s6, s21
	s_cmp_eq_u64 s[12:13], 0
	v_add_u32_e32 v0, s6, v0
	s_cbranch_scc1 .LBB1330_11
; %bb.1:
	s_cmp_lt_u32 s11, s10
	s_cselect_b32 s0, s11, 0
	s_mov_b32 s17, 0
	v_cmp_eq_u32_e32 vcc, s0, v0
	s_and_saveexec_b64 s[6:7], vcc
	s_cbranch_execz .LBB1330_10
; %bb.2:
	s_add_i32 s16, s11, 64
	v_mov_b32_e32 v1, s16
	global_load_ubyte v1, v1, s[8:9] glc
	s_load_dwordx4 s[0:3], s[4:5], 0x0
	s_add_u32 s18, s8, s16
	s_addc_u32 s19, s9, 0
	s_waitcnt vmcnt(0)
	v_cmp_ne_u16_e32 vcc, 0, v1
	v_readfirstlane_b32 s11, v1
	s_cbranch_vccz .LBB1330_4
; %bb.3:
	s_and_b32 s11, 0xffff, s11
	s_branch .LBB1330_9
.LBB1330_4:
	s_mov_b32 s11, 1
	v_mov_b32_e32 v1, 0
.LBB1330_5:                             ; =>This Loop Header: Depth=1
                                        ;     Child Loop BB1330_6 Depth 2
	s_max_u32 s22, s11, 1
.LBB1330_6:                             ;   Parent Loop BB1330_5 Depth=1
                                        ; =>  This Inner Loop Header: Depth=2
	s_add_i32 s22, s22, -1
	s_cmp_eq_u32 s22, 0
	s_sleep 1
	s_cbranch_scc0 .LBB1330_6
; %bb.7:                                ;   in Loop: Header=BB1330_5 Depth=1
	global_load_ubyte v2, v1, s[18:19] glc
	s_cmp_lt_u32 s11, 32
	s_cselect_b64 s[22:23], -1, 0
	s_cmp_lg_u64 s[22:23], 0
	s_addc_u32 s11, s11, 0
	s_waitcnt vmcnt(0)
	v_cmp_ne_u16_e32 vcc, 0, v2
	v_readfirstlane_b32 s22, v2
	s_cbranch_vccz .LBB1330_5
; %bb.8:
	s_and_b32 s11, 0xffff, s22
.LBB1330_9:
	s_cmp_eq_u32 s11, 1
	s_waitcnt lgkmcnt(0)
	s_cselect_b32 s3, s1, s3
	s_cselect_b32 s2, s0, s2
	s_lshl_b64 s[0:1], s[16:17], 4
	s_add_u32 s0, s2, s0
	s_addc_u32 s1, s3, s1
	v_mov_b32_e32 v1, 0
	buffer_wbinvl1_vol
	global_load_dwordx2 v[2:3], v1, s[0:1]
	global_load_ubyte v4, v1, s[0:1] offset:8
	s_waitcnt vmcnt(1)
	global_store_dwordx2 v1, v[2:3], s[12:13]
	s_waitcnt vmcnt(1)
	global_store_byte v1, v4, s[12:13] offset:8
.LBB1330_10:
	s_or_b64 exec, exec, s[6:7]
.LBB1330_11:
	v_cmp_gt_u32_e32 vcc, s10, v0
	s_and_saveexec_b64 s[0:1], vcc
	s_cbranch_execz .LBB1330_13
; %bb.12:
	v_add_u32_e32 v1, 64, v0
	v_mov_b32_e32 v2, 0
	global_store_byte v1, v2, s[8:9]
.LBB1330_13:
	s_or_b64 exec, exec, s[0:1]
	v_cmp_gt_u32_e32 vcc, 64, v0
	v_mov_b32_e32 v1, 0
	s_and_saveexec_b64 s[0:1], vcc
	s_cbranch_execz .LBB1330_15
; %bb.14:
	v_mov_b32_e32 v3, s9
	v_add_co_u32_e32 v2, vcc, s8, v0
	v_addc_co_u32_e32 v3, vcc, 0, v3, vcc
	v_mov_b32_e32 v4, 0xff
	global_store_byte v[2:3], v4, off
.LBB1330_15:
	s_or_b64 exec, exec, s[0:1]
	s_load_dwordx2 s[0:1], s[4:5], 0x38
	s_waitcnt lgkmcnt(0)
	v_cmp_gt_u64_e32 vcc, s[0:1], v[0:1]
	s_and_saveexec_b64 s[2:3], vcc
	s_cbranch_execz .LBB1330_18
; %bb.16:
	s_load_dword s10, s[4:5], 0x40
	s_load_dwordx2 s[6:7], s[4:5], 0x30
	s_mov_b32 s5, 0
	s_mov_b32 s3, s5
	s_mul_i32 s2, s20, s21
	s_waitcnt lgkmcnt(0)
	s_add_i32 s4, s10, -1
	s_lshl_b64 s[4:5], s[4:5], 2
	v_mad_u64_u32 v[2:3], s[8:9], s10, v0, 0
	s_add_u32 s4, s14, s4
	v_lshlrev_b64 v[2:3], 2, v[2:3]
	s_addc_u32 s5, s15, s5
	v_mov_b32_e32 v4, s5
	v_add_co_u32_e32 v2, vcc, s4, v2
	v_addc_co_u32_e32 v3, vcc, v4, v3, vcc
	s_mul_hi_u32 s5, s10, s2
	s_mul_i32 s4, s10, s2
	v_lshlrev_b64 v[4:5], 2, v[0:1]
	s_lshl_b64 s[4:5], s[4:5], 2
	v_mov_b32_e32 v6, s7
	v_add_co_u32_e32 v4, vcc, s6, v4
	s_lshl_b64 s[6:7], s[2:3], 2
	v_addc_co_u32_e32 v5, vcc, v6, v5, vcc
	s_mov_b64 s[8:9], 0
	v_mov_b32_e32 v6, s3
	v_mov_b32_e32 v7, s5
	;; [unrolled: 1-line block ×3, first 2 shown]
.LBB1330_17:                            ; =>This Inner Loop Header: Depth=1
	global_load_dword v9, v[2:3], off
	v_add_co_u32_e32 v0, vcc, s2, v0
	v_addc_co_u32_e32 v1, vcc, v1, v6, vcc
	v_add_co_u32_e32 v2, vcc, s4, v2
	v_addc_co_u32_e32 v3, vcc, v3, v7, vcc
	v_cmp_le_u64_e32 vcc, s[0:1], v[0:1]
	s_or_b64 s[8:9], vcc, s[8:9]
	s_waitcnt vmcnt(0)
	global_store_dword v[4:5], v9, off
	v_add_co_u32_e32 v4, vcc, s6, v4
	v_addc_co_u32_e32 v5, vcc, v5, v8, vcc
	s_andn2_b64 exec, exec, s[8:9]
	s_cbranch_execnz .LBB1330_17
.LBB1330_18:
	s_endpgm
	.section	.rodata,"a",@progbits
	.p2align	6, 0x0
	.amdhsa_kernel _ZN7rocprim17ROCPRIM_400000_NS6detail30init_device_scan_by_key_kernelINS1_19lookback_scan_stateINS0_5tupleIJxbEEELb1ELb0EEEN6thrust23THRUST_200600_302600_NS6detail15normal_iteratorINS8_10device_ptrIiEEEEjNS1_16block_id_wrapperIjLb0EEEEEvT_jjPNSG_10value_typeET0_PNSt15iterator_traitsISJ_E10value_typeEmT1_T2_
		.amdhsa_group_segment_fixed_size 0
		.amdhsa_private_segment_fixed_size 0
		.amdhsa_kernarg_size 328
		.amdhsa_user_sgpr_count 6
		.amdhsa_user_sgpr_private_segment_buffer 1
		.amdhsa_user_sgpr_dispatch_ptr 0
		.amdhsa_user_sgpr_queue_ptr 0
		.amdhsa_user_sgpr_kernarg_segment_ptr 1
		.amdhsa_user_sgpr_dispatch_id 0
		.amdhsa_user_sgpr_flat_scratch_init 0
		.amdhsa_user_sgpr_kernarg_preload_length 0
		.amdhsa_user_sgpr_kernarg_preload_offset 0
		.amdhsa_user_sgpr_private_segment_size 0
		.amdhsa_uses_dynamic_stack 0
		.amdhsa_system_sgpr_private_segment_wavefront_offset 0
		.amdhsa_system_sgpr_workgroup_id_x 1
		.amdhsa_system_sgpr_workgroup_id_y 0
		.amdhsa_system_sgpr_workgroup_id_z 0
		.amdhsa_system_sgpr_workgroup_info 0
		.amdhsa_system_vgpr_workitem_id 0
		.amdhsa_next_free_vgpr 10
		.amdhsa_next_free_sgpr 24
		.amdhsa_accum_offset 12
		.amdhsa_reserve_vcc 1
		.amdhsa_reserve_flat_scratch 0
		.amdhsa_float_round_mode_32 0
		.amdhsa_float_round_mode_16_64 0
		.amdhsa_float_denorm_mode_32 3
		.amdhsa_float_denorm_mode_16_64 3
		.amdhsa_dx10_clamp 1
		.amdhsa_ieee_mode 1
		.amdhsa_fp16_overflow 0
		.amdhsa_tg_split 0
		.amdhsa_exception_fp_ieee_invalid_op 0
		.amdhsa_exception_fp_denorm_src 0
		.amdhsa_exception_fp_ieee_div_zero 0
		.amdhsa_exception_fp_ieee_overflow 0
		.amdhsa_exception_fp_ieee_underflow 0
		.amdhsa_exception_fp_ieee_inexact 0
		.amdhsa_exception_int_div_zero 0
	.end_amdhsa_kernel
	.section	.text._ZN7rocprim17ROCPRIM_400000_NS6detail30init_device_scan_by_key_kernelINS1_19lookback_scan_stateINS0_5tupleIJxbEEELb1ELb0EEEN6thrust23THRUST_200600_302600_NS6detail15normal_iteratorINS8_10device_ptrIiEEEEjNS1_16block_id_wrapperIjLb0EEEEEvT_jjPNSG_10value_typeET0_PNSt15iterator_traitsISJ_E10value_typeEmT1_T2_,"axG",@progbits,_ZN7rocprim17ROCPRIM_400000_NS6detail30init_device_scan_by_key_kernelINS1_19lookback_scan_stateINS0_5tupleIJxbEEELb1ELb0EEEN6thrust23THRUST_200600_302600_NS6detail15normal_iteratorINS8_10device_ptrIiEEEEjNS1_16block_id_wrapperIjLb0EEEEEvT_jjPNSG_10value_typeET0_PNSt15iterator_traitsISJ_E10value_typeEmT1_T2_,comdat
.Lfunc_end1330:
	.size	_ZN7rocprim17ROCPRIM_400000_NS6detail30init_device_scan_by_key_kernelINS1_19lookback_scan_stateINS0_5tupleIJxbEEELb1ELb0EEEN6thrust23THRUST_200600_302600_NS6detail15normal_iteratorINS8_10device_ptrIiEEEEjNS1_16block_id_wrapperIjLb0EEEEEvT_jjPNSG_10value_typeET0_PNSt15iterator_traitsISJ_E10value_typeEmT1_T2_, .Lfunc_end1330-_ZN7rocprim17ROCPRIM_400000_NS6detail30init_device_scan_by_key_kernelINS1_19lookback_scan_stateINS0_5tupleIJxbEEELb1ELb0EEEN6thrust23THRUST_200600_302600_NS6detail15normal_iteratorINS8_10device_ptrIiEEEEjNS1_16block_id_wrapperIjLb0EEEEEvT_jjPNSG_10value_typeET0_PNSt15iterator_traitsISJ_E10value_typeEmT1_T2_
                                        ; -- End function
	.section	.AMDGPU.csdata,"",@progbits
; Kernel info:
; codeLenInByte = 592
; NumSgprs: 28
; NumVgprs: 10
; NumAgprs: 0
; TotalNumVgprs: 10
; ScratchSize: 0
; MemoryBound: 0
; FloatMode: 240
; IeeeMode: 1
; LDSByteSize: 0 bytes/workgroup (compile time only)
; SGPRBlocks: 3
; VGPRBlocks: 1
; NumSGPRsForWavesPerEU: 28
; NumVGPRsForWavesPerEU: 10
; AccumOffset: 12
; Occupancy: 8
; WaveLimiterHint : 0
; COMPUTE_PGM_RSRC2:SCRATCH_EN: 0
; COMPUTE_PGM_RSRC2:USER_SGPR: 6
; COMPUTE_PGM_RSRC2:TRAP_HANDLER: 0
; COMPUTE_PGM_RSRC2:TGID_X_EN: 1
; COMPUTE_PGM_RSRC2:TGID_Y_EN: 0
; COMPUTE_PGM_RSRC2:TGID_Z_EN: 0
; COMPUTE_PGM_RSRC2:TIDIG_COMP_CNT: 0
; COMPUTE_PGM_RSRC3_GFX90A:ACCUM_OFFSET: 2
; COMPUTE_PGM_RSRC3_GFX90A:TG_SPLIT: 0
	.section	.text._ZN7rocprim17ROCPRIM_400000_NS6detail17trampoline_kernelINS0_14default_configENS1_27scan_by_key_config_selectorIixEEZZNS1_16scan_by_key_implILNS1_25lookback_scan_determinismE0ELb0ES3_N6thrust23THRUST_200600_302600_NS6detail15normal_iteratorINS9_10device_ptrIiEEEENSB_INSC_IxEEEESG_xNS9_4plusIvEENS9_8equal_toIvEExEE10hipError_tPvRmT2_T3_T4_T5_mT6_T7_P12ihipStream_tbENKUlT_T0_E_clISt17integral_constantIbLb1EES10_IbLb0EEEEDaSW_SX_EUlSW_E_NS1_11comp_targetILNS1_3genE0ELNS1_11target_archE4294967295ELNS1_3gpuE0ELNS1_3repE0EEENS1_30default_config_static_selectorELNS0_4arch9wavefront6targetE1EEEvT1_,"axG",@progbits,_ZN7rocprim17ROCPRIM_400000_NS6detail17trampoline_kernelINS0_14default_configENS1_27scan_by_key_config_selectorIixEEZZNS1_16scan_by_key_implILNS1_25lookback_scan_determinismE0ELb0ES3_N6thrust23THRUST_200600_302600_NS6detail15normal_iteratorINS9_10device_ptrIiEEEENSB_INSC_IxEEEESG_xNS9_4plusIvEENS9_8equal_toIvEExEE10hipError_tPvRmT2_T3_T4_T5_mT6_T7_P12ihipStream_tbENKUlT_T0_E_clISt17integral_constantIbLb1EES10_IbLb0EEEEDaSW_SX_EUlSW_E_NS1_11comp_targetILNS1_3genE0ELNS1_11target_archE4294967295ELNS1_3gpuE0ELNS1_3repE0EEENS1_30default_config_static_selectorELNS0_4arch9wavefront6targetE1EEEvT1_,comdat
	.protected	_ZN7rocprim17ROCPRIM_400000_NS6detail17trampoline_kernelINS0_14default_configENS1_27scan_by_key_config_selectorIixEEZZNS1_16scan_by_key_implILNS1_25lookback_scan_determinismE0ELb0ES3_N6thrust23THRUST_200600_302600_NS6detail15normal_iteratorINS9_10device_ptrIiEEEENSB_INSC_IxEEEESG_xNS9_4plusIvEENS9_8equal_toIvEExEE10hipError_tPvRmT2_T3_T4_T5_mT6_T7_P12ihipStream_tbENKUlT_T0_E_clISt17integral_constantIbLb1EES10_IbLb0EEEEDaSW_SX_EUlSW_E_NS1_11comp_targetILNS1_3genE0ELNS1_11target_archE4294967295ELNS1_3gpuE0ELNS1_3repE0EEENS1_30default_config_static_selectorELNS0_4arch9wavefront6targetE1EEEvT1_ ; -- Begin function _ZN7rocprim17ROCPRIM_400000_NS6detail17trampoline_kernelINS0_14default_configENS1_27scan_by_key_config_selectorIixEEZZNS1_16scan_by_key_implILNS1_25lookback_scan_determinismE0ELb0ES3_N6thrust23THRUST_200600_302600_NS6detail15normal_iteratorINS9_10device_ptrIiEEEENSB_INSC_IxEEEESG_xNS9_4plusIvEENS9_8equal_toIvEExEE10hipError_tPvRmT2_T3_T4_T5_mT6_T7_P12ihipStream_tbENKUlT_T0_E_clISt17integral_constantIbLb1EES10_IbLb0EEEEDaSW_SX_EUlSW_E_NS1_11comp_targetILNS1_3genE0ELNS1_11target_archE4294967295ELNS1_3gpuE0ELNS1_3repE0EEENS1_30default_config_static_selectorELNS0_4arch9wavefront6targetE1EEEvT1_
	.globl	_ZN7rocprim17ROCPRIM_400000_NS6detail17trampoline_kernelINS0_14default_configENS1_27scan_by_key_config_selectorIixEEZZNS1_16scan_by_key_implILNS1_25lookback_scan_determinismE0ELb0ES3_N6thrust23THRUST_200600_302600_NS6detail15normal_iteratorINS9_10device_ptrIiEEEENSB_INSC_IxEEEESG_xNS9_4plusIvEENS9_8equal_toIvEExEE10hipError_tPvRmT2_T3_T4_T5_mT6_T7_P12ihipStream_tbENKUlT_T0_E_clISt17integral_constantIbLb1EES10_IbLb0EEEEDaSW_SX_EUlSW_E_NS1_11comp_targetILNS1_3genE0ELNS1_11target_archE4294967295ELNS1_3gpuE0ELNS1_3repE0EEENS1_30default_config_static_selectorELNS0_4arch9wavefront6targetE1EEEvT1_
	.p2align	8
	.type	_ZN7rocprim17ROCPRIM_400000_NS6detail17trampoline_kernelINS0_14default_configENS1_27scan_by_key_config_selectorIixEEZZNS1_16scan_by_key_implILNS1_25lookback_scan_determinismE0ELb0ES3_N6thrust23THRUST_200600_302600_NS6detail15normal_iteratorINS9_10device_ptrIiEEEENSB_INSC_IxEEEESG_xNS9_4plusIvEENS9_8equal_toIvEExEE10hipError_tPvRmT2_T3_T4_T5_mT6_T7_P12ihipStream_tbENKUlT_T0_E_clISt17integral_constantIbLb1EES10_IbLb0EEEEDaSW_SX_EUlSW_E_NS1_11comp_targetILNS1_3genE0ELNS1_11target_archE4294967295ELNS1_3gpuE0ELNS1_3repE0EEENS1_30default_config_static_selectorELNS0_4arch9wavefront6targetE1EEEvT1_,@function
_ZN7rocprim17ROCPRIM_400000_NS6detail17trampoline_kernelINS0_14default_configENS1_27scan_by_key_config_selectorIixEEZZNS1_16scan_by_key_implILNS1_25lookback_scan_determinismE0ELb0ES3_N6thrust23THRUST_200600_302600_NS6detail15normal_iteratorINS9_10device_ptrIiEEEENSB_INSC_IxEEEESG_xNS9_4plusIvEENS9_8equal_toIvEExEE10hipError_tPvRmT2_T3_T4_T5_mT6_T7_P12ihipStream_tbENKUlT_T0_E_clISt17integral_constantIbLb1EES10_IbLb0EEEEDaSW_SX_EUlSW_E_NS1_11comp_targetILNS1_3genE0ELNS1_11target_archE4294967295ELNS1_3gpuE0ELNS1_3repE0EEENS1_30default_config_static_selectorELNS0_4arch9wavefront6targetE1EEEvT1_: ; @_ZN7rocprim17ROCPRIM_400000_NS6detail17trampoline_kernelINS0_14default_configENS1_27scan_by_key_config_selectorIixEEZZNS1_16scan_by_key_implILNS1_25lookback_scan_determinismE0ELb0ES3_N6thrust23THRUST_200600_302600_NS6detail15normal_iteratorINS9_10device_ptrIiEEEENSB_INSC_IxEEEESG_xNS9_4plusIvEENS9_8equal_toIvEExEE10hipError_tPvRmT2_T3_T4_T5_mT6_T7_P12ihipStream_tbENKUlT_T0_E_clISt17integral_constantIbLb1EES10_IbLb0EEEEDaSW_SX_EUlSW_E_NS1_11comp_targetILNS1_3genE0ELNS1_11target_archE4294967295ELNS1_3gpuE0ELNS1_3repE0EEENS1_30default_config_static_selectorELNS0_4arch9wavefront6targetE1EEEvT1_
; %bb.0:
	.section	.rodata,"a",@progbits
	.p2align	6, 0x0
	.amdhsa_kernel _ZN7rocprim17ROCPRIM_400000_NS6detail17trampoline_kernelINS0_14default_configENS1_27scan_by_key_config_selectorIixEEZZNS1_16scan_by_key_implILNS1_25lookback_scan_determinismE0ELb0ES3_N6thrust23THRUST_200600_302600_NS6detail15normal_iteratorINS9_10device_ptrIiEEEENSB_INSC_IxEEEESG_xNS9_4plusIvEENS9_8equal_toIvEExEE10hipError_tPvRmT2_T3_T4_T5_mT6_T7_P12ihipStream_tbENKUlT_T0_E_clISt17integral_constantIbLb1EES10_IbLb0EEEEDaSW_SX_EUlSW_E_NS1_11comp_targetILNS1_3genE0ELNS1_11target_archE4294967295ELNS1_3gpuE0ELNS1_3repE0EEENS1_30default_config_static_selectorELNS0_4arch9wavefront6targetE1EEEvT1_
		.amdhsa_group_segment_fixed_size 0
		.amdhsa_private_segment_fixed_size 0
		.amdhsa_kernarg_size 136
		.amdhsa_user_sgpr_count 6
		.amdhsa_user_sgpr_private_segment_buffer 1
		.amdhsa_user_sgpr_dispatch_ptr 0
		.amdhsa_user_sgpr_queue_ptr 0
		.amdhsa_user_sgpr_kernarg_segment_ptr 1
		.amdhsa_user_sgpr_dispatch_id 0
		.amdhsa_user_sgpr_flat_scratch_init 0
		.amdhsa_user_sgpr_kernarg_preload_length 0
		.amdhsa_user_sgpr_kernarg_preload_offset 0
		.amdhsa_user_sgpr_private_segment_size 0
		.amdhsa_uses_dynamic_stack 0
		.amdhsa_system_sgpr_private_segment_wavefront_offset 0
		.amdhsa_system_sgpr_workgroup_id_x 1
		.amdhsa_system_sgpr_workgroup_id_y 0
		.amdhsa_system_sgpr_workgroup_id_z 0
		.amdhsa_system_sgpr_workgroup_info 0
		.amdhsa_system_vgpr_workitem_id 0
		.amdhsa_next_free_vgpr 1
		.amdhsa_next_free_sgpr 0
		.amdhsa_accum_offset 4
		.amdhsa_reserve_vcc 0
		.amdhsa_reserve_flat_scratch 0
		.amdhsa_float_round_mode_32 0
		.amdhsa_float_round_mode_16_64 0
		.amdhsa_float_denorm_mode_32 3
		.amdhsa_float_denorm_mode_16_64 3
		.amdhsa_dx10_clamp 1
		.amdhsa_ieee_mode 1
		.amdhsa_fp16_overflow 0
		.amdhsa_tg_split 0
		.amdhsa_exception_fp_ieee_invalid_op 0
		.amdhsa_exception_fp_denorm_src 0
		.amdhsa_exception_fp_ieee_div_zero 0
		.amdhsa_exception_fp_ieee_overflow 0
		.amdhsa_exception_fp_ieee_underflow 0
		.amdhsa_exception_fp_ieee_inexact 0
		.amdhsa_exception_int_div_zero 0
	.end_amdhsa_kernel
	.section	.text._ZN7rocprim17ROCPRIM_400000_NS6detail17trampoline_kernelINS0_14default_configENS1_27scan_by_key_config_selectorIixEEZZNS1_16scan_by_key_implILNS1_25lookback_scan_determinismE0ELb0ES3_N6thrust23THRUST_200600_302600_NS6detail15normal_iteratorINS9_10device_ptrIiEEEENSB_INSC_IxEEEESG_xNS9_4plusIvEENS9_8equal_toIvEExEE10hipError_tPvRmT2_T3_T4_T5_mT6_T7_P12ihipStream_tbENKUlT_T0_E_clISt17integral_constantIbLb1EES10_IbLb0EEEEDaSW_SX_EUlSW_E_NS1_11comp_targetILNS1_3genE0ELNS1_11target_archE4294967295ELNS1_3gpuE0ELNS1_3repE0EEENS1_30default_config_static_selectorELNS0_4arch9wavefront6targetE1EEEvT1_,"axG",@progbits,_ZN7rocprim17ROCPRIM_400000_NS6detail17trampoline_kernelINS0_14default_configENS1_27scan_by_key_config_selectorIixEEZZNS1_16scan_by_key_implILNS1_25lookback_scan_determinismE0ELb0ES3_N6thrust23THRUST_200600_302600_NS6detail15normal_iteratorINS9_10device_ptrIiEEEENSB_INSC_IxEEEESG_xNS9_4plusIvEENS9_8equal_toIvEExEE10hipError_tPvRmT2_T3_T4_T5_mT6_T7_P12ihipStream_tbENKUlT_T0_E_clISt17integral_constantIbLb1EES10_IbLb0EEEEDaSW_SX_EUlSW_E_NS1_11comp_targetILNS1_3genE0ELNS1_11target_archE4294967295ELNS1_3gpuE0ELNS1_3repE0EEENS1_30default_config_static_selectorELNS0_4arch9wavefront6targetE1EEEvT1_,comdat
.Lfunc_end1331:
	.size	_ZN7rocprim17ROCPRIM_400000_NS6detail17trampoline_kernelINS0_14default_configENS1_27scan_by_key_config_selectorIixEEZZNS1_16scan_by_key_implILNS1_25lookback_scan_determinismE0ELb0ES3_N6thrust23THRUST_200600_302600_NS6detail15normal_iteratorINS9_10device_ptrIiEEEENSB_INSC_IxEEEESG_xNS9_4plusIvEENS9_8equal_toIvEExEE10hipError_tPvRmT2_T3_T4_T5_mT6_T7_P12ihipStream_tbENKUlT_T0_E_clISt17integral_constantIbLb1EES10_IbLb0EEEEDaSW_SX_EUlSW_E_NS1_11comp_targetILNS1_3genE0ELNS1_11target_archE4294967295ELNS1_3gpuE0ELNS1_3repE0EEENS1_30default_config_static_selectorELNS0_4arch9wavefront6targetE1EEEvT1_, .Lfunc_end1331-_ZN7rocprim17ROCPRIM_400000_NS6detail17trampoline_kernelINS0_14default_configENS1_27scan_by_key_config_selectorIixEEZZNS1_16scan_by_key_implILNS1_25lookback_scan_determinismE0ELb0ES3_N6thrust23THRUST_200600_302600_NS6detail15normal_iteratorINS9_10device_ptrIiEEEENSB_INSC_IxEEEESG_xNS9_4plusIvEENS9_8equal_toIvEExEE10hipError_tPvRmT2_T3_T4_T5_mT6_T7_P12ihipStream_tbENKUlT_T0_E_clISt17integral_constantIbLb1EES10_IbLb0EEEEDaSW_SX_EUlSW_E_NS1_11comp_targetILNS1_3genE0ELNS1_11target_archE4294967295ELNS1_3gpuE0ELNS1_3repE0EEENS1_30default_config_static_selectorELNS0_4arch9wavefront6targetE1EEEvT1_
                                        ; -- End function
	.section	.AMDGPU.csdata,"",@progbits
; Kernel info:
; codeLenInByte = 0
; NumSgprs: 4
; NumVgprs: 0
; NumAgprs: 0
; TotalNumVgprs: 0
; ScratchSize: 0
; MemoryBound: 0
; FloatMode: 240
; IeeeMode: 1
; LDSByteSize: 0 bytes/workgroup (compile time only)
; SGPRBlocks: 0
; VGPRBlocks: 0
; NumSGPRsForWavesPerEU: 4
; NumVGPRsForWavesPerEU: 1
; AccumOffset: 4
; Occupancy: 8
; WaveLimiterHint : 0
; COMPUTE_PGM_RSRC2:SCRATCH_EN: 0
; COMPUTE_PGM_RSRC2:USER_SGPR: 6
; COMPUTE_PGM_RSRC2:TRAP_HANDLER: 0
; COMPUTE_PGM_RSRC2:TGID_X_EN: 1
; COMPUTE_PGM_RSRC2:TGID_Y_EN: 0
; COMPUTE_PGM_RSRC2:TGID_Z_EN: 0
; COMPUTE_PGM_RSRC2:TIDIG_COMP_CNT: 0
; COMPUTE_PGM_RSRC3_GFX90A:ACCUM_OFFSET: 0
; COMPUTE_PGM_RSRC3_GFX90A:TG_SPLIT: 0
	.section	.text._ZN7rocprim17ROCPRIM_400000_NS6detail17trampoline_kernelINS0_14default_configENS1_27scan_by_key_config_selectorIixEEZZNS1_16scan_by_key_implILNS1_25lookback_scan_determinismE0ELb0ES3_N6thrust23THRUST_200600_302600_NS6detail15normal_iteratorINS9_10device_ptrIiEEEENSB_INSC_IxEEEESG_xNS9_4plusIvEENS9_8equal_toIvEExEE10hipError_tPvRmT2_T3_T4_T5_mT6_T7_P12ihipStream_tbENKUlT_T0_E_clISt17integral_constantIbLb1EES10_IbLb0EEEEDaSW_SX_EUlSW_E_NS1_11comp_targetILNS1_3genE10ELNS1_11target_archE1201ELNS1_3gpuE5ELNS1_3repE0EEENS1_30default_config_static_selectorELNS0_4arch9wavefront6targetE1EEEvT1_,"axG",@progbits,_ZN7rocprim17ROCPRIM_400000_NS6detail17trampoline_kernelINS0_14default_configENS1_27scan_by_key_config_selectorIixEEZZNS1_16scan_by_key_implILNS1_25lookback_scan_determinismE0ELb0ES3_N6thrust23THRUST_200600_302600_NS6detail15normal_iteratorINS9_10device_ptrIiEEEENSB_INSC_IxEEEESG_xNS9_4plusIvEENS9_8equal_toIvEExEE10hipError_tPvRmT2_T3_T4_T5_mT6_T7_P12ihipStream_tbENKUlT_T0_E_clISt17integral_constantIbLb1EES10_IbLb0EEEEDaSW_SX_EUlSW_E_NS1_11comp_targetILNS1_3genE10ELNS1_11target_archE1201ELNS1_3gpuE5ELNS1_3repE0EEENS1_30default_config_static_selectorELNS0_4arch9wavefront6targetE1EEEvT1_,comdat
	.protected	_ZN7rocprim17ROCPRIM_400000_NS6detail17trampoline_kernelINS0_14default_configENS1_27scan_by_key_config_selectorIixEEZZNS1_16scan_by_key_implILNS1_25lookback_scan_determinismE0ELb0ES3_N6thrust23THRUST_200600_302600_NS6detail15normal_iteratorINS9_10device_ptrIiEEEENSB_INSC_IxEEEESG_xNS9_4plusIvEENS9_8equal_toIvEExEE10hipError_tPvRmT2_T3_T4_T5_mT6_T7_P12ihipStream_tbENKUlT_T0_E_clISt17integral_constantIbLb1EES10_IbLb0EEEEDaSW_SX_EUlSW_E_NS1_11comp_targetILNS1_3genE10ELNS1_11target_archE1201ELNS1_3gpuE5ELNS1_3repE0EEENS1_30default_config_static_selectorELNS0_4arch9wavefront6targetE1EEEvT1_ ; -- Begin function _ZN7rocprim17ROCPRIM_400000_NS6detail17trampoline_kernelINS0_14default_configENS1_27scan_by_key_config_selectorIixEEZZNS1_16scan_by_key_implILNS1_25lookback_scan_determinismE0ELb0ES3_N6thrust23THRUST_200600_302600_NS6detail15normal_iteratorINS9_10device_ptrIiEEEENSB_INSC_IxEEEESG_xNS9_4plusIvEENS9_8equal_toIvEExEE10hipError_tPvRmT2_T3_T4_T5_mT6_T7_P12ihipStream_tbENKUlT_T0_E_clISt17integral_constantIbLb1EES10_IbLb0EEEEDaSW_SX_EUlSW_E_NS1_11comp_targetILNS1_3genE10ELNS1_11target_archE1201ELNS1_3gpuE5ELNS1_3repE0EEENS1_30default_config_static_selectorELNS0_4arch9wavefront6targetE1EEEvT1_
	.globl	_ZN7rocprim17ROCPRIM_400000_NS6detail17trampoline_kernelINS0_14default_configENS1_27scan_by_key_config_selectorIixEEZZNS1_16scan_by_key_implILNS1_25lookback_scan_determinismE0ELb0ES3_N6thrust23THRUST_200600_302600_NS6detail15normal_iteratorINS9_10device_ptrIiEEEENSB_INSC_IxEEEESG_xNS9_4plusIvEENS9_8equal_toIvEExEE10hipError_tPvRmT2_T3_T4_T5_mT6_T7_P12ihipStream_tbENKUlT_T0_E_clISt17integral_constantIbLb1EES10_IbLb0EEEEDaSW_SX_EUlSW_E_NS1_11comp_targetILNS1_3genE10ELNS1_11target_archE1201ELNS1_3gpuE5ELNS1_3repE0EEENS1_30default_config_static_selectorELNS0_4arch9wavefront6targetE1EEEvT1_
	.p2align	8
	.type	_ZN7rocprim17ROCPRIM_400000_NS6detail17trampoline_kernelINS0_14default_configENS1_27scan_by_key_config_selectorIixEEZZNS1_16scan_by_key_implILNS1_25lookback_scan_determinismE0ELb0ES3_N6thrust23THRUST_200600_302600_NS6detail15normal_iteratorINS9_10device_ptrIiEEEENSB_INSC_IxEEEESG_xNS9_4plusIvEENS9_8equal_toIvEExEE10hipError_tPvRmT2_T3_T4_T5_mT6_T7_P12ihipStream_tbENKUlT_T0_E_clISt17integral_constantIbLb1EES10_IbLb0EEEEDaSW_SX_EUlSW_E_NS1_11comp_targetILNS1_3genE10ELNS1_11target_archE1201ELNS1_3gpuE5ELNS1_3repE0EEENS1_30default_config_static_selectorELNS0_4arch9wavefront6targetE1EEEvT1_,@function
_ZN7rocprim17ROCPRIM_400000_NS6detail17trampoline_kernelINS0_14default_configENS1_27scan_by_key_config_selectorIixEEZZNS1_16scan_by_key_implILNS1_25lookback_scan_determinismE0ELb0ES3_N6thrust23THRUST_200600_302600_NS6detail15normal_iteratorINS9_10device_ptrIiEEEENSB_INSC_IxEEEESG_xNS9_4plusIvEENS9_8equal_toIvEExEE10hipError_tPvRmT2_T3_T4_T5_mT6_T7_P12ihipStream_tbENKUlT_T0_E_clISt17integral_constantIbLb1EES10_IbLb0EEEEDaSW_SX_EUlSW_E_NS1_11comp_targetILNS1_3genE10ELNS1_11target_archE1201ELNS1_3gpuE5ELNS1_3repE0EEENS1_30default_config_static_selectorELNS0_4arch9wavefront6targetE1EEEvT1_: ; @_ZN7rocprim17ROCPRIM_400000_NS6detail17trampoline_kernelINS0_14default_configENS1_27scan_by_key_config_selectorIixEEZZNS1_16scan_by_key_implILNS1_25lookback_scan_determinismE0ELb0ES3_N6thrust23THRUST_200600_302600_NS6detail15normal_iteratorINS9_10device_ptrIiEEEENSB_INSC_IxEEEESG_xNS9_4plusIvEENS9_8equal_toIvEExEE10hipError_tPvRmT2_T3_T4_T5_mT6_T7_P12ihipStream_tbENKUlT_T0_E_clISt17integral_constantIbLb1EES10_IbLb0EEEEDaSW_SX_EUlSW_E_NS1_11comp_targetILNS1_3genE10ELNS1_11target_archE1201ELNS1_3gpuE5ELNS1_3repE0EEENS1_30default_config_static_selectorELNS0_4arch9wavefront6targetE1EEEvT1_
; %bb.0:
	.section	.rodata,"a",@progbits
	.p2align	6, 0x0
	.amdhsa_kernel _ZN7rocprim17ROCPRIM_400000_NS6detail17trampoline_kernelINS0_14default_configENS1_27scan_by_key_config_selectorIixEEZZNS1_16scan_by_key_implILNS1_25lookback_scan_determinismE0ELb0ES3_N6thrust23THRUST_200600_302600_NS6detail15normal_iteratorINS9_10device_ptrIiEEEENSB_INSC_IxEEEESG_xNS9_4plusIvEENS9_8equal_toIvEExEE10hipError_tPvRmT2_T3_T4_T5_mT6_T7_P12ihipStream_tbENKUlT_T0_E_clISt17integral_constantIbLb1EES10_IbLb0EEEEDaSW_SX_EUlSW_E_NS1_11comp_targetILNS1_3genE10ELNS1_11target_archE1201ELNS1_3gpuE5ELNS1_3repE0EEENS1_30default_config_static_selectorELNS0_4arch9wavefront6targetE1EEEvT1_
		.amdhsa_group_segment_fixed_size 0
		.amdhsa_private_segment_fixed_size 0
		.amdhsa_kernarg_size 136
		.amdhsa_user_sgpr_count 6
		.amdhsa_user_sgpr_private_segment_buffer 1
		.amdhsa_user_sgpr_dispatch_ptr 0
		.amdhsa_user_sgpr_queue_ptr 0
		.amdhsa_user_sgpr_kernarg_segment_ptr 1
		.amdhsa_user_sgpr_dispatch_id 0
		.amdhsa_user_sgpr_flat_scratch_init 0
		.amdhsa_user_sgpr_kernarg_preload_length 0
		.amdhsa_user_sgpr_kernarg_preload_offset 0
		.amdhsa_user_sgpr_private_segment_size 0
		.amdhsa_uses_dynamic_stack 0
		.amdhsa_system_sgpr_private_segment_wavefront_offset 0
		.amdhsa_system_sgpr_workgroup_id_x 1
		.amdhsa_system_sgpr_workgroup_id_y 0
		.amdhsa_system_sgpr_workgroup_id_z 0
		.amdhsa_system_sgpr_workgroup_info 0
		.amdhsa_system_vgpr_workitem_id 0
		.amdhsa_next_free_vgpr 1
		.amdhsa_next_free_sgpr 0
		.amdhsa_accum_offset 4
		.amdhsa_reserve_vcc 0
		.amdhsa_reserve_flat_scratch 0
		.amdhsa_float_round_mode_32 0
		.amdhsa_float_round_mode_16_64 0
		.amdhsa_float_denorm_mode_32 3
		.amdhsa_float_denorm_mode_16_64 3
		.amdhsa_dx10_clamp 1
		.amdhsa_ieee_mode 1
		.amdhsa_fp16_overflow 0
		.amdhsa_tg_split 0
		.amdhsa_exception_fp_ieee_invalid_op 0
		.amdhsa_exception_fp_denorm_src 0
		.amdhsa_exception_fp_ieee_div_zero 0
		.amdhsa_exception_fp_ieee_overflow 0
		.amdhsa_exception_fp_ieee_underflow 0
		.amdhsa_exception_fp_ieee_inexact 0
		.amdhsa_exception_int_div_zero 0
	.end_amdhsa_kernel
	.section	.text._ZN7rocprim17ROCPRIM_400000_NS6detail17trampoline_kernelINS0_14default_configENS1_27scan_by_key_config_selectorIixEEZZNS1_16scan_by_key_implILNS1_25lookback_scan_determinismE0ELb0ES3_N6thrust23THRUST_200600_302600_NS6detail15normal_iteratorINS9_10device_ptrIiEEEENSB_INSC_IxEEEESG_xNS9_4plusIvEENS9_8equal_toIvEExEE10hipError_tPvRmT2_T3_T4_T5_mT6_T7_P12ihipStream_tbENKUlT_T0_E_clISt17integral_constantIbLb1EES10_IbLb0EEEEDaSW_SX_EUlSW_E_NS1_11comp_targetILNS1_3genE10ELNS1_11target_archE1201ELNS1_3gpuE5ELNS1_3repE0EEENS1_30default_config_static_selectorELNS0_4arch9wavefront6targetE1EEEvT1_,"axG",@progbits,_ZN7rocprim17ROCPRIM_400000_NS6detail17trampoline_kernelINS0_14default_configENS1_27scan_by_key_config_selectorIixEEZZNS1_16scan_by_key_implILNS1_25lookback_scan_determinismE0ELb0ES3_N6thrust23THRUST_200600_302600_NS6detail15normal_iteratorINS9_10device_ptrIiEEEENSB_INSC_IxEEEESG_xNS9_4plusIvEENS9_8equal_toIvEExEE10hipError_tPvRmT2_T3_T4_T5_mT6_T7_P12ihipStream_tbENKUlT_T0_E_clISt17integral_constantIbLb1EES10_IbLb0EEEEDaSW_SX_EUlSW_E_NS1_11comp_targetILNS1_3genE10ELNS1_11target_archE1201ELNS1_3gpuE5ELNS1_3repE0EEENS1_30default_config_static_selectorELNS0_4arch9wavefront6targetE1EEEvT1_,comdat
.Lfunc_end1332:
	.size	_ZN7rocprim17ROCPRIM_400000_NS6detail17trampoline_kernelINS0_14default_configENS1_27scan_by_key_config_selectorIixEEZZNS1_16scan_by_key_implILNS1_25lookback_scan_determinismE0ELb0ES3_N6thrust23THRUST_200600_302600_NS6detail15normal_iteratorINS9_10device_ptrIiEEEENSB_INSC_IxEEEESG_xNS9_4plusIvEENS9_8equal_toIvEExEE10hipError_tPvRmT2_T3_T4_T5_mT6_T7_P12ihipStream_tbENKUlT_T0_E_clISt17integral_constantIbLb1EES10_IbLb0EEEEDaSW_SX_EUlSW_E_NS1_11comp_targetILNS1_3genE10ELNS1_11target_archE1201ELNS1_3gpuE5ELNS1_3repE0EEENS1_30default_config_static_selectorELNS0_4arch9wavefront6targetE1EEEvT1_, .Lfunc_end1332-_ZN7rocprim17ROCPRIM_400000_NS6detail17trampoline_kernelINS0_14default_configENS1_27scan_by_key_config_selectorIixEEZZNS1_16scan_by_key_implILNS1_25lookback_scan_determinismE0ELb0ES3_N6thrust23THRUST_200600_302600_NS6detail15normal_iteratorINS9_10device_ptrIiEEEENSB_INSC_IxEEEESG_xNS9_4plusIvEENS9_8equal_toIvEExEE10hipError_tPvRmT2_T3_T4_T5_mT6_T7_P12ihipStream_tbENKUlT_T0_E_clISt17integral_constantIbLb1EES10_IbLb0EEEEDaSW_SX_EUlSW_E_NS1_11comp_targetILNS1_3genE10ELNS1_11target_archE1201ELNS1_3gpuE5ELNS1_3repE0EEENS1_30default_config_static_selectorELNS0_4arch9wavefront6targetE1EEEvT1_
                                        ; -- End function
	.section	.AMDGPU.csdata,"",@progbits
; Kernel info:
; codeLenInByte = 0
; NumSgprs: 4
; NumVgprs: 0
; NumAgprs: 0
; TotalNumVgprs: 0
; ScratchSize: 0
; MemoryBound: 0
; FloatMode: 240
; IeeeMode: 1
; LDSByteSize: 0 bytes/workgroup (compile time only)
; SGPRBlocks: 0
; VGPRBlocks: 0
; NumSGPRsForWavesPerEU: 4
; NumVGPRsForWavesPerEU: 1
; AccumOffset: 4
; Occupancy: 8
; WaveLimiterHint : 0
; COMPUTE_PGM_RSRC2:SCRATCH_EN: 0
; COMPUTE_PGM_RSRC2:USER_SGPR: 6
; COMPUTE_PGM_RSRC2:TRAP_HANDLER: 0
; COMPUTE_PGM_RSRC2:TGID_X_EN: 1
; COMPUTE_PGM_RSRC2:TGID_Y_EN: 0
; COMPUTE_PGM_RSRC2:TGID_Z_EN: 0
; COMPUTE_PGM_RSRC2:TIDIG_COMP_CNT: 0
; COMPUTE_PGM_RSRC3_GFX90A:ACCUM_OFFSET: 0
; COMPUTE_PGM_RSRC3_GFX90A:TG_SPLIT: 0
	.section	.text._ZN7rocprim17ROCPRIM_400000_NS6detail17trampoline_kernelINS0_14default_configENS1_27scan_by_key_config_selectorIixEEZZNS1_16scan_by_key_implILNS1_25lookback_scan_determinismE0ELb0ES3_N6thrust23THRUST_200600_302600_NS6detail15normal_iteratorINS9_10device_ptrIiEEEENSB_INSC_IxEEEESG_xNS9_4plusIvEENS9_8equal_toIvEExEE10hipError_tPvRmT2_T3_T4_T5_mT6_T7_P12ihipStream_tbENKUlT_T0_E_clISt17integral_constantIbLb1EES10_IbLb0EEEEDaSW_SX_EUlSW_E_NS1_11comp_targetILNS1_3genE5ELNS1_11target_archE942ELNS1_3gpuE9ELNS1_3repE0EEENS1_30default_config_static_selectorELNS0_4arch9wavefront6targetE1EEEvT1_,"axG",@progbits,_ZN7rocprim17ROCPRIM_400000_NS6detail17trampoline_kernelINS0_14default_configENS1_27scan_by_key_config_selectorIixEEZZNS1_16scan_by_key_implILNS1_25lookback_scan_determinismE0ELb0ES3_N6thrust23THRUST_200600_302600_NS6detail15normal_iteratorINS9_10device_ptrIiEEEENSB_INSC_IxEEEESG_xNS9_4plusIvEENS9_8equal_toIvEExEE10hipError_tPvRmT2_T3_T4_T5_mT6_T7_P12ihipStream_tbENKUlT_T0_E_clISt17integral_constantIbLb1EES10_IbLb0EEEEDaSW_SX_EUlSW_E_NS1_11comp_targetILNS1_3genE5ELNS1_11target_archE942ELNS1_3gpuE9ELNS1_3repE0EEENS1_30default_config_static_selectorELNS0_4arch9wavefront6targetE1EEEvT1_,comdat
	.protected	_ZN7rocprim17ROCPRIM_400000_NS6detail17trampoline_kernelINS0_14default_configENS1_27scan_by_key_config_selectorIixEEZZNS1_16scan_by_key_implILNS1_25lookback_scan_determinismE0ELb0ES3_N6thrust23THRUST_200600_302600_NS6detail15normal_iteratorINS9_10device_ptrIiEEEENSB_INSC_IxEEEESG_xNS9_4plusIvEENS9_8equal_toIvEExEE10hipError_tPvRmT2_T3_T4_T5_mT6_T7_P12ihipStream_tbENKUlT_T0_E_clISt17integral_constantIbLb1EES10_IbLb0EEEEDaSW_SX_EUlSW_E_NS1_11comp_targetILNS1_3genE5ELNS1_11target_archE942ELNS1_3gpuE9ELNS1_3repE0EEENS1_30default_config_static_selectorELNS0_4arch9wavefront6targetE1EEEvT1_ ; -- Begin function _ZN7rocprim17ROCPRIM_400000_NS6detail17trampoline_kernelINS0_14default_configENS1_27scan_by_key_config_selectorIixEEZZNS1_16scan_by_key_implILNS1_25lookback_scan_determinismE0ELb0ES3_N6thrust23THRUST_200600_302600_NS6detail15normal_iteratorINS9_10device_ptrIiEEEENSB_INSC_IxEEEESG_xNS9_4plusIvEENS9_8equal_toIvEExEE10hipError_tPvRmT2_T3_T4_T5_mT6_T7_P12ihipStream_tbENKUlT_T0_E_clISt17integral_constantIbLb1EES10_IbLb0EEEEDaSW_SX_EUlSW_E_NS1_11comp_targetILNS1_3genE5ELNS1_11target_archE942ELNS1_3gpuE9ELNS1_3repE0EEENS1_30default_config_static_selectorELNS0_4arch9wavefront6targetE1EEEvT1_
	.globl	_ZN7rocprim17ROCPRIM_400000_NS6detail17trampoline_kernelINS0_14default_configENS1_27scan_by_key_config_selectorIixEEZZNS1_16scan_by_key_implILNS1_25lookback_scan_determinismE0ELb0ES3_N6thrust23THRUST_200600_302600_NS6detail15normal_iteratorINS9_10device_ptrIiEEEENSB_INSC_IxEEEESG_xNS9_4plusIvEENS9_8equal_toIvEExEE10hipError_tPvRmT2_T3_T4_T5_mT6_T7_P12ihipStream_tbENKUlT_T0_E_clISt17integral_constantIbLb1EES10_IbLb0EEEEDaSW_SX_EUlSW_E_NS1_11comp_targetILNS1_3genE5ELNS1_11target_archE942ELNS1_3gpuE9ELNS1_3repE0EEENS1_30default_config_static_selectorELNS0_4arch9wavefront6targetE1EEEvT1_
	.p2align	8
	.type	_ZN7rocprim17ROCPRIM_400000_NS6detail17trampoline_kernelINS0_14default_configENS1_27scan_by_key_config_selectorIixEEZZNS1_16scan_by_key_implILNS1_25lookback_scan_determinismE0ELb0ES3_N6thrust23THRUST_200600_302600_NS6detail15normal_iteratorINS9_10device_ptrIiEEEENSB_INSC_IxEEEESG_xNS9_4plusIvEENS9_8equal_toIvEExEE10hipError_tPvRmT2_T3_T4_T5_mT6_T7_P12ihipStream_tbENKUlT_T0_E_clISt17integral_constantIbLb1EES10_IbLb0EEEEDaSW_SX_EUlSW_E_NS1_11comp_targetILNS1_3genE5ELNS1_11target_archE942ELNS1_3gpuE9ELNS1_3repE0EEENS1_30default_config_static_selectorELNS0_4arch9wavefront6targetE1EEEvT1_,@function
_ZN7rocprim17ROCPRIM_400000_NS6detail17trampoline_kernelINS0_14default_configENS1_27scan_by_key_config_selectorIixEEZZNS1_16scan_by_key_implILNS1_25lookback_scan_determinismE0ELb0ES3_N6thrust23THRUST_200600_302600_NS6detail15normal_iteratorINS9_10device_ptrIiEEEENSB_INSC_IxEEEESG_xNS9_4plusIvEENS9_8equal_toIvEExEE10hipError_tPvRmT2_T3_T4_T5_mT6_T7_P12ihipStream_tbENKUlT_T0_E_clISt17integral_constantIbLb1EES10_IbLb0EEEEDaSW_SX_EUlSW_E_NS1_11comp_targetILNS1_3genE5ELNS1_11target_archE942ELNS1_3gpuE9ELNS1_3repE0EEENS1_30default_config_static_selectorELNS0_4arch9wavefront6targetE1EEEvT1_: ; @_ZN7rocprim17ROCPRIM_400000_NS6detail17trampoline_kernelINS0_14default_configENS1_27scan_by_key_config_selectorIixEEZZNS1_16scan_by_key_implILNS1_25lookback_scan_determinismE0ELb0ES3_N6thrust23THRUST_200600_302600_NS6detail15normal_iteratorINS9_10device_ptrIiEEEENSB_INSC_IxEEEESG_xNS9_4plusIvEENS9_8equal_toIvEExEE10hipError_tPvRmT2_T3_T4_T5_mT6_T7_P12ihipStream_tbENKUlT_T0_E_clISt17integral_constantIbLb1EES10_IbLb0EEEEDaSW_SX_EUlSW_E_NS1_11comp_targetILNS1_3genE5ELNS1_11target_archE942ELNS1_3gpuE9ELNS1_3repE0EEENS1_30default_config_static_selectorELNS0_4arch9wavefront6targetE1EEEvT1_
; %bb.0:
	.section	.rodata,"a",@progbits
	.p2align	6, 0x0
	.amdhsa_kernel _ZN7rocprim17ROCPRIM_400000_NS6detail17trampoline_kernelINS0_14default_configENS1_27scan_by_key_config_selectorIixEEZZNS1_16scan_by_key_implILNS1_25lookback_scan_determinismE0ELb0ES3_N6thrust23THRUST_200600_302600_NS6detail15normal_iteratorINS9_10device_ptrIiEEEENSB_INSC_IxEEEESG_xNS9_4plusIvEENS9_8equal_toIvEExEE10hipError_tPvRmT2_T3_T4_T5_mT6_T7_P12ihipStream_tbENKUlT_T0_E_clISt17integral_constantIbLb1EES10_IbLb0EEEEDaSW_SX_EUlSW_E_NS1_11comp_targetILNS1_3genE5ELNS1_11target_archE942ELNS1_3gpuE9ELNS1_3repE0EEENS1_30default_config_static_selectorELNS0_4arch9wavefront6targetE1EEEvT1_
		.amdhsa_group_segment_fixed_size 0
		.amdhsa_private_segment_fixed_size 0
		.amdhsa_kernarg_size 136
		.amdhsa_user_sgpr_count 6
		.amdhsa_user_sgpr_private_segment_buffer 1
		.amdhsa_user_sgpr_dispatch_ptr 0
		.amdhsa_user_sgpr_queue_ptr 0
		.amdhsa_user_sgpr_kernarg_segment_ptr 1
		.amdhsa_user_sgpr_dispatch_id 0
		.amdhsa_user_sgpr_flat_scratch_init 0
		.amdhsa_user_sgpr_kernarg_preload_length 0
		.amdhsa_user_sgpr_kernarg_preload_offset 0
		.amdhsa_user_sgpr_private_segment_size 0
		.amdhsa_uses_dynamic_stack 0
		.amdhsa_system_sgpr_private_segment_wavefront_offset 0
		.amdhsa_system_sgpr_workgroup_id_x 1
		.amdhsa_system_sgpr_workgroup_id_y 0
		.amdhsa_system_sgpr_workgroup_id_z 0
		.amdhsa_system_sgpr_workgroup_info 0
		.amdhsa_system_vgpr_workitem_id 0
		.amdhsa_next_free_vgpr 1
		.amdhsa_next_free_sgpr 0
		.amdhsa_accum_offset 4
		.amdhsa_reserve_vcc 0
		.amdhsa_reserve_flat_scratch 0
		.amdhsa_float_round_mode_32 0
		.amdhsa_float_round_mode_16_64 0
		.amdhsa_float_denorm_mode_32 3
		.amdhsa_float_denorm_mode_16_64 3
		.amdhsa_dx10_clamp 1
		.amdhsa_ieee_mode 1
		.amdhsa_fp16_overflow 0
		.amdhsa_tg_split 0
		.amdhsa_exception_fp_ieee_invalid_op 0
		.amdhsa_exception_fp_denorm_src 0
		.amdhsa_exception_fp_ieee_div_zero 0
		.amdhsa_exception_fp_ieee_overflow 0
		.amdhsa_exception_fp_ieee_underflow 0
		.amdhsa_exception_fp_ieee_inexact 0
		.amdhsa_exception_int_div_zero 0
	.end_amdhsa_kernel
	.section	.text._ZN7rocprim17ROCPRIM_400000_NS6detail17trampoline_kernelINS0_14default_configENS1_27scan_by_key_config_selectorIixEEZZNS1_16scan_by_key_implILNS1_25lookback_scan_determinismE0ELb0ES3_N6thrust23THRUST_200600_302600_NS6detail15normal_iteratorINS9_10device_ptrIiEEEENSB_INSC_IxEEEESG_xNS9_4plusIvEENS9_8equal_toIvEExEE10hipError_tPvRmT2_T3_T4_T5_mT6_T7_P12ihipStream_tbENKUlT_T0_E_clISt17integral_constantIbLb1EES10_IbLb0EEEEDaSW_SX_EUlSW_E_NS1_11comp_targetILNS1_3genE5ELNS1_11target_archE942ELNS1_3gpuE9ELNS1_3repE0EEENS1_30default_config_static_selectorELNS0_4arch9wavefront6targetE1EEEvT1_,"axG",@progbits,_ZN7rocprim17ROCPRIM_400000_NS6detail17trampoline_kernelINS0_14default_configENS1_27scan_by_key_config_selectorIixEEZZNS1_16scan_by_key_implILNS1_25lookback_scan_determinismE0ELb0ES3_N6thrust23THRUST_200600_302600_NS6detail15normal_iteratorINS9_10device_ptrIiEEEENSB_INSC_IxEEEESG_xNS9_4plusIvEENS9_8equal_toIvEExEE10hipError_tPvRmT2_T3_T4_T5_mT6_T7_P12ihipStream_tbENKUlT_T0_E_clISt17integral_constantIbLb1EES10_IbLb0EEEEDaSW_SX_EUlSW_E_NS1_11comp_targetILNS1_3genE5ELNS1_11target_archE942ELNS1_3gpuE9ELNS1_3repE0EEENS1_30default_config_static_selectorELNS0_4arch9wavefront6targetE1EEEvT1_,comdat
.Lfunc_end1333:
	.size	_ZN7rocprim17ROCPRIM_400000_NS6detail17trampoline_kernelINS0_14default_configENS1_27scan_by_key_config_selectorIixEEZZNS1_16scan_by_key_implILNS1_25lookback_scan_determinismE0ELb0ES3_N6thrust23THRUST_200600_302600_NS6detail15normal_iteratorINS9_10device_ptrIiEEEENSB_INSC_IxEEEESG_xNS9_4plusIvEENS9_8equal_toIvEExEE10hipError_tPvRmT2_T3_T4_T5_mT6_T7_P12ihipStream_tbENKUlT_T0_E_clISt17integral_constantIbLb1EES10_IbLb0EEEEDaSW_SX_EUlSW_E_NS1_11comp_targetILNS1_3genE5ELNS1_11target_archE942ELNS1_3gpuE9ELNS1_3repE0EEENS1_30default_config_static_selectorELNS0_4arch9wavefront6targetE1EEEvT1_, .Lfunc_end1333-_ZN7rocprim17ROCPRIM_400000_NS6detail17trampoline_kernelINS0_14default_configENS1_27scan_by_key_config_selectorIixEEZZNS1_16scan_by_key_implILNS1_25lookback_scan_determinismE0ELb0ES3_N6thrust23THRUST_200600_302600_NS6detail15normal_iteratorINS9_10device_ptrIiEEEENSB_INSC_IxEEEESG_xNS9_4plusIvEENS9_8equal_toIvEExEE10hipError_tPvRmT2_T3_T4_T5_mT6_T7_P12ihipStream_tbENKUlT_T0_E_clISt17integral_constantIbLb1EES10_IbLb0EEEEDaSW_SX_EUlSW_E_NS1_11comp_targetILNS1_3genE5ELNS1_11target_archE942ELNS1_3gpuE9ELNS1_3repE0EEENS1_30default_config_static_selectorELNS0_4arch9wavefront6targetE1EEEvT1_
                                        ; -- End function
	.section	.AMDGPU.csdata,"",@progbits
; Kernel info:
; codeLenInByte = 0
; NumSgprs: 4
; NumVgprs: 0
; NumAgprs: 0
; TotalNumVgprs: 0
; ScratchSize: 0
; MemoryBound: 0
; FloatMode: 240
; IeeeMode: 1
; LDSByteSize: 0 bytes/workgroup (compile time only)
; SGPRBlocks: 0
; VGPRBlocks: 0
; NumSGPRsForWavesPerEU: 4
; NumVGPRsForWavesPerEU: 1
; AccumOffset: 4
; Occupancy: 8
; WaveLimiterHint : 0
; COMPUTE_PGM_RSRC2:SCRATCH_EN: 0
; COMPUTE_PGM_RSRC2:USER_SGPR: 6
; COMPUTE_PGM_RSRC2:TRAP_HANDLER: 0
; COMPUTE_PGM_RSRC2:TGID_X_EN: 1
; COMPUTE_PGM_RSRC2:TGID_Y_EN: 0
; COMPUTE_PGM_RSRC2:TGID_Z_EN: 0
; COMPUTE_PGM_RSRC2:TIDIG_COMP_CNT: 0
; COMPUTE_PGM_RSRC3_GFX90A:ACCUM_OFFSET: 0
; COMPUTE_PGM_RSRC3_GFX90A:TG_SPLIT: 0
	.section	.text._ZN7rocprim17ROCPRIM_400000_NS6detail17trampoline_kernelINS0_14default_configENS1_27scan_by_key_config_selectorIixEEZZNS1_16scan_by_key_implILNS1_25lookback_scan_determinismE0ELb0ES3_N6thrust23THRUST_200600_302600_NS6detail15normal_iteratorINS9_10device_ptrIiEEEENSB_INSC_IxEEEESG_xNS9_4plusIvEENS9_8equal_toIvEExEE10hipError_tPvRmT2_T3_T4_T5_mT6_T7_P12ihipStream_tbENKUlT_T0_E_clISt17integral_constantIbLb1EES10_IbLb0EEEEDaSW_SX_EUlSW_E_NS1_11comp_targetILNS1_3genE4ELNS1_11target_archE910ELNS1_3gpuE8ELNS1_3repE0EEENS1_30default_config_static_selectorELNS0_4arch9wavefront6targetE1EEEvT1_,"axG",@progbits,_ZN7rocprim17ROCPRIM_400000_NS6detail17trampoline_kernelINS0_14default_configENS1_27scan_by_key_config_selectorIixEEZZNS1_16scan_by_key_implILNS1_25lookback_scan_determinismE0ELb0ES3_N6thrust23THRUST_200600_302600_NS6detail15normal_iteratorINS9_10device_ptrIiEEEENSB_INSC_IxEEEESG_xNS9_4plusIvEENS9_8equal_toIvEExEE10hipError_tPvRmT2_T3_T4_T5_mT6_T7_P12ihipStream_tbENKUlT_T0_E_clISt17integral_constantIbLb1EES10_IbLb0EEEEDaSW_SX_EUlSW_E_NS1_11comp_targetILNS1_3genE4ELNS1_11target_archE910ELNS1_3gpuE8ELNS1_3repE0EEENS1_30default_config_static_selectorELNS0_4arch9wavefront6targetE1EEEvT1_,comdat
	.protected	_ZN7rocprim17ROCPRIM_400000_NS6detail17trampoline_kernelINS0_14default_configENS1_27scan_by_key_config_selectorIixEEZZNS1_16scan_by_key_implILNS1_25lookback_scan_determinismE0ELb0ES3_N6thrust23THRUST_200600_302600_NS6detail15normal_iteratorINS9_10device_ptrIiEEEENSB_INSC_IxEEEESG_xNS9_4plusIvEENS9_8equal_toIvEExEE10hipError_tPvRmT2_T3_T4_T5_mT6_T7_P12ihipStream_tbENKUlT_T0_E_clISt17integral_constantIbLb1EES10_IbLb0EEEEDaSW_SX_EUlSW_E_NS1_11comp_targetILNS1_3genE4ELNS1_11target_archE910ELNS1_3gpuE8ELNS1_3repE0EEENS1_30default_config_static_selectorELNS0_4arch9wavefront6targetE1EEEvT1_ ; -- Begin function _ZN7rocprim17ROCPRIM_400000_NS6detail17trampoline_kernelINS0_14default_configENS1_27scan_by_key_config_selectorIixEEZZNS1_16scan_by_key_implILNS1_25lookback_scan_determinismE0ELb0ES3_N6thrust23THRUST_200600_302600_NS6detail15normal_iteratorINS9_10device_ptrIiEEEENSB_INSC_IxEEEESG_xNS9_4plusIvEENS9_8equal_toIvEExEE10hipError_tPvRmT2_T3_T4_T5_mT6_T7_P12ihipStream_tbENKUlT_T0_E_clISt17integral_constantIbLb1EES10_IbLb0EEEEDaSW_SX_EUlSW_E_NS1_11comp_targetILNS1_3genE4ELNS1_11target_archE910ELNS1_3gpuE8ELNS1_3repE0EEENS1_30default_config_static_selectorELNS0_4arch9wavefront6targetE1EEEvT1_
	.globl	_ZN7rocprim17ROCPRIM_400000_NS6detail17trampoline_kernelINS0_14default_configENS1_27scan_by_key_config_selectorIixEEZZNS1_16scan_by_key_implILNS1_25lookback_scan_determinismE0ELb0ES3_N6thrust23THRUST_200600_302600_NS6detail15normal_iteratorINS9_10device_ptrIiEEEENSB_INSC_IxEEEESG_xNS9_4plusIvEENS9_8equal_toIvEExEE10hipError_tPvRmT2_T3_T4_T5_mT6_T7_P12ihipStream_tbENKUlT_T0_E_clISt17integral_constantIbLb1EES10_IbLb0EEEEDaSW_SX_EUlSW_E_NS1_11comp_targetILNS1_3genE4ELNS1_11target_archE910ELNS1_3gpuE8ELNS1_3repE0EEENS1_30default_config_static_selectorELNS0_4arch9wavefront6targetE1EEEvT1_
	.p2align	8
	.type	_ZN7rocprim17ROCPRIM_400000_NS6detail17trampoline_kernelINS0_14default_configENS1_27scan_by_key_config_selectorIixEEZZNS1_16scan_by_key_implILNS1_25lookback_scan_determinismE0ELb0ES3_N6thrust23THRUST_200600_302600_NS6detail15normal_iteratorINS9_10device_ptrIiEEEENSB_INSC_IxEEEESG_xNS9_4plusIvEENS9_8equal_toIvEExEE10hipError_tPvRmT2_T3_T4_T5_mT6_T7_P12ihipStream_tbENKUlT_T0_E_clISt17integral_constantIbLb1EES10_IbLb0EEEEDaSW_SX_EUlSW_E_NS1_11comp_targetILNS1_3genE4ELNS1_11target_archE910ELNS1_3gpuE8ELNS1_3repE0EEENS1_30default_config_static_selectorELNS0_4arch9wavefront6targetE1EEEvT1_,@function
_ZN7rocprim17ROCPRIM_400000_NS6detail17trampoline_kernelINS0_14default_configENS1_27scan_by_key_config_selectorIixEEZZNS1_16scan_by_key_implILNS1_25lookback_scan_determinismE0ELb0ES3_N6thrust23THRUST_200600_302600_NS6detail15normal_iteratorINS9_10device_ptrIiEEEENSB_INSC_IxEEEESG_xNS9_4plusIvEENS9_8equal_toIvEExEE10hipError_tPvRmT2_T3_T4_T5_mT6_T7_P12ihipStream_tbENKUlT_T0_E_clISt17integral_constantIbLb1EES10_IbLb0EEEEDaSW_SX_EUlSW_E_NS1_11comp_targetILNS1_3genE4ELNS1_11target_archE910ELNS1_3gpuE8ELNS1_3repE0EEENS1_30default_config_static_selectorELNS0_4arch9wavefront6targetE1EEEvT1_: ; @_ZN7rocprim17ROCPRIM_400000_NS6detail17trampoline_kernelINS0_14default_configENS1_27scan_by_key_config_selectorIixEEZZNS1_16scan_by_key_implILNS1_25lookback_scan_determinismE0ELb0ES3_N6thrust23THRUST_200600_302600_NS6detail15normal_iteratorINS9_10device_ptrIiEEEENSB_INSC_IxEEEESG_xNS9_4plusIvEENS9_8equal_toIvEExEE10hipError_tPvRmT2_T3_T4_T5_mT6_T7_P12ihipStream_tbENKUlT_T0_E_clISt17integral_constantIbLb1EES10_IbLb0EEEEDaSW_SX_EUlSW_E_NS1_11comp_targetILNS1_3genE4ELNS1_11target_archE910ELNS1_3gpuE8ELNS1_3repE0EEENS1_30default_config_static_selectorELNS0_4arch9wavefront6targetE1EEEvT1_
; %bb.0:
	s_load_dwordx8 s[52:59], s[4:5], 0x0
	s_load_dwordx8 s[68:75], s[4:5], 0x30
	s_load_dwordx2 s[8:9], s[4:5], 0x50
	s_load_dword s2, s[4:5], 0x58
	s_load_dwordx8 s[88:95], s[4:5], 0x60
	s_waitcnt lgkmcnt(0)
	s_lshl_b64 s[0:1], s[54:55], 2
	s_add_u32 s7, s52, s0
	s_addc_u32 s10, s53, s1
	s_lshl_b64 s[0:1], s[54:55], 3
	s_add_u32 s11, s56, s0
	s_mul_i32 s3, s9, s2
	s_mul_hi_u32 s4, s8, s2
	s_addc_u32 s12, s57, s1
	s_add_i32 s13, s4, s3
                                        ; implicit-def: $vgpr131 : SGPR spill to VGPR lane
	s_cmp_lg_u64 s[92:93], 0
	v_writelane_b32 v131, s8, 0
	s_mul_i32 s14, s8, s2
	s_mul_i32 s2, s6, 0x540
	s_mov_b32 s3, 0
	v_writelane_b32 v131, s9, 1
	s_cselect_b64 s[50:51], -1, 0
	s_lshl_b64 s[8:9], s[2:3], 2
	s_add_u32 s48, s7, s8
	s_addc_u32 s49, s10, s9
	s_lshl_b64 s[86:87], s[2:3], 3
	s_add_u32 s7, s11, s86
	s_addc_u32 s62, s12, s87
	s_add_u32 s52, s14, s6
	s_addc_u32 s53, s13, 0
	s_add_u32 s2, s88, -1
	s_addc_u32 s3, s89, -1
	v_pk_mov_b32 v[2:3], s[2:3], s[2:3] op_sel:[0,1]
	v_cmp_ge_u64_e64 s[88:89], s[52:53], v[2:3]
	s_mov_b64 s[4:5], 0
	s_mov_b64 s[10:11], -1
	s_and_b64 vcc, exec, s[88:89]
	s_mul_i32 s33, s2, 0xfffffac0
	s_waitcnt lgkmcnt(0)
	; wave barrier
	s_cbranch_vccz .LBB1334_112
; %bb.1:
	v_pk_mov_b32 v[2:3], s[48:49], s[48:49] op_sel:[0,1]
	flat_load_dword v2, v[2:3]
	s_add_i32 s64, s33, s74
	v_cmp_gt_u32_e64 s[2:3], s64, v0
	s_waitcnt vmcnt(0) lgkmcnt(0)
	v_mov_b32_e32 v3, v2
	s_and_saveexec_b64 s[4:5], s[2:3]
	s_cbranch_execz .LBB1334_3
; %bb.2:
	v_lshlrev_b32_e32 v1, 2, v0
	v_mov_b32_e32 v3, s49
	v_add_co_u32_e32 v4, vcc, s48, v1
	v_addc_co_u32_e32 v5, vcc, 0, v3, vcc
	flat_load_dword v3, v[4:5]
.LBB1334_3:
	s_or_b64 exec, exec, s[4:5]
	v_or_b32_e32 v1, 64, v0
	v_cmp_gt_u32_e64 s[4:5], s64, v1
	v_mov_b32_e32 v4, v2
	s_and_saveexec_b64 s[8:9], s[4:5]
	s_cbranch_execz .LBB1334_5
; %bb.4:
	v_lshlrev_b32_e32 v1, 2, v0
	v_mov_b32_e32 v5, s49
	v_add_co_u32_e32 v4, vcc, s48, v1
	v_addc_co_u32_e32 v5, vcc, 0, v5, vcc
	flat_load_dword v4, v[4:5] offset:256
.LBB1334_5:
	s_or_b64 exec, exec, s[8:9]
	v_or_b32_e32 v1, 0x80, v0
	v_cmp_gt_u32_e64 s[46:47], s64, v1
	v_mov_b32_e32 v5, v2
	s_and_saveexec_b64 s[8:9], s[46:47]
	s_cbranch_execz .LBB1334_7
; %bb.6:
	v_lshlrev_b32_e32 v1, 2, v0
	v_mov_b32_e32 v5, s49
	v_add_co_u32_e32 v6, vcc, s48, v1
	v_addc_co_u32_e32 v7, vcc, 0, v5, vcc
	flat_load_dword v5, v[6:7] offset:512
.LBB1334_7:
	;; [unrolled: 13-line block ×15, first 2 shown]
	s_or_b64 exec, exec, s[36:37]
	v_or_b32_e32 v56, 0x400, v0
	v_cmp_gt_u32_e64 s[36:37], s64, v56
	v_mov_b32_e32 v19, v2
	s_and_saveexec_b64 s[38:39], s[36:37]
	s_cbranch_execz .LBB1334_35
; %bb.34:
	v_lshlrev_b32_e32 v19, 2, v56
	v_mov_b32_e32 v21, s49
	v_add_co_u32_e32 v20, vcc, s48, v19
	v_addc_co_u32_e32 v21, vcc, 0, v21, vcc
	flat_load_dword v19, v[20:21]
.LBB1334_35:
	s_or_b64 exec, exec, s[38:39]
	v_or_b32_e32 v58, 0x440, v0
	v_cmp_gt_u32_e64 s[38:39], s64, v58
	v_mov_b32_e32 v20, v2
	s_and_saveexec_b64 s[40:41], s[38:39]
	s_cbranch_execz .LBB1334_37
; %bb.36:
	v_lshlrev_b32_e32 v20, 2, v58
	v_mov_b32_e32 v21, s49
	v_add_co_u32_e32 v20, vcc, s48, v20
	v_addc_co_u32_e32 v21, vcc, 0, v21, vcc
	flat_load_dword v20, v[20:21]
.LBB1334_37:
	;; [unrolled: 13-line block ×4, first 2 shown]
	s_or_b64 exec, exec, s[44:45]
	v_or_b32_e32 v65, 0x500, v0
	v_cmp_gt_u32_e64 s[44:45], s64, v65
	s_and_saveexec_b64 s[54:55], s[44:45]
	s_cbranch_execz .LBB1334_43
; %bb.42:
	v_lshlrev_b32_e32 v2, 2, v65
	v_mov_b32_e32 v23, s49
	v_add_co_u32_e32 v24, vcc, s48, v2
	v_addc_co_u32_e32 v25, vcc, 0, v23, vcc
	flat_load_dword v2, v[24:25]
.LBB1334_43:
	s_or_b64 exec, exec, s[54:55]
	v_lshlrev_b32_e32 v23, 2, v0
	s_movk_i32 s54, 0x50
	s_waitcnt vmcnt(0) lgkmcnt(0)
	ds_write2st64_b32 v23, v3, v4 offset1:1
	ds_write2st64_b32 v23, v5, v6 offset0:2 offset1:3
	ds_write2st64_b32 v23, v7, v8 offset0:4 offset1:5
	;; [unrolled: 1-line block ×9, first 2 shown]
	ds_write_b32 v23, v2 offset:5120
	v_mad_u32_u24 v2, v0, s54, v23
	s_waitcnt lgkmcnt(0)
	; wave barrier
	s_waitcnt lgkmcnt(0)
	ds_read2_b32 v[40:41], v2 offset0:7 offset1:8
	ds_read2_b32 v[44:45], v2 offset0:5 offset1:6
	;; [unrolled: 1-line block ×3, first 2 shown]
	ds_read2_b32 v[36:37], v2 offset1:1
	ds_read2_b32 v[32:33], v2 offset0:4 offset1:9
	ds_read2_b32 v[8:9], v2 offset0:15 offset1:16
	ds_read_b32 v64, v2 offset:56
	ds_read2_b32 v[16:17], v2 offset0:12 offset1:13
	ds_read2_b32 v[24:25], v2 offset0:10 offset1:11
	;; [unrolled: 1-line block ×4, first 2 shown]
	s_cmp_eq_u64 s[52:53], 0
	s_mov_b64 s[54:55], s[48:49]
	s_cbranch_scc1 .LBB1334_47
; %bb.44:
	s_andn2_b64 vcc, exec, s[50:51]
	s_cbranch_vccnz .LBB1334_275
; %bb.45:
	s_lshl_b64 s[54:55], s[52:53], 2
	s_add_u32 s54, s94, s54
	s_addc_u32 s55, s95, s55
	s_add_u32 s54, s54, -4
	s_addc_u32 s55, s55, -1
	s_cbranch_execnz .LBB1334_47
.LBB1334_46:
	s_add_u32 s54, s48, -4
	s_addc_u32 s55, s49, -1
.LBB1334_47:
	v_pk_mov_b32 v[6:7], s[54:55], s[54:55] op_sel:[0,1]
	flat_load_dword v68, v[6:7]
	s_movk_i32 s54, 0xffb0
	v_mad_i32_i24 v66, v0, s54, v2
	v_cmp_ne_u32_e32 vcc, 0, v0
	s_waitcnt lgkmcnt(0)
	ds_write_b32 v66, v5 offset:5376
	s_waitcnt lgkmcnt(0)
	; wave barrier
	s_waitcnt lgkmcnt(0)
	s_and_saveexec_b64 s[54:55], vcc
	s_cbranch_execz .LBB1334_49
; %bb.48:
	s_waitcnt vmcnt(0)
	ds_read_b32 v68, v66 offset:5372
.LBB1334_49:
	s_or_b64 exec, exec, s[54:55]
	s_waitcnt lgkmcnt(0)
	; wave barrier
	s_waitcnt lgkmcnt(0)
                                        ; implicit-def: $vgpr2_vgpr3
	s_and_saveexec_b64 s[54:55], s[2:3]
	s_cbranch_execnz .LBB1334_255
; %bb.50:
	s_or_b64 exec, exec, s[54:55]
                                        ; implicit-def: $vgpr6_vgpr7
	s_and_saveexec_b64 s[2:3], s[4:5]
	s_cbranch_execnz .LBB1334_256
.LBB1334_51:
	s_or_b64 exec, exec, s[2:3]
                                        ; implicit-def: $vgpr10_vgpr11
	s_and_saveexec_b64 s[2:3], s[46:47]
	s_cbranch_execnz .LBB1334_257
.LBB1334_52:
	s_or_b64 exec, exec, s[2:3]
                                        ; implicit-def: $vgpr14_vgpr15
	s_and_saveexec_b64 s[2:3], s[8:9]
	s_cbranch_execnz .LBB1334_258
.LBB1334_53:
	s_or_b64 exec, exec, s[2:3]
                                        ; implicit-def: $vgpr18_vgpr19
	s_and_saveexec_b64 s[2:3], s[10:11]
	s_cbranch_execnz .LBB1334_259
.LBB1334_54:
	s_or_b64 exec, exec, s[2:3]
                                        ; implicit-def: $vgpr20_vgpr21
	s_and_saveexec_b64 s[2:3], s[12:13]
	s_cbranch_execnz .LBB1334_260
.LBB1334_55:
	s_or_b64 exec, exec, s[2:3]
                                        ; implicit-def: $vgpr22_vgpr23
	s_and_saveexec_b64 s[2:3], s[14:15]
	s_cbranch_execnz .LBB1334_261
.LBB1334_56:
	s_or_b64 exec, exec, s[2:3]
                                        ; implicit-def: $vgpr26_vgpr27
	s_and_saveexec_b64 s[2:3], s[16:17]
	s_cbranch_execnz .LBB1334_262
.LBB1334_57:
	s_or_b64 exec, exec, s[2:3]
                                        ; implicit-def: $vgpr30_vgpr31
	s_and_saveexec_b64 s[2:3], s[18:19]
	s_cbranch_execnz .LBB1334_263
.LBB1334_58:
	s_or_b64 exec, exec, s[2:3]
                                        ; implicit-def: $vgpr34_vgpr35
	s_and_saveexec_b64 s[2:3], s[20:21]
	s_cbranch_execnz .LBB1334_264
.LBB1334_59:
	s_or_b64 exec, exec, s[2:3]
                                        ; implicit-def: $vgpr38_vgpr39
	s_and_saveexec_b64 s[2:3], s[22:23]
	s_cbranch_execnz .LBB1334_265
.LBB1334_60:
	s_or_b64 exec, exec, s[2:3]
                                        ; implicit-def: $vgpr42_vgpr43
	s_and_saveexec_b64 s[2:3], s[24:25]
	s_cbranch_execnz .LBB1334_266
.LBB1334_61:
	s_or_b64 exec, exec, s[2:3]
                                        ; implicit-def: $vgpr46_vgpr47
	s_and_saveexec_b64 s[2:3], s[26:27]
	s_cbranch_execnz .LBB1334_267
.LBB1334_62:
	s_or_b64 exec, exec, s[2:3]
                                        ; implicit-def: $vgpr48_vgpr49
	s_and_saveexec_b64 s[2:3], s[28:29]
	s_cbranch_execnz .LBB1334_268
.LBB1334_63:
	s_or_b64 exec, exec, s[2:3]
                                        ; implicit-def: $vgpr50_vgpr51
	s_and_saveexec_b64 s[2:3], s[30:31]
	s_cbranch_execnz .LBB1334_269
.LBB1334_64:
	s_or_b64 exec, exec, s[2:3]
                                        ; implicit-def: $vgpr52_vgpr53
	s_and_saveexec_b64 s[2:3], s[34:35]
	s_cbranch_execnz .LBB1334_270
.LBB1334_65:
	s_or_b64 exec, exec, s[2:3]
                                        ; implicit-def: $vgpr54_vgpr55
	s_and_saveexec_b64 s[2:3], s[36:37]
	s_cbranch_execnz .LBB1334_271
.LBB1334_66:
	s_or_b64 exec, exec, s[2:3]
                                        ; implicit-def: $vgpr56_vgpr57
	s_and_saveexec_b64 s[2:3], s[38:39]
	s_cbranch_execnz .LBB1334_272
.LBB1334_67:
	s_or_b64 exec, exec, s[2:3]
                                        ; implicit-def: $vgpr58_vgpr59
	s_and_saveexec_b64 s[2:3], s[40:41]
	s_cbranch_execnz .LBB1334_273
.LBB1334_68:
	s_or_b64 exec, exec, s[2:3]
                                        ; implicit-def: $vgpr60_vgpr61
	s_and_saveexec_b64 s[2:3], s[42:43]
	s_cbranch_execnz .LBB1334_274
.LBB1334_69:
	s_or_b64 exec, exec, s[2:3]
                                        ; implicit-def: $vgpr62_vgpr63
	s_and_saveexec_b64 s[2:3], s[44:45]
	s_cbranch_execz .LBB1334_71
.LBB1334_70:
	v_lshlrev_b32_e32 v1, 3, v65
	v_mov_b32_e32 v63, s62
	v_add_co_u32_e32 v62, vcc, s7, v1
	v_addc_co_u32_e32 v63, vcc, 0, v63, vcc
	flat_load_dwordx2 v[62:63], v[62:63]
.LBB1334_71:
	s_or_b64 exec, exec, s[2:3]
	v_lshl_add_u32 v69, v0, 2, v66
	v_mul_u32_u24_e32 v65, 21, v0
	s_waitcnt vmcnt(0) lgkmcnt(0)
	ds_write2st64_b64 v69, v[2:3], v[6:7] offset1:1
	ds_write2st64_b64 v69, v[10:11], v[14:15] offset0:2 offset1:3
	ds_write2st64_b64 v69, v[18:19], v[20:21] offset0:4 offset1:5
	ds_write2st64_b64 v69, v[22:23], v[26:27] offset0:6 offset1:7
	ds_write2st64_b64 v69, v[30:31], v[34:35] offset0:8 offset1:9
	ds_write2st64_b64 v69, v[38:39], v[42:43] offset0:10 offset1:11
	ds_write2st64_b64 v69, v[46:47], v[48:49] offset0:12 offset1:13
	ds_write2st64_b64 v69, v[50:51], v[52:53] offset0:14 offset1:15
	ds_write2st64_b64 v69, v[54:55], v[56:57] offset0:16 offset1:17
	ds_write2st64_b64 v69, v[58:59], v[60:61] offset0:18 offset1:19
	ds_write_b64 v69, v[62:63] offset:10240
	v_pk_mov_b32 v[10:11], 0, 0
	v_cmp_gt_u32_e32 vcc, s64, v65
	s_mov_b64 s[4:5], 0
	s_mov_b64 s[10:11], 0
	s_mov_b32 s63, 0
	v_mov_b32_e32 v128, 0
	v_mov_b32_e32 v122, 0
	;; [unrolled: 1-line block ×5, first 2 shown]
	v_pk_mov_b32 v[70:71], v[10:11], v[10:11] op_sel:[0,1]
	v_pk_mov_b32 v[78:79], v[10:11], v[10:11] op_sel:[0,1]
	;; [unrolled: 1-line block ×8, first 2 shown]
	v_mov_b32_e32 v124, 0
	v_pk_mov_b32 v[38:39], v[10:11], v[10:11] op_sel:[0,1]
	v_pk_mov_b32 v[50:51], v[10:11], v[10:11] op_sel:[0,1]
	;; [unrolled: 1-line block ×5, first 2 shown]
	v_mov_b32_e32 v123, 0
	v_pk_mov_b32 v[34:35], v[10:11], v[10:11] op_sel:[0,1]
	v_pk_mov_b32 v[14:15], v[10:11], v[10:11] op_sel:[0,1]
	;; [unrolled: 1-line block ×5, first 2 shown]
	v_mov_b32_e32 v1, 0
	v_pk_mov_b32 v[2:3], v[10:11], v[10:11] op_sel:[0,1]
	s_waitcnt lgkmcnt(0)
	; wave barrier
	s_waitcnt lgkmcnt(0)
                                        ; implicit-def: $sgpr2_sgpr3
                                        ; implicit-def: $vgpr83
                                        ; implicit-def: $vgpr82
                                        ; implicit-def: $vgpr84
                                        ; implicit-def: $vgpr85
	s_and_saveexec_b64 s[12:13], vcc
	s_cbranch_execz .LBB1334_111
; %bb.72:
	s_movk_i32 s2, 0xa0
	v_mad_u32_u24 v2, v0, s2, v69
	ds_read_b64 v[2:3], v2
	v_cmp_ne_u32_e32 vcc, v68, v36
	v_add_u32_e32 v6, 1, v65
	v_pk_mov_b32 v[10:11], 0, 0
	v_cndmask_b32_e64 v1, 0, 1, vcc
	v_cmp_gt_u32_e32 vcc, s64, v6
	s_mov_b64 s[18:19], 0
	v_mov_b32_e32 v128, 0
	v_mov_b32_e32 v122, 0
	;; [unrolled: 1-line block ×5, first 2 shown]
	v_pk_mov_b32 v[70:71], v[10:11], v[10:11] op_sel:[0,1]
	v_pk_mov_b32 v[78:79], v[10:11], v[10:11] op_sel:[0,1]
	;; [unrolled: 1-line block ×8, first 2 shown]
	v_mov_b32_e32 v124, 0
	v_pk_mov_b32 v[38:39], v[10:11], v[10:11] op_sel:[0,1]
	v_pk_mov_b32 v[50:51], v[10:11], v[10:11] op_sel:[0,1]
	;; [unrolled: 1-line block ×5, first 2 shown]
	v_mov_b32_e32 v123, 0
	v_pk_mov_b32 v[34:35], v[10:11], v[10:11] op_sel:[0,1]
	v_pk_mov_b32 v[14:15], v[10:11], v[10:11] op_sel:[0,1]
	;; [unrolled: 1-line block ×5, first 2 shown]
                                        ; implicit-def: $sgpr2_sgpr3
                                        ; implicit-def: $vgpr83
                                        ; implicit-def: $vgpr82
                                        ; implicit-def: $vgpr84
                                        ; implicit-def: $vgpr85
	s_and_saveexec_b64 s[14:15], vcc
	s_cbranch_execz .LBB1334_110
; %bb.73:
	v_mul_u32_u24_e32 v6, 0xa0, v0
	v_add_u32_e32 v48, v69, v6
	ds_read2_b64 v[18:21], v48 offset0:1 offset1:2
	v_cmp_ne_u32_e64 s[8:9], v36, v37
	v_add_u32_e32 v6, 2, v65
	v_pk_mov_b32 v[10:11], 0, 0
	v_cmp_ne_u32_e32 vcc, v28, v29
	v_cmp_ne_u32_e64 s[2:3], v29, v32
	v_cmp_ne_u32_e64 s[4:5], v37, v28
	v_cndmask_b32_e64 v128, 0, 1, s[8:9]
	v_cmp_gt_u32_e64 s[8:9], s64, v6
	s_mov_b64 s[20:21], 0
	v_mov_b32_e32 v127, 0
	v_mov_b32_e32 v122, 0
	;; [unrolled: 1-line block ×4, first 2 shown]
	v_pk_mov_b32 v[70:71], v[10:11], v[10:11] op_sel:[0,1]
	v_pk_mov_b32 v[78:79], v[10:11], v[10:11] op_sel:[0,1]
	;; [unrolled: 1-line block ×8, first 2 shown]
	v_mov_b32_e32 v124, 0
	v_pk_mov_b32 v[38:39], v[10:11], v[10:11] op_sel:[0,1]
	v_pk_mov_b32 v[50:51], v[10:11], v[10:11] op_sel:[0,1]
	;; [unrolled: 1-line block ×5, first 2 shown]
	v_mov_b32_e32 v123, 0
	v_pk_mov_b32 v[34:35], v[10:11], v[10:11] op_sel:[0,1]
	v_pk_mov_b32 v[14:15], v[10:11], v[10:11] op_sel:[0,1]
	;; [unrolled: 1-line block ×4, first 2 shown]
                                        ; implicit-def: $sgpr22_sgpr23
                                        ; implicit-def: $vgpr83
                                        ; implicit-def: $vgpr82
                                        ; implicit-def: $vgpr84
                                        ; implicit-def: $vgpr85
	s_and_saveexec_b64 s[16:17], s[8:9]
	s_cbranch_execz .LBB1334_109
; %bb.74:
	v_cndmask_b32_e64 v6, 0, 1, s[4:5]
	v_cndmask_b32_e64 v7, 0, 1, s[2:3]
	v_lshlrev_b16_e32 v6, 8, v6
	v_lshlrev_b16_e32 v7, 8, v7
	v_cndmask_b32_e64 v10, 0, 1, vcc
	v_or_b32_e32 v6, v128, v6
	v_or_b32_sdwa v7, v10, v7 dst_sel:WORD_1 dst_unused:UNUSED_PAD src0_sel:DWORD src1_sel:DWORD
	v_add_u32_e32 v10, 3, v65
	v_or_b32_sdwa v83, v6, v7 dst_sel:DWORD dst_unused:UNUSED_PAD src0_sel:WORD_0 src1_sel:DWORD
	v_cmp_gt_u32_e32 vcc, s64, v10
	v_pk_mov_b32 v[10:11], 0, 0
	v_and_b32_e32 v128, 0xffff, v83
	s_waitcnt lgkmcnt(0)
	v_mov_b32_e32 v6, v20
	v_mov_b32_e32 v7, v21
	s_mov_b64 s[2:3], 0
	v_mov_b32_e32 v127, 0
	v_mov_b32_e32 v122, 0
	;; [unrolled: 1-line block ×4, first 2 shown]
	v_pk_mov_b32 v[70:71], v[10:11], v[10:11] op_sel:[0,1]
	v_pk_mov_b32 v[78:79], v[10:11], v[10:11] op_sel:[0,1]
	;; [unrolled: 1-line block ×8, first 2 shown]
	v_mov_b32_e32 v124, 0
	v_pk_mov_b32 v[38:39], v[10:11], v[10:11] op_sel:[0,1]
	v_pk_mov_b32 v[50:51], v[10:11], v[10:11] op_sel:[0,1]
	;; [unrolled: 1-line block ×5, first 2 shown]
	v_mov_b32_e32 v123, 0
	v_pk_mov_b32 v[34:35], v[10:11], v[10:11] op_sel:[0,1]
	v_pk_mov_b32 v[14:15], v[10:11], v[10:11] op_sel:[0,1]
	;; [unrolled: 1-line block ×3, first 2 shown]
                                        ; implicit-def: $sgpr4_sgpr5
                                        ; implicit-def: $vgpr82
                                        ; implicit-def: $vgpr84
                                        ; implicit-def: $vgpr85
	s_and_saveexec_b64 s[18:19], vcc
	s_cbranch_execz .LBB1334_108
; %bb.75:
	ds_read2_b64 v[26:29], v48 offset0:3 offset1:4
	v_add_u32_e32 v10, 4, v65
	v_cmp_gt_u32_e32 vcc, s64, v10
	v_pk_mov_b32 v[10:11], 0, 0
	v_and_b32_e32 v128, 0xffffff, v83
	s_mov_b64 s[4:5], 0
	v_mov_b32_e32 v127, 0
	v_mov_b32_e32 v122, 0
	v_mov_b32_e32 v126, 0
	v_mov_b32_e32 v125, 0
	v_pk_mov_b32 v[70:71], v[10:11], v[10:11] op_sel:[0,1]
	v_pk_mov_b32 v[78:79], v[10:11], v[10:11] op_sel:[0,1]
	;; [unrolled: 1-line block ×8, first 2 shown]
	v_mov_b32_e32 v124, 0
	v_pk_mov_b32 v[38:39], v[10:11], v[10:11] op_sel:[0,1]
	v_pk_mov_b32 v[50:51], v[10:11], v[10:11] op_sel:[0,1]
	;; [unrolled: 1-line block ×5, first 2 shown]
	v_mov_b32_e32 v123, 0
	v_pk_mov_b32 v[34:35], v[10:11], v[10:11] op_sel:[0,1]
	v_pk_mov_b32 v[14:15], v[10:11], v[10:11] op_sel:[0,1]
                                        ; implicit-def: $sgpr8_sgpr9
                                        ; implicit-def: $vgpr82
                                        ; implicit-def: $vgpr84
                                        ; implicit-def: $vgpr85
	s_and_saveexec_b64 s[20:21], vcc
	s_cbranch_execz .LBB1334_107
; %bb.76:
	v_add_u32_e32 v10, 5, v65
	v_cmp_gt_u32_e32 vcc, s64, v10
	v_pk_mov_b32 v[10:11], 0, 0
	s_waitcnt lgkmcnt(0)
	v_mov_b32_e32 v14, v28
	v_mov_b32_e32 v15, v29
	;; [unrolled: 1-line block ×6, first 2 shown]
	v_pk_mov_b32 v[70:71], v[10:11], v[10:11] op_sel:[0,1]
	v_pk_mov_b32 v[78:79], v[10:11], v[10:11] op_sel:[0,1]
	;; [unrolled: 1-line block ×8, first 2 shown]
	v_mov_b32_e32 v124, 0
	v_pk_mov_b32 v[38:39], v[10:11], v[10:11] op_sel:[0,1]
	v_pk_mov_b32 v[50:51], v[10:11], v[10:11] op_sel:[0,1]
	;; [unrolled: 1-line block ×5, first 2 shown]
	v_mov_b32_e32 v123, 0
	v_pk_mov_b32 v[34:35], v[10:11], v[10:11] op_sel:[0,1]
                                        ; implicit-def: $sgpr8_sgpr9
                                        ; implicit-def: $vgpr82
                                        ; implicit-def: $vgpr84
                                        ; implicit-def: $vgpr85
	s_and_saveexec_b64 s[22:23], vcc
	s_cbranch_execz .LBB1334_106
; %bb.77:
	ds_read2_b64 v[34:37], v48 offset0:5 offset1:6
	v_cmp_ne_u32_e32 vcc, v32, v44
	v_add_u32_e32 v10, 6, v65
	v_cndmask_b32_e64 v123, 0, 1, vcc
	v_cmp_gt_u32_e32 vcc, s64, v10
	v_pk_mov_b32 v[10:11], 0, 0
	s_mov_b64 s[28:29], 0
	v_mov_b32_e32 v127, 0
	v_mov_b32_e32 v122, 0
	v_mov_b32_e32 v126, 0
	v_mov_b32_e32 v125, 0
	v_pk_mov_b32 v[70:71], v[10:11], v[10:11] op_sel:[0,1]
	v_pk_mov_b32 v[78:79], v[10:11], v[10:11] op_sel:[0,1]
	v_pk_mov_b32 v[62:63], v[10:11], v[10:11] op_sel:[0,1]
	v_pk_mov_b32 v[74:75], v[10:11], v[10:11] op_sel:[0,1]
	v_pk_mov_b32 v[54:55], v[10:11], v[10:11] op_sel:[0,1]
	v_pk_mov_b32 v[66:67], v[10:11], v[10:11] op_sel:[0,1]
	v_pk_mov_b32 v[46:47], v[10:11], v[10:11] op_sel:[0,1]
	v_pk_mov_b32 v[58:59], v[10:11], v[10:11] op_sel:[0,1]
	v_mov_b32_e32 v124, 0
	v_pk_mov_b32 v[38:39], v[10:11], v[10:11] op_sel:[0,1]
	v_pk_mov_b32 v[50:51], v[10:11], v[10:11] op_sel:[0,1]
	v_pk_mov_b32 v[30:31], v[10:11], v[10:11] op_sel:[0,1]
	v_pk_mov_b32 v[42:43], v[10:11], v[10:11] op_sel:[0,1]
	v_pk_mov_b32 v[22:23], v[10:11], v[10:11] op_sel:[0,1]
                                        ; implicit-def: $sgpr4_sgpr5
                                        ; implicit-def: $vgpr82
                                        ; implicit-def: $vgpr84
                                        ; implicit-def: $vgpr85
	s_and_saveexec_b64 s[24:25], vcc
	s_cbranch_execz .LBB1334_105
; %bb.78:
	v_cmp_ne_u32_e64 s[8:9], v44, v45
	v_add_u32_e32 v10, 7, v65
	v_cndmask_b32_e64 v127, 0, 1, s[8:9]
	v_cmp_gt_u32_e64 s[8:9], s64, v10
	v_pk_mov_b32 v[10:11], 0, 0
	s_waitcnt lgkmcnt(0)
	v_mov_b32_e32 v22, v36
	v_mov_b32_e32 v23, v37
	v_cmp_ne_u32_e32 vcc, v40, v41
	v_cmp_ne_u32_e64 s[2:3], v41, v33
	v_cmp_ne_u32_e64 s[4:5], v45, v40
	s_mov_b64 s[30:31], 0
	v_mov_b32_e32 v126, 0
	v_mov_b32_e32 v122, 0
	;; [unrolled: 1-line block ×3, first 2 shown]
	v_pk_mov_b32 v[70:71], v[10:11], v[10:11] op_sel:[0,1]
	v_pk_mov_b32 v[78:79], v[10:11], v[10:11] op_sel:[0,1]
	;; [unrolled: 1-line block ×8, first 2 shown]
	v_mov_b32_e32 v124, 0
	v_pk_mov_b32 v[38:39], v[10:11], v[10:11] op_sel:[0,1]
	v_pk_mov_b32 v[50:51], v[10:11], v[10:11] op_sel:[0,1]
	;; [unrolled: 1-line block ×4, first 2 shown]
                                        ; implicit-def: $sgpr34_sgpr35
                                        ; implicit-def: $vgpr82
                                        ; implicit-def: $vgpr84
                                        ; implicit-def: $vgpr85
	s_and_saveexec_b64 s[26:27], s[8:9]
	s_cbranch_execz .LBB1334_104
; %bb.79:
	v_cndmask_b32_e64 v10, 0, 1, s[4:5]
	v_cndmask_b32_e64 v11, 0, 1, s[2:3]
	v_lshlrev_b16_e32 v10, 8, v10
	v_lshlrev_b16_e32 v11, 8, v11
	v_cndmask_b32_e64 v20, 0, 1, vcc
	ds_read2_b64 v[42:45], v48 offset0:7 offset1:8
	v_or_b32_e32 v10, v127, v10
	v_or_b32_sdwa v11, v20, v11 dst_sel:WORD_1 dst_unused:UNUSED_PAD src0_sel:DWORD src1_sel:DWORD
	v_or_b32_sdwa v82, v10, v11 dst_sel:DWORD dst_unused:UNUSED_PAD src0_sel:WORD_0 src1_sel:DWORD
	v_add_u32_e32 v10, 8, v65
	v_cmp_gt_u32_e32 vcc, s64, v10
	v_pk_mov_b32 v[10:11], 0, 0
	v_and_b32_e32 v127, 0xffff, v82
	s_mov_b64 s[2:3], 0
	v_mov_b32_e32 v126, 0
	v_mov_b32_e32 v122, 0
	;; [unrolled: 1-line block ×3, first 2 shown]
	v_pk_mov_b32 v[70:71], v[10:11], v[10:11] op_sel:[0,1]
	v_pk_mov_b32 v[78:79], v[10:11], v[10:11] op_sel:[0,1]
	;; [unrolled: 1-line block ×8, first 2 shown]
	v_mov_b32_e32 v124, 0
	v_pk_mov_b32 v[38:39], v[10:11], v[10:11] op_sel:[0,1]
	v_pk_mov_b32 v[50:51], v[10:11], v[10:11] op_sel:[0,1]
	;; [unrolled: 1-line block ×3, first 2 shown]
                                        ; implicit-def: $sgpr4_sgpr5
                                        ; implicit-def: $vgpr84
                                        ; implicit-def: $vgpr85
	s_and_saveexec_b64 s[28:29], vcc
	s_cbranch_execz .LBB1334_103
; %bb.80:
	v_add_u32_e32 v10, 9, v65
	v_cmp_gt_u32_e32 vcc, s64, v10
	v_pk_mov_b32 v[10:11], 0, 0
	s_waitcnt lgkmcnt(0)
	v_mov_b32_e32 v30, v44
	v_mov_b32_e32 v31, v45
	v_and_b32_e32 v127, 0xffffff, v82
	s_mov_b64 s[4:5], 0
	v_mov_b32_e32 v126, 0
	v_mov_b32_e32 v122, 0
	;; [unrolled: 1-line block ×3, first 2 shown]
	v_pk_mov_b32 v[70:71], v[10:11], v[10:11] op_sel:[0,1]
	v_pk_mov_b32 v[78:79], v[10:11], v[10:11] op_sel:[0,1]
	;; [unrolled: 1-line block ×8, first 2 shown]
	v_mov_b32_e32 v124, 0
	v_pk_mov_b32 v[38:39], v[10:11], v[10:11] op_sel:[0,1]
	v_pk_mov_b32 v[50:51], v[10:11], v[10:11] op_sel:[0,1]
                                        ; implicit-def: $sgpr8_sgpr9
                                        ; implicit-def: $vgpr84
                                        ; implicit-def: $vgpr85
	s_and_saveexec_b64 s[30:31], vcc
	s_cbranch_execz .LBB1334_102
; %bb.81:
	ds_read2_b64 v[50:53], v48 offset0:9 offset1:10
	v_add_u32_e32 v10, 10, v65
	v_cmp_gt_u32_e32 vcc, s64, v10
	v_pk_mov_b32 v[10:11], 0, 0
	v_mov_b32_e32 v126, 0
	v_mov_b32_e32 v122, 0
	;; [unrolled: 1-line block ×3, first 2 shown]
	v_pk_mov_b32 v[70:71], v[10:11], v[10:11] op_sel:[0,1]
	v_pk_mov_b32 v[78:79], v[10:11], v[10:11] op_sel:[0,1]
	;; [unrolled: 1-line block ×8, first 2 shown]
	v_mov_b32_e32 v124, 0
	v_pk_mov_b32 v[38:39], v[10:11], v[10:11] op_sel:[0,1]
                                        ; implicit-def: $sgpr8_sgpr9
                                        ; implicit-def: $vgpr84
                                        ; implicit-def: $vgpr85
	s_and_saveexec_b64 s[34:35], vcc
	s_cbranch_execz .LBB1334_101
; %bb.82:
	v_cmp_ne_u32_e32 vcc, v33, v24
	v_add_u32_e32 v10, 11, v65
	v_cndmask_b32_e64 v124, 0, 1, vcc
	v_cmp_gt_u32_e32 vcc, s64, v10
	v_pk_mov_b32 v[10:11], 0, 0
	s_waitcnt lgkmcnt(0)
	v_mov_b32_e32 v38, v52
	v_mov_b32_e32 v39, v53
	s_mov_b64 s[40:41], 0
	v_mov_b32_e32 v126, 0
	v_mov_b32_e32 v122, 0
	v_mov_b32_e32 v125, 0
	v_pk_mov_b32 v[70:71], v[10:11], v[10:11] op_sel:[0,1]
	v_pk_mov_b32 v[78:79], v[10:11], v[10:11] op_sel:[0,1]
	;; [unrolled: 1-line block ×8, first 2 shown]
                                        ; implicit-def: $sgpr4_sgpr5
                                        ; implicit-def: $vgpr84
                                        ; implicit-def: $vgpr85
	s_and_saveexec_b64 s[36:37], vcc
	s_cbranch_execz .LBB1334_100
; %bb.83:
	ds_read2_b64 v[58:61], v48 offset0:11 offset1:12
	v_cmp_ne_u32_e64 s[8:9], v24, v25
	v_add_u32_e32 v10, 12, v65
	v_cndmask_b32_e64 v126, 0, 1, s[8:9]
	v_cmp_gt_u32_e64 s[8:9], s64, v10
	v_pk_mov_b32 v[10:11], 0, 0
	v_cmp_ne_u32_e32 vcc, v16, v17
	v_cmp_ne_u32_e64 s[2:3], v17, v64
	v_cmp_ne_u32_e64 s[4:5], v25, v16
	s_mov_b64 s[42:43], 0
	v_mov_b32_e32 v125, 0
	v_mov_b32_e32 v122, 0
	v_pk_mov_b32 v[70:71], v[10:11], v[10:11] op_sel:[0,1]
	v_pk_mov_b32 v[78:79], v[10:11], v[10:11] op_sel:[0,1]
	;; [unrolled: 1-line block ×7, first 2 shown]
                                        ; implicit-def: $sgpr44_sgpr45
                                        ; implicit-def: $vgpr84
                                        ; implicit-def: $vgpr85
	s_and_saveexec_b64 s[38:39], s[8:9]
	s_cbranch_execz .LBB1334_99
; %bb.84:
	v_cndmask_b32_e64 v10, 0, 1, s[4:5]
	v_cndmask_b32_e64 v11, 0, 1, s[2:3]
	v_lshlrev_b16_e32 v10, 8, v10
	v_lshlrev_b16_e32 v11, 8, v11
	v_cndmask_b32_e64 v16, 0, 1, vcc
	v_or_b32_e32 v10, v126, v10
	v_or_b32_sdwa v11, v16, v11 dst_sel:WORD_1 dst_unused:UNUSED_PAD src0_sel:DWORD src1_sel:DWORD
	v_or_b32_sdwa v84, v10, v11 dst_sel:DWORD dst_unused:UNUSED_PAD src0_sel:WORD_0 src1_sel:DWORD
	v_add_u32_e32 v10, 13, v65
	v_cmp_gt_u32_e32 vcc, s64, v10
	v_pk_mov_b32 v[10:11], 0, 0
	s_mov_b64 s[66:67], s[58:59]
	v_and_b32_e32 v126, 0xffff, v84
	s_waitcnt lgkmcnt(0)
	v_mov_b32_e32 v46, v60
	v_mov_b32_e32 v47, v61
	s_mov_b64 s[2:3], 0
	v_mov_b32_e32 v125, 0
	v_mov_b32_e32 v122, 0
	v_pk_mov_b32 v[70:71], v[10:11], v[10:11] op_sel:[0,1]
	v_pk_mov_b32 v[78:79], v[10:11], v[10:11] op_sel:[0,1]
	;; [unrolled: 1-line block ×6, first 2 shown]
                                        ; implicit-def: $sgpr4_sgpr5
                                        ; implicit-def: $vgpr85
	s_and_saveexec_b64 s[40:41], vcc
	s_cbranch_execz .LBB1334_98
; %bb.85:
	ds_read2_b64 v[66:69], v48 offset0:13 offset1:14
	v_add_u32_e32 v10, 14, v65
	v_cmp_gt_u32_e32 vcc, s64, v10
	v_pk_mov_b32 v[10:11], 0, 0
	v_and_b32_e32 v126, 0xffffff, v84
	s_mov_b64 s[4:5], 0
	v_mov_b32_e32 v125, 0
	v_mov_b32_e32 v122, 0
	v_pk_mov_b32 v[70:71], v[10:11], v[10:11] op_sel:[0,1]
	v_pk_mov_b32 v[78:79], v[10:11], v[10:11] op_sel:[0,1]
	;; [unrolled: 1-line block ×5, first 2 shown]
                                        ; implicit-def: $sgpr8_sgpr9
                                        ; implicit-def: $vgpr85
	s_and_saveexec_b64 s[42:43], vcc
	s_cbranch_execz .LBB1334_97
; %bb.86:
	v_add_u32_e32 v10, 15, v65
	v_cmp_gt_u32_e32 vcc, s64, v10
	v_pk_mov_b32 v[10:11], 0, 0
	s_waitcnt lgkmcnt(0)
	v_mov_b32_e32 v54, v68
	v_mov_b32_e32 v55, v69
	;; [unrolled: 1-line block ×4, first 2 shown]
	v_pk_mov_b32 v[70:71], v[10:11], v[10:11] op_sel:[0,1]
	v_pk_mov_b32 v[78:79], v[10:11], v[10:11] op_sel:[0,1]
	;; [unrolled: 1-line block ×4, first 2 shown]
                                        ; implicit-def: $sgpr8_sgpr9
                                        ; implicit-def: $vgpr85
	s_and_saveexec_b64 s[44:45], vcc
	s_cbranch_execz .LBB1334_96
; %bb.87:
	ds_read2_b64 v[74:77], v48 offset0:15 offset1:16
	v_cmp_ne_u32_e32 vcc, v64, v8
	v_add_u32_e32 v10, 16, v65
	v_cndmask_b32_e64 v122, 0, 1, vcc
	v_cmp_gt_u32_e32 vcc, s64, v10
	v_pk_mov_b32 v[10:11], 0, 0
	s_mov_b64 s[56:57], 0
	v_mov_b32_e32 v125, 0
	v_pk_mov_b32 v[70:71], v[10:11], v[10:11] op_sel:[0,1]
	v_pk_mov_b32 v[78:79], v[10:11], v[10:11] op_sel:[0,1]
	;; [unrolled: 1-line block ×3, first 2 shown]
                                        ; implicit-def: $sgpr4_sgpr5
                                        ; implicit-def: $vgpr85
	s_and_saveexec_b64 s[46:47], vcc
	s_cbranch_execz .LBB1334_95
; %bb.88:
	v_cmp_ne_u32_e64 s[8:9], v8, v9
	v_add_u32_e32 v8, 17, v65
	v_pk_mov_b32 v[10:11], 0, 0
	s_waitcnt lgkmcnt(0)
	v_mov_b32_e32 v62, v76
	v_mov_b32_e32 v63, v77
	v_cmp_ne_u32_e32 vcc, v12, v13
	v_cmp_ne_u32_e64 s[2:3], v13, v4
	v_cmp_ne_u32_e64 s[4:5], v9, v12
	v_cndmask_b32_e64 v125, 0, 1, s[8:9]
	v_cmp_gt_u32_e64 s[8:9], s64, v8
	s_mov_b64 s[58:59], 0
	v_pk_mov_b32 v[70:71], v[10:11], v[10:11] op_sel:[0,1]
	v_pk_mov_b32 v[78:79], v[10:11], v[10:11] op_sel:[0,1]
                                        ; implicit-def: $sgpr60_sgpr61
                                        ; implicit-def: $vgpr85
	s_and_saveexec_b64 s[54:55], s[8:9]
	s_cbranch_execz .LBB1334_94
; %bb.89:
	v_cndmask_b32_e64 v8, 0, 1, s[4:5]
	v_cndmask_b32_e64 v9, 0, 1, s[2:3]
	ds_read2_b64 v[78:81], v48 offset0:17 offset1:18
	v_lshlrev_b16_e32 v8, 8, v8
	v_lshlrev_b16_e32 v9, 8, v9
	v_cndmask_b32_e64 v10, 0, 1, vcc
	v_or_b32_e32 v8, v125, v8
	v_or_b32_sdwa v9, v10, v9 dst_sel:WORD_1 dst_unused:UNUSED_PAD src0_sel:DWORD src1_sel:DWORD
	v_or_b32_sdwa v85, v8, v9 dst_sel:DWORD dst_unused:UNUSED_PAD src0_sel:WORD_0 src1_sel:DWORD
	v_add_u32_e32 v8, 18, v65
	v_pk_mov_b32 v[10:11], 0, 0
	v_and_b32_e32 v125, 0xffff, v85
	v_cmp_gt_u32_e32 vcc, s64, v8
	s_mov_b64 s[2:3], 0
	v_pk_mov_b32 v[70:71], v[10:11], v[10:11] op_sel:[0,1]
                                        ; implicit-def: $sgpr8_sgpr9
	s_and_saveexec_b64 s[4:5], vcc
	s_cbranch_execz .LBB1334_93
; %bb.90:
	v_add_u32_e32 v8, 19, v65
	s_waitcnt lgkmcnt(0)
	v_mov_b32_e32 v70, v80
	v_mov_b32_e32 v71, v81
	v_cmp_gt_u32_e32 vcc, s64, v8
	v_and_b32_e32 v125, 0xffffff, v85
	v_pk_mov_b32 v[10:11], 0, 0
                                        ; implicit-def: $sgpr8_sgpr9
	s_and_saveexec_b64 s[56:57], vcc
	s_xor_b64 s[56:57], exec, s[56:57]
	s_cbranch_execz .LBB1334_92
; %bb.91:
	ds_read2_b64 v[10:13], v48 offset0:19 offset1:20
	v_cmp_ne_u32_e32 vcc, v4, v5
	v_add_u32_e32 v4, 20, v65
	v_cmp_gt_u32_e64 s[2:3], s64, v4
	s_and_b64 s[8:9], vcc, exec
	s_and_b64 s[2:3], s[2:3], exec
	s_waitcnt lgkmcnt(0)
	v_pk_mov_b32 v[72:73], v[10:11], v[10:11] op_sel:[0,1]
	v_mov_b32_e32 v125, v85
.LBB1334_92:
	s_or_b64 exec, exec, s[56:57]
	s_and_b64 s[8:9], s[8:9], exec
	s_and_b64 s[58:59], s[2:3], exec
.LBB1334_93:
	s_or_b64 exec, exec, s[4:5]
	s_and_b64 s[60:61], s[8:9], exec
	s_and_b64 s[56:57], s[58:59], exec
	s_waitcnt lgkmcnt(0)
	v_pk_mov_b32 v[64:65], v[78:79], v[78:79] op_sel:[0,1]
	v_pk_mov_b32 v[56:57], v[74:75], v[74:75] op_sel:[0,1]
	;; [unrolled: 1-line block ×9, first 2 shown]
.LBB1334_94:
	s_or_b64 exec, exec, s[54:55]
	s_and_b64 s[4:5], s[60:61], exec
	s_and_b64 s[2:3], s[56:57], exec
.LBB1334_95:
	s_or_b64 exec, exec, s[46:47]
	s_and_b64 s[8:9], s[4:5], exec
	s_and_b64 s[4:5], s[2:3], exec
.LBB1334_96:
	s_or_b64 exec, exec, s[44:45]
	s_and_b64 s[8:9], s[8:9], exec
	s_and_b64 s[2:3], s[4:5], exec
	v_mov_b32_e32 v126, v84
.LBB1334_97:
	s_or_b64 exec, exec, s[42:43]
	s_and_b64 s[4:5], s[8:9], exec
	s_and_b64 s[42:43], s[2:3], exec
.LBB1334_98:
	s_or_b64 exec, exec, s[40:41]
	s_and_b64 s[44:45], s[4:5], exec
	s_and_b64 s[40:41], s[42:43], exec
	s_mov_b64 s[58:59], s[66:67]
.LBB1334_99:
	s_or_b64 exec, exec, s[38:39]
	s_and_b64 s[4:5], s[44:45], exec
	s_and_b64 s[2:3], s[40:41], exec
.LBB1334_100:
	s_or_b64 exec, exec, s[36:37]
	s_and_b64 s[8:9], s[4:5], exec
	s_and_b64 s[4:5], s[2:3], exec
.LBB1334_101:
	s_or_b64 exec, exec, s[34:35]
	s_and_b64 s[8:9], s[8:9], exec
	s_and_b64 s[2:3], s[4:5], exec
	v_mov_b32_e32 v127, v82
.LBB1334_102:
	s_or_b64 exec, exec, s[30:31]
	s_and_b64 s[4:5], s[8:9], exec
	s_and_b64 s[30:31], s[2:3], exec
.LBB1334_103:
	s_or_b64 exec, exec, s[28:29]
	s_and_b64 s[34:35], s[4:5], exec
	s_and_b64 s[28:29], s[30:31], exec
.LBB1334_104:
	s_or_b64 exec, exec, s[26:27]
	s_and_b64 s[4:5], s[34:35], exec
	s_and_b64 s[2:3], s[28:29], exec
.LBB1334_105:
	s_or_b64 exec, exec, s[24:25]
	s_and_b64 s[8:9], s[4:5], exec
	s_and_b64 s[4:5], s[2:3], exec
.LBB1334_106:
	s_or_b64 exec, exec, s[22:23]
	s_and_b64 s[8:9], s[8:9], exec
	s_and_b64 s[2:3], s[4:5], exec
	v_mov_b32_e32 v128, v83
.LBB1334_107:
	s_or_b64 exec, exec, s[20:21]
	s_and_b64 s[4:5], s[8:9], exec
	s_and_b64 s[20:21], s[2:3], exec
.LBB1334_108:
	s_or_b64 exec, exec, s[18:19]
	s_and_b64 s[22:23], s[4:5], exec
	s_and_b64 s[18:19], s[20:21], exec
.LBB1334_109:
	s_or_b64 exec, exec, s[16:17]
	s_and_b64 s[2:3], s[22:23], exec
	s_and_b64 s[4:5], s[18:19], exec
.LBB1334_110:
	s_or_b64 exec, exec, s[14:15]
	s_and_b64 s[2:3], s[2:3], exec
	s_and_b64 s[4:5], s[4:5], exec
.LBB1334_111:
	s_or_b64 exec, exec, s[12:13]
	s_mov_b64 s[8:9], 0
	s_and_b64 vcc, exec, s[10:11]
	s_cbranch_vccnz .LBB1334_113
	s_branch .LBB1334_121
.LBB1334_112:
                                        ; implicit-def: $sgpr2_sgpr3
                                        ; implicit-def: $vgpr83
                                        ; implicit-def: $vgpr82
                                        ; implicit-def: $vgpr84
                                        ; implicit-def: $vgpr85
                                        ; implicit-def: $vgpr12_vgpr13
                                        ; implicit-def: $vgpr72_vgpr73
                                        ; implicit-def: $vgpr64_vgpr65
                                        ; implicit-def: $vgpr122
                                        ; implicit-def: $vgpr56_vgpr57
                                        ; implicit-def: $vgpr48_vgpr49
                                        ; implicit-def: $vgpr40_vgpr41
                                        ; implicit-def: $vgpr124
                                        ; implicit-def: $vgpr32_vgpr33
                                        ; implicit-def: $vgpr24_vgpr25
                                        ; implicit-def: $vgpr123
                                        ; implicit-def: $vgpr16_vgpr17
                                        ; implicit-def: $vgpr8_vgpr9
                                        ; implicit-def: $vgpr4_vgpr5
                                        ; implicit-def: $vgpr1
                                        ; implicit-def: $vgpr128
                                        ; implicit-def: $vgpr127
                                        ; implicit-def: $vgpr126
                                        ; implicit-def: $vgpr125
                                        ; implicit-def: $sgpr63
                                        ; implicit-def: $sgpr8_sgpr9
                                        ; implicit-def: $vgpr78_vgpr79
                                        ; implicit-def: $vgpr74_vgpr75
                                        ; implicit-def: $vgpr66_vgpr67
                                        ; implicit-def: $vgpr58_vgpr59
                                        ; implicit-def: $vgpr50_vgpr51
                                        ; implicit-def: $vgpr42_vgpr43
                                        ; implicit-def: $vgpr34_vgpr35
                                        ; implicit-def: $vgpr26_vgpr27
                                        ; implicit-def: $vgpr18_vgpr19
	s_and_b64 vcc, exec, s[10:11]
	s_cbranch_vccz .LBB1334_121
.LBB1334_113:
	v_lshlrev_b32_e32 v1, 2, v0
	s_waitcnt lgkmcnt(0)
	v_mov_b32_e32 v3, s49
	v_add_co_u32_e32 v2, vcc, s48, v1
	v_addc_co_u32_e32 v3, vcc, 0, v3, vcc
	s_movk_i32 s2, 0x1000
	flat_load_dword v4, v[2:3]
	flat_load_dword v5, v[2:3] offset:256
	flat_load_dword v6, v[2:3] offset:512
	;; [unrolled: 1-line block ×15, first 2 shown]
	v_add_co_u32_e32 v2, vcc, s2, v2
	v_addc_co_u32_e32 v3, vcc, 0, v3, vcc
	flat_load_dword v20, v[2:3]
	flat_load_dword v21, v[2:3] offset:256
	flat_load_dword v22, v[2:3] offset:512
	;; [unrolled: 1-line block ×4, first 2 shown]
	s_movk_i32 s2, 0x50
	v_mad_u32_u24 v23, v0, s2, v1
	s_cmp_eq_u64 s[52:53], 0
	s_waitcnt vmcnt(0) lgkmcnt(0)
	ds_write2st64_b32 v1, v4, v5 offset1:1
	ds_write2st64_b32 v1, v6, v7 offset0:2 offset1:3
	ds_write2st64_b32 v1, v8, v9 offset0:4 offset1:5
	;; [unrolled: 1-line block ×9, first 2 shown]
	ds_write_b32 v1, v25 offset:5120
	s_waitcnt lgkmcnt(0)
	; wave barrier
	s_waitcnt lgkmcnt(0)
	ds_read2_b32 v[8:9], v23 offset0:7 offset1:8
	ds_read2_b32 v[6:7], v23 offset0:5 offset1:6
	;; [unrolled: 1-line block ×3, first 2 shown]
	ds_read2_b32 v[10:11], v23 offset1:1
	ds_read2_b32 v[4:5], v23 offset0:4 offset1:9
	ds_read2_b32 v[16:17], v23 offset0:15 offset1:16
	ds_read_b32 v22, v23 offset:56
	ds_read2_b32 v[14:15], v23 offset0:12 offset1:13
	ds_read2_b32 v[12:13], v23 offset0:10 offset1:11
	;; [unrolled: 1-line block ×4, first 2 shown]
	s_cbranch_scc1 .LBB1334_118
; %bb.114:
	s_andn2_b64 vcc, exec, s[50:51]
	s_cbranch_vccnz .LBB1334_276
; %bb.115:
	s_lshl_b64 s[2:3], s[52:53], 2
	s_add_u32 s2, s94, s2
	s_addc_u32 s3, s95, s3
	s_add_u32 s2, s2, -4
	s_addc_u32 s3, s3, -1
	s_cbranch_execnz .LBB1334_117
.LBB1334_116:
	s_add_u32 s2, s48, -4
	s_addc_u32 s3, s49, -1
.LBB1334_117:
	s_mov_b64 s[48:49], s[2:3]
.LBB1334_118:
	v_pk_mov_b32 v[24:25], s[48:49], s[48:49] op_sel:[0,1]
	flat_load_dword v1, v[24:25]
	s_movk_i32 s2, 0xffb0
	v_mad_i32_i24 v23, v0, s2, v23
	v_cmp_ne_u32_e32 vcc, 0, v0
	s_waitcnt lgkmcnt(0)
	ds_write_b32 v23, v21 offset:5376
	s_waitcnt lgkmcnt(0)
	; wave barrier
	s_waitcnt lgkmcnt(0)
	s_and_saveexec_b64 s[2:3], vcc
	s_cbranch_execz .LBB1334_120
; %bb.119:
	s_waitcnt vmcnt(0)
	ds_read_b32 v1, v23 offset:5372
.LBB1334_120:
	s_or_b64 exec, exec, s[2:3]
	v_lshlrev_b32_e32 v24, 3, v0
	v_mov_b32_e32 v25, s62
	v_add_co_u32_e32 v24, vcc, s7, v24
	v_addc_co_u32_e32 v25, vcc, 0, v25, vcc
	s_movk_i32 s2, 0x1000
	v_add_co_u32_e32 v42, vcc, s2, v24
	v_addc_co_u32_e32 v43, vcc, 0, v25, vcc
	s_movk_i32 s2, 0x2000
	s_waitcnt lgkmcnt(0)
	; wave barrier
	s_waitcnt lgkmcnt(0)
	flat_load_dwordx2 v[26:27], v[24:25]
	flat_load_dwordx2 v[28:29], v[24:25] offset:512
	flat_load_dwordx2 v[30:31], v[24:25] offset:1024
	;; [unrolled: 1-line block ×7, first 2 shown]
	v_add_co_u32_e32 v24, vcc, s2, v24
	v_addc_co_u32_e32 v25, vcc, 0, v25, vcc
	flat_load_dwordx2 v[44:45], v[42:43]
	flat_load_dwordx2 v[46:47], v[42:43] offset:512
	flat_load_dwordx2 v[48:49], v[42:43] offset:1024
	;; [unrolled: 1-line block ×7, first 2 shown]
	s_nop 0
	flat_load_dwordx2 v[42:43], v[24:25]
	flat_load_dwordx2 v[60:61], v[24:25] offset:512
	flat_load_dwordx2 v[62:63], v[24:25] offset:1024
	;; [unrolled: 1-line block ×4, first 2 shown]
	v_cmp_ne_u32_e32 vcc, v17, v18
	v_cmp_ne_u32_e64 s[2:3], v20, v21
	v_cndmask_b32_e64 v21, 0, 1, vcc
	v_cmp_ne_u32_e32 vcc, v16, v17
	v_cndmask_b32_e64 v17, 0, 1, vcc
	v_cmp_ne_u32_e32 vcc, v19, v20
	;; [unrolled: 2-line block ×6, first 2 shown]
	v_lshlrev_b16_e32 v16, 8, v16
	v_cndmask_b32_e64 v13, 0, 1, vcc
	v_cmp_ne_u32_e32 vcc, v15, v22
	v_or_b32_e32 v13, v13, v16
	v_cndmask_b32_e64 v16, 0, 1, vcc
	v_cmp_ne_u32_e32 vcc, v14, v15
	v_cndmask_b32_e64 v14, 0, 1, vcc
	v_cmp_ne_u32_e32 vcc, v5, v12
	;; [unrolled: 2-line block ×6, first 2 shown]
	v_lshlrev_b16_e32 v12, 8, v12
	v_lshlrev_b16_e32 v5, 8, v5
	v_cndmask_b32_e64 v8, 0, 1, vcc
	v_cmp_ne_u32_e32 vcc, v4, v6
	v_or_b32_e32 v7, v7, v12
	v_or_b32_sdwa v5, v8, v5 dst_sel:WORD_1 dst_unused:UNUSED_PAD src0_sel:DWORD src1_sel:DWORD
	v_cndmask_b32_e64 v123, 0, 1, vcc
	v_cmp_ne_u32_e32 vcc, v11, v2
	v_or_b32_sdwa v82, v7, v5 dst_sel:DWORD dst_unused:UNUSED_PAD src0_sel:WORD_0 src1_sel:DWORD
	v_cndmask_b32_e64 v5, 0, 1, vcc
	v_cmp_ne_u32_e32 vcc, v10, v11
	v_cndmask_b32_e64 v6, 0, 1, vcc
	v_cmp_ne_u32_e32 vcc, v3, v4
	v_lshlrev_b16_e32 v21, 8, v21
	v_lshlrev_b16_e32 v20, 8, v20
	v_cndmask_b32_e64 v4, 0, 1, vcc
	v_cmp_ne_u32_e32 vcc, v2, v3
	v_or_b32_e32 v17, v17, v21
	v_or_b32_sdwa v18, v18, v20 dst_sel:WORD_1 dst_unused:UNUSED_PAD src0_sel:DWORD src1_sel:DWORD
	v_lshlrev_b16_e32 v4, 8, v4
	v_cndmask_b32_e64 v2, 0, 1, vcc
	v_or_b32_sdwa v85, v17, v18 dst_sel:DWORD dst_unused:UNUSED_PAD src0_sel:WORD_0 src1_sel:DWORD
	v_lshlrev_b16_e32 v16, 8, v16
	v_or_b32_sdwa v18, v2, v4 dst_sel:WORD_1 dst_unused:UNUSED_PAD src0_sel:DWORD src1_sel:DWORD
	v_lshl_add_u32 v2, v0, 2, v23
	s_movk_i32 s4, 0xa0
	v_or_b32_sdwa v14, v14, v16 dst_sel:WORD_1 dst_unused:UNUSED_PAD src0_sel:DWORD src1_sel:DWORD
	v_lshlrev_b16_e32 v5, 8, v5
	v_mad_u32_u24 v12, v0, s4, v2
	v_or_b32_sdwa v84, v13, v14 dst_sel:DWORD dst_unused:UNUSED_PAD src0_sel:WORD_0 src1_sel:DWORD
	v_or_b32_e32 v11, v6, v5
	s_waitcnt vmcnt(0)
	v_cmp_ne_u32_e32 vcc, v1, v10
	v_or_b32_sdwa v83, v11, v18 dst_sel:DWORD dst_unused:UNUSED_PAD src0_sel:WORD_0 src1_sel:DWORD
	v_cndmask_b32_e64 v1, 0, 1, vcc
	s_mov_b64 s[4:5], -1
                                        ; implicit-def: $vgpr128
                                        ; implicit-def: $vgpr127
                                        ; implicit-def: $vgpr126
                                        ; implicit-def: $vgpr125
                                        ; implicit-def: $sgpr63
                                        ; implicit-def: $sgpr8_sgpr9
                                        ; implicit-def: $vgpr78_vgpr79
                                        ; implicit-def: $vgpr74_vgpr75
                                        ; implicit-def: $vgpr18_vgpr19
	s_waitcnt lgkmcnt(0)
	ds_write2st64_b64 v2, v[26:27], v[28:29] offset1:1
	ds_write2st64_b64 v2, v[30:31], v[32:33] offset0:2 offset1:3
	ds_write2st64_b64 v2, v[34:35], v[36:37] offset0:4 offset1:5
	;; [unrolled: 1-line block ×9, first 2 shown]
	ds_write_b64 v2, v[66:67] offset:10240
	s_waitcnt lgkmcnt(0)
	; wave barrier
	s_waitcnt lgkmcnt(0)
	ds_read2_b64 v[2:5], v12 offset1:1
	ds_read2_b64 v[6:9], v12 offset0:2 offset1:3
	ds_read2_b64 v[14:17], v12 offset0:4 offset1:5
	;; [unrolled: 1-line block ×9, first 2 shown]
	ds_read_b64 v[12:13], v12 offset:160
                                        ; implicit-def: $vgpr66_vgpr67
                                        ; implicit-def: $vgpr58_vgpr59
                                        ; implicit-def: $vgpr50_vgpr51
                                        ; implicit-def: $vgpr42_vgpr43
                                        ; implicit-def: $vgpr34_vgpr35
                                        ; implicit-def: $vgpr26_vgpr27
.LBB1334_121:
	s_waitcnt lgkmcnt(0)
	v_pk_mov_b32 v[20:21], s[8:9], s[8:9] op_sel:[0,1]
	v_mov_b32_e32 v28, s63
	s_and_saveexec_b64 s[8:9], s[4:5]
	s_cbranch_execz .LBB1334_123
; %bb.122:
	v_cndmask_b32_e64 v28, 0, 1, s[2:3]
	v_pk_mov_b32 v[18:19], v[4:5], v[4:5] op_sel:[0,1]
	v_pk_mov_b32 v[26:27], v[8:9], v[8:9] op_sel:[0,1]
	;; [unrolled: 1-line block ×11, first 2 shown]
	v_mov_b32_e32 v125, v85
	v_mov_b32_e32 v126, v84
	;; [unrolled: 1-line block ×4, first 2 shown]
.LBB1334_123:
	s_or_b64 exec, exec, s[8:9]
	v_and_b32_e32 v129, 1, v123
	v_and_b32_e32 v40, 1, v124
	;; [unrolled: 1-line block ×4, first 2 shown]
	s_cmp_lg_u32 s6, 0
	v_lshrrev_b32_e32 v130, 8, v128
	v_cmp_eq_u32_e32 vcc, 1, v129
	v_lshrrev_b32_e32 v41, 8, v127
	v_cmp_eq_u32_e64 s[44:45], 1, v40
	v_lshrrev_b32_e32 v37, 8, v126
	v_cmp_eq_u32_e64 s[46:47], 1, v33
	;; [unrolled: 2-line block ×3, first 2 shown]
	v_mbcnt_lo_u32_b32 v29, -1, 0
	s_waitcnt lgkmcnt(0)
	; wave barrier
	s_cbranch_scc0 .LBB1334_186
; %bb.124:
	v_mov_b32_e32 v4, 0
	v_cmp_eq_u16_sdwa s[2:3], v128, v4 src0_sel:BYTE_0 src1_sel:DWORD
	v_cndmask_b32_e64 v9, 0, v2, s[2:3]
	v_cndmask_b32_e64 v5, 0, v3, s[2:3]
	v_add_co_u32_e64 v9, s[4:5], v9, v18
	v_addc_co_u32_e64 v5, s[4:5], v5, v19, s[4:5]
	v_and_b32_e32 v12, 1, v128
	s_movk_i32 s7, 0xff
	v_cmp_eq_u32_e64 s[48:49], 1, v12
	v_cmp_eq_u16_sdwa s[4:5], v130, v4 src0_sel:BYTE_0 src1_sel:DWORD
	v_and_b32_e32 v12, 0x100, v128
	v_cndmask_b32_e64 v9, 0, v9, s[4:5]
	v_cmp_ne_u32_e64 s[52:53], 0, v12
	v_and_b32_sdwa v12, v128, s7 dst_sel:DWORD dst_unused:UNUSED_PAD src0_sel:WORD_1 src1_sel:DWORD
	v_cndmask_b32_e64 v5, 0, v5, s[4:5]
	v_add_co_u32_e64 v9, s[8:9], v9, v6
	v_cmp_eq_u16_e64 s[62:63], 0, v12
	v_addc_co_u32_e64 v5, s[8:9], v5, v7, s[8:9]
	v_cndmask_b32_e64 v9, 0, v9, s[62:63]
	v_cndmask_b32_e64 v5, 0, v5, s[62:63]
	v_add_co_u32_e64 v9, s[8:9], v9, v26
	v_addc_co_u32_e64 v5, s[8:9], v5, v27, s[8:9]
	v_cmp_eq_u16_sdwa s[8:9], v128, v4 src0_sel:BYTE_3 src1_sel:DWORD
	v_cndmask_b32_e64 v9, 0, v9, s[8:9]
	v_cndmask_b32_e64 v5, 0, v5, s[8:9]
	v_add_co_u32_e64 v9, s[10:11], v9, v14
	v_cmp_eq_u16_sdwa s[12:13], v123, v4 src0_sel:BYTE_0 src1_sel:DWORD
	v_addc_co_u32_e64 v5, s[10:11], v5, v15, s[10:11]
	v_cndmask_b32_e64 v9, 0, v9, s[12:13]
	v_cndmask_b32_e64 v5, 0, v5, s[12:13]
	v_add_co_u32_e64 v9, s[10:11], v9, v34
	v_addc_co_u32_e64 v5, s[10:11], v5, v35, s[10:11]
	v_cmp_eq_u16_sdwa s[10:11], v127, v4 src0_sel:BYTE_0 src1_sel:DWORD
	v_cndmask_b32_e64 v9, 0, v9, s[10:11]
	v_cndmask_b32_e64 v5, 0, v5, s[10:11]
	v_add_co_u32_e64 v9, s[14:15], v9, v22
	v_and_b32_e32 v12, 0x10000, v128
	v_addc_co_u32_e64 v5, s[14:15], v5, v23, s[14:15]
	v_cmp_ne_u32_e64 s[54:55], 0, v12
	v_and_b32_e32 v12, 0x1000000, v128
	v_cmp_eq_u16_sdwa s[14:15], v41, v4 src0_sel:BYTE_0 src1_sel:DWORD
	v_cmp_ne_u32_e64 s[56:57], 0, v12
	v_and_b32_e32 v12, 1, v127
	v_cndmask_b32_e64 v9, 0, v9, s[14:15]
	s_mov_b64 s[94:95], s[58:59]
	v_cmp_eq_u32_e64 s[58:59], 1, v12
	v_cndmask_b32_e64 v5, 0, v5, s[14:15]
	v_add_co_u32_e64 v9, s[16:17], v9, v42
	v_and_b32_e32 v12, 0x100, v127
	v_addc_co_u32_e64 v5, s[16:17], v5, v43, s[16:17]
	v_cmp_ne_u32_e64 s[60:61], 0, v12
	v_and_b32_sdwa v12, v127, s7 dst_sel:DWORD dst_unused:UNUSED_PAD src0_sel:WORD_1 src1_sel:DWORD
	v_cmp_eq_u16_e64 s[16:17], 0, v12
	v_cndmask_b32_e64 v9, 0, v9, s[16:17]
	v_cndmask_b32_e64 v5, 0, v5, s[16:17]
	v_add_co_u32_e64 v9, s[18:19], v9, v30
	v_addc_co_u32_e64 v5, s[18:19], v5, v31, s[18:19]
	v_cmp_eq_u16_sdwa s[18:19], v127, v4 src0_sel:BYTE_3 src1_sel:DWORD
	v_cndmask_b32_e64 v9, 0, v9, s[18:19]
	v_cndmask_b32_e64 v5, 0, v5, s[18:19]
	v_add_co_u32_e64 v9, s[20:21], v9, v50
	v_cmp_eq_u16_sdwa s[22:23], v124, v4 src0_sel:BYTE_0 src1_sel:DWORD
	v_addc_co_u32_e64 v5, s[20:21], v5, v51, s[20:21]
	v_cndmask_b32_e64 v9, 0, v9, s[22:23]
	v_cndmask_b32_e64 v5, 0, v5, s[22:23]
	v_add_co_u32_e64 v9, s[20:21], v9, v38
	v_writelane_b32 v131, s68, 2
	v_addc_co_u32_e64 v5, s[20:21], v5, v39, s[20:21]
	v_writelane_b32 v131, s69, 3
	v_cmp_eq_u16_sdwa s[20:21], v126, v4 src0_sel:BYTE_0 src1_sel:DWORD
	v_writelane_b32 v131, s70, 4
	v_cndmask_b32_e64 v9, 0, v9, s[20:21]
	v_writelane_b32 v131, s71, 5
	v_cndmask_b32_e64 v5, 0, v5, s[20:21]
	v_add_co_u32_e64 v9, s[24:25], v9, v58
	v_writelane_b32 v131, s72, 6
	v_and_b32_e32 v12, 0x10000, v127
	v_addc_co_u32_e64 v5, s[24:25], v5, v59, s[24:25]
	v_writelane_b32 v131, s73, 7
	v_cmp_ne_u32_e64 s[64:65], 0, v12
	v_and_b32_e32 v12, 0x1000000, v127
	v_cmp_eq_u16_sdwa s[24:25], v37, v4 src0_sel:BYTE_0 src1_sel:DWORD
	v_writelane_b32 v131, s74, 8
	v_cmp_ne_u32_e64 s[66:67], 0, v12
	v_and_b32_e32 v12, 1, v126
	v_cndmask_b32_e64 v9, 0, v9, s[24:25]
	v_writelane_b32 v131, s75, 9
	v_cmp_eq_u32_e64 s[68:69], 1, v12
	v_cndmask_b32_e64 v5, 0, v5, s[24:25]
	v_add_co_u32_e64 v9, s[26:27], v9, v46
	v_and_b32_e32 v12, 0x100, v126
	v_addc_co_u32_e64 v5, s[26:27], v5, v47, s[26:27]
	v_cmp_ne_u32_e64 s[70:71], 0, v12
	v_and_b32_sdwa v12, v126, s7 dst_sel:DWORD dst_unused:UNUSED_PAD src0_sel:WORD_1 src1_sel:DWORD
	v_cmp_eq_u16_e64 s[26:27], 0, v12
	v_cndmask_b32_e64 v9, 0, v9, s[26:27]
	v_cndmask_b32_e64 v5, 0, v5, s[26:27]
	v_add_co_u32_e64 v9, s[28:29], v9, v66
	v_addc_co_u32_e64 v5, s[28:29], v5, v67, s[28:29]
	v_cmp_eq_u16_sdwa s[28:29], v126, v4 src0_sel:BYTE_3 src1_sel:DWORD
	v_cndmask_b32_e64 v9, 0, v9, s[28:29]
	v_cndmask_b32_e64 v5, 0, v5, s[28:29]
	v_add_co_u32_e64 v9, s[30:31], v9, v54
	v_cmp_eq_u16_sdwa s[34:35], v122, v4 src0_sel:BYTE_0 src1_sel:DWORD
	v_addc_co_u32_e64 v5, s[30:31], v5, v55, s[30:31]
	v_cndmask_b32_e64 v9, 0, v9, s[34:35]
	v_cndmask_b32_e64 v5, 0, v5, s[34:35]
	v_add_co_u32_e64 v9, s[30:31], v9, v74
	v_addc_co_u32_e64 v5, s[30:31], v5, v75, s[30:31]
	v_cmp_eq_u16_sdwa s[30:31], v125, v4 src0_sel:BYTE_0 src1_sel:DWORD
	v_cndmask_b32_e64 v9, 0, v9, s[30:31]
	v_cndmask_b32_e64 v5, 0, v5, s[30:31]
	v_add_co_u32_e64 v9, s[36:37], v9, v62
	v_and_b32_e32 v12, 0x10000, v126
	v_addc_co_u32_e64 v5, s[36:37], v5, v63, s[36:37]
	v_cmp_ne_u32_e64 s[72:73], 0, v12
	v_and_b32_e32 v12, 0x1000000, v126
	v_cmp_eq_u16_sdwa s[36:37], v36, v4 src0_sel:BYTE_0 src1_sel:DWORD
	v_cmp_ne_u32_e64 s[74:75], 0, v12
	v_and_b32_e32 v12, 1, v125
	v_cndmask_b32_e64 v9, 0, v9, s[36:37]
	v_cmp_eq_u32_e64 s[76:77], 1, v12
	v_cndmask_b32_e64 v5, 0, v5, s[36:37]
	v_add_co_u32_e64 v9, s[38:39], v9, v78
	v_and_b32_e32 v12, 0x100, v125
	v_addc_co_u32_e64 v5, s[38:39], v5, v79, s[38:39]
	v_cmp_ne_u32_e64 s[78:79], 0, v12
	v_and_b32_sdwa v12, v125, s7 dst_sel:DWORD dst_unused:UNUSED_PAD src0_sel:WORD_1 src1_sel:DWORD
	v_cmp_eq_u16_e64 s[38:39], 0, v12
	v_and_b32_e32 v12, 0x10000, v125
	v_cmp_ne_u32_e64 s[80:81], 0, v12
	v_and_b32_e32 v12, 0x1000000, v125
	v_cmp_ne_u32_e64 s[82:83], 0, v12
	s_or_b64 s[50:51], s[50:51], s[82:83]
	s_or_b64 s[50:51], s[50:51], s[80:81]
	;; [unrolled: 1-line block ×9, first 2 shown]
	v_cndmask_b32_e64 v9, 0, v9, s[38:39]
	s_or_b64 s[44:45], s[46:47], s[44:45]
	v_cndmask_b32_e64 v5, 0, v5, s[38:39]
	v_add_co_u32_e64 v9, s[40:41], v9, v70
	s_or_b64 s[44:45], s[44:45], s[66:67]
	v_addc_co_u32_e64 v5, s[40:41], v5, v71, s[40:41]
	s_or_b64 s[44:45], s[44:45], s[64:65]
	v_cmp_eq_u16_sdwa s[40:41], v125, v4 src0_sel:BYTE_3 src1_sel:DWORD
	s_or_b64 s[44:45], s[44:45], s[60:61]
	v_cndmask_b32_e64 v9, 0, v9, s[40:41]
	s_or_b64 s[44:45], s[44:45], s[58:59]
	v_cndmask_b32_e64 v5, 0, v5, s[40:41]
	v_add_co_u32_e64 v9, s[42:43], v9, v10
	s_or_b64 s[44:45], s[44:45], vcc
	v_addc_co_u32_e64 v5, s[42:43], v5, v11, s[42:43]
	s_or_b64 s[44:45], s[44:45], s[56:57]
	v_cmp_eq_u16_sdwa s[42:43], v28, v4 src0_sel:BYTE_0 src1_sel:DWORD
	s_or_b64 s[44:45], s[44:45], s[54:55]
	v_cndmask_b32_e64 v4, 0, v9, s[42:43]
	s_or_b64 s[44:45], s[44:45], s[52:53]
	v_and_b32_e32 v8, 0xff, v1
	v_cndmask_b32_e64 v5, 0, v5, s[42:43]
	v_add_co_u32_e64 v4, s[84:85], v4, v20
	s_or_b64 s[44:45], s[44:45], s[48:49]
	v_mbcnt_hi_u32_b32 v9, -1, v29
	v_addc_co_u32_e64 v5, s[84:85], v5, v21, s[84:85]
	v_cndmask_b32_e64 v8, v8, 1, s[44:45]
	v_and_b32_e32 v12, 15, v9
	v_mov_b32_dpp v16, v4 row_shr:1 row_mask:0xf bank_mask:0xf
	v_mov_b32_dpp v17, v5 row_shr:1 row_mask:0xf bank_mask:0xf
	;; [unrolled: 1-line block ×3, first 2 shown]
	v_cmp_ne_u32_e32 vcc, 0, v12
	s_and_saveexec_b64 s[44:45], vcc
; %bb.125:
	v_cmp_eq_u32_e32 vcc, 0, v8
	v_cndmask_b32_e32 v16, 0, v16, vcc
	v_cndmask_b32_e32 v17, 0, v17, vcc
	v_add_co_u32_e32 v4, vcc, v16, v4
	v_addc_co_u32_e32 v5, vcc, v17, v5, vcc
	v_and_or_b32 v8, v13, 1, v8
; %bb.126:
	s_or_b64 exec, exec, s[44:45]
	v_mov_b32_dpp v16, v4 row_shr:2 row_mask:0xf bank_mask:0xf
	v_mov_b32_dpp v17, v5 row_shr:2 row_mask:0xf bank_mask:0xf
	;; [unrolled: 1-line block ×3, first 2 shown]
	v_cmp_lt_u32_e32 vcc, 1, v12
	s_and_saveexec_b64 s[44:45], vcc
; %bb.127:
	v_cmp_eq_u32_e32 vcc, 0, v8
	v_cndmask_b32_e32 v16, 0, v16, vcc
	v_cndmask_b32_e32 v17, 0, v17, vcc
	v_add_co_u32_e32 v4, vcc, v16, v4
	v_or_b32_e32 v8, v13, v8
	v_addc_co_u32_e32 v5, vcc, v17, v5, vcc
	v_and_b32_e32 v8, 1, v8
; %bb.128:
	s_or_b64 exec, exec, s[44:45]
	v_mov_b32_dpp v16, v4 row_shr:4 row_mask:0xf bank_mask:0xf
	v_mov_b32_dpp v17, v5 row_shr:4 row_mask:0xf bank_mask:0xf
	;; [unrolled: 1-line block ×3, first 2 shown]
	v_cmp_lt_u32_e32 vcc, 3, v12
	s_and_saveexec_b64 s[44:45], vcc
	v_readlane_b32 s68, v131, 2
	s_mov_b64 s[58:59], s[94:95]
	v_readlane_b32 s69, v131, 3
	v_readlane_b32 s70, v131, 4
	;; [unrolled: 1-line block ×7, first 2 shown]
; %bb.129:
	v_cmp_eq_u32_e32 vcc, 0, v8
	v_cndmask_b32_e32 v16, 0, v16, vcc
	v_cndmask_b32_e32 v17, 0, v17, vcc
	v_add_co_u32_e32 v4, vcc, v16, v4
	v_or_b32_e32 v8, v13, v8
	v_addc_co_u32_e32 v5, vcc, v17, v5, vcc
	v_and_b32_e32 v8, 1, v8
; %bb.130:
	s_or_b64 exec, exec, s[44:45]
	v_mov_b32_dpp v16, v4 row_shr:8 row_mask:0xf bank_mask:0xf
	v_mov_b32_dpp v17, v5 row_shr:8 row_mask:0xf bank_mask:0xf
	;; [unrolled: 1-line block ×3, first 2 shown]
	v_cmp_lt_u32_e32 vcc, 7, v12
	s_and_saveexec_b64 s[44:45], vcc
; %bb.131:
	v_cmp_eq_u32_e32 vcc, 0, v8
	v_cndmask_b32_e32 v16, 0, v16, vcc
	v_cndmask_b32_e32 v12, 0, v17, vcc
	v_add_co_u32_e32 v4, vcc, v16, v4
	v_or_b32_e32 v8, v13, v8
	v_addc_co_u32_e32 v5, vcc, v12, v5, vcc
	v_and_b32_e32 v8, 1, v8
; %bb.132:
	s_or_b64 exec, exec, s[44:45]
	v_and_b32_e32 v17, 16, v9
	v_mov_b32_dpp v13, v4 row_bcast:15 row_mask:0xf bank_mask:0xf
	v_mov_b32_dpp v16, v5 row_bcast:15 row_mask:0xf bank_mask:0xf
	;; [unrolled: 1-line block ×3, first 2 shown]
	v_cmp_ne_u32_e32 vcc, 0, v17
	s_and_saveexec_b64 s[44:45], vcc
; %bb.133:
	v_cmp_eq_u32_e32 vcc, 0, v8
	v_cndmask_b32_e32 v13, 0, v13, vcc
	v_cndmask_b32_e32 v16, 0, v16, vcc
	v_add_co_u32_e32 v4, vcc, v13, v4
	v_or_b32_e32 v8, v12, v8
	v_addc_co_u32_e32 v5, vcc, v16, v5, vcc
	v_and_b32_e32 v8, 1, v8
; %bb.134:
	s_or_b64 exec, exec, s[44:45]
	v_mov_b32_dpp v16, v4 row_bcast:31 row_mask:0xf bank_mask:0xf
	v_mov_b32_dpp v17, v5 row_bcast:31 row_mask:0xf bank_mask:0xf
	;; [unrolled: 1-line block ×3, first 2 shown]
	v_cmp_lt_u32_e32 vcc, 31, v9
	v_mov_b32_e32 v12, v8
	s_and_saveexec_b64 s[44:45], vcc
; %bb.135:
	v_cmp_eq_u32_e32 vcc, 0, v8
	v_cndmask_b32_e32 v16, 0, v16, vcc
	v_cndmask_b32_e32 v12, 0, v17, vcc
	v_add_co_u32_e32 v4, vcc, v16, v4
	v_or_b32_e32 v8, v13, v8
	v_addc_co_u32_e32 v5, vcc, v12, v5, vcc
	v_and_b32_e32 v12, 1, v8
	v_and_b32_e32 v8, 1, v8
; %bb.136:
	s_or_b64 exec, exec, s[44:45]
	v_cmp_eq_u32_e32 vcc, 63, v0
	s_and_saveexec_b64 s[44:45], vcc
	s_cbranch_execz .LBB1334_138
; %bb.137:
	v_mov_b32_e32 v13, 0
	ds_write_b64 v13, v[4:5]
	ds_write_b8 v13, v12 offset:8
.LBB1334_138:
	s_or_b64 exec, exec, s[44:45]
	v_add_u32_e32 v12, -1, v9
	v_and_b32_e32 v13, 64, v9
	v_cmp_lt_i32_e32 vcc, v12, v13
	v_cndmask_b32_e32 v12, v12, v9, vcc
	v_lshlrev_b32_e32 v12, 2, v12
	ds_bpermute_b32 v45, v12, v4
	ds_bpermute_b32 v48, v12, v5
	;; [unrolled: 1-line block ×3, first 2 shown]
	v_cmp_gt_u32_e32 vcc, 64, v0
	s_waitcnt lgkmcnt(0)
	; wave barrier
	s_waitcnt lgkmcnt(0)
	s_and_saveexec_b64 s[48:49], vcc
	s_cbranch_execz .LBB1334_185
; %bb.139:
	v_mov_b32_e32 v13, 0
	ds_read_b64 v[4:5], v13
	ds_read_u8 v49, v13 offset:8
	s_mov_b32 s51, 0
	v_cmp_eq_u32_e64 s[44:45], 0, v9
	s_and_saveexec_b64 s[46:47], s[44:45]
	s_cbranch_execz .LBB1334_141
; %bb.140:
	s_add_i32 s50, s6, 64
	s_lshl_b64 s[52:53], s[50:51], 4
	s_add_u32 s52, s68, s52
	s_addc_u32 s53, s69, s53
	v_mov_b32_e32 v8, s50
	v_mov_b32_e32 v12, 1
	s_waitcnt lgkmcnt(1)
	global_store_dwordx2 v13, v[4:5], s[52:53]
	s_waitcnt lgkmcnt(0)
	global_store_byte v13, v49, s[52:53] offset:8
	s_waitcnt vmcnt(0)
	buffer_wbinvl1_vol
	global_store_byte v8, v12, s[72:73]
.LBB1334_141:
	s_or_b64 exec, exec, s[46:47]
	v_xad_u32 v8, v9, -1, s6
	v_add_u32_e32 v12, 64, v8
	global_load_ubyte v52, v12, s[72:73] glc
	s_waitcnt vmcnt(0)
	v_cmp_eq_u16_e32 vcc, 0, v52
	s_and_saveexec_b64 s[46:47], vcc
	s_cbranch_execz .LBB1334_147
; %bb.142:
	v_mov_b32_e32 v17, s73
	v_add_co_u32_e32 v16, vcc, s72, v12
	v_addc_co_u32_e32 v17, vcc, 0, v17, vcc
	s_mov_b32 s7, 1
	s_mov_b64 s[50:51], 0
.LBB1334_143:                           ; =>This Loop Header: Depth=1
                                        ;     Child Loop BB1334_144 Depth 2
	s_max_u32 s52, s7, 1
.LBB1334_144:                           ;   Parent Loop BB1334_143 Depth=1
                                        ; =>  This Inner Loop Header: Depth=2
	s_add_i32 s52, s52, -1
	s_cmp_eq_u32 s52, 0
	s_sleep 1
	s_cbranch_scc0 .LBB1334_144
; %bb.145:                              ;   in Loop: Header=BB1334_143 Depth=1
	global_load_ubyte v52, v[16:17], off glc
	s_cmp_lt_u32 s7, 32
	s_cselect_b64 s[52:53], -1, 0
	s_cmp_lg_u64 s[52:53], 0
	s_addc_u32 s7, s7, 0
	s_waitcnt vmcnt(0)
	v_cmp_ne_u16_e32 vcc, 0, v52
	s_or_b64 s[50:51], vcc, s[50:51]
	s_andn2_b64 exec, exec, s[50:51]
	s_cbranch_execnz .LBB1334_143
; %bb.146:
	s_or_b64 exec, exec, s[50:51]
.LBB1334_147:
	s_or_b64 exec, exec, s[46:47]
	v_mov_b32_e32 v16, s71
	v_mov_b32_e32 v17, s69
	v_cmp_eq_u16_e32 vcc, 1, v52
	v_cndmask_b32_e32 v16, v16, v17, vcc
	v_mov_b32_e32 v17, s70
	v_mov_b32_e32 v24, s68
	v_cndmask_b32_e32 v17, v17, v24, vcc
	v_lshlrev_b64 v[12:13], 4, v[12:13]
	v_add_co_u32_e32 v12, vcc, v17, v12
	v_addc_co_u32_e32 v13, vcc, v16, v13, vcc
	s_waitcnt lgkmcnt(0)
	buffer_wbinvl1_vol
	global_load_dwordx2 v[24:25], v[12:13], off
	global_load_ubyte v81, v[12:13], off offset:8
	v_cmp_eq_u16_e32 vcc, 2, v52
	v_lshlrev_b64 v[12:13], v9, -1
	v_and_b32_e32 v53, 63, v9
	v_and_b32_e32 v16, vcc_hi, v13
	v_and_b32_e32 v64, vcc_lo, v12
	v_cmp_ne_u32_e32 vcc, 63, v53
	v_addc_co_u32_e32 v17, vcc, 0, v9, vcc
	v_lshlrev_b32_e32 v56, 2, v17
	v_or_b32_e32 v16, 0x80000000, v16
	v_ffbl_b32_e32 v16, v16
	v_add_u32_e32 v16, 32, v16
	v_ffbl_b32_e32 v64, v64
	v_min_u32_e32 v16, v64, v16
	v_cmp_lt_u32_e32 vcc, v53, v16
	s_waitcnt vmcnt(1)
	ds_bpermute_b32 v60, v56, v24
	s_waitcnt vmcnt(0)
	v_and_b32_e32 v17, 1, v81
	ds_bpermute_b32 v61, v56, v25
	ds_bpermute_b32 v57, v56, v17
	s_and_saveexec_b64 s[46:47], vcc
	s_cbranch_execz .LBB1334_149
; %bb.148:
	v_mov_b32_e32 v17, 0
	v_cmp_eq_u16_sdwa vcc, v81, v17 src0_sel:BYTE_0 src1_sel:DWORD
	s_waitcnt lgkmcnt(2)
	v_cndmask_b32_e32 v60, 0, v60, vcc
	s_waitcnt lgkmcnt(1)
	v_cndmask_b32_e32 v17, 0, v61, vcc
	v_add_co_u32_e32 v24, vcc, v60, v24
	v_addc_co_u32_e32 v25, vcc, v17, v25, vcc
	s_waitcnt lgkmcnt(0)
	v_and_b32_e32 v17, 1, v57
	v_or_b32_e32 v81, v17, v81
	v_and_b32_e32 v17, 0xff, v81
.LBB1334_149:
	s_or_b64 exec, exec, s[46:47]
	v_cmp_gt_u32_e32 vcc, 62, v53
	s_waitcnt lgkmcnt(0)
	v_cndmask_b32_e64 v57, 0, 1, vcc
	v_lshlrev_b32_e32 v57, 1, v57
	v_add_lshl_u32 v57, v57, v9, 2
	ds_bpermute_b32 v64, v57, v24
	ds_bpermute_b32 v65, v57, v25
	ds_bpermute_b32 v61, v57, v17
	v_add_u32_e32 v60, 2, v53
	v_cmp_le_u32_e32 vcc, v60, v16
	s_and_saveexec_b64 s[50:51], vcc
	s_cbranch_execz .LBB1334_151
; %bb.150:
	v_mov_b32_e32 v17, 0
	v_cmp_eq_u16_sdwa vcc, v81, v17 src0_sel:BYTE_0 src1_sel:DWORD
	s_waitcnt lgkmcnt(2)
	v_cndmask_b32_e32 v64, 0, v64, vcc
	s_waitcnt lgkmcnt(1)
	v_cndmask_b32_e32 v17, 0, v65, vcc
	v_add_co_u32_e32 v24, vcc, v64, v24
	v_addc_co_u32_e32 v25, vcc, v17, v25, vcc
	v_and_b32_e32 v17, 1, v81
	v_cmp_eq_u32_e32 vcc, 1, v17
	s_waitcnt lgkmcnt(0)
	v_and_b32_e32 v17, 1, v61
	v_cmp_eq_u32_e64 s[46:47], 1, v17
	s_or_b64 s[46:47], vcc, s[46:47]
	v_cndmask_b32_e64 v81, 0, 1, s[46:47]
	v_cndmask_b32_e64 v17, 0, 1, s[46:47]
.LBB1334_151:
	s_or_b64 exec, exec, s[50:51]
	v_cmp_gt_u32_e32 vcc, 60, v53
	s_waitcnt lgkmcnt(0)
	v_cndmask_b32_e64 v61, 0, 1, vcc
	v_lshlrev_b32_e32 v61, 2, v61
	v_add_lshl_u32 v61, v61, v9, 2
	ds_bpermute_b32 v68, v61, v24
	ds_bpermute_b32 v69, v61, v25
	ds_bpermute_b32 v65, v61, v17
	v_add_u32_e32 v64, 4, v53
	v_cmp_le_u32_e32 vcc, v64, v16
	s_and_saveexec_b64 s[50:51], vcc
	s_cbranch_execz .LBB1334_153
; %bb.152:
	v_mov_b32_e32 v17, 0
	v_cmp_eq_u16_sdwa vcc, v81, v17 src0_sel:BYTE_0 src1_sel:DWORD
	s_waitcnt lgkmcnt(2)
	v_cndmask_b32_e32 v68, 0, v68, vcc
	s_waitcnt lgkmcnt(1)
	v_cndmask_b32_e32 v17, 0, v69, vcc
	v_add_co_u32_e32 v24, vcc, v68, v24
	v_addc_co_u32_e32 v25, vcc, v17, v25, vcc
	v_and_b32_e32 v17, 1, v81
	v_cmp_eq_u32_e32 vcc, 1, v17
	s_waitcnt lgkmcnt(0)
	v_and_b32_e32 v17, 1, v65
	v_cmp_eq_u32_e64 s[46:47], 1, v17
	s_or_b64 s[46:47], vcc, s[46:47]
	v_cndmask_b32_e64 v81, 0, 1, s[46:47]
	v_cndmask_b32_e64 v17, 0, 1, s[46:47]
.LBB1334_153:
	;; [unrolled: 31-line block ×4, first 2 shown]
	s_or_b64 exec, exec, s[50:51]
	v_cmp_gt_u32_e32 vcc, 32, v53
	s_waitcnt lgkmcnt(0)
	v_cndmask_b32_e64 v73, 0, 1, vcc
	v_lshlrev_b32_e32 v73, 5, v73
	v_add_lshl_u32 v76, v73, v9, 2
	ds_bpermute_b32 v73, v76, v24
	ds_bpermute_b32 v80, v76, v25
	;; [unrolled: 1-line block ×3, first 2 shown]
	v_add_u32_e32 v77, 32, v53
	v_cmp_le_u32_e32 vcc, v77, v16
	s_and_saveexec_b64 s[50:51], vcc
	s_cbranch_execz .LBB1334_159
; %bb.158:
	v_mov_b32_e32 v16, 0
	v_cmp_eq_u16_sdwa vcc, v81, v16 src0_sel:BYTE_0 src1_sel:DWORD
	s_waitcnt lgkmcnt(2)
	v_cndmask_b32_e32 v17, 0, v73, vcc
	s_waitcnt lgkmcnt(1)
	v_cndmask_b32_e32 v16, 0, v80, vcc
	v_add_co_u32_e32 v24, vcc, v17, v24
	v_addc_co_u32_e32 v25, vcc, v16, v25, vcc
	v_and_b32_e32 v16, 1, v81
	s_waitcnt lgkmcnt(0)
	v_and_b32_e32 v9, 1, v9
	v_cmp_eq_u32_e32 vcc, 1, v16
	v_cmp_eq_u32_e64 s[46:47], 1, v9
	s_or_b64 s[46:47], vcc, s[46:47]
	v_cndmask_b32_e64 v81, 0, 1, s[46:47]
.LBB1334_159:
	s_or_b64 exec, exec, s[50:51]
	s_waitcnt lgkmcnt(0)
	v_mov_b32_e32 v9, 0
	v_mov_b32_e32 v80, 2
	s_branch .LBB1334_161
.LBB1334_160:                           ;   in Loop: Header=BB1334_161 Depth=1
	s_or_b64 exec, exec, s[52:53]
	v_cmp_eq_u16_sdwa vcc, v73, v9 src0_sel:BYTE_0 src1_sel:DWORD
	v_cndmask_b32_e32 v24, 0, v24, vcc
	v_cndmask_b32_e32 v25, 0, v25, vcc
	v_add_co_u32_e32 v24, vcc, v24, v16
	v_addc_co_u32_e32 v25, vcc, v25, v17, vcc
	v_and_b32_e32 v81, 1, v73
	v_cmp_eq_u32_e32 vcc, 1, v81
	s_or_b64 s[46:47], vcc, s[50:51]
	v_subrev_u32_e32 v8, 64, v8
	v_cndmask_b32_e64 v81, 0, 1, s[46:47]
.LBB1334_161:                           ; =>This Loop Header: Depth=1
                                        ;     Child Loop BB1334_164 Depth 2
                                        ;       Child Loop BB1334_165 Depth 3
	v_cmp_ne_u16_sdwa s[46:47], v52, v80 src0_sel:BYTE_0 src1_sel:DWORD
	v_cndmask_b32_e64 v16, 0, 1, s[46:47]
	;;#ASMSTART
	;;#ASMEND
	v_cmp_ne_u32_e32 vcc, 0, v16
	v_mov_b32_e32 v73, v81
	s_cmp_lg_u64 vcc, exec
	v_pk_mov_b32 v[16:17], v[24:25], v[24:25] op_sel:[0,1]
	s_cbranch_scc1 .LBB1334_180
; %bb.162:                              ;   in Loop: Header=BB1334_161 Depth=1
	global_load_ubyte v52, v8, s[72:73] glc
	s_waitcnt vmcnt(0)
	v_cmp_eq_u16_e32 vcc, 0, v52
	s_and_saveexec_b64 s[46:47], vcc
	s_cbranch_execz .LBB1334_168
; %bb.163:                              ;   in Loop: Header=BB1334_161 Depth=1
	v_mov_b32_e32 v25, s73
	v_add_co_u32_e32 v24, vcc, s72, v8
	v_addc_co_u32_e32 v25, vcc, 0, v25, vcc
	s_mov_b32 s7, 1
	s_mov_b64 s[50:51], 0
.LBB1334_164:                           ;   Parent Loop BB1334_161 Depth=1
                                        ; =>  This Loop Header: Depth=2
                                        ;       Child Loop BB1334_165 Depth 3
	s_max_u32 s52, s7, 1
.LBB1334_165:                           ;   Parent Loop BB1334_161 Depth=1
                                        ;     Parent Loop BB1334_164 Depth=2
                                        ; =>    This Inner Loop Header: Depth=3
	s_add_i32 s52, s52, -1
	s_cmp_eq_u32 s52, 0
	s_sleep 1
	s_cbranch_scc0 .LBB1334_165
; %bb.166:                              ;   in Loop: Header=BB1334_164 Depth=2
	global_load_ubyte v52, v[24:25], off glc
	s_cmp_lt_u32 s7, 32
	s_cselect_b64 s[52:53], -1, 0
	s_cmp_lg_u64 s[52:53], 0
	s_addc_u32 s7, s7, 0
	s_waitcnt vmcnt(0)
	v_cmp_ne_u16_e32 vcc, 0, v52
	s_or_b64 s[50:51], vcc, s[50:51]
	s_andn2_b64 exec, exec, s[50:51]
	s_cbranch_execnz .LBB1334_164
; %bb.167:                              ;   in Loop: Header=BB1334_161 Depth=1
	s_or_b64 exec, exec, s[50:51]
.LBB1334_168:                           ;   in Loop: Header=BB1334_161 Depth=1
	s_or_b64 exec, exec, s[46:47]
	v_mov_b32_e32 v24, s71
	v_mov_b32_e32 v25, s69
	v_cmp_eq_u16_e32 vcc, 1, v52
	v_cndmask_b32_e32 v81, v24, v25, vcc
	v_mov_b32_e32 v24, s70
	v_mov_b32_e32 v25, s68
	v_cndmask_b32_e32 v82, v24, v25, vcc
	v_lshlrev_b64 v[24:25], 4, v[8:9]
	v_add_co_u32_e32 v82, vcc, v82, v24
	s_waitcnt lgkmcnt(0)
	v_addc_co_u32_e32 v83, vcc, v81, v25, vcc
	buffer_wbinvl1_vol
	global_load_dwordx2 v[24:25], v[82:83], off
	global_load_ubyte v81, v[82:83], off offset:8
	v_cmp_eq_u16_e32 vcc, 2, v52
	v_and_b32_e32 v82, vcc_hi, v13
	v_or_b32_e32 v82, 0x80000000, v82
	v_and_b32_e32 v87, vcc_lo, v12
	v_ffbl_b32_e32 v82, v82
	v_add_u32_e32 v82, 32, v82
	v_ffbl_b32_e32 v87, v87
	v_min_u32_e32 v82, v87, v82
	v_cmp_lt_u32_e32 vcc, v53, v82
	s_waitcnt vmcnt(1)
	ds_bpermute_b32 v85, v56, v24
	s_waitcnt vmcnt(0)
	v_and_b32_e32 v83, 1, v81
	ds_bpermute_b32 v86, v56, v25
	ds_bpermute_b32 v84, v56, v83
	s_and_saveexec_b64 s[46:47], vcc
	s_cbranch_execz .LBB1334_170
; %bb.169:                              ;   in Loop: Header=BB1334_161 Depth=1
	v_cmp_eq_u16_sdwa vcc, v81, v9 src0_sel:BYTE_0 src1_sel:DWORD
	s_waitcnt lgkmcnt(2)
	v_cndmask_b32_e32 v85, 0, v85, vcc
	s_waitcnt lgkmcnt(1)
	v_cndmask_b32_e32 v83, 0, v86, vcc
	v_add_co_u32_e32 v24, vcc, v85, v24
	v_addc_co_u32_e32 v25, vcc, v83, v25, vcc
	s_waitcnt lgkmcnt(0)
	v_and_b32_e32 v83, 1, v84
	v_or_b32_e32 v81, v83, v81
	v_and_b32_e32 v83, 0xff, v81
.LBB1334_170:                           ;   in Loop: Header=BB1334_161 Depth=1
	s_or_b64 exec, exec, s[46:47]
	s_waitcnt lgkmcnt(2)
	ds_bpermute_b32 v85, v57, v24
	s_waitcnt lgkmcnt(2)
	ds_bpermute_b32 v86, v57, v25
	s_waitcnt lgkmcnt(2)
	ds_bpermute_b32 v84, v57, v83
	v_and_b32_e32 v87, 1, v81
	v_cmp_le_u32_e32 vcc, v60, v82
	v_cmp_eq_u32_e64 s[50:51], 1, v87
	s_and_saveexec_b64 s[46:47], vcc
	s_cbranch_execz .LBB1334_172
; %bb.171:                              ;   in Loop: Header=BB1334_161 Depth=1
	v_cmp_eq_u16_sdwa vcc, v81, v9 src0_sel:BYTE_0 src1_sel:DWORD
	s_waitcnt lgkmcnt(2)
	v_cndmask_b32_e32 v83, 0, v85, vcc
	s_waitcnt lgkmcnt(1)
	v_cndmask_b32_e32 v81, 0, v86, vcc
	v_add_co_u32_e32 v24, vcc, v83, v24
	v_addc_co_u32_e32 v25, vcc, v81, v25, vcc
	s_waitcnt lgkmcnt(0)
	v_and_b32_e32 v81, 1, v84
	v_cmp_eq_u32_e32 vcc, 1, v81
	s_or_b64 s[52:53], s[50:51], vcc
	v_cndmask_b32_e64 v81, 0, 1, s[52:53]
	v_cndmask_b32_e64 v83, 0, 1, s[52:53]
	s_andn2_b64 s[50:51], s[50:51], exec
	s_and_b64 s[52:53], s[52:53], exec
	s_or_b64 s[50:51], s[50:51], s[52:53]
.LBB1334_172:                           ;   in Loop: Header=BB1334_161 Depth=1
	s_or_b64 exec, exec, s[46:47]
	s_waitcnt lgkmcnt(2)
	ds_bpermute_b32 v85, v61, v24
	s_waitcnt lgkmcnt(2)
	ds_bpermute_b32 v86, v61, v25
	s_waitcnt lgkmcnt(2)
	ds_bpermute_b32 v84, v61, v83
	v_cmp_le_u32_e32 vcc, v64, v82
	s_and_saveexec_b64 s[52:53], vcc
	s_cbranch_execz .LBB1334_174
; %bb.173:                              ;   in Loop: Header=BB1334_161 Depth=1
	v_cmp_eq_u16_sdwa vcc, v81, v9 src0_sel:BYTE_0 src1_sel:DWORD
	s_waitcnt lgkmcnt(2)
	v_cndmask_b32_e32 v85, 0, v85, vcc
	s_waitcnt lgkmcnt(1)
	v_cndmask_b32_e32 v83, 0, v86, vcc
	v_add_co_u32_e32 v24, vcc, v85, v24
	v_addc_co_u32_e32 v25, vcc, v83, v25, vcc
	v_and_b32_e32 v81, 1, v81
	v_cmp_eq_u32_e32 vcc, 1, v81
	s_waitcnt lgkmcnt(0)
	v_and_b32_e32 v81, 1, v84
	v_cmp_eq_u32_e64 s[46:47], 1, v81
	s_or_b64 s[46:47], vcc, s[46:47]
	v_cndmask_b32_e64 v81, 0, 1, s[46:47]
	v_cndmask_b32_e64 v83, 0, 1, s[46:47]
	s_andn2_b64 s[50:51], s[50:51], exec
	s_and_b64 s[46:47], s[46:47], exec
	s_or_b64 s[50:51], s[50:51], s[46:47]
.LBB1334_174:                           ;   in Loop: Header=BB1334_161 Depth=1
	s_or_b64 exec, exec, s[52:53]
	s_waitcnt lgkmcnt(2)
	ds_bpermute_b32 v85, v65, v24
	s_waitcnt lgkmcnt(2)
	ds_bpermute_b32 v86, v65, v25
	s_waitcnt lgkmcnt(2)
	ds_bpermute_b32 v84, v65, v83
	v_cmp_le_u32_e32 vcc, v68, v82
	s_and_saveexec_b64 s[52:53], vcc
	s_cbranch_execz .LBB1334_176
; %bb.175:                              ;   in Loop: Header=BB1334_161 Depth=1
	v_cmp_eq_u16_sdwa vcc, v81, v9 src0_sel:BYTE_0 src1_sel:DWORD
	s_waitcnt lgkmcnt(2)
	v_cndmask_b32_e32 v85, 0, v85, vcc
	s_waitcnt lgkmcnt(1)
	v_cndmask_b32_e32 v83, 0, v86, vcc
	v_add_co_u32_e32 v24, vcc, v85, v24
	v_addc_co_u32_e32 v25, vcc, v83, v25, vcc
	v_and_b32_e32 v81, 1, v81
	v_cmp_eq_u32_e32 vcc, 1, v81
	s_waitcnt lgkmcnt(0)
	v_and_b32_e32 v81, 1, v84
	v_cmp_eq_u32_e64 s[46:47], 1, v81
	s_or_b64 s[46:47], vcc, s[46:47]
	v_cndmask_b32_e64 v81, 0, 1, s[46:47]
	v_cndmask_b32_e64 v83, 0, 1, s[46:47]
	s_andn2_b64 s[50:51], s[50:51], exec
	s_and_b64 s[46:47], s[46:47], exec
	s_or_b64 s[50:51], s[50:51], s[46:47]
.LBB1334_176:                           ;   in Loop: Header=BB1334_161 Depth=1
	;; [unrolled: 30-line block ×3, first 2 shown]
	s_or_b64 exec, exec, s[52:53]
	s_waitcnt lgkmcnt(0)
	ds_bpermute_b32 v84, v76, v24
	ds_bpermute_b32 v85, v76, v25
	;; [unrolled: 1-line block ×3, first 2 shown]
	v_cmp_le_u32_e32 vcc, v77, v82
	s_and_saveexec_b64 s[52:53], vcc
	s_cbranch_execz .LBB1334_160
; %bb.179:                              ;   in Loop: Header=BB1334_161 Depth=1
	v_cmp_eq_u16_sdwa vcc, v81, v9 src0_sel:BYTE_0 src1_sel:DWORD
	s_waitcnt lgkmcnt(2)
	v_cndmask_b32_e32 v84, 0, v84, vcc
	s_waitcnt lgkmcnt(1)
	v_cndmask_b32_e32 v82, 0, v85, vcc
	v_add_co_u32_e32 v24, vcc, v84, v24
	v_addc_co_u32_e32 v25, vcc, v82, v25, vcc
	v_and_b32_e32 v81, 1, v81
	v_cmp_eq_u32_e32 vcc, 1, v81
	s_waitcnt lgkmcnt(0)
	v_and_b32_e32 v81, 1, v83
	v_cmp_eq_u32_e64 s[46:47], 1, v81
	s_or_b64 s[46:47], vcc, s[46:47]
	s_andn2_b64 s[50:51], s[50:51], exec
	s_and_b64 s[46:47], s[46:47], exec
	s_or_b64 s[50:51], s[50:51], s[46:47]
	s_branch .LBB1334_160
.LBB1334_180:                           ;   in Loop: Header=BB1334_161 Depth=1
                                        ; implicit-def: $vgpr81
                                        ; implicit-def: $vgpr24_vgpr25
                                        ; implicit-def: $vgpr52
	s_cbranch_execz .LBB1334_161
; %bb.181:
	s_and_saveexec_b64 s[46:47], s[44:45]
	s_cbranch_execz .LBB1334_183
; %bb.182:
	v_mov_b32_e32 v8, 0
	s_mov_b32 s7, 0
	v_cmp_eq_u16_sdwa vcc, v49, v8 src0_sel:BYTE_0 src1_sel:DWORD
	s_add_i32 s6, s6, 64
	v_cndmask_b32_e32 v12, 0, v16, vcc
	s_lshl_b64 s[44:45], s[6:7], 4
	v_cndmask_b32_e32 v9, 0, v17, vcc
	v_add_co_u32_e32 v4, vcc, v12, v4
	s_add_u32 s44, s70, s44
	v_addc_co_u32_e32 v5, vcc, v9, v5, vcc
	v_or_b32_e32 v9, v49, v73
	s_addc_u32 s45, s71, s45
	v_and_b32_e32 v9, 1, v9
	global_store_dwordx2 v8, v[4:5], s[44:45]
	global_store_byte v8, v9, s[44:45] offset:8
	v_mov_b32_e32 v4, s6
	v_mov_b32_e32 v5, 2
	s_waitcnt vmcnt(0) lgkmcnt(0)
	buffer_wbinvl1_vol
	global_store_byte v4, v5, s[72:73]
.LBB1334_183:
	s_or_b64 exec, exec, s[46:47]
	v_cmp_eq_u32_e32 vcc, 0, v0
	s_and_b64 exec, exec, vcc
	s_cbranch_execz .LBB1334_185
; %bb.184:
	v_mov_b32_e32 v4, 0
	ds_write_b64 v4, v[16:17]
	ds_write_b8 v4, v73 offset:8
.LBB1334_185:
	s_or_b64 exec, exec, s[48:49]
	v_mov_b32_e32 v8, 0
	v_cmp_eq_u16_sdwa vcc, v1, v8 src0_sel:BYTE_0 src1_sel:DWORD
	v_and_b32_e32 v13, 1, v1
	v_cndmask_b32_e32 v9, 0, v45, vcc
	v_cndmask_b32_e32 v12, 0, v48, vcc
	v_cmp_eq_u32_e32 vcc, 1, v13
	v_and_b32_e32 v13, 1, v44
	v_cmp_eq_u32_e64 s[6:7], 1, v13
	s_waitcnt lgkmcnt(0)
	; wave barrier
	s_waitcnt lgkmcnt(0)
	ds_read_b64 v[4:5], v8
	s_or_b64 s[6:7], vcc, s[6:7]
	v_cmp_eq_u32_e32 vcc, 0, v0
	v_cndmask_b32_e64 v13, 0, 1, s[6:7]
	v_cndmask_b32_e64 v9, v9, 0, vcc
	v_cndmask_b32_e32 v13, v13, v1, vcc
	v_cndmask_b32_e64 v12, v12, 0, vcc
	v_add_co_u32_e32 v9, vcc, v9, v2
	v_addc_co_u32_e32 v12, vcc, v12, v3, vcc
	v_cmp_eq_u16_sdwa vcc, v13, v8 src0_sel:BYTE_0 src1_sel:DWORD
	s_waitcnt lgkmcnt(0)
	v_cndmask_b32_e32 v4, 0, v4, vcc
	v_cndmask_b32_e32 v5, 0, v5, vcc
	v_add_co_u32_e32 v114, vcc, v9, v4
	v_addc_co_u32_e32 v115, vcc, v12, v5, vcc
	v_cndmask_b32_e64 v5, 0, v114, s[2:3]
	v_cndmask_b32_e64 v4, 0, v115, s[2:3]
	v_add_co_u32_e32 v44, vcc, v5, v18
	v_addc_co_u32_e32 v45, vcc, v4, v19, vcc
	v_cndmask_b32_e64 v5, 0, v44, s[4:5]
	v_cndmask_b32_e64 v4, 0, v45, s[4:5]
	;; [unrolled: 4-line block ×20, first 2 shown]
	v_add_co_u32_e32 v120, vcc, v5, v20
	v_addc_co_u32_e32 v121, vcc, v4, v21, vcc
	s_branch .LBB1334_208
.LBB1334_186:
                                        ; implicit-def: $vgpr112_vgpr113_vgpr114_vgpr115
                                        ; implicit-def: $vgpr120_vgpr121
                                        ; implicit-def: $vgpr118_vgpr119
                                        ; implicit-def: $vgpr76_vgpr77
                                        ; implicit-def: $vgpr72_vgpr73
                                        ; implicit-def: $vgpr68_vgpr69
                                        ; implicit-def: $vgpr64_vgpr65
                                        ; implicit-def: $vgpr60_vgpr61
                                        ; implicit-def: $vgpr56_vgpr57
                                        ; implicit-def: $vgpr52_vgpr53
                                        ; implicit-def: $vgpr48_vgpr49
                                        ; implicit-def: $vgpr44_vgpr45
                                        ; implicit-def: $vgpr108_vgpr109_vgpr110_vgpr111
                                        ; implicit-def: $vgpr104_vgpr105_vgpr106_vgpr107
                                        ; implicit-def: $vgpr100_vgpr101_vgpr102_vgpr103
                                        ; implicit-def: $vgpr96_vgpr97_vgpr98_vgpr99
                                        ; implicit-def: $vgpr92_vgpr93_vgpr94_vgpr95
                                        ; implicit-def: $vgpr88_vgpr89_vgpr90_vgpr91
                                        ; implicit-def: $vgpr84_vgpr85_vgpr86_vgpr87
                                        ; implicit-def: $vgpr80_vgpr81_vgpr82_vgpr83
                                        ; implicit-def: $vgpr114_vgpr115_vgpr116_vgpr117
	s_cbranch_execz .LBB1334_208
; %bb.187:
	v_readlane_b32 s2, v131, 0
	v_readlane_b32 s3, v131, 1
	s_cmp_lg_u64 s[2:3], 0
	s_cselect_b32 s5, s91, 0
	s_cselect_b32 s4, s90, 0
	s_cmp_lg_u64 s[4:5], 0
	s_cselect_b64 s[6:7], -1, 0
	v_cmp_eq_u32_e32 vcc, 0, v0
	v_cmp_ne_u32_e64 s[2:3], 0, v0
	s_and_b64 s[8:9], vcc, s[6:7]
	s_and_saveexec_b64 s[6:7], s[8:9]
	s_cbranch_execz .LBB1334_189
; %bb.188:
	v_mov_b32_e32 v8, 0
	global_load_dwordx2 v[4:5], v8, s[4:5]
	global_load_ubyte v9, v8, s[4:5] offset:8
	v_cmp_eq_u16_sdwa s[4:5], v1, v8 src0_sel:BYTE_0 src1_sel:DWORD
	s_waitcnt vmcnt(1)
	v_cndmask_b32_e64 v4, 0, v4, s[4:5]
	v_cndmask_b32_e64 v5, 0, v5, s[4:5]
	s_waitcnt vmcnt(0)
	v_or_b32_e32 v1, v1, v9
	v_add_co_u32_e64 v2, s[4:5], v4, v2
	v_addc_co_u32_e64 v3, s[4:5], v5, v3, s[4:5]
	v_and_b32_e32 v1, 1, v1
.LBB1334_189:
	s_or_b64 exec, exec, s[6:7]
	v_mov_b32_e32 v5, 0
	v_cmp_eq_u16_sdwa s[4:5], v128, v5 src0_sel:BYTE_0 src1_sel:DWORD
	v_cndmask_b32_e64 v9, 0, v2, s[4:5]
	v_cndmask_b32_e64 v8, 0, v3, s[4:5]
	v_add_co_u32_e64 v44, s[6:7], v9, v18
	v_addc_co_u32_e64 v45, s[6:7], v8, v19, s[6:7]
	v_cmp_eq_u16_sdwa s[6:7], v130, v5 src0_sel:BYTE_0 src1_sel:DWORD
	v_cndmask_b32_e64 v9, 0, v44, s[6:7]
	s_movk_i32 s42, 0xff
	v_cndmask_b32_e64 v8, 0, v45, s[6:7]
	v_add_co_u32_e64 v80, s[8:9], v9, v6
	v_addc_co_u32_e64 v81, s[8:9], v8, v7, s[8:9]
	v_and_b32_sdwa v8, v128, s42 dst_sel:DWORD dst_unused:UNUSED_PAD src0_sel:WORD_1 src1_sel:DWORD
	v_cmp_eq_u16_e64 s[8:9], 0, v8
	v_cndmask_b32_e64 v9, 0, v80, s[8:9]
	v_cndmask_b32_e64 v8, 0, v81, s[8:9]
	v_add_co_u32_e64 v48, s[10:11], v9, v26
	v_addc_co_u32_e64 v49, s[10:11], v8, v27, s[10:11]
	v_cmp_eq_u16_sdwa s[10:11], v128, v5 src0_sel:BYTE_3 src1_sel:DWORD
	v_cndmask_b32_e64 v9, 0, v48, s[10:11]
	v_cndmask_b32_e64 v8, 0, v49, s[10:11]
	v_add_co_u32_e64 v84, s[12:13], v9, v14
	v_addc_co_u32_e64 v85, s[12:13], v8, v15, s[12:13]
	v_cmp_eq_u16_sdwa s[12:13], v123, v5 src0_sel:BYTE_0 src1_sel:DWORD
	v_cndmask_b32_e64 v9, 0, v84, s[12:13]
	v_cndmask_b32_e64 v8, 0, v85, s[12:13]
	v_add_co_u32_e64 v52, s[14:15], v9, v34
	v_addc_co_u32_e64 v53, s[14:15], v8, v35, s[14:15]
	v_cmp_eq_u16_sdwa s[14:15], v127, v5 src0_sel:BYTE_0 src1_sel:DWORD
	v_cndmask_b32_e64 v9, 0, v52, s[14:15]
	v_cndmask_b32_e64 v8, 0, v53, s[14:15]
	v_add_co_u32_e64 v88, s[16:17], v9, v22
	v_addc_co_u32_e64 v89, s[16:17], v8, v23, s[16:17]
	v_cmp_eq_u16_sdwa s[16:17], v41, v5 src0_sel:BYTE_0 src1_sel:DWORD
	v_cndmask_b32_e64 v9, 0, v88, s[16:17]
	v_cndmask_b32_e64 v8, 0, v89, s[16:17]
	v_add_co_u32_e64 v56, s[18:19], v9, v42
	v_addc_co_u32_e64 v57, s[18:19], v8, v43, s[18:19]
	v_and_b32_sdwa v8, v127, s42 dst_sel:DWORD dst_unused:UNUSED_PAD src0_sel:WORD_1 src1_sel:DWORD
	v_cmp_eq_u16_e64 s[18:19], 0, v8
	v_cndmask_b32_e64 v9, 0, v56, s[18:19]
	v_cndmask_b32_e64 v8, 0, v57, s[18:19]
	v_add_co_u32_e64 v92, s[20:21], v9, v30
	v_addc_co_u32_e64 v93, s[20:21], v8, v31, s[20:21]
	v_cmp_eq_u16_sdwa s[20:21], v127, v5 src0_sel:BYTE_3 src1_sel:DWORD
	v_cndmask_b32_e64 v9, 0, v92, s[20:21]
	v_cndmask_b32_e64 v8, 0, v93, s[20:21]
	v_add_co_u32_e64 v60, s[22:23], v9, v50
	v_addc_co_u32_e64 v61, s[22:23], v8, v51, s[22:23]
	v_cmp_eq_u16_sdwa s[22:23], v124, v5 src0_sel:BYTE_0 src1_sel:DWORD
	v_cndmask_b32_e64 v9, 0, v60, s[22:23]
	v_cndmask_b32_e64 v8, 0, v61, s[22:23]
	v_add_co_u32_e64 v96, s[24:25], v9, v38
	v_addc_co_u32_e64 v97, s[24:25], v8, v39, s[24:25]
	v_cmp_eq_u16_sdwa s[24:25], v126, v5 src0_sel:BYTE_0 src1_sel:DWORD
	v_cndmask_b32_e64 v9, 0, v96, s[24:25]
	v_cndmask_b32_e64 v8, 0, v97, s[24:25]
	v_add_co_u32_e64 v64, s[26:27], v9, v58
	v_addc_co_u32_e64 v65, s[26:27], v8, v59, s[26:27]
	v_cmp_eq_u16_sdwa s[26:27], v37, v5 src0_sel:BYTE_0 src1_sel:DWORD
	v_cndmask_b32_e64 v9, 0, v64, s[26:27]
	;; [unrolled: 26-line block ×3, first 2 shown]
	v_cndmask_b32_e64 v8, 0, v109, s[38:39]
	v_add_co_u32_e64 v76, s[40:41], v9, v78
	v_addc_co_u32_e64 v77, s[40:41], v8, v79, s[40:41]
	v_and_b32_sdwa v8, v125, s42 dst_sel:DWORD dst_unused:UNUSED_PAD src0_sel:WORD_1 src1_sel:DWORD
	v_cmp_eq_u16_e64 s[40:41], 0, v8
	v_cndmask_b32_e64 v9, 0, v76, s[40:41]
	v_cndmask_b32_e64 v8, 0, v77, s[40:41]
	v_add_co_u32_e64 v112, s[42:43], v9, v70
	v_addc_co_u32_e64 v113, s[42:43], v8, v71, s[42:43]
	v_cmp_eq_u16_sdwa s[42:43], v125, v5 src0_sel:BYTE_3 src1_sel:DWORD
	v_cndmask_b32_e64 v9, 0, v112, s[42:43]
	v_cndmask_b32_e64 v8, 0, v113, s[42:43]
	v_add_co_u32_e64 v118, s[44:45], v9, v10
	v_addc_co_u32_e64 v119, s[44:45], v8, v11, s[44:45]
	v_cmp_eq_u16_sdwa s[44:45], v28, v5 src0_sel:BYTE_0 src1_sel:DWORD
	v_cndmask_b32_e64 v8, 0, v118, s[44:45]
	v_cndmask_b32_e64 v5, 0, v119, s[44:45]
	v_add_co_u32_e64 v120, s[52:53], v8, v20
	v_addc_co_u32_e64 v121, s[52:53], v5, v21, s[52:53]
	v_or_b32_e32 v5, v125, v126
	v_or3_b32 v5, v5, v127, v128
	v_lshrrev_b16_e32 v9, 7, v5
	v_and_b32_e32 v8, 1, v5
	v_and_b32_e32 v9, 2, v9
	v_or_b32_e32 v8, v8, v9
	v_lshrrev_b32_e32 v9, 23, v5
	v_mov_b32_e32 v12, 1
	v_and_b32_e32 v9, 2, v9
	v_and_b32_sdwa v5, v5, v12 dst_sel:DWORD dst_unused:UNUSED_PAD src0_sel:WORD_1 src1_sel:DWORD
	v_or_b32_e32 v5, v5, v9
	v_lshlrev_b16_e32 v5, 2, v5
	v_or_b32_e32 v5, v8, v5
	v_cmp_eq_u32_e64 s[52:53], 1, v32
	v_cmp_ne_u16_e64 s[54:55], 0, v5
	v_cmp_eq_u32_e64 s[50:51], 1, v33
	s_or_b64 s[52:53], s[54:55], s[52:53]
	v_cmp_eq_u32_e64 s[48:49], 1, v40
	s_or_b64 s[50:51], s[52:53], s[50:51]
	;; [unrolled: 2-line block ×3, first 2 shown]
	v_and_b32_e32 v4, 0xff, v1
	s_or_b64 s[46:47], s[48:49], s[46:47]
	v_mbcnt_hi_u32_b32 v12, -1, v29
	v_cndmask_b32_e64 v13, v4, 1, s[46:47]
	v_and_b32_e32 v16, 15, v12
	v_mov_b32_dpp v24, v120 row_shr:1 row_mask:0xf bank_mask:0xf
	v_mov_b32_dpp v25, v121 row_shr:1 row_mask:0xf bank_mask:0xf
	;; [unrolled: 1-line block ×3, first 2 shown]
	v_cmp_ne_u32_e64 s[46:47], 0, v16
	v_pk_mov_b32 v[4:5], v[120:121], v[120:121] op_sel:[0,1]
	v_mov_b32_e32 v9, v121
	v_mov_b32_e32 v8, v120
	s_and_saveexec_b64 s[48:49], s[46:47]
; %bb.190:
	v_cmp_eq_u32_e64 s[46:47], 0, v13
	v_cndmask_b32_e64 v4, 0, v24, s[46:47]
	v_cndmask_b32_e64 v5, 0, v25, s[46:47]
	v_add_co_u32_e64 v4, s[46:47], v120, v4
	v_addc_co_u32_e64 v5, s[46:47], v121, v5, s[46:47]
	v_and_or_b32 v13, v17, 1, v13
	v_mov_b32_e32 v9, v5
	v_mov_b32_e32 v8, v4
; %bb.191:
	s_or_b64 exec, exec, s[48:49]
	s_nop 0
	v_mov_b32_dpp v24, v8 row_shr:2 row_mask:0xf bank_mask:0xf
	v_mov_b32_dpp v25, v9 row_shr:2 row_mask:0xf bank_mask:0xf
	v_mov_b32_dpp v17, v13 row_shr:2 row_mask:0xf bank_mask:0xf
	v_cmp_lt_u32_e64 s[46:47], 1, v16
	s_and_saveexec_b64 s[48:49], s[46:47]
; %bb.192:
	v_cmp_eq_u32_e64 s[46:47], 0, v13
	v_cndmask_b32_e64 v8, 0, v24, s[46:47]
	v_cndmask_b32_e64 v9, 0, v25, s[46:47]
	v_add_co_u32_e64 v8, s[46:47], v8, v4
	v_addc_co_u32_e64 v9, s[46:47], v9, v5, s[46:47]
	v_or_b32_e32 v4, v17, v13
	v_and_b32_e32 v13, 1, v4
	v_pk_mov_b32 v[4:5], v[8:9], v[8:9] op_sel:[0,1]
; %bb.193:
	s_or_b64 exec, exec, s[48:49]
	v_mov_b32_dpp v24, v8 row_shr:4 row_mask:0xf bank_mask:0xf
	v_mov_b32_dpp v25, v9 row_shr:4 row_mask:0xf bank_mask:0xf
	v_mov_b32_dpp v17, v13 row_shr:4 row_mask:0xf bank_mask:0xf
	v_cmp_lt_u32_e64 s[46:47], 3, v16
	s_and_saveexec_b64 s[48:49], s[46:47]
; %bb.194:
	v_cmp_eq_u32_e64 s[46:47], 0, v13
	v_cndmask_b32_e64 v8, 0, v24, s[46:47]
	v_cndmask_b32_e64 v9, 0, v25, s[46:47]
	v_add_co_u32_e64 v8, s[46:47], v8, v4
	v_addc_co_u32_e64 v9, s[46:47], v9, v5, s[46:47]
	v_or_b32_e32 v4, v17, v13
	v_and_b32_e32 v13, 1, v4
	v_pk_mov_b32 v[4:5], v[8:9], v[8:9] op_sel:[0,1]
; %bb.195:
	s_or_b64 exec, exec, s[48:49]
	;; [unrolled: 16-line block ×3, first 2 shown]
	v_and_b32_e32 v25, 16, v12
	v_mov_b32_dpp v17, v8 row_bcast:15 row_mask:0xf bank_mask:0xf
	v_mov_b32_dpp v24, v9 row_bcast:15 row_mask:0xf bank_mask:0xf
	;; [unrolled: 1-line block ×3, first 2 shown]
	v_cmp_ne_u32_e64 s[46:47], 0, v25
	s_and_saveexec_b64 s[48:49], s[46:47]
; %bb.198:
	v_cmp_eq_u32_e64 s[46:47], 0, v13
	v_cndmask_b32_e64 v9, 0, v17, s[46:47]
	v_cndmask_b32_e64 v8, 0, v24, s[46:47]
	v_add_co_u32_e64 v4, s[46:47], v9, v4
	v_addc_co_u32_e64 v5, s[46:47], v8, v5, s[46:47]
	v_or_b32_e32 v8, v16, v13
	v_and_b32_e32 v13, 1, v8
	v_mov_b32_e32 v9, v5
	v_mov_b32_e32 v8, v4
; %bb.199:
	s_or_b64 exec, exec, s[48:49]
	s_nop 0
	v_mov_b32_dpp v16, v8 row_bcast:31 row_mask:0xf bank_mask:0xf
	v_mov_b32_dpp v9, v9 row_bcast:31 row_mask:0xf bank_mask:0xf
	;; [unrolled: 1-line block ×3, first 2 shown]
	v_cmp_lt_u32_e64 s[46:47], 31, v12
	s_and_saveexec_b64 s[48:49], s[46:47]
; %bb.200:
	v_cmp_eq_u32_e64 s[46:47], 0, v13
	v_cndmask_b32_e64 v16, 0, v16, s[46:47]
	v_cndmask_b32_e64 v9, 0, v9, s[46:47]
	v_add_co_u32_e64 v4, s[46:47], v16, v4
	v_or_b32_e32 v8, v8, v13
	v_addc_co_u32_e64 v5, s[46:47], v9, v5, s[46:47]
	v_and_b32_e32 v13, 1, v8
; %bb.201:
	s_or_b64 exec, exec, s[48:49]
	v_cmp_eq_u32_e64 s[46:47], 63, v0
	s_and_saveexec_b64 s[48:49], s[46:47]
	s_cbranch_execz .LBB1334_203
; %bb.202:
	v_mov_b32_e32 v8, 0
	ds_write_b64 v8, v[4:5]
	ds_write_b8 v8, v13 offset:8
.LBB1334_203:
	s_or_b64 exec, exec, s[48:49]
	v_add_u32_e32 v8, -1, v12
	v_and_b32_e32 v9, 64, v12
	v_cmp_lt_i32_e64 s[46:47], v8, v9
	v_cndmask_b32_e64 v8, v8, v12, s[46:47]
	v_lshlrev_b32_e32 v8, 2, v8
	ds_bpermute_b32 v4, v8, v4
	ds_bpermute_b32 v5, v8, v5
	s_waitcnt lgkmcnt(0)
	; wave barrier
	s_waitcnt lgkmcnt(0)
	s_and_saveexec_b64 s[46:47], s[2:3]
	s_cbranch_execz .LBB1334_205
; %bb.204:
	v_mov_b32_e32 v8, 0
	v_cmp_eq_u16_sdwa s[2:3], v1, v8 src0_sel:BYTE_0 src1_sel:DWORD
	v_cndmask_b32_e64 v4, 0, v4, s[2:3]
	v_cndmask_b32_e64 v1, 0, v5, s[2:3]
	v_add_co_u32_e64 v2, s[2:3], v4, v2
	v_addc_co_u32_e64 v3, s[2:3], v1, v3, s[2:3]
	v_cndmask_b32_e64 v4, 0, v2, s[4:5]
	v_cndmask_b32_e64 v1, 0, v3, s[4:5]
	v_add_co_u32_e64 v44, s[2:3], v4, v18
	v_addc_co_u32_e64 v45, s[2:3], v1, v19, s[2:3]
	;; [unrolled: 4-line block ×21, first 2 shown]
	;;#ASMSTART
	;;#ASMEND
.LBB1334_205:
	s_or_b64 exec, exec, s[46:47]
	s_and_saveexec_b64 s[2:3], vcc
	s_cbranch_execz .LBB1334_207
; %bb.206:
	v_mov_b32_e32 v1, 0
	ds_read_b64 v[4:5], v1
	ds_read_u8 v6, v1 offset:8
	v_mov_b32_e32 v7, 2
	s_waitcnt lgkmcnt(1)
	global_store_dwordx2 v1, v[4:5], s[70:71] offset:1024
	s_waitcnt lgkmcnt(0)
	global_store_byte v1, v6, s[70:71] offset:1032
	s_waitcnt vmcnt(0)
	buffer_wbinvl1_vol
	global_store_byte v1, v7, s[72:73] offset:64
.LBB1334_207:
	s_or_b64 exec, exec, s[2:3]
	v_pk_mov_b32 v[114:115], v[2:3], v[2:3] op_sel:[0,1]
.LBB1334_208:
	s_add_u32 s0, s58, s0
	s_addc_u32 s1, s59, s1
	s_add_u32 s4, s0, s86
	s_addc_u32 s5, s1, s87
	s_and_b64 vcc, exec, s[88:89]
	v_lshlrev_b32_e32 v46, 3, v0
	s_cbranch_vccz .LBB1334_250
; %bb.209:
	s_movk_i32 s0, 0xa8
	v_mul_i32_i24_e32 v50, 0xffffff60, v0
	v_mul_u32_u24_e32 v47, 0xa8, v0
	v_mad_u32_u24 v2, v0, s0, v50
	s_waitcnt lgkmcnt(0)
	; wave barrier
	ds_write2_b64 v47, v[114:115], v[44:45] offset1:1
	ds_write2_b64 v47, v[80:81], v[48:49] offset0:2 offset1:3
	ds_write2_b64 v47, v[84:85], v[52:53] offset0:4 offset1:5
	;; [unrolled: 1-line block ×9, first 2 shown]
	ds_write_b64 v47, v[120:121] offset:160
	s_waitcnt lgkmcnt(0)
	; wave barrier
	s_waitcnt lgkmcnt(0)
	ds_read2st64_b64 v[38:41], v2 offset0:1 offset1:2
	ds_read2st64_b64 v[34:37], v2 offset0:3 offset1:4
	;; [unrolled: 1-line block ×10, first 2 shown]
	v_mov_b32_e32 v43, s5
	v_add_co_u32_e32 v42, vcc, s4, v46
	s_add_i32 s33, s33, s74
	v_addc_co_u32_e32 v43, vcc, 0, v43, vcc
	v_mov_b32_e32 v1, 0
	v_cmp_gt_u32_e32 vcc, s33, v0
	s_and_saveexec_b64 s[0:1], vcc
	s_cbranch_execz .LBB1334_211
; %bb.210:
	v_add_u32_e32 v47, v47, v50
	ds_read_b64 v[50:51], v47
	s_waitcnt lgkmcnt(0)
	flat_store_dwordx2 v[42:43], v[50:51]
.LBB1334_211:
	s_or_b64 exec, exec, s[0:1]
	v_or_b32_e32 v47, 64, v0
	v_cmp_gt_u32_e32 vcc, s33, v47
	s_and_saveexec_b64 s[0:1], vcc
	s_cbranch_execz .LBB1334_213
; %bb.212:
	s_waitcnt lgkmcnt(0)
	flat_store_dwordx2 v[42:43], v[38:39] offset:512
.LBB1334_213:
	s_or_b64 exec, exec, s[0:1]
	s_waitcnt lgkmcnt(0)
	v_or_b32_e32 v38, 0x80, v0
	v_cmp_gt_u32_e32 vcc, s33, v38
	s_and_saveexec_b64 s[0:1], vcc
	s_cbranch_execz .LBB1334_215
; %bb.214:
	flat_store_dwordx2 v[42:43], v[40:41] offset:1024
.LBB1334_215:
	s_or_b64 exec, exec, s[0:1]
	v_or_b32_e32 v38, 0xc0, v0
	v_cmp_gt_u32_e32 vcc, s33, v38
	s_and_saveexec_b64 s[0:1], vcc
	s_cbranch_execz .LBB1334_217
; %bb.216:
	flat_store_dwordx2 v[42:43], v[34:35] offset:1536
.LBB1334_217:
	s_or_b64 exec, exec, s[0:1]
	;; [unrolled: 8-line block ×6, first 2 shown]
	v_or_b32_e32 v26, 0x200, v0
	v_cmp_gt_u32_e32 vcc, s33, v26
	s_and_saveexec_b64 s[0:1], vcc
	s_cbranch_execz .LBB1334_227
; %bb.226:
	v_add_co_u32_e32 v26, vcc, 0x1000, v42
	v_addc_co_u32_e32 v27, vcc, 0, v43, vcc
	flat_store_dwordx2 v[26:27], v[28:29]
.LBB1334_227:
	s_or_b64 exec, exec, s[0:1]
	v_or_b32_e32 v26, 0x240, v0
	v_cmp_gt_u32_e32 vcc, s33, v26
	s_and_saveexec_b64 s[0:1], vcc
	s_cbranch_execz .LBB1334_229
; %bb.228:
	v_add_co_u32_e32 v26, vcc, 0x1000, v42
	v_addc_co_u32_e32 v27, vcc, 0, v43, vcc
	flat_store_dwordx2 v[26:27], v[22:23] offset:512
.LBB1334_229:
	s_or_b64 exec, exec, s[0:1]
	v_or_b32_e32 v22, 0x280, v0
	v_cmp_gt_u32_e32 vcc, s33, v22
	s_and_saveexec_b64 s[0:1], vcc
	s_cbranch_execz .LBB1334_231
; %bb.230:
	v_add_co_u32_e32 v22, vcc, 0x1000, v42
	v_addc_co_u32_e32 v23, vcc, 0, v43, vcc
	flat_store_dwordx2 v[22:23], v[24:25] offset:1024
.LBB1334_231:
	;; [unrolled: 10-line block ×7, first 2 shown]
	s_or_b64 exec, exec, s[0:1]
	v_or_b32_e32 v10, 0x400, v0
	v_cmp_gt_u32_e32 vcc, s33, v10
	s_and_saveexec_b64 s[0:1], vcc
	s_cbranch_execz .LBB1334_243
; %bb.242:
	v_add_co_u32_e32 v10, vcc, 0x2000, v42
	v_addc_co_u32_e32 v11, vcc, 0, v43, vcc
	flat_store_dwordx2 v[10:11], v[12:13]
.LBB1334_243:
	s_or_b64 exec, exec, s[0:1]
	v_or_b32_e32 v10, 0x440, v0
	v_cmp_gt_u32_e32 vcc, s33, v10
	s_and_saveexec_b64 s[0:1], vcc
	s_cbranch_execz .LBB1334_245
; %bb.244:
	v_add_co_u32_e32 v10, vcc, 0x2000, v42
	v_addc_co_u32_e32 v11, vcc, 0, v43, vcc
	flat_store_dwordx2 v[10:11], v[6:7] offset:512
.LBB1334_245:
	s_or_b64 exec, exec, s[0:1]
	v_or_b32_e32 v6, 0x480, v0
	v_cmp_gt_u32_e32 vcc, s33, v6
	s_and_saveexec_b64 s[0:1], vcc
	s_cbranch_execz .LBB1334_247
; %bb.246:
	v_add_co_u32_e32 v6, vcc, 0x2000, v42
	v_addc_co_u32_e32 v7, vcc, 0, v43, vcc
	flat_store_dwordx2 v[6:7], v[8:9] offset:1024
.LBB1334_247:
	;; [unrolled: 10-line block ×3, first 2 shown]
	s_or_b64 exec, exec, s[0:1]
	v_or_b32_e32 v2, 0x500, v0
	v_cmp_gt_u32_e64 s[0:1], s33, v2
	s_branch .LBB1334_252
.LBB1334_250:
	s_mov_b64 s[0:1], 0
                                        ; implicit-def: $vgpr4_vgpr5
	s_cbranch_execz .LBB1334_252
; %bb.251:
	s_movk_i32 s2, 0xa8
	v_mul_i32_i24_e32 v2, 0xffffff60, v0
	v_mul_u32_u24_e32 v1, 0xa8, v0
	v_mad_u32_u24 v2, v0, s2, v2
	s_waitcnt lgkmcnt(0)
	; wave barrier
	s_waitcnt lgkmcnt(0)
	ds_write2_b64 v1, v[114:115], v[44:45] offset1:1
	ds_write2_b64 v1, v[80:81], v[48:49] offset0:2 offset1:3
	ds_write2_b64 v1, v[84:85], v[52:53] offset0:4 offset1:5
	;; [unrolled: 1-line block ×9, first 2 shown]
	ds_write_b64 v1, v[120:121] offset:160
	s_waitcnt lgkmcnt(0)
	; wave barrier
	s_waitcnt lgkmcnt(0)
	ds_read2st64_b64 v[6:9], v2 offset1:1
	ds_read2st64_b64 v[10:13], v2 offset0:2 offset1:3
	ds_read2st64_b64 v[14:17], v2 offset0:4 offset1:5
	;; [unrolled: 1-line block ×9, first 2 shown]
	ds_read_b64 v[4:5], v2 offset:10240
	v_mov_b32_e32 v3, s5
	v_add_co_u32_e32 v2, vcc, s4, v46
	v_addc_co_u32_e32 v3, vcc, 0, v3, vcc
	s_movk_i32 s2, 0x1000
	s_waitcnt lgkmcnt(0)
	flat_store_dwordx2 v[2:3], v[6:7]
	flat_store_dwordx2 v[2:3], v[8:9] offset:512
	flat_store_dwordx2 v[2:3], v[10:11] offset:1024
	;; [unrolled: 1-line block ×7, first 2 shown]
	v_add_co_u32_e32 v6, vcc, s2, v2
	v_addc_co_u32_e32 v7, vcc, 0, v3, vcc
	v_add_co_u32_e32 v2, vcc, 0x2000, v2
	v_mov_b32_e32 v1, 0
	v_addc_co_u32_e32 v3, vcc, 0, v3, vcc
	s_or_b64 s[0:1], s[0:1], exec
	flat_store_dwordx2 v[6:7], v[22:23]
	flat_store_dwordx2 v[6:7], v[24:25] offset:512
	flat_store_dwordx2 v[6:7], v[26:27] offset:1024
	;; [unrolled: 1-line block ×7, first 2 shown]
	flat_store_dwordx2 v[2:3], v[38:39]
	flat_store_dwordx2 v[2:3], v[40:41] offset:512
	flat_store_dwordx2 v[2:3], v[42:43] offset:1024
	;; [unrolled: 1-line block ×3, first 2 shown]
.LBB1334_252:
	s_and_saveexec_b64 s[2:3], s[0:1]
	s_cbranch_execnz .LBB1334_254
; %bb.253:
	s_endpgm
.LBB1334_254:
	v_lshlrev_b64 v[0:1], 3, v[0:1]
	v_mov_b32_e32 v2, s5
	v_add_co_u32_e32 v0, vcc, s4, v0
	v_addc_co_u32_e32 v1, vcc, v2, v1, vcc
	v_add_co_u32_e32 v0, vcc, 0x2000, v0
	v_addc_co_u32_e32 v1, vcc, 0, v1, vcc
	flat_store_dwordx2 v[0:1], v[4:5] offset:2048
	s_endpgm
.LBB1334_255:
	v_lshlrev_b32_e32 v2, 3, v0
	v_mov_b32_e32 v3, s62
	v_add_co_u32_e32 v2, vcc, s7, v2
	v_addc_co_u32_e32 v3, vcc, 0, v3, vcc
	flat_load_dwordx2 v[2:3], v[2:3]
	s_or_b64 exec, exec, s[54:55]
                                        ; implicit-def: $vgpr6_vgpr7
	s_and_saveexec_b64 s[2:3], s[4:5]
	s_cbranch_execz .LBB1334_51
.LBB1334_256:
	v_lshlrev_b32_e32 v6, 3, v0
	v_mov_b32_e32 v7, s62
	v_add_co_u32_e32 v6, vcc, s7, v6
	v_addc_co_u32_e32 v7, vcc, 0, v7, vcc
	flat_load_dwordx2 v[6:7], v[6:7] offset:512
	s_or_b64 exec, exec, s[2:3]
                                        ; implicit-def: $vgpr10_vgpr11
	s_and_saveexec_b64 s[2:3], s[46:47]
	s_cbranch_execz .LBB1334_52
.LBB1334_257:
	v_lshlrev_b32_e32 v10, 3, v0
	v_mov_b32_e32 v11, s62
	v_add_co_u32_e32 v10, vcc, s7, v10
	v_addc_co_u32_e32 v11, vcc, 0, v11, vcc
	flat_load_dwordx2 v[10:11], v[10:11] offset:1024
	s_or_b64 exec, exec, s[2:3]
                                        ; implicit-def: $vgpr14_vgpr15
	s_and_saveexec_b64 s[2:3], s[8:9]
	s_cbranch_execz .LBB1334_53
.LBB1334_258:
	v_lshlrev_b32_e32 v14, 3, v0
	v_mov_b32_e32 v15, s62
	v_add_co_u32_e32 v14, vcc, s7, v14
	v_addc_co_u32_e32 v15, vcc, 0, v15, vcc
	flat_load_dwordx2 v[14:15], v[14:15] offset:1536
	s_or_b64 exec, exec, s[2:3]
                                        ; implicit-def: $vgpr18_vgpr19
	s_and_saveexec_b64 s[2:3], s[10:11]
	s_cbranch_execz .LBB1334_54
.LBB1334_259:
	v_lshlrev_b32_e32 v18, 3, v0
	v_mov_b32_e32 v19, s62
	v_add_co_u32_e32 v18, vcc, s7, v18
	v_addc_co_u32_e32 v19, vcc, 0, v19, vcc
	flat_load_dwordx2 v[18:19], v[18:19] offset:2048
	s_or_b64 exec, exec, s[2:3]
                                        ; implicit-def: $vgpr20_vgpr21
	s_and_saveexec_b64 s[2:3], s[12:13]
	s_cbranch_execz .LBB1334_55
.LBB1334_260:
	v_lshlrev_b32_e32 v20, 3, v0
	v_mov_b32_e32 v21, s62
	v_add_co_u32_e32 v20, vcc, s7, v20
	v_addc_co_u32_e32 v21, vcc, 0, v21, vcc
	flat_load_dwordx2 v[20:21], v[20:21] offset:2560
	s_or_b64 exec, exec, s[2:3]
                                        ; implicit-def: $vgpr22_vgpr23
	s_and_saveexec_b64 s[2:3], s[14:15]
	s_cbranch_execz .LBB1334_56
.LBB1334_261:
	v_lshlrev_b32_e32 v22, 3, v0
	v_mov_b32_e32 v23, s62
	v_add_co_u32_e32 v22, vcc, s7, v22
	v_addc_co_u32_e32 v23, vcc, 0, v23, vcc
	flat_load_dwordx2 v[22:23], v[22:23] offset:3072
	s_or_b64 exec, exec, s[2:3]
                                        ; implicit-def: $vgpr26_vgpr27
	s_and_saveexec_b64 s[2:3], s[16:17]
	s_cbranch_execz .LBB1334_57
.LBB1334_262:
	v_lshlrev_b32_e32 v26, 3, v0
	v_mov_b32_e32 v27, s62
	v_add_co_u32_e32 v26, vcc, s7, v26
	v_addc_co_u32_e32 v27, vcc, 0, v27, vcc
	flat_load_dwordx2 v[26:27], v[26:27] offset:3584
	s_or_b64 exec, exec, s[2:3]
                                        ; implicit-def: $vgpr30_vgpr31
	s_and_saveexec_b64 s[2:3], s[18:19]
	s_cbranch_execz .LBB1334_58
.LBB1334_263:
	v_lshlrev_b32_e32 v1, 3, v1
	v_mov_b32_e32 v31, s62
	v_add_co_u32_e32 v30, vcc, s7, v1
	v_addc_co_u32_e32 v31, vcc, 0, v31, vcc
	flat_load_dwordx2 v[30:31], v[30:31]
	s_or_b64 exec, exec, s[2:3]
                                        ; implicit-def: $vgpr34_vgpr35
	s_and_saveexec_b64 s[2:3], s[20:21]
	s_cbranch_execz .LBB1334_59
.LBB1334_264:
	v_lshlrev_b32_e32 v1, 3, v38
	v_mov_b32_e32 v35, s62
	v_add_co_u32_e32 v34, vcc, s7, v1
	v_addc_co_u32_e32 v35, vcc, 0, v35, vcc
	flat_load_dwordx2 v[34:35], v[34:35]
	s_or_b64 exec, exec, s[2:3]
                                        ; implicit-def: $vgpr38_vgpr39
	s_and_saveexec_b64 s[2:3], s[22:23]
	s_cbranch_execz .LBB1334_60
.LBB1334_265:
	v_lshlrev_b32_e32 v1, 3, v42
	v_mov_b32_e32 v39, s62
	v_add_co_u32_e32 v38, vcc, s7, v1
	v_addc_co_u32_e32 v39, vcc, 0, v39, vcc
	flat_load_dwordx2 v[38:39], v[38:39]
	s_or_b64 exec, exec, s[2:3]
                                        ; implicit-def: $vgpr42_vgpr43
	s_and_saveexec_b64 s[2:3], s[24:25]
	s_cbranch_execz .LBB1334_61
.LBB1334_266:
	v_lshlrev_b32_e32 v1, 3, v46
	v_mov_b32_e32 v43, s62
	v_add_co_u32_e32 v42, vcc, s7, v1
	v_addc_co_u32_e32 v43, vcc, 0, v43, vcc
	flat_load_dwordx2 v[42:43], v[42:43]
	s_or_b64 exec, exec, s[2:3]
                                        ; implicit-def: $vgpr46_vgpr47
	s_and_saveexec_b64 s[2:3], s[26:27]
	s_cbranch_execz .LBB1334_62
.LBB1334_267:
	v_lshlrev_b32_e32 v1, 3, v48
	v_mov_b32_e32 v47, s62
	v_add_co_u32_e32 v46, vcc, s7, v1
	v_addc_co_u32_e32 v47, vcc, 0, v47, vcc
	flat_load_dwordx2 v[46:47], v[46:47]
	s_or_b64 exec, exec, s[2:3]
                                        ; implicit-def: $vgpr48_vgpr49
	s_and_saveexec_b64 s[2:3], s[28:29]
	s_cbranch_execz .LBB1334_63
.LBB1334_268:
	v_lshlrev_b32_e32 v1, 3, v50
	v_mov_b32_e32 v49, s62
	v_add_co_u32_e32 v48, vcc, s7, v1
	v_addc_co_u32_e32 v49, vcc, 0, v49, vcc
	flat_load_dwordx2 v[48:49], v[48:49]
	s_or_b64 exec, exec, s[2:3]
                                        ; implicit-def: $vgpr50_vgpr51
	s_and_saveexec_b64 s[2:3], s[30:31]
	s_cbranch_execz .LBB1334_64
.LBB1334_269:
	v_lshlrev_b32_e32 v1, 3, v52
	v_mov_b32_e32 v51, s62
	v_add_co_u32_e32 v50, vcc, s7, v1
	v_addc_co_u32_e32 v51, vcc, 0, v51, vcc
	flat_load_dwordx2 v[50:51], v[50:51]
	s_or_b64 exec, exec, s[2:3]
                                        ; implicit-def: $vgpr52_vgpr53
	s_and_saveexec_b64 s[2:3], s[34:35]
	s_cbranch_execz .LBB1334_65
.LBB1334_270:
	v_lshlrev_b32_e32 v1, 3, v54
	v_mov_b32_e32 v53, s62
	v_add_co_u32_e32 v52, vcc, s7, v1
	v_addc_co_u32_e32 v53, vcc, 0, v53, vcc
	flat_load_dwordx2 v[52:53], v[52:53]
	s_or_b64 exec, exec, s[2:3]
                                        ; implicit-def: $vgpr54_vgpr55
	s_and_saveexec_b64 s[2:3], s[36:37]
	s_cbranch_execz .LBB1334_66
.LBB1334_271:
	v_lshlrev_b32_e32 v1, 3, v56
	v_mov_b32_e32 v55, s62
	v_add_co_u32_e32 v54, vcc, s7, v1
	v_addc_co_u32_e32 v55, vcc, 0, v55, vcc
	flat_load_dwordx2 v[54:55], v[54:55]
	s_or_b64 exec, exec, s[2:3]
                                        ; implicit-def: $vgpr56_vgpr57
	s_and_saveexec_b64 s[2:3], s[38:39]
	s_cbranch_execz .LBB1334_67
.LBB1334_272:
	v_lshlrev_b32_e32 v1, 3, v58
	v_mov_b32_e32 v57, s62
	v_add_co_u32_e32 v56, vcc, s7, v1
	v_addc_co_u32_e32 v57, vcc, 0, v57, vcc
	flat_load_dwordx2 v[56:57], v[56:57]
	s_or_b64 exec, exec, s[2:3]
                                        ; implicit-def: $vgpr58_vgpr59
	s_and_saveexec_b64 s[2:3], s[40:41]
	s_cbranch_execz .LBB1334_68
.LBB1334_273:
	v_lshlrev_b32_e32 v1, 3, v60
	v_mov_b32_e32 v59, s62
	v_add_co_u32_e32 v58, vcc, s7, v1
	v_addc_co_u32_e32 v59, vcc, 0, v59, vcc
	flat_load_dwordx2 v[58:59], v[58:59]
	s_or_b64 exec, exec, s[2:3]
                                        ; implicit-def: $vgpr60_vgpr61
	s_and_saveexec_b64 s[2:3], s[42:43]
	s_cbranch_execz .LBB1334_69
.LBB1334_274:
	v_lshlrev_b32_e32 v1, 3, v62
	v_mov_b32_e32 v61, s62
	v_add_co_u32_e32 v60, vcc, s7, v1
	v_addc_co_u32_e32 v61, vcc, 0, v61, vcc
	flat_load_dwordx2 v[60:61], v[60:61]
	s_or_b64 exec, exec, s[2:3]
                                        ; implicit-def: $vgpr62_vgpr63
	s_and_saveexec_b64 s[2:3], s[44:45]
	s_cbranch_execnz .LBB1334_70
	s_branch .LBB1334_71
.LBB1334_275:
                                        ; implicit-def: $sgpr54_sgpr55
	s_branch .LBB1334_46
.LBB1334_276:
                                        ; implicit-def: $sgpr2_sgpr3
	s_branch .LBB1334_116
	.section	.rodata,"a",@progbits
	.p2align	6, 0x0
	.amdhsa_kernel _ZN7rocprim17ROCPRIM_400000_NS6detail17trampoline_kernelINS0_14default_configENS1_27scan_by_key_config_selectorIixEEZZNS1_16scan_by_key_implILNS1_25lookback_scan_determinismE0ELb0ES3_N6thrust23THRUST_200600_302600_NS6detail15normal_iteratorINS9_10device_ptrIiEEEENSB_INSC_IxEEEESG_xNS9_4plusIvEENS9_8equal_toIvEExEE10hipError_tPvRmT2_T3_T4_T5_mT6_T7_P12ihipStream_tbENKUlT_T0_E_clISt17integral_constantIbLb1EES10_IbLb0EEEEDaSW_SX_EUlSW_E_NS1_11comp_targetILNS1_3genE4ELNS1_11target_archE910ELNS1_3gpuE8ELNS1_3repE0EEENS1_30default_config_static_selectorELNS0_4arch9wavefront6targetE1EEEvT1_
		.amdhsa_group_segment_fixed_size 10752
		.amdhsa_private_segment_fixed_size 0
		.amdhsa_kernarg_size 136
		.amdhsa_user_sgpr_count 6
		.amdhsa_user_sgpr_private_segment_buffer 1
		.amdhsa_user_sgpr_dispatch_ptr 0
		.amdhsa_user_sgpr_queue_ptr 0
		.amdhsa_user_sgpr_kernarg_segment_ptr 1
		.amdhsa_user_sgpr_dispatch_id 0
		.amdhsa_user_sgpr_flat_scratch_init 0
		.amdhsa_user_sgpr_kernarg_preload_length 0
		.amdhsa_user_sgpr_kernarg_preload_offset 0
		.amdhsa_user_sgpr_private_segment_size 0
		.amdhsa_uses_dynamic_stack 0
		.amdhsa_system_sgpr_private_segment_wavefront_offset 0
		.amdhsa_system_sgpr_workgroup_id_x 1
		.amdhsa_system_sgpr_workgroup_id_y 0
		.amdhsa_system_sgpr_workgroup_id_z 0
		.amdhsa_system_sgpr_workgroup_info 0
		.amdhsa_system_vgpr_workitem_id 0
		.amdhsa_next_free_vgpr 132
		.amdhsa_next_free_sgpr 96
		.amdhsa_accum_offset 132
		.amdhsa_reserve_vcc 1
		.amdhsa_reserve_flat_scratch 0
		.amdhsa_float_round_mode_32 0
		.amdhsa_float_round_mode_16_64 0
		.amdhsa_float_denorm_mode_32 3
		.amdhsa_float_denorm_mode_16_64 3
		.amdhsa_dx10_clamp 1
		.amdhsa_ieee_mode 1
		.amdhsa_fp16_overflow 0
		.amdhsa_tg_split 0
		.amdhsa_exception_fp_ieee_invalid_op 0
		.amdhsa_exception_fp_denorm_src 0
		.amdhsa_exception_fp_ieee_div_zero 0
		.amdhsa_exception_fp_ieee_overflow 0
		.amdhsa_exception_fp_ieee_underflow 0
		.amdhsa_exception_fp_ieee_inexact 0
		.amdhsa_exception_int_div_zero 0
	.end_amdhsa_kernel
	.section	.text._ZN7rocprim17ROCPRIM_400000_NS6detail17trampoline_kernelINS0_14default_configENS1_27scan_by_key_config_selectorIixEEZZNS1_16scan_by_key_implILNS1_25lookback_scan_determinismE0ELb0ES3_N6thrust23THRUST_200600_302600_NS6detail15normal_iteratorINS9_10device_ptrIiEEEENSB_INSC_IxEEEESG_xNS9_4plusIvEENS9_8equal_toIvEExEE10hipError_tPvRmT2_T3_T4_T5_mT6_T7_P12ihipStream_tbENKUlT_T0_E_clISt17integral_constantIbLb1EES10_IbLb0EEEEDaSW_SX_EUlSW_E_NS1_11comp_targetILNS1_3genE4ELNS1_11target_archE910ELNS1_3gpuE8ELNS1_3repE0EEENS1_30default_config_static_selectorELNS0_4arch9wavefront6targetE1EEEvT1_,"axG",@progbits,_ZN7rocprim17ROCPRIM_400000_NS6detail17trampoline_kernelINS0_14default_configENS1_27scan_by_key_config_selectorIixEEZZNS1_16scan_by_key_implILNS1_25lookback_scan_determinismE0ELb0ES3_N6thrust23THRUST_200600_302600_NS6detail15normal_iteratorINS9_10device_ptrIiEEEENSB_INSC_IxEEEESG_xNS9_4plusIvEENS9_8equal_toIvEExEE10hipError_tPvRmT2_T3_T4_T5_mT6_T7_P12ihipStream_tbENKUlT_T0_E_clISt17integral_constantIbLb1EES10_IbLb0EEEEDaSW_SX_EUlSW_E_NS1_11comp_targetILNS1_3genE4ELNS1_11target_archE910ELNS1_3gpuE8ELNS1_3repE0EEENS1_30default_config_static_selectorELNS0_4arch9wavefront6targetE1EEEvT1_,comdat
.Lfunc_end1334:
	.size	_ZN7rocprim17ROCPRIM_400000_NS6detail17trampoline_kernelINS0_14default_configENS1_27scan_by_key_config_selectorIixEEZZNS1_16scan_by_key_implILNS1_25lookback_scan_determinismE0ELb0ES3_N6thrust23THRUST_200600_302600_NS6detail15normal_iteratorINS9_10device_ptrIiEEEENSB_INSC_IxEEEESG_xNS9_4plusIvEENS9_8equal_toIvEExEE10hipError_tPvRmT2_T3_T4_T5_mT6_T7_P12ihipStream_tbENKUlT_T0_E_clISt17integral_constantIbLb1EES10_IbLb0EEEEDaSW_SX_EUlSW_E_NS1_11comp_targetILNS1_3genE4ELNS1_11target_archE910ELNS1_3gpuE8ELNS1_3repE0EEENS1_30default_config_static_selectorELNS0_4arch9wavefront6targetE1EEEvT1_, .Lfunc_end1334-_ZN7rocprim17ROCPRIM_400000_NS6detail17trampoline_kernelINS0_14default_configENS1_27scan_by_key_config_selectorIixEEZZNS1_16scan_by_key_implILNS1_25lookback_scan_determinismE0ELb0ES3_N6thrust23THRUST_200600_302600_NS6detail15normal_iteratorINS9_10device_ptrIiEEEENSB_INSC_IxEEEESG_xNS9_4plusIvEENS9_8equal_toIvEExEE10hipError_tPvRmT2_T3_T4_T5_mT6_T7_P12ihipStream_tbENKUlT_T0_E_clISt17integral_constantIbLb1EES10_IbLb0EEEEDaSW_SX_EUlSW_E_NS1_11comp_targetILNS1_3genE4ELNS1_11target_archE910ELNS1_3gpuE8ELNS1_3repE0EEENS1_30default_config_static_selectorELNS0_4arch9wavefront6targetE1EEEvT1_
                                        ; -- End function
	.section	.AMDGPU.csdata,"",@progbits
; Kernel info:
; codeLenInByte = 16932
; NumSgprs: 100
; NumVgprs: 132
; NumAgprs: 0
; TotalNumVgprs: 132
; ScratchSize: 0
; MemoryBound: 0
; FloatMode: 240
; IeeeMode: 1
; LDSByteSize: 10752 bytes/workgroup (compile time only)
; SGPRBlocks: 12
; VGPRBlocks: 16
; NumSGPRsForWavesPerEU: 100
; NumVGPRsForWavesPerEU: 132
; AccumOffset: 132
; Occupancy: 2
; WaveLimiterHint : 1
; COMPUTE_PGM_RSRC2:SCRATCH_EN: 0
; COMPUTE_PGM_RSRC2:USER_SGPR: 6
; COMPUTE_PGM_RSRC2:TRAP_HANDLER: 0
; COMPUTE_PGM_RSRC2:TGID_X_EN: 1
; COMPUTE_PGM_RSRC2:TGID_Y_EN: 0
; COMPUTE_PGM_RSRC2:TGID_Z_EN: 0
; COMPUTE_PGM_RSRC2:TIDIG_COMP_CNT: 0
; COMPUTE_PGM_RSRC3_GFX90A:ACCUM_OFFSET: 32
; COMPUTE_PGM_RSRC3_GFX90A:TG_SPLIT: 0
	.section	.text._ZN7rocprim17ROCPRIM_400000_NS6detail17trampoline_kernelINS0_14default_configENS1_27scan_by_key_config_selectorIixEEZZNS1_16scan_by_key_implILNS1_25lookback_scan_determinismE0ELb0ES3_N6thrust23THRUST_200600_302600_NS6detail15normal_iteratorINS9_10device_ptrIiEEEENSB_INSC_IxEEEESG_xNS9_4plusIvEENS9_8equal_toIvEExEE10hipError_tPvRmT2_T3_T4_T5_mT6_T7_P12ihipStream_tbENKUlT_T0_E_clISt17integral_constantIbLb1EES10_IbLb0EEEEDaSW_SX_EUlSW_E_NS1_11comp_targetILNS1_3genE3ELNS1_11target_archE908ELNS1_3gpuE7ELNS1_3repE0EEENS1_30default_config_static_selectorELNS0_4arch9wavefront6targetE1EEEvT1_,"axG",@progbits,_ZN7rocprim17ROCPRIM_400000_NS6detail17trampoline_kernelINS0_14default_configENS1_27scan_by_key_config_selectorIixEEZZNS1_16scan_by_key_implILNS1_25lookback_scan_determinismE0ELb0ES3_N6thrust23THRUST_200600_302600_NS6detail15normal_iteratorINS9_10device_ptrIiEEEENSB_INSC_IxEEEESG_xNS9_4plusIvEENS9_8equal_toIvEExEE10hipError_tPvRmT2_T3_T4_T5_mT6_T7_P12ihipStream_tbENKUlT_T0_E_clISt17integral_constantIbLb1EES10_IbLb0EEEEDaSW_SX_EUlSW_E_NS1_11comp_targetILNS1_3genE3ELNS1_11target_archE908ELNS1_3gpuE7ELNS1_3repE0EEENS1_30default_config_static_selectorELNS0_4arch9wavefront6targetE1EEEvT1_,comdat
	.protected	_ZN7rocprim17ROCPRIM_400000_NS6detail17trampoline_kernelINS0_14default_configENS1_27scan_by_key_config_selectorIixEEZZNS1_16scan_by_key_implILNS1_25lookback_scan_determinismE0ELb0ES3_N6thrust23THRUST_200600_302600_NS6detail15normal_iteratorINS9_10device_ptrIiEEEENSB_INSC_IxEEEESG_xNS9_4plusIvEENS9_8equal_toIvEExEE10hipError_tPvRmT2_T3_T4_T5_mT6_T7_P12ihipStream_tbENKUlT_T0_E_clISt17integral_constantIbLb1EES10_IbLb0EEEEDaSW_SX_EUlSW_E_NS1_11comp_targetILNS1_3genE3ELNS1_11target_archE908ELNS1_3gpuE7ELNS1_3repE0EEENS1_30default_config_static_selectorELNS0_4arch9wavefront6targetE1EEEvT1_ ; -- Begin function _ZN7rocprim17ROCPRIM_400000_NS6detail17trampoline_kernelINS0_14default_configENS1_27scan_by_key_config_selectorIixEEZZNS1_16scan_by_key_implILNS1_25lookback_scan_determinismE0ELb0ES3_N6thrust23THRUST_200600_302600_NS6detail15normal_iteratorINS9_10device_ptrIiEEEENSB_INSC_IxEEEESG_xNS9_4plusIvEENS9_8equal_toIvEExEE10hipError_tPvRmT2_T3_T4_T5_mT6_T7_P12ihipStream_tbENKUlT_T0_E_clISt17integral_constantIbLb1EES10_IbLb0EEEEDaSW_SX_EUlSW_E_NS1_11comp_targetILNS1_3genE3ELNS1_11target_archE908ELNS1_3gpuE7ELNS1_3repE0EEENS1_30default_config_static_selectorELNS0_4arch9wavefront6targetE1EEEvT1_
	.globl	_ZN7rocprim17ROCPRIM_400000_NS6detail17trampoline_kernelINS0_14default_configENS1_27scan_by_key_config_selectorIixEEZZNS1_16scan_by_key_implILNS1_25lookback_scan_determinismE0ELb0ES3_N6thrust23THRUST_200600_302600_NS6detail15normal_iteratorINS9_10device_ptrIiEEEENSB_INSC_IxEEEESG_xNS9_4plusIvEENS9_8equal_toIvEExEE10hipError_tPvRmT2_T3_T4_T5_mT6_T7_P12ihipStream_tbENKUlT_T0_E_clISt17integral_constantIbLb1EES10_IbLb0EEEEDaSW_SX_EUlSW_E_NS1_11comp_targetILNS1_3genE3ELNS1_11target_archE908ELNS1_3gpuE7ELNS1_3repE0EEENS1_30default_config_static_selectorELNS0_4arch9wavefront6targetE1EEEvT1_
	.p2align	8
	.type	_ZN7rocprim17ROCPRIM_400000_NS6detail17trampoline_kernelINS0_14default_configENS1_27scan_by_key_config_selectorIixEEZZNS1_16scan_by_key_implILNS1_25lookback_scan_determinismE0ELb0ES3_N6thrust23THRUST_200600_302600_NS6detail15normal_iteratorINS9_10device_ptrIiEEEENSB_INSC_IxEEEESG_xNS9_4plusIvEENS9_8equal_toIvEExEE10hipError_tPvRmT2_T3_T4_T5_mT6_T7_P12ihipStream_tbENKUlT_T0_E_clISt17integral_constantIbLb1EES10_IbLb0EEEEDaSW_SX_EUlSW_E_NS1_11comp_targetILNS1_3genE3ELNS1_11target_archE908ELNS1_3gpuE7ELNS1_3repE0EEENS1_30default_config_static_selectorELNS0_4arch9wavefront6targetE1EEEvT1_,@function
_ZN7rocprim17ROCPRIM_400000_NS6detail17trampoline_kernelINS0_14default_configENS1_27scan_by_key_config_selectorIixEEZZNS1_16scan_by_key_implILNS1_25lookback_scan_determinismE0ELb0ES3_N6thrust23THRUST_200600_302600_NS6detail15normal_iteratorINS9_10device_ptrIiEEEENSB_INSC_IxEEEESG_xNS9_4plusIvEENS9_8equal_toIvEExEE10hipError_tPvRmT2_T3_T4_T5_mT6_T7_P12ihipStream_tbENKUlT_T0_E_clISt17integral_constantIbLb1EES10_IbLb0EEEEDaSW_SX_EUlSW_E_NS1_11comp_targetILNS1_3genE3ELNS1_11target_archE908ELNS1_3gpuE7ELNS1_3repE0EEENS1_30default_config_static_selectorELNS0_4arch9wavefront6targetE1EEEvT1_: ; @_ZN7rocprim17ROCPRIM_400000_NS6detail17trampoline_kernelINS0_14default_configENS1_27scan_by_key_config_selectorIixEEZZNS1_16scan_by_key_implILNS1_25lookback_scan_determinismE0ELb0ES3_N6thrust23THRUST_200600_302600_NS6detail15normal_iteratorINS9_10device_ptrIiEEEENSB_INSC_IxEEEESG_xNS9_4plusIvEENS9_8equal_toIvEExEE10hipError_tPvRmT2_T3_T4_T5_mT6_T7_P12ihipStream_tbENKUlT_T0_E_clISt17integral_constantIbLb1EES10_IbLb0EEEEDaSW_SX_EUlSW_E_NS1_11comp_targetILNS1_3genE3ELNS1_11target_archE908ELNS1_3gpuE7ELNS1_3repE0EEENS1_30default_config_static_selectorELNS0_4arch9wavefront6targetE1EEEvT1_
; %bb.0:
	.section	.rodata,"a",@progbits
	.p2align	6, 0x0
	.amdhsa_kernel _ZN7rocprim17ROCPRIM_400000_NS6detail17trampoline_kernelINS0_14default_configENS1_27scan_by_key_config_selectorIixEEZZNS1_16scan_by_key_implILNS1_25lookback_scan_determinismE0ELb0ES3_N6thrust23THRUST_200600_302600_NS6detail15normal_iteratorINS9_10device_ptrIiEEEENSB_INSC_IxEEEESG_xNS9_4plusIvEENS9_8equal_toIvEExEE10hipError_tPvRmT2_T3_T4_T5_mT6_T7_P12ihipStream_tbENKUlT_T0_E_clISt17integral_constantIbLb1EES10_IbLb0EEEEDaSW_SX_EUlSW_E_NS1_11comp_targetILNS1_3genE3ELNS1_11target_archE908ELNS1_3gpuE7ELNS1_3repE0EEENS1_30default_config_static_selectorELNS0_4arch9wavefront6targetE1EEEvT1_
		.amdhsa_group_segment_fixed_size 0
		.amdhsa_private_segment_fixed_size 0
		.amdhsa_kernarg_size 136
		.amdhsa_user_sgpr_count 6
		.amdhsa_user_sgpr_private_segment_buffer 1
		.amdhsa_user_sgpr_dispatch_ptr 0
		.amdhsa_user_sgpr_queue_ptr 0
		.amdhsa_user_sgpr_kernarg_segment_ptr 1
		.amdhsa_user_sgpr_dispatch_id 0
		.amdhsa_user_sgpr_flat_scratch_init 0
		.amdhsa_user_sgpr_kernarg_preload_length 0
		.amdhsa_user_sgpr_kernarg_preload_offset 0
		.amdhsa_user_sgpr_private_segment_size 0
		.amdhsa_uses_dynamic_stack 0
		.amdhsa_system_sgpr_private_segment_wavefront_offset 0
		.amdhsa_system_sgpr_workgroup_id_x 1
		.amdhsa_system_sgpr_workgroup_id_y 0
		.amdhsa_system_sgpr_workgroup_id_z 0
		.amdhsa_system_sgpr_workgroup_info 0
		.amdhsa_system_vgpr_workitem_id 0
		.amdhsa_next_free_vgpr 1
		.amdhsa_next_free_sgpr 0
		.amdhsa_accum_offset 4
		.amdhsa_reserve_vcc 0
		.amdhsa_reserve_flat_scratch 0
		.amdhsa_float_round_mode_32 0
		.amdhsa_float_round_mode_16_64 0
		.amdhsa_float_denorm_mode_32 3
		.amdhsa_float_denorm_mode_16_64 3
		.amdhsa_dx10_clamp 1
		.amdhsa_ieee_mode 1
		.amdhsa_fp16_overflow 0
		.amdhsa_tg_split 0
		.amdhsa_exception_fp_ieee_invalid_op 0
		.amdhsa_exception_fp_denorm_src 0
		.amdhsa_exception_fp_ieee_div_zero 0
		.amdhsa_exception_fp_ieee_overflow 0
		.amdhsa_exception_fp_ieee_underflow 0
		.amdhsa_exception_fp_ieee_inexact 0
		.amdhsa_exception_int_div_zero 0
	.end_amdhsa_kernel
	.section	.text._ZN7rocprim17ROCPRIM_400000_NS6detail17trampoline_kernelINS0_14default_configENS1_27scan_by_key_config_selectorIixEEZZNS1_16scan_by_key_implILNS1_25lookback_scan_determinismE0ELb0ES3_N6thrust23THRUST_200600_302600_NS6detail15normal_iteratorINS9_10device_ptrIiEEEENSB_INSC_IxEEEESG_xNS9_4plusIvEENS9_8equal_toIvEExEE10hipError_tPvRmT2_T3_T4_T5_mT6_T7_P12ihipStream_tbENKUlT_T0_E_clISt17integral_constantIbLb1EES10_IbLb0EEEEDaSW_SX_EUlSW_E_NS1_11comp_targetILNS1_3genE3ELNS1_11target_archE908ELNS1_3gpuE7ELNS1_3repE0EEENS1_30default_config_static_selectorELNS0_4arch9wavefront6targetE1EEEvT1_,"axG",@progbits,_ZN7rocprim17ROCPRIM_400000_NS6detail17trampoline_kernelINS0_14default_configENS1_27scan_by_key_config_selectorIixEEZZNS1_16scan_by_key_implILNS1_25lookback_scan_determinismE0ELb0ES3_N6thrust23THRUST_200600_302600_NS6detail15normal_iteratorINS9_10device_ptrIiEEEENSB_INSC_IxEEEESG_xNS9_4plusIvEENS9_8equal_toIvEExEE10hipError_tPvRmT2_T3_T4_T5_mT6_T7_P12ihipStream_tbENKUlT_T0_E_clISt17integral_constantIbLb1EES10_IbLb0EEEEDaSW_SX_EUlSW_E_NS1_11comp_targetILNS1_3genE3ELNS1_11target_archE908ELNS1_3gpuE7ELNS1_3repE0EEENS1_30default_config_static_selectorELNS0_4arch9wavefront6targetE1EEEvT1_,comdat
.Lfunc_end1335:
	.size	_ZN7rocprim17ROCPRIM_400000_NS6detail17trampoline_kernelINS0_14default_configENS1_27scan_by_key_config_selectorIixEEZZNS1_16scan_by_key_implILNS1_25lookback_scan_determinismE0ELb0ES3_N6thrust23THRUST_200600_302600_NS6detail15normal_iteratorINS9_10device_ptrIiEEEENSB_INSC_IxEEEESG_xNS9_4plusIvEENS9_8equal_toIvEExEE10hipError_tPvRmT2_T3_T4_T5_mT6_T7_P12ihipStream_tbENKUlT_T0_E_clISt17integral_constantIbLb1EES10_IbLb0EEEEDaSW_SX_EUlSW_E_NS1_11comp_targetILNS1_3genE3ELNS1_11target_archE908ELNS1_3gpuE7ELNS1_3repE0EEENS1_30default_config_static_selectorELNS0_4arch9wavefront6targetE1EEEvT1_, .Lfunc_end1335-_ZN7rocprim17ROCPRIM_400000_NS6detail17trampoline_kernelINS0_14default_configENS1_27scan_by_key_config_selectorIixEEZZNS1_16scan_by_key_implILNS1_25lookback_scan_determinismE0ELb0ES3_N6thrust23THRUST_200600_302600_NS6detail15normal_iteratorINS9_10device_ptrIiEEEENSB_INSC_IxEEEESG_xNS9_4plusIvEENS9_8equal_toIvEExEE10hipError_tPvRmT2_T3_T4_T5_mT6_T7_P12ihipStream_tbENKUlT_T0_E_clISt17integral_constantIbLb1EES10_IbLb0EEEEDaSW_SX_EUlSW_E_NS1_11comp_targetILNS1_3genE3ELNS1_11target_archE908ELNS1_3gpuE7ELNS1_3repE0EEENS1_30default_config_static_selectorELNS0_4arch9wavefront6targetE1EEEvT1_
                                        ; -- End function
	.section	.AMDGPU.csdata,"",@progbits
; Kernel info:
; codeLenInByte = 0
; NumSgprs: 4
; NumVgprs: 0
; NumAgprs: 0
; TotalNumVgprs: 0
; ScratchSize: 0
; MemoryBound: 0
; FloatMode: 240
; IeeeMode: 1
; LDSByteSize: 0 bytes/workgroup (compile time only)
; SGPRBlocks: 0
; VGPRBlocks: 0
; NumSGPRsForWavesPerEU: 4
; NumVGPRsForWavesPerEU: 1
; AccumOffset: 4
; Occupancy: 8
; WaveLimiterHint : 0
; COMPUTE_PGM_RSRC2:SCRATCH_EN: 0
; COMPUTE_PGM_RSRC2:USER_SGPR: 6
; COMPUTE_PGM_RSRC2:TRAP_HANDLER: 0
; COMPUTE_PGM_RSRC2:TGID_X_EN: 1
; COMPUTE_PGM_RSRC2:TGID_Y_EN: 0
; COMPUTE_PGM_RSRC2:TGID_Z_EN: 0
; COMPUTE_PGM_RSRC2:TIDIG_COMP_CNT: 0
; COMPUTE_PGM_RSRC3_GFX90A:ACCUM_OFFSET: 0
; COMPUTE_PGM_RSRC3_GFX90A:TG_SPLIT: 0
	.section	.text._ZN7rocprim17ROCPRIM_400000_NS6detail17trampoline_kernelINS0_14default_configENS1_27scan_by_key_config_selectorIixEEZZNS1_16scan_by_key_implILNS1_25lookback_scan_determinismE0ELb0ES3_N6thrust23THRUST_200600_302600_NS6detail15normal_iteratorINS9_10device_ptrIiEEEENSB_INSC_IxEEEESG_xNS9_4plusIvEENS9_8equal_toIvEExEE10hipError_tPvRmT2_T3_T4_T5_mT6_T7_P12ihipStream_tbENKUlT_T0_E_clISt17integral_constantIbLb1EES10_IbLb0EEEEDaSW_SX_EUlSW_E_NS1_11comp_targetILNS1_3genE2ELNS1_11target_archE906ELNS1_3gpuE6ELNS1_3repE0EEENS1_30default_config_static_selectorELNS0_4arch9wavefront6targetE1EEEvT1_,"axG",@progbits,_ZN7rocprim17ROCPRIM_400000_NS6detail17trampoline_kernelINS0_14default_configENS1_27scan_by_key_config_selectorIixEEZZNS1_16scan_by_key_implILNS1_25lookback_scan_determinismE0ELb0ES3_N6thrust23THRUST_200600_302600_NS6detail15normal_iteratorINS9_10device_ptrIiEEEENSB_INSC_IxEEEESG_xNS9_4plusIvEENS9_8equal_toIvEExEE10hipError_tPvRmT2_T3_T4_T5_mT6_T7_P12ihipStream_tbENKUlT_T0_E_clISt17integral_constantIbLb1EES10_IbLb0EEEEDaSW_SX_EUlSW_E_NS1_11comp_targetILNS1_3genE2ELNS1_11target_archE906ELNS1_3gpuE6ELNS1_3repE0EEENS1_30default_config_static_selectorELNS0_4arch9wavefront6targetE1EEEvT1_,comdat
	.protected	_ZN7rocprim17ROCPRIM_400000_NS6detail17trampoline_kernelINS0_14default_configENS1_27scan_by_key_config_selectorIixEEZZNS1_16scan_by_key_implILNS1_25lookback_scan_determinismE0ELb0ES3_N6thrust23THRUST_200600_302600_NS6detail15normal_iteratorINS9_10device_ptrIiEEEENSB_INSC_IxEEEESG_xNS9_4plusIvEENS9_8equal_toIvEExEE10hipError_tPvRmT2_T3_T4_T5_mT6_T7_P12ihipStream_tbENKUlT_T0_E_clISt17integral_constantIbLb1EES10_IbLb0EEEEDaSW_SX_EUlSW_E_NS1_11comp_targetILNS1_3genE2ELNS1_11target_archE906ELNS1_3gpuE6ELNS1_3repE0EEENS1_30default_config_static_selectorELNS0_4arch9wavefront6targetE1EEEvT1_ ; -- Begin function _ZN7rocprim17ROCPRIM_400000_NS6detail17trampoline_kernelINS0_14default_configENS1_27scan_by_key_config_selectorIixEEZZNS1_16scan_by_key_implILNS1_25lookback_scan_determinismE0ELb0ES3_N6thrust23THRUST_200600_302600_NS6detail15normal_iteratorINS9_10device_ptrIiEEEENSB_INSC_IxEEEESG_xNS9_4plusIvEENS9_8equal_toIvEExEE10hipError_tPvRmT2_T3_T4_T5_mT6_T7_P12ihipStream_tbENKUlT_T0_E_clISt17integral_constantIbLb1EES10_IbLb0EEEEDaSW_SX_EUlSW_E_NS1_11comp_targetILNS1_3genE2ELNS1_11target_archE906ELNS1_3gpuE6ELNS1_3repE0EEENS1_30default_config_static_selectorELNS0_4arch9wavefront6targetE1EEEvT1_
	.globl	_ZN7rocprim17ROCPRIM_400000_NS6detail17trampoline_kernelINS0_14default_configENS1_27scan_by_key_config_selectorIixEEZZNS1_16scan_by_key_implILNS1_25lookback_scan_determinismE0ELb0ES3_N6thrust23THRUST_200600_302600_NS6detail15normal_iteratorINS9_10device_ptrIiEEEENSB_INSC_IxEEEESG_xNS9_4plusIvEENS9_8equal_toIvEExEE10hipError_tPvRmT2_T3_T4_T5_mT6_T7_P12ihipStream_tbENKUlT_T0_E_clISt17integral_constantIbLb1EES10_IbLb0EEEEDaSW_SX_EUlSW_E_NS1_11comp_targetILNS1_3genE2ELNS1_11target_archE906ELNS1_3gpuE6ELNS1_3repE0EEENS1_30default_config_static_selectorELNS0_4arch9wavefront6targetE1EEEvT1_
	.p2align	8
	.type	_ZN7rocprim17ROCPRIM_400000_NS6detail17trampoline_kernelINS0_14default_configENS1_27scan_by_key_config_selectorIixEEZZNS1_16scan_by_key_implILNS1_25lookback_scan_determinismE0ELb0ES3_N6thrust23THRUST_200600_302600_NS6detail15normal_iteratorINS9_10device_ptrIiEEEENSB_INSC_IxEEEESG_xNS9_4plusIvEENS9_8equal_toIvEExEE10hipError_tPvRmT2_T3_T4_T5_mT6_T7_P12ihipStream_tbENKUlT_T0_E_clISt17integral_constantIbLb1EES10_IbLb0EEEEDaSW_SX_EUlSW_E_NS1_11comp_targetILNS1_3genE2ELNS1_11target_archE906ELNS1_3gpuE6ELNS1_3repE0EEENS1_30default_config_static_selectorELNS0_4arch9wavefront6targetE1EEEvT1_,@function
_ZN7rocprim17ROCPRIM_400000_NS6detail17trampoline_kernelINS0_14default_configENS1_27scan_by_key_config_selectorIixEEZZNS1_16scan_by_key_implILNS1_25lookback_scan_determinismE0ELb0ES3_N6thrust23THRUST_200600_302600_NS6detail15normal_iteratorINS9_10device_ptrIiEEEENSB_INSC_IxEEEESG_xNS9_4plusIvEENS9_8equal_toIvEExEE10hipError_tPvRmT2_T3_T4_T5_mT6_T7_P12ihipStream_tbENKUlT_T0_E_clISt17integral_constantIbLb1EES10_IbLb0EEEEDaSW_SX_EUlSW_E_NS1_11comp_targetILNS1_3genE2ELNS1_11target_archE906ELNS1_3gpuE6ELNS1_3repE0EEENS1_30default_config_static_selectorELNS0_4arch9wavefront6targetE1EEEvT1_: ; @_ZN7rocprim17ROCPRIM_400000_NS6detail17trampoline_kernelINS0_14default_configENS1_27scan_by_key_config_selectorIixEEZZNS1_16scan_by_key_implILNS1_25lookback_scan_determinismE0ELb0ES3_N6thrust23THRUST_200600_302600_NS6detail15normal_iteratorINS9_10device_ptrIiEEEENSB_INSC_IxEEEESG_xNS9_4plusIvEENS9_8equal_toIvEExEE10hipError_tPvRmT2_T3_T4_T5_mT6_T7_P12ihipStream_tbENKUlT_T0_E_clISt17integral_constantIbLb1EES10_IbLb0EEEEDaSW_SX_EUlSW_E_NS1_11comp_targetILNS1_3genE2ELNS1_11target_archE906ELNS1_3gpuE6ELNS1_3repE0EEENS1_30default_config_static_selectorELNS0_4arch9wavefront6targetE1EEEvT1_
; %bb.0:
	.section	.rodata,"a",@progbits
	.p2align	6, 0x0
	.amdhsa_kernel _ZN7rocprim17ROCPRIM_400000_NS6detail17trampoline_kernelINS0_14default_configENS1_27scan_by_key_config_selectorIixEEZZNS1_16scan_by_key_implILNS1_25lookback_scan_determinismE0ELb0ES3_N6thrust23THRUST_200600_302600_NS6detail15normal_iteratorINS9_10device_ptrIiEEEENSB_INSC_IxEEEESG_xNS9_4plusIvEENS9_8equal_toIvEExEE10hipError_tPvRmT2_T3_T4_T5_mT6_T7_P12ihipStream_tbENKUlT_T0_E_clISt17integral_constantIbLb1EES10_IbLb0EEEEDaSW_SX_EUlSW_E_NS1_11comp_targetILNS1_3genE2ELNS1_11target_archE906ELNS1_3gpuE6ELNS1_3repE0EEENS1_30default_config_static_selectorELNS0_4arch9wavefront6targetE1EEEvT1_
		.amdhsa_group_segment_fixed_size 0
		.amdhsa_private_segment_fixed_size 0
		.amdhsa_kernarg_size 136
		.amdhsa_user_sgpr_count 6
		.amdhsa_user_sgpr_private_segment_buffer 1
		.amdhsa_user_sgpr_dispatch_ptr 0
		.amdhsa_user_sgpr_queue_ptr 0
		.amdhsa_user_sgpr_kernarg_segment_ptr 1
		.amdhsa_user_sgpr_dispatch_id 0
		.amdhsa_user_sgpr_flat_scratch_init 0
		.amdhsa_user_sgpr_kernarg_preload_length 0
		.amdhsa_user_sgpr_kernarg_preload_offset 0
		.amdhsa_user_sgpr_private_segment_size 0
		.amdhsa_uses_dynamic_stack 0
		.amdhsa_system_sgpr_private_segment_wavefront_offset 0
		.amdhsa_system_sgpr_workgroup_id_x 1
		.amdhsa_system_sgpr_workgroup_id_y 0
		.amdhsa_system_sgpr_workgroup_id_z 0
		.amdhsa_system_sgpr_workgroup_info 0
		.amdhsa_system_vgpr_workitem_id 0
		.amdhsa_next_free_vgpr 1
		.amdhsa_next_free_sgpr 0
		.amdhsa_accum_offset 4
		.amdhsa_reserve_vcc 0
		.amdhsa_reserve_flat_scratch 0
		.amdhsa_float_round_mode_32 0
		.amdhsa_float_round_mode_16_64 0
		.amdhsa_float_denorm_mode_32 3
		.amdhsa_float_denorm_mode_16_64 3
		.amdhsa_dx10_clamp 1
		.amdhsa_ieee_mode 1
		.amdhsa_fp16_overflow 0
		.amdhsa_tg_split 0
		.amdhsa_exception_fp_ieee_invalid_op 0
		.amdhsa_exception_fp_denorm_src 0
		.amdhsa_exception_fp_ieee_div_zero 0
		.amdhsa_exception_fp_ieee_overflow 0
		.amdhsa_exception_fp_ieee_underflow 0
		.amdhsa_exception_fp_ieee_inexact 0
		.amdhsa_exception_int_div_zero 0
	.end_amdhsa_kernel
	.section	.text._ZN7rocprim17ROCPRIM_400000_NS6detail17trampoline_kernelINS0_14default_configENS1_27scan_by_key_config_selectorIixEEZZNS1_16scan_by_key_implILNS1_25lookback_scan_determinismE0ELb0ES3_N6thrust23THRUST_200600_302600_NS6detail15normal_iteratorINS9_10device_ptrIiEEEENSB_INSC_IxEEEESG_xNS9_4plusIvEENS9_8equal_toIvEExEE10hipError_tPvRmT2_T3_T4_T5_mT6_T7_P12ihipStream_tbENKUlT_T0_E_clISt17integral_constantIbLb1EES10_IbLb0EEEEDaSW_SX_EUlSW_E_NS1_11comp_targetILNS1_3genE2ELNS1_11target_archE906ELNS1_3gpuE6ELNS1_3repE0EEENS1_30default_config_static_selectorELNS0_4arch9wavefront6targetE1EEEvT1_,"axG",@progbits,_ZN7rocprim17ROCPRIM_400000_NS6detail17trampoline_kernelINS0_14default_configENS1_27scan_by_key_config_selectorIixEEZZNS1_16scan_by_key_implILNS1_25lookback_scan_determinismE0ELb0ES3_N6thrust23THRUST_200600_302600_NS6detail15normal_iteratorINS9_10device_ptrIiEEEENSB_INSC_IxEEEESG_xNS9_4plusIvEENS9_8equal_toIvEExEE10hipError_tPvRmT2_T3_T4_T5_mT6_T7_P12ihipStream_tbENKUlT_T0_E_clISt17integral_constantIbLb1EES10_IbLb0EEEEDaSW_SX_EUlSW_E_NS1_11comp_targetILNS1_3genE2ELNS1_11target_archE906ELNS1_3gpuE6ELNS1_3repE0EEENS1_30default_config_static_selectorELNS0_4arch9wavefront6targetE1EEEvT1_,comdat
.Lfunc_end1336:
	.size	_ZN7rocprim17ROCPRIM_400000_NS6detail17trampoline_kernelINS0_14default_configENS1_27scan_by_key_config_selectorIixEEZZNS1_16scan_by_key_implILNS1_25lookback_scan_determinismE0ELb0ES3_N6thrust23THRUST_200600_302600_NS6detail15normal_iteratorINS9_10device_ptrIiEEEENSB_INSC_IxEEEESG_xNS9_4plusIvEENS9_8equal_toIvEExEE10hipError_tPvRmT2_T3_T4_T5_mT6_T7_P12ihipStream_tbENKUlT_T0_E_clISt17integral_constantIbLb1EES10_IbLb0EEEEDaSW_SX_EUlSW_E_NS1_11comp_targetILNS1_3genE2ELNS1_11target_archE906ELNS1_3gpuE6ELNS1_3repE0EEENS1_30default_config_static_selectorELNS0_4arch9wavefront6targetE1EEEvT1_, .Lfunc_end1336-_ZN7rocprim17ROCPRIM_400000_NS6detail17trampoline_kernelINS0_14default_configENS1_27scan_by_key_config_selectorIixEEZZNS1_16scan_by_key_implILNS1_25lookback_scan_determinismE0ELb0ES3_N6thrust23THRUST_200600_302600_NS6detail15normal_iteratorINS9_10device_ptrIiEEEENSB_INSC_IxEEEESG_xNS9_4plusIvEENS9_8equal_toIvEExEE10hipError_tPvRmT2_T3_T4_T5_mT6_T7_P12ihipStream_tbENKUlT_T0_E_clISt17integral_constantIbLb1EES10_IbLb0EEEEDaSW_SX_EUlSW_E_NS1_11comp_targetILNS1_3genE2ELNS1_11target_archE906ELNS1_3gpuE6ELNS1_3repE0EEENS1_30default_config_static_selectorELNS0_4arch9wavefront6targetE1EEEvT1_
                                        ; -- End function
	.section	.AMDGPU.csdata,"",@progbits
; Kernel info:
; codeLenInByte = 0
; NumSgprs: 4
; NumVgprs: 0
; NumAgprs: 0
; TotalNumVgprs: 0
; ScratchSize: 0
; MemoryBound: 0
; FloatMode: 240
; IeeeMode: 1
; LDSByteSize: 0 bytes/workgroup (compile time only)
; SGPRBlocks: 0
; VGPRBlocks: 0
; NumSGPRsForWavesPerEU: 4
; NumVGPRsForWavesPerEU: 1
; AccumOffset: 4
; Occupancy: 8
; WaveLimiterHint : 0
; COMPUTE_PGM_RSRC2:SCRATCH_EN: 0
; COMPUTE_PGM_RSRC2:USER_SGPR: 6
; COMPUTE_PGM_RSRC2:TRAP_HANDLER: 0
; COMPUTE_PGM_RSRC2:TGID_X_EN: 1
; COMPUTE_PGM_RSRC2:TGID_Y_EN: 0
; COMPUTE_PGM_RSRC2:TGID_Z_EN: 0
; COMPUTE_PGM_RSRC2:TIDIG_COMP_CNT: 0
; COMPUTE_PGM_RSRC3_GFX90A:ACCUM_OFFSET: 0
; COMPUTE_PGM_RSRC3_GFX90A:TG_SPLIT: 0
	.section	.text._ZN7rocprim17ROCPRIM_400000_NS6detail17trampoline_kernelINS0_14default_configENS1_27scan_by_key_config_selectorIixEEZZNS1_16scan_by_key_implILNS1_25lookback_scan_determinismE0ELb0ES3_N6thrust23THRUST_200600_302600_NS6detail15normal_iteratorINS9_10device_ptrIiEEEENSB_INSC_IxEEEESG_xNS9_4plusIvEENS9_8equal_toIvEExEE10hipError_tPvRmT2_T3_T4_T5_mT6_T7_P12ihipStream_tbENKUlT_T0_E_clISt17integral_constantIbLb1EES10_IbLb0EEEEDaSW_SX_EUlSW_E_NS1_11comp_targetILNS1_3genE10ELNS1_11target_archE1200ELNS1_3gpuE4ELNS1_3repE0EEENS1_30default_config_static_selectorELNS0_4arch9wavefront6targetE1EEEvT1_,"axG",@progbits,_ZN7rocprim17ROCPRIM_400000_NS6detail17trampoline_kernelINS0_14default_configENS1_27scan_by_key_config_selectorIixEEZZNS1_16scan_by_key_implILNS1_25lookback_scan_determinismE0ELb0ES3_N6thrust23THRUST_200600_302600_NS6detail15normal_iteratorINS9_10device_ptrIiEEEENSB_INSC_IxEEEESG_xNS9_4plusIvEENS9_8equal_toIvEExEE10hipError_tPvRmT2_T3_T4_T5_mT6_T7_P12ihipStream_tbENKUlT_T0_E_clISt17integral_constantIbLb1EES10_IbLb0EEEEDaSW_SX_EUlSW_E_NS1_11comp_targetILNS1_3genE10ELNS1_11target_archE1200ELNS1_3gpuE4ELNS1_3repE0EEENS1_30default_config_static_selectorELNS0_4arch9wavefront6targetE1EEEvT1_,comdat
	.protected	_ZN7rocprim17ROCPRIM_400000_NS6detail17trampoline_kernelINS0_14default_configENS1_27scan_by_key_config_selectorIixEEZZNS1_16scan_by_key_implILNS1_25lookback_scan_determinismE0ELb0ES3_N6thrust23THRUST_200600_302600_NS6detail15normal_iteratorINS9_10device_ptrIiEEEENSB_INSC_IxEEEESG_xNS9_4plusIvEENS9_8equal_toIvEExEE10hipError_tPvRmT2_T3_T4_T5_mT6_T7_P12ihipStream_tbENKUlT_T0_E_clISt17integral_constantIbLb1EES10_IbLb0EEEEDaSW_SX_EUlSW_E_NS1_11comp_targetILNS1_3genE10ELNS1_11target_archE1200ELNS1_3gpuE4ELNS1_3repE0EEENS1_30default_config_static_selectorELNS0_4arch9wavefront6targetE1EEEvT1_ ; -- Begin function _ZN7rocprim17ROCPRIM_400000_NS6detail17trampoline_kernelINS0_14default_configENS1_27scan_by_key_config_selectorIixEEZZNS1_16scan_by_key_implILNS1_25lookback_scan_determinismE0ELb0ES3_N6thrust23THRUST_200600_302600_NS6detail15normal_iteratorINS9_10device_ptrIiEEEENSB_INSC_IxEEEESG_xNS9_4plusIvEENS9_8equal_toIvEExEE10hipError_tPvRmT2_T3_T4_T5_mT6_T7_P12ihipStream_tbENKUlT_T0_E_clISt17integral_constantIbLb1EES10_IbLb0EEEEDaSW_SX_EUlSW_E_NS1_11comp_targetILNS1_3genE10ELNS1_11target_archE1200ELNS1_3gpuE4ELNS1_3repE0EEENS1_30default_config_static_selectorELNS0_4arch9wavefront6targetE1EEEvT1_
	.globl	_ZN7rocprim17ROCPRIM_400000_NS6detail17trampoline_kernelINS0_14default_configENS1_27scan_by_key_config_selectorIixEEZZNS1_16scan_by_key_implILNS1_25lookback_scan_determinismE0ELb0ES3_N6thrust23THRUST_200600_302600_NS6detail15normal_iteratorINS9_10device_ptrIiEEEENSB_INSC_IxEEEESG_xNS9_4plusIvEENS9_8equal_toIvEExEE10hipError_tPvRmT2_T3_T4_T5_mT6_T7_P12ihipStream_tbENKUlT_T0_E_clISt17integral_constantIbLb1EES10_IbLb0EEEEDaSW_SX_EUlSW_E_NS1_11comp_targetILNS1_3genE10ELNS1_11target_archE1200ELNS1_3gpuE4ELNS1_3repE0EEENS1_30default_config_static_selectorELNS0_4arch9wavefront6targetE1EEEvT1_
	.p2align	8
	.type	_ZN7rocprim17ROCPRIM_400000_NS6detail17trampoline_kernelINS0_14default_configENS1_27scan_by_key_config_selectorIixEEZZNS1_16scan_by_key_implILNS1_25lookback_scan_determinismE0ELb0ES3_N6thrust23THRUST_200600_302600_NS6detail15normal_iteratorINS9_10device_ptrIiEEEENSB_INSC_IxEEEESG_xNS9_4plusIvEENS9_8equal_toIvEExEE10hipError_tPvRmT2_T3_T4_T5_mT6_T7_P12ihipStream_tbENKUlT_T0_E_clISt17integral_constantIbLb1EES10_IbLb0EEEEDaSW_SX_EUlSW_E_NS1_11comp_targetILNS1_3genE10ELNS1_11target_archE1200ELNS1_3gpuE4ELNS1_3repE0EEENS1_30default_config_static_selectorELNS0_4arch9wavefront6targetE1EEEvT1_,@function
_ZN7rocprim17ROCPRIM_400000_NS6detail17trampoline_kernelINS0_14default_configENS1_27scan_by_key_config_selectorIixEEZZNS1_16scan_by_key_implILNS1_25lookback_scan_determinismE0ELb0ES3_N6thrust23THRUST_200600_302600_NS6detail15normal_iteratorINS9_10device_ptrIiEEEENSB_INSC_IxEEEESG_xNS9_4plusIvEENS9_8equal_toIvEExEE10hipError_tPvRmT2_T3_T4_T5_mT6_T7_P12ihipStream_tbENKUlT_T0_E_clISt17integral_constantIbLb1EES10_IbLb0EEEEDaSW_SX_EUlSW_E_NS1_11comp_targetILNS1_3genE10ELNS1_11target_archE1200ELNS1_3gpuE4ELNS1_3repE0EEENS1_30default_config_static_selectorELNS0_4arch9wavefront6targetE1EEEvT1_: ; @_ZN7rocprim17ROCPRIM_400000_NS6detail17trampoline_kernelINS0_14default_configENS1_27scan_by_key_config_selectorIixEEZZNS1_16scan_by_key_implILNS1_25lookback_scan_determinismE0ELb0ES3_N6thrust23THRUST_200600_302600_NS6detail15normal_iteratorINS9_10device_ptrIiEEEENSB_INSC_IxEEEESG_xNS9_4plusIvEENS9_8equal_toIvEExEE10hipError_tPvRmT2_T3_T4_T5_mT6_T7_P12ihipStream_tbENKUlT_T0_E_clISt17integral_constantIbLb1EES10_IbLb0EEEEDaSW_SX_EUlSW_E_NS1_11comp_targetILNS1_3genE10ELNS1_11target_archE1200ELNS1_3gpuE4ELNS1_3repE0EEENS1_30default_config_static_selectorELNS0_4arch9wavefront6targetE1EEEvT1_
; %bb.0:
	.section	.rodata,"a",@progbits
	.p2align	6, 0x0
	.amdhsa_kernel _ZN7rocprim17ROCPRIM_400000_NS6detail17trampoline_kernelINS0_14default_configENS1_27scan_by_key_config_selectorIixEEZZNS1_16scan_by_key_implILNS1_25lookback_scan_determinismE0ELb0ES3_N6thrust23THRUST_200600_302600_NS6detail15normal_iteratorINS9_10device_ptrIiEEEENSB_INSC_IxEEEESG_xNS9_4plusIvEENS9_8equal_toIvEExEE10hipError_tPvRmT2_T3_T4_T5_mT6_T7_P12ihipStream_tbENKUlT_T0_E_clISt17integral_constantIbLb1EES10_IbLb0EEEEDaSW_SX_EUlSW_E_NS1_11comp_targetILNS1_3genE10ELNS1_11target_archE1200ELNS1_3gpuE4ELNS1_3repE0EEENS1_30default_config_static_selectorELNS0_4arch9wavefront6targetE1EEEvT1_
		.amdhsa_group_segment_fixed_size 0
		.amdhsa_private_segment_fixed_size 0
		.amdhsa_kernarg_size 136
		.amdhsa_user_sgpr_count 6
		.amdhsa_user_sgpr_private_segment_buffer 1
		.amdhsa_user_sgpr_dispatch_ptr 0
		.amdhsa_user_sgpr_queue_ptr 0
		.amdhsa_user_sgpr_kernarg_segment_ptr 1
		.amdhsa_user_sgpr_dispatch_id 0
		.amdhsa_user_sgpr_flat_scratch_init 0
		.amdhsa_user_sgpr_kernarg_preload_length 0
		.amdhsa_user_sgpr_kernarg_preload_offset 0
		.amdhsa_user_sgpr_private_segment_size 0
		.amdhsa_uses_dynamic_stack 0
		.amdhsa_system_sgpr_private_segment_wavefront_offset 0
		.amdhsa_system_sgpr_workgroup_id_x 1
		.amdhsa_system_sgpr_workgroup_id_y 0
		.amdhsa_system_sgpr_workgroup_id_z 0
		.amdhsa_system_sgpr_workgroup_info 0
		.amdhsa_system_vgpr_workitem_id 0
		.amdhsa_next_free_vgpr 1
		.amdhsa_next_free_sgpr 0
		.amdhsa_accum_offset 4
		.amdhsa_reserve_vcc 0
		.amdhsa_reserve_flat_scratch 0
		.amdhsa_float_round_mode_32 0
		.amdhsa_float_round_mode_16_64 0
		.amdhsa_float_denorm_mode_32 3
		.amdhsa_float_denorm_mode_16_64 3
		.amdhsa_dx10_clamp 1
		.amdhsa_ieee_mode 1
		.amdhsa_fp16_overflow 0
		.amdhsa_tg_split 0
		.amdhsa_exception_fp_ieee_invalid_op 0
		.amdhsa_exception_fp_denorm_src 0
		.amdhsa_exception_fp_ieee_div_zero 0
		.amdhsa_exception_fp_ieee_overflow 0
		.amdhsa_exception_fp_ieee_underflow 0
		.amdhsa_exception_fp_ieee_inexact 0
		.amdhsa_exception_int_div_zero 0
	.end_amdhsa_kernel
	.section	.text._ZN7rocprim17ROCPRIM_400000_NS6detail17trampoline_kernelINS0_14default_configENS1_27scan_by_key_config_selectorIixEEZZNS1_16scan_by_key_implILNS1_25lookback_scan_determinismE0ELb0ES3_N6thrust23THRUST_200600_302600_NS6detail15normal_iteratorINS9_10device_ptrIiEEEENSB_INSC_IxEEEESG_xNS9_4plusIvEENS9_8equal_toIvEExEE10hipError_tPvRmT2_T3_T4_T5_mT6_T7_P12ihipStream_tbENKUlT_T0_E_clISt17integral_constantIbLb1EES10_IbLb0EEEEDaSW_SX_EUlSW_E_NS1_11comp_targetILNS1_3genE10ELNS1_11target_archE1200ELNS1_3gpuE4ELNS1_3repE0EEENS1_30default_config_static_selectorELNS0_4arch9wavefront6targetE1EEEvT1_,"axG",@progbits,_ZN7rocprim17ROCPRIM_400000_NS6detail17trampoline_kernelINS0_14default_configENS1_27scan_by_key_config_selectorIixEEZZNS1_16scan_by_key_implILNS1_25lookback_scan_determinismE0ELb0ES3_N6thrust23THRUST_200600_302600_NS6detail15normal_iteratorINS9_10device_ptrIiEEEENSB_INSC_IxEEEESG_xNS9_4plusIvEENS9_8equal_toIvEExEE10hipError_tPvRmT2_T3_T4_T5_mT6_T7_P12ihipStream_tbENKUlT_T0_E_clISt17integral_constantIbLb1EES10_IbLb0EEEEDaSW_SX_EUlSW_E_NS1_11comp_targetILNS1_3genE10ELNS1_11target_archE1200ELNS1_3gpuE4ELNS1_3repE0EEENS1_30default_config_static_selectorELNS0_4arch9wavefront6targetE1EEEvT1_,comdat
.Lfunc_end1337:
	.size	_ZN7rocprim17ROCPRIM_400000_NS6detail17trampoline_kernelINS0_14default_configENS1_27scan_by_key_config_selectorIixEEZZNS1_16scan_by_key_implILNS1_25lookback_scan_determinismE0ELb0ES3_N6thrust23THRUST_200600_302600_NS6detail15normal_iteratorINS9_10device_ptrIiEEEENSB_INSC_IxEEEESG_xNS9_4plusIvEENS9_8equal_toIvEExEE10hipError_tPvRmT2_T3_T4_T5_mT6_T7_P12ihipStream_tbENKUlT_T0_E_clISt17integral_constantIbLb1EES10_IbLb0EEEEDaSW_SX_EUlSW_E_NS1_11comp_targetILNS1_3genE10ELNS1_11target_archE1200ELNS1_3gpuE4ELNS1_3repE0EEENS1_30default_config_static_selectorELNS0_4arch9wavefront6targetE1EEEvT1_, .Lfunc_end1337-_ZN7rocprim17ROCPRIM_400000_NS6detail17trampoline_kernelINS0_14default_configENS1_27scan_by_key_config_selectorIixEEZZNS1_16scan_by_key_implILNS1_25lookback_scan_determinismE0ELb0ES3_N6thrust23THRUST_200600_302600_NS6detail15normal_iteratorINS9_10device_ptrIiEEEENSB_INSC_IxEEEESG_xNS9_4plusIvEENS9_8equal_toIvEExEE10hipError_tPvRmT2_T3_T4_T5_mT6_T7_P12ihipStream_tbENKUlT_T0_E_clISt17integral_constantIbLb1EES10_IbLb0EEEEDaSW_SX_EUlSW_E_NS1_11comp_targetILNS1_3genE10ELNS1_11target_archE1200ELNS1_3gpuE4ELNS1_3repE0EEENS1_30default_config_static_selectorELNS0_4arch9wavefront6targetE1EEEvT1_
                                        ; -- End function
	.section	.AMDGPU.csdata,"",@progbits
; Kernel info:
; codeLenInByte = 0
; NumSgprs: 4
; NumVgprs: 0
; NumAgprs: 0
; TotalNumVgprs: 0
; ScratchSize: 0
; MemoryBound: 0
; FloatMode: 240
; IeeeMode: 1
; LDSByteSize: 0 bytes/workgroup (compile time only)
; SGPRBlocks: 0
; VGPRBlocks: 0
; NumSGPRsForWavesPerEU: 4
; NumVGPRsForWavesPerEU: 1
; AccumOffset: 4
; Occupancy: 8
; WaveLimiterHint : 0
; COMPUTE_PGM_RSRC2:SCRATCH_EN: 0
; COMPUTE_PGM_RSRC2:USER_SGPR: 6
; COMPUTE_PGM_RSRC2:TRAP_HANDLER: 0
; COMPUTE_PGM_RSRC2:TGID_X_EN: 1
; COMPUTE_PGM_RSRC2:TGID_Y_EN: 0
; COMPUTE_PGM_RSRC2:TGID_Z_EN: 0
; COMPUTE_PGM_RSRC2:TIDIG_COMP_CNT: 0
; COMPUTE_PGM_RSRC3_GFX90A:ACCUM_OFFSET: 0
; COMPUTE_PGM_RSRC3_GFX90A:TG_SPLIT: 0
	.section	.text._ZN7rocprim17ROCPRIM_400000_NS6detail17trampoline_kernelINS0_14default_configENS1_27scan_by_key_config_selectorIixEEZZNS1_16scan_by_key_implILNS1_25lookback_scan_determinismE0ELb0ES3_N6thrust23THRUST_200600_302600_NS6detail15normal_iteratorINS9_10device_ptrIiEEEENSB_INSC_IxEEEESG_xNS9_4plusIvEENS9_8equal_toIvEExEE10hipError_tPvRmT2_T3_T4_T5_mT6_T7_P12ihipStream_tbENKUlT_T0_E_clISt17integral_constantIbLb1EES10_IbLb0EEEEDaSW_SX_EUlSW_E_NS1_11comp_targetILNS1_3genE9ELNS1_11target_archE1100ELNS1_3gpuE3ELNS1_3repE0EEENS1_30default_config_static_selectorELNS0_4arch9wavefront6targetE1EEEvT1_,"axG",@progbits,_ZN7rocprim17ROCPRIM_400000_NS6detail17trampoline_kernelINS0_14default_configENS1_27scan_by_key_config_selectorIixEEZZNS1_16scan_by_key_implILNS1_25lookback_scan_determinismE0ELb0ES3_N6thrust23THRUST_200600_302600_NS6detail15normal_iteratorINS9_10device_ptrIiEEEENSB_INSC_IxEEEESG_xNS9_4plusIvEENS9_8equal_toIvEExEE10hipError_tPvRmT2_T3_T4_T5_mT6_T7_P12ihipStream_tbENKUlT_T0_E_clISt17integral_constantIbLb1EES10_IbLb0EEEEDaSW_SX_EUlSW_E_NS1_11comp_targetILNS1_3genE9ELNS1_11target_archE1100ELNS1_3gpuE3ELNS1_3repE0EEENS1_30default_config_static_selectorELNS0_4arch9wavefront6targetE1EEEvT1_,comdat
	.protected	_ZN7rocprim17ROCPRIM_400000_NS6detail17trampoline_kernelINS0_14default_configENS1_27scan_by_key_config_selectorIixEEZZNS1_16scan_by_key_implILNS1_25lookback_scan_determinismE0ELb0ES3_N6thrust23THRUST_200600_302600_NS6detail15normal_iteratorINS9_10device_ptrIiEEEENSB_INSC_IxEEEESG_xNS9_4plusIvEENS9_8equal_toIvEExEE10hipError_tPvRmT2_T3_T4_T5_mT6_T7_P12ihipStream_tbENKUlT_T0_E_clISt17integral_constantIbLb1EES10_IbLb0EEEEDaSW_SX_EUlSW_E_NS1_11comp_targetILNS1_3genE9ELNS1_11target_archE1100ELNS1_3gpuE3ELNS1_3repE0EEENS1_30default_config_static_selectorELNS0_4arch9wavefront6targetE1EEEvT1_ ; -- Begin function _ZN7rocprim17ROCPRIM_400000_NS6detail17trampoline_kernelINS0_14default_configENS1_27scan_by_key_config_selectorIixEEZZNS1_16scan_by_key_implILNS1_25lookback_scan_determinismE0ELb0ES3_N6thrust23THRUST_200600_302600_NS6detail15normal_iteratorINS9_10device_ptrIiEEEENSB_INSC_IxEEEESG_xNS9_4plusIvEENS9_8equal_toIvEExEE10hipError_tPvRmT2_T3_T4_T5_mT6_T7_P12ihipStream_tbENKUlT_T0_E_clISt17integral_constantIbLb1EES10_IbLb0EEEEDaSW_SX_EUlSW_E_NS1_11comp_targetILNS1_3genE9ELNS1_11target_archE1100ELNS1_3gpuE3ELNS1_3repE0EEENS1_30default_config_static_selectorELNS0_4arch9wavefront6targetE1EEEvT1_
	.globl	_ZN7rocprim17ROCPRIM_400000_NS6detail17trampoline_kernelINS0_14default_configENS1_27scan_by_key_config_selectorIixEEZZNS1_16scan_by_key_implILNS1_25lookback_scan_determinismE0ELb0ES3_N6thrust23THRUST_200600_302600_NS6detail15normal_iteratorINS9_10device_ptrIiEEEENSB_INSC_IxEEEESG_xNS9_4plusIvEENS9_8equal_toIvEExEE10hipError_tPvRmT2_T3_T4_T5_mT6_T7_P12ihipStream_tbENKUlT_T0_E_clISt17integral_constantIbLb1EES10_IbLb0EEEEDaSW_SX_EUlSW_E_NS1_11comp_targetILNS1_3genE9ELNS1_11target_archE1100ELNS1_3gpuE3ELNS1_3repE0EEENS1_30default_config_static_selectorELNS0_4arch9wavefront6targetE1EEEvT1_
	.p2align	8
	.type	_ZN7rocprim17ROCPRIM_400000_NS6detail17trampoline_kernelINS0_14default_configENS1_27scan_by_key_config_selectorIixEEZZNS1_16scan_by_key_implILNS1_25lookback_scan_determinismE0ELb0ES3_N6thrust23THRUST_200600_302600_NS6detail15normal_iteratorINS9_10device_ptrIiEEEENSB_INSC_IxEEEESG_xNS9_4plusIvEENS9_8equal_toIvEExEE10hipError_tPvRmT2_T3_T4_T5_mT6_T7_P12ihipStream_tbENKUlT_T0_E_clISt17integral_constantIbLb1EES10_IbLb0EEEEDaSW_SX_EUlSW_E_NS1_11comp_targetILNS1_3genE9ELNS1_11target_archE1100ELNS1_3gpuE3ELNS1_3repE0EEENS1_30default_config_static_selectorELNS0_4arch9wavefront6targetE1EEEvT1_,@function
_ZN7rocprim17ROCPRIM_400000_NS6detail17trampoline_kernelINS0_14default_configENS1_27scan_by_key_config_selectorIixEEZZNS1_16scan_by_key_implILNS1_25lookback_scan_determinismE0ELb0ES3_N6thrust23THRUST_200600_302600_NS6detail15normal_iteratorINS9_10device_ptrIiEEEENSB_INSC_IxEEEESG_xNS9_4plusIvEENS9_8equal_toIvEExEE10hipError_tPvRmT2_T3_T4_T5_mT6_T7_P12ihipStream_tbENKUlT_T0_E_clISt17integral_constantIbLb1EES10_IbLb0EEEEDaSW_SX_EUlSW_E_NS1_11comp_targetILNS1_3genE9ELNS1_11target_archE1100ELNS1_3gpuE3ELNS1_3repE0EEENS1_30default_config_static_selectorELNS0_4arch9wavefront6targetE1EEEvT1_: ; @_ZN7rocprim17ROCPRIM_400000_NS6detail17trampoline_kernelINS0_14default_configENS1_27scan_by_key_config_selectorIixEEZZNS1_16scan_by_key_implILNS1_25lookback_scan_determinismE0ELb0ES3_N6thrust23THRUST_200600_302600_NS6detail15normal_iteratorINS9_10device_ptrIiEEEENSB_INSC_IxEEEESG_xNS9_4plusIvEENS9_8equal_toIvEExEE10hipError_tPvRmT2_T3_T4_T5_mT6_T7_P12ihipStream_tbENKUlT_T0_E_clISt17integral_constantIbLb1EES10_IbLb0EEEEDaSW_SX_EUlSW_E_NS1_11comp_targetILNS1_3genE9ELNS1_11target_archE1100ELNS1_3gpuE3ELNS1_3repE0EEENS1_30default_config_static_selectorELNS0_4arch9wavefront6targetE1EEEvT1_
; %bb.0:
	.section	.rodata,"a",@progbits
	.p2align	6, 0x0
	.amdhsa_kernel _ZN7rocprim17ROCPRIM_400000_NS6detail17trampoline_kernelINS0_14default_configENS1_27scan_by_key_config_selectorIixEEZZNS1_16scan_by_key_implILNS1_25lookback_scan_determinismE0ELb0ES3_N6thrust23THRUST_200600_302600_NS6detail15normal_iteratorINS9_10device_ptrIiEEEENSB_INSC_IxEEEESG_xNS9_4plusIvEENS9_8equal_toIvEExEE10hipError_tPvRmT2_T3_T4_T5_mT6_T7_P12ihipStream_tbENKUlT_T0_E_clISt17integral_constantIbLb1EES10_IbLb0EEEEDaSW_SX_EUlSW_E_NS1_11comp_targetILNS1_3genE9ELNS1_11target_archE1100ELNS1_3gpuE3ELNS1_3repE0EEENS1_30default_config_static_selectorELNS0_4arch9wavefront6targetE1EEEvT1_
		.amdhsa_group_segment_fixed_size 0
		.amdhsa_private_segment_fixed_size 0
		.amdhsa_kernarg_size 136
		.amdhsa_user_sgpr_count 6
		.amdhsa_user_sgpr_private_segment_buffer 1
		.amdhsa_user_sgpr_dispatch_ptr 0
		.amdhsa_user_sgpr_queue_ptr 0
		.amdhsa_user_sgpr_kernarg_segment_ptr 1
		.amdhsa_user_sgpr_dispatch_id 0
		.amdhsa_user_sgpr_flat_scratch_init 0
		.amdhsa_user_sgpr_kernarg_preload_length 0
		.amdhsa_user_sgpr_kernarg_preload_offset 0
		.amdhsa_user_sgpr_private_segment_size 0
		.amdhsa_uses_dynamic_stack 0
		.amdhsa_system_sgpr_private_segment_wavefront_offset 0
		.amdhsa_system_sgpr_workgroup_id_x 1
		.amdhsa_system_sgpr_workgroup_id_y 0
		.amdhsa_system_sgpr_workgroup_id_z 0
		.amdhsa_system_sgpr_workgroup_info 0
		.amdhsa_system_vgpr_workitem_id 0
		.amdhsa_next_free_vgpr 1
		.amdhsa_next_free_sgpr 0
		.amdhsa_accum_offset 4
		.amdhsa_reserve_vcc 0
		.amdhsa_reserve_flat_scratch 0
		.amdhsa_float_round_mode_32 0
		.amdhsa_float_round_mode_16_64 0
		.amdhsa_float_denorm_mode_32 3
		.amdhsa_float_denorm_mode_16_64 3
		.amdhsa_dx10_clamp 1
		.amdhsa_ieee_mode 1
		.amdhsa_fp16_overflow 0
		.amdhsa_tg_split 0
		.amdhsa_exception_fp_ieee_invalid_op 0
		.amdhsa_exception_fp_denorm_src 0
		.amdhsa_exception_fp_ieee_div_zero 0
		.amdhsa_exception_fp_ieee_overflow 0
		.amdhsa_exception_fp_ieee_underflow 0
		.amdhsa_exception_fp_ieee_inexact 0
		.amdhsa_exception_int_div_zero 0
	.end_amdhsa_kernel
	.section	.text._ZN7rocprim17ROCPRIM_400000_NS6detail17trampoline_kernelINS0_14default_configENS1_27scan_by_key_config_selectorIixEEZZNS1_16scan_by_key_implILNS1_25lookback_scan_determinismE0ELb0ES3_N6thrust23THRUST_200600_302600_NS6detail15normal_iteratorINS9_10device_ptrIiEEEENSB_INSC_IxEEEESG_xNS9_4plusIvEENS9_8equal_toIvEExEE10hipError_tPvRmT2_T3_T4_T5_mT6_T7_P12ihipStream_tbENKUlT_T0_E_clISt17integral_constantIbLb1EES10_IbLb0EEEEDaSW_SX_EUlSW_E_NS1_11comp_targetILNS1_3genE9ELNS1_11target_archE1100ELNS1_3gpuE3ELNS1_3repE0EEENS1_30default_config_static_selectorELNS0_4arch9wavefront6targetE1EEEvT1_,"axG",@progbits,_ZN7rocprim17ROCPRIM_400000_NS6detail17trampoline_kernelINS0_14default_configENS1_27scan_by_key_config_selectorIixEEZZNS1_16scan_by_key_implILNS1_25lookback_scan_determinismE0ELb0ES3_N6thrust23THRUST_200600_302600_NS6detail15normal_iteratorINS9_10device_ptrIiEEEENSB_INSC_IxEEEESG_xNS9_4plusIvEENS9_8equal_toIvEExEE10hipError_tPvRmT2_T3_T4_T5_mT6_T7_P12ihipStream_tbENKUlT_T0_E_clISt17integral_constantIbLb1EES10_IbLb0EEEEDaSW_SX_EUlSW_E_NS1_11comp_targetILNS1_3genE9ELNS1_11target_archE1100ELNS1_3gpuE3ELNS1_3repE0EEENS1_30default_config_static_selectorELNS0_4arch9wavefront6targetE1EEEvT1_,comdat
.Lfunc_end1338:
	.size	_ZN7rocprim17ROCPRIM_400000_NS6detail17trampoline_kernelINS0_14default_configENS1_27scan_by_key_config_selectorIixEEZZNS1_16scan_by_key_implILNS1_25lookback_scan_determinismE0ELb0ES3_N6thrust23THRUST_200600_302600_NS6detail15normal_iteratorINS9_10device_ptrIiEEEENSB_INSC_IxEEEESG_xNS9_4plusIvEENS9_8equal_toIvEExEE10hipError_tPvRmT2_T3_T4_T5_mT6_T7_P12ihipStream_tbENKUlT_T0_E_clISt17integral_constantIbLb1EES10_IbLb0EEEEDaSW_SX_EUlSW_E_NS1_11comp_targetILNS1_3genE9ELNS1_11target_archE1100ELNS1_3gpuE3ELNS1_3repE0EEENS1_30default_config_static_selectorELNS0_4arch9wavefront6targetE1EEEvT1_, .Lfunc_end1338-_ZN7rocprim17ROCPRIM_400000_NS6detail17trampoline_kernelINS0_14default_configENS1_27scan_by_key_config_selectorIixEEZZNS1_16scan_by_key_implILNS1_25lookback_scan_determinismE0ELb0ES3_N6thrust23THRUST_200600_302600_NS6detail15normal_iteratorINS9_10device_ptrIiEEEENSB_INSC_IxEEEESG_xNS9_4plusIvEENS9_8equal_toIvEExEE10hipError_tPvRmT2_T3_T4_T5_mT6_T7_P12ihipStream_tbENKUlT_T0_E_clISt17integral_constantIbLb1EES10_IbLb0EEEEDaSW_SX_EUlSW_E_NS1_11comp_targetILNS1_3genE9ELNS1_11target_archE1100ELNS1_3gpuE3ELNS1_3repE0EEENS1_30default_config_static_selectorELNS0_4arch9wavefront6targetE1EEEvT1_
                                        ; -- End function
	.section	.AMDGPU.csdata,"",@progbits
; Kernel info:
; codeLenInByte = 0
; NumSgprs: 4
; NumVgprs: 0
; NumAgprs: 0
; TotalNumVgprs: 0
; ScratchSize: 0
; MemoryBound: 0
; FloatMode: 240
; IeeeMode: 1
; LDSByteSize: 0 bytes/workgroup (compile time only)
; SGPRBlocks: 0
; VGPRBlocks: 0
; NumSGPRsForWavesPerEU: 4
; NumVGPRsForWavesPerEU: 1
; AccumOffset: 4
; Occupancy: 8
; WaveLimiterHint : 0
; COMPUTE_PGM_RSRC2:SCRATCH_EN: 0
; COMPUTE_PGM_RSRC2:USER_SGPR: 6
; COMPUTE_PGM_RSRC2:TRAP_HANDLER: 0
; COMPUTE_PGM_RSRC2:TGID_X_EN: 1
; COMPUTE_PGM_RSRC2:TGID_Y_EN: 0
; COMPUTE_PGM_RSRC2:TGID_Z_EN: 0
; COMPUTE_PGM_RSRC2:TIDIG_COMP_CNT: 0
; COMPUTE_PGM_RSRC3_GFX90A:ACCUM_OFFSET: 0
; COMPUTE_PGM_RSRC3_GFX90A:TG_SPLIT: 0
	.section	.text._ZN7rocprim17ROCPRIM_400000_NS6detail17trampoline_kernelINS0_14default_configENS1_27scan_by_key_config_selectorIixEEZZNS1_16scan_by_key_implILNS1_25lookback_scan_determinismE0ELb0ES3_N6thrust23THRUST_200600_302600_NS6detail15normal_iteratorINS9_10device_ptrIiEEEENSB_INSC_IxEEEESG_xNS9_4plusIvEENS9_8equal_toIvEExEE10hipError_tPvRmT2_T3_T4_T5_mT6_T7_P12ihipStream_tbENKUlT_T0_E_clISt17integral_constantIbLb1EES10_IbLb0EEEEDaSW_SX_EUlSW_E_NS1_11comp_targetILNS1_3genE8ELNS1_11target_archE1030ELNS1_3gpuE2ELNS1_3repE0EEENS1_30default_config_static_selectorELNS0_4arch9wavefront6targetE1EEEvT1_,"axG",@progbits,_ZN7rocprim17ROCPRIM_400000_NS6detail17trampoline_kernelINS0_14default_configENS1_27scan_by_key_config_selectorIixEEZZNS1_16scan_by_key_implILNS1_25lookback_scan_determinismE0ELb0ES3_N6thrust23THRUST_200600_302600_NS6detail15normal_iteratorINS9_10device_ptrIiEEEENSB_INSC_IxEEEESG_xNS9_4plusIvEENS9_8equal_toIvEExEE10hipError_tPvRmT2_T3_T4_T5_mT6_T7_P12ihipStream_tbENKUlT_T0_E_clISt17integral_constantIbLb1EES10_IbLb0EEEEDaSW_SX_EUlSW_E_NS1_11comp_targetILNS1_3genE8ELNS1_11target_archE1030ELNS1_3gpuE2ELNS1_3repE0EEENS1_30default_config_static_selectorELNS0_4arch9wavefront6targetE1EEEvT1_,comdat
	.protected	_ZN7rocprim17ROCPRIM_400000_NS6detail17trampoline_kernelINS0_14default_configENS1_27scan_by_key_config_selectorIixEEZZNS1_16scan_by_key_implILNS1_25lookback_scan_determinismE0ELb0ES3_N6thrust23THRUST_200600_302600_NS6detail15normal_iteratorINS9_10device_ptrIiEEEENSB_INSC_IxEEEESG_xNS9_4plusIvEENS9_8equal_toIvEExEE10hipError_tPvRmT2_T3_T4_T5_mT6_T7_P12ihipStream_tbENKUlT_T0_E_clISt17integral_constantIbLb1EES10_IbLb0EEEEDaSW_SX_EUlSW_E_NS1_11comp_targetILNS1_3genE8ELNS1_11target_archE1030ELNS1_3gpuE2ELNS1_3repE0EEENS1_30default_config_static_selectorELNS0_4arch9wavefront6targetE1EEEvT1_ ; -- Begin function _ZN7rocprim17ROCPRIM_400000_NS6detail17trampoline_kernelINS0_14default_configENS1_27scan_by_key_config_selectorIixEEZZNS1_16scan_by_key_implILNS1_25lookback_scan_determinismE0ELb0ES3_N6thrust23THRUST_200600_302600_NS6detail15normal_iteratorINS9_10device_ptrIiEEEENSB_INSC_IxEEEESG_xNS9_4plusIvEENS9_8equal_toIvEExEE10hipError_tPvRmT2_T3_T4_T5_mT6_T7_P12ihipStream_tbENKUlT_T0_E_clISt17integral_constantIbLb1EES10_IbLb0EEEEDaSW_SX_EUlSW_E_NS1_11comp_targetILNS1_3genE8ELNS1_11target_archE1030ELNS1_3gpuE2ELNS1_3repE0EEENS1_30default_config_static_selectorELNS0_4arch9wavefront6targetE1EEEvT1_
	.globl	_ZN7rocprim17ROCPRIM_400000_NS6detail17trampoline_kernelINS0_14default_configENS1_27scan_by_key_config_selectorIixEEZZNS1_16scan_by_key_implILNS1_25lookback_scan_determinismE0ELb0ES3_N6thrust23THRUST_200600_302600_NS6detail15normal_iteratorINS9_10device_ptrIiEEEENSB_INSC_IxEEEESG_xNS9_4plusIvEENS9_8equal_toIvEExEE10hipError_tPvRmT2_T3_T4_T5_mT6_T7_P12ihipStream_tbENKUlT_T0_E_clISt17integral_constantIbLb1EES10_IbLb0EEEEDaSW_SX_EUlSW_E_NS1_11comp_targetILNS1_3genE8ELNS1_11target_archE1030ELNS1_3gpuE2ELNS1_3repE0EEENS1_30default_config_static_selectorELNS0_4arch9wavefront6targetE1EEEvT1_
	.p2align	8
	.type	_ZN7rocprim17ROCPRIM_400000_NS6detail17trampoline_kernelINS0_14default_configENS1_27scan_by_key_config_selectorIixEEZZNS1_16scan_by_key_implILNS1_25lookback_scan_determinismE0ELb0ES3_N6thrust23THRUST_200600_302600_NS6detail15normal_iteratorINS9_10device_ptrIiEEEENSB_INSC_IxEEEESG_xNS9_4plusIvEENS9_8equal_toIvEExEE10hipError_tPvRmT2_T3_T4_T5_mT6_T7_P12ihipStream_tbENKUlT_T0_E_clISt17integral_constantIbLb1EES10_IbLb0EEEEDaSW_SX_EUlSW_E_NS1_11comp_targetILNS1_3genE8ELNS1_11target_archE1030ELNS1_3gpuE2ELNS1_3repE0EEENS1_30default_config_static_selectorELNS0_4arch9wavefront6targetE1EEEvT1_,@function
_ZN7rocprim17ROCPRIM_400000_NS6detail17trampoline_kernelINS0_14default_configENS1_27scan_by_key_config_selectorIixEEZZNS1_16scan_by_key_implILNS1_25lookback_scan_determinismE0ELb0ES3_N6thrust23THRUST_200600_302600_NS6detail15normal_iteratorINS9_10device_ptrIiEEEENSB_INSC_IxEEEESG_xNS9_4plusIvEENS9_8equal_toIvEExEE10hipError_tPvRmT2_T3_T4_T5_mT6_T7_P12ihipStream_tbENKUlT_T0_E_clISt17integral_constantIbLb1EES10_IbLb0EEEEDaSW_SX_EUlSW_E_NS1_11comp_targetILNS1_3genE8ELNS1_11target_archE1030ELNS1_3gpuE2ELNS1_3repE0EEENS1_30default_config_static_selectorELNS0_4arch9wavefront6targetE1EEEvT1_: ; @_ZN7rocprim17ROCPRIM_400000_NS6detail17trampoline_kernelINS0_14default_configENS1_27scan_by_key_config_selectorIixEEZZNS1_16scan_by_key_implILNS1_25lookback_scan_determinismE0ELb0ES3_N6thrust23THRUST_200600_302600_NS6detail15normal_iteratorINS9_10device_ptrIiEEEENSB_INSC_IxEEEESG_xNS9_4plusIvEENS9_8equal_toIvEExEE10hipError_tPvRmT2_T3_T4_T5_mT6_T7_P12ihipStream_tbENKUlT_T0_E_clISt17integral_constantIbLb1EES10_IbLb0EEEEDaSW_SX_EUlSW_E_NS1_11comp_targetILNS1_3genE8ELNS1_11target_archE1030ELNS1_3gpuE2ELNS1_3repE0EEENS1_30default_config_static_selectorELNS0_4arch9wavefront6targetE1EEEvT1_
; %bb.0:
	.section	.rodata,"a",@progbits
	.p2align	6, 0x0
	.amdhsa_kernel _ZN7rocprim17ROCPRIM_400000_NS6detail17trampoline_kernelINS0_14default_configENS1_27scan_by_key_config_selectorIixEEZZNS1_16scan_by_key_implILNS1_25lookback_scan_determinismE0ELb0ES3_N6thrust23THRUST_200600_302600_NS6detail15normal_iteratorINS9_10device_ptrIiEEEENSB_INSC_IxEEEESG_xNS9_4plusIvEENS9_8equal_toIvEExEE10hipError_tPvRmT2_T3_T4_T5_mT6_T7_P12ihipStream_tbENKUlT_T0_E_clISt17integral_constantIbLb1EES10_IbLb0EEEEDaSW_SX_EUlSW_E_NS1_11comp_targetILNS1_3genE8ELNS1_11target_archE1030ELNS1_3gpuE2ELNS1_3repE0EEENS1_30default_config_static_selectorELNS0_4arch9wavefront6targetE1EEEvT1_
		.amdhsa_group_segment_fixed_size 0
		.amdhsa_private_segment_fixed_size 0
		.amdhsa_kernarg_size 136
		.amdhsa_user_sgpr_count 6
		.amdhsa_user_sgpr_private_segment_buffer 1
		.amdhsa_user_sgpr_dispatch_ptr 0
		.amdhsa_user_sgpr_queue_ptr 0
		.amdhsa_user_sgpr_kernarg_segment_ptr 1
		.amdhsa_user_sgpr_dispatch_id 0
		.amdhsa_user_sgpr_flat_scratch_init 0
		.amdhsa_user_sgpr_kernarg_preload_length 0
		.amdhsa_user_sgpr_kernarg_preload_offset 0
		.amdhsa_user_sgpr_private_segment_size 0
		.amdhsa_uses_dynamic_stack 0
		.amdhsa_system_sgpr_private_segment_wavefront_offset 0
		.amdhsa_system_sgpr_workgroup_id_x 1
		.amdhsa_system_sgpr_workgroup_id_y 0
		.amdhsa_system_sgpr_workgroup_id_z 0
		.amdhsa_system_sgpr_workgroup_info 0
		.amdhsa_system_vgpr_workitem_id 0
		.amdhsa_next_free_vgpr 1
		.amdhsa_next_free_sgpr 0
		.amdhsa_accum_offset 4
		.amdhsa_reserve_vcc 0
		.amdhsa_reserve_flat_scratch 0
		.amdhsa_float_round_mode_32 0
		.amdhsa_float_round_mode_16_64 0
		.amdhsa_float_denorm_mode_32 3
		.amdhsa_float_denorm_mode_16_64 3
		.amdhsa_dx10_clamp 1
		.amdhsa_ieee_mode 1
		.amdhsa_fp16_overflow 0
		.amdhsa_tg_split 0
		.amdhsa_exception_fp_ieee_invalid_op 0
		.amdhsa_exception_fp_denorm_src 0
		.amdhsa_exception_fp_ieee_div_zero 0
		.amdhsa_exception_fp_ieee_overflow 0
		.amdhsa_exception_fp_ieee_underflow 0
		.amdhsa_exception_fp_ieee_inexact 0
		.amdhsa_exception_int_div_zero 0
	.end_amdhsa_kernel
	.section	.text._ZN7rocprim17ROCPRIM_400000_NS6detail17trampoline_kernelINS0_14default_configENS1_27scan_by_key_config_selectorIixEEZZNS1_16scan_by_key_implILNS1_25lookback_scan_determinismE0ELb0ES3_N6thrust23THRUST_200600_302600_NS6detail15normal_iteratorINS9_10device_ptrIiEEEENSB_INSC_IxEEEESG_xNS9_4plusIvEENS9_8equal_toIvEExEE10hipError_tPvRmT2_T3_T4_T5_mT6_T7_P12ihipStream_tbENKUlT_T0_E_clISt17integral_constantIbLb1EES10_IbLb0EEEEDaSW_SX_EUlSW_E_NS1_11comp_targetILNS1_3genE8ELNS1_11target_archE1030ELNS1_3gpuE2ELNS1_3repE0EEENS1_30default_config_static_selectorELNS0_4arch9wavefront6targetE1EEEvT1_,"axG",@progbits,_ZN7rocprim17ROCPRIM_400000_NS6detail17trampoline_kernelINS0_14default_configENS1_27scan_by_key_config_selectorIixEEZZNS1_16scan_by_key_implILNS1_25lookback_scan_determinismE0ELb0ES3_N6thrust23THRUST_200600_302600_NS6detail15normal_iteratorINS9_10device_ptrIiEEEENSB_INSC_IxEEEESG_xNS9_4plusIvEENS9_8equal_toIvEExEE10hipError_tPvRmT2_T3_T4_T5_mT6_T7_P12ihipStream_tbENKUlT_T0_E_clISt17integral_constantIbLb1EES10_IbLb0EEEEDaSW_SX_EUlSW_E_NS1_11comp_targetILNS1_3genE8ELNS1_11target_archE1030ELNS1_3gpuE2ELNS1_3repE0EEENS1_30default_config_static_selectorELNS0_4arch9wavefront6targetE1EEEvT1_,comdat
.Lfunc_end1339:
	.size	_ZN7rocprim17ROCPRIM_400000_NS6detail17trampoline_kernelINS0_14default_configENS1_27scan_by_key_config_selectorIixEEZZNS1_16scan_by_key_implILNS1_25lookback_scan_determinismE0ELb0ES3_N6thrust23THRUST_200600_302600_NS6detail15normal_iteratorINS9_10device_ptrIiEEEENSB_INSC_IxEEEESG_xNS9_4plusIvEENS9_8equal_toIvEExEE10hipError_tPvRmT2_T3_T4_T5_mT6_T7_P12ihipStream_tbENKUlT_T0_E_clISt17integral_constantIbLb1EES10_IbLb0EEEEDaSW_SX_EUlSW_E_NS1_11comp_targetILNS1_3genE8ELNS1_11target_archE1030ELNS1_3gpuE2ELNS1_3repE0EEENS1_30default_config_static_selectorELNS0_4arch9wavefront6targetE1EEEvT1_, .Lfunc_end1339-_ZN7rocprim17ROCPRIM_400000_NS6detail17trampoline_kernelINS0_14default_configENS1_27scan_by_key_config_selectorIixEEZZNS1_16scan_by_key_implILNS1_25lookback_scan_determinismE0ELb0ES3_N6thrust23THRUST_200600_302600_NS6detail15normal_iteratorINS9_10device_ptrIiEEEENSB_INSC_IxEEEESG_xNS9_4plusIvEENS9_8equal_toIvEExEE10hipError_tPvRmT2_T3_T4_T5_mT6_T7_P12ihipStream_tbENKUlT_T0_E_clISt17integral_constantIbLb1EES10_IbLb0EEEEDaSW_SX_EUlSW_E_NS1_11comp_targetILNS1_3genE8ELNS1_11target_archE1030ELNS1_3gpuE2ELNS1_3repE0EEENS1_30default_config_static_selectorELNS0_4arch9wavefront6targetE1EEEvT1_
                                        ; -- End function
	.section	.AMDGPU.csdata,"",@progbits
; Kernel info:
; codeLenInByte = 0
; NumSgprs: 4
; NumVgprs: 0
; NumAgprs: 0
; TotalNumVgprs: 0
; ScratchSize: 0
; MemoryBound: 0
; FloatMode: 240
; IeeeMode: 1
; LDSByteSize: 0 bytes/workgroup (compile time only)
; SGPRBlocks: 0
; VGPRBlocks: 0
; NumSGPRsForWavesPerEU: 4
; NumVGPRsForWavesPerEU: 1
; AccumOffset: 4
; Occupancy: 8
; WaveLimiterHint : 0
; COMPUTE_PGM_RSRC2:SCRATCH_EN: 0
; COMPUTE_PGM_RSRC2:USER_SGPR: 6
; COMPUTE_PGM_RSRC2:TRAP_HANDLER: 0
; COMPUTE_PGM_RSRC2:TGID_X_EN: 1
; COMPUTE_PGM_RSRC2:TGID_Y_EN: 0
; COMPUTE_PGM_RSRC2:TGID_Z_EN: 0
; COMPUTE_PGM_RSRC2:TIDIG_COMP_CNT: 0
; COMPUTE_PGM_RSRC3_GFX90A:ACCUM_OFFSET: 0
; COMPUTE_PGM_RSRC3_GFX90A:TG_SPLIT: 0
	.section	.text._ZN7rocprim17ROCPRIM_400000_NS6detail30init_device_scan_by_key_kernelINS1_19lookback_scan_stateINS0_5tupleIJxbEEELb0ELb0EEEN6thrust23THRUST_200600_302600_NS6detail15normal_iteratorINS8_10device_ptrIiEEEEjNS1_16block_id_wrapperIjLb1EEEEEvT_jjPNSG_10value_typeET0_PNSt15iterator_traitsISJ_E10value_typeEmT1_T2_,"axG",@progbits,_ZN7rocprim17ROCPRIM_400000_NS6detail30init_device_scan_by_key_kernelINS1_19lookback_scan_stateINS0_5tupleIJxbEEELb0ELb0EEEN6thrust23THRUST_200600_302600_NS6detail15normal_iteratorINS8_10device_ptrIiEEEEjNS1_16block_id_wrapperIjLb1EEEEEvT_jjPNSG_10value_typeET0_PNSt15iterator_traitsISJ_E10value_typeEmT1_T2_,comdat
	.protected	_ZN7rocprim17ROCPRIM_400000_NS6detail30init_device_scan_by_key_kernelINS1_19lookback_scan_stateINS0_5tupleIJxbEEELb0ELb0EEEN6thrust23THRUST_200600_302600_NS6detail15normal_iteratorINS8_10device_ptrIiEEEEjNS1_16block_id_wrapperIjLb1EEEEEvT_jjPNSG_10value_typeET0_PNSt15iterator_traitsISJ_E10value_typeEmT1_T2_ ; -- Begin function _ZN7rocprim17ROCPRIM_400000_NS6detail30init_device_scan_by_key_kernelINS1_19lookback_scan_stateINS0_5tupleIJxbEEELb0ELb0EEEN6thrust23THRUST_200600_302600_NS6detail15normal_iteratorINS8_10device_ptrIiEEEEjNS1_16block_id_wrapperIjLb1EEEEEvT_jjPNSG_10value_typeET0_PNSt15iterator_traitsISJ_E10value_typeEmT1_T2_
	.globl	_ZN7rocprim17ROCPRIM_400000_NS6detail30init_device_scan_by_key_kernelINS1_19lookback_scan_stateINS0_5tupleIJxbEEELb0ELb0EEEN6thrust23THRUST_200600_302600_NS6detail15normal_iteratorINS8_10device_ptrIiEEEEjNS1_16block_id_wrapperIjLb1EEEEEvT_jjPNSG_10value_typeET0_PNSt15iterator_traitsISJ_E10value_typeEmT1_T2_
	.p2align	8
	.type	_ZN7rocprim17ROCPRIM_400000_NS6detail30init_device_scan_by_key_kernelINS1_19lookback_scan_stateINS0_5tupleIJxbEEELb0ELb0EEEN6thrust23THRUST_200600_302600_NS6detail15normal_iteratorINS8_10device_ptrIiEEEEjNS1_16block_id_wrapperIjLb1EEEEEvT_jjPNSG_10value_typeET0_PNSt15iterator_traitsISJ_E10value_typeEmT1_T2_,@function
_ZN7rocprim17ROCPRIM_400000_NS6detail30init_device_scan_by_key_kernelINS1_19lookback_scan_stateINS0_5tupleIJxbEEELb0ELb0EEEN6thrust23THRUST_200600_302600_NS6detail15normal_iteratorINS8_10device_ptrIiEEEEjNS1_16block_id_wrapperIjLb1EEEEEvT_jjPNSG_10value_typeET0_PNSt15iterator_traitsISJ_E10value_typeEmT1_T2_: ; @_ZN7rocprim17ROCPRIM_400000_NS6detail30init_device_scan_by_key_kernelINS1_19lookback_scan_stateINS0_5tupleIJxbEEELb0ELb0EEEN6thrust23THRUST_200600_302600_NS6detail15normal_iteratorINS8_10device_ptrIiEEEEjNS1_16block_id_wrapperIjLb1EEEEEvT_jjPNSG_10value_typeET0_PNSt15iterator_traitsISJ_E10value_typeEmT1_T2_
; %bb.0:
	s_load_dword s0, s[4:5], 0x5c
	s_load_dwordx8 s[8:15], s[4:5], 0x10
	s_load_dword s20, s[4:5], 0x50
	s_waitcnt lgkmcnt(0)
	s_and_b32 s21, s0, 0xffff
	s_mul_i32 s6, s6, s21
	s_cmp_eq_u64 s[12:13], 0
	v_add_u32_e32 v0, s6, v0
	s_cbranch_scc1 .LBB1340_7
; %bb.1:
	s_cmp_lt_u32 s11, s10
	s_cselect_b32 s0, s11, 0
	s_mov_b32 s17, 0
	v_cmp_eq_u32_e32 vcc, s0, v0
	s_and_saveexec_b64 s[6:7], vcc
	s_cbranch_execz .LBB1340_6
; %bb.2:
	s_add_i32 s16, s11, 64
	v_mov_b32_e32 v1, s16
	global_load_ubyte v1, v1, s[8:9] glc
	s_load_dwordx4 s[0:3], s[4:5], 0x0
	s_add_u32 s18, s8, s16
	s_addc_u32 s19, s9, 0
	s_waitcnt vmcnt(0)
	v_cmp_ne_u16_e32 vcc, 0, v1
	v_readfirstlane_b32 s11, v1
	s_cbranch_vccnz .LBB1340_5
; %bb.3:
	v_mov_b32_e32 v1, 0
.LBB1340_4:                             ; =>This Inner Loop Header: Depth=1
	global_load_ubyte v2, v1, s[18:19] glc
	s_waitcnt vmcnt(0)
	v_cmp_eq_u16_e32 vcc, 0, v2
	v_readfirstlane_b32 s11, v2
	s_cbranch_vccnz .LBB1340_4
.LBB1340_5:
	s_and_b32 s11, 0xffff, s11
	s_cmp_eq_u32 s11, 1
	s_waitcnt lgkmcnt(0)
	s_cselect_b32 s3, s1, s3
	s_cselect_b32 s2, s0, s2
	s_lshl_b64 s[0:1], s[16:17], 4
	s_add_u32 s0, s2, s0
	s_addc_u32 s1, s3, s1
	v_mov_b32_e32 v1, 0
	buffer_wbinvl1_vol
	global_load_dwordx2 v[2:3], v1, s[0:1]
	global_load_ubyte v4, v1, s[0:1] offset:8
	s_waitcnt vmcnt(1)
	global_store_dwordx2 v1, v[2:3], s[12:13]
	s_waitcnt vmcnt(1)
	global_store_byte v1, v4, s[12:13] offset:8
.LBB1340_6:
	s_or_b64 exec, exec, s[6:7]
.LBB1340_7:
	v_cmp_eq_u32_e32 vcc, 0, v0
	s_and_saveexec_b64 s[0:1], vcc
	s_cbranch_execz .LBB1340_9
; %bb.8:
	s_load_dwordx2 s[2:3], s[4:5], 0x48
	v_mov_b32_e32 v1, 0
	s_waitcnt lgkmcnt(0)
	global_store_dword v1, v1, s[2:3]
.LBB1340_9:
	s_or_b64 exec, exec, s[0:1]
	v_cmp_gt_u32_e32 vcc, s10, v0
	s_and_saveexec_b64 s[0:1], vcc
	s_cbranch_execz .LBB1340_11
; %bb.10:
	v_add_u32_e32 v1, 64, v0
	v_mov_b32_e32 v2, 0
	global_store_byte v1, v2, s[8:9]
.LBB1340_11:
	s_or_b64 exec, exec, s[0:1]
	v_cmp_gt_u32_e32 vcc, 64, v0
	v_mov_b32_e32 v1, 0
	s_and_saveexec_b64 s[0:1], vcc
	s_cbranch_execz .LBB1340_13
; %bb.12:
	v_mov_b32_e32 v3, s9
	v_add_co_u32_e32 v2, vcc, s8, v0
	v_addc_co_u32_e32 v3, vcc, 0, v3, vcc
	v_mov_b32_e32 v4, 0xff
	global_store_byte v[2:3], v4, off
.LBB1340_13:
	s_or_b64 exec, exec, s[0:1]
	s_load_dwordx2 s[0:1], s[4:5], 0x38
	s_waitcnt lgkmcnt(0)
	v_cmp_gt_u64_e32 vcc, s[0:1], v[0:1]
	s_and_saveexec_b64 s[2:3], vcc
	s_cbranch_execz .LBB1340_16
; %bb.14:
	s_load_dword s10, s[4:5], 0x40
	s_load_dwordx2 s[6:7], s[4:5], 0x30
	s_mov_b32 s5, 0
	s_mov_b32 s3, s5
	s_mul_i32 s2, s20, s21
	s_waitcnt lgkmcnt(0)
	s_add_i32 s4, s10, -1
	s_lshl_b64 s[4:5], s[4:5], 2
	v_mad_u64_u32 v[2:3], s[8:9], s10, v0, 0
	s_add_u32 s4, s14, s4
	v_lshlrev_b64 v[2:3], 2, v[2:3]
	s_addc_u32 s5, s15, s5
	v_mov_b32_e32 v4, s5
	v_add_co_u32_e32 v2, vcc, s4, v2
	v_addc_co_u32_e32 v3, vcc, v4, v3, vcc
	s_mul_hi_u32 s5, s10, s2
	s_mul_i32 s4, s10, s2
	v_lshlrev_b64 v[4:5], 2, v[0:1]
	s_lshl_b64 s[4:5], s[4:5], 2
	v_mov_b32_e32 v6, s7
	v_add_co_u32_e32 v4, vcc, s6, v4
	s_lshl_b64 s[6:7], s[2:3], 2
	v_addc_co_u32_e32 v5, vcc, v6, v5, vcc
	s_mov_b64 s[8:9], 0
	v_mov_b32_e32 v6, s3
	v_mov_b32_e32 v7, s5
	;; [unrolled: 1-line block ×3, first 2 shown]
.LBB1340_15:                            ; =>This Inner Loop Header: Depth=1
	global_load_dword v9, v[2:3], off
	v_add_co_u32_e32 v0, vcc, s2, v0
	v_addc_co_u32_e32 v1, vcc, v1, v6, vcc
	v_add_co_u32_e32 v2, vcc, s4, v2
	v_addc_co_u32_e32 v3, vcc, v3, v7, vcc
	v_cmp_le_u64_e32 vcc, s[0:1], v[0:1]
	s_or_b64 s[8:9], vcc, s[8:9]
	s_waitcnt vmcnt(0)
	global_store_dword v[4:5], v9, off
	v_add_co_u32_e32 v4, vcc, s6, v4
	v_addc_co_u32_e32 v5, vcc, v5, v8, vcc
	s_andn2_b64 exec, exec, s[8:9]
	s_cbranch_execnz .LBB1340_15
.LBB1340_16:
	s_endpgm
	.section	.rodata,"a",@progbits
	.p2align	6, 0x0
	.amdhsa_kernel _ZN7rocprim17ROCPRIM_400000_NS6detail30init_device_scan_by_key_kernelINS1_19lookback_scan_stateINS0_5tupleIJxbEEELb0ELb0EEEN6thrust23THRUST_200600_302600_NS6detail15normal_iteratorINS8_10device_ptrIiEEEEjNS1_16block_id_wrapperIjLb1EEEEEvT_jjPNSG_10value_typeET0_PNSt15iterator_traitsISJ_E10value_typeEmT1_T2_
		.amdhsa_group_segment_fixed_size 0
		.amdhsa_private_segment_fixed_size 0
		.amdhsa_kernarg_size 336
		.amdhsa_user_sgpr_count 6
		.amdhsa_user_sgpr_private_segment_buffer 1
		.amdhsa_user_sgpr_dispatch_ptr 0
		.amdhsa_user_sgpr_queue_ptr 0
		.amdhsa_user_sgpr_kernarg_segment_ptr 1
		.amdhsa_user_sgpr_dispatch_id 0
		.amdhsa_user_sgpr_flat_scratch_init 0
		.amdhsa_user_sgpr_kernarg_preload_length 0
		.amdhsa_user_sgpr_kernarg_preload_offset 0
		.amdhsa_user_sgpr_private_segment_size 0
		.amdhsa_uses_dynamic_stack 0
		.amdhsa_system_sgpr_private_segment_wavefront_offset 0
		.amdhsa_system_sgpr_workgroup_id_x 1
		.amdhsa_system_sgpr_workgroup_id_y 0
		.amdhsa_system_sgpr_workgroup_id_z 0
		.amdhsa_system_sgpr_workgroup_info 0
		.amdhsa_system_vgpr_workitem_id 0
		.amdhsa_next_free_vgpr 10
		.amdhsa_next_free_sgpr 22
		.amdhsa_accum_offset 12
		.amdhsa_reserve_vcc 1
		.amdhsa_reserve_flat_scratch 0
		.amdhsa_float_round_mode_32 0
		.amdhsa_float_round_mode_16_64 0
		.amdhsa_float_denorm_mode_32 3
		.amdhsa_float_denorm_mode_16_64 3
		.amdhsa_dx10_clamp 1
		.amdhsa_ieee_mode 1
		.amdhsa_fp16_overflow 0
		.amdhsa_tg_split 0
		.amdhsa_exception_fp_ieee_invalid_op 0
		.amdhsa_exception_fp_denorm_src 0
		.amdhsa_exception_fp_ieee_div_zero 0
		.amdhsa_exception_fp_ieee_overflow 0
		.amdhsa_exception_fp_ieee_underflow 0
		.amdhsa_exception_fp_ieee_inexact 0
		.amdhsa_exception_int_div_zero 0
	.end_amdhsa_kernel
	.section	.text._ZN7rocprim17ROCPRIM_400000_NS6detail30init_device_scan_by_key_kernelINS1_19lookback_scan_stateINS0_5tupleIJxbEEELb0ELb0EEEN6thrust23THRUST_200600_302600_NS6detail15normal_iteratorINS8_10device_ptrIiEEEEjNS1_16block_id_wrapperIjLb1EEEEEvT_jjPNSG_10value_typeET0_PNSt15iterator_traitsISJ_E10value_typeEmT1_T2_,"axG",@progbits,_ZN7rocprim17ROCPRIM_400000_NS6detail30init_device_scan_by_key_kernelINS1_19lookback_scan_stateINS0_5tupleIJxbEEELb0ELb0EEEN6thrust23THRUST_200600_302600_NS6detail15normal_iteratorINS8_10device_ptrIiEEEEjNS1_16block_id_wrapperIjLb1EEEEEvT_jjPNSG_10value_typeET0_PNSt15iterator_traitsISJ_E10value_typeEmT1_T2_,comdat
.Lfunc_end1340:
	.size	_ZN7rocprim17ROCPRIM_400000_NS6detail30init_device_scan_by_key_kernelINS1_19lookback_scan_stateINS0_5tupleIJxbEEELb0ELb0EEEN6thrust23THRUST_200600_302600_NS6detail15normal_iteratorINS8_10device_ptrIiEEEEjNS1_16block_id_wrapperIjLb1EEEEEvT_jjPNSG_10value_typeET0_PNSt15iterator_traitsISJ_E10value_typeEmT1_T2_, .Lfunc_end1340-_ZN7rocprim17ROCPRIM_400000_NS6detail30init_device_scan_by_key_kernelINS1_19lookback_scan_stateINS0_5tupleIJxbEEELb0ELb0EEEN6thrust23THRUST_200600_302600_NS6detail15normal_iteratorINS8_10device_ptrIiEEEEjNS1_16block_id_wrapperIjLb1EEEEEvT_jjPNSG_10value_typeET0_PNSt15iterator_traitsISJ_E10value_typeEmT1_T2_
                                        ; -- End function
	.section	.AMDGPU.csdata,"",@progbits
; Kernel info:
; codeLenInByte = 580
; NumSgprs: 26
; NumVgprs: 10
; NumAgprs: 0
; TotalNumVgprs: 10
; ScratchSize: 0
; MemoryBound: 0
; FloatMode: 240
; IeeeMode: 1
; LDSByteSize: 0 bytes/workgroup (compile time only)
; SGPRBlocks: 3
; VGPRBlocks: 1
; NumSGPRsForWavesPerEU: 26
; NumVGPRsForWavesPerEU: 10
; AccumOffset: 12
; Occupancy: 8
; WaveLimiterHint : 0
; COMPUTE_PGM_RSRC2:SCRATCH_EN: 0
; COMPUTE_PGM_RSRC2:USER_SGPR: 6
; COMPUTE_PGM_RSRC2:TRAP_HANDLER: 0
; COMPUTE_PGM_RSRC2:TGID_X_EN: 1
; COMPUTE_PGM_RSRC2:TGID_Y_EN: 0
; COMPUTE_PGM_RSRC2:TGID_Z_EN: 0
; COMPUTE_PGM_RSRC2:TIDIG_COMP_CNT: 0
; COMPUTE_PGM_RSRC3_GFX90A:ACCUM_OFFSET: 2
; COMPUTE_PGM_RSRC3_GFX90A:TG_SPLIT: 0
	.section	.text._ZN7rocprim17ROCPRIM_400000_NS6detail17trampoline_kernelINS0_14default_configENS1_27scan_by_key_config_selectorIixEEZZNS1_16scan_by_key_implILNS1_25lookback_scan_determinismE0ELb0ES3_N6thrust23THRUST_200600_302600_NS6detail15normal_iteratorINS9_10device_ptrIiEEEENSB_INSC_IxEEEESG_xNS9_4plusIvEENS9_8equal_toIvEExEE10hipError_tPvRmT2_T3_T4_T5_mT6_T7_P12ihipStream_tbENKUlT_T0_E_clISt17integral_constantIbLb0EES10_IbLb1EEEEDaSW_SX_EUlSW_E_NS1_11comp_targetILNS1_3genE0ELNS1_11target_archE4294967295ELNS1_3gpuE0ELNS1_3repE0EEENS1_30default_config_static_selectorELNS0_4arch9wavefront6targetE1EEEvT1_,"axG",@progbits,_ZN7rocprim17ROCPRIM_400000_NS6detail17trampoline_kernelINS0_14default_configENS1_27scan_by_key_config_selectorIixEEZZNS1_16scan_by_key_implILNS1_25lookback_scan_determinismE0ELb0ES3_N6thrust23THRUST_200600_302600_NS6detail15normal_iteratorINS9_10device_ptrIiEEEENSB_INSC_IxEEEESG_xNS9_4plusIvEENS9_8equal_toIvEExEE10hipError_tPvRmT2_T3_T4_T5_mT6_T7_P12ihipStream_tbENKUlT_T0_E_clISt17integral_constantIbLb0EES10_IbLb1EEEEDaSW_SX_EUlSW_E_NS1_11comp_targetILNS1_3genE0ELNS1_11target_archE4294967295ELNS1_3gpuE0ELNS1_3repE0EEENS1_30default_config_static_selectorELNS0_4arch9wavefront6targetE1EEEvT1_,comdat
	.protected	_ZN7rocprim17ROCPRIM_400000_NS6detail17trampoline_kernelINS0_14default_configENS1_27scan_by_key_config_selectorIixEEZZNS1_16scan_by_key_implILNS1_25lookback_scan_determinismE0ELb0ES3_N6thrust23THRUST_200600_302600_NS6detail15normal_iteratorINS9_10device_ptrIiEEEENSB_INSC_IxEEEESG_xNS9_4plusIvEENS9_8equal_toIvEExEE10hipError_tPvRmT2_T3_T4_T5_mT6_T7_P12ihipStream_tbENKUlT_T0_E_clISt17integral_constantIbLb0EES10_IbLb1EEEEDaSW_SX_EUlSW_E_NS1_11comp_targetILNS1_3genE0ELNS1_11target_archE4294967295ELNS1_3gpuE0ELNS1_3repE0EEENS1_30default_config_static_selectorELNS0_4arch9wavefront6targetE1EEEvT1_ ; -- Begin function _ZN7rocprim17ROCPRIM_400000_NS6detail17trampoline_kernelINS0_14default_configENS1_27scan_by_key_config_selectorIixEEZZNS1_16scan_by_key_implILNS1_25lookback_scan_determinismE0ELb0ES3_N6thrust23THRUST_200600_302600_NS6detail15normal_iteratorINS9_10device_ptrIiEEEENSB_INSC_IxEEEESG_xNS9_4plusIvEENS9_8equal_toIvEExEE10hipError_tPvRmT2_T3_T4_T5_mT6_T7_P12ihipStream_tbENKUlT_T0_E_clISt17integral_constantIbLb0EES10_IbLb1EEEEDaSW_SX_EUlSW_E_NS1_11comp_targetILNS1_3genE0ELNS1_11target_archE4294967295ELNS1_3gpuE0ELNS1_3repE0EEENS1_30default_config_static_selectorELNS0_4arch9wavefront6targetE1EEEvT1_
	.globl	_ZN7rocprim17ROCPRIM_400000_NS6detail17trampoline_kernelINS0_14default_configENS1_27scan_by_key_config_selectorIixEEZZNS1_16scan_by_key_implILNS1_25lookback_scan_determinismE0ELb0ES3_N6thrust23THRUST_200600_302600_NS6detail15normal_iteratorINS9_10device_ptrIiEEEENSB_INSC_IxEEEESG_xNS9_4plusIvEENS9_8equal_toIvEExEE10hipError_tPvRmT2_T3_T4_T5_mT6_T7_P12ihipStream_tbENKUlT_T0_E_clISt17integral_constantIbLb0EES10_IbLb1EEEEDaSW_SX_EUlSW_E_NS1_11comp_targetILNS1_3genE0ELNS1_11target_archE4294967295ELNS1_3gpuE0ELNS1_3repE0EEENS1_30default_config_static_selectorELNS0_4arch9wavefront6targetE1EEEvT1_
	.p2align	8
	.type	_ZN7rocprim17ROCPRIM_400000_NS6detail17trampoline_kernelINS0_14default_configENS1_27scan_by_key_config_selectorIixEEZZNS1_16scan_by_key_implILNS1_25lookback_scan_determinismE0ELb0ES3_N6thrust23THRUST_200600_302600_NS6detail15normal_iteratorINS9_10device_ptrIiEEEENSB_INSC_IxEEEESG_xNS9_4plusIvEENS9_8equal_toIvEExEE10hipError_tPvRmT2_T3_T4_T5_mT6_T7_P12ihipStream_tbENKUlT_T0_E_clISt17integral_constantIbLb0EES10_IbLb1EEEEDaSW_SX_EUlSW_E_NS1_11comp_targetILNS1_3genE0ELNS1_11target_archE4294967295ELNS1_3gpuE0ELNS1_3repE0EEENS1_30default_config_static_selectorELNS0_4arch9wavefront6targetE1EEEvT1_,@function
_ZN7rocprim17ROCPRIM_400000_NS6detail17trampoline_kernelINS0_14default_configENS1_27scan_by_key_config_selectorIixEEZZNS1_16scan_by_key_implILNS1_25lookback_scan_determinismE0ELb0ES3_N6thrust23THRUST_200600_302600_NS6detail15normal_iteratorINS9_10device_ptrIiEEEENSB_INSC_IxEEEESG_xNS9_4plusIvEENS9_8equal_toIvEExEE10hipError_tPvRmT2_T3_T4_T5_mT6_T7_P12ihipStream_tbENKUlT_T0_E_clISt17integral_constantIbLb0EES10_IbLb1EEEEDaSW_SX_EUlSW_E_NS1_11comp_targetILNS1_3genE0ELNS1_11target_archE4294967295ELNS1_3gpuE0ELNS1_3repE0EEENS1_30default_config_static_selectorELNS0_4arch9wavefront6targetE1EEEvT1_: ; @_ZN7rocprim17ROCPRIM_400000_NS6detail17trampoline_kernelINS0_14default_configENS1_27scan_by_key_config_selectorIixEEZZNS1_16scan_by_key_implILNS1_25lookback_scan_determinismE0ELb0ES3_N6thrust23THRUST_200600_302600_NS6detail15normal_iteratorINS9_10device_ptrIiEEEENSB_INSC_IxEEEESG_xNS9_4plusIvEENS9_8equal_toIvEExEE10hipError_tPvRmT2_T3_T4_T5_mT6_T7_P12ihipStream_tbENKUlT_T0_E_clISt17integral_constantIbLb0EES10_IbLb1EEEEDaSW_SX_EUlSW_E_NS1_11comp_targetILNS1_3genE0ELNS1_11target_archE4294967295ELNS1_3gpuE0ELNS1_3repE0EEENS1_30default_config_static_selectorELNS0_4arch9wavefront6targetE1EEEvT1_
; %bb.0:
	.section	.rodata,"a",@progbits
	.p2align	6, 0x0
	.amdhsa_kernel _ZN7rocprim17ROCPRIM_400000_NS6detail17trampoline_kernelINS0_14default_configENS1_27scan_by_key_config_selectorIixEEZZNS1_16scan_by_key_implILNS1_25lookback_scan_determinismE0ELb0ES3_N6thrust23THRUST_200600_302600_NS6detail15normal_iteratorINS9_10device_ptrIiEEEENSB_INSC_IxEEEESG_xNS9_4plusIvEENS9_8equal_toIvEExEE10hipError_tPvRmT2_T3_T4_T5_mT6_T7_P12ihipStream_tbENKUlT_T0_E_clISt17integral_constantIbLb0EES10_IbLb1EEEEDaSW_SX_EUlSW_E_NS1_11comp_targetILNS1_3genE0ELNS1_11target_archE4294967295ELNS1_3gpuE0ELNS1_3repE0EEENS1_30default_config_static_selectorELNS0_4arch9wavefront6targetE1EEEvT1_
		.amdhsa_group_segment_fixed_size 0
		.amdhsa_private_segment_fixed_size 0
		.amdhsa_kernarg_size 136
		.amdhsa_user_sgpr_count 6
		.amdhsa_user_sgpr_private_segment_buffer 1
		.amdhsa_user_sgpr_dispatch_ptr 0
		.amdhsa_user_sgpr_queue_ptr 0
		.amdhsa_user_sgpr_kernarg_segment_ptr 1
		.amdhsa_user_sgpr_dispatch_id 0
		.amdhsa_user_sgpr_flat_scratch_init 0
		.amdhsa_user_sgpr_kernarg_preload_length 0
		.amdhsa_user_sgpr_kernarg_preload_offset 0
		.amdhsa_user_sgpr_private_segment_size 0
		.amdhsa_uses_dynamic_stack 0
		.amdhsa_system_sgpr_private_segment_wavefront_offset 0
		.amdhsa_system_sgpr_workgroup_id_x 1
		.amdhsa_system_sgpr_workgroup_id_y 0
		.amdhsa_system_sgpr_workgroup_id_z 0
		.amdhsa_system_sgpr_workgroup_info 0
		.amdhsa_system_vgpr_workitem_id 0
		.amdhsa_next_free_vgpr 1
		.amdhsa_next_free_sgpr 0
		.amdhsa_accum_offset 4
		.amdhsa_reserve_vcc 0
		.amdhsa_reserve_flat_scratch 0
		.amdhsa_float_round_mode_32 0
		.amdhsa_float_round_mode_16_64 0
		.amdhsa_float_denorm_mode_32 3
		.amdhsa_float_denorm_mode_16_64 3
		.amdhsa_dx10_clamp 1
		.amdhsa_ieee_mode 1
		.amdhsa_fp16_overflow 0
		.amdhsa_tg_split 0
		.amdhsa_exception_fp_ieee_invalid_op 0
		.amdhsa_exception_fp_denorm_src 0
		.amdhsa_exception_fp_ieee_div_zero 0
		.amdhsa_exception_fp_ieee_overflow 0
		.amdhsa_exception_fp_ieee_underflow 0
		.amdhsa_exception_fp_ieee_inexact 0
		.amdhsa_exception_int_div_zero 0
	.end_amdhsa_kernel
	.section	.text._ZN7rocprim17ROCPRIM_400000_NS6detail17trampoline_kernelINS0_14default_configENS1_27scan_by_key_config_selectorIixEEZZNS1_16scan_by_key_implILNS1_25lookback_scan_determinismE0ELb0ES3_N6thrust23THRUST_200600_302600_NS6detail15normal_iteratorINS9_10device_ptrIiEEEENSB_INSC_IxEEEESG_xNS9_4plusIvEENS9_8equal_toIvEExEE10hipError_tPvRmT2_T3_T4_T5_mT6_T7_P12ihipStream_tbENKUlT_T0_E_clISt17integral_constantIbLb0EES10_IbLb1EEEEDaSW_SX_EUlSW_E_NS1_11comp_targetILNS1_3genE0ELNS1_11target_archE4294967295ELNS1_3gpuE0ELNS1_3repE0EEENS1_30default_config_static_selectorELNS0_4arch9wavefront6targetE1EEEvT1_,"axG",@progbits,_ZN7rocprim17ROCPRIM_400000_NS6detail17trampoline_kernelINS0_14default_configENS1_27scan_by_key_config_selectorIixEEZZNS1_16scan_by_key_implILNS1_25lookback_scan_determinismE0ELb0ES3_N6thrust23THRUST_200600_302600_NS6detail15normal_iteratorINS9_10device_ptrIiEEEENSB_INSC_IxEEEESG_xNS9_4plusIvEENS9_8equal_toIvEExEE10hipError_tPvRmT2_T3_T4_T5_mT6_T7_P12ihipStream_tbENKUlT_T0_E_clISt17integral_constantIbLb0EES10_IbLb1EEEEDaSW_SX_EUlSW_E_NS1_11comp_targetILNS1_3genE0ELNS1_11target_archE4294967295ELNS1_3gpuE0ELNS1_3repE0EEENS1_30default_config_static_selectorELNS0_4arch9wavefront6targetE1EEEvT1_,comdat
.Lfunc_end1341:
	.size	_ZN7rocprim17ROCPRIM_400000_NS6detail17trampoline_kernelINS0_14default_configENS1_27scan_by_key_config_selectorIixEEZZNS1_16scan_by_key_implILNS1_25lookback_scan_determinismE0ELb0ES3_N6thrust23THRUST_200600_302600_NS6detail15normal_iteratorINS9_10device_ptrIiEEEENSB_INSC_IxEEEESG_xNS9_4plusIvEENS9_8equal_toIvEExEE10hipError_tPvRmT2_T3_T4_T5_mT6_T7_P12ihipStream_tbENKUlT_T0_E_clISt17integral_constantIbLb0EES10_IbLb1EEEEDaSW_SX_EUlSW_E_NS1_11comp_targetILNS1_3genE0ELNS1_11target_archE4294967295ELNS1_3gpuE0ELNS1_3repE0EEENS1_30default_config_static_selectorELNS0_4arch9wavefront6targetE1EEEvT1_, .Lfunc_end1341-_ZN7rocprim17ROCPRIM_400000_NS6detail17trampoline_kernelINS0_14default_configENS1_27scan_by_key_config_selectorIixEEZZNS1_16scan_by_key_implILNS1_25lookback_scan_determinismE0ELb0ES3_N6thrust23THRUST_200600_302600_NS6detail15normal_iteratorINS9_10device_ptrIiEEEENSB_INSC_IxEEEESG_xNS9_4plusIvEENS9_8equal_toIvEExEE10hipError_tPvRmT2_T3_T4_T5_mT6_T7_P12ihipStream_tbENKUlT_T0_E_clISt17integral_constantIbLb0EES10_IbLb1EEEEDaSW_SX_EUlSW_E_NS1_11comp_targetILNS1_3genE0ELNS1_11target_archE4294967295ELNS1_3gpuE0ELNS1_3repE0EEENS1_30default_config_static_selectorELNS0_4arch9wavefront6targetE1EEEvT1_
                                        ; -- End function
	.section	.AMDGPU.csdata,"",@progbits
; Kernel info:
; codeLenInByte = 0
; NumSgprs: 4
; NumVgprs: 0
; NumAgprs: 0
; TotalNumVgprs: 0
; ScratchSize: 0
; MemoryBound: 0
; FloatMode: 240
; IeeeMode: 1
; LDSByteSize: 0 bytes/workgroup (compile time only)
; SGPRBlocks: 0
; VGPRBlocks: 0
; NumSGPRsForWavesPerEU: 4
; NumVGPRsForWavesPerEU: 1
; AccumOffset: 4
; Occupancy: 8
; WaveLimiterHint : 0
; COMPUTE_PGM_RSRC2:SCRATCH_EN: 0
; COMPUTE_PGM_RSRC2:USER_SGPR: 6
; COMPUTE_PGM_RSRC2:TRAP_HANDLER: 0
; COMPUTE_PGM_RSRC2:TGID_X_EN: 1
; COMPUTE_PGM_RSRC2:TGID_Y_EN: 0
; COMPUTE_PGM_RSRC2:TGID_Z_EN: 0
; COMPUTE_PGM_RSRC2:TIDIG_COMP_CNT: 0
; COMPUTE_PGM_RSRC3_GFX90A:ACCUM_OFFSET: 0
; COMPUTE_PGM_RSRC3_GFX90A:TG_SPLIT: 0
	.section	.text._ZN7rocprim17ROCPRIM_400000_NS6detail17trampoline_kernelINS0_14default_configENS1_27scan_by_key_config_selectorIixEEZZNS1_16scan_by_key_implILNS1_25lookback_scan_determinismE0ELb0ES3_N6thrust23THRUST_200600_302600_NS6detail15normal_iteratorINS9_10device_ptrIiEEEENSB_INSC_IxEEEESG_xNS9_4plusIvEENS9_8equal_toIvEExEE10hipError_tPvRmT2_T3_T4_T5_mT6_T7_P12ihipStream_tbENKUlT_T0_E_clISt17integral_constantIbLb0EES10_IbLb1EEEEDaSW_SX_EUlSW_E_NS1_11comp_targetILNS1_3genE10ELNS1_11target_archE1201ELNS1_3gpuE5ELNS1_3repE0EEENS1_30default_config_static_selectorELNS0_4arch9wavefront6targetE1EEEvT1_,"axG",@progbits,_ZN7rocprim17ROCPRIM_400000_NS6detail17trampoline_kernelINS0_14default_configENS1_27scan_by_key_config_selectorIixEEZZNS1_16scan_by_key_implILNS1_25lookback_scan_determinismE0ELb0ES3_N6thrust23THRUST_200600_302600_NS6detail15normal_iteratorINS9_10device_ptrIiEEEENSB_INSC_IxEEEESG_xNS9_4plusIvEENS9_8equal_toIvEExEE10hipError_tPvRmT2_T3_T4_T5_mT6_T7_P12ihipStream_tbENKUlT_T0_E_clISt17integral_constantIbLb0EES10_IbLb1EEEEDaSW_SX_EUlSW_E_NS1_11comp_targetILNS1_3genE10ELNS1_11target_archE1201ELNS1_3gpuE5ELNS1_3repE0EEENS1_30default_config_static_selectorELNS0_4arch9wavefront6targetE1EEEvT1_,comdat
	.protected	_ZN7rocprim17ROCPRIM_400000_NS6detail17trampoline_kernelINS0_14default_configENS1_27scan_by_key_config_selectorIixEEZZNS1_16scan_by_key_implILNS1_25lookback_scan_determinismE0ELb0ES3_N6thrust23THRUST_200600_302600_NS6detail15normal_iteratorINS9_10device_ptrIiEEEENSB_INSC_IxEEEESG_xNS9_4plusIvEENS9_8equal_toIvEExEE10hipError_tPvRmT2_T3_T4_T5_mT6_T7_P12ihipStream_tbENKUlT_T0_E_clISt17integral_constantIbLb0EES10_IbLb1EEEEDaSW_SX_EUlSW_E_NS1_11comp_targetILNS1_3genE10ELNS1_11target_archE1201ELNS1_3gpuE5ELNS1_3repE0EEENS1_30default_config_static_selectorELNS0_4arch9wavefront6targetE1EEEvT1_ ; -- Begin function _ZN7rocprim17ROCPRIM_400000_NS6detail17trampoline_kernelINS0_14default_configENS1_27scan_by_key_config_selectorIixEEZZNS1_16scan_by_key_implILNS1_25lookback_scan_determinismE0ELb0ES3_N6thrust23THRUST_200600_302600_NS6detail15normal_iteratorINS9_10device_ptrIiEEEENSB_INSC_IxEEEESG_xNS9_4plusIvEENS9_8equal_toIvEExEE10hipError_tPvRmT2_T3_T4_T5_mT6_T7_P12ihipStream_tbENKUlT_T0_E_clISt17integral_constantIbLb0EES10_IbLb1EEEEDaSW_SX_EUlSW_E_NS1_11comp_targetILNS1_3genE10ELNS1_11target_archE1201ELNS1_3gpuE5ELNS1_3repE0EEENS1_30default_config_static_selectorELNS0_4arch9wavefront6targetE1EEEvT1_
	.globl	_ZN7rocprim17ROCPRIM_400000_NS6detail17trampoline_kernelINS0_14default_configENS1_27scan_by_key_config_selectorIixEEZZNS1_16scan_by_key_implILNS1_25lookback_scan_determinismE0ELb0ES3_N6thrust23THRUST_200600_302600_NS6detail15normal_iteratorINS9_10device_ptrIiEEEENSB_INSC_IxEEEESG_xNS9_4plusIvEENS9_8equal_toIvEExEE10hipError_tPvRmT2_T3_T4_T5_mT6_T7_P12ihipStream_tbENKUlT_T0_E_clISt17integral_constantIbLb0EES10_IbLb1EEEEDaSW_SX_EUlSW_E_NS1_11comp_targetILNS1_3genE10ELNS1_11target_archE1201ELNS1_3gpuE5ELNS1_3repE0EEENS1_30default_config_static_selectorELNS0_4arch9wavefront6targetE1EEEvT1_
	.p2align	8
	.type	_ZN7rocprim17ROCPRIM_400000_NS6detail17trampoline_kernelINS0_14default_configENS1_27scan_by_key_config_selectorIixEEZZNS1_16scan_by_key_implILNS1_25lookback_scan_determinismE0ELb0ES3_N6thrust23THRUST_200600_302600_NS6detail15normal_iteratorINS9_10device_ptrIiEEEENSB_INSC_IxEEEESG_xNS9_4plusIvEENS9_8equal_toIvEExEE10hipError_tPvRmT2_T3_T4_T5_mT6_T7_P12ihipStream_tbENKUlT_T0_E_clISt17integral_constantIbLb0EES10_IbLb1EEEEDaSW_SX_EUlSW_E_NS1_11comp_targetILNS1_3genE10ELNS1_11target_archE1201ELNS1_3gpuE5ELNS1_3repE0EEENS1_30default_config_static_selectorELNS0_4arch9wavefront6targetE1EEEvT1_,@function
_ZN7rocprim17ROCPRIM_400000_NS6detail17trampoline_kernelINS0_14default_configENS1_27scan_by_key_config_selectorIixEEZZNS1_16scan_by_key_implILNS1_25lookback_scan_determinismE0ELb0ES3_N6thrust23THRUST_200600_302600_NS6detail15normal_iteratorINS9_10device_ptrIiEEEENSB_INSC_IxEEEESG_xNS9_4plusIvEENS9_8equal_toIvEExEE10hipError_tPvRmT2_T3_T4_T5_mT6_T7_P12ihipStream_tbENKUlT_T0_E_clISt17integral_constantIbLb0EES10_IbLb1EEEEDaSW_SX_EUlSW_E_NS1_11comp_targetILNS1_3genE10ELNS1_11target_archE1201ELNS1_3gpuE5ELNS1_3repE0EEENS1_30default_config_static_selectorELNS0_4arch9wavefront6targetE1EEEvT1_: ; @_ZN7rocprim17ROCPRIM_400000_NS6detail17trampoline_kernelINS0_14default_configENS1_27scan_by_key_config_selectorIixEEZZNS1_16scan_by_key_implILNS1_25lookback_scan_determinismE0ELb0ES3_N6thrust23THRUST_200600_302600_NS6detail15normal_iteratorINS9_10device_ptrIiEEEENSB_INSC_IxEEEESG_xNS9_4plusIvEENS9_8equal_toIvEExEE10hipError_tPvRmT2_T3_T4_T5_mT6_T7_P12ihipStream_tbENKUlT_T0_E_clISt17integral_constantIbLb0EES10_IbLb1EEEEDaSW_SX_EUlSW_E_NS1_11comp_targetILNS1_3genE10ELNS1_11target_archE1201ELNS1_3gpuE5ELNS1_3repE0EEENS1_30default_config_static_selectorELNS0_4arch9wavefront6targetE1EEEvT1_
; %bb.0:
	.section	.rodata,"a",@progbits
	.p2align	6, 0x0
	.amdhsa_kernel _ZN7rocprim17ROCPRIM_400000_NS6detail17trampoline_kernelINS0_14default_configENS1_27scan_by_key_config_selectorIixEEZZNS1_16scan_by_key_implILNS1_25lookback_scan_determinismE0ELb0ES3_N6thrust23THRUST_200600_302600_NS6detail15normal_iteratorINS9_10device_ptrIiEEEENSB_INSC_IxEEEESG_xNS9_4plusIvEENS9_8equal_toIvEExEE10hipError_tPvRmT2_T3_T4_T5_mT6_T7_P12ihipStream_tbENKUlT_T0_E_clISt17integral_constantIbLb0EES10_IbLb1EEEEDaSW_SX_EUlSW_E_NS1_11comp_targetILNS1_3genE10ELNS1_11target_archE1201ELNS1_3gpuE5ELNS1_3repE0EEENS1_30default_config_static_selectorELNS0_4arch9wavefront6targetE1EEEvT1_
		.amdhsa_group_segment_fixed_size 0
		.amdhsa_private_segment_fixed_size 0
		.amdhsa_kernarg_size 136
		.amdhsa_user_sgpr_count 6
		.amdhsa_user_sgpr_private_segment_buffer 1
		.amdhsa_user_sgpr_dispatch_ptr 0
		.amdhsa_user_sgpr_queue_ptr 0
		.amdhsa_user_sgpr_kernarg_segment_ptr 1
		.amdhsa_user_sgpr_dispatch_id 0
		.amdhsa_user_sgpr_flat_scratch_init 0
		.amdhsa_user_sgpr_kernarg_preload_length 0
		.amdhsa_user_sgpr_kernarg_preload_offset 0
		.amdhsa_user_sgpr_private_segment_size 0
		.amdhsa_uses_dynamic_stack 0
		.amdhsa_system_sgpr_private_segment_wavefront_offset 0
		.amdhsa_system_sgpr_workgroup_id_x 1
		.amdhsa_system_sgpr_workgroup_id_y 0
		.amdhsa_system_sgpr_workgroup_id_z 0
		.amdhsa_system_sgpr_workgroup_info 0
		.amdhsa_system_vgpr_workitem_id 0
		.amdhsa_next_free_vgpr 1
		.amdhsa_next_free_sgpr 0
		.amdhsa_accum_offset 4
		.amdhsa_reserve_vcc 0
		.amdhsa_reserve_flat_scratch 0
		.amdhsa_float_round_mode_32 0
		.amdhsa_float_round_mode_16_64 0
		.amdhsa_float_denorm_mode_32 3
		.amdhsa_float_denorm_mode_16_64 3
		.amdhsa_dx10_clamp 1
		.amdhsa_ieee_mode 1
		.amdhsa_fp16_overflow 0
		.amdhsa_tg_split 0
		.amdhsa_exception_fp_ieee_invalid_op 0
		.amdhsa_exception_fp_denorm_src 0
		.amdhsa_exception_fp_ieee_div_zero 0
		.amdhsa_exception_fp_ieee_overflow 0
		.amdhsa_exception_fp_ieee_underflow 0
		.amdhsa_exception_fp_ieee_inexact 0
		.amdhsa_exception_int_div_zero 0
	.end_amdhsa_kernel
	.section	.text._ZN7rocprim17ROCPRIM_400000_NS6detail17trampoline_kernelINS0_14default_configENS1_27scan_by_key_config_selectorIixEEZZNS1_16scan_by_key_implILNS1_25lookback_scan_determinismE0ELb0ES3_N6thrust23THRUST_200600_302600_NS6detail15normal_iteratorINS9_10device_ptrIiEEEENSB_INSC_IxEEEESG_xNS9_4plusIvEENS9_8equal_toIvEExEE10hipError_tPvRmT2_T3_T4_T5_mT6_T7_P12ihipStream_tbENKUlT_T0_E_clISt17integral_constantIbLb0EES10_IbLb1EEEEDaSW_SX_EUlSW_E_NS1_11comp_targetILNS1_3genE10ELNS1_11target_archE1201ELNS1_3gpuE5ELNS1_3repE0EEENS1_30default_config_static_selectorELNS0_4arch9wavefront6targetE1EEEvT1_,"axG",@progbits,_ZN7rocprim17ROCPRIM_400000_NS6detail17trampoline_kernelINS0_14default_configENS1_27scan_by_key_config_selectorIixEEZZNS1_16scan_by_key_implILNS1_25lookback_scan_determinismE0ELb0ES3_N6thrust23THRUST_200600_302600_NS6detail15normal_iteratorINS9_10device_ptrIiEEEENSB_INSC_IxEEEESG_xNS9_4plusIvEENS9_8equal_toIvEExEE10hipError_tPvRmT2_T3_T4_T5_mT6_T7_P12ihipStream_tbENKUlT_T0_E_clISt17integral_constantIbLb0EES10_IbLb1EEEEDaSW_SX_EUlSW_E_NS1_11comp_targetILNS1_3genE10ELNS1_11target_archE1201ELNS1_3gpuE5ELNS1_3repE0EEENS1_30default_config_static_selectorELNS0_4arch9wavefront6targetE1EEEvT1_,comdat
.Lfunc_end1342:
	.size	_ZN7rocprim17ROCPRIM_400000_NS6detail17trampoline_kernelINS0_14default_configENS1_27scan_by_key_config_selectorIixEEZZNS1_16scan_by_key_implILNS1_25lookback_scan_determinismE0ELb0ES3_N6thrust23THRUST_200600_302600_NS6detail15normal_iteratorINS9_10device_ptrIiEEEENSB_INSC_IxEEEESG_xNS9_4plusIvEENS9_8equal_toIvEExEE10hipError_tPvRmT2_T3_T4_T5_mT6_T7_P12ihipStream_tbENKUlT_T0_E_clISt17integral_constantIbLb0EES10_IbLb1EEEEDaSW_SX_EUlSW_E_NS1_11comp_targetILNS1_3genE10ELNS1_11target_archE1201ELNS1_3gpuE5ELNS1_3repE0EEENS1_30default_config_static_selectorELNS0_4arch9wavefront6targetE1EEEvT1_, .Lfunc_end1342-_ZN7rocprim17ROCPRIM_400000_NS6detail17trampoline_kernelINS0_14default_configENS1_27scan_by_key_config_selectorIixEEZZNS1_16scan_by_key_implILNS1_25lookback_scan_determinismE0ELb0ES3_N6thrust23THRUST_200600_302600_NS6detail15normal_iteratorINS9_10device_ptrIiEEEENSB_INSC_IxEEEESG_xNS9_4plusIvEENS9_8equal_toIvEExEE10hipError_tPvRmT2_T3_T4_T5_mT6_T7_P12ihipStream_tbENKUlT_T0_E_clISt17integral_constantIbLb0EES10_IbLb1EEEEDaSW_SX_EUlSW_E_NS1_11comp_targetILNS1_3genE10ELNS1_11target_archE1201ELNS1_3gpuE5ELNS1_3repE0EEENS1_30default_config_static_selectorELNS0_4arch9wavefront6targetE1EEEvT1_
                                        ; -- End function
	.section	.AMDGPU.csdata,"",@progbits
; Kernel info:
; codeLenInByte = 0
; NumSgprs: 4
; NumVgprs: 0
; NumAgprs: 0
; TotalNumVgprs: 0
; ScratchSize: 0
; MemoryBound: 0
; FloatMode: 240
; IeeeMode: 1
; LDSByteSize: 0 bytes/workgroup (compile time only)
; SGPRBlocks: 0
; VGPRBlocks: 0
; NumSGPRsForWavesPerEU: 4
; NumVGPRsForWavesPerEU: 1
; AccumOffset: 4
; Occupancy: 8
; WaveLimiterHint : 0
; COMPUTE_PGM_RSRC2:SCRATCH_EN: 0
; COMPUTE_PGM_RSRC2:USER_SGPR: 6
; COMPUTE_PGM_RSRC2:TRAP_HANDLER: 0
; COMPUTE_PGM_RSRC2:TGID_X_EN: 1
; COMPUTE_PGM_RSRC2:TGID_Y_EN: 0
; COMPUTE_PGM_RSRC2:TGID_Z_EN: 0
; COMPUTE_PGM_RSRC2:TIDIG_COMP_CNT: 0
; COMPUTE_PGM_RSRC3_GFX90A:ACCUM_OFFSET: 0
; COMPUTE_PGM_RSRC3_GFX90A:TG_SPLIT: 0
	.section	.text._ZN7rocprim17ROCPRIM_400000_NS6detail17trampoline_kernelINS0_14default_configENS1_27scan_by_key_config_selectorIixEEZZNS1_16scan_by_key_implILNS1_25lookback_scan_determinismE0ELb0ES3_N6thrust23THRUST_200600_302600_NS6detail15normal_iteratorINS9_10device_ptrIiEEEENSB_INSC_IxEEEESG_xNS9_4plusIvEENS9_8equal_toIvEExEE10hipError_tPvRmT2_T3_T4_T5_mT6_T7_P12ihipStream_tbENKUlT_T0_E_clISt17integral_constantIbLb0EES10_IbLb1EEEEDaSW_SX_EUlSW_E_NS1_11comp_targetILNS1_3genE5ELNS1_11target_archE942ELNS1_3gpuE9ELNS1_3repE0EEENS1_30default_config_static_selectorELNS0_4arch9wavefront6targetE1EEEvT1_,"axG",@progbits,_ZN7rocprim17ROCPRIM_400000_NS6detail17trampoline_kernelINS0_14default_configENS1_27scan_by_key_config_selectorIixEEZZNS1_16scan_by_key_implILNS1_25lookback_scan_determinismE0ELb0ES3_N6thrust23THRUST_200600_302600_NS6detail15normal_iteratorINS9_10device_ptrIiEEEENSB_INSC_IxEEEESG_xNS9_4plusIvEENS9_8equal_toIvEExEE10hipError_tPvRmT2_T3_T4_T5_mT6_T7_P12ihipStream_tbENKUlT_T0_E_clISt17integral_constantIbLb0EES10_IbLb1EEEEDaSW_SX_EUlSW_E_NS1_11comp_targetILNS1_3genE5ELNS1_11target_archE942ELNS1_3gpuE9ELNS1_3repE0EEENS1_30default_config_static_selectorELNS0_4arch9wavefront6targetE1EEEvT1_,comdat
	.protected	_ZN7rocprim17ROCPRIM_400000_NS6detail17trampoline_kernelINS0_14default_configENS1_27scan_by_key_config_selectorIixEEZZNS1_16scan_by_key_implILNS1_25lookback_scan_determinismE0ELb0ES3_N6thrust23THRUST_200600_302600_NS6detail15normal_iteratorINS9_10device_ptrIiEEEENSB_INSC_IxEEEESG_xNS9_4plusIvEENS9_8equal_toIvEExEE10hipError_tPvRmT2_T3_T4_T5_mT6_T7_P12ihipStream_tbENKUlT_T0_E_clISt17integral_constantIbLb0EES10_IbLb1EEEEDaSW_SX_EUlSW_E_NS1_11comp_targetILNS1_3genE5ELNS1_11target_archE942ELNS1_3gpuE9ELNS1_3repE0EEENS1_30default_config_static_selectorELNS0_4arch9wavefront6targetE1EEEvT1_ ; -- Begin function _ZN7rocprim17ROCPRIM_400000_NS6detail17trampoline_kernelINS0_14default_configENS1_27scan_by_key_config_selectorIixEEZZNS1_16scan_by_key_implILNS1_25lookback_scan_determinismE0ELb0ES3_N6thrust23THRUST_200600_302600_NS6detail15normal_iteratorINS9_10device_ptrIiEEEENSB_INSC_IxEEEESG_xNS9_4plusIvEENS9_8equal_toIvEExEE10hipError_tPvRmT2_T3_T4_T5_mT6_T7_P12ihipStream_tbENKUlT_T0_E_clISt17integral_constantIbLb0EES10_IbLb1EEEEDaSW_SX_EUlSW_E_NS1_11comp_targetILNS1_3genE5ELNS1_11target_archE942ELNS1_3gpuE9ELNS1_3repE0EEENS1_30default_config_static_selectorELNS0_4arch9wavefront6targetE1EEEvT1_
	.globl	_ZN7rocprim17ROCPRIM_400000_NS6detail17trampoline_kernelINS0_14default_configENS1_27scan_by_key_config_selectorIixEEZZNS1_16scan_by_key_implILNS1_25lookback_scan_determinismE0ELb0ES3_N6thrust23THRUST_200600_302600_NS6detail15normal_iteratorINS9_10device_ptrIiEEEENSB_INSC_IxEEEESG_xNS9_4plusIvEENS9_8equal_toIvEExEE10hipError_tPvRmT2_T3_T4_T5_mT6_T7_P12ihipStream_tbENKUlT_T0_E_clISt17integral_constantIbLb0EES10_IbLb1EEEEDaSW_SX_EUlSW_E_NS1_11comp_targetILNS1_3genE5ELNS1_11target_archE942ELNS1_3gpuE9ELNS1_3repE0EEENS1_30default_config_static_selectorELNS0_4arch9wavefront6targetE1EEEvT1_
	.p2align	8
	.type	_ZN7rocprim17ROCPRIM_400000_NS6detail17trampoline_kernelINS0_14default_configENS1_27scan_by_key_config_selectorIixEEZZNS1_16scan_by_key_implILNS1_25lookback_scan_determinismE0ELb0ES3_N6thrust23THRUST_200600_302600_NS6detail15normal_iteratorINS9_10device_ptrIiEEEENSB_INSC_IxEEEESG_xNS9_4plusIvEENS9_8equal_toIvEExEE10hipError_tPvRmT2_T3_T4_T5_mT6_T7_P12ihipStream_tbENKUlT_T0_E_clISt17integral_constantIbLb0EES10_IbLb1EEEEDaSW_SX_EUlSW_E_NS1_11comp_targetILNS1_3genE5ELNS1_11target_archE942ELNS1_3gpuE9ELNS1_3repE0EEENS1_30default_config_static_selectorELNS0_4arch9wavefront6targetE1EEEvT1_,@function
_ZN7rocprim17ROCPRIM_400000_NS6detail17trampoline_kernelINS0_14default_configENS1_27scan_by_key_config_selectorIixEEZZNS1_16scan_by_key_implILNS1_25lookback_scan_determinismE0ELb0ES3_N6thrust23THRUST_200600_302600_NS6detail15normal_iteratorINS9_10device_ptrIiEEEENSB_INSC_IxEEEESG_xNS9_4plusIvEENS9_8equal_toIvEExEE10hipError_tPvRmT2_T3_T4_T5_mT6_T7_P12ihipStream_tbENKUlT_T0_E_clISt17integral_constantIbLb0EES10_IbLb1EEEEDaSW_SX_EUlSW_E_NS1_11comp_targetILNS1_3genE5ELNS1_11target_archE942ELNS1_3gpuE9ELNS1_3repE0EEENS1_30default_config_static_selectorELNS0_4arch9wavefront6targetE1EEEvT1_: ; @_ZN7rocprim17ROCPRIM_400000_NS6detail17trampoline_kernelINS0_14default_configENS1_27scan_by_key_config_selectorIixEEZZNS1_16scan_by_key_implILNS1_25lookback_scan_determinismE0ELb0ES3_N6thrust23THRUST_200600_302600_NS6detail15normal_iteratorINS9_10device_ptrIiEEEENSB_INSC_IxEEEESG_xNS9_4plusIvEENS9_8equal_toIvEExEE10hipError_tPvRmT2_T3_T4_T5_mT6_T7_P12ihipStream_tbENKUlT_T0_E_clISt17integral_constantIbLb0EES10_IbLb1EEEEDaSW_SX_EUlSW_E_NS1_11comp_targetILNS1_3genE5ELNS1_11target_archE942ELNS1_3gpuE9ELNS1_3repE0EEENS1_30default_config_static_selectorELNS0_4arch9wavefront6targetE1EEEvT1_
; %bb.0:
	.section	.rodata,"a",@progbits
	.p2align	6, 0x0
	.amdhsa_kernel _ZN7rocprim17ROCPRIM_400000_NS6detail17trampoline_kernelINS0_14default_configENS1_27scan_by_key_config_selectorIixEEZZNS1_16scan_by_key_implILNS1_25lookback_scan_determinismE0ELb0ES3_N6thrust23THRUST_200600_302600_NS6detail15normal_iteratorINS9_10device_ptrIiEEEENSB_INSC_IxEEEESG_xNS9_4plusIvEENS9_8equal_toIvEExEE10hipError_tPvRmT2_T3_T4_T5_mT6_T7_P12ihipStream_tbENKUlT_T0_E_clISt17integral_constantIbLb0EES10_IbLb1EEEEDaSW_SX_EUlSW_E_NS1_11comp_targetILNS1_3genE5ELNS1_11target_archE942ELNS1_3gpuE9ELNS1_3repE0EEENS1_30default_config_static_selectorELNS0_4arch9wavefront6targetE1EEEvT1_
		.amdhsa_group_segment_fixed_size 0
		.amdhsa_private_segment_fixed_size 0
		.amdhsa_kernarg_size 136
		.amdhsa_user_sgpr_count 6
		.amdhsa_user_sgpr_private_segment_buffer 1
		.amdhsa_user_sgpr_dispatch_ptr 0
		.amdhsa_user_sgpr_queue_ptr 0
		.amdhsa_user_sgpr_kernarg_segment_ptr 1
		.amdhsa_user_sgpr_dispatch_id 0
		.amdhsa_user_sgpr_flat_scratch_init 0
		.amdhsa_user_sgpr_kernarg_preload_length 0
		.amdhsa_user_sgpr_kernarg_preload_offset 0
		.amdhsa_user_sgpr_private_segment_size 0
		.amdhsa_uses_dynamic_stack 0
		.amdhsa_system_sgpr_private_segment_wavefront_offset 0
		.amdhsa_system_sgpr_workgroup_id_x 1
		.amdhsa_system_sgpr_workgroup_id_y 0
		.amdhsa_system_sgpr_workgroup_id_z 0
		.amdhsa_system_sgpr_workgroup_info 0
		.amdhsa_system_vgpr_workitem_id 0
		.amdhsa_next_free_vgpr 1
		.amdhsa_next_free_sgpr 0
		.amdhsa_accum_offset 4
		.amdhsa_reserve_vcc 0
		.amdhsa_reserve_flat_scratch 0
		.amdhsa_float_round_mode_32 0
		.amdhsa_float_round_mode_16_64 0
		.amdhsa_float_denorm_mode_32 3
		.amdhsa_float_denorm_mode_16_64 3
		.amdhsa_dx10_clamp 1
		.amdhsa_ieee_mode 1
		.amdhsa_fp16_overflow 0
		.amdhsa_tg_split 0
		.amdhsa_exception_fp_ieee_invalid_op 0
		.amdhsa_exception_fp_denorm_src 0
		.amdhsa_exception_fp_ieee_div_zero 0
		.amdhsa_exception_fp_ieee_overflow 0
		.amdhsa_exception_fp_ieee_underflow 0
		.amdhsa_exception_fp_ieee_inexact 0
		.amdhsa_exception_int_div_zero 0
	.end_amdhsa_kernel
	.section	.text._ZN7rocprim17ROCPRIM_400000_NS6detail17trampoline_kernelINS0_14default_configENS1_27scan_by_key_config_selectorIixEEZZNS1_16scan_by_key_implILNS1_25lookback_scan_determinismE0ELb0ES3_N6thrust23THRUST_200600_302600_NS6detail15normal_iteratorINS9_10device_ptrIiEEEENSB_INSC_IxEEEESG_xNS9_4plusIvEENS9_8equal_toIvEExEE10hipError_tPvRmT2_T3_T4_T5_mT6_T7_P12ihipStream_tbENKUlT_T0_E_clISt17integral_constantIbLb0EES10_IbLb1EEEEDaSW_SX_EUlSW_E_NS1_11comp_targetILNS1_3genE5ELNS1_11target_archE942ELNS1_3gpuE9ELNS1_3repE0EEENS1_30default_config_static_selectorELNS0_4arch9wavefront6targetE1EEEvT1_,"axG",@progbits,_ZN7rocprim17ROCPRIM_400000_NS6detail17trampoline_kernelINS0_14default_configENS1_27scan_by_key_config_selectorIixEEZZNS1_16scan_by_key_implILNS1_25lookback_scan_determinismE0ELb0ES3_N6thrust23THRUST_200600_302600_NS6detail15normal_iteratorINS9_10device_ptrIiEEEENSB_INSC_IxEEEESG_xNS9_4plusIvEENS9_8equal_toIvEExEE10hipError_tPvRmT2_T3_T4_T5_mT6_T7_P12ihipStream_tbENKUlT_T0_E_clISt17integral_constantIbLb0EES10_IbLb1EEEEDaSW_SX_EUlSW_E_NS1_11comp_targetILNS1_3genE5ELNS1_11target_archE942ELNS1_3gpuE9ELNS1_3repE0EEENS1_30default_config_static_selectorELNS0_4arch9wavefront6targetE1EEEvT1_,comdat
.Lfunc_end1343:
	.size	_ZN7rocprim17ROCPRIM_400000_NS6detail17trampoline_kernelINS0_14default_configENS1_27scan_by_key_config_selectorIixEEZZNS1_16scan_by_key_implILNS1_25lookback_scan_determinismE0ELb0ES3_N6thrust23THRUST_200600_302600_NS6detail15normal_iteratorINS9_10device_ptrIiEEEENSB_INSC_IxEEEESG_xNS9_4plusIvEENS9_8equal_toIvEExEE10hipError_tPvRmT2_T3_T4_T5_mT6_T7_P12ihipStream_tbENKUlT_T0_E_clISt17integral_constantIbLb0EES10_IbLb1EEEEDaSW_SX_EUlSW_E_NS1_11comp_targetILNS1_3genE5ELNS1_11target_archE942ELNS1_3gpuE9ELNS1_3repE0EEENS1_30default_config_static_selectorELNS0_4arch9wavefront6targetE1EEEvT1_, .Lfunc_end1343-_ZN7rocprim17ROCPRIM_400000_NS6detail17trampoline_kernelINS0_14default_configENS1_27scan_by_key_config_selectorIixEEZZNS1_16scan_by_key_implILNS1_25lookback_scan_determinismE0ELb0ES3_N6thrust23THRUST_200600_302600_NS6detail15normal_iteratorINS9_10device_ptrIiEEEENSB_INSC_IxEEEESG_xNS9_4plusIvEENS9_8equal_toIvEExEE10hipError_tPvRmT2_T3_T4_T5_mT6_T7_P12ihipStream_tbENKUlT_T0_E_clISt17integral_constantIbLb0EES10_IbLb1EEEEDaSW_SX_EUlSW_E_NS1_11comp_targetILNS1_3genE5ELNS1_11target_archE942ELNS1_3gpuE9ELNS1_3repE0EEENS1_30default_config_static_selectorELNS0_4arch9wavefront6targetE1EEEvT1_
                                        ; -- End function
	.section	.AMDGPU.csdata,"",@progbits
; Kernel info:
; codeLenInByte = 0
; NumSgprs: 4
; NumVgprs: 0
; NumAgprs: 0
; TotalNumVgprs: 0
; ScratchSize: 0
; MemoryBound: 0
; FloatMode: 240
; IeeeMode: 1
; LDSByteSize: 0 bytes/workgroup (compile time only)
; SGPRBlocks: 0
; VGPRBlocks: 0
; NumSGPRsForWavesPerEU: 4
; NumVGPRsForWavesPerEU: 1
; AccumOffset: 4
; Occupancy: 8
; WaveLimiterHint : 0
; COMPUTE_PGM_RSRC2:SCRATCH_EN: 0
; COMPUTE_PGM_RSRC2:USER_SGPR: 6
; COMPUTE_PGM_RSRC2:TRAP_HANDLER: 0
; COMPUTE_PGM_RSRC2:TGID_X_EN: 1
; COMPUTE_PGM_RSRC2:TGID_Y_EN: 0
; COMPUTE_PGM_RSRC2:TGID_Z_EN: 0
; COMPUTE_PGM_RSRC2:TIDIG_COMP_CNT: 0
; COMPUTE_PGM_RSRC3_GFX90A:ACCUM_OFFSET: 0
; COMPUTE_PGM_RSRC3_GFX90A:TG_SPLIT: 0
	.section	.text._ZN7rocprim17ROCPRIM_400000_NS6detail17trampoline_kernelINS0_14default_configENS1_27scan_by_key_config_selectorIixEEZZNS1_16scan_by_key_implILNS1_25lookback_scan_determinismE0ELb0ES3_N6thrust23THRUST_200600_302600_NS6detail15normal_iteratorINS9_10device_ptrIiEEEENSB_INSC_IxEEEESG_xNS9_4plusIvEENS9_8equal_toIvEExEE10hipError_tPvRmT2_T3_T4_T5_mT6_T7_P12ihipStream_tbENKUlT_T0_E_clISt17integral_constantIbLb0EES10_IbLb1EEEEDaSW_SX_EUlSW_E_NS1_11comp_targetILNS1_3genE4ELNS1_11target_archE910ELNS1_3gpuE8ELNS1_3repE0EEENS1_30default_config_static_selectorELNS0_4arch9wavefront6targetE1EEEvT1_,"axG",@progbits,_ZN7rocprim17ROCPRIM_400000_NS6detail17trampoline_kernelINS0_14default_configENS1_27scan_by_key_config_selectorIixEEZZNS1_16scan_by_key_implILNS1_25lookback_scan_determinismE0ELb0ES3_N6thrust23THRUST_200600_302600_NS6detail15normal_iteratorINS9_10device_ptrIiEEEENSB_INSC_IxEEEESG_xNS9_4plusIvEENS9_8equal_toIvEExEE10hipError_tPvRmT2_T3_T4_T5_mT6_T7_P12ihipStream_tbENKUlT_T0_E_clISt17integral_constantIbLb0EES10_IbLb1EEEEDaSW_SX_EUlSW_E_NS1_11comp_targetILNS1_3genE4ELNS1_11target_archE910ELNS1_3gpuE8ELNS1_3repE0EEENS1_30default_config_static_selectorELNS0_4arch9wavefront6targetE1EEEvT1_,comdat
	.protected	_ZN7rocprim17ROCPRIM_400000_NS6detail17trampoline_kernelINS0_14default_configENS1_27scan_by_key_config_selectorIixEEZZNS1_16scan_by_key_implILNS1_25lookback_scan_determinismE0ELb0ES3_N6thrust23THRUST_200600_302600_NS6detail15normal_iteratorINS9_10device_ptrIiEEEENSB_INSC_IxEEEESG_xNS9_4plusIvEENS9_8equal_toIvEExEE10hipError_tPvRmT2_T3_T4_T5_mT6_T7_P12ihipStream_tbENKUlT_T0_E_clISt17integral_constantIbLb0EES10_IbLb1EEEEDaSW_SX_EUlSW_E_NS1_11comp_targetILNS1_3genE4ELNS1_11target_archE910ELNS1_3gpuE8ELNS1_3repE0EEENS1_30default_config_static_selectorELNS0_4arch9wavefront6targetE1EEEvT1_ ; -- Begin function _ZN7rocprim17ROCPRIM_400000_NS6detail17trampoline_kernelINS0_14default_configENS1_27scan_by_key_config_selectorIixEEZZNS1_16scan_by_key_implILNS1_25lookback_scan_determinismE0ELb0ES3_N6thrust23THRUST_200600_302600_NS6detail15normal_iteratorINS9_10device_ptrIiEEEENSB_INSC_IxEEEESG_xNS9_4plusIvEENS9_8equal_toIvEExEE10hipError_tPvRmT2_T3_T4_T5_mT6_T7_P12ihipStream_tbENKUlT_T0_E_clISt17integral_constantIbLb0EES10_IbLb1EEEEDaSW_SX_EUlSW_E_NS1_11comp_targetILNS1_3genE4ELNS1_11target_archE910ELNS1_3gpuE8ELNS1_3repE0EEENS1_30default_config_static_selectorELNS0_4arch9wavefront6targetE1EEEvT1_
	.globl	_ZN7rocprim17ROCPRIM_400000_NS6detail17trampoline_kernelINS0_14default_configENS1_27scan_by_key_config_selectorIixEEZZNS1_16scan_by_key_implILNS1_25lookback_scan_determinismE0ELb0ES3_N6thrust23THRUST_200600_302600_NS6detail15normal_iteratorINS9_10device_ptrIiEEEENSB_INSC_IxEEEESG_xNS9_4plusIvEENS9_8equal_toIvEExEE10hipError_tPvRmT2_T3_T4_T5_mT6_T7_P12ihipStream_tbENKUlT_T0_E_clISt17integral_constantIbLb0EES10_IbLb1EEEEDaSW_SX_EUlSW_E_NS1_11comp_targetILNS1_3genE4ELNS1_11target_archE910ELNS1_3gpuE8ELNS1_3repE0EEENS1_30default_config_static_selectorELNS0_4arch9wavefront6targetE1EEEvT1_
	.p2align	8
	.type	_ZN7rocprim17ROCPRIM_400000_NS6detail17trampoline_kernelINS0_14default_configENS1_27scan_by_key_config_selectorIixEEZZNS1_16scan_by_key_implILNS1_25lookback_scan_determinismE0ELb0ES3_N6thrust23THRUST_200600_302600_NS6detail15normal_iteratorINS9_10device_ptrIiEEEENSB_INSC_IxEEEESG_xNS9_4plusIvEENS9_8equal_toIvEExEE10hipError_tPvRmT2_T3_T4_T5_mT6_T7_P12ihipStream_tbENKUlT_T0_E_clISt17integral_constantIbLb0EES10_IbLb1EEEEDaSW_SX_EUlSW_E_NS1_11comp_targetILNS1_3genE4ELNS1_11target_archE910ELNS1_3gpuE8ELNS1_3repE0EEENS1_30default_config_static_selectorELNS0_4arch9wavefront6targetE1EEEvT1_,@function
_ZN7rocprim17ROCPRIM_400000_NS6detail17trampoline_kernelINS0_14default_configENS1_27scan_by_key_config_selectorIixEEZZNS1_16scan_by_key_implILNS1_25lookback_scan_determinismE0ELb0ES3_N6thrust23THRUST_200600_302600_NS6detail15normal_iteratorINS9_10device_ptrIiEEEENSB_INSC_IxEEEESG_xNS9_4plusIvEENS9_8equal_toIvEExEE10hipError_tPvRmT2_T3_T4_T5_mT6_T7_P12ihipStream_tbENKUlT_T0_E_clISt17integral_constantIbLb0EES10_IbLb1EEEEDaSW_SX_EUlSW_E_NS1_11comp_targetILNS1_3genE4ELNS1_11target_archE910ELNS1_3gpuE8ELNS1_3repE0EEENS1_30default_config_static_selectorELNS0_4arch9wavefront6targetE1EEEvT1_: ; @_ZN7rocprim17ROCPRIM_400000_NS6detail17trampoline_kernelINS0_14default_configENS1_27scan_by_key_config_selectorIixEEZZNS1_16scan_by_key_implILNS1_25lookback_scan_determinismE0ELb0ES3_N6thrust23THRUST_200600_302600_NS6detail15normal_iteratorINS9_10device_ptrIiEEEENSB_INSC_IxEEEESG_xNS9_4plusIvEENS9_8equal_toIvEExEE10hipError_tPvRmT2_T3_T4_T5_mT6_T7_P12ihipStream_tbENKUlT_T0_E_clISt17integral_constantIbLb0EES10_IbLb1EEEEDaSW_SX_EUlSW_E_NS1_11comp_targetILNS1_3genE4ELNS1_11target_archE910ELNS1_3gpuE8ELNS1_3repE0EEENS1_30default_config_static_selectorELNS0_4arch9wavefront6targetE1EEEvT1_
; %bb.0:
	s_load_dwordx8 s[68:75], s[4:5], 0x30
	s_load_dwordx2 s[0:1], s[4:5], 0x50
                                        ; implicit-def: $vgpr131 : SGPR spill to VGPR lane
	v_cmp_eq_u32_e64 s[88:89], 0, v0
	s_waitcnt lgkmcnt(0)
	v_writelane_b32 v131, s0, 0
	v_writelane_b32 v131, s1, 1
	v_cmp_ne_u32_e64 s[0:1], 0, v0
	v_writelane_b32 v131, s0, 2
	v_writelane_b32 v131, s1, 3
	s_and_saveexec_b64 s[2:3], s[88:89]
	s_cbranch_execz .LBB1344_4
; %bb.1:
	s_mov_b64 s[8:9], exec
	v_mbcnt_lo_u32_b32 v1, s8, 0
	v_mbcnt_hi_u32_b32 v1, s9, v1
	v_cmp_eq_u32_e32 vcc, 0, v1
                                        ; implicit-def: $vgpr2
	s_and_saveexec_b64 s[6:7], vcc
	s_cbranch_execz .LBB1344_3
; %bb.2:
	s_load_dwordx2 s[10:11], s[4:5], 0x80
	s_bcnt1_i32_b64 s8, s[8:9]
	v_mov_b32_e32 v2, 0
	v_mov_b32_e32 v3, s8
	s_waitcnt lgkmcnt(0)
	global_atomic_add v2, v2, v3, s[10:11] glc
.LBB1344_3:
	s_or_b64 exec, exec, s[6:7]
	s_waitcnt vmcnt(0)
	v_readfirstlane_b32 s6, v2
	v_add_u32_e32 v1, s6, v1
	v_mov_b32_e32 v2, 0
	ds_write_b32 v2, v1
.LBB1344_4:
	s_or_b64 exec, exec, s[2:3]
	s_load_dwordx8 s[52:59], s[4:5], 0x0
	s_load_dword s2, s[4:5], 0x58
	s_load_dwordx8 s[16:23], s[4:5], 0x60
	v_mov_b32_e32 v1, 0
	s_waitcnt lgkmcnt(0)
	; wave barrier
	s_waitcnt lgkmcnt(0)
	ds_read_b32 v1, v1
	s_lshl_b64 s[4:5], s[54:55], 2
	s_add_u32 s8, s52, s4
	v_readlane_b32 s6, v131, 0
	s_addc_u32 s9, s53, s5
	s_lshl_b64 s[60:61], s[54:55], 3
	v_readlane_b32 s7, v131, 1
	s_add_u32 s10, s56, s60
	s_mul_i32 s3, s7, s2
	s_mul_hi_u32 s4, s6, s2
	s_addc_u32 s11, s57, s61
	s_add_i32 s12, s4, s3
	s_waitcnt lgkmcnt(0)
	v_readfirstlane_b32 s33, v1
	s_mul_i32 s13, s6, s2
	s_cmp_lg_u64 s[20:21], 0
	s_mov_b32 s3, 0
	s_mul_i32 s2, s33, 0x540
	s_cselect_b64 s[52:53], -1, 0
	s_lshl_b64 s[4:5], s[2:3], 2
	s_add_u32 s50, s8, s4
	s_addc_u32 s51, s9, s5
	s_lshl_b64 s[2:3], s[2:3], 3
	s_add_u32 s62, s10, s2
	s_addc_u32 s63, s11, s3
	s_add_u32 s54, s13, s33
	s_addc_u32 s55, s12, 0
	s_add_u32 s4, s16, -1
	v_writelane_b32 v131, s16, 4
	v_writelane_b32 v131, s17, 5
	;; [unrolled: 1-line block ×6, first 2 shown]
	s_addc_u32 s5, s17, -1
	v_writelane_b32 v131, s22, 10
	v_pk_mov_b32 v[2:3], s[4:5], s[4:5] op_sel:[0,1]
	v_writelane_b32 v131, s23, 11
	v_cmp_ge_u64_e64 s[8:9], s[54:55], v[2:3]
	v_writelane_b32 v131, s8, 12
	s_mov_b64 s[6:7], 0
	s_mov_b64 s[10:11], -1
	v_writelane_b32 v131, s9, 13
	s_and_b64 vcc, exec, s[8:9]
	s_mulk_i32 s4, 0xfac0
	s_waitcnt lgkmcnt(0)
	; wave barrier
	s_waitcnt lgkmcnt(0)
	s_waitcnt lgkmcnt(0)
	; wave barrier
	v_writelane_b32 v131, s4, 14
	s_cbranch_vccz .LBB1344_116
; %bb.5:
	v_pk_mov_b32 v[2:3], s[50:51], s[50:51] op_sel:[0,1]
	flat_load_dword v2, v[2:3]
	s_add_i32 s65, s4, s74
	v_cmp_gt_u32_e64 s[6:7], s65, v0
	s_waitcnt vmcnt(0) lgkmcnt(0)
	v_mov_b32_e32 v3, v2
	s_and_saveexec_b64 s[4:5], s[6:7]
	s_cbranch_execz .LBB1344_7
; %bb.6:
	v_lshlrev_b32_e32 v1, 2, v0
	v_mov_b32_e32 v3, s51
	v_add_co_u32_e32 v4, vcc, s50, v1
	v_addc_co_u32_e32 v5, vcc, 0, v3, vcc
	flat_load_dword v3, v[4:5]
.LBB1344_7:
	s_or_b64 exec, exec, s[4:5]
	v_or_b32_e32 v1, 64, v0
	v_cmp_gt_u32_e64 s[8:9], s65, v1
	v_mov_b32_e32 v4, v2
	s_and_saveexec_b64 s[4:5], s[8:9]
	s_cbranch_execz .LBB1344_9
; %bb.8:
	v_lshlrev_b32_e32 v1, 2, v0
	v_mov_b32_e32 v5, s51
	v_add_co_u32_e32 v4, vcc, s50, v1
	v_addc_co_u32_e32 v5, vcc, 0, v5, vcc
	flat_load_dword v4, v[4:5] offset:256
.LBB1344_9:
	s_or_b64 exec, exec, s[4:5]
	v_or_b32_e32 v1, 0x80, v0
	v_cmp_gt_u32_e64 s[10:11], s65, v1
	v_mov_b32_e32 v5, v2
	s_and_saveexec_b64 s[4:5], s[10:11]
	s_cbranch_execz .LBB1344_11
; %bb.10:
	v_lshlrev_b32_e32 v1, 2, v0
	v_mov_b32_e32 v5, s51
	v_add_co_u32_e32 v6, vcc, s50, v1
	v_addc_co_u32_e32 v7, vcc, 0, v5, vcc
	flat_load_dword v5, v[6:7] offset:512
.LBB1344_11:
	;; [unrolled: 13-line block ×15, first 2 shown]
	s_or_b64 exec, exec, s[4:5]
	v_or_b32_e32 v56, 0x400, v0
	v_cmp_gt_u32_e64 s[40:41], s65, v56
	v_mov_b32_e32 v19, v2
	s_and_saveexec_b64 s[4:5], s[40:41]
	s_cbranch_execz .LBB1344_39
; %bb.38:
	v_lshlrev_b32_e32 v19, 2, v56
	v_mov_b32_e32 v21, s51
	v_add_co_u32_e32 v20, vcc, s50, v19
	v_addc_co_u32_e32 v21, vcc, 0, v21, vcc
	flat_load_dword v19, v[20:21]
.LBB1344_39:
	s_or_b64 exec, exec, s[4:5]
	v_or_b32_e32 v58, 0x440, v0
	v_cmp_gt_u32_e64 s[42:43], s65, v58
	v_mov_b32_e32 v20, v2
	s_and_saveexec_b64 s[4:5], s[42:43]
	s_cbranch_execz .LBB1344_41
; %bb.40:
	v_lshlrev_b32_e32 v20, 2, v58
	v_mov_b32_e32 v21, s51
	v_add_co_u32_e32 v20, vcc, s50, v20
	v_addc_co_u32_e32 v21, vcc, 0, v21, vcc
	flat_load_dword v20, v[20:21]
.LBB1344_41:
	;; [unrolled: 13-line block ×4, first 2 shown]
	s_or_b64 exec, exec, s[4:5]
	v_or_b32_e32 v65, 0x500, v0
	v_cmp_gt_u32_e64 s[48:49], s65, v65
	s_and_saveexec_b64 s[4:5], s[48:49]
	s_cbranch_execz .LBB1344_47
; %bb.46:
	v_lshlrev_b32_e32 v2, 2, v65
	v_mov_b32_e32 v23, s51
	v_add_co_u32_e32 v24, vcc, s50, v2
	v_addc_co_u32_e32 v25, vcc, 0, v23, vcc
	flat_load_dword v2, v[24:25]
.LBB1344_47:
	s_or_b64 exec, exec, s[4:5]
	v_lshlrev_b32_e32 v23, 2, v0
	s_movk_i32 s4, 0x50
	s_waitcnt vmcnt(0) lgkmcnt(0)
	ds_write2st64_b32 v23, v3, v4 offset1:1
	ds_write2st64_b32 v23, v5, v6 offset0:2 offset1:3
	ds_write2st64_b32 v23, v7, v8 offset0:4 offset1:5
	;; [unrolled: 1-line block ×9, first 2 shown]
	ds_write_b32 v23, v2 offset:5120
	v_mad_u32_u24 v2, v0, s4, v23
	s_waitcnt lgkmcnt(0)
	; wave barrier
	s_waitcnt lgkmcnt(0)
	ds_read2_b32 v[40:41], v2 offset0:7 offset1:8
	ds_read2_b32 v[44:45], v2 offset0:5 offset1:6
	;; [unrolled: 1-line block ×3, first 2 shown]
	ds_read2_b32 v[36:37], v2 offset1:1
	ds_read2_b32 v[32:33], v2 offset0:4 offset1:9
	ds_read2_b32 v[8:9], v2 offset0:15 offset1:16
	ds_read_b32 v64, v2 offset:56
	ds_read2_b32 v[16:17], v2 offset0:12 offset1:13
	ds_read2_b32 v[24:25], v2 offset0:10 offset1:11
	;; [unrolled: 1-line block ×4, first 2 shown]
	s_cmp_eq_u64 s[54:55], 0
	s_mov_b64 s[4:5], s[50:51]
	s_cbranch_scc1 .LBB1344_51
; %bb.48:
	s_andn2_b64 vcc, exec, s[52:53]
	s_cbranch_vccnz .LBB1344_275
; %bb.49:
	v_readlane_b32 s76, v131, 4
	s_lshl_b64 s[4:5], s[54:55], 2
	v_readlane_b32 s82, v131, 10
	v_readlane_b32 s83, v131, 11
	s_add_u32 s4, s82, s4
	s_addc_u32 s5, s83, s5
	s_add_u32 s4, s4, -4
	s_addc_u32 s5, s5, -1
	v_readlane_b32 s77, v131, 5
	v_readlane_b32 s78, v131, 6
	;; [unrolled: 1-line block ×5, first 2 shown]
	s_cbranch_execnz .LBB1344_51
.LBB1344_50:
	s_add_u32 s4, s50, -4
	s_addc_u32 s5, s51, -1
.LBB1344_51:
	v_pk_mov_b32 v[6:7], s[4:5], s[4:5] op_sel:[0,1]
	flat_load_dword v68, v[6:7]
	s_movk_i32 s4, 0xffb0
	v_mad_i32_i24 v66, v0, s4, v2
	s_waitcnt lgkmcnt(0)
	ds_write_b32 v66, v5 offset:5376
	s_waitcnt lgkmcnt(0)
	; wave barrier
	s_waitcnt lgkmcnt(0)
	s_mov_b64 s[4:5], exec
	v_readlane_b32 s56, v131, 2
	v_readlane_b32 s57, v131, 3
	s_and_b64 s[56:57], s[4:5], s[56:57]
	s_mov_b64 exec, s[56:57]
	s_cbranch_execz .LBB1344_53
; %bb.52:
	s_waitcnt vmcnt(0)
	ds_read_b32 v68, v66 offset:5372
.LBB1344_53:
	s_or_b64 exec, exec, s[4:5]
	s_waitcnt lgkmcnt(0)
	; wave barrier
	s_waitcnt lgkmcnt(0)
                                        ; implicit-def: $vgpr2_vgpr3
	s_and_saveexec_b64 s[4:5], s[6:7]
	s_cbranch_execnz .LBB1344_255
; %bb.54:
	s_or_b64 exec, exec, s[4:5]
                                        ; implicit-def: $vgpr6_vgpr7
	s_and_saveexec_b64 s[4:5], s[8:9]
	s_cbranch_execnz .LBB1344_256
.LBB1344_55:
	s_or_b64 exec, exec, s[4:5]
                                        ; implicit-def: $vgpr10_vgpr11
	s_and_saveexec_b64 s[4:5], s[10:11]
	s_cbranch_execnz .LBB1344_257
.LBB1344_56:
	s_or_b64 exec, exec, s[4:5]
                                        ; implicit-def: $vgpr14_vgpr15
	s_and_saveexec_b64 s[4:5], s[12:13]
	s_cbranch_execnz .LBB1344_258
.LBB1344_57:
	s_or_b64 exec, exec, s[4:5]
                                        ; implicit-def: $vgpr18_vgpr19
	s_and_saveexec_b64 s[4:5], s[14:15]
	s_cbranch_execnz .LBB1344_259
.LBB1344_58:
	s_or_b64 exec, exec, s[4:5]
                                        ; implicit-def: $vgpr20_vgpr21
	s_and_saveexec_b64 s[4:5], s[16:17]
	s_cbranch_execnz .LBB1344_260
.LBB1344_59:
	s_or_b64 exec, exec, s[4:5]
                                        ; implicit-def: $vgpr22_vgpr23
	s_and_saveexec_b64 s[4:5], s[18:19]
	s_cbranch_execnz .LBB1344_261
.LBB1344_60:
	s_or_b64 exec, exec, s[4:5]
                                        ; implicit-def: $vgpr26_vgpr27
	s_and_saveexec_b64 s[4:5], s[20:21]
	s_cbranch_execnz .LBB1344_262
.LBB1344_61:
	s_or_b64 exec, exec, s[4:5]
                                        ; implicit-def: $vgpr30_vgpr31
	s_and_saveexec_b64 s[4:5], s[22:23]
	s_cbranch_execnz .LBB1344_263
.LBB1344_62:
	s_or_b64 exec, exec, s[4:5]
                                        ; implicit-def: $vgpr34_vgpr35
	s_and_saveexec_b64 s[4:5], s[24:25]
	s_cbranch_execnz .LBB1344_264
.LBB1344_63:
	s_or_b64 exec, exec, s[4:5]
                                        ; implicit-def: $vgpr38_vgpr39
	s_and_saveexec_b64 s[4:5], s[26:27]
	s_cbranch_execnz .LBB1344_265
.LBB1344_64:
	s_or_b64 exec, exec, s[4:5]
                                        ; implicit-def: $vgpr42_vgpr43
	s_and_saveexec_b64 s[4:5], s[28:29]
	s_cbranch_execnz .LBB1344_266
.LBB1344_65:
	s_or_b64 exec, exec, s[4:5]
                                        ; implicit-def: $vgpr46_vgpr47
	s_and_saveexec_b64 s[4:5], s[30:31]
	s_cbranch_execnz .LBB1344_267
.LBB1344_66:
	s_or_b64 exec, exec, s[4:5]
                                        ; implicit-def: $vgpr48_vgpr49
	s_and_saveexec_b64 s[4:5], s[34:35]
	s_cbranch_execnz .LBB1344_268
.LBB1344_67:
	s_or_b64 exec, exec, s[4:5]
                                        ; implicit-def: $vgpr50_vgpr51
	s_and_saveexec_b64 s[4:5], s[36:37]
	s_cbranch_execnz .LBB1344_269
.LBB1344_68:
	s_or_b64 exec, exec, s[4:5]
                                        ; implicit-def: $vgpr52_vgpr53
	s_and_saveexec_b64 s[4:5], s[38:39]
	s_cbranch_execnz .LBB1344_270
.LBB1344_69:
	s_or_b64 exec, exec, s[4:5]
                                        ; implicit-def: $vgpr54_vgpr55
	s_and_saveexec_b64 s[4:5], s[40:41]
	s_cbranch_execnz .LBB1344_271
.LBB1344_70:
	s_or_b64 exec, exec, s[4:5]
                                        ; implicit-def: $vgpr56_vgpr57
	s_and_saveexec_b64 s[4:5], s[42:43]
	s_cbranch_execnz .LBB1344_272
.LBB1344_71:
	s_or_b64 exec, exec, s[4:5]
                                        ; implicit-def: $vgpr58_vgpr59
	s_and_saveexec_b64 s[4:5], s[44:45]
	s_cbranch_execnz .LBB1344_273
.LBB1344_72:
	s_or_b64 exec, exec, s[4:5]
                                        ; implicit-def: $vgpr60_vgpr61
	s_and_saveexec_b64 s[4:5], s[46:47]
	s_cbranch_execnz .LBB1344_274
.LBB1344_73:
	s_or_b64 exec, exec, s[4:5]
                                        ; implicit-def: $vgpr62_vgpr63
	s_and_saveexec_b64 s[4:5], s[48:49]
	s_cbranch_execz .LBB1344_75
.LBB1344_74:
	v_lshlrev_b32_e32 v1, 3, v65
	v_mov_b32_e32 v63, s63
	v_add_co_u32_e32 v62, vcc, s62, v1
	v_addc_co_u32_e32 v63, vcc, 0, v63, vcc
	flat_load_dwordx2 v[62:63], v[62:63]
.LBB1344_75:
	s_or_b64 exec, exec, s[4:5]
	v_lshl_add_u32 v69, v0, 2, v66
	v_mul_u32_u24_e32 v65, 21, v0
	s_waitcnt vmcnt(0) lgkmcnt(0)
	ds_write2st64_b64 v69, v[2:3], v[6:7] offset1:1
	ds_write2st64_b64 v69, v[10:11], v[14:15] offset0:2 offset1:3
	ds_write2st64_b64 v69, v[18:19], v[20:21] offset0:4 offset1:5
	;; [unrolled: 1-line block ×9, first 2 shown]
	ds_write_b64 v69, v[62:63] offset:10240
	v_pk_mov_b32 v[10:11], 0, 0
	v_cmp_gt_u32_e32 vcc, s65, v65
	s_mov_b64 s[6:7], 0
	s_mov_b64 s[10:11], 0
	s_mov_b32 s64, 0
	v_mov_b32_e32 v128, 0
	v_mov_b32_e32 v122, 0
	;; [unrolled: 1-line block ×5, first 2 shown]
	v_pk_mov_b32 v[70:71], v[10:11], v[10:11] op_sel:[0,1]
	v_pk_mov_b32 v[78:79], v[10:11], v[10:11] op_sel:[0,1]
	;; [unrolled: 1-line block ×8, first 2 shown]
	v_mov_b32_e32 v124, 0
	v_pk_mov_b32 v[38:39], v[10:11], v[10:11] op_sel:[0,1]
	v_pk_mov_b32 v[50:51], v[10:11], v[10:11] op_sel:[0,1]
	;; [unrolled: 1-line block ×5, first 2 shown]
	v_mov_b32_e32 v123, 0
	v_pk_mov_b32 v[34:35], v[10:11], v[10:11] op_sel:[0,1]
	v_pk_mov_b32 v[14:15], v[10:11], v[10:11] op_sel:[0,1]
	;; [unrolled: 1-line block ×5, first 2 shown]
	v_mov_b32_e32 v1, 0
	v_pk_mov_b32 v[2:3], v[10:11], v[10:11] op_sel:[0,1]
	s_waitcnt lgkmcnt(0)
	; wave barrier
	s_waitcnt lgkmcnt(0)
                                        ; implicit-def: $sgpr4_sgpr5
                                        ; implicit-def: $vgpr83
                                        ; implicit-def: $vgpr82
                                        ; implicit-def: $vgpr84
                                        ; implicit-def: $vgpr85
	s_and_saveexec_b64 s[12:13], vcc
	s_cbranch_execz .LBB1344_115
; %bb.76:
	s_movk_i32 s4, 0xa0
	v_mad_u32_u24 v2, v0, s4, v69
	ds_read_b64 v[2:3], v2
	v_cmp_ne_u32_e32 vcc, v68, v36
	v_add_u32_e32 v6, 1, v65
	v_pk_mov_b32 v[10:11], 0, 0
	v_cndmask_b32_e64 v1, 0, 1, vcc
	v_cmp_gt_u32_e32 vcc, s65, v6
	s_mov_b64 s[18:19], 0
	v_mov_b32_e32 v128, 0
	v_mov_b32_e32 v122, 0
	;; [unrolled: 1-line block ×5, first 2 shown]
	v_pk_mov_b32 v[70:71], v[10:11], v[10:11] op_sel:[0,1]
	v_pk_mov_b32 v[78:79], v[10:11], v[10:11] op_sel:[0,1]
	;; [unrolled: 1-line block ×8, first 2 shown]
	v_mov_b32_e32 v124, 0
	v_pk_mov_b32 v[38:39], v[10:11], v[10:11] op_sel:[0,1]
	v_pk_mov_b32 v[50:51], v[10:11], v[10:11] op_sel:[0,1]
	;; [unrolled: 1-line block ×5, first 2 shown]
	v_mov_b32_e32 v123, 0
	v_pk_mov_b32 v[34:35], v[10:11], v[10:11] op_sel:[0,1]
	v_pk_mov_b32 v[14:15], v[10:11], v[10:11] op_sel:[0,1]
	;; [unrolled: 1-line block ×5, first 2 shown]
                                        ; implicit-def: $sgpr4_sgpr5
                                        ; implicit-def: $vgpr83
                                        ; implicit-def: $vgpr82
                                        ; implicit-def: $vgpr84
                                        ; implicit-def: $vgpr85
	s_and_saveexec_b64 s[14:15], vcc
	s_cbranch_execz .LBB1344_114
; %bb.77:
	v_mul_u32_u24_e32 v6, 0xa0, v0
	v_add_u32_e32 v48, v69, v6
	ds_read2_b64 v[18:21], v48 offset0:1 offset1:2
	v_cmp_ne_u32_e64 s[4:5], v36, v37
	v_add_u32_e32 v6, 2, v65
	v_pk_mov_b32 v[10:11], 0, 0
	v_cmp_ne_u32_e32 vcc, v28, v29
	v_cmp_ne_u32_e64 s[6:7], v29, v32
	v_cmp_ne_u32_e64 s[8:9], v37, v28
	v_cndmask_b32_e64 v128, 0, 1, s[4:5]
	v_cmp_gt_u32_e64 s[4:5], s65, v6
	s_mov_b64 s[20:21], 0
	v_mov_b32_e32 v127, 0
	v_mov_b32_e32 v122, 0
	;; [unrolled: 1-line block ×4, first 2 shown]
	v_pk_mov_b32 v[70:71], v[10:11], v[10:11] op_sel:[0,1]
	v_pk_mov_b32 v[78:79], v[10:11], v[10:11] op_sel:[0,1]
	v_pk_mov_b32 v[62:63], v[10:11], v[10:11] op_sel:[0,1]
	v_pk_mov_b32 v[74:75], v[10:11], v[10:11] op_sel:[0,1]
	v_pk_mov_b32 v[54:55], v[10:11], v[10:11] op_sel:[0,1]
	v_pk_mov_b32 v[66:67], v[10:11], v[10:11] op_sel:[0,1]
	v_pk_mov_b32 v[46:47], v[10:11], v[10:11] op_sel:[0,1]
	v_pk_mov_b32 v[58:59], v[10:11], v[10:11] op_sel:[0,1]
	v_mov_b32_e32 v124, 0
	v_pk_mov_b32 v[38:39], v[10:11], v[10:11] op_sel:[0,1]
	v_pk_mov_b32 v[50:51], v[10:11], v[10:11] op_sel:[0,1]
	;; [unrolled: 1-line block ×5, first 2 shown]
	v_mov_b32_e32 v123, 0
	v_pk_mov_b32 v[34:35], v[10:11], v[10:11] op_sel:[0,1]
	v_pk_mov_b32 v[14:15], v[10:11], v[10:11] op_sel:[0,1]
	;; [unrolled: 1-line block ×4, first 2 shown]
                                        ; implicit-def: $sgpr22_sgpr23
                                        ; implicit-def: $vgpr83
                                        ; implicit-def: $vgpr82
                                        ; implicit-def: $vgpr84
                                        ; implicit-def: $vgpr85
	s_and_saveexec_b64 s[16:17], s[4:5]
	s_cbranch_execz .LBB1344_113
; %bb.78:
	v_cndmask_b32_e64 v6, 0, 1, s[8:9]
	v_cndmask_b32_e64 v7, 0, 1, s[6:7]
	v_lshlrev_b16_e32 v6, 8, v6
	v_lshlrev_b16_e32 v7, 8, v7
	v_cndmask_b32_e64 v10, 0, 1, vcc
	v_or_b32_e32 v6, v128, v6
	v_or_b32_sdwa v7, v10, v7 dst_sel:WORD_1 dst_unused:UNUSED_PAD src0_sel:DWORD src1_sel:DWORD
	v_add_u32_e32 v10, 3, v65
	v_or_b32_sdwa v83, v6, v7 dst_sel:DWORD dst_unused:UNUSED_PAD src0_sel:WORD_0 src1_sel:DWORD
	v_cmp_gt_u32_e32 vcc, s65, v10
	v_pk_mov_b32 v[10:11], 0, 0
	v_and_b32_e32 v128, 0xffff, v83
	s_waitcnt lgkmcnt(0)
	v_mov_b32_e32 v6, v20
	v_mov_b32_e32 v7, v21
	s_mov_b64 s[4:5], 0
	v_mov_b32_e32 v127, 0
	v_mov_b32_e32 v122, 0
	v_mov_b32_e32 v126, 0
	v_mov_b32_e32 v125, 0
	v_pk_mov_b32 v[70:71], v[10:11], v[10:11] op_sel:[0,1]
	v_pk_mov_b32 v[78:79], v[10:11], v[10:11] op_sel:[0,1]
	;; [unrolled: 1-line block ×8, first 2 shown]
	v_mov_b32_e32 v124, 0
	v_pk_mov_b32 v[38:39], v[10:11], v[10:11] op_sel:[0,1]
	v_pk_mov_b32 v[50:51], v[10:11], v[10:11] op_sel:[0,1]
	;; [unrolled: 1-line block ×5, first 2 shown]
	v_mov_b32_e32 v123, 0
	v_pk_mov_b32 v[34:35], v[10:11], v[10:11] op_sel:[0,1]
	v_pk_mov_b32 v[14:15], v[10:11], v[10:11] op_sel:[0,1]
	;; [unrolled: 1-line block ×3, first 2 shown]
                                        ; implicit-def: $sgpr6_sgpr7
                                        ; implicit-def: $vgpr82
                                        ; implicit-def: $vgpr84
                                        ; implicit-def: $vgpr85
	s_and_saveexec_b64 s[18:19], vcc
	s_cbranch_execz .LBB1344_112
; %bb.79:
	ds_read2_b64 v[26:29], v48 offset0:3 offset1:4
	v_add_u32_e32 v10, 4, v65
	v_cmp_gt_u32_e32 vcc, s65, v10
	v_pk_mov_b32 v[10:11], 0, 0
	v_and_b32_e32 v128, 0xffffff, v83
	s_mov_b64 s[6:7], 0
	v_mov_b32_e32 v127, 0
	v_mov_b32_e32 v122, 0
	;; [unrolled: 1-line block ×4, first 2 shown]
	v_pk_mov_b32 v[70:71], v[10:11], v[10:11] op_sel:[0,1]
	v_pk_mov_b32 v[78:79], v[10:11], v[10:11] op_sel:[0,1]
	;; [unrolled: 1-line block ×8, first 2 shown]
	v_mov_b32_e32 v124, 0
	v_pk_mov_b32 v[38:39], v[10:11], v[10:11] op_sel:[0,1]
	v_pk_mov_b32 v[50:51], v[10:11], v[10:11] op_sel:[0,1]
	;; [unrolled: 1-line block ×5, first 2 shown]
	v_mov_b32_e32 v123, 0
	v_pk_mov_b32 v[34:35], v[10:11], v[10:11] op_sel:[0,1]
	v_pk_mov_b32 v[14:15], v[10:11], v[10:11] op_sel:[0,1]
                                        ; implicit-def: $sgpr8_sgpr9
                                        ; implicit-def: $vgpr82
                                        ; implicit-def: $vgpr84
                                        ; implicit-def: $vgpr85
	s_and_saveexec_b64 s[20:21], vcc
	s_cbranch_execz .LBB1344_111
; %bb.80:
	v_add_u32_e32 v10, 5, v65
	v_cmp_gt_u32_e32 vcc, s65, v10
	v_pk_mov_b32 v[10:11], 0, 0
	s_waitcnt lgkmcnt(0)
	v_mov_b32_e32 v14, v28
	v_mov_b32_e32 v15, v29
	;; [unrolled: 1-line block ×6, first 2 shown]
	v_pk_mov_b32 v[70:71], v[10:11], v[10:11] op_sel:[0,1]
	v_pk_mov_b32 v[78:79], v[10:11], v[10:11] op_sel:[0,1]
	;; [unrolled: 1-line block ×8, first 2 shown]
	v_mov_b32_e32 v124, 0
	v_pk_mov_b32 v[38:39], v[10:11], v[10:11] op_sel:[0,1]
	v_pk_mov_b32 v[50:51], v[10:11], v[10:11] op_sel:[0,1]
	;; [unrolled: 1-line block ×5, first 2 shown]
	v_mov_b32_e32 v123, 0
	v_pk_mov_b32 v[34:35], v[10:11], v[10:11] op_sel:[0,1]
                                        ; implicit-def: $sgpr8_sgpr9
                                        ; implicit-def: $vgpr82
                                        ; implicit-def: $vgpr84
                                        ; implicit-def: $vgpr85
	s_and_saveexec_b64 s[22:23], vcc
	s_cbranch_execz .LBB1344_110
; %bb.81:
	ds_read2_b64 v[34:37], v48 offset0:5 offset1:6
	v_cmp_ne_u32_e32 vcc, v32, v44
	v_add_u32_e32 v10, 6, v65
	v_cndmask_b32_e64 v123, 0, 1, vcc
	v_cmp_gt_u32_e32 vcc, s65, v10
	v_pk_mov_b32 v[10:11], 0, 0
	s_mov_b64 s[28:29], 0
	v_mov_b32_e32 v127, 0
	v_mov_b32_e32 v122, 0
	;; [unrolled: 1-line block ×4, first 2 shown]
	v_pk_mov_b32 v[70:71], v[10:11], v[10:11] op_sel:[0,1]
	v_pk_mov_b32 v[78:79], v[10:11], v[10:11] op_sel:[0,1]
	;; [unrolled: 1-line block ×8, first 2 shown]
	v_mov_b32_e32 v124, 0
	v_pk_mov_b32 v[38:39], v[10:11], v[10:11] op_sel:[0,1]
	v_pk_mov_b32 v[50:51], v[10:11], v[10:11] op_sel:[0,1]
	;; [unrolled: 1-line block ×5, first 2 shown]
                                        ; implicit-def: $sgpr6_sgpr7
                                        ; implicit-def: $vgpr82
                                        ; implicit-def: $vgpr84
                                        ; implicit-def: $vgpr85
	s_and_saveexec_b64 s[24:25], vcc
	s_cbranch_execz .LBB1344_109
; %bb.82:
	v_cmp_ne_u32_e64 s[4:5], v44, v45
	v_add_u32_e32 v10, 7, v65
	v_cndmask_b32_e64 v127, 0, 1, s[4:5]
	v_cmp_gt_u32_e64 s[4:5], s65, v10
	v_pk_mov_b32 v[10:11], 0, 0
	s_waitcnt lgkmcnt(0)
	v_mov_b32_e32 v22, v36
	v_mov_b32_e32 v23, v37
	v_cmp_ne_u32_e32 vcc, v40, v41
	v_cmp_ne_u32_e64 s[6:7], v41, v33
	v_cmp_ne_u32_e64 s[8:9], v45, v40
	s_mov_b64 s[30:31], 0
	v_mov_b32_e32 v126, 0
	v_mov_b32_e32 v122, 0
	;; [unrolled: 1-line block ×3, first 2 shown]
	v_pk_mov_b32 v[70:71], v[10:11], v[10:11] op_sel:[0,1]
	v_pk_mov_b32 v[78:79], v[10:11], v[10:11] op_sel:[0,1]
	;; [unrolled: 1-line block ×8, first 2 shown]
	v_mov_b32_e32 v124, 0
	v_pk_mov_b32 v[38:39], v[10:11], v[10:11] op_sel:[0,1]
	v_pk_mov_b32 v[50:51], v[10:11], v[10:11] op_sel:[0,1]
	v_pk_mov_b32 v[30:31], v[10:11], v[10:11] op_sel:[0,1]
	v_pk_mov_b32 v[42:43], v[10:11], v[10:11] op_sel:[0,1]
                                        ; implicit-def: $sgpr34_sgpr35
                                        ; implicit-def: $vgpr82
                                        ; implicit-def: $vgpr84
                                        ; implicit-def: $vgpr85
	s_and_saveexec_b64 s[26:27], s[4:5]
	s_cbranch_execz .LBB1344_108
; %bb.83:
	v_cndmask_b32_e64 v10, 0, 1, s[8:9]
	v_cndmask_b32_e64 v11, 0, 1, s[6:7]
	v_lshlrev_b16_e32 v10, 8, v10
	v_lshlrev_b16_e32 v11, 8, v11
	v_cndmask_b32_e64 v20, 0, 1, vcc
	ds_read2_b64 v[42:45], v48 offset0:7 offset1:8
	v_or_b32_e32 v10, v127, v10
	v_or_b32_sdwa v11, v20, v11 dst_sel:WORD_1 dst_unused:UNUSED_PAD src0_sel:DWORD src1_sel:DWORD
	v_or_b32_sdwa v82, v10, v11 dst_sel:DWORD dst_unused:UNUSED_PAD src0_sel:WORD_0 src1_sel:DWORD
	v_add_u32_e32 v10, 8, v65
	v_cmp_gt_u32_e32 vcc, s65, v10
	v_pk_mov_b32 v[10:11], 0, 0
	v_and_b32_e32 v127, 0xffff, v82
	s_mov_b64 s[4:5], 0
	v_mov_b32_e32 v126, 0
	v_mov_b32_e32 v122, 0
	;; [unrolled: 1-line block ×3, first 2 shown]
	v_pk_mov_b32 v[70:71], v[10:11], v[10:11] op_sel:[0,1]
	v_pk_mov_b32 v[78:79], v[10:11], v[10:11] op_sel:[0,1]
	v_pk_mov_b32 v[62:63], v[10:11], v[10:11] op_sel:[0,1]
	v_pk_mov_b32 v[74:75], v[10:11], v[10:11] op_sel:[0,1]
	v_pk_mov_b32 v[54:55], v[10:11], v[10:11] op_sel:[0,1]
	v_pk_mov_b32 v[66:67], v[10:11], v[10:11] op_sel:[0,1]
	v_pk_mov_b32 v[46:47], v[10:11], v[10:11] op_sel:[0,1]
	v_pk_mov_b32 v[58:59], v[10:11], v[10:11] op_sel:[0,1]
	v_mov_b32_e32 v124, 0
	v_pk_mov_b32 v[38:39], v[10:11], v[10:11] op_sel:[0,1]
	v_pk_mov_b32 v[50:51], v[10:11], v[10:11] op_sel:[0,1]
	;; [unrolled: 1-line block ×3, first 2 shown]
                                        ; implicit-def: $sgpr6_sgpr7
                                        ; implicit-def: $vgpr84
                                        ; implicit-def: $vgpr85
	s_and_saveexec_b64 s[28:29], vcc
	s_cbranch_execz .LBB1344_107
; %bb.84:
	v_add_u32_e32 v10, 9, v65
	v_cmp_gt_u32_e32 vcc, s65, v10
	v_pk_mov_b32 v[10:11], 0, 0
	s_waitcnt lgkmcnt(0)
	v_mov_b32_e32 v30, v44
	v_mov_b32_e32 v31, v45
	v_and_b32_e32 v127, 0xffffff, v82
	s_mov_b64 s[6:7], 0
	v_mov_b32_e32 v126, 0
	v_mov_b32_e32 v122, 0
	;; [unrolled: 1-line block ×3, first 2 shown]
	v_pk_mov_b32 v[70:71], v[10:11], v[10:11] op_sel:[0,1]
	v_pk_mov_b32 v[78:79], v[10:11], v[10:11] op_sel:[0,1]
	;; [unrolled: 1-line block ×8, first 2 shown]
	v_mov_b32_e32 v124, 0
	v_pk_mov_b32 v[38:39], v[10:11], v[10:11] op_sel:[0,1]
	v_pk_mov_b32 v[50:51], v[10:11], v[10:11] op_sel:[0,1]
                                        ; implicit-def: $sgpr8_sgpr9
                                        ; implicit-def: $vgpr84
                                        ; implicit-def: $vgpr85
	s_and_saveexec_b64 s[30:31], vcc
	s_cbranch_execz .LBB1344_106
; %bb.85:
	ds_read2_b64 v[50:53], v48 offset0:9 offset1:10
	v_add_u32_e32 v10, 10, v65
	v_cmp_gt_u32_e32 vcc, s65, v10
	v_pk_mov_b32 v[10:11], 0, 0
	v_mov_b32_e32 v126, 0
	v_mov_b32_e32 v122, 0
	;; [unrolled: 1-line block ×3, first 2 shown]
	v_pk_mov_b32 v[70:71], v[10:11], v[10:11] op_sel:[0,1]
	v_pk_mov_b32 v[78:79], v[10:11], v[10:11] op_sel:[0,1]
	;; [unrolled: 1-line block ×8, first 2 shown]
	v_mov_b32_e32 v124, 0
	v_pk_mov_b32 v[38:39], v[10:11], v[10:11] op_sel:[0,1]
                                        ; implicit-def: $sgpr8_sgpr9
                                        ; implicit-def: $vgpr84
                                        ; implicit-def: $vgpr85
	s_and_saveexec_b64 s[34:35], vcc
	s_cbranch_execz .LBB1344_105
; %bb.86:
	v_cmp_ne_u32_e32 vcc, v33, v24
	v_add_u32_e32 v10, 11, v65
	v_cndmask_b32_e64 v124, 0, 1, vcc
	v_cmp_gt_u32_e32 vcc, s65, v10
	v_pk_mov_b32 v[10:11], 0, 0
	s_waitcnt lgkmcnt(0)
	v_mov_b32_e32 v38, v52
	v_mov_b32_e32 v39, v53
	s_mov_b64 s[40:41], 0
	v_mov_b32_e32 v126, 0
	v_mov_b32_e32 v122, 0
	;; [unrolled: 1-line block ×3, first 2 shown]
	v_pk_mov_b32 v[70:71], v[10:11], v[10:11] op_sel:[0,1]
	v_pk_mov_b32 v[78:79], v[10:11], v[10:11] op_sel:[0,1]
	;; [unrolled: 1-line block ×8, first 2 shown]
                                        ; implicit-def: $sgpr6_sgpr7
                                        ; implicit-def: $vgpr84
                                        ; implicit-def: $vgpr85
	s_and_saveexec_b64 s[36:37], vcc
	s_cbranch_execz .LBB1344_104
; %bb.87:
	ds_read2_b64 v[58:61], v48 offset0:11 offset1:12
	v_cmp_ne_u32_e64 s[4:5], v24, v25
	v_add_u32_e32 v10, 12, v65
	v_cndmask_b32_e64 v126, 0, 1, s[4:5]
	v_cmp_gt_u32_e64 s[4:5], s65, v10
	v_pk_mov_b32 v[10:11], 0, 0
	v_cmp_ne_u32_e32 vcc, v16, v17
	v_cmp_ne_u32_e64 s[6:7], v17, v64
	v_cmp_ne_u32_e64 s[8:9], v25, v16
	s_mov_b64 s[42:43], 0
	v_mov_b32_e32 v125, 0
	v_mov_b32_e32 v122, 0
	v_pk_mov_b32 v[70:71], v[10:11], v[10:11] op_sel:[0,1]
	v_pk_mov_b32 v[78:79], v[10:11], v[10:11] op_sel:[0,1]
	;; [unrolled: 1-line block ×7, first 2 shown]
                                        ; implicit-def: $sgpr44_sgpr45
                                        ; implicit-def: $vgpr84
                                        ; implicit-def: $vgpr85
	s_and_saveexec_b64 s[38:39], s[4:5]
	s_cbranch_execz .LBB1344_103
; %bb.88:
	v_cndmask_b32_e64 v10, 0, 1, s[8:9]
	v_cndmask_b32_e64 v11, 0, 1, s[6:7]
	v_lshlrev_b16_e32 v10, 8, v10
	v_lshlrev_b16_e32 v11, 8, v11
	v_cndmask_b32_e64 v16, 0, 1, vcc
	v_or_b32_e32 v10, v126, v10
	v_or_b32_sdwa v11, v16, v11 dst_sel:WORD_1 dst_unused:UNUSED_PAD src0_sel:DWORD src1_sel:DWORD
	v_or_b32_sdwa v84, v10, v11 dst_sel:DWORD dst_unused:UNUSED_PAD src0_sel:WORD_0 src1_sel:DWORD
	v_add_u32_e32 v10, 13, v65
	v_cmp_gt_u32_e32 vcc, s65, v10
	v_pk_mov_b32 v[10:11], 0, 0
	v_and_b32_e32 v126, 0xffff, v84
	s_waitcnt lgkmcnt(0)
	v_mov_b32_e32 v46, v60
	v_mov_b32_e32 v47, v61
	s_mov_b64 s[4:5], 0
	v_mov_b32_e32 v125, 0
	v_mov_b32_e32 v122, 0
	v_pk_mov_b32 v[70:71], v[10:11], v[10:11] op_sel:[0,1]
	v_pk_mov_b32 v[78:79], v[10:11], v[10:11] op_sel:[0,1]
	v_pk_mov_b32 v[62:63], v[10:11], v[10:11] op_sel:[0,1]
	v_pk_mov_b32 v[74:75], v[10:11], v[10:11] op_sel:[0,1]
	v_pk_mov_b32 v[54:55], v[10:11], v[10:11] op_sel:[0,1]
	v_pk_mov_b32 v[66:67], v[10:11], v[10:11] op_sel:[0,1]
                                        ; implicit-def: $sgpr6_sgpr7
                                        ; implicit-def: $vgpr85
	s_and_saveexec_b64 s[40:41], vcc
	s_cbranch_execz .LBB1344_102
; %bb.89:
	ds_read2_b64 v[66:69], v48 offset0:13 offset1:14
	v_add_u32_e32 v10, 14, v65
	s_mov_b32 s78, s74
	v_cmp_gt_u32_e32 vcc, s65, v10
	v_pk_mov_b32 v[10:11], 0, 0
	s_mov_b64 s[66:67], s[2:3]
	s_mov_b64 s[2:3], s[60:61]
	;; [unrolled: 1-line block ×6, first 2 shown]
	v_and_b32_e32 v126, 0xffffff, v84
	s_mov_b64 s[6:7], 0
	v_mov_b32_e32 v125, 0
	v_mov_b32_e32 v122, 0
	v_pk_mov_b32 v[70:71], v[10:11], v[10:11] op_sel:[0,1]
	v_pk_mov_b32 v[78:79], v[10:11], v[10:11] op_sel:[0,1]
	;; [unrolled: 1-line block ×5, first 2 shown]
                                        ; implicit-def: $sgpr8_sgpr9
                                        ; implicit-def: $vgpr85
	s_and_saveexec_b64 s[42:43], vcc
	s_cbranch_execz .LBB1344_101
; %bb.90:
	v_add_u32_e32 v10, 15, v65
	v_cmp_gt_u32_e32 vcc, s65, v10
	v_pk_mov_b32 v[10:11], 0, 0
	s_waitcnt lgkmcnt(0)
	v_mov_b32_e32 v54, v68
	v_mov_b32_e32 v55, v69
	;; [unrolled: 1-line block ×4, first 2 shown]
	v_pk_mov_b32 v[70:71], v[10:11], v[10:11] op_sel:[0,1]
	v_pk_mov_b32 v[78:79], v[10:11], v[10:11] op_sel:[0,1]
	;; [unrolled: 1-line block ×4, first 2 shown]
                                        ; implicit-def: $sgpr8_sgpr9
                                        ; implicit-def: $vgpr85
	s_and_saveexec_b64 s[44:45], vcc
	s_cbranch_execz .LBB1344_100
; %bb.91:
	ds_read2_b64 v[74:77], v48 offset0:15 offset1:16
	v_cmp_ne_u32_e32 vcc, v64, v8
	v_add_u32_e32 v10, 16, v65
	v_cndmask_b32_e64 v122, 0, 1, vcc
	v_cmp_gt_u32_e32 vcc, s65, v10
	v_pk_mov_b32 v[10:11], 0, 0
	s_mov_b64 s[56:57], 0
	v_mov_b32_e32 v125, 0
	v_pk_mov_b32 v[70:71], v[10:11], v[10:11] op_sel:[0,1]
	v_pk_mov_b32 v[78:79], v[10:11], v[10:11] op_sel:[0,1]
	;; [unrolled: 1-line block ×3, first 2 shown]
                                        ; implicit-def: $sgpr6_sgpr7
                                        ; implicit-def: $vgpr85
	s_and_saveexec_b64 s[46:47], vcc
	s_cbranch_execz .LBB1344_99
; %bb.92:
	v_cmp_ne_u32_e64 s[4:5], v8, v9
	v_add_u32_e32 v8, 17, v65
	v_pk_mov_b32 v[10:11], 0, 0
	s_waitcnt lgkmcnt(0)
	v_mov_b32_e32 v62, v76
	v_mov_b32_e32 v63, v77
	v_cmp_ne_u32_e32 vcc, v12, v13
	v_cmp_ne_u32_e64 s[6:7], v13, v4
	v_cmp_ne_u32_e64 s[8:9], v9, v12
	v_cndmask_b32_e64 v125, 0, 1, s[4:5]
	v_cmp_gt_u32_e64 s[4:5], s65, v8
	s_mov_b64 s[58:59], 0
	v_pk_mov_b32 v[70:71], v[10:11], v[10:11] op_sel:[0,1]
	v_pk_mov_b32 v[78:79], v[10:11], v[10:11] op_sel:[0,1]
                                        ; implicit-def: $sgpr60_sgpr61
                                        ; implicit-def: $vgpr85
	s_and_saveexec_b64 s[48:49], s[4:5]
	s_cbranch_execz .LBB1344_98
; %bb.93:
	v_cndmask_b32_e64 v8, 0, 1, s[8:9]
	v_cndmask_b32_e64 v9, 0, 1, s[6:7]
	ds_read2_b64 v[78:81], v48 offset0:17 offset1:18
	v_lshlrev_b16_e32 v8, 8, v8
	v_lshlrev_b16_e32 v9, 8, v9
	v_cndmask_b32_e64 v10, 0, 1, vcc
	v_or_b32_e32 v8, v125, v8
	v_or_b32_sdwa v9, v10, v9 dst_sel:WORD_1 dst_unused:UNUSED_PAD src0_sel:DWORD src1_sel:DWORD
	v_or_b32_sdwa v85, v8, v9 dst_sel:DWORD dst_unused:UNUSED_PAD src0_sel:WORD_0 src1_sel:DWORD
	v_add_u32_e32 v8, 18, v65
	v_pk_mov_b32 v[10:11], 0, 0
	v_and_b32_e32 v125, 0xffff, v85
	v_cmp_gt_u32_e32 vcc, s65, v8
	s_mov_b64 s[4:5], 0
	v_pk_mov_b32 v[70:71], v[10:11], v[10:11] op_sel:[0,1]
                                        ; implicit-def: $sgpr8_sgpr9
	s_and_saveexec_b64 s[6:7], vcc
	s_cbranch_execz .LBB1344_97
; %bb.94:
	v_add_u32_e32 v8, 19, v65
	s_waitcnt lgkmcnt(0)
	v_mov_b32_e32 v70, v80
	v_mov_b32_e32 v71, v81
	v_cmp_gt_u32_e32 vcc, s65, v8
	v_and_b32_e32 v125, 0xffffff, v85
	v_pk_mov_b32 v[10:11], 0, 0
                                        ; implicit-def: $sgpr8_sgpr9
	s_and_saveexec_b64 s[56:57], vcc
	s_xor_b64 s[56:57], exec, s[56:57]
	s_cbranch_execz .LBB1344_96
; %bb.95:
	ds_read2_b64 v[10:13], v48 offset0:19 offset1:20
	v_cmp_ne_u32_e32 vcc, v4, v5
	v_add_u32_e32 v4, 20, v65
	v_cmp_gt_u32_e64 s[4:5], s65, v4
	s_and_b64 s[8:9], vcc, exec
	s_and_b64 s[4:5], s[4:5], exec
	s_waitcnt lgkmcnt(0)
	v_pk_mov_b32 v[72:73], v[10:11], v[10:11] op_sel:[0,1]
	v_mov_b32_e32 v125, v85
.LBB1344_96:
	s_or_b64 exec, exec, s[56:57]
	s_and_b64 s[8:9], s[8:9], exec
	s_and_b64 s[58:59], s[4:5], exec
.LBB1344_97:
	s_or_b64 exec, exec, s[6:7]
	s_and_b64 s[60:61], s[8:9], exec
	s_and_b64 s[56:57], s[58:59], exec
	s_waitcnt lgkmcnt(0)
	v_pk_mov_b32 v[64:65], v[78:79], v[78:79] op_sel:[0,1]
	v_pk_mov_b32 v[56:57], v[74:75], v[74:75] op_sel:[0,1]
	;; [unrolled: 1-line block ×9, first 2 shown]
.LBB1344_98:
	s_or_b64 exec, exec, s[48:49]
	s_and_b64 s[6:7], s[60:61], exec
	s_and_b64 s[4:5], s[56:57], exec
.LBB1344_99:
	s_or_b64 exec, exec, s[46:47]
	s_and_b64 s[8:9], s[6:7], exec
	s_and_b64 s[6:7], s[4:5], exec
.LBB1344_100:
	s_or_b64 exec, exec, s[44:45]
	s_and_b64 s[8:9], s[8:9], exec
	s_and_b64 s[4:5], s[6:7], exec
	v_mov_b32_e32 v126, v84
.LBB1344_101:
	s_or_b64 exec, exec, s[42:43]
	s_mov_b64 s[58:59], s[70:71]
	s_mov_b64 s[68:69], s[72:73]
	s_and_b64 s[6:7], s[8:9], exec
	s_and_b64 s[42:43], s[4:5], exec
	s_mov_b64 s[70:71], s[74:75]
	s_mov_b64 s[72:73], s[76:77]
	s_mov_b32 s74, s78
	s_mov_b64 s[60:61], s[2:3]
	s_mov_b64 s[2:3], s[66:67]
.LBB1344_102:
	s_or_b64 exec, exec, s[40:41]
	s_and_b64 s[44:45], s[6:7], exec
	s_and_b64 s[40:41], s[42:43], exec
.LBB1344_103:
	s_or_b64 exec, exec, s[38:39]
	s_and_b64 s[6:7], s[44:45], exec
	s_and_b64 s[4:5], s[40:41], exec
.LBB1344_104:
	s_or_b64 exec, exec, s[36:37]
	s_and_b64 s[8:9], s[6:7], exec
	s_and_b64 s[6:7], s[4:5], exec
.LBB1344_105:
	s_or_b64 exec, exec, s[34:35]
	s_and_b64 s[8:9], s[8:9], exec
	s_and_b64 s[4:5], s[6:7], exec
	v_mov_b32_e32 v127, v82
.LBB1344_106:
	s_or_b64 exec, exec, s[30:31]
	s_and_b64 s[6:7], s[8:9], exec
	s_and_b64 s[30:31], s[4:5], exec
.LBB1344_107:
	s_or_b64 exec, exec, s[28:29]
	s_and_b64 s[34:35], s[6:7], exec
	s_and_b64 s[28:29], s[30:31], exec
.LBB1344_108:
	s_or_b64 exec, exec, s[26:27]
	s_and_b64 s[6:7], s[34:35], exec
	s_and_b64 s[4:5], s[28:29], exec
.LBB1344_109:
	s_or_b64 exec, exec, s[24:25]
	s_and_b64 s[8:9], s[6:7], exec
	s_and_b64 s[6:7], s[4:5], exec
.LBB1344_110:
	s_or_b64 exec, exec, s[22:23]
	s_and_b64 s[8:9], s[8:9], exec
	s_and_b64 s[4:5], s[6:7], exec
	v_mov_b32_e32 v128, v83
.LBB1344_111:
	s_or_b64 exec, exec, s[20:21]
	s_and_b64 s[6:7], s[8:9], exec
	s_and_b64 s[20:21], s[4:5], exec
.LBB1344_112:
	s_or_b64 exec, exec, s[18:19]
	s_and_b64 s[22:23], s[6:7], exec
	s_and_b64 s[18:19], s[20:21], exec
.LBB1344_113:
	s_or_b64 exec, exec, s[16:17]
	s_and_b64 s[4:5], s[22:23], exec
	s_and_b64 s[6:7], s[18:19], exec
.LBB1344_114:
	s_or_b64 exec, exec, s[14:15]
	s_and_b64 s[4:5], s[4:5], exec
	s_and_b64 s[6:7], s[6:7], exec
.LBB1344_115:
	s_or_b64 exec, exec, s[12:13]
	s_mov_b64 s[8:9], 0
	s_and_b64 vcc, exec, s[10:11]
	s_cbranch_vccnz .LBB1344_117
	s_branch .LBB1344_125
.LBB1344_116:
                                        ; implicit-def: $sgpr4_sgpr5
                                        ; implicit-def: $vgpr83
                                        ; implicit-def: $vgpr82
                                        ; implicit-def: $vgpr84
                                        ; implicit-def: $vgpr85
                                        ; implicit-def: $vgpr12_vgpr13
                                        ; implicit-def: $vgpr72_vgpr73
                                        ; implicit-def: $vgpr64_vgpr65
                                        ; implicit-def: $vgpr122
                                        ; implicit-def: $vgpr56_vgpr57
                                        ; implicit-def: $vgpr48_vgpr49
                                        ; implicit-def: $vgpr40_vgpr41
                                        ; implicit-def: $vgpr124
                                        ; implicit-def: $vgpr32_vgpr33
                                        ; implicit-def: $vgpr24_vgpr25
                                        ; implicit-def: $vgpr123
                                        ; implicit-def: $vgpr16_vgpr17
                                        ; implicit-def: $vgpr8_vgpr9
                                        ; implicit-def: $vgpr4_vgpr5
                                        ; implicit-def: $vgpr1
                                        ; implicit-def: $vgpr128
                                        ; implicit-def: $vgpr127
                                        ; implicit-def: $vgpr126
                                        ; implicit-def: $vgpr125
                                        ; implicit-def: $sgpr64
                                        ; implicit-def: $sgpr8_sgpr9
                                        ; implicit-def: $vgpr78_vgpr79
                                        ; implicit-def: $vgpr74_vgpr75
                                        ; implicit-def: $vgpr66_vgpr67
                                        ; implicit-def: $vgpr58_vgpr59
                                        ; implicit-def: $vgpr50_vgpr51
                                        ; implicit-def: $vgpr42_vgpr43
                                        ; implicit-def: $vgpr34_vgpr35
                                        ; implicit-def: $vgpr26_vgpr27
                                        ; implicit-def: $vgpr18_vgpr19
	s_and_b64 vcc, exec, s[10:11]
	s_cbranch_vccz .LBB1344_125
.LBB1344_117:
	v_lshlrev_b32_e32 v1, 2, v0
	s_waitcnt lgkmcnt(0)
	v_mov_b32_e32 v3, s51
	v_add_co_u32_e32 v2, vcc, s50, v1
	v_addc_co_u32_e32 v3, vcc, 0, v3, vcc
	s_movk_i32 s4, 0x1000
	flat_load_dword v4, v[2:3]
	flat_load_dword v5, v[2:3] offset:256
	flat_load_dword v6, v[2:3] offset:512
	;; [unrolled: 1-line block ×15, first 2 shown]
	v_add_co_u32_e32 v2, vcc, s4, v2
	v_addc_co_u32_e32 v3, vcc, 0, v3, vcc
	flat_load_dword v20, v[2:3]
	flat_load_dword v21, v[2:3] offset:256
	flat_load_dword v22, v[2:3] offset:512
	;; [unrolled: 1-line block ×4, first 2 shown]
	s_movk_i32 s4, 0x50
	v_mad_u32_u24 v23, v0, s4, v1
	s_cmp_eq_u64 s[54:55], 0
	s_waitcnt vmcnt(0) lgkmcnt(0)
	ds_write2st64_b32 v1, v4, v5 offset1:1
	ds_write2st64_b32 v1, v6, v7 offset0:2 offset1:3
	ds_write2st64_b32 v1, v8, v9 offset0:4 offset1:5
	;; [unrolled: 1-line block ×9, first 2 shown]
	ds_write_b32 v1, v25 offset:5120
	s_waitcnt lgkmcnt(0)
	; wave barrier
	s_waitcnt lgkmcnt(0)
	ds_read2_b32 v[8:9], v23 offset0:7 offset1:8
	ds_read2_b32 v[6:7], v23 offset0:5 offset1:6
	;; [unrolled: 1-line block ×3, first 2 shown]
	ds_read2_b32 v[10:11], v23 offset1:1
	ds_read2_b32 v[4:5], v23 offset0:4 offset1:9
	ds_read2_b32 v[16:17], v23 offset0:15 offset1:16
	ds_read_b32 v22, v23 offset:56
	ds_read2_b32 v[14:15], v23 offset0:12 offset1:13
	ds_read2_b32 v[12:13], v23 offset0:10 offset1:11
	;; [unrolled: 1-line block ×4, first 2 shown]
	s_cbranch_scc1 .LBB1344_122
; %bb.118:
	s_andn2_b64 vcc, exec, s[52:53]
	s_cbranch_vccnz .LBB1344_276
; %bb.119:
	v_readlane_b32 s8, v131, 4
	v_readlane_b32 s10, v131, 6
	;; [unrolled: 1-line block ×5, first 2 shown]
	s_lshl_b64 s[4:5], s[54:55], 2
	s_mov_b64 s[10:11], s[14:15]
	s_add_u32 s4, s10, s4
	s_addc_u32 s5, s11, s5
	s_add_u32 s4, s4, -4
	s_addc_u32 s5, s5, -1
	v_readlane_b32 s9, v131, 5
	v_readlane_b32 s12, v131, 8
	;; [unrolled: 1-line block ×3, first 2 shown]
	s_cbranch_execnz .LBB1344_121
.LBB1344_120:
	s_add_u32 s4, s50, -4
	s_addc_u32 s5, s51, -1
.LBB1344_121:
	s_mov_b64 s[50:51], s[4:5]
.LBB1344_122:
	v_pk_mov_b32 v[24:25], s[50:51], s[50:51] op_sel:[0,1]
	flat_load_dword v1, v[24:25]
	s_movk_i32 s4, 0xffb0
	v_mad_i32_i24 v23, v0, s4, v23
	s_waitcnt lgkmcnt(0)
	ds_write_b32 v23, v21 offset:5376
	s_waitcnt lgkmcnt(0)
	; wave barrier
	s_waitcnt lgkmcnt(0)
	s_mov_b64 s[4:5], exec
	v_readlane_b32 s6, v131, 2
	v_readlane_b32 s7, v131, 3
	s_and_b64 s[6:7], s[4:5], s[6:7]
	s_mov_b64 exec, s[6:7]
	s_cbranch_execz .LBB1344_124
; %bb.123:
	s_waitcnt vmcnt(0)
	ds_read_b32 v1, v23 offset:5372
.LBB1344_124:
	s_or_b64 exec, exec, s[4:5]
	v_lshlrev_b32_e32 v24, 3, v0
	v_mov_b32_e32 v25, s63
	v_add_co_u32_e32 v24, vcc, s62, v24
	v_addc_co_u32_e32 v25, vcc, 0, v25, vcc
	s_movk_i32 s4, 0x1000
	v_add_co_u32_e32 v42, vcc, s4, v24
	v_addc_co_u32_e32 v43, vcc, 0, v25, vcc
	s_movk_i32 s4, 0x2000
	s_waitcnt lgkmcnt(0)
	; wave barrier
	s_waitcnt lgkmcnt(0)
	flat_load_dwordx2 v[26:27], v[24:25]
	flat_load_dwordx2 v[28:29], v[24:25] offset:512
	flat_load_dwordx2 v[30:31], v[24:25] offset:1024
	flat_load_dwordx2 v[32:33], v[24:25] offset:1536
	flat_load_dwordx2 v[34:35], v[24:25] offset:2048
	flat_load_dwordx2 v[36:37], v[24:25] offset:2560
	flat_load_dwordx2 v[38:39], v[24:25] offset:3072
	flat_load_dwordx2 v[40:41], v[24:25] offset:3584
	v_add_co_u32_e32 v24, vcc, s4, v24
	v_addc_co_u32_e32 v25, vcc, 0, v25, vcc
	flat_load_dwordx2 v[44:45], v[42:43]
	flat_load_dwordx2 v[46:47], v[42:43] offset:512
	flat_load_dwordx2 v[48:49], v[42:43] offset:1024
	;; [unrolled: 1-line block ×7, first 2 shown]
	s_nop 0
	flat_load_dwordx2 v[42:43], v[24:25]
	flat_load_dwordx2 v[60:61], v[24:25] offset:512
	flat_load_dwordx2 v[62:63], v[24:25] offset:1024
	;; [unrolled: 1-line block ×4, first 2 shown]
	v_cmp_ne_u32_e32 vcc, v17, v18
	v_cmp_ne_u32_e64 s[4:5], v20, v21
	v_cndmask_b32_e64 v21, 0, 1, vcc
	v_cmp_ne_u32_e32 vcc, v16, v17
	v_cndmask_b32_e64 v17, 0, 1, vcc
	v_cmp_ne_u32_e32 vcc, v19, v20
	;; [unrolled: 2-line block ×6, first 2 shown]
	v_lshlrev_b16_e32 v16, 8, v16
	v_cndmask_b32_e64 v13, 0, 1, vcc
	v_cmp_ne_u32_e32 vcc, v15, v22
	v_or_b32_e32 v13, v13, v16
	v_cndmask_b32_e64 v16, 0, 1, vcc
	v_cmp_ne_u32_e32 vcc, v14, v15
	v_cndmask_b32_e64 v14, 0, 1, vcc
	v_cmp_ne_u32_e32 vcc, v5, v12
	;; [unrolled: 2-line block ×6, first 2 shown]
	v_lshlrev_b16_e32 v12, 8, v12
	v_lshlrev_b16_e32 v5, 8, v5
	v_cndmask_b32_e64 v8, 0, 1, vcc
	v_cmp_ne_u32_e32 vcc, v4, v6
	v_or_b32_e32 v7, v7, v12
	v_or_b32_sdwa v5, v8, v5 dst_sel:WORD_1 dst_unused:UNUSED_PAD src0_sel:DWORD src1_sel:DWORD
	v_cndmask_b32_e64 v123, 0, 1, vcc
	v_cmp_ne_u32_e32 vcc, v11, v2
	v_or_b32_sdwa v82, v7, v5 dst_sel:DWORD dst_unused:UNUSED_PAD src0_sel:WORD_0 src1_sel:DWORD
	v_cndmask_b32_e64 v5, 0, 1, vcc
	v_cmp_ne_u32_e32 vcc, v10, v11
	v_cndmask_b32_e64 v6, 0, 1, vcc
	v_cmp_ne_u32_e32 vcc, v3, v4
	v_lshlrev_b16_e32 v21, 8, v21
	v_lshlrev_b16_e32 v20, 8, v20
	v_cndmask_b32_e64 v4, 0, 1, vcc
	v_cmp_ne_u32_e32 vcc, v2, v3
	v_or_b32_e32 v17, v17, v21
	v_or_b32_sdwa v18, v18, v20 dst_sel:WORD_1 dst_unused:UNUSED_PAD src0_sel:DWORD src1_sel:DWORD
	v_lshlrev_b16_e32 v4, 8, v4
	v_cndmask_b32_e64 v2, 0, 1, vcc
	v_or_b32_sdwa v85, v17, v18 dst_sel:DWORD dst_unused:UNUSED_PAD src0_sel:WORD_0 src1_sel:DWORD
	v_lshlrev_b16_e32 v16, 8, v16
	v_or_b32_sdwa v18, v2, v4 dst_sel:WORD_1 dst_unused:UNUSED_PAD src0_sel:DWORD src1_sel:DWORD
	v_lshl_add_u32 v2, v0, 2, v23
	s_movk_i32 s6, 0xa0
	v_or_b32_sdwa v14, v14, v16 dst_sel:WORD_1 dst_unused:UNUSED_PAD src0_sel:DWORD src1_sel:DWORD
	v_lshlrev_b16_e32 v5, 8, v5
	v_mad_u32_u24 v12, v0, s6, v2
	v_or_b32_sdwa v84, v13, v14 dst_sel:DWORD dst_unused:UNUSED_PAD src0_sel:WORD_0 src1_sel:DWORD
	v_or_b32_e32 v11, v6, v5
	s_waitcnt vmcnt(0)
	v_cmp_ne_u32_e32 vcc, v1, v10
	v_or_b32_sdwa v83, v11, v18 dst_sel:DWORD dst_unused:UNUSED_PAD src0_sel:WORD_0 src1_sel:DWORD
	v_cndmask_b32_e64 v1, 0, 1, vcc
	s_mov_b64 s[6:7], -1
                                        ; implicit-def: $vgpr128
                                        ; implicit-def: $vgpr127
                                        ; implicit-def: $vgpr126
                                        ; implicit-def: $vgpr125
                                        ; implicit-def: $sgpr64
                                        ; implicit-def: $sgpr8_sgpr9
                                        ; implicit-def: $vgpr78_vgpr79
                                        ; implicit-def: $vgpr74_vgpr75
                                        ; implicit-def: $vgpr18_vgpr19
	s_waitcnt lgkmcnt(0)
	ds_write2st64_b64 v2, v[26:27], v[28:29] offset1:1
	ds_write2st64_b64 v2, v[30:31], v[32:33] offset0:2 offset1:3
	ds_write2st64_b64 v2, v[34:35], v[36:37] offset0:4 offset1:5
	;; [unrolled: 1-line block ×9, first 2 shown]
	ds_write_b64 v2, v[66:67] offset:10240
	s_waitcnt lgkmcnt(0)
	; wave barrier
	s_waitcnt lgkmcnt(0)
	ds_read2_b64 v[2:5], v12 offset1:1
	ds_read2_b64 v[6:9], v12 offset0:2 offset1:3
	ds_read2_b64 v[14:17], v12 offset0:4 offset1:5
	;; [unrolled: 1-line block ×9, first 2 shown]
	ds_read_b64 v[12:13], v12 offset:160
                                        ; implicit-def: $vgpr66_vgpr67
                                        ; implicit-def: $vgpr58_vgpr59
                                        ; implicit-def: $vgpr50_vgpr51
                                        ; implicit-def: $vgpr42_vgpr43
                                        ; implicit-def: $vgpr34_vgpr35
                                        ; implicit-def: $vgpr26_vgpr27
.LBB1344_125:
	s_waitcnt lgkmcnt(0)
	v_pk_mov_b32 v[20:21], s[8:9], s[8:9] op_sel:[0,1]
	v_mov_b32_e32 v28, s64
	s_and_saveexec_b64 s[8:9], s[6:7]
	s_cbranch_execz .LBB1344_127
; %bb.126:
	v_cndmask_b32_e64 v28, 0, 1, s[4:5]
	v_pk_mov_b32 v[18:19], v[4:5], v[4:5] op_sel:[0,1]
	v_pk_mov_b32 v[26:27], v[8:9], v[8:9] op_sel:[0,1]
	;; [unrolled: 1-line block ×11, first 2 shown]
	v_mov_b32_e32 v125, v85
	v_mov_b32_e32 v126, v84
	;; [unrolled: 1-line block ×4, first 2 shown]
.LBB1344_127:
	s_or_b64 exec, exec, s[8:9]
	v_and_b32_e32 v129, 1, v123
	v_and_b32_e32 v40, 1, v124
	;; [unrolled: 1-line block ×4, first 2 shown]
	s_cmp_lg_u32 s33, 0
	v_lshrrev_b32_e32 v130, 8, v128
	v_cmp_eq_u32_e32 vcc, 1, v129
	v_lshrrev_b32_e32 v41, 8, v127
	v_cmp_eq_u32_e64 s[48:49], 1, v40
	v_lshrrev_b32_e32 v37, 8, v126
	v_cmp_eq_u32_e64 s[50:51], 1, v33
	;; [unrolled: 2-line block ×3, first 2 shown]
	v_mbcnt_lo_u32_b32 v29, -1, 0
	s_waitcnt lgkmcnt(0)
	; wave barrier
	s_cbranch_scc0 .LBB1344_186
; %bb.128:
	v_mov_b32_e32 v4, 0
	v_cmp_eq_u16_sdwa s[6:7], v128, v4 src0_sel:BYTE_0 src1_sel:DWORD
	v_cndmask_b32_e64 v9, 0, v2, s[6:7]
	v_and_b32_e32 v12, 1, v128
	s_movk_i32 s44, 0xff
	v_cndmask_b32_e64 v5, 0, v3, s[6:7]
	v_add_co_u32_e64 v9, s[4:5], v9, v18
	v_cmp_eq_u32_e64 s[52:53], 1, v12
	v_cmp_eq_u16_sdwa s[90:91], v130, v4 src0_sel:BYTE_0 src1_sel:DWORD
	v_and_b32_e32 v12, 0x100, v128
	v_addc_co_u32_e64 v5, s[4:5], v5, v19, s[4:5]
	v_cndmask_b32_e64 v9, 0, v9, s[90:91]
	v_cmp_ne_u32_e64 s[56:57], 0, v12
	v_and_b32_sdwa v12, v128, s44 dst_sel:DWORD dst_unused:UNUSED_PAD src0_sel:WORD_1 src1_sel:DWORD
	v_cndmask_b32_e64 v5, 0, v5, s[90:91]
	v_add_co_u32_e64 v9, s[4:5], v9, v6
	v_cmp_eq_u16_e64 s[92:93], 0, v12
	v_addc_co_u32_e64 v5, s[4:5], v5, v7, s[4:5]
	v_cndmask_b32_e64 v9, 0, v9, s[92:93]
	v_cndmask_b32_e64 v5, 0, v5, s[92:93]
	v_add_co_u32_e64 v9, s[4:5], v9, v26
	v_cmp_eq_u16_sdwa s[66:67], v128, v4 src0_sel:BYTE_3 src1_sel:DWORD
	v_addc_co_u32_e64 v5, s[4:5], v5, v27, s[4:5]
	v_cndmask_b32_e64 v9, 0, v9, s[66:67]
	v_cndmask_b32_e64 v5, 0, v5, s[66:67]
	v_add_co_u32_e64 v9, s[4:5], v9, v14
	v_cmp_eq_u16_sdwa s[16:17], v123, v4 src0_sel:BYTE_0 src1_sel:DWORD
	v_writelane_b32 v131, s2, 15
	v_and_b32_e32 v12, 0x10000, v128
	v_addc_co_u32_e64 v5, s[4:5], v5, v15, s[4:5]
	v_cndmask_b32_e64 v9, 0, v9, s[16:17]
	v_writelane_b32 v131, s3, 16
	s_mov_b64 s[94:95], s[58:59]
	v_cmp_ne_u32_e64 s[58:59], 0, v12
	v_and_b32_e32 v12, 0x1000000, v128
	v_cndmask_b32_e64 v5, 0, v5, s[16:17]
	v_add_co_u32_e64 v9, s[4:5], v9, v34
	v_cmp_eq_u16_sdwa s[2:3], v127, v4 src0_sel:BYTE_0 src1_sel:DWORD
	s_mov_b64 s[0:1], s[60:61]
	v_cmp_ne_u32_e64 s[60:61], 0, v12
	v_addc_co_u32_e64 v5, s[4:5], v5, v35, s[4:5]
	v_cndmask_b32_e64 v9, 0, v9, s[2:3]
	v_and_b32_e32 v12, 1, v127
	v_cndmask_b32_e64 v5, 0, v5, s[2:3]
	v_add_co_u32_e64 v9, s[4:5], v9, v22
	v_cmp_eq_u32_e64 s[62:63], 1, v12
	v_cmp_eq_u16_sdwa s[18:19], v41, v4 src0_sel:BYTE_0 src1_sel:DWORD
	v_and_b32_e32 v12, 0x100, v127
	v_addc_co_u32_e64 v5, s[4:5], v5, v23, s[4:5]
	v_cndmask_b32_e64 v9, 0, v9, s[18:19]
	v_cmp_ne_u32_e64 s[64:65], 0, v12
	v_and_b32_sdwa v12, v127, s44 dst_sel:DWORD dst_unused:UNUSED_PAD src0_sel:WORD_1 src1_sel:DWORD
	v_cndmask_b32_e64 v5, 0, v5, s[18:19]
	v_add_co_u32_e64 v9, s[4:5], v9, v42
	v_cmp_eq_u16_e64 s[20:21], 0, v12
	v_addc_co_u32_e64 v5, s[4:5], v5, v43, s[4:5]
	v_cndmask_b32_e64 v9, 0, v9, s[20:21]
	v_cndmask_b32_e64 v5, 0, v5, s[20:21]
	v_add_co_u32_e64 v9, s[4:5], v9, v30
	v_cmp_eq_u16_sdwa s[22:23], v127, v4 src0_sel:BYTE_3 src1_sel:DWORD
	v_addc_co_u32_e64 v5, s[4:5], v5, v31, s[4:5]
	v_cndmask_b32_e64 v9, 0, v9, s[22:23]
	v_cndmask_b32_e64 v5, 0, v5, s[22:23]
	v_add_co_u32_e64 v9, s[24:25], v9, v50
	v_cmp_eq_u16_sdwa s[26:27], v124, v4 src0_sel:BYTE_0 src1_sel:DWORD
	v_addc_co_u32_e64 v5, s[24:25], v5, v51, s[24:25]
	v_cndmask_b32_e64 v9, 0, v9, s[26:27]
	v_cndmask_b32_e64 v5, 0, v5, s[26:27]
	v_add_co_u32_e64 v9, s[24:25], v9, v38
	v_addc_co_u32_e64 v5, s[24:25], v5, v39, s[24:25]
	v_cmp_eq_u16_sdwa s[24:25], v126, v4 src0_sel:BYTE_0 src1_sel:DWORD
	v_cndmask_b32_e64 v9, 0, v9, s[24:25]
	v_cndmask_b32_e64 v5, 0, v5, s[24:25]
	v_add_co_u32_e64 v9, s[28:29], v9, v58
	v_and_b32_e32 v12, 0x10000, v127
	v_addc_co_u32_e64 v5, s[28:29], v5, v59, s[28:29]
	s_mov_b64 s[8:9], s[68:69]
	v_cmp_ne_u32_e64 s[4:5], 0, v12
	v_and_b32_e32 v12, 0x1000000, v127
	v_cmp_eq_u16_sdwa s[28:29], v37, v4 src0_sel:BYTE_0 src1_sel:DWORD
	s_mov_b64 s[10:11], s[70:71]
	s_mov_b64 s[12:13], s[72:73]
	s_mov_b32 s14, s74
	v_cmp_ne_u32_e64 s[68:69], 0, v12
	v_and_b32_e32 v12, 1, v126
	v_cndmask_b32_e64 v9, 0, v9, s[28:29]
	v_cmp_eq_u32_e64 s[70:71], 1, v12
	v_cndmask_b32_e64 v5, 0, v5, s[28:29]
	v_add_co_u32_e64 v9, s[30:31], v9, v46
	v_and_b32_e32 v12, 0x100, v126
	v_addc_co_u32_e64 v5, s[30:31], v5, v47, s[30:31]
	v_cmp_ne_u32_e64 s[72:73], 0, v12
	v_and_b32_sdwa v12, v126, s44 dst_sel:DWORD dst_unused:UNUSED_PAD src0_sel:WORD_1 src1_sel:DWORD
	v_cmp_eq_u16_e64 s[30:31], 0, v12
	v_cndmask_b32_e64 v9, 0, v9, s[30:31]
	v_cndmask_b32_e64 v5, 0, v5, s[30:31]
	v_add_co_u32_e64 v9, s[34:35], v9, v66
	v_addc_co_u32_e64 v5, s[34:35], v5, v67, s[34:35]
	v_cmp_eq_u16_sdwa s[34:35], v126, v4 src0_sel:BYTE_3 src1_sel:DWORD
	v_cndmask_b32_e64 v9, 0, v9, s[34:35]
	v_cndmask_b32_e64 v5, 0, v5, s[34:35]
	v_add_co_u32_e64 v9, s[36:37], v9, v54
	v_cmp_eq_u16_sdwa s[38:39], v122, v4 src0_sel:BYTE_0 src1_sel:DWORD
	v_addc_co_u32_e64 v5, s[36:37], v5, v55, s[36:37]
	v_cndmask_b32_e64 v9, 0, v9, s[38:39]
	v_cndmask_b32_e64 v5, 0, v5, s[38:39]
	v_add_co_u32_e64 v9, s[36:37], v9, v74
	v_addc_co_u32_e64 v5, s[36:37], v5, v75, s[36:37]
	v_cmp_eq_u16_sdwa s[36:37], v125, v4 src0_sel:BYTE_0 src1_sel:DWORD
	v_cndmask_b32_e64 v9, 0, v9, s[36:37]
	v_cndmask_b32_e64 v5, 0, v5, s[36:37]
	v_add_co_u32_e64 v9, s[40:41], v9, v62
	v_and_b32_e32 v12, 0x10000, v126
	v_addc_co_u32_e64 v5, s[40:41], v5, v63, s[40:41]
	v_cmp_ne_u32_e64 s[74:75], 0, v12
	v_and_b32_e32 v12, 0x1000000, v126
	v_cmp_eq_u16_sdwa s[40:41], v36, v4 src0_sel:BYTE_0 src1_sel:DWORD
	v_cmp_ne_u32_e64 s[76:77], 0, v12
	v_and_b32_e32 v12, 1, v125
	v_cndmask_b32_e64 v9, 0, v9, s[40:41]
	v_cmp_eq_u32_e64 s[78:79], 1, v12
	v_cndmask_b32_e64 v5, 0, v5, s[40:41]
	v_add_co_u32_e64 v9, s[42:43], v9, v78
	v_and_b32_e32 v12, 0x100, v125
	v_addc_co_u32_e64 v5, s[42:43], v5, v79, s[42:43]
	v_cmp_ne_u32_e64 s[80:81], 0, v12
	v_and_b32_sdwa v12, v125, s44 dst_sel:DWORD dst_unused:UNUSED_PAD src0_sel:WORD_1 src1_sel:DWORD
	v_cmp_eq_u16_e64 s[42:43], 0, v12
	v_and_b32_e32 v12, 0x10000, v125
	v_cmp_ne_u32_e64 s[82:83], 0, v12
	v_and_b32_e32 v12, 0x1000000, v125
	v_cmp_ne_u32_e64 s[84:85], 0, v12
	s_or_b64 s[54:55], s[54:55], s[84:85]
	s_or_b64 s[54:55], s[54:55], s[82:83]
	;; [unrolled: 1-line block ×9, first 2 shown]
	v_cndmask_b32_e64 v9, 0, v9, s[42:43]
	s_or_b64 s[48:49], s[50:51], s[48:49]
	v_cndmask_b32_e64 v5, 0, v5, s[42:43]
	v_add_co_u32_e64 v9, s[44:45], v9, v70
	s_or_b64 s[48:49], s[48:49], s[68:69]
	v_addc_co_u32_e64 v5, s[44:45], v5, v71, s[44:45]
	s_or_b64 s[4:5], s[48:49], s[4:5]
	v_cmp_eq_u16_sdwa s[44:45], v125, v4 src0_sel:BYTE_3 src1_sel:DWORD
	s_or_b64 s[4:5], s[4:5], s[64:65]
	v_cndmask_b32_e64 v9, 0, v9, s[44:45]
	s_or_b64 s[4:5], s[4:5], s[62:63]
	v_cndmask_b32_e64 v5, 0, v5, s[44:45]
	v_add_co_u32_e64 v9, s[46:47], v9, v10
	s_or_b64 s[4:5], s[4:5], vcc
	v_addc_co_u32_e64 v5, s[46:47], v5, v11, s[46:47]
	s_or_b64 s[4:5], s[4:5], s[60:61]
	v_cmp_eq_u16_sdwa s[46:47], v28, v4 src0_sel:BYTE_0 src1_sel:DWORD
	s_or_b64 s[4:5], s[4:5], s[58:59]
	v_cndmask_b32_e64 v4, 0, v9, s[46:47]
	s_or_b64 s[4:5], s[4:5], s[56:57]
	v_and_b32_e32 v8, 0xff, v1
	v_cndmask_b32_e64 v5, 0, v5, s[46:47]
	v_add_co_u32_e64 v4, s[86:87], v4, v20
	s_or_b64 s[4:5], s[4:5], s[52:53]
	v_mbcnt_hi_u32_b32 v9, -1, v29
	v_addc_co_u32_e64 v5, s[86:87], v5, v21, s[86:87]
	v_cndmask_b32_e64 v8, v8, 1, s[4:5]
	v_and_b32_e32 v12, 15, v9
	v_mov_b32_dpp v16, v4 row_shr:1 row_mask:0xf bank_mask:0xf
	v_mov_b32_dpp v17, v5 row_shr:1 row_mask:0xf bank_mask:0xf
	;; [unrolled: 1-line block ×3, first 2 shown]
	v_cmp_ne_u32_e32 vcc, 0, v12
	s_and_saveexec_b64 s[4:5], vcc
; %bb.129:
	v_cmp_eq_u32_e32 vcc, 0, v8
	v_cndmask_b32_e32 v16, 0, v16, vcc
	v_cndmask_b32_e32 v17, 0, v17, vcc
	v_add_co_u32_e32 v4, vcc, v16, v4
	v_addc_co_u32_e32 v5, vcc, v17, v5, vcc
	v_and_or_b32 v8, v13, 1, v8
; %bb.130:
	s_or_b64 exec, exec, s[4:5]
	v_mov_b32_dpp v16, v4 row_shr:2 row_mask:0xf bank_mask:0xf
	v_mov_b32_dpp v17, v5 row_shr:2 row_mask:0xf bank_mask:0xf
	;; [unrolled: 1-line block ×3, first 2 shown]
	v_cmp_lt_u32_e32 vcc, 1, v12
	s_and_saveexec_b64 s[4:5], vcc
; %bb.131:
	v_cmp_eq_u32_e32 vcc, 0, v8
	v_cndmask_b32_e32 v16, 0, v16, vcc
	v_cndmask_b32_e32 v17, 0, v17, vcc
	v_add_co_u32_e32 v4, vcc, v16, v4
	v_or_b32_e32 v8, v13, v8
	v_addc_co_u32_e32 v5, vcc, v17, v5, vcc
	v_and_b32_e32 v8, 1, v8
; %bb.132:
	s_or_b64 exec, exec, s[4:5]
	v_mov_b32_dpp v16, v4 row_shr:4 row_mask:0xf bank_mask:0xf
	v_mov_b32_dpp v17, v5 row_shr:4 row_mask:0xf bank_mask:0xf
	v_mov_b32_dpp v13, v8 row_shr:4 row_mask:0xf bank_mask:0xf
	v_cmp_lt_u32_e32 vcc, 3, v12
	s_and_saveexec_b64 s[4:5], vcc
	s_mov_b32 s74, s14
	s_mov_b64 s[58:59], s[94:95]
	s_mov_b64 s[72:73], s[12:13]
	;; [unrolled: 1-line block ×5, first 2 shown]
; %bb.133:
	v_cmp_eq_u32_e32 vcc, 0, v8
	v_cndmask_b32_e32 v16, 0, v16, vcc
	v_cndmask_b32_e32 v17, 0, v17, vcc
	v_add_co_u32_e32 v4, vcc, v16, v4
	v_or_b32_e32 v8, v13, v8
	v_addc_co_u32_e32 v5, vcc, v17, v5, vcc
	v_and_b32_e32 v8, 1, v8
; %bb.134:
	s_or_b64 exec, exec, s[4:5]
	v_mov_b32_dpp v16, v4 row_shr:8 row_mask:0xf bank_mask:0xf
	v_mov_b32_dpp v17, v5 row_shr:8 row_mask:0xf bank_mask:0xf
	;; [unrolled: 1-line block ×3, first 2 shown]
	v_cmp_lt_u32_e32 vcc, 7, v12
	s_and_saveexec_b64 s[4:5], vcc
; %bb.135:
	v_cmp_eq_u32_e32 vcc, 0, v8
	v_cndmask_b32_e32 v16, 0, v16, vcc
	v_cndmask_b32_e32 v12, 0, v17, vcc
	v_add_co_u32_e32 v4, vcc, v16, v4
	v_or_b32_e32 v8, v13, v8
	v_addc_co_u32_e32 v5, vcc, v12, v5, vcc
	v_and_b32_e32 v8, 1, v8
; %bb.136:
	s_or_b64 exec, exec, s[4:5]
	v_and_b32_e32 v17, 16, v9
	v_mov_b32_dpp v13, v4 row_bcast:15 row_mask:0xf bank_mask:0xf
	v_mov_b32_dpp v16, v5 row_bcast:15 row_mask:0xf bank_mask:0xf
	;; [unrolled: 1-line block ×3, first 2 shown]
	v_cmp_ne_u32_e32 vcc, 0, v17
	s_and_saveexec_b64 s[4:5], vcc
; %bb.137:
	v_cmp_eq_u32_e32 vcc, 0, v8
	v_cndmask_b32_e32 v13, 0, v13, vcc
	v_cndmask_b32_e32 v16, 0, v16, vcc
	v_add_co_u32_e32 v4, vcc, v13, v4
	v_or_b32_e32 v8, v12, v8
	v_addc_co_u32_e32 v5, vcc, v16, v5, vcc
	v_and_b32_e32 v8, 1, v8
; %bb.138:
	s_or_b64 exec, exec, s[4:5]
	v_mov_b32_dpp v16, v4 row_bcast:31 row_mask:0xf bank_mask:0xf
	v_mov_b32_dpp v17, v5 row_bcast:31 row_mask:0xf bank_mask:0xf
	;; [unrolled: 1-line block ×3, first 2 shown]
	v_cmp_lt_u32_e32 vcc, 31, v9
	v_mov_b32_e32 v12, v8
	s_and_saveexec_b64 s[4:5], vcc
; %bb.139:
	v_cmp_eq_u32_e32 vcc, 0, v8
	v_cndmask_b32_e32 v16, 0, v16, vcc
	v_cndmask_b32_e32 v12, 0, v17, vcc
	v_add_co_u32_e32 v4, vcc, v16, v4
	v_or_b32_e32 v8, v13, v8
	v_addc_co_u32_e32 v5, vcc, v12, v5, vcc
	v_and_b32_e32 v12, 1, v8
	v_and_b32_e32 v8, 1, v8
; %bb.140:
	s_or_b64 exec, exec, s[4:5]
	v_cmp_eq_u32_e32 vcc, 63, v0
	s_and_saveexec_b64 s[4:5], vcc
	s_cbranch_execz .LBB1344_142
; %bb.141:
	v_mov_b32_e32 v13, 0
	ds_write_b64 v13, v[4:5]
	ds_write_b8 v13, v12 offset:8
.LBB1344_142:
	s_or_b64 exec, exec, s[4:5]
	v_add_u32_e32 v12, -1, v9
	v_and_b32_e32 v13, 64, v9
	v_cmp_lt_i32_e32 vcc, v12, v13
	v_cndmask_b32_e32 v12, v12, v9, vcc
	v_lshlrev_b32_e32 v12, 2, v12
	ds_bpermute_b32 v45, v12, v4
	ds_bpermute_b32 v48, v12, v5
	;; [unrolled: 1-line block ×3, first 2 shown]
	v_cmp_gt_u32_e32 vcc, 64, v0
	s_waitcnt lgkmcnt(0)
	; wave barrier
	s_waitcnt lgkmcnt(0)
	s_and_saveexec_b64 s[50:51], vcc
	s_cbranch_execz .LBB1344_185
; %bb.143:
	v_mov_b32_e32 v13, 0
	ds_read_b64 v[4:5], v13
	ds_read_u8 v49, v13 offset:8
	s_mov_b32 s53, 0
	v_cmp_eq_u32_e64 s[48:49], 0, v9
	s_and_saveexec_b64 s[4:5], s[48:49]
	s_cbranch_execz .LBB1344_145
; %bb.144:
	s_add_i32 s52, s33, 64
	s_lshl_b64 s[54:55], s[52:53], 4
	s_add_u32 s54, s68, s54
	s_addc_u32 s55, s69, s55
	v_mov_b32_e32 v8, s52
	v_mov_b32_e32 v12, 1
	s_waitcnt lgkmcnt(1)
	global_store_dwordx2 v13, v[4:5], s[54:55]
	s_waitcnt lgkmcnt(0)
	global_store_byte v13, v49, s[54:55] offset:8
	s_waitcnt vmcnt(0)
	buffer_wbinvl1_vol
	global_store_byte v8, v12, s[72:73]
.LBB1344_145:
	s_or_b64 exec, exec, s[4:5]
	v_xad_u32 v8, v9, -1, s33
	v_add_u32_e32 v12, 64, v8
	global_load_ubyte v52, v12, s[72:73] glc
	s_waitcnt vmcnt(0)
	v_cmp_eq_u16_e32 vcc, 0, v52
	s_and_saveexec_b64 s[4:5], vcc
	s_cbranch_execz .LBB1344_149
; %bb.146:
	v_mov_b32_e32 v17, s73
	v_add_co_u32_e32 v16, vcc, s72, v12
	v_addc_co_u32_e32 v17, vcc, 0, v17, vcc
	s_mov_b64 s[52:53], 0
.LBB1344_147:                           ; =>This Inner Loop Header: Depth=1
	global_load_ubyte v52, v[16:17], off glc
	s_waitcnt vmcnt(0)
	v_cmp_ne_u16_e32 vcc, 0, v52
	s_or_b64 s[52:53], vcc, s[52:53]
	s_andn2_b64 exec, exec, s[52:53]
	s_cbranch_execnz .LBB1344_147
; %bb.148:
	s_or_b64 exec, exec, s[52:53]
.LBB1344_149:
	s_or_b64 exec, exec, s[4:5]
	v_mov_b32_e32 v16, s71
	v_mov_b32_e32 v17, s69
	v_cmp_eq_u16_e32 vcc, 1, v52
	v_cndmask_b32_e32 v16, v16, v17, vcc
	v_mov_b32_e32 v17, s70
	v_mov_b32_e32 v24, s68
	v_cndmask_b32_e32 v17, v17, v24, vcc
	v_lshlrev_b64 v[12:13], 4, v[12:13]
	v_add_co_u32_e32 v12, vcc, v17, v12
	v_addc_co_u32_e32 v13, vcc, v16, v13, vcc
	s_waitcnt lgkmcnt(0)
	buffer_wbinvl1_vol
	global_load_dwordx2 v[24:25], v[12:13], off
	global_load_ubyte v81, v[12:13], off offset:8
	v_cmp_eq_u16_e32 vcc, 2, v52
	v_lshlrev_b64 v[12:13], v9, -1
	v_and_b32_e32 v53, 63, v9
	v_and_b32_e32 v16, vcc_hi, v13
	v_and_b32_e32 v64, vcc_lo, v12
	v_cmp_ne_u32_e32 vcc, 63, v53
	v_addc_co_u32_e32 v17, vcc, 0, v9, vcc
	v_lshlrev_b32_e32 v56, 2, v17
	v_or_b32_e32 v16, 0x80000000, v16
	v_ffbl_b32_e32 v16, v16
	v_add_u32_e32 v16, 32, v16
	v_ffbl_b32_e32 v64, v64
	v_min_u32_e32 v16, v64, v16
	v_cmp_lt_u32_e32 vcc, v53, v16
	s_waitcnt vmcnt(1)
	ds_bpermute_b32 v60, v56, v24
	s_waitcnt vmcnt(0)
	v_and_b32_e32 v17, 1, v81
	ds_bpermute_b32 v61, v56, v25
	ds_bpermute_b32 v57, v56, v17
	s_and_saveexec_b64 s[4:5], vcc
	s_cbranch_execz .LBB1344_151
; %bb.150:
	v_mov_b32_e32 v17, 0
	v_cmp_eq_u16_sdwa vcc, v81, v17 src0_sel:BYTE_0 src1_sel:DWORD
	s_waitcnt lgkmcnt(2)
	v_cndmask_b32_e32 v60, 0, v60, vcc
	s_waitcnt lgkmcnt(1)
	v_cndmask_b32_e32 v17, 0, v61, vcc
	v_add_co_u32_e32 v24, vcc, v60, v24
	v_addc_co_u32_e32 v25, vcc, v17, v25, vcc
	s_waitcnt lgkmcnt(0)
	v_and_b32_e32 v17, 1, v57
	v_or_b32_e32 v81, v17, v81
	v_and_b32_e32 v17, 0xff, v81
.LBB1344_151:
	s_or_b64 exec, exec, s[4:5]
	v_cmp_gt_u32_e32 vcc, 62, v53
	s_waitcnt lgkmcnt(0)
	v_cndmask_b32_e64 v57, 0, 1, vcc
	v_lshlrev_b32_e32 v57, 1, v57
	v_add_lshl_u32 v57, v57, v9, 2
	ds_bpermute_b32 v64, v57, v24
	ds_bpermute_b32 v65, v57, v25
	ds_bpermute_b32 v61, v57, v17
	v_add_u32_e32 v60, 2, v53
	v_cmp_le_u32_e32 vcc, v60, v16
	s_and_saveexec_b64 s[52:53], vcc
	s_cbranch_execz .LBB1344_153
; %bb.152:
	v_mov_b32_e32 v17, 0
	v_cmp_eq_u16_sdwa vcc, v81, v17 src0_sel:BYTE_0 src1_sel:DWORD
	s_waitcnt lgkmcnt(2)
	v_cndmask_b32_e32 v64, 0, v64, vcc
	s_waitcnt lgkmcnt(1)
	v_cndmask_b32_e32 v17, 0, v65, vcc
	v_add_co_u32_e32 v24, vcc, v64, v24
	v_addc_co_u32_e32 v25, vcc, v17, v25, vcc
	v_and_b32_e32 v17, 1, v81
	v_cmp_eq_u32_e32 vcc, 1, v17
	s_waitcnt lgkmcnt(0)
	v_and_b32_e32 v17, 1, v61
	v_cmp_eq_u32_e64 s[4:5], 1, v17
	s_or_b64 s[4:5], vcc, s[4:5]
	v_cndmask_b32_e64 v81, 0, 1, s[4:5]
	v_cndmask_b32_e64 v17, 0, 1, s[4:5]
.LBB1344_153:
	s_or_b64 exec, exec, s[52:53]
	v_cmp_gt_u32_e32 vcc, 60, v53
	s_waitcnt lgkmcnt(0)
	v_cndmask_b32_e64 v61, 0, 1, vcc
	v_lshlrev_b32_e32 v61, 2, v61
	v_add_lshl_u32 v61, v61, v9, 2
	ds_bpermute_b32 v68, v61, v24
	ds_bpermute_b32 v69, v61, v25
	ds_bpermute_b32 v65, v61, v17
	v_add_u32_e32 v64, 4, v53
	v_cmp_le_u32_e32 vcc, v64, v16
	s_and_saveexec_b64 s[52:53], vcc
	s_cbranch_execz .LBB1344_155
; %bb.154:
	v_mov_b32_e32 v17, 0
	v_cmp_eq_u16_sdwa vcc, v81, v17 src0_sel:BYTE_0 src1_sel:DWORD
	s_waitcnt lgkmcnt(2)
	v_cndmask_b32_e32 v68, 0, v68, vcc
	s_waitcnt lgkmcnt(1)
	v_cndmask_b32_e32 v17, 0, v69, vcc
	v_add_co_u32_e32 v24, vcc, v68, v24
	v_addc_co_u32_e32 v25, vcc, v17, v25, vcc
	v_and_b32_e32 v17, 1, v81
	v_cmp_eq_u32_e32 vcc, 1, v17
	s_waitcnt lgkmcnt(0)
	v_and_b32_e32 v17, 1, v65
	v_cmp_eq_u32_e64 s[4:5], 1, v17
	s_or_b64 s[4:5], vcc, s[4:5]
	v_cndmask_b32_e64 v81, 0, 1, s[4:5]
	v_cndmask_b32_e64 v17, 0, 1, s[4:5]
.LBB1344_155:
	;; [unrolled: 31-line block ×4, first 2 shown]
	s_or_b64 exec, exec, s[52:53]
	v_cmp_gt_u32_e32 vcc, 32, v53
	s_waitcnt lgkmcnt(0)
	v_cndmask_b32_e64 v73, 0, 1, vcc
	v_lshlrev_b32_e32 v73, 5, v73
	v_add_lshl_u32 v76, v73, v9, 2
	ds_bpermute_b32 v73, v76, v24
	ds_bpermute_b32 v80, v76, v25
	;; [unrolled: 1-line block ×3, first 2 shown]
	v_add_u32_e32 v77, 32, v53
	v_cmp_le_u32_e32 vcc, v77, v16
	s_and_saveexec_b64 s[52:53], vcc
	s_cbranch_execz .LBB1344_161
; %bb.160:
	v_mov_b32_e32 v16, 0
	v_cmp_eq_u16_sdwa vcc, v81, v16 src0_sel:BYTE_0 src1_sel:DWORD
	s_waitcnt lgkmcnt(2)
	v_cndmask_b32_e32 v17, 0, v73, vcc
	s_waitcnt lgkmcnt(1)
	v_cndmask_b32_e32 v16, 0, v80, vcc
	v_add_co_u32_e32 v24, vcc, v17, v24
	v_addc_co_u32_e32 v25, vcc, v16, v25, vcc
	v_and_b32_e32 v16, 1, v81
	s_waitcnt lgkmcnt(0)
	v_and_b32_e32 v9, 1, v9
	v_cmp_eq_u32_e32 vcc, 1, v16
	v_cmp_eq_u32_e64 s[4:5], 1, v9
	s_or_b64 s[4:5], vcc, s[4:5]
	v_cndmask_b32_e64 v81, 0, 1, s[4:5]
.LBB1344_161:
	s_or_b64 exec, exec, s[52:53]
	s_waitcnt lgkmcnt(0)
	v_mov_b32_e32 v9, 0
	v_mov_b32_e32 v80, 2
	s_branch .LBB1344_163
.LBB1344_162:                           ;   in Loop: Header=BB1344_163 Depth=1
	s_or_b64 exec, exec, s[54:55]
	v_cmp_eq_u16_sdwa vcc, v73, v9 src0_sel:BYTE_0 src1_sel:DWORD
	v_cndmask_b32_e32 v24, 0, v24, vcc
	v_cndmask_b32_e32 v25, 0, v25, vcc
	v_add_co_u32_e32 v24, vcc, v24, v16
	v_addc_co_u32_e32 v25, vcc, v25, v17, vcc
	v_and_b32_e32 v81, 1, v73
	v_cmp_eq_u32_e32 vcc, 1, v81
	s_or_b64 s[4:5], vcc, s[52:53]
	v_subrev_u32_e32 v8, 64, v8
	v_cndmask_b32_e64 v81, 0, 1, s[4:5]
.LBB1344_163:                           ; =>This Loop Header: Depth=1
                                        ;     Child Loop BB1344_166 Depth 2
	v_cmp_ne_u16_sdwa s[4:5], v52, v80 src0_sel:BYTE_0 src1_sel:DWORD
	v_cndmask_b32_e64 v16, 0, 1, s[4:5]
	;;#ASMSTART
	;;#ASMEND
	v_cmp_ne_u32_e32 vcc, 0, v16
	v_mov_b32_e32 v73, v81
	s_cmp_lg_u64 vcc, exec
	v_pk_mov_b32 v[16:17], v[24:25], v[24:25] op_sel:[0,1]
	s_cbranch_scc1 .LBB1344_180
; %bb.164:                              ;   in Loop: Header=BB1344_163 Depth=1
	global_load_ubyte v52, v8, s[72:73] glc
	s_waitcnt vmcnt(0)
	v_cmp_eq_u16_e32 vcc, 0, v52
	s_and_saveexec_b64 s[4:5], vcc
	s_cbranch_execz .LBB1344_168
; %bb.165:                              ;   in Loop: Header=BB1344_163 Depth=1
	v_mov_b32_e32 v25, s73
	v_add_co_u32_e32 v24, vcc, s72, v8
	v_addc_co_u32_e32 v25, vcc, 0, v25, vcc
	s_mov_b64 s[52:53], 0
.LBB1344_166:                           ;   Parent Loop BB1344_163 Depth=1
                                        ; =>  This Inner Loop Header: Depth=2
	global_load_ubyte v52, v[24:25], off glc
	s_waitcnt vmcnt(0)
	v_cmp_ne_u16_e32 vcc, 0, v52
	s_or_b64 s[52:53], vcc, s[52:53]
	s_andn2_b64 exec, exec, s[52:53]
	s_cbranch_execnz .LBB1344_166
; %bb.167:                              ;   in Loop: Header=BB1344_163 Depth=1
	s_or_b64 exec, exec, s[52:53]
.LBB1344_168:                           ;   in Loop: Header=BB1344_163 Depth=1
	s_or_b64 exec, exec, s[4:5]
	v_mov_b32_e32 v24, s71
	v_mov_b32_e32 v25, s69
	v_cmp_eq_u16_e32 vcc, 1, v52
	v_cndmask_b32_e32 v81, v24, v25, vcc
	v_mov_b32_e32 v24, s70
	v_mov_b32_e32 v25, s68
	v_cndmask_b32_e32 v82, v24, v25, vcc
	v_lshlrev_b64 v[24:25], 4, v[8:9]
	v_add_co_u32_e32 v82, vcc, v82, v24
	s_waitcnt lgkmcnt(0)
	v_addc_co_u32_e32 v83, vcc, v81, v25, vcc
	buffer_wbinvl1_vol
	global_load_dwordx2 v[24:25], v[82:83], off
	global_load_ubyte v81, v[82:83], off offset:8
	v_cmp_eq_u16_e32 vcc, 2, v52
	v_and_b32_e32 v82, vcc_hi, v13
	v_or_b32_e32 v82, 0x80000000, v82
	v_and_b32_e32 v87, vcc_lo, v12
	v_ffbl_b32_e32 v82, v82
	v_add_u32_e32 v82, 32, v82
	v_ffbl_b32_e32 v87, v87
	v_min_u32_e32 v82, v87, v82
	v_cmp_lt_u32_e32 vcc, v53, v82
	s_waitcnt vmcnt(1)
	ds_bpermute_b32 v85, v56, v24
	s_waitcnt vmcnt(0)
	v_and_b32_e32 v83, 1, v81
	ds_bpermute_b32 v86, v56, v25
	ds_bpermute_b32 v84, v56, v83
	s_and_saveexec_b64 s[4:5], vcc
	s_cbranch_execz .LBB1344_170
; %bb.169:                              ;   in Loop: Header=BB1344_163 Depth=1
	v_cmp_eq_u16_sdwa vcc, v81, v9 src0_sel:BYTE_0 src1_sel:DWORD
	s_waitcnt lgkmcnt(2)
	v_cndmask_b32_e32 v85, 0, v85, vcc
	s_waitcnt lgkmcnt(1)
	v_cndmask_b32_e32 v83, 0, v86, vcc
	v_add_co_u32_e32 v24, vcc, v85, v24
	v_addc_co_u32_e32 v25, vcc, v83, v25, vcc
	s_waitcnt lgkmcnt(0)
	v_and_b32_e32 v83, 1, v84
	v_or_b32_e32 v81, v83, v81
	v_and_b32_e32 v83, 0xff, v81
.LBB1344_170:                           ;   in Loop: Header=BB1344_163 Depth=1
	s_or_b64 exec, exec, s[4:5]
	s_waitcnt lgkmcnt(2)
	ds_bpermute_b32 v85, v57, v24
	s_waitcnt lgkmcnt(2)
	ds_bpermute_b32 v86, v57, v25
	;; [unrolled: 2-line block ×3, first 2 shown]
	v_and_b32_e32 v87, 1, v81
	v_cmp_le_u32_e32 vcc, v60, v82
	v_cmp_eq_u32_e64 s[52:53], 1, v87
	s_and_saveexec_b64 s[4:5], vcc
	s_cbranch_execz .LBB1344_172
; %bb.171:                              ;   in Loop: Header=BB1344_163 Depth=1
	v_cmp_eq_u16_sdwa vcc, v81, v9 src0_sel:BYTE_0 src1_sel:DWORD
	s_waitcnt lgkmcnt(2)
	v_cndmask_b32_e32 v83, 0, v85, vcc
	s_waitcnt lgkmcnt(1)
	v_cndmask_b32_e32 v81, 0, v86, vcc
	v_add_co_u32_e32 v24, vcc, v83, v24
	v_addc_co_u32_e32 v25, vcc, v81, v25, vcc
	s_waitcnt lgkmcnt(0)
	v_and_b32_e32 v81, 1, v84
	v_cmp_eq_u32_e32 vcc, 1, v81
	s_or_b64 s[54:55], s[52:53], vcc
	v_cndmask_b32_e64 v81, 0, 1, s[54:55]
	v_cndmask_b32_e64 v83, 0, 1, s[54:55]
	s_andn2_b64 s[52:53], s[52:53], exec
	s_and_b64 s[54:55], s[54:55], exec
	s_or_b64 s[52:53], s[52:53], s[54:55]
.LBB1344_172:                           ;   in Loop: Header=BB1344_163 Depth=1
	s_or_b64 exec, exec, s[4:5]
	s_waitcnt lgkmcnt(2)
	ds_bpermute_b32 v85, v61, v24
	s_waitcnt lgkmcnt(2)
	ds_bpermute_b32 v86, v61, v25
	s_waitcnt lgkmcnt(2)
	ds_bpermute_b32 v84, v61, v83
	v_cmp_le_u32_e32 vcc, v64, v82
	s_and_saveexec_b64 s[54:55], vcc
	s_cbranch_execz .LBB1344_174
; %bb.173:                              ;   in Loop: Header=BB1344_163 Depth=1
	v_cmp_eq_u16_sdwa vcc, v81, v9 src0_sel:BYTE_0 src1_sel:DWORD
	s_waitcnt lgkmcnt(2)
	v_cndmask_b32_e32 v85, 0, v85, vcc
	s_waitcnt lgkmcnt(1)
	v_cndmask_b32_e32 v83, 0, v86, vcc
	v_add_co_u32_e32 v24, vcc, v85, v24
	v_addc_co_u32_e32 v25, vcc, v83, v25, vcc
	v_and_b32_e32 v81, 1, v81
	v_cmp_eq_u32_e32 vcc, 1, v81
	s_waitcnt lgkmcnt(0)
	v_and_b32_e32 v81, 1, v84
	v_cmp_eq_u32_e64 s[4:5], 1, v81
	s_or_b64 s[4:5], vcc, s[4:5]
	v_cndmask_b32_e64 v81, 0, 1, s[4:5]
	v_cndmask_b32_e64 v83, 0, 1, s[4:5]
	s_andn2_b64 s[52:53], s[52:53], exec
	s_and_b64 s[4:5], s[4:5], exec
	s_or_b64 s[52:53], s[52:53], s[4:5]
.LBB1344_174:                           ;   in Loop: Header=BB1344_163 Depth=1
	s_or_b64 exec, exec, s[54:55]
	s_waitcnt lgkmcnt(2)
	ds_bpermute_b32 v85, v65, v24
	s_waitcnt lgkmcnt(2)
	ds_bpermute_b32 v86, v65, v25
	s_waitcnt lgkmcnt(2)
	ds_bpermute_b32 v84, v65, v83
	v_cmp_le_u32_e32 vcc, v68, v82
	s_and_saveexec_b64 s[54:55], vcc
	s_cbranch_execz .LBB1344_176
; %bb.175:                              ;   in Loop: Header=BB1344_163 Depth=1
	v_cmp_eq_u16_sdwa vcc, v81, v9 src0_sel:BYTE_0 src1_sel:DWORD
	s_waitcnt lgkmcnt(2)
	v_cndmask_b32_e32 v85, 0, v85, vcc
	s_waitcnt lgkmcnt(1)
	v_cndmask_b32_e32 v83, 0, v86, vcc
	v_add_co_u32_e32 v24, vcc, v85, v24
	v_addc_co_u32_e32 v25, vcc, v83, v25, vcc
	v_and_b32_e32 v81, 1, v81
	v_cmp_eq_u32_e32 vcc, 1, v81
	s_waitcnt lgkmcnt(0)
	v_and_b32_e32 v81, 1, v84
	v_cmp_eq_u32_e64 s[4:5], 1, v81
	s_or_b64 s[4:5], vcc, s[4:5]
	v_cndmask_b32_e64 v81, 0, 1, s[4:5]
	v_cndmask_b32_e64 v83, 0, 1, s[4:5]
	s_andn2_b64 s[52:53], s[52:53], exec
	s_and_b64 s[4:5], s[4:5], exec
	s_or_b64 s[52:53], s[52:53], s[4:5]
.LBB1344_176:                           ;   in Loop: Header=BB1344_163 Depth=1
	;; [unrolled: 30-line block ×3, first 2 shown]
	s_or_b64 exec, exec, s[54:55]
	s_waitcnt lgkmcnt(0)
	ds_bpermute_b32 v84, v76, v24
	ds_bpermute_b32 v85, v76, v25
	;; [unrolled: 1-line block ×3, first 2 shown]
	v_cmp_le_u32_e32 vcc, v77, v82
	s_and_saveexec_b64 s[54:55], vcc
	s_cbranch_execz .LBB1344_162
; %bb.179:                              ;   in Loop: Header=BB1344_163 Depth=1
	v_cmp_eq_u16_sdwa vcc, v81, v9 src0_sel:BYTE_0 src1_sel:DWORD
	s_waitcnt lgkmcnt(2)
	v_cndmask_b32_e32 v84, 0, v84, vcc
	s_waitcnt lgkmcnt(1)
	v_cndmask_b32_e32 v82, 0, v85, vcc
	v_add_co_u32_e32 v24, vcc, v84, v24
	v_addc_co_u32_e32 v25, vcc, v82, v25, vcc
	v_and_b32_e32 v81, 1, v81
	v_cmp_eq_u32_e32 vcc, 1, v81
	s_waitcnt lgkmcnt(0)
	v_and_b32_e32 v81, 1, v83
	v_cmp_eq_u32_e64 s[4:5], 1, v81
	s_or_b64 s[4:5], vcc, s[4:5]
	s_andn2_b64 s[52:53], s[52:53], exec
	s_and_b64 s[4:5], s[4:5], exec
	s_or_b64 s[52:53], s[52:53], s[4:5]
	s_branch .LBB1344_162
.LBB1344_180:                           ;   in Loop: Header=BB1344_163 Depth=1
                                        ; implicit-def: $vgpr81
                                        ; implicit-def: $vgpr24_vgpr25
                                        ; implicit-def: $vgpr52
	s_cbranch_execz .LBB1344_163
; %bb.181:
	s_and_saveexec_b64 s[4:5], s[48:49]
	s_cbranch_execz .LBB1344_183
; %bb.182:
	v_mov_b32_e32 v8, 0
	s_mov_b32 s49, 0
	v_cmp_eq_u16_sdwa vcc, v49, v8 src0_sel:BYTE_0 src1_sel:DWORD
	s_add_i32 s48, s33, 64
	v_cndmask_b32_e32 v12, 0, v16, vcc
	s_lshl_b64 s[52:53], s[48:49], 4
	v_cndmask_b32_e32 v9, 0, v17, vcc
	v_add_co_u32_e32 v4, vcc, v12, v4
	s_add_u32 s52, s70, s52
	v_addc_co_u32_e32 v5, vcc, v9, v5, vcc
	v_or_b32_e32 v9, v49, v73
	s_addc_u32 s53, s71, s53
	v_and_b32_e32 v9, 1, v9
	global_store_dwordx2 v8, v[4:5], s[52:53]
	global_store_byte v8, v9, s[52:53] offset:8
	v_mov_b32_e32 v4, s48
	v_mov_b32_e32 v5, 2
	s_waitcnt vmcnt(0) lgkmcnt(0)
	buffer_wbinvl1_vol
	global_store_byte v4, v5, s[72:73]
.LBB1344_183:
	s_or_b64 exec, exec, s[4:5]
	s_and_b64 exec, exec, s[88:89]
	s_cbranch_execz .LBB1344_185
; %bb.184:
	v_mov_b32_e32 v4, 0
	ds_write_b64 v4, v[16:17]
	ds_write_b8 v4, v73 offset:8
.LBB1344_185:
	s_or_b64 exec, exec, s[50:51]
	v_mov_b32_e32 v8, 0
	v_cmp_eq_u16_sdwa vcc, v1, v8 src0_sel:BYTE_0 src1_sel:DWORD
	v_and_b32_e32 v13, 1, v1
	v_cndmask_b32_e32 v9, 0, v45, vcc
	v_cndmask_b32_e32 v12, 0, v48, vcc
	v_cmp_eq_u32_e32 vcc, 1, v13
	v_and_b32_e32 v13, 1, v44
	s_waitcnt lgkmcnt(0)
	; wave barrier
	s_waitcnt lgkmcnt(0)
	ds_read_b64 v[4:5], v8
	v_cmp_eq_u32_e64 s[4:5], 1, v13
	s_or_b64 s[4:5], vcc, s[4:5]
	v_cndmask_b32_e64 v9, v9, 0, s[88:89]
	v_cndmask_b32_e64 v13, 0, 1, s[4:5]
	;; [unrolled: 1-line block ×3, first 2 shown]
	v_add_co_u32_e32 v9, vcc, v9, v2
	v_cndmask_b32_e64 v13, v13, v1, s[88:89]
	v_addc_co_u32_e32 v12, vcc, v12, v3, vcc
	v_cmp_eq_u16_sdwa vcc, v13, v8 src0_sel:BYTE_0 src1_sel:DWORD
	s_waitcnt lgkmcnt(0)
	v_cndmask_b32_e32 v4, 0, v4, vcc
	v_cndmask_b32_e32 v5, 0, v5, vcc
	v_add_co_u32_e32 v114, vcc, v9, v4
	v_addc_co_u32_e32 v115, vcc, v12, v5, vcc
	v_cndmask_b32_e64 v5, 0, v114, s[6:7]
	v_cndmask_b32_e64 v4, 0, v115, s[6:7]
	v_add_co_u32_e32 v44, vcc, v5, v18
	v_addc_co_u32_e32 v45, vcc, v4, v19, vcc
	v_cndmask_b32_e64 v5, 0, v44, s[90:91]
	v_cndmask_b32_e64 v4, 0, v45, s[90:91]
	;; [unrolled: 4-line block ×20, first 2 shown]
	v_add_co_u32_e32 v120, vcc, v5, v20
	v_readlane_b32 s2, v131, 15
	v_addc_co_u32_e32 v121, vcc, v4, v21, vcc
	v_readlane_b32 s3, v131, 16
	s_branch .LBB1344_208
.LBB1344_186:
                                        ; implicit-def: $vgpr112_vgpr113_vgpr114_vgpr115
                                        ; implicit-def: $vgpr120_vgpr121
                                        ; implicit-def: $vgpr118_vgpr119
                                        ; implicit-def: $vgpr76_vgpr77
                                        ; implicit-def: $vgpr72_vgpr73
                                        ; implicit-def: $vgpr68_vgpr69
                                        ; implicit-def: $vgpr64_vgpr65
                                        ; implicit-def: $vgpr60_vgpr61
                                        ; implicit-def: $vgpr56_vgpr57
                                        ; implicit-def: $vgpr52_vgpr53
                                        ; implicit-def: $vgpr48_vgpr49
                                        ; implicit-def: $vgpr44_vgpr45
                                        ; implicit-def: $vgpr108_vgpr109_vgpr110_vgpr111
                                        ; implicit-def: $vgpr104_vgpr105_vgpr106_vgpr107
                                        ; implicit-def: $vgpr100_vgpr101_vgpr102_vgpr103
                                        ; implicit-def: $vgpr96_vgpr97_vgpr98_vgpr99
                                        ; implicit-def: $vgpr92_vgpr93_vgpr94_vgpr95
                                        ; implicit-def: $vgpr88_vgpr89_vgpr90_vgpr91
                                        ; implicit-def: $vgpr84_vgpr85_vgpr86_vgpr87
                                        ; implicit-def: $vgpr80_vgpr81_vgpr82_vgpr83
                                        ; implicit-def: $vgpr114_vgpr115_vgpr116_vgpr117
	s_cbranch_execz .LBB1344_208
; %bb.187:
	v_readlane_b32 s4, v131, 0
	v_readlane_b32 s5, v131, 1
	s_cmp_lg_u64 s[4:5], 0
	v_readlane_b32 s4, v131, 4
	v_readlane_b32 s6, v131, 6
	;; [unrolled: 1-line block ×3, first 2 shown]
	s_cselect_b32 s7, s7, 0
	s_cselect_b32 s6, s6, 0
	v_readlane_b32 s5, v131, 5
	s_cmp_lg_u64 s[6:7], 0
	v_readlane_b32 s8, v131, 8
	v_readlane_b32 s9, v131, 9
	s_cselect_b64 s[4:5], -1, 0
	s_and_b64 s[8:9], s[88:89], s[4:5]
	v_readlane_b32 s10, v131, 10
	v_readlane_b32 s11, v131, 11
	s_and_saveexec_b64 s[4:5], s[8:9]
	s_cbranch_execz .LBB1344_189
; %bb.188:
	v_mov_b32_e32 v8, 0
	global_load_dwordx2 v[4:5], v8, s[6:7]
	global_load_ubyte v9, v8, s[6:7] offset:8
	v_cmp_eq_u16_sdwa vcc, v1, v8 src0_sel:BYTE_0 src1_sel:DWORD
	s_waitcnt vmcnt(1)
	v_cndmask_b32_e32 v4, 0, v4, vcc
	v_cndmask_b32_e32 v5, 0, v5, vcc
	s_waitcnt vmcnt(0)
	v_or_b32_e32 v1, v1, v9
	v_add_co_u32_e32 v2, vcc, v4, v2
	v_addc_co_u32_e32 v3, vcc, v5, v3, vcc
	v_and_b32_e32 v1, 1, v1
.LBB1344_189:
	s_or_b64 exec, exec, s[4:5]
	v_mov_b32_e32 v5, 0
	v_cmp_eq_u16_sdwa vcc, v128, v5 src0_sel:BYTE_0 src1_sel:DWORD
	v_cndmask_b32_e32 v9, 0, v2, vcc
	v_cndmask_b32_e32 v8, 0, v3, vcc
	v_add_co_u32_e64 v44, s[4:5], v9, v18
	v_cmp_eq_u16_sdwa s[6:7], v130, v5 src0_sel:BYTE_0 src1_sel:DWORD
	v_addc_co_u32_e64 v45, s[4:5], v8, v19, s[4:5]
	v_cndmask_b32_e64 v9, 0, v44, s[6:7]
	s_movk_i32 s42, 0xff
	v_cndmask_b32_e64 v8, 0, v45, s[6:7]
	v_add_co_u32_e64 v80, s[4:5], v9, v6
	v_addc_co_u32_e64 v81, s[4:5], v8, v7, s[4:5]
	v_and_b32_sdwa v8, v128, s42 dst_sel:DWORD dst_unused:UNUSED_PAD src0_sel:WORD_1 src1_sel:DWORD
	v_cmp_eq_u16_e64 s[8:9], 0, v8
	v_cndmask_b32_e64 v9, 0, v80, s[8:9]
	v_cndmask_b32_e64 v8, 0, v81, s[8:9]
	v_add_co_u32_e64 v48, s[4:5], v9, v26
	v_cmp_eq_u16_sdwa s[10:11], v128, v5 src0_sel:BYTE_3 src1_sel:DWORD
	v_addc_co_u32_e64 v49, s[4:5], v8, v27, s[4:5]
	v_cndmask_b32_e64 v9, 0, v48, s[10:11]
	v_cndmask_b32_e64 v8, 0, v49, s[10:11]
	v_add_co_u32_e64 v84, s[4:5], v9, v14
	v_cmp_eq_u16_sdwa s[12:13], v123, v5 src0_sel:BYTE_0 src1_sel:DWORD
	v_addc_co_u32_e64 v85, s[4:5], v8, v15, s[4:5]
	v_cndmask_b32_e64 v9, 0, v84, s[12:13]
	v_cndmask_b32_e64 v8, 0, v85, s[12:13]
	v_add_co_u32_e64 v52, s[4:5], v9, v34
	v_cmp_eq_u16_sdwa s[14:15], v127, v5 src0_sel:BYTE_0 src1_sel:DWORD
	;; [unrolled: 5-line block ×3, first 2 shown]
	v_addc_co_u32_e64 v89, s[4:5], v8, v23, s[4:5]
	v_cndmask_b32_e64 v9, 0, v88, s[16:17]
	v_cndmask_b32_e64 v8, 0, v89, s[16:17]
	v_add_co_u32_e64 v56, s[4:5], v9, v42
	v_addc_co_u32_e64 v57, s[4:5], v8, v43, s[4:5]
	v_and_b32_sdwa v8, v127, s42 dst_sel:DWORD dst_unused:UNUSED_PAD src0_sel:WORD_1 src1_sel:DWORD
	v_cmp_eq_u16_e64 s[18:19], 0, v8
	v_cndmask_b32_e64 v9, 0, v56, s[18:19]
	v_cndmask_b32_e64 v8, 0, v57, s[18:19]
	v_add_co_u32_e64 v92, s[4:5], v9, v30
	v_cmp_eq_u16_sdwa s[20:21], v127, v5 src0_sel:BYTE_3 src1_sel:DWORD
	v_addc_co_u32_e64 v93, s[4:5], v8, v31, s[4:5]
	v_cndmask_b32_e64 v9, 0, v92, s[20:21]
	v_cndmask_b32_e64 v8, 0, v93, s[20:21]
	v_add_co_u32_e64 v60, s[4:5], v9, v50
	v_cmp_eq_u16_sdwa s[22:23], v124, v5 src0_sel:BYTE_0 src1_sel:DWORD
	v_addc_co_u32_e64 v61, s[4:5], v8, v51, s[4:5]
	v_cndmask_b32_e64 v9, 0, v60, s[22:23]
	v_cndmask_b32_e64 v8, 0, v61, s[22:23]
	v_add_co_u32_e64 v96, s[4:5], v9, v38
	v_cmp_eq_u16_sdwa s[24:25], v126, v5 src0_sel:BYTE_0 src1_sel:DWORD
	v_addc_co_u32_e64 v97, s[4:5], v8, v39, s[4:5]
	v_cndmask_b32_e64 v9, 0, v96, s[24:25]
	v_cndmask_b32_e64 v8, 0, v97, s[24:25]
	v_add_co_u32_e64 v64, s[26:27], v9, v58
	v_addc_co_u32_e64 v65, s[26:27], v8, v59, s[26:27]
	v_cmp_eq_u16_sdwa s[26:27], v37, v5 src0_sel:BYTE_0 src1_sel:DWORD
	v_cndmask_b32_e64 v9, 0, v64, s[26:27]
	v_cndmask_b32_e64 v8, 0, v65, s[26:27]
	v_add_co_u32_e64 v100, s[28:29], v9, v46
	v_addc_co_u32_e64 v101, s[28:29], v8, v47, s[28:29]
	v_and_b32_sdwa v8, v126, s42 dst_sel:DWORD dst_unused:UNUSED_PAD src0_sel:WORD_1 src1_sel:DWORD
	v_cmp_eq_u16_e64 s[28:29], 0, v8
	v_cndmask_b32_e64 v9, 0, v100, s[28:29]
	v_cndmask_b32_e64 v8, 0, v101, s[28:29]
	v_add_co_u32_e64 v68, s[30:31], v9, v66
	v_addc_co_u32_e64 v69, s[30:31], v8, v67, s[30:31]
	v_cmp_eq_u16_sdwa s[30:31], v126, v5 src0_sel:BYTE_3 src1_sel:DWORD
	v_cndmask_b32_e64 v9, 0, v68, s[30:31]
	v_cndmask_b32_e64 v8, 0, v69, s[30:31]
	v_add_co_u32_e64 v104, s[34:35], v9, v54
	v_addc_co_u32_e64 v105, s[34:35], v8, v55, s[34:35]
	v_cmp_eq_u16_sdwa s[34:35], v122, v5 src0_sel:BYTE_0 src1_sel:DWORD
	v_cndmask_b32_e64 v9, 0, v104, s[34:35]
	v_cndmask_b32_e64 v8, 0, v105, s[34:35]
	v_add_co_u32_e64 v72, s[36:37], v9, v74
	v_addc_co_u32_e64 v73, s[36:37], v8, v75, s[36:37]
	v_cmp_eq_u16_sdwa s[36:37], v125, v5 src0_sel:BYTE_0 src1_sel:DWORD
	;; [unrolled: 5-line block ×3, first 2 shown]
	v_cndmask_b32_e64 v9, 0, v108, s[38:39]
	v_cndmask_b32_e64 v8, 0, v109, s[38:39]
	v_add_co_u32_e64 v76, s[40:41], v9, v78
	v_addc_co_u32_e64 v77, s[40:41], v8, v79, s[40:41]
	v_and_b32_sdwa v8, v125, s42 dst_sel:DWORD dst_unused:UNUSED_PAD src0_sel:WORD_1 src1_sel:DWORD
	v_cmp_eq_u16_e64 s[40:41], 0, v8
	v_cndmask_b32_e64 v9, 0, v76, s[40:41]
	v_cndmask_b32_e64 v8, 0, v77, s[40:41]
	v_add_co_u32_e64 v112, s[42:43], v9, v70
	v_addc_co_u32_e64 v113, s[42:43], v8, v71, s[42:43]
	v_cmp_eq_u16_sdwa s[42:43], v125, v5 src0_sel:BYTE_3 src1_sel:DWORD
	v_cndmask_b32_e64 v9, 0, v112, s[42:43]
	v_cndmask_b32_e64 v8, 0, v113, s[42:43]
	v_add_co_u32_e64 v118, s[44:45], v9, v10
	v_addc_co_u32_e64 v119, s[44:45], v8, v11, s[44:45]
	v_cmp_eq_u16_sdwa s[44:45], v28, v5 src0_sel:BYTE_0 src1_sel:DWORD
	v_cndmask_b32_e64 v8, 0, v118, s[44:45]
	v_cndmask_b32_e64 v5, 0, v119, s[44:45]
	v_add_co_u32_e64 v120, s[50:51], v8, v20
	v_addc_co_u32_e64 v121, s[50:51], v5, v21, s[50:51]
	v_or_b32_e32 v5, v125, v126
	v_or3_b32 v5, v5, v127, v128
	v_lshrrev_b16_e32 v9, 7, v5
	v_and_b32_e32 v8, 1, v5
	v_and_b32_e32 v9, 2, v9
	v_or_b32_e32 v8, v8, v9
	v_lshrrev_b32_e32 v9, 23, v5
	v_mov_b32_e32 v12, 1
	v_and_b32_e32 v9, 2, v9
	v_and_b32_sdwa v5, v5, v12 dst_sel:DWORD dst_unused:UNUSED_PAD src0_sel:WORD_1 src1_sel:DWORD
	v_or_b32_e32 v5, v5, v9
	v_lshlrev_b16_e32 v5, 2, v5
	v_or_b32_e32 v5, v8, v5
	v_cmp_eq_u32_e64 s[50:51], 1, v32
	v_cmp_ne_u16_e64 s[52:53], 0, v5
	v_cmp_eq_u32_e64 s[48:49], 1, v33
	s_or_b64 s[50:51], s[52:53], s[50:51]
	v_cmp_eq_u32_e64 s[4:5], 1, v40
	s_or_b64 s[48:49], s[50:51], s[48:49]
	;; [unrolled: 2-line block ×3, first 2 shown]
	v_and_b32_e32 v4, 0xff, v1
	s_or_b64 s[4:5], s[4:5], s[46:47]
	v_mbcnt_hi_u32_b32 v12, -1, v29
	v_cndmask_b32_e64 v13, v4, 1, s[4:5]
	v_and_b32_e32 v16, 15, v12
	v_mov_b32_dpp v24, v120 row_shr:1 row_mask:0xf bank_mask:0xf
	v_mov_b32_dpp v25, v121 row_shr:1 row_mask:0xf bank_mask:0xf
	;; [unrolled: 1-line block ×3, first 2 shown]
	v_cmp_ne_u32_e64 s[4:5], 0, v16
	v_pk_mov_b32 v[4:5], v[120:121], v[120:121] op_sel:[0,1]
	v_mov_b32_e32 v9, v121
	v_mov_b32_e32 v8, v120
	s_and_saveexec_b64 s[46:47], s[4:5]
; %bb.190:
	v_cmp_eq_u32_e64 s[4:5], 0, v13
	v_cndmask_b32_e64 v4, 0, v24, s[4:5]
	v_cndmask_b32_e64 v5, 0, v25, s[4:5]
	v_add_co_u32_e64 v4, s[4:5], v120, v4
	v_addc_co_u32_e64 v5, s[4:5], v121, v5, s[4:5]
	v_and_or_b32 v13, v17, 1, v13
	v_mov_b32_e32 v9, v5
	v_mov_b32_e32 v8, v4
; %bb.191:
	s_or_b64 exec, exec, s[46:47]
	s_nop 0
	v_mov_b32_dpp v24, v8 row_shr:2 row_mask:0xf bank_mask:0xf
	v_mov_b32_dpp v25, v9 row_shr:2 row_mask:0xf bank_mask:0xf
	v_mov_b32_dpp v17, v13 row_shr:2 row_mask:0xf bank_mask:0xf
	v_cmp_lt_u32_e64 s[4:5], 1, v16
	s_and_saveexec_b64 s[46:47], s[4:5]
; %bb.192:
	v_cmp_eq_u32_e64 s[4:5], 0, v13
	v_cndmask_b32_e64 v8, 0, v24, s[4:5]
	v_cndmask_b32_e64 v9, 0, v25, s[4:5]
	v_add_co_u32_e64 v8, s[4:5], v8, v4
	v_addc_co_u32_e64 v9, s[4:5], v9, v5, s[4:5]
	v_or_b32_e32 v4, v17, v13
	v_and_b32_e32 v13, 1, v4
	v_pk_mov_b32 v[4:5], v[8:9], v[8:9] op_sel:[0,1]
; %bb.193:
	s_or_b64 exec, exec, s[46:47]
	v_mov_b32_dpp v24, v8 row_shr:4 row_mask:0xf bank_mask:0xf
	v_mov_b32_dpp v25, v9 row_shr:4 row_mask:0xf bank_mask:0xf
	v_mov_b32_dpp v17, v13 row_shr:4 row_mask:0xf bank_mask:0xf
	v_cmp_lt_u32_e64 s[4:5], 3, v16
	s_and_saveexec_b64 s[46:47], s[4:5]
; %bb.194:
	v_cmp_eq_u32_e64 s[4:5], 0, v13
	v_cndmask_b32_e64 v8, 0, v24, s[4:5]
	v_cndmask_b32_e64 v9, 0, v25, s[4:5]
	v_add_co_u32_e64 v8, s[4:5], v8, v4
	v_addc_co_u32_e64 v9, s[4:5], v9, v5, s[4:5]
	v_or_b32_e32 v4, v17, v13
	v_and_b32_e32 v13, 1, v4
	v_pk_mov_b32 v[4:5], v[8:9], v[8:9] op_sel:[0,1]
; %bb.195:
	s_or_b64 exec, exec, s[46:47]
	;; [unrolled: 16-line block ×3, first 2 shown]
	v_and_b32_e32 v25, 16, v12
	v_mov_b32_dpp v17, v8 row_bcast:15 row_mask:0xf bank_mask:0xf
	v_mov_b32_dpp v24, v9 row_bcast:15 row_mask:0xf bank_mask:0xf
	v_mov_b32_dpp v16, v13 row_bcast:15 row_mask:0xf bank_mask:0xf
	v_cmp_ne_u32_e64 s[4:5], 0, v25
	s_and_saveexec_b64 s[46:47], s[4:5]
; %bb.198:
	v_cmp_eq_u32_e64 s[4:5], 0, v13
	v_cndmask_b32_e64 v9, 0, v17, s[4:5]
	v_cndmask_b32_e64 v8, 0, v24, s[4:5]
	v_add_co_u32_e64 v4, s[4:5], v9, v4
	v_addc_co_u32_e64 v5, s[4:5], v8, v5, s[4:5]
	v_or_b32_e32 v8, v16, v13
	v_and_b32_e32 v13, 1, v8
	v_mov_b32_e32 v9, v5
	v_mov_b32_e32 v8, v4
; %bb.199:
	s_or_b64 exec, exec, s[46:47]
	s_nop 0
	v_mov_b32_dpp v16, v8 row_bcast:31 row_mask:0xf bank_mask:0xf
	v_mov_b32_dpp v9, v9 row_bcast:31 row_mask:0xf bank_mask:0xf
	;; [unrolled: 1-line block ×3, first 2 shown]
	v_cmp_lt_u32_e64 s[4:5], 31, v12
	s_and_saveexec_b64 s[46:47], s[4:5]
; %bb.200:
	v_cmp_eq_u32_e64 s[4:5], 0, v13
	v_cndmask_b32_e64 v16, 0, v16, s[4:5]
	v_cndmask_b32_e64 v9, 0, v9, s[4:5]
	v_add_co_u32_e64 v4, s[4:5], v16, v4
	v_or_b32_e32 v8, v8, v13
	v_addc_co_u32_e64 v5, s[4:5], v9, v5, s[4:5]
	v_and_b32_e32 v13, 1, v8
; %bb.201:
	s_or_b64 exec, exec, s[46:47]
	v_cmp_eq_u32_e64 s[4:5], 63, v0
	s_and_saveexec_b64 s[46:47], s[4:5]
	s_cbranch_execz .LBB1344_203
; %bb.202:
	v_mov_b32_e32 v8, 0
	ds_write_b64 v8, v[4:5]
	ds_write_b8 v8, v13 offset:8
.LBB1344_203:
	s_or_b64 exec, exec, s[46:47]
	v_add_u32_e32 v8, -1, v12
	v_and_b32_e32 v9, 64, v12
	v_cmp_lt_i32_e64 s[4:5], v8, v9
	v_cndmask_b32_e64 v8, v8, v12, s[4:5]
	v_lshlrev_b32_e32 v8, 2, v8
	ds_bpermute_b32 v4, v8, v4
	ds_bpermute_b32 v5, v8, v5
	s_waitcnt lgkmcnt(0)
	; wave barrier
	s_waitcnt lgkmcnt(0)
	s_mov_b64 s[46:47], exec
	v_readlane_b32 s4, v131, 2
	v_readlane_b32 s5, v131, 3
	s_and_b64 s[4:5], s[46:47], s[4:5]
	s_mov_b64 exec, s[4:5]
	s_cbranch_execz .LBB1344_205
; %bb.204:
	v_mov_b32_e32 v8, 0
	v_cmp_eq_u16_sdwa s[4:5], v1, v8 src0_sel:BYTE_0 src1_sel:DWORD
	v_cndmask_b32_e64 v4, 0, v4, s[4:5]
	v_cndmask_b32_e64 v1, 0, v5, s[4:5]
	v_add_co_u32_e64 v2, s[4:5], v4, v2
	v_addc_co_u32_e64 v3, s[4:5], v1, v3, s[4:5]
	v_cndmask_b32_e32 v4, 0, v2, vcc
	v_cndmask_b32_e32 v1, 0, v3, vcc
	v_add_co_u32_e32 v44, vcc, v4, v18
	v_addc_co_u32_e32 v45, vcc, v1, v19, vcc
	v_cndmask_b32_e64 v4, 0, v44, s[6:7]
	v_cndmask_b32_e64 v1, 0, v45, s[6:7]
	v_add_co_u32_e32 v80, vcc, v4, v6
	v_addc_co_u32_e32 v81, vcc, v1, v7, vcc
	v_cndmask_b32_e64 v4, 0, v80, s[8:9]
	v_cndmask_b32_e64 v1, 0, v81, s[8:9]
	;; [unrolled: 4-line block ×19, first 2 shown]
	v_add_co_u32_e32 v120, vcc, v4, v20
	v_addc_co_u32_e32 v121, vcc, v1, v21, vcc
	;;#ASMSTART
	;;#ASMEND
.LBB1344_205:
	s_or_b64 exec, exec, s[46:47]
	s_and_saveexec_b64 s[4:5], s[88:89]
	s_cbranch_execz .LBB1344_207
; %bb.206:
	v_mov_b32_e32 v1, 0
	ds_read_b64 v[4:5], v1
	ds_read_u8 v6, v1 offset:8
	v_mov_b32_e32 v7, 2
	s_waitcnt lgkmcnt(1)
	global_store_dwordx2 v1, v[4:5], s[70:71] offset:1024
	s_waitcnt lgkmcnt(0)
	global_store_byte v1, v6, s[70:71] offset:1032
	s_waitcnt vmcnt(0)
	buffer_wbinvl1_vol
	global_store_byte v1, v7, s[72:73] offset:64
.LBB1344_207:
	s_or_b64 exec, exec, s[4:5]
	v_pk_mov_b32 v[114:115], v[2:3], v[2:3] op_sel:[0,1]
.LBB1344_208:
	s_add_u32 s0, s58, s60
	s_addc_u32 s1, s59, s61
	s_add_u32 s4, s0, s2
	s_addc_u32 s5, s1, s3
	v_readlane_b32 s0, v131, 12
	v_readlane_b32 s1, v131, 13
	s_and_b64 vcc, exec, s[0:1]
	v_lshlrev_b32_e32 v46, 3, v0
	s_cbranch_vccz .LBB1344_250
; %bb.209:
	v_readlane_b32 s0, v131, 14
	s_add_i32 s33, s0, s74
	s_movk_i32 s0, 0xa8
	v_mul_i32_i24_e32 v50, 0xffffff60, v0
	v_mul_u32_u24_e32 v47, 0xa8, v0
	v_mad_u32_u24 v2, v0, s0, v50
	s_waitcnt lgkmcnt(0)
	; wave barrier
	ds_write2_b64 v47, v[114:115], v[44:45] offset1:1
	ds_write2_b64 v47, v[80:81], v[48:49] offset0:2 offset1:3
	ds_write2_b64 v47, v[84:85], v[52:53] offset0:4 offset1:5
	;; [unrolled: 1-line block ×9, first 2 shown]
	ds_write_b64 v47, v[120:121] offset:160
	s_waitcnt lgkmcnt(0)
	; wave barrier
	s_waitcnt lgkmcnt(0)
	ds_read2st64_b64 v[38:41], v2 offset0:1 offset1:2
	ds_read2st64_b64 v[34:37], v2 offset0:3 offset1:4
	ds_read2st64_b64 v[30:33], v2 offset0:5 offset1:6
	ds_read2st64_b64 v[26:29], v2 offset0:7 offset1:8
	ds_read2st64_b64 v[22:25], v2 offset0:9 offset1:10
	ds_read2st64_b64 v[18:21], v2 offset0:11 offset1:12
	ds_read2st64_b64 v[14:17], v2 offset0:13 offset1:14
	ds_read2st64_b64 v[10:13], v2 offset0:15 offset1:16
	ds_read2st64_b64 v[6:9], v2 offset0:17 offset1:18
	ds_read2st64_b64 v[2:5], v2 offset0:19 offset1:20
	v_mov_b32_e32 v43, s5
	v_add_co_u32_e32 v42, vcc, s4, v46
	v_addc_co_u32_e32 v43, vcc, 0, v43, vcc
	v_mov_b32_e32 v1, 0
	v_cmp_gt_u32_e32 vcc, s33, v0
	s_and_saveexec_b64 s[0:1], vcc
	s_cbranch_execz .LBB1344_211
; %bb.210:
	v_add_u32_e32 v47, v47, v50
	ds_read_b64 v[50:51], v47
	s_waitcnt lgkmcnt(0)
	flat_store_dwordx2 v[42:43], v[50:51]
.LBB1344_211:
	s_or_b64 exec, exec, s[0:1]
	v_or_b32_e32 v47, 64, v0
	v_cmp_gt_u32_e32 vcc, s33, v47
	s_and_saveexec_b64 s[0:1], vcc
	s_cbranch_execz .LBB1344_213
; %bb.212:
	s_waitcnt lgkmcnt(0)
	flat_store_dwordx2 v[42:43], v[38:39] offset:512
.LBB1344_213:
	s_or_b64 exec, exec, s[0:1]
	s_waitcnt lgkmcnt(0)
	v_or_b32_e32 v38, 0x80, v0
	v_cmp_gt_u32_e32 vcc, s33, v38
	s_and_saveexec_b64 s[0:1], vcc
	s_cbranch_execz .LBB1344_215
; %bb.214:
	flat_store_dwordx2 v[42:43], v[40:41] offset:1024
.LBB1344_215:
	s_or_b64 exec, exec, s[0:1]
	v_or_b32_e32 v38, 0xc0, v0
	v_cmp_gt_u32_e32 vcc, s33, v38
	s_and_saveexec_b64 s[0:1], vcc
	s_cbranch_execz .LBB1344_217
; %bb.216:
	flat_store_dwordx2 v[42:43], v[34:35] offset:1536
.LBB1344_217:
	s_or_b64 exec, exec, s[0:1]
	;; [unrolled: 8-line block ×6, first 2 shown]
	v_or_b32_e32 v26, 0x200, v0
	v_cmp_gt_u32_e32 vcc, s33, v26
	s_and_saveexec_b64 s[0:1], vcc
	s_cbranch_execz .LBB1344_227
; %bb.226:
	v_add_co_u32_e32 v26, vcc, 0x1000, v42
	v_addc_co_u32_e32 v27, vcc, 0, v43, vcc
	flat_store_dwordx2 v[26:27], v[28:29]
.LBB1344_227:
	s_or_b64 exec, exec, s[0:1]
	v_or_b32_e32 v26, 0x240, v0
	v_cmp_gt_u32_e32 vcc, s33, v26
	s_and_saveexec_b64 s[0:1], vcc
	s_cbranch_execz .LBB1344_229
; %bb.228:
	v_add_co_u32_e32 v26, vcc, 0x1000, v42
	v_addc_co_u32_e32 v27, vcc, 0, v43, vcc
	flat_store_dwordx2 v[26:27], v[22:23] offset:512
.LBB1344_229:
	s_or_b64 exec, exec, s[0:1]
	v_or_b32_e32 v22, 0x280, v0
	v_cmp_gt_u32_e32 vcc, s33, v22
	s_and_saveexec_b64 s[0:1], vcc
	s_cbranch_execz .LBB1344_231
; %bb.230:
	v_add_co_u32_e32 v22, vcc, 0x1000, v42
	v_addc_co_u32_e32 v23, vcc, 0, v43, vcc
	flat_store_dwordx2 v[22:23], v[24:25] offset:1024
.LBB1344_231:
	;; [unrolled: 10-line block ×7, first 2 shown]
	s_or_b64 exec, exec, s[0:1]
	v_or_b32_e32 v10, 0x400, v0
	v_cmp_gt_u32_e32 vcc, s33, v10
	s_and_saveexec_b64 s[0:1], vcc
	s_cbranch_execz .LBB1344_243
; %bb.242:
	v_add_co_u32_e32 v10, vcc, 0x2000, v42
	v_addc_co_u32_e32 v11, vcc, 0, v43, vcc
	flat_store_dwordx2 v[10:11], v[12:13]
.LBB1344_243:
	s_or_b64 exec, exec, s[0:1]
	v_or_b32_e32 v10, 0x440, v0
	v_cmp_gt_u32_e32 vcc, s33, v10
	s_and_saveexec_b64 s[0:1], vcc
	s_cbranch_execz .LBB1344_245
; %bb.244:
	v_add_co_u32_e32 v10, vcc, 0x2000, v42
	v_addc_co_u32_e32 v11, vcc, 0, v43, vcc
	flat_store_dwordx2 v[10:11], v[6:7] offset:512
.LBB1344_245:
	s_or_b64 exec, exec, s[0:1]
	v_or_b32_e32 v6, 0x480, v0
	v_cmp_gt_u32_e32 vcc, s33, v6
	s_and_saveexec_b64 s[0:1], vcc
	s_cbranch_execz .LBB1344_247
; %bb.246:
	v_add_co_u32_e32 v6, vcc, 0x2000, v42
	v_addc_co_u32_e32 v7, vcc, 0, v43, vcc
	flat_store_dwordx2 v[6:7], v[8:9] offset:1024
.LBB1344_247:
	;; [unrolled: 10-line block ×3, first 2 shown]
	s_or_b64 exec, exec, s[0:1]
	v_or_b32_e32 v2, 0x500, v0
	v_cmp_gt_u32_e64 s[0:1], s33, v2
	s_branch .LBB1344_252
.LBB1344_250:
	s_mov_b64 s[0:1], 0
                                        ; implicit-def: $vgpr4_vgpr5
	s_cbranch_execz .LBB1344_252
; %bb.251:
	s_movk_i32 s2, 0xa8
	v_mul_i32_i24_e32 v2, 0xffffff60, v0
	v_mul_u32_u24_e32 v1, 0xa8, v0
	v_mad_u32_u24 v2, v0, s2, v2
	s_waitcnt lgkmcnt(0)
	; wave barrier
	s_waitcnt lgkmcnt(0)
	ds_write2_b64 v1, v[114:115], v[44:45] offset1:1
	ds_write2_b64 v1, v[80:81], v[48:49] offset0:2 offset1:3
	ds_write2_b64 v1, v[84:85], v[52:53] offset0:4 offset1:5
	ds_write2_b64 v1, v[88:89], v[56:57] offset0:6 offset1:7
	ds_write2_b64 v1, v[92:93], v[60:61] offset0:8 offset1:9
	ds_write2_b64 v1, v[96:97], v[64:65] offset0:10 offset1:11
	ds_write2_b64 v1, v[100:101], v[68:69] offset0:12 offset1:13
	ds_write2_b64 v1, v[104:105], v[72:73] offset0:14 offset1:15
	ds_write2_b64 v1, v[108:109], v[76:77] offset0:16 offset1:17
	ds_write2_b64 v1, v[112:113], v[118:119] offset0:18 offset1:19
	ds_write_b64 v1, v[120:121] offset:160
	s_waitcnt lgkmcnt(0)
	; wave barrier
	s_waitcnt lgkmcnt(0)
	ds_read2st64_b64 v[6:9], v2 offset1:1
	ds_read2st64_b64 v[10:13], v2 offset0:2 offset1:3
	ds_read2st64_b64 v[14:17], v2 offset0:4 offset1:5
	;; [unrolled: 1-line block ×9, first 2 shown]
	ds_read_b64 v[4:5], v2 offset:10240
	v_mov_b32_e32 v3, s5
	v_add_co_u32_e32 v2, vcc, s4, v46
	v_addc_co_u32_e32 v3, vcc, 0, v3, vcc
	s_movk_i32 s2, 0x1000
	s_waitcnt lgkmcnt(0)
	flat_store_dwordx2 v[2:3], v[6:7]
	flat_store_dwordx2 v[2:3], v[8:9] offset:512
	flat_store_dwordx2 v[2:3], v[10:11] offset:1024
	;; [unrolled: 1-line block ×7, first 2 shown]
	v_add_co_u32_e32 v6, vcc, s2, v2
	v_addc_co_u32_e32 v7, vcc, 0, v3, vcc
	v_add_co_u32_e32 v2, vcc, 0x2000, v2
	v_mov_b32_e32 v1, 0
	v_addc_co_u32_e32 v3, vcc, 0, v3, vcc
	s_or_b64 s[0:1], s[0:1], exec
	flat_store_dwordx2 v[6:7], v[22:23]
	flat_store_dwordx2 v[6:7], v[24:25] offset:512
	flat_store_dwordx2 v[6:7], v[26:27] offset:1024
	;; [unrolled: 1-line block ×7, first 2 shown]
	flat_store_dwordx2 v[2:3], v[38:39]
	flat_store_dwordx2 v[2:3], v[40:41] offset:512
	flat_store_dwordx2 v[2:3], v[42:43] offset:1024
	;; [unrolled: 1-line block ×3, first 2 shown]
.LBB1344_252:
	s_and_saveexec_b64 s[2:3], s[0:1]
	s_cbranch_execnz .LBB1344_254
; %bb.253:
	s_endpgm
.LBB1344_254:
	v_lshlrev_b64 v[0:1], 3, v[0:1]
	v_mov_b32_e32 v2, s5
	v_add_co_u32_e32 v0, vcc, s4, v0
	v_addc_co_u32_e32 v1, vcc, v2, v1, vcc
	v_add_co_u32_e32 v0, vcc, 0x2000, v0
	v_addc_co_u32_e32 v1, vcc, 0, v1, vcc
	flat_store_dwordx2 v[0:1], v[4:5] offset:2048
	s_endpgm
.LBB1344_255:
	v_lshlrev_b32_e32 v2, 3, v0
	v_mov_b32_e32 v3, s63
	v_add_co_u32_e32 v2, vcc, s62, v2
	v_addc_co_u32_e32 v3, vcc, 0, v3, vcc
	flat_load_dwordx2 v[2:3], v[2:3]
	s_or_b64 exec, exec, s[4:5]
                                        ; implicit-def: $vgpr6_vgpr7
	s_and_saveexec_b64 s[4:5], s[8:9]
	s_cbranch_execz .LBB1344_55
.LBB1344_256:
	v_lshlrev_b32_e32 v6, 3, v0
	v_mov_b32_e32 v7, s63
	v_add_co_u32_e32 v6, vcc, s62, v6
	v_addc_co_u32_e32 v7, vcc, 0, v7, vcc
	flat_load_dwordx2 v[6:7], v[6:7] offset:512
	s_or_b64 exec, exec, s[4:5]
                                        ; implicit-def: $vgpr10_vgpr11
	s_and_saveexec_b64 s[4:5], s[10:11]
	s_cbranch_execz .LBB1344_56
.LBB1344_257:
	v_lshlrev_b32_e32 v10, 3, v0
	v_mov_b32_e32 v11, s63
	v_add_co_u32_e32 v10, vcc, s62, v10
	v_addc_co_u32_e32 v11, vcc, 0, v11, vcc
	flat_load_dwordx2 v[10:11], v[10:11] offset:1024
	s_or_b64 exec, exec, s[4:5]
                                        ; implicit-def: $vgpr14_vgpr15
	s_and_saveexec_b64 s[4:5], s[12:13]
	s_cbranch_execz .LBB1344_57
.LBB1344_258:
	v_lshlrev_b32_e32 v14, 3, v0
	v_mov_b32_e32 v15, s63
	v_add_co_u32_e32 v14, vcc, s62, v14
	v_addc_co_u32_e32 v15, vcc, 0, v15, vcc
	flat_load_dwordx2 v[14:15], v[14:15] offset:1536
	s_or_b64 exec, exec, s[4:5]
                                        ; implicit-def: $vgpr18_vgpr19
	s_and_saveexec_b64 s[4:5], s[14:15]
	s_cbranch_execz .LBB1344_58
.LBB1344_259:
	v_lshlrev_b32_e32 v18, 3, v0
	v_mov_b32_e32 v19, s63
	v_add_co_u32_e32 v18, vcc, s62, v18
	v_addc_co_u32_e32 v19, vcc, 0, v19, vcc
	flat_load_dwordx2 v[18:19], v[18:19] offset:2048
	s_or_b64 exec, exec, s[4:5]
                                        ; implicit-def: $vgpr20_vgpr21
	s_and_saveexec_b64 s[4:5], s[16:17]
	s_cbranch_execz .LBB1344_59
.LBB1344_260:
	v_lshlrev_b32_e32 v20, 3, v0
	v_mov_b32_e32 v21, s63
	v_add_co_u32_e32 v20, vcc, s62, v20
	v_addc_co_u32_e32 v21, vcc, 0, v21, vcc
	flat_load_dwordx2 v[20:21], v[20:21] offset:2560
	s_or_b64 exec, exec, s[4:5]
                                        ; implicit-def: $vgpr22_vgpr23
	s_and_saveexec_b64 s[4:5], s[18:19]
	s_cbranch_execz .LBB1344_60
.LBB1344_261:
	v_lshlrev_b32_e32 v22, 3, v0
	v_mov_b32_e32 v23, s63
	v_add_co_u32_e32 v22, vcc, s62, v22
	v_addc_co_u32_e32 v23, vcc, 0, v23, vcc
	flat_load_dwordx2 v[22:23], v[22:23] offset:3072
	s_or_b64 exec, exec, s[4:5]
                                        ; implicit-def: $vgpr26_vgpr27
	s_and_saveexec_b64 s[4:5], s[20:21]
	s_cbranch_execz .LBB1344_61
.LBB1344_262:
	v_lshlrev_b32_e32 v26, 3, v0
	v_mov_b32_e32 v27, s63
	v_add_co_u32_e32 v26, vcc, s62, v26
	v_addc_co_u32_e32 v27, vcc, 0, v27, vcc
	flat_load_dwordx2 v[26:27], v[26:27] offset:3584
	s_or_b64 exec, exec, s[4:5]
                                        ; implicit-def: $vgpr30_vgpr31
	s_and_saveexec_b64 s[4:5], s[22:23]
	s_cbranch_execz .LBB1344_62
.LBB1344_263:
	v_lshlrev_b32_e32 v1, 3, v1
	v_mov_b32_e32 v31, s63
	v_add_co_u32_e32 v30, vcc, s62, v1
	v_addc_co_u32_e32 v31, vcc, 0, v31, vcc
	flat_load_dwordx2 v[30:31], v[30:31]
	s_or_b64 exec, exec, s[4:5]
                                        ; implicit-def: $vgpr34_vgpr35
	s_and_saveexec_b64 s[4:5], s[24:25]
	s_cbranch_execz .LBB1344_63
.LBB1344_264:
	v_lshlrev_b32_e32 v1, 3, v38
	v_mov_b32_e32 v35, s63
	v_add_co_u32_e32 v34, vcc, s62, v1
	v_addc_co_u32_e32 v35, vcc, 0, v35, vcc
	flat_load_dwordx2 v[34:35], v[34:35]
	s_or_b64 exec, exec, s[4:5]
                                        ; implicit-def: $vgpr38_vgpr39
	s_and_saveexec_b64 s[4:5], s[26:27]
	s_cbranch_execz .LBB1344_64
.LBB1344_265:
	v_lshlrev_b32_e32 v1, 3, v42
	v_mov_b32_e32 v39, s63
	v_add_co_u32_e32 v38, vcc, s62, v1
	v_addc_co_u32_e32 v39, vcc, 0, v39, vcc
	flat_load_dwordx2 v[38:39], v[38:39]
	s_or_b64 exec, exec, s[4:5]
                                        ; implicit-def: $vgpr42_vgpr43
	s_and_saveexec_b64 s[4:5], s[28:29]
	s_cbranch_execz .LBB1344_65
.LBB1344_266:
	v_lshlrev_b32_e32 v1, 3, v46
	v_mov_b32_e32 v43, s63
	v_add_co_u32_e32 v42, vcc, s62, v1
	v_addc_co_u32_e32 v43, vcc, 0, v43, vcc
	flat_load_dwordx2 v[42:43], v[42:43]
	s_or_b64 exec, exec, s[4:5]
                                        ; implicit-def: $vgpr46_vgpr47
	s_and_saveexec_b64 s[4:5], s[30:31]
	s_cbranch_execz .LBB1344_66
.LBB1344_267:
	v_lshlrev_b32_e32 v1, 3, v48
	v_mov_b32_e32 v47, s63
	v_add_co_u32_e32 v46, vcc, s62, v1
	v_addc_co_u32_e32 v47, vcc, 0, v47, vcc
	flat_load_dwordx2 v[46:47], v[46:47]
	s_or_b64 exec, exec, s[4:5]
                                        ; implicit-def: $vgpr48_vgpr49
	s_and_saveexec_b64 s[4:5], s[34:35]
	s_cbranch_execz .LBB1344_67
.LBB1344_268:
	v_lshlrev_b32_e32 v1, 3, v50
	v_mov_b32_e32 v49, s63
	v_add_co_u32_e32 v48, vcc, s62, v1
	v_addc_co_u32_e32 v49, vcc, 0, v49, vcc
	flat_load_dwordx2 v[48:49], v[48:49]
	s_or_b64 exec, exec, s[4:5]
                                        ; implicit-def: $vgpr50_vgpr51
	s_and_saveexec_b64 s[4:5], s[36:37]
	s_cbranch_execz .LBB1344_68
.LBB1344_269:
	v_lshlrev_b32_e32 v1, 3, v52
	v_mov_b32_e32 v51, s63
	v_add_co_u32_e32 v50, vcc, s62, v1
	v_addc_co_u32_e32 v51, vcc, 0, v51, vcc
	flat_load_dwordx2 v[50:51], v[50:51]
	s_or_b64 exec, exec, s[4:5]
                                        ; implicit-def: $vgpr52_vgpr53
	s_and_saveexec_b64 s[4:5], s[38:39]
	s_cbranch_execz .LBB1344_69
.LBB1344_270:
	v_lshlrev_b32_e32 v1, 3, v54
	v_mov_b32_e32 v53, s63
	v_add_co_u32_e32 v52, vcc, s62, v1
	v_addc_co_u32_e32 v53, vcc, 0, v53, vcc
	flat_load_dwordx2 v[52:53], v[52:53]
	s_or_b64 exec, exec, s[4:5]
                                        ; implicit-def: $vgpr54_vgpr55
	s_and_saveexec_b64 s[4:5], s[40:41]
	s_cbranch_execz .LBB1344_70
.LBB1344_271:
	v_lshlrev_b32_e32 v1, 3, v56
	v_mov_b32_e32 v55, s63
	v_add_co_u32_e32 v54, vcc, s62, v1
	v_addc_co_u32_e32 v55, vcc, 0, v55, vcc
	flat_load_dwordx2 v[54:55], v[54:55]
	s_or_b64 exec, exec, s[4:5]
                                        ; implicit-def: $vgpr56_vgpr57
	s_and_saveexec_b64 s[4:5], s[42:43]
	s_cbranch_execz .LBB1344_71
.LBB1344_272:
	v_lshlrev_b32_e32 v1, 3, v58
	v_mov_b32_e32 v57, s63
	v_add_co_u32_e32 v56, vcc, s62, v1
	v_addc_co_u32_e32 v57, vcc, 0, v57, vcc
	flat_load_dwordx2 v[56:57], v[56:57]
	s_or_b64 exec, exec, s[4:5]
                                        ; implicit-def: $vgpr58_vgpr59
	s_and_saveexec_b64 s[4:5], s[44:45]
	s_cbranch_execz .LBB1344_72
.LBB1344_273:
	v_lshlrev_b32_e32 v1, 3, v60
	v_mov_b32_e32 v59, s63
	v_add_co_u32_e32 v58, vcc, s62, v1
	v_addc_co_u32_e32 v59, vcc, 0, v59, vcc
	flat_load_dwordx2 v[58:59], v[58:59]
	s_or_b64 exec, exec, s[4:5]
                                        ; implicit-def: $vgpr60_vgpr61
	s_and_saveexec_b64 s[4:5], s[46:47]
	s_cbranch_execz .LBB1344_73
.LBB1344_274:
	v_lshlrev_b32_e32 v1, 3, v62
	v_mov_b32_e32 v61, s63
	v_add_co_u32_e32 v60, vcc, s62, v1
	v_addc_co_u32_e32 v61, vcc, 0, v61, vcc
	flat_load_dwordx2 v[60:61], v[60:61]
	s_or_b64 exec, exec, s[4:5]
                                        ; implicit-def: $vgpr62_vgpr63
	s_and_saveexec_b64 s[4:5], s[48:49]
	s_cbranch_execnz .LBB1344_74
	s_branch .LBB1344_75
.LBB1344_275:
                                        ; implicit-def: $sgpr4_sgpr5
	s_branch .LBB1344_50
.LBB1344_276:
                                        ; implicit-def: $sgpr4_sgpr5
	s_branch .LBB1344_120
	.section	.rodata,"a",@progbits
	.p2align	6, 0x0
	.amdhsa_kernel _ZN7rocprim17ROCPRIM_400000_NS6detail17trampoline_kernelINS0_14default_configENS1_27scan_by_key_config_selectorIixEEZZNS1_16scan_by_key_implILNS1_25lookback_scan_determinismE0ELb0ES3_N6thrust23THRUST_200600_302600_NS6detail15normal_iteratorINS9_10device_ptrIiEEEENSB_INSC_IxEEEESG_xNS9_4plusIvEENS9_8equal_toIvEExEE10hipError_tPvRmT2_T3_T4_T5_mT6_T7_P12ihipStream_tbENKUlT_T0_E_clISt17integral_constantIbLb0EES10_IbLb1EEEEDaSW_SX_EUlSW_E_NS1_11comp_targetILNS1_3genE4ELNS1_11target_archE910ELNS1_3gpuE8ELNS1_3repE0EEENS1_30default_config_static_selectorELNS0_4arch9wavefront6targetE1EEEvT1_
		.amdhsa_group_segment_fixed_size 10752
		.amdhsa_private_segment_fixed_size 0
		.amdhsa_kernarg_size 136
		.amdhsa_user_sgpr_count 6
		.amdhsa_user_sgpr_private_segment_buffer 1
		.amdhsa_user_sgpr_dispatch_ptr 0
		.amdhsa_user_sgpr_queue_ptr 0
		.amdhsa_user_sgpr_kernarg_segment_ptr 1
		.amdhsa_user_sgpr_dispatch_id 0
		.amdhsa_user_sgpr_flat_scratch_init 0
		.amdhsa_user_sgpr_kernarg_preload_length 0
		.amdhsa_user_sgpr_kernarg_preload_offset 0
		.amdhsa_user_sgpr_private_segment_size 0
		.amdhsa_uses_dynamic_stack 0
		.amdhsa_system_sgpr_private_segment_wavefront_offset 0
		.amdhsa_system_sgpr_workgroup_id_x 1
		.amdhsa_system_sgpr_workgroup_id_y 0
		.amdhsa_system_sgpr_workgroup_id_z 0
		.amdhsa_system_sgpr_workgroup_info 0
		.amdhsa_system_vgpr_workitem_id 0
		.amdhsa_next_free_vgpr 132
		.amdhsa_next_free_sgpr 96
		.amdhsa_accum_offset 132
		.amdhsa_reserve_vcc 1
		.amdhsa_reserve_flat_scratch 0
		.amdhsa_float_round_mode_32 0
		.amdhsa_float_round_mode_16_64 0
		.amdhsa_float_denorm_mode_32 3
		.amdhsa_float_denorm_mode_16_64 3
		.amdhsa_dx10_clamp 1
		.amdhsa_ieee_mode 1
		.amdhsa_fp16_overflow 0
		.amdhsa_tg_split 0
		.amdhsa_exception_fp_ieee_invalid_op 0
		.amdhsa_exception_fp_denorm_src 0
		.amdhsa_exception_fp_ieee_div_zero 0
		.amdhsa_exception_fp_ieee_overflow 0
		.amdhsa_exception_fp_ieee_underflow 0
		.amdhsa_exception_fp_ieee_inexact 0
		.amdhsa_exception_int_div_zero 0
	.end_amdhsa_kernel
	.section	.text._ZN7rocprim17ROCPRIM_400000_NS6detail17trampoline_kernelINS0_14default_configENS1_27scan_by_key_config_selectorIixEEZZNS1_16scan_by_key_implILNS1_25lookback_scan_determinismE0ELb0ES3_N6thrust23THRUST_200600_302600_NS6detail15normal_iteratorINS9_10device_ptrIiEEEENSB_INSC_IxEEEESG_xNS9_4plusIvEENS9_8equal_toIvEExEE10hipError_tPvRmT2_T3_T4_T5_mT6_T7_P12ihipStream_tbENKUlT_T0_E_clISt17integral_constantIbLb0EES10_IbLb1EEEEDaSW_SX_EUlSW_E_NS1_11comp_targetILNS1_3genE4ELNS1_11target_archE910ELNS1_3gpuE8ELNS1_3repE0EEENS1_30default_config_static_selectorELNS0_4arch9wavefront6targetE1EEEvT1_,"axG",@progbits,_ZN7rocprim17ROCPRIM_400000_NS6detail17trampoline_kernelINS0_14default_configENS1_27scan_by_key_config_selectorIixEEZZNS1_16scan_by_key_implILNS1_25lookback_scan_determinismE0ELb0ES3_N6thrust23THRUST_200600_302600_NS6detail15normal_iteratorINS9_10device_ptrIiEEEENSB_INSC_IxEEEESG_xNS9_4plusIvEENS9_8equal_toIvEExEE10hipError_tPvRmT2_T3_T4_T5_mT6_T7_P12ihipStream_tbENKUlT_T0_E_clISt17integral_constantIbLb0EES10_IbLb1EEEEDaSW_SX_EUlSW_E_NS1_11comp_targetILNS1_3genE4ELNS1_11target_archE910ELNS1_3gpuE8ELNS1_3repE0EEENS1_30default_config_static_selectorELNS0_4arch9wavefront6targetE1EEEvT1_,comdat
.Lfunc_end1344:
	.size	_ZN7rocprim17ROCPRIM_400000_NS6detail17trampoline_kernelINS0_14default_configENS1_27scan_by_key_config_selectorIixEEZZNS1_16scan_by_key_implILNS1_25lookback_scan_determinismE0ELb0ES3_N6thrust23THRUST_200600_302600_NS6detail15normal_iteratorINS9_10device_ptrIiEEEENSB_INSC_IxEEEESG_xNS9_4plusIvEENS9_8equal_toIvEExEE10hipError_tPvRmT2_T3_T4_T5_mT6_T7_P12ihipStream_tbENKUlT_T0_E_clISt17integral_constantIbLb0EES10_IbLb1EEEEDaSW_SX_EUlSW_E_NS1_11comp_targetILNS1_3genE4ELNS1_11target_archE910ELNS1_3gpuE8ELNS1_3repE0EEENS1_30default_config_static_selectorELNS0_4arch9wavefront6targetE1EEEvT1_, .Lfunc_end1344-_ZN7rocprim17ROCPRIM_400000_NS6detail17trampoline_kernelINS0_14default_configENS1_27scan_by_key_config_selectorIixEEZZNS1_16scan_by_key_implILNS1_25lookback_scan_determinismE0ELb0ES3_N6thrust23THRUST_200600_302600_NS6detail15normal_iteratorINS9_10device_ptrIiEEEENSB_INSC_IxEEEESG_xNS9_4plusIvEENS9_8equal_toIvEExEE10hipError_tPvRmT2_T3_T4_T5_mT6_T7_P12ihipStream_tbENKUlT_T0_E_clISt17integral_constantIbLb0EES10_IbLb1EEEEDaSW_SX_EUlSW_E_NS1_11comp_targetILNS1_3genE4ELNS1_11target_archE910ELNS1_3gpuE8ELNS1_3repE0EEENS1_30default_config_static_selectorELNS0_4arch9wavefront6targetE1EEEvT1_
                                        ; -- End function
	.section	.AMDGPU.csdata,"",@progbits
; Kernel info:
; codeLenInByte = 17192
; NumSgprs: 100
; NumVgprs: 132
; NumAgprs: 0
; TotalNumVgprs: 132
; ScratchSize: 0
; MemoryBound: 0
; FloatMode: 240
; IeeeMode: 1
; LDSByteSize: 10752 bytes/workgroup (compile time only)
; SGPRBlocks: 12
; VGPRBlocks: 16
; NumSGPRsForWavesPerEU: 100
; NumVGPRsForWavesPerEU: 132
; AccumOffset: 132
; Occupancy: 2
; WaveLimiterHint : 1
; COMPUTE_PGM_RSRC2:SCRATCH_EN: 0
; COMPUTE_PGM_RSRC2:USER_SGPR: 6
; COMPUTE_PGM_RSRC2:TRAP_HANDLER: 0
; COMPUTE_PGM_RSRC2:TGID_X_EN: 1
; COMPUTE_PGM_RSRC2:TGID_Y_EN: 0
; COMPUTE_PGM_RSRC2:TGID_Z_EN: 0
; COMPUTE_PGM_RSRC2:TIDIG_COMP_CNT: 0
; COMPUTE_PGM_RSRC3_GFX90A:ACCUM_OFFSET: 32
; COMPUTE_PGM_RSRC3_GFX90A:TG_SPLIT: 0
	.section	.text._ZN7rocprim17ROCPRIM_400000_NS6detail17trampoline_kernelINS0_14default_configENS1_27scan_by_key_config_selectorIixEEZZNS1_16scan_by_key_implILNS1_25lookback_scan_determinismE0ELb0ES3_N6thrust23THRUST_200600_302600_NS6detail15normal_iteratorINS9_10device_ptrIiEEEENSB_INSC_IxEEEESG_xNS9_4plusIvEENS9_8equal_toIvEExEE10hipError_tPvRmT2_T3_T4_T5_mT6_T7_P12ihipStream_tbENKUlT_T0_E_clISt17integral_constantIbLb0EES10_IbLb1EEEEDaSW_SX_EUlSW_E_NS1_11comp_targetILNS1_3genE3ELNS1_11target_archE908ELNS1_3gpuE7ELNS1_3repE0EEENS1_30default_config_static_selectorELNS0_4arch9wavefront6targetE1EEEvT1_,"axG",@progbits,_ZN7rocprim17ROCPRIM_400000_NS6detail17trampoline_kernelINS0_14default_configENS1_27scan_by_key_config_selectorIixEEZZNS1_16scan_by_key_implILNS1_25lookback_scan_determinismE0ELb0ES3_N6thrust23THRUST_200600_302600_NS6detail15normal_iteratorINS9_10device_ptrIiEEEENSB_INSC_IxEEEESG_xNS9_4plusIvEENS9_8equal_toIvEExEE10hipError_tPvRmT2_T3_T4_T5_mT6_T7_P12ihipStream_tbENKUlT_T0_E_clISt17integral_constantIbLb0EES10_IbLb1EEEEDaSW_SX_EUlSW_E_NS1_11comp_targetILNS1_3genE3ELNS1_11target_archE908ELNS1_3gpuE7ELNS1_3repE0EEENS1_30default_config_static_selectorELNS0_4arch9wavefront6targetE1EEEvT1_,comdat
	.protected	_ZN7rocprim17ROCPRIM_400000_NS6detail17trampoline_kernelINS0_14default_configENS1_27scan_by_key_config_selectorIixEEZZNS1_16scan_by_key_implILNS1_25lookback_scan_determinismE0ELb0ES3_N6thrust23THRUST_200600_302600_NS6detail15normal_iteratorINS9_10device_ptrIiEEEENSB_INSC_IxEEEESG_xNS9_4plusIvEENS9_8equal_toIvEExEE10hipError_tPvRmT2_T3_T4_T5_mT6_T7_P12ihipStream_tbENKUlT_T0_E_clISt17integral_constantIbLb0EES10_IbLb1EEEEDaSW_SX_EUlSW_E_NS1_11comp_targetILNS1_3genE3ELNS1_11target_archE908ELNS1_3gpuE7ELNS1_3repE0EEENS1_30default_config_static_selectorELNS0_4arch9wavefront6targetE1EEEvT1_ ; -- Begin function _ZN7rocprim17ROCPRIM_400000_NS6detail17trampoline_kernelINS0_14default_configENS1_27scan_by_key_config_selectorIixEEZZNS1_16scan_by_key_implILNS1_25lookback_scan_determinismE0ELb0ES3_N6thrust23THRUST_200600_302600_NS6detail15normal_iteratorINS9_10device_ptrIiEEEENSB_INSC_IxEEEESG_xNS9_4plusIvEENS9_8equal_toIvEExEE10hipError_tPvRmT2_T3_T4_T5_mT6_T7_P12ihipStream_tbENKUlT_T0_E_clISt17integral_constantIbLb0EES10_IbLb1EEEEDaSW_SX_EUlSW_E_NS1_11comp_targetILNS1_3genE3ELNS1_11target_archE908ELNS1_3gpuE7ELNS1_3repE0EEENS1_30default_config_static_selectorELNS0_4arch9wavefront6targetE1EEEvT1_
	.globl	_ZN7rocprim17ROCPRIM_400000_NS6detail17trampoline_kernelINS0_14default_configENS1_27scan_by_key_config_selectorIixEEZZNS1_16scan_by_key_implILNS1_25lookback_scan_determinismE0ELb0ES3_N6thrust23THRUST_200600_302600_NS6detail15normal_iteratorINS9_10device_ptrIiEEEENSB_INSC_IxEEEESG_xNS9_4plusIvEENS9_8equal_toIvEExEE10hipError_tPvRmT2_T3_T4_T5_mT6_T7_P12ihipStream_tbENKUlT_T0_E_clISt17integral_constantIbLb0EES10_IbLb1EEEEDaSW_SX_EUlSW_E_NS1_11comp_targetILNS1_3genE3ELNS1_11target_archE908ELNS1_3gpuE7ELNS1_3repE0EEENS1_30default_config_static_selectorELNS0_4arch9wavefront6targetE1EEEvT1_
	.p2align	8
	.type	_ZN7rocprim17ROCPRIM_400000_NS6detail17trampoline_kernelINS0_14default_configENS1_27scan_by_key_config_selectorIixEEZZNS1_16scan_by_key_implILNS1_25lookback_scan_determinismE0ELb0ES3_N6thrust23THRUST_200600_302600_NS6detail15normal_iteratorINS9_10device_ptrIiEEEENSB_INSC_IxEEEESG_xNS9_4plusIvEENS9_8equal_toIvEExEE10hipError_tPvRmT2_T3_T4_T5_mT6_T7_P12ihipStream_tbENKUlT_T0_E_clISt17integral_constantIbLb0EES10_IbLb1EEEEDaSW_SX_EUlSW_E_NS1_11comp_targetILNS1_3genE3ELNS1_11target_archE908ELNS1_3gpuE7ELNS1_3repE0EEENS1_30default_config_static_selectorELNS0_4arch9wavefront6targetE1EEEvT1_,@function
_ZN7rocprim17ROCPRIM_400000_NS6detail17trampoline_kernelINS0_14default_configENS1_27scan_by_key_config_selectorIixEEZZNS1_16scan_by_key_implILNS1_25lookback_scan_determinismE0ELb0ES3_N6thrust23THRUST_200600_302600_NS6detail15normal_iteratorINS9_10device_ptrIiEEEENSB_INSC_IxEEEESG_xNS9_4plusIvEENS9_8equal_toIvEExEE10hipError_tPvRmT2_T3_T4_T5_mT6_T7_P12ihipStream_tbENKUlT_T0_E_clISt17integral_constantIbLb0EES10_IbLb1EEEEDaSW_SX_EUlSW_E_NS1_11comp_targetILNS1_3genE3ELNS1_11target_archE908ELNS1_3gpuE7ELNS1_3repE0EEENS1_30default_config_static_selectorELNS0_4arch9wavefront6targetE1EEEvT1_: ; @_ZN7rocprim17ROCPRIM_400000_NS6detail17trampoline_kernelINS0_14default_configENS1_27scan_by_key_config_selectorIixEEZZNS1_16scan_by_key_implILNS1_25lookback_scan_determinismE0ELb0ES3_N6thrust23THRUST_200600_302600_NS6detail15normal_iteratorINS9_10device_ptrIiEEEENSB_INSC_IxEEEESG_xNS9_4plusIvEENS9_8equal_toIvEExEE10hipError_tPvRmT2_T3_T4_T5_mT6_T7_P12ihipStream_tbENKUlT_T0_E_clISt17integral_constantIbLb0EES10_IbLb1EEEEDaSW_SX_EUlSW_E_NS1_11comp_targetILNS1_3genE3ELNS1_11target_archE908ELNS1_3gpuE7ELNS1_3repE0EEENS1_30default_config_static_selectorELNS0_4arch9wavefront6targetE1EEEvT1_
; %bb.0:
	.section	.rodata,"a",@progbits
	.p2align	6, 0x0
	.amdhsa_kernel _ZN7rocprim17ROCPRIM_400000_NS6detail17trampoline_kernelINS0_14default_configENS1_27scan_by_key_config_selectorIixEEZZNS1_16scan_by_key_implILNS1_25lookback_scan_determinismE0ELb0ES3_N6thrust23THRUST_200600_302600_NS6detail15normal_iteratorINS9_10device_ptrIiEEEENSB_INSC_IxEEEESG_xNS9_4plusIvEENS9_8equal_toIvEExEE10hipError_tPvRmT2_T3_T4_T5_mT6_T7_P12ihipStream_tbENKUlT_T0_E_clISt17integral_constantIbLb0EES10_IbLb1EEEEDaSW_SX_EUlSW_E_NS1_11comp_targetILNS1_3genE3ELNS1_11target_archE908ELNS1_3gpuE7ELNS1_3repE0EEENS1_30default_config_static_selectorELNS0_4arch9wavefront6targetE1EEEvT1_
		.amdhsa_group_segment_fixed_size 0
		.amdhsa_private_segment_fixed_size 0
		.amdhsa_kernarg_size 136
		.amdhsa_user_sgpr_count 6
		.amdhsa_user_sgpr_private_segment_buffer 1
		.amdhsa_user_sgpr_dispatch_ptr 0
		.amdhsa_user_sgpr_queue_ptr 0
		.amdhsa_user_sgpr_kernarg_segment_ptr 1
		.amdhsa_user_sgpr_dispatch_id 0
		.amdhsa_user_sgpr_flat_scratch_init 0
		.amdhsa_user_sgpr_kernarg_preload_length 0
		.amdhsa_user_sgpr_kernarg_preload_offset 0
		.amdhsa_user_sgpr_private_segment_size 0
		.amdhsa_uses_dynamic_stack 0
		.amdhsa_system_sgpr_private_segment_wavefront_offset 0
		.amdhsa_system_sgpr_workgroup_id_x 1
		.amdhsa_system_sgpr_workgroup_id_y 0
		.amdhsa_system_sgpr_workgroup_id_z 0
		.amdhsa_system_sgpr_workgroup_info 0
		.amdhsa_system_vgpr_workitem_id 0
		.amdhsa_next_free_vgpr 1
		.amdhsa_next_free_sgpr 0
		.amdhsa_accum_offset 4
		.amdhsa_reserve_vcc 0
		.amdhsa_reserve_flat_scratch 0
		.amdhsa_float_round_mode_32 0
		.amdhsa_float_round_mode_16_64 0
		.amdhsa_float_denorm_mode_32 3
		.amdhsa_float_denorm_mode_16_64 3
		.amdhsa_dx10_clamp 1
		.amdhsa_ieee_mode 1
		.amdhsa_fp16_overflow 0
		.amdhsa_tg_split 0
		.amdhsa_exception_fp_ieee_invalid_op 0
		.amdhsa_exception_fp_denorm_src 0
		.amdhsa_exception_fp_ieee_div_zero 0
		.amdhsa_exception_fp_ieee_overflow 0
		.amdhsa_exception_fp_ieee_underflow 0
		.amdhsa_exception_fp_ieee_inexact 0
		.amdhsa_exception_int_div_zero 0
	.end_amdhsa_kernel
	.section	.text._ZN7rocprim17ROCPRIM_400000_NS6detail17trampoline_kernelINS0_14default_configENS1_27scan_by_key_config_selectorIixEEZZNS1_16scan_by_key_implILNS1_25lookback_scan_determinismE0ELb0ES3_N6thrust23THRUST_200600_302600_NS6detail15normal_iteratorINS9_10device_ptrIiEEEENSB_INSC_IxEEEESG_xNS9_4plusIvEENS9_8equal_toIvEExEE10hipError_tPvRmT2_T3_T4_T5_mT6_T7_P12ihipStream_tbENKUlT_T0_E_clISt17integral_constantIbLb0EES10_IbLb1EEEEDaSW_SX_EUlSW_E_NS1_11comp_targetILNS1_3genE3ELNS1_11target_archE908ELNS1_3gpuE7ELNS1_3repE0EEENS1_30default_config_static_selectorELNS0_4arch9wavefront6targetE1EEEvT1_,"axG",@progbits,_ZN7rocprim17ROCPRIM_400000_NS6detail17trampoline_kernelINS0_14default_configENS1_27scan_by_key_config_selectorIixEEZZNS1_16scan_by_key_implILNS1_25lookback_scan_determinismE0ELb0ES3_N6thrust23THRUST_200600_302600_NS6detail15normal_iteratorINS9_10device_ptrIiEEEENSB_INSC_IxEEEESG_xNS9_4plusIvEENS9_8equal_toIvEExEE10hipError_tPvRmT2_T3_T4_T5_mT6_T7_P12ihipStream_tbENKUlT_T0_E_clISt17integral_constantIbLb0EES10_IbLb1EEEEDaSW_SX_EUlSW_E_NS1_11comp_targetILNS1_3genE3ELNS1_11target_archE908ELNS1_3gpuE7ELNS1_3repE0EEENS1_30default_config_static_selectorELNS0_4arch9wavefront6targetE1EEEvT1_,comdat
.Lfunc_end1345:
	.size	_ZN7rocprim17ROCPRIM_400000_NS6detail17trampoline_kernelINS0_14default_configENS1_27scan_by_key_config_selectorIixEEZZNS1_16scan_by_key_implILNS1_25lookback_scan_determinismE0ELb0ES3_N6thrust23THRUST_200600_302600_NS6detail15normal_iteratorINS9_10device_ptrIiEEEENSB_INSC_IxEEEESG_xNS9_4plusIvEENS9_8equal_toIvEExEE10hipError_tPvRmT2_T3_T4_T5_mT6_T7_P12ihipStream_tbENKUlT_T0_E_clISt17integral_constantIbLb0EES10_IbLb1EEEEDaSW_SX_EUlSW_E_NS1_11comp_targetILNS1_3genE3ELNS1_11target_archE908ELNS1_3gpuE7ELNS1_3repE0EEENS1_30default_config_static_selectorELNS0_4arch9wavefront6targetE1EEEvT1_, .Lfunc_end1345-_ZN7rocprim17ROCPRIM_400000_NS6detail17trampoline_kernelINS0_14default_configENS1_27scan_by_key_config_selectorIixEEZZNS1_16scan_by_key_implILNS1_25lookback_scan_determinismE0ELb0ES3_N6thrust23THRUST_200600_302600_NS6detail15normal_iteratorINS9_10device_ptrIiEEEENSB_INSC_IxEEEESG_xNS9_4plusIvEENS9_8equal_toIvEExEE10hipError_tPvRmT2_T3_T4_T5_mT6_T7_P12ihipStream_tbENKUlT_T0_E_clISt17integral_constantIbLb0EES10_IbLb1EEEEDaSW_SX_EUlSW_E_NS1_11comp_targetILNS1_3genE3ELNS1_11target_archE908ELNS1_3gpuE7ELNS1_3repE0EEENS1_30default_config_static_selectorELNS0_4arch9wavefront6targetE1EEEvT1_
                                        ; -- End function
	.section	.AMDGPU.csdata,"",@progbits
; Kernel info:
; codeLenInByte = 0
; NumSgprs: 4
; NumVgprs: 0
; NumAgprs: 0
; TotalNumVgprs: 0
; ScratchSize: 0
; MemoryBound: 0
; FloatMode: 240
; IeeeMode: 1
; LDSByteSize: 0 bytes/workgroup (compile time only)
; SGPRBlocks: 0
; VGPRBlocks: 0
; NumSGPRsForWavesPerEU: 4
; NumVGPRsForWavesPerEU: 1
; AccumOffset: 4
; Occupancy: 8
; WaveLimiterHint : 0
; COMPUTE_PGM_RSRC2:SCRATCH_EN: 0
; COMPUTE_PGM_RSRC2:USER_SGPR: 6
; COMPUTE_PGM_RSRC2:TRAP_HANDLER: 0
; COMPUTE_PGM_RSRC2:TGID_X_EN: 1
; COMPUTE_PGM_RSRC2:TGID_Y_EN: 0
; COMPUTE_PGM_RSRC2:TGID_Z_EN: 0
; COMPUTE_PGM_RSRC2:TIDIG_COMP_CNT: 0
; COMPUTE_PGM_RSRC3_GFX90A:ACCUM_OFFSET: 0
; COMPUTE_PGM_RSRC3_GFX90A:TG_SPLIT: 0
	.section	.text._ZN7rocprim17ROCPRIM_400000_NS6detail17trampoline_kernelINS0_14default_configENS1_27scan_by_key_config_selectorIixEEZZNS1_16scan_by_key_implILNS1_25lookback_scan_determinismE0ELb0ES3_N6thrust23THRUST_200600_302600_NS6detail15normal_iteratorINS9_10device_ptrIiEEEENSB_INSC_IxEEEESG_xNS9_4plusIvEENS9_8equal_toIvEExEE10hipError_tPvRmT2_T3_T4_T5_mT6_T7_P12ihipStream_tbENKUlT_T0_E_clISt17integral_constantIbLb0EES10_IbLb1EEEEDaSW_SX_EUlSW_E_NS1_11comp_targetILNS1_3genE2ELNS1_11target_archE906ELNS1_3gpuE6ELNS1_3repE0EEENS1_30default_config_static_selectorELNS0_4arch9wavefront6targetE1EEEvT1_,"axG",@progbits,_ZN7rocprim17ROCPRIM_400000_NS6detail17trampoline_kernelINS0_14default_configENS1_27scan_by_key_config_selectorIixEEZZNS1_16scan_by_key_implILNS1_25lookback_scan_determinismE0ELb0ES3_N6thrust23THRUST_200600_302600_NS6detail15normal_iteratorINS9_10device_ptrIiEEEENSB_INSC_IxEEEESG_xNS9_4plusIvEENS9_8equal_toIvEExEE10hipError_tPvRmT2_T3_T4_T5_mT6_T7_P12ihipStream_tbENKUlT_T0_E_clISt17integral_constantIbLb0EES10_IbLb1EEEEDaSW_SX_EUlSW_E_NS1_11comp_targetILNS1_3genE2ELNS1_11target_archE906ELNS1_3gpuE6ELNS1_3repE0EEENS1_30default_config_static_selectorELNS0_4arch9wavefront6targetE1EEEvT1_,comdat
	.protected	_ZN7rocprim17ROCPRIM_400000_NS6detail17trampoline_kernelINS0_14default_configENS1_27scan_by_key_config_selectorIixEEZZNS1_16scan_by_key_implILNS1_25lookback_scan_determinismE0ELb0ES3_N6thrust23THRUST_200600_302600_NS6detail15normal_iteratorINS9_10device_ptrIiEEEENSB_INSC_IxEEEESG_xNS9_4plusIvEENS9_8equal_toIvEExEE10hipError_tPvRmT2_T3_T4_T5_mT6_T7_P12ihipStream_tbENKUlT_T0_E_clISt17integral_constantIbLb0EES10_IbLb1EEEEDaSW_SX_EUlSW_E_NS1_11comp_targetILNS1_3genE2ELNS1_11target_archE906ELNS1_3gpuE6ELNS1_3repE0EEENS1_30default_config_static_selectorELNS0_4arch9wavefront6targetE1EEEvT1_ ; -- Begin function _ZN7rocprim17ROCPRIM_400000_NS6detail17trampoline_kernelINS0_14default_configENS1_27scan_by_key_config_selectorIixEEZZNS1_16scan_by_key_implILNS1_25lookback_scan_determinismE0ELb0ES3_N6thrust23THRUST_200600_302600_NS6detail15normal_iteratorINS9_10device_ptrIiEEEENSB_INSC_IxEEEESG_xNS9_4plusIvEENS9_8equal_toIvEExEE10hipError_tPvRmT2_T3_T4_T5_mT6_T7_P12ihipStream_tbENKUlT_T0_E_clISt17integral_constantIbLb0EES10_IbLb1EEEEDaSW_SX_EUlSW_E_NS1_11comp_targetILNS1_3genE2ELNS1_11target_archE906ELNS1_3gpuE6ELNS1_3repE0EEENS1_30default_config_static_selectorELNS0_4arch9wavefront6targetE1EEEvT1_
	.globl	_ZN7rocprim17ROCPRIM_400000_NS6detail17trampoline_kernelINS0_14default_configENS1_27scan_by_key_config_selectorIixEEZZNS1_16scan_by_key_implILNS1_25lookback_scan_determinismE0ELb0ES3_N6thrust23THRUST_200600_302600_NS6detail15normal_iteratorINS9_10device_ptrIiEEEENSB_INSC_IxEEEESG_xNS9_4plusIvEENS9_8equal_toIvEExEE10hipError_tPvRmT2_T3_T4_T5_mT6_T7_P12ihipStream_tbENKUlT_T0_E_clISt17integral_constantIbLb0EES10_IbLb1EEEEDaSW_SX_EUlSW_E_NS1_11comp_targetILNS1_3genE2ELNS1_11target_archE906ELNS1_3gpuE6ELNS1_3repE0EEENS1_30default_config_static_selectorELNS0_4arch9wavefront6targetE1EEEvT1_
	.p2align	8
	.type	_ZN7rocprim17ROCPRIM_400000_NS6detail17trampoline_kernelINS0_14default_configENS1_27scan_by_key_config_selectorIixEEZZNS1_16scan_by_key_implILNS1_25lookback_scan_determinismE0ELb0ES3_N6thrust23THRUST_200600_302600_NS6detail15normal_iteratorINS9_10device_ptrIiEEEENSB_INSC_IxEEEESG_xNS9_4plusIvEENS9_8equal_toIvEExEE10hipError_tPvRmT2_T3_T4_T5_mT6_T7_P12ihipStream_tbENKUlT_T0_E_clISt17integral_constantIbLb0EES10_IbLb1EEEEDaSW_SX_EUlSW_E_NS1_11comp_targetILNS1_3genE2ELNS1_11target_archE906ELNS1_3gpuE6ELNS1_3repE0EEENS1_30default_config_static_selectorELNS0_4arch9wavefront6targetE1EEEvT1_,@function
_ZN7rocprim17ROCPRIM_400000_NS6detail17trampoline_kernelINS0_14default_configENS1_27scan_by_key_config_selectorIixEEZZNS1_16scan_by_key_implILNS1_25lookback_scan_determinismE0ELb0ES3_N6thrust23THRUST_200600_302600_NS6detail15normal_iteratorINS9_10device_ptrIiEEEENSB_INSC_IxEEEESG_xNS9_4plusIvEENS9_8equal_toIvEExEE10hipError_tPvRmT2_T3_T4_T5_mT6_T7_P12ihipStream_tbENKUlT_T0_E_clISt17integral_constantIbLb0EES10_IbLb1EEEEDaSW_SX_EUlSW_E_NS1_11comp_targetILNS1_3genE2ELNS1_11target_archE906ELNS1_3gpuE6ELNS1_3repE0EEENS1_30default_config_static_selectorELNS0_4arch9wavefront6targetE1EEEvT1_: ; @_ZN7rocprim17ROCPRIM_400000_NS6detail17trampoline_kernelINS0_14default_configENS1_27scan_by_key_config_selectorIixEEZZNS1_16scan_by_key_implILNS1_25lookback_scan_determinismE0ELb0ES3_N6thrust23THRUST_200600_302600_NS6detail15normal_iteratorINS9_10device_ptrIiEEEENSB_INSC_IxEEEESG_xNS9_4plusIvEENS9_8equal_toIvEExEE10hipError_tPvRmT2_T3_T4_T5_mT6_T7_P12ihipStream_tbENKUlT_T0_E_clISt17integral_constantIbLb0EES10_IbLb1EEEEDaSW_SX_EUlSW_E_NS1_11comp_targetILNS1_3genE2ELNS1_11target_archE906ELNS1_3gpuE6ELNS1_3repE0EEENS1_30default_config_static_selectorELNS0_4arch9wavefront6targetE1EEEvT1_
; %bb.0:
	.section	.rodata,"a",@progbits
	.p2align	6, 0x0
	.amdhsa_kernel _ZN7rocprim17ROCPRIM_400000_NS6detail17trampoline_kernelINS0_14default_configENS1_27scan_by_key_config_selectorIixEEZZNS1_16scan_by_key_implILNS1_25lookback_scan_determinismE0ELb0ES3_N6thrust23THRUST_200600_302600_NS6detail15normal_iteratorINS9_10device_ptrIiEEEENSB_INSC_IxEEEESG_xNS9_4plusIvEENS9_8equal_toIvEExEE10hipError_tPvRmT2_T3_T4_T5_mT6_T7_P12ihipStream_tbENKUlT_T0_E_clISt17integral_constantIbLb0EES10_IbLb1EEEEDaSW_SX_EUlSW_E_NS1_11comp_targetILNS1_3genE2ELNS1_11target_archE906ELNS1_3gpuE6ELNS1_3repE0EEENS1_30default_config_static_selectorELNS0_4arch9wavefront6targetE1EEEvT1_
		.amdhsa_group_segment_fixed_size 0
		.amdhsa_private_segment_fixed_size 0
		.amdhsa_kernarg_size 136
		.amdhsa_user_sgpr_count 6
		.amdhsa_user_sgpr_private_segment_buffer 1
		.amdhsa_user_sgpr_dispatch_ptr 0
		.amdhsa_user_sgpr_queue_ptr 0
		.amdhsa_user_sgpr_kernarg_segment_ptr 1
		.amdhsa_user_sgpr_dispatch_id 0
		.amdhsa_user_sgpr_flat_scratch_init 0
		.amdhsa_user_sgpr_kernarg_preload_length 0
		.amdhsa_user_sgpr_kernarg_preload_offset 0
		.amdhsa_user_sgpr_private_segment_size 0
		.amdhsa_uses_dynamic_stack 0
		.amdhsa_system_sgpr_private_segment_wavefront_offset 0
		.amdhsa_system_sgpr_workgroup_id_x 1
		.amdhsa_system_sgpr_workgroup_id_y 0
		.amdhsa_system_sgpr_workgroup_id_z 0
		.amdhsa_system_sgpr_workgroup_info 0
		.amdhsa_system_vgpr_workitem_id 0
		.amdhsa_next_free_vgpr 1
		.amdhsa_next_free_sgpr 0
		.amdhsa_accum_offset 4
		.amdhsa_reserve_vcc 0
		.amdhsa_reserve_flat_scratch 0
		.amdhsa_float_round_mode_32 0
		.amdhsa_float_round_mode_16_64 0
		.amdhsa_float_denorm_mode_32 3
		.amdhsa_float_denorm_mode_16_64 3
		.amdhsa_dx10_clamp 1
		.amdhsa_ieee_mode 1
		.amdhsa_fp16_overflow 0
		.amdhsa_tg_split 0
		.amdhsa_exception_fp_ieee_invalid_op 0
		.amdhsa_exception_fp_denorm_src 0
		.amdhsa_exception_fp_ieee_div_zero 0
		.amdhsa_exception_fp_ieee_overflow 0
		.amdhsa_exception_fp_ieee_underflow 0
		.amdhsa_exception_fp_ieee_inexact 0
		.amdhsa_exception_int_div_zero 0
	.end_amdhsa_kernel
	.section	.text._ZN7rocprim17ROCPRIM_400000_NS6detail17trampoline_kernelINS0_14default_configENS1_27scan_by_key_config_selectorIixEEZZNS1_16scan_by_key_implILNS1_25lookback_scan_determinismE0ELb0ES3_N6thrust23THRUST_200600_302600_NS6detail15normal_iteratorINS9_10device_ptrIiEEEENSB_INSC_IxEEEESG_xNS9_4plusIvEENS9_8equal_toIvEExEE10hipError_tPvRmT2_T3_T4_T5_mT6_T7_P12ihipStream_tbENKUlT_T0_E_clISt17integral_constantIbLb0EES10_IbLb1EEEEDaSW_SX_EUlSW_E_NS1_11comp_targetILNS1_3genE2ELNS1_11target_archE906ELNS1_3gpuE6ELNS1_3repE0EEENS1_30default_config_static_selectorELNS0_4arch9wavefront6targetE1EEEvT1_,"axG",@progbits,_ZN7rocprim17ROCPRIM_400000_NS6detail17trampoline_kernelINS0_14default_configENS1_27scan_by_key_config_selectorIixEEZZNS1_16scan_by_key_implILNS1_25lookback_scan_determinismE0ELb0ES3_N6thrust23THRUST_200600_302600_NS6detail15normal_iteratorINS9_10device_ptrIiEEEENSB_INSC_IxEEEESG_xNS9_4plusIvEENS9_8equal_toIvEExEE10hipError_tPvRmT2_T3_T4_T5_mT6_T7_P12ihipStream_tbENKUlT_T0_E_clISt17integral_constantIbLb0EES10_IbLb1EEEEDaSW_SX_EUlSW_E_NS1_11comp_targetILNS1_3genE2ELNS1_11target_archE906ELNS1_3gpuE6ELNS1_3repE0EEENS1_30default_config_static_selectorELNS0_4arch9wavefront6targetE1EEEvT1_,comdat
.Lfunc_end1346:
	.size	_ZN7rocprim17ROCPRIM_400000_NS6detail17trampoline_kernelINS0_14default_configENS1_27scan_by_key_config_selectorIixEEZZNS1_16scan_by_key_implILNS1_25lookback_scan_determinismE0ELb0ES3_N6thrust23THRUST_200600_302600_NS6detail15normal_iteratorINS9_10device_ptrIiEEEENSB_INSC_IxEEEESG_xNS9_4plusIvEENS9_8equal_toIvEExEE10hipError_tPvRmT2_T3_T4_T5_mT6_T7_P12ihipStream_tbENKUlT_T0_E_clISt17integral_constantIbLb0EES10_IbLb1EEEEDaSW_SX_EUlSW_E_NS1_11comp_targetILNS1_3genE2ELNS1_11target_archE906ELNS1_3gpuE6ELNS1_3repE0EEENS1_30default_config_static_selectorELNS0_4arch9wavefront6targetE1EEEvT1_, .Lfunc_end1346-_ZN7rocprim17ROCPRIM_400000_NS6detail17trampoline_kernelINS0_14default_configENS1_27scan_by_key_config_selectorIixEEZZNS1_16scan_by_key_implILNS1_25lookback_scan_determinismE0ELb0ES3_N6thrust23THRUST_200600_302600_NS6detail15normal_iteratorINS9_10device_ptrIiEEEENSB_INSC_IxEEEESG_xNS9_4plusIvEENS9_8equal_toIvEExEE10hipError_tPvRmT2_T3_T4_T5_mT6_T7_P12ihipStream_tbENKUlT_T0_E_clISt17integral_constantIbLb0EES10_IbLb1EEEEDaSW_SX_EUlSW_E_NS1_11comp_targetILNS1_3genE2ELNS1_11target_archE906ELNS1_3gpuE6ELNS1_3repE0EEENS1_30default_config_static_selectorELNS0_4arch9wavefront6targetE1EEEvT1_
                                        ; -- End function
	.section	.AMDGPU.csdata,"",@progbits
; Kernel info:
; codeLenInByte = 0
; NumSgprs: 4
; NumVgprs: 0
; NumAgprs: 0
; TotalNumVgprs: 0
; ScratchSize: 0
; MemoryBound: 0
; FloatMode: 240
; IeeeMode: 1
; LDSByteSize: 0 bytes/workgroup (compile time only)
; SGPRBlocks: 0
; VGPRBlocks: 0
; NumSGPRsForWavesPerEU: 4
; NumVGPRsForWavesPerEU: 1
; AccumOffset: 4
; Occupancy: 8
; WaveLimiterHint : 0
; COMPUTE_PGM_RSRC2:SCRATCH_EN: 0
; COMPUTE_PGM_RSRC2:USER_SGPR: 6
; COMPUTE_PGM_RSRC2:TRAP_HANDLER: 0
; COMPUTE_PGM_RSRC2:TGID_X_EN: 1
; COMPUTE_PGM_RSRC2:TGID_Y_EN: 0
; COMPUTE_PGM_RSRC2:TGID_Z_EN: 0
; COMPUTE_PGM_RSRC2:TIDIG_COMP_CNT: 0
; COMPUTE_PGM_RSRC3_GFX90A:ACCUM_OFFSET: 0
; COMPUTE_PGM_RSRC3_GFX90A:TG_SPLIT: 0
	.section	.text._ZN7rocprim17ROCPRIM_400000_NS6detail17trampoline_kernelINS0_14default_configENS1_27scan_by_key_config_selectorIixEEZZNS1_16scan_by_key_implILNS1_25lookback_scan_determinismE0ELb0ES3_N6thrust23THRUST_200600_302600_NS6detail15normal_iteratorINS9_10device_ptrIiEEEENSB_INSC_IxEEEESG_xNS9_4plusIvEENS9_8equal_toIvEExEE10hipError_tPvRmT2_T3_T4_T5_mT6_T7_P12ihipStream_tbENKUlT_T0_E_clISt17integral_constantIbLb0EES10_IbLb1EEEEDaSW_SX_EUlSW_E_NS1_11comp_targetILNS1_3genE10ELNS1_11target_archE1200ELNS1_3gpuE4ELNS1_3repE0EEENS1_30default_config_static_selectorELNS0_4arch9wavefront6targetE1EEEvT1_,"axG",@progbits,_ZN7rocprim17ROCPRIM_400000_NS6detail17trampoline_kernelINS0_14default_configENS1_27scan_by_key_config_selectorIixEEZZNS1_16scan_by_key_implILNS1_25lookback_scan_determinismE0ELb0ES3_N6thrust23THRUST_200600_302600_NS6detail15normal_iteratorINS9_10device_ptrIiEEEENSB_INSC_IxEEEESG_xNS9_4plusIvEENS9_8equal_toIvEExEE10hipError_tPvRmT2_T3_T4_T5_mT6_T7_P12ihipStream_tbENKUlT_T0_E_clISt17integral_constantIbLb0EES10_IbLb1EEEEDaSW_SX_EUlSW_E_NS1_11comp_targetILNS1_3genE10ELNS1_11target_archE1200ELNS1_3gpuE4ELNS1_3repE0EEENS1_30default_config_static_selectorELNS0_4arch9wavefront6targetE1EEEvT1_,comdat
	.protected	_ZN7rocprim17ROCPRIM_400000_NS6detail17trampoline_kernelINS0_14default_configENS1_27scan_by_key_config_selectorIixEEZZNS1_16scan_by_key_implILNS1_25lookback_scan_determinismE0ELb0ES3_N6thrust23THRUST_200600_302600_NS6detail15normal_iteratorINS9_10device_ptrIiEEEENSB_INSC_IxEEEESG_xNS9_4plusIvEENS9_8equal_toIvEExEE10hipError_tPvRmT2_T3_T4_T5_mT6_T7_P12ihipStream_tbENKUlT_T0_E_clISt17integral_constantIbLb0EES10_IbLb1EEEEDaSW_SX_EUlSW_E_NS1_11comp_targetILNS1_3genE10ELNS1_11target_archE1200ELNS1_3gpuE4ELNS1_3repE0EEENS1_30default_config_static_selectorELNS0_4arch9wavefront6targetE1EEEvT1_ ; -- Begin function _ZN7rocprim17ROCPRIM_400000_NS6detail17trampoline_kernelINS0_14default_configENS1_27scan_by_key_config_selectorIixEEZZNS1_16scan_by_key_implILNS1_25lookback_scan_determinismE0ELb0ES3_N6thrust23THRUST_200600_302600_NS6detail15normal_iteratorINS9_10device_ptrIiEEEENSB_INSC_IxEEEESG_xNS9_4plusIvEENS9_8equal_toIvEExEE10hipError_tPvRmT2_T3_T4_T5_mT6_T7_P12ihipStream_tbENKUlT_T0_E_clISt17integral_constantIbLb0EES10_IbLb1EEEEDaSW_SX_EUlSW_E_NS1_11comp_targetILNS1_3genE10ELNS1_11target_archE1200ELNS1_3gpuE4ELNS1_3repE0EEENS1_30default_config_static_selectorELNS0_4arch9wavefront6targetE1EEEvT1_
	.globl	_ZN7rocprim17ROCPRIM_400000_NS6detail17trampoline_kernelINS0_14default_configENS1_27scan_by_key_config_selectorIixEEZZNS1_16scan_by_key_implILNS1_25lookback_scan_determinismE0ELb0ES3_N6thrust23THRUST_200600_302600_NS6detail15normal_iteratorINS9_10device_ptrIiEEEENSB_INSC_IxEEEESG_xNS9_4plusIvEENS9_8equal_toIvEExEE10hipError_tPvRmT2_T3_T4_T5_mT6_T7_P12ihipStream_tbENKUlT_T0_E_clISt17integral_constantIbLb0EES10_IbLb1EEEEDaSW_SX_EUlSW_E_NS1_11comp_targetILNS1_3genE10ELNS1_11target_archE1200ELNS1_3gpuE4ELNS1_3repE0EEENS1_30default_config_static_selectorELNS0_4arch9wavefront6targetE1EEEvT1_
	.p2align	8
	.type	_ZN7rocprim17ROCPRIM_400000_NS6detail17trampoline_kernelINS0_14default_configENS1_27scan_by_key_config_selectorIixEEZZNS1_16scan_by_key_implILNS1_25lookback_scan_determinismE0ELb0ES3_N6thrust23THRUST_200600_302600_NS6detail15normal_iteratorINS9_10device_ptrIiEEEENSB_INSC_IxEEEESG_xNS9_4plusIvEENS9_8equal_toIvEExEE10hipError_tPvRmT2_T3_T4_T5_mT6_T7_P12ihipStream_tbENKUlT_T0_E_clISt17integral_constantIbLb0EES10_IbLb1EEEEDaSW_SX_EUlSW_E_NS1_11comp_targetILNS1_3genE10ELNS1_11target_archE1200ELNS1_3gpuE4ELNS1_3repE0EEENS1_30default_config_static_selectorELNS0_4arch9wavefront6targetE1EEEvT1_,@function
_ZN7rocprim17ROCPRIM_400000_NS6detail17trampoline_kernelINS0_14default_configENS1_27scan_by_key_config_selectorIixEEZZNS1_16scan_by_key_implILNS1_25lookback_scan_determinismE0ELb0ES3_N6thrust23THRUST_200600_302600_NS6detail15normal_iteratorINS9_10device_ptrIiEEEENSB_INSC_IxEEEESG_xNS9_4plusIvEENS9_8equal_toIvEExEE10hipError_tPvRmT2_T3_T4_T5_mT6_T7_P12ihipStream_tbENKUlT_T0_E_clISt17integral_constantIbLb0EES10_IbLb1EEEEDaSW_SX_EUlSW_E_NS1_11comp_targetILNS1_3genE10ELNS1_11target_archE1200ELNS1_3gpuE4ELNS1_3repE0EEENS1_30default_config_static_selectorELNS0_4arch9wavefront6targetE1EEEvT1_: ; @_ZN7rocprim17ROCPRIM_400000_NS6detail17trampoline_kernelINS0_14default_configENS1_27scan_by_key_config_selectorIixEEZZNS1_16scan_by_key_implILNS1_25lookback_scan_determinismE0ELb0ES3_N6thrust23THRUST_200600_302600_NS6detail15normal_iteratorINS9_10device_ptrIiEEEENSB_INSC_IxEEEESG_xNS9_4plusIvEENS9_8equal_toIvEExEE10hipError_tPvRmT2_T3_T4_T5_mT6_T7_P12ihipStream_tbENKUlT_T0_E_clISt17integral_constantIbLb0EES10_IbLb1EEEEDaSW_SX_EUlSW_E_NS1_11comp_targetILNS1_3genE10ELNS1_11target_archE1200ELNS1_3gpuE4ELNS1_3repE0EEENS1_30default_config_static_selectorELNS0_4arch9wavefront6targetE1EEEvT1_
; %bb.0:
	.section	.rodata,"a",@progbits
	.p2align	6, 0x0
	.amdhsa_kernel _ZN7rocprim17ROCPRIM_400000_NS6detail17trampoline_kernelINS0_14default_configENS1_27scan_by_key_config_selectorIixEEZZNS1_16scan_by_key_implILNS1_25lookback_scan_determinismE0ELb0ES3_N6thrust23THRUST_200600_302600_NS6detail15normal_iteratorINS9_10device_ptrIiEEEENSB_INSC_IxEEEESG_xNS9_4plusIvEENS9_8equal_toIvEExEE10hipError_tPvRmT2_T3_T4_T5_mT6_T7_P12ihipStream_tbENKUlT_T0_E_clISt17integral_constantIbLb0EES10_IbLb1EEEEDaSW_SX_EUlSW_E_NS1_11comp_targetILNS1_3genE10ELNS1_11target_archE1200ELNS1_3gpuE4ELNS1_3repE0EEENS1_30default_config_static_selectorELNS0_4arch9wavefront6targetE1EEEvT1_
		.amdhsa_group_segment_fixed_size 0
		.amdhsa_private_segment_fixed_size 0
		.amdhsa_kernarg_size 136
		.amdhsa_user_sgpr_count 6
		.amdhsa_user_sgpr_private_segment_buffer 1
		.amdhsa_user_sgpr_dispatch_ptr 0
		.amdhsa_user_sgpr_queue_ptr 0
		.amdhsa_user_sgpr_kernarg_segment_ptr 1
		.amdhsa_user_sgpr_dispatch_id 0
		.amdhsa_user_sgpr_flat_scratch_init 0
		.amdhsa_user_sgpr_kernarg_preload_length 0
		.amdhsa_user_sgpr_kernarg_preload_offset 0
		.amdhsa_user_sgpr_private_segment_size 0
		.amdhsa_uses_dynamic_stack 0
		.amdhsa_system_sgpr_private_segment_wavefront_offset 0
		.amdhsa_system_sgpr_workgroup_id_x 1
		.amdhsa_system_sgpr_workgroup_id_y 0
		.amdhsa_system_sgpr_workgroup_id_z 0
		.amdhsa_system_sgpr_workgroup_info 0
		.amdhsa_system_vgpr_workitem_id 0
		.amdhsa_next_free_vgpr 1
		.amdhsa_next_free_sgpr 0
		.amdhsa_accum_offset 4
		.amdhsa_reserve_vcc 0
		.amdhsa_reserve_flat_scratch 0
		.amdhsa_float_round_mode_32 0
		.amdhsa_float_round_mode_16_64 0
		.amdhsa_float_denorm_mode_32 3
		.amdhsa_float_denorm_mode_16_64 3
		.amdhsa_dx10_clamp 1
		.amdhsa_ieee_mode 1
		.amdhsa_fp16_overflow 0
		.amdhsa_tg_split 0
		.amdhsa_exception_fp_ieee_invalid_op 0
		.amdhsa_exception_fp_denorm_src 0
		.amdhsa_exception_fp_ieee_div_zero 0
		.amdhsa_exception_fp_ieee_overflow 0
		.amdhsa_exception_fp_ieee_underflow 0
		.amdhsa_exception_fp_ieee_inexact 0
		.amdhsa_exception_int_div_zero 0
	.end_amdhsa_kernel
	.section	.text._ZN7rocprim17ROCPRIM_400000_NS6detail17trampoline_kernelINS0_14default_configENS1_27scan_by_key_config_selectorIixEEZZNS1_16scan_by_key_implILNS1_25lookback_scan_determinismE0ELb0ES3_N6thrust23THRUST_200600_302600_NS6detail15normal_iteratorINS9_10device_ptrIiEEEENSB_INSC_IxEEEESG_xNS9_4plusIvEENS9_8equal_toIvEExEE10hipError_tPvRmT2_T3_T4_T5_mT6_T7_P12ihipStream_tbENKUlT_T0_E_clISt17integral_constantIbLb0EES10_IbLb1EEEEDaSW_SX_EUlSW_E_NS1_11comp_targetILNS1_3genE10ELNS1_11target_archE1200ELNS1_3gpuE4ELNS1_3repE0EEENS1_30default_config_static_selectorELNS0_4arch9wavefront6targetE1EEEvT1_,"axG",@progbits,_ZN7rocprim17ROCPRIM_400000_NS6detail17trampoline_kernelINS0_14default_configENS1_27scan_by_key_config_selectorIixEEZZNS1_16scan_by_key_implILNS1_25lookback_scan_determinismE0ELb0ES3_N6thrust23THRUST_200600_302600_NS6detail15normal_iteratorINS9_10device_ptrIiEEEENSB_INSC_IxEEEESG_xNS9_4plusIvEENS9_8equal_toIvEExEE10hipError_tPvRmT2_T3_T4_T5_mT6_T7_P12ihipStream_tbENKUlT_T0_E_clISt17integral_constantIbLb0EES10_IbLb1EEEEDaSW_SX_EUlSW_E_NS1_11comp_targetILNS1_3genE10ELNS1_11target_archE1200ELNS1_3gpuE4ELNS1_3repE0EEENS1_30default_config_static_selectorELNS0_4arch9wavefront6targetE1EEEvT1_,comdat
.Lfunc_end1347:
	.size	_ZN7rocprim17ROCPRIM_400000_NS6detail17trampoline_kernelINS0_14default_configENS1_27scan_by_key_config_selectorIixEEZZNS1_16scan_by_key_implILNS1_25lookback_scan_determinismE0ELb0ES3_N6thrust23THRUST_200600_302600_NS6detail15normal_iteratorINS9_10device_ptrIiEEEENSB_INSC_IxEEEESG_xNS9_4plusIvEENS9_8equal_toIvEExEE10hipError_tPvRmT2_T3_T4_T5_mT6_T7_P12ihipStream_tbENKUlT_T0_E_clISt17integral_constantIbLb0EES10_IbLb1EEEEDaSW_SX_EUlSW_E_NS1_11comp_targetILNS1_3genE10ELNS1_11target_archE1200ELNS1_3gpuE4ELNS1_3repE0EEENS1_30default_config_static_selectorELNS0_4arch9wavefront6targetE1EEEvT1_, .Lfunc_end1347-_ZN7rocprim17ROCPRIM_400000_NS6detail17trampoline_kernelINS0_14default_configENS1_27scan_by_key_config_selectorIixEEZZNS1_16scan_by_key_implILNS1_25lookback_scan_determinismE0ELb0ES3_N6thrust23THRUST_200600_302600_NS6detail15normal_iteratorINS9_10device_ptrIiEEEENSB_INSC_IxEEEESG_xNS9_4plusIvEENS9_8equal_toIvEExEE10hipError_tPvRmT2_T3_T4_T5_mT6_T7_P12ihipStream_tbENKUlT_T0_E_clISt17integral_constantIbLb0EES10_IbLb1EEEEDaSW_SX_EUlSW_E_NS1_11comp_targetILNS1_3genE10ELNS1_11target_archE1200ELNS1_3gpuE4ELNS1_3repE0EEENS1_30default_config_static_selectorELNS0_4arch9wavefront6targetE1EEEvT1_
                                        ; -- End function
	.section	.AMDGPU.csdata,"",@progbits
; Kernel info:
; codeLenInByte = 0
; NumSgprs: 4
; NumVgprs: 0
; NumAgprs: 0
; TotalNumVgprs: 0
; ScratchSize: 0
; MemoryBound: 0
; FloatMode: 240
; IeeeMode: 1
; LDSByteSize: 0 bytes/workgroup (compile time only)
; SGPRBlocks: 0
; VGPRBlocks: 0
; NumSGPRsForWavesPerEU: 4
; NumVGPRsForWavesPerEU: 1
; AccumOffset: 4
; Occupancy: 8
; WaveLimiterHint : 0
; COMPUTE_PGM_RSRC2:SCRATCH_EN: 0
; COMPUTE_PGM_RSRC2:USER_SGPR: 6
; COMPUTE_PGM_RSRC2:TRAP_HANDLER: 0
; COMPUTE_PGM_RSRC2:TGID_X_EN: 1
; COMPUTE_PGM_RSRC2:TGID_Y_EN: 0
; COMPUTE_PGM_RSRC2:TGID_Z_EN: 0
; COMPUTE_PGM_RSRC2:TIDIG_COMP_CNT: 0
; COMPUTE_PGM_RSRC3_GFX90A:ACCUM_OFFSET: 0
; COMPUTE_PGM_RSRC3_GFX90A:TG_SPLIT: 0
	.section	.text._ZN7rocprim17ROCPRIM_400000_NS6detail17trampoline_kernelINS0_14default_configENS1_27scan_by_key_config_selectorIixEEZZNS1_16scan_by_key_implILNS1_25lookback_scan_determinismE0ELb0ES3_N6thrust23THRUST_200600_302600_NS6detail15normal_iteratorINS9_10device_ptrIiEEEENSB_INSC_IxEEEESG_xNS9_4plusIvEENS9_8equal_toIvEExEE10hipError_tPvRmT2_T3_T4_T5_mT6_T7_P12ihipStream_tbENKUlT_T0_E_clISt17integral_constantIbLb0EES10_IbLb1EEEEDaSW_SX_EUlSW_E_NS1_11comp_targetILNS1_3genE9ELNS1_11target_archE1100ELNS1_3gpuE3ELNS1_3repE0EEENS1_30default_config_static_selectorELNS0_4arch9wavefront6targetE1EEEvT1_,"axG",@progbits,_ZN7rocprim17ROCPRIM_400000_NS6detail17trampoline_kernelINS0_14default_configENS1_27scan_by_key_config_selectorIixEEZZNS1_16scan_by_key_implILNS1_25lookback_scan_determinismE0ELb0ES3_N6thrust23THRUST_200600_302600_NS6detail15normal_iteratorINS9_10device_ptrIiEEEENSB_INSC_IxEEEESG_xNS9_4plusIvEENS9_8equal_toIvEExEE10hipError_tPvRmT2_T3_T4_T5_mT6_T7_P12ihipStream_tbENKUlT_T0_E_clISt17integral_constantIbLb0EES10_IbLb1EEEEDaSW_SX_EUlSW_E_NS1_11comp_targetILNS1_3genE9ELNS1_11target_archE1100ELNS1_3gpuE3ELNS1_3repE0EEENS1_30default_config_static_selectorELNS0_4arch9wavefront6targetE1EEEvT1_,comdat
	.protected	_ZN7rocprim17ROCPRIM_400000_NS6detail17trampoline_kernelINS0_14default_configENS1_27scan_by_key_config_selectorIixEEZZNS1_16scan_by_key_implILNS1_25lookback_scan_determinismE0ELb0ES3_N6thrust23THRUST_200600_302600_NS6detail15normal_iteratorINS9_10device_ptrIiEEEENSB_INSC_IxEEEESG_xNS9_4plusIvEENS9_8equal_toIvEExEE10hipError_tPvRmT2_T3_T4_T5_mT6_T7_P12ihipStream_tbENKUlT_T0_E_clISt17integral_constantIbLb0EES10_IbLb1EEEEDaSW_SX_EUlSW_E_NS1_11comp_targetILNS1_3genE9ELNS1_11target_archE1100ELNS1_3gpuE3ELNS1_3repE0EEENS1_30default_config_static_selectorELNS0_4arch9wavefront6targetE1EEEvT1_ ; -- Begin function _ZN7rocprim17ROCPRIM_400000_NS6detail17trampoline_kernelINS0_14default_configENS1_27scan_by_key_config_selectorIixEEZZNS1_16scan_by_key_implILNS1_25lookback_scan_determinismE0ELb0ES3_N6thrust23THRUST_200600_302600_NS6detail15normal_iteratorINS9_10device_ptrIiEEEENSB_INSC_IxEEEESG_xNS9_4plusIvEENS9_8equal_toIvEExEE10hipError_tPvRmT2_T3_T4_T5_mT6_T7_P12ihipStream_tbENKUlT_T0_E_clISt17integral_constantIbLb0EES10_IbLb1EEEEDaSW_SX_EUlSW_E_NS1_11comp_targetILNS1_3genE9ELNS1_11target_archE1100ELNS1_3gpuE3ELNS1_3repE0EEENS1_30default_config_static_selectorELNS0_4arch9wavefront6targetE1EEEvT1_
	.globl	_ZN7rocprim17ROCPRIM_400000_NS6detail17trampoline_kernelINS0_14default_configENS1_27scan_by_key_config_selectorIixEEZZNS1_16scan_by_key_implILNS1_25lookback_scan_determinismE0ELb0ES3_N6thrust23THRUST_200600_302600_NS6detail15normal_iteratorINS9_10device_ptrIiEEEENSB_INSC_IxEEEESG_xNS9_4plusIvEENS9_8equal_toIvEExEE10hipError_tPvRmT2_T3_T4_T5_mT6_T7_P12ihipStream_tbENKUlT_T0_E_clISt17integral_constantIbLb0EES10_IbLb1EEEEDaSW_SX_EUlSW_E_NS1_11comp_targetILNS1_3genE9ELNS1_11target_archE1100ELNS1_3gpuE3ELNS1_3repE0EEENS1_30default_config_static_selectorELNS0_4arch9wavefront6targetE1EEEvT1_
	.p2align	8
	.type	_ZN7rocprim17ROCPRIM_400000_NS6detail17trampoline_kernelINS0_14default_configENS1_27scan_by_key_config_selectorIixEEZZNS1_16scan_by_key_implILNS1_25lookback_scan_determinismE0ELb0ES3_N6thrust23THRUST_200600_302600_NS6detail15normal_iteratorINS9_10device_ptrIiEEEENSB_INSC_IxEEEESG_xNS9_4plusIvEENS9_8equal_toIvEExEE10hipError_tPvRmT2_T3_T4_T5_mT6_T7_P12ihipStream_tbENKUlT_T0_E_clISt17integral_constantIbLb0EES10_IbLb1EEEEDaSW_SX_EUlSW_E_NS1_11comp_targetILNS1_3genE9ELNS1_11target_archE1100ELNS1_3gpuE3ELNS1_3repE0EEENS1_30default_config_static_selectorELNS0_4arch9wavefront6targetE1EEEvT1_,@function
_ZN7rocprim17ROCPRIM_400000_NS6detail17trampoline_kernelINS0_14default_configENS1_27scan_by_key_config_selectorIixEEZZNS1_16scan_by_key_implILNS1_25lookback_scan_determinismE0ELb0ES3_N6thrust23THRUST_200600_302600_NS6detail15normal_iteratorINS9_10device_ptrIiEEEENSB_INSC_IxEEEESG_xNS9_4plusIvEENS9_8equal_toIvEExEE10hipError_tPvRmT2_T3_T4_T5_mT6_T7_P12ihipStream_tbENKUlT_T0_E_clISt17integral_constantIbLb0EES10_IbLb1EEEEDaSW_SX_EUlSW_E_NS1_11comp_targetILNS1_3genE9ELNS1_11target_archE1100ELNS1_3gpuE3ELNS1_3repE0EEENS1_30default_config_static_selectorELNS0_4arch9wavefront6targetE1EEEvT1_: ; @_ZN7rocprim17ROCPRIM_400000_NS6detail17trampoline_kernelINS0_14default_configENS1_27scan_by_key_config_selectorIixEEZZNS1_16scan_by_key_implILNS1_25lookback_scan_determinismE0ELb0ES3_N6thrust23THRUST_200600_302600_NS6detail15normal_iteratorINS9_10device_ptrIiEEEENSB_INSC_IxEEEESG_xNS9_4plusIvEENS9_8equal_toIvEExEE10hipError_tPvRmT2_T3_T4_T5_mT6_T7_P12ihipStream_tbENKUlT_T0_E_clISt17integral_constantIbLb0EES10_IbLb1EEEEDaSW_SX_EUlSW_E_NS1_11comp_targetILNS1_3genE9ELNS1_11target_archE1100ELNS1_3gpuE3ELNS1_3repE0EEENS1_30default_config_static_selectorELNS0_4arch9wavefront6targetE1EEEvT1_
; %bb.0:
	.section	.rodata,"a",@progbits
	.p2align	6, 0x0
	.amdhsa_kernel _ZN7rocprim17ROCPRIM_400000_NS6detail17trampoline_kernelINS0_14default_configENS1_27scan_by_key_config_selectorIixEEZZNS1_16scan_by_key_implILNS1_25lookback_scan_determinismE0ELb0ES3_N6thrust23THRUST_200600_302600_NS6detail15normal_iteratorINS9_10device_ptrIiEEEENSB_INSC_IxEEEESG_xNS9_4plusIvEENS9_8equal_toIvEExEE10hipError_tPvRmT2_T3_T4_T5_mT6_T7_P12ihipStream_tbENKUlT_T0_E_clISt17integral_constantIbLb0EES10_IbLb1EEEEDaSW_SX_EUlSW_E_NS1_11comp_targetILNS1_3genE9ELNS1_11target_archE1100ELNS1_3gpuE3ELNS1_3repE0EEENS1_30default_config_static_selectorELNS0_4arch9wavefront6targetE1EEEvT1_
		.amdhsa_group_segment_fixed_size 0
		.amdhsa_private_segment_fixed_size 0
		.amdhsa_kernarg_size 136
		.amdhsa_user_sgpr_count 6
		.amdhsa_user_sgpr_private_segment_buffer 1
		.amdhsa_user_sgpr_dispatch_ptr 0
		.amdhsa_user_sgpr_queue_ptr 0
		.amdhsa_user_sgpr_kernarg_segment_ptr 1
		.amdhsa_user_sgpr_dispatch_id 0
		.amdhsa_user_sgpr_flat_scratch_init 0
		.amdhsa_user_sgpr_kernarg_preload_length 0
		.amdhsa_user_sgpr_kernarg_preload_offset 0
		.amdhsa_user_sgpr_private_segment_size 0
		.amdhsa_uses_dynamic_stack 0
		.amdhsa_system_sgpr_private_segment_wavefront_offset 0
		.amdhsa_system_sgpr_workgroup_id_x 1
		.amdhsa_system_sgpr_workgroup_id_y 0
		.amdhsa_system_sgpr_workgroup_id_z 0
		.amdhsa_system_sgpr_workgroup_info 0
		.amdhsa_system_vgpr_workitem_id 0
		.amdhsa_next_free_vgpr 1
		.amdhsa_next_free_sgpr 0
		.amdhsa_accum_offset 4
		.amdhsa_reserve_vcc 0
		.amdhsa_reserve_flat_scratch 0
		.amdhsa_float_round_mode_32 0
		.amdhsa_float_round_mode_16_64 0
		.amdhsa_float_denorm_mode_32 3
		.amdhsa_float_denorm_mode_16_64 3
		.amdhsa_dx10_clamp 1
		.amdhsa_ieee_mode 1
		.amdhsa_fp16_overflow 0
		.amdhsa_tg_split 0
		.amdhsa_exception_fp_ieee_invalid_op 0
		.amdhsa_exception_fp_denorm_src 0
		.amdhsa_exception_fp_ieee_div_zero 0
		.amdhsa_exception_fp_ieee_overflow 0
		.amdhsa_exception_fp_ieee_underflow 0
		.amdhsa_exception_fp_ieee_inexact 0
		.amdhsa_exception_int_div_zero 0
	.end_amdhsa_kernel
	.section	.text._ZN7rocprim17ROCPRIM_400000_NS6detail17trampoline_kernelINS0_14default_configENS1_27scan_by_key_config_selectorIixEEZZNS1_16scan_by_key_implILNS1_25lookback_scan_determinismE0ELb0ES3_N6thrust23THRUST_200600_302600_NS6detail15normal_iteratorINS9_10device_ptrIiEEEENSB_INSC_IxEEEESG_xNS9_4plusIvEENS9_8equal_toIvEExEE10hipError_tPvRmT2_T3_T4_T5_mT6_T7_P12ihipStream_tbENKUlT_T0_E_clISt17integral_constantIbLb0EES10_IbLb1EEEEDaSW_SX_EUlSW_E_NS1_11comp_targetILNS1_3genE9ELNS1_11target_archE1100ELNS1_3gpuE3ELNS1_3repE0EEENS1_30default_config_static_selectorELNS0_4arch9wavefront6targetE1EEEvT1_,"axG",@progbits,_ZN7rocprim17ROCPRIM_400000_NS6detail17trampoline_kernelINS0_14default_configENS1_27scan_by_key_config_selectorIixEEZZNS1_16scan_by_key_implILNS1_25lookback_scan_determinismE0ELb0ES3_N6thrust23THRUST_200600_302600_NS6detail15normal_iteratorINS9_10device_ptrIiEEEENSB_INSC_IxEEEESG_xNS9_4plusIvEENS9_8equal_toIvEExEE10hipError_tPvRmT2_T3_T4_T5_mT6_T7_P12ihipStream_tbENKUlT_T0_E_clISt17integral_constantIbLb0EES10_IbLb1EEEEDaSW_SX_EUlSW_E_NS1_11comp_targetILNS1_3genE9ELNS1_11target_archE1100ELNS1_3gpuE3ELNS1_3repE0EEENS1_30default_config_static_selectorELNS0_4arch9wavefront6targetE1EEEvT1_,comdat
.Lfunc_end1348:
	.size	_ZN7rocprim17ROCPRIM_400000_NS6detail17trampoline_kernelINS0_14default_configENS1_27scan_by_key_config_selectorIixEEZZNS1_16scan_by_key_implILNS1_25lookback_scan_determinismE0ELb0ES3_N6thrust23THRUST_200600_302600_NS6detail15normal_iteratorINS9_10device_ptrIiEEEENSB_INSC_IxEEEESG_xNS9_4plusIvEENS9_8equal_toIvEExEE10hipError_tPvRmT2_T3_T4_T5_mT6_T7_P12ihipStream_tbENKUlT_T0_E_clISt17integral_constantIbLb0EES10_IbLb1EEEEDaSW_SX_EUlSW_E_NS1_11comp_targetILNS1_3genE9ELNS1_11target_archE1100ELNS1_3gpuE3ELNS1_3repE0EEENS1_30default_config_static_selectorELNS0_4arch9wavefront6targetE1EEEvT1_, .Lfunc_end1348-_ZN7rocprim17ROCPRIM_400000_NS6detail17trampoline_kernelINS0_14default_configENS1_27scan_by_key_config_selectorIixEEZZNS1_16scan_by_key_implILNS1_25lookback_scan_determinismE0ELb0ES3_N6thrust23THRUST_200600_302600_NS6detail15normal_iteratorINS9_10device_ptrIiEEEENSB_INSC_IxEEEESG_xNS9_4plusIvEENS9_8equal_toIvEExEE10hipError_tPvRmT2_T3_T4_T5_mT6_T7_P12ihipStream_tbENKUlT_T0_E_clISt17integral_constantIbLb0EES10_IbLb1EEEEDaSW_SX_EUlSW_E_NS1_11comp_targetILNS1_3genE9ELNS1_11target_archE1100ELNS1_3gpuE3ELNS1_3repE0EEENS1_30default_config_static_selectorELNS0_4arch9wavefront6targetE1EEEvT1_
                                        ; -- End function
	.section	.AMDGPU.csdata,"",@progbits
; Kernel info:
; codeLenInByte = 0
; NumSgprs: 4
; NumVgprs: 0
; NumAgprs: 0
; TotalNumVgprs: 0
; ScratchSize: 0
; MemoryBound: 0
; FloatMode: 240
; IeeeMode: 1
; LDSByteSize: 0 bytes/workgroup (compile time only)
; SGPRBlocks: 0
; VGPRBlocks: 0
; NumSGPRsForWavesPerEU: 4
; NumVGPRsForWavesPerEU: 1
; AccumOffset: 4
; Occupancy: 8
; WaveLimiterHint : 0
; COMPUTE_PGM_RSRC2:SCRATCH_EN: 0
; COMPUTE_PGM_RSRC2:USER_SGPR: 6
; COMPUTE_PGM_RSRC2:TRAP_HANDLER: 0
; COMPUTE_PGM_RSRC2:TGID_X_EN: 1
; COMPUTE_PGM_RSRC2:TGID_Y_EN: 0
; COMPUTE_PGM_RSRC2:TGID_Z_EN: 0
; COMPUTE_PGM_RSRC2:TIDIG_COMP_CNT: 0
; COMPUTE_PGM_RSRC3_GFX90A:ACCUM_OFFSET: 0
; COMPUTE_PGM_RSRC3_GFX90A:TG_SPLIT: 0
	.section	.text._ZN7rocprim17ROCPRIM_400000_NS6detail17trampoline_kernelINS0_14default_configENS1_27scan_by_key_config_selectorIixEEZZNS1_16scan_by_key_implILNS1_25lookback_scan_determinismE0ELb0ES3_N6thrust23THRUST_200600_302600_NS6detail15normal_iteratorINS9_10device_ptrIiEEEENSB_INSC_IxEEEESG_xNS9_4plusIvEENS9_8equal_toIvEExEE10hipError_tPvRmT2_T3_T4_T5_mT6_T7_P12ihipStream_tbENKUlT_T0_E_clISt17integral_constantIbLb0EES10_IbLb1EEEEDaSW_SX_EUlSW_E_NS1_11comp_targetILNS1_3genE8ELNS1_11target_archE1030ELNS1_3gpuE2ELNS1_3repE0EEENS1_30default_config_static_selectorELNS0_4arch9wavefront6targetE1EEEvT1_,"axG",@progbits,_ZN7rocprim17ROCPRIM_400000_NS6detail17trampoline_kernelINS0_14default_configENS1_27scan_by_key_config_selectorIixEEZZNS1_16scan_by_key_implILNS1_25lookback_scan_determinismE0ELb0ES3_N6thrust23THRUST_200600_302600_NS6detail15normal_iteratorINS9_10device_ptrIiEEEENSB_INSC_IxEEEESG_xNS9_4plusIvEENS9_8equal_toIvEExEE10hipError_tPvRmT2_T3_T4_T5_mT6_T7_P12ihipStream_tbENKUlT_T0_E_clISt17integral_constantIbLb0EES10_IbLb1EEEEDaSW_SX_EUlSW_E_NS1_11comp_targetILNS1_3genE8ELNS1_11target_archE1030ELNS1_3gpuE2ELNS1_3repE0EEENS1_30default_config_static_selectorELNS0_4arch9wavefront6targetE1EEEvT1_,comdat
	.protected	_ZN7rocprim17ROCPRIM_400000_NS6detail17trampoline_kernelINS0_14default_configENS1_27scan_by_key_config_selectorIixEEZZNS1_16scan_by_key_implILNS1_25lookback_scan_determinismE0ELb0ES3_N6thrust23THRUST_200600_302600_NS6detail15normal_iteratorINS9_10device_ptrIiEEEENSB_INSC_IxEEEESG_xNS9_4plusIvEENS9_8equal_toIvEExEE10hipError_tPvRmT2_T3_T4_T5_mT6_T7_P12ihipStream_tbENKUlT_T0_E_clISt17integral_constantIbLb0EES10_IbLb1EEEEDaSW_SX_EUlSW_E_NS1_11comp_targetILNS1_3genE8ELNS1_11target_archE1030ELNS1_3gpuE2ELNS1_3repE0EEENS1_30default_config_static_selectorELNS0_4arch9wavefront6targetE1EEEvT1_ ; -- Begin function _ZN7rocprim17ROCPRIM_400000_NS6detail17trampoline_kernelINS0_14default_configENS1_27scan_by_key_config_selectorIixEEZZNS1_16scan_by_key_implILNS1_25lookback_scan_determinismE0ELb0ES3_N6thrust23THRUST_200600_302600_NS6detail15normal_iteratorINS9_10device_ptrIiEEEENSB_INSC_IxEEEESG_xNS9_4plusIvEENS9_8equal_toIvEExEE10hipError_tPvRmT2_T3_T4_T5_mT6_T7_P12ihipStream_tbENKUlT_T0_E_clISt17integral_constantIbLb0EES10_IbLb1EEEEDaSW_SX_EUlSW_E_NS1_11comp_targetILNS1_3genE8ELNS1_11target_archE1030ELNS1_3gpuE2ELNS1_3repE0EEENS1_30default_config_static_selectorELNS0_4arch9wavefront6targetE1EEEvT1_
	.globl	_ZN7rocprim17ROCPRIM_400000_NS6detail17trampoline_kernelINS0_14default_configENS1_27scan_by_key_config_selectorIixEEZZNS1_16scan_by_key_implILNS1_25lookback_scan_determinismE0ELb0ES3_N6thrust23THRUST_200600_302600_NS6detail15normal_iteratorINS9_10device_ptrIiEEEENSB_INSC_IxEEEESG_xNS9_4plusIvEENS9_8equal_toIvEExEE10hipError_tPvRmT2_T3_T4_T5_mT6_T7_P12ihipStream_tbENKUlT_T0_E_clISt17integral_constantIbLb0EES10_IbLb1EEEEDaSW_SX_EUlSW_E_NS1_11comp_targetILNS1_3genE8ELNS1_11target_archE1030ELNS1_3gpuE2ELNS1_3repE0EEENS1_30default_config_static_selectorELNS0_4arch9wavefront6targetE1EEEvT1_
	.p2align	8
	.type	_ZN7rocprim17ROCPRIM_400000_NS6detail17trampoline_kernelINS0_14default_configENS1_27scan_by_key_config_selectorIixEEZZNS1_16scan_by_key_implILNS1_25lookback_scan_determinismE0ELb0ES3_N6thrust23THRUST_200600_302600_NS6detail15normal_iteratorINS9_10device_ptrIiEEEENSB_INSC_IxEEEESG_xNS9_4plusIvEENS9_8equal_toIvEExEE10hipError_tPvRmT2_T3_T4_T5_mT6_T7_P12ihipStream_tbENKUlT_T0_E_clISt17integral_constantIbLb0EES10_IbLb1EEEEDaSW_SX_EUlSW_E_NS1_11comp_targetILNS1_3genE8ELNS1_11target_archE1030ELNS1_3gpuE2ELNS1_3repE0EEENS1_30default_config_static_selectorELNS0_4arch9wavefront6targetE1EEEvT1_,@function
_ZN7rocprim17ROCPRIM_400000_NS6detail17trampoline_kernelINS0_14default_configENS1_27scan_by_key_config_selectorIixEEZZNS1_16scan_by_key_implILNS1_25lookback_scan_determinismE0ELb0ES3_N6thrust23THRUST_200600_302600_NS6detail15normal_iteratorINS9_10device_ptrIiEEEENSB_INSC_IxEEEESG_xNS9_4plusIvEENS9_8equal_toIvEExEE10hipError_tPvRmT2_T3_T4_T5_mT6_T7_P12ihipStream_tbENKUlT_T0_E_clISt17integral_constantIbLb0EES10_IbLb1EEEEDaSW_SX_EUlSW_E_NS1_11comp_targetILNS1_3genE8ELNS1_11target_archE1030ELNS1_3gpuE2ELNS1_3repE0EEENS1_30default_config_static_selectorELNS0_4arch9wavefront6targetE1EEEvT1_: ; @_ZN7rocprim17ROCPRIM_400000_NS6detail17trampoline_kernelINS0_14default_configENS1_27scan_by_key_config_selectorIixEEZZNS1_16scan_by_key_implILNS1_25lookback_scan_determinismE0ELb0ES3_N6thrust23THRUST_200600_302600_NS6detail15normal_iteratorINS9_10device_ptrIiEEEENSB_INSC_IxEEEESG_xNS9_4plusIvEENS9_8equal_toIvEExEE10hipError_tPvRmT2_T3_T4_T5_mT6_T7_P12ihipStream_tbENKUlT_T0_E_clISt17integral_constantIbLb0EES10_IbLb1EEEEDaSW_SX_EUlSW_E_NS1_11comp_targetILNS1_3genE8ELNS1_11target_archE1030ELNS1_3gpuE2ELNS1_3repE0EEENS1_30default_config_static_selectorELNS0_4arch9wavefront6targetE1EEEvT1_
; %bb.0:
	.section	.rodata,"a",@progbits
	.p2align	6, 0x0
	.amdhsa_kernel _ZN7rocprim17ROCPRIM_400000_NS6detail17trampoline_kernelINS0_14default_configENS1_27scan_by_key_config_selectorIixEEZZNS1_16scan_by_key_implILNS1_25lookback_scan_determinismE0ELb0ES3_N6thrust23THRUST_200600_302600_NS6detail15normal_iteratorINS9_10device_ptrIiEEEENSB_INSC_IxEEEESG_xNS9_4plusIvEENS9_8equal_toIvEExEE10hipError_tPvRmT2_T3_T4_T5_mT6_T7_P12ihipStream_tbENKUlT_T0_E_clISt17integral_constantIbLb0EES10_IbLb1EEEEDaSW_SX_EUlSW_E_NS1_11comp_targetILNS1_3genE8ELNS1_11target_archE1030ELNS1_3gpuE2ELNS1_3repE0EEENS1_30default_config_static_selectorELNS0_4arch9wavefront6targetE1EEEvT1_
		.amdhsa_group_segment_fixed_size 0
		.amdhsa_private_segment_fixed_size 0
		.amdhsa_kernarg_size 136
		.amdhsa_user_sgpr_count 6
		.amdhsa_user_sgpr_private_segment_buffer 1
		.amdhsa_user_sgpr_dispatch_ptr 0
		.amdhsa_user_sgpr_queue_ptr 0
		.amdhsa_user_sgpr_kernarg_segment_ptr 1
		.amdhsa_user_sgpr_dispatch_id 0
		.amdhsa_user_sgpr_flat_scratch_init 0
		.amdhsa_user_sgpr_kernarg_preload_length 0
		.amdhsa_user_sgpr_kernarg_preload_offset 0
		.amdhsa_user_sgpr_private_segment_size 0
		.amdhsa_uses_dynamic_stack 0
		.amdhsa_system_sgpr_private_segment_wavefront_offset 0
		.amdhsa_system_sgpr_workgroup_id_x 1
		.amdhsa_system_sgpr_workgroup_id_y 0
		.amdhsa_system_sgpr_workgroup_id_z 0
		.amdhsa_system_sgpr_workgroup_info 0
		.amdhsa_system_vgpr_workitem_id 0
		.amdhsa_next_free_vgpr 1
		.amdhsa_next_free_sgpr 0
		.amdhsa_accum_offset 4
		.amdhsa_reserve_vcc 0
		.amdhsa_reserve_flat_scratch 0
		.amdhsa_float_round_mode_32 0
		.amdhsa_float_round_mode_16_64 0
		.amdhsa_float_denorm_mode_32 3
		.amdhsa_float_denorm_mode_16_64 3
		.amdhsa_dx10_clamp 1
		.amdhsa_ieee_mode 1
		.amdhsa_fp16_overflow 0
		.amdhsa_tg_split 0
		.amdhsa_exception_fp_ieee_invalid_op 0
		.amdhsa_exception_fp_denorm_src 0
		.amdhsa_exception_fp_ieee_div_zero 0
		.amdhsa_exception_fp_ieee_overflow 0
		.amdhsa_exception_fp_ieee_underflow 0
		.amdhsa_exception_fp_ieee_inexact 0
		.amdhsa_exception_int_div_zero 0
	.end_amdhsa_kernel
	.section	.text._ZN7rocprim17ROCPRIM_400000_NS6detail17trampoline_kernelINS0_14default_configENS1_27scan_by_key_config_selectorIixEEZZNS1_16scan_by_key_implILNS1_25lookback_scan_determinismE0ELb0ES3_N6thrust23THRUST_200600_302600_NS6detail15normal_iteratorINS9_10device_ptrIiEEEENSB_INSC_IxEEEESG_xNS9_4plusIvEENS9_8equal_toIvEExEE10hipError_tPvRmT2_T3_T4_T5_mT6_T7_P12ihipStream_tbENKUlT_T0_E_clISt17integral_constantIbLb0EES10_IbLb1EEEEDaSW_SX_EUlSW_E_NS1_11comp_targetILNS1_3genE8ELNS1_11target_archE1030ELNS1_3gpuE2ELNS1_3repE0EEENS1_30default_config_static_selectorELNS0_4arch9wavefront6targetE1EEEvT1_,"axG",@progbits,_ZN7rocprim17ROCPRIM_400000_NS6detail17trampoline_kernelINS0_14default_configENS1_27scan_by_key_config_selectorIixEEZZNS1_16scan_by_key_implILNS1_25lookback_scan_determinismE0ELb0ES3_N6thrust23THRUST_200600_302600_NS6detail15normal_iteratorINS9_10device_ptrIiEEEENSB_INSC_IxEEEESG_xNS9_4plusIvEENS9_8equal_toIvEExEE10hipError_tPvRmT2_T3_T4_T5_mT6_T7_P12ihipStream_tbENKUlT_T0_E_clISt17integral_constantIbLb0EES10_IbLb1EEEEDaSW_SX_EUlSW_E_NS1_11comp_targetILNS1_3genE8ELNS1_11target_archE1030ELNS1_3gpuE2ELNS1_3repE0EEENS1_30default_config_static_selectorELNS0_4arch9wavefront6targetE1EEEvT1_,comdat
.Lfunc_end1349:
	.size	_ZN7rocprim17ROCPRIM_400000_NS6detail17trampoline_kernelINS0_14default_configENS1_27scan_by_key_config_selectorIixEEZZNS1_16scan_by_key_implILNS1_25lookback_scan_determinismE0ELb0ES3_N6thrust23THRUST_200600_302600_NS6detail15normal_iteratorINS9_10device_ptrIiEEEENSB_INSC_IxEEEESG_xNS9_4plusIvEENS9_8equal_toIvEExEE10hipError_tPvRmT2_T3_T4_T5_mT6_T7_P12ihipStream_tbENKUlT_T0_E_clISt17integral_constantIbLb0EES10_IbLb1EEEEDaSW_SX_EUlSW_E_NS1_11comp_targetILNS1_3genE8ELNS1_11target_archE1030ELNS1_3gpuE2ELNS1_3repE0EEENS1_30default_config_static_selectorELNS0_4arch9wavefront6targetE1EEEvT1_, .Lfunc_end1349-_ZN7rocprim17ROCPRIM_400000_NS6detail17trampoline_kernelINS0_14default_configENS1_27scan_by_key_config_selectorIixEEZZNS1_16scan_by_key_implILNS1_25lookback_scan_determinismE0ELb0ES3_N6thrust23THRUST_200600_302600_NS6detail15normal_iteratorINS9_10device_ptrIiEEEENSB_INSC_IxEEEESG_xNS9_4plusIvEENS9_8equal_toIvEExEE10hipError_tPvRmT2_T3_T4_T5_mT6_T7_P12ihipStream_tbENKUlT_T0_E_clISt17integral_constantIbLb0EES10_IbLb1EEEEDaSW_SX_EUlSW_E_NS1_11comp_targetILNS1_3genE8ELNS1_11target_archE1030ELNS1_3gpuE2ELNS1_3repE0EEENS1_30default_config_static_selectorELNS0_4arch9wavefront6targetE1EEEvT1_
                                        ; -- End function
	.section	.AMDGPU.csdata,"",@progbits
; Kernel info:
; codeLenInByte = 0
; NumSgprs: 4
; NumVgprs: 0
; NumAgprs: 0
; TotalNumVgprs: 0
; ScratchSize: 0
; MemoryBound: 0
; FloatMode: 240
; IeeeMode: 1
; LDSByteSize: 0 bytes/workgroup (compile time only)
; SGPRBlocks: 0
; VGPRBlocks: 0
; NumSGPRsForWavesPerEU: 4
; NumVGPRsForWavesPerEU: 1
; AccumOffset: 4
; Occupancy: 8
; WaveLimiterHint : 0
; COMPUTE_PGM_RSRC2:SCRATCH_EN: 0
; COMPUTE_PGM_RSRC2:USER_SGPR: 6
; COMPUTE_PGM_RSRC2:TRAP_HANDLER: 0
; COMPUTE_PGM_RSRC2:TGID_X_EN: 1
; COMPUTE_PGM_RSRC2:TGID_Y_EN: 0
; COMPUTE_PGM_RSRC2:TGID_Z_EN: 0
; COMPUTE_PGM_RSRC2:TIDIG_COMP_CNT: 0
; COMPUTE_PGM_RSRC3_GFX90A:ACCUM_OFFSET: 0
; COMPUTE_PGM_RSRC3_GFX90A:TG_SPLIT: 0
	.section	.text._ZN6thrust23THRUST_200600_302600_NS11hip_rocprim14__parallel_for6kernelILj256ENS1_11__transform17unary_transform_fINS0_7pointerIiNS1_3tagENS0_11use_defaultES8_EENS0_10device_ptrIsEENS4_14no_stencil_tagENS0_8identityIiEENS4_21always_true_predicateEEElLj1EEEvT0_T1_SI_,"axG",@progbits,_ZN6thrust23THRUST_200600_302600_NS11hip_rocprim14__parallel_for6kernelILj256ENS1_11__transform17unary_transform_fINS0_7pointerIiNS1_3tagENS0_11use_defaultES8_EENS0_10device_ptrIsEENS4_14no_stencil_tagENS0_8identityIiEENS4_21always_true_predicateEEElLj1EEEvT0_T1_SI_,comdat
	.protected	_ZN6thrust23THRUST_200600_302600_NS11hip_rocprim14__parallel_for6kernelILj256ENS1_11__transform17unary_transform_fINS0_7pointerIiNS1_3tagENS0_11use_defaultES8_EENS0_10device_ptrIsEENS4_14no_stencil_tagENS0_8identityIiEENS4_21always_true_predicateEEElLj1EEEvT0_T1_SI_ ; -- Begin function _ZN6thrust23THRUST_200600_302600_NS11hip_rocprim14__parallel_for6kernelILj256ENS1_11__transform17unary_transform_fINS0_7pointerIiNS1_3tagENS0_11use_defaultES8_EENS0_10device_ptrIsEENS4_14no_stencil_tagENS0_8identityIiEENS4_21always_true_predicateEEElLj1EEEvT0_T1_SI_
	.globl	_ZN6thrust23THRUST_200600_302600_NS11hip_rocprim14__parallel_for6kernelILj256ENS1_11__transform17unary_transform_fINS0_7pointerIiNS1_3tagENS0_11use_defaultES8_EENS0_10device_ptrIsEENS4_14no_stencil_tagENS0_8identityIiEENS4_21always_true_predicateEEElLj1EEEvT0_T1_SI_
	.p2align	8
	.type	_ZN6thrust23THRUST_200600_302600_NS11hip_rocprim14__parallel_for6kernelILj256ENS1_11__transform17unary_transform_fINS0_7pointerIiNS1_3tagENS0_11use_defaultES8_EENS0_10device_ptrIsEENS4_14no_stencil_tagENS0_8identityIiEENS4_21always_true_predicateEEElLj1EEEvT0_T1_SI_,@function
_ZN6thrust23THRUST_200600_302600_NS11hip_rocprim14__parallel_for6kernelILj256ENS1_11__transform17unary_transform_fINS0_7pointerIiNS1_3tagENS0_11use_defaultES8_EENS0_10device_ptrIsEENS4_14no_stencil_tagENS0_8identityIiEENS4_21always_true_predicateEEElLj1EEEvT0_T1_SI_: ; @_ZN6thrust23THRUST_200600_302600_NS11hip_rocprim14__parallel_for6kernelILj256ENS1_11__transform17unary_transform_fINS0_7pointerIiNS1_3tagENS0_11use_defaultES8_EENS0_10device_ptrIsEENS4_14no_stencil_tagENS0_8identityIiEENS4_21always_true_predicateEEElLj1EEEvT0_T1_SI_
; %bb.0:
	s_load_dwordx4 s[8:11], s[4:5], 0x18
	s_load_dwordx4 s[0:3], s[4:5], 0x0
	s_lshl_b32 s4, s6, 8
	v_mov_b32_e32 v2, 0x100
	v_mov_b32_e32 v3, 0
	s_waitcnt lgkmcnt(0)
	s_add_u32 s6, s4, s10
	s_addc_u32 s7, 0, s11
	s_sub_u32 s4, s8, s6
	s_subb_u32 s5, s9, s7
	v_cmp_lt_i64_e32 vcc, s[4:5], v[2:3]
	s_and_b64 s[8:9], vcc, exec
	s_cselect_b32 s8, s4, 0x100
	s_cmpk_lg_i32 s8, 0x100
	s_mov_b64 s[4:5], -1
	s_cbranch_scc1 .LBB1350_3
; %bb.1:
	s_andn2_b64 vcc, exec, s[4:5]
	s_cbranch_vccz .LBB1350_6
.LBB1350_2:
	s_endpgm
.LBB1350_3:
	v_cmp_gt_u32_e32 vcc, s8, v0
	s_and_saveexec_b64 s[4:5], vcc
	s_cbranch_execz .LBB1350_5
; %bb.4:
	v_mov_b32_e32 v1, s7
	v_add_co_u32_e32 v2, vcc, s6, v0
	v_addc_co_u32_e32 v3, vcc, 0, v1, vcc
	v_lshlrev_b64 v[4:5], 2, v[2:3]
	v_mov_b32_e32 v1, s1
	v_add_co_u32_e32 v4, vcc, s0, v4
	v_addc_co_u32_e32 v5, vcc, v1, v5, vcc
	flat_load_dword v1, v[4:5]
	v_lshlrev_b64 v[2:3], 1, v[2:3]
	v_mov_b32_e32 v4, s3
	v_add_co_u32_e32 v2, vcc, s2, v2
	v_addc_co_u32_e32 v3, vcc, v4, v3, vcc
	s_waitcnt vmcnt(0) lgkmcnt(0)
	flat_store_short v[2:3], v1
.LBB1350_5:
	s_or_b64 exec, exec, s[4:5]
	s_cbranch_execnz .LBB1350_2
.LBB1350_6:
	v_mov_b32_e32 v1, s7
	v_add_co_u32_e32 v0, vcc, s6, v0
	v_addc_co_u32_e32 v1, vcc, 0, v1, vcc
	v_lshlrev_b64 v[2:3], 2, v[0:1]
	v_mov_b32_e32 v4, s1
	v_add_co_u32_e32 v2, vcc, s0, v2
	v_addc_co_u32_e32 v3, vcc, v4, v3, vcc
	flat_load_dword v2, v[2:3]
	v_lshlrev_b64 v[0:1], 1, v[0:1]
	v_mov_b32_e32 v3, s3
	v_add_co_u32_e32 v0, vcc, s2, v0
	v_addc_co_u32_e32 v1, vcc, v3, v1, vcc
	s_waitcnt vmcnt(0) lgkmcnt(0)
	flat_store_short v[0:1], v2
	s_endpgm
	.section	.rodata,"a",@progbits
	.p2align	6, 0x0
	.amdhsa_kernel _ZN6thrust23THRUST_200600_302600_NS11hip_rocprim14__parallel_for6kernelILj256ENS1_11__transform17unary_transform_fINS0_7pointerIiNS1_3tagENS0_11use_defaultES8_EENS0_10device_ptrIsEENS4_14no_stencil_tagENS0_8identityIiEENS4_21always_true_predicateEEElLj1EEEvT0_T1_SI_
		.amdhsa_group_segment_fixed_size 0
		.amdhsa_private_segment_fixed_size 0
		.amdhsa_kernarg_size 40
		.amdhsa_user_sgpr_count 6
		.amdhsa_user_sgpr_private_segment_buffer 1
		.amdhsa_user_sgpr_dispatch_ptr 0
		.amdhsa_user_sgpr_queue_ptr 0
		.amdhsa_user_sgpr_kernarg_segment_ptr 1
		.amdhsa_user_sgpr_dispatch_id 0
		.amdhsa_user_sgpr_flat_scratch_init 0
		.amdhsa_user_sgpr_kernarg_preload_length 0
		.amdhsa_user_sgpr_kernarg_preload_offset 0
		.amdhsa_user_sgpr_private_segment_size 0
		.amdhsa_uses_dynamic_stack 0
		.amdhsa_system_sgpr_private_segment_wavefront_offset 0
		.amdhsa_system_sgpr_workgroup_id_x 1
		.amdhsa_system_sgpr_workgroup_id_y 0
		.amdhsa_system_sgpr_workgroup_id_z 0
		.amdhsa_system_sgpr_workgroup_info 0
		.amdhsa_system_vgpr_workitem_id 0
		.amdhsa_next_free_vgpr 6
		.amdhsa_next_free_sgpr 12
		.amdhsa_accum_offset 8
		.amdhsa_reserve_vcc 1
		.amdhsa_reserve_flat_scratch 0
		.amdhsa_float_round_mode_32 0
		.amdhsa_float_round_mode_16_64 0
		.amdhsa_float_denorm_mode_32 3
		.amdhsa_float_denorm_mode_16_64 3
		.amdhsa_dx10_clamp 1
		.amdhsa_ieee_mode 1
		.amdhsa_fp16_overflow 0
		.amdhsa_tg_split 0
		.amdhsa_exception_fp_ieee_invalid_op 0
		.amdhsa_exception_fp_denorm_src 0
		.amdhsa_exception_fp_ieee_div_zero 0
		.amdhsa_exception_fp_ieee_overflow 0
		.amdhsa_exception_fp_ieee_underflow 0
		.amdhsa_exception_fp_ieee_inexact 0
		.amdhsa_exception_int_div_zero 0
	.end_amdhsa_kernel
	.section	.text._ZN6thrust23THRUST_200600_302600_NS11hip_rocprim14__parallel_for6kernelILj256ENS1_11__transform17unary_transform_fINS0_7pointerIiNS1_3tagENS0_11use_defaultES8_EENS0_10device_ptrIsEENS4_14no_stencil_tagENS0_8identityIiEENS4_21always_true_predicateEEElLj1EEEvT0_T1_SI_,"axG",@progbits,_ZN6thrust23THRUST_200600_302600_NS11hip_rocprim14__parallel_for6kernelILj256ENS1_11__transform17unary_transform_fINS0_7pointerIiNS1_3tagENS0_11use_defaultES8_EENS0_10device_ptrIsEENS4_14no_stencil_tagENS0_8identityIiEENS4_21always_true_predicateEEElLj1EEEvT0_T1_SI_,comdat
.Lfunc_end1350:
	.size	_ZN6thrust23THRUST_200600_302600_NS11hip_rocprim14__parallel_for6kernelILj256ENS1_11__transform17unary_transform_fINS0_7pointerIiNS1_3tagENS0_11use_defaultES8_EENS0_10device_ptrIsEENS4_14no_stencil_tagENS0_8identityIiEENS4_21always_true_predicateEEElLj1EEEvT0_T1_SI_, .Lfunc_end1350-_ZN6thrust23THRUST_200600_302600_NS11hip_rocprim14__parallel_for6kernelILj256ENS1_11__transform17unary_transform_fINS0_7pointerIiNS1_3tagENS0_11use_defaultES8_EENS0_10device_ptrIsEENS4_14no_stencil_tagENS0_8identityIiEENS4_21always_true_predicateEEElLj1EEEvT0_T1_SI_
                                        ; -- End function
	.section	.AMDGPU.csdata,"",@progbits
; Kernel info:
; codeLenInByte = 260
; NumSgprs: 16
; NumVgprs: 6
; NumAgprs: 0
; TotalNumVgprs: 6
; ScratchSize: 0
; MemoryBound: 0
; FloatMode: 240
; IeeeMode: 1
; LDSByteSize: 0 bytes/workgroup (compile time only)
; SGPRBlocks: 1
; VGPRBlocks: 0
; NumSGPRsForWavesPerEU: 16
; NumVGPRsForWavesPerEU: 6
; AccumOffset: 8
; Occupancy: 8
; WaveLimiterHint : 0
; COMPUTE_PGM_RSRC2:SCRATCH_EN: 0
; COMPUTE_PGM_RSRC2:USER_SGPR: 6
; COMPUTE_PGM_RSRC2:TRAP_HANDLER: 0
; COMPUTE_PGM_RSRC2:TGID_X_EN: 1
; COMPUTE_PGM_RSRC2:TGID_Y_EN: 0
; COMPUTE_PGM_RSRC2:TGID_Z_EN: 0
; COMPUTE_PGM_RSRC2:TIDIG_COMP_CNT: 0
; COMPUTE_PGM_RSRC3_GFX90A:ACCUM_OFFSET: 1
; COMPUTE_PGM_RSRC3_GFX90A:TG_SPLIT: 0
	.section	.text._ZN7rocprim17ROCPRIM_400000_NS6detail30init_device_scan_by_key_kernelINS1_19lookback_scan_stateINS0_5tupleIJsbEEELb0ELb1EEEN6thrust23THRUST_200600_302600_NS6detail15normal_iteratorINS8_10device_ptrIiEEEEjNS1_16block_id_wrapperIjLb0EEEEEvT_jjPNSG_10value_typeET0_PNSt15iterator_traitsISJ_E10value_typeEmT1_T2_,"axG",@progbits,_ZN7rocprim17ROCPRIM_400000_NS6detail30init_device_scan_by_key_kernelINS1_19lookback_scan_stateINS0_5tupleIJsbEEELb0ELb1EEEN6thrust23THRUST_200600_302600_NS6detail15normal_iteratorINS8_10device_ptrIiEEEEjNS1_16block_id_wrapperIjLb0EEEEEvT_jjPNSG_10value_typeET0_PNSt15iterator_traitsISJ_E10value_typeEmT1_T2_,comdat
	.protected	_ZN7rocprim17ROCPRIM_400000_NS6detail30init_device_scan_by_key_kernelINS1_19lookback_scan_stateINS0_5tupleIJsbEEELb0ELb1EEEN6thrust23THRUST_200600_302600_NS6detail15normal_iteratorINS8_10device_ptrIiEEEEjNS1_16block_id_wrapperIjLb0EEEEEvT_jjPNSG_10value_typeET0_PNSt15iterator_traitsISJ_E10value_typeEmT1_T2_ ; -- Begin function _ZN7rocprim17ROCPRIM_400000_NS6detail30init_device_scan_by_key_kernelINS1_19lookback_scan_stateINS0_5tupleIJsbEEELb0ELb1EEEN6thrust23THRUST_200600_302600_NS6detail15normal_iteratorINS8_10device_ptrIiEEEEjNS1_16block_id_wrapperIjLb0EEEEEvT_jjPNSG_10value_typeET0_PNSt15iterator_traitsISJ_E10value_typeEmT1_T2_
	.globl	_ZN7rocprim17ROCPRIM_400000_NS6detail30init_device_scan_by_key_kernelINS1_19lookback_scan_stateINS0_5tupleIJsbEEELb0ELb1EEEN6thrust23THRUST_200600_302600_NS6detail15normal_iteratorINS8_10device_ptrIiEEEEjNS1_16block_id_wrapperIjLb0EEEEEvT_jjPNSG_10value_typeET0_PNSt15iterator_traitsISJ_E10value_typeEmT1_T2_
	.p2align	8
	.type	_ZN7rocprim17ROCPRIM_400000_NS6detail30init_device_scan_by_key_kernelINS1_19lookback_scan_stateINS0_5tupleIJsbEEELb0ELb1EEEN6thrust23THRUST_200600_302600_NS6detail15normal_iteratorINS8_10device_ptrIiEEEEjNS1_16block_id_wrapperIjLb0EEEEEvT_jjPNSG_10value_typeET0_PNSt15iterator_traitsISJ_E10value_typeEmT1_T2_,@function
_ZN7rocprim17ROCPRIM_400000_NS6detail30init_device_scan_by_key_kernelINS1_19lookback_scan_stateINS0_5tupleIJsbEEELb0ELb1EEEN6thrust23THRUST_200600_302600_NS6detail15normal_iteratorINS8_10device_ptrIiEEEEjNS1_16block_id_wrapperIjLb0EEEEEvT_jjPNSG_10value_typeET0_PNSt15iterator_traitsISJ_E10value_typeEmT1_T2_: ; @_ZN7rocprim17ROCPRIM_400000_NS6detail30init_device_scan_by_key_kernelINS1_19lookback_scan_stateINS0_5tupleIJsbEEELb0ELb1EEEN6thrust23THRUST_200600_302600_NS6detail15normal_iteratorINS8_10device_ptrIiEEEEjNS1_16block_id_wrapperIjLb0EEEEEvT_jjPNSG_10value_typeET0_PNSt15iterator_traitsISJ_E10value_typeEmT1_T2_
; %bb.0:
	s_load_dword s0, s[4:5], 0x44
	s_load_dwordx8 s[8:15], s[4:5], 0x0
	s_load_dword s7, s[4:5], 0x38
	s_waitcnt lgkmcnt(0)
	s_and_b32 s16, s0, 0xffff
	s_mul_i32 s6, s6, s16
	s_cmp_eq_u64 s[12:13], 0
	v_add_u32_e32 v0, s6, v0
	s_cbranch_scc1 .LBB1351_6
; %bb.1:
	s_cmp_lt_u32 s11, s10
	s_cselect_b32 s0, s11, 0
	s_mov_b32 s3, 0
	v_cmp_eq_u32_e32 vcc, s0, v0
	s_and_saveexec_b64 s[0:1], vcc
	s_cbranch_execz .LBB1351_5
; %bb.2:
	s_add_i32 s2, s11, 64
	s_lshl_b64 s[2:3], s[2:3], 3
	s_add_u32 s2, s8, s2
	s_addc_u32 s3, s9, s3
	v_mov_b32_e32 v4, 0
	global_load_dwordx2 v[2:3], v4, s[2:3] glc
	s_waitcnt vmcnt(0)
	v_and_b32_e32 v5, 0xff, v3
	v_cmp_ne_u64_e32 vcc, 0, v[4:5]
	s_cbranch_vccnz .LBB1351_4
.LBB1351_3:                             ; =>This Inner Loop Header: Depth=1
	global_load_dwordx2 v[2:3], v4, s[2:3] glc
	s_waitcnt vmcnt(0)
	v_and_b32_e32 v5, 0xff, v3
	v_cmp_eq_u64_e32 vcc, 0, v[4:5]
	s_cbranch_vccnz .LBB1351_3
.LBB1351_4:
	v_mov_b32_e32 v1, 0
	global_store_short v1, v2, s[12:13]
	global_store_byte_d16_hi v1, v2, s[12:13] offset:2
.LBB1351_5:
	s_or_b64 exec, exec, s[0:1]
.LBB1351_6:
	v_cmp_gt_u32_e32 vcc, s10, v0
	s_and_saveexec_b64 s[0:1], vcc
	s_cbranch_execz .LBB1351_8
; %bb.7:
	v_add_u32_e32 v2, 64, v0
	v_mov_b32_e32 v3, 0
	v_lshlrev_b64 v[4:5], 3, v[2:3]
	v_mov_b32_e32 v1, s9
	v_add_co_u32_e32 v4, vcc, s8, v4
	v_addc_co_u32_e32 v5, vcc, v1, v5, vcc
	v_mov_b32_e32 v2, v3
	global_store_dwordx2 v[4:5], v[2:3], off
.LBB1351_8:
	s_or_b64 exec, exec, s[0:1]
	v_cmp_gt_u32_e32 vcc, 64, v0
	v_mov_b32_e32 v1, 0
	s_and_saveexec_b64 s[0:1], vcc
	s_cbranch_execz .LBB1351_10
; %bb.9:
	v_lshlrev_b64 v[2:3], 3, v[0:1]
	v_mov_b32_e32 v4, s9
	v_add_co_u32_e32 v2, vcc, s8, v2
	v_addc_co_u32_e32 v3, vcc, v4, v3, vcc
	v_mov_b32_e32 v5, 0xff
	v_mov_b32_e32 v4, v1
	global_store_dwordx2 v[2:3], v[4:5], off
.LBB1351_10:
	s_or_b64 exec, exec, s[0:1]
	s_load_dwordx2 s[0:1], s[4:5], 0x28
	s_waitcnt lgkmcnt(0)
	v_cmp_gt_u64_e32 vcc, s[0:1], v[0:1]
	s_and_saveexec_b64 s[2:3], vcc
	s_cbranch_execz .LBB1351_13
; %bb.11:
	s_load_dword s10, s[4:5], 0x30
	s_load_dwordx2 s[8:9], s[4:5], 0x20
	s_mov_b32 s5, 0
	s_mov_b32 s3, s5
	s_mul_i32 s2, s7, s16
	s_waitcnt lgkmcnt(0)
	s_add_i32 s4, s10, -1
	s_lshl_b64 s[4:5], s[4:5], 2
	v_mad_u64_u32 v[2:3], s[6:7], s10, v0, 0
	s_add_u32 s4, s14, s4
	v_lshlrev_b64 v[2:3], 2, v[2:3]
	s_addc_u32 s5, s15, s5
	v_mov_b32_e32 v4, s5
	v_add_co_u32_e32 v2, vcc, s4, v2
	v_addc_co_u32_e32 v3, vcc, v4, v3, vcc
	s_mul_hi_u32 s5, s10, s2
	s_mul_i32 s4, s10, s2
	v_lshlrev_b64 v[4:5], 2, v[0:1]
	s_lshl_b64 s[4:5], s[4:5], 2
	v_mov_b32_e32 v6, s9
	v_add_co_u32_e32 v4, vcc, s8, v4
	s_lshl_b64 s[6:7], s[2:3], 2
	v_addc_co_u32_e32 v5, vcc, v6, v5, vcc
	s_mov_b64 s[8:9], 0
	v_mov_b32_e32 v6, s3
	v_mov_b32_e32 v7, s5
	;; [unrolled: 1-line block ×3, first 2 shown]
.LBB1351_12:                            ; =>This Inner Loop Header: Depth=1
	global_load_dword v9, v[2:3], off
	v_add_co_u32_e32 v0, vcc, s2, v0
	v_addc_co_u32_e32 v1, vcc, v1, v6, vcc
	v_add_co_u32_e32 v2, vcc, s4, v2
	v_addc_co_u32_e32 v3, vcc, v3, v7, vcc
	v_cmp_le_u64_e32 vcc, s[0:1], v[0:1]
	s_or_b64 s[8:9], vcc, s[8:9]
	s_waitcnt vmcnt(0)
	global_store_dword v[4:5], v9, off
	v_add_co_u32_e32 v4, vcc, s6, v4
	v_addc_co_u32_e32 v5, vcc, v5, v8, vcc
	s_andn2_b64 exec, exec, s[8:9]
	s_cbranch_execnz .LBB1351_12
.LBB1351_13:
	s_endpgm
	.section	.rodata,"a",@progbits
	.p2align	6, 0x0
	.amdhsa_kernel _ZN7rocprim17ROCPRIM_400000_NS6detail30init_device_scan_by_key_kernelINS1_19lookback_scan_stateINS0_5tupleIJsbEEELb0ELb1EEEN6thrust23THRUST_200600_302600_NS6detail15normal_iteratorINS8_10device_ptrIiEEEEjNS1_16block_id_wrapperIjLb0EEEEEvT_jjPNSG_10value_typeET0_PNSt15iterator_traitsISJ_E10value_typeEmT1_T2_
		.amdhsa_group_segment_fixed_size 0
		.amdhsa_private_segment_fixed_size 0
		.amdhsa_kernarg_size 312
		.amdhsa_user_sgpr_count 6
		.amdhsa_user_sgpr_private_segment_buffer 1
		.amdhsa_user_sgpr_dispatch_ptr 0
		.amdhsa_user_sgpr_queue_ptr 0
		.amdhsa_user_sgpr_kernarg_segment_ptr 1
		.amdhsa_user_sgpr_dispatch_id 0
		.amdhsa_user_sgpr_flat_scratch_init 0
		.amdhsa_user_sgpr_kernarg_preload_length 0
		.amdhsa_user_sgpr_kernarg_preload_offset 0
		.amdhsa_user_sgpr_private_segment_size 0
		.amdhsa_uses_dynamic_stack 0
		.amdhsa_system_sgpr_private_segment_wavefront_offset 0
		.amdhsa_system_sgpr_workgroup_id_x 1
		.amdhsa_system_sgpr_workgroup_id_y 0
		.amdhsa_system_sgpr_workgroup_id_z 0
		.amdhsa_system_sgpr_workgroup_info 0
		.amdhsa_system_vgpr_workitem_id 0
		.amdhsa_next_free_vgpr 10
		.amdhsa_next_free_sgpr 17
		.amdhsa_accum_offset 12
		.amdhsa_reserve_vcc 1
		.amdhsa_reserve_flat_scratch 0
		.amdhsa_float_round_mode_32 0
		.amdhsa_float_round_mode_16_64 0
		.amdhsa_float_denorm_mode_32 3
		.amdhsa_float_denorm_mode_16_64 3
		.amdhsa_dx10_clamp 1
		.amdhsa_ieee_mode 1
		.amdhsa_fp16_overflow 0
		.amdhsa_tg_split 0
		.amdhsa_exception_fp_ieee_invalid_op 0
		.amdhsa_exception_fp_denorm_src 0
		.amdhsa_exception_fp_ieee_div_zero 0
		.amdhsa_exception_fp_ieee_overflow 0
		.amdhsa_exception_fp_ieee_underflow 0
		.amdhsa_exception_fp_ieee_inexact 0
		.amdhsa_exception_int_div_zero 0
	.end_amdhsa_kernel
	.section	.text._ZN7rocprim17ROCPRIM_400000_NS6detail30init_device_scan_by_key_kernelINS1_19lookback_scan_stateINS0_5tupleIJsbEEELb0ELb1EEEN6thrust23THRUST_200600_302600_NS6detail15normal_iteratorINS8_10device_ptrIiEEEEjNS1_16block_id_wrapperIjLb0EEEEEvT_jjPNSG_10value_typeET0_PNSt15iterator_traitsISJ_E10value_typeEmT1_T2_,"axG",@progbits,_ZN7rocprim17ROCPRIM_400000_NS6detail30init_device_scan_by_key_kernelINS1_19lookback_scan_stateINS0_5tupleIJsbEEELb0ELb1EEEN6thrust23THRUST_200600_302600_NS6detail15normal_iteratorINS8_10device_ptrIiEEEEjNS1_16block_id_wrapperIjLb0EEEEEvT_jjPNSG_10value_typeET0_PNSt15iterator_traitsISJ_E10value_typeEmT1_T2_,comdat
.Lfunc_end1351:
	.size	_ZN7rocprim17ROCPRIM_400000_NS6detail30init_device_scan_by_key_kernelINS1_19lookback_scan_stateINS0_5tupleIJsbEEELb0ELb1EEEN6thrust23THRUST_200600_302600_NS6detail15normal_iteratorINS8_10device_ptrIiEEEEjNS1_16block_id_wrapperIjLb0EEEEEvT_jjPNSG_10value_typeET0_PNSt15iterator_traitsISJ_E10value_typeEmT1_T2_, .Lfunc_end1351-_ZN7rocprim17ROCPRIM_400000_NS6detail30init_device_scan_by_key_kernelINS1_19lookback_scan_stateINS0_5tupleIJsbEEELb0ELb1EEEN6thrust23THRUST_200600_302600_NS6detail15normal_iteratorINS8_10device_ptrIiEEEEjNS1_16block_id_wrapperIjLb0EEEEEvT_jjPNSG_10value_typeET0_PNSt15iterator_traitsISJ_E10value_typeEmT1_T2_
                                        ; -- End function
	.section	.AMDGPU.csdata,"",@progbits
; Kernel info:
; codeLenInByte = 508
; NumSgprs: 21
; NumVgprs: 10
; NumAgprs: 0
; TotalNumVgprs: 10
; ScratchSize: 0
; MemoryBound: 0
; FloatMode: 240
; IeeeMode: 1
; LDSByteSize: 0 bytes/workgroup (compile time only)
; SGPRBlocks: 2
; VGPRBlocks: 1
; NumSGPRsForWavesPerEU: 21
; NumVGPRsForWavesPerEU: 10
; AccumOffset: 12
; Occupancy: 8
; WaveLimiterHint : 0
; COMPUTE_PGM_RSRC2:SCRATCH_EN: 0
; COMPUTE_PGM_RSRC2:USER_SGPR: 6
; COMPUTE_PGM_RSRC2:TRAP_HANDLER: 0
; COMPUTE_PGM_RSRC2:TGID_X_EN: 1
; COMPUTE_PGM_RSRC2:TGID_Y_EN: 0
; COMPUTE_PGM_RSRC2:TGID_Z_EN: 0
; COMPUTE_PGM_RSRC2:TIDIG_COMP_CNT: 0
; COMPUTE_PGM_RSRC3_GFX90A:ACCUM_OFFSET: 2
; COMPUTE_PGM_RSRC3_GFX90A:TG_SPLIT: 0
	.section	.text._ZN7rocprim17ROCPRIM_400000_NS6detail17trampoline_kernelINS0_14default_configENS1_27scan_by_key_config_selectorIisEEZZNS1_16scan_by_key_implILNS1_25lookback_scan_determinismE0ELb0ES3_N6thrust23THRUST_200600_302600_NS6detail15normal_iteratorINS9_10device_ptrIiEEEENSB_INSC_IsEEEESG_sNS9_4plusIvEENS9_8equal_toIvEEsEE10hipError_tPvRmT2_T3_T4_T5_mT6_T7_P12ihipStream_tbENKUlT_T0_E_clISt17integral_constantIbLb0EES11_EEDaSW_SX_EUlSW_E_NS1_11comp_targetILNS1_3genE0ELNS1_11target_archE4294967295ELNS1_3gpuE0ELNS1_3repE0EEENS1_30default_config_static_selectorELNS0_4arch9wavefront6targetE1EEEvT1_,"axG",@progbits,_ZN7rocprim17ROCPRIM_400000_NS6detail17trampoline_kernelINS0_14default_configENS1_27scan_by_key_config_selectorIisEEZZNS1_16scan_by_key_implILNS1_25lookback_scan_determinismE0ELb0ES3_N6thrust23THRUST_200600_302600_NS6detail15normal_iteratorINS9_10device_ptrIiEEEENSB_INSC_IsEEEESG_sNS9_4plusIvEENS9_8equal_toIvEEsEE10hipError_tPvRmT2_T3_T4_T5_mT6_T7_P12ihipStream_tbENKUlT_T0_E_clISt17integral_constantIbLb0EES11_EEDaSW_SX_EUlSW_E_NS1_11comp_targetILNS1_3genE0ELNS1_11target_archE4294967295ELNS1_3gpuE0ELNS1_3repE0EEENS1_30default_config_static_selectorELNS0_4arch9wavefront6targetE1EEEvT1_,comdat
	.protected	_ZN7rocprim17ROCPRIM_400000_NS6detail17trampoline_kernelINS0_14default_configENS1_27scan_by_key_config_selectorIisEEZZNS1_16scan_by_key_implILNS1_25lookback_scan_determinismE0ELb0ES3_N6thrust23THRUST_200600_302600_NS6detail15normal_iteratorINS9_10device_ptrIiEEEENSB_INSC_IsEEEESG_sNS9_4plusIvEENS9_8equal_toIvEEsEE10hipError_tPvRmT2_T3_T4_T5_mT6_T7_P12ihipStream_tbENKUlT_T0_E_clISt17integral_constantIbLb0EES11_EEDaSW_SX_EUlSW_E_NS1_11comp_targetILNS1_3genE0ELNS1_11target_archE4294967295ELNS1_3gpuE0ELNS1_3repE0EEENS1_30default_config_static_selectorELNS0_4arch9wavefront6targetE1EEEvT1_ ; -- Begin function _ZN7rocprim17ROCPRIM_400000_NS6detail17trampoline_kernelINS0_14default_configENS1_27scan_by_key_config_selectorIisEEZZNS1_16scan_by_key_implILNS1_25lookback_scan_determinismE0ELb0ES3_N6thrust23THRUST_200600_302600_NS6detail15normal_iteratorINS9_10device_ptrIiEEEENSB_INSC_IsEEEESG_sNS9_4plusIvEENS9_8equal_toIvEEsEE10hipError_tPvRmT2_T3_T4_T5_mT6_T7_P12ihipStream_tbENKUlT_T0_E_clISt17integral_constantIbLb0EES11_EEDaSW_SX_EUlSW_E_NS1_11comp_targetILNS1_3genE0ELNS1_11target_archE4294967295ELNS1_3gpuE0ELNS1_3repE0EEENS1_30default_config_static_selectorELNS0_4arch9wavefront6targetE1EEEvT1_
	.globl	_ZN7rocprim17ROCPRIM_400000_NS6detail17trampoline_kernelINS0_14default_configENS1_27scan_by_key_config_selectorIisEEZZNS1_16scan_by_key_implILNS1_25lookback_scan_determinismE0ELb0ES3_N6thrust23THRUST_200600_302600_NS6detail15normal_iteratorINS9_10device_ptrIiEEEENSB_INSC_IsEEEESG_sNS9_4plusIvEENS9_8equal_toIvEEsEE10hipError_tPvRmT2_T3_T4_T5_mT6_T7_P12ihipStream_tbENKUlT_T0_E_clISt17integral_constantIbLb0EES11_EEDaSW_SX_EUlSW_E_NS1_11comp_targetILNS1_3genE0ELNS1_11target_archE4294967295ELNS1_3gpuE0ELNS1_3repE0EEENS1_30default_config_static_selectorELNS0_4arch9wavefront6targetE1EEEvT1_
	.p2align	8
	.type	_ZN7rocprim17ROCPRIM_400000_NS6detail17trampoline_kernelINS0_14default_configENS1_27scan_by_key_config_selectorIisEEZZNS1_16scan_by_key_implILNS1_25lookback_scan_determinismE0ELb0ES3_N6thrust23THRUST_200600_302600_NS6detail15normal_iteratorINS9_10device_ptrIiEEEENSB_INSC_IsEEEESG_sNS9_4plusIvEENS9_8equal_toIvEEsEE10hipError_tPvRmT2_T3_T4_T5_mT6_T7_P12ihipStream_tbENKUlT_T0_E_clISt17integral_constantIbLb0EES11_EEDaSW_SX_EUlSW_E_NS1_11comp_targetILNS1_3genE0ELNS1_11target_archE4294967295ELNS1_3gpuE0ELNS1_3repE0EEENS1_30default_config_static_selectorELNS0_4arch9wavefront6targetE1EEEvT1_,@function
_ZN7rocprim17ROCPRIM_400000_NS6detail17trampoline_kernelINS0_14default_configENS1_27scan_by_key_config_selectorIisEEZZNS1_16scan_by_key_implILNS1_25lookback_scan_determinismE0ELb0ES3_N6thrust23THRUST_200600_302600_NS6detail15normal_iteratorINS9_10device_ptrIiEEEENSB_INSC_IsEEEESG_sNS9_4plusIvEENS9_8equal_toIvEEsEE10hipError_tPvRmT2_T3_T4_T5_mT6_T7_P12ihipStream_tbENKUlT_T0_E_clISt17integral_constantIbLb0EES11_EEDaSW_SX_EUlSW_E_NS1_11comp_targetILNS1_3genE0ELNS1_11target_archE4294967295ELNS1_3gpuE0ELNS1_3repE0EEENS1_30default_config_static_selectorELNS0_4arch9wavefront6targetE1EEEvT1_: ; @_ZN7rocprim17ROCPRIM_400000_NS6detail17trampoline_kernelINS0_14default_configENS1_27scan_by_key_config_selectorIisEEZZNS1_16scan_by_key_implILNS1_25lookback_scan_determinismE0ELb0ES3_N6thrust23THRUST_200600_302600_NS6detail15normal_iteratorINS9_10device_ptrIiEEEENSB_INSC_IsEEEESG_sNS9_4plusIvEENS9_8equal_toIvEEsEE10hipError_tPvRmT2_T3_T4_T5_mT6_T7_P12ihipStream_tbENKUlT_T0_E_clISt17integral_constantIbLb0EES11_EEDaSW_SX_EUlSW_E_NS1_11comp_targetILNS1_3genE0ELNS1_11target_archE4294967295ELNS1_3gpuE0ELNS1_3repE0EEENS1_30default_config_static_selectorELNS0_4arch9wavefront6targetE1EEEvT1_
; %bb.0:
	.section	.rodata,"a",@progbits
	.p2align	6, 0x0
	.amdhsa_kernel _ZN7rocprim17ROCPRIM_400000_NS6detail17trampoline_kernelINS0_14default_configENS1_27scan_by_key_config_selectorIisEEZZNS1_16scan_by_key_implILNS1_25lookback_scan_determinismE0ELb0ES3_N6thrust23THRUST_200600_302600_NS6detail15normal_iteratorINS9_10device_ptrIiEEEENSB_INSC_IsEEEESG_sNS9_4plusIvEENS9_8equal_toIvEEsEE10hipError_tPvRmT2_T3_T4_T5_mT6_T7_P12ihipStream_tbENKUlT_T0_E_clISt17integral_constantIbLb0EES11_EEDaSW_SX_EUlSW_E_NS1_11comp_targetILNS1_3genE0ELNS1_11target_archE4294967295ELNS1_3gpuE0ELNS1_3repE0EEENS1_30default_config_static_selectorELNS0_4arch9wavefront6targetE1EEEvT1_
		.amdhsa_group_segment_fixed_size 0
		.amdhsa_private_segment_fixed_size 0
		.amdhsa_kernarg_size 112
		.amdhsa_user_sgpr_count 6
		.amdhsa_user_sgpr_private_segment_buffer 1
		.amdhsa_user_sgpr_dispatch_ptr 0
		.amdhsa_user_sgpr_queue_ptr 0
		.amdhsa_user_sgpr_kernarg_segment_ptr 1
		.amdhsa_user_sgpr_dispatch_id 0
		.amdhsa_user_sgpr_flat_scratch_init 0
		.amdhsa_user_sgpr_kernarg_preload_length 0
		.amdhsa_user_sgpr_kernarg_preload_offset 0
		.amdhsa_user_sgpr_private_segment_size 0
		.amdhsa_uses_dynamic_stack 0
		.amdhsa_system_sgpr_private_segment_wavefront_offset 0
		.amdhsa_system_sgpr_workgroup_id_x 1
		.amdhsa_system_sgpr_workgroup_id_y 0
		.amdhsa_system_sgpr_workgroup_id_z 0
		.amdhsa_system_sgpr_workgroup_info 0
		.amdhsa_system_vgpr_workitem_id 0
		.amdhsa_next_free_vgpr 1
		.amdhsa_next_free_sgpr 0
		.amdhsa_accum_offset 4
		.amdhsa_reserve_vcc 0
		.amdhsa_reserve_flat_scratch 0
		.amdhsa_float_round_mode_32 0
		.amdhsa_float_round_mode_16_64 0
		.amdhsa_float_denorm_mode_32 3
		.amdhsa_float_denorm_mode_16_64 3
		.amdhsa_dx10_clamp 1
		.amdhsa_ieee_mode 1
		.amdhsa_fp16_overflow 0
		.amdhsa_tg_split 0
		.amdhsa_exception_fp_ieee_invalid_op 0
		.amdhsa_exception_fp_denorm_src 0
		.amdhsa_exception_fp_ieee_div_zero 0
		.amdhsa_exception_fp_ieee_overflow 0
		.amdhsa_exception_fp_ieee_underflow 0
		.amdhsa_exception_fp_ieee_inexact 0
		.amdhsa_exception_int_div_zero 0
	.end_amdhsa_kernel
	.section	.text._ZN7rocprim17ROCPRIM_400000_NS6detail17trampoline_kernelINS0_14default_configENS1_27scan_by_key_config_selectorIisEEZZNS1_16scan_by_key_implILNS1_25lookback_scan_determinismE0ELb0ES3_N6thrust23THRUST_200600_302600_NS6detail15normal_iteratorINS9_10device_ptrIiEEEENSB_INSC_IsEEEESG_sNS9_4plusIvEENS9_8equal_toIvEEsEE10hipError_tPvRmT2_T3_T4_T5_mT6_T7_P12ihipStream_tbENKUlT_T0_E_clISt17integral_constantIbLb0EES11_EEDaSW_SX_EUlSW_E_NS1_11comp_targetILNS1_3genE0ELNS1_11target_archE4294967295ELNS1_3gpuE0ELNS1_3repE0EEENS1_30default_config_static_selectorELNS0_4arch9wavefront6targetE1EEEvT1_,"axG",@progbits,_ZN7rocprim17ROCPRIM_400000_NS6detail17trampoline_kernelINS0_14default_configENS1_27scan_by_key_config_selectorIisEEZZNS1_16scan_by_key_implILNS1_25lookback_scan_determinismE0ELb0ES3_N6thrust23THRUST_200600_302600_NS6detail15normal_iteratorINS9_10device_ptrIiEEEENSB_INSC_IsEEEESG_sNS9_4plusIvEENS9_8equal_toIvEEsEE10hipError_tPvRmT2_T3_T4_T5_mT6_T7_P12ihipStream_tbENKUlT_T0_E_clISt17integral_constantIbLb0EES11_EEDaSW_SX_EUlSW_E_NS1_11comp_targetILNS1_3genE0ELNS1_11target_archE4294967295ELNS1_3gpuE0ELNS1_3repE0EEENS1_30default_config_static_selectorELNS0_4arch9wavefront6targetE1EEEvT1_,comdat
.Lfunc_end1352:
	.size	_ZN7rocprim17ROCPRIM_400000_NS6detail17trampoline_kernelINS0_14default_configENS1_27scan_by_key_config_selectorIisEEZZNS1_16scan_by_key_implILNS1_25lookback_scan_determinismE0ELb0ES3_N6thrust23THRUST_200600_302600_NS6detail15normal_iteratorINS9_10device_ptrIiEEEENSB_INSC_IsEEEESG_sNS9_4plusIvEENS9_8equal_toIvEEsEE10hipError_tPvRmT2_T3_T4_T5_mT6_T7_P12ihipStream_tbENKUlT_T0_E_clISt17integral_constantIbLb0EES11_EEDaSW_SX_EUlSW_E_NS1_11comp_targetILNS1_3genE0ELNS1_11target_archE4294967295ELNS1_3gpuE0ELNS1_3repE0EEENS1_30default_config_static_selectorELNS0_4arch9wavefront6targetE1EEEvT1_, .Lfunc_end1352-_ZN7rocprim17ROCPRIM_400000_NS6detail17trampoline_kernelINS0_14default_configENS1_27scan_by_key_config_selectorIisEEZZNS1_16scan_by_key_implILNS1_25lookback_scan_determinismE0ELb0ES3_N6thrust23THRUST_200600_302600_NS6detail15normal_iteratorINS9_10device_ptrIiEEEENSB_INSC_IsEEEESG_sNS9_4plusIvEENS9_8equal_toIvEEsEE10hipError_tPvRmT2_T3_T4_T5_mT6_T7_P12ihipStream_tbENKUlT_T0_E_clISt17integral_constantIbLb0EES11_EEDaSW_SX_EUlSW_E_NS1_11comp_targetILNS1_3genE0ELNS1_11target_archE4294967295ELNS1_3gpuE0ELNS1_3repE0EEENS1_30default_config_static_selectorELNS0_4arch9wavefront6targetE1EEEvT1_
                                        ; -- End function
	.section	.AMDGPU.csdata,"",@progbits
; Kernel info:
; codeLenInByte = 0
; NumSgprs: 4
; NumVgprs: 0
; NumAgprs: 0
; TotalNumVgprs: 0
; ScratchSize: 0
; MemoryBound: 0
; FloatMode: 240
; IeeeMode: 1
; LDSByteSize: 0 bytes/workgroup (compile time only)
; SGPRBlocks: 0
; VGPRBlocks: 0
; NumSGPRsForWavesPerEU: 4
; NumVGPRsForWavesPerEU: 1
; AccumOffset: 4
; Occupancy: 8
; WaveLimiterHint : 0
; COMPUTE_PGM_RSRC2:SCRATCH_EN: 0
; COMPUTE_PGM_RSRC2:USER_SGPR: 6
; COMPUTE_PGM_RSRC2:TRAP_HANDLER: 0
; COMPUTE_PGM_RSRC2:TGID_X_EN: 1
; COMPUTE_PGM_RSRC2:TGID_Y_EN: 0
; COMPUTE_PGM_RSRC2:TGID_Z_EN: 0
; COMPUTE_PGM_RSRC2:TIDIG_COMP_CNT: 0
; COMPUTE_PGM_RSRC3_GFX90A:ACCUM_OFFSET: 0
; COMPUTE_PGM_RSRC3_GFX90A:TG_SPLIT: 0
	.section	.text._ZN7rocprim17ROCPRIM_400000_NS6detail17trampoline_kernelINS0_14default_configENS1_27scan_by_key_config_selectorIisEEZZNS1_16scan_by_key_implILNS1_25lookback_scan_determinismE0ELb0ES3_N6thrust23THRUST_200600_302600_NS6detail15normal_iteratorINS9_10device_ptrIiEEEENSB_INSC_IsEEEESG_sNS9_4plusIvEENS9_8equal_toIvEEsEE10hipError_tPvRmT2_T3_T4_T5_mT6_T7_P12ihipStream_tbENKUlT_T0_E_clISt17integral_constantIbLb0EES11_EEDaSW_SX_EUlSW_E_NS1_11comp_targetILNS1_3genE10ELNS1_11target_archE1201ELNS1_3gpuE5ELNS1_3repE0EEENS1_30default_config_static_selectorELNS0_4arch9wavefront6targetE1EEEvT1_,"axG",@progbits,_ZN7rocprim17ROCPRIM_400000_NS6detail17trampoline_kernelINS0_14default_configENS1_27scan_by_key_config_selectorIisEEZZNS1_16scan_by_key_implILNS1_25lookback_scan_determinismE0ELb0ES3_N6thrust23THRUST_200600_302600_NS6detail15normal_iteratorINS9_10device_ptrIiEEEENSB_INSC_IsEEEESG_sNS9_4plusIvEENS9_8equal_toIvEEsEE10hipError_tPvRmT2_T3_T4_T5_mT6_T7_P12ihipStream_tbENKUlT_T0_E_clISt17integral_constantIbLb0EES11_EEDaSW_SX_EUlSW_E_NS1_11comp_targetILNS1_3genE10ELNS1_11target_archE1201ELNS1_3gpuE5ELNS1_3repE0EEENS1_30default_config_static_selectorELNS0_4arch9wavefront6targetE1EEEvT1_,comdat
	.protected	_ZN7rocprim17ROCPRIM_400000_NS6detail17trampoline_kernelINS0_14default_configENS1_27scan_by_key_config_selectorIisEEZZNS1_16scan_by_key_implILNS1_25lookback_scan_determinismE0ELb0ES3_N6thrust23THRUST_200600_302600_NS6detail15normal_iteratorINS9_10device_ptrIiEEEENSB_INSC_IsEEEESG_sNS9_4plusIvEENS9_8equal_toIvEEsEE10hipError_tPvRmT2_T3_T4_T5_mT6_T7_P12ihipStream_tbENKUlT_T0_E_clISt17integral_constantIbLb0EES11_EEDaSW_SX_EUlSW_E_NS1_11comp_targetILNS1_3genE10ELNS1_11target_archE1201ELNS1_3gpuE5ELNS1_3repE0EEENS1_30default_config_static_selectorELNS0_4arch9wavefront6targetE1EEEvT1_ ; -- Begin function _ZN7rocprim17ROCPRIM_400000_NS6detail17trampoline_kernelINS0_14default_configENS1_27scan_by_key_config_selectorIisEEZZNS1_16scan_by_key_implILNS1_25lookback_scan_determinismE0ELb0ES3_N6thrust23THRUST_200600_302600_NS6detail15normal_iteratorINS9_10device_ptrIiEEEENSB_INSC_IsEEEESG_sNS9_4plusIvEENS9_8equal_toIvEEsEE10hipError_tPvRmT2_T3_T4_T5_mT6_T7_P12ihipStream_tbENKUlT_T0_E_clISt17integral_constantIbLb0EES11_EEDaSW_SX_EUlSW_E_NS1_11comp_targetILNS1_3genE10ELNS1_11target_archE1201ELNS1_3gpuE5ELNS1_3repE0EEENS1_30default_config_static_selectorELNS0_4arch9wavefront6targetE1EEEvT1_
	.globl	_ZN7rocprim17ROCPRIM_400000_NS6detail17trampoline_kernelINS0_14default_configENS1_27scan_by_key_config_selectorIisEEZZNS1_16scan_by_key_implILNS1_25lookback_scan_determinismE0ELb0ES3_N6thrust23THRUST_200600_302600_NS6detail15normal_iteratorINS9_10device_ptrIiEEEENSB_INSC_IsEEEESG_sNS9_4plusIvEENS9_8equal_toIvEEsEE10hipError_tPvRmT2_T3_T4_T5_mT6_T7_P12ihipStream_tbENKUlT_T0_E_clISt17integral_constantIbLb0EES11_EEDaSW_SX_EUlSW_E_NS1_11comp_targetILNS1_3genE10ELNS1_11target_archE1201ELNS1_3gpuE5ELNS1_3repE0EEENS1_30default_config_static_selectorELNS0_4arch9wavefront6targetE1EEEvT1_
	.p2align	8
	.type	_ZN7rocprim17ROCPRIM_400000_NS6detail17trampoline_kernelINS0_14default_configENS1_27scan_by_key_config_selectorIisEEZZNS1_16scan_by_key_implILNS1_25lookback_scan_determinismE0ELb0ES3_N6thrust23THRUST_200600_302600_NS6detail15normal_iteratorINS9_10device_ptrIiEEEENSB_INSC_IsEEEESG_sNS9_4plusIvEENS9_8equal_toIvEEsEE10hipError_tPvRmT2_T3_T4_T5_mT6_T7_P12ihipStream_tbENKUlT_T0_E_clISt17integral_constantIbLb0EES11_EEDaSW_SX_EUlSW_E_NS1_11comp_targetILNS1_3genE10ELNS1_11target_archE1201ELNS1_3gpuE5ELNS1_3repE0EEENS1_30default_config_static_selectorELNS0_4arch9wavefront6targetE1EEEvT1_,@function
_ZN7rocprim17ROCPRIM_400000_NS6detail17trampoline_kernelINS0_14default_configENS1_27scan_by_key_config_selectorIisEEZZNS1_16scan_by_key_implILNS1_25lookback_scan_determinismE0ELb0ES3_N6thrust23THRUST_200600_302600_NS6detail15normal_iteratorINS9_10device_ptrIiEEEENSB_INSC_IsEEEESG_sNS9_4plusIvEENS9_8equal_toIvEEsEE10hipError_tPvRmT2_T3_T4_T5_mT6_T7_P12ihipStream_tbENKUlT_T0_E_clISt17integral_constantIbLb0EES11_EEDaSW_SX_EUlSW_E_NS1_11comp_targetILNS1_3genE10ELNS1_11target_archE1201ELNS1_3gpuE5ELNS1_3repE0EEENS1_30default_config_static_selectorELNS0_4arch9wavefront6targetE1EEEvT1_: ; @_ZN7rocprim17ROCPRIM_400000_NS6detail17trampoline_kernelINS0_14default_configENS1_27scan_by_key_config_selectorIisEEZZNS1_16scan_by_key_implILNS1_25lookback_scan_determinismE0ELb0ES3_N6thrust23THRUST_200600_302600_NS6detail15normal_iteratorINS9_10device_ptrIiEEEENSB_INSC_IsEEEESG_sNS9_4plusIvEENS9_8equal_toIvEEsEE10hipError_tPvRmT2_T3_T4_T5_mT6_T7_P12ihipStream_tbENKUlT_T0_E_clISt17integral_constantIbLb0EES11_EEDaSW_SX_EUlSW_E_NS1_11comp_targetILNS1_3genE10ELNS1_11target_archE1201ELNS1_3gpuE5ELNS1_3repE0EEENS1_30default_config_static_selectorELNS0_4arch9wavefront6targetE1EEEvT1_
; %bb.0:
	.section	.rodata,"a",@progbits
	.p2align	6, 0x0
	.amdhsa_kernel _ZN7rocprim17ROCPRIM_400000_NS6detail17trampoline_kernelINS0_14default_configENS1_27scan_by_key_config_selectorIisEEZZNS1_16scan_by_key_implILNS1_25lookback_scan_determinismE0ELb0ES3_N6thrust23THRUST_200600_302600_NS6detail15normal_iteratorINS9_10device_ptrIiEEEENSB_INSC_IsEEEESG_sNS9_4plusIvEENS9_8equal_toIvEEsEE10hipError_tPvRmT2_T3_T4_T5_mT6_T7_P12ihipStream_tbENKUlT_T0_E_clISt17integral_constantIbLb0EES11_EEDaSW_SX_EUlSW_E_NS1_11comp_targetILNS1_3genE10ELNS1_11target_archE1201ELNS1_3gpuE5ELNS1_3repE0EEENS1_30default_config_static_selectorELNS0_4arch9wavefront6targetE1EEEvT1_
		.amdhsa_group_segment_fixed_size 0
		.amdhsa_private_segment_fixed_size 0
		.amdhsa_kernarg_size 112
		.amdhsa_user_sgpr_count 6
		.amdhsa_user_sgpr_private_segment_buffer 1
		.amdhsa_user_sgpr_dispatch_ptr 0
		.amdhsa_user_sgpr_queue_ptr 0
		.amdhsa_user_sgpr_kernarg_segment_ptr 1
		.amdhsa_user_sgpr_dispatch_id 0
		.amdhsa_user_sgpr_flat_scratch_init 0
		.amdhsa_user_sgpr_kernarg_preload_length 0
		.amdhsa_user_sgpr_kernarg_preload_offset 0
		.amdhsa_user_sgpr_private_segment_size 0
		.amdhsa_uses_dynamic_stack 0
		.amdhsa_system_sgpr_private_segment_wavefront_offset 0
		.amdhsa_system_sgpr_workgroup_id_x 1
		.amdhsa_system_sgpr_workgroup_id_y 0
		.amdhsa_system_sgpr_workgroup_id_z 0
		.amdhsa_system_sgpr_workgroup_info 0
		.amdhsa_system_vgpr_workitem_id 0
		.amdhsa_next_free_vgpr 1
		.amdhsa_next_free_sgpr 0
		.amdhsa_accum_offset 4
		.amdhsa_reserve_vcc 0
		.amdhsa_reserve_flat_scratch 0
		.amdhsa_float_round_mode_32 0
		.amdhsa_float_round_mode_16_64 0
		.amdhsa_float_denorm_mode_32 3
		.amdhsa_float_denorm_mode_16_64 3
		.amdhsa_dx10_clamp 1
		.amdhsa_ieee_mode 1
		.amdhsa_fp16_overflow 0
		.amdhsa_tg_split 0
		.amdhsa_exception_fp_ieee_invalid_op 0
		.amdhsa_exception_fp_denorm_src 0
		.amdhsa_exception_fp_ieee_div_zero 0
		.amdhsa_exception_fp_ieee_overflow 0
		.amdhsa_exception_fp_ieee_underflow 0
		.amdhsa_exception_fp_ieee_inexact 0
		.amdhsa_exception_int_div_zero 0
	.end_amdhsa_kernel
	.section	.text._ZN7rocprim17ROCPRIM_400000_NS6detail17trampoline_kernelINS0_14default_configENS1_27scan_by_key_config_selectorIisEEZZNS1_16scan_by_key_implILNS1_25lookback_scan_determinismE0ELb0ES3_N6thrust23THRUST_200600_302600_NS6detail15normal_iteratorINS9_10device_ptrIiEEEENSB_INSC_IsEEEESG_sNS9_4plusIvEENS9_8equal_toIvEEsEE10hipError_tPvRmT2_T3_T4_T5_mT6_T7_P12ihipStream_tbENKUlT_T0_E_clISt17integral_constantIbLb0EES11_EEDaSW_SX_EUlSW_E_NS1_11comp_targetILNS1_3genE10ELNS1_11target_archE1201ELNS1_3gpuE5ELNS1_3repE0EEENS1_30default_config_static_selectorELNS0_4arch9wavefront6targetE1EEEvT1_,"axG",@progbits,_ZN7rocprim17ROCPRIM_400000_NS6detail17trampoline_kernelINS0_14default_configENS1_27scan_by_key_config_selectorIisEEZZNS1_16scan_by_key_implILNS1_25lookback_scan_determinismE0ELb0ES3_N6thrust23THRUST_200600_302600_NS6detail15normal_iteratorINS9_10device_ptrIiEEEENSB_INSC_IsEEEESG_sNS9_4plusIvEENS9_8equal_toIvEEsEE10hipError_tPvRmT2_T3_T4_T5_mT6_T7_P12ihipStream_tbENKUlT_T0_E_clISt17integral_constantIbLb0EES11_EEDaSW_SX_EUlSW_E_NS1_11comp_targetILNS1_3genE10ELNS1_11target_archE1201ELNS1_3gpuE5ELNS1_3repE0EEENS1_30default_config_static_selectorELNS0_4arch9wavefront6targetE1EEEvT1_,comdat
.Lfunc_end1353:
	.size	_ZN7rocprim17ROCPRIM_400000_NS6detail17trampoline_kernelINS0_14default_configENS1_27scan_by_key_config_selectorIisEEZZNS1_16scan_by_key_implILNS1_25lookback_scan_determinismE0ELb0ES3_N6thrust23THRUST_200600_302600_NS6detail15normal_iteratorINS9_10device_ptrIiEEEENSB_INSC_IsEEEESG_sNS9_4plusIvEENS9_8equal_toIvEEsEE10hipError_tPvRmT2_T3_T4_T5_mT6_T7_P12ihipStream_tbENKUlT_T0_E_clISt17integral_constantIbLb0EES11_EEDaSW_SX_EUlSW_E_NS1_11comp_targetILNS1_3genE10ELNS1_11target_archE1201ELNS1_3gpuE5ELNS1_3repE0EEENS1_30default_config_static_selectorELNS0_4arch9wavefront6targetE1EEEvT1_, .Lfunc_end1353-_ZN7rocprim17ROCPRIM_400000_NS6detail17trampoline_kernelINS0_14default_configENS1_27scan_by_key_config_selectorIisEEZZNS1_16scan_by_key_implILNS1_25lookback_scan_determinismE0ELb0ES3_N6thrust23THRUST_200600_302600_NS6detail15normal_iteratorINS9_10device_ptrIiEEEENSB_INSC_IsEEEESG_sNS9_4plusIvEENS9_8equal_toIvEEsEE10hipError_tPvRmT2_T3_T4_T5_mT6_T7_P12ihipStream_tbENKUlT_T0_E_clISt17integral_constantIbLb0EES11_EEDaSW_SX_EUlSW_E_NS1_11comp_targetILNS1_3genE10ELNS1_11target_archE1201ELNS1_3gpuE5ELNS1_3repE0EEENS1_30default_config_static_selectorELNS0_4arch9wavefront6targetE1EEEvT1_
                                        ; -- End function
	.section	.AMDGPU.csdata,"",@progbits
; Kernel info:
; codeLenInByte = 0
; NumSgprs: 4
; NumVgprs: 0
; NumAgprs: 0
; TotalNumVgprs: 0
; ScratchSize: 0
; MemoryBound: 0
; FloatMode: 240
; IeeeMode: 1
; LDSByteSize: 0 bytes/workgroup (compile time only)
; SGPRBlocks: 0
; VGPRBlocks: 0
; NumSGPRsForWavesPerEU: 4
; NumVGPRsForWavesPerEU: 1
; AccumOffset: 4
; Occupancy: 8
; WaveLimiterHint : 0
; COMPUTE_PGM_RSRC2:SCRATCH_EN: 0
; COMPUTE_PGM_RSRC2:USER_SGPR: 6
; COMPUTE_PGM_RSRC2:TRAP_HANDLER: 0
; COMPUTE_PGM_RSRC2:TGID_X_EN: 1
; COMPUTE_PGM_RSRC2:TGID_Y_EN: 0
; COMPUTE_PGM_RSRC2:TGID_Z_EN: 0
; COMPUTE_PGM_RSRC2:TIDIG_COMP_CNT: 0
; COMPUTE_PGM_RSRC3_GFX90A:ACCUM_OFFSET: 0
; COMPUTE_PGM_RSRC3_GFX90A:TG_SPLIT: 0
	.section	.text._ZN7rocprim17ROCPRIM_400000_NS6detail17trampoline_kernelINS0_14default_configENS1_27scan_by_key_config_selectorIisEEZZNS1_16scan_by_key_implILNS1_25lookback_scan_determinismE0ELb0ES3_N6thrust23THRUST_200600_302600_NS6detail15normal_iteratorINS9_10device_ptrIiEEEENSB_INSC_IsEEEESG_sNS9_4plusIvEENS9_8equal_toIvEEsEE10hipError_tPvRmT2_T3_T4_T5_mT6_T7_P12ihipStream_tbENKUlT_T0_E_clISt17integral_constantIbLb0EES11_EEDaSW_SX_EUlSW_E_NS1_11comp_targetILNS1_3genE5ELNS1_11target_archE942ELNS1_3gpuE9ELNS1_3repE0EEENS1_30default_config_static_selectorELNS0_4arch9wavefront6targetE1EEEvT1_,"axG",@progbits,_ZN7rocprim17ROCPRIM_400000_NS6detail17trampoline_kernelINS0_14default_configENS1_27scan_by_key_config_selectorIisEEZZNS1_16scan_by_key_implILNS1_25lookback_scan_determinismE0ELb0ES3_N6thrust23THRUST_200600_302600_NS6detail15normal_iteratorINS9_10device_ptrIiEEEENSB_INSC_IsEEEESG_sNS9_4plusIvEENS9_8equal_toIvEEsEE10hipError_tPvRmT2_T3_T4_T5_mT6_T7_P12ihipStream_tbENKUlT_T0_E_clISt17integral_constantIbLb0EES11_EEDaSW_SX_EUlSW_E_NS1_11comp_targetILNS1_3genE5ELNS1_11target_archE942ELNS1_3gpuE9ELNS1_3repE0EEENS1_30default_config_static_selectorELNS0_4arch9wavefront6targetE1EEEvT1_,comdat
	.protected	_ZN7rocprim17ROCPRIM_400000_NS6detail17trampoline_kernelINS0_14default_configENS1_27scan_by_key_config_selectorIisEEZZNS1_16scan_by_key_implILNS1_25lookback_scan_determinismE0ELb0ES3_N6thrust23THRUST_200600_302600_NS6detail15normal_iteratorINS9_10device_ptrIiEEEENSB_INSC_IsEEEESG_sNS9_4plusIvEENS9_8equal_toIvEEsEE10hipError_tPvRmT2_T3_T4_T5_mT6_T7_P12ihipStream_tbENKUlT_T0_E_clISt17integral_constantIbLb0EES11_EEDaSW_SX_EUlSW_E_NS1_11comp_targetILNS1_3genE5ELNS1_11target_archE942ELNS1_3gpuE9ELNS1_3repE0EEENS1_30default_config_static_selectorELNS0_4arch9wavefront6targetE1EEEvT1_ ; -- Begin function _ZN7rocprim17ROCPRIM_400000_NS6detail17trampoline_kernelINS0_14default_configENS1_27scan_by_key_config_selectorIisEEZZNS1_16scan_by_key_implILNS1_25lookback_scan_determinismE0ELb0ES3_N6thrust23THRUST_200600_302600_NS6detail15normal_iteratorINS9_10device_ptrIiEEEENSB_INSC_IsEEEESG_sNS9_4plusIvEENS9_8equal_toIvEEsEE10hipError_tPvRmT2_T3_T4_T5_mT6_T7_P12ihipStream_tbENKUlT_T0_E_clISt17integral_constantIbLb0EES11_EEDaSW_SX_EUlSW_E_NS1_11comp_targetILNS1_3genE5ELNS1_11target_archE942ELNS1_3gpuE9ELNS1_3repE0EEENS1_30default_config_static_selectorELNS0_4arch9wavefront6targetE1EEEvT1_
	.globl	_ZN7rocprim17ROCPRIM_400000_NS6detail17trampoline_kernelINS0_14default_configENS1_27scan_by_key_config_selectorIisEEZZNS1_16scan_by_key_implILNS1_25lookback_scan_determinismE0ELb0ES3_N6thrust23THRUST_200600_302600_NS6detail15normal_iteratorINS9_10device_ptrIiEEEENSB_INSC_IsEEEESG_sNS9_4plusIvEENS9_8equal_toIvEEsEE10hipError_tPvRmT2_T3_T4_T5_mT6_T7_P12ihipStream_tbENKUlT_T0_E_clISt17integral_constantIbLb0EES11_EEDaSW_SX_EUlSW_E_NS1_11comp_targetILNS1_3genE5ELNS1_11target_archE942ELNS1_3gpuE9ELNS1_3repE0EEENS1_30default_config_static_selectorELNS0_4arch9wavefront6targetE1EEEvT1_
	.p2align	8
	.type	_ZN7rocprim17ROCPRIM_400000_NS6detail17trampoline_kernelINS0_14default_configENS1_27scan_by_key_config_selectorIisEEZZNS1_16scan_by_key_implILNS1_25lookback_scan_determinismE0ELb0ES3_N6thrust23THRUST_200600_302600_NS6detail15normal_iteratorINS9_10device_ptrIiEEEENSB_INSC_IsEEEESG_sNS9_4plusIvEENS9_8equal_toIvEEsEE10hipError_tPvRmT2_T3_T4_T5_mT6_T7_P12ihipStream_tbENKUlT_T0_E_clISt17integral_constantIbLb0EES11_EEDaSW_SX_EUlSW_E_NS1_11comp_targetILNS1_3genE5ELNS1_11target_archE942ELNS1_3gpuE9ELNS1_3repE0EEENS1_30default_config_static_selectorELNS0_4arch9wavefront6targetE1EEEvT1_,@function
_ZN7rocprim17ROCPRIM_400000_NS6detail17trampoline_kernelINS0_14default_configENS1_27scan_by_key_config_selectorIisEEZZNS1_16scan_by_key_implILNS1_25lookback_scan_determinismE0ELb0ES3_N6thrust23THRUST_200600_302600_NS6detail15normal_iteratorINS9_10device_ptrIiEEEENSB_INSC_IsEEEESG_sNS9_4plusIvEENS9_8equal_toIvEEsEE10hipError_tPvRmT2_T3_T4_T5_mT6_T7_P12ihipStream_tbENKUlT_T0_E_clISt17integral_constantIbLb0EES11_EEDaSW_SX_EUlSW_E_NS1_11comp_targetILNS1_3genE5ELNS1_11target_archE942ELNS1_3gpuE9ELNS1_3repE0EEENS1_30default_config_static_selectorELNS0_4arch9wavefront6targetE1EEEvT1_: ; @_ZN7rocprim17ROCPRIM_400000_NS6detail17trampoline_kernelINS0_14default_configENS1_27scan_by_key_config_selectorIisEEZZNS1_16scan_by_key_implILNS1_25lookback_scan_determinismE0ELb0ES3_N6thrust23THRUST_200600_302600_NS6detail15normal_iteratorINS9_10device_ptrIiEEEENSB_INSC_IsEEEESG_sNS9_4plusIvEENS9_8equal_toIvEEsEE10hipError_tPvRmT2_T3_T4_T5_mT6_T7_P12ihipStream_tbENKUlT_T0_E_clISt17integral_constantIbLb0EES11_EEDaSW_SX_EUlSW_E_NS1_11comp_targetILNS1_3genE5ELNS1_11target_archE942ELNS1_3gpuE9ELNS1_3repE0EEENS1_30default_config_static_selectorELNS0_4arch9wavefront6targetE1EEEvT1_
; %bb.0:
	.section	.rodata,"a",@progbits
	.p2align	6, 0x0
	.amdhsa_kernel _ZN7rocprim17ROCPRIM_400000_NS6detail17trampoline_kernelINS0_14default_configENS1_27scan_by_key_config_selectorIisEEZZNS1_16scan_by_key_implILNS1_25lookback_scan_determinismE0ELb0ES3_N6thrust23THRUST_200600_302600_NS6detail15normal_iteratorINS9_10device_ptrIiEEEENSB_INSC_IsEEEESG_sNS9_4plusIvEENS9_8equal_toIvEEsEE10hipError_tPvRmT2_T3_T4_T5_mT6_T7_P12ihipStream_tbENKUlT_T0_E_clISt17integral_constantIbLb0EES11_EEDaSW_SX_EUlSW_E_NS1_11comp_targetILNS1_3genE5ELNS1_11target_archE942ELNS1_3gpuE9ELNS1_3repE0EEENS1_30default_config_static_selectorELNS0_4arch9wavefront6targetE1EEEvT1_
		.amdhsa_group_segment_fixed_size 0
		.amdhsa_private_segment_fixed_size 0
		.amdhsa_kernarg_size 112
		.amdhsa_user_sgpr_count 6
		.amdhsa_user_sgpr_private_segment_buffer 1
		.amdhsa_user_sgpr_dispatch_ptr 0
		.amdhsa_user_sgpr_queue_ptr 0
		.amdhsa_user_sgpr_kernarg_segment_ptr 1
		.amdhsa_user_sgpr_dispatch_id 0
		.amdhsa_user_sgpr_flat_scratch_init 0
		.amdhsa_user_sgpr_kernarg_preload_length 0
		.amdhsa_user_sgpr_kernarg_preload_offset 0
		.amdhsa_user_sgpr_private_segment_size 0
		.amdhsa_uses_dynamic_stack 0
		.amdhsa_system_sgpr_private_segment_wavefront_offset 0
		.amdhsa_system_sgpr_workgroup_id_x 1
		.amdhsa_system_sgpr_workgroup_id_y 0
		.amdhsa_system_sgpr_workgroup_id_z 0
		.amdhsa_system_sgpr_workgroup_info 0
		.amdhsa_system_vgpr_workitem_id 0
		.amdhsa_next_free_vgpr 1
		.amdhsa_next_free_sgpr 0
		.amdhsa_accum_offset 4
		.amdhsa_reserve_vcc 0
		.amdhsa_reserve_flat_scratch 0
		.amdhsa_float_round_mode_32 0
		.amdhsa_float_round_mode_16_64 0
		.amdhsa_float_denorm_mode_32 3
		.amdhsa_float_denorm_mode_16_64 3
		.amdhsa_dx10_clamp 1
		.amdhsa_ieee_mode 1
		.amdhsa_fp16_overflow 0
		.amdhsa_tg_split 0
		.amdhsa_exception_fp_ieee_invalid_op 0
		.amdhsa_exception_fp_denorm_src 0
		.amdhsa_exception_fp_ieee_div_zero 0
		.amdhsa_exception_fp_ieee_overflow 0
		.amdhsa_exception_fp_ieee_underflow 0
		.amdhsa_exception_fp_ieee_inexact 0
		.amdhsa_exception_int_div_zero 0
	.end_amdhsa_kernel
	.section	.text._ZN7rocprim17ROCPRIM_400000_NS6detail17trampoline_kernelINS0_14default_configENS1_27scan_by_key_config_selectorIisEEZZNS1_16scan_by_key_implILNS1_25lookback_scan_determinismE0ELb0ES3_N6thrust23THRUST_200600_302600_NS6detail15normal_iteratorINS9_10device_ptrIiEEEENSB_INSC_IsEEEESG_sNS9_4plusIvEENS9_8equal_toIvEEsEE10hipError_tPvRmT2_T3_T4_T5_mT6_T7_P12ihipStream_tbENKUlT_T0_E_clISt17integral_constantIbLb0EES11_EEDaSW_SX_EUlSW_E_NS1_11comp_targetILNS1_3genE5ELNS1_11target_archE942ELNS1_3gpuE9ELNS1_3repE0EEENS1_30default_config_static_selectorELNS0_4arch9wavefront6targetE1EEEvT1_,"axG",@progbits,_ZN7rocprim17ROCPRIM_400000_NS6detail17trampoline_kernelINS0_14default_configENS1_27scan_by_key_config_selectorIisEEZZNS1_16scan_by_key_implILNS1_25lookback_scan_determinismE0ELb0ES3_N6thrust23THRUST_200600_302600_NS6detail15normal_iteratorINS9_10device_ptrIiEEEENSB_INSC_IsEEEESG_sNS9_4plusIvEENS9_8equal_toIvEEsEE10hipError_tPvRmT2_T3_T4_T5_mT6_T7_P12ihipStream_tbENKUlT_T0_E_clISt17integral_constantIbLb0EES11_EEDaSW_SX_EUlSW_E_NS1_11comp_targetILNS1_3genE5ELNS1_11target_archE942ELNS1_3gpuE9ELNS1_3repE0EEENS1_30default_config_static_selectorELNS0_4arch9wavefront6targetE1EEEvT1_,comdat
.Lfunc_end1354:
	.size	_ZN7rocprim17ROCPRIM_400000_NS6detail17trampoline_kernelINS0_14default_configENS1_27scan_by_key_config_selectorIisEEZZNS1_16scan_by_key_implILNS1_25lookback_scan_determinismE0ELb0ES3_N6thrust23THRUST_200600_302600_NS6detail15normal_iteratorINS9_10device_ptrIiEEEENSB_INSC_IsEEEESG_sNS9_4plusIvEENS9_8equal_toIvEEsEE10hipError_tPvRmT2_T3_T4_T5_mT6_T7_P12ihipStream_tbENKUlT_T0_E_clISt17integral_constantIbLb0EES11_EEDaSW_SX_EUlSW_E_NS1_11comp_targetILNS1_3genE5ELNS1_11target_archE942ELNS1_3gpuE9ELNS1_3repE0EEENS1_30default_config_static_selectorELNS0_4arch9wavefront6targetE1EEEvT1_, .Lfunc_end1354-_ZN7rocprim17ROCPRIM_400000_NS6detail17trampoline_kernelINS0_14default_configENS1_27scan_by_key_config_selectorIisEEZZNS1_16scan_by_key_implILNS1_25lookback_scan_determinismE0ELb0ES3_N6thrust23THRUST_200600_302600_NS6detail15normal_iteratorINS9_10device_ptrIiEEEENSB_INSC_IsEEEESG_sNS9_4plusIvEENS9_8equal_toIvEEsEE10hipError_tPvRmT2_T3_T4_T5_mT6_T7_P12ihipStream_tbENKUlT_T0_E_clISt17integral_constantIbLb0EES11_EEDaSW_SX_EUlSW_E_NS1_11comp_targetILNS1_3genE5ELNS1_11target_archE942ELNS1_3gpuE9ELNS1_3repE0EEENS1_30default_config_static_selectorELNS0_4arch9wavefront6targetE1EEEvT1_
                                        ; -- End function
	.section	.AMDGPU.csdata,"",@progbits
; Kernel info:
; codeLenInByte = 0
; NumSgprs: 4
; NumVgprs: 0
; NumAgprs: 0
; TotalNumVgprs: 0
; ScratchSize: 0
; MemoryBound: 0
; FloatMode: 240
; IeeeMode: 1
; LDSByteSize: 0 bytes/workgroup (compile time only)
; SGPRBlocks: 0
; VGPRBlocks: 0
; NumSGPRsForWavesPerEU: 4
; NumVGPRsForWavesPerEU: 1
; AccumOffset: 4
; Occupancy: 8
; WaveLimiterHint : 0
; COMPUTE_PGM_RSRC2:SCRATCH_EN: 0
; COMPUTE_PGM_RSRC2:USER_SGPR: 6
; COMPUTE_PGM_RSRC2:TRAP_HANDLER: 0
; COMPUTE_PGM_RSRC2:TGID_X_EN: 1
; COMPUTE_PGM_RSRC2:TGID_Y_EN: 0
; COMPUTE_PGM_RSRC2:TGID_Z_EN: 0
; COMPUTE_PGM_RSRC2:TIDIG_COMP_CNT: 0
; COMPUTE_PGM_RSRC3_GFX90A:ACCUM_OFFSET: 0
; COMPUTE_PGM_RSRC3_GFX90A:TG_SPLIT: 0
	.section	.text._ZN7rocprim17ROCPRIM_400000_NS6detail17trampoline_kernelINS0_14default_configENS1_27scan_by_key_config_selectorIisEEZZNS1_16scan_by_key_implILNS1_25lookback_scan_determinismE0ELb0ES3_N6thrust23THRUST_200600_302600_NS6detail15normal_iteratorINS9_10device_ptrIiEEEENSB_INSC_IsEEEESG_sNS9_4plusIvEENS9_8equal_toIvEEsEE10hipError_tPvRmT2_T3_T4_T5_mT6_T7_P12ihipStream_tbENKUlT_T0_E_clISt17integral_constantIbLb0EES11_EEDaSW_SX_EUlSW_E_NS1_11comp_targetILNS1_3genE4ELNS1_11target_archE910ELNS1_3gpuE8ELNS1_3repE0EEENS1_30default_config_static_selectorELNS0_4arch9wavefront6targetE1EEEvT1_,"axG",@progbits,_ZN7rocprim17ROCPRIM_400000_NS6detail17trampoline_kernelINS0_14default_configENS1_27scan_by_key_config_selectorIisEEZZNS1_16scan_by_key_implILNS1_25lookback_scan_determinismE0ELb0ES3_N6thrust23THRUST_200600_302600_NS6detail15normal_iteratorINS9_10device_ptrIiEEEENSB_INSC_IsEEEESG_sNS9_4plusIvEENS9_8equal_toIvEEsEE10hipError_tPvRmT2_T3_T4_T5_mT6_T7_P12ihipStream_tbENKUlT_T0_E_clISt17integral_constantIbLb0EES11_EEDaSW_SX_EUlSW_E_NS1_11comp_targetILNS1_3genE4ELNS1_11target_archE910ELNS1_3gpuE8ELNS1_3repE0EEENS1_30default_config_static_selectorELNS0_4arch9wavefront6targetE1EEEvT1_,comdat
	.protected	_ZN7rocprim17ROCPRIM_400000_NS6detail17trampoline_kernelINS0_14default_configENS1_27scan_by_key_config_selectorIisEEZZNS1_16scan_by_key_implILNS1_25lookback_scan_determinismE0ELb0ES3_N6thrust23THRUST_200600_302600_NS6detail15normal_iteratorINS9_10device_ptrIiEEEENSB_INSC_IsEEEESG_sNS9_4plusIvEENS9_8equal_toIvEEsEE10hipError_tPvRmT2_T3_T4_T5_mT6_T7_P12ihipStream_tbENKUlT_T0_E_clISt17integral_constantIbLb0EES11_EEDaSW_SX_EUlSW_E_NS1_11comp_targetILNS1_3genE4ELNS1_11target_archE910ELNS1_3gpuE8ELNS1_3repE0EEENS1_30default_config_static_selectorELNS0_4arch9wavefront6targetE1EEEvT1_ ; -- Begin function _ZN7rocprim17ROCPRIM_400000_NS6detail17trampoline_kernelINS0_14default_configENS1_27scan_by_key_config_selectorIisEEZZNS1_16scan_by_key_implILNS1_25lookback_scan_determinismE0ELb0ES3_N6thrust23THRUST_200600_302600_NS6detail15normal_iteratorINS9_10device_ptrIiEEEENSB_INSC_IsEEEESG_sNS9_4plusIvEENS9_8equal_toIvEEsEE10hipError_tPvRmT2_T3_T4_T5_mT6_T7_P12ihipStream_tbENKUlT_T0_E_clISt17integral_constantIbLb0EES11_EEDaSW_SX_EUlSW_E_NS1_11comp_targetILNS1_3genE4ELNS1_11target_archE910ELNS1_3gpuE8ELNS1_3repE0EEENS1_30default_config_static_selectorELNS0_4arch9wavefront6targetE1EEEvT1_
	.globl	_ZN7rocprim17ROCPRIM_400000_NS6detail17trampoline_kernelINS0_14default_configENS1_27scan_by_key_config_selectorIisEEZZNS1_16scan_by_key_implILNS1_25lookback_scan_determinismE0ELb0ES3_N6thrust23THRUST_200600_302600_NS6detail15normal_iteratorINS9_10device_ptrIiEEEENSB_INSC_IsEEEESG_sNS9_4plusIvEENS9_8equal_toIvEEsEE10hipError_tPvRmT2_T3_T4_T5_mT6_T7_P12ihipStream_tbENKUlT_T0_E_clISt17integral_constantIbLb0EES11_EEDaSW_SX_EUlSW_E_NS1_11comp_targetILNS1_3genE4ELNS1_11target_archE910ELNS1_3gpuE8ELNS1_3repE0EEENS1_30default_config_static_selectorELNS0_4arch9wavefront6targetE1EEEvT1_
	.p2align	8
	.type	_ZN7rocprim17ROCPRIM_400000_NS6detail17trampoline_kernelINS0_14default_configENS1_27scan_by_key_config_selectorIisEEZZNS1_16scan_by_key_implILNS1_25lookback_scan_determinismE0ELb0ES3_N6thrust23THRUST_200600_302600_NS6detail15normal_iteratorINS9_10device_ptrIiEEEENSB_INSC_IsEEEESG_sNS9_4plusIvEENS9_8equal_toIvEEsEE10hipError_tPvRmT2_T3_T4_T5_mT6_T7_P12ihipStream_tbENKUlT_T0_E_clISt17integral_constantIbLb0EES11_EEDaSW_SX_EUlSW_E_NS1_11comp_targetILNS1_3genE4ELNS1_11target_archE910ELNS1_3gpuE8ELNS1_3repE0EEENS1_30default_config_static_selectorELNS0_4arch9wavefront6targetE1EEEvT1_,@function
_ZN7rocprim17ROCPRIM_400000_NS6detail17trampoline_kernelINS0_14default_configENS1_27scan_by_key_config_selectorIisEEZZNS1_16scan_by_key_implILNS1_25lookback_scan_determinismE0ELb0ES3_N6thrust23THRUST_200600_302600_NS6detail15normal_iteratorINS9_10device_ptrIiEEEENSB_INSC_IsEEEESG_sNS9_4plusIvEENS9_8equal_toIvEEsEE10hipError_tPvRmT2_T3_T4_T5_mT6_T7_P12ihipStream_tbENKUlT_T0_E_clISt17integral_constantIbLb0EES11_EEDaSW_SX_EUlSW_E_NS1_11comp_targetILNS1_3genE4ELNS1_11target_archE910ELNS1_3gpuE8ELNS1_3repE0EEENS1_30default_config_static_selectorELNS0_4arch9wavefront6targetE1EEEvT1_: ; @_ZN7rocprim17ROCPRIM_400000_NS6detail17trampoline_kernelINS0_14default_configENS1_27scan_by_key_config_selectorIisEEZZNS1_16scan_by_key_implILNS1_25lookback_scan_determinismE0ELb0ES3_N6thrust23THRUST_200600_302600_NS6detail15normal_iteratorINS9_10device_ptrIiEEEENSB_INSC_IsEEEESG_sNS9_4plusIvEENS9_8equal_toIvEEsEE10hipError_tPvRmT2_T3_T4_T5_mT6_T7_P12ihipStream_tbENKUlT_T0_E_clISt17integral_constantIbLb0EES11_EEDaSW_SX_EUlSW_E_NS1_11comp_targetILNS1_3genE4ELNS1_11target_archE910ELNS1_3gpuE8ELNS1_3repE0EEENS1_30default_config_static_selectorELNS0_4arch9wavefront6targetE1EEEvT1_
; %bb.0:
	s_load_dwordx8 s[52:59], s[4:5], 0x0
	s_load_dwordx4 s[68:71], s[4:5], 0x28
	s_load_dwordx2 s[74:75], s[4:5], 0x38
	s_load_dword s2, s[4:5], 0x40
	s_load_dwordx8 s[60:67], s[4:5], 0x48
	s_waitcnt lgkmcnt(0)
	s_lshl_b64 s[0:1], s[54:55], 2
	s_add_u32 s4, s52, s0
	s_addc_u32 s5, s53, s1
	s_lshl_b64 s[72:73], s[54:55], 1
	s_add_u32 s7, s56, s72
	s_mul_i32 s0, s75, s2
	s_mul_hi_u32 s1, s74, s2
	s_addc_u32 s8, s57, s73
	s_add_i32 s9, s1, s0
	s_cmp_lg_u64 s[64:65], 0
	s_mul_i32 s0, s6, 0x600
	s_mov_b32 s1, 0
	s_mul_i32 s10, s74, s2
	s_cselect_b64 s[64:65], -1, 0
	s_lshl_b64 s[2:3], s[0:1], 2
	s_add_u32 s54, s4, s2
	s_addc_u32 s55, s5, s3
	s_lshl_b64 s[56:57], s[0:1], 1
	s_add_u32 s7, s7, s56
	s_addc_u32 s71, s8, s57
	s_add_u32 s76, s10, s6
	s_addc_u32 s77, s9, 0
	s_add_u32 s2, s60, -1
	s_addc_u32 s3, s61, -1
	v_pk_mov_b32 v[2:3], s[2:3], s[2:3] op_sel:[0,1]
	v_cmp_ge_u64_e64 s[0:1], s[76:77], v[2:3]
	s_mov_b64 s[12:13], 0
	s_mov_b64 s[4:5], -1
	s_and_b64 vcc, exec, s[0:1]
	s_mul_i32 s33, s2, 0xfffffa00
	s_waitcnt lgkmcnt(0)
	; wave barrier
	s_cbranch_vccz .LBB1355_127
; %bb.1:
	v_pk_mov_b32 v[2:3], s[54:55], s[54:55] op_sel:[0,1]
	flat_load_dword v1, v[2:3]
	s_add_i32 s82, s33, s70
	v_cmp_gt_u32_e64 s[2:3], s82, v0
	s_waitcnt vmcnt(0) lgkmcnt(0)
	v_mov_b32_e32 v2, v1
	s_and_saveexec_b64 s[4:5], s[2:3]
	s_cbranch_execz .LBB1355_3
; %bb.2:
	v_lshlrev_b32_e32 v2, 2, v0
	v_mov_b32_e32 v3, s55
	v_add_co_u32_e32 v2, vcc, s54, v2
	v_addc_co_u32_e32 v3, vcc, 0, v3, vcc
	flat_load_dword v2, v[2:3]
.LBB1355_3:
	s_or_b64 exec, exec, s[4:5]
	v_or_b32_e32 v3, 64, v0
	v_cmp_gt_u32_e64 s[4:5], s82, v3
	v_mov_b32_e32 v3, v1
	s_and_saveexec_b64 s[8:9], s[4:5]
	s_cbranch_execz .LBB1355_5
; %bb.4:
	v_lshlrev_b32_e32 v3, 2, v0
	v_mov_b32_e32 v5, s55
	v_add_co_u32_e32 v4, vcc, s54, v3
	v_addc_co_u32_e32 v5, vcc, 0, v5, vcc
	flat_load_dword v3, v[4:5] offset:256
.LBB1355_5:
	s_or_b64 exec, exec, s[8:9]
	v_or_b32_e32 v4, 0x80, v0
	v_cmp_gt_u32_e64 s[52:53], s82, v4
	v_mov_b32_e32 v4, v1
	s_and_saveexec_b64 s[8:9], s[52:53]
	s_cbranch_execz .LBB1355_7
; %bb.6:
	v_lshlrev_b32_e32 v4, 2, v0
	v_mov_b32_e32 v5, s55
	v_add_co_u32_e32 v4, vcc, s54, v4
	v_addc_co_u32_e32 v5, vcc, 0, v5, vcc
	flat_load_dword v4, v[4:5] offset:512
.LBB1355_7:
	;; [unrolled: 13-line block ×15, first 2 shown]
	s_or_b64 exec, exec, s[36:37]
	v_or_b32_e32 v19, 0x400, v0
	v_cmp_gt_u32_e64 s[36:37], s82, v19
	v_mov_b32_e32 v18, v1
	s_and_saveexec_b64 s[38:39], s[36:37]
	s_cbranch_execz .LBB1355_35
; %bb.34:
	v_lshlrev_b32_e32 v18, 2, v19
	v_mov_b32_e32 v19, s55
	v_add_co_u32_e32 v18, vcc, s54, v18
	v_addc_co_u32_e32 v19, vcc, 0, v19, vcc
	flat_load_dword v18, v[18:19]
.LBB1355_35:
	s_or_b64 exec, exec, s[38:39]
	v_or_b32_e32 v20, 0x440, v0
	v_cmp_gt_u32_e64 s[38:39], s82, v20
	v_mov_b32_e32 v19, v1
	s_and_saveexec_b64 s[40:41], s[38:39]
	s_cbranch_execz .LBB1355_37
; %bb.36:
	v_lshlrev_b32_e32 v19, 2, v20
	v_mov_b32_e32 v21, s55
	v_add_co_u32_e32 v20, vcc, s54, v19
	v_addc_co_u32_e32 v21, vcc, 0, v21, vcc
	flat_load_dword v19, v[20:21]
.LBB1355_37:
	;; [unrolled: 13-line block ×7, first 2 shown]
	s_or_b64 exec, exec, s[50:51]
	v_or_b32_e32 v25, 0x5c0, v0
	v_cmp_gt_u32_e64 s[50:51], s82, v25
	s_and_saveexec_b64 s[60:61], s[50:51]
	s_cbranch_execz .LBB1355_49
; %bb.48:
	v_lshlrev_b32_e32 v1, 2, v25
	v_mov_b32_e32 v25, s55
	v_add_co_u32_e32 v26, vcc, s54, v1
	v_addc_co_u32_e32 v27, vcc, 0, v25, vcc
	flat_load_dword v1, v[26:27]
.LBB1355_49:
	s_or_b64 exec, exec, s[60:61]
	v_lshlrev_b32_e32 v25, 2, v0
	s_movk_i32 s60, 0x5c
	s_waitcnt vmcnt(0) lgkmcnt(0)
	ds_write2st64_b32 v25, v2, v3 offset1:1
	ds_write2st64_b32 v25, v4, v5 offset0:2 offset1:3
	ds_write2st64_b32 v25, v6, v7 offset0:4 offset1:5
	;; [unrolled: 1-line block ×11, first 2 shown]
	v_mad_u32_u24 v1, v0, s60, v25
	s_waitcnt lgkmcnt(0)
	; wave barrier
	s_waitcnt lgkmcnt(0)
	ds_read_b128 v[42:45], v1
	ds_read_b128 v[38:41], v1 offset:16
	ds_read_b128 v[34:37], v1 offset:32
	;; [unrolled: 1-line block ×5, first 2 shown]
	s_cmp_eq_u64 s[76:77], 0
	s_mov_b64 s[60:61], s[54:55]
	s_cbranch_scc1 .LBB1355_53
; %bb.50:
	s_andn2_b64 vcc, exec, s[64:65]
	s_cbranch_vccnz .LBB1355_297
; %bb.51:
	s_lshl_b64 s[60:61], s[76:77], 2
	s_add_u32 s60, s66, s60
	s_addc_u32 s61, s67, s61
	s_add_u32 s60, s60, -4
	s_addc_u32 s61, s61, -1
	s_cbranch_execnz .LBB1355_53
.LBB1355_52:
	s_add_u32 s60, s54, -4
	s_addc_u32 s61, s55, -1
.LBB1355_53:
	v_pk_mov_b32 v[2:3], s[60:61], s[60:61] op_sel:[0,1]
	flat_load_dword v46, v[2:3]
	s_movk_i32 s60, 0xffa4
	v_mad_i32_i24 v1, v0, s60, v1
	v_cmp_ne_u32_e32 vcc, 0, v0
	s_waitcnt lgkmcnt(0)
	ds_write_b32 v1, v25 offset:6144
	s_waitcnt lgkmcnt(0)
	; wave barrier
	s_waitcnt lgkmcnt(0)
	s_and_saveexec_b64 s[60:61], vcc
	s_cbranch_execz .LBB1355_55
; %bb.54:
	s_waitcnt vmcnt(0)
	ds_read_b32 v46, v1 offset:6140
.LBB1355_55:
	s_or_b64 exec, exec, s[60:61]
	s_waitcnt lgkmcnt(0)
	; wave barrier
	s_waitcnt lgkmcnt(0)
                                        ; implicit-def: $vgpr2
	s_and_saveexec_b64 s[60:61], s[2:3]
	s_cbranch_execnz .LBB1355_274
; %bb.56:
	s_or_b64 exec, exec, s[60:61]
                                        ; implicit-def: $vgpr3
	s_and_saveexec_b64 s[2:3], s[4:5]
	s_cbranch_execnz .LBB1355_275
.LBB1355_57:
	s_or_b64 exec, exec, s[2:3]
                                        ; implicit-def: $vgpr4
	s_and_saveexec_b64 s[2:3], s[52:53]
	s_cbranch_execnz .LBB1355_276
.LBB1355_58:
	s_or_b64 exec, exec, s[2:3]
                                        ; implicit-def: $vgpr5
	s_and_saveexec_b64 s[2:3], s[8:9]
	s_cbranch_execnz .LBB1355_277
.LBB1355_59:
	s_or_b64 exec, exec, s[2:3]
                                        ; implicit-def: $vgpr6
	s_and_saveexec_b64 s[2:3], s[10:11]
	s_cbranch_execnz .LBB1355_278
.LBB1355_60:
	s_or_b64 exec, exec, s[2:3]
                                        ; implicit-def: $vgpr7
	s_and_saveexec_b64 s[2:3], s[12:13]
	s_cbranch_execnz .LBB1355_279
.LBB1355_61:
	s_or_b64 exec, exec, s[2:3]
                                        ; implicit-def: $vgpr8
	s_and_saveexec_b64 s[2:3], s[14:15]
	s_cbranch_execnz .LBB1355_280
.LBB1355_62:
	s_or_b64 exec, exec, s[2:3]
                                        ; implicit-def: $vgpr9
	s_and_saveexec_b64 s[2:3], s[16:17]
	s_cbranch_execnz .LBB1355_281
.LBB1355_63:
	s_or_b64 exec, exec, s[2:3]
                                        ; implicit-def: $vgpr10
	s_and_saveexec_b64 s[2:3], s[18:19]
	s_cbranch_execnz .LBB1355_282
.LBB1355_64:
	s_or_b64 exec, exec, s[2:3]
                                        ; implicit-def: $vgpr11
	s_and_saveexec_b64 s[2:3], s[20:21]
	s_cbranch_execnz .LBB1355_283
.LBB1355_65:
	s_or_b64 exec, exec, s[2:3]
                                        ; implicit-def: $vgpr12
	s_and_saveexec_b64 s[2:3], s[22:23]
	s_cbranch_execnz .LBB1355_284
.LBB1355_66:
	s_or_b64 exec, exec, s[2:3]
                                        ; implicit-def: $vgpr13
	s_and_saveexec_b64 s[2:3], s[24:25]
	s_cbranch_execnz .LBB1355_285
.LBB1355_67:
	s_or_b64 exec, exec, s[2:3]
                                        ; implicit-def: $vgpr14
	s_and_saveexec_b64 s[2:3], s[26:27]
	s_cbranch_execnz .LBB1355_286
.LBB1355_68:
	s_or_b64 exec, exec, s[2:3]
                                        ; implicit-def: $vgpr15
	s_and_saveexec_b64 s[2:3], s[28:29]
	s_cbranch_execnz .LBB1355_287
.LBB1355_69:
	s_or_b64 exec, exec, s[2:3]
                                        ; implicit-def: $vgpr16
	s_and_saveexec_b64 s[2:3], s[30:31]
	s_cbranch_execnz .LBB1355_288
.LBB1355_70:
	s_or_b64 exec, exec, s[2:3]
                                        ; implicit-def: $vgpr17
	s_and_saveexec_b64 s[2:3], s[34:35]
	s_cbranch_execnz .LBB1355_289
.LBB1355_71:
	s_or_b64 exec, exec, s[2:3]
                                        ; implicit-def: $vgpr18
	s_and_saveexec_b64 s[2:3], s[36:37]
	s_cbranch_execnz .LBB1355_290
.LBB1355_72:
	s_or_b64 exec, exec, s[2:3]
                                        ; implicit-def: $vgpr19
	s_and_saveexec_b64 s[2:3], s[38:39]
	s_cbranch_execnz .LBB1355_291
.LBB1355_73:
	s_or_b64 exec, exec, s[2:3]
                                        ; implicit-def: $vgpr20
	s_and_saveexec_b64 s[2:3], s[40:41]
	s_cbranch_execnz .LBB1355_292
.LBB1355_74:
	s_or_b64 exec, exec, s[2:3]
                                        ; implicit-def: $vgpr21
	s_and_saveexec_b64 s[2:3], s[42:43]
	s_cbranch_execnz .LBB1355_293
.LBB1355_75:
	s_or_b64 exec, exec, s[2:3]
                                        ; implicit-def: $vgpr48
	s_and_saveexec_b64 s[2:3], s[44:45]
	s_cbranch_execnz .LBB1355_294
.LBB1355_76:
	s_or_b64 exec, exec, s[2:3]
                                        ; implicit-def: $vgpr49
	s_and_saveexec_b64 s[2:3], s[46:47]
	s_cbranch_execnz .LBB1355_295
.LBB1355_77:
	s_or_b64 exec, exec, s[2:3]
                                        ; implicit-def: $vgpr50
	s_and_saveexec_b64 s[2:3], s[48:49]
	s_cbranch_execnz .LBB1355_296
.LBB1355_78:
	s_or_b64 exec, exec, s[2:3]
                                        ; implicit-def: $vgpr51
	s_and_saveexec_b64 s[2:3], s[50:51]
	s_cbranch_execz .LBB1355_80
.LBB1355_79:
	v_lshlrev_b32_e32 v47, 1, v0
	v_mov_b32_e32 v51, s71
	v_add_co_u32_e32 v52, vcc, s7, v47
	v_addc_co_u32_e32 v53, vcc, 0, v51, vcc
	flat_load_ushort v51, v[52:53] offset:2944
.LBB1355_80:
	s_or_b64 exec, exec, s[2:3]
	v_lshlrev_b32_e32 v47, 1, v0
	s_mov_b32 s8, 0
	v_sub_u32_e32 v47, v1, v47
	s_mov_b32 s9, s8
	s_mov_b32 s24, s8
	;; [unrolled: 1-line block ×3, first 2 shown]
	v_mul_u32_u24_e32 v53, 24, v0
	s_waitcnt vmcnt(0) lgkmcnt(0)
	ds_write_b16 v47, v2
	ds_write_b16 v47, v3 offset:128
	ds_write_b16 v47, v4 offset:256
	;; [unrolled: 1-line block ×23, first 2 shown]
	s_mov_b32 s10, s8
	s_mov_b32 s11, s8
	;; [unrolled: 1-line block ×18, first 2 shown]
	v_pk_mov_b32 v[18:19], s[24:25], s[24:25] op_sel:[0,1]
	v_pk_mov_b32 v[2:3], s[8:9], s[8:9] op_sel:[0,1]
	v_cmp_gt_u32_e32 vcc, s82, v53
	s_mov_b64 s[4:5], 0
	v_pk_mov_b32 v[50:51], s[2:3], s[2:3] op_sel:[0,1]
	v_pk_mov_b32 v[20:21], s[26:27], s[26:27] op_sel:[0,1]
	;; [unrolled: 1-line block ×9, first 2 shown]
	v_mov_b32_e32 v1, 0
	s_mov_b64 s[12:13], 0
	s_waitcnt lgkmcnt(0)
	; wave barrier
	s_waitcnt lgkmcnt(0)
                                        ; implicit-def: $sgpr2_sgpr3
                                        ; implicit-def: $vgpr52
	s_and_saveexec_b64 s[10:11], vcc
	s_cbranch_execz .LBB1355_126
; %bb.81:
	v_mad_u32_u24 v1, v0, 46, v47
	ds_read_u16 v1, v1
	v_cmp_ne_u32_e32 vcc, v46, v42
	s_mov_b32 s12, 0
	v_or_b32_e32 v2, 1, v53
	v_cndmask_b32_e64 v3, 0, 1, vcc
	s_mov_b32 s13, s12
	s_mov_b32 s28, s12
	;; [unrolled: 1-line block ×3, first 2 shown]
	v_cmp_gt_u32_e32 vcc, s82, v2
	s_waitcnt lgkmcnt(0)
	v_lshl_or_b32 v1, v3, 16, v1
	s_mov_b32 s14, s12
	s_mov_b32 s15, s12
	;; [unrolled: 1-line block ×18, first 2 shown]
	v_pk_mov_b32 v[18:19], s[28:29], s[28:29] op_sel:[0,1]
	v_pk_mov_b32 v[2:3], s[12:13], s[12:13] op_sel:[0,1]
	s_mov_b64 s[36:37], 0
	v_pk_mov_b32 v[50:51], s[2:3], s[2:3] op_sel:[0,1]
	v_pk_mov_b32 v[20:21], s[30:31], s[30:31] op_sel:[0,1]
	;; [unrolled: 1-line block ×9, first 2 shown]
                                        ; implicit-def: $sgpr38_sgpr39
                                        ; implicit-def: $vgpr52
	s_and_saveexec_b64 s[34:35], vcc
	s_cbranch_execz .LBB1355_125
; %bb.82:
	v_mul_u32_u24_e32 v2, 46, v0
	v_add_u32_e32 v54, v47, v2
	ds_read_b128 v[46:49], v54 offset:2
	v_or_b32_e32 v2, 2, v53
	v_cmp_ne_u32_e32 vcc, v42, v43
	v_cndmask_b32_e64 v3, 0, 1, vcc
	v_cmp_gt_u32_e32 vcc, s82, v2
	s_waitcnt lgkmcnt(0)
	v_and_b32_e32 v2, 0xffff, v46
	v_lshl_or_b32 v50, v3, 16, v2
	v_pk_mov_b32 v[18:19], s[28:29], s[28:29] op_sel:[0,1]
	v_pk_mov_b32 v[2:3], s[12:13], s[12:13] op_sel:[0,1]
	v_mov_b32_e32 v51, 0
	s_mov_b64 s[2:3], 0
	v_pk_mov_b32 v[20:21], s[30:31], s[30:31] op_sel:[0,1]
	v_pk_mov_b32 v[4:5], s[14:15], s[14:15] op_sel:[0,1]
	;; [unrolled: 1-line block ×8, first 2 shown]
                                        ; implicit-def: $sgpr12_sgpr13
                                        ; implicit-def: $vgpr52
	s_and_saveexec_b64 s[28:29], vcc
	s_cbranch_execz .LBB1355_124
; %bb.83:
	v_cmp_ne_u32_e32 vcc, v43, v44
	s_mov_b32 s12, 0
	v_or_b32_e32 v2, 3, v53
	v_cndmask_b32_e64 v3, 0, 1, vcc
	s_mov_b32 s13, s12
	s_mov_b32 s36, s12
	;; [unrolled: 1-line block ×3, first 2 shown]
	v_alignbit_b32 v51, v3, v46, 16
	v_cmp_gt_u32_e32 vcc, s82, v2
	s_mov_b32 s14, s12
	s_mov_b32 s15, s12
	s_mov_b32 s16, s12
	s_mov_b32 s17, s12
	s_mov_b32 s18, s12
	s_mov_b32 s19, s12
	s_mov_b32 s20, s12
	s_mov_b32 s21, s12
	s_mov_b32 s22, s12
	s_mov_b32 s23, s12
	s_mov_b32 s24, s12
	s_mov_b32 s25, s12
	s_mov_b32 s26, s12
	s_mov_b32 s27, s12
	s_mov_b32 s38, s12
	s_mov_b32 s39, s12
	v_pk_mov_b32 v[18:19], s[36:37], s[36:37] op_sel:[0,1]
	v_pk_mov_b32 v[2:3], s[12:13], s[12:13] op_sel:[0,1]
	;; [unrolled: 1-line block ×10, first 2 shown]
                                        ; implicit-def: $sgpr36_sgpr37
                                        ; implicit-def: $vgpr52
	s_and_saveexec_b64 s[30:31], vcc
	s_cbranch_execz .LBB1355_123
; %bb.84:
	v_cmp_ne_u32_e32 vcc, v44, v45
	v_and_b32_e32 v2, 0xffff, v47
	v_or_b32_e32 v3, 4, v53
	v_cndmask_b32_e64 v4, 0, 1, vcc
	v_lshl_or_b32 v18, v4, 16, v2
	v_cmp_gt_u32_e32 vcc, s82, v3
	v_mov_b32_e32 v20, 0
	v_pk_mov_b32 v[2:3], s[12:13], s[12:13] op_sel:[0,1]
	v_mov_b32_e32 v19, v20
	v_mov_b32_e32 v21, v20
	v_pk_mov_b32 v[4:5], s[14:15], s[14:15] op_sel:[0,1]
	v_pk_mov_b32 v[6:7], s[16:17], s[16:17] op_sel:[0,1]
	;; [unrolled: 1-line block ×7, first 2 shown]
                                        ; implicit-def: $sgpr12_sgpr13
                                        ; implicit-def: $vgpr52
	s_and_saveexec_b64 s[36:37], vcc
	s_cbranch_execz .LBB1355_122
; %bb.85:
	v_cmp_ne_u32_e32 vcc, v45, v38
	s_mov_b32 s12, 0
	v_or_b32_e32 v2, 5, v53
	v_cndmask_b32_e64 v3, 0, 1, vcc
	s_mov_b32 s13, s12
	v_alignbit_b32 v19, v3, v47, 16
	v_cmp_gt_u32_e32 vcc, s82, v2
	s_mov_b32 s14, s12
	s_mov_b32 s15, s12
	;; [unrolled: 1-line block ×14, first 2 shown]
	v_pk_mov_b32 v[2:3], s[12:13], s[12:13] op_sel:[0,1]
	v_mov_b32_e32 v21, v20
	v_pk_mov_b32 v[4:5], s[14:15], s[14:15] op_sel:[0,1]
	v_pk_mov_b32 v[6:7], s[16:17], s[16:17] op_sel:[0,1]
	;; [unrolled: 1-line block ×7, first 2 shown]
                                        ; implicit-def: $sgpr40_sgpr41
                                        ; implicit-def: $vgpr52
	s_and_saveexec_b64 s[38:39], vcc
	s_cbranch_execz .LBB1355_121
; %bb.86:
	v_cmp_ne_u32_e32 vcc, v38, v39
	v_and_b32_e32 v2, 0xffff, v48
	v_or_b32_e32 v3, 6, v53
	v_cndmask_b32_e64 v4, 0, 1, vcc
	v_lshl_or_b32 v20, v4, 16, v2
	v_cmp_gt_u32_e32 vcc, s82, v3
	v_pk_mov_b32 v[2:3], s[12:13], s[12:13] op_sel:[0,1]
	v_mov_b32_e32 v21, s12
	v_pk_mov_b32 v[4:5], s[14:15], s[14:15] op_sel:[0,1]
	v_pk_mov_b32 v[6:7], s[16:17], s[16:17] op_sel:[0,1]
	;; [unrolled: 1-line block ×7, first 2 shown]
                                        ; implicit-def: $sgpr12_sgpr13
                                        ; implicit-def: $vgpr52
	s_and_saveexec_b64 s[40:41], vcc
	s_cbranch_execz .LBB1355_120
; %bb.87:
	v_cmp_ne_u32_e32 vcc, v39, v40
	s_mov_b32 s12, 0
	v_or_b32_e32 v2, 7, v53
	v_cndmask_b32_e64 v3, 0, 1, vcc
	s_mov_b32 s13, s12
	v_alignbit_b32 v21, v3, v48, 16
	v_cmp_gt_u32_e32 vcc, s82, v2
	s_mov_b32 s14, s12
	s_mov_b32 s15, s12
	;; [unrolled: 1-line block ×14, first 2 shown]
	v_pk_mov_b32 v[2:3], s[12:13], s[12:13] op_sel:[0,1]
	v_pk_mov_b32 v[4:5], s[14:15], s[14:15] op_sel:[0,1]
	;; [unrolled: 1-line block ×8, first 2 shown]
                                        ; implicit-def: $sgpr14_sgpr15
                                        ; implicit-def: $vgpr52
	s_and_saveexec_b64 s[12:13], vcc
	s_cbranch_execz .LBB1355_119
; %bb.88:
	v_cmp_ne_u32_e32 vcc, v40, v41
	v_and_b32_e32 v2, 0xffff, v49
	v_cndmask_b32_e64 v4, 0, 1, vcc
	v_add_u32_e32 v3, 8, v53
	v_lshl_or_b32 v2, v4, 16, v2
	v_mov_b32_e32 v4, 0
	v_cmp_gt_u32_e32 vcc, s82, v3
	v_mov_b32_e32 v3, v4
	v_mov_b32_e32 v5, v4
	;; [unrolled: 1-line block ×14, first 2 shown]
                                        ; implicit-def: $sgpr16_sgpr17
                                        ; implicit-def: $vgpr52
	s_and_saveexec_b64 s[14:15], vcc
	s_cbranch_execz .LBB1355_118
; %bb.89:
	v_cmp_ne_u32_e32 vcc, v41, v34
	v_add_u32_e32 v5, 9, v53
	v_cndmask_b32_e64 v3, 0, 1, vcc
	v_alignbit_b32 v3, v3, v49, 16
	v_cmp_gt_u32_e32 vcc, s82, v5
	v_mov_b32_e32 v5, v4
	v_mov_b32_e32 v6, v4
	;; [unrolled: 1-line block ×13, first 2 shown]
                                        ; implicit-def: $sgpr18_sgpr19
                                        ; implicit-def: $vgpr52
	s_and_saveexec_b64 s[16:17], vcc
	s_cbranch_execz .LBB1355_117
; %bb.90:
	ds_read_b128 v[38:41], v54 offset:18
	v_add_u32_e32 v4, 10, v53
	v_cmp_ne_u32_e32 vcc, v34, v35
	v_cndmask_b32_e64 v5, 0, 1, vcc
	v_cmp_gt_u32_e32 vcc, s82, v4
	s_waitcnt lgkmcnt(0)
	v_and_b32_e32 v4, 0xffff, v38
	v_mov_b32_e32 v6, 0
	v_lshl_or_b32 v4, v5, 16, v4
	v_mov_b32_e32 v5, v6
	v_mov_b32_e32 v7, v6
	;; [unrolled: 1-line block ×12, first 2 shown]
                                        ; implicit-def: $sgpr20_sgpr21
                                        ; implicit-def: $vgpr52
	s_and_saveexec_b64 s[18:19], vcc
	s_cbranch_execz .LBB1355_116
; %bb.91:
	v_cmp_ne_u32_e32 vcc, v35, v36
	v_add_u32_e32 v7, 11, v53
	v_cndmask_b32_e64 v5, 0, 1, vcc
	v_alignbit_b32 v5, v5, v38, 16
	v_cmp_gt_u32_e32 vcc, s82, v7
	v_mov_b32_e32 v7, v6
	v_mov_b32_e32 v8, v6
	;; [unrolled: 1-line block ×11, first 2 shown]
                                        ; implicit-def: $sgpr22_sgpr23
                                        ; implicit-def: $vgpr52
	s_and_saveexec_b64 s[20:21], vcc
	s_cbranch_execz .LBB1355_115
; %bb.92:
	v_cmp_ne_u32_e32 vcc, v36, v37
	v_and_b32_e32 v6, 0xffff, v39
	v_cndmask_b32_e64 v8, 0, 1, vcc
	v_add_u32_e32 v7, 12, v53
	v_lshl_or_b32 v6, v8, 16, v6
	v_mov_b32_e32 v8, 0
	v_cmp_gt_u32_e32 vcc, s82, v7
	v_mov_b32_e32 v7, v8
	v_mov_b32_e32 v9, v8
	;; [unrolled: 1-line block ×10, first 2 shown]
                                        ; implicit-def: $sgpr24_sgpr25
                                        ; implicit-def: $vgpr52
	s_and_saveexec_b64 s[22:23], vcc
	s_cbranch_execz .LBB1355_114
; %bb.93:
	v_cmp_ne_u32_e32 vcc, v37, v30
	v_add_u32_e32 v9, 13, v53
	v_cndmask_b32_e64 v7, 0, 1, vcc
	v_alignbit_b32 v7, v7, v39, 16
	v_cmp_gt_u32_e32 vcc, s82, v9
	v_mov_b32_e32 v9, v8
	v_mov_b32_e32 v10, v8
	v_mov_b32_e32 v11, v8
	v_mov_b32_e32 v12, v8
	v_mov_b32_e32 v13, v8
	v_mov_b32_e32 v14, v8
	v_mov_b32_e32 v15, v8
	v_mov_b32_e32 v16, v8
	v_mov_b32_e32 v17, v8
                                        ; implicit-def: $sgpr26_sgpr27
                                        ; implicit-def: $vgpr52
	s_and_saveexec_b64 s[24:25], vcc
	s_cbranch_execz .LBB1355_113
; %bb.94:
	v_cmp_ne_u32_e32 vcc, v30, v31
	v_and_b32_e32 v8, 0xffff, v40
	v_cndmask_b32_e64 v10, 0, 1, vcc
	v_add_u32_e32 v9, 14, v53
	v_lshl_or_b32 v8, v10, 16, v8
	v_mov_b32_e32 v10, 0
	v_cmp_gt_u32_e32 vcc, s82, v9
	v_mov_b32_e32 v9, v10
	v_mov_b32_e32 v11, v10
	;; [unrolled: 1-line block ×8, first 2 shown]
                                        ; implicit-def: $sgpr42_sgpr43
                                        ; implicit-def: $vgpr52
	s_and_saveexec_b64 s[26:27], vcc
	s_cbranch_execz .LBB1355_112
; %bb.95:
	v_cmp_ne_u32_e32 vcc, v31, v32
	v_add_u32_e32 v11, 15, v53
	v_cndmask_b32_e64 v9, 0, 1, vcc
	v_alignbit_b32 v9, v9, v40, 16
	v_cmp_gt_u32_e32 vcc, s82, v11
	v_mov_b32_e32 v11, v10
	v_mov_b32_e32 v12, v10
	;; [unrolled: 1-line block ×7, first 2 shown]
                                        ; implicit-def: $sgpr44_sgpr45
                                        ; implicit-def: $vgpr52
	s_and_saveexec_b64 s[42:43], vcc
	s_cbranch_execz .LBB1355_111
; %bb.96:
	v_cmp_ne_u32_e32 vcc, v32, v33
	v_and_b32_e32 v10, 0xffff, v41
	v_cndmask_b32_e64 v12, 0, 1, vcc
	v_add_u32_e32 v11, 16, v53
	v_lshl_or_b32 v10, v12, 16, v10
	v_mov_b32_e32 v12, 0
	v_cmp_gt_u32_e32 vcc, s82, v11
	v_mov_b32_e32 v11, v12
	v_mov_b32_e32 v13, v12
	v_mov_b32_e32 v14, v12
	v_mov_b32_e32 v15, v12
	v_mov_b32_e32 v16, v12
	v_mov_b32_e32 v17, v12
                                        ; implicit-def: $sgpr46_sgpr47
                                        ; implicit-def: $vgpr52
	s_and_saveexec_b64 s[44:45], vcc
	s_cbranch_execz .LBB1355_110
; %bb.97:
	v_cmp_ne_u32_e32 vcc, v33, v26
	v_add_u32_e32 v13, 17, v53
	v_cndmask_b32_e64 v11, 0, 1, vcc
	v_alignbit_b32 v11, v11, v41, 16
	v_cmp_gt_u32_e32 vcc, s82, v13
	v_mov_b32_e32 v13, v12
	v_mov_b32_e32 v14, v12
	v_mov_b32_e32 v15, v12
	v_mov_b32_e32 v16, v12
	v_mov_b32_e32 v17, v12
                                        ; implicit-def: $sgpr48_sgpr49
                                        ; implicit-def: $vgpr52
	s_and_saveexec_b64 s[46:47], vcc
	s_cbranch_execz .LBB1355_109
; %bb.98:
	ds_read_b96 v[30:32], v54 offset:34
	v_add_u32_e32 v12, 18, v53
	v_cmp_ne_u32_e32 vcc, v26, v27
	v_cndmask_b32_e64 v13, 0, 1, vcc
	v_cmp_gt_u32_e32 vcc, s82, v12
	s_waitcnt lgkmcnt(0)
	v_and_b32_e32 v12, 0xffff, v30
	v_mov_b32_e32 v14, 0
	v_lshl_or_b32 v12, v13, 16, v12
	v_mov_b32_e32 v13, v14
	v_mov_b32_e32 v15, v14
	;; [unrolled: 1-line block ×4, first 2 shown]
                                        ; implicit-def: $sgpr50_sgpr51
                                        ; implicit-def: $vgpr52
	s_and_saveexec_b64 s[48:49], vcc
	s_cbranch_execz .LBB1355_108
; %bb.99:
	v_cmp_ne_u32_e32 vcc, v27, v28
	v_add_u32_e32 v15, 19, v53
	v_cndmask_b32_e64 v13, 0, 1, vcc
	v_alignbit_b32 v13, v13, v30, 16
	v_cmp_gt_u32_e32 vcc, s82, v15
	v_mov_b32_e32 v15, v14
	v_mov_b32_e32 v16, v14
	v_mov_b32_e32 v17, v14
                                        ; implicit-def: $sgpr52_sgpr53
                                        ; implicit-def: $vgpr52
	s_and_saveexec_b64 s[50:51], vcc
	s_cbranch_execz .LBB1355_107
; %bb.100:
	v_cmp_ne_u32_e32 vcc, v28, v29
	v_and_b32_e32 v14, 0xffff, v31
	v_cndmask_b32_e64 v16, 0, 1, vcc
	v_add_u32_e32 v15, 20, v53
	v_lshl_or_b32 v14, v16, 16, v14
	v_mov_b32_e32 v16, 0
	v_cmp_gt_u32_e32 vcc, s82, v15
	v_mov_b32_e32 v15, v16
	v_mov_b32_e32 v17, v16
                                        ; implicit-def: $sgpr60_sgpr61
                                        ; implicit-def: $vgpr52
	s_and_saveexec_b64 s[52:53], vcc
	s_cbranch_execz .LBB1355_106
; %bb.101:
	v_cmp_ne_u32_e32 vcc, v29, v22
	v_add_u32_e32 v17, 21, v53
	v_cndmask_b32_e64 v15, 0, 1, vcc
	v_alignbit_b32 v15, v15, v31, 16
	v_cmp_gt_u32_e32 vcc, s82, v17
	s_mov_b32 s9, 0
	v_mov_b32_e32 v17, v16
                                        ; implicit-def: $sgpr78_sgpr79
                                        ; implicit-def: $vgpr52
	s_and_saveexec_b64 s[60:61], vcc
	s_cbranch_execz .LBB1355_105
; %bb.102:
	v_cmp_ne_u32_e32 vcc, v22, v23
	v_and_b32_e32 v16, 0xffff, v32
	v_add_u32_e32 v17, 22, v53
	v_cndmask_b32_e64 v22, 0, 1, vcc
	v_lshl_or_b32 v16, v22, 16, v16
	v_cmp_gt_u32_e32 vcc, s82, v17
	v_mov_b32_e32 v17, s9
                                        ; implicit-def: $sgpr78_sgpr79
                                        ; implicit-def: $vgpr52
	s_and_saveexec_b64 s[80:81], vcc
	s_xor_b64 s[80:81], exec, s[80:81]
	s_cbranch_execz .LBB1355_104
; %bb.103:
	ds_read_u16 v52, v54 offset:46
	v_add_u32_e32 v22, 23, v53
	v_cmp_ne_u32_e64 s[2:3], v23, v24
	v_cmp_ne_u32_e32 vcc, v24, v25
	v_cndmask_b32_e64 v17, 0, 1, s[2:3]
	v_cmp_gt_u32_e64 s[2:3], s82, v22
	v_alignbit_b32 v17, v17, v32, 16
	s_and_b64 s[78:79], vcc, exec
	s_and_b64 s[2:3], s[2:3], exec
.LBB1355_104:
	s_or_b64 exec, exec, s[80:81]
	s_and_b64 s[78:79], s[78:79], exec
	s_and_b64 s[2:3], s[2:3], exec
.LBB1355_105:
	s_or_b64 exec, exec, s[60:61]
	s_and_b64 s[60:61], s[78:79], exec
	s_and_b64 s[2:3], s[2:3], exec
.LBB1355_106:
	s_or_b64 exec, exec, s[52:53]
	s_and_b64 s[52:53], s[60:61], exec
	s_and_b64 s[2:3], s[2:3], exec
.LBB1355_107:
	s_or_b64 exec, exec, s[50:51]
	s_and_b64 s[50:51], s[52:53], exec
	s_and_b64 s[2:3], s[2:3], exec
.LBB1355_108:
	s_or_b64 exec, exec, s[48:49]
	s_and_b64 s[48:49], s[50:51], exec
	s_and_b64 s[2:3], s[2:3], exec
.LBB1355_109:
	s_or_b64 exec, exec, s[46:47]
	s_and_b64 s[46:47], s[48:49], exec
	s_and_b64 s[2:3], s[2:3], exec
.LBB1355_110:
	s_or_b64 exec, exec, s[44:45]
	s_and_b64 s[44:45], s[46:47], exec
	s_and_b64 s[2:3], s[2:3], exec
.LBB1355_111:
	s_or_b64 exec, exec, s[42:43]
	s_and_b64 s[42:43], s[44:45], exec
	s_and_b64 s[2:3], s[2:3], exec
.LBB1355_112:
	s_or_b64 exec, exec, s[26:27]
	s_and_b64 s[26:27], s[42:43], exec
	s_and_b64 s[2:3], s[2:3], exec
.LBB1355_113:
	s_or_b64 exec, exec, s[24:25]
	s_and_b64 s[24:25], s[26:27], exec
	s_and_b64 s[2:3], s[2:3], exec
.LBB1355_114:
	s_or_b64 exec, exec, s[22:23]
	s_and_b64 s[22:23], s[24:25], exec
	s_and_b64 s[2:3], s[2:3], exec
.LBB1355_115:
	s_or_b64 exec, exec, s[20:21]
	s_and_b64 s[20:21], s[22:23], exec
	s_and_b64 s[2:3], s[2:3], exec
.LBB1355_116:
	s_or_b64 exec, exec, s[18:19]
	s_and_b64 s[18:19], s[20:21], exec
	s_and_b64 s[2:3], s[2:3], exec
.LBB1355_117:
	s_or_b64 exec, exec, s[16:17]
	s_and_b64 s[16:17], s[18:19], exec
	s_and_b64 s[2:3], s[2:3], exec
.LBB1355_118:
	s_or_b64 exec, exec, s[14:15]
	s_and_b64 s[14:15], s[16:17], exec
	s_and_b64 s[2:3], s[2:3], exec
.LBB1355_119:
	s_or_b64 exec, exec, s[12:13]
	s_and_b64 s[12:13], s[14:15], exec
	s_and_b64 s[2:3], s[2:3], exec
.LBB1355_120:
	s_or_b64 exec, exec, s[40:41]
	s_and_b64 s[40:41], s[12:13], exec
	s_and_b64 s[2:3], s[2:3], exec
.LBB1355_121:
	s_or_b64 exec, exec, s[38:39]
	s_and_b64 s[12:13], s[40:41], exec
	s_and_b64 s[2:3], s[2:3], exec
.LBB1355_122:
	s_or_b64 exec, exec, s[36:37]
	s_and_b64 s[36:37], s[12:13], exec
	s_and_b64 s[2:3], s[2:3], exec
.LBB1355_123:
	s_or_b64 exec, exec, s[30:31]
	s_and_b64 s[12:13], s[36:37], exec
	s_and_b64 s[2:3], s[2:3], exec
.LBB1355_124:
	s_or_b64 exec, exec, s[28:29]
	s_and_b64 s[38:39], s[12:13], exec
	s_and_b64 s[36:37], s[2:3], exec
.LBB1355_125:
	s_or_b64 exec, exec, s[34:35]
	s_and_b64 s[2:3], s[38:39], exec
	s_and_b64 s[12:13], s[36:37], exec
.LBB1355_126:
	s_or_b64 exec, exec, s[10:11]
	s_and_b64 vcc, exec, s[4:5]
	s_cbranch_vccnz .LBB1355_128
	s_branch .LBB1355_136
.LBB1355_127:
                                        ; implicit-def: $sgpr2_sgpr3
                                        ; implicit-def: $vgpr50_vgpr51
                                        ; implicit-def: $vgpr18_vgpr19_vgpr20_vgpr21
                                        ; implicit-def: $vgpr2_vgpr3_vgpr4_vgpr5_vgpr6_vgpr7_vgpr8_vgpr9_vgpr10_vgpr11_vgpr12_vgpr13_vgpr14_vgpr15_vgpr16_vgpr17
                                        ; implicit-def: $vgpr52
                                        ; implicit-def: $vgpr1
                                        ; implicit-def: $sgpr8
	s_and_b64 vcc, exec, s[4:5]
	s_cbranch_vccz .LBB1355_136
.LBB1355_128:
	v_lshlrev_b32_e32 v4, 2, v0
	v_mov_b32_e32 v1, s55
	v_add_co_u32_e32 v2, vcc, s54, v4
	v_addc_co_u32_e32 v3, vcc, 0, v1, vcc
	s_movk_i32 s2, 0x1000
	flat_load_dword v5, v[2:3]
	flat_load_dword v6, v[2:3] offset:256
	flat_load_dword v7, v[2:3] offset:512
	;; [unrolled: 1-line block ×15, first 2 shown]
	v_add_co_u32_e32 v2, vcc, s2, v2
	v_addc_co_u32_e32 v3, vcc, 0, v3, vcc
	flat_load_dword v21, v[2:3]
	flat_load_dword v22, v[2:3] offset:256
	flat_load_dword v23, v[2:3] offset:512
	;; [unrolled: 1-line block ×7, first 2 shown]
	s_movk_i32 s2, 0x5c
	v_mad_u32_u24 v1, v0, s2, v4
	s_cmp_eq_u64 s[76:77], 0
	s_waitcnt vmcnt(0) lgkmcnt(0)
	ds_write2st64_b32 v4, v5, v6 offset1:1
	ds_write2st64_b32 v4, v7, v8 offset0:2 offset1:3
	ds_write2st64_b32 v4, v9, v10 offset0:4 offset1:5
	;; [unrolled: 1-line block ×11, first 2 shown]
	s_waitcnt lgkmcnt(0)
	; wave barrier
	s_waitcnt lgkmcnt(0)
	ds_read2_b64 v[2:5], v1 offset1:11
	ds_read2_b64 v[34:37], v1 offset0:9 offset1:10
	ds_read2_b64 v[30:33], v1 offset0:7 offset1:8
	ds_read2_b64 v[26:29], v1 offset0:5 offset1:6
	ds_read2_b64 v[6:9], v1 offset0:1 offset1:2
	ds_read2_b64 v[22:25], v1 offset0:3 offset1:4
	s_cbranch_scc1 .LBB1355_133
; %bb.129:
	s_andn2_b64 vcc, exec, s[64:65]
	s_cbranch_vccnz .LBB1355_298
; %bb.130:
	s_lshl_b64 s[2:3], s[76:77], 2
	s_add_u32 s2, s66, s2
	s_addc_u32 s3, s67, s3
	s_add_u32 s2, s2, -4
	s_addc_u32 s3, s3, -1
	s_cbranch_execnz .LBB1355_132
.LBB1355_131:
	s_add_u32 s2, s54, -4
	s_addc_u32 s3, s55, -1
.LBB1355_132:
	s_mov_b64 s[54:55], s[2:3]
.LBB1355_133:
	v_pk_mov_b32 v[10:11], s[54:55], s[54:55] op_sel:[0,1]
	flat_load_dword v10, v[10:11]
	s_movk_i32 s2, 0xffa4
	v_mad_i32_i24 v1, v0, s2, v1
	v_cmp_ne_u32_e32 vcc, 0, v0
	s_waitcnt lgkmcnt(0)
	ds_write_b32 v1, v5 offset:6144
	s_waitcnt lgkmcnt(0)
	; wave barrier
	s_waitcnt lgkmcnt(0)
	s_and_saveexec_b64 s[2:3], vcc
	s_cbranch_execz .LBB1355_135
; %bb.134:
	s_waitcnt vmcnt(0)
	ds_read_b32 v10, v1 offset:6140
.LBB1355_135:
	s_or_b64 exec, exec, s[2:3]
	v_lshlrev_b32_e32 v11, 1, v0
	v_mov_b32_e32 v13, s71
	v_add_co_u32_e32 v12, vcc, s7, v11
	v_addc_co_u32_e32 v13, vcc, 0, v13, vcc
	s_waitcnt lgkmcnt(0)
	; wave barrier
	s_waitcnt lgkmcnt(0)
	flat_load_ushort v14, v[12:13]
	flat_load_ushort v15, v[12:13] offset:128
	flat_load_ushort v16, v[12:13] offset:256
	flat_load_ushort v17, v[12:13] offset:384
	flat_load_ushort v18, v[12:13] offset:512
	flat_load_ushort v19, v[12:13] offset:640
	flat_load_ushort v20, v[12:13] offset:768
	flat_load_ushort v21, v[12:13] offset:896
	flat_load_ushort v38, v[12:13] offset:1024
	flat_load_ushort v39, v[12:13] offset:1152
	flat_load_ushort v40, v[12:13] offset:1280
	flat_load_ushort v41, v[12:13] offset:1408
	flat_load_ushort v42, v[12:13] offset:1536
	flat_load_ushort v43, v[12:13] offset:1664
	flat_load_ushort v44, v[12:13] offset:1792
	flat_load_ushort v45, v[12:13] offset:1920
	flat_load_ushort v46, v[12:13] offset:2048
	flat_load_ushort v47, v[12:13] offset:2176
	flat_load_ushort v48, v[12:13] offset:2304
	flat_load_ushort v49, v[12:13] offset:2432
	flat_load_ushort v50, v[12:13] offset:2560
	flat_load_ushort v51, v[12:13] offset:2688
	flat_load_ushort v52, v[12:13] offset:2816
	flat_load_ushort v53, v[12:13] offset:2944
	s_waitcnt vmcnt(0)
	v_cmp_ne_u32_e32 vcc, v10, v2
	v_cmp_ne_u32_e64 s[2:3], v4, v5
	v_cndmask_b32_e64 v5, 0, 1, vcc
	v_cmp_ne_u32_e32 vcc, v3, v6
	v_cndmask_b32_e64 v13, 0, 1, vcc
	v_cmp_ne_u32_e32 vcc, v2, v3
	;; [unrolled: 2-line block ×4, first 2 shown]
	v_sub_u32_e32 v1, v1, v11
	v_cndmask_b32_e64 v54, 0, 1, vcc
	v_cmp_ne_u32_e32 vcc, v8, v9
	v_mad_u32_u24 v57, v0, 46, v1
	v_cndmask_b32_e64 v55, 0, 1, vcc
	v_cmp_ne_u32_e32 vcc, v6, v7
	v_cndmask_b32_e64 v56, 0, 1, vcc
	v_cmp_ne_u32_e32 vcc, v37, v4
	s_mov_b64 s[12:13], -1
                                        ; implicit-def: $sgpr8
	s_waitcnt lgkmcnt(0)
	ds_write_b16 v1, v14
	ds_write_b16 v1, v15 offset:128
	ds_write_b16 v1, v16 offset:256
	;; [unrolled: 1-line block ×23, first 2 shown]
	s_waitcnt lgkmcnt(0)
	; wave barrier
	s_waitcnt lgkmcnt(0)
	ds_read_u16 v1, v57
	ds_read_b96 v[10:12], v57 offset:2
	ds_read_b128 v[38:41], v57 offset:14
	ds_read_b128 v[6:9], v57 offset:30
	ds_read_u16 v52, v57 offset:46
	s_waitcnt lgkmcnt(4)
	v_lshl_or_b32 v1, v5, 16, v1
	s_waitcnt lgkmcnt(3)
	v_alignbit_b32 v21, v3, v12, 16
	v_cndmask_b32_e64 v3, 0, 1, vcc
	v_cmp_ne_u32_e32 vcc, v35, v36
	s_waitcnt lgkmcnt(1)
	v_alignbit_b32 v17, v3, v9, 16
	v_cndmask_b32_e64 v3, 0, 1, vcc
	v_cmp_ne_u32_e32 vcc, v33, v34
	v_alignbit_b32 v51, v13, v10, 16
	v_and_b32_e32 v13, 0xffff, v12
	v_alignbit_b32 v15, v3, v8, 16
	v_cndmask_b32_e64 v3, 0, 1, vcc
	v_cmp_ne_u32_e32 vcc, v31, v32
	v_lshl_or_b32 v20, v55, 16, v13
	v_alignbit_b32 v13, v3, v7, 16
	v_cndmask_b32_e64 v3, 0, 1, vcc
	v_cmp_ne_u32_e32 vcc, v29, v30
	v_and_b32_e32 v5, 0xffff, v10
	v_and_b32_e32 v10, 0xffff, v11
	v_alignbit_b32 v19, v54, v11, 16
	v_alignbit_b32 v11, v3, v6, 16
	v_cndmask_b32_e64 v3, 0, 1, vcc
	v_cmp_ne_u32_e32 vcc, v27, v28
	v_and_b32_e32 v16, 0xffff, v9
	v_alignbit_b32 v9, v3, v41, 16
	v_cndmask_b32_e64 v3, 0, 1, vcc
	v_cmp_ne_u32_e32 vcc, v25, v26
	v_and_b32_e32 v12, 0xffff, v7
	v_alignbit_b32 v7, v3, v40, 16
	v_cndmask_b32_e64 v3, 0, 1, vcc
	v_cmp_ne_u32_e32 vcc, v23, v24
	v_lshl_or_b32 v50, v2, 16, v5
	v_alignbit_b32 v5, v3, v39, 16
	v_cndmask_b32_e64 v3, 0, 1, vcc
	v_cmp_ne_u32_e32 vcc, v36, v37
	v_cndmask_b32_e64 v4, 0, 1, vcc
	v_cmp_ne_u32_e32 vcc, v34, v35
	v_and_b32_e32 v14, 0xffff, v8
	v_lshl_or_b32 v16, v4, 16, v16
	v_cndmask_b32_e64 v4, 0, 1, vcc
	v_cmp_ne_u32_e32 vcc, v32, v33
	v_lshl_or_b32 v14, v4, 16, v14
	v_cndmask_b32_e64 v4, 0, 1, vcc
	v_cmp_ne_u32_e32 vcc, v30, v31
	v_lshl_or_b32 v18, v56, 16, v10
	v_and_b32_e32 v10, 0xffff, v6
	v_lshl_or_b32 v12, v4, 16, v12
	v_cndmask_b32_e64 v4, 0, 1, vcc
	v_cmp_ne_u32_e32 vcc, v28, v29
	v_and_b32_e32 v44, 0xffff, v41
	v_lshl_or_b32 v10, v4, 16, v10
	v_cndmask_b32_e64 v4, 0, 1, vcc
	v_cmp_ne_u32_e32 vcc, v26, v27
	;; [unrolled: 4-line block ×3, first 2 shown]
	v_lshl_or_b32 v6, v4, 16, v43
	v_cndmask_b32_e64 v4, 0, 1, vcc
	v_cmp_ne_u32_e32 vcc, v22, v23
	v_and_b32_e32 v2, 0xffff, v38
	v_and_b32_e32 v42, 0xffff, v39
	v_cndmask_b32_e64 v22, 0, 1, vcc
	v_alignbit_b32 v3, v3, v38, 16
	v_lshl_or_b32 v4, v4, 16, v42
	v_lshl_or_b32 v2, v22, 16, v2
.LBB1355_136:
	v_mov_b32_e32 v32, s8
	s_and_saveexec_b64 s[4:5], s[12:13]
	s_cbranch_execz .LBB1355_138
; %bb.137:
	v_mov_b32_e32 v22, 0x10000
	v_cndmask_b32_e64 v22, 0, v22, s[2:3]
	s_waitcnt lgkmcnt(0)
	v_or_b32_sdwa v32, v22, v52 dst_sel:DWORD dst_unused:UNUSED_PAD src0_sel:DWORD src1_sel:WORD_0
.LBB1355_138:
	s_or_b64 exec, exec, s[4:5]
	s_cmp_lg_u32 s6, 0
	v_mbcnt_lo_u32_b32 v33, -1, 0
	s_waitcnt lgkmcnt(0)
	; wave barrier
	s_waitcnt lgkmcnt(0)
	s_cbranch_scc0 .LBB1355_197
; %bb.139:
	s_mov_b32 s7, 0x10000
	v_cmp_gt_u32_e64 s[2:3], s7, v50
	v_cndmask_b32_e64 v22, 0, v1, s[2:3]
	v_add_u16_e32 v22, v22, v50
	v_cmp_gt_u32_e64 s[4:5], s7, v51
	v_cndmask_b32_e64 v22, 0, v22, s[4:5]
	v_add_u16_e32 v22, v22, v51
	;; [unrolled: 3-line block ×16, first 2 shown]
	v_cmp_gt_u32_e64 s[36:37], s7, v12
	v_cndmask_b32_e64 v22, 0, v22, s[36:37]
	v_or3_b32 v23, v32, v17, v16
	v_add_u16_e32 v22, v22, v12
	v_cmp_gt_u32_e64 s[38:39], s7, v13
	v_or3_b32 v23, v23, v15, v14
	v_cndmask_b32_e64 v22, 0, v22, s[38:39]
	v_or3_b32 v23, v23, v13, v12
	v_add_u16_e32 v22, v22, v13
	v_cmp_gt_u32_e64 s[40:41], s7, v14
	v_or3_b32 v23, v23, v11, v10
	;; [unrolled: 5-line block ×5, first 2 shown]
	v_cndmask_b32_e64 v22, 0, v22, s[46:47]
	v_or3_b32 v23, v23, v51, v50
	v_add_u16_e32 v22, v22, v17
	v_cmp_gt_u32_e64 s[48:49], s7, v32
	v_and_b32_e32 v23, 0x10000, v23
	v_lshrrev_b32_e32 v34, 16, v1
	v_cndmask_b32_e64 v24, 0, v22, s[48:49]
	v_cmp_eq_u32_e32 vcc, 0, v23
	v_add_u16_e32 v22, v24, v32
	v_cndmask_b32_e32 v23, 1, v34, vcc
	v_mbcnt_hi_u32_b32 v25, -1, v33
	v_add_u16_e32 v24, v24, v32
	v_and_b32_e32 v27, 15, v25
	v_lshl_or_b32 v26, v23, 16, v24
	v_cmp_ne_u32_e32 vcc, 0, v27
	s_nop 0
	v_mov_b32_dpp v24, v26 row_shr:1 row_mask:0xf bank_mask:0xf
	s_and_saveexec_b64 s[50:51], vcc
	s_cbranch_execz .LBB1355_141
; %bb.140:
	v_cmp_eq_u32_e32 vcc, 0, v23
	v_and_b32_e32 v23, 1, v23
	v_mov_b32_e32 v29, 1
	v_cndmask_b32_e32 v26, 0, v24, vcc
	v_and_b32_sdwa v24, v24, v29 dst_sel:DWORD dst_unused:UNUSED_PAD src0_sel:WORD_1 src1_sel:DWORD
	v_cmp_eq_u32_e32 vcc, 1, v23
	v_cndmask_b32_e64 v23, v24, 1, vcc
	v_add_u16_e32 v28, v26, v22
	v_lshlrev_b32_e32 v24, 16, v23
	v_add_u16_e32 v22, v26, v22
	v_or_b32_e32 v26, v24, v22
	v_mov_b32_e32 v22, v28
.LBB1355_141:
	s_or_b64 exec, exec, s[50:51]
	v_lshrrev_b32_e32 v24, 16, v26
	v_mov_b32_dpp v28, v26 row_shr:2 row_mask:0xf bank_mask:0xf
	v_cmp_lt_u32_e32 vcc, 1, v27
	s_and_saveexec_b64 s[50:51], vcc
	s_cbranch_execz .LBB1355_143
; %bb.142:
	v_cmp_gt_u32_e32 vcc, s7, v26
	v_and_b32_e32 v23, 0x10000, v26
	v_mov_b32_e32 v26, 1
	v_cndmask_b32_e32 v24, 0, v28, vcc
	v_and_b32_sdwa v26, v28, v26 dst_sel:DWORD dst_unused:UNUSED_PAD src0_sel:WORD_1 src1_sel:DWORD
	v_cmp_ne_u32_e32 vcc, 0, v23
	v_cndmask_b32_e64 v23, v26, 1, vcc
	v_add_u16_e32 v29, v24, v22
	v_lshlrev_b32_e32 v26, 16, v23
	v_add_u16_e32 v22, v24, v22
	v_or_b32_e32 v26, v26, v22
	v_mov_b32_e32 v22, v29
	v_mov_b32_e32 v24, v23
.LBB1355_143:
	s_or_b64 exec, exec, s[50:51]
	v_mov_b32_dpp v28, v26 row_shr:4 row_mask:0xf bank_mask:0xf
	v_cmp_lt_u32_e32 vcc, 3, v27
	s_and_saveexec_b64 s[50:51], vcc
	s_cbranch_execz .LBB1355_145
; %bb.144:
	v_mov_b32_e32 v23, 0
	v_cmp_eq_u16_sdwa vcc, v24, v23 src0_sel:BYTE_0 src1_sel:DWORD
	v_and_b32_e32 v23, 1, v24
	v_mov_b32_e32 v24, 1
	v_cndmask_b32_e32 v26, 0, v28, vcc
	v_and_b32_sdwa v24, v28, v24 dst_sel:DWORD dst_unused:UNUSED_PAD src0_sel:WORD_1 src1_sel:DWORD
	v_cmp_eq_u32_e32 vcc, 1, v23
	v_cndmask_b32_e64 v23, v24, 1, vcc
	v_add_u16_e32 v29, v26, v22
	v_lshlrev_b32_e32 v24, 16, v23
	v_add_u16_e32 v22, v26, v22
	v_or_b32_e32 v26, v24, v22
	v_mov_b32_e32 v22, v29
	v_mov_b32_e32 v24, v23
.LBB1355_145:
	s_or_b64 exec, exec, s[50:51]
	v_mov_b32_dpp v28, v26 row_shr:8 row_mask:0xf bank_mask:0xf
	v_cmp_lt_u32_e32 vcc, 7, v27
	s_and_saveexec_b64 s[50:51], vcc
	s_cbranch_execz .LBB1355_147
; %bb.146:
	v_mov_b32_e32 v23, 0
	v_cmp_eq_u16_sdwa vcc, v24, v23 src0_sel:BYTE_0 src1_sel:DWORD
	v_and_b32_e32 v23, 1, v24
	v_mov_b32_e32 v24, 1
	v_cndmask_b32_e32 v26, 0, v28, vcc
	v_and_b32_sdwa v24, v28, v24 dst_sel:DWORD dst_unused:UNUSED_PAD src0_sel:WORD_1 src1_sel:DWORD
	v_cmp_eq_u32_e32 vcc, 1, v23
	v_cndmask_b32_e64 v23, v24, 1, vcc
	v_add_u16_e32 v27, v26, v22
	v_lshlrev_b32_e32 v24, 16, v23
	v_add_u16_e32 v22, v26, v22
	v_or_b32_e32 v26, v24, v22
	v_mov_b32_e32 v22, v27
	v_mov_b32_e32 v24, v23
.LBB1355_147:
	s_or_b64 exec, exec, s[50:51]
	v_and_b32_e32 v28, 16, v25
	v_mov_b32_dpp v27, v26 row_bcast:15 row_mask:0xf bank_mask:0xf
	v_cmp_ne_u32_e32 vcc, 0, v28
	s_and_saveexec_b64 s[50:51], vcc
	s_cbranch_execz .LBB1355_149
; %bb.148:
	v_mov_b32_e32 v23, 0
	v_cmp_eq_u16_sdwa vcc, v24, v23 src0_sel:BYTE_0 src1_sel:DWORD
	v_and_b32_e32 v23, 1, v24
	v_mov_b32_e32 v24, 1
	v_cndmask_b32_e32 v26, 0, v27, vcc
	v_and_b32_sdwa v24, v27, v24 dst_sel:DWORD dst_unused:UNUSED_PAD src0_sel:WORD_1 src1_sel:DWORD
	v_cmp_eq_u32_e32 vcc, 1, v23
	v_cndmask_b32_e64 v23, v24, 1, vcc
	v_add_u16_e32 v28, v26, v22
	v_lshlrev_b32_e32 v24, 16, v23
	v_add_u16_e32 v22, v26, v22
	v_or_b32_e32 v26, v24, v22
	v_mov_b32_e32 v22, v28
	v_mov_b32_e32 v24, v23
.LBB1355_149:
	s_or_b64 exec, exec, s[50:51]
	v_mov_b32_dpp v26, v26 row_bcast:31 row_mask:0xf bank_mask:0xf
	v_cmp_lt_u32_e32 vcc, 31, v25
	s_and_saveexec_b64 s[50:51], vcc
; %bb.150:
	v_mov_b32_e32 v23, 0
	v_cmp_eq_u16_sdwa vcc, v24, v23 src0_sel:BYTE_0 src1_sel:DWORD
	v_cndmask_b32_e32 v23, 0, v26, vcc
	v_add_u16_e32 v22, v23, v22
	v_and_b32_e32 v23, 1, v24
	v_mov_b32_e32 v24, 1
	v_and_b32_sdwa v24, v26, v24 dst_sel:DWORD dst_unused:UNUSED_PAD src0_sel:WORD_1 src1_sel:DWORD
	v_cmp_eq_u32_e32 vcc, 1, v23
	v_cndmask_b32_e64 v23, v24, 1, vcc
	v_mov_b32_e32 v24, v23
; %bb.151:
	s_or_b64 exec, exec, s[50:51]
	v_cmp_eq_u32_e32 vcc, 63, v0
	s_and_saveexec_b64 s[50:51], vcc
	s_cbranch_execz .LBB1355_153
; %bb.152:
	v_mov_b32_e32 v26, 0
	ds_write_b16 v26, v22
	ds_write_b8 v26, v24 offset:2
.LBB1355_153:
	s_or_b64 exec, exec, s[50:51]
	v_and_b32_e32 v23, 0xff, v23
	v_and_b32_e32 v22, 0xffff, v22
	v_lshl_or_b32 v22, v23, 16, v22
	v_add_u32_e32 v23, -1, v25
	v_and_b32_e32 v24, 64, v25
	v_cmp_lt_i32_e32 vcc, v23, v24
	v_cndmask_b32_e32 v23, v23, v25, vcc
	v_lshlrev_b32_e32 v23, 2, v23
	ds_bpermute_b32 v35, v23, v22
	v_cmp_gt_u32_e32 vcc, 64, v0
	s_waitcnt lgkmcnt(0)
	; wave barrier
	s_waitcnt lgkmcnt(0)
	s_and_saveexec_b64 s[54:55], vcc
	s_cbranch_execz .LBB1355_196
; %bb.154:
	v_mov_b32_e32 v29, 0
	ds_read_b32 v22, v29
	s_mov_b32 s65, 0
	v_cmp_eq_u32_e64 s[50:51], 0, v25
	s_and_saveexec_b64 s[60:61], s[50:51]
	s_cbranch_execz .LBB1355_156
; %bb.155:
	s_add_i32 s64, s6, 64
	s_lshl_b64 s[64:65], s[64:65], 3
	s_add_u32 s64, s68, s64
	v_mov_b32_e32 v23, 1
	s_addc_u32 s65, s69, s65
	s_waitcnt lgkmcnt(0)
	global_store_dwordx2 v29, v[22:23], s[64:65]
.LBB1355_156:
	s_or_b64 exec, exec, s[60:61]
	v_xad_u32 v24, v25, -1, s6
	v_add_u32_e32 v28, 64, v24
	v_lshlrev_b64 v[26:27], 3, v[28:29]
	v_mov_b32_e32 v23, s69
	v_add_co_u32_e32 v30, vcc, s68, v26
	v_addc_co_u32_e32 v31, vcc, v23, v27, vcc
	global_load_dwordx2 v[26:27], v[30:31], off glc
	s_waitcnt vmcnt(0)
	v_cmp_eq_u16_sdwa s[64:65], v27, v29 src0_sel:BYTE_0 src1_sel:DWORD
	s_and_saveexec_b64 s[60:61], s[64:65]
	s_cbranch_execz .LBB1355_160
; %bb.157:
	s_mov_b64 s[64:65], 0
	v_mov_b32_e32 v23, 0
.LBB1355_158:                           ; =>This Inner Loop Header: Depth=1
	global_load_dwordx2 v[26:27], v[30:31], off glc
	s_waitcnt vmcnt(0)
	v_cmp_ne_u16_sdwa s[66:67], v27, v23 src0_sel:BYTE_0 src1_sel:DWORD
	s_or_b64 s[64:65], s[66:67], s[64:65]
	s_andn2_b64 exec, exec, s[64:65]
	s_cbranch_execnz .LBB1355_158
; %bb.159:
	s_or_b64 exec, exec, s[64:65]
.LBB1355_160:
	s_or_b64 exec, exec, s[60:61]
	v_mov_b32_e32 v23, 2
	v_cmp_eq_u16_sdwa s[60:61], v27, v23 src0_sel:BYTE_0 src1_sel:DWORD
	v_lshlrev_b64 v[28:29], v25, -1
	v_and_b32_e32 v23, s61, v29
	v_or_b32_e32 v23, 0x80000000, v23
	v_ffbl_b32_e32 v23, v23
	v_add_u32_e32 v31, 32, v23
	v_and_b32_e32 v23, 63, v25
	v_cmp_ne_u32_e32 vcc, 63, v23
	v_addc_co_u32_e32 v36, vcc, 0, v25, vcc
	v_and_b32_e32 v47, 0xffffff, v26
	v_lshlrev_b32_e32 v36, 2, v36
	ds_bpermute_b32 v37, v36, v47
	v_and_b32_e32 v30, s60, v28
	v_ffbl_b32_e32 v30, v30
	v_min_u32_e32 v31, v30, v31
	v_lshrrev_b32_e32 v30, 16, v26
	v_cmp_lt_u32_e32 vcc, v23, v31
	v_bfe_u32 v45, v26, 16, 8
	s_and_saveexec_b64 s[60:61], vcc
	s_cbranch_execz .LBB1355_162
; %bb.161:
	v_and_b32_e32 v30, 0xff0000, v26
	v_cmp_eq_u32_e32 vcc, 0, v30
	v_and_b32_e32 v30, 0x10000, v30
	v_mov_b32_e32 v40, 1
	s_waitcnt lgkmcnt(0)
	v_cndmask_b32_e32 v38, 0, v37, vcc
	v_and_b32_sdwa v37, v37, v40 dst_sel:DWORD dst_unused:UNUSED_PAD src0_sel:WORD_1 src1_sel:DWORD
	v_cmp_ne_u32_e32 vcc, 0, v30
	v_cndmask_b32_e64 v30, v37, 1, vcc
	v_add_u16_e32 v39, v38, v26
	v_lshlrev_b32_e32 v37, 16, v30
	v_add_u16_e32 v26, v38, v26
	v_or_b32_e32 v47, v37, v26
	v_mov_b32_e32 v26, v39
	v_mov_b32_e32 v45, v30
.LBB1355_162:
	s_or_b64 exec, exec, s[60:61]
	v_cmp_gt_u32_e32 vcc, 62, v23
	s_waitcnt lgkmcnt(0)
	v_cndmask_b32_e64 v37, 0, 1, vcc
	v_lshlrev_b32_e32 v37, 1, v37
	v_add_lshl_u32 v37, v37, v25, 2
	ds_bpermute_b32 v39, v37, v47
	v_add_u32_e32 v38, 2, v23
	v_cmp_le_u32_e32 vcc, v38, v31
	s_and_saveexec_b64 s[60:61], vcc
	s_cbranch_execz .LBB1355_164
; %bb.163:
	v_cmp_eq_u16_e32 vcc, 0, v45
	v_and_b32_e32 v30, 1, v45
	v_mov_b32_e32 v42, 1
	s_waitcnt lgkmcnt(0)
	v_cndmask_b32_e32 v40, 0, v39, vcc
	v_and_b32_sdwa v39, v39, v42 dst_sel:DWORD dst_unused:UNUSED_PAD src0_sel:WORD_1 src1_sel:DWORD
	v_cmp_eq_u32_e32 vcc, 1, v30
	v_cndmask_b32_e64 v30, v39, 1, vcc
	v_add_u16_e32 v41, v40, v26
	v_lshlrev_b32_e32 v39, 16, v30
	v_add_u16_e32 v26, v40, v26
	v_or_b32_e32 v47, v39, v26
	v_mov_b32_e32 v26, v41
	v_mov_b32_e32 v45, v30
.LBB1355_164:
	s_or_b64 exec, exec, s[60:61]
	v_cmp_gt_u32_e32 vcc, 60, v23
	s_waitcnt lgkmcnt(0)
	v_cndmask_b32_e64 v39, 0, 1, vcc
	v_lshlrev_b32_e32 v39, 2, v39
	v_add_lshl_u32 v39, v39, v25, 2
	ds_bpermute_b32 v41, v39, v47
	v_add_u32_e32 v40, 4, v23
	v_cmp_le_u32_e32 vcc, v40, v31
	s_and_saveexec_b64 s[60:61], vcc
	s_cbranch_execz .LBB1355_166
; %bb.165:
	v_cmp_eq_u16_e32 vcc, 0, v45
	v_and_b32_e32 v30, 1, v45
	v_mov_b32_e32 v44, 1
	s_waitcnt lgkmcnt(0)
	v_cndmask_b32_e32 v42, 0, v41, vcc
	v_and_b32_sdwa v41, v41, v44 dst_sel:DWORD dst_unused:UNUSED_PAD src0_sel:WORD_1 src1_sel:DWORD
	v_cmp_eq_u32_e32 vcc, 1, v30
	v_cndmask_b32_e64 v30, v41, 1, vcc
	v_add_u16_e32 v43, v42, v26
	v_lshlrev_b32_e32 v41, 16, v30
	v_add_u16_e32 v26, v42, v26
	v_or_b32_e32 v47, v41, v26
	v_mov_b32_e32 v26, v43
	v_mov_b32_e32 v45, v30
.LBB1355_166:
	;; [unrolled: 27-line block ×4, first 2 shown]
	s_or_b64 exec, exec, s[60:61]
	v_cmp_gt_u32_e32 vcc, 32, v23
	s_waitcnt lgkmcnt(0)
	v_cndmask_b32_e64 v46, 0, 1, vcc
	v_lshlrev_b32_e32 v46, 5, v46
	v_add_lshl_u32 v46, v46, v25, 2
	ds_bpermute_b32 v25, v46, v47
	v_add_u32_e32 v48, 32, v23
	v_cmp_le_u32_e32 vcc, v48, v31
	s_and_saveexec_b64 s[60:61], vcc
	s_cbranch_execz .LBB1355_172
; %bb.171:
	v_cmp_eq_u16_e32 vcc, 0, v45
	s_waitcnt lgkmcnt(0)
	v_cndmask_b32_e32 v30, 0, v25, vcc
	v_add_u16_e32 v26, v30, v26
	v_and_b32_e32 v30, 1, v45
	v_mov_b32_e32 v31, 1
	v_and_b32_sdwa v25, v25, v31 dst_sel:DWORD dst_unused:UNUSED_PAD src0_sel:WORD_1 src1_sel:DWORD
	v_cmp_eq_u32_e32 vcc, 1, v30
	v_cndmask_b32_e64 v30, v25, 1, vcc
.LBB1355_172:
	s_or_b64 exec, exec, s[60:61]
	s_waitcnt lgkmcnt(0)
	v_mov_b32_e32 v25, 0
	v_mov_b32_e32 v49, 2
	v_mov_b32_e32 v52, 1
	s_branch .LBB1355_174
.LBB1355_173:                           ;   in Loop: Header=BB1355_174 Depth=1
	s_or_b64 exec, exec, s[60:61]
	v_cmp_eq_u16_sdwa vcc, v45, v25 src0_sel:BYTE_0 src1_sel:DWORD
	v_and_b32_e32 v30, 1, v45
	v_cndmask_b32_e32 v26, 0, v26, vcc
	v_and_b32_e32 v31, 1, v31
	v_cmp_eq_u32_e32 vcc, 1, v30
	v_subrev_u32_e32 v24, 64, v24
	v_add_u16_e32 v26, v26, v47
	v_cndmask_b32_e64 v30, v31, 1, vcc
.LBB1355_174:                           ; =>This Loop Header: Depth=1
                                        ;     Child Loop BB1355_177 Depth 2
	v_cmp_ne_u16_sdwa s[60:61], v27, v49 src0_sel:BYTE_0 src1_sel:DWORD
	v_cndmask_b32_e64 v27, 0, 1, s[60:61]
	;;#ASMSTART
	;;#ASMEND
	v_cmp_ne_u32_e32 vcc, 0, v27
	v_mov_b32_e32 v45, v30
	s_cmp_lg_u64 vcc, exec
	v_mov_b32_e32 v47, v26
	s_cbranch_scc1 .LBB1355_191
; %bb.175:                              ;   in Loop: Header=BB1355_174 Depth=1
	v_lshlrev_b64 v[26:27], 3, v[24:25]
	v_mov_b32_e32 v31, s69
	v_add_co_u32_e32 v30, vcc, s68, v26
	v_addc_co_u32_e32 v31, vcc, v31, v27, vcc
	global_load_dwordx2 v[26:27], v[30:31], off glc
	s_waitcnt vmcnt(0)
	v_cmp_eq_u16_sdwa s[64:65], v27, v25 src0_sel:BYTE_0 src1_sel:DWORD
	s_and_saveexec_b64 s[60:61], s[64:65]
	s_cbranch_execz .LBB1355_179
; %bb.176:                              ;   in Loop: Header=BB1355_174 Depth=1
	s_mov_b64 s[64:65], 0
.LBB1355_177:                           ;   Parent Loop BB1355_174 Depth=1
                                        ; =>  This Inner Loop Header: Depth=2
	global_load_dwordx2 v[26:27], v[30:31], off glc
	s_waitcnt vmcnt(0)
	v_cmp_ne_u16_sdwa s[66:67], v27, v25 src0_sel:BYTE_0 src1_sel:DWORD
	s_or_b64 s[64:65], s[66:67], s[64:65]
	s_andn2_b64 exec, exec, s[64:65]
	s_cbranch_execnz .LBB1355_177
; %bb.178:                              ;   in Loop: Header=BB1355_174 Depth=1
	s_or_b64 exec, exec, s[64:65]
.LBB1355_179:                           ;   in Loop: Header=BB1355_174 Depth=1
	s_or_b64 exec, exec, s[60:61]
	v_cmp_eq_u16_sdwa s[60:61], v27, v49 src0_sel:BYTE_0 src1_sel:DWORD
	v_and_b32_e32 v30, s61, v29
	s_waitcnt lgkmcnt(0)
	v_and_b32_e32 v54, 0xffffff, v26
	v_or_b32_e32 v30, 0x80000000, v30
	ds_bpermute_b32 v55, v36, v54
	v_and_b32_e32 v31, s60, v28
	v_ffbl_b32_e32 v30, v30
	v_add_u32_e32 v30, 32, v30
	v_ffbl_b32_e32 v31, v31
	v_min_u32_e32 v30, v31, v30
	v_lshrrev_b32_e32 v31, 16, v26
	v_cmp_lt_u32_e32 vcc, v23, v30
	v_bfe_u32 v53, v26, 16, 8
	s_and_saveexec_b64 s[60:61], vcc
	s_cbranch_execz .LBB1355_181
; %bb.180:                              ;   in Loop: Header=BB1355_174 Depth=1
	v_and_b32_e32 v31, 0xff0000, v26
	v_cmp_eq_u32_e32 vcc, 0, v31
	v_and_b32_e32 v31, 0x10000, v31
	s_waitcnt lgkmcnt(0)
	v_cndmask_b32_e32 v53, 0, v55, vcc
	v_and_b32_sdwa v54, v55, v52 dst_sel:DWORD dst_unused:UNUSED_PAD src0_sel:WORD_1 src1_sel:DWORD
	v_cmp_ne_u32_e32 vcc, 0, v31
	v_cndmask_b32_e64 v31, v54, 1, vcc
	v_add_u16_e32 v56, v53, v26
	v_lshlrev_b32_e32 v54, 16, v31
	v_add_u16_e32 v26, v53, v26
	v_or_b32_e32 v54, v54, v26
	v_mov_b32_e32 v26, v56
	v_mov_b32_e32 v53, v31
.LBB1355_181:                           ;   in Loop: Header=BB1355_174 Depth=1
	s_or_b64 exec, exec, s[60:61]
	s_waitcnt lgkmcnt(0)
	ds_bpermute_b32 v55, v37, v54
	v_cmp_le_u32_e32 vcc, v38, v30
	s_and_saveexec_b64 s[60:61], vcc
	s_cbranch_execz .LBB1355_183
; %bb.182:                              ;   in Loop: Header=BB1355_174 Depth=1
	v_cmp_eq_u16_e32 vcc, 0, v53
	v_and_b32_e32 v31, 1, v53
	s_waitcnt lgkmcnt(0)
	v_cndmask_b32_e32 v54, 0, v55, vcc
	v_and_b32_sdwa v53, v55, v52 dst_sel:DWORD dst_unused:UNUSED_PAD src0_sel:WORD_1 src1_sel:DWORD
	v_cmp_eq_u32_e32 vcc, 1, v31
	v_cndmask_b32_e64 v31, v53, 1, vcc
	v_add_u16_e32 v56, v54, v26
	v_lshlrev_b32_e32 v53, 16, v31
	v_add_u16_e32 v26, v54, v26
	v_or_b32_e32 v54, v53, v26
	v_mov_b32_e32 v26, v56
	v_mov_b32_e32 v53, v31
.LBB1355_183:                           ;   in Loop: Header=BB1355_174 Depth=1
	s_or_b64 exec, exec, s[60:61]
	s_waitcnt lgkmcnt(0)
	ds_bpermute_b32 v55, v39, v54
	v_cmp_le_u32_e32 vcc, v40, v30
	s_and_saveexec_b64 s[60:61], vcc
	s_cbranch_execz .LBB1355_185
; %bb.184:                              ;   in Loop: Header=BB1355_174 Depth=1
	v_cmp_eq_u16_e32 vcc, 0, v53
	v_and_b32_e32 v31, 1, v53
	s_waitcnt lgkmcnt(0)
	v_cndmask_b32_e32 v54, 0, v55, vcc
	v_and_b32_sdwa v53, v55, v52 dst_sel:DWORD dst_unused:UNUSED_PAD src0_sel:WORD_1 src1_sel:DWORD
	v_cmp_eq_u32_e32 vcc, 1, v31
	v_cndmask_b32_e64 v31, v53, 1, vcc
	v_add_u16_e32 v56, v54, v26
	v_lshlrev_b32_e32 v53, 16, v31
	v_add_u16_e32 v26, v54, v26
	v_or_b32_e32 v54, v53, v26
	v_mov_b32_e32 v26, v56
	v_mov_b32_e32 v53, v31
.LBB1355_185:                           ;   in Loop: Header=BB1355_174 Depth=1
	s_or_b64 exec, exec, s[60:61]
	s_waitcnt lgkmcnt(0)
	ds_bpermute_b32 v55, v41, v54
	v_cmp_le_u32_e32 vcc, v42, v30
	s_and_saveexec_b64 s[60:61], vcc
	s_cbranch_execz .LBB1355_187
; %bb.186:                              ;   in Loop: Header=BB1355_174 Depth=1
	v_cmp_eq_u16_e32 vcc, 0, v53
	v_and_b32_e32 v31, 1, v53
	s_waitcnt lgkmcnt(0)
	v_cndmask_b32_e32 v54, 0, v55, vcc
	v_and_b32_sdwa v53, v55, v52 dst_sel:DWORD dst_unused:UNUSED_PAD src0_sel:WORD_1 src1_sel:DWORD
	v_cmp_eq_u32_e32 vcc, 1, v31
	v_cndmask_b32_e64 v31, v53, 1, vcc
	v_add_u16_e32 v56, v54, v26
	v_lshlrev_b32_e32 v53, 16, v31
	v_add_u16_e32 v26, v54, v26
	v_or_b32_e32 v54, v53, v26
	v_mov_b32_e32 v26, v56
	v_mov_b32_e32 v53, v31
.LBB1355_187:                           ;   in Loop: Header=BB1355_174 Depth=1
	s_or_b64 exec, exec, s[60:61]
	s_waitcnt lgkmcnt(0)
	ds_bpermute_b32 v55, v43, v54
	v_cmp_le_u32_e32 vcc, v44, v30
	s_and_saveexec_b64 s[60:61], vcc
	s_cbranch_execz .LBB1355_189
; %bb.188:                              ;   in Loop: Header=BB1355_174 Depth=1
	v_cmp_eq_u16_e32 vcc, 0, v53
	v_and_b32_e32 v31, 1, v53
	s_waitcnt lgkmcnt(0)
	v_cndmask_b32_e32 v54, 0, v55, vcc
	v_and_b32_sdwa v53, v55, v52 dst_sel:DWORD dst_unused:UNUSED_PAD src0_sel:WORD_1 src1_sel:DWORD
	v_cmp_eq_u32_e32 vcc, 1, v31
	v_cndmask_b32_e64 v31, v53, 1, vcc
	v_add_u16_e32 v56, v54, v26
	v_lshlrev_b32_e32 v53, 16, v31
	v_add_u16_e32 v26, v54, v26
	v_or_b32_e32 v54, v53, v26
	v_mov_b32_e32 v26, v56
	v_mov_b32_e32 v53, v31
.LBB1355_189:                           ;   in Loop: Header=BB1355_174 Depth=1
	s_or_b64 exec, exec, s[60:61]
	ds_bpermute_b32 v54, v46, v54
	v_cmp_le_u32_e32 vcc, v48, v30
	s_and_saveexec_b64 s[60:61], vcc
	s_cbranch_execz .LBB1355_173
; %bb.190:                              ;   in Loop: Header=BB1355_174 Depth=1
	v_cmp_eq_u16_e32 vcc, 0, v53
	s_waitcnt lgkmcnt(0)
	v_cndmask_b32_e32 v30, 0, v54, vcc
	v_add_u16_e32 v26, v30, v26
	v_and_b32_e32 v30, 1, v53
	v_lshrrev_b32_e32 v31, 16, v54
	v_cmp_eq_u32_e32 vcc, 1, v30
	v_cndmask_b32_e64 v31, v31, 1, vcc
	s_branch .LBB1355_173
.LBB1355_191:                           ;   in Loop: Header=BB1355_174 Depth=1
                                        ; implicit-def: $vgpr30
                                        ; implicit-def: $vgpr26
	s_cbranch_execz .LBB1355_174
; %bb.192:
	s_and_saveexec_b64 s[60:61], s[50:51]
	s_cbranch_execz .LBB1355_194
; %bb.193:
	v_and_b32_e32 v23, 0xff0000, v22
	s_mov_b32 s7, 0
	v_cmp_eq_u32_e32 vcc, 0, v23
	v_and_b32_e32 v24, 0x10000, v22
	v_mov_b32_e32 v25, 1
	s_add_i32 s6, s6, 64
	v_cndmask_b32_e32 v23, 0, v47, vcc
	v_and_b32_sdwa v25, v45, v25 dst_sel:WORD_1 dst_unused:UNUSED_PAD src0_sel:DWORD src1_sel:DWORD
	v_mov_b32_e32 v26, 0x10000
	v_cmp_eq_u32_e32 vcc, 0, v24
	s_lshl_b64 s[6:7], s[6:7], 3
	v_cndmask_b32_e32 v24, v26, v25, vcc
	s_add_u32 s6, s68, s6
	v_add_u16_e32 v22, v23, v22
	s_addc_u32 s7, s69, s7
	v_mov_b32_e32 v25, 0
	v_or_b32_e32 v22, v24, v22
	v_mov_b32_e32 v23, 2
	global_store_dwordx2 v25, v[22:23], s[6:7]
.LBB1355_194:
	s_or_b64 exec, exec, s[60:61]
	v_cmp_eq_u32_e32 vcc, 0, v0
	s_and_b64 exec, exec, vcc
	s_cbranch_execz .LBB1355_196
; %bb.195:
	v_mov_b32_e32 v22, 0
	ds_write_b16 v22, v47
	ds_write_b8 v22, v45 offset:2
.LBB1355_196:
	s_or_b64 exec, exec, s[54:55]
	v_mov_b32_e32 v22, 0
	s_mov_b32 s6, 0x10000
	s_waitcnt lgkmcnt(0)
	; wave barrier
	s_waitcnt lgkmcnt(0)
	ds_read_b32 v23, v22
	v_cmp_gt_u32_e32 vcc, s6, v1
	v_and_b32_e32 v25, 0x10000, v1
	v_mov_b32_e32 v26, 1
	v_cndmask_b32_e32 v24, 0, v35, vcc
	v_and_b32_sdwa v26, v35, v26 dst_sel:DWORD dst_unused:UNUSED_PAD src0_sel:WORD_1 src1_sel:DWORD
	v_cmp_ne_u32_e32 vcc, 0, v25
	v_cndmask_b32_e64 v25, v26, 1, vcc
	v_cmp_eq_u32_e32 vcc, 0, v0
	v_cndmask_b32_e32 v25, v25, v34, vcc
	v_cndmask_b32_e64 v24, v24, 0, vcc
	v_cmp_eq_u16_sdwa vcc, v25, v22 src0_sel:BYTE_0 src1_sel:DWORD
	v_add_u16_e32 v24, v24, v1
	s_waitcnt lgkmcnt(0)
	v_cndmask_b32_e32 v22, 0, v23, vcc
	v_add_u16_e32 v47, v24, v22
	v_cndmask_b32_e64 v22, 0, v47, s[2:3]
	v_add_u16_e32 v22, v22, v50
	v_cndmask_b32_e64 v23, 0, v22, s[4:5]
	;; [unrolled: 2-line block ×23, first 2 shown]
	v_add_u16_e32 v46, v46, v32
	s_branch .LBB1355_219
.LBB1355_197:
                                        ; implicit-def: $vgpr47
                                        ; implicit-def: $vgpr22
                                        ; implicit-def: $vgpr23
                                        ; implicit-def: $vgpr24
                                        ; implicit-def: $vgpr25
                                        ; implicit-def: $vgpr26
                                        ; implicit-def: $vgpr27
                                        ; implicit-def: $vgpr29
                                        ; implicit-def: $vgpr28
                                        ; implicit-def: $vgpr30
                                        ; implicit-def: $vgpr31
                                        ; implicit-def: $vgpr34
                                        ; implicit-def: $vgpr35
                                        ; implicit-def: $vgpr36
                                        ; implicit-def: $vgpr37
                                        ; implicit-def: $vgpr39
                                        ; implicit-def: $vgpr38
                                        ; implicit-def: $vgpr40
                                        ; implicit-def: $vgpr41
                                        ; implicit-def: $vgpr42
                                        ; implicit-def: $vgpr43
                                        ; implicit-def: $vgpr44
                                        ; implicit-def: $vgpr45
                                        ; implicit-def: $vgpr46
	s_cbranch_execz .LBB1355_219
; %bb.198:
	s_cmp_lg_u64 s[74:75], 0
	s_cselect_b32 s5, s63, 0
	s_cselect_b32 s4, s62, 0
	s_cmp_lg_u64 s[4:5], 0
	s_cselect_b64 s[6:7], -1, 0
	v_cmp_eq_u32_e32 vcc, 0, v0
	v_cmp_ne_u32_e64 s[2:3], 0, v0
	s_and_b64 s[8:9], vcc, s[6:7]
	s_and_saveexec_b64 s[6:7], s[8:9]
	s_cbranch_execz .LBB1355_200
; %bb.199:
	v_mov_b32_e32 v22, 0
	global_load_ushort v23, v22, s[4:5]
	global_load_ubyte v24, v22, s[4:5] offset:2
	s_mov_b32 s4, 0x10000
	v_and_b32_e32 v22, 0x10000, v1
	v_mov_b32_e32 v25, 1
	v_cmp_gt_u32_e64 s[4:5], s4, v1
	v_mov_b32_e32 v26, 0x10000
	s_waitcnt vmcnt(1)
	v_cndmask_b32_e64 v23, 0, v23, s[4:5]
	s_waitcnt vmcnt(0)
	v_and_b32_sdwa v24, v24, v25 dst_sel:WORD_1 dst_unused:UNUSED_PAD src0_sel:DWORD src1_sel:DWORD
	v_cmp_eq_u32_e64 s[4:5], 0, v22
	v_add_u16_e32 v1, v23, v1
	v_cndmask_b32_e64 v22, v26, v24, s[4:5]
	v_or_b32_e32 v1, v22, v1
.LBB1355_200:
	s_or_b64 exec, exec, s[6:7]
	s_mov_b32 s50, 0x10000
	v_cmp_gt_u32_e64 s[4:5], s50, v50
	v_cndmask_b32_e64 v22, 0, v1, s[4:5]
	v_add_u16_e32 v22, v22, v50
	v_cmp_gt_u32_e64 s[6:7], s50, v51
	v_cndmask_b32_e64 v23, 0, v22, s[6:7]
	v_add_u16_e32 v23, v23, v51
	;; [unrolled: 3-line block ×4, first 2 shown]
	v_cmp_gt_u32_e64 s[12:13], s50, v20
	v_bfe_u32 v28, v19, 16, 1
	v_mov_b32_e32 v52, 1
	v_cndmask_b32_e64 v26, 0, v25, s[12:13]
	v_lshlrev_b16_e32 v28, 1, v28
	v_and_b32_sdwa v29, v18, v52 dst_sel:DWORD dst_unused:UNUSED_PAD src0_sel:WORD_1 src1_sel:DWORD
	v_add_u16_e32 v26, v26, v20
	v_cmp_gt_u32_e64 s[14:15], s50, v21
	v_or_b32_e32 v28, v29, v28
	v_bfe_u32 v29, v21, 16, 1
	v_and_b32_sdwa v30, v20, v52 dst_sel:DWORD dst_unused:UNUSED_PAD src0_sel:WORD_1 src1_sel:DWORD
	v_cndmask_b32_e64 v27, 0, v26, s[14:15]
	v_lshlrev_b16_e32 v29, 3, v29
	v_lshlrev_b16_e32 v30, 2, v30
	v_add_u16_e32 v27, v27, v21
	v_or_b32_e32 v29, v29, v30
	v_cmp_gt_u32_e64 s[16:17], s50, v2
	v_or_b32_e32 v46, v28, v29
	v_cndmask_b32_e64 v28, 0, v27, s[16:17]
	v_add_u16_e32 v29, v28, v2
	v_cmp_gt_u32_e64 s[18:19], s50, v3
	v_cndmask_b32_e64 v28, 0, v29, s[18:19]
	v_bfe_u32 v48, v11, 16, 1
	v_add_u16_e32 v28, v28, v3
	v_cmp_gt_u32_e64 s[20:21], s50, v4
	v_lshlrev_b16_e32 v48, 1, v48
	v_and_b32_sdwa v49, v10, v52 dst_sel:DWORD dst_unused:UNUSED_PAD src0_sel:WORD_1 src1_sel:DWORD
	v_cndmask_b32_e64 v30, 0, v28, s[20:21]
	v_or_b32_e32 v48, v49, v48
	v_bfe_u32 v49, v13, 16, 1
	v_and_b32_sdwa v53, v12, v52 dst_sel:DWORD dst_unused:UNUSED_PAD src0_sel:WORD_1 src1_sel:DWORD
	v_add_u16_e32 v30, v30, v4
	v_cmp_gt_u32_e64 s[22:23], s50, v5
	v_lshlrev_b16_e32 v49, 3, v49
	v_lshlrev_b16_e32 v53, 2, v53
	v_cndmask_b32_e64 v31, 0, v30, s[22:23]
	v_or_b32_e32 v49, v49, v53
	v_add_u16_e32 v31, v31, v5
	v_cmp_gt_u32_e64 s[24:25], s50, v6
	v_or_b32_sdwa v48, v48, v49 dst_sel:BYTE_1 dst_unused:UNUSED_PAD src0_sel:DWORD src1_sel:DWORD
	v_bfe_u32 v49, v15, 16, 1
	v_cndmask_b32_e64 v34, 0, v31, s[24:25]
	v_lshlrev_b16_e32 v49, 1, v49
	v_and_b32_sdwa v53, v14, v52 dst_sel:DWORD dst_unused:UNUSED_PAD src0_sel:WORD_1 src1_sel:DWORD
	v_add_u16_e32 v34, v34, v6
	v_cmp_gt_u32_e64 s[26:27], s50, v7
	v_or_b32_e32 v49, v53, v49
	v_bfe_u32 v53, v17, 16, 1
	v_and_b32_sdwa v54, v16, v52 dst_sel:DWORD dst_unused:UNUSED_PAD src0_sel:WORD_1 src1_sel:DWORD
	v_cndmask_b32_e64 v35, 0, v34, s[26:27]
	v_lshlrev_b16_e32 v53, 3, v53
	v_lshlrev_b16_e32 v54, 2, v54
	v_add_u16_e32 v35, v35, v7
	v_cmp_gt_u32_e64 s[28:29], s50, v8
	v_or_b32_e32 v53, v53, v54
	v_cndmask_b32_e64 v36, 0, v35, s[28:29]
	v_or_b32_e32 v49, v49, v53
	v_add_u16_e32 v36, v36, v8
	v_cmp_gt_u32_e64 s[30:31], s50, v9
	v_lshlrev_b16_e32 v49, 12, v49
	v_cndmask_b32_e64 v37, 0, v36, s[30:31]
	v_or_b32_e32 v48, v49, v48
	v_bfe_u32 v49, v3, 16, 1
	v_add_u16_e32 v37, v37, v9
	v_cmp_gt_u32_e64 s[34:35], s50, v10
	v_lshlrev_b16_e32 v49, 1, v49
	v_and_b32_sdwa v53, v2, v52 dst_sel:DWORD dst_unused:UNUSED_PAD src0_sel:WORD_1 src1_sel:DWORD
	v_cndmask_b32_e64 v38, 0, v37, s[34:35]
	v_or_b32_e32 v49, v53, v49
	v_bfe_u32 v53, v5, 16, 1
	v_and_b32_sdwa v54, v4, v52 dst_sel:DWORD dst_unused:UNUSED_PAD src0_sel:WORD_1 src1_sel:DWORD
	v_add_u16_e32 v39, v38, v10
	v_cmp_gt_u32_e64 s[36:37], s50, v11
	v_lshlrev_b16_e32 v53, 3, v53
	v_lshlrev_b16_e32 v54, 2, v54
	v_cndmask_b32_e64 v38, 0, v39, s[36:37]
	v_or_b32_e32 v53, v53, v54
	v_add_u16_e32 v38, v38, v11
	v_cmp_gt_u32_e64 s[38:39], s50, v12
	v_or_b32_e32 v49, v49, v53
	v_bfe_u32 v53, v7, 16, 1
	v_cndmask_b32_e64 v40, 0, v38, s[38:39]
	v_lshlrev_b16_e32 v53, 1, v53
	v_and_b32_sdwa v54, v6, v52 dst_sel:DWORD dst_unused:UNUSED_PAD src0_sel:WORD_1 src1_sel:DWORD
	v_add_u16_e32 v40, v40, v12
	v_cmp_gt_u32_e64 s[40:41], s50, v13
	v_or_b32_e32 v53, v54, v53
	v_bfe_u32 v54, v9, 16, 1
	v_and_b32_sdwa v55, v8, v52 dst_sel:DWORD dst_unused:UNUSED_PAD src0_sel:WORD_1 src1_sel:DWORD
	v_cndmask_b32_e64 v41, 0, v40, s[40:41]
	v_lshlrev_b16_e32 v54, 3, v54
	v_lshlrev_b16_e32 v55, 2, v55
	v_add_u16_e32 v41, v41, v13
	v_cmp_gt_u32_e64 s[42:43], s50, v14
	v_or_b32_e32 v54, v54, v55
	v_cndmask_b32_e64 v42, 0, v41, s[42:43]
	v_or_b32_e32 v53, v53, v54
	v_add_u16_e32 v42, v42, v14
	v_cmp_gt_u32_e64 s[44:45], s50, v15
	v_lshlrev_b16_e32 v53, 4, v53
	v_cndmask_b32_e64 v43, 0, v42, s[44:45]
	v_or_b32_e32 v49, v49, v53
	v_add_u16_e32 v43, v43, v15
	v_cmp_gt_u32_e64 s[46:47], s50, v16
	v_or_b32_sdwa v49, v49, v48 dst_sel:DWORD dst_unused:UNUSED_PAD src0_sel:BYTE_0 src1_sel:DWORD
	v_cndmask_b32_e64 v44, 0, v43, s[46:47]
	v_or_b32_e32 v46, v49, v46
	v_add_u16_e32 v44, v44, v16
	v_cmp_gt_u32_e64 s[48:49], s50, v17
	v_cmp_ne_u16_e64 s[52:53], 0, v46
	v_or3_b32 v46, v51, v50, v32
	v_cndmask_b32_e64 v45, 0, v44, s[48:49]
	v_and_b32_e32 v46, 0x10000, v46
	v_add_u16_e32 v45, v45, v17
	v_cmp_gt_u32_e64 s[50:51], s50, v32
	v_cmp_ne_u32_e64 s[54:55], 0, v46
	v_lshrrev_b32_e32 v47, 16, v1
	v_cndmask_b32_e64 v53, 0, v45, s[50:51]
	s_or_b64 s[52:53], s[54:55], s[52:53]
	v_cndmask_b32_e64 v49, v47, 1, s[52:53]
	v_mbcnt_hi_u32_b32 v33, -1, v33
	v_add_u16_e32 v46, v53, v32
	v_add_u16_e32 v48, v53, v32
	v_and_b32_e32 v54, 15, v33
	v_lshl_or_b32 v53, v49, 16, v46
	v_cmp_ne_u32_e64 s[52:53], 0, v54
	s_nop 0
	v_mov_b32_dpp v55, v53 row_shr:1 row_mask:0xf bank_mask:0xf
	s_and_saveexec_b64 s[54:55], s[52:53]
; %bb.201:
	v_cmp_eq_u32_e64 s[52:53], 0, v49
	v_and_b32_e32 v49, 1, v49
	v_cndmask_b32_e64 v53, 0, v55, s[52:53]
	v_and_b32_sdwa v52, v55, v52 dst_sel:DWORD dst_unused:UNUSED_PAD src0_sel:WORD_1 src1_sel:DWORD
	v_cmp_eq_u32_e64 s[52:53], 1, v49
	v_cndmask_b32_e64 v49, v52, 1, s[52:53]
	v_add_u16_e32 v56, v48, v53
	v_lshlrev_b32_e32 v52, 16, v49
	v_add_u16_e32 v48, v48, v53
	v_or_b32_e32 v53, v52, v48
	v_mov_b32_e32 v48, v56
; %bb.202:
	s_or_b64 exec, exec, s[54:55]
	v_lshrrev_b32_e32 v52, 16, v53
	v_mov_b32_dpp v55, v53 row_shr:2 row_mask:0xf bank_mask:0xf
	v_cmp_lt_u32_e64 s[52:53], 1, v54
	s_and_saveexec_b64 s[54:55], s[52:53]
	s_cbranch_execz .LBB1355_204
; %bb.203:
	s_mov_b32 s52, 0x10000
	v_cmp_gt_u32_e64 s[52:53], s52, v53
	v_and_b32_e32 v49, 0x10000, v53
	v_mov_b32_e32 v53, 1
	v_cndmask_b32_e64 v52, 0, v55, s[52:53]
	v_and_b32_sdwa v53, v55, v53 dst_sel:DWORD dst_unused:UNUSED_PAD src0_sel:WORD_1 src1_sel:DWORD
	v_cmp_ne_u32_e64 s[52:53], 0, v49
	v_cndmask_b32_e64 v49, v53, 1, s[52:53]
	v_add_u16_e32 v56, v52, v48
	v_lshlrev_b32_e32 v53, 16, v49
	v_add_u16_e32 v48, v52, v48
	v_or_b32_e32 v53, v53, v48
	v_mov_b32_e32 v48, v56
	v_mov_b32_e32 v52, v49
.LBB1355_204:
	s_or_b64 exec, exec, s[54:55]
	v_mov_b32_dpp v55, v53 row_shr:4 row_mask:0xf bank_mask:0xf
	v_cmp_lt_u32_e64 s[52:53], 3, v54
	s_and_saveexec_b64 s[54:55], s[52:53]
	s_cbranch_execz .LBB1355_206
; %bb.205:
	v_mov_b32_e32 v49, 0
	v_cmp_eq_u16_sdwa s[52:53], v52, v49 src0_sel:BYTE_0 src1_sel:DWORD
	v_and_b32_e32 v49, 1, v52
	v_mov_b32_e32 v52, 1
	v_cndmask_b32_e64 v53, 0, v55, s[52:53]
	v_and_b32_sdwa v52, v55, v52 dst_sel:DWORD dst_unused:UNUSED_PAD src0_sel:WORD_1 src1_sel:DWORD
	v_cmp_eq_u32_e64 s[52:53], 1, v49
	v_cndmask_b32_e64 v49, v52, 1, s[52:53]
	v_add_u16_e32 v56, v53, v48
	v_lshlrev_b32_e32 v52, 16, v49
	v_add_u16_e32 v48, v53, v48
	v_or_b32_e32 v53, v52, v48
	v_mov_b32_e32 v48, v56
	v_mov_b32_e32 v52, v49
.LBB1355_206:
	s_or_b64 exec, exec, s[54:55]
	v_mov_b32_dpp v55, v53 row_shr:8 row_mask:0xf bank_mask:0xf
	v_cmp_lt_u32_e64 s[52:53], 7, v54
	s_and_saveexec_b64 s[54:55], s[52:53]
	s_cbranch_execz .LBB1355_208
; %bb.207:
	v_mov_b32_e32 v49, 0
	v_cmp_eq_u16_sdwa s[52:53], v52, v49 src0_sel:BYTE_0 src1_sel:DWORD
	v_and_b32_e32 v49, 1, v52
	v_mov_b32_e32 v52, 1
	v_cndmask_b32_e64 v53, 0, v55, s[52:53]
	v_and_b32_sdwa v52, v55, v52 dst_sel:DWORD dst_unused:UNUSED_PAD src0_sel:WORD_1 src1_sel:DWORD
	v_cmp_eq_u32_e64 s[52:53], 1, v49
	v_cndmask_b32_e64 v49, v52, 1, s[52:53]
	v_add_u16_e32 v54, v53, v48
	v_lshlrev_b32_e32 v52, 16, v49
	v_add_u16_e32 v48, v53, v48
	v_or_b32_e32 v53, v52, v48
	v_mov_b32_e32 v48, v54
	v_mov_b32_e32 v52, v49
.LBB1355_208:
	s_or_b64 exec, exec, s[54:55]
	v_and_b32_e32 v55, 16, v33
	v_mov_b32_dpp v54, v53 row_bcast:15 row_mask:0xf bank_mask:0xf
	v_cmp_ne_u32_e64 s[52:53], 0, v55
	s_and_saveexec_b64 s[54:55], s[52:53]
	s_cbranch_execz .LBB1355_210
; %bb.209:
	v_mov_b32_e32 v49, 0
	v_cmp_eq_u16_sdwa s[52:53], v52, v49 src0_sel:BYTE_0 src1_sel:DWORD
	v_and_b32_e32 v49, 1, v52
	v_mov_b32_e32 v52, 1
	v_cndmask_b32_e64 v53, 0, v54, s[52:53]
	v_and_b32_sdwa v52, v54, v52 dst_sel:DWORD dst_unused:UNUSED_PAD src0_sel:WORD_1 src1_sel:DWORD
	v_cmp_eq_u32_e64 s[52:53], 1, v49
	v_cndmask_b32_e64 v49, v52, 1, s[52:53]
	v_add_u16_e32 v55, v53, v48
	v_lshlrev_b32_e32 v52, 16, v49
	v_add_u16_e32 v48, v53, v48
	v_or_b32_e32 v53, v52, v48
	v_mov_b32_e32 v48, v55
	v_mov_b32_e32 v52, v49
.LBB1355_210:
	s_or_b64 exec, exec, s[54:55]
	v_mov_b32_dpp v53, v53 row_bcast:31 row_mask:0xf bank_mask:0xf
	v_cmp_lt_u32_e64 s[52:53], 31, v33
	s_and_saveexec_b64 s[54:55], s[52:53]
; %bb.211:
	v_mov_b32_e32 v49, 0
	v_cmp_eq_u16_sdwa s[52:53], v52, v49 src0_sel:BYTE_0 src1_sel:DWORD
	v_cndmask_b32_e64 v49, 0, v53, s[52:53]
	v_add_u16_e32 v48, v49, v48
	v_and_b32_e32 v49, 1, v52
	v_mov_b32_e32 v52, 1
	v_and_b32_sdwa v52, v53, v52 dst_sel:DWORD dst_unused:UNUSED_PAD src0_sel:WORD_1 src1_sel:DWORD
	v_cmp_eq_u32_e64 s[52:53], 1, v49
	v_cndmask_b32_e64 v49, v52, 1, s[52:53]
	v_mov_b32_e32 v52, v49
; %bb.212:
	s_or_b64 exec, exec, s[54:55]
	v_cmp_eq_u32_e64 s[52:53], 63, v0
	s_and_saveexec_b64 s[54:55], s[52:53]
	s_cbranch_execz .LBB1355_214
; %bb.213:
	v_mov_b32_e32 v53, 0
	ds_write_b16 v53, v48
	ds_write_b8 v53, v52 offset:2
.LBB1355_214:
	s_or_b64 exec, exec, s[54:55]
	v_and_b32_e32 v49, 0xff, v49
	v_and_b32_e32 v48, 0xffff, v48
	v_lshl_or_b32 v48, v49, 16, v48
	v_add_u32_e32 v49, -1, v33
	v_and_b32_e32 v52, 64, v33
	v_cmp_lt_i32_e64 s[52:53], v49, v52
	v_cndmask_b32_e64 v33, v49, v33, s[52:53]
	v_lshlrev_b32_e32 v33, 2, v33
	ds_bpermute_b32 v33, v33, v48
	s_waitcnt lgkmcnt(0)
	; wave barrier
	s_waitcnt lgkmcnt(0)
	s_and_saveexec_b64 s[52:53], s[2:3]
	s_cbranch_execz .LBB1355_216
; %bb.215:
	v_and_b32_e32 v22, 0xff0000, v1
	v_cmp_eq_u32_e64 s[2:3], 0, v22
	v_cndmask_b32_e64 v22, 0, v33, s[2:3]
	v_add_u32_e32 v1, v22, v1
	v_cndmask_b32_e64 v22, 0, v1, s[4:5]
	v_add_u16_e32 v22, v22, v50
	v_cndmask_b32_e64 v23, 0, v22, s[6:7]
	v_add_u16_e32 v23, v23, v51
	;; [unrolled: 2-line block ×22, first 2 shown]
	v_cndmask_b32_e64 v2, 0, v45, s[50:51]
	v_mov_b32_e32 v47, 0
	v_add_u16_e32 v46, v2, v32
	;;#ASMSTART
	;;#ASMEND
.LBB1355_216:
	s_or_b64 exec, exec, s[52:53]
	s_and_saveexec_b64 s[2:3], vcc
	s_cbranch_execz .LBB1355_218
; %bb.217:
	v_mov_b32_e32 v4, 0
	ds_read_u8 v2, v4 offset:2
	ds_read_u16 v3, v4
	s_waitcnt lgkmcnt(1)
	v_lshlrev_b32_e32 v2, 16, v2
	s_waitcnt lgkmcnt(0)
	v_or_b32_e32 v2, v2, v3
	v_mov_b32_e32 v3, 2
	global_store_dwordx2 v4, v[2:3], s[68:69] offset:512
.LBB1355_218:
	s_or_b64 exec, exec, s[2:3]
	v_lshl_or_b32 v47, v47, 16, v1
.LBB1355_219:
	s_add_u32 s2, s58, s72
	s_addc_u32 s3, s59, s73
	s_add_u32 s4, s2, s56
	s_addc_u32 s5, s3, s57
	s_and_b64 vcc, exec, s[0:1]
	v_mul_u32_u24_e32 v4, 24, v0
	s_cbranch_vccz .LBB1355_269
; %bb.220:
	s_add_i32 s33, s33, s70
	v_cmp_le_u32_e32 vcc, s33, v4
	v_or_b32_e32 v8, 1, v4
	v_or_b32_e32 v7, 2, v4
	;; [unrolled: 1-line block ×7, first 2 shown]
	s_and_saveexec_b64 s[0:1], vcc
	s_xor_b64 s[0:1], exec, s[0:1]
; %bb.221:
	v_or_b32_e32 v8, 1, v4
	v_or_b32_e32 v7, 2, v4
	;; [unrolled: 1-line block ×7, first 2 shown]
; %bb.222:
	s_andn2_saveexec_b64 s[0:1], s[0:1]
	s_or_b64 exec, exec, s[0:1]
	v_lshlrev_b32_e32 v49, 1, v4
	v_lshlrev_b32_e32 v8, 1, v8
	;; [unrolled: 1-line block ×4, first 2 shown]
	s_mov_b32 s0, 0x5040100
	s_waitcnt lgkmcnt(0)
	; wave barrier
	ds_write_b16 v49, v47
	ds_write_b16 v8, v22
	ds_write_b16 v7, v23
	ds_write_b16 v6, v24
	v_lshlrev_b32_e32 v5, 1, v5
	v_lshlrev_b32_e32 v3, 1, v3
	;; [unrolled: 1-line block ×4, first 2 shown]
	v_perm_b32 v9, v39, v37, s0
	v_perm_b32 v8, v36, v35, s0
	;; [unrolled: 1-line block ×4, first 2 shown]
	ds_write_b16 v5, v25
	ds_write_b16 v3, v26
	;; [unrolled: 1-line block ×4, first 2 shown]
	ds_write_b128 v49, v[6:9] offset:16
	v_perm_b32 v9, v46, v45, s0
	v_perm_b32 v8, v44, v43, s0
	;; [unrolled: 1-line block ×4, first 2 shown]
	s_movk_i32 s0, 0xffd2
	v_mad_i32_i24 v2, v0, s0, v49
	ds_write_b128 v49, v[6:9] offset:32
	s_waitcnt lgkmcnt(0)
	; wave barrier
	s_waitcnt lgkmcnt(0)
	ds_read_u16 v52, v2 offset:128
	ds_read_u16 v51, v2 offset:256
	ds_read_u16 v50, v2 offset:384
	ds_read_u16 v48, v2 offset:512
	ds_read_u16 v33, v2 offset:640
	ds_read_u16 v32, v2 offset:768
	ds_read_u16 v21, v2 offset:896
	ds_read_u16 v20, v2 offset:1024
	ds_read_u16 v19, v2 offset:1152
	ds_read_u16 v18, v2 offset:1280
	ds_read_u16 v17, v2 offset:1408
	ds_read_u16 v16, v2 offset:1536
	ds_read_u16 v15, v2 offset:1664
	ds_read_u16 v14, v2 offset:1792
	ds_read_u16 v13, v2 offset:1920
	ds_read_u16 v12, v2 offset:2048
	ds_read_u16 v11, v2 offset:2176
	ds_read_u16 v10, v2 offset:2304
	ds_read_u16 v9, v2 offset:2432
	ds_read_u16 v8, v2 offset:2560
	ds_read_u16 v7, v2 offset:2688
	ds_read_u16 v6, v2 offset:2816
	ds_read_u16 v5, v2 offset:2944
	v_lshlrev_b32_e32 v2, 1, v0
	v_mov_b32_e32 v3, s5
	v_add_co_u32_e32 v2, vcc, s4, v2
	v_addc_co_u32_e32 v3, vcc, 0, v3, vcc
	v_mov_b32_e32 v1, 0
	v_cmp_gt_u32_e32 vcc, s33, v0
	s_and_saveexec_b64 s[0:1], vcc
	s_cbranch_execz .LBB1355_224
; %bb.223:
	v_mul_i32_i24_e32 v53, 0xffffffd2, v0
	v_add_u32_e32 v49, v49, v53
	ds_read_u16 v49, v49
	s_waitcnt lgkmcnt(0)
	flat_store_short v[2:3], v49
.LBB1355_224:
	s_or_b64 exec, exec, s[0:1]
	v_or_b32_e32 v49, 64, v0
	v_cmp_gt_u32_e32 vcc, s33, v49
	s_and_saveexec_b64 s[0:1], vcc
	s_cbranch_execz .LBB1355_226
; %bb.225:
	s_waitcnt lgkmcnt(0)
	flat_store_short v[2:3], v52 offset:128
.LBB1355_226:
	s_or_b64 exec, exec, s[0:1]
	v_or_b32_e32 v49, 0x80, v0
	v_cmp_gt_u32_e32 vcc, s33, v49
	s_and_saveexec_b64 s[0:1], vcc
	s_cbranch_execz .LBB1355_228
; %bb.227:
	s_waitcnt lgkmcnt(0)
	flat_store_short v[2:3], v51 offset:256
.LBB1355_228:
	;; [unrolled: 9-line block ×4, first 2 shown]
	s_or_b64 exec, exec, s[0:1]
	s_waitcnt lgkmcnt(0)
	v_or_b32_e32 v48, 0x140, v0
	v_cmp_gt_u32_e32 vcc, s33, v48
	s_and_saveexec_b64 s[0:1], vcc
	s_cbranch_execz .LBB1355_234
; %bb.233:
	flat_store_short v[2:3], v33 offset:640
.LBB1355_234:
	s_or_b64 exec, exec, s[0:1]
	v_or_b32_e32 v33, 0x180, v0
	v_cmp_gt_u32_e32 vcc, s33, v33
	s_and_saveexec_b64 s[0:1], vcc
	s_cbranch_execz .LBB1355_236
; %bb.235:
	flat_store_short v[2:3], v32 offset:768
.LBB1355_236:
	s_or_b64 exec, exec, s[0:1]
	;; [unrolled: 8-line block ×18, first 2 shown]
	v_or_b32_e32 v2, 0x5c0, v0
	v_cmp_gt_u32_e64 s[0:1], s33, v2
	s_branch .LBB1355_271
.LBB1355_269:
	s_mov_b64 s[0:1], 0
                                        ; implicit-def: $vgpr5
	s_cbranch_execz .LBB1355_271
; %bb.270:
	s_mov_b32 s2, 0x5040100
	v_lshlrev_b32_e32 v6, 1, v4
	v_perm_b32 v5, v29, v27, s2
	v_perm_b32 v4, v26, v25, s2
	;; [unrolled: 1-line block ×4, first 2 shown]
	s_waitcnt lgkmcnt(0)
	; wave barrier
	s_waitcnt lgkmcnt(0)
	ds_write_b128 v6, v[2:5]
	v_perm_b32 v5, v39, v37, s2
	v_perm_b32 v4, v36, v35, s2
	;; [unrolled: 1-line block ×4, first 2 shown]
	ds_write_b128 v6, v[2:5] offset:16
	v_perm_b32 v4, v44, v43, s2
	v_perm_b32 v3, v42, v41, s2
	;; [unrolled: 1-line block ×4, first 2 shown]
	s_movk_i32 s2, 0xffd2
	ds_write_b128 v6, v[2:5] offset:32
	v_mad_i32_i24 v2, v0, s2, v6
	s_waitcnt lgkmcnt(0)
	; wave barrier
	s_waitcnt lgkmcnt(0)
	ds_read_u16 v4, v2
	ds_read_u16 v6, v2 offset:128
	ds_read_u16 v7, v2 offset:256
	;; [unrolled: 1-line block ×23, first 2 shown]
	v_lshlrev_b32_e32 v2, 1, v0
	v_mov_b32_e32 v3, s5
	v_add_co_u32_e32 v2, vcc, s4, v2
	v_mov_b32_e32 v1, 0
	v_addc_co_u32_e32 v3, vcc, 0, v3, vcc
	s_or_b64 s[0:1], s[0:1], exec
	s_waitcnt lgkmcnt(0)
	flat_store_short v[2:3], v4
	flat_store_short v[2:3], v6 offset:128
	flat_store_short v[2:3], v7 offset:256
	;; [unrolled: 1-line block ×22, first 2 shown]
.LBB1355_271:
	s_and_saveexec_b64 s[2:3], s[0:1]
	s_cbranch_execnz .LBB1355_273
; %bb.272:
	s_endpgm
.LBB1355_273:
	v_lshlrev_b64 v[0:1], 1, v[0:1]
	v_mov_b32_e32 v2, s5
	v_add_co_u32_e32 v0, vcc, s4, v0
	v_addc_co_u32_e32 v1, vcc, v2, v1, vcc
	flat_store_short v[0:1], v5 offset:2944
	s_endpgm
.LBB1355_274:
	v_lshlrev_b32_e32 v2, 1, v0
	v_mov_b32_e32 v3, s71
	v_add_co_u32_e32 v2, vcc, s7, v2
	v_addc_co_u32_e32 v3, vcc, 0, v3, vcc
	flat_load_ushort v2, v[2:3]
	s_or_b64 exec, exec, s[60:61]
                                        ; implicit-def: $vgpr3
	s_and_saveexec_b64 s[2:3], s[4:5]
	s_cbranch_execz .LBB1355_57
.LBB1355_275:
	v_lshlrev_b32_e32 v3, 1, v0
	v_mov_b32_e32 v5, s71
	v_add_co_u32_e32 v4, vcc, s7, v3
	v_addc_co_u32_e32 v5, vcc, 0, v5, vcc
	flat_load_ushort v3, v[4:5] offset:128
	s_or_b64 exec, exec, s[2:3]
                                        ; implicit-def: $vgpr4
	s_and_saveexec_b64 s[2:3], s[52:53]
	s_cbranch_execz .LBB1355_58
.LBB1355_276:
	v_lshlrev_b32_e32 v4, 1, v0
	v_mov_b32_e32 v5, s71
	v_add_co_u32_e32 v4, vcc, s7, v4
	v_addc_co_u32_e32 v5, vcc, 0, v5, vcc
	flat_load_ushort v4, v[4:5] offset:256
	s_or_b64 exec, exec, s[2:3]
                                        ; implicit-def: $vgpr5
	s_and_saveexec_b64 s[2:3], s[8:9]
	s_cbranch_execz .LBB1355_59
.LBB1355_277:
	v_lshlrev_b32_e32 v5, 1, v0
	v_mov_b32_e32 v7, s71
	v_add_co_u32_e32 v6, vcc, s7, v5
	v_addc_co_u32_e32 v7, vcc, 0, v7, vcc
	flat_load_ushort v5, v[6:7] offset:384
	s_or_b64 exec, exec, s[2:3]
                                        ; implicit-def: $vgpr6
	s_and_saveexec_b64 s[2:3], s[10:11]
	s_cbranch_execz .LBB1355_60
.LBB1355_278:
	v_lshlrev_b32_e32 v6, 1, v0
	v_mov_b32_e32 v7, s71
	v_add_co_u32_e32 v6, vcc, s7, v6
	v_addc_co_u32_e32 v7, vcc, 0, v7, vcc
	flat_load_ushort v6, v[6:7] offset:512
	s_or_b64 exec, exec, s[2:3]
                                        ; implicit-def: $vgpr7
	s_and_saveexec_b64 s[2:3], s[12:13]
	s_cbranch_execz .LBB1355_61
.LBB1355_279:
	v_lshlrev_b32_e32 v7, 1, v0
	v_mov_b32_e32 v9, s71
	v_add_co_u32_e32 v8, vcc, s7, v7
	v_addc_co_u32_e32 v9, vcc, 0, v9, vcc
	flat_load_ushort v7, v[8:9] offset:640
	s_or_b64 exec, exec, s[2:3]
                                        ; implicit-def: $vgpr8
	s_and_saveexec_b64 s[2:3], s[14:15]
	s_cbranch_execz .LBB1355_62
.LBB1355_280:
	v_lshlrev_b32_e32 v8, 1, v0
	v_mov_b32_e32 v9, s71
	v_add_co_u32_e32 v8, vcc, s7, v8
	v_addc_co_u32_e32 v9, vcc, 0, v9, vcc
	flat_load_ushort v8, v[8:9] offset:768
	s_or_b64 exec, exec, s[2:3]
                                        ; implicit-def: $vgpr9
	s_and_saveexec_b64 s[2:3], s[16:17]
	s_cbranch_execz .LBB1355_63
.LBB1355_281:
	v_lshlrev_b32_e32 v9, 1, v0
	v_mov_b32_e32 v11, s71
	v_add_co_u32_e32 v10, vcc, s7, v9
	v_addc_co_u32_e32 v11, vcc, 0, v11, vcc
	flat_load_ushort v9, v[10:11] offset:896
	s_or_b64 exec, exec, s[2:3]
                                        ; implicit-def: $vgpr10
	s_and_saveexec_b64 s[2:3], s[18:19]
	s_cbranch_execz .LBB1355_64
.LBB1355_282:
	v_lshlrev_b32_e32 v10, 1, v0
	v_mov_b32_e32 v11, s71
	v_add_co_u32_e32 v10, vcc, s7, v10
	v_addc_co_u32_e32 v11, vcc, 0, v11, vcc
	flat_load_ushort v10, v[10:11] offset:1024
	s_or_b64 exec, exec, s[2:3]
                                        ; implicit-def: $vgpr11
	s_and_saveexec_b64 s[2:3], s[20:21]
	s_cbranch_execz .LBB1355_65
.LBB1355_283:
	v_lshlrev_b32_e32 v11, 1, v0
	v_mov_b32_e32 v13, s71
	v_add_co_u32_e32 v12, vcc, s7, v11
	v_addc_co_u32_e32 v13, vcc, 0, v13, vcc
	flat_load_ushort v11, v[12:13] offset:1152
	s_or_b64 exec, exec, s[2:3]
                                        ; implicit-def: $vgpr12
	s_and_saveexec_b64 s[2:3], s[22:23]
	s_cbranch_execz .LBB1355_66
.LBB1355_284:
	v_lshlrev_b32_e32 v12, 1, v0
	v_mov_b32_e32 v13, s71
	v_add_co_u32_e32 v12, vcc, s7, v12
	v_addc_co_u32_e32 v13, vcc, 0, v13, vcc
	flat_load_ushort v12, v[12:13] offset:1280
	s_or_b64 exec, exec, s[2:3]
                                        ; implicit-def: $vgpr13
	s_and_saveexec_b64 s[2:3], s[24:25]
	s_cbranch_execz .LBB1355_67
.LBB1355_285:
	v_lshlrev_b32_e32 v13, 1, v0
	v_mov_b32_e32 v15, s71
	v_add_co_u32_e32 v14, vcc, s7, v13
	v_addc_co_u32_e32 v15, vcc, 0, v15, vcc
	flat_load_ushort v13, v[14:15] offset:1408
	s_or_b64 exec, exec, s[2:3]
                                        ; implicit-def: $vgpr14
	s_and_saveexec_b64 s[2:3], s[26:27]
	s_cbranch_execz .LBB1355_68
.LBB1355_286:
	v_lshlrev_b32_e32 v14, 1, v0
	v_mov_b32_e32 v15, s71
	v_add_co_u32_e32 v14, vcc, s7, v14
	v_addc_co_u32_e32 v15, vcc, 0, v15, vcc
	flat_load_ushort v14, v[14:15] offset:1536
	s_or_b64 exec, exec, s[2:3]
                                        ; implicit-def: $vgpr15
	s_and_saveexec_b64 s[2:3], s[28:29]
	s_cbranch_execz .LBB1355_69
.LBB1355_287:
	v_lshlrev_b32_e32 v15, 1, v0
	v_mov_b32_e32 v17, s71
	v_add_co_u32_e32 v16, vcc, s7, v15
	v_addc_co_u32_e32 v17, vcc, 0, v17, vcc
	flat_load_ushort v15, v[16:17] offset:1664
	s_or_b64 exec, exec, s[2:3]
                                        ; implicit-def: $vgpr16
	s_and_saveexec_b64 s[2:3], s[30:31]
	s_cbranch_execz .LBB1355_70
.LBB1355_288:
	v_lshlrev_b32_e32 v16, 1, v0
	v_mov_b32_e32 v17, s71
	v_add_co_u32_e32 v16, vcc, s7, v16
	v_addc_co_u32_e32 v17, vcc, 0, v17, vcc
	flat_load_ushort v16, v[16:17] offset:1792
	s_or_b64 exec, exec, s[2:3]
                                        ; implicit-def: $vgpr17
	s_and_saveexec_b64 s[2:3], s[34:35]
	s_cbranch_execz .LBB1355_71
.LBB1355_289:
	v_lshlrev_b32_e32 v17, 1, v0
	v_mov_b32_e32 v19, s71
	v_add_co_u32_e32 v18, vcc, s7, v17
	v_addc_co_u32_e32 v19, vcc, 0, v19, vcc
	flat_load_ushort v17, v[18:19] offset:1920
	s_or_b64 exec, exec, s[2:3]
                                        ; implicit-def: $vgpr18
	s_and_saveexec_b64 s[2:3], s[36:37]
	s_cbranch_execz .LBB1355_72
.LBB1355_290:
	v_lshlrev_b32_e32 v18, 1, v0
	v_mov_b32_e32 v19, s71
	v_add_co_u32_e32 v18, vcc, s7, v18
	v_addc_co_u32_e32 v19, vcc, 0, v19, vcc
	flat_load_ushort v18, v[18:19] offset:2048
	s_or_b64 exec, exec, s[2:3]
                                        ; implicit-def: $vgpr19
	s_and_saveexec_b64 s[2:3], s[38:39]
	s_cbranch_execz .LBB1355_73
.LBB1355_291:
	v_lshlrev_b32_e32 v19, 1, v0
	v_mov_b32_e32 v21, s71
	v_add_co_u32_e32 v20, vcc, s7, v19
	v_addc_co_u32_e32 v21, vcc, 0, v21, vcc
	flat_load_ushort v19, v[20:21] offset:2176
	s_or_b64 exec, exec, s[2:3]
                                        ; implicit-def: $vgpr20
	s_and_saveexec_b64 s[2:3], s[40:41]
	s_cbranch_execz .LBB1355_74
.LBB1355_292:
	v_lshlrev_b32_e32 v20, 1, v0
	v_mov_b32_e32 v21, s71
	v_add_co_u32_e32 v20, vcc, s7, v20
	v_addc_co_u32_e32 v21, vcc, 0, v21, vcc
	flat_load_ushort v20, v[20:21] offset:2304
	s_or_b64 exec, exec, s[2:3]
                                        ; implicit-def: $vgpr21
	s_and_saveexec_b64 s[2:3], s[42:43]
	s_cbranch_execz .LBB1355_75
.LBB1355_293:
	v_lshlrev_b32_e32 v21, 1, v0
	v_mov_b32_e32 v47, s71
	v_add_co_u32_e32 v48, vcc, s7, v21
	v_addc_co_u32_e32 v49, vcc, 0, v47, vcc
	flat_load_ushort v21, v[48:49] offset:2432
	s_or_b64 exec, exec, s[2:3]
                                        ; implicit-def: $vgpr48
	s_and_saveexec_b64 s[2:3], s[44:45]
	s_cbranch_execz .LBB1355_76
.LBB1355_294:
	v_lshlrev_b32_e32 v47, 1, v0
	v_mov_b32_e32 v49, s71
	v_add_co_u32_e32 v48, vcc, s7, v47
	v_addc_co_u32_e32 v49, vcc, 0, v49, vcc
	flat_load_ushort v48, v[48:49] offset:2560
	s_or_b64 exec, exec, s[2:3]
                                        ; implicit-def: $vgpr49
	s_and_saveexec_b64 s[2:3], s[46:47]
	s_cbranch_execz .LBB1355_77
.LBB1355_295:
	v_lshlrev_b32_e32 v47, 1, v0
	v_mov_b32_e32 v49, s71
	v_add_co_u32_e32 v50, vcc, s7, v47
	v_addc_co_u32_e32 v51, vcc, 0, v49, vcc
	flat_load_ushort v49, v[50:51] offset:2688
	s_or_b64 exec, exec, s[2:3]
                                        ; implicit-def: $vgpr50
	s_and_saveexec_b64 s[2:3], s[48:49]
	s_cbranch_execz .LBB1355_78
.LBB1355_296:
	v_lshlrev_b32_e32 v47, 1, v0
	v_mov_b32_e32 v51, s71
	v_add_co_u32_e32 v50, vcc, s7, v47
	v_addc_co_u32_e32 v51, vcc, 0, v51, vcc
	flat_load_ushort v50, v[50:51] offset:2816
	s_or_b64 exec, exec, s[2:3]
                                        ; implicit-def: $vgpr51
	s_and_saveexec_b64 s[2:3], s[50:51]
	s_cbranch_execnz .LBB1355_79
	s_branch .LBB1355_80
.LBB1355_297:
                                        ; implicit-def: $sgpr60_sgpr61
	s_branch .LBB1355_52
.LBB1355_298:
                                        ; implicit-def: $sgpr2_sgpr3
	s_branch .LBB1355_131
	.section	.rodata,"a",@progbits
	.p2align	6, 0x0
	.amdhsa_kernel _ZN7rocprim17ROCPRIM_400000_NS6detail17trampoline_kernelINS0_14default_configENS1_27scan_by_key_config_selectorIisEEZZNS1_16scan_by_key_implILNS1_25lookback_scan_determinismE0ELb0ES3_N6thrust23THRUST_200600_302600_NS6detail15normal_iteratorINS9_10device_ptrIiEEEENSB_INSC_IsEEEESG_sNS9_4plusIvEENS9_8equal_toIvEEsEE10hipError_tPvRmT2_T3_T4_T5_mT6_T7_P12ihipStream_tbENKUlT_T0_E_clISt17integral_constantIbLb0EES11_EEDaSW_SX_EUlSW_E_NS1_11comp_targetILNS1_3genE4ELNS1_11target_archE910ELNS1_3gpuE8ELNS1_3repE0EEENS1_30default_config_static_selectorELNS0_4arch9wavefront6targetE1EEEvT1_
		.amdhsa_group_segment_fixed_size 6656
		.amdhsa_private_segment_fixed_size 0
		.amdhsa_kernarg_size 112
		.amdhsa_user_sgpr_count 6
		.amdhsa_user_sgpr_private_segment_buffer 1
		.amdhsa_user_sgpr_dispatch_ptr 0
		.amdhsa_user_sgpr_queue_ptr 0
		.amdhsa_user_sgpr_kernarg_segment_ptr 1
		.amdhsa_user_sgpr_dispatch_id 0
		.amdhsa_user_sgpr_flat_scratch_init 0
		.amdhsa_user_sgpr_kernarg_preload_length 0
		.amdhsa_user_sgpr_kernarg_preload_offset 0
		.amdhsa_user_sgpr_private_segment_size 0
		.amdhsa_uses_dynamic_stack 0
		.amdhsa_system_sgpr_private_segment_wavefront_offset 0
		.amdhsa_system_sgpr_workgroup_id_x 1
		.amdhsa_system_sgpr_workgroup_id_y 0
		.amdhsa_system_sgpr_workgroup_id_z 0
		.amdhsa_system_sgpr_workgroup_info 0
		.amdhsa_system_vgpr_workitem_id 0
		.amdhsa_next_free_vgpr 58
		.amdhsa_next_free_sgpr 83
		.amdhsa_accum_offset 60
		.amdhsa_reserve_vcc 1
		.amdhsa_reserve_flat_scratch 0
		.amdhsa_float_round_mode_32 0
		.amdhsa_float_round_mode_16_64 0
		.amdhsa_float_denorm_mode_32 3
		.amdhsa_float_denorm_mode_16_64 3
		.amdhsa_dx10_clamp 1
		.amdhsa_ieee_mode 1
		.amdhsa_fp16_overflow 0
		.amdhsa_tg_split 0
		.amdhsa_exception_fp_ieee_invalid_op 0
		.amdhsa_exception_fp_denorm_src 0
		.amdhsa_exception_fp_ieee_div_zero 0
		.amdhsa_exception_fp_ieee_overflow 0
		.amdhsa_exception_fp_ieee_underflow 0
		.amdhsa_exception_fp_ieee_inexact 0
		.amdhsa_exception_int_div_zero 0
	.end_amdhsa_kernel
	.section	.text._ZN7rocprim17ROCPRIM_400000_NS6detail17trampoline_kernelINS0_14default_configENS1_27scan_by_key_config_selectorIisEEZZNS1_16scan_by_key_implILNS1_25lookback_scan_determinismE0ELb0ES3_N6thrust23THRUST_200600_302600_NS6detail15normal_iteratorINS9_10device_ptrIiEEEENSB_INSC_IsEEEESG_sNS9_4plusIvEENS9_8equal_toIvEEsEE10hipError_tPvRmT2_T3_T4_T5_mT6_T7_P12ihipStream_tbENKUlT_T0_E_clISt17integral_constantIbLb0EES11_EEDaSW_SX_EUlSW_E_NS1_11comp_targetILNS1_3genE4ELNS1_11target_archE910ELNS1_3gpuE8ELNS1_3repE0EEENS1_30default_config_static_selectorELNS0_4arch9wavefront6targetE1EEEvT1_,"axG",@progbits,_ZN7rocprim17ROCPRIM_400000_NS6detail17trampoline_kernelINS0_14default_configENS1_27scan_by_key_config_selectorIisEEZZNS1_16scan_by_key_implILNS1_25lookback_scan_determinismE0ELb0ES3_N6thrust23THRUST_200600_302600_NS6detail15normal_iteratorINS9_10device_ptrIiEEEENSB_INSC_IsEEEESG_sNS9_4plusIvEENS9_8equal_toIvEEsEE10hipError_tPvRmT2_T3_T4_T5_mT6_T7_P12ihipStream_tbENKUlT_T0_E_clISt17integral_constantIbLb0EES11_EEDaSW_SX_EUlSW_E_NS1_11comp_targetILNS1_3genE4ELNS1_11target_archE910ELNS1_3gpuE8ELNS1_3repE0EEENS1_30default_config_static_selectorELNS0_4arch9wavefront6targetE1EEEvT1_,comdat
.Lfunc_end1355:
	.size	_ZN7rocprim17ROCPRIM_400000_NS6detail17trampoline_kernelINS0_14default_configENS1_27scan_by_key_config_selectorIisEEZZNS1_16scan_by_key_implILNS1_25lookback_scan_determinismE0ELb0ES3_N6thrust23THRUST_200600_302600_NS6detail15normal_iteratorINS9_10device_ptrIiEEEENSB_INSC_IsEEEESG_sNS9_4plusIvEENS9_8equal_toIvEEsEE10hipError_tPvRmT2_T3_T4_T5_mT6_T7_P12ihipStream_tbENKUlT_T0_E_clISt17integral_constantIbLb0EES11_EEDaSW_SX_EUlSW_E_NS1_11comp_targetILNS1_3genE4ELNS1_11target_archE910ELNS1_3gpuE8ELNS1_3repE0EEENS1_30default_config_static_selectorELNS0_4arch9wavefront6targetE1EEEvT1_, .Lfunc_end1355-_ZN7rocprim17ROCPRIM_400000_NS6detail17trampoline_kernelINS0_14default_configENS1_27scan_by_key_config_selectorIisEEZZNS1_16scan_by_key_implILNS1_25lookback_scan_determinismE0ELb0ES3_N6thrust23THRUST_200600_302600_NS6detail15normal_iteratorINS9_10device_ptrIiEEEENSB_INSC_IsEEEESG_sNS9_4plusIvEENS9_8equal_toIvEEsEE10hipError_tPvRmT2_T3_T4_T5_mT6_T7_P12ihipStream_tbENKUlT_T0_E_clISt17integral_constantIbLb0EES11_EEDaSW_SX_EUlSW_E_NS1_11comp_targetILNS1_3genE4ELNS1_11target_archE910ELNS1_3gpuE8ELNS1_3repE0EEENS1_30default_config_static_selectorELNS0_4arch9wavefront6targetE1EEEvT1_
                                        ; -- End function
	.section	.AMDGPU.csdata,"",@progbits
; Kernel info:
; codeLenInByte = 15148
; NumSgprs: 87
; NumVgprs: 58
; NumAgprs: 0
; TotalNumVgprs: 58
; ScratchSize: 0
; MemoryBound: 0
; FloatMode: 240
; IeeeMode: 1
; LDSByteSize: 6656 bytes/workgroup (compile time only)
; SGPRBlocks: 10
; VGPRBlocks: 7
; NumSGPRsForWavesPerEU: 87
; NumVGPRsForWavesPerEU: 58
; AccumOffset: 60
; Occupancy: 3
; WaveLimiterHint : 1
; COMPUTE_PGM_RSRC2:SCRATCH_EN: 0
; COMPUTE_PGM_RSRC2:USER_SGPR: 6
; COMPUTE_PGM_RSRC2:TRAP_HANDLER: 0
; COMPUTE_PGM_RSRC2:TGID_X_EN: 1
; COMPUTE_PGM_RSRC2:TGID_Y_EN: 0
; COMPUTE_PGM_RSRC2:TGID_Z_EN: 0
; COMPUTE_PGM_RSRC2:TIDIG_COMP_CNT: 0
; COMPUTE_PGM_RSRC3_GFX90A:ACCUM_OFFSET: 14
; COMPUTE_PGM_RSRC3_GFX90A:TG_SPLIT: 0
	.section	.text._ZN7rocprim17ROCPRIM_400000_NS6detail17trampoline_kernelINS0_14default_configENS1_27scan_by_key_config_selectorIisEEZZNS1_16scan_by_key_implILNS1_25lookback_scan_determinismE0ELb0ES3_N6thrust23THRUST_200600_302600_NS6detail15normal_iteratorINS9_10device_ptrIiEEEENSB_INSC_IsEEEESG_sNS9_4plusIvEENS9_8equal_toIvEEsEE10hipError_tPvRmT2_T3_T4_T5_mT6_T7_P12ihipStream_tbENKUlT_T0_E_clISt17integral_constantIbLb0EES11_EEDaSW_SX_EUlSW_E_NS1_11comp_targetILNS1_3genE3ELNS1_11target_archE908ELNS1_3gpuE7ELNS1_3repE0EEENS1_30default_config_static_selectorELNS0_4arch9wavefront6targetE1EEEvT1_,"axG",@progbits,_ZN7rocprim17ROCPRIM_400000_NS6detail17trampoline_kernelINS0_14default_configENS1_27scan_by_key_config_selectorIisEEZZNS1_16scan_by_key_implILNS1_25lookback_scan_determinismE0ELb0ES3_N6thrust23THRUST_200600_302600_NS6detail15normal_iteratorINS9_10device_ptrIiEEEENSB_INSC_IsEEEESG_sNS9_4plusIvEENS9_8equal_toIvEEsEE10hipError_tPvRmT2_T3_T4_T5_mT6_T7_P12ihipStream_tbENKUlT_T0_E_clISt17integral_constantIbLb0EES11_EEDaSW_SX_EUlSW_E_NS1_11comp_targetILNS1_3genE3ELNS1_11target_archE908ELNS1_3gpuE7ELNS1_3repE0EEENS1_30default_config_static_selectorELNS0_4arch9wavefront6targetE1EEEvT1_,comdat
	.protected	_ZN7rocprim17ROCPRIM_400000_NS6detail17trampoline_kernelINS0_14default_configENS1_27scan_by_key_config_selectorIisEEZZNS1_16scan_by_key_implILNS1_25lookback_scan_determinismE0ELb0ES3_N6thrust23THRUST_200600_302600_NS6detail15normal_iteratorINS9_10device_ptrIiEEEENSB_INSC_IsEEEESG_sNS9_4plusIvEENS9_8equal_toIvEEsEE10hipError_tPvRmT2_T3_T4_T5_mT6_T7_P12ihipStream_tbENKUlT_T0_E_clISt17integral_constantIbLb0EES11_EEDaSW_SX_EUlSW_E_NS1_11comp_targetILNS1_3genE3ELNS1_11target_archE908ELNS1_3gpuE7ELNS1_3repE0EEENS1_30default_config_static_selectorELNS0_4arch9wavefront6targetE1EEEvT1_ ; -- Begin function _ZN7rocprim17ROCPRIM_400000_NS6detail17trampoline_kernelINS0_14default_configENS1_27scan_by_key_config_selectorIisEEZZNS1_16scan_by_key_implILNS1_25lookback_scan_determinismE0ELb0ES3_N6thrust23THRUST_200600_302600_NS6detail15normal_iteratorINS9_10device_ptrIiEEEENSB_INSC_IsEEEESG_sNS9_4plusIvEENS9_8equal_toIvEEsEE10hipError_tPvRmT2_T3_T4_T5_mT6_T7_P12ihipStream_tbENKUlT_T0_E_clISt17integral_constantIbLb0EES11_EEDaSW_SX_EUlSW_E_NS1_11comp_targetILNS1_3genE3ELNS1_11target_archE908ELNS1_3gpuE7ELNS1_3repE0EEENS1_30default_config_static_selectorELNS0_4arch9wavefront6targetE1EEEvT1_
	.globl	_ZN7rocprim17ROCPRIM_400000_NS6detail17trampoline_kernelINS0_14default_configENS1_27scan_by_key_config_selectorIisEEZZNS1_16scan_by_key_implILNS1_25lookback_scan_determinismE0ELb0ES3_N6thrust23THRUST_200600_302600_NS6detail15normal_iteratorINS9_10device_ptrIiEEEENSB_INSC_IsEEEESG_sNS9_4plusIvEENS9_8equal_toIvEEsEE10hipError_tPvRmT2_T3_T4_T5_mT6_T7_P12ihipStream_tbENKUlT_T0_E_clISt17integral_constantIbLb0EES11_EEDaSW_SX_EUlSW_E_NS1_11comp_targetILNS1_3genE3ELNS1_11target_archE908ELNS1_3gpuE7ELNS1_3repE0EEENS1_30default_config_static_selectorELNS0_4arch9wavefront6targetE1EEEvT1_
	.p2align	8
	.type	_ZN7rocprim17ROCPRIM_400000_NS6detail17trampoline_kernelINS0_14default_configENS1_27scan_by_key_config_selectorIisEEZZNS1_16scan_by_key_implILNS1_25lookback_scan_determinismE0ELb0ES3_N6thrust23THRUST_200600_302600_NS6detail15normal_iteratorINS9_10device_ptrIiEEEENSB_INSC_IsEEEESG_sNS9_4plusIvEENS9_8equal_toIvEEsEE10hipError_tPvRmT2_T3_T4_T5_mT6_T7_P12ihipStream_tbENKUlT_T0_E_clISt17integral_constantIbLb0EES11_EEDaSW_SX_EUlSW_E_NS1_11comp_targetILNS1_3genE3ELNS1_11target_archE908ELNS1_3gpuE7ELNS1_3repE0EEENS1_30default_config_static_selectorELNS0_4arch9wavefront6targetE1EEEvT1_,@function
_ZN7rocprim17ROCPRIM_400000_NS6detail17trampoline_kernelINS0_14default_configENS1_27scan_by_key_config_selectorIisEEZZNS1_16scan_by_key_implILNS1_25lookback_scan_determinismE0ELb0ES3_N6thrust23THRUST_200600_302600_NS6detail15normal_iteratorINS9_10device_ptrIiEEEENSB_INSC_IsEEEESG_sNS9_4plusIvEENS9_8equal_toIvEEsEE10hipError_tPvRmT2_T3_T4_T5_mT6_T7_P12ihipStream_tbENKUlT_T0_E_clISt17integral_constantIbLb0EES11_EEDaSW_SX_EUlSW_E_NS1_11comp_targetILNS1_3genE3ELNS1_11target_archE908ELNS1_3gpuE7ELNS1_3repE0EEENS1_30default_config_static_selectorELNS0_4arch9wavefront6targetE1EEEvT1_: ; @_ZN7rocprim17ROCPRIM_400000_NS6detail17trampoline_kernelINS0_14default_configENS1_27scan_by_key_config_selectorIisEEZZNS1_16scan_by_key_implILNS1_25lookback_scan_determinismE0ELb0ES3_N6thrust23THRUST_200600_302600_NS6detail15normal_iteratorINS9_10device_ptrIiEEEENSB_INSC_IsEEEESG_sNS9_4plusIvEENS9_8equal_toIvEEsEE10hipError_tPvRmT2_T3_T4_T5_mT6_T7_P12ihipStream_tbENKUlT_T0_E_clISt17integral_constantIbLb0EES11_EEDaSW_SX_EUlSW_E_NS1_11comp_targetILNS1_3genE3ELNS1_11target_archE908ELNS1_3gpuE7ELNS1_3repE0EEENS1_30default_config_static_selectorELNS0_4arch9wavefront6targetE1EEEvT1_
; %bb.0:
	.section	.rodata,"a",@progbits
	.p2align	6, 0x0
	.amdhsa_kernel _ZN7rocprim17ROCPRIM_400000_NS6detail17trampoline_kernelINS0_14default_configENS1_27scan_by_key_config_selectorIisEEZZNS1_16scan_by_key_implILNS1_25lookback_scan_determinismE0ELb0ES3_N6thrust23THRUST_200600_302600_NS6detail15normal_iteratorINS9_10device_ptrIiEEEENSB_INSC_IsEEEESG_sNS9_4plusIvEENS9_8equal_toIvEEsEE10hipError_tPvRmT2_T3_T4_T5_mT6_T7_P12ihipStream_tbENKUlT_T0_E_clISt17integral_constantIbLb0EES11_EEDaSW_SX_EUlSW_E_NS1_11comp_targetILNS1_3genE3ELNS1_11target_archE908ELNS1_3gpuE7ELNS1_3repE0EEENS1_30default_config_static_selectorELNS0_4arch9wavefront6targetE1EEEvT1_
		.amdhsa_group_segment_fixed_size 0
		.amdhsa_private_segment_fixed_size 0
		.amdhsa_kernarg_size 112
		.amdhsa_user_sgpr_count 6
		.amdhsa_user_sgpr_private_segment_buffer 1
		.amdhsa_user_sgpr_dispatch_ptr 0
		.amdhsa_user_sgpr_queue_ptr 0
		.amdhsa_user_sgpr_kernarg_segment_ptr 1
		.amdhsa_user_sgpr_dispatch_id 0
		.amdhsa_user_sgpr_flat_scratch_init 0
		.amdhsa_user_sgpr_kernarg_preload_length 0
		.amdhsa_user_sgpr_kernarg_preload_offset 0
		.amdhsa_user_sgpr_private_segment_size 0
		.amdhsa_uses_dynamic_stack 0
		.amdhsa_system_sgpr_private_segment_wavefront_offset 0
		.amdhsa_system_sgpr_workgroup_id_x 1
		.amdhsa_system_sgpr_workgroup_id_y 0
		.amdhsa_system_sgpr_workgroup_id_z 0
		.amdhsa_system_sgpr_workgroup_info 0
		.amdhsa_system_vgpr_workitem_id 0
		.amdhsa_next_free_vgpr 1
		.amdhsa_next_free_sgpr 0
		.amdhsa_accum_offset 4
		.amdhsa_reserve_vcc 0
		.amdhsa_reserve_flat_scratch 0
		.amdhsa_float_round_mode_32 0
		.amdhsa_float_round_mode_16_64 0
		.amdhsa_float_denorm_mode_32 3
		.amdhsa_float_denorm_mode_16_64 3
		.amdhsa_dx10_clamp 1
		.amdhsa_ieee_mode 1
		.amdhsa_fp16_overflow 0
		.amdhsa_tg_split 0
		.amdhsa_exception_fp_ieee_invalid_op 0
		.amdhsa_exception_fp_denorm_src 0
		.amdhsa_exception_fp_ieee_div_zero 0
		.amdhsa_exception_fp_ieee_overflow 0
		.amdhsa_exception_fp_ieee_underflow 0
		.amdhsa_exception_fp_ieee_inexact 0
		.amdhsa_exception_int_div_zero 0
	.end_amdhsa_kernel
	.section	.text._ZN7rocprim17ROCPRIM_400000_NS6detail17trampoline_kernelINS0_14default_configENS1_27scan_by_key_config_selectorIisEEZZNS1_16scan_by_key_implILNS1_25lookback_scan_determinismE0ELb0ES3_N6thrust23THRUST_200600_302600_NS6detail15normal_iteratorINS9_10device_ptrIiEEEENSB_INSC_IsEEEESG_sNS9_4plusIvEENS9_8equal_toIvEEsEE10hipError_tPvRmT2_T3_T4_T5_mT6_T7_P12ihipStream_tbENKUlT_T0_E_clISt17integral_constantIbLb0EES11_EEDaSW_SX_EUlSW_E_NS1_11comp_targetILNS1_3genE3ELNS1_11target_archE908ELNS1_3gpuE7ELNS1_3repE0EEENS1_30default_config_static_selectorELNS0_4arch9wavefront6targetE1EEEvT1_,"axG",@progbits,_ZN7rocprim17ROCPRIM_400000_NS6detail17trampoline_kernelINS0_14default_configENS1_27scan_by_key_config_selectorIisEEZZNS1_16scan_by_key_implILNS1_25lookback_scan_determinismE0ELb0ES3_N6thrust23THRUST_200600_302600_NS6detail15normal_iteratorINS9_10device_ptrIiEEEENSB_INSC_IsEEEESG_sNS9_4plusIvEENS9_8equal_toIvEEsEE10hipError_tPvRmT2_T3_T4_T5_mT6_T7_P12ihipStream_tbENKUlT_T0_E_clISt17integral_constantIbLb0EES11_EEDaSW_SX_EUlSW_E_NS1_11comp_targetILNS1_3genE3ELNS1_11target_archE908ELNS1_3gpuE7ELNS1_3repE0EEENS1_30default_config_static_selectorELNS0_4arch9wavefront6targetE1EEEvT1_,comdat
.Lfunc_end1356:
	.size	_ZN7rocprim17ROCPRIM_400000_NS6detail17trampoline_kernelINS0_14default_configENS1_27scan_by_key_config_selectorIisEEZZNS1_16scan_by_key_implILNS1_25lookback_scan_determinismE0ELb0ES3_N6thrust23THRUST_200600_302600_NS6detail15normal_iteratorINS9_10device_ptrIiEEEENSB_INSC_IsEEEESG_sNS9_4plusIvEENS9_8equal_toIvEEsEE10hipError_tPvRmT2_T3_T4_T5_mT6_T7_P12ihipStream_tbENKUlT_T0_E_clISt17integral_constantIbLb0EES11_EEDaSW_SX_EUlSW_E_NS1_11comp_targetILNS1_3genE3ELNS1_11target_archE908ELNS1_3gpuE7ELNS1_3repE0EEENS1_30default_config_static_selectorELNS0_4arch9wavefront6targetE1EEEvT1_, .Lfunc_end1356-_ZN7rocprim17ROCPRIM_400000_NS6detail17trampoline_kernelINS0_14default_configENS1_27scan_by_key_config_selectorIisEEZZNS1_16scan_by_key_implILNS1_25lookback_scan_determinismE0ELb0ES3_N6thrust23THRUST_200600_302600_NS6detail15normal_iteratorINS9_10device_ptrIiEEEENSB_INSC_IsEEEESG_sNS9_4plusIvEENS9_8equal_toIvEEsEE10hipError_tPvRmT2_T3_T4_T5_mT6_T7_P12ihipStream_tbENKUlT_T0_E_clISt17integral_constantIbLb0EES11_EEDaSW_SX_EUlSW_E_NS1_11comp_targetILNS1_3genE3ELNS1_11target_archE908ELNS1_3gpuE7ELNS1_3repE0EEENS1_30default_config_static_selectorELNS0_4arch9wavefront6targetE1EEEvT1_
                                        ; -- End function
	.section	.AMDGPU.csdata,"",@progbits
; Kernel info:
; codeLenInByte = 0
; NumSgprs: 4
; NumVgprs: 0
; NumAgprs: 0
; TotalNumVgprs: 0
; ScratchSize: 0
; MemoryBound: 0
; FloatMode: 240
; IeeeMode: 1
; LDSByteSize: 0 bytes/workgroup (compile time only)
; SGPRBlocks: 0
; VGPRBlocks: 0
; NumSGPRsForWavesPerEU: 4
; NumVGPRsForWavesPerEU: 1
; AccumOffset: 4
; Occupancy: 8
; WaveLimiterHint : 0
; COMPUTE_PGM_RSRC2:SCRATCH_EN: 0
; COMPUTE_PGM_RSRC2:USER_SGPR: 6
; COMPUTE_PGM_RSRC2:TRAP_HANDLER: 0
; COMPUTE_PGM_RSRC2:TGID_X_EN: 1
; COMPUTE_PGM_RSRC2:TGID_Y_EN: 0
; COMPUTE_PGM_RSRC2:TGID_Z_EN: 0
; COMPUTE_PGM_RSRC2:TIDIG_COMP_CNT: 0
; COMPUTE_PGM_RSRC3_GFX90A:ACCUM_OFFSET: 0
; COMPUTE_PGM_RSRC3_GFX90A:TG_SPLIT: 0
	.section	.text._ZN7rocprim17ROCPRIM_400000_NS6detail17trampoline_kernelINS0_14default_configENS1_27scan_by_key_config_selectorIisEEZZNS1_16scan_by_key_implILNS1_25lookback_scan_determinismE0ELb0ES3_N6thrust23THRUST_200600_302600_NS6detail15normal_iteratorINS9_10device_ptrIiEEEENSB_INSC_IsEEEESG_sNS9_4plusIvEENS9_8equal_toIvEEsEE10hipError_tPvRmT2_T3_T4_T5_mT6_T7_P12ihipStream_tbENKUlT_T0_E_clISt17integral_constantIbLb0EES11_EEDaSW_SX_EUlSW_E_NS1_11comp_targetILNS1_3genE2ELNS1_11target_archE906ELNS1_3gpuE6ELNS1_3repE0EEENS1_30default_config_static_selectorELNS0_4arch9wavefront6targetE1EEEvT1_,"axG",@progbits,_ZN7rocprim17ROCPRIM_400000_NS6detail17trampoline_kernelINS0_14default_configENS1_27scan_by_key_config_selectorIisEEZZNS1_16scan_by_key_implILNS1_25lookback_scan_determinismE0ELb0ES3_N6thrust23THRUST_200600_302600_NS6detail15normal_iteratorINS9_10device_ptrIiEEEENSB_INSC_IsEEEESG_sNS9_4plusIvEENS9_8equal_toIvEEsEE10hipError_tPvRmT2_T3_T4_T5_mT6_T7_P12ihipStream_tbENKUlT_T0_E_clISt17integral_constantIbLb0EES11_EEDaSW_SX_EUlSW_E_NS1_11comp_targetILNS1_3genE2ELNS1_11target_archE906ELNS1_3gpuE6ELNS1_3repE0EEENS1_30default_config_static_selectorELNS0_4arch9wavefront6targetE1EEEvT1_,comdat
	.protected	_ZN7rocprim17ROCPRIM_400000_NS6detail17trampoline_kernelINS0_14default_configENS1_27scan_by_key_config_selectorIisEEZZNS1_16scan_by_key_implILNS1_25lookback_scan_determinismE0ELb0ES3_N6thrust23THRUST_200600_302600_NS6detail15normal_iteratorINS9_10device_ptrIiEEEENSB_INSC_IsEEEESG_sNS9_4plusIvEENS9_8equal_toIvEEsEE10hipError_tPvRmT2_T3_T4_T5_mT6_T7_P12ihipStream_tbENKUlT_T0_E_clISt17integral_constantIbLb0EES11_EEDaSW_SX_EUlSW_E_NS1_11comp_targetILNS1_3genE2ELNS1_11target_archE906ELNS1_3gpuE6ELNS1_3repE0EEENS1_30default_config_static_selectorELNS0_4arch9wavefront6targetE1EEEvT1_ ; -- Begin function _ZN7rocprim17ROCPRIM_400000_NS6detail17trampoline_kernelINS0_14default_configENS1_27scan_by_key_config_selectorIisEEZZNS1_16scan_by_key_implILNS1_25lookback_scan_determinismE0ELb0ES3_N6thrust23THRUST_200600_302600_NS6detail15normal_iteratorINS9_10device_ptrIiEEEENSB_INSC_IsEEEESG_sNS9_4plusIvEENS9_8equal_toIvEEsEE10hipError_tPvRmT2_T3_T4_T5_mT6_T7_P12ihipStream_tbENKUlT_T0_E_clISt17integral_constantIbLb0EES11_EEDaSW_SX_EUlSW_E_NS1_11comp_targetILNS1_3genE2ELNS1_11target_archE906ELNS1_3gpuE6ELNS1_3repE0EEENS1_30default_config_static_selectorELNS0_4arch9wavefront6targetE1EEEvT1_
	.globl	_ZN7rocprim17ROCPRIM_400000_NS6detail17trampoline_kernelINS0_14default_configENS1_27scan_by_key_config_selectorIisEEZZNS1_16scan_by_key_implILNS1_25lookback_scan_determinismE0ELb0ES3_N6thrust23THRUST_200600_302600_NS6detail15normal_iteratorINS9_10device_ptrIiEEEENSB_INSC_IsEEEESG_sNS9_4plusIvEENS9_8equal_toIvEEsEE10hipError_tPvRmT2_T3_T4_T5_mT6_T7_P12ihipStream_tbENKUlT_T0_E_clISt17integral_constantIbLb0EES11_EEDaSW_SX_EUlSW_E_NS1_11comp_targetILNS1_3genE2ELNS1_11target_archE906ELNS1_3gpuE6ELNS1_3repE0EEENS1_30default_config_static_selectorELNS0_4arch9wavefront6targetE1EEEvT1_
	.p2align	8
	.type	_ZN7rocprim17ROCPRIM_400000_NS6detail17trampoline_kernelINS0_14default_configENS1_27scan_by_key_config_selectorIisEEZZNS1_16scan_by_key_implILNS1_25lookback_scan_determinismE0ELb0ES3_N6thrust23THRUST_200600_302600_NS6detail15normal_iteratorINS9_10device_ptrIiEEEENSB_INSC_IsEEEESG_sNS9_4plusIvEENS9_8equal_toIvEEsEE10hipError_tPvRmT2_T3_T4_T5_mT6_T7_P12ihipStream_tbENKUlT_T0_E_clISt17integral_constantIbLb0EES11_EEDaSW_SX_EUlSW_E_NS1_11comp_targetILNS1_3genE2ELNS1_11target_archE906ELNS1_3gpuE6ELNS1_3repE0EEENS1_30default_config_static_selectorELNS0_4arch9wavefront6targetE1EEEvT1_,@function
_ZN7rocprim17ROCPRIM_400000_NS6detail17trampoline_kernelINS0_14default_configENS1_27scan_by_key_config_selectorIisEEZZNS1_16scan_by_key_implILNS1_25lookback_scan_determinismE0ELb0ES3_N6thrust23THRUST_200600_302600_NS6detail15normal_iteratorINS9_10device_ptrIiEEEENSB_INSC_IsEEEESG_sNS9_4plusIvEENS9_8equal_toIvEEsEE10hipError_tPvRmT2_T3_T4_T5_mT6_T7_P12ihipStream_tbENKUlT_T0_E_clISt17integral_constantIbLb0EES11_EEDaSW_SX_EUlSW_E_NS1_11comp_targetILNS1_3genE2ELNS1_11target_archE906ELNS1_3gpuE6ELNS1_3repE0EEENS1_30default_config_static_selectorELNS0_4arch9wavefront6targetE1EEEvT1_: ; @_ZN7rocprim17ROCPRIM_400000_NS6detail17trampoline_kernelINS0_14default_configENS1_27scan_by_key_config_selectorIisEEZZNS1_16scan_by_key_implILNS1_25lookback_scan_determinismE0ELb0ES3_N6thrust23THRUST_200600_302600_NS6detail15normal_iteratorINS9_10device_ptrIiEEEENSB_INSC_IsEEEESG_sNS9_4plusIvEENS9_8equal_toIvEEsEE10hipError_tPvRmT2_T3_T4_T5_mT6_T7_P12ihipStream_tbENKUlT_T0_E_clISt17integral_constantIbLb0EES11_EEDaSW_SX_EUlSW_E_NS1_11comp_targetILNS1_3genE2ELNS1_11target_archE906ELNS1_3gpuE6ELNS1_3repE0EEENS1_30default_config_static_selectorELNS0_4arch9wavefront6targetE1EEEvT1_
; %bb.0:
	.section	.rodata,"a",@progbits
	.p2align	6, 0x0
	.amdhsa_kernel _ZN7rocprim17ROCPRIM_400000_NS6detail17trampoline_kernelINS0_14default_configENS1_27scan_by_key_config_selectorIisEEZZNS1_16scan_by_key_implILNS1_25lookback_scan_determinismE0ELb0ES3_N6thrust23THRUST_200600_302600_NS6detail15normal_iteratorINS9_10device_ptrIiEEEENSB_INSC_IsEEEESG_sNS9_4plusIvEENS9_8equal_toIvEEsEE10hipError_tPvRmT2_T3_T4_T5_mT6_T7_P12ihipStream_tbENKUlT_T0_E_clISt17integral_constantIbLb0EES11_EEDaSW_SX_EUlSW_E_NS1_11comp_targetILNS1_3genE2ELNS1_11target_archE906ELNS1_3gpuE6ELNS1_3repE0EEENS1_30default_config_static_selectorELNS0_4arch9wavefront6targetE1EEEvT1_
		.amdhsa_group_segment_fixed_size 0
		.amdhsa_private_segment_fixed_size 0
		.amdhsa_kernarg_size 112
		.amdhsa_user_sgpr_count 6
		.amdhsa_user_sgpr_private_segment_buffer 1
		.amdhsa_user_sgpr_dispatch_ptr 0
		.amdhsa_user_sgpr_queue_ptr 0
		.amdhsa_user_sgpr_kernarg_segment_ptr 1
		.amdhsa_user_sgpr_dispatch_id 0
		.amdhsa_user_sgpr_flat_scratch_init 0
		.amdhsa_user_sgpr_kernarg_preload_length 0
		.amdhsa_user_sgpr_kernarg_preload_offset 0
		.amdhsa_user_sgpr_private_segment_size 0
		.amdhsa_uses_dynamic_stack 0
		.amdhsa_system_sgpr_private_segment_wavefront_offset 0
		.amdhsa_system_sgpr_workgroup_id_x 1
		.amdhsa_system_sgpr_workgroup_id_y 0
		.amdhsa_system_sgpr_workgroup_id_z 0
		.amdhsa_system_sgpr_workgroup_info 0
		.amdhsa_system_vgpr_workitem_id 0
		.amdhsa_next_free_vgpr 1
		.amdhsa_next_free_sgpr 0
		.amdhsa_accum_offset 4
		.amdhsa_reserve_vcc 0
		.amdhsa_reserve_flat_scratch 0
		.amdhsa_float_round_mode_32 0
		.amdhsa_float_round_mode_16_64 0
		.amdhsa_float_denorm_mode_32 3
		.amdhsa_float_denorm_mode_16_64 3
		.amdhsa_dx10_clamp 1
		.amdhsa_ieee_mode 1
		.amdhsa_fp16_overflow 0
		.amdhsa_tg_split 0
		.amdhsa_exception_fp_ieee_invalid_op 0
		.amdhsa_exception_fp_denorm_src 0
		.amdhsa_exception_fp_ieee_div_zero 0
		.amdhsa_exception_fp_ieee_overflow 0
		.amdhsa_exception_fp_ieee_underflow 0
		.amdhsa_exception_fp_ieee_inexact 0
		.amdhsa_exception_int_div_zero 0
	.end_amdhsa_kernel
	.section	.text._ZN7rocprim17ROCPRIM_400000_NS6detail17trampoline_kernelINS0_14default_configENS1_27scan_by_key_config_selectorIisEEZZNS1_16scan_by_key_implILNS1_25lookback_scan_determinismE0ELb0ES3_N6thrust23THRUST_200600_302600_NS6detail15normal_iteratorINS9_10device_ptrIiEEEENSB_INSC_IsEEEESG_sNS9_4plusIvEENS9_8equal_toIvEEsEE10hipError_tPvRmT2_T3_T4_T5_mT6_T7_P12ihipStream_tbENKUlT_T0_E_clISt17integral_constantIbLb0EES11_EEDaSW_SX_EUlSW_E_NS1_11comp_targetILNS1_3genE2ELNS1_11target_archE906ELNS1_3gpuE6ELNS1_3repE0EEENS1_30default_config_static_selectorELNS0_4arch9wavefront6targetE1EEEvT1_,"axG",@progbits,_ZN7rocprim17ROCPRIM_400000_NS6detail17trampoline_kernelINS0_14default_configENS1_27scan_by_key_config_selectorIisEEZZNS1_16scan_by_key_implILNS1_25lookback_scan_determinismE0ELb0ES3_N6thrust23THRUST_200600_302600_NS6detail15normal_iteratorINS9_10device_ptrIiEEEENSB_INSC_IsEEEESG_sNS9_4plusIvEENS9_8equal_toIvEEsEE10hipError_tPvRmT2_T3_T4_T5_mT6_T7_P12ihipStream_tbENKUlT_T0_E_clISt17integral_constantIbLb0EES11_EEDaSW_SX_EUlSW_E_NS1_11comp_targetILNS1_3genE2ELNS1_11target_archE906ELNS1_3gpuE6ELNS1_3repE0EEENS1_30default_config_static_selectorELNS0_4arch9wavefront6targetE1EEEvT1_,comdat
.Lfunc_end1357:
	.size	_ZN7rocprim17ROCPRIM_400000_NS6detail17trampoline_kernelINS0_14default_configENS1_27scan_by_key_config_selectorIisEEZZNS1_16scan_by_key_implILNS1_25lookback_scan_determinismE0ELb0ES3_N6thrust23THRUST_200600_302600_NS6detail15normal_iteratorINS9_10device_ptrIiEEEENSB_INSC_IsEEEESG_sNS9_4plusIvEENS9_8equal_toIvEEsEE10hipError_tPvRmT2_T3_T4_T5_mT6_T7_P12ihipStream_tbENKUlT_T0_E_clISt17integral_constantIbLb0EES11_EEDaSW_SX_EUlSW_E_NS1_11comp_targetILNS1_3genE2ELNS1_11target_archE906ELNS1_3gpuE6ELNS1_3repE0EEENS1_30default_config_static_selectorELNS0_4arch9wavefront6targetE1EEEvT1_, .Lfunc_end1357-_ZN7rocprim17ROCPRIM_400000_NS6detail17trampoline_kernelINS0_14default_configENS1_27scan_by_key_config_selectorIisEEZZNS1_16scan_by_key_implILNS1_25lookback_scan_determinismE0ELb0ES3_N6thrust23THRUST_200600_302600_NS6detail15normal_iteratorINS9_10device_ptrIiEEEENSB_INSC_IsEEEESG_sNS9_4plusIvEENS9_8equal_toIvEEsEE10hipError_tPvRmT2_T3_T4_T5_mT6_T7_P12ihipStream_tbENKUlT_T0_E_clISt17integral_constantIbLb0EES11_EEDaSW_SX_EUlSW_E_NS1_11comp_targetILNS1_3genE2ELNS1_11target_archE906ELNS1_3gpuE6ELNS1_3repE0EEENS1_30default_config_static_selectorELNS0_4arch9wavefront6targetE1EEEvT1_
                                        ; -- End function
	.section	.AMDGPU.csdata,"",@progbits
; Kernel info:
; codeLenInByte = 0
; NumSgprs: 4
; NumVgprs: 0
; NumAgprs: 0
; TotalNumVgprs: 0
; ScratchSize: 0
; MemoryBound: 0
; FloatMode: 240
; IeeeMode: 1
; LDSByteSize: 0 bytes/workgroup (compile time only)
; SGPRBlocks: 0
; VGPRBlocks: 0
; NumSGPRsForWavesPerEU: 4
; NumVGPRsForWavesPerEU: 1
; AccumOffset: 4
; Occupancy: 8
; WaveLimiterHint : 0
; COMPUTE_PGM_RSRC2:SCRATCH_EN: 0
; COMPUTE_PGM_RSRC2:USER_SGPR: 6
; COMPUTE_PGM_RSRC2:TRAP_HANDLER: 0
; COMPUTE_PGM_RSRC2:TGID_X_EN: 1
; COMPUTE_PGM_RSRC2:TGID_Y_EN: 0
; COMPUTE_PGM_RSRC2:TGID_Z_EN: 0
; COMPUTE_PGM_RSRC2:TIDIG_COMP_CNT: 0
; COMPUTE_PGM_RSRC3_GFX90A:ACCUM_OFFSET: 0
; COMPUTE_PGM_RSRC3_GFX90A:TG_SPLIT: 0
	.section	.text._ZN7rocprim17ROCPRIM_400000_NS6detail17trampoline_kernelINS0_14default_configENS1_27scan_by_key_config_selectorIisEEZZNS1_16scan_by_key_implILNS1_25lookback_scan_determinismE0ELb0ES3_N6thrust23THRUST_200600_302600_NS6detail15normal_iteratorINS9_10device_ptrIiEEEENSB_INSC_IsEEEESG_sNS9_4plusIvEENS9_8equal_toIvEEsEE10hipError_tPvRmT2_T3_T4_T5_mT6_T7_P12ihipStream_tbENKUlT_T0_E_clISt17integral_constantIbLb0EES11_EEDaSW_SX_EUlSW_E_NS1_11comp_targetILNS1_3genE10ELNS1_11target_archE1200ELNS1_3gpuE4ELNS1_3repE0EEENS1_30default_config_static_selectorELNS0_4arch9wavefront6targetE1EEEvT1_,"axG",@progbits,_ZN7rocprim17ROCPRIM_400000_NS6detail17trampoline_kernelINS0_14default_configENS1_27scan_by_key_config_selectorIisEEZZNS1_16scan_by_key_implILNS1_25lookback_scan_determinismE0ELb0ES3_N6thrust23THRUST_200600_302600_NS6detail15normal_iteratorINS9_10device_ptrIiEEEENSB_INSC_IsEEEESG_sNS9_4plusIvEENS9_8equal_toIvEEsEE10hipError_tPvRmT2_T3_T4_T5_mT6_T7_P12ihipStream_tbENKUlT_T0_E_clISt17integral_constantIbLb0EES11_EEDaSW_SX_EUlSW_E_NS1_11comp_targetILNS1_3genE10ELNS1_11target_archE1200ELNS1_3gpuE4ELNS1_3repE0EEENS1_30default_config_static_selectorELNS0_4arch9wavefront6targetE1EEEvT1_,comdat
	.protected	_ZN7rocprim17ROCPRIM_400000_NS6detail17trampoline_kernelINS0_14default_configENS1_27scan_by_key_config_selectorIisEEZZNS1_16scan_by_key_implILNS1_25lookback_scan_determinismE0ELb0ES3_N6thrust23THRUST_200600_302600_NS6detail15normal_iteratorINS9_10device_ptrIiEEEENSB_INSC_IsEEEESG_sNS9_4plusIvEENS9_8equal_toIvEEsEE10hipError_tPvRmT2_T3_T4_T5_mT6_T7_P12ihipStream_tbENKUlT_T0_E_clISt17integral_constantIbLb0EES11_EEDaSW_SX_EUlSW_E_NS1_11comp_targetILNS1_3genE10ELNS1_11target_archE1200ELNS1_3gpuE4ELNS1_3repE0EEENS1_30default_config_static_selectorELNS0_4arch9wavefront6targetE1EEEvT1_ ; -- Begin function _ZN7rocprim17ROCPRIM_400000_NS6detail17trampoline_kernelINS0_14default_configENS1_27scan_by_key_config_selectorIisEEZZNS1_16scan_by_key_implILNS1_25lookback_scan_determinismE0ELb0ES3_N6thrust23THRUST_200600_302600_NS6detail15normal_iteratorINS9_10device_ptrIiEEEENSB_INSC_IsEEEESG_sNS9_4plusIvEENS9_8equal_toIvEEsEE10hipError_tPvRmT2_T3_T4_T5_mT6_T7_P12ihipStream_tbENKUlT_T0_E_clISt17integral_constantIbLb0EES11_EEDaSW_SX_EUlSW_E_NS1_11comp_targetILNS1_3genE10ELNS1_11target_archE1200ELNS1_3gpuE4ELNS1_3repE0EEENS1_30default_config_static_selectorELNS0_4arch9wavefront6targetE1EEEvT1_
	.globl	_ZN7rocprim17ROCPRIM_400000_NS6detail17trampoline_kernelINS0_14default_configENS1_27scan_by_key_config_selectorIisEEZZNS1_16scan_by_key_implILNS1_25lookback_scan_determinismE0ELb0ES3_N6thrust23THRUST_200600_302600_NS6detail15normal_iteratorINS9_10device_ptrIiEEEENSB_INSC_IsEEEESG_sNS9_4plusIvEENS9_8equal_toIvEEsEE10hipError_tPvRmT2_T3_T4_T5_mT6_T7_P12ihipStream_tbENKUlT_T0_E_clISt17integral_constantIbLb0EES11_EEDaSW_SX_EUlSW_E_NS1_11comp_targetILNS1_3genE10ELNS1_11target_archE1200ELNS1_3gpuE4ELNS1_3repE0EEENS1_30default_config_static_selectorELNS0_4arch9wavefront6targetE1EEEvT1_
	.p2align	8
	.type	_ZN7rocprim17ROCPRIM_400000_NS6detail17trampoline_kernelINS0_14default_configENS1_27scan_by_key_config_selectorIisEEZZNS1_16scan_by_key_implILNS1_25lookback_scan_determinismE0ELb0ES3_N6thrust23THRUST_200600_302600_NS6detail15normal_iteratorINS9_10device_ptrIiEEEENSB_INSC_IsEEEESG_sNS9_4plusIvEENS9_8equal_toIvEEsEE10hipError_tPvRmT2_T3_T4_T5_mT6_T7_P12ihipStream_tbENKUlT_T0_E_clISt17integral_constantIbLb0EES11_EEDaSW_SX_EUlSW_E_NS1_11comp_targetILNS1_3genE10ELNS1_11target_archE1200ELNS1_3gpuE4ELNS1_3repE0EEENS1_30default_config_static_selectorELNS0_4arch9wavefront6targetE1EEEvT1_,@function
_ZN7rocprim17ROCPRIM_400000_NS6detail17trampoline_kernelINS0_14default_configENS1_27scan_by_key_config_selectorIisEEZZNS1_16scan_by_key_implILNS1_25lookback_scan_determinismE0ELb0ES3_N6thrust23THRUST_200600_302600_NS6detail15normal_iteratorINS9_10device_ptrIiEEEENSB_INSC_IsEEEESG_sNS9_4plusIvEENS9_8equal_toIvEEsEE10hipError_tPvRmT2_T3_T4_T5_mT6_T7_P12ihipStream_tbENKUlT_T0_E_clISt17integral_constantIbLb0EES11_EEDaSW_SX_EUlSW_E_NS1_11comp_targetILNS1_3genE10ELNS1_11target_archE1200ELNS1_3gpuE4ELNS1_3repE0EEENS1_30default_config_static_selectorELNS0_4arch9wavefront6targetE1EEEvT1_: ; @_ZN7rocprim17ROCPRIM_400000_NS6detail17trampoline_kernelINS0_14default_configENS1_27scan_by_key_config_selectorIisEEZZNS1_16scan_by_key_implILNS1_25lookback_scan_determinismE0ELb0ES3_N6thrust23THRUST_200600_302600_NS6detail15normal_iteratorINS9_10device_ptrIiEEEENSB_INSC_IsEEEESG_sNS9_4plusIvEENS9_8equal_toIvEEsEE10hipError_tPvRmT2_T3_T4_T5_mT6_T7_P12ihipStream_tbENKUlT_T0_E_clISt17integral_constantIbLb0EES11_EEDaSW_SX_EUlSW_E_NS1_11comp_targetILNS1_3genE10ELNS1_11target_archE1200ELNS1_3gpuE4ELNS1_3repE0EEENS1_30default_config_static_selectorELNS0_4arch9wavefront6targetE1EEEvT1_
; %bb.0:
	.section	.rodata,"a",@progbits
	.p2align	6, 0x0
	.amdhsa_kernel _ZN7rocprim17ROCPRIM_400000_NS6detail17trampoline_kernelINS0_14default_configENS1_27scan_by_key_config_selectorIisEEZZNS1_16scan_by_key_implILNS1_25lookback_scan_determinismE0ELb0ES3_N6thrust23THRUST_200600_302600_NS6detail15normal_iteratorINS9_10device_ptrIiEEEENSB_INSC_IsEEEESG_sNS9_4plusIvEENS9_8equal_toIvEEsEE10hipError_tPvRmT2_T3_T4_T5_mT6_T7_P12ihipStream_tbENKUlT_T0_E_clISt17integral_constantIbLb0EES11_EEDaSW_SX_EUlSW_E_NS1_11comp_targetILNS1_3genE10ELNS1_11target_archE1200ELNS1_3gpuE4ELNS1_3repE0EEENS1_30default_config_static_selectorELNS0_4arch9wavefront6targetE1EEEvT1_
		.amdhsa_group_segment_fixed_size 0
		.amdhsa_private_segment_fixed_size 0
		.amdhsa_kernarg_size 112
		.amdhsa_user_sgpr_count 6
		.amdhsa_user_sgpr_private_segment_buffer 1
		.amdhsa_user_sgpr_dispatch_ptr 0
		.amdhsa_user_sgpr_queue_ptr 0
		.amdhsa_user_sgpr_kernarg_segment_ptr 1
		.amdhsa_user_sgpr_dispatch_id 0
		.amdhsa_user_sgpr_flat_scratch_init 0
		.amdhsa_user_sgpr_kernarg_preload_length 0
		.amdhsa_user_sgpr_kernarg_preload_offset 0
		.amdhsa_user_sgpr_private_segment_size 0
		.amdhsa_uses_dynamic_stack 0
		.amdhsa_system_sgpr_private_segment_wavefront_offset 0
		.amdhsa_system_sgpr_workgroup_id_x 1
		.amdhsa_system_sgpr_workgroup_id_y 0
		.amdhsa_system_sgpr_workgroup_id_z 0
		.amdhsa_system_sgpr_workgroup_info 0
		.amdhsa_system_vgpr_workitem_id 0
		.amdhsa_next_free_vgpr 1
		.amdhsa_next_free_sgpr 0
		.amdhsa_accum_offset 4
		.amdhsa_reserve_vcc 0
		.amdhsa_reserve_flat_scratch 0
		.amdhsa_float_round_mode_32 0
		.amdhsa_float_round_mode_16_64 0
		.amdhsa_float_denorm_mode_32 3
		.amdhsa_float_denorm_mode_16_64 3
		.amdhsa_dx10_clamp 1
		.amdhsa_ieee_mode 1
		.amdhsa_fp16_overflow 0
		.amdhsa_tg_split 0
		.amdhsa_exception_fp_ieee_invalid_op 0
		.amdhsa_exception_fp_denorm_src 0
		.amdhsa_exception_fp_ieee_div_zero 0
		.amdhsa_exception_fp_ieee_overflow 0
		.amdhsa_exception_fp_ieee_underflow 0
		.amdhsa_exception_fp_ieee_inexact 0
		.amdhsa_exception_int_div_zero 0
	.end_amdhsa_kernel
	.section	.text._ZN7rocprim17ROCPRIM_400000_NS6detail17trampoline_kernelINS0_14default_configENS1_27scan_by_key_config_selectorIisEEZZNS1_16scan_by_key_implILNS1_25lookback_scan_determinismE0ELb0ES3_N6thrust23THRUST_200600_302600_NS6detail15normal_iteratorINS9_10device_ptrIiEEEENSB_INSC_IsEEEESG_sNS9_4plusIvEENS9_8equal_toIvEEsEE10hipError_tPvRmT2_T3_T4_T5_mT6_T7_P12ihipStream_tbENKUlT_T0_E_clISt17integral_constantIbLb0EES11_EEDaSW_SX_EUlSW_E_NS1_11comp_targetILNS1_3genE10ELNS1_11target_archE1200ELNS1_3gpuE4ELNS1_3repE0EEENS1_30default_config_static_selectorELNS0_4arch9wavefront6targetE1EEEvT1_,"axG",@progbits,_ZN7rocprim17ROCPRIM_400000_NS6detail17trampoline_kernelINS0_14default_configENS1_27scan_by_key_config_selectorIisEEZZNS1_16scan_by_key_implILNS1_25lookback_scan_determinismE0ELb0ES3_N6thrust23THRUST_200600_302600_NS6detail15normal_iteratorINS9_10device_ptrIiEEEENSB_INSC_IsEEEESG_sNS9_4plusIvEENS9_8equal_toIvEEsEE10hipError_tPvRmT2_T3_T4_T5_mT6_T7_P12ihipStream_tbENKUlT_T0_E_clISt17integral_constantIbLb0EES11_EEDaSW_SX_EUlSW_E_NS1_11comp_targetILNS1_3genE10ELNS1_11target_archE1200ELNS1_3gpuE4ELNS1_3repE0EEENS1_30default_config_static_selectorELNS0_4arch9wavefront6targetE1EEEvT1_,comdat
.Lfunc_end1358:
	.size	_ZN7rocprim17ROCPRIM_400000_NS6detail17trampoline_kernelINS0_14default_configENS1_27scan_by_key_config_selectorIisEEZZNS1_16scan_by_key_implILNS1_25lookback_scan_determinismE0ELb0ES3_N6thrust23THRUST_200600_302600_NS6detail15normal_iteratorINS9_10device_ptrIiEEEENSB_INSC_IsEEEESG_sNS9_4plusIvEENS9_8equal_toIvEEsEE10hipError_tPvRmT2_T3_T4_T5_mT6_T7_P12ihipStream_tbENKUlT_T0_E_clISt17integral_constantIbLb0EES11_EEDaSW_SX_EUlSW_E_NS1_11comp_targetILNS1_3genE10ELNS1_11target_archE1200ELNS1_3gpuE4ELNS1_3repE0EEENS1_30default_config_static_selectorELNS0_4arch9wavefront6targetE1EEEvT1_, .Lfunc_end1358-_ZN7rocprim17ROCPRIM_400000_NS6detail17trampoline_kernelINS0_14default_configENS1_27scan_by_key_config_selectorIisEEZZNS1_16scan_by_key_implILNS1_25lookback_scan_determinismE0ELb0ES3_N6thrust23THRUST_200600_302600_NS6detail15normal_iteratorINS9_10device_ptrIiEEEENSB_INSC_IsEEEESG_sNS9_4plusIvEENS9_8equal_toIvEEsEE10hipError_tPvRmT2_T3_T4_T5_mT6_T7_P12ihipStream_tbENKUlT_T0_E_clISt17integral_constantIbLb0EES11_EEDaSW_SX_EUlSW_E_NS1_11comp_targetILNS1_3genE10ELNS1_11target_archE1200ELNS1_3gpuE4ELNS1_3repE0EEENS1_30default_config_static_selectorELNS0_4arch9wavefront6targetE1EEEvT1_
                                        ; -- End function
	.section	.AMDGPU.csdata,"",@progbits
; Kernel info:
; codeLenInByte = 0
; NumSgprs: 4
; NumVgprs: 0
; NumAgprs: 0
; TotalNumVgprs: 0
; ScratchSize: 0
; MemoryBound: 0
; FloatMode: 240
; IeeeMode: 1
; LDSByteSize: 0 bytes/workgroup (compile time only)
; SGPRBlocks: 0
; VGPRBlocks: 0
; NumSGPRsForWavesPerEU: 4
; NumVGPRsForWavesPerEU: 1
; AccumOffset: 4
; Occupancy: 8
; WaveLimiterHint : 0
; COMPUTE_PGM_RSRC2:SCRATCH_EN: 0
; COMPUTE_PGM_RSRC2:USER_SGPR: 6
; COMPUTE_PGM_RSRC2:TRAP_HANDLER: 0
; COMPUTE_PGM_RSRC2:TGID_X_EN: 1
; COMPUTE_PGM_RSRC2:TGID_Y_EN: 0
; COMPUTE_PGM_RSRC2:TGID_Z_EN: 0
; COMPUTE_PGM_RSRC2:TIDIG_COMP_CNT: 0
; COMPUTE_PGM_RSRC3_GFX90A:ACCUM_OFFSET: 0
; COMPUTE_PGM_RSRC3_GFX90A:TG_SPLIT: 0
	.section	.text._ZN7rocprim17ROCPRIM_400000_NS6detail17trampoline_kernelINS0_14default_configENS1_27scan_by_key_config_selectorIisEEZZNS1_16scan_by_key_implILNS1_25lookback_scan_determinismE0ELb0ES3_N6thrust23THRUST_200600_302600_NS6detail15normal_iteratorINS9_10device_ptrIiEEEENSB_INSC_IsEEEESG_sNS9_4plusIvEENS9_8equal_toIvEEsEE10hipError_tPvRmT2_T3_T4_T5_mT6_T7_P12ihipStream_tbENKUlT_T0_E_clISt17integral_constantIbLb0EES11_EEDaSW_SX_EUlSW_E_NS1_11comp_targetILNS1_3genE9ELNS1_11target_archE1100ELNS1_3gpuE3ELNS1_3repE0EEENS1_30default_config_static_selectorELNS0_4arch9wavefront6targetE1EEEvT1_,"axG",@progbits,_ZN7rocprim17ROCPRIM_400000_NS6detail17trampoline_kernelINS0_14default_configENS1_27scan_by_key_config_selectorIisEEZZNS1_16scan_by_key_implILNS1_25lookback_scan_determinismE0ELb0ES3_N6thrust23THRUST_200600_302600_NS6detail15normal_iteratorINS9_10device_ptrIiEEEENSB_INSC_IsEEEESG_sNS9_4plusIvEENS9_8equal_toIvEEsEE10hipError_tPvRmT2_T3_T4_T5_mT6_T7_P12ihipStream_tbENKUlT_T0_E_clISt17integral_constantIbLb0EES11_EEDaSW_SX_EUlSW_E_NS1_11comp_targetILNS1_3genE9ELNS1_11target_archE1100ELNS1_3gpuE3ELNS1_3repE0EEENS1_30default_config_static_selectorELNS0_4arch9wavefront6targetE1EEEvT1_,comdat
	.protected	_ZN7rocprim17ROCPRIM_400000_NS6detail17trampoline_kernelINS0_14default_configENS1_27scan_by_key_config_selectorIisEEZZNS1_16scan_by_key_implILNS1_25lookback_scan_determinismE0ELb0ES3_N6thrust23THRUST_200600_302600_NS6detail15normal_iteratorINS9_10device_ptrIiEEEENSB_INSC_IsEEEESG_sNS9_4plusIvEENS9_8equal_toIvEEsEE10hipError_tPvRmT2_T3_T4_T5_mT6_T7_P12ihipStream_tbENKUlT_T0_E_clISt17integral_constantIbLb0EES11_EEDaSW_SX_EUlSW_E_NS1_11comp_targetILNS1_3genE9ELNS1_11target_archE1100ELNS1_3gpuE3ELNS1_3repE0EEENS1_30default_config_static_selectorELNS0_4arch9wavefront6targetE1EEEvT1_ ; -- Begin function _ZN7rocprim17ROCPRIM_400000_NS6detail17trampoline_kernelINS0_14default_configENS1_27scan_by_key_config_selectorIisEEZZNS1_16scan_by_key_implILNS1_25lookback_scan_determinismE0ELb0ES3_N6thrust23THRUST_200600_302600_NS6detail15normal_iteratorINS9_10device_ptrIiEEEENSB_INSC_IsEEEESG_sNS9_4plusIvEENS9_8equal_toIvEEsEE10hipError_tPvRmT2_T3_T4_T5_mT6_T7_P12ihipStream_tbENKUlT_T0_E_clISt17integral_constantIbLb0EES11_EEDaSW_SX_EUlSW_E_NS1_11comp_targetILNS1_3genE9ELNS1_11target_archE1100ELNS1_3gpuE3ELNS1_3repE0EEENS1_30default_config_static_selectorELNS0_4arch9wavefront6targetE1EEEvT1_
	.globl	_ZN7rocprim17ROCPRIM_400000_NS6detail17trampoline_kernelINS0_14default_configENS1_27scan_by_key_config_selectorIisEEZZNS1_16scan_by_key_implILNS1_25lookback_scan_determinismE0ELb0ES3_N6thrust23THRUST_200600_302600_NS6detail15normal_iteratorINS9_10device_ptrIiEEEENSB_INSC_IsEEEESG_sNS9_4plusIvEENS9_8equal_toIvEEsEE10hipError_tPvRmT2_T3_T4_T5_mT6_T7_P12ihipStream_tbENKUlT_T0_E_clISt17integral_constantIbLb0EES11_EEDaSW_SX_EUlSW_E_NS1_11comp_targetILNS1_3genE9ELNS1_11target_archE1100ELNS1_3gpuE3ELNS1_3repE0EEENS1_30default_config_static_selectorELNS0_4arch9wavefront6targetE1EEEvT1_
	.p2align	8
	.type	_ZN7rocprim17ROCPRIM_400000_NS6detail17trampoline_kernelINS0_14default_configENS1_27scan_by_key_config_selectorIisEEZZNS1_16scan_by_key_implILNS1_25lookback_scan_determinismE0ELb0ES3_N6thrust23THRUST_200600_302600_NS6detail15normal_iteratorINS9_10device_ptrIiEEEENSB_INSC_IsEEEESG_sNS9_4plusIvEENS9_8equal_toIvEEsEE10hipError_tPvRmT2_T3_T4_T5_mT6_T7_P12ihipStream_tbENKUlT_T0_E_clISt17integral_constantIbLb0EES11_EEDaSW_SX_EUlSW_E_NS1_11comp_targetILNS1_3genE9ELNS1_11target_archE1100ELNS1_3gpuE3ELNS1_3repE0EEENS1_30default_config_static_selectorELNS0_4arch9wavefront6targetE1EEEvT1_,@function
_ZN7rocprim17ROCPRIM_400000_NS6detail17trampoline_kernelINS0_14default_configENS1_27scan_by_key_config_selectorIisEEZZNS1_16scan_by_key_implILNS1_25lookback_scan_determinismE0ELb0ES3_N6thrust23THRUST_200600_302600_NS6detail15normal_iteratorINS9_10device_ptrIiEEEENSB_INSC_IsEEEESG_sNS9_4plusIvEENS9_8equal_toIvEEsEE10hipError_tPvRmT2_T3_T4_T5_mT6_T7_P12ihipStream_tbENKUlT_T0_E_clISt17integral_constantIbLb0EES11_EEDaSW_SX_EUlSW_E_NS1_11comp_targetILNS1_3genE9ELNS1_11target_archE1100ELNS1_3gpuE3ELNS1_3repE0EEENS1_30default_config_static_selectorELNS0_4arch9wavefront6targetE1EEEvT1_: ; @_ZN7rocprim17ROCPRIM_400000_NS6detail17trampoline_kernelINS0_14default_configENS1_27scan_by_key_config_selectorIisEEZZNS1_16scan_by_key_implILNS1_25lookback_scan_determinismE0ELb0ES3_N6thrust23THRUST_200600_302600_NS6detail15normal_iteratorINS9_10device_ptrIiEEEENSB_INSC_IsEEEESG_sNS9_4plusIvEENS9_8equal_toIvEEsEE10hipError_tPvRmT2_T3_T4_T5_mT6_T7_P12ihipStream_tbENKUlT_T0_E_clISt17integral_constantIbLb0EES11_EEDaSW_SX_EUlSW_E_NS1_11comp_targetILNS1_3genE9ELNS1_11target_archE1100ELNS1_3gpuE3ELNS1_3repE0EEENS1_30default_config_static_selectorELNS0_4arch9wavefront6targetE1EEEvT1_
; %bb.0:
	.section	.rodata,"a",@progbits
	.p2align	6, 0x0
	.amdhsa_kernel _ZN7rocprim17ROCPRIM_400000_NS6detail17trampoline_kernelINS0_14default_configENS1_27scan_by_key_config_selectorIisEEZZNS1_16scan_by_key_implILNS1_25lookback_scan_determinismE0ELb0ES3_N6thrust23THRUST_200600_302600_NS6detail15normal_iteratorINS9_10device_ptrIiEEEENSB_INSC_IsEEEESG_sNS9_4plusIvEENS9_8equal_toIvEEsEE10hipError_tPvRmT2_T3_T4_T5_mT6_T7_P12ihipStream_tbENKUlT_T0_E_clISt17integral_constantIbLb0EES11_EEDaSW_SX_EUlSW_E_NS1_11comp_targetILNS1_3genE9ELNS1_11target_archE1100ELNS1_3gpuE3ELNS1_3repE0EEENS1_30default_config_static_selectorELNS0_4arch9wavefront6targetE1EEEvT1_
		.amdhsa_group_segment_fixed_size 0
		.amdhsa_private_segment_fixed_size 0
		.amdhsa_kernarg_size 112
		.amdhsa_user_sgpr_count 6
		.amdhsa_user_sgpr_private_segment_buffer 1
		.amdhsa_user_sgpr_dispatch_ptr 0
		.amdhsa_user_sgpr_queue_ptr 0
		.amdhsa_user_sgpr_kernarg_segment_ptr 1
		.amdhsa_user_sgpr_dispatch_id 0
		.amdhsa_user_sgpr_flat_scratch_init 0
		.amdhsa_user_sgpr_kernarg_preload_length 0
		.amdhsa_user_sgpr_kernarg_preload_offset 0
		.amdhsa_user_sgpr_private_segment_size 0
		.amdhsa_uses_dynamic_stack 0
		.amdhsa_system_sgpr_private_segment_wavefront_offset 0
		.amdhsa_system_sgpr_workgroup_id_x 1
		.amdhsa_system_sgpr_workgroup_id_y 0
		.amdhsa_system_sgpr_workgroup_id_z 0
		.amdhsa_system_sgpr_workgroup_info 0
		.amdhsa_system_vgpr_workitem_id 0
		.amdhsa_next_free_vgpr 1
		.amdhsa_next_free_sgpr 0
		.amdhsa_accum_offset 4
		.amdhsa_reserve_vcc 0
		.amdhsa_reserve_flat_scratch 0
		.amdhsa_float_round_mode_32 0
		.amdhsa_float_round_mode_16_64 0
		.amdhsa_float_denorm_mode_32 3
		.amdhsa_float_denorm_mode_16_64 3
		.amdhsa_dx10_clamp 1
		.amdhsa_ieee_mode 1
		.amdhsa_fp16_overflow 0
		.amdhsa_tg_split 0
		.amdhsa_exception_fp_ieee_invalid_op 0
		.amdhsa_exception_fp_denorm_src 0
		.amdhsa_exception_fp_ieee_div_zero 0
		.amdhsa_exception_fp_ieee_overflow 0
		.amdhsa_exception_fp_ieee_underflow 0
		.amdhsa_exception_fp_ieee_inexact 0
		.amdhsa_exception_int_div_zero 0
	.end_amdhsa_kernel
	.section	.text._ZN7rocprim17ROCPRIM_400000_NS6detail17trampoline_kernelINS0_14default_configENS1_27scan_by_key_config_selectorIisEEZZNS1_16scan_by_key_implILNS1_25lookback_scan_determinismE0ELb0ES3_N6thrust23THRUST_200600_302600_NS6detail15normal_iteratorINS9_10device_ptrIiEEEENSB_INSC_IsEEEESG_sNS9_4plusIvEENS9_8equal_toIvEEsEE10hipError_tPvRmT2_T3_T4_T5_mT6_T7_P12ihipStream_tbENKUlT_T0_E_clISt17integral_constantIbLb0EES11_EEDaSW_SX_EUlSW_E_NS1_11comp_targetILNS1_3genE9ELNS1_11target_archE1100ELNS1_3gpuE3ELNS1_3repE0EEENS1_30default_config_static_selectorELNS0_4arch9wavefront6targetE1EEEvT1_,"axG",@progbits,_ZN7rocprim17ROCPRIM_400000_NS6detail17trampoline_kernelINS0_14default_configENS1_27scan_by_key_config_selectorIisEEZZNS1_16scan_by_key_implILNS1_25lookback_scan_determinismE0ELb0ES3_N6thrust23THRUST_200600_302600_NS6detail15normal_iteratorINS9_10device_ptrIiEEEENSB_INSC_IsEEEESG_sNS9_4plusIvEENS9_8equal_toIvEEsEE10hipError_tPvRmT2_T3_T4_T5_mT6_T7_P12ihipStream_tbENKUlT_T0_E_clISt17integral_constantIbLb0EES11_EEDaSW_SX_EUlSW_E_NS1_11comp_targetILNS1_3genE9ELNS1_11target_archE1100ELNS1_3gpuE3ELNS1_3repE0EEENS1_30default_config_static_selectorELNS0_4arch9wavefront6targetE1EEEvT1_,comdat
.Lfunc_end1359:
	.size	_ZN7rocprim17ROCPRIM_400000_NS6detail17trampoline_kernelINS0_14default_configENS1_27scan_by_key_config_selectorIisEEZZNS1_16scan_by_key_implILNS1_25lookback_scan_determinismE0ELb0ES3_N6thrust23THRUST_200600_302600_NS6detail15normal_iteratorINS9_10device_ptrIiEEEENSB_INSC_IsEEEESG_sNS9_4plusIvEENS9_8equal_toIvEEsEE10hipError_tPvRmT2_T3_T4_T5_mT6_T7_P12ihipStream_tbENKUlT_T0_E_clISt17integral_constantIbLb0EES11_EEDaSW_SX_EUlSW_E_NS1_11comp_targetILNS1_3genE9ELNS1_11target_archE1100ELNS1_3gpuE3ELNS1_3repE0EEENS1_30default_config_static_selectorELNS0_4arch9wavefront6targetE1EEEvT1_, .Lfunc_end1359-_ZN7rocprim17ROCPRIM_400000_NS6detail17trampoline_kernelINS0_14default_configENS1_27scan_by_key_config_selectorIisEEZZNS1_16scan_by_key_implILNS1_25lookback_scan_determinismE0ELb0ES3_N6thrust23THRUST_200600_302600_NS6detail15normal_iteratorINS9_10device_ptrIiEEEENSB_INSC_IsEEEESG_sNS9_4plusIvEENS9_8equal_toIvEEsEE10hipError_tPvRmT2_T3_T4_T5_mT6_T7_P12ihipStream_tbENKUlT_T0_E_clISt17integral_constantIbLb0EES11_EEDaSW_SX_EUlSW_E_NS1_11comp_targetILNS1_3genE9ELNS1_11target_archE1100ELNS1_3gpuE3ELNS1_3repE0EEENS1_30default_config_static_selectorELNS0_4arch9wavefront6targetE1EEEvT1_
                                        ; -- End function
	.section	.AMDGPU.csdata,"",@progbits
; Kernel info:
; codeLenInByte = 0
; NumSgprs: 4
; NumVgprs: 0
; NumAgprs: 0
; TotalNumVgprs: 0
; ScratchSize: 0
; MemoryBound: 0
; FloatMode: 240
; IeeeMode: 1
; LDSByteSize: 0 bytes/workgroup (compile time only)
; SGPRBlocks: 0
; VGPRBlocks: 0
; NumSGPRsForWavesPerEU: 4
; NumVGPRsForWavesPerEU: 1
; AccumOffset: 4
; Occupancy: 8
; WaveLimiterHint : 0
; COMPUTE_PGM_RSRC2:SCRATCH_EN: 0
; COMPUTE_PGM_RSRC2:USER_SGPR: 6
; COMPUTE_PGM_RSRC2:TRAP_HANDLER: 0
; COMPUTE_PGM_RSRC2:TGID_X_EN: 1
; COMPUTE_PGM_RSRC2:TGID_Y_EN: 0
; COMPUTE_PGM_RSRC2:TGID_Z_EN: 0
; COMPUTE_PGM_RSRC2:TIDIG_COMP_CNT: 0
; COMPUTE_PGM_RSRC3_GFX90A:ACCUM_OFFSET: 0
; COMPUTE_PGM_RSRC3_GFX90A:TG_SPLIT: 0
	.section	.text._ZN7rocprim17ROCPRIM_400000_NS6detail17trampoline_kernelINS0_14default_configENS1_27scan_by_key_config_selectorIisEEZZNS1_16scan_by_key_implILNS1_25lookback_scan_determinismE0ELb0ES3_N6thrust23THRUST_200600_302600_NS6detail15normal_iteratorINS9_10device_ptrIiEEEENSB_INSC_IsEEEESG_sNS9_4plusIvEENS9_8equal_toIvEEsEE10hipError_tPvRmT2_T3_T4_T5_mT6_T7_P12ihipStream_tbENKUlT_T0_E_clISt17integral_constantIbLb0EES11_EEDaSW_SX_EUlSW_E_NS1_11comp_targetILNS1_3genE8ELNS1_11target_archE1030ELNS1_3gpuE2ELNS1_3repE0EEENS1_30default_config_static_selectorELNS0_4arch9wavefront6targetE1EEEvT1_,"axG",@progbits,_ZN7rocprim17ROCPRIM_400000_NS6detail17trampoline_kernelINS0_14default_configENS1_27scan_by_key_config_selectorIisEEZZNS1_16scan_by_key_implILNS1_25lookback_scan_determinismE0ELb0ES3_N6thrust23THRUST_200600_302600_NS6detail15normal_iteratorINS9_10device_ptrIiEEEENSB_INSC_IsEEEESG_sNS9_4plusIvEENS9_8equal_toIvEEsEE10hipError_tPvRmT2_T3_T4_T5_mT6_T7_P12ihipStream_tbENKUlT_T0_E_clISt17integral_constantIbLb0EES11_EEDaSW_SX_EUlSW_E_NS1_11comp_targetILNS1_3genE8ELNS1_11target_archE1030ELNS1_3gpuE2ELNS1_3repE0EEENS1_30default_config_static_selectorELNS0_4arch9wavefront6targetE1EEEvT1_,comdat
	.protected	_ZN7rocprim17ROCPRIM_400000_NS6detail17trampoline_kernelINS0_14default_configENS1_27scan_by_key_config_selectorIisEEZZNS1_16scan_by_key_implILNS1_25lookback_scan_determinismE0ELb0ES3_N6thrust23THRUST_200600_302600_NS6detail15normal_iteratorINS9_10device_ptrIiEEEENSB_INSC_IsEEEESG_sNS9_4plusIvEENS9_8equal_toIvEEsEE10hipError_tPvRmT2_T3_T4_T5_mT6_T7_P12ihipStream_tbENKUlT_T0_E_clISt17integral_constantIbLb0EES11_EEDaSW_SX_EUlSW_E_NS1_11comp_targetILNS1_3genE8ELNS1_11target_archE1030ELNS1_3gpuE2ELNS1_3repE0EEENS1_30default_config_static_selectorELNS0_4arch9wavefront6targetE1EEEvT1_ ; -- Begin function _ZN7rocprim17ROCPRIM_400000_NS6detail17trampoline_kernelINS0_14default_configENS1_27scan_by_key_config_selectorIisEEZZNS1_16scan_by_key_implILNS1_25lookback_scan_determinismE0ELb0ES3_N6thrust23THRUST_200600_302600_NS6detail15normal_iteratorINS9_10device_ptrIiEEEENSB_INSC_IsEEEESG_sNS9_4plusIvEENS9_8equal_toIvEEsEE10hipError_tPvRmT2_T3_T4_T5_mT6_T7_P12ihipStream_tbENKUlT_T0_E_clISt17integral_constantIbLb0EES11_EEDaSW_SX_EUlSW_E_NS1_11comp_targetILNS1_3genE8ELNS1_11target_archE1030ELNS1_3gpuE2ELNS1_3repE0EEENS1_30default_config_static_selectorELNS0_4arch9wavefront6targetE1EEEvT1_
	.globl	_ZN7rocprim17ROCPRIM_400000_NS6detail17trampoline_kernelINS0_14default_configENS1_27scan_by_key_config_selectorIisEEZZNS1_16scan_by_key_implILNS1_25lookback_scan_determinismE0ELb0ES3_N6thrust23THRUST_200600_302600_NS6detail15normal_iteratorINS9_10device_ptrIiEEEENSB_INSC_IsEEEESG_sNS9_4plusIvEENS9_8equal_toIvEEsEE10hipError_tPvRmT2_T3_T4_T5_mT6_T7_P12ihipStream_tbENKUlT_T0_E_clISt17integral_constantIbLb0EES11_EEDaSW_SX_EUlSW_E_NS1_11comp_targetILNS1_3genE8ELNS1_11target_archE1030ELNS1_3gpuE2ELNS1_3repE0EEENS1_30default_config_static_selectorELNS0_4arch9wavefront6targetE1EEEvT1_
	.p2align	8
	.type	_ZN7rocprim17ROCPRIM_400000_NS6detail17trampoline_kernelINS0_14default_configENS1_27scan_by_key_config_selectorIisEEZZNS1_16scan_by_key_implILNS1_25lookback_scan_determinismE0ELb0ES3_N6thrust23THRUST_200600_302600_NS6detail15normal_iteratorINS9_10device_ptrIiEEEENSB_INSC_IsEEEESG_sNS9_4plusIvEENS9_8equal_toIvEEsEE10hipError_tPvRmT2_T3_T4_T5_mT6_T7_P12ihipStream_tbENKUlT_T0_E_clISt17integral_constantIbLb0EES11_EEDaSW_SX_EUlSW_E_NS1_11comp_targetILNS1_3genE8ELNS1_11target_archE1030ELNS1_3gpuE2ELNS1_3repE0EEENS1_30default_config_static_selectorELNS0_4arch9wavefront6targetE1EEEvT1_,@function
_ZN7rocprim17ROCPRIM_400000_NS6detail17trampoline_kernelINS0_14default_configENS1_27scan_by_key_config_selectorIisEEZZNS1_16scan_by_key_implILNS1_25lookback_scan_determinismE0ELb0ES3_N6thrust23THRUST_200600_302600_NS6detail15normal_iteratorINS9_10device_ptrIiEEEENSB_INSC_IsEEEESG_sNS9_4plusIvEENS9_8equal_toIvEEsEE10hipError_tPvRmT2_T3_T4_T5_mT6_T7_P12ihipStream_tbENKUlT_T0_E_clISt17integral_constantIbLb0EES11_EEDaSW_SX_EUlSW_E_NS1_11comp_targetILNS1_3genE8ELNS1_11target_archE1030ELNS1_3gpuE2ELNS1_3repE0EEENS1_30default_config_static_selectorELNS0_4arch9wavefront6targetE1EEEvT1_: ; @_ZN7rocprim17ROCPRIM_400000_NS6detail17trampoline_kernelINS0_14default_configENS1_27scan_by_key_config_selectorIisEEZZNS1_16scan_by_key_implILNS1_25lookback_scan_determinismE0ELb0ES3_N6thrust23THRUST_200600_302600_NS6detail15normal_iteratorINS9_10device_ptrIiEEEENSB_INSC_IsEEEESG_sNS9_4plusIvEENS9_8equal_toIvEEsEE10hipError_tPvRmT2_T3_T4_T5_mT6_T7_P12ihipStream_tbENKUlT_T0_E_clISt17integral_constantIbLb0EES11_EEDaSW_SX_EUlSW_E_NS1_11comp_targetILNS1_3genE8ELNS1_11target_archE1030ELNS1_3gpuE2ELNS1_3repE0EEENS1_30default_config_static_selectorELNS0_4arch9wavefront6targetE1EEEvT1_
; %bb.0:
	.section	.rodata,"a",@progbits
	.p2align	6, 0x0
	.amdhsa_kernel _ZN7rocprim17ROCPRIM_400000_NS6detail17trampoline_kernelINS0_14default_configENS1_27scan_by_key_config_selectorIisEEZZNS1_16scan_by_key_implILNS1_25lookback_scan_determinismE0ELb0ES3_N6thrust23THRUST_200600_302600_NS6detail15normal_iteratorINS9_10device_ptrIiEEEENSB_INSC_IsEEEESG_sNS9_4plusIvEENS9_8equal_toIvEEsEE10hipError_tPvRmT2_T3_T4_T5_mT6_T7_P12ihipStream_tbENKUlT_T0_E_clISt17integral_constantIbLb0EES11_EEDaSW_SX_EUlSW_E_NS1_11comp_targetILNS1_3genE8ELNS1_11target_archE1030ELNS1_3gpuE2ELNS1_3repE0EEENS1_30default_config_static_selectorELNS0_4arch9wavefront6targetE1EEEvT1_
		.amdhsa_group_segment_fixed_size 0
		.amdhsa_private_segment_fixed_size 0
		.amdhsa_kernarg_size 112
		.amdhsa_user_sgpr_count 6
		.amdhsa_user_sgpr_private_segment_buffer 1
		.amdhsa_user_sgpr_dispatch_ptr 0
		.amdhsa_user_sgpr_queue_ptr 0
		.amdhsa_user_sgpr_kernarg_segment_ptr 1
		.amdhsa_user_sgpr_dispatch_id 0
		.amdhsa_user_sgpr_flat_scratch_init 0
		.amdhsa_user_sgpr_kernarg_preload_length 0
		.amdhsa_user_sgpr_kernarg_preload_offset 0
		.amdhsa_user_sgpr_private_segment_size 0
		.amdhsa_uses_dynamic_stack 0
		.amdhsa_system_sgpr_private_segment_wavefront_offset 0
		.amdhsa_system_sgpr_workgroup_id_x 1
		.amdhsa_system_sgpr_workgroup_id_y 0
		.amdhsa_system_sgpr_workgroup_id_z 0
		.amdhsa_system_sgpr_workgroup_info 0
		.amdhsa_system_vgpr_workitem_id 0
		.amdhsa_next_free_vgpr 1
		.amdhsa_next_free_sgpr 0
		.amdhsa_accum_offset 4
		.amdhsa_reserve_vcc 0
		.amdhsa_reserve_flat_scratch 0
		.amdhsa_float_round_mode_32 0
		.amdhsa_float_round_mode_16_64 0
		.amdhsa_float_denorm_mode_32 3
		.amdhsa_float_denorm_mode_16_64 3
		.amdhsa_dx10_clamp 1
		.amdhsa_ieee_mode 1
		.amdhsa_fp16_overflow 0
		.amdhsa_tg_split 0
		.amdhsa_exception_fp_ieee_invalid_op 0
		.amdhsa_exception_fp_denorm_src 0
		.amdhsa_exception_fp_ieee_div_zero 0
		.amdhsa_exception_fp_ieee_overflow 0
		.amdhsa_exception_fp_ieee_underflow 0
		.amdhsa_exception_fp_ieee_inexact 0
		.amdhsa_exception_int_div_zero 0
	.end_amdhsa_kernel
	.section	.text._ZN7rocprim17ROCPRIM_400000_NS6detail17trampoline_kernelINS0_14default_configENS1_27scan_by_key_config_selectorIisEEZZNS1_16scan_by_key_implILNS1_25lookback_scan_determinismE0ELb0ES3_N6thrust23THRUST_200600_302600_NS6detail15normal_iteratorINS9_10device_ptrIiEEEENSB_INSC_IsEEEESG_sNS9_4plusIvEENS9_8equal_toIvEEsEE10hipError_tPvRmT2_T3_T4_T5_mT6_T7_P12ihipStream_tbENKUlT_T0_E_clISt17integral_constantIbLb0EES11_EEDaSW_SX_EUlSW_E_NS1_11comp_targetILNS1_3genE8ELNS1_11target_archE1030ELNS1_3gpuE2ELNS1_3repE0EEENS1_30default_config_static_selectorELNS0_4arch9wavefront6targetE1EEEvT1_,"axG",@progbits,_ZN7rocprim17ROCPRIM_400000_NS6detail17trampoline_kernelINS0_14default_configENS1_27scan_by_key_config_selectorIisEEZZNS1_16scan_by_key_implILNS1_25lookback_scan_determinismE0ELb0ES3_N6thrust23THRUST_200600_302600_NS6detail15normal_iteratorINS9_10device_ptrIiEEEENSB_INSC_IsEEEESG_sNS9_4plusIvEENS9_8equal_toIvEEsEE10hipError_tPvRmT2_T3_T4_T5_mT6_T7_P12ihipStream_tbENKUlT_T0_E_clISt17integral_constantIbLb0EES11_EEDaSW_SX_EUlSW_E_NS1_11comp_targetILNS1_3genE8ELNS1_11target_archE1030ELNS1_3gpuE2ELNS1_3repE0EEENS1_30default_config_static_selectorELNS0_4arch9wavefront6targetE1EEEvT1_,comdat
.Lfunc_end1360:
	.size	_ZN7rocprim17ROCPRIM_400000_NS6detail17trampoline_kernelINS0_14default_configENS1_27scan_by_key_config_selectorIisEEZZNS1_16scan_by_key_implILNS1_25lookback_scan_determinismE0ELb0ES3_N6thrust23THRUST_200600_302600_NS6detail15normal_iteratorINS9_10device_ptrIiEEEENSB_INSC_IsEEEESG_sNS9_4plusIvEENS9_8equal_toIvEEsEE10hipError_tPvRmT2_T3_T4_T5_mT6_T7_P12ihipStream_tbENKUlT_T0_E_clISt17integral_constantIbLb0EES11_EEDaSW_SX_EUlSW_E_NS1_11comp_targetILNS1_3genE8ELNS1_11target_archE1030ELNS1_3gpuE2ELNS1_3repE0EEENS1_30default_config_static_selectorELNS0_4arch9wavefront6targetE1EEEvT1_, .Lfunc_end1360-_ZN7rocprim17ROCPRIM_400000_NS6detail17trampoline_kernelINS0_14default_configENS1_27scan_by_key_config_selectorIisEEZZNS1_16scan_by_key_implILNS1_25lookback_scan_determinismE0ELb0ES3_N6thrust23THRUST_200600_302600_NS6detail15normal_iteratorINS9_10device_ptrIiEEEENSB_INSC_IsEEEESG_sNS9_4plusIvEENS9_8equal_toIvEEsEE10hipError_tPvRmT2_T3_T4_T5_mT6_T7_P12ihipStream_tbENKUlT_T0_E_clISt17integral_constantIbLb0EES11_EEDaSW_SX_EUlSW_E_NS1_11comp_targetILNS1_3genE8ELNS1_11target_archE1030ELNS1_3gpuE2ELNS1_3repE0EEENS1_30default_config_static_selectorELNS0_4arch9wavefront6targetE1EEEvT1_
                                        ; -- End function
	.section	.AMDGPU.csdata,"",@progbits
; Kernel info:
; codeLenInByte = 0
; NumSgprs: 4
; NumVgprs: 0
; NumAgprs: 0
; TotalNumVgprs: 0
; ScratchSize: 0
; MemoryBound: 0
; FloatMode: 240
; IeeeMode: 1
; LDSByteSize: 0 bytes/workgroup (compile time only)
; SGPRBlocks: 0
; VGPRBlocks: 0
; NumSGPRsForWavesPerEU: 4
; NumVGPRsForWavesPerEU: 1
; AccumOffset: 4
; Occupancy: 8
; WaveLimiterHint : 0
; COMPUTE_PGM_RSRC2:SCRATCH_EN: 0
; COMPUTE_PGM_RSRC2:USER_SGPR: 6
; COMPUTE_PGM_RSRC2:TRAP_HANDLER: 0
; COMPUTE_PGM_RSRC2:TGID_X_EN: 1
; COMPUTE_PGM_RSRC2:TGID_Y_EN: 0
; COMPUTE_PGM_RSRC2:TGID_Z_EN: 0
; COMPUTE_PGM_RSRC2:TIDIG_COMP_CNT: 0
; COMPUTE_PGM_RSRC3_GFX90A:ACCUM_OFFSET: 0
; COMPUTE_PGM_RSRC3_GFX90A:TG_SPLIT: 0
	.section	.text._ZN7rocprim17ROCPRIM_400000_NS6detail30init_device_scan_by_key_kernelINS1_19lookback_scan_stateINS0_5tupleIJsbEEELb1ELb1EEEN6thrust23THRUST_200600_302600_NS6detail15normal_iteratorINS8_10device_ptrIiEEEEjNS1_16block_id_wrapperIjLb1EEEEEvT_jjPNSG_10value_typeET0_PNSt15iterator_traitsISJ_E10value_typeEmT1_T2_,"axG",@progbits,_ZN7rocprim17ROCPRIM_400000_NS6detail30init_device_scan_by_key_kernelINS1_19lookback_scan_stateINS0_5tupleIJsbEEELb1ELb1EEEN6thrust23THRUST_200600_302600_NS6detail15normal_iteratorINS8_10device_ptrIiEEEEjNS1_16block_id_wrapperIjLb1EEEEEvT_jjPNSG_10value_typeET0_PNSt15iterator_traitsISJ_E10value_typeEmT1_T2_,comdat
	.protected	_ZN7rocprim17ROCPRIM_400000_NS6detail30init_device_scan_by_key_kernelINS1_19lookback_scan_stateINS0_5tupleIJsbEEELb1ELb1EEEN6thrust23THRUST_200600_302600_NS6detail15normal_iteratorINS8_10device_ptrIiEEEEjNS1_16block_id_wrapperIjLb1EEEEEvT_jjPNSG_10value_typeET0_PNSt15iterator_traitsISJ_E10value_typeEmT1_T2_ ; -- Begin function _ZN7rocprim17ROCPRIM_400000_NS6detail30init_device_scan_by_key_kernelINS1_19lookback_scan_stateINS0_5tupleIJsbEEELb1ELb1EEEN6thrust23THRUST_200600_302600_NS6detail15normal_iteratorINS8_10device_ptrIiEEEEjNS1_16block_id_wrapperIjLb1EEEEEvT_jjPNSG_10value_typeET0_PNSt15iterator_traitsISJ_E10value_typeEmT1_T2_
	.globl	_ZN7rocprim17ROCPRIM_400000_NS6detail30init_device_scan_by_key_kernelINS1_19lookback_scan_stateINS0_5tupleIJsbEEELb1ELb1EEEN6thrust23THRUST_200600_302600_NS6detail15normal_iteratorINS8_10device_ptrIiEEEEjNS1_16block_id_wrapperIjLb1EEEEEvT_jjPNSG_10value_typeET0_PNSt15iterator_traitsISJ_E10value_typeEmT1_T2_
	.p2align	8
	.type	_ZN7rocprim17ROCPRIM_400000_NS6detail30init_device_scan_by_key_kernelINS1_19lookback_scan_stateINS0_5tupleIJsbEEELb1ELb1EEEN6thrust23THRUST_200600_302600_NS6detail15normal_iteratorINS8_10device_ptrIiEEEEjNS1_16block_id_wrapperIjLb1EEEEEvT_jjPNSG_10value_typeET0_PNSt15iterator_traitsISJ_E10value_typeEmT1_T2_,@function
_ZN7rocprim17ROCPRIM_400000_NS6detail30init_device_scan_by_key_kernelINS1_19lookback_scan_stateINS0_5tupleIJsbEEELb1ELb1EEEN6thrust23THRUST_200600_302600_NS6detail15normal_iteratorINS8_10device_ptrIiEEEEjNS1_16block_id_wrapperIjLb1EEEEEvT_jjPNSG_10value_typeET0_PNSt15iterator_traitsISJ_E10value_typeEmT1_T2_: ; @_ZN7rocprim17ROCPRIM_400000_NS6detail30init_device_scan_by_key_kernelINS1_19lookback_scan_stateINS0_5tupleIJsbEEELb1ELb1EEEN6thrust23THRUST_200600_302600_NS6detail15normal_iteratorINS8_10device_ptrIiEEEEjNS1_16block_id_wrapperIjLb1EEEEEvT_jjPNSG_10value_typeET0_PNSt15iterator_traitsISJ_E10value_typeEmT1_T2_
; %bb.0:
	s_load_dword s0, s[4:5], 0x4c
	s_load_dwordx8 s[8:15], s[4:5], 0x0
	s_load_dword s7, s[4:5], 0x40
	s_waitcnt lgkmcnt(0)
	s_and_b32 s16, s0, 0xffff
	s_mul_i32 s6, s6, s16
	s_cmp_eq_u64 s[12:13], 0
	v_add_u32_e32 v0, s6, v0
	s_cbranch_scc1 .LBB1361_9
; %bb.1:
	s_cmp_lt_u32 s11, s10
	s_cselect_b32 s0, s11, 0
	s_mov_b32 s3, 0
	v_cmp_eq_u32_e32 vcc, s0, v0
	s_and_saveexec_b64 s[0:1], vcc
	s_cbranch_execz .LBB1361_8
; %bb.2:
	s_add_i32 s2, s11, 64
	s_lshl_b64 s[2:3], s[2:3], 3
	s_add_u32 s2, s8, s2
	s_addc_u32 s3, s9, s3
	v_mov_b32_e32 v2, 0
	global_load_dwordx2 v[4:5], v2, s[2:3] glc
	s_waitcnt vmcnt(0)
	v_and_b32_e32 v3, 0xff, v5
	v_cmp_ne_u64_e32 vcc, 0, v[2:3]
	s_cbranch_vccnz .LBB1361_7
; %bb.3:
	s_mov_b32 s6, 1
.LBB1361_4:                             ; =>This Loop Header: Depth=1
                                        ;     Child Loop BB1361_5 Depth 2
	s_max_u32 s11, s6, 1
.LBB1361_5:                             ;   Parent Loop BB1361_4 Depth=1
                                        ; =>  This Inner Loop Header: Depth=2
	s_add_i32 s11, s11, -1
	s_cmp_eq_u32 s11, 0
	s_sleep 1
	s_cbranch_scc0 .LBB1361_5
; %bb.6:                                ;   in Loop: Header=BB1361_4 Depth=1
	global_load_dwordx2 v[4:5], v2, s[2:3] glc
	s_cmp_lt_u32 s6, 32
	s_cselect_b64 s[18:19], -1, 0
	s_cmp_lg_u64 s[18:19], 0
	s_addc_u32 s6, s6, 0
	s_waitcnt vmcnt(0)
	v_and_b32_e32 v3, 0xff, v5
	v_cmp_ne_u64_e32 vcc, 0, v[2:3]
	s_cbranch_vccz .LBB1361_4
.LBB1361_7:
	v_mov_b32_e32 v1, 0
	global_store_short v1, v4, s[12:13]
	global_store_byte_d16_hi v1, v4, s[12:13] offset:2
.LBB1361_8:
	s_or_b64 exec, exec, s[0:1]
.LBB1361_9:
	v_cmp_eq_u32_e32 vcc, 0, v0
	s_and_saveexec_b64 s[0:1], vcc
	s_cbranch_execz .LBB1361_11
; %bb.10:
	s_load_dwordx2 s[2:3], s[4:5], 0x38
	v_mov_b32_e32 v1, 0
	s_waitcnt lgkmcnt(0)
	global_store_dword v1, v1, s[2:3]
.LBB1361_11:
	s_or_b64 exec, exec, s[0:1]
	v_cmp_gt_u32_e32 vcc, s10, v0
	s_and_saveexec_b64 s[0:1], vcc
	s_cbranch_execz .LBB1361_13
; %bb.12:
	v_add_u32_e32 v2, 64, v0
	v_mov_b32_e32 v3, 0
	v_lshlrev_b64 v[4:5], 3, v[2:3]
	v_mov_b32_e32 v1, s9
	v_add_co_u32_e32 v4, vcc, s8, v4
	v_addc_co_u32_e32 v5, vcc, v1, v5, vcc
	v_mov_b32_e32 v2, v3
	global_store_dwordx2 v[4:5], v[2:3], off
.LBB1361_13:
	s_or_b64 exec, exec, s[0:1]
	v_cmp_gt_u32_e32 vcc, 64, v0
	v_mov_b32_e32 v1, 0
	s_and_saveexec_b64 s[0:1], vcc
	s_cbranch_execz .LBB1361_15
; %bb.14:
	v_lshlrev_b64 v[2:3], 3, v[0:1]
	v_mov_b32_e32 v4, s9
	v_add_co_u32_e32 v2, vcc, s8, v2
	v_addc_co_u32_e32 v3, vcc, v4, v3, vcc
	v_mov_b32_e32 v5, 0xff
	v_mov_b32_e32 v4, v1
	global_store_dwordx2 v[2:3], v[4:5], off
.LBB1361_15:
	s_or_b64 exec, exec, s[0:1]
	s_load_dwordx2 s[0:1], s[4:5], 0x28
	s_waitcnt lgkmcnt(0)
	v_cmp_gt_u64_e32 vcc, s[0:1], v[0:1]
	s_and_saveexec_b64 s[2:3], vcc
	s_cbranch_execz .LBB1361_18
; %bb.16:
	s_load_dword s10, s[4:5], 0x30
	s_load_dwordx2 s[8:9], s[4:5], 0x20
	s_mov_b32 s5, 0
	s_mov_b32 s3, s5
	s_mul_i32 s2, s7, s16
	s_waitcnt lgkmcnt(0)
	s_add_i32 s4, s10, -1
	s_lshl_b64 s[4:5], s[4:5], 2
	v_mad_u64_u32 v[2:3], s[6:7], s10, v0, 0
	s_add_u32 s4, s14, s4
	v_lshlrev_b64 v[2:3], 2, v[2:3]
	s_addc_u32 s5, s15, s5
	v_mov_b32_e32 v4, s5
	v_add_co_u32_e32 v2, vcc, s4, v2
	v_addc_co_u32_e32 v3, vcc, v4, v3, vcc
	s_mul_hi_u32 s5, s10, s2
	s_mul_i32 s4, s10, s2
	v_lshlrev_b64 v[4:5], 2, v[0:1]
	s_lshl_b64 s[4:5], s[4:5], 2
	v_mov_b32_e32 v6, s9
	v_add_co_u32_e32 v4, vcc, s8, v4
	s_lshl_b64 s[6:7], s[2:3], 2
	v_addc_co_u32_e32 v5, vcc, v6, v5, vcc
	s_mov_b64 s[8:9], 0
	v_mov_b32_e32 v6, s3
	v_mov_b32_e32 v7, s5
	;; [unrolled: 1-line block ×3, first 2 shown]
.LBB1361_17:                            ; =>This Inner Loop Header: Depth=1
	global_load_dword v9, v[2:3], off
	v_add_co_u32_e32 v0, vcc, s2, v0
	v_addc_co_u32_e32 v1, vcc, v1, v6, vcc
	v_add_co_u32_e32 v2, vcc, s4, v2
	v_addc_co_u32_e32 v3, vcc, v3, v7, vcc
	v_cmp_le_u64_e32 vcc, s[0:1], v[0:1]
	s_or_b64 s[8:9], vcc, s[8:9]
	s_waitcnt vmcnt(0)
	global_store_dword v[4:5], v9, off
	v_add_co_u32_e32 v4, vcc, s6, v4
	v_addc_co_u32_e32 v5, vcc, v5, v8, vcc
	s_andn2_b64 exec, exec, s[8:9]
	s_cbranch_execnz .LBB1361_17
.LBB1361_18:
	s_endpgm
	.section	.rodata,"a",@progbits
	.p2align	6, 0x0
	.amdhsa_kernel _ZN7rocprim17ROCPRIM_400000_NS6detail30init_device_scan_by_key_kernelINS1_19lookback_scan_stateINS0_5tupleIJsbEEELb1ELb1EEEN6thrust23THRUST_200600_302600_NS6detail15normal_iteratorINS8_10device_ptrIiEEEEjNS1_16block_id_wrapperIjLb1EEEEEvT_jjPNSG_10value_typeET0_PNSt15iterator_traitsISJ_E10value_typeEmT1_T2_
		.amdhsa_group_segment_fixed_size 0
		.amdhsa_private_segment_fixed_size 0
		.amdhsa_kernarg_size 320
		.amdhsa_user_sgpr_count 6
		.amdhsa_user_sgpr_private_segment_buffer 1
		.amdhsa_user_sgpr_dispatch_ptr 0
		.amdhsa_user_sgpr_queue_ptr 0
		.amdhsa_user_sgpr_kernarg_segment_ptr 1
		.amdhsa_user_sgpr_dispatch_id 0
		.amdhsa_user_sgpr_flat_scratch_init 0
		.amdhsa_user_sgpr_kernarg_preload_length 0
		.amdhsa_user_sgpr_kernarg_preload_offset 0
		.amdhsa_user_sgpr_private_segment_size 0
		.amdhsa_uses_dynamic_stack 0
		.amdhsa_system_sgpr_private_segment_wavefront_offset 0
		.amdhsa_system_sgpr_workgroup_id_x 1
		.amdhsa_system_sgpr_workgroup_id_y 0
		.amdhsa_system_sgpr_workgroup_id_z 0
		.amdhsa_system_sgpr_workgroup_info 0
		.amdhsa_system_vgpr_workitem_id 0
		.amdhsa_next_free_vgpr 10
		.amdhsa_next_free_sgpr 20
		.amdhsa_accum_offset 12
		.amdhsa_reserve_vcc 1
		.amdhsa_reserve_flat_scratch 0
		.amdhsa_float_round_mode_32 0
		.amdhsa_float_round_mode_16_64 0
		.amdhsa_float_denorm_mode_32 3
		.amdhsa_float_denorm_mode_16_64 3
		.amdhsa_dx10_clamp 1
		.amdhsa_ieee_mode 1
		.amdhsa_fp16_overflow 0
		.amdhsa_tg_split 0
		.amdhsa_exception_fp_ieee_invalid_op 0
		.amdhsa_exception_fp_denorm_src 0
		.amdhsa_exception_fp_ieee_div_zero 0
		.amdhsa_exception_fp_ieee_overflow 0
		.amdhsa_exception_fp_ieee_underflow 0
		.amdhsa_exception_fp_ieee_inexact 0
		.amdhsa_exception_int_div_zero 0
	.end_amdhsa_kernel
	.section	.text._ZN7rocprim17ROCPRIM_400000_NS6detail30init_device_scan_by_key_kernelINS1_19lookback_scan_stateINS0_5tupleIJsbEEELb1ELb1EEEN6thrust23THRUST_200600_302600_NS6detail15normal_iteratorINS8_10device_ptrIiEEEEjNS1_16block_id_wrapperIjLb1EEEEEvT_jjPNSG_10value_typeET0_PNSt15iterator_traitsISJ_E10value_typeEmT1_T2_,"axG",@progbits,_ZN7rocprim17ROCPRIM_400000_NS6detail30init_device_scan_by_key_kernelINS1_19lookback_scan_stateINS0_5tupleIJsbEEELb1ELb1EEEN6thrust23THRUST_200600_302600_NS6detail15normal_iteratorINS8_10device_ptrIiEEEEjNS1_16block_id_wrapperIjLb1EEEEEvT_jjPNSG_10value_typeET0_PNSt15iterator_traitsISJ_E10value_typeEmT1_T2_,comdat
.Lfunc_end1361:
	.size	_ZN7rocprim17ROCPRIM_400000_NS6detail30init_device_scan_by_key_kernelINS1_19lookback_scan_stateINS0_5tupleIJsbEEELb1ELb1EEEN6thrust23THRUST_200600_302600_NS6detail15normal_iteratorINS8_10device_ptrIiEEEEjNS1_16block_id_wrapperIjLb1EEEEEvT_jjPNSG_10value_typeET0_PNSt15iterator_traitsISJ_E10value_typeEmT1_T2_, .Lfunc_end1361-_ZN7rocprim17ROCPRIM_400000_NS6detail30init_device_scan_by_key_kernelINS1_19lookback_scan_stateINS0_5tupleIJsbEEELb1ELb1EEEN6thrust23THRUST_200600_302600_NS6detail15normal_iteratorINS8_10device_ptrIiEEEEjNS1_16block_id_wrapperIjLb1EEEEEvT_jjPNSG_10value_typeET0_PNSt15iterator_traitsISJ_E10value_typeEmT1_T2_
                                        ; -- End function
	.section	.AMDGPU.csdata,"",@progbits
; Kernel info:
; codeLenInByte = 588
; NumSgprs: 24
; NumVgprs: 10
; NumAgprs: 0
; TotalNumVgprs: 10
; ScratchSize: 0
; MemoryBound: 0
; FloatMode: 240
; IeeeMode: 1
; LDSByteSize: 0 bytes/workgroup (compile time only)
; SGPRBlocks: 2
; VGPRBlocks: 1
; NumSGPRsForWavesPerEU: 24
; NumVGPRsForWavesPerEU: 10
; AccumOffset: 12
; Occupancy: 8
; WaveLimiterHint : 0
; COMPUTE_PGM_RSRC2:SCRATCH_EN: 0
; COMPUTE_PGM_RSRC2:USER_SGPR: 6
; COMPUTE_PGM_RSRC2:TRAP_HANDLER: 0
; COMPUTE_PGM_RSRC2:TGID_X_EN: 1
; COMPUTE_PGM_RSRC2:TGID_Y_EN: 0
; COMPUTE_PGM_RSRC2:TGID_Z_EN: 0
; COMPUTE_PGM_RSRC2:TIDIG_COMP_CNT: 0
; COMPUTE_PGM_RSRC3_GFX90A:ACCUM_OFFSET: 2
; COMPUTE_PGM_RSRC3_GFX90A:TG_SPLIT: 0
	.section	.text._ZN7rocprim17ROCPRIM_400000_NS6detail17trampoline_kernelINS0_14default_configENS1_27scan_by_key_config_selectorIisEEZZNS1_16scan_by_key_implILNS1_25lookback_scan_determinismE0ELb0ES3_N6thrust23THRUST_200600_302600_NS6detail15normal_iteratorINS9_10device_ptrIiEEEENSB_INSC_IsEEEESG_sNS9_4plusIvEENS9_8equal_toIvEEsEE10hipError_tPvRmT2_T3_T4_T5_mT6_T7_P12ihipStream_tbENKUlT_T0_E_clISt17integral_constantIbLb1EES11_EEDaSW_SX_EUlSW_E_NS1_11comp_targetILNS1_3genE0ELNS1_11target_archE4294967295ELNS1_3gpuE0ELNS1_3repE0EEENS1_30default_config_static_selectorELNS0_4arch9wavefront6targetE1EEEvT1_,"axG",@progbits,_ZN7rocprim17ROCPRIM_400000_NS6detail17trampoline_kernelINS0_14default_configENS1_27scan_by_key_config_selectorIisEEZZNS1_16scan_by_key_implILNS1_25lookback_scan_determinismE0ELb0ES3_N6thrust23THRUST_200600_302600_NS6detail15normal_iteratorINS9_10device_ptrIiEEEENSB_INSC_IsEEEESG_sNS9_4plusIvEENS9_8equal_toIvEEsEE10hipError_tPvRmT2_T3_T4_T5_mT6_T7_P12ihipStream_tbENKUlT_T0_E_clISt17integral_constantIbLb1EES11_EEDaSW_SX_EUlSW_E_NS1_11comp_targetILNS1_3genE0ELNS1_11target_archE4294967295ELNS1_3gpuE0ELNS1_3repE0EEENS1_30default_config_static_selectorELNS0_4arch9wavefront6targetE1EEEvT1_,comdat
	.protected	_ZN7rocprim17ROCPRIM_400000_NS6detail17trampoline_kernelINS0_14default_configENS1_27scan_by_key_config_selectorIisEEZZNS1_16scan_by_key_implILNS1_25lookback_scan_determinismE0ELb0ES3_N6thrust23THRUST_200600_302600_NS6detail15normal_iteratorINS9_10device_ptrIiEEEENSB_INSC_IsEEEESG_sNS9_4plusIvEENS9_8equal_toIvEEsEE10hipError_tPvRmT2_T3_T4_T5_mT6_T7_P12ihipStream_tbENKUlT_T0_E_clISt17integral_constantIbLb1EES11_EEDaSW_SX_EUlSW_E_NS1_11comp_targetILNS1_3genE0ELNS1_11target_archE4294967295ELNS1_3gpuE0ELNS1_3repE0EEENS1_30default_config_static_selectorELNS0_4arch9wavefront6targetE1EEEvT1_ ; -- Begin function _ZN7rocprim17ROCPRIM_400000_NS6detail17trampoline_kernelINS0_14default_configENS1_27scan_by_key_config_selectorIisEEZZNS1_16scan_by_key_implILNS1_25lookback_scan_determinismE0ELb0ES3_N6thrust23THRUST_200600_302600_NS6detail15normal_iteratorINS9_10device_ptrIiEEEENSB_INSC_IsEEEESG_sNS9_4plusIvEENS9_8equal_toIvEEsEE10hipError_tPvRmT2_T3_T4_T5_mT6_T7_P12ihipStream_tbENKUlT_T0_E_clISt17integral_constantIbLb1EES11_EEDaSW_SX_EUlSW_E_NS1_11comp_targetILNS1_3genE0ELNS1_11target_archE4294967295ELNS1_3gpuE0ELNS1_3repE0EEENS1_30default_config_static_selectorELNS0_4arch9wavefront6targetE1EEEvT1_
	.globl	_ZN7rocprim17ROCPRIM_400000_NS6detail17trampoline_kernelINS0_14default_configENS1_27scan_by_key_config_selectorIisEEZZNS1_16scan_by_key_implILNS1_25lookback_scan_determinismE0ELb0ES3_N6thrust23THRUST_200600_302600_NS6detail15normal_iteratorINS9_10device_ptrIiEEEENSB_INSC_IsEEEESG_sNS9_4plusIvEENS9_8equal_toIvEEsEE10hipError_tPvRmT2_T3_T4_T5_mT6_T7_P12ihipStream_tbENKUlT_T0_E_clISt17integral_constantIbLb1EES11_EEDaSW_SX_EUlSW_E_NS1_11comp_targetILNS1_3genE0ELNS1_11target_archE4294967295ELNS1_3gpuE0ELNS1_3repE0EEENS1_30default_config_static_selectorELNS0_4arch9wavefront6targetE1EEEvT1_
	.p2align	8
	.type	_ZN7rocprim17ROCPRIM_400000_NS6detail17trampoline_kernelINS0_14default_configENS1_27scan_by_key_config_selectorIisEEZZNS1_16scan_by_key_implILNS1_25lookback_scan_determinismE0ELb0ES3_N6thrust23THRUST_200600_302600_NS6detail15normal_iteratorINS9_10device_ptrIiEEEENSB_INSC_IsEEEESG_sNS9_4plusIvEENS9_8equal_toIvEEsEE10hipError_tPvRmT2_T3_T4_T5_mT6_T7_P12ihipStream_tbENKUlT_T0_E_clISt17integral_constantIbLb1EES11_EEDaSW_SX_EUlSW_E_NS1_11comp_targetILNS1_3genE0ELNS1_11target_archE4294967295ELNS1_3gpuE0ELNS1_3repE0EEENS1_30default_config_static_selectorELNS0_4arch9wavefront6targetE1EEEvT1_,@function
_ZN7rocprim17ROCPRIM_400000_NS6detail17trampoline_kernelINS0_14default_configENS1_27scan_by_key_config_selectorIisEEZZNS1_16scan_by_key_implILNS1_25lookback_scan_determinismE0ELb0ES3_N6thrust23THRUST_200600_302600_NS6detail15normal_iteratorINS9_10device_ptrIiEEEENSB_INSC_IsEEEESG_sNS9_4plusIvEENS9_8equal_toIvEEsEE10hipError_tPvRmT2_T3_T4_T5_mT6_T7_P12ihipStream_tbENKUlT_T0_E_clISt17integral_constantIbLb1EES11_EEDaSW_SX_EUlSW_E_NS1_11comp_targetILNS1_3genE0ELNS1_11target_archE4294967295ELNS1_3gpuE0ELNS1_3repE0EEENS1_30default_config_static_selectorELNS0_4arch9wavefront6targetE1EEEvT1_: ; @_ZN7rocprim17ROCPRIM_400000_NS6detail17trampoline_kernelINS0_14default_configENS1_27scan_by_key_config_selectorIisEEZZNS1_16scan_by_key_implILNS1_25lookback_scan_determinismE0ELb0ES3_N6thrust23THRUST_200600_302600_NS6detail15normal_iteratorINS9_10device_ptrIiEEEENSB_INSC_IsEEEESG_sNS9_4plusIvEENS9_8equal_toIvEEsEE10hipError_tPvRmT2_T3_T4_T5_mT6_T7_P12ihipStream_tbENKUlT_T0_E_clISt17integral_constantIbLb1EES11_EEDaSW_SX_EUlSW_E_NS1_11comp_targetILNS1_3genE0ELNS1_11target_archE4294967295ELNS1_3gpuE0ELNS1_3repE0EEENS1_30default_config_static_selectorELNS0_4arch9wavefront6targetE1EEEvT1_
; %bb.0:
	.section	.rodata,"a",@progbits
	.p2align	6, 0x0
	.amdhsa_kernel _ZN7rocprim17ROCPRIM_400000_NS6detail17trampoline_kernelINS0_14default_configENS1_27scan_by_key_config_selectorIisEEZZNS1_16scan_by_key_implILNS1_25lookback_scan_determinismE0ELb0ES3_N6thrust23THRUST_200600_302600_NS6detail15normal_iteratorINS9_10device_ptrIiEEEENSB_INSC_IsEEEESG_sNS9_4plusIvEENS9_8equal_toIvEEsEE10hipError_tPvRmT2_T3_T4_T5_mT6_T7_P12ihipStream_tbENKUlT_T0_E_clISt17integral_constantIbLb1EES11_EEDaSW_SX_EUlSW_E_NS1_11comp_targetILNS1_3genE0ELNS1_11target_archE4294967295ELNS1_3gpuE0ELNS1_3repE0EEENS1_30default_config_static_selectorELNS0_4arch9wavefront6targetE1EEEvT1_
		.amdhsa_group_segment_fixed_size 0
		.amdhsa_private_segment_fixed_size 0
		.amdhsa_kernarg_size 112
		.amdhsa_user_sgpr_count 6
		.amdhsa_user_sgpr_private_segment_buffer 1
		.amdhsa_user_sgpr_dispatch_ptr 0
		.amdhsa_user_sgpr_queue_ptr 0
		.amdhsa_user_sgpr_kernarg_segment_ptr 1
		.amdhsa_user_sgpr_dispatch_id 0
		.amdhsa_user_sgpr_flat_scratch_init 0
		.amdhsa_user_sgpr_kernarg_preload_length 0
		.amdhsa_user_sgpr_kernarg_preload_offset 0
		.amdhsa_user_sgpr_private_segment_size 0
		.amdhsa_uses_dynamic_stack 0
		.amdhsa_system_sgpr_private_segment_wavefront_offset 0
		.amdhsa_system_sgpr_workgroup_id_x 1
		.amdhsa_system_sgpr_workgroup_id_y 0
		.amdhsa_system_sgpr_workgroup_id_z 0
		.amdhsa_system_sgpr_workgroup_info 0
		.amdhsa_system_vgpr_workitem_id 0
		.amdhsa_next_free_vgpr 1
		.amdhsa_next_free_sgpr 0
		.amdhsa_accum_offset 4
		.amdhsa_reserve_vcc 0
		.amdhsa_reserve_flat_scratch 0
		.amdhsa_float_round_mode_32 0
		.amdhsa_float_round_mode_16_64 0
		.amdhsa_float_denorm_mode_32 3
		.amdhsa_float_denorm_mode_16_64 3
		.amdhsa_dx10_clamp 1
		.amdhsa_ieee_mode 1
		.amdhsa_fp16_overflow 0
		.amdhsa_tg_split 0
		.amdhsa_exception_fp_ieee_invalid_op 0
		.amdhsa_exception_fp_denorm_src 0
		.amdhsa_exception_fp_ieee_div_zero 0
		.amdhsa_exception_fp_ieee_overflow 0
		.amdhsa_exception_fp_ieee_underflow 0
		.amdhsa_exception_fp_ieee_inexact 0
		.amdhsa_exception_int_div_zero 0
	.end_amdhsa_kernel
	.section	.text._ZN7rocprim17ROCPRIM_400000_NS6detail17trampoline_kernelINS0_14default_configENS1_27scan_by_key_config_selectorIisEEZZNS1_16scan_by_key_implILNS1_25lookback_scan_determinismE0ELb0ES3_N6thrust23THRUST_200600_302600_NS6detail15normal_iteratorINS9_10device_ptrIiEEEENSB_INSC_IsEEEESG_sNS9_4plusIvEENS9_8equal_toIvEEsEE10hipError_tPvRmT2_T3_T4_T5_mT6_T7_P12ihipStream_tbENKUlT_T0_E_clISt17integral_constantIbLb1EES11_EEDaSW_SX_EUlSW_E_NS1_11comp_targetILNS1_3genE0ELNS1_11target_archE4294967295ELNS1_3gpuE0ELNS1_3repE0EEENS1_30default_config_static_selectorELNS0_4arch9wavefront6targetE1EEEvT1_,"axG",@progbits,_ZN7rocprim17ROCPRIM_400000_NS6detail17trampoline_kernelINS0_14default_configENS1_27scan_by_key_config_selectorIisEEZZNS1_16scan_by_key_implILNS1_25lookback_scan_determinismE0ELb0ES3_N6thrust23THRUST_200600_302600_NS6detail15normal_iteratorINS9_10device_ptrIiEEEENSB_INSC_IsEEEESG_sNS9_4plusIvEENS9_8equal_toIvEEsEE10hipError_tPvRmT2_T3_T4_T5_mT6_T7_P12ihipStream_tbENKUlT_T0_E_clISt17integral_constantIbLb1EES11_EEDaSW_SX_EUlSW_E_NS1_11comp_targetILNS1_3genE0ELNS1_11target_archE4294967295ELNS1_3gpuE0ELNS1_3repE0EEENS1_30default_config_static_selectorELNS0_4arch9wavefront6targetE1EEEvT1_,comdat
.Lfunc_end1362:
	.size	_ZN7rocprim17ROCPRIM_400000_NS6detail17trampoline_kernelINS0_14default_configENS1_27scan_by_key_config_selectorIisEEZZNS1_16scan_by_key_implILNS1_25lookback_scan_determinismE0ELb0ES3_N6thrust23THRUST_200600_302600_NS6detail15normal_iteratorINS9_10device_ptrIiEEEENSB_INSC_IsEEEESG_sNS9_4plusIvEENS9_8equal_toIvEEsEE10hipError_tPvRmT2_T3_T4_T5_mT6_T7_P12ihipStream_tbENKUlT_T0_E_clISt17integral_constantIbLb1EES11_EEDaSW_SX_EUlSW_E_NS1_11comp_targetILNS1_3genE0ELNS1_11target_archE4294967295ELNS1_3gpuE0ELNS1_3repE0EEENS1_30default_config_static_selectorELNS0_4arch9wavefront6targetE1EEEvT1_, .Lfunc_end1362-_ZN7rocprim17ROCPRIM_400000_NS6detail17trampoline_kernelINS0_14default_configENS1_27scan_by_key_config_selectorIisEEZZNS1_16scan_by_key_implILNS1_25lookback_scan_determinismE0ELb0ES3_N6thrust23THRUST_200600_302600_NS6detail15normal_iteratorINS9_10device_ptrIiEEEENSB_INSC_IsEEEESG_sNS9_4plusIvEENS9_8equal_toIvEEsEE10hipError_tPvRmT2_T3_T4_T5_mT6_T7_P12ihipStream_tbENKUlT_T0_E_clISt17integral_constantIbLb1EES11_EEDaSW_SX_EUlSW_E_NS1_11comp_targetILNS1_3genE0ELNS1_11target_archE4294967295ELNS1_3gpuE0ELNS1_3repE0EEENS1_30default_config_static_selectorELNS0_4arch9wavefront6targetE1EEEvT1_
                                        ; -- End function
	.section	.AMDGPU.csdata,"",@progbits
; Kernel info:
; codeLenInByte = 0
; NumSgprs: 4
; NumVgprs: 0
; NumAgprs: 0
; TotalNumVgprs: 0
; ScratchSize: 0
; MemoryBound: 0
; FloatMode: 240
; IeeeMode: 1
; LDSByteSize: 0 bytes/workgroup (compile time only)
; SGPRBlocks: 0
; VGPRBlocks: 0
; NumSGPRsForWavesPerEU: 4
; NumVGPRsForWavesPerEU: 1
; AccumOffset: 4
; Occupancy: 8
; WaveLimiterHint : 0
; COMPUTE_PGM_RSRC2:SCRATCH_EN: 0
; COMPUTE_PGM_RSRC2:USER_SGPR: 6
; COMPUTE_PGM_RSRC2:TRAP_HANDLER: 0
; COMPUTE_PGM_RSRC2:TGID_X_EN: 1
; COMPUTE_PGM_RSRC2:TGID_Y_EN: 0
; COMPUTE_PGM_RSRC2:TGID_Z_EN: 0
; COMPUTE_PGM_RSRC2:TIDIG_COMP_CNT: 0
; COMPUTE_PGM_RSRC3_GFX90A:ACCUM_OFFSET: 0
; COMPUTE_PGM_RSRC3_GFX90A:TG_SPLIT: 0
	.section	.text._ZN7rocprim17ROCPRIM_400000_NS6detail17trampoline_kernelINS0_14default_configENS1_27scan_by_key_config_selectorIisEEZZNS1_16scan_by_key_implILNS1_25lookback_scan_determinismE0ELb0ES3_N6thrust23THRUST_200600_302600_NS6detail15normal_iteratorINS9_10device_ptrIiEEEENSB_INSC_IsEEEESG_sNS9_4plusIvEENS9_8equal_toIvEEsEE10hipError_tPvRmT2_T3_T4_T5_mT6_T7_P12ihipStream_tbENKUlT_T0_E_clISt17integral_constantIbLb1EES11_EEDaSW_SX_EUlSW_E_NS1_11comp_targetILNS1_3genE10ELNS1_11target_archE1201ELNS1_3gpuE5ELNS1_3repE0EEENS1_30default_config_static_selectorELNS0_4arch9wavefront6targetE1EEEvT1_,"axG",@progbits,_ZN7rocprim17ROCPRIM_400000_NS6detail17trampoline_kernelINS0_14default_configENS1_27scan_by_key_config_selectorIisEEZZNS1_16scan_by_key_implILNS1_25lookback_scan_determinismE0ELb0ES3_N6thrust23THRUST_200600_302600_NS6detail15normal_iteratorINS9_10device_ptrIiEEEENSB_INSC_IsEEEESG_sNS9_4plusIvEENS9_8equal_toIvEEsEE10hipError_tPvRmT2_T3_T4_T5_mT6_T7_P12ihipStream_tbENKUlT_T0_E_clISt17integral_constantIbLb1EES11_EEDaSW_SX_EUlSW_E_NS1_11comp_targetILNS1_3genE10ELNS1_11target_archE1201ELNS1_3gpuE5ELNS1_3repE0EEENS1_30default_config_static_selectorELNS0_4arch9wavefront6targetE1EEEvT1_,comdat
	.protected	_ZN7rocprim17ROCPRIM_400000_NS6detail17trampoline_kernelINS0_14default_configENS1_27scan_by_key_config_selectorIisEEZZNS1_16scan_by_key_implILNS1_25lookback_scan_determinismE0ELb0ES3_N6thrust23THRUST_200600_302600_NS6detail15normal_iteratorINS9_10device_ptrIiEEEENSB_INSC_IsEEEESG_sNS9_4plusIvEENS9_8equal_toIvEEsEE10hipError_tPvRmT2_T3_T4_T5_mT6_T7_P12ihipStream_tbENKUlT_T0_E_clISt17integral_constantIbLb1EES11_EEDaSW_SX_EUlSW_E_NS1_11comp_targetILNS1_3genE10ELNS1_11target_archE1201ELNS1_3gpuE5ELNS1_3repE0EEENS1_30default_config_static_selectorELNS0_4arch9wavefront6targetE1EEEvT1_ ; -- Begin function _ZN7rocprim17ROCPRIM_400000_NS6detail17trampoline_kernelINS0_14default_configENS1_27scan_by_key_config_selectorIisEEZZNS1_16scan_by_key_implILNS1_25lookback_scan_determinismE0ELb0ES3_N6thrust23THRUST_200600_302600_NS6detail15normal_iteratorINS9_10device_ptrIiEEEENSB_INSC_IsEEEESG_sNS9_4plusIvEENS9_8equal_toIvEEsEE10hipError_tPvRmT2_T3_T4_T5_mT6_T7_P12ihipStream_tbENKUlT_T0_E_clISt17integral_constantIbLb1EES11_EEDaSW_SX_EUlSW_E_NS1_11comp_targetILNS1_3genE10ELNS1_11target_archE1201ELNS1_3gpuE5ELNS1_3repE0EEENS1_30default_config_static_selectorELNS0_4arch9wavefront6targetE1EEEvT1_
	.globl	_ZN7rocprim17ROCPRIM_400000_NS6detail17trampoline_kernelINS0_14default_configENS1_27scan_by_key_config_selectorIisEEZZNS1_16scan_by_key_implILNS1_25lookback_scan_determinismE0ELb0ES3_N6thrust23THRUST_200600_302600_NS6detail15normal_iteratorINS9_10device_ptrIiEEEENSB_INSC_IsEEEESG_sNS9_4plusIvEENS9_8equal_toIvEEsEE10hipError_tPvRmT2_T3_T4_T5_mT6_T7_P12ihipStream_tbENKUlT_T0_E_clISt17integral_constantIbLb1EES11_EEDaSW_SX_EUlSW_E_NS1_11comp_targetILNS1_3genE10ELNS1_11target_archE1201ELNS1_3gpuE5ELNS1_3repE0EEENS1_30default_config_static_selectorELNS0_4arch9wavefront6targetE1EEEvT1_
	.p2align	8
	.type	_ZN7rocprim17ROCPRIM_400000_NS6detail17trampoline_kernelINS0_14default_configENS1_27scan_by_key_config_selectorIisEEZZNS1_16scan_by_key_implILNS1_25lookback_scan_determinismE0ELb0ES3_N6thrust23THRUST_200600_302600_NS6detail15normal_iteratorINS9_10device_ptrIiEEEENSB_INSC_IsEEEESG_sNS9_4plusIvEENS9_8equal_toIvEEsEE10hipError_tPvRmT2_T3_T4_T5_mT6_T7_P12ihipStream_tbENKUlT_T0_E_clISt17integral_constantIbLb1EES11_EEDaSW_SX_EUlSW_E_NS1_11comp_targetILNS1_3genE10ELNS1_11target_archE1201ELNS1_3gpuE5ELNS1_3repE0EEENS1_30default_config_static_selectorELNS0_4arch9wavefront6targetE1EEEvT1_,@function
_ZN7rocprim17ROCPRIM_400000_NS6detail17trampoline_kernelINS0_14default_configENS1_27scan_by_key_config_selectorIisEEZZNS1_16scan_by_key_implILNS1_25lookback_scan_determinismE0ELb0ES3_N6thrust23THRUST_200600_302600_NS6detail15normal_iteratorINS9_10device_ptrIiEEEENSB_INSC_IsEEEESG_sNS9_4plusIvEENS9_8equal_toIvEEsEE10hipError_tPvRmT2_T3_T4_T5_mT6_T7_P12ihipStream_tbENKUlT_T0_E_clISt17integral_constantIbLb1EES11_EEDaSW_SX_EUlSW_E_NS1_11comp_targetILNS1_3genE10ELNS1_11target_archE1201ELNS1_3gpuE5ELNS1_3repE0EEENS1_30default_config_static_selectorELNS0_4arch9wavefront6targetE1EEEvT1_: ; @_ZN7rocprim17ROCPRIM_400000_NS6detail17trampoline_kernelINS0_14default_configENS1_27scan_by_key_config_selectorIisEEZZNS1_16scan_by_key_implILNS1_25lookback_scan_determinismE0ELb0ES3_N6thrust23THRUST_200600_302600_NS6detail15normal_iteratorINS9_10device_ptrIiEEEENSB_INSC_IsEEEESG_sNS9_4plusIvEENS9_8equal_toIvEEsEE10hipError_tPvRmT2_T3_T4_T5_mT6_T7_P12ihipStream_tbENKUlT_T0_E_clISt17integral_constantIbLb1EES11_EEDaSW_SX_EUlSW_E_NS1_11comp_targetILNS1_3genE10ELNS1_11target_archE1201ELNS1_3gpuE5ELNS1_3repE0EEENS1_30default_config_static_selectorELNS0_4arch9wavefront6targetE1EEEvT1_
; %bb.0:
	.section	.rodata,"a",@progbits
	.p2align	6, 0x0
	.amdhsa_kernel _ZN7rocprim17ROCPRIM_400000_NS6detail17trampoline_kernelINS0_14default_configENS1_27scan_by_key_config_selectorIisEEZZNS1_16scan_by_key_implILNS1_25lookback_scan_determinismE0ELb0ES3_N6thrust23THRUST_200600_302600_NS6detail15normal_iteratorINS9_10device_ptrIiEEEENSB_INSC_IsEEEESG_sNS9_4plusIvEENS9_8equal_toIvEEsEE10hipError_tPvRmT2_T3_T4_T5_mT6_T7_P12ihipStream_tbENKUlT_T0_E_clISt17integral_constantIbLb1EES11_EEDaSW_SX_EUlSW_E_NS1_11comp_targetILNS1_3genE10ELNS1_11target_archE1201ELNS1_3gpuE5ELNS1_3repE0EEENS1_30default_config_static_selectorELNS0_4arch9wavefront6targetE1EEEvT1_
		.amdhsa_group_segment_fixed_size 0
		.amdhsa_private_segment_fixed_size 0
		.amdhsa_kernarg_size 112
		.amdhsa_user_sgpr_count 6
		.amdhsa_user_sgpr_private_segment_buffer 1
		.amdhsa_user_sgpr_dispatch_ptr 0
		.amdhsa_user_sgpr_queue_ptr 0
		.amdhsa_user_sgpr_kernarg_segment_ptr 1
		.amdhsa_user_sgpr_dispatch_id 0
		.amdhsa_user_sgpr_flat_scratch_init 0
		.amdhsa_user_sgpr_kernarg_preload_length 0
		.amdhsa_user_sgpr_kernarg_preload_offset 0
		.amdhsa_user_sgpr_private_segment_size 0
		.amdhsa_uses_dynamic_stack 0
		.amdhsa_system_sgpr_private_segment_wavefront_offset 0
		.amdhsa_system_sgpr_workgroup_id_x 1
		.amdhsa_system_sgpr_workgroup_id_y 0
		.amdhsa_system_sgpr_workgroup_id_z 0
		.amdhsa_system_sgpr_workgroup_info 0
		.amdhsa_system_vgpr_workitem_id 0
		.amdhsa_next_free_vgpr 1
		.amdhsa_next_free_sgpr 0
		.amdhsa_accum_offset 4
		.amdhsa_reserve_vcc 0
		.amdhsa_reserve_flat_scratch 0
		.amdhsa_float_round_mode_32 0
		.amdhsa_float_round_mode_16_64 0
		.amdhsa_float_denorm_mode_32 3
		.amdhsa_float_denorm_mode_16_64 3
		.amdhsa_dx10_clamp 1
		.amdhsa_ieee_mode 1
		.amdhsa_fp16_overflow 0
		.amdhsa_tg_split 0
		.amdhsa_exception_fp_ieee_invalid_op 0
		.amdhsa_exception_fp_denorm_src 0
		.amdhsa_exception_fp_ieee_div_zero 0
		.amdhsa_exception_fp_ieee_overflow 0
		.amdhsa_exception_fp_ieee_underflow 0
		.amdhsa_exception_fp_ieee_inexact 0
		.amdhsa_exception_int_div_zero 0
	.end_amdhsa_kernel
	.section	.text._ZN7rocprim17ROCPRIM_400000_NS6detail17trampoline_kernelINS0_14default_configENS1_27scan_by_key_config_selectorIisEEZZNS1_16scan_by_key_implILNS1_25lookback_scan_determinismE0ELb0ES3_N6thrust23THRUST_200600_302600_NS6detail15normal_iteratorINS9_10device_ptrIiEEEENSB_INSC_IsEEEESG_sNS9_4plusIvEENS9_8equal_toIvEEsEE10hipError_tPvRmT2_T3_T4_T5_mT6_T7_P12ihipStream_tbENKUlT_T0_E_clISt17integral_constantIbLb1EES11_EEDaSW_SX_EUlSW_E_NS1_11comp_targetILNS1_3genE10ELNS1_11target_archE1201ELNS1_3gpuE5ELNS1_3repE0EEENS1_30default_config_static_selectorELNS0_4arch9wavefront6targetE1EEEvT1_,"axG",@progbits,_ZN7rocprim17ROCPRIM_400000_NS6detail17trampoline_kernelINS0_14default_configENS1_27scan_by_key_config_selectorIisEEZZNS1_16scan_by_key_implILNS1_25lookback_scan_determinismE0ELb0ES3_N6thrust23THRUST_200600_302600_NS6detail15normal_iteratorINS9_10device_ptrIiEEEENSB_INSC_IsEEEESG_sNS9_4plusIvEENS9_8equal_toIvEEsEE10hipError_tPvRmT2_T3_T4_T5_mT6_T7_P12ihipStream_tbENKUlT_T0_E_clISt17integral_constantIbLb1EES11_EEDaSW_SX_EUlSW_E_NS1_11comp_targetILNS1_3genE10ELNS1_11target_archE1201ELNS1_3gpuE5ELNS1_3repE0EEENS1_30default_config_static_selectorELNS0_4arch9wavefront6targetE1EEEvT1_,comdat
.Lfunc_end1363:
	.size	_ZN7rocprim17ROCPRIM_400000_NS6detail17trampoline_kernelINS0_14default_configENS1_27scan_by_key_config_selectorIisEEZZNS1_16scan_by_key_implILNS1_25lookback_scan_determinismE0ELb0ES3_N6thrust23THRUST_200600_302600_NS6detail15normal_iteratorINS9_10device_ptrIiEEEENSB_INSC_IsEEEESG_sNS9_4plusIvEENS9_8equal_toIvEEsEE10hipError_tPvRmT2_T3_T4_T5_mT6_T7_P12ihipStream_tbENKUlT_T0_E_clISt17integral_constantIbLb1EES11_EEDaSW_SX_EUlSW_E_NS1_11comp_targetILNS1_3genE10ELNS1_11target_archE1201ELNS1_3gpuE5ELNS1_3repE0EEENS1_30default_config_static_selectorELNS0_4arch9wavefront6targetE1EEEvT1_, .Lfunc_end1363-_ZN7rocprim17ROCPRIM_400000_NS6detail17trampoline_kernelINS0_14default_configENS1_27scan_by_key_config_selectorIisEEZZNS1_16scan_by_key_implILNS1_25lookback_scan_determinismE0ELb0ES3_N6thrust23THRUST_200600_302600_NS6detail15normal_iteratorINS9_10device_ptrIiEEEENSB_INSC_IsEEEESG_sNS9_4plusIvEENS9_8equal_toIvEEsEE10hipError_tPvRmT2_T3_T4_T5_mT6_T7_P12ihipStream_tbENKUlT_T0_E_clISt17integral_constantIbLb1EES11_EEDaSW_SX_EUlSW_E_NS1_11comp_targetILNS1_3genE10ELNS1_11target_archE1201ELNS1_3gpuE5ELNS1_3repE0EEENS1_30default_config_static_selectorELNS0_4arch9wavefront6targetE1EEEvT1_
                                        ; -- End function
	.section	.AMDGPU.csdata,"",@progbits
; Kernel info:
; codeLenInByte = 0
; NumSgprs: 4
; NumVgprs: 0
; NumAgprs: 0
; TotalNumVgprs: 0
; ScratchSize: 0
; MemoryBound: 0
; FloatMode: 240
; IeeeMode: 1
; LDSByteSize: 0 bytes/workgroup (compile time only)
; SGPRBlocks: 0
; VGPRBlocks: 0
; NumSGPRsForWavesPerEU: 4
; NumVGPRsForWavesPerEU: 1
; AccumOffset: 4
; Occupancy: 8
; WaveLimiterHint : 0
; COMPUTE_PGM_RSRC2:SCRATCH_EN: 0
; COMPUTE_PGM_RSRC2:USER_SGPR: 6
; COMPUTE_PGM_RSRC2:TRAP_HANDLER: 0
; COMPUTE_PGM_RSRC2:TGID_X_EN: 1
; COMPUTE_PGM_RSRC2:TGID_Y_EN: 0
; COMPUTE_PGM_RSRC2:TGID_Z_EN: 0
; COMPUTE_PGM_RSRC2:TIDIG_COMP_CNT: 0
; COMPUTE_PGM_RSRC3_GFX90A:ACCUM_OFFSET: 0
; COMPUTE_PGM_RSRC3_GFX90A:TG_SPLIT: 0
	.section	.text._ZN7rocprim17ROCPRIM_400000_NS6detail17trampoline_kernelINS0_14default_configENS1_27scan_by_key_config_selectorIisEEZZNS1_16scan_by_key_implILNS1_25lookback_scan_determinismE0ELb0ES3_N6thrust23THRUST_200600_302600_NS6detail15normal_iteratorINS9_10device_ptrIiEEEENSB_INSC_IsEEEESG_sNS9_4plusIvEENS9_8equal_toIvEEsEE10hipError_tPvRmT2_T3_T4_T5_mT6_T7_P12ihipStream_tbENKUlT_T0_E_clISt17integral_constantIbLb1EES11_EEDaSW_SX_EUlSW_E_NS1_11comp_targetILNS1_3genE5ELNS1_11target_archE942ELNS1_3gpuE9ELNS1_3repE0EEENS1_30default_config_static_selectorELNS0_4arch9wavefront6targetE1EEEvT1_,"axG",@progbits,_ZN7rocprim17ROCPRIM_400000_NS6detail17trampoline_kernelINS0_14default_configENS1_27scan_by_key_config_selectorIisEEZZNS1_16scan_by_key_implILNS1_25lookback_scan_determinismE0ELb0ES3_N6thrust23THRUST_200600_302600_NS6detail15normal_iteratorINS9_10device_ptrIiEEEENSB_INSC_IsEEEESG_sNS9_4plusIvEENS9_8equal_toIvEEsEE10hipError_tPvRmT2_T3_T4_T5_mT6_T7_P12ihipStream_tbENKUlT_T0_E_clISt17integral_constantIbLb1EES11_EEDaSW_SX_EUlSW_E_NS1_11comp_targetILNS1_3genE5ELNS1_11target_archE942ELNS1_3gpuE9ELNS1_3repE0EEENS1_30default_config_static_selectorELNS0_4arch9wavefront6targetE1EEEvT1_,comdat
	.protected	_ZN7rocprim17ROCPRIM_400000_NS6detail17trampoline_kernelINS0_14default_configENS1_27scan_by_key_config_selectorIisEEZZNS1_16scan_by_key_implILNS1_25lookback_scan_determinismE0ELb0ES3_N6thrust23THRUST_200600_302600_NS6detail15normal_iteratorINS9_10device_ptrIiEEEENSB_INSC_IsEEEESG_sNS9_4plusIvEENS9_8equal_toIvEEsEE10hipError_tPvRmT2_T3_T4_T5_mT6_T7_P12ihipStream_tbENKUlT_T0_E_clISt17integral_constantIbLb1EES11_EEDaSW_SX_EUlSW_E_NS1_11comp_targetILNS1_3genE5ELNS1_11target_archE942ELNS1_3gpuE9ELNS1_3repE0EEENS1_30default_config_static_selectorELNS0_4arch9wavefront6targetE1EEEvT1_ ; -- Begin function _ZN7rocprim17ROCPRIM_400000_NS6detail17trampoline_kernelINS0_14default_configENS1_27scan_by_key_config_selectorIisEEZZNS1_16scan_by_key_implILNS1_25lookback_scan_determinismE0ELb0ES3_N6thrust23THRUST_200600_302600_NS6detail15normal_iteratorINS9_10device_ptrIiEEEENSB_INSC_IsEEEESG_sNS9_4plusIvEENS9_8equal_toIvEEsEE10hipError_tPvRmT2_T3_T4_T5_mT6_T7_P12ihipStream_tbENKUlT_T0_E_clISt17integral_constantIbLb1EES11_EEDaSW_SX_EUlSW_E_NS1_11comp_targetILNS1_3genE5ELNS1_11target_archE942ELNS1_3gpuE9ELNS1_3repE0EEENS1_30default_config_static_selectorELNS0_4arch9wavefront6targetE1EEEvT1_
	.globl	_ZN7rocprim17ROCPRIM_400000_NS6detail17trampoline_kernelINS0_14default_configENS1_27scan_by_key_config_selectorIisEEZZNS1_16scan_by_key_implILNS1_25lookback_scan_determinismE0ELb0ES3_N6thrust23THRUST_200600_302600_NS6detail15normal_iteratorINS9_10device_ptrIiEEEENSB_INSC_IsEEEESG_sNS9_4plusIvEENS9_8equal_toIvEEsEE10hipError_tPvRmT2_T3_T4_T5_mT6_T7_P12ihipStream_tbENKUlT_T0_E_clISt17integral_constantIbLb1EES11_EEDaSW_SX_EUlSW_E_NS1_11comp_targetILNS1_3genE5ELNS1_11target_archE942ELNS1_3gpuE9ELNS1_3repE0EEENS1_30default_config_static_selectorELNS0_4arch9wavefront6targetE1EEEvT1_
	.p2align	8
	.type	_ZN7rocprim17ROCPRIM_400000_NS6detail17trampoline_kernelINS0_14default_configENS1_27scan_by_key_config_selectorIisEEZZNS1_16scan_by_key_implILNS1_25lookback_scan_determinismE0ELb0ES3_N6thrust23THRUST_200600_302600_NS6detail15normal_iteratorINS9_10device_ptrIiEEEENSB_INSC_IsEEEESG_sNS9_4plusIvEENS9_8equal_toIvEEsEE10hipError_tPvRmT2_T3_T4_T5_mT6_T7_P12ihipStream_tbENKUlT_T0_E_clISt17integral_constantIbLb1EES11_EEDaSW_SX_EUlSW_E_NS1_11comp_targetILNS1_3genE5ELNS1_11target_archE942ELNS1_3gpuE9ELNS1_3repE0EEENS1_30default_config_static_selectorELNS0_4arch9wavefront6targetE1EEEvT1_,@function
_ZN7rocprim17ROCPRIM_400000_NS6detail17trampoline_kernelINS0_14default_configENS1_27scan_by_key_config_selectorIisEEZZNS1_16scan_by_key_implILNS1_25lookback_scan_determinismE0ELb0ES3_N6thrust23THRUST_200600_302600_NS6detail15normal_iteratorINS9_10device_ptrIiEEEENSB_INSC_IsEEEESG_sNS9_4plusIvEENS9_8equal_toIvEEsEE10hipError_tPvRmT2_T3_T4_T5_mT6_T7_P12ihipStream_tbENKUlT_T0_E_clISt17integral_constantIbLb1EES11_EEDaSW_SX_EUlSW_E_NS1_11comp_targetILNS1_3genE5ELNS1_11target_archE942ELNS1_3gpuE9ELNS1_3repE0EEENS1_30default_config_static_selectorELNS0_4arch9wavefront6targetE1EEEvT1_: ; @_ZN7rocprim17ROCPRIM_400000_NS6detail17trampoline_kernelINS0_14default_configENS1_27scan_by_key_config_selectorIisEEZZNS1_16scan_by_key_implILNS1_25lookback_scan_determinismE0ELb0ES3_N6thrust23THRUST_200600_302600_NS6detail15normal_iteratorINS9_10device_ptrIiEEEENSB_INSC_IsEEEESG_sNS9_4plusIvEENS9_8equal_toIvEEsEE10hipError_tPvRmT2_T3_T4_T5_mT6_T7_P12ihipStream_tbENKUlT_T0_E_clISt17integral_constantIbLb1EES11_EEDaSW_SX_EUlSW_E_NS1_11comp_targetILNS1_3genE5ELNS1_11target_archE942ELNS1_3gpuE9ELNS1_3repE0EEENS1_30default_config_static_selectorELNS0_4arch9wavefront6targetE1EEEvT1_
; %bb.0:
	.section	.rodata,"a",@progbits
	.p2align	6, 0x0
	.amdhsa_kernel _ZN7rocprim17ROCPRIM_400000_NS6detail17trampoline_kernelINS0_14default_configENS1_27scan_by_key_config_selectorIisEEZZNS1_16scan_by_key_implILNS1_25lookback_scan_determinismE0ELb0ES3_N6thrust23THRUST_200600_302600_NS6detail15normal_iteratorINS9_10device_ptrIiEEEENSB_INSC_IsEEEESG_sNS9_4plusIvEENS9_8equal_toIvEEsEE10hipError_tPvRmT2_T3_T4_T5_mT6_T7_P12ihipStream_tbENKUlT_T0_E_clISt17integral_constantIbLb1EES11_EEDaSW_SX_EUlSW_E_NS1_11comp_targetILNS1_3genE5ELNS1_11target_archE942ELNS1_3gpuE9ELNS1_3repE0EEENS1_30default_config_static_selectorELNS0_4arch9wavefront6targetE1EEEvT1_
		.amdhsa_group_segment_fixed_size 0
		.amdhsa_private_segment_fixed_size 0
		.amdhsa_kernarg_size 112
		.amdhsa_user_sgpr_count 6
		.amdhsa_user_sgpr_private_segment_buffer 1
		.amdhsa_user_sgpr_dispatch_ptr 0
		.amdhsa_user_sgpr_queue_ptr 0
		.amdhsa_user_sgpr_kernarg_segment_ptr 1
		.amdhsa_user_sgpr_dispatch_id 0
		.amdhsa_user_sgpr_flat_scratch_init 0
		.amdhsa_user_sgpr_kernarg_preload_length 0
		.amdhsa_user_sgpr_kernarg_preload_offset 0
		.amdhsa_user_sgpr_private_segment_size 0
		.amdhsa_uses_dynamic_stack 0
		.amdhsa_system_sgpr_private_segment_wavefront_offset 0
		.amdhsa_system_sgpr_workgroup_id_x 1
		.amdhsa_system_sgpr_workgroup_id_y 0
		.amdhsa_system_sgpr_workgroup_id_z 0
		.amdhsa_system_sgpr_workgroup_info 0
		.amdhsa_system_vgpr_workitem_id 0
		.amdhsa_next_free_vgpr 1
		.amdhsa_next_free_sgpr 0
		.amdhsa_accum_offset 4
		.amdhsa_reserve_vcc 0
		.amdhsa_reserve_flat_scratch 0
		.amdhsa_float_round_mode_32 0
		.amdhsa_float_round_mode_16_64 0
		.amdhsa_float_denorm_mode_32 3
		.amdhsa_float_denorm_mode_16_64 3
		.amdhsa_dx10_clamp 1
		.amdhsa_ieee_mode 1
		.amdhsa_fp16_overflow 0
		.amdhsa_tg_split 0
		.amdhsa_exception_fp_ieee_invalid_op 0
		.amdhsa_exception_fp_denorm_src 0
		.amdhsa_exception_fp_ieee_div_zero 0
		.amdhsa_exception_fp_ieee_overflow 0
		.amdhsa_exception_fp_ieee_underflow 0
		.amdhsa_exception_fp_ieee_inexact 0
		.amdhsa_exception_int_div_zero 0
	.end_amdhsa_kernel
	.section	.text._ZN7rocprim17ROCPRIM_400000_NS6detail17trampoline_kernelINS0_14default_configENS1_27scan_by_key_config_selectorIisEEZZNS1_16scan_by_key_implILNS1_25lookback_scan_determinismE0ELb0ES3_N6thrust23THRUST_200600_302600_NS6detail15normal_iteratorINS9_10device_ptrIiEEEENSB_INSC_IsEEEESG_sNS9_4plusIvEENS9_8equal_toIvEEsEE10hipError_tPvRmT2_T3_T4_T5_mT6_T7_P12ihipStream_tbENKUlT_T0_E_clISt17integral_constantIbLb1EES11_EEDaSW_SX_EUlSW_E_NS1_11comp_targetILNS1_3genE5ELNS1_11target_archE942ELNS1_3gpuE9ELNS1_3repE0EEENS1_30default_config_static_selectorELNS0_4arch9wavefront6targetE1EEEvT1_,"axG",@progbits,_ZN7rocprim17ROCPRIM_400000_NS6detail17trampoline_kernelINS0_14default_configENS1_27scan_by_key_config_selectorIisEEZZNS1_16scan_by_key_implILNS1_25lookback_scan_determinismE0ELb0ES3_N6thrust23THRUST_200600_302600_NS6detail15normal_iteratorINS9_10device_ptrIiEEEENSB_INSC_IsEEEESG_sNS9_4plusIvEENS9_8equal_toIvEEsEE10hipError_tPvRmT2_T3_T4_T5_mT6_T7_P12ihipStream_tbENKUlT_T0_E_clISt17integral_constantIbLb1EES11_EEDaSW_SX_EUlSW_E_NS1_11comp_targetILNS1_3genE5ELNS1_11target_archE942ELNS1_3gpuE9ELNS1_3repE0EEENS1_30default_config_static_selectorELNS0_4arch9wavefront6targetE1EEEvT1_,comdat
.Lfunc_end1364:
	.size	_ZN7rocprim17ROCPRIM_400000_NS6detail17trampoline_kernelINS0_14default_configENS1_27scan_by_key_config_selectorIisEEZZNS1_16scan_by_key_implILNS1_25lookback_scan_determinismE0ELb0ES3_N6thrust23THRUST_200600_302600_NS6detail15normal_iteratorINS9_10device_ptrIiEEEENSB_INSC_IsEEEESG_sNS9_4plusIvEENS9_8equal_toIvEEsEE10hipError_tPvRmT2_T3_T4_T5_mT6_T7_P12ihipStream_tbENKUlT_T0_E_clISt17integral_constantIbLb1EES11_EEDaSW_SX_EUlSW_E_NS1_11comp_targetILNS1_3genE5ELNS1_11target_archE942ELNS1_3gpuE9ELNS1_3repE0EEENS1_30default_config_static_selectorELNS0_4arch9wavefront6targetE1EEEvT1_, .Lfunc_end1364-_ZN7rocprim17ROCPRIM_400000_NS6detail17trampoline_kernelINS0_14default_configENS1_27scan_by_key_config_selectorIisEEZZNS1_16scan_by_key_implILNS1_25lookback_scan_determinismE0ELb0ES3_N6thrust23THRUST_200600_302600_NS6detail15normal_iteratorINS9_10device_ptrIiEEEENSB_INSC_IsEEEESG_sNS9_4plusIvEENS9_8equal_toIvEEsEE10hipError_tPvRmT2_T3_T4_T5_mT6_T7_P12ihipStream_tbENKUlT_T0_E_clISt17integral_constantIbLb1EES11_EEDaSW_SX_EUlSW_E_NS1_11comp_targetILNS1_3genE5ELNS1_11target_archE942ELNS1_3gpuE9ELNS1_3repE0EEENS1_30default_config_static_selectorELNS0_4arch9wavefront6targetE1EEEvT1_
                                        ; -- End function
	.section	.AMDGPU.csdata,"",@progbits
; Kernel info:
; codeLenInByte = 0
; NumSgprs: 4
; NumVgprs: 0
; NumAgprs: 0
; TotalNumVgprs: 0
; ScratchSize: 0
; MemoryBound: 0
; FloatMode: 240
; IeeeMode: 1
; LDSByteSize: 0 bytes/workgroup (compile time only)
; SGPRBlocks: 0
; VGPRBlocks: 0
; NumSGPRsForWavesPerEU: 4
; NumVGPRsForWavesPerEU: 1
; AccumOffset: 4
; Occupancy: 8
; WaveLimiterHint : 0
; COMPUTE_PGM_RSRC2:SCRATCH_EN: 0
; COMPUTE_PGM_RSRC2:USER_SGPR: 6
; COMPUTE_PGM_RSRC2:TRAP_HANDLER: 0
; COMPUTE_PGM_RSRC2:TGID_X_EN: 1
; COMPUTE_PGM_RSRC2:TGID_Y_EN: 0
; COMPUTE_PGM_RSRC2:TGID_Z_EN: 0
; COMPUTE_PGM_RSRC2:TIDIG_COMP_CNT: 0
; COMPUTE_PGM_RSRC3_GFX90A:ACCUM_OFFSET: 0
; COMPUTE_PGM_RSRC3_GFX90A:TG_SPLIT: 0
	.section	.text._ZN7rocprim17ROCPRIM_400000_NS6detail17trampoline_kernelINS0_14default_configENS1_27scan_by_key_config_selectorIisEEZZNS1_16scan_by_key_implILNS1_25lookback_scan_determinismE0ELb0ES3_N6thrust23THRUST_200600_302600_NS6detail15normal_iteratorINS9_10device_ptrIiEEEENSB_INSC_IsEEEESG_sNS9_4plusIvEENS9_8equal_toIvEEsEE10hipError_tPvRmT2_T3_T4_T5_mT6_T7_P12ihipStream_tbENKUlT_T0_E_clISt17integral_constantIbLb1EES11_EEDaSW_SX_EUlSW_E_NS1_11comp_targetILNS1_3genE4ELNS1_11target_archE910ELNS1_3gpuE8ELNS1_3repE0EEENS1_30default_config_static_selectorELNS0_4arch9wavefront6targetE1EEEvT1_,"axG",@progbits,_ZN7rocprim17ROCPRIM_400000_NS6detail17trampoline_kernelINS0_14default_configENS1_27scan_by_key_config_selectorIisEEZZNS1_16scan_by_key_implILNS1_25lookback_scan_determinismE0ELb0ES3_N6thrust23THRUST_200600_302600_NS6detail15normal_iteratorINS9_10device_ptrIiEEEENSB_INSC_IsEEEESG_sNS9_4plusIvEENS9_8equal_toIvEEsEE10hipError_tPvRmT2_T3_T4_T5_mT6_T7_P12ihipStream_tbENKUlT_T0_E_clISt17integral_constantIbLb1EES11_EEDaSW_SX_EUlSW_E_NS1_11comp_targetILNS1_3genE4ELNS1_11target_archE910ELNS1_3gpuE8ELNS1_3repE0EEENS1_30default_config_static_selectorELNS0_4arch9wavefront6targetE1EEEvT1_,comdat
	.protected	_ZN7rocprim17ROCPRIM_400000_NS6detail17trampoline_kernelINS0_14default_configENS1_27scan_by_key_config_selectorIisEEZZNS1_16scan_by_key_implILNS1_25lookback_scan_determinismE0ELb0ES3_N6thrust23THRUST_200600_302600_NS6detail15normal_iteratorINS9_10device_ptrIiEEEENSB_INSC_IsEEEESG_sNS9_4plusIvEENS9_8equal_toIvEEsEE10hipError_tPvRmT2_T3_T4_T5_mT6_T7_P12ihipStream_tbENKUlT_T0_E_clISt17integral_constantIbLb1EES11_EEDaSW_SX_EUlSW_E_NS1_11comp_targetILNS1_3genE4ELNS1_11target_archE910ELNS1_3gpuE8ELNS1_3repE0EEENS1_30default_config_static_selectorELNS0_4arch9wavefront6targetE1EEEvT1_ ; -- Begin function _ZN7rocprim17ROCPRIM_400000_NS6detail17trampoline_kernelINS0_14default_configENS1_27scan_by_key_config_selectorIisEEZZNS1_16scan_by_key_implILNS1_25lookback_scan_determinismE0ELb0ES3_N6thrust23THRUST_200600_302600_NS6detail15normal_iteratorINS9_10device_ptrIiEEEENSB_INSC_IsEEEESG_sNS9_4plusIvEENS9_8equal_toIvEEsEE10hipError_tPvRmT2_T3_T4_T5_mT6_T7_P12ihipStream_tbENKUlT_T0_E_clISt17integral_constantIbLb1EES11_EEDaSW_SX_EUlSW_E_NS1_11comp_targetILNS1_3genE4ELNS1_11target_archE910ELNS1_3gpuE8ELNS1_3repE0EEENS1_30default_config_static_selectorELNS0_4arch9wavefront6targetE1EEEvT1_
	.globl	_ZN7rocprim17ROCPRIM_400000_NS6detail17trampoline_kernelINS0_14default_configENS1_27scan_by_key_config_selectorIisEEZZNS1_16scan_by_key_implILNS1_25lookback_scan_determinismE0ELb0ES3_N6thrust23THRUST_200600_302600_NS6detail15normal_iteratorINS9_10device_ptrIiEEEENSB_INSC_IsEEEESG_sNS9_4plusIvEENS9_8equal_toIvEEsEE10hipError_tPvRmT2_T3_T4_T5_mT6_T7_P12ihipStream_tbENKUlT_T0_E_clISt17integral_constantIbLb1EES11_EEDaSW_SX_EUlSW_E_NS1_11comp_targetILNS1_3genE4ELNS1_11target_archE910ELNS1_3gpuE8ELNS1_3repE0EEENS1_30default_config_static_selectorELNS0_4arch9wavefront6targetE1EEEvT1_
	.p2align	8
	.type	_ZN7rocprim17ROCPRIM_400000_NS6detail17trampoline_kernelINS0_14default_configENS1_27scan_by_key_config_selectorIisEEZZNS1_16scan_by_key_implILNS1_25lookback_scan_determinismE0ELb0ES3_N6thrust23THRUST_200600_302600_NS6detail15normal_iteratorINS9_10device_ptrIiEEEENSB_INSC_IsEEEESG_sNS9_4plusIvEENS9_8equal_toIvEEsEE10hipError_tPvRmT2_T3_T4_T5_mT6_T7_P12ihipStream_tbENKUlT_T0_E_clISt17integral_constantIbLb1EES11_EEDaSW_SX_EUlSW_E_NS1_11comp_targetILNS1_3genE4ELNS1_11target_archE910ELNS1_3gpuE8ELNS1_3repE0EEENS1_30default_config_static_selectorELNS0_4arch9wavefront6targetE1EEEvT1_,@function
_ZN7rocprim17ROCPRIM_400000_NS6detail17trampoline_kernelINS0_14default_configENS1_27scan_by_key_config_selectorIisEEZZNS1_16scan_by_key_implILNS1_25lookback_scan_determinismE0ELb0ES3_N6thrust23THRUST_200600_302600_NS6detail15normal_iteratorINS9_10device_ptrIiEEEENSB_INSC_IsEEEESG_sNS9_4plusIvEENS9_8equal_toIvEEsEE10hipError_tPvRmT2_T3_T4_T5_mT6_T7_P12ihipStream_tbENKUlT_T0_E_clISt17integral_constantIbLb1EES11_EEDaSW_SX_EUlSW_E_NS1_11comp_targetILNS1_3genE4ELNS1_11target_archE910ELNS1_3gpuE8ELNS1_3repE0EEENS1_30default_config_static_selectorELNS0_4arch9wavefront6targetE1EEEvT1_: ; @_ZN7rocprim17ROCPRIM_400000_NS6detail17trampoline_kernelINS0_14default_configENS1_27scan_by_key_config_selectorIisEEZZNS1_16scan_by_key_implILNS1_25lookback_scan_determinismE0ELb0ES3_N6thrust23THRUST_200600_302600_NS6detail15normal_iteratorINS9_10device_ptrIiEEEENSB_INSC_IsEEEESG_sNS9_4plusIvEENS9_8equal_toIvEEsEE10hipError_tPvRmT2_T3_T4_T5_mT6_T7_P12ihipStream_tbENKUlT_T0_E_clISt17integral_constantIbLb1EES11_EEDaSW_SX_EUlSW_E_NS1_11comp_targetILNS1_3genE4ELNS1_11target_archE910ELNS1_3gpuE8ELNS1_3repE0EEENS1_30default_config_static_selectorELNS0_4arch9wavefront6targetE1EEEvT1_
; %bb.0:
	s_load_dwordx4 s[76:79], s[4:5], 0x28
	s_load_dwordx2 s[80:81], s[4:5], 0x38
	v_cmp_ne_u32_e64 s[56:57], 0, v0
	v_cmp_eq_u32_e64 s[0:1], 0, v0
	s_and_saveexec_b64 s[2:3], s[0:1]
	s_cbranch_execz .LBB1365_4
; %bb.1:
	s_mov_b64 s[8:9], exec
	v_mbcnt_lo_u32_b32 v1, s8, 0
	v_mbcnt_hi_u32_b32 v1, s9, v1
	v_cmp_eq_u32_e32 vcc, 0, v1
                                        ; implicit-def: $vgpr2
	s_and_saveexec_b64 s[6:7], vcc
	s_cbranch_execz .LBB1365_3
; %bb.2:
	s_load_dwordx2 s[10:11], s[4:5], 0x68
	s_bcnt1_i32_b64 s8, s[8:9]
	v_mov_b32_e32 v2, 0
	v_mov_b32_e32 v3, s8
	s_waitcnt lgkmcnt(0)
	global_atomic_add v2, v2, v3, s[10:11] glc
.LBB1365_3:
	s_or_b64 exec, exec, s[6:7]
	s_waitcnt vmcnt(0)
	v_readfirstlane_b32 s6, v2
	v_add_u32_e32 v1, s6, v1
	v_mov_b32_e32 v2, 0
	ds_write_b32 v2, v1
.LBB1365_4:
	s_or_b64 exec, exec, s[2:3]
	s_load_dwordx8 s[60:67], s[4:5], 0x0
	s_load_dword s2, s[4:5], 0x40
	s_load_dwordx8 s[68:75], s[4:5], 0x48
	v_mov_b32_e32 v1, 0
	s_waitcnt lgkmcnt(0)
	; wave barrier
	s_waitcnt lgkmcnt(0)
	ds_read_b32 v1, v1
	s_lshl_b64 s[4:5], s[62:63], 2
	s_add_u32 s8, s60, s4
	s_addc_u32 s9, s61, s5
	s_lshl_b64 s[58:59], s[62:63], 1
	s_add_u32 s10, s64, s58
	s_mul_i32 s3, s81, s2
	s_mul_hi_u32 s4, s80, s2
	s_addc_u32 s11, s65, s59
	s_add_i32 s12, s4, s3
	s_waitcnt lgkmcnt(0)
	v_readfirstlane_b32 s79, v1
	s_mul_i32 s13, s80, s2
	s_cmp_lg_u64 s[72:73], 0
	s_mov_b32 s3, 0
	s_mul_i32 s2, s79, 0x600
	s_cselect_b64 s[64:65], -1, 0
	s_lshl_b64 s[4:5], s[2:3], 2
	s_add_u32 s62, s8, s4
	s_addc_u32 s63, s9, s5
	s_lshl_b64 s[60:61], s[2:3], 1
	s_add_u32 s84, s10, s60
	s_addc_u32 s85, s11, s61
	s_add_u32 s72, s13, s79
	s_addc_u32 s73, s12, 0
	s_add_u32 s4, s68, -1
	s_addc_u32 s5, s69, -1
	v_pk_mov_b32 v[2:3], s[4:5], s[4:5] op_sel:[0,1]
	v_cmp_ge_u64_e64 s[2:3], s[72:73], v[2:3]
	s_mov_b64 s[6:7], 0
	s_mov_b64 s[28:29], -1
	s_and_b64 vcc, exec, s[2:3]
	s_mul_i32 s33, s4, 0xfffffa00
	s_waitcnt lgkmcnt(0)
	; wave barrier
	s_waitcnt lgkmcnt(0)
	s_waitcnt lgkmcnt(0)
	; wave barrier
	s_cbranch_vccz .LBB1365_131
; %bb.5:
	v_pk_mov_b32 v[2:3], s[62:63], s[62:63] op_sel:[0,1]
	flat_load_dword v1, v[2:3]
	s_add_i32 s86, s33, s78
	v_cmp_gt_u32_e64 s[6:7], s86, v0
	s_waitcnt vmcnt(0) lgkmcnt(0)
	v_mov_b32_e32 v2, v1
	s_and_saveexec_b64 s[4:5], s[6:7]
	s_cbranch_execz .LBB1365_7
; %bb.6:
	v_lshlrev_b32_e32 v2, 2, v0
	v_mov_b32_e32 v3, s63
	v_add_co_u32_e32 v2, vcc, s62, v2
	v_addc_co_u32_e32 v3, vcc, 0, v3, vcc
	flat_load_dword v2, v[2:3]
.LBB1365_7:
	s_or_b64 exec, exec, s[4:5]
	v_or_b32_e32 v3, 64, v0
	v_cmp_gt_u32_e64 s[8:9], s86, v3
	v_mov_b32_e32 v3, v1
	s_and_saveexec_b64 s[4:5], s[8:9]
	s_cbranch_execz .LBB1365_9
; %bb.8:
	v_lshlrev_b32_e32 v3, 2, v0
	v_mov_b32_e32 v5, s63
	v_add_co_u32_e32 v4, vcc, s62, v3
	v_addc_co_u32_e32 v5, vcc, 0, v5, vcc
	flat_load_dword v3, v[4:5] offset:256
.LBB1365_9:
	s_or_b64 exec, exec, s[4:5]
	v_or_b32_e32 v4, 0x80, v0
	v_cmp_gt_u32_e64 s[10:11], s86, v4
	v_mov_b32_e32 v4, v1
	s_and_saveexec_b64 s[4:5], s[10:11]
	s_cbranch_execz .LBB1365_11
; %bb.10:
	v_lshlrev_b32_e32 v4, 2, v0
	v_mov_b32_e32 v5, s63
	v_add_co_u32_e32 v4, vcc, s62, v4
	v_addc_co_u32_e32 v5, vcc, 0, v5, vcc
	flat_load_dword v4, v[4:5] offset:512
.LBB1365_11:
	;; [unrolled: 13-line block ×15, first 2 shown]
	s_or_b64 exec, exec, s[4:5]
	v_or_b32_e32 v19, 0x400, v0
	v_cmp_gt_u32_e64 s[40:41], s86, v19
	v_mov_b32_e32 v18, v1
	s_and_saveexec_b64 s[4:5], s[40:41]
	s_cbranch_execz .LBB1365_39
; %bb.38:
	v_lshlrev_b32_e32 v18, 2, v19
	v_mov_b32_e32 v19, s63
	v_add_co_u32_e32 v18, vcc, s62, v18
	v_addc_co_u32_e32 v19, vcc, 0, v19, vcc
	flat_load_dword v18, v[18:19]
.LBB1365_39:
	s_or_b64 exec, exec, s[4:5]
	v_or_b32_e32 v20, 0x440, v0
	v_cmp_gt_u32_e64 s[42:43], s86, v20
	v_mov_b32_e32 v19, v1
	s_and_saveexec_b64 s[4:5], s[42:43]
	s_cbranch_execz .LBB1365_41
; %bb.40:
	v_lshlrev_b32_e32 v19, 2, v20
	v_mov_b32_e32 v21, s63
	v_add_co_u32_e32 v20, vcc, s62, v19
	v_addc_co_u32_e32 v21, vcc, 0, v21, vcc
	flat_load_dword v19, v[20:21]
.LBB1365_41:
	;; [unrolled: 13-line block ×7, first 2 shown]
	s_or_b64 exec, exec, s[4:5]
	v_or_b32_e32 v25, 0x5c0, v0
	v_cmp_gt_u32_e64 s[54:55], s86, v25
	s_and_saveexec_b64 s[4:5], s[54:55]
	s_cbranch_execz .LBB1365_53
; %bb.52:
	v_lshlrev_b32_e32 v1, 2, v25
	v_mov_b32_e32 v25, s63
	v_add_co_u32_e32 v26, vcc, s62, v1
	v_addc_co_u32_e32 v27, vcc, 0, v25, vcc
	flat_load_dword v1, v[26:27]
.LBB1365_53:
	s_or_b64 exec, exec, s[4:5]
	v_lshlrev_b32_e32 v25, 2, v0
	s_movk_i32 s4, 0x5c
	s_waitcnt vmcnt(0) lgkmcnt(0)
	ds_write2st64_b32 v25, v2, v3 offset1:1
	ds_write2st64_b32 v25, v4, v5 offset0:2 offset1:3
	ds_write2st64_b32 v25, v6, v7 offset0:4 offset1:5
	;; [unrolled: 1-line block ×11, first 2 shown]
	v_mad_u32_u24 v1, v0, s4, v25
	s_waitcnt lgkmcnt(0)
	; wave barrier
	s_waitcnt lgkmcnt(0)
	ds_read_b128 v[42:45], v1
	ds_read_b128 v[38:41], v1 offset:16
	ds_read_b128 v[34:37], v1 offset:32
	;; [unrolled: 1-line block ×5, first 2 shown]
	s_cmp_eq_u64 s[72:73], 0
	s_mov_b64 s[4:5], s[62:63]
	s_cbranch_scc1 .LBB1365_57
; %bb.54:
	s_andn2_b64 vcc, exec, s[64:65]
	s_cbranch_vccnz .LBB1365_307
; %bb.55:
	s_lshl_b64 s[4:5], s[72:73], 2
	s_add_u32 s4, s74, s4
	s_addc_u32 s5, s75, s5
	s_add_u32 s4, s4, -4
	s_addc_u32 s5, s5, -1
	s_cbranch_execnz .LBB1365_57
.LBB1365_56:
	s_add_u32 s4, s62, -4
	s_addc_u32 s5, s63, -1
.LBB1365_57:
	v_pk_mov_b32 v[2:3], s[4:5], s[4:5] op_sel:[0,1]
	flat_load_dword v46, v[2:3]
	s_movk_i32 s4, 0xffa4
	v_mad_i32_i24 v1, v0, s4, v1
	s_waitcnt lgkmcnt(0)
	ds_write_b32 v1, v25 offset:6144
	s_waitcnt lgkmcnt(0)
	; wave barrier
	s_waitcnt lgkmcnt(0)
	s_and_saveexec_b64 s[4:5], s[56:57]
	s_cbranch_execz .LBB1365_59
; %bb.58:
	s_waitcnt vmcnt(0)
	ds_read_b32 v46, v1 offset:6140
.LBB1365_59:
	s_or_b64 exec, exec, s[4:5]
	s_waitcnt lgkmcnt(0)
	; wave barrier
	s_waitcnt lgkmcnt(0)
                                        ; implicit-def: $vgpr2
	s_and_saveexec_b64 s[4:5], s[6:7]
	s_cbranch_execnz .LBB1365_284
; %bb.60:
	s_or_b64 exec, exec, s[4:5]
                                        ; implicit-def: $vgpr3
	s_and_saveexec_b64 s[4:5], s[8:9]
	s_cbranch_execnz .LBB1365_285
.LBB1365_61:
	s_or_b64 exec, exec, s[4:5]
                                        ; implicit-def: $vgpr4
	s_and_saveexec_b64 s[4:5], s[10:11]
	s_cbranch_execnz .LBB1365_286
.LBB1365_62:
	s_or_b64 exec, exec, s[4:5]
                                        ; implicit-def: $vgpr5
	s_and_saveexec_b64 s[4:5], s[12:13]
	s_cbranch_execnz .LBB1365_287
.LBB1365_63:
	s_or_b64 exec, exec, s[4:5]
                                        ; implicit-def: $vgpr6
	s_and_saveexec_b64 s[4:5], s[14:15]
	s_cbranch_execnz .LBB1365_288
.LBB1365_64:
	s_or_b64 exec, exec, s[4:5]
                                        ; implicit-def: $vgpr7
	s_and_saveexec_b64 s[4:5], s[16:17]
	s_cbranch_execnz .LBB1365_289
.LBB1365_65:
	s_or_b64 exec, exec, s[4:5]
                                        ; implicit-def: $vgpr8
	s_and_saveexec_b64 s[4:5], s[18:19]
	s_cbranch_execnz .LBB1365_290
.LBB1365_66:
	s_or_b64 exec, exec, s[4:5]
                                        ; implicit-def: $vgpr9
	s_and_saveexec_b64 s[4:5], s[20:21]
	s_cbranch_execnz .LBB1365_291
.LBB1365_67:
	s_or_b64 exec, exec, s[4:5]
                                        ; implicit-def: $vgpr10
	s_and_saveexec_b64 s[4:5], s[22:23]
	s_cbranch_execnz .LBB1365_292
.LBB1365_68:
	s_or_b64 exec, exec, s[4:5]
                                        ; implicit-def: $vgpr11
	s_and_saveexec_b64 s[4:5], s[24:25]
	s_cbranch_execnz .LBB1365_293
.LBB1365_69:
	s_or_b64 exec, exec, s[4:5]
                                        ; implicit-def: $vgpr12
	s_and_saveexec_b64 s[4:5], s[26:27]
	s_cbranch_execnz .LBB1365_294
.LBB1365_70:
	s_or_b64 exec, exec, s[4:5]
                                        ; implicit-def: $vgpr13
	s_and_saveexec_b64 s[4:5], s[28:29]
	s_cbranch_execnz .LBB1365_295
.LBB1365_71:
	s_or_b64 exec, exec, s[4:5]
                                        ; implicit-def: $vgpr14
	s_and_saveexec_b64 s[4:5], s[30:31]
	s_cbranch_execnz .LBB1365_296
.LBB1365_72:
	s_or_b64 exec, exec, s[4:5]
                                        ; implicit-def: $vgpr15
	s_and_saveexec_b64 s[4:5], s[34:35]
	s_cbranch_execnz .LBB1365_297
.LBB1365_73:
	s_or_b64 exec, exec, s[4:5]
                                        ; implicit-def: $vgpr16
	s_and_saveexec_b64 s[4:5], s[36:37]
	s_cbranch_execnz .LBB1365_298
.LBB1365_74:
	s_or_b64 exec, exec, s[4:5]
                                        ; implicit-def: $vgpr17
	s_and_saveexec_b64 s[4:5], s[38:39]
	s_cbranch_execnz .LBB1365_299
.LBB1365_75:
	s_or_b64 exec, exec, s[4:5]
                                        ; implicit-def: $vgpr18
	s_and_saveexec_b64 s[4:5], s[40:41]
	s_cbranch_execnz .LBB1365_300
.LBB1365_76:
	s_or_b64 exec, exec, s[4:5]
                                        ; implicit-def: $vgpr19
	s_and_saveexec_b64 s[4:5], s[42:43]
	s_cbranch_execnz .LBB1365_301
.LBB1365_77:
	s_or_b64 exec, exec, s[4:5]
                                        ; implicit-def: $vgpr20
	s_and_saveexec_b64 s[4:5], s[44:45]
	s_cbranch_execnz .LBB1365_302
.LBB1365_78:
	s_or_b64 exec, exec, s[4:5]
                                        ; implicit-def: $vgpr21
	s_and_saveexec_b64 s[4:5], s[46:47]
	s_cbranch_execnz .LBB1365_303
.LBB1365_79:
	s_or_b64 exec, exec, s[4:5]
                                        ; implicit-def: $vgpr48
	s_and_saveexec_b64 s[4:5], s[48:49]
	s_cbranch_execnz .LBB1365_304
.LBB1365_80:
	s_or_b64 exec, exec, s[4:5]
                                        ; implicit-def: $vgpr49
	s_and_saveexec_b64 s[4:5], s[50:51]
	s_cbranch_execnz .LBB1365_305
.LBB1365_81:
	s_or_b64 exec, exec, s[4:5]
                                        ; implicit-def: $vgpr50
	s_and_saveexec_b64 s[4:5], s[52:53]
	s_cbranch_execnz .LBB1365_306
.LBB1365_82:
	s_or_b64 exec, exec, s[4:5]
                                        ; implicit-def: $vgpr51
	s_and_saveexec_b64 s[4:5], s[54:55]
	s_cbranch_execz .LBB1365_84
.LBB1365_83:
	v_lshlrev_b32_e32 v47, 1, v0
	v_mov_b32_e32 v51, s85
	v_add_co_u32_e32 v52, vcc, s84, v47
	v_addc_co_u32_e32 v53, vcc, 0, v51, vcc
	flat_load_ushort v51, v[52:53] offset:2944
.LBB1365_84:
	s_or_b64 exec, exec, s[4:5]
	v_lshlrev_b32_e32 v47, 1, v0
	s_mov_b32 s8, 0
	v_sub_u32_e32 v47, v1, v47
	s_mov_b32 s9, s8
	s_mov_b32 s6, s8
	;; [unrolled: 1-line block ×3, first 2 shown]
	v_mul_u32_u24_e32 v53, 24, v0
	s_waitcnt vmcnt(0) lgkmcnt(0)
	ds_write_b16 v47, v2
	ds_write_b16 v47, v3 offset:128
	ds_write_b16 v47, v4 offset:256
	;; [unrolled: 1-line block ×23, first 2 shown]
	s_mov_b32 s10, s8
	s_mov_b32 s11, s8
	;; [unrolled: 1-line block ×18, first 2 shown]
	v_pk_mov_b32 v[20:21], s[6:7], s[6:7] op_sel:[0,1]
	v_pk_mov_b32 v[2:3], s[8:9], s[8:9] op_sel:[0,1]
	v_cmp_gt_u32_e32 vcc, s86, v53
	s_mov_b64 s[28:29], 0
	v_pk_mov_b32 v[50:51], s[24:25], s[24:25] op_sel:[0,1]
	v_pk_mov_b32 v[18:19], s[4:5], s[4:5] op_sel:[0,1]
	;; [unrolled: 1-line block ×9, first 2 shown]
	v_mov_b32_e32 v1, 0
	s_mov_b64 s[6:7], 0
	s_waitcnt lgkmcnt(0)
	; wave barrier
	s_waitcnt lgkmcnt(0)
                                        ; implicit-def: $sgpr4_sgpr5
                                        ; implicit-def: $vgpr52
	s_and_saveexec_b64 s[10:11], vcc
	s_cbranch_execz .LBB1365_130
; %bb.85:
	v_mad_u32_u24 v1, v0, 46, v47
	ds_read_u16 v1, v1
	v_cmp_ne_u32_e32 vcc, v46, v42
	s_mov_b32 s12, 0
	v_or_b32_e32 v2, 1, v53
	v_cndmask_b32_e64 v3, 0, 1, vcc
	s_mov_b32 s13, s12
	s_mov_b32 s6, s12
	;; [unrolled: 1-line block ×3, first 2 shown]
	v_cmp_gt_u32_e32 vcc, s86, v2
	s_waitcnt lgkmcnt(0)
	v_lshl_or_b32 v1, v3, 16, v1
	s_mov_b32 s14, s12
	s_mov_b32 s15, s12
	;; [unrolled: 1-line block ×18, first 2 shown]
	v_pk_mov_b32 v[20:21], s[6:7], s[6:7] op_sel:[0,1]
	v_pk_mov_b32 v[2:3], s[12:13], s[12:13] op_sel:[0,1]
	s_mov_b64 s[34:35], 0
	v_pk_mov_b32 v[50:51], s[30:31], s[30:31] op_sel:[0,1]
	v_pk_mov_b32 v[18:19], s[4:5], s[4:5] op_sel:[0,1]
	v_pk_mov_b32 v[4:5], s[14:15], s[14:15] op_sel:[0,1]
	v_pk_mov_b32 v[6:7], s[16:17], s[16:17] op_sel:[0,1]
	v_pk_mov_b32 v[8:9], s[18:19], s[18:19] op_sel:[0,1]
	v_pk_mov_b32 v[10:11], s[20:21], s[20:21] op_sel:[0,1]
	v_pk_mov_b32 v[12:13], s[22:23], s[22:23] op_sel:[0,1]
	v_pk_mov_b32 v[14:15], s[24:25], s[24:25] op_sel:[0,1]
	v_pk_mov_b32 v[16:17], s[26:27], s[26:27] op_sel:[0,1]
                                        ; implicit-def: $sgpr36_sgpr37
                                        ; implicit-def: $vgpr52
	s_and_saveexec_b64 s[30:31], vcc
	s_cbranch_execz .LBB1365_129
; %bb.86:
	v_mul_u32_u24_e32 v2, 46, v0
	v_add_u32_e32 v54, v47, v2
	ds_read_b128 v[46:49], v54 offset:2
	v_or_b32_e32 v2, 2, v53
	v_cmp_ne_u32_e32 vcc, v42, v43
	v_cndmask_b32_e64 v3, 0, 1, vcc
	v_cmp_gt_u32_e32 vcc, s86, v2
	s_waitcnt lgkmcnt(0)
	v_and_b32_e32 v2, 0xffff, v46
	v_lshl_or_b32 v50, v3, 16, v2
	v_pk_mov_b32 v[20:21], s[6:7], s[6:7] op_sel:[0,1]
	v_pk_mov_b32 v[2:3], s[12:13], s[12:13] op_sel:[0,1]
	v_mov_b32_e32 v51, 0
	v_pk_mov_b32 v[18:19], s[4:5], s[4:5] op_sel:[0,1]
	v_pk_mov_b32 v[4:5], s[14:15], s[14:15] op_sel:[0,1]
	;; [unrolled: 1-line block ×8, first 2 shown]
                                        ; implicit-def: $sgpr12_sgpr13
                                        ; implicit-def: $vgpr52
	s_and_saveexec_b64 s[6:7], vcc
	s_cbranch_execz .LBB1365_128
; %bb.87:
	v_cmp_ne_u32_e32 vcc, v43, v44
	s_mov_b32 s12, 0
	v_or_b32_e32 v2, 3, v53
	v_cndmask_b32_e64 v3, 0, 1, vcc
	s_mov_b32 s13, s12
	s_mov_b32 s36, s12
	;; [unrolled: 1-line block ×3, first 2 shown]
	v_alignbit_b32 v51, v3, v46, 16
	v_cmp_gt_u32_e32 vcc, s86, v2
	s_mov_b32 s14, s12
	s_mov_b32 s15, s12
	;; [unrolled: 1-line block ×16, first 2 shown]
	v_pk_mov_b32 v[18:19], s[36:37], s[36:37] op_sel:[0,1]
	v_pk_mov_b32 v[2:3], s[12:13], s[12:13] op_sel:[0,1]
	s_mov_b64 s[4:5], 0
	v_pk_mov_b32 v[20:21], s[38:39], s[38:39] op_sel:[0,1]
	v_pk_mov_b32 v[4:5], s[14:15], s[14:15] op_sel:[0,1]
	;; [unrolled: 1-line block ×8, first 2 shown]
                                        ; implicit-def: $sgpr36_sgpr37
                                        ; implicit-def: $vgpr52
	s_and_saveexec_b64 s[34:35], vcc
	s_cbranch_execz .LBB1365_127
; %bb.88:
	v_cmp_ne_u32_e32 vcc, v44, v45
	v_and_b32_e32 v2, 0xffff, v47
	v_or_b32_e32 v3, 4, v53
	v_cndmask_b32_e64 v4, 0, 1, vcc
	v_lshl_or_b32 v18, v4, 16, v2
	v_cmp_gt_u32_e32 vcc, s86, v3
	v_mov_b32_e32 v20, 0
	v_pk_mov_b32 v[2:3], s[12:13], s[12:13] op_sel:[0,1]
	v_mov_b32_e32 v19, v20
	v_mov_b32_e32 v21, v20
	v_pk_mov_b32 v[4:5], s[14:15], s[14:15] op_sel:[0,1]
	v_pk_mov_b32 v[6:7], s[16:17], s[16:17] op_sel:[0,1]
	;; [unrolled: 1-line block ×7, first 2 shown]
                                        ; implicit-def: $sgpr12_sgpr13
                                        ; implicit-def: $vgpr52
	s_and_saveexec_b64 s[36:37], vcc
	s_cbranch_execz .LBB1365_126
; %bb.89:
	v_cmp_ne_u32_e32 vcc, v45, v38
	s_mov_b32 s12, 0
	v_or_b32_e32 v2, 5, v53
	v_cndmask_b32_e64 v3, 0, 1, vcc
	s_mov_b32 s13, s12
	v_alignbit_b32 v19, v3, v47, 16
	v_cmp_gt_u32_e32 vcc, s86, v2
	s_mov_b32 s14, s12
	s_mov_b32 s15, s12
	;; [unrolled: 1-line block ×14, first 2 shown]
	v_pk_mov_b32 v[2:3], s[12:13], s[12:13] op_sel:[0,1]
	v_mov_b32_e32 v21, v20
	v_pk_mov_b32 v[4:5], s[14:15], s[14:15] op_sel:[0,1]
	v_pk_mov_b32 v[6:7], s[16:17], s[16:17] op_sel:[0,1]
	;; [unrolled: 1-line block ×7, first 2 shown]
                                        ; implicit-def: $sgpr40_sgpr41
                                        ; implicit-def: $vgpr52
	s_and_saveexec_b64 s[38:39], vcc
	s_cbranch_execz .LBB1365_125
; %bb.90:
	v_cmp_ne_u32_e32 vcc, v38, v39
	v_and_b32_e32 v2, 0xffff, v48
	v_or_b32_e32 v3, 6, v53
	v_cndmask_b32_e64 v4, 0, 1, vcc
	v_lshl_or_b32 v20, v4, 16, v2
	v_cmp_gt_u32_e32 vcc, s86, v3
	v_pk_mov_b32 v[2:3], s[12:13], s[12:13] op_sel:[0,1]
	v_mov_b32_e32 v21, s12
	v_pk_mov_b32 v[4:5], s[14:15], s[14:15] op_sel:[0,1]
	v_pk_mov_b32 v[6:7], s[16:17], s[16:17] op_sel:[0,1]
	;; [unrolled: 1-line block ×7, first 2 shown]
                                        ; implicit-def: $sgpr12_sgpr13
                                        ; implicit-def: $vgpr52
	s_and_saveexec_b64 s[40:41], vcc
	s_cbranch_execz .LBB1365_124
; %bb.91:
	v_cmp_ne_u32_e32 vcc, v39, v40
	s_mov_b32 s12, 0
	v_or_b32_e32 v2, 7, v53
	v_cndmask_b32_e64 v3, 0, 1, vcc
	s_mov_b32 s13, s12
	v_alignbit_b32 v21, v3, v48, 16
	v_cmp_gt_u32_e32 vcc, s86, v2
	s_mov_b32 s14, s12
	s_mov_b32 s15, s12
	;; [unrolled: 1-line block ×14, first 2 shown]
	v_pk_mov_b32 v[2:3], s[12:13], s[12:13] op_sel:[0,1]
	v_pk_mov_b32 v[4:5], s[14:15], s[14:15] op_sel:[0,1]
	v_pk_mov_b32 v[6:7], s[16:17], s[16:17] op_sel:[0,1]
	v_pk_mov_b32 v[8:9], s[18:19], s[18:19] op_sel:[0,1]
	v_pk_mov_b32 v[10:11], s[20:21], s[20:21] op_sel:[0,1]
	v_pk_mov_b32 v[12:13], s[22:23], s[22:23] op_sel:[0,1]
	v_pk_mov_b32 v[14:15], s[24:25], s[24:25] op_sel:[0,1]
	v_pk_mov_b32 v[16:17], s[26:27], s[26:27] op_sel:[0,1]
                                        ; implicit-def: $sgpr14_sgpr15
                                        ; implicit-def: $vgpr52
	s_and_saveexec_b64 s[12:13], vcc
	s_cbranch_execz .LBB1365_123
; %bb.92:
	v_cmp_ne_u32_e32 vcc, v40, v41
	v_and_b32_e32 v2, 0xffff, v49
	v_cndmask_b32_e64 v4, 0, 1, vcc
	v_add_u32_e32 v3, 8, v53
	v_lshl_or_b32 v2, v4, 16, v2
	v_mov_b32_e32 v4, 0
	v_cmp_gt_u32_e32 vcc, s86, v3
	v_mov_b32_e32 v3, v4
	v_mov_b32_e32 v5, v4
	;; [unrolled: 1-line block ×14, first 2 shown]
                                        ; implicit-def: $sgpr16_sgpr17
                                        ; implicit-def: $vgpr52
	s_and_saveexec_b64 s[14:15], vcc
	s_cbranch_execz .LBB1365_122
; %bb.93:
	v_cmp_ne_u32_e32 vcc, v41, v34
	v_add_u32_e32 v5, 9, v53
	v_cndmask_b32_e64 v3, 0, 1, vcc
	v_alignbit_b32 v3, v3, v49, 16
	v_cmp_gt_u32_e32 vcc, s86, v5
	v_mov_b32_e32 v5, v4
	v_mov_b32_e32 v6, v4
	v_mov_b32_e32 v7, v4
	v_mov_b32_e32 v8, v4
	v_mov_b32_e32 v9, v4
	v_mov_b32_e32 v10, v4
	v_mov_b32_e32 v11, v4
	v_mov_b32_e32 v12, v4
	v_mov_b32_e32 v13, v4
	v_mov_b32_e32 v14, v4
	v_mov_b32_e32 v15, v4
	v_mov_b32_e32 v16, v4
	v_mov_b32_e32 v17, v4
                                        ; implicit-def: $sgpr18_sgpr19
                                        ; implicit-def: $vgpr52
	s_and_saveexec_b64 s[16:17], vcc
	s_cbranch_execz .LBB1365_121
; %bb.94:
	ds_read_b128 v[38:41], v54 offset:18
	v_add_u32_e32 v4, 10, v53
	v_cmp_ne_u32_e32 vcc, v34, v35
	v_cndmask_b32_e64 v5, 0, 1, vcc
	v_cmp_gt_u32_e32 vcc, s86, v4
	s_waitcnt lgkmcnt(0)
	v_and_b32_e32 v4, 0xffff, v38
	v_mov_b32_e32 v6, 0
	v_lshl_or_b32 v4, v5, 16, v4
	v_mov_b32_e32 v5, v6
	v_mov_b32_e32 v7, v6
	;; [unrolled: 1-line block ×12, first 2 shown]
                                        ; implicit-def: $sgpr20_sgpr21
                                        ; implicit-def: $vgpr52
	s_and_saveexec_b64 s[18:19], vcc
	s_cbranch_execz .LBB1365_120
; %bb.95:
	v_cmp_ne_u32_e32 vcc, v35, v36
	v_add_u32_e32 v7, 11, v53
	v_cndmask_b32_e64 v5, 0, 1, vcc
	v_alignbit_b32 v5, v5, v38, 16
	v_cmp_gt_u32_e32 vcc, s86, v7
	v_mov_b32_e32 v7, v6
	v_mov_b32_e32 v8, v6
	;; [unrolled: 1-line block ×11, first 2 shown]
                                        ; implicit-def: $sgpr22_sgpr23
                                        ; implicit-def: $vgpr52
	s_and_saveexec_b64 s[20:21], vcc
	s_cbranch_execz .LBB1365_119
; %bb.96:
	v_cmp_ne_u32_e32 vcc, v36, v37
	v_and_b32_e32 v6, 0xffff, v39
	v_cndmask_b32_e64 v8, 0, 1, vcc
	v_add_u32_e32 v7, 12, v53
	v_lshl_or_b32 v6, v8, 16, v6
	v_mov_b32_e32 v8, 0
	v_cmp_gt_u32_e32 vcc, s86, v7
	v_mov_b32_e32 v7, v8
	v_mov_b32_e32 v9, v8
	;; [unrolled: 1-line block ×10, first 2 shown]
                                        ; implicit-def: $sgpr24_sgpr25
                                        ; implicit-def: $vgpr52
	s_and_saveexec_b64 s[22:23], vcc
	s_cbranch_execz .LBB1365_118
; %bb.97:
	v_cmp_ne_u32_e32 vcc, v37, v30
	v_add_u32_e32 v9, 13, v53
	v_cndmask_b32_e64 v7, 0, 1, vcc
	v_alignbit_b32 v7, v7, v39, 16
	v_cmp_gt_u32_e32 vcc, s86, v9
	v_mov_b32_e32 v9, v8
	v_mov_b32_e32 v10, v8
	;; [unrolled: 1-line block ×9, first 2 shown]
                                        ; implicit-def: $sgpr26_sgpr27
                                        ; implicit-def: $vgpr52
	s_and_saveexec_b64 s[24:25], vcc
	s_cbranch_execz .LBB1365_117
; %bb.98:
	v_cmp_ne_u32_e32 vcc, v30, v31
	v_and_b32_e32 v8, 0xffff, v40
	v_cndmask_b32_e64 v10, 0, 1, vcc
	v_add_u32_e32 v9, 14, v53
	v_lshl_or_b32 v8, v10, 16, v8
	v_mov_b32_e32 v10, 0
	v_cmp_gt_u32_e32 vcc, s86, v9
	v_mov_b32_e32 v9, v10
	v_mov_b32_e32 v11, v10
	;; [unrolled: 1-line block ×8, first 2 shown]
                                        ; implicit-def: $sgpr42_sgpr43
                                        ; implicit-def: $vgpr52
	s_and_saveexec_b64 s[26:27], vcc
	s_cbranch_execz .LBB1365_116
; %bb.99:
	v_cmp_ne_u32_e32 vcc, v31, v32
	v_add_u32_e32 v11, 15, v53
	v_cndmask_b32_e64 v9, 0, 1, vcc
	v_alignbit_b32 v9, v9, v40, 16
	v_cmp_gt_u32_e32 vcc, s86, v11
	v_mov_b32_e32 v11, v10
	v_mov_b32_e32 v12, v10
	;; [unrolled: 1-line block ×7, first 2 shown]
                                        ; implicit-def: $sgpr44_sgpr45
                                        ; implicit-def: $vgpr52
	s_and_saveexec_b64 s[42:43], vcc
	s_cbranch_execz .LBB1365_115
; %bb.100:
	v_cmp_ne_u32_e32 vcc, v32, v33
	v_and_b32_e32 v10, 0xffff, v41
	v_cndmask_b32_e64 v12, 0, 1, vcc
	v_add_u32_e32 v11, 16, v53
	v_lshl_or_b32 v10, v12, 16, v10
	v_mov_b32_e32 v12, 0
	v_cmp_gt_u32_e32 vcc, s86, v11
	v_mov_b32_e32 v11, v12
	v_mov_b32_e32 v13, v12
	;; [unrolled: 1-line block ×6, first 2 shown]
                                        ; implicit-def: $sgpr46_sgpr47
                                        ; implicit-def: $vgpr52
	s_and_saveexec_b64 s[44:45], vcc
	s_cbranch_execz .LBB1365_114
; %bb.101:
	v_cmp_ne_u32_e32 vcc, v33, v26
	v_add_u32_e32 v13, 17, v53
	v_cndmask_b32_e64 v11, 0, 1, vcc
	v_alignbit_b32 v11, v11, v41, 16
	v_cmp_gt_u32_e32 vcc, s86, v13
	v_mov_b32_e32 v13, v12
	v_mov_b32_e32 v14, v12
	v_mov_b32_e32 v15, v12
	v_mov_b32_e32 v16, v12
	v_mov_b32_e32 v17, v12
                                        ; implicit-def: $sgpr48_sgpr49
                                        ; implicit-def: $vgpr52
	s_and_saveexec_b64 s[46:47], vcc
	s_cbranch_execz .LBB1365_113
; %bb.102:
	ds_read_b96 v[30:32], v54 offset:34
	v_add_u32_e32 v12, 18, v53
	v_cmp_ne_u32_e32 vcc, v26, v27
	v_cndmask_b32_e64 v13, 0, 1, vcc
	v_cmp_gt_u32_e32 vcc, s86, v12
	s_waitcnt lgkmcnt(0)
	v_and_b32_e32 v12, 0xffff, v30
	v_mov_b32_e32 v14, 0
	v_lshl_or_b32 v12, v13, 16, v12
	v_mov_b32_e32 v13, v14
	v_mov_b32_e32 v15, v14
	;; [unrolled: 1-line block ×4, first 2 shown]
                                        ; implicit-def: $sgpr50_sgpr51
                                        ; implicit-def: $vgpr52
	s_and_saveexec_b64 s[48:49], vcc
	s_cbranch_execz .LBB1365_112
; %bb.103:
	v_cmp_ne_u32_e32 vcc, v27, v28
	v_add_u32_e32 v15, 19, v53
	v_cndmask_b32_e64 v13, 0, 1, vcc
	v_alignbit_b32 v13, v13, v30, 16
	v_cmp_gt_u32_e32 vcc, s86, v15
	v_mov_b32_e32 v15, v14
	v_mov_b32_e32 v16, v14
	;; [unrolled: 1-line block ×3, first 2 shown]
                                        ; implicit-def: $sgpr52_sgpr53
                                        ; implicit-def: $vgpr52
	s_and_saveexec_b64 s[50:51], vcc
	s_cbranch_execz .LBB1365_111
; %bb.104:
	v_cmp_ne_u32_e32 vcc, v28, v29
	v_and_b32_e32 v14, 0xffff, v31
	v_cndmask_b32_e64 v16, 0, 1, vcc
	v_add_u32_e32 v15, 20, v53
	v_lshl_or_b32 v14, v16, 16, v14
	v_mov_b32_e32 v16, 0
	v_cmp_gt_u32_e32 vcc, s86, v15
	v_mov_b32_e32 v15, v16
	v_mov_b32_e32 v17, v16
                                        ; implicit-def: $sgpr54_sgpr55
                                        ; implicit-def: $vgpr52
	s_and_saveexec_b64 s[52:53], vcc
	s_cbranch_execz .LBB1365_110
; %bb.105:
	v_cmp_ne_u32_e32 vcc, v29, v22
	v_add_u32_e32 v17, 21, v53
	v_cndmask_b32_e64 v15, 0, 1, vcc
	v_alignbit_b32 v15, v15, v31, 16
	v_cmp_gt_u32_e32 vcc, s86, v17
	s_mov_b32 s9, 0
	v_mov_b32_e32 v17, v16
                                        ; implicit-def: $sgpr68_sgpr69
                                        ; implicit-def: $vgpr52
	s_and_saveexec_b64 s[54:55], vcc
	s_cbranch_execz .LBB1365_109
; %bb.106:
	v_cmp_ne_u32_e32 vcc, v22, v23
	v_and_b32_e32 v16, 0xffff, v32
	v_add_u32_e32 v17, 22, v53
	v_cndmask_b32_e64 v22, 0, 1, vcc
	v_lshl_or_b32 v16, v22, 16, v16
	v_cmp_gt_u32_e32 vcc, s86, v17
	v_mov_b32_e32 v17, s9
                                        ; implicit-def: $sgpr68_sgpr69
                                        ; implicit-def: $vgpr52
	s_and_saveexec_b64 s[82:83], vcc
	s_xor_b64 s[82:83], exec, s[82:83]
	s_cbranch_execz .LBB1365_108
; %bb.107:
	ds_read_u16 v52, v54 offset:46
	v_add_u32_e32 v22, 23, v53
	v_cmp_ne_u32_e64 s[4:5], v23, v24
	v_cmp_ne_u32_e32 vcc, v24, v25
	v_cndmask_b32_e64 v17, 0, 1, s[4:5]
	v_cmp_gt_u32_e64 s[4:5], s86, v22
	v_alignbit_b32 v17, v17, v32, 16
	s_and_b64 s[68:69], vcc, exec
	s_and_b64 s[4:5], s[4:5], exec
.LBB1365_108:
	s_or_b64 exec, exec, s[82:83]
	s_and_b64 s[68:69], s[68:69], exec
	s_and_b64 s[4:5], s[4:5], exec
.LBB1365_109:
	s_or_b64 exec, exec, s[54:55]
	s_and_b64 s[54:55], s[68:69], exec
	s_and_b64 s[4:5], s[4:5], exec
.LBB1365_110:
	s_or_b64 exec, exec, s[52:53]
	s_and_b64 s[52:53], s[54:55], exec
	s_and_b64 s[4:5], s[4:5], exec
.LBB1365_111:
	s_or_b64 exec, exec, s[50:51]
	s_and_b64 s[50:51], s[52:53], exec
	s_and_b64 s[4:5], s[4:5], exec
.LBB1365_112:
	s_or_b64 exec, exec, s[48:49]
	s_and_b64 s[48:49], s[50:51], exec
	s_and_b64 s[4:5], s[4:5], exec
.LBB1365_113:
	s_or_b64 exec, exec, s[46:47]
	s_and_b64 s[46:47], s[48:49], exec
	s_and_b64 s[4:5], s[4:5], exec
.LBB1365_114:
	s_or_b64 exec, exec, s[44:45]
	s_and_b64 s[44:45], s[46:47], exec
	s_and_b64 s[4:5], s[4:5], exec
.LBB1365_115:
	s_or_b64 exec, exec, s[42:43]
	s_and_b64 s[42:43], s[44:45], exec
	s_and_b64 s[4:5], s[4:5], exec
.LBB1365_116:
	s_or_b64 exec, exec, s[26:27]
	s_and_b64 s[26:27], s[42:43], exec
	s_and_b64 s[4:5], s[4:5], exec
.LBB1365_117:
	s_or_b64 exec, exec, s[24:25]
	s_and_b64 s[24:25], s[26:27], exec
	s_and_b64 s[4:5], s[4:5], exec
.LBB1365_118:
	s_or_b64 exec, exec, s[22:23]
	s_and_b64 s[22:23], s[24:25], exec
	s_and_b64 s[4:5], s[4:5], exec
.LBB1365_119:
	s_or_b64 exec, exec, s[20:21]
	s_and_b64 s[20:21], s[22:23], exec
	s_and_b64 s[4:5], s[4:5], exec
.LBB1365_120:
	s_or_b64 exec, exec, s[18:19]
	s_and_b64 s[18:19], s[20:21], exec
	s_and_b64 s[4:5], s[4:5], exec
.LBB1365_121:
	s_or_b64 exec, exec, s[16:17]
	s_and_b64 s[16:17], s[18:19], exec
	s_and_b64 s[4:5], s[4:5], exec
.LBB1365_122:
	s_or_b64 exec, exec, s[14:15]
	s_and_b64 s[14:15], s[16:17], exec
	s_and_b64 s[4:5], s[4:5], exec
.LBB1365_123:
	s_or_b64 exec, exec, s[12:13]
	s_and_b64 s[12:13], s[14:15], exec
	s_and_b64 s[4:5], s[4:5], exec
.LBB1365_124:
	s_or_b64 exec, exec, s[40:41]
	s_and_b64 s[40:41], s[12:13], exec
	s_and_b64 s[4:5], s[4:5], exec
.LBB1365_125:
	s_or_b64 exec, exec, s[38:39]
	s_and_b64 s[12:13], s[40:41], exec
	s_and_b64 s[4:5], s[4:5], exec
.LBB1365_126:
	s_or_b64 exec, exec, s[36:37]
	s_and_b64 s[36:37], s[12:13], exec
	s_and_b64 s[4:5], s[4:5], exec
.LBB1365_127:
	s_or_b64 exec, exec, s[34:35]
	s_and_b64 s[12:13], s[36:37], exec
	s_and_b64 s[34:35], s[4:5], exec
.LBB1365_128:
	s_or_b64 exec, exec, s[6:7]
	s_and_b64 s[36:37], s[12:13], exec
	s_and_b64 s[34:35], s[34:35], exec
.LBB1365_129:
	s_or_b64 exec, exec, s[30:31]
	s_and_b64 s[4:5], s[36:37], exec
	s_and_b64 s[6:7], s[34:35], exec
.LBB1365_130:
	s_or_b64 exec, exec, s[10:11]
	s_and_b64 vcc, exec, s[28:29]
	s_cbranch_vccnz .LBB1365_132
	s_branch .LBB1365_140
.LBB1365_131:
                                        ; implicit-def: $sgpr4_sgpr5
                                        ; implicit-def: $vgpr50_vgpr51
                                        ; implicit-def: $vgpr18_vgpr19_vgpr20_vgpr21
                                        ; implicit-def: $vgpr2_vgpr3_vgpr4_vgpr5_vgpr6_vgpr7_vgpr8_vgpr9_vgpr10_vgpr11_vgpr12_vgpr13_vgpr14_vgpr15_vgpr16_vgpr17
                                        ; implicit-def: $vgpr52
                                        ; implicit-def: $vgpr1
                                        ; implicit-def: $sgpr8
	s_and_b64 vcc, exec, s[28:29]
	s_cbranch_vccz .LBB1365_140
.LBB1365_132:
	v_lshlrev_b32_e32 v4, 2, v0
	v_mov_b32_e32 v1, s63
	v_add_co_u32_e32 v2, vcc, s62, v4
	v_addc_co_u32_e32 v3, vcc, 0, v1, vcc
	s_movk_i32 s4, 0x1000
	flat_load_dword v5, v[2:3]
	flat_load_dword v6, v[2:3] offset:256
	flat_load_dword v7, v[2:3] offset:512
	flat_load_dword v8, v[2:3] offset:768
	flat_load_dword v9, v[2:3] offset:1024
	flat_load_dword v10, v[2:3] offset:1280
	flat_load_dword v11, v[2:3] offset:1536
	flat_load_dword v12, v[2:3] offset:1792
	flat_load_dword v13, v[2:3] offset:2048
	flat_load_dword v14, v[2:3] offset:2304
	flat_load_dword v15, v[2:3] offset:2560
	flat_load_dword v16, v[2:3] offset:2816
	flat_load_dword v17, v[2:3] offset:3072
	flat_load_dword v18, v[2:3] offset:3328
	flat_load_dword v19, v[2:3] offset:3584
	flat_load_dword v20, v[2:3] offset:3840
	v_add_co_u32_e32 v2, vcc, s4, v2
	v_addc_co_u32_e32 v3, vcc, 0, v3, vcc
	flat_load_dword v21, v[2:3]
	flat_load_dword v22, v[2:3] offset:256
	flat_load_dword v23, v[2:3] offset:512
	;; [unrolled: 1-line block ×7, first 2 shown]
	s_movk_i32 s4, 0x5c
	v_mad_u32_u24 v1, v0, s4, v4
	s_cmp_eq_u64 s[72:73], 0
	s_waitcnt vmcnt(0) lgkmcnt(0)
	ds_write2st64_b32 v4, v5, v6 offset1:1
	ds_write2st64_b32 v4, v7, v8 offset0:2 offset1:3
	ds_write2st64_b32 v4, v9, v10 offset0:4 offset1:5
	ds_write2st64_b32 v4, v11, v12 offset0:6 offset1:7
	ds_write2st64_b32 v4, v13, v14 offset0:8 offset1:9
	ds_write2st64_b32 v4, v15, v16 offset0:10 offset1:11
	ds_write2st64_b32 v4, v17, v18 offset0:12 offset1:13
	ds_write2st64_b32 v4, v19, v20 offset0:14 offset1:15
	ds_write2st64_b32 v4, v21, v22 offset0:16 offset1:17
	ds_write2st64_b32 v4, v23, v24 offset0:18 offset1:19
	ds_write2st64_b32 v4, v25, v26 offset0:20 offset1:21
	ds_write2st64_b32 v4, v27, v28 offset0:22 offset1:23
	s_waitcnt lgkmcnt(0)
	; wave barrier
	s_waitcnt lgkmcnt(0)
	ds_read2_b64 v[2:5], v1 offset1:11
	ds_read2_b64 v[34:37], v1 offset0:9 offset1:10
	ds_read2_b64 v[30:33], v1 offset0:7 offset1:8
	;; [unrolled: 1-line block ×5, first 2 shown]
	s_cbranch_scc1 .LBB1365_137
; %bb.133:
	s_andn2_b64 vcc, exec, s[64:65]
	s_cbranch_vccnz .LBB1365_308
; %bb.134:
	s_lshl_b64 s[4:5], s[72:73], 2
	s_add_u32 s4, s74, s4
	s_addc_u32 s5, s75, s5
	s_add_u32 s4, s4, -4
	s_addc_u32 s5, s5, -1
	s_cbranch_execnz .LBB1365_136
.LBB1365_135:
	s_add_u32 s4, s62, -4
	s_addc_u32 s5, s63, -1
.LBB1365_136:
	s_mov_b64 s[62:63], s[4:5]
.LBB1365_137:
	v_pk_mov_b32 v[10:11], s[62:63], s[62:63] op_sel:[0,1]
	flat_load_dword v10, v[10:11]
	s_movk_i32 s4, 0xffa4
	v_mad_i32_i24 v1, v0, s4, v1
	s_waitcnt lgkmcnt(0)
	ds_write_b32 v1, v5 offset:6144
	s_waitcnt lgkmcnt(0)
	; wave barrier
	s_waitcnt lgkmcnt(0)
	s_and_saveexec_b64 s[4:5], s[56:57]
	s_cbranch_execz .LBB1365_139
; %bb.138:
	s_waitcnt vmcnt(0)
	ds_read_b32 v10, v1 offset:6140
.LBB1365_139:
	s_or_b64 exec, exec, s[4:5]
	v_lshlrev_b32_e32 v11, 1, v0
	v_mov_b32_e32 v13, s85
	v_add_co_u32_e32 v12, vcc, s84, v11
	v_addc_co_u32_e32 v13, vcc, 0, v13, vcc
	s_waitcnt lgkmcnt(0)
	; wave barrier
	s_waitcnt lgkmcnt(0)
	flat_load_ushort v14, v[12:13]
	flat_load_ushort v15, v[12:13] offset:128
	flat_load_ushort v16, v[12:13] offset:256
	;; [unrolled: 1-line block ×23, first 2 shown]
	s_waitcnt vmcnt(0)
	v_cmp_ne_u32_e32 vcc, v10, v2
	v_cmp_ne_u32_e64 s[4:5], v4, v5
	v_cndmask_b32_e64 v5, 0, 1, vcc
	v_cmp_ne_u32_e32 vcc, v3, v6
	v_cndmask_b32_e64 v13, 0, 1, vcc
	v_cmp_ne_u32_e32 vcc, v2, v3
	;; [unrolled: 2-line block ×4, first 2 shown]
	v_sub_u32_e32 v1, v1, v11
	v_cndmask_b32_e64 v54, 0, 1, vcc
	v_cmp_ne_u32_e32 vcc, v8, v9
	v_mad_u32_u24 v57, v0, 46, v1
	v_cndmask_b32_e64 v55, 0, 1, vcc
	v_cmp_ne_u32_e32 vcc, v6, v7
	v_cndmask_b32_e64 v56, 0, 1, vcc
	v_cmp_ne_u32_e32 vcc, v37, v4
	s_mov_b64 s[6:7], -1
                                        ; implicit-def: $sgpr8
	s_waitcnt lgkmcnt(0)
	ds_write_b16 v1, v14
	ds_write_b16 v1, v15 offset:128
	ds_write_b16 v1, v16 offset:256
	;; [unrolled: 1-line block ×23, first 2 shown]
	s_waitcnt lgkmcnt(0)
	; wave barrier
	s_waitcnt lgkmcnt(0)
	ds_read_u16 v1, v57
	ds_read_b96 v[10:12], v57 offset:2
	ds_read_b128 v[38:41], v57 offset:14
	ds_read_b128 v[6:9], v57 offset:30
	ds_read_u16 v52, v57 offset:46
	s_waitcnt lgkmcnt(4)
	v_lshl_or_b32 v1, v5, 16, v1
	s_waitcnt lgkmcnt(3)
	v_alignbit_b32 v21, v3, v12, 16
	v_cndmask_b32_e64 v3, 0, 1, vcc
	v_cmp_ne_u32_e32 vcc, v35, v36
	s_waitcnt lgkmcnt(1)
	v_alignbit_b32 v17, v3, v9, 16
	v_cndmask_b32_e64 v3, 0, 1, vcc
	v_cmp_ne_u32_e32 vcc, v33, v34
	v_alignbit_b32 v51, v13, v10, 16
	v_and_b32_e32 v13, 0xffff, v12
	v_alignbit_b32 v15, v3, v8, 16
	v_cndmask_b32_e64 v3, 0, 1, vcc
	v_cmp_ne_u32_e32 vcc, v31, v32
	v_lshl_or_b32 v20, v55, 16, v13
	v_alignbit_b32 v13, v3, v7, 16
	v_cndmask_b32_e64 v3, 0, 1, vcc
	v_cmp_ne_u32_e32 vcc, v29, v30
	v_and_b32_e32 v5, 0xffff, v10
	v_and_b32_e32 v10, 0xffff, v11
	v_alignbit_b32 v19, v54, v11, 16
	v_alignbit_b32 v11, v3, v6, 16
	v_cndmask_b32_e64 v3, 0, 1, vcc
	v_cmp_ne_u32_e32 vcc, v27, v28
	v_and_b32_e32 v16, 0xffff, v9
	v_alignbit_b32 v9, v3, v41, 16
	v_cndmask_b32_e64 v3, 0, 1, vcc
	v_cmp_ne_u32_e32 vcc, v25, v26
	v_and_b32_e32 v12, 0xffff, v7
	v_alignbit_b32 v7, v3, v40, 16
	v_cndmask_b32_e64 v3, 0, 1, vcc
	v_cmp_ne_u32_e32 vcc, v23, v24
	v_lshl_or_b32 v50, v2, 16, v5
	v_alignbit_b32 v5, v3, v39, 16
	v_cndmask_b32_e64 v3, 0, 1, vcc
	v_cmp_ne_u32_e32 vcc, v36, v37
	v_cndmask_b32_e64 v4, 0, 1, vcc
	v_cmp_ne_u32_e32 vcc, v34, v35
	v_and_b32_e32 v14, 0xffff, v8
	v_lshl_or_b32 v16, v4, 16, v16
	v_cndmask_b32_e64 v4, 0, 1, vcc
	v_cmp_ne_u32_e32 vcc, v32, v33
	v_lshl_or_b32 v14, v4, 16, v14
	v_cndmask_b32_e64 v4, 0, 1, vcc
	v_cmp_ne_u32_e32 vcc, v30, v31
	v_lshl_or_b32 v18, v56, 16, v10
	v_and_b32_e32 v10, 0xffff, v6
	v_lshl_or_b32 v12, v4, 16, v12
	v_cndmask_b32_e64 v4, 0, 1, vcc
	v_cmp_ne_u32_e32 vcc, v28, v29
	v_and_b32_e32 v44, 0xffff, v41
	v_lshl_or_b32 v10, v4, 16, v10
	v_cndmask_b32_e64 v4, 0, 1, vcc
	v_cmp_ne_u32_e32 vcc, v26, v27
	;; [unrolled: 4-line block ×3, first 2 shown]
	v_lshl_or_b32 v6, v4, 16, v43
	v_cndmask_b32_e64 v4, 0, 1, vcc
	v_cmp_ne_u32_e32 vcc, v22, v23
	v_and_b32_e32 v2, 0xffff, v38
	v_and_b32_e32 v42, 0xffff, v39
	v_cndmask_b32_e64 v22, 0, 1, vcc
	v_alignbit_b32 v3, v3, v38, 16
	v_lshl_or_b32 v4, v4, 16, v42
	v_lshl_or_b32 v2, v22, 16, v2
.LBB1365_140:
	v_mov_b32_e32 v32, s8
	s_and_saveexec_b64 s[8:9], s[6:7]
	s_cbranch_execz .LBB1365_142
; %bb.141:
	v_mov_b32_e32 v22, 0x10000
	v_cndmask_b32_e64 v22, 0, v22, s[4:5]
	s_waitcnt lgkmcnt(0)
	v_or_b32_sdwa v32, v22, v52 dst_sel:DWORD dst_unused:UNUSED_PAD src0_sel:DWORD src1_sel:WORD_0
.LBB1365_142:
	s_or_b64 exec, exec, s[8:9]
	s_cmp_lg_u32 s79, 0
	v_mbcnt_lo_u32_b32 v33, -1, 0
	s_waitcnt lgkmcnt(0)
	; wave barrier
	s_waitcnt lgkmcnt(0)
	s_cbranch_scc0 .LBB1365_205
; %bb.143:
	s_mov_b32 s4, 0x10000
	v_cmp_gt_u32_e64 s[6:7], s4, v50
	v_cndmask_b32_e64 v22, 0, v1, s[6:7]
	v_add_u16_e32 v22, v22, v50
	v_cmp_gt_u32_e64 s[8:9], s4, v51
	v_cndmask_b32_e64 v22, 0, v22, s[8:9]
	v_add_u16_e32 v22, v22, v51
	;; [unrolled: 3-line block ×16, first 2 shown]
	v_cmp_gt_u32_e64 s[40:41], s4, v12
	v_cndmask_b32_e64 v22, 0, v22, s[40:41]
	v_or3_b32 v23, v32, v17, v16
	v_add_u16_e32 v22, v22, v12
	v_cmp_gt_u32_e64 s[42:43], s4, v13
	v_or3_b32 v23, v23, v15, v14
	v_cndmask_b32_e64 v22, 0, v22, s[42:43]
	v_or3_b32 v23, v23, v13, v12
	v_add_u16_e32 v22, v22, v13
	v_cmp_gt_u32_e64 s[44:45], s4, v14
	v_or3_b32 v23, v23, v11, v10
	;; [unrolled: 5-line block ×5, first 2 shown]
	v_cndmask_b32_e64 v22, 0, v22, s[50:51]
	v_or3_b32 v23, v23, v51, v50
	v_add_u16_e32 v22, v22, v17
	v_cmp_gt_u32_e64 s[52:53], s4, v32
	v_and_b32_e32 v23, 0x10000, v23
	v_lshrrev_b32_e32 v34, 16, v1
	v_cndmask_b32_e64 v24, 0, v22, s[52:53]
	v_cmp_eq_u32_e32 vcc, 0, v23
	v_add_u16_e32 v22, v24, v32
	v_cndmask_b32_e32 v23, 1, v34, vcc
	v_mbcnt_hi_u32_b32 v25, -1, v33
	v_add_u16_e32 v24, v24, v32
	v_and_b32_e32 v27, 15, v25
	v_lshl_or_b32 v26, v23, 16, v24
	v_cmp_ne_u32_e32 vcc, 0, v27
	s_nop 0
	v_mov_b32_dpp v24, v26 row_shr:1 row_mask:0xf bank_mask:0xf
	s_and_saveexec_b64 s[4:5], vcc
	s_cbranch_execz .LBB1365_145
; %bb.144:
	v_cmp_eq_u32_e32 vcc, 0, v23
	v_and_b32_e32 v23, 1, v23
	v_mov_b32_e32 v29, 1
	v_cndmask_b32_e32 v26, 0, v24, vcc
	v_and_b32_sdwa v24, v24, v29 dst_sel:DWORD dst_unused:UNUSED_PAD src0_sel:WORD_1 src1_sel:DWORD
	v_cmp_eq_u32_e32 vcc, 1, v23
	v_cndmask_b32_e64 v23, v24, 1, vcc
	v_add_u16_e32 v28, v26, v22
	v_lshlrev_b32_e32 v24, 16, v23
	v_add_u16_e32 v22, v26, v22
	v_or_b32_e32 v26, v24, v22
	v_mov_b32_e32 v22, v28
.LBB1365_145:
	s_or_b64 exec, exec, s[4:5]
	v_lshrrev_b32_e32 v24, 16, v26
	v_mov_b32_dpp v28, v26 row_shr:2 row_mask:0xf bank_mask:0xf
	v_cmp_lt_u32_e32 vcc, 1, v27
	s_and_saveexec_b64 s[4:5], vcc
	s_cbranch_execz .LBB1365_147
; %bb.146:
	s_mov_b32 s54, 0x10000
	v_cmp_gt_u32_e32 vcc, s54, v26
	v_and_b32_e32 v23, 0x10000, v26
	v_mov_b32_e32 v26, 1
	v_cndmask_b32_e32 v24, 0, v28, vcc
	v_and_b32_sdwa v26, v28, v26 dst_sel:DWORD dst_unused:UNUSED_PAD src0_sel:WORD_1 src1_sel:DWORD
	v_cmp_ne_u32_e32 vcc, 0, v23
	v_cndmask_b32_e64 v23, v26, 1, vcc
	v_add_u16_e32 v29, v24, v22
	v_lshlrev_b32_e32 v26, 16, v23
	v_add_u16_e32 v22, v24, v22
	v_or_b32_e32 v26, v26, v22
	v_mov_b32_e32 v22, v29
	v_mov_b32_e32 v24, v23
.LBB1365_147:
	s_or_b64 exec, exec, s[4:5]
	v_mov_b32_dpp v28, v26 row_shr:4 row_mask:0xf bank_mask:0xf
	v_cmp_lt_u32_e32 vcc, 3, v27
	s_and_saveexec_b64 s[4:5], vcc
	s_cbranch_execz .LBB1365_149
; %bb.148:
	v_mov_b32_e32 v23, 0
	v_cmp_eq_u16_sdwa vcc, v24, v23 src0_sel:BYTE_0 src1_sel:DWORD
	v_and_b32_e32 v23, 1, v24
	v_mov_b32_e32 v24, 1
	v_cndmask_b32_e32 v26, 0, v28, vcc
	v_and_b32_sdwa v24, v28, v24 dst_sel:DWORD dst_unused:UNUSED_PAD src0_sel:WORD_1 src1_sel:DWORD
	v_cmp_eq_u32_e32 vcc, 1, v23
	v_cndmask_b32_e64 v23, v24, 1, vcc
	v_add_u16_e32 v29, v26, v22
	v_lshlrev_b32_e32 v24, 16, v23
	v_add_u16_e32 v22, v26, v22
	v_or_b32_e32 v26, v24, v22
	v_mov_b32_e32 v22, v29
	v_mov_b32_e32 v24, v23
.LBB1365_149:
	s_or_b64 exec, exec, s[4:5]
	v_mov_b32_dpp v28, v26 row_shr:8 row_mask:0xf bank_mask:0xf
	v_cmp_lt_u32_e32 vcc, 7, v27
	s_and_saveexec_b64 s[4:5], vcc
	s_cbranch_execz .LBB1365_151
; %bb.150:
	v_mov_b32_e32 v23, 0
	v_cmp_eq_u16_sdwa vcc, v24, v23 src0_sel:BYTE_0 src1_sel:DWORD
	v_and_b32_e32 v23, 1, v24
	v_mov_b32_e32 v24, 1
	v_cndmask_b32_e32 v26, 0, v28, vcc
	v_and_b32_sdwa v24, v28, v24 dst_sel:DWORD dst_unused:UNUSED_PAD src0_sel:WORD_1 src1_sel:DWORD
	v_cmp_eq_u32_e32 vcc, 1, v23
	v_cndmask_b32_e64 v23, v24, 1, vcc
	v_add_u16_e32 v27, v26, v22
	v_lshlrev_b32_e32 v24, 16, v23
	v_add_u16_e32 v22, v26, v22
	v_or_b32_e32 v26, v24, v22
	v_mov_b32_e32 v22, v27
	v_mov_b32_e32 v24, v23
.LBB1365_151:
	s_or_b64 exec, exec, s[4:5]
	v_and_b32_e32 v28, 16, v25
	v_mov_b32_dpp v27, v26 row_bcast:15 row_mask:0xf bank_mask:0xf
	v_cmp_ne_u32_e32 vcc, 0, v28
	s_and_saveexec_b64 s[4:5], vcc
	s_cbranch_execz .LBB1365_153
; %bb.152:
	v_mov_b32_e32 v23, 0
	v_cmp_eq_u16_sdwa vcc, v24, v23 src0_sel:BYTE_0 src1_sel:DWORD
	v_and_b32_e32 v23, 1, v24
	v_mov_b32_e32 v24, 1
	v_cndmask_b32_e32 v26, 0, v27, vcc
	v_and_b32_sdwa v24, v27, v24 dst_sel:DWORD dst_unused:UNUSED_PAD src0_sel:WORD_1 src1_sel:DWORD
	v_cmp_eq_u32_e32 vcc, 1, v23
	v_cndmask_b32_e64 v23, v24, 1, vcc
	v_add_u16_e32 v28, v26, v22
	v_lshlrev_b32_e32 v24, 16, v23
	v_add_u16_e32 v22, v26, v22
	v_or_b32_e32 v26, v24, v22
	v_mov_b32_e32 v22, v28
	v_mov_b32_e32 v24, v23
.LBB1365_153:
	s_or_b64 exec, exec, s[4:5]
	v_mov_b32_dpp v26, v26 row_bcast:31 row_mask:0xf bank_mask:0xf
	v_cmp_lt_u32_e32 vcc, 31, v25
	s_and_saveexec_b64 s[4:5], vcc
; %bb.154:
	v_mov_b32_e32 v23, 0
	v_cmp_eq_u16_sdwa vcc, v24, v23 src0_sel:BYTE_0 src1_sel:DWORD
	v_cndmask_b32_e32 v23, 0, v26, vcc
	v_add_u16_e32 v22, v23, v22
	v_and_b32_e32 v23, 1, v24
	v_mov_b32_e32 v24, 1
	v_and_b32_sdwa v24, v26, v24 dst_sel:DWORD dst_unused:UNUSED_PAD src0_sel:WORD_1 src1_sel:DWORD
	v_cmp_eq_u32_e32 vcc, 1, v23
	v_cndmask_b32_e64 v23, v24, 1, vcc
	v_mov_b32_e32 v24, v23
; %bb.155:
	s_or_b64 exec, exec, s[4:5]
	v_cmp_eq_u32_e32 vcc, 63, v0
	s_and_saveexec_b64 s[4:5], vcc
	s_cbranch_execz .LBB1365_157
; %bb.156:
	v_mov_b32_e32 v26, 0
	ds_write_b16 v26, v22
	ds_write_b8 v26, v24 offset:2
.LBB1365_157:
	s_or_b64 exec, exec, s[4:5]
	v_and_b32_e32 v23, 0xff, v23
	v_and_b32_e32 v22, 0xffff, v22
	v_lshl_or_b32 v22, v23, 16, v22
	v_add_u32_e32 v23, -1, v25
	v_and_b32_e32 v24, 64, v25
	v_cmp_lt_i32_e32 vcc, v23, v24
	v_cndmask_b32_e32 v23, v23, v25, vcc
	v_lshlrev_b32_e32 v23, 2, v23
	ds_bpermute_b32 v35, v23, v22
	v_cmp_gt_u32_e32 vcc, 64, v0
	s_waitcnt lgkmcnt(0)
	; wave barrier
	s_waitcnt lgkmcnt(0)
	s_and_saveexec_b64 s[4:5], vcc
	s_cbranch_execz .LBB1365_204
; %bb.158:
	v_mov_b32_e32 v31, 0
	ds_read_b32 v22, v31
	s_mov_b32 s65, 0
	v_cmp_eq_u32_e64 s[54:55], 0, v25
	s_and_saveexec_b64 s[62:63], s[54:55]
	s_cbranch_execz .LBB1365_160
; %bb.159:
	s_add_i32 s64, s79, 64
	s_lshl_b64 s[64:65], s[64:65], 3
	s_add_u32 s64, s76, s64
	v_mov_b32_e32 v23, 1
	s_addc_u32 s65, s77, s65
	s_waitcnt lgkmcnt(0)
	global_store_dwordx2 v31, v[22:23], s[64:65]
.LBB1365_160:
	s_or_b64 exec, exec, s[62:63]
	v_xad_u32 v24, v25, -1, s79
	v_add_u32_e32 v30, 64, v24
	v_lshlrev_b64 v[26:27], 3, v[30:31]
	v_mov_b32_e32 v23, s77
	v_add_co_u32_e32 v26, vcc, s76, v26
	v_addc_co_u32_e32 v27, vcc, v23, v27, vcc
	global_load_dwordx2 v[28:29], v[26:27], off glc
	s_waitcnt vmcnt(0)
	v_cmp_eq_u16_sdwa s[64:65], v29, v31 src0_sel:BYTE_0 src1_sel:DWORD
	s_and_saveexec_b64 s[62:63], s[64:65]
	s_cbranch_execz .LBB1365_166
; %bb.161:
	s_mov_b32 s68, 1
	s_mov_b64 s[64:65], 0
	v_mov_b32_e32 v23, 0
.LBB1365_162:                           ; =>This Loop Header: Depth=1
                                        ;     Child Loop BB1365_163 Depth 2
	s_max_u32 s69, s68, 1
.LBB1365_163:                           ;   Parent Loop BB1365_162 Depth=1
                                        ; =>  This Inner Loop Header: Depth=2
	s_add_i32 s69, s69, -1
	s_cmp_eq_u32 s69, 0
	s_sleep 1
	s_cbranch_scc0 .LBB1365_163
; %bb.164:                              ;   in Loop: Header=BB1365_162 Depth=1
	global_load_dwordx2 v[28:29], v[26:27], off glc
	s_cmp_lt_u32 s68, 32
	s_cselect_b64 s[72:73], -1, 0
	s_cmp_lg_u64 s[72:73], 0
	s_addc_u32 s68, s68, 0
	s_waitcnt vmcnt(0)
	v_cmp_ne_u16_sdwa s[72:73], v29, v23 src0_sel:BYTE_0 src1_sel:DWORD
	s_or_b64 s[64:65], s[72:73], s[64:65]
	s_andn2_b64 exec, exec, s[64:65]
	s_cbranch_execnz .LBB1365_162
; %bb.165:
	s_or_b64 exec, exec, s[64:65]
.LBB1365_166:
	s_or_b64 exec, exec, s[62:63]
	v_mov_b32_e32 v23, 2
	v_cmp_eq_u16_sdwa s[62:63], v29, v23 src0_sel:BYTE_0 src1_sel:DWORD
	v_lshlrev_b64 v[26:27], v25, -1
	v_and_b32_e32 v23, s63, v27
	v_or_b32_e32 v23, 0x80000000, v23
	v_ffbl_b32_e32 v23, v23
	v_add_u32_e32 v31, 32, v23
	v_and_b32_e32 v23, 63, v25
	v_cmp_ne_u32_e32 vcc, 63, v23
	v_addc_co_u32_e32 v36, vcc, 0, v25, vcc
	v_and_b32_e32 v47, 0xffffff, v28
	v_lshlrev_b32_e32 v36, 2, v36
	ds_bpermute_b32 v37, v36, v47
	v_and_b32_e32 v30, s62, v26
	v_ffbl_b32_e32 v30, v30
	v_min_u32_e32 v31, v30, v31
	v_lshrrev_b32_e32 v30, 16, v28
	v_cmp_lt_u32_e32 vcc, v23, v31
	v_bfe_u32 v45, v28, 16, 8
	s_and_saveexec_b64 s[62:63], vcc
	s_cbranch_execz .LBB1365_168
; %bb.167:
	v_and_b32_e32 v30, 0xff0000, v28
	v_cmp_eq_u32_e32 vcc, 0, v30
	v_and_b32_e32 v30, 0x10000, v30
	v_mov_b32_e32 v40, 1
	s_waitcnt lgkmcnt(0)
	v_cndmask_b32_e32 v38, 0, v37, vcc
	v_and_b32_sdwa v37, v37, v40 dst_sel:DWORD dst_unused:UNUSED_PAD src0_sel:WORD_1 src1_sel:DWORD
	v_cmp_ne_u32_e32 vcc, 0, v30
	v_cndmask_b32_e64 v30, v37, 1, vcc
	v_add_u16_e32 v39, v38, v28
	v_lshlrev_b32_e32 v37, 16, v30
	v_add_u16_e32 v28, v38, v28
	v_or_b32_e32 v47, v37, v28
	v_mov_b32_e32 v28, v39
	v_mov_b32_e32 v45, v30
.LBB1365_168:
	s_or_b64 exec, exec, s[62:63]
	v_cmp_gt_u32_e32 vcc, 62, v23
	s_waitcnt lgkmcnt(0)
	v_cndmask_b32_e64 v37, 0, 1, vcc
	v_lshlrev_b32_e32 v37, 1, v37
	v_add_lshl_u32 v37, v37, v25, 2
	ds_bpermute_b32 v39, v37, v47
	v_add_u32_e32 v38, 2, v23
	v_cmp_le_u32_e32 vcc, v38, v31
	s_and_saveexec_b64 s[62:63], vcc
	s_cbranch_execz .LBB1365_170
; %bb.169:
	v_cmp_eq_u16_e32 vcc, 0, v45
	v_and_b32_e32 v30, 1, v45
	v_mov_b32_e32 v42, 1
	s_waitcnt lgkmcnt(0)
	v_cndmask_b32_e32 v40, 0, v39, vcc
	v_and_b32_sdwa v39, v39, v42 dst_sel:DWORD dst_unused:UNUSED_PAD src0_sel:WORD_1 src1_sel:DWORD
	v_cmp_eq_u32_e32 vcc, 1, v30
	v_cndmask_b32_e64 v30, v39, 1, vcc
	v_add_u16_e32 v41, v40, v28
	v_lshlrev_b32_e32 v39, 16, v30
	v_add_u16_e32 v28, v40, v28
	v_or_b32_e32 v47, v39, v28
	v_mov_b32_e32 v28, v41
	v_mov_b32_e32 v45, v30
.LBB1365_170:
	s_or_b64 exec, exec, s[62:63]
	v_cmp_gt_u32_e32 vcc, 60, v23
	s_waitcnt lgkmcnt(0)
	v_cndmask_b32_e64 v39, 0, 1, vcc
	v_lshlrev_b32_e32 v39, 2, v39
	v_add_lshl_u32 v39, v39, v25, 2
	ds_bpermute_b32 v41, v39, v47
	v_add_u32_e32 v40, 4, v23
	v_cmp_le_u32_e32 vcc, v40, v31
	s_and_saveexec_b64 s[62:63], vcc
	s_cbranch_execz .LBB1365_172
; %bb.171:
	v_cmp_eq_u16_e32 vcc, 0, v45
	v_and_b32_e32 v30, 1, v45
	v_mov_b32_e32 v44, 1
	s_waitcnt lgkmcnt(0)
	v_cndmask_b32_e32 v42, 0, v41, vcc
	v_and_b32_sdwa v41, v41, v44 dst_sel:DWORD dst_unused:UNUSED_PAD src0_sel:WORD_1 src1_sel:DWORD
	v_cmp_eq_u32_e32 vcc, 1, v30
	v_cndmask_b32_e64 v30, v41, 1, vcc
	v_add_u16_e32 v43, v42, v28
	v_lshlrev_b32_e32 v41, 16, v30
	v_add_u16_e32 v28, v42, v28
	v_or_b32_e32 v47, v41, v28
	v_mov_b32_e32 v28, v43
	v_mov_b32_e32 v45, v30
.LBB1365_172:
	;; [unrolled: 27-line block ×4, first 2 shown]
	s_or_b64 exec, exec, s[62:63]
	v_cmp_gt_u32_e32 vcc, 32, v23
	s_waitcnt lgkmcnt(0)
	v_cndmask_b32_e64 v46, 0, 1, vcc
	v_lshlrev_b32_e32 v46, 5, v46
	v_add_lshl_u32 v46, v46, v25, 2
	ds_bpermute_b32 v25, v46, v47
	v_add_u32_e32 v47, 32, v23
	v_cmp_le_u32_e32 vcc, v47, v31
	s_and_saveexec_b64 s[62:63], vcc
	s_cbranch_execz .LBB1365_178
; %bb.177:
	v_cmp_eq_u16_e32 vcc, 0, v45
	s_waitcnt lgkmcnt(0)
	v_cndmask_b32_e32 v30, 0, v25, vcc
	v_add_u16_e32 v28, v30, v28
	v_and_b32_e32 v30, 1, v45
	v_mov_b32_e32 v31, 1
	v_and_b32_sdwa v25, v25, v31 dst_sel:DWORD dst_unused:UNUSED_PAD src0_sel:WORD_1 src1_sel:DWORD
	v_cmp_eq_u32_e32 vcc, 1, v30
	v_cndmask_b32_e64 v30, v25, 1, vcc
.LBB1365_178:
	s_or_b64 exec, exec, s[62:63]
	s_waitcnt lgkmcnt(0)
	v_mov_b32_e32 v25, 0
	v_mov_b32_e32 v49, 2
	;; [unrolled: 1-line block ×3, first 2 shown]
	s_branch .LBB1365_180
.LBB1365_179:                           ;   in Loop: Header=BB1365_180 Depth=1
	s_or_b64 exec, exec, s[62:63]
	v_cmp_eq_u16_sdwa vcc, v45, v25 src0_sel:BYTE_0 src1_sel:DWORD
	v_and_b32_e32 v30, 1, v45
	v_cndmask_b32_e32 v28, 0, v28, vcc
	v_and_b32_e32 v31, 1, v31
	v_cmp_eq_u32_e32 vcc, 1, v30
	v_subrev_u32_e32 v24, 64, v24
	v_add_u16_e32 v28, v28, v48
	v_cndmask_b32_e64 v30, v31, 1, vcc
.LBB1365_180:                           ; =>This Loop Header: Depth=1
                                        ;     Child Loop BB1365_183 Depth 2
                                        ;       Child Loop BB1365_184 Depth 3
	v_cmp_ne_u16_sdwa s[62:63], v29, v49 src0_sel:BYTE_0 src1_sel:DWORD
	v_cndmask_b32_e64 v29, 0, 1, s[62:63]
	;;#ASMSTART
	;;#ASMEND
	v_cmp_ne_u32_e32 vcc, 0, v29
	v_mov_b32_e32 v45, v30
	s_cmp_lg_u64 vcc, exec
	v_mov_b32_e32 v48, v28
	s_cbranch_scc1 .LBB1365_199
; %bb.181:                              ;   in Loop: Header=BB1365_180 Depth=1
	v_lshlrev_b64 v[28:29], 3, v[24:25]
	v_mov_b32_e32 v31, s77
	v_add_co_u32_e32 v30, vcc, s76, v28
	v_addc_co_u32_e32 v31, vcc, v31, v29, vcc
	global_load_dwordx2 v[28:29], v[30:31], off glc
	s_waitcnt vmcnt(0)
	v_cmp_eq_u16_sdwa s[64:65], v29, v25 src0_sel:BYTE_0 src1_sel:DWORD
	s_and_saveexec_b64 s[62:63], s[64:65]
	s_cbranch_execz .LBB1365_187
; %bb.182:                              ;   in Loop: Header=BB1365_180 Depth=1
	s_mov_b32 s68, 1
	s_mov_b64 s[64:65], 0
.LBB1365_183:                           ;   Parent Loop BB1365_180 Depth=1
                                        ; =>  This Loop Header: Depth=2
                                        ;       Child Loop BB1365_184 Depth 3
	s_max_u32 s69, s68, 1
.LBB1365_184:                           ;   Parent Loop BB1365_180 Depth=1
                                        ;     Parent Loop BB1365_183 Depth=2
                                        ; =>    This Inner Loop Header: Depth=3
	s_add_i32 s69, s69, -1
	s_cmp_eq_u32 s69, 0
	s_sleep 1
	s_cbranch_scc0 .LBB1365_184
; %bb.185:                              ;   in Loop: Header=BB1365_183 Depth=2
	global_load_dwordx2 v[28:29], v[30:31], off glc
	s_cmp_lt_u32 s68, 32
	s_cselect_b64 s[72:73], -1, 0
	s_cmp_lg_u64 s[72:73], 0
	s_addc_u32 s68, s68, 0
	s_waitcnt vmcnt(0)
	v_cmp_ne_u16_sdwa s[72:73], v29, v25 src0_sel:BYTE_0 src1_sel:DWORD
	s_or_b64 s[64:65], s[72:73], s[64:65]
	s_andn2_b64 exec, exec, s[64:65]
	s_cbranch_execnz .LBB1365_183
; %bb.186:                              ;   in Loop: Header=BB1365_180 Depth=1
	s_or_b64 exec, exec, s[64:65]
.LBB1365_187:                           ;   in Loop: Header=BB1365_180 Depth=1
	s_or_b64 exec, exec, s[62:63]
	v_cmp_eq_u16_sdwa s[62:63], v29, v49 src0_sel:BYTE_0 src1_sel:DWORD
	v_and_b32_e32 v30, s63, v27
	s_waitcnt lgkmcnt(0)
	v_and_b32_e32 v54, 0xffffff, v28
	v_or_b32_e32 v30, 0x80000000, v30
	ds_bpermute_b32 v55, v36, v54
	v_and_b32_e32 v31, s62, v26
	v_ffbl_b32_e32 v30, v30
	v_add_u32_e32 v30, 32, v30
	v_ffbl_b32_e32 v31, v31
	v_min_u32_e32 v30, v31, v30
	v_lshrrev_b32_e32 v31, 16, v28
	v_cmp_lt_u32_e32 vcc, v23, v30
	v_bfe_u32 v53, v28, 16, 8
	s_and_saveexec_b64 s[62:63], vcc
	s_cbranch_execz .LBB1365_189
; %bb.188:                              ;   in Loop: Header=BB1365_180 Depth=1
	v_and_b32_e32 v31, 0xff0000, v28
	v_cmp_eq_u32_e32 vcc, 0, v31
	v_and_b32_e32 v31, 0x10000, v31
	s_waitcnt lgkmcnt(0)
	v_cndmask_b32_e32 v53, 0, v55, vcc
	v_and_b32_sdwa v54, v55, v52 dst_sel:DWORD dst_unused:UNUSED_PAD src0_sel:WORD_1 src1_sel:DWORD
	v_cmp_ne_u32_e32 vcc, 0, v31
	v_cndmask_b32_e64 v31, v54, 1, vcc
	v_add_u16_e32 v56, v53, v28
	v_lshlrev_b32_e32 v54, 16, v31
	v_add_u16_e32 v28, v53, v28
	v_or_b32_e32 v54, v54, v28
	v_mov_b32_e32 v28, v56
	v_mov_b32_e32 v53, v31
.LBB1365_189:                           ;   in Loop: Header=BB1365_180 Depth=1
	s_or_b64 exec, exec, s[62:63]
	s_waitcnt lgkmcnt(0)
	ds_bpermute_b32 v55, v37, v54
	v_cmp_le_u32_e32 vcc, v38, v30
	s_and_saveexec_b64 s[62:63], vcc
	s_cbranch_execz .LBB1365_191
; %bb.190:                              ;   in Loop: Header=BB1365_180 Depth=1
	v_cmp_eq_u16_e32 vcc, 0, v53
	v_and_b32_e32 v31, 1, v53
	s_waitcnt lgkmcnt(0)
	v_cndmask_b32_e32 v54, 0, v55, vcc
	v_and_b32_sdwa v53, v55, v52 dst_sel:DWORD dst_unused:UNUSED_PAD src0_sel:WORD_1 src1_sel:DWORD
	v_cmp_eq_u32_e32 vcc, 1, v31
	v_cndmask_b32_e64 v31, v53, 1, vcc
	v_add_u16_e32 v56, v54, v28
	v_lshlrev_b32_e32 v53, 16, v31
	v_add_u16_e32 v28, v54, v28
	v_or_b32_e32 v54, v53, v28
	v_mov_b32_e32 v28, v56
	v_mov_b32_e32 v53, v31
.LBB1365_191:                           ;   in Loop: Header=BB1365_180 Depth=1
	s_or_b64 exec, exec, s[62:63]
	s_waitcnt lgkmcnt(0)
	ds_bpermute_b32 v55, v39, v54
	v_cmp_le_u32_e32 vcc, v40, v30
	s_and_saveexec_b64 s[62:63], vcc
	s_cbranch_execz .LBB1365_193
; %bb.192:                              ;   in Loop: Header=BB1365_180 Depth=1
	v_cmp_eq_u16_e32 vcc, 0, v53
	v_and_b32_e32 v31, 1, v53
	s_waitcnt lgkmcnt(0)
	v_cndmask_b32_e32 v54, 0, v55, vcc
	v_and_b32_sdwa v53, v55, v52 dst_sel:DWORD dst_unused:UNUSED_PAD src0_sel:WORD_1 src1_sel:DWORD
	v_cmp_eq_u32_e32 vcc, 1, v31
	v_cndmask_b32_e64 v31, v53, 1, vcc
	v_add_u16_e32 v56, v54, v28
	v_lshlrev_b32_e32 v53, 16, v31
	v_add_u16_e32 v28, v54, v28
	v_or_b32_e32 v54, v53, v28
	v_mov_b32_e32 v28, v56
	v_mov_b32_e32 v53, v31
.LBB1365_193:                           ;   in Loop: Header=BB1365_180 Depth=1
	;; [unrolled: 21-line block ×4, first 2 shown]
	s_or_b64 exec, exec, s[62:63]
	ds_bpermute_b32 v54, v46, v54
	v_cmp_le_u32_e32 vcc, v47, v30
	s_and_saveexec_b64 s[62:63], vcc
	s_cbranch_execz .LBB1365_179
; %bb.198:                              ;   in Loop: Header=BB1365_180 Depth=1
	v_cmp_eq_u16_e32 vcc, 0, v53
	s_waitcnt lgkmcnt(0)
	v_cndmask_b32_e32 v30, 0, v54, vcc
	v_add_u16_e32 v28, v30, v28
	v_and_b32_e32 v30, 1, v53
	v_lshrrev_b32_e32 v31, 16, v54
	v_cmp_eq_u32_e32 vcc, 1, v30
	v_cndmask_b32_e64 v31, v31, 1, vcc
	s_branch .LBB1365_179
.LBB1365_199:                           ;   in Loop: Header=BB1365_180 Depth=1
                                        ; implicit-def: $vgpr30
                                        ; implicit-def: $vgpr28
	s_cbranch_execz .LBB1365_180
; %bb.200:
	s_and_saveexec_b64 s[62:63], s[54:55]
	s_cbranch_execz .LBB1365_202
; %bb.201:
	v_and_b32_e32 v23, 0xff0000, v22
	s_mov_b32 s55, 0
	v_cmp_eq_u32_e32 vcc, 0, v23
	v_and_b32_e32 v24, 0x10000, v22
	v_mov_b32_e32 v25, 1
	s_add_i32 s54, s79, 64
	v_cndmask_b32_e32 v23, 0, v48, vcc
	v_and_b32_sdwa v25, v45, v25 dst_sel:WORD_1 dst_unused:UNUSED_PAD src0_sel:DWORD src1_sel:DWORD
	v_mov_b32_e32 v26, 0x10000
	v_cmp_eq_u32_e32 vcc, 0, v24
	s_lshl_b64 s[54:55], s[54:55], 3
	v_cndmask_b32_e32 v24, v26, v25, vcc
	s_add_u32 s54, s76, s54
	v_add_u16_e32 v22, v23, v22
	s_addc_u32 s55, s77, s55
	v_mov_b32_e32 v25, 0
	v_or_b32_e32 v22, v24, v22
	v_mov_b32_e32 v23, 2
	global_store_dwordx2 v25, v[22:23], s[54:55]
.LBB1365_202:
	s_or_b64 exec, exec, s[62:63]
	s_and_b64 exec, exec, s[0:1]
	s_cbranch_execz .LBB1365_204
; %bb.203:
	v_mov_b32_e32 v22, 0
	ds_write_b16 v22, v48
	ds_write_b8 v22, v45 offset:2
.LBB1365_204:
	s_or_b64 exec, exec, s[4:5]
	v_mov_b32_e32 v22, 0
	s_mov_b32 s4, 0x10000
	s_waitcnt lgkmcnt(0)
	; wave barrier
	s_waitcnt lgkmcnt(0)
	ds_read_b32 v23, v22
	v_cmp_gt_u32_e32 vcc, s4, v1
	v_and_b32_e32 v25, 0x10000, v1
	v_mov_b32_e32 v26, 1
	v_cndmask_b32_e32 v24, 0, v35, vcc
	v_and_b32_sdwa v26, v35, v26 dst_sel:DWORD dst_unused:UNUSED_PAD src0_sel:WORD_1 src1_sel:DWORD
	v_cmp_ne_u32_e32 vcc, 0, v25
	v_cndmask_b32_e64 v25, v26, 1, vcc
	v_cndmask_b32_e64 v25, v25, v34, s[0:1]
	v_cndmask_b32_e64 v24, v24, 0, s[0:1]
	v_cmp_eq_u16_sdwa vcc, v25, v22 src0_sel:BYTE_0 src1_sel:DWORD
	v_add_u16_e32 v24, v24, v1
	s_waitcnt lgkmcnt(0)
	v_cndmask_b32_e32 v22, 0, v23, vcc
	v_add_u16_e32 v47, v24, v22
	v_cndmask_b32_e64 v22, 0, v47, s[6:7]
	v_add_u16_e32 v22, v22, v50
	v_cndmask_b32_e64 v23, 0, v22, s[8:9]
	;; [unrolled: 2-line block ×23, first 2 shown]
	v_add_u16_e32 v46, v46, v32
	s_branch .LBB1365_227
.LBB1365_205:
                                        ; implicit-def: $vgpr47
                                        ; implicit-def: $vgpr22
                                        ; implicit-def: $vgpr23
                                        ; implicit-def: $vgpr24
                                        ; implicit-def: $vgpr25
                                        ; implicit-def: $vgpr26
                                        ; implicit-def: $vgpr27
                                        ; implicit-def: $vgpr29
                                        ; implicit-def: $vgpr28
                                        ; implicit-def: $vgpr30
                                        ; implicit-def: $vgpr31
                                        ; implicit-def: $vgpr34
                                        ; implicit-def: $vgpr35
                                        ; implicit-def: $vgpr36
                                        ; implicit-def: $vgpr37
                                        ; implicit-def: $vgpr39
                                        ; implicit-def: $vgpr38
                                        ; implicit-def: $vgpr40
                                        ; implicit-def: $vgpr41
                                        ; implicit-def: $vgpr42
                                        ; implicit-def: $vgpr43
                                        ; implicit-def: $vgpr44
                                        ; implicit-def: $vgpr45
                                        ; implicit-def: $vgpr46
	s_cbranch_execz .LBB1365_227
; %bb.206:
	s_cmp_lg_u64 s[80:81], 0
	s_cselect_b32 s7, s71, 0
	s_cselect_b32 s6, s70, 0
	s_cmp_lg_u64 s[6:7], 0
	s_cselect_b64 s[4:5], -1, 0
	s_and_b64 s[8:9], s[0:1], s[4:5]
	s_and_saveexec_b64 s[4:5], s[8:9]
	s_cbranch_execz .LBB1365_208
; %bb.207:
	v_mov_b32_e32 v22, 0
	global_load_ushort v23, v22, s[6:7]
	global_load_ubyte v24, v22, s[6:7] offset:2
	s_mov_b32 s6, 0x10000
	v_and_b32_e32 v22, 0x10000, v1
	v_mov_b32_e32 v25, 1
	v_cmp_gt_u32_e32 vcc, s6, v1
	v_mov_b32_e32 v26, 0x10000
	s_waitcnt vmcnt(1)
	v_cndmask_b32_e32 v23, 0, v23, vcc
	s_waitcnt vmcnt(0)
	v_and_b32_sdwa v24, v24, v25 dst_sel:WORD_1 dst_unused:UNUSED_PAD src0_sel:DWORD src1_sel:DWORD
	v_cmp_eq_u32_e32 vcc, 0, v22
	v_add_u16_e32 v1, v23, v1
	v_cndmask_b32_e32 v22, v26, v24, vcc
	v_or_b32_e32 v1, v22, v1
.LBB1365_208:
	s_or_b64 exec, exec, s[4:5]
	s_mov_b32 s4, 0x10000
	v_cmp_gt_u32_e32 vcc, s4, v50
	v_cndmask_b32_e32 v22, 0, v1, vcc
	v_add_u16_e32 v22, v22, v50
	v_cmp_gt_u32_e64 s[6:7], s4, v51
	v_cndmask_b32_e64 v23, 0, v22, s[6:7]
	v_add_u16_e32 v23, v23, v51
	v_cmp_gt_u32_e64 s[8:9], s4, v18
	v_cndmask_b32_e64 v24, 0, v23, s[8:9]
	;; [unrolled: 3-line block ×3, first 2 shown]
	v_add_u16_e32 v25, v25, v19
	v_cmp_gt_u32_e64 s[12:13], s4, v20
	v_bfe_u32 v28, v19, 16, 1
	v_mov_b32_e32 v52, 1
	v_cndmask_b32_e64 v26, 0, v25, s[12:13]
	v_lshlrev_b16_e32 v28, 1, v28
	v_and_b32_sdwa v29, v18, v52 dst_sel:DWORD dst_unused:UNUSED_PAD src0_sel:WORD_1 src1_sel:DWORD
	v_add_u16_e32 v26, v26, v20
	v_cmp_gt_u32_e64 s[14:15], s4, v21
	v_or_b32_e32 v28, v29, v28
	v_bfe_u32 v29, v21, 16, 1
	v_and_b32_sdwa v30, v20, v52 dst_sel:DWORD dst_unused:UNUSED_PAD src0_sel:WORD_1 src1_sel:DWORD
	v_cndmask_b32_e64 v27, 0, v26, s[14:15]
	v_lshlrev_b16_e32 v29, 3, v29
	v_lshlrev_b16_e32 v30, 2, v30
	v_add_u16_e32 v27, v27, v21
	v_or_b32_e32 v29, v29, v30
	v_cmp_gt_u32_e64 s[16:17], s4, v2
	v_or_b32_e32 v46, v28, v29
	v_cndmask_b32_e64 v28, 0, v27, s[16:17]
	v_add_u16_e32 v29, v28, v2
	v_cmp_gt_u32_e64 s[18:19], s4, v3
	v_cndmask_b32_e64 v28, 0, v29, s[18:19]
	v_bfe_u32 v48, v11, 16, 1
	v_add_u16_e32 v28, v28, v3
	v_cmp_gt_u32_e64 s[20:21], s4, v4
	v_lshlrev_b16_e32 v48, 1, v48
	v_and_b32_sdwa v49, v10, v52 dst_sel:DWORD dst_unused:UNUSED_PAD src0_sel:WORD_1 src1_sel:DWORD
	v_cndmask_b32_e64 v30, 0, v28, s[20:21]
	v_or_b32_e32 v48, v49, v48
	v_bfe_u32 v49, v13, 16, 1
	v_and_b32_sdwa v53, v12, v52 dst_sel:DWORD dst_unused:UNUSED_PAD src0_sel:WORD_1 src1_sel:DWORD
	v_add_u16_e32 v30, v30, v4
	v_cmp_gt_u32_e64 s[22:23], s4, v5
	v_lshlrev_b16_e32 v49, 3, v49
	v_lshlrev_b16_e32 v53, 2, v53
	v_cndmask_b32_e64 v31, 0, v30, s[22:23]
	v_or_b32_e32 v49, v49, v53
	v_add_u16_e32 v31, v31, v5
	v_cmp_gt_u32_e64 s[24:25], s4, v6
	v_or_b32_sdwa v48, v48, v49 dst_sel:BYTE_1 dst_unused:UNUSED_PAD src0_sel:DWORD src1_sel:DWORD
	v_bfe_u32 v49, v15, 16, 1
	v_cndmask_b32_e64 v34, 0, v31, s[24:25]
	v_lshlrev_b16_e32 v49, 1, v49
	v_and_b32_sdwa v53, v14, v52 dst_sel:DWORD dst_unused:UNUSED_PAD src0_sel:WORD_1 src1_sel:DWORD
	v_add_u16_e32 v34, v34, v6
	v_cmp_gt_u32_e64 s[26:27], s4, v7
	v_or_b32_e32 v49, v53, v49
	v_bfe_u32 v53, v17, 16, 1
	v_and_b32_sdwa v54, v16, v52 dst_sel:DWORD dst_unused:UNUSED_PAD src0_sel:WORD_1 src1_sel:DWORD
	v_cndmask_b32_e64 v35, 0, v34, s[26:27]
	v_lshlrev_b16_e32 v53, 3, v53
	v_lshlrev_b16_e32 v54, 2, v54
	v_add_u16_e32 v35, v35, v7
	v_cmp_gt_u32_e64 s[28:29], s4, v8
	v_or_b32_e32 v53, v53, v54
	v_cndmask_b32_e64 v36, 0, v35, s[28:29]
	v_or_b32_e32 v49, v49, v53
	v_add_u16_e32 v36, v36, v8
	v_cmp_gt_u32_e64 s[30:31], s4, v9
	v_lshlrev_b16_e32 v49, 12, v49
	v_cndmask_b32_e64 v37, 0, v36, s[30:31]
	v_or_b32_e32 v48, v49, v48
	v_bfe_u32 v49, v3, 16, 1
	v_add_u16_e32 v37, v37, v9
	v_cmp_gt_u32_e64 s[34:35], s4, v10
	v_lshlrev_b16_e32 v49, 1, v49
	v_and_b32_sdwa v53, v2, v52 dst_sel:DWORD dst_unused:UNUSED_PAD src0_sel:WORD_1 src1_sel:DWORD
	v_cndmask_b32_e64 v38, 0, v37, s[34:35]
	v_or_b32_e32 v49, v53, v49
	v_bfe_u32 v53, v5, 16, 1
	v_and_b32_sdwa v54, v4, v52 dst_sel:DWORD dst_unused:UNUSED_PAD src0_sel:WORD_1 src1_sel:DWORD
	v_add_u16_e32 v39, v38, v10
	v_cmp_gt_u32_e64 s[36:37], s4, v11
	v_lshlrev_b16_e32 v53, 3, v53
	v_lshlrev_b16_e32 v54, 2, v54
	v_cndmask_b32_e64 v38, 0, v39, s[36:37]
	v_or_b32_e32 v53, v53, v54
	v_add_u16_e32 v38, v38, v11
	v_cmp_gt_u32_e64 s[38:39], s4, v12
	v_or_b32_e32 v49, v49, v53
	v_bfe_u32 v53, v7, 16, 1
	v_cndmask_b32_e64 v40, 0, v38, s[38:39]
	v_lshlrev_b16_e32 v53, 1, v53
	v_and_b32_sdwa v54, v6, v52 dst_sel:DWORD dst_unused:UNUSED_PAD src0_sel:WORD_1 src1_sel:DWORD
	v_add_u16_e32 v40, v40, v12
	v_cmp_gt_u32_e64 s[40:41], s4, v13
	v_or_b32_e32 v53, v54, v53
	v_bfe_u32 v54, v9, 16, 1
	v_and_b32_sdwa v55, v8, v52 dst_sel:DWORD dst_unused:UNUSED_PAD src0_sel:WORD_1 src1_sel:DWORD
	v_cndmask_b32_e64 v41, 0, v40, s[40:41]
	v_lshlrev_b16_e32 v54, 3, v54
	v_lshlrev_b16_e32 v55, 2, v55
	v_add_u16_e32 v41, v41, v13
	v_cmp_gt_u32_e64 s[42:43], s4, v14
	v_or_b32_e32 v54, v54, v55
	v_cndmask_b32_e64 v42, 0, v41, s[42:43]
	v_or_b32_e32 v53, v53, v54
	v_add_u16_e32 v42, v42, v14
	v_cmp_gt_u32_e64 s[44:45], s4, v15
	v_lshlrev_b16_e32 v53, 4, v53
	v_cndmask_b32_e64 v43, 0, v42, s[44:45]
	v_or_b32_e32 v49, v49, v53
	v_add_u16_e32 v43, v43, v15
	v_cmp_gt_u32_e64 s[46:47], s4, v16
	v_or_b32_sdwa v49, v49, v48 dst_sel:DWORD dst_unused:UNUSED_PAD src0_sel:BYTE_0 src1_sel:DWORD
	v_cndmask_b32_e64 v44, 0, v43, s[46:47]
	v_or_b32_e32 v46, v49, v46
	v_add_u16_e32 v44, v44, v16
	v_cmp_gt_u32_e64 s[48:49], s4, v17
	v_cmp_gt_u32_e64 s[50:51], s4, v32
	v_cmp_ne_u16_e64 s[4:5], 0, v46
	v_or3_b32 v46, v51, v50, v32
	v_cndmask_b32_e64 v45, 0, v44, s[48:49]
	v_and_b32_e32 v46, 0x10000, v46
	v_add_u16_e32 v45, v45, v17
	v_cmp_ne_u32_e64 s[52:53], 0, v46
	v_lshrrev_b32_e32 v47, 16, v1
	v_cndmask_b32_e64 v53, 0, v45, s[50:51]
	s_or_b64 s[4:5], s[52:53], s[4:5]
	v_cndmask_b32_e64 v49, v47, 1, s[4:5]
	v_mbcnt_hi_u32_b32 v33, -1, v33
	v_add_u16_e32 v46, v53, v32
	v_add_u16_e32 v48, v53, v32
	v_and_b32_e32 v54, 15, v33
	v_lshl_or_b32 v53, v49, 16, v46
	v_cmp_ne_u32_e64 s[4:5], 0, v54
	s_nop 0
	v_mov_b32_dpp v55, v53 row_shr:1 row_mask:0xf bank_mask:0xf
	s_and_saveexec_b64 s[52:53], s[4:5]
; %bb.209:
	v_cmp_eq_u32_e64 s[4:5], 0, v49
	v_and_b32_e32 v49, 1, v49
	v_cndmask_b32_e64 v53, 0, v55, s[4:5]
	v_and_b32_sdwa v52, v55, v52 dst_sel:DWORD dst_unused:UNUSED_PAD src0_sel:WORD_1 src1_sel:DWORD
	v_cmp_eq_u32_e64 s[4:5], 1, v49
	v_cndmask_b32_e64 v49, v52, 1, s[4:5]
	v_add_u16_e32 v56, v48, v53
	v_lshlrev_b32_e32 v52, 16, v49
	v_add_u16_e32 v48, v48, v53
	v_or_b32_e32 v53, v52, v48
	v_mov_b32_e32 v48, v56
; %bb.210:
	s_or_b64 exec, exec, s[52:53]
	v_lshrrev_b32_e32 v52, 16, v53
	v_mov_b32_dpp v55, v53 row_shr:2 row_mask:0xf bank_mask:0xf
	v_cmp_lt_u32_e64 s[4:5], 1, v54
	s_and_saveexec_b64 s[52:53], s[4:5]
	s_cbranch_execz .LBB1365_212
; %bb.211:
	s_mov_b32 s4, 0x10000
	v_cmp_gt_u32_e64 s[4:5], s4, v53
	v_and_b32_e32 v49, 0x10000, v53
	v_mov_b32_e32 v53, 1
	v_cndmask_b32_e64 v52, 0, v55, s[4:5]
	v_and_b32_sdwa v53, v55, v53 dst_sel:DWORD dst_unused:UNUSED_PAD src0_sel:WORD_1 src1_sel:DWORD
	v_cmp_ne_u32_e64 s[4:5], 0, v49
	v_cndmask_b32_e64 v49, v53, 1, s[4:5]
	v_add_u16_e32 v56, v52, v48
	v_lshlrev_b32_e32 v53, 16, v49
	v_add_u16_e32 v48, v52, v48
	v_or_b32_e32 v53, v53, v48
	v_mov_b32_e32 v48, v56
	v_mov_b32_e32 v52, v49
.LBB1365_212:
	s_or_b64 exec, exec, s[52:53]
	v_mov_b32_dpp v55, v53 row_shr:4 row_mask:0xf bank_mask:0xf
	v_cmp_lt_u32_e64 s[4:5], 3, v54
	s_and_saveexec_b64 s[52:53], s[4:5]
	s_cbranch_execz .LBB1365_214
; %bb.213:
	v_mov_b32_e32 v49, 0
	v_cmp_eq_u16_sdwa s[4:5], v52, v49 src0_sel:BYTE_0 src1_sel:DWORD
	v_and_b32_e32 v49, 1, v52
	v_mov_b32_e32 v52, 1
	v_cndmask_b32_e64 v53, 0, v55, s[4:5]
	v_and_b32_sdwa v52, v55, v52 dst_sel:DWORD dst_unused:UNUSED_PAD src0_sel:WORD_1 src1_sel:DWORD
	v_cmp_eq_u32_e64 s[4:5], 1, v49
	v_cndmask_b32_e64 v49, v52, 1, s[4:5]
	v_add_u16_e32 v56, v53, v48
	v_lshlrev_b32_e32 v52, 16, v49
	v_add_u16_e32 v48, v53, v48
	v_or_b32_e32 v53, v52, v48
	v_mov_b32_e32 v48, v56
	v_mov_b32_e32 v52, v49
.LBB1365_214:
	s_or_b64 exec, exec, s[52:53]
	v_mov_b32_dpp v55, v53 row_shr:8 row_mask:0xf bank_mask:0xf
	v_cmp_lt_u32_e64 s[4:5], 7, v54
	s_and_saveexec_b64 s[52:53], s[4:5]
	s_cbranch_execz .LBB1365_216
; %bb.215:
	v_mov_b32_e32 v49, 0
	v_cmp_eq_u16_sdwa s[4:5], v52, v49 src0_sel:BYTE_0 src1_sel:DWORD
	v_and_b32_e32 v49, 1, v52
	v_mov_b32_e32 v52, 1
	v_cndmask_b32_e64 v53, 0, v55, s[4:5]
	v_and_b32_sdwa v52, v55, v52 dst_sel:DWORD dst_unused:UNUSED_PAD src0_sel:WORD_1 src1_sel:DWORD
	v_cmp_eq_u32_e64 s[4:5], 1, v49
	v_cndmask_b32_e64 v49, v52, 1, s[4:5]
	v_add_u16_e32 v54, v53, v48
	v_lshlrev_b32_e32 v52, 16, v49
	v_add_u16_e32 v48, v53, v48
	v_or_b32_e32 v53, v52, v48
	v_mov_b32_e32 v48, v54
	v_mov_b32_e32 v52, v49
.LBB1365_216:
	s_or_b64 exec, exec, s[52:53]
	v_and_b32_e32 v55, 16, v33
	v_mov_b32_dpp v54, v53 row_bcast:15 row_mask:0xf bank_mask:0xf
	v_cmp_ne_u32_e64 s[4:5], 0, v55
	s_and_saveexec_b64 s[52:53], s[4:5]
	s_cbranch_execz .LBB1365_218
; %bb.217:
	v_mov_b32_e32 v49, 0
	v_cmp_eq_u16_sdwa s[4:5], v52, v49 src0_sel:BYTE_0 src1_sel:DWORD
	v_and_b32_e32 v49, 1, v52
	v_mov_b32_e32 v52, 1
	v_cndmask_b32_e64 v53, 0, v54, s[4:5]
	v_and_b32_sdwa v52, v54, v52 dst_sel:DWORD dst_unused:UNUSED_PAD src0_sel:WORD_1 src1_sel:DWORD
	v_cmp_eq_u32_e64 s[4:5], 1, v49
	v_cndmask_b32_e64 v49, v52, 1, s[4:5]
	v_add_u16_e32 v55, v53, v48
	v_lshlrev_b32_e32 v52, 16, v49
	v_add_u16_e32 v48, v53, v48
	v_or_b32_e32 v53, v52, v48
	v_mov_b32_e32 v48, v55
	v_mov_b32_e32 v52, v49
.LBB1365_218:
	s_or_b64 exec, exec, s[52:53]
	v_mov_b32_dpp v53, v53 row_bcast:31 row_mask:0xf bank_mask:0xf
	v_cmp_lt_u32_e64 s[4:5], 31, v33
	s_and_saveexec_b64 s[52:53], s[4:5]
; %bb.219:
	v_mov_b32_e32 v49, 0
	v_cmp_eq_u16_sdwa s[4:5], v52, v49 src0_sel:BYTE_0 src1_sel:DWORD
	v_cndmask_b32_e64 v49, 0, v53, s[4:5]
	v_add_u16_e32 v48, v49, v48
	v_and_b32_e32 v49, 1, v52
	v_mov_b32_e32 v52, 1
	v_and_b32_sdwa v52, v53, v52 dst_sel:DWORD dst_unused:UNUSED_PAD src0_sel:WORD_1 src1_sel:DWORD
	v_cmp_eq_u32_e64 s[4:5], 1, v49
	v_cndmask_b32_e64 v49, v52, 1, s[4:5]
	v_mov_b32_e32 v52, v49
; %bb.220:
	s_or_b64 exec, exec, s[52:53]
	v_cmp_eq_u32_e64 s[4:5], 63, v0
	s_and_saveexec_b64 s[52:53], s[4:5]
	s_cbranch_execz .LBB1365_222
; %bb.221:
	v_mov_b32_e32 v53, 0
	ds_write_b16 v53, v48
	ds_write_b8 v53, v52 offset:2
.LBB1365_222:
	s_or_b64 exec, exec, s[52:53]
	v_and_b32_e32 v49, 0xff, v49
	v_and_b32_e32 v48, 0xffff, v48
	v_lshl_or_b32 v48, v49, 16, v48
	v_add_u32_e32 v49, -1, v33
	v_and_b32_e32 v52, 64, v33
	v_cmp_lt_i32_e64 s[4:5], v49, v52
	v_cndmask_b32_e64 v33, v49, v33, s[4:5]
	v_lshlrev_b32_e32 v33, 2, v33
	ds_bpermute_b32 v33, v33, v48
	s_waitcnt lgkmcnt(0)
	; wave barrier
	s_waitcnt lgkmcnt(0)
	s_and_saveexec_b64 s[52:53], s[56:57]
	s_cbranch_execz .LBB1365_224
; %bb.223:
	v_and_b32_e32 v22, 0xff0000, v1
	v_cmp_eq_u32_e64 s[4:5], 0, v22
	v_cndmask_b32_e64 v22, 0, v33, s[4:5]
	v_add_u32_e32 v1, v22, v1
	v_cndmask_b32_e32 v22, 0, v1, vcc
	v_add_u16_e32 v22, v22, v50
	v_cndmask_b32_e64 v23, 0, v22, s[6:7]
	v_add_u16_e32 v23, v23, v51
	v_cndmask_b32_e64 v24, 0, v23, s[8:9]
	;; [unrolled: 2-line block ×22, first 2 shown]
	v_mov_b32_e32 v47, 0
	v_add_u16_e32 v46, v2, v32
	;;#ASMSTART
	;;#ASMEND
.LBB1365_224:
	s_or_b64 exec, exec, s[52:53]
	s_and_saveexec_b64 s[4:5], s[0:1]
	s_cbranch_execz .LBB1365_226
; %bb.225:
	v_mov_b32_e32 v4, 0
	ds_read_u8 v2, v4 offset:2
	ds_read_u16 v3, v4
	s_waitcnt lgkmcnt(1)
	v_lshlrev_b32_e32 v2, 16, v2
	s_waitcnt lgkmcnt(0)
	v_or_b32_e32 v2, v2, v3
	v_mov_b32_e32 v3, 2
	global_store_dwordx2 v4, v[2:3], s[76:77] offset:512
.LBB1365_226:
	s_or_b64 exec, exec, s[4:5]
	v_lshl_or_b32 v47, v47, 16, v1
.LBB1365_227:
	s_add_u32 s0, s66, s58
	s_addc_u32 s1, s67, s59
	s_add_u32 s4, s0, s60
	s_addc_u32 s5, s1, s61
	s_and_b64 vcc, exec, s[2:3]
	v_mul_u32_u24_e32 v4, 24, v0
	s_cbranch_vccz .LBB1365_279
; %bb.228:
	s_add_i32 s33, s33, s78
	v_cmp_le_u32_e32 vcc, s33, v4
                                        ; implicit-def: $vgpr1
                                        ; implicit-def: $vgpr2
                                        ; implicit-def: $vgpr3
                                        ; implicit-def: $vgpr5
                                        ; implicit-def: $vgpr6
                                        ; implicit-def: $vgpr7
                                        ; implicit-def: $vgpr8
	s_and_saveexec_b64 s[0:1], vcc
	s_xor_b64 s[0:1], exec, s[0:1]
; %bb.229:
	v_or_b32_e32 v1, 1, v4
	v_or_b32_e32 v2, 2, v4
	;; [unrolled: 1-line block ×7, first 2 shown]
; %bb.230:
	s_andn2_saveexec_b64 s[0:1], s[0:1]
; %bb.231:
	v_or_b32_e32 v1, 1, v4
	v_or_b32_e32 v2, 2, v4
	;; [unrolled: 1-line block ×7, first 2 shown]
; %bb.232:
	s_or_b64 exec, exec, s[0:1]
	v_lshlrev_b32_e32 v49, 1, v4
	v_lshlrev_b32_e32 v1, 1, v1
	s_waitcnt lgkmcnt(0)
	; wave barrier
	ds_write_b16 v49, v47
	ds_write_b16 v1, v22
	v_lshlrev_b32_e32 v1, 1, v2
	ds_write_b16 v1, v23
	v_lshlrev_b32_e32 v1, 1, v3
	;; [unrolled: 2-line block ×5, first 2 shown]
	s_mov_b32 s0, 0x5040100
	ds_write_b16 v1, v27
	v_lshlrev_b32_e32 v1, 1, v8
	v_perm_b32 v9, v39, v37, s0
	v_perm_b32 v8, v36, v35, s0
	;; [unrolled: 1-line block ×4, first 2 shown]
	ds_write_b16 v1, v29
	ds_write_b128 v49, v[6:9] offset:16
	v_perm_b32 v9, v46, v45, s0
	v_perm_b32 v8, v44, v43, s0
	;; [unrolled: 1-line block ×4, first 2 shown]
	s_movk_i32 s0, 0xffd2
	v_mad_i32_i24 v2, v0, s0, v49
	ds_write_b128 v49, v[6:9] offset:32
	s_waitcnt lgkmcnt(0)
	; wave barrier
	s_waitcnt lgkmcnt(0)
	ds_read_u16 v52, v2 offset:128
	ds_read_u16 v51, v2 offset:256
	;; [unrolled: 1-line block ×23, first 2 shown]
	v_lshlrev_b32_e32 v2, 1, v0
	v_mov_b32_e32 v3, s5
	v_add_co_u32_e32 v2, vcc, s4, v2
	v_addc_co_u32_e32 v3, vcc, 0, v3, vcc
	v_mov_b32_e32 v1, 0
	v_cmp_gt_u32_e32 vcc, s33, v0
	s_and_saveexec_b64 s[0:1], vcc
	s_cbranch_execz .LBB1365_234
; %bb.233:
	v_mul_i32_i24_e32 v53, 0xffffffd2, v0
	v_add_u32_e32 v49, v49, v53
	ds_read_u16 v49, v49
	s_waitcnt lgkmcnt(0)
	flat_store_short v[2:3], v49
.LBB1365_234:
	s_or_b64 exec, exec, s[0:1]
	v_or_b32_e32 v49, 64, v0
	v_cmp_gt_u32_e32 vcc, s33, v49
	s_and_saveexec_b64 s[0:1], vcc
	s_cbranch_execz .LBB1365_236
; %bb.235:
	s_waitcnt lgkmcnt(0)
	flat_store_short v[2:3], v52 offset:128
.LBB1365_236:
	s_or_b64 exec, exec, s[0:1]
	v_or_b32_e32 v49, 0x80, v0
	v_cmp_gt_u32_e32 vcc, s33, v49
	s_and_saveexec_b64 s[0:1], vcc
	s_cbranch_execz .LBB1365_238
; %bb.237:
	s_waitcnt lgkmcnt(0)
	flat_store_short v[2:3], v51 offset:256
.LBB1365_238:
	;; [unrolled: 9-line block ×4, first 2 shown]
	s_or_b64 exec, exec, s[0:1]
	s_waitcnt lgkmcnt(0)
	v_or_b32_e32 v48, 0x140, v0
	v_cmp_gt_u32_e32 vcc, s33, v48
	s_and_saveexec_b64 s[0:1], vcc
	s_cbranch_execz .LBB1365_244
; %bb.243:
	flat_store_short v[2:3], v33 offset:640
.LBB1365_244:
	s_or_b64 exec, exec, s[0:1]
	v_or_b32_e32 v33, 0x180, v0
	v_cmp_gt_u32_e32 vcc, s33, v33
	s_and_saveexec_b64 s[0:1], vcc
	s_cbranch_execz .LBB1365_246
; %bb.245:
	flat_store_short v[2:3], v32 offset:768
.LBB1365_246:
	s_or_b64 exec, exec, s[0:1]
	;; [unrolled: 8-line block ×18, first 2 shown]
	v_or_b32_e32 v2, 0x5c0, v0
	v_cmp_gt_u32_e64 s[0:1], s33, v2
	s_branch .LBB1365_281
.LBB1365_279:
	s_mov_b64 s[0:1], 0
                                        ; implicit-def: $vgpr5
	s_cbranch_execz .LBB1365_281
; %bb.280:
	s_mov_b32 s2, 0x5040100
	v_lshlrev_b32_e32 v6, 1, v4
	v_perm_b32 v5, v29, v27, s2
	v_perm_b32 v4, v26, v25, s2
	;; [unrolled: 1-line block ×4, first 2 shown]
	s_waitcnt lgkmcnt(0)
	; wave barrier
	s_waitcnt lgkmcnt(0)
	ds_write_b128 v6, v[2:5]
	v_perm_b32 v5, v39, v37, s2
	v_perm_b32 v4, v36, v35, s2
	;; [unrolled: 1-line block ×4, first 2 shown]
	ds_write_b128 v6, v[2:5] offset:16
	v_perm_b32 v4, v44, v43, s2
	v_perm_b32 v3, v42, v41, s2
	;; [unrolled: 1-line block ×4, first 2 shown]
	s_movk_i32 s2, 0xffd2
	ds_write_b128 v6, v[2:5] offset:32
	v_mad_i32_i24 v2, v0, s2, v6
	s_waitcnt lgkmcnt(0)
	; wave barrier
	s_waitcnt lgkmcnt(0)
	ds_read_u16 v4, v2
	ds_read_u16 v6, v2 offset:128
	ds_read_u16 v7, v2 offset:256
	ds_read_u16 v8, v2 offset:384
	ds_read_u16 v9, v2 offset:512
	ds_read_u16 v10, v2 offset:640
	ds_read_u16 v11, v2 offset:768
	ds_read_u16 v12, v2 offset:896
	ds_read_u16 v13, v2 offset:1024
	ds_read_u16 v14, v2 offset:1152
	ds_read_u16 v15, v2 offset:1280
	ds_read_u16 v16, v2 offset:1408
	ds_read_u16 v17, v2 offset:1536
	ds_read_u16 v18, v2 offset:1664
	ds_read_u16 v19, v2 offset:1792
	ds_read_u16 v20, v2 offset:1920
	ds_read_u16 v21, v2 offset:2048
	ds_read_u16 v22, v2 offset:2176
	ds_read_u16 v23, v2 offset:2304
	ds_read_u16 v24, v2 offset:2432
	ds_read_u16 v25, v2 offset:2560
	ds_read_u16 v26, v2 offset:2688
	ds_read_u16 v27, v2 offset:2816
	ds_read_u16 v5, v2 offset:2944
	v_lshlrev_b32_e32 v2, 1, v0
	v_mov_b32_e32 v3, s5
	v_add_co_u32_e32 v2, vcc, s4, v2
	v_mov_b32_e32 v1, 0
	v_addc_co_u32_e32 v3, vcc, 0, v3, vcc
	s_or_b64 s[0:1], s[0:1], exec
	s_waitcnt lgkmcnt(0)
	flat_store_short v[2:3], v4
	flat_store_short v[2:3], v6 offset:128
	flat_store_short v[2:3], v7 offset:256
	;; [unrolled: 1-line block ×22, first 2 shown]
.LBB1365_281:
	s_and_saveexec_b64 s[2:3], s[0:1]
	s_cbranch_execnz .LBB1365_283
; %bb.282:
	s_endpgm
.LBB1365_283:
	v_lshlrev_b64 v[0:1], 1, v[0:1]
	v_mov_b32_e32 v2, s5
	v_add_co_u32_e32 v0, vcc, s4, v0
	v_addc_co_u32_e32 v1, vcc, v2, v1, vcc
	flat_store_short v[0:1], v5 offset:2944
	s_endpgm
.LBB1365_284:
	v_lshlrev_b32_e32 v2, 1, v0
	v_mov_b32_e32 v3, s85
	v_add_co_u32_e32 v2, vcc, s84, v2
	v_addc_co_u32_e32 v3, vcc, 0, v3, vcc
	flat_load_ushort v2, v[2:3]
	s_or_b64 exec, exec, s[4:5]
                                        ; implicit-def: $vgpr3
	s_and_saveexec_b64 s[4:5], s[8:9]
	s_cbranch_execz .LBB1365_61
.LBB1365_285:
	v_lshlrev_b32_e32 v3, 1, v0
	v_mov_b32_e32 v5, s85
	v_add_co_u32_e32 v4, vcc, s84, v3
	v_addc_co_u32_e32 v5, vcc, 0, v5, vcc
	flat_load_ushort v3, v[4:5] offset:128
	s_or_b64 exec, exec, s[4:5]
                                        ; implicit-def: $vgpr4
	s_and_saveexec_b64 s[4:5], s[10:11]
	s_cbranch_execz .LBB1365_62
.LBB1365_286:
	v_lshlrev_b32_e32 v4, 1, v0
	v_mov_b32_e32 v5, s85
	v_add_co_u32_e32 v4, vcc, s84, v4
	v_addc_co_u32_e32 v5, vcc, 0, v5, vcc
	flat_load_ushort v4, v[4:5] offset:256
	s_or_b64 exec, exec, s[4:5]
                                        ; implicit-def: $vgpr5
	s_and_saveexec_b64 s[4:5], s[12:13]
	s_cbranch_execz .LBB1365_63
.LBB1365_287:
	v_lshlrev_b32_e32 v5, 1, v0
	v_mov_b32_e32 v7, s85
	v_add_co_u32_e32 v6, vcc, s84, v5
	v_addc_co_u32_e32 v7, vcc, 0, v7, vcc
	flat_load_ushort v5, v[6:7] offset:384
	s_or_b64 exec, exec, s[4:5]
                                        ; implicit-def: $vgpr6
	s_and_saveexec_b64 s[4:5], s[14:15]
	s_cbranch_execz .LBB1365_64
.LBB1365_288:
	v_lshlrev_b32_e32 v6, 1, v0
	v_mov_b32_e32 v7, s85
	v_add_co_u32_e32 v6, vcc, s84, v6
	v_addc_co_u32_e32 v7, vcc, 0, v7, vcc
	flat_load_ushort v6, v[6:7] offset:512
	s_or_b64 exec, exec, s[4:5]
                                        ; implicit-def: $vgpr7
	s_and_saveexec_b64 s[4:5], s[16:17]
	s_cbranch_execz .LBB1365_65
.LBB1365_289:
	v_lshlrev_b32_e32 v7, 1, v0
	v_mov_b32_e32 v9, s85
	v_add_co_u32_e32 v8, vcc, s84, v7
	v_addc_co_u32_e32 v9, vcc, 0, v9, vcc
	flat_load_ushort v7, v[8:9] offset:640
	s_or_b64 exec, exec, s[4:5]
                                        ; implicit-def: $vgpr8
	s_and_saveexec_b64 s[4:5], s[18:19]
	s_cbranch_execz .LBB1365_66
.LBB1365_290:
	v_lshlrev_b32_e32 v8, 1, v0
	v_mov_b32_e32 v9, s85
	v_add_co_u32_e32 v8, vcc, s84, v8
	v_addc_co_u32_e32 v9, vcc, 0, v9, vcc
	flat_load_ushort v8, v[8:9] offset:768
	s_or_b64 exec, exec, s[4:5]
                                        ; implicit-def: $vgpr9
	s_and_saveexec_b64 s[4:5], s[20:21]
	s_cbranch_execz .LBB1365_67
.LBB1365_291:
	v_lshlrev_b32_e32 v9, 1, v0
	v_mov_b32_e32 v11, s85
	v_add_co_u32_e32 v10, vcc, s84, v9
	v_addc_co_u32_e32 v11, vcc, 0, v11, vcc
	flat_load_ushort v9, v[10:11] offset:896
	s_or_b64 exec, exec, s[4:5]
                                        ; implicit-def: $vgpr10
	s_and_saveexec_b64 s[4:5], s[22:23]
	s_cbranch_execz .LBB1365_68
.LBB1365_292:
	v_lshlrev_b32_e32 v10, 1, v0
	v_mov_b32_e32 v11, s85
	v_add_co_u32_e32 v10, vcc, s84, v10
	v_addc_co_u32_e32 v11, vcc, 0, v11, vcc
	flat_load_ushort v10, v[10:11] offset:1024
	s_or_b64 exec, exec, s[4:5]
                                        ; implicit-def: $vgpr11
	s_and_saveexec_b64 s[4:5], s[24:25]
	s_cbranch_execz .LBB1365_69
.LBB1365_293:
	v_lshlrev_b32_e32 v11, 1, v0
	v_mov_b32_e32 v13, s85
	v_add_co_u32_e32 v12, vcc, s84, v11
	v_addc_co_u32_e32 v13, vcc, 0, v13, vcc
	flat_load_ushort v11, v[12:13] offset:1152
	s_or_b64 exec, exec, s[4:5]
                                        ; implicit-def: $vgpr12
	s_and_saveexec_b64 s[4:5], s[26:27]
	s_cbranch_execz .LBB1365_70
.LBB1365_294:
	v_lshlrev_b32_e32 v12, 1, v0
	v_mov_b32_e32 v13, s85
	v_add_co_u32_e32 v12, vcc, s84, v12
	v_addc_co_u32_e32 v13, vcc, 0, v13, vcc
	flat_load_ushort v12, v[12:13] offset:1280
	s_or_b64 exec, exec, s[4:5]
                                        ; implicit-def: $vgpr13
	s_and_saveexec_b64 s[4:5], s[28:29]
	s_cbranch_execz .LBB1365_71
.LBB1365_295:
	v_lshlrev_b32_e32 v13, 1, v0
	v_mov_b32_e32 v15, s85
	v_add_co_u32_e32 v14, vcc, s84, v13
	v_addc_co_u32_e32 v15, vcc, 0, v15, vcc
	flat_load_ushort v13, v[14:15] offset:1408
	s_or_b64 exec, exec, s[4:5]
                                        ; implicit-def: $vgpr14
	s_and_saveexec_b64 s[4:5], s[30:31]
	s_cbranch_execz .LBB1365_72
.LBB1365_296:
	v_lshlrev_b32_e32 v14, 1, v0
	v_mov_b32_e32 v15, s85
	v_add_co_u32_e32 v14, vcc, s84, v14
	v_addc_co_u32_e32 v15, vcc, 0, v15, vcc
	flat_load_ushort v14, v[14:15] offset:1536
	s_or_b64 exec, exec, s[4:5]
                                        ; implicit-def: $vgpr15
	s_and_saveexec_b64 s[4:5], s[34:35]
	s_cbranch_execz .LBB1365_73
.LBB1365_297:
	v_lshlrev_b32_e32 v15, 1, v0
	v_mov_b32_e32 v17, s85
	v_add_co_u32_e32 v16, vcc, s84, v15
	v_addc_co_u32_e32 v17, vcc, 0, v17, vcc
	flat_load_ushort v15, v[16:17] offset:1664
	s_or_b64 exec, exec, s[4:5]
                                        ; implicit-def: $vgpr16
	s_and_saveexec_b64 s[4:5], s[36:37]
	s_cbranch_execz .LBB1365_74
.LBB1365_298:
	v_lshlrev_b32_e32 v16, 1, v0
	v_mov_b32_e32 v17, s85
	v_add_co_u32_e32 v16, vcc, s84, v16
	v_addc_co_u32_e32 v17, vcc, 0, v17, vcc
	flat_load_ushort v16, v[16:17] offset:1792
	s_or_b64 exec, exec, s[4:5]
                                        ; implicit-def: $vgpr17
	s_and_saveexec_b64 s[4:5], s[38:39]
	s_cbranch_execz .LBB1365_75
.LBB1365_299:
	v_lshlrev_b32_e32 v17, 1, v0
	v_mov_b32_e32 v19, s85
	v_add_co_u32_e32 v18, vcc, s84, v17
	v_addc_co_u32_e32 v19, vcc, 0, v19, vcc
	flat_load_ushort v17, v[18:19] offset:1920
	s_or_b64 exec, exec, s[4:5]
                                        ; implicit-def: $vgpr18
	s_and_saveexec_b64 s[4:5], s[40:41]
	s_cbranch_execz .LBB1365_76
.LBB1365_300:
	v_lshlrev_b32_e32 v18, 1, v0
	v_mov_b32_e32 v19, s85
	v_add_co_u32_e32 v18, vcc, s84, v18
	v_addc_co_u32_e32 v19, vcc, 0, v19, vcc
	flat_load_ushort v18, v[18:19] offset:2048
	s_or_b64 exec, exec, s[4:5]
                                        ; implicit-def: $vgpr19
	s_and_saveexec_b64 s[4:5], s[42:43]
	s_cbranch_execz .LBB1365_77
.LBB1365_301:
	v_lshlrev_b32_e32 v19, 1, v0
	v_mov_b32_e32 v21, s85
	v_add_co_u32_e32 v20, vcc, s84, v19
	v_addc_co_u32_e32 v21, vcc, 0, v21, vcc
	flat_load_ushort v19, v[20:21] offset:2176
	s_or_b64 exec, exec, s[4:5]
                                        ; implicit-def: $vgpr20
	s_and_saveexec_b64 s[4:5], s[44:45]
	s_cbranch_execz .LBB1365_78
.LBB1365_302:
	v_lshlrev_b32_e32 v20, 1, v0
	v_mov_b32_e32 v21, s85
	v_add_co_u32_e32 v20, vcc, s84, v20
	v_addc_co_u32_e32 v21, vcc, 0, v21, vcc
	flat_load_ushort v20, v[20:21] offset:2304
	s_or_b64 exec, exec, s[4:5]
                                        ; implicit-def: $vgpr21
	s_and_saveexec_b64 s[4:5], s[46:47]
	s_cbranch_execz .LBB1365_79
.LBB1365_303:
	v_lshlrev_b32_e32 v21, 1, v0
	v_mov_b32_e32 v47, s85
	v_add_co_u32_e32 v48, vcc, s84, v21
	v_addc_co_u32_e32 v49, vcc, 0, v47, vcc
	flat_load_ushort v21, v[48:49] offset:2432
	s_or_b64 exec, exec, s[4:5]
                                        ; implicit-def: $vgpr48
	s_and_saveexec_b64 s[4:5], s[48:49]
	s_cbranch_execz .LBB1365_80
.LBB1365_304:
	v_lshlrev_b32_e32 v47, 1, v0
	v_mov_b32_e32 v49, s85
	v_add_co_u32_e32 v48, vcc, s84, v47
	v_addc_co_u32_e32 v49, vcc, 0, v49, vcc
	flat_load_ushort v48, v[48:49] offset:2560
	s_or_b64 exec, exec, s[4:5]
                                        ; implicit-def: $vgpr49
	s_and_saveexec_b64 s[4:5], s[50:51]
	s_cbranch_execz .LBB1365_81
.LBB1365_305:
	v_lshlrev_b32_e32 v47, 1, v0
	v_mov_b32_e32 v49, s85
	v_add_co_u32_e32 v50, vcc, s84, v47
	v_addc_co_u32_e32 v51, vcc, 0, v49, vcc
	flat_load_ushort v49, v[50:51] offset:2688
	s_or_b64 exec, exec, s[4:5]
                                        ; implicit-def: $vgpr50
	s_and_saveexec_b64 s[4:5], s[52:53]
	s_cbranch_execz .LBB1365_82
.LBB1365_306:
	v_lshlrev_b32_e32 v47, 1, v0
	v_mov_b32_e32 v51, s85
	v_add_co_u32_e32 v50, vcc, s84, v47
	v_addc_co_u32_e32 v51, vcc, 0, v51, vcc
	flat_load_ushort v50, v[50:51] offset:2816
	s_or_b64 exec, exec, s[4:5]
                                        ; implicit-def: $vgpr51
	s_and_saveexec_b64 s[4:5], s[54:55]
	s_cbranch_execnz .LBB1365_83
	s_branch .LBB1365_84
.LBB1365_307:
                                        ; implicit-def: $sgpr4_sgpr5
	s_branch .LBB1365_56
.LBB1365_308:
                                        ; implicit-def: $sgpr4_sgpr5
	s_branch .LBB1365_135
	.section	.rodata,"a",@progbits
	.p2align	6, 0x0
	.amdhsa_kernel _ZN7rocprim17ROCPRIM_400000_NS6detail17trampoline_kernelINS0_14default_configENS1_27scan_by_key_config_selectorIisEEZZNS1_16scan_by_key_implILNS1_25lookback_scan_determinismE0ELb0ES3_N6thrust23THRUST_200600_302600_NS6detail15normal_iteratorINS9_10device_ptrIiEEEENSB_INSC_IsEEEESG_sNS9_4plusIvEENS9_8equal_toIvEEsEE10hipError_tPvRmT2_T3_T4_T5_mT6_T7_P12ihipStream_tbENKUlT_T0_E_clISt17integral_constantIbLb1EES11_EEDaSW_SX_EUlSW_E_NS1_11comp_targetILNS1_3genE4ELNS1_11target_archE910ELNS1_3gpuE8ELNS1_3repE0EEENS1_30default_config_static_selectorELNS0_4arch9wavefront6targetE1EEEvT1_
		.amdhsa_group_segment_fixed_size 6656
		.amdhsa_private_segment_fixed_size 0
		.amdhsa_kernarg_size 112
		.amdhsa_user_sgpr_count 6
		.amdhsa_user_sgpr_private_segment_buffer 1
		.amdhsa_user_sgpr_dispatch_ptr 0
		.amdhsa_user_sgpr_queue_ptr 0
		.amdhsa_user_sgpr_kernarg_segment_ptr 1
		.amdhsa_user_sgpr_dispatch_id 0
		.amdhsa_user_sgpr_flat_scratch_init 0
		.amdhsa_user_sgpr_kernarg_preload_length 0
		.amdhsa_user_sgpr_kernarg_preload_offset 0
		.amdhsa_user_sgpr_private_segment_size 0
		.amdhsa_uses_dynamic_stack 0
		.amdhsa_system_sgpr_private_segment_wavefront_offset 0
		.amdhsa_system_sgpr_workgroup_id_x 1
		.amdhsa_system_sgpr_workgroup_id_y 0
		.amdhsa_system_sgpr_workgroup_id_z 0
		.amdhsa_system_sgpr_workgroup_info 0
		.amdhsa_system_vgpr_workitem_id 0
		.amdhsa_next_free_vgpr 58
		.amdhsa_next_free_sgpr 87
		.amdhsa_accum_offset 60
		.amdhsa_reserve_vcc 1
		.amdhsa_reserve_flat_scratch 0
		.amdhsa_float_round_mode_32 0
		.amdhsa_float_round_mode_16_64 0
		.amdhsa_float_denorm_mode_32 3
		.amdhsa_float_denorm_mode_16_64 3
		.amdhsa_dx10_clamp 1
		.amdhsa_ieee_mode 1
		.amdhsa_fp16_overflow 0
		.amdhsa_tg_split 0
		.amdhsa_exception_fp_ieee_invalid_op 0
		.amdhsa_exception_fp_denorm_src 0
		.amdhsa_exception_fp_ieee_div_zero 0
		.amdhsa_exception_fp_ieee_overflow 0
		.amdhsa_exception_fp_ieee_underflow 0
		.amdhsa_exception_fp_ieee_inexact 0
		.amdhsa_exception_int_div_zero 0
	.end_amdhsa_kernel
	.section	.text._ZN7rocprim17ROCPRIM_400000_NS6detail17trampoline_kernelINS0_14default_configENS1_27scan_by_key_config_selectorIisEEZZNS1_16scan_by_key_implILNS1_25lookback_scan_determinismE0ELb0ES3_N6thrust23THRUST_200600_302600_NS6detail15normal_iteratorINS9_10device_ptrIiEEEENSB_INSC_IsEEEESG_sNS9_4plusIvEENS9_8equal_toIvEEsEE10hipError_tPvRmT2_T3_T4_T5_mT6_T7_P12ihipStream_tbENKUlT_T0_E_clISt17integral_constantIbLb1EES11_EEDaSW_SX_EUlSW_E_NS1_11comp_targetILNS1_3genE4ELNS1_11target_archE910ELNS1_3gpuE8ELNS1_3repE0EEENS1_30default_config_static_selectorELNS0_4arch9wavefront6targetE1EEEvT1_,"axG",@progbits,_ZN7rocprim17ROCPRIM_400000_NS6detail17trampoline_kernelINS0_14default_configENS1_27scan_by_key_config_selectorIisEEZZNS1_16scan_by_key_implILNS1_25lookback_scan_determinismE0ELb0ES3_N6thrust23THRUST_200600_302600_NS6detail15normal_iteratorINS9_10device_ptrIiEEEENSB_INSC_IsEEEESG_sNS9_4plusIvEENS9_8equal_toIvEEsEE10hipError_tPvRmT2_T3_T4_T5_mT6_T7_P12ihipStream_tbENKUlT_T0_E_clISt17integral_constantIbLb1EES11_EEDaSW_SX_EUlSW_E_NS1_11comp_targetILNS1_3genE4ELNS1_11target_archE910ELNS1_3gpuE8ELNS1_3repE0EEENS1_30default_config_static_selectorELNS0_4arch9wavefront6targetE1EEEvT1_,comdat
.Lfunc_end1365:
	.size	_ZN7rocprim17ROCPRIM_400000_NS6detail17trampoline_kernelINS0_14default_configENS1_27scan_by_key_config_selectorIisEEZZNS1_16scan_by_key_implILNS1_25lookback_scan_determinismE0ELb0ES3_N6thrust23THRUST_200600_302600_NS6detail15normal_iteratorINS9_10device_ptrIiEEEENSB_INSC_IsEEEESG_sNS9_4plusIvEENS9_8equal_toIvEEsEE10hipError_tPvRmT2_T3_T4_T5_mT6_T7_P12ihipStream_tbENKUlT_T0_E_clISt17integral_constantIbLb1EES11_EEDaSW_SX_EUlSW_E_NS1_11comp_targetILNS1_3genE4ELNS1_11target_archE910ELNS1_3gpuE8ELNS1_3repE0EEENS1_30default_config_static_selectorELNS0_4arch9wavefront6targetE1EEEvT1_, .Lfunc_end1365-_ZN7rocprim17ROCPRIM_400000_NS6detail17trampoline_kernelINS0_14default_configENS1_27scan_by_key_config_selectorIisEEZZNS1_16scan_by_key_implILNS1_25lookback_scan_determinismE0ELb0ES3_N6thrust23THRUST_200600_302600_NS6detail15normal_iteratorINS9_10device_ptrIiEEEENSB_INSC_IsEEEESG_sNS9_4plusIvEENS9_8equal_toIvEEsEE10hipError_tPvRmT2_T3_T4_T5_mT6_T7_P12ihipStream_tbENKUlT_T0_E_clISt17integral_constantIbLb1EES11_EEDaSW_SX_EUlSW_E_NS1_11comp_targetILNS1_3genE4ELNS1_11target_archE910ELNS1_3gpuE8ELNS1_3repE0EEENS1_30default_config_static_selectorELNS0_4arch9wavefront6targetE1EEEvT1_
                                        ; -- End function
	.section	.AMDGPU.csdata,"",@progbits
; Kernel info:
; codeLenInByte = 15336
; NumSgprs: 91
; NumVgprs: 58
; NumAgprs: 0
; TotalNumVgprs: 58
; ScratchSize: 0
; MemoryBound: 0
; FloatMode: 240
; IeeeMode: 1
; LDSByteSize: 6656 bytes/workgroup (compile time only)
; SGPRBlocks: 11
; VGPRBlocks: 7
; NumSGPRsForWavesPerEU: 91
; NumVGPRsForWavesPerEU: 58
; AccumOffset: 60
; Occupancy: 3
; WaveLimiterHint : 1
; COMPUTE_PGM_RSRC2:SCRATCH_EN: 0
; COMPUTE_PGM_RSRC2:USER_SGPR: 6
; COMPUTE_PGM_RSRC2:TRAP_HANDLER: 0
; COMPUTE_PGM_RSRC2:TGID_X_EN: 1
; COMPUTE_PGM_RSRC2:TGID_Y_EN: 0
; COMPUTE_PGM_RSRC2:TGID_Z_EN: 0
; COMPUTE_PGM_RSRC2:TIDIG_COMP_CNT: 0
; COMPUTE_PGM_RSRC3_GFX90A:ACCUM_OFFSET: 14
; COMPUTE_PGM_RSRC3_GFX90A:TG_SPLIT: 0
	.section	.text._ZN7rocprim17ROCPRIM_400000_NS6detail17trampoline_kernelINS0_14default_configENS1_27scan_by_key_config_selectorIisEEZZNS1_16scan_by_key_implILNS1_25lookback_scan_determinismE0ELb0ES3_N6thrust23THRUST_200600_302600_NS6detail15normal_iteratorINS9_10device_ptrIiEEEENSB_INSC_IsEEEESG_sNS9_4plusIvEENS9_8equal_toIvEEsEE10hipError_tPvRmT2_T3_T4_T5_mT6_T7_P12ihipStream_tbENKUlT_T0_E_clISt17integral_constantIbLb1EES11_EEDaSW_SX_EUlSW_E_NS1_11comp_targetILNS1_3genE3ELNS1_11target_archE908ELNS1_3gpuE7ELNS1_3repE0EEENS1_30default_config_static_selectorELNS0_4arch9wavefront6targetE1EEEvT1_,"axG",@progbits,_ZN7rocprim17ROCPRIM_400000_NS6detail17trampoline_kernelINS0_14default_configENS1_27scan_by_key_config_selectorIisEEZZNS1_16scan_by_key_implILNS1_25lookback_scan_determinismE0ELb0ES3_N6thrust23THRUST_200600_302600_NS6detail15normal_iteratorINS9_10device_ptrIiEEEENSB_INSC_IsEEEESG_sNS9_4plusIvEENS9_8equal_toIvEEsEE10hipError_tPvRmT2_T3_T4_T5_mT6_T7_P12ihipStream_tbENKUlT_T0_E_clISt17integral_constantIbLb1EES11_EEDaSW_SX_EUlSW_E_NS1_11comp_targetILNS1_3genE3ELNS1_11target_archE908ELNS1_3gpuE7ELNS1_3repE0EEENS1_30default_config_static_selectorELNS0_4arch9wavefront6targetE1EEEvT1_,comdat
	.protected	_ZN7rocprim17ROCPRIM_400000_NS6detail17trampoline_kernelINS0_14default_configENS1_27scan_by_key_config_selectorIisEEZZNS1_16scan_by_key_implILNS1_25lookback_scan_determinismE0ELb0ES3_N6thrust23THRUST_200600_302600_NS6detail15normal_iteratorINS9_10device_ptrIiEEEENSB_INSC_IsEEEESG_sNS9_4plusIvEENS9_8equal_toIvEEsEE10hipError_tPvRmT2_T3_T4_T5_mT6_T7_P12ihipStream_tbENKUlT_T0_E_clISt17integral_constantIbLb1EES11_EEDaSW_SX_EUlSW_E_NS1_11comp_targetILNS1_3genE3ELNS1_11target_archE908ELNS1_3gpuE7ELNS1_3repE0EEENS1_30default_config_static_selectorELNS0_4arch9wavefront6targetE1EEEvT1_ ; -- Begin function _ZN7rocprim17ROCPRIM_400000_NS6detail17trampoline_kernelINS0_14default_configENS1_27scan_by_key_config_selectorIisEEZZNS1_16scan_by_key_implILNS1_25lookback_scan_determinismE0ELb0ES3_N6thrust23THRUST_200600_302600_NS6detail15normal_iteratorINS9_10device_ptrIiEEEENSB_INSC_IsEEEESG_sNS9_4plusIvEENS9_8equal_toIvEEsEE10hipError_tPvRmT2_T3_T4_T5_mT6_T7_P12ihipStream_tbENKUlT_T0_E_clISt17integral_constantIbLb1EES11_EEDaSW_SX_EUlSW_E_NS1_11comp_targetILNS1_3genE3ELNS1_11target_archE908ELNS1_3gpuE7ELNS1_3repE0EEENS1_30default_config_static_selectorELNS0_4arch9wavefront6targetE1EEEvT1_
	.globl	_ZN7rocprim17ROCPRIM_400000_NS6detail17trampoline_kernelINS0_14default_configENS1_27scan_by_key_config_selectorIisEEZZNS1_16scan_by_key_implILNS1_25lookback_scan_determinismE0ELb0ES3_N6thrust23THRUST_200600_302600_NS6detail15normal_iteratorINS9_10device_ptrIiEEEENSB_INSC_IsEEEESG_sNS9_4plusIvEENS9_8equal_toIvEEsEE10hipError_tPvRmT2_T3_T4_T5_mT6_T7_P12ihipStream_tbENKUlT_T0_E_clISt17integral_constantIbLb1EES11_EEDaSW_SX_EUlSW_E_NS1_11comp_targetILNS1_3genE3ELNS1_11target_archE908ELNS1_3gpuE7ELNS1_3repE0EEENS1_30default_config_static_selectorELNS0_4arch9wavefront6targetE1EEEvT1_
	.p2align	8
	.type	_ZN7rocprim17ROCPRIM_400000_NS6detail17trampoline_kernelINS0_14default_configENS1_27scan_by_key_config_selectorIisEEZZNS1_16scan_by_key_implILNS1_25lookback_scan_determinismE0ELb0ES3_N6thrust23THRUST_200600_302600_NS6detail15normal_iteratorINS9_10device_ptrIiEEEENSB_INSC_IsEEEESG_sNS9_4plusIvEENS9_8equal_toIvEEsEE10hipError_tPvRmT2_T3_T4_T5_mT6_T7_P12ihipStream_tbENKUlT_T0_E_clISt17integral_constantIbLb1EES11_EEDaSW_SX_EUlSW_E_NS1_11comp_targetILNS1_3genE3ELNS1_11target_archE908ELNS1_3gpuE7ELNS1_3repE0EEENS1_30default_config_static_selectorELNS0_4arch9wavefront6targetE1EEEvT1_,@function
_ZN7rocprim17ROCPRIM_400000_NS6detail17trampoline_kernelINS0_14default_configENS1_27scan_by_key_config_selectorIisEEZZNS1_16scan_by_key_implILNS1_25lookback_scan_determinismE0ELb0ES3_N6thrust23THRUST_200600_302600_NS6detail15normal_iteratorINS9_10device_ptrIiEEEENSB_INSC_IsEEEESG_sNS9_4plusIvEENS9_8equal_toIvEEsEE10hipError_tPvRmT2_T3_T4_T5_mT6_T7_P12ihipStream_tbENKUlT_T0_E_clISt17integral_constantIbLb1EES11_EEDaSW_SX_EUlSW_E_NS1_11comp_targetILNS1_3genE3ELNS1_11target_archE908ELNS1_3gpuE7ELNS1_3repE0EEENS1_30default_config_static_selectorELNS0_4arch9wavefront6targetE1EEEvT1_: ; @_ZN7rocprim17ROCPRIM_400000_NS6detail17trampoline_kernelINS0_14default_configENS1_27scan_by_key_config_selectorIisEEZZNS1_16scan_by_key_implILNS1_25lookback_scan_determinismE0ELb0ES3_N6thrust23THRUST_200600_302600_NS6detail15normal_iteratorINS9_10device_ptrIiEEEENSB_INSC_IsEEEESG_sNS9_4plusIvEENS9_8equal_toIvEEsEE10hipError_tPvRmT2_T3_T4_T5_mT6_T7_P12ihipStream_tbENKUlT_T0_E_clISt17integral_constantIbLb1EES11_EEDaSW_SX_EUlSW_E_NS1_11comp_targetILNS1_3genE3ELNS1_11target_archE908ELNS1_3gpuE7ELNS1_3repE0EEENS1_30default_config_static_selectorELNS0_4arch9wavefront6targetE1EEEvT1_
; %bb.0:
	.section	.rodata,"a",@progbits
	.p2align	6, 0x0
	.amdhsa_kernel _ZN7rocprim17ROCPRIM_400000_NS6detail17trampoline_kernelINS0_14default_configENS1_27scan_by_key_config_selectorIisEEZZNS1_16scan_by_key_implILNS1_25lookback_scan_determinismE0ELb0ES3_N6thrust23THRUST_200600_302600_NS6detail15normal_iteratorINS9_10device_ptrIiEEEENSB_INSC_IsEEEESG_sNS9_4plusIvEENS9_8equal_toIvEEsEE10hipError_tPvRmT2_T3_T4_T5_mT6_T7_P12ihipStream_tbENKUlT_T0_E_clISt17integral_constantIbLb1EES11_EEDaSW_SX_EUlSW_E_NS1_11comp_targetILNS1_3genE3ELNS1_11target_archE908ELNS1_3gpuE7ELNS1_3repE0EEENS1_30default_config_static_selectorELNS0_4arch9wavefront6targetE1EEEvT1_
		.amdhsa_group_segment_fixed_size 0
		.amdhsa_private_segment_fixed_size 0
		.amdhsa_kernarg_size 112
		.amdhsa_user_sgpr_count 6
		.amdhsa_user_sgpr_private_segment_buffer 1
		.amdhsa_user_sgpr_dispatch_ptr 0
		.amdhsa_user_sgpr_queue_ptr 0
		.amdhsa_user_sgpr_kernarg_segment_ptr 1
		.amdhsa_user_sgpr_dispatch_id 0
		.amdhsa_user_sgpr_flat_scratch_init 0
		.amdhsa_user_sgpr_kernarg_preload_length 0
		.amdhsa_user_sgpr_kernarg_preload_offset 0
		.amdhsa_user_sgpr_private_segment_size 0
		.amdhsa_uses_dynamic_stack 0
		.amdhsa_system_sgpr_private_segment_wavefront_offset 0
		.amdhsa_system_sgpr_workgroup_id_x 1
		.amdhsa_system_sgpr_workgroup_id_y 0
		.amdhsa_system_sgpr_workgroup_id_z 0
		.amdhsa_system_sgpr_workgroup_info 0
		.amdhsa_system_vgpr_workitem_id 0
		.amdhsa_next_free_vgpr 1
		.amdhsa_next_free_sgpr 0
		.amdhsa_accum_offset 4
		.amdhsa_reserve_vcc 0
		.amdhsa_reserve_flat_scratch 0
		.amdhsa_float_round_mode_32 0
		.amdhsa_float_round_mode_16_64 0
		.amdhsa_float_denorm_mode_32 3
		.amdhsa_float_denorm_mode_16_64 3
		.amdhsa_dx10_clamp 1
		.amdhsa_ieee_mode 1
		.amdhsa_fp16_overflow 0
		.amdhsa_tg_split 0
		.amdhsa_exception_fp_ieee_invalid_op 0
		.amdhsa_exception_fp_denorm_src 0
		.amdhsa_exception_fp_ieee_div_zero 0
		.amdhsa_exception_fp_ieee_overflow 0
		.amdhsa_exception_fp_ieee_underflow 0
		.amdhsa_exception_fp_ieee_inexact 0
		.amdhsa_exception_int_div_zero 0
	.end_amdhsa_kernel
	.section	.text._ZN7rocprim17ROCPRIM_400000_NS6detail17trampoline_kernelINS0_14default_configENS1_27scan_by_key_config_selectorIisEEZZNS1_16scan_by_key_implILNS1_25lookback_scan_determinismE0ELb0ES3_N6thrust23THRUST_200600_302600_NS6detail15normal_iteratorINS9_10device_ptrIiEEEENSB_INSC_IsEEEESG_sNS9_4plusIvEENS9_8equal_toIvEEsEE10hipError_tPvRmT2_T3_T4_T5_mT6_T7_P12ihipStream_tbENKUlT_T0_E_clISt17integral_constantIbLb1EES11_EEDaSW_SX_EUlSW_E_NS1_11comp_targetILNS1_3genE3ELNS1_11target_archE908ELNS1_3gpuE7ELNS1_3repE0EEENS1_30default_config_static_selectorELNS0_4arch9wavefront6targetE1EEEvT1_,"axG",@progbits,_ZN7rocprim17ROCPRIM_400000_NS6detail17trampoline_kernelINS0_14default_configENS1_27scan_by_key_config_selectorIisEEZZNS1_16scan_by_key_implILNS1_25lookback_scan_determinismE0ELb0ES3_N6thrust23THRUST_200600_302600_NS6detail15normal_iteratorINS9_10device_ptrIiEEEENSB_INSC_IsEEEESG_sNS9_4plusIvEENS9_8equal_toIvEEsEE10hipError_tPvRmT2_T3_T4_T5_mT6_T7_P12ihipStream_tbENKUlT_T0_E_clISt17integral_constantIbLb1EES11_EEDaSW_SX_EUlSW_E_NS1_11comp_targetILNS1_3genE3ELNS1_11target_archE908ELNS1_3gpuE7ELNS1_3repE0EEENS1_30default_config_static_selectorELNS0_4arch9wavefront6targetE1EEEvT1_,comdat
.Lfunc_end1366:
	.size	_ZN7rocprim17ROCPRIM_400000_NS6detail17trampoline_kernelINS0_14default_configENS1_27scan_by_key_config_selectorIisEEZZNS1_16scan_by_key_implILNS1_25lookback_scan_determinismE0ELb0ES3_N6thrust23THRUST_200600_302600_NS6detail15normal_iteratorINS9_10device_ptrIiEEEENSB_INSC_IsEEEESG_sNS9_4plusIvEENS9_8equal_toIvEEsEE10hipError_tPvRmT2_T3_T4_T5_mT6_T7_P12ihipStream_tbENKUlT_T0_E_clISt17integral_constantIbLb1EES11_EEDaSW_SX_EUlSW_E_NS1_11comp_targetILNS1_3genE3ELNS1_11target_archE908ELNS1_3gpuE7ELNS1_3repE0EEENS1_30default_config_static_selectorELNS0_4arch9wavefront6targetE1EEEvT1_, .Lfunc_end1366-_ZN7rocprim17ROCPRIM_400000_NS6detail17trampoline_kernelINS0_14default_configENS1_27scan_by_key_config_selectorIisEEZZNS1_16scan_by_key_implILNS1_25lookback_scan_determinismE0ELb0ES3_N6thrust23THRUST_200600_302600_NS6detail15normal_iteratorINS9_10device_ptrIiEEEENSB_INSC_IsEEEESG_sNS9_4plusIvEENS9_8equal_toIvEEsEE10hipError_tPvRmT2_T3_T4_T5_mT6_T7_P12ihipStream_tbENKUlT_T0_E_clISt17integral_constantIbLb1EES11_EEDaSW_SX_EUlSW_E_NS1_11comp_targetILNS1_3genE3ELNS1_11target_archE908ELNS1_3gpuE7ELNS1_3repE0EEENS1_30default_config_static_selectorELNS0_4arch9wavefront6targetE1EEEvT1_
                                        ; -- End function
	.section	.AMDGPU.csdata,"",@progbits
; Kernel info:
; codeLenInByte = 0
; NumSgprs: 4
; NumVgprs: 0
; NumAgprs: 0
; TotalNumVgprs: 0
; ScratchSize: 0
; MemoryBound: 0
; FloatMode: 240
; IeeeMode: 1
; LDSByteSize: 0 bytes/workgroup (compile time only)
; SGPRBlocks: 0
; VGPRBlocks: 0
; NumSGPRsForWavesPerEU: 4
; NumVGPRsForWavesPerEU: 1
; AccumOffset: 4
; Occupancy: 8
; WaveLimiterHint : 0
; COMPUTE_PGM_RSRC2:SCRATCH_EN: 0
; COMPUTE_PGM_RSRC2:USER_SGPR: 6
; COMPUTE_PGM_RSRC2:TRAP_HANDLER: 0
; COMPUTE_PGM_RSRC2:TGID_X_EN: 1
; COMPUTE_PGM_RSRC2:TGID_Y_EN: 0
; COMPUTE_PGM_RSRC2:TGID_Z_EN: 0
; COMPUTE_PGM_RSRC2:TIDIG_COMP_CNT: 0
; COMPUTE_PGM_RSRC3_GFX90A:ACCUM_OFFSET: 0
; COMPUTE_PGM_RSRC3_GFX90A:TG_SPLIT: 0
	.section	.text._ZN7rocprim17ROCPRIM_400000_NS6detail17trampoline_kernelINS0_14default_configENS1_27scan_by_key_config_selectorIisEEZZNS1_16scan_by_key_implILNS1_25lookback_scan_determinismE0ELb0ES3_N6thrust23THRUST_200600_302600_NS6detail15normal_iteratorINS9_10device_ptrIiEEEENSB_INSC_IsEEEESG_sNS9_4plusIvEENS9_8equal_toIvEEsEE10hipError_tPvRmT2_T3_T4_T5_mT6_T7_P12ihipStream_tbENKUlT_T0_E_clISt17integral_constantIbLb1EES11_EEDaSW_SX_EUlSW_E_NS1_11comp_targetILNS1_3genE2ELNS1_11target_archE906ELNS1_3gpuE6ELNS1_3repE0EEENS1_30default_config_static_selectorELNS0_4arch9wavefront6targetE1EEEvT1_,"axG",@progbits,_ZN7rocprim17ROCPRIM_400000_NS6detail17trampoline_kernelINS0_14default_configENS1_27scan_by_key_config_selectorIisEEZZNS1_16scan_by_key_implILNS1_25lookback_scan_determinismE0ELb0ES3_N6thrust23THRUST_200600_302600_NS6detail15normal_iteratorINS9_10device_ptrIiEEEENSB_INSC_IsEEEESG_sNS9_4plusIvEENS9_8equal_toIvEEsEE10hipError_tPvRmT2_T3_T4_T5_mT6_T7_P12ihipStream_tbENKUlT_T0_E_clISt17integral_constantIbLb1EES11_EEDaSW_SX_EUlSW_E_NS1_11comp_targetILNS1_3genE2ELNS1_11target_archE906ELNS1_3gpuE6ELNS1_3repE0EEENS1_30default_config_static_selectorELNS0_4arch9wavefront6targetE1EEEvT1_,comdat
	.protected	_ZN7rocprim17ROCPRIM_400000_NS6detail17trampoline_kernelINS0_14default_configENS1_27scan_by_key_config_selectorIisEEZZNS1_16scan_by_key_implILNS1_25lookback_scan_determinismE0ELb0ES3_N6thrust23THRUST_200600_302600_NS6detail15normal_iteratorINS9_10device_ptrIiEEEENSB_INSC_IsEEEESG_sNS9_4plusIvEENS9_8equal_toIvEEsEE10hipError_tPvRmT2_T3_T4_T5_mT6_T7_P12ihipStream_tbENKUlT_T0_E_clISt17integral_constantIbLb1EES11_EEDaSW_SX_EUlSW_E_NS1_11comp_targetILNS1_3genE2ELNS1_11target_archE906ELNS1_3gpuE6ELNS1_3repE0EEENS1_30default_config_static_selectorELNS0_4arch9wavefront6targetE1EEEvT1_ ; -- Begin function _ZN7rocprim17ROCPRIM_400000_NS6detail17trampoline_kernelINS0_14default_configENS1_27scan_by_key_config_selectorIisEEZZNS1_16scan_by_key_implILNS1_25lookback_scan_determinismE0ELb0ES3_N6thrust23THRUST_200600_302600_NS6detail15normal_iteratorINS9_10device_ptrIiEEEENSB_INSC_IsEEEESG_sNS9_4plusIvEENS9_8equal_toIvEEsEE10hipError_tPvRmT2_T3_T4_T5_mT6_T7_P12ihipStream_tbENKUlT_T0_E_clISt17integral_constantIbLb1EES11_EEDaSW_SX_EUlSW_E_NS1_11comp_targetILNS1_3genE2ELNS1_11target_archE906ELNS1_3gpuE6ELNS1_3repE0EEENS1_30default_config_static_selectorELNS0_4arch9wavefront6targetE1EEEvT1_
	.globl	_ZN7rocprim17ROCPRIM_400000_NS6detail17trampoline_kernelINS0_14default_configENS1_27scan_by_key_config_selectorIisEEZZNS1_16scan_by_key_implILNS1_25lookback_scan_determinismE0ELb0ES3_N6thrust23THRUST_200600_302600_NS6detail15normal_iteratorINS9_10device_ptrIiEEEENSB_INSC_IsEEEESG_sNS9_4plusIvEENS9_8equal_toIvEEsEE10hipError_tPvRmT2_T3_T4_T5_mT6_T7_P12ihipStream_tbENKUlT_T0_E_clISt17integral_constantIbLb1EES11_EEDaSW_SX_EUlSW_E_NS1_11comp_targetILNS1_3genE2ELNS1_11target_archE906ELNS1_3gpuE6ELNS1_3repE0EEENS1_30default_config_static_selectorELNS0_4arch9wavefront6targetE1EEEvT1_
	.p2align	8
	.type	_ZN7rocprim17ROCPRIM_400000_NS6detail17trampoline_kernelINS0_14default_configENS1_27scan_by_key_config_selectorIisEEZZNS1_16scan_by_key_implILNS1_25lookback_scan_determinismE0ELb0ES3_N6thrust23THRUST_200600_302600_NS6detail15normal_iteratorINS9_10device_ptrIiEEEENSB_INSC_IsEEEESG_sNS9_4plusIvEENS9_8equal_toIvEEsEE10hipError_tPvRmT2_T3_T4_T5_mT6_T7_P12ihipStream_tbENKUlT_T0_E_clISt17integral_constantIbLb1EES11_EEDaSW_SX_EUlSW_E_NS1_11comp_targetILNS1_3genE2ELNS1_11target_archE906ELNS1_3gpuE6ELNS1_3repE0EEENS1_30default_config_static_selectorELNS0_4arch9wavefront6targetE1EEEvT1_,@function
_ZN7rocprim17ROCPRIM_400000_NS6detail17trampoline_kernelINS0_14default_configENS1_27scan_by_key_config_selectorIisEEZZNS1_16scan_by_key_implILNS1_25lookback_scan_determinismE0ELb0ES3_N6thrust23THRUST_200600_302600_NS6detail15normal_iteratorINS9_10device_ptrIiEEEENSB_INSC_IsEEEESG_sNS9_4plusIvEENS9_8equal_toIvEEsEE10hipError_tPvRmT2_T3_T4_T5_mT6_T7_P12ihipStream_tbENKUlT_T0_E_clISt17integral_constantIbLb1EES11_EEDaSW_SX_EUlSW_E_NS1_11comp_targetILNS1_3genE2ELNS1_11target_archE906ELNS1_3gpuE6ELNS1_3repE0EEENS1_30default_config_static_selectorELNS0_4arch9wavefront6targetE1EEEvT1_: ; @_ZN7rocprim17ROCPRIM_400000_NS6detail17trampoline_kernelINS0_14default_configENS1_27scan_by_key_config_selectorIisEEZZNS1_16scan_by_key_implILNS1_25lookback_scan_determinismE0ELb0ES3_N6thrust23THRUST_200600_302600_NS6detail15normal_iteratorINS9_10device_ptrIiEEEENSB_INSC_IsEEEESG_sNS9_4plusIvEENS9_8equal_toIvEEsEE10hipError_tPvRmT2_T3_T4_T5_mT6_T7_P12ihipStream_tbENKUlT_T0_E_clISt17integral_constantIbLb1EES11_EEDaSW_SX_EUlSW_E_NS1_11comp_targetILNS1_3genE2ELNS1_11target_archE906ELNS1_3gpuE6ELNS1_3repE0EEENS1_30default_config_static_selectorELNS0_4arch9wavefront6targetE1EEEvT1_
; %bb.0:
	.section	.rodata,"a",@progbits
	.p2align	6, 0x0
	.amdhsa_kernel _ZN7rocprim17ROCPRIM_400000_NS6detail17trampoline_kernelINS0_14default_configENS1_27scan_by_key_config_selectorIisEEZZNS1_16scan_by_key_implILNS1_25lookback_scan_determinismE0ELb0ES3_N6thrust23THRUST_200600_302600_NS6detail15normal_iteratorINS9_10device_ptrIiEEEENSB_INSC_IsEEEESG_sNS9_4plusIvEENS9_8equal_toIvEEsEE10hipError_tPvRmT2_T3_T4_T5_mT6_T7_P12ihipStream_tbENKUlT_T0_E_clISt17integral_constantIbLb1EES11_EEDaSW_SX_EUlSW_E_NS1_11comp_targetILNS1_3genE2ELNS1_11target_archE906ELNS1_3gpuE6ELNS1_3repE0EEENS1_30default_config_static_selectorELNS0_4arch9wavefront6targetE1EEEvT1_
		.amdhsa_group_segment_fixed_size 0
		.amdhsa_private_segment_fixed_size 0
		.amdhsa_kernarg_size 112
		.amdhsa_user_sgpr_count 6
		.amdhsa_user_sgpr_private_segment_buffer 1
		.amdhsa_user_sgpr_dispatch_ptr 0
		.amdhsa_user_sgpr_queue_ptr 0
		.amdhsa_user_sgpr_kernarg_segment_ptr 1
		.amdhsa_user_sgpr_dispatch_id 0
		.amdhsa_user_sgpr_flat_scratch_init 0
		.amdhsa_user_sgpr_kernarg_preload_length 0
		.amdhsa_user_sgpr_kernarg_preload_offset 0
		.amdhsa_user_sgpr_private_segment_size 0
		.amdhsa_uses_dynamic_stack 0
		.amdhsa_system_sgpr_private_segment_wavefront_offset 0
		.amdhsa_system_sgpr_workgroup_id_x 1
		.amdhsa_system_sgpr_workgroup_id_y 0
		.amdhsa_system_sgpr_workgroup_id_z 0
		.amdhsa_system_sgpr_workgroup_info 0
		.amdhsa_system_vgpr_workitem_id 0
		.amdhsa_next_free_vgpr 1
		.amdhsa_next_free_sgpr 0
		.amdhsa_accum_offset 4
		.amdhsa_reserve_vcc 0
		.amdhsa_reserve_flat_scratch 0
		.amdhsa_float_round_mode_32 0
		.amdhsa_float_round_mode_16_64 0
		.amdhsa_float_denorm_mode_32 3
		.amdhsa_float_denorm_mode_16_64 3
		.amdhsa_dx10_clamp 1
		.amdhsa_ieee_mode 1
		.amdhsa_fp16_overflow 0
		.amdhsa_tg_split 0
		.amdhsa_exception_fp_ieee_invalid_op 0
		.amdhsa_exception_fp_denorm_src 0
		.amdhsa_exception_fp_ieee_div_zero 0
		.amdhsa_exception_fp_ieee_overflow 0
		.amdhsa_exception_fp_ieee_underflow 0
		.amdhsa_exception_fp_ieee_inexact 0
		.amdhsa_exception_int_div_zero 0
	.end_amdhsa_kernel
	.section	.text._ZN7rocprim17ROCPRIM_400000_NS6detail17trampoline_kernelINS0_14default_configENS1_27scan_by_key_config_selectorIisEEZZNS1_16scan_by_key_implILNS1_25lookback_scan_determinismE0ELb0ES3_N6thrust23THRUST_200600_302600_NS6detail15normal_iteratorINS9_10device_ptrIiEEEENSB_INSC_IsEEEESG_sNS9_4plusIvEENS9_8equal_toIvEEsEE10hipError_tPvRmT2_T3_T4_T5_mT6_T7_P12ihipStream_tbENKUlT_T0_E_clISt17integral_constantIbLb1EES11_EEDaSW_SX_EUlSW_E_NS1_11comp_targetILNS1_3genE2ELNS1_11target_archE906ELNS1_3gpuE6ELNS1_3repE0EEENS1_30default_config_static_selectorELNS0_4arch9wavefront6targetE1EEEvT1_,"axG",@progbits,_ZN7rocprim17ROCPRIM_400000_NS6detail17trampoline_kernelINS0_14default_configENS1_27scan_by_key_config_selectorIisEEZZNS1_16scan_by_key_implILNS1_25lookback_scan_determinismE0ELb0ES3_N6thrust23THRUST_200600_302600_NS6detail15normal_iteratorINS9_10device_ptrIiEEEENSB_INSC_IsEEEESG_sNS9_4plusIvEENS9_8equal_toIvEEsEE10hipError_tPvRmT2_T3_T4_T5_mT6_T7_P12ihipStream_tbENKUlT_T0_E_clISt17integral_constantIbLb1EES11_EEDaSW_SX_EUlSW_E_NS1_11comp_targetILNS1_3genE2ELNS1_11target_archE906ELNS1_3gpuE6ELNS1_3repE0EEENS1_30default_config_static_selectorELNS0_4arch9wavefront6targetE1EEEvT1_,comdat
.Lfunc_end1367:
	.size	_ZN7rocprim17ROCPRIM_400000_NS6detail17trampoline_kernelINS0_14default_configENS1_27scan_by_key_config_selectorIisEEZZNS1_16scan_by_key_implILNS1_25lookback_scan_determinismE0ELb0ES3_N6thrust23THRUST_200600_302600_NS6detail15normal_iteratorINS9_10device_ptrIiEEEENSB_INSC_IsEEEESG_sNS9_4plusIvEENS9_8equal_toIvEEsEE10hipError_tPvRmT2_T3_T4_T5_mT6_T7_P12ihipStream_tbENKUlT_T0_E_clISt17integral_constantIbLb1EES11_EEDaSW_SX_EUlSW_E_NS1_11comp_targetILNS1_3genE2ELNS1_11target_archE906ELNS1_3gpuE6ELNS1_3repE0EEENS1_30default_config_static_selectorELNS0_4arch9wavefront6targetE1EEEvT1_, .Lfunc_end1367-_ZN7rocprim17ROCPRIM_400000_NS6detail17trampoline_kernelINS0_14default_configENS1_27scan_by_key_config_selectorIisEEZZNS1_16scan_by_key_implILNS1_25lookback_scan_determinismE0ELb0ES3_N6thrust23THRUST_200600_302600_NS6detail15normal_iteratorINS9_10device_ptrIiEEEENSB_INSC_IsEEEESG_sNS9_4plusIvEENS9_8equal_toIvEEsEE10hipError_tPvRmT2_T3_T4_T5_mT6_T7_P12ihipStream_tbENKUlT_T0_E_clISt17integral_constantIbLb1EES11_EEDaSW_SX_EUlSW_E_NS1_11comp_targetILNS1_3genE2ELNS1_11target_archE906ELNS1_3gpuE6ELNS1_3repE0EEENS1_30default_config_static_selectorELNS0_4arch9wavefront6targetE1EEEvT1_
                                        ; -- End function
	.section	.AMDGPU.csdata,"",@progbits
; Kernel info:
; codeLenInByte = 0
; NumSgprs: 4
; NumVgprs: 0
; NumAgprs: 0
; TotalNumVgprs: 0
; ScratchSize: 0
; MemoryBound: 0
; FloatMode: 240
; IeeeMode: 1
; LDSByteSize: 0 bytes/workgroup (compile time only)
; SGPRBlocks: 0
; VGPRBlocks: 0
; NumSGPRsForWavesPerEU: 4
; NumVGPRsForWavesPerEU: 1
; AccumOffset: 4
; Occupancy: 8
; WaveLimiterHint : 0
; COMPUTE_PGM_RSRC2:SCRATCH_EN: 0
; COMPUTE_PGM_RSRC2:USER_SGPR: 6
; COMPUTE_PGM_RSRC2:TRAP_HANDLER: 0
; COMPUTE_PGM_RSRC2:TGID_X_EN: 1
; COMPUTE_PGM_RSRC2:TGID_Y_EN: 0
; COMPUTE_PGM_RSRC2:TGID_Z_EN: 0
; COMPUTE_PGM_RSRC2:TIDIG_COMP_CNT: 0
; COMPUTE_PGM_RSRC3_GFX90A:ACCUM_OFFSET: 0
; COMPUTE_PGM_RSRC3_GFX90A:TG_SPLIT: 0
	.section	.text._ZN7rocprim17ROCPRIM_400000_NS6detail17trampoline_kernelINS0_14default_configENS1_27scan_by_key_config_selectorIisEEZZNS1_16scan_by_key_implILNS1_25lookback_scan_determinismE0ELb0ES3_N6thrust23THRUST_200600_302600_NS6detail15normal_iteratorINS9_10device_ptrIiEEEENSB_INSC_IsEEEESG_sNS9_4plusIvEENS9_8equal_toIvEEsEE10hipError_tPvRmT2_T3_T4_T5_mT6_T7_P12ihipStream_tbENKUlT_T0_E_clISt17integral_constantIbLb1EES11_EEDaSW_SX_EUlSW_E_NS1_11comp_targetILNS1_3genE10ELNS1_11target_archE1200ELNS1_3gpuE4ELNS1_3repE0EEENS1_30default_config_static_selectorELNS0_4arch9wavefront6targetE1EEEvT1_,"axG",@progbits,_ZN7rocprim17ROCPRIM_400000_NS6detail17trampoline_kernelINS0_14default_configENS1_27scan_by_key_config_selectorIisEEZZNS1_16scan_by_key_implILNS1_25lookback_scan_determinismE0ELb0ES3_N6thrust23THRUST_200600_302600_NS6detail15normal_iteratorINS9_10device_ptrIiEEEENSB_INSC_IsEEEESG_sNS9_4plusIvEENS9_8equal_toIvEEsEE10hipError_tPvRmT2_T3_T4_T5_mT6_T7_P12ihipStream_tbENKUlT_T0_E_clISt17integral_constantIbLb1EES11_EEDaSW_SX_EUlSW_E_NS1_11comp_targetILNS1_3genE10ELNS1_11target_archE1200ELNS1_3gpuE4ELNS1_3repE0EEENS1_30default_config_static_selectorELNS0_4arch9wavefront6targetE1EEEvT1_,comdat
	.protected	_ZN7rocprim17ROCPRIM_400000_NS6detail17trampoline_kernelINS0_14default_configENS1_27scan_by_key_config_selectorIisEEZZNS1_16scan_by_key_implILNS1_25lookback_scan_determinismE0ELb0ES3_N6thrust23THRUST_200600_302600_NS6detail15normal_iteratorINS9_10device_ptrIiEEEENSB_INSC_IsEEEESG_sNS9_4plusIvEENS9_8equal_toIvEEsEE10hipError_tPvRmT2_T3_T4_T5_mT6_T7_P12ihipStream_tbENKUlT_T0_E_clISt17integral_constantIbLb1EES11_EEDaSW_SX_EUlSW_E_NS1_11comp_targetILNS1_3genE10ELNS1_11target_archE1200ELNS1_3gpuE4ELNS1_3repE0EEENS1_30default_config_static_selectorELNS0_4arch9wavefront6targetE1EEEvT1_ ; -- Begin function _ZN7rocprim17ROCPRIM_400000_NS6detail17trampoline_kernelINS0_14default_configENS1_27scan_by_key_config_selectorIisEEZZNS1_16scan_by_key_implILNS1_25lookback_scan_determinismE0ELb0ES3_N6thrust23THRUST_200600_302600_NS6detail15normal_iteratorINS9_10device_ptrIiEEEENSB_INSC_IsEEEESG_sNS9_4plusIvEENS9_8equal_toIvEEsEE10hipError_tPvRmT2_T3_T4_T5_mT6_T7_P12ihipStream_tbENKUlT_T0_E_clISt17integral_constantIbLb1EES11_EEDaSW_SX_EUlSW_E_NS1_11comp_targetILNS1_3genE10ELNS1_11target_archE1200ELNS1_3gpuE4ELNS1_3repE0EEENS1_30default_config_static_selectorELNS0_4arch9wavefront6targetE1EEEvT1_
	.globl	_ZN7rocprim17ROCPRIM_400000_NS6detail17trampoline_kernelINS0_14default_configENS1_27scan_by_key_config_selectorIisEEZZNS1_16scan_by_key_implILNS1_25lookback_scan_determinismE0ELb0ES3_N6thrust23THRUST_200600_302600_NS6detail15normal_iteratorINS9_10device_ptrIiEEEENSB_INSC_IsEEEESG_sNS9_4plusIvEENS9_8equal_toIvEEsEE10hipError_tPvRmT2_T3_T4_T5_mT6_T7_P12ihipStream_tbENKUlT_T0_E_clISt17integral_constantIbLb1EES11_EEDaSW_SX_EUlSW_E_NS1_11comp_targetILNS1_3genE10ELNS1_11target_archE1200ELNS1_3gpuE4ELNS1_3repE0EEENS1_30default_config_static_selectorELNS0_4arch9wavefront6targetE1EEEvT1_
	.p2align	8
	.type	_ZN7rocprim17ROCPRIM_400000_NS6detail17trampoline_kernelINS0_14default_configENS1_27scan_by_key_config_selectorIisEEZZNS1_16scan_by_key_implILNS1_25lookback_scan_determinismE0ELb0ES3_N6thrust23THRUST_200600_302600_NS6detail15normal_iteratorINS9_10device_ptrIiEEEENSB_INSC_IsEEEESG_sNS9_4plusIvEENS9_8equal_toIvEEsEE10hipError_tPvRmT2_T3_T4_T5_mT6_T7_P12ihipStream_tbENKUlT_T0_E_clISt17integral_constantIbLb1EES11_EEDaSW_SX_EUlSW_E_NS1_11comp_targetILNS1_3genE10ELNS1_11target_archE1200ELNS1_3gpuE4ELNS1_3repE0EEENS1_30default_config_static_selectorELNS0_4arch9wavefront6targetE1EEEvT1_,@function
_ZN7rocprim17ROCPRIM_400000_NS6detail17trampoline_kernelINS0_14default_configENS1_27scan_by_key_config_selectorIisEEZZNS1_16scan_by_key_implILNS1_25lookback_scan_determinismE0ELb0ES3_N6thrust23THRUST_200600_302600_NS6detail15normal_iteratorINS9_10device_ptrIiEEEENSB_INSC_IsEEEESG_sNS9_4plusIvEENS9_8equal_toIvEEsEE10hipError_tPvRmT2_T3_T4_T5_mT6_T7_P12ihipStream_tbENKUlT_T0_E_clISt17integral_constantIbLb1EES11_EEDaSW_SX_EUlSW_E_NS1_11comp_targetILNS1_3genE10ELNS1_11target_archE1200ELNS1_3gpuE4ELNS1_3repE0EEENS1_30default_config_static_selectorELNS0_4arch9wavefront6targetE1EEEvT1_: ; @_ZN7rocprim17ROCPRIM_400000_NS6detail17trampoline_kernelINS0_14default_configENS1_27scan_by_key_config_selectorIisEEZZNS1_16scan_by_key_implILNS1_25lookback_scan_determinismE0ELb0ES3_N6thrust23THRUST_200600_302600_NS6detail15normal_iteratorINS9_10device_ptrIiEEEENSB_INSC_IsEEEESG_sNS9_4plusIvEENS9_8equal_toIvEEsEE10hipError_tPvRmT2_T3_T4_T5_mT6_T7_P12ihipStream_tbENKUlT_T0_E_clISt17integral_constantIbLb1EES11_EEDaSW_SX_EUlSW_E_NS1_11comp_targetILNS1_3genE10ELNS1_11target_archE1200ELNS1_3gpuE4ELNS1_3repE0EEENS1_30default_config_static_selectorELNS0_4arch9wavefront6targetE1EEEvT1_
; %bb.0:
	.section	.rodata,"a",@progbits
	.p2align	6, 0x0
	.amdhsa_kernel _ZN7rocprim17ROCPRIM_400000_NS6detail17trampoline_kernelINS0_14default_configENS1_27scan_by_key_config_selectorIisEEZZNS1_16scan_by_key_implILNS1_25lookback_scan_determinismE0ELb0ES3_N6thrust23THRUST_200600_302600_NS6detail15normal_iteratorINS9_10device_ptrIiEEEENSB_INSC_IsEEEESG_sNS9_4plusIvEENS9_8equal_toIvEEsEE10hipError_tPvRmT2_T3_T4_T5_mT6_T7_P12ihipStream_tbENKUlT_T0_E_clISt17integral_constantIbLb1EES11_EEDaSW_SX_EUlSW_E_NS1_11comp_targetILNS1_3genE10ELNS1_11target_archE1200ELNS1_3gpuE4ELNS1_3repE0EEENS1_30default_config_static_selectorELNS0_4arch9wavefront6targetE1EEEvT1_
		.amdhsa_group_segment_fixed_size 0
		.amdhsa_private_segment_fixed_size 0
		.amdhsa_kernarg_size 112
		.amdhsa_user_sgpr_count 6
		.amdhsa_user_sgpr_private_segment_buffer 1
		.amdhsa_user_sgpr_dispatch_ptr 0
		.amdhsa_user_sgpr_queue_ptr 0
		.amdhsa_user_sgpr_kernarg_segment_ptr 1
		.amdhsa_user_sgpr_dispatch_id 0
		.amdhsa_user_sgpr_flat_scratch_init 0
		.amdhsa_user_sgpr_kernarg_preload_length 0
		.amdhsa_user_sgpr_kernarg_preload_offset 0
		.amdhsa_user_sgpr_private_segment_size 0
		.amdhsa_uses_dynamic_stack 0
		.amdhsa_system_sgpr_private_segment_wavefront_offset 0
		.amdhsa_system_sgpr_workgroup_id_x 1
		.amdhsa_system_sgpr_workgroup_id_y 0
		.amdhsa_system_sgpr_workgroup_id_z 0
		.amdhsa_system_sgpr_workgroup_info 0
		.amdhsa_system_vgpr_workitem_id 0
		.amdhsa_next_free_vgpr 1
		.amdhsa_next_free_sgpr 0
		.amdhsa_accum_offset 4
		.amdhsa_reserve_vcc 0
		.amdhsa_reserve_flat_scratch 0
		.amdhsa_float_round_mode_32 0
		.amdhsa_float_round_mode_16_64 0
		.amdhsa_float_denorm_mode_32 3
		.amdhsa_float_denorm_mode_16_64 3
		.amdhsa_dx10_clamp 1
		.amdhsa_ieee_mode 1
		.amdhsa_fp16_overflow 0
		.amdhsa_tg_split 0
		.amdhsa_exception_fp_ieee_invalid_op 0
		.amdhsa_exception_fp_denorm_src 0
		.amdhsa_exception_fp_ieee_div_zero 0
		.amdhsa_exception_fp_ieee_overflow 0
		.amdhsa_exception_fp_ieee_underflow 0
		.amdhsa_exception_fp_ieee_inexact 0
		.amdhsa_exception_int_div_zero 0
	.end_amdhsa_kernel
	.section	.text._ZN7rocprim17ROCPRIM_400000_NS6detail17trampoline_kernelINS0_14default_configENS1_27scan_by_key_config_selectorIisEEZZNS1_16scan_by_key_implILNS1_25lookback_scan_determinismE0ELb0ES3_N6thrust23THRUST_200600_302600_NS6detail15normal_iteratorINS9_10device_ptrIiEEEENSB_INSC_IsEEEESG_sNS9_4plusIvEENS9_8equal_toIvEEsEE10hipError_tPvRmT2_T3_T4_T5_mT6_T7_P12ihipStream_tbENKUlT_T0_E_clISt17integral_constantIbLb1EES11_EEDaSW_SX_EUlSW_E_NS1_11comp_targetILNS1_3genE10ELNS1_11target_archE1200ELNS1_3gpuE4ELNS1_3repE0EEENS1_30default_config_static_selectorELNS0_4arch9wavefront6targetE1EEEvT1_,"axG",@progbits,_ZN7rocprim17ROCPRIM_400000_NS6detail17trampoline_kernelINS0_14default_configENS1_27scan_by_key_config_selectorIisEEZZNS1_16scan_by_key_implILNS1_25lookback_scan_determinismE0ELb0ES3_N6thrust23THRUST_200600_302600_NS6detail15normal_iteratorINS9_10device_ptrIiEEEENSB_INSC_IsEEEESG_sNS9_4plusIvEENS9_8equal_toIvEEsEE10hipError_tPvRmT2_T3_T4_T5_mT6_T7_P12ihipStream_tbENKUlT_T0_E_clISt17integral_constantIbLb1EES11_EEDaSW_SX_EUlSW_E_NS1_11comp_targetILNS1_3genE10ELNS1_11target_archE1200ELNS1_3gpuE4ELNS1_3repE0EEENS1_30default_config_static_selectorELNS0_4arch9wavefront6targetE1EEEvT1_,comdat
.Lfunc_end1368:
	.size	_ZN7rocprim17ROCPRIM_400000_NS6detail17trampoline_kernelINS0_14default_configENS1_27scan_by_key_config_selectorIisEEZZNS1_16scan_by_key_implILNS1_25lookback_scan_determinismE0ELb0ES3_N6thrust23THRUST_200600_302600_NS6detail15normal_iteratorINS9_10device_ptrIiEEEENSB_INSC_IsEEEESG_sNS9_4plusIvEENS9_8equal_toIvEEsEE10hipError_tPvRmT2_T3_T4_T5_mT6_T7_P12ihipStream_tbENKUlT_T0_E_clISt17integral_constantIbLb1EES11_EEDaSW_SX_EUlSW_E_NS1_11comp_targetILNS1_3genE10ELNS1_11target_archE1200ELNS1_3gpuE4ELNS1_3repE0EEENS1_30default_config_static_selectorELNS0_4arch9wavefront6targetE1EEEvT1_, .Lfunc_end1368-_ZN7rocprim17ROCPRIM_400000_NS6detail17trampoline_kernelINS0_14default_configENS1_27scan_by_key_config_selectorIisEEZZNS1_16scan_by_key_implILNS1_25lookback_scan_determinismE0ELb0ES3_N6thrust23THRUST_200600_302600_NS6detail15normal_iteratorINS9_10device_ptrIiEEEENSB_INSC_IsEEEESG_sNS9_4plusIvEENS9_8equal_toIvEEsEE10hipError_tPvRmT2_T3_T4_T5_mT6_T7_P12ihipStream_tbENKUlT_T0_E_clISt17integral_constantIbLb1EES11_EEDaSW_SX_EUlSW_E_NS1_11comp_targetILNS1_3genE10ELNS1_11target_archE1200ELNS1_3gpuE4ELNS1_3repE0EEENS1_30default_config_static_selectorELNS0_4arch9wavefront6targetE1EEEvT1_
                                        ; -- End function
	.section	.AMDGPU.csdata,"",@progbits
; Kernel info:
; codeLenInByte = 0
; NumSgprs: 4
; NumVgprs: 0
; NumAgprs: 0
; TotalNumVgprs: 0
; ScratchSize: 0
; MemoryBound: 0
; FloatMode: 240
; IeeeMode: 1
; LDSByteSize: 0 bytes/workgroup (compile time only)
; SGPRBlocks: 0
; VGPRBlocks: 0
; NumSGPRsForWavesPerEU: 4
; NumVGPRsForWavesPerEU: 1
; AccumOffset: 4
; Occupancy: 8
; WaveLimiterHint : 0
; COMPUTE_PGM_RSRC2:SCRATCH_EN: 0
; COMPUTE_PGM_RSRC2:USER_SGPR: 6
; COMPUTE_PGM_RSRC2:TRAP_HANDLER: 0
; COMPUTE_PGM_RSRC2:TGID_X_EN: 1
; COMPUTE_PGM_RSRC2:TGID_Y_EN: 0
; COMPUTE_PGM_RSRC2:TGID_Z_EN: 0
; COMPUTE_PGM_RSRC2:TIDIG_COMP_CNT: 0
; COMPUTE_PGM_RSRC3_GFX90A:ACCUM_OFFSET: 0
; COMPUTE_PGM_RSRC3_GFX90A:TG_SPLIT: 0
	.section	.text._ZN7rocprim17ROCPRIM_400000_NS6detail17trampoline_kernelINS0_14default_configENS1_27scan_by_key_config_selectorIisEEZZNS1_16scan_by_key_implILNS1_25lookback_scan_determinismE0ELb0ES3_N6thrust23THRUST_200600_302600_NS6detail15normal_iteratorINS9_10device_ptrIiEEEENSB_INSC_IsEEEESG_sNS9_4plusIvEENS9_8equal_toIvEEsEE10hipError_tPvRmT2_T3_T4_T5_mT6_T7_P12ihipStream_tbENKUlT_T0_E_clISt17integral_constantIbLb1EES11_EEDaSW_SX_EUlSW_E_NS1_11comp_targetILNS1_3genE9ELNS1_11target_archE1100ELNS1_3gpuE3ELNS1_3repE0EEENS1_30default_config_static_selectorELNS0_4arch9wavefront6targetE1EEEvT1_,"axG",@progbits,_ZN7rocprim17ROCPRIM_400000_NS6detail17trampoline_kernelINS0_14default_configENS1_27scan_by_key_config_selectorIisEEZZNS1_16scan_by_key_implILNS1_25lookback_scan_determinismE0ELb0ES3_N6thrust23THRUST_200600_302600_NS6detail15normal_iteratorINS9_10device_ptrIiEEEENSB_INSC_IsEEEESG_sNS9_4plusIvEENS9_8equal_toIvEEsEE10hipError_tPvRmT2_T3_T4_T5_mT6_T7_P12ihipStream_tbENKUlT_T0_E_clISt17integral_constantIbLb1EES11_EEDaSW_SX_EUlSW_E_NS1_11comp_targetILNS1_3genE9ELNS1_11target_archE1100ELNS1_3gpuE3ELNS1_3repE0EEENS1_30default_config_static_selectorELNS0_4arch9wavefront6targetE1EEEvT1_,comdat
	.protected	_ZN7rocprim17ROCPRIM_400000_NS6detail17trampoline_kernelINS0_14default_configENS1_27scan_by_key_config_selectorIisEEZZNS1_16scan_by_key_implILNS1_25lookback_scan_determinismE0ELb0ES3_N6thrust23THRUST_200600_302600_NS6detail15normal_iteratorINS9_10device_ptrIiEEEENSB_INSC_IsEEEESG_sNS9_4plusIvEENS9_8equal_toIvEEsEE10hipError_tPvRmT2_T3_T4_T5_mT6_T7_P12ihipStream_tbENKUlT_T0_E_clISt17integral_constantIbLb1EES11_EEDaSW_SX_EUlSW_E_NS1_11comp_targetILNS1_3genE9ELNS1_11target_archE1100ELNS1_3gpuE3ELNS1_3repE0EEENS1_30default_config_static_selectorELNS0_4arch9wavefront6targetE1EEEvT1_ ; -- Begin function _ZN7rocprim17ROCPRIM_400000_NS6detail17trampoline_kernelINS0_14default_configENS1_27scan_by_key_config_selectorIisEEZZNS1_16scan_by_key_implILNS1_25lookback_scan_determinismE0ELb0ES3_N6thrust23THRUST_200600_302600_NS6detail15normal_iteratorINS9_10device_ptrIiEEEENSB_INSC_IsEEEESG_sNS9_4plusIvEENS9_8equal_toIvEEsEE10hipError_tPvRmT2_T3_T4_T5_mT6_T7_P12ihipStream_tbENKUlT_T0_E_clISt17integral_constantIbLb1EES11_EEDaSW_SX_EUlSW_E_NS1_11comp_targetILNS1_3genE9ELNS1_11target_archE1100ELNS1_3gpuE3ELNS1_3repE0EEENS1_30default_config_static_selectorELNS0_4arch9wavefront6targetE1EEEvT1_
	.globl	_ZN7rocprim17ROCPRIM_400000_NS6detail17trampoline_kernelINS0_14default_configENS1_27scan_by_key_config_selectorIisEEZZNS1_16scan_by_key_implILNS1_25lookback_scan_determinismE0ELb0ES3_N6thrust23THRUST_200600_302600_NS6detail15normal_iteratorINS9_10device_ptrIiEEEENSB_INSC_IsEEEESG_sNS9_4plusIvEENS9_8equal_toIvEEsEE10hipError_tPvRmT2_T3_T4_T5_mT6_T7_P12ihipStream_tbENKUlT_T0_E_clISt17integral_constantIbLb1EES11_EEDaSW_SX_EUlSW_E_NS1_11comp_targetILNS1_3genE9ELNS1_11target_archE1100ELNS1_3gpuE3ELNS1_3repE0EEENS1_30default_config_static_selectorELNS0_4arch9wavefront6targetE1EEEvT1_
	.p2align	8
	.type	_ZN7rocprim17ROCPRIM_400000_NS6detail17trampoline_kernelINS0_14default_configENS1_27scan_by_key_config_selectorIisEEZZNS1_16scan_by_key_implILNS1_25lookback_scan_determinismE0ELb0ES3_N6thrust23THRUST_200600_302600_NS6detail15normal_iteratorINS9_10device_ptrIiEEEENSB_INSC_IsEEEESG_sNS9_4plusIvEENS9_8equal_toIvEEsEE10hipError_tPvRmT2_T3_T4_T5_mT6_T7_P12ihipStream_tbENKUlT_T0_E_clISt17integral_constantIbLb1EES11_EEDaSW_SX_EUlSW_E_NS1_11comp_targetILNS1_3genE9ELNS1_11target_archE1100ELNS1_3gpuE3ELNS1_3repE0EEENS1_30default_config_static_selectorELNS0_4arch9wavefront6targetE1EEEvT1_,@function
_ZN7rocprim17ROCPRIM_400000_NS6detail17trampoline_kernelINS0_14default_configENS1_27scan_by_key_config_selectorIisEEZZNS1_16scan_by_key_implILNS1_25lookback_scan_determinismE0ELb0ES3_N6thrust23THRUST_200600_302600_NS6detail15normal_iteratorINS9_10device_ptrIiEEEENSB_INSC_IsEEEESG_sNS9_4plusIvEENS9_8equal_toIvEEsEE10hipError_tPvRmT2_T3_T4_T5_mT6_T7_P12ihipStream_tbENKUlT_T0_E_clISt17integral_constantIbLb1EES11_EEDaSW_SX_EUlSW_E_NS1_11comp_targetILNS1_3genE9ELNS1_11target_archE1100ELNS1_3gpuE3ELNS1_3repE0EEENS1_30default_config_static_selectorELNS0_4arch9wavefront6targetE1EEEvT1_: ; @_ZN7rocprim17ROCPRIM_400000_NS6detail17trampoline_kernelINS0_14default_configENS1_27scan_by_key_config_selectorIisEEZZNS1_16scan_by_key_implILNS1_25lookback_scan_determinismE0ELb0ES3_N6thrust23THRUST_200600_302600_NS6detail15normal_iteratorINS9_10device_ptrIiEEEENSB_INSC_IsEEEESG_sNS9_4plusIvEENS9_8equal_toIvEEsEE10hipError_tPvRmT2_T3_T4_T5_mT6_T7_P12ihipStream_tbENKUlT_T0_E_clISt17integral_constantIbLb1EES11_EEDaSW_SX_EUlSW_E_NS1_11comp_targetILNS1_3genE9ELNS1_11target_archE1100ELNS1_3gpuE3ELNS1_3repE0EEENS1_30default_config_static_selectorELNS0_4arch9wavefront6targetE1EEEvT1_
; %bb.0:
	.section	.rodata,"a",@progbits
	.p2align	6, 0x0
	.amdhsa_kernel _ZN7rocprim17ROCPRIM_400000_NS6detail17trampoline_kernelINS0_14default_configENS1_27scan_by_key_config_selectorIisEEZZNS1_16scan_by_key_implILNS1_25lookback_scan_determinismE0ELb0ES3_N6thrust23THRUST_200600_302600_NS6detail15normal_iteratorINS9_10device_ptrIiEEEENSB_INSC_IsEEEESG_sNS9_4plusIvEENS9_8equal_toIvEEsEE10hipError_tPvRmT2_T3_T4_T5_mT6_T7_P12ihipStream_tbENKUlT_T0_E_clISt17integral_constantIbLb1EES11_EEDaSW_SX_EUlSW_E_NS1_11comp_targetILNS1_3genE9ELNS1_11target_archE1100ELNS1_3gpuE3ELNS1_3repE0EEENS1_30default_config_static_selectorELNS0_4arch9wavefront6targetE1EEEvT1_
		.amdhsa_group_segment_fixed_size 0
		.amdhsa_private_segment_fixed_size 0
		.amdhsa_kernarg_size 112
		.amdhsa_user_sgpr_count 6
		.amdhsa_user_sgpr_private_segment_buffer 1
		.amdhsa_user_sgpr_dispatch_ptr 0
		.amdhsa_user_sgpr_queue_ptr 0
		.amdhsa_user_sgpr_kernarg_segment_ptr 1
		.amdhsa_user_sgpr_dispatch_id 0
		.amdhsa_user_sgpr_flat_scratch_init 0
		.amdhsa_user_sgpr_kernarg_preload_length 0
		.amdhsa_user_sgpr_kernarg_preload_offset 0
		.amdhsa_user_sgpr_private_segment_size 0
		.amdhsa_uses_dynamic_stack 0
		.amdhsa_system_sgpr_private_segment_wavefront_offset 0
		.amdhsa_system_sgpr_workgroup_id_x 1
		.amdhsa_system_sgpr_workgroup_id_y 0
		.amdhsa_system_sgpr_workgroup_id_z 0
		.amdhsa_system_sgpr_workgroup_info 0
		.amdhsa_system_vgpr_workitem_id 0
		.amdhsa_next_free_vgpr 1
		.amdhsa_next_free_sgpr 0
		.amdhsa_accum_offset 4
		.amdhsa_reserve_vcc 0
		.amdhsa_reserve_flat_scratch 0
		.amdhsa_float_round_mode_32 0
		.amdhsa_float_round_mode_16_64 0
		.amdhsa_float_denorm_mode_32 3
		.amdhsa_float_denorm_mode_16_64 3
		.amdhsa_dx10_clamp 1
		.amdhsa_ieee_mode 1
		.amdhsa_fp16_overflow 0
		.amdhsa_tg_split 0
		.amdhsa_exception_fp_ieee_invalid_op 0
		.amdhsa_exception_fp_denorm_src 0
		.amdhsa_exception_fp_ieee_div_zero 0
		.amdhsa_exception_fp_ieee_overflow 0
		.amdhsa_exception_fp_ieee_underflow 0
		.amdhsa_exception_fp_ieee_inexact 0
		.amdhsa_exception_int_div_zero 0
	.end_amdhsa_kernel
	.section	.text._ZN7rocprim17ROCPRIM_400000_NS6detail17trampoline_kernelINS0_14default_configENS1_27scan_by_key_config_selectorIisEEZZNS1_16scan_by_key_implILNS1_25lookback_scan_determinismE0ELb0ES3_N6thrust23THRUST_200600_302600_NS6detail15normal_iteratorINS9_10device_ptrIiEEEENSB_INSC_IsEEEESG_sNS9_4plusIvEENS9_8equal_toIvEEsEE10hipError_tPvRmT2_T3_T4_T5_mT6_T7_P12ihipStream_tbENKUlT_T0_E_clISt17integral_constantIbLb1EES11_EEDaSW_SX_EUlSW_E_NS1_11comp_targetILNS1_3genE9ELNS1_11target_archE1100ELNS1_3gpuE3ELNS1_3repE0EEENS1_30default_config_static_selectorELNS0_4arch9wavefront6targetE1EEEvT1_,"axG",@progbits,_ZN7rocprim17ROCPRIM_400000_NS6detail17trampoline_kernelINS0_14default_configENS1_27scan_by_key_config_selectorIisEEZZNS1_16scan_by_key_implILNS1_25lookback_scan_determinismE0ELb0ES3_N6thrust23THRUST_200600_302600_NS6detail15normal_iteratorINS9_10device_ptrIiEEEENSB_INSC_IsEEEESG_sNS9_4plusIvEENS9_8equal_toIvEEsEE10hipError_tPvRmT2_T3_T4_T5_mT6_T7_P12ihipStream_tbENKUlT_T0_E_clISt17integral_constantIbLb1EES11_EEDaSW_SX_EUlSW_E_NS1_11comp_targetILNS1_3genE9ELNS1_11target_archE1100ELNS1_3gpuE3ELNS1_3repE0EEENS1_30default_config_static_selectorELNS0_4arch9wavefront6targetE1EEEvT1_,comdat
.Lfunc_end1369:
	.size	_ZN7rocprim17ROCPRIM_400000_NS6detail17trampoline_kernelINS0_14default_configENS1_27scan_by_key_config_selectorIisEEZZNS1_16scan_by_key_implILNS1_25lookback_scan_determinismE0ELb0ES3_N6thrust23THRUST_200600_302600_NS6detail15normal_iteratorINS9_10device_ptrIiEEEENSB_INSC_IsEEEESG_sNS9_4plusIvEENS9_8equal_toIvEEsEE10hipError_tPvRmT2_T3_T4_T5_mT6_T7_P12ihipStream_tbENKUlT_T0_E_clISt17integral_constantIbLb1EES11_EEDaSW_SX_EUlSW_E_NS1_11comp_targetILNS1_3genE9ELNS1_11target_archE1100ELNS1_3gpuE3ELNS1_3repE0EEENS1_30default_config_static_selectorELNS0_4arch9wavefront6targetE1EEEvT1_, .Lfunc_end1369-_ZN7rocprim17ROCPRIM_400000_NS6detail17trampoline_kernelINS0_14default_configENS1_27scan_by_key_config_selectorIisEEZZNS1_16scan_by_key_implILNS1_25lookback_scan_determinismE0ELb0ES3_N6thrust23THRUST_200600_302600_NS6detail15normal_iteratorINS9_10device_ptrIiEEEENSB_INSC_IsEEEESG_sNS9_4plusIvEENS9_8equal_toIvEEsEE10hipError_tPvRmT2_T3_T4_T5_mT6_T7_P12ihipStream_tbENKUlT_T0_E_clISt17integral_constantIbLb1EES11_EEDaSW_SX_EUlSW_E_NS1_11comp_targetILNS1_3genE9ELNS1_11target_archE1100ELNS1_3gpuE3ELNS1_3repE0EEENS1_30default_config_static_selectorELNS0_4arch9wavefront6targetE1EEEvT1_
                                        ; -- End function
	.section	.AMDGPU.csdata,"",@progbits
; Kernel info:
; codeLenInByte = 0
; NumSgprs: 4
; NumVgprs: 0
; NumAgprs: 0
; TotalNumVgprs: 0
; ScratchSize: 0
; MemoryBound: 0
; FloatMode: 240
; IeeeMode: 1
; LDSByteSize: 0 bytes/workgroup (compile time only)
; SGPRBlocks: 0
; VGPRBlocks: 0
; NumSGPRsForWavesPerEU: 4
; NumVGPRsForWavesPerEU: 1
; AccumOffset: 4
; Occupancy: 8
; WaveLimiterHint : 0
; COMPUTE_PGM_RSRC2:SCRATCH_EN: 0
; COMPUTE_PGM_RSRC2:USER_SGPR: 6
; COMPUTE_PGM_RSRC2:TRAP_HANDLER: 0
; COMPUTE_PGM_RSRC2:TGID_X_EN: 1
; COMPUTE_PGM_RSRC2:TGID_Y_EN: 0
; COMPUTE_PGM_RSRC2:TGID_Z_EN: 0
; COMPUTE_PGM_RSRC2:TIDIG_COMP_CNT: 0
; COMPUTE_PGM_RSRC3_GFX90A:ACCUM_OFFSET: 0
; COMPUTE_PGM_RSRC3_GFX90A:TG_SPLIT: 0
	.section	.text._ZN7rocprim17ROCPRIM_400000_NS6detail17trampoline_kernelINS0_14default_configENS1_27scan_by_key_config_selectorIisEEZZNS1_16scan_by_key_implILNS1_25lookback_scan_determinismE0ELb0ES3_N6thrust23THRUST_200600_302600_NS6detail15normal_iteratorINS9_10device_ptrIiEEEENSB_INSC_IsEEEESG_sNS9_4plusIvEENS9_8equal_toIvEEsEE10hipError_tPvRmT2_T3_T4_T5_mT6_T7_P12ihipStream_tbENKUlT_T0_E_clISt17integral_constantIbLb1EES11_EEDaSW_SX_EUlSW_E_NS1_11comp_targetILNS1_3genE8ELNS1_11target_archE1030ELNS1_3gpuE2ELNS1_3repE0EEENS1_30default_config_static_selectorELNS0_4arch9wavefront6targetE1EEEvT1_,"axG",@progbits,_ZN7rocprim17ROCPRIM_400000_NS6detail17trampoline_kernelINS0_14default_configENS1_27scan_by_key_config_selectorIisEEZZNS1_16scan_by_key_implILNS1_25lookback_scan_determinismE0ELb0ES3_N6thrust23THRUST_200600_302600_NS6detail15normal_iteratorINS9_10device_ptrIiEEEENSB_INSC_IsEEEESG_sNS9_4plusIvEENS9_8equal_toIvEEsEE10hipError_tPvRmT2_T3_T4_T5_mT6_T7_P12ihipStream_tbENKUlT_T0_E_clISt17integral_constantIbLb1EES11_EEDaSW_SX_EUlSW_E_NS1_11comp_targetILNS1_3genE8ELNS1_11target_archE1030ELNS1_3gpuE2ELNS1_3repE0EEENS1_30default_config_static_selectorELNS0_4arch9wavefront6targetE1EEEvT1_,comdat
	.protected	_ZN7rocprim17ROCPRIM_400000_NS6detail17trampoline_kernelINS0_14default_configENS1_27scan_by_key_config_selectorIisEEZZNS1_16scan_by_key_implILNS1_25lookback_scan_determinismE0ELb0ES3_N6thrust23THRUST_200600_302600_NS6detail15normal_iteratorINS9_10device_ptrIiEEEENSB_INSC_IsEEEESG_sNS9_4plusIvEENS9_8equal_toIvEEsEE10hipError_tPvRmT2_T3_T4_T5_mT6_T7_P12ihipStream_tbENKUlT_T0_E_clISt17integral_constantIbLb1EES11_EEDaSW_SX_EUlSW_E_NS1_11comp_targetILNS1_3genE8ELNS1_11target_archE1030ELNS1_3gpuE2ELNS1_3repE0EEENS1_30default_config_static_selectorELNS0_4arch9wavefront6targetE1EEEvT1_ ; -- Begin function _ZN7rocprim17ROCPRIM_400000_NS6detail17trampoline_kernelINS0_14default_configENS1_27scan_by_key_config_selectorIisEEZZNS1_16scan_by_key_implILNS1_25lookback_scan_determinismE0ELb0ES3_N6thrust23THRUST_200600_302600_NS6detail15normal_iteratorINS9_10device_ptrIiEEEENSB_INSC_IsEEEESG_sNS9_4plusIvEENS9_8equal_toIvEEsEE10hipError_tPvRmT2_T3_T4_T5_mT6_T7_P12ihipStream_tbENKUlT_T0_E_clISt17integral_constantIbLb1EES11_EEDaSW_SX_EUlSW_E_NS1_11comp_targetILNS1_3genE8ELNS1_11target_archE1030ELNS1_3gpuE2ELNS1_3repE0EEENS1_30default_config_static_selectorELNS0_4arch9wavefront6targetE1EEEvT1_
	.globl	_ZN7rocprim17ROCPRIM_400000_NS6detail17trampoline_kernelINS0_14default_configENS1_27scan_by_key_config_selectorIisEEZZNS1_16scan_by_key_implILNS1_25lookback_scan_determinismE0ELb0ES3_N6thrust23THRUST_200600_302600_NS6detail15normal_iteratorINS9_10device_ptrIiEEEENSB_INSC_IsEEEESG_sNS9_4plusIvEENS9_8equal_toIvEEsEE10hipError_tPvRmT2_T3_T4_T5_mT6_T7_P12ihipStream_tbENKUlT_T0_E_clISt17integral_constantIbLb1EES11_EEDaSW_SX_EUlSW_E_NS1_11comp_targetILNS1_3genE8ELNS1_11target_archE1030ELNS1_3gpuE2ELNS1_3repE0EEENS1_30default_config_static_selectorELNS0_4arch9wavefront6targetE1EEEvT1_
	.p2align	8
	.type	_ZN7rocprim17ROCPRIM_400000_NS6detail17trampoline_kernelINS0_14default_configENS1_27scan_by_key_config_selectorIisEEZZNS1_16scan_by_key_implILNS1_25lookback_scan_determinismE0ELb0ES3_N6thrust23THRUST_200600_302600_NS6detail15normal_iteratorINS9_10device_ptrIiEEEENSB_INSC_IsEEEESG_sNS9_4plusIvEENS9_8equal_toIvEEsEE10hipError_tPvRmT2_T3_T4_T5_mT6_T7_P12ihipStream_tbENKUlT_T0_E_clISt17integral_constantIbLb1EES11_EEDaSW_SX_EUlSW_E_NS1_11comp_targetILNS1_3genE8ELNS1_11target_archE1030ELNS1_3gpuE2ELNS1_3repE0EEENS1_30default_config_static_selectorELNS0_4arch9wavefront6targetE1EEEvT1_,@function
_ZN7rocprim17ROCPRIM_400000_NS6detail17trampoline_kernelINS0_14default_configENS1_27scan_by_key_config_selectorIisEEZZNS1_16scan_by_key_implILNS1_25lookback_scan_determinismE0ELb0ES3_N6thrust23THRUST_200600_302600_NS6detail15normal_iteratorINS9_10device_ptrIiEEEENSB_INSC_IsEEEESG_sNS9_4plusIvEENS9_8equal_toIvEEsEE10hipError_tPvRmT2_T3_T4_T5_mT6_T7_P12ihipStream_tbENKUlT_T0_E_clISt17integral_constantIbLb1EES11_EEDaSW_SX_EUlSW_E_NS1_11comp_targetILNS1_3genE8ELNS1_11target_archE1030ELNS1_3gpuE2ELNS1_3repE0EEENS1_30default_config_static_selectorELNS0_4arch9wavefront6targetE1EEEvT1_: ; @_ZN7rocprim17ROCPRIM_400000_NS6detail17trampoline_kernelINS0_14default_configENS1_27scan_by_key_config_selectorIisEEZZNS1_16scan_by_key_implILNS1_25lookback_scan_determinismE0ELb0ES3_N6thrust23THRUST_200600_302600_NS6detail15normal_iteratorINS9_10device_ptrIiEEEENSB_INSC_IsEEEESG_sNS9_4plusIvEENS9_8equal_toIvEEsEE10hipError_tPvRmT2_T3_T4_T5_mT6_T7_P12ihipStream_tbENKUlT_T0_E_clISt17integral_constantIbLb1EES11_EEDaSW_SX_EUlSW_E_NS1_11comp_targetILNS1_3genE8ELNS1_11target_archE1030ELNS1_3gpuE2ELNS1_3repE0EEENS1_30default_config_static_selectorELNS0_4arch9wavefront6targetE1EEEvT1_
; %bb.0:
	.section	.rodata,"a",@progbits
	.p2align	6, 0x0
	.amdhsa_kernel _ZN7rocprim17ROCPRIM_400000_NS6detail17trampoline_kernelINS0_14default_configENS1_27scan_by_key_config_selectorIisEEZZNS1_16scan_by_key_implILNS1_25lookback_scan_determinismE0ELb0ES3_N6thrust23THRUST_200600_302600_NS6detail15normal_iteratorINS9_10device_ptrIiEEEENSB_INSC_IsEEEESG_sNS9_4plusIvEENS9_8equal_toIvEEsEE10hipError_tPvRmT2_T3_T4_T5_mT6_T7_P12ihipStream_tbENKUlT_T0_E_clISt17integral_constantIbLb1EES11_EEDaSW_SX_EUlSW_E_NS1_11comp_targetILNS1_3genE8ELNS1_11target_archE1030ELNS1_3gpuE2ELNS1_3repE0EEENS1_30default_config_static_selectorELNS0_4arch9wavefront6targetE1EEEvT1_
		.amdhsa_group_segment_fixed_size 0
		.amdhsa_private_segment_fixed_size 0
		.amdhsa_kernarg_size 112
		.amdhsa_user_sgpr_count 6
		.amdhsa_user_sgpr_private_segment_buffer 1
		.amdhsa_user_sgpr_dispatch_ptr 0
		.amdhsa_user_sgpr_queue_ptr 0
		.amdhsa_user_sgpr_kernarg_segment_ptr 1
		.amdhsa_user_sgpr_dispatch_id 0
		.amdhsa_user_sgpr_flat_scratch_init 0
		.amdhsa_user_sgpr_kernarg_preload_length 0
		.amdhsa_user_sgpr_kernarg_preload_offset 0
		.amdhsa_user_sgpr_private_segment_size 0
		.amdhsa_uses_dynamic_stack 0
		.amdhsa_system_sgpr_private_segment_wavefront_offset 0
		.amdhsa_system_sgpr_workgroup_id_x 1
		.amdhsa_system_sgpr_workgroup_id_y 0
		.amdhsa_system_sgpr_workgroup_id_z 0
		.amdhsa_system_sgpr_workgroup_info 0
		.amdhsa_system_vgpr_workitem_id 0
		.amdhsa_next_free_vgpr 1
		.amdhsa_next_free_sgpr 0
		.amdhsa_accum_offset 4
		.amdhsa_reserve_vcc 0
		.amdhsa_reserve_flat_scratch 0
		.amdhsa_float_round_mode_32 0
		.amdhsa_float_round_mode_16_64 0
		.amdhsa_float_denorm_mode_32 3
		.amdhsa_float_denorm_mode_16_64 3
		.amdhsa_dx10_clamp 1
		.amdhsa_ieee_mode 1
		.amdhsa_fp16_overflow 0
		.amdhsa_tg_split 0
		.amdhsa_exception_fp_ieee_invalid_op 0
		.amdhsa_exception_fp_denorm_src 0
		.amdhsa_exception_fp_ieee_div_zero 0
		.amdhsa_exception_fp_ieee_overflow 0
		.amdhsa_exception_fp_ieee_underflow 0
		.amdhsa_exception_fp_ieee_inexact 0
		.amdhsa_exception_int_div_zero 0
	.end_amdhsa_kernel
	.section	.text._ZN7rocprim17ROCPRIM_400000_NS6detail17trampoline_kernelINS0_14default_configENS1_27scan_by_key_config_selectorIisEEZZNS1_16scan_by_key_implILNS1_25lookback_scan_determinismE0ELb0ES3_N6thrust23THRUST_200600_302600_NS6detail15normal_iteratorINS9_10device_ptrIiEEEENSB_INSC_IsEEEESG_sNS9_4plusIvEENS9_8equal_toIvEEsEE10hipError_tPvRmT2_T3_T4_T5_mT6_T7_P12ihipStream_tbENKUlT_T0_E_clISt17integral_constantIbLb1EES11_EEDaSW_SX_EUlSW_E_NS1_11comp_targetILNS1_3genE8ELNS1_11target_archE1030ELNS1_3gpuE2ELNS1_3repE0EEENS1_30default_config_static_selectorELNS0_4arch9wavefront6targetE1EEEvT1_,"axG",@progbits,_ZN7rocprim17ROCPRIM_400000_NS6detail17trampoline_kernelINS0_14default_configENS1_27scan_by_key_config_selectorIisEEZZNS1_16scan_by_key_implILNS1_25lookback_scan_determinismE0ELb0ES3_N6thrust23THRUST_200600_302600_NS6detail15normal_iteratorINS9_10device_ptrIiEEEENSB_INSC_IsEEEESG_sNS9_4plusIvEENS9_8equal_toIvEEsEE10hipError_tPvRmT2_T3_T4_T5_mT6_T7_P12ihipStream_tbENKUlT_T0_E_clISt17integral_constantIbLb1EES11_EEDaSW_SX_EUlSW_E_NS1_11comp_targetILNS1_3genE8ELNS1_11target_archE1030ELNS1_3gpuE2ELNS1_3repE0EEENS1_30default_config_static_selectorELNS0_4arch9wavefront6targetE1EEEvT1_,comdat
.Lfunc_end1370:
	.size	_ZN7rocprim17ROCPRIM_400000_NS6detail17trampoline_kernelINS0_14default_configENS1_27scan_by_key_config_selectorIisEEZZNS1_16scan_by_key_implILNS1_25lookback_scan_determinismE0ELb0ES3_N6thrust23THRUST_200600_302600_NS6detail15normal_iteratorINS9_10device_ptrIiEEEENSB_INSC_IsEEEESG_sNS9_4plusIvEENS9_8equal_toIvEEsEE10hipError_tPvRmT2_T3_T4_T5_mT6_T7_P12ihipStream_tbENKUlT_T0_E_clISt17integral_constantIbLb1EES11_EEDaSW_SX_EUlSW_E_NS1_11comp_targetILNS1_3genE8ELNS1_11target_archE1030ELNS1_3gpuE2ELNS1_3repE0EEENS1_30default_config_static_selectorELNS0_4arch9wavefront6targetE1EEEvT1_, .Lfunc_end1370-_ZN7rocprim17ROCPRIM_400000_NS6detail17trampoline_kernelINS0_14default_configENS1_27scan_by_key_config_selectorIisEEZZNS1_16scan_by_key_implILNS1_25lookback_scan_determinismE0ELb0ES3_N6thrust23THRUST_200600_302600_NS6detail15normal_iteratorINS9_10device_ptrIiEEEENSB_INSC_IsEEEESG_sNS9_4plusIvEENS9_8equal_toIvEEsEE10hipError_tPvRmT2_T3_T4_T5_mT6_T7_P12ihipStream_tbENKUlT_T0_E_clISt17integral_constantIbLb1EES11_EEDaSW_SX_EUlSW_E_NS1_11comp_targetILNS1_3genE8ELNS1_11target_archE1030ELNS1_3gpuE2ELNS1_3repE0EEENS1_30default_config_static_selectorELNS0_4arch9wavefront6targetE1EEEvT1_
                                        ; -- End function
	.section	.AMDGPU.csdata,"",@progbits
; Kernel info:
; codeLenInByte = 0
; NumSgprs: 4
; NumVgprs: 0
; NumAgprs: 0
; TotalNumVgprs: 0
; ScratchSize: 0
; MemoryBound: 0
; FloatMode: 240
; IeeeMode: 1
; LDSByteSize: 0 bytes/workgroup (compile time only)
; SGPRBlocks: 0
; VGPRBlocks: 0
; NumSGPRsForWavesPerEU: 4
; NumVGPRsForWavesPerEU: 1
; AccumOffset: 4
; Occupancy: 8
; WaveLimiterHint : 0
; COMPUTE_PGM_RSRC2:SCRATCH_EN: 0
; COMPUTE_PGM_RSRC2:USER_SGPR: 6
; COMPUTE_PGM_RSRC2:TRAP_HANDLER: 0
; COMPUTE_PGM_RSRC2:TGID_X_EN: 1
; COMPUTE_PGM_RSRC2:TGID_Y_EN: 0
; COMPUTE_PGM_RSRC2:TGID_Z_EN: 0
; COMPUTE_PGM_RSRC2:TIDIG_COMP_CNT: 0
; COMPUTE_PGM_RSRC3_GFX90A:ACCUM_OFFSET: 0
; COMPUTE_PGM_RSRC3_GFX90A:TG_SPLIT: 0
	.section	.text._ZN7rocprim17ROCPRIM_400000_NS6detail30init_device_scan_by_key_kernelINS1_19lookback_scan_stateINS0_5tupleIJsbEEELb1ELb1EEEN6thrust23THRUST_200600_302600_NS6detail15normal_iteratorINS8_10device_ptrIiEEEEjNS1_16block_id_wrapperIjLb0EEEEEvT_jjPNSG_10value_typeET0_PNSt15iterator_traitsISJ_E10value_typeEmT1_T2_,"axG",@progbits,_ZN7rocprim17ROCPRIM_400000_NS6detail30init_device_scan_by_key_kernelINS1_19lookback_scan_stateINS0_5tupleIJsbEEELb1ELb1EEEN6thrust23THRUST_200600_302600_NS6detail15normal_iteratorINS8_10device_ptrIiEEEEjNS1_16block_id_wrapperIjLb0EEEEEvT_jjPNSG_10value_typeET0_PNSt15iterator_traitsISJ_E10value_typeEmT1_T2_,comdat
	.protected	_ZN7rocprim17ROCPRIM_400000_NS6detail30init_device_scan_by_key_kernelINS1_19lookback_scan_stateINS0_5tupleIJsbEEELb1ELb1EEEN6thrust23THRUST_200600_302600_NS6detail15normal_iteratorINS8_10device_ptrIiEEEEjNS1_16block_id_wrapperIjLb0EEEEEvT_jjPNSG_10value_typeET0_PNSt15iterator_traitsISJ_E10value_typeEmT1_T2_ ; -- Begin function _ZN7rocprim17ROCPRIM_400000_NS6detail30init_device_scan_by_key_kernelINS1_19lookback_scan_stateINS0_5tupleIJsbEEELb1ELb1EEEN6thrust23THRUST_200600_302600_NS6detail15normal_iteratorINS8_10device_ptrIiEEEEjNS1_16block_id_wrapperIjLb0EEEEEvT_jjPNSG_10value_typeET0_PNSt15iterator_traitsISJ_E10value_typeEmT1_T2_
	.globl	_ZN7rocprim17ROCPRIM_400000_NS6detail30init_device_scan_by_key_kernelINS1_19lookback_scan_stateINS0_5tupleIJsbEEELb1ELb1EEEN6thrust23THRUST_200600_302600_NS6detail15normal_iteratorINS8_10device_ptrIiEEEEjNS1_16block_id_wrapperIjLb0EEEEEvT_jjPNSG_10value_typeET0_PNSt15iterator_traitsISJ_E10value_typeEmT1_T2_
	.p2align	8
	.type	_ZN7rocprim17ROCPRIM_400000_NS6detail30init_device_scan_by_key_kernelINS1_19lookback_scan_stateINS0_5tupleIJsbEEELb1ELb1EEEN6thrust23THRUST_200600_302600_NS6detail15normal_iteratorINS8_10device_ptrIiEEEEjNS1_16block_id_wrapperIjLb0EEEEEvT_jjPNSG_10value_typeET0_PNSt15iterator_traitsISJ_E10value_typeEmT1_T2_,@function
_ZN7rocprim17ROCPRIM_400000_NS6detail30init_device_scan_by_key_kernelINS1_19lookback_scan_stateINS0_5tupleIJsbEEELb1ELb1EEEN6thrust23THRUST_200600_302600_NS6detail15normal_iteratorINS8_10device_ptrIiEEEEjNS1_16block_id_wrapperIjLb0EEEEEvT_jjPNSG_10value_typeET0_PNSt15iterator_traitsISJ_E10value_typeEmT1_T2_: ; @_ZN7rocprim17ROCPRIM_400000_NS6detail30init_device_scan_by_key_kernelINS1_19lookback_scan_stateINS0_5tupleIJsbEEELb1ELb1EEEN6thrust23THRUST_200600_302600_NS6detail15normal_iteratorINS8_10device_ptrIiEEEEjNS1_16block_id_wrapperIjLb0EEEEEvT_jjPNSG_10value_typeET0_PNSt15iterator_traitsISJ_E10value_typeEmT1_T2_
; %bb.0:
	s_load_dword s0, s[4:5], 0x44
	s_load_dwordx8 s[8:15], s[4:5], 0x0
	s_load_dword s7, s[4:5], 0x38
	s_waitcnt lgkmcnt(0)
	s_and_b32 s16, s0, 0xffff
	s_mul_i32 s6, s6, s16
	s_cmp_eq_u64 s[12:13], 0
	v_add_u32_e32 v0, s6, v0
	s_cbranch_scc1 .LBB1371_9
; %bb.1:
	s_cmp_lt_u32 s11, s10
	s_cselect_b32 s0, s11, 0
	s_mov_b32 s3, 0
	v_cmp_eq_u32_e32 vcc, s0, v0
	s_and_saveexec_b64 s[0:1], vcc
	s_cbranch_execz .LBB1371_8
; %bb.2:
	s_add_i32 s2, s11, 64
	s_lshl_b64 s[2:3], s[2:3], 3
	s_add_u32 s2, s8, s2
	s_addc_u32 s3, s9, s3
	v_mov_b32_e32 v2, 0
	global_load_dwordx2 v[4:5], v2, s[2:3] glc
	s_waitcnt vmcnt(0)
	v_and_b32_e32 v3, 0xff, v5
	v_cmp_ne_u64_e32 vcc, 0, v[2:3]
	s_cbranch_vccnz .LBB1371_7
; %bb.3:
	s_mov_b32 s6, 1
.LBB1371_4:                             ; =>This Loop Header: Depth=1
                                        ;     Child Loop BB1371_5 Depth 2
	s_max_u32 s11, s6, 1
.LBB1371_5:                             ;   Parent Loop BB1371_4 Depth=1
                                        ; =>  This Inner Loop Header: Depth=2
	s_add_i32 s11, s11, -1
	s_cmp_eq_u32 s11, 0
	s_sleep 1
	s_cbranch_scc0 .LBB1371_5
; %bb.6:                                ;   in Loop: Header=BB1371_4 Depth=1
	global_load_dwordx2 v[4:5], v2, s[2:3] glc
	s_cmp_lt_u32 s6, 32
	s_cselect_b64 s[18:19], -1, 0
	s_cmp_lg_u64 s[18:19], 0
	s_addc_u32 s6, s6, 0
	s_waitcnt vmcnt(0)
	v_and_b32_e32 v3, 0xff, v5
	v_cmp_ne_u64_e32 vcc, 0, v[2:3]
	s_cbranch_vccz .LBB1371_4
.LBB1371_7:
	v_mov_b32_e32 v1, 0
	global_store_short v1, v4, s[12:13]
	global_store_byte_d16_hi v1, v4, s[12:13] offset:2
.LBB1371_8:
	s_or_b64 exec, exec, s[0:1]
.LBB1371_9:
	v_cmp_gt_u32_e32 vcc, s10, v0
	s_and_saveexec_b64 s[0:1], vcc
	s_cbranch_execz .LBB1371_11
; %bb.10:
	v_add_u32_e32 v2, 64, v0
	v_mov_b32_e32 v3, 0
	v_lshlrev_b64 v[4:5], 3, v[2:3]
	v_mov_b32_e32 v1, s9
	v_add_co_u32_e32 v4, vcc, s8, v4
	v_addc_co_u32_e32 v5, vcc, v1, v5, vcc
	v_mov_b32_e32 v2, v3
	global_store_dwordx2 v[4:5], v[2:3], off
.LBB1371_11:
	s_or_b64 exec, exec, s[0:1]
	v_cmp_gt_u32_e32 vcc, 64, v0
	v_mov_b32_e32 v1, 0
	s_and_saveexec_b64 s[0:1], vcc
	s_cbranch_execz .LBB1371_13
; %bb.12:
	v_lshlrev_b64 v[2:3], 3, v[0:1]
	v_mov_b32_e32 v4, s9
	v_add_co_u32_e32 v2, vcc, s8, v2
	v_addc_co_u32_e32 v3, vcc, v4, v3, vcc
	v_mov_b32_e32 v5, 0xff
	v_mov_b32_e32 v4, v1
	global_store_dwordx2 v[2:3], v[4:5], off
.LBB1371_13:
	s_or_b64 exec, exec, s[0:1]
	s_load_dwordx2 s[0:1], s[4:5], 0x28
	s_waitcnt lgkmcnt(0)
	v_cmp_gt_u64_e32 vcc, s[0:1], v[0:1]
	s_and_saveexec_b64 s[2:3], vcc
	s_cbranch_execz .LBB1371_16
; %bb.14:
	s_load_dword s10, s[4:5], 0x30
	s_load_dwordx2 s[8:9], s[4:5], 0x20
	s_mov_b32 s5, 0
	s_mov_b32 s3, s5
	s_mul_i32 s2, s7, s16
	s_waitcnt lgkmcnt(0)
	s_add_i32 s4, s10, -1
	s_lshl_b64 s[4:5], s[4:5], 2
	v_mad_u64_u32 v[2:3], s[6:7], s10, v0, 0
	s_add_u32 s4, s14, s4
	v_lshlrev_b64 v[2:3], 2, v[2:3]
	s_addc_u32 s5, s15, s5
	v_mov_b32_e32 v4, s5
	v_add_co_u32_e32 v2, vcc, s4, v2
	v_addc_co_u32_e32 v3, vcc, v4, v3, vcc
	s_mul_hi_u32 s5, s10, s2
	s_mul_i32 s4, s10, s2
	v_lshlrev_b64 v[4:5], 2, v[0:1]
	s_lshl_b64 s[4:5], s[4:5], 2
	v_mov_b32_e32 v6, s9
	v_add_co_u32_e32 v4, vcc, s8, v4
	s_lshl_b64 s[6:7], s[2:3], 2
	v_addc_co_u32_e32 v5, vcc, v6, v5, vcc
	s_mov_b64 s[8:9], 0
	v_mov_b32_e32 v6, s3
	v_mov_b32_e32 v7, s5
	;; [unrolled: 1-line block ×3, first 2 shown]
.LBB1371_15:                            ; =>This Inner Loop Header: Depth=1
	global_load_dword v9, v[2:3], off
	v_add_co_u32_e32 v0, vcc, s2, v0
	v_addc_co_u32_e32 v1, vcc, v1, v6, vcc
	v_add_co_u32_e32 v2, vcc, s4, v2
	v_addc_co_u32_e32 v3, vcc, v3, v7, vcc
	v_cmp_le_u64_e32 vcc, s[0:1], v[0:1]
	s_or_b64 s[8:9], vcc, s[8:9]
	s_waitcnt vmcnt(0)
	global_store_dword v[4:5], v9, off
	v_add_co_u32_e32 v4, vcc, s6, v4
	v_addc_co_u32_e32 v5, vcc, v5, v8, vcc
	s_andn2_b64 exec, exec, s[8:9]
	s_cbranch_execnz .LBB1371_15
.LBB1371_16:
	s_endpgm
	.section	.rodata,"a",@progbits
	.p2align	6, 0x0
	.amdhsa_kernel _ZN7rocprim17ROCPRIM_400000_NS6detail30init_device_scan_by_key_kernelINS1_19lookback_scan_stateINS0_5tupleIJsbEEELb1ELb1EEEN6thrust23THRUST_200600_302600_NS6detail15normal_iteratorINS8_10device_ptrIiEEEEjNS1_16block_id_wrapperIjLb0EEEEEvT_jjPNSG_10value_typeET0_PNSt15iterator_traitsISJ_E10value_typeEmT1_T2_
		.amdhsa_group_segment_fixed_size 0
		.amdhsa_private_segment_fixed_size 0
		.amdhsa_kernarg_size 312
		.amdhsa_user_sgpr_count 6
		.amdhsa_user_sgpr_private_segment_buffer 1
		.amdhsa_user_sgpr_dispatch_ptr 0
		.amdhsa_user_sgpr_queue_ptr 0
		.amdhsa_user_sgpr_kernarg_segment_ptr 1
		.amdhsa_user_sgpr_dispatch_id 0
		.amdhsa_user_sgpr_flat_scratch_init 0
		.amdhsa_user_sgpr_kernarg_preload_length 0
		.amdhsa_user_sgpr_kernarg_preload_offset 0
		.amdhsa_user_sgpr_private_segment_size 0
		.amdhsa_uses_dynamic_stack 0
		.amdhsa_system_sgpr_private_segment_wavefront_offset 0
		.amdhsa_system_sgpr_workgroup_id_x 1
		.amdhsa_system_sgpr_workgroup_id_y 0
		.amdhsa_system_sgpr_workgroup_id_z 0
		.amdhsa_system_sgpr_workgroup_info 0
		.amdhsa_system_vgpr_workitem_id 0
		.amdhsa_next_free_vgpr 10
		.amdhsa_next_free_sgpr 20
		.amdhsa_accum_offset 12
		.amdhsa_reserve_vcc 1
		.amdhsa_reserve_flat_scratch 0
		.amdhsa_float_round_mode_32 0
		.amdhsa_float_round_mode_16_64 0
		.amdhsa_float_denorm_mode_32 3
		.amdhsa_float_denorm_mode_16_64 3
		.amdhsa_dx10_clamp 1
		.amdhsa_ieee_mode 1
		.amdhsa_fp16_overflow 0
		.amdhsa_tg_split 0
		.amdhsa_exception_fp_ieee_invalid_op 0
		.amdhsa_exception_fp_denorm_src 0
		.amdhsa_exception_fp_ieee_div_zero 0
		.amdhsa_exception_fp_ieee_overflow 0
		.amdhsa_exception_fp_ieee_underflow 0
		.amdhsa_exception_fp_ieee_inexact 0
		.amdhsa_exception_int_div_zero 0
	.end_amdhsa_kernel
	.section	.text._ZN7rocprim17ROCPRIM_400000_NS6detail30init_device_scan_by_key_kernelINS1_19lookback_scan_stateINS0_5tupleIJsbEEELb1ELb1EEEN6thrust23THRUST_200600_302600_NS6detail15normal_iteratorINS8_10device_ptrIiEEEEjNS1_16block_id_wrapperIjLb0EEEEEvT_jjPNSG_10value_typeET0_PNSt15iterator_traitsISJ_E10value_typeEmT1_T2_,"axG",@progbits,_ZN7rocprim17ROCPRIM_400000_NS6detail30init_device_scan_by_key_kernelINS1_19lookback_scan_stateINS0_5tupleIJsbEEELb1ELb1EEEN6thrust23THRUST_200600_302600_NS6detail15normal_iteratorINS8_10device_ptrIiEEEEjNS1_16block_id_wrapperIjLb0EEEEEvT_jjPNSG_10value_typeET0_PNSt15iterator_traitsISJ_E10value_typeEmT1_T2_,comdat
.Lfunc_end1371:
	.size	_ZN7rocprim17ROCPRIM_400000_NS6detail30init_device_scan_by_key_kernelINS1_19lookback_scan_stateINS0_5tupleIJsbEEELb1ELb1EEEN6thrust23THRUST_200600_302600_NS6detail15normal_iteratorINS8_10device_ptrIiEEEEjNS1_16block_id_wrapperIjLb0EEEEEvT_jjPNSG_10value_typeET0_PNSt15iterator_traitsISJ_E10value_typeEmT1_T2_, .Lfunc_end1371-_ZN7rocprim17ROCPRIM_400000_NS6detail30init_device_scan_by_key_kernelINS1_19lookback_scan_stateINS0_5tupleIJsbEEELb1ELb1EEEN6thrust23THRUST_200600_302600_NS6detail15normal_iteratorINS8_10device_ptrIiEEEEjNS1_16block_id_wrapperIjLb0EEEEEvT_jjPNSG_10value_typeET0_PNSt15iterator_traitsISJ_E10value_typeEmT1_T2_
                                        ; -- End function
	.section	.AMDGPU.csdata,"",@progbits
; Kernel info:
; codeLenInByte = 548
; NumSgprs: 24
; NumVgprs: 10
; NumAgprs: 0
; TotalNumVgprs: 10
; ScratchSize: 0
; MemoryBound: 0
; FloatMode: 240
; IeeeMode: 1
; LDSByteSize: 0 bytes/workgroup (compile time only)
; SGPRBlocks: 2
; VGPRBlocks: 1
; NumSGPRsForWavesPerEU: 24
; NumVGPRsForWavesPerEU: 10
; AccumOffset: 12
; Occupancy: 8
; WaveLimiterHint : 0
; COMPUTE_PGM_RSRC2:SCRATCH_EN: 0
; COMPUTE_PGM_RSRC2:USER_SGPR: 6
; COMPUTE_PGM_RSRC2:TRAP_HANDLER: 0
; COMPUTE_PGM_RSRC2:TGID_X_EN: 1
; COMPUTE_PGM_RSRC2:TGID_Y_EN: 0
; COMPUTE_PGM_RSRC2:TGID_Z_EN: 0
; COMPUTE_PGM_RSRC2:TIDIG_COMP_CNT: 0
; COMPUTE_PGM_RSRC3_GFX90A:ACCUM_OFFSET: 2
; COMPUTE_PGM_RSRC3_GFX90A:TG_SPLIT: 0
	.section	.text._ZN7rocprim17ROCPRIM_400000_NS6detail17trampoline_kernelINS0_14default_configENS1_27scan_by_key_config_selectorIisEEZZNS1_16scan_by_key_implILNS1_25lookback_scan_determinismE0ELb0ES3_N6thrust23THRUST_200600_302600_NS6detail15normal_iteratorINS9_10device_ptrIiEEEENSB_INSC_IsEEEESG_sNS9_4plusIvEENS9_8equal_toIvEEsEE10hipError_tPvRmT2_T3_T4_T5_mT6_T7_P12ihipStream_tbENKUlT_T0_E_clISt17integral_constantIbLb1EES10_IbLb0EEEEDaSW_SX_EUlSW_E_NS1_11comp_targetILNS1_3genE0ELNS1_11target_archE4294967295ELNS1_3gpuE0ELNS1_3repE0EEENS1_30default_config_static_selectorELNS0_4arch9wavefront6targetE1EEEvT1_,"axG",@progbits,_ZN7rocprim17ROCPRIM_400000_NS6detail17trampoline_kernelINS0_14default_configENS1_27scan_by_key_config_selectorIisEEZZNS1_16scan_by_key_implILNS1_25lookback_scan_determinismE0ELb0ES3_N6thrust23THRUST_200600_302600_NS6detail15normal_iteratorINS9_10device_ptrIiEEEENSB_INSC_IsEEEESG_sNS9_4plusIvEENS9_8equal_toIvEEsEE10hipError_tPvRmT2_T3_T4_T5_mT6_T7_P12ihipStream_tbENKUlT_T0_E_clISt17integral_constantIbLb1EES10_IbLb0EEEEDaSW_SX_EUlSW_E_NS1_11comp_targetILNS1_3genE0ELNS1_11target_archE4294967295ELNS1_3gpuE0ELNS1_3repE0EEENS1_30default_config_static_selectorELNS0_4arch9wavefront6targetE1EEEvT1_,comdat
	.protected	_ZN7rocprim17ROCPRIM_400000_NS6detail17trampoline_kernelINS0_14default_configENS1_27scan_by_key_config_selectorIisEEZZNS1_16scan_by_key_implILNS1_25lookback_scan_determinismE0ELb0ES3_N6thrust23THRUST_200600_302600_NS6detail15normal_iteratorINS9_10device_ptrIiEEEENSB_INSC_IsEEEESG_sNS9_4plusIvEENS9_8equal_toIvEEsEE10hipError_tPvRmT2_T3_T4_T5_mT6_T7_P12ihipStream_tbENKUlT_T0_E_clISt17integral_constantIbLb1EES10_IbLb0EEEEDaSW_SX_EUlSW_E_NS1_11comp_targetILNS1_3genE0ELNS1_11target_archE4294967295ELNS1_3gpuE0ELNS1_3repE0EEENS1_30default_config_static_selectorELNS0_4arch9wavefront6targetE1EEEvT1_ ; -- Begin function _ZN7rocprim17ROCPRIM_400000_NS6detail17trampoline_kernelINS0_14default_configENS1_27scan_by_key_config_selectorIisEEZZNS1_16scan_by_key_implILNS1_25lookback_scan_determinismE0ELb0ES3_N6thrust23THRUST_200600_302600_NS6detail15normal_iteratorINS9_10device_ptrIiEEEENSB_INSC_IsEEEESG_sNS9_4plusIvEENS9_8equal_toIvEEsEE10hipError_tPvRmT2_T3_T4_T5_mT6_T7_P12ihipStream_tbENKUlT_T0_E_clISt17integral_constantIbLb1EES10_IbLb0EEEEDaSW_SX_EUlSW_E_NS1_11comp_targetILNS1_3genE0ELNS1_11target_archE4294967295ELNS1_3gpuE0ELNS1_3repE0EEENS1_30default_config_static_selectorELNS0_4arch9wavefront6targetE1EEEvT1_
	.globl	_ZN7rocprim17ROCPRIM_400000_NS6detail17trampoline_kernelINS0_14default_configENS1_27scan_by_key_config_selectorIisEEZZNS1_16scan_by_key_implILNS1_25lookback_scan_determinismE0ELb0ES3_N6thrust23THRUST_200600_302600_NS6detail15normal_iteratorINS9_10device_ptrIiEEEENSB_INSC_IsEEEESG_sNS9_4plusIvEENS9_8equal_toIvEEsEE10hipError_tPvRmT2_T3_T4_T5_mT6_T7_P12ihipStream_tbENKUlT_T0_E_clISt17integral_constantIbLb1EES10_IbLb0EEEEDaSW_SX_EUlSW_E_NS1_11comp_targetILNS1_3genE0ELNS1_11target_archE4294967295ELNS1_3gpuE0ELNS1_3repE0EEENS1_30default_config_static_selectorELNS0_4arch9wavefront6targetE1EEEvT1_
	.p2align	8
	.type	_ZN7rocprim17ROCPRIM_400000_NS6detail17trampoline_kernelINS0_14default_configENS1_27scan_by_key_config_selectorIisEEZZNS1_16scan_by_key_implILNS1_25lookback_scan_determinismE0ELb0ES3_N6thrust23THRUST_200600_302600_NS6detail15normal_iteratorINS9_10device_ptrIiEEEENSB_INSC_IsEEEESG_sNS9_4plusIvEENS9_8equal_toIvEEsEE10hipError_tPvRmT2_T3_T4_T5_mT6_T7_P12ihipStream_tbENKUlT_T0_E_clISt17integral_constantIbLb1EES10_IbLb0EEEEDaSW_SX_EUlSW_E_NS1_11comp_targetILNS1_3genE0ELNS1_11target_archE4294967295ELNS1_3gpuE0ELNS1_3repE0EEENS1_30default_config_static_selectorELNS0_4arch9wavefront6targetE1EEEvT1_,@function
_ZN7rocprim17ROCPRIM_400000_NS6detail17trampoline_kernelINS0_14default_configENS1_27scan_by_key_config_selectorIisEEZZNS1_16scan_by_key_implILNS1_25lookback_scan_determinismE0ELb0ES3_N6thrust23THRUST_200600_302600_NS6detail15normal_iteratorINS9_10device_ptrIiEEEENSB_INSC_IsEEEESG_sNS9_4plusIvEENS9_8equal_toIvEEsEE10hipError_tPvRmT2_T3_T4_T5_mT6_T7_P12ihipStream_tbENKUlT_T0_E_clISt17integral_constantIbLb1EES10_IbLb0EEEEDaSW_SX_EUlSW_E_NS1_11comp_targetILNS1_3genE0ELNS1_11target_archE4294967295ELNS1_3gpuE0ELNS1_3repE0EEENS1_30default_config_static_selectorELNS0_4arch9wavefront6targetE1EEEvT1_: ; @_ZN7rocprim17ROCPRIM_400000_NS6detail17trampoline_kernelINS0_14default_configENS1_27scan_by_key_config_selectorIisEEZZNS1_16scan_by_key_implILNS1_25lookback_scan_determinismE0ELb0ES3_N6thrust23THRUST_200600_302600_NS6detail15normal_iteratorINS9_10device_ptrIiEEEENSB_INSC_IsEEEESG_sNS9_4plusIvEENS9_8equal_toIvEEsEE10hipError_tPvRmT2_T3_T4_T5_mT6_T7_P12ihipStream_tbENKUlT_T0_E_clISt17integral_constantIbLb1EES10_IbLb0EEEEDaSW_SX_EUlSW_E_NS1_11comp_targetILNS1_3genE0ELNS1_11target_archE4294967295ELNS1_3gpuE0ELNS1_3repE0EEENS1_30default_config_static_selectorELNS0_4arch9wavefront6targetE1EEEvT1_
; %bb.0:
	.section	.rodata,"a",@progbits
	.p2align	6, 0x0
	.amdhsa_kernel _ZN7rocprim17ROCPRIM_400000_NS6detail17trampoline_kernelINS0_14default_configENS1_27scan_by_key_config_selectorIisEEZZNS1_16scan_by_key_implILNS1_25lookback_scan_determinismE0ELb0ES3_N6thrust23THRUST_200600_302600_NS6detail15normal_iteratorINS9_10device_ptrIiEEEENSB_INSC_IsEEEESG_sNS9_4plusIvEENS9_8equal_toIvEEsEE10hipError_tPvRmT2_T3_T4_T5_mT6_T7_P12ihipStream_tbENKUlT_T0_E_clISt17integral_constantIbLb1EES10_IbLb0EEEEDaSW_SX_EUlSW_E_NS1_11comp_targetILNS1_3genE0ELNS1_11target_archE4294967295ELNS1_3gpuE0ELNS1_3repE0EEENS1_30default_config_static_selectorELNS0_4arch9wavefront6targetE1EEEvT1_
		.amdhsa_group_segment_fixed_size 0
		.amdhsa_private_segment_fixed_size 0
		.amdhsa_kernarg_size 112
		.amdhsa_user_sgpr_count 6
		.amdhsa_user_sgpr_private_segment_buffer 1
		.amdhsa_user_sgpr_dispatch_ptr 0
		.amdhsa_user_sgpr_queue_ptr 0
		.amdhsa_user_sgpr_kernarg_segment_ptr 1
		.amdhsa_user_sgpr_dispatch_id 0
		.amdhsa_user_sgpr_flat_scratch_init 0
		.amdhsa_user_sgpr_kernarg_preload_length 0
		.amdhsa_user_sgpr_kernarg_preload_offset 0
		.amdhsa_user_sgpr_private_segment_size 0
		.amdhsa_uses_dynamic_stack 0
		.amdhsa_system_sgpr_private_segment_wavefront_offset 0
		.amdhsa_system_sgpr_workgroup_id_x 1
		.amdhsa_system_sgpr_workgroup_id_y 0
		.amdhsa_system_sgpr_workgroup_id_z 0
		.amdhsa_system_sgpr_workgroup_info 0
		.amdhsa_system_vgpr_workitem_id 0
		.amdhsa_next_free_vgpr 1
		.amdhsa_next_free_sgpr 0
		.amdhsa_accum_offset 4
		.amdhsa_reserve_vcc 0
		.amdhsa_reserve_flat_scratch 0
		.amdhsa_float_round_mode_32 0
		.amdhsa_float_round_mode_16_64 0
		.amdhsa_float_denorm_mode_32 3
		.amdhsa_float_denorm_mode_16_64 3
		.amdhsa_dx10_clamp 1
		.amdhsa_ieee_mode 1
		.amdhsa_fp16_overflow 0
		.amdhsa_tg_split 0
		.amdhsa_exception_fp_ieee_invalid_op 0
		.amdhsa_exception_fp_denorm_src 0
		.amdhsa_exception_fp_ieee_div_zero 0
		.amdhsa_exception_fp_ieee_overflow 0
		.amdhsa_exception_fp_ieee_underflow 0
		.amdhsa_exception_fp_ieee_inexact 0
		.amdhsa_exception_int_div_zero 0
	.end_amdhsa_kernel
	.section	.text._ZN7rocprim17ROCPRIM_400000_NS6detail17trampoline_kernelINS0_14default_configENS1_27scan_by_key_config_selectorIisEEZZNS1_16scan_by_key_implILNS1_25lookback_scan_determinismE0ELb0ES3_N6thrust23THRUST_200600_302600_NS6detail15normal_iteratorINS9_10device_ptrIiEEEENSB_INSC_IsEEEESG_sNS9_4plusIvEENS9_8equal_toIvEEsEE10hipError_tPvRmT2_T3_T4_T5_mT6_T7_P12ihipStream_tbENKUlT_T0_E_clISt17integral_constantIbLb1EES10_IbLb0EEEEDaSW_SX_EUlSW_E_NS1_11comp_targetILNS1_3genE0ELNS1_11target_archE4294967295ELNS1_3gpuE0ELNS1_3repE0EEENS1_30default_config_static_selectorELNS0_4arch9wavefront6targetE1EEEvT1_,"axG",@progbits,_ZN7rocprim17ROCPRIM_400000_NS6detail17trampoline_kernelINS0_14default_configENS1_27scan_by_key_config_selectorIisEEZZNS1_16scan_by_key_implILNS1_25lookback_scan_determinismE0ELb0ES3_N6thrust23THRUST_200600_302600_NS6detail15normal_iteratorINS9_10device_ptrIiEEEENSB_INSC_IsEEEESG_sNS9_4plusIvEENS9_8equal_toIvEEsEE10hipError_tPvRmT2_T3_T4_T5_mT6_T7_P12ihipStream_tbENKUlT_T0_E_clISt17integral_constantIbLb1EES10_IbLb0EEEEDaSW_SX_EUlSW_E_NS1_11comp_targetILNS1_3genE0ELNS1_11target_archE4294967295ELNS1_3gpuE0ELNS1_3repE0EEENS1_30default_config_static_selectorELNS0_4arch9wavefront6targetE1EEEvT1_,comdat
.Lfunc_end1372:
	.size	_ZN7rocprim17ROCPRIM_400000_NS6detail17trampoline_kernelINS0_14default_configENS1_27scan_by_key_config_selectorIisEEZZNS1_16scan_by_key_implILNS1_25lookback_scan_determinismE0ELb0ES3_N6thrust23THRUST_200600_302600_NS6detail15normal_iteratorINS9_10device_ptrIiEEEENSB_INSC_IsEEEESG_sNS9_4plusIvEENS9_8equal_toIvEEsEE10hipError_tPvRmT2_T3_T4_T5_mT6_T7_P12ihipStream_tbENKUlT_T0_E_clISt17integral_constantIbLb1EES10_IbLb0EEEEDaSW_SX_EUlSW_E_NS1_11comp_targetILNS1_3genE0ELNS1_11target_archE4294967295ELNS1_3gpuE0ELNS1_3repE0EEENS1_30default_config_static_selectorELNS0_4arch9wavefront6targetE1EEEvT1_, .Lfunc_end1372-_ZN7rocprim17ROCPRIM_400000_NS6detail17trampoline_kernelINS0_14default_configENS1_27scan_by_key_config_selectorIisEEZZNS1_16scan_by_key_implILNS1_25lookback_scan_determinismE0ELb0ES3_N6thrust23THRUST_200600_302600_NS6detail15normal_iteratorINS9_10device_ptrIiEEEENSB_INSC_IsEEEESG_sNS9_4plusIvEENS9_8equal_toIvEEsEE10hipError_tPvRmT2_T3_T4_T5_mT6_T7_P12ihipStream_tbENKUlT_T0_E_clISt17integral_constantIbLb1EES10_IbLb0EEEEDaSW_SX_EUlSW_E_NS1_11comp_targetILNS1_3genE0ELNS1_11target_archE4294967295ELNS1_3gpuE0ELNS1_3repE0EEENS1_30default_config_static_selectorELNS0_4arch9wavefront6targetE1EEEvT1_
                                        ; -- End function
	.section	.AMDGPU.csdata,"",@progbits
; Kernel info:
; codeLenInByte = 0
; NumSgprs: 4
; NumVgprs: 0
; NumAgprs: 0
; TotalNumVgprs: 0
; ScratchSize: 0
; MemoryBound: 0
; FloatMode: 240
; IeeeMode: 1
; LDSByteSize: 0 bytes/workgroup (compile time only)
; SGPRBlocks: 0
; VGPRBlocks: 0
; NumSGPRsForWavesPerEU: 4
; NumVGPRsForWavesPerEU: 1
; AccumOffset: 4
; Occupancy: 8
; WaveLimiterHint : 0
; COMPUTE_PGM_RSRC2:SCRATCH_EN: 0
; COMPUTE_PGM_RSRC2:USER_SGPR: 6
; COMPUTE_PGM_RSRC2:TRAP_HANDLER: 0
; COMPUTE_PGM_RSRC2:TGID_X_EN: 1
; COMPUTE_PGM_RSRC2:TGID_Y_EN: 0
; COMPUTE_PGM_RSRC2:TGID_Z_EN: 0
; COMPUTE_PGM_RSRC2:TIDIG_COMP_CNT: 0
; COMPUTE_PGM_RSRC3_GFX90A:ACCUM_OFFSET: 0
; COMPUTE_PGM_RSRC3_GFX90A:TG_SPLIT: 0
	.section	.text._ZN7rocprim17ROCPRIM_400000_NS6detail17trampoline_kernelINS0_14default_configENS1_27scan_by_key_config_selectorIisEEZZNS1_16scan_by_key_implILNS1_25lookback_scan_determinismE0ELb0ES3_N6thrust23THRUST_200600_302600_NS6detail15normal_iteratorINS9_10device_ptrIiEEEENSB_INSC_IsEEEESG_sNS9_4plusIvEENS9_8equal_toIvEEsEE10hipError_tPvRmT2_T3_T4_T5_mT6_T7_P12ihipStream_tbENKUlT_T0_E_clISt17integral_constantIbLb1EES10_IbLb0EEEEDaSW_SX_EUlSW_E_NS1_11comp_targetILNS1_3genE10ELNS1_11target_archE1201ELNS1_3gpuE5ELNS1_3repE0EEENS1_30default_config_static_selectorELNS0_4arch9wavefront6targetE1EEEvT1_,"axG",@progbits,_ZN7rocprim17ROCPRIM_400000_NS6detail17trampoline_kernelINS0_14default_configENS1_27scan_by_key_config_selectorIisEEZZNS1_16scan_by_key_implILNS1_25lookback_scan_determinismE0ELb0ES3_N6thrust23THRUST_200600_302600_NS6detail15normal_iteratorINS9_10device_ptrIiEEEENSB_INSC_IsEEEESG_sNS9_4plusIvEENS9_8equal_toIvEEsEE10hipError_tPvRmT2_T3_T4_T5_mT6_T7_P12ihipStream_tbENKUlT_T0_E_clISt17integral_constantIbLb1EES10_IbLb0EEEEDaSW_SX_EUlSW_E_NS1_11comp_targetILNS1_3genE10ELNS1_11target_archE1201ELNS1_3gpuE5ELNS1_3repE0EEENS1_30default_config_static_selectorELNS0_4arch9wavefront6targetE1EEEvT1_,comdat
	.protected	_ZN7rocprim17ROCPRIM_400000_NS6detail17trampoline_kernelINS0_14default_configENS1_27scan_by_key_config_selectorIisEEZZNS1_16scan_by_key_implILNS1_25lookback_scan_determinismE0ELb0ES3_N6thrust23THRUST_200600_302600_NS6detail15normal_iteratorINS9_10device_ptrIiEEEENSB_INSC_IsEEEESG_sNS9_4plusIvEENS9_8equal_toIvEEsEE10hipError_tPvRmT2_T3_T4_T5_mT6_T7_P12ihipStream_tbENKUlT_T0_E_clISt17integral_constantIbLb1EES10_IbLb0EEEEDaSW_SX_EUlSW_E_NS1_11comp_targetILNS1_3genE10ELNS1_11target_archE1201ELNS1_3gpuE5ELNS1_3repE0EEENS1_30default_config_static_selectorELNS0_4arch9wavefront6targetE1EEEvT1_ ; -- Begin function _ZN7rocprim17ROCPRIM_400000_NS6detail17trampoline_kernelINS0_14default_configENS1_27scan_by_key_config_selectorIisEEZZNS1_16scan_by_key_implILNS1_25lookback_scan_determinismE0ELb0ES3_N6thrust23THRUST_200600_302600_NS6detail15normal_iteratorINS9_10device_ptrIiEEEENSB_INSC_IsEEEESG_sNS9_4plusIvEENS9_8equal_toIvEEsEE10hipError_tPvRmT2_T3_T4_T5_mT6_T7_P12ihipStream_tbENKUlT_T0_E_clISt17integral_constantIbLb1EES10_IbLb0EEEEDaSW_SX_EUlSW_E_NS1_11comp_targetILNS1_3genE10ELNS1_11target_archE1201ELNS1_3gpuE5ELNS1_3repE0EEENS1_30default_config_static_selectorELNS0_4arch9wavefront6targetE1EEEvT1_
	.globl	_ZN7rocprim17ROCPRIM_400000_NS6detail17trampoline_kernelINS0_14default_configENS1_27scan_by_key_config_selectorIisEEZZNS1_16scan_by_key_implILNS1_25lookback_scan_determinismE0ELb0ES3_N6thrust23THRUST_200600_302600_NS6detail15normal_iteratorINS9_10device_ptrIiEEEENSB_INSC_IsEEEESG_sNS9_4plusIvEENS9_8equal_toIvEEsEE10hipError_tPvRmT2_T3_T4_T5_mT6_T7_P12ihipStream_tbENKUlT_T0_E_clISt17integral_constantIbLb1EES10_IbLb0EEEEDaSW_SX_EUlSW_E_NS1_11comp_targetILNS1_3genE10ELNS1_11target_archE1201ELNS1_3gpuE5ELNS1_3repE0EEENS1_30default_config_static_selectorELNS0_4arch9wavefront6targetE1EEEvT1_
	.p2align	8
	.type	_ZN7rocprim17ROCPRIM_400000_NS6detail17trampoline_kernelINS0_14default_configENS1_27scan_by_key_config_selectorIisEEZZNS1_16scan_by_key_implILNS1_25lookback_scan_determinismE0ELb0ES3_N6thrust23THRUST_200600_302600_NS6detail15normal_iteratorINS9_10device_ptrIiEEEENSB_INSC_IsEEEESG_sNS9_4plusIvEENS9_8equal_toIvEEsEE10hipError_tPvRmT2_T3_T4_T5_mT6_T7_P12ihipStream_tbENKUlT_T0_E_clISt17integral_constantIbLb1EES10_IbLb0EEEEDaSW_SX_EUlSW_E_NS1_11comp_targetILNS1_3genE10ELNS1_11target_archE1201ELNS1_3gpuE5ELNS1_3repE0EEENS1_30default_config_static_selectorELNS0_4arch9wavefront6targetE1EEEvT1_,@function
_ZN7rocprim17ROCPRIM_400000_NS6detail17trampoline_kernelINS0_14default_configENS1_27scan_by_key_config_selectorIisEEZZNS1_16scan_by_key_implILNS1_25lookback_scan_determinismE0ELb0ES3_N6thrust23THRUST_200600_302600_NS6detail15normal_iteratorINS9_10device_ptrIiEEEENSB_INSC_IsEEEESG_sNS9_4plusIvEENS9_8equal_toIvEEsEE10hipError_tPvRmT2_T3_T4_T5_mT6_T7_P12ihipStream_tbENKUlT_T0_E_clISt17integral_constantIbLb1EES10_IbLb0EEEEDaSW_SX_EUlSW_E_NS1_11comp_targetILNS1_3genE10ELNS1_11target_archE1201ELNS1_3gpuE5ELNS1_3repE0EEENS1_30default_config_static_selectorELNS0_4arch9wavefront6targetE1EEEvT1_: ; @_ZN7rocprim17ROCPRIM_400000_NS6detail17trampoline_kernelINS0_14default_configENS1_27scan_by_key_config_selectorIisEEZZNS1_16scan_by_key_implILNS1_25lookback_scan_determinismE0ELb0ES3_N6thrust23THRUST_200600_302600_NS6detail15normal_iteratorINS9_10device_ptrIiEEEENSB_INSC_IsEEEESG_sNS9_4plusIvEENS9_8equal_toIvEEsEE10hipError_tPvRmT2_T3_T4_T5_mT6_T7_P12ihipStream_tbENKUlT_T0_E_clISt17integral_constantIbLb1EES10_IbLb0EEEEDaSW_SX_EUlSW_E_NS1_11comp_targetILNS1_3genE10ELNS1_11target_archE1201ELNS1_3gpuE5ELNS1_3repE0EEENS1_30default_config_static_selectorELNS0_4arch9wavefront6targetE1EEEvT1_
; %bb.0:
	.section	.rodata,"a",@progbits
	.p2align	6, 0x0
	.amdhsa_kernel _ZN7rocprim17ROCPRIM_400000_NS6detail17trampoline_kernelINS0_14default_configENS1_27scan_by_key_config_selectorIisEEZZNS1_16scan_by_key_implILNS1_25lookback_scan_determinismE0ELb0ES3_N6thrust23THRUST_200600_302600_NS6detail15normal_iteratorINS9_10device_ptrIiEEEENSB_INSC_IsEEEESG_sNS9_4plusIvEENS9_8equal_toIvEEsEE10hipError_tPvRmT2_T3_T4_T5_mT6_T7_P12ihipStream_tbENKUlT_T0_E_clISt17integral_constantIbLb1EES10_IbLb0EEEEDaSW_SX_EUlSW_E_NS1_11comp_targetILNS1_3genE10ELNS1_11target_archE1201ELNS1_3gpuE5ELNS1_3repE0EEENS1_30default_config_static_selectorELNS0_4arch9wavefront6targetE1EEEvT1_
		.amdhsa_group_segment_fixed_size 0
		.amdhsa_private_segment_fixed_size 0
		.amdhsa_kernarg_size 112
		.amdhsa_user_sgpr_count 6
		.amdhsa_user_sgpr_private_segment_buffer 1
		.amdhsa_user_sgpr_dispatch_ptr 0
		.amdhsa_user_sgpr_queue_ptr 0
		.amdhsa_user_sgpr_kernarg_segment_ptr 1
		.amdhsa_user_sgpr_dispatch_id 0
		.amdhsa_user_sgpr_flat_scratch_init 0
		.amdhsa_user_sgpr_kernarg_preload_length 0
		.amdhsa_user_sgpr_kernarg_preload_offset 0
		.amdhsa_user_sgpr_private_segment_size 0
		.amdhsa_uses_dynamic_stack 0
		.amdhsa_system_sgpr_private_segment_wavefront_offset 0
		.amdhsa_system_sgpr_workgroup_id_x 1
		.amdhsa_system_sgpr_workgroup_id_y 0
		.amdhsa_system_sgpr_workgroup_id_z 0
		.amdhsa_system_sgpr_workgroup_info 0
		.amdhsa_system_vgpr_workitem_id 0
		.amdhsa_next_free_vgpr 1
		.amdhsa_next_free_sgpr 0
		.amdhsa_accum_offset 4
		.amdhsa_reserve_vcc 0
		.amdhsa_reserve_flat_scratch 0
		.amdhsa_float_round_mode_32 0
		.amdhsa_float_round_mode_16_64 0
		.amdhsa_float_denorm_mode_32 3
		.amdhsa_float_denorm_mode_16_64 3
		.amdhsa_dx10_clamp 1
		.amdhsa_ieee_mode 1
		.amdhsa_fp16_overflow 0
		.amdhsa_tg_split 0
		.amdhsa_exception_fp_ieee_invalid_op 0
		.amdhsa_exception_fp_denorm_src 0
		.amdhsa_exception_fp_ieee_div_zero 0
		.amdhsa_exception_fp_ieee_overflow 0
		.amdhsa_exception_fp_ieee_underflow 0
		.amdhsa_exception_fp_ieee_inexact 0
		.amdhsa_exception_int_div_zero 0
	.end_amdhsa_kernel
	.section	.text._ZN7rocprim17ROCPRIM_400000_NS6detail17trampoline_kernelINS0_14default_configENS1_27scan_by_key_config_selectorIisEEZZNS1_16scan_by_key_implILNS1_25lookback_scan_determinismE0ELb0ES3_N6thrust23THRUST_200600_302600_NS6detail15normal_iteratorINS9_10device_ptrIiEEEENSB_INSC_IsEEEESG_sNS9_4plusIvEENS9_8equal_toIvEEsEE10hipError_tPvRmT2_T3_T4_T5_mT6_T7_P12ihipStream_tbENKUlT_T0_E_clISt17integral_constantIbLb1EES10_IbLb0EEEEDaSW_SX_EUlSW_E_NS1_11comp_targetILNS1_3genE10ELNS1_11target_archE1201ELNS1_3gpuE5ELNS1_3repE0EEENS1_30default_config_static_selectorELNS0_4arch9wavefront6targetE1EEEvT1_,"axG",@progbits,_ZN7rocprim17ROCPRIM_400000_NS6detail17trampoline_kernelINS0_14default_configENS1_27scan_by_key_config_selectorIisEEZZNS1_16scan_by_key_implILNS1_25lookback_scan_determinismE0ELb0ES3_N6thrust23THRUST_200600_302600_NS6detail15normal_iteratorINS9_10device_ptrIiEEEENSB_INSC_IsEEEESG_sNS9_4plusIvEENS9_8equal_toIvEEsEE10hipError_tPvRmT2_T3_T4_T5_mT6_T7_P12ihipStream_tbENKUlT_T0_E_clISt17integral_constantIbLb1EES10_IbLb0EEEEDaSW_SX_EUlSW_E_NS1_11comp_targetILNS1_3genE10ELNS1_11target_archE1201ELNS1_3gpuE5ELNS1_3repE0EEENS1_30default_config_static_selectorELNS0_4arch9wavefront6targetE1EEEvT1_,comdat
.Lfunc_end1373:
	.size	_ZN7rocprim17ROCPRIM_400000_NS6detail17trampoline_kernelINS0_14default_configENS1_27scan_by_key_config_selectorIisEEZZNS1_16scan_by_key_implILNS1_25lookback_scan_determinismE0ELb0ES3_N6thrust23THRUST_200600_302600_NS6detail15normal_iteratorINS9_10device_ptrIiEEEENSB_INSC_IsEEEESG_sNS9_4plusIvEENS9_8equal_toIvEEsEE10hipError_tPvRmT2_T3_T4_T5_mT6_T7_P12ihipStream_tbENKUlT_T0_E_clISt17integral_constantIbLb1EES10_IbLb0EEEEDaSW_SX_EUlSW_E_NS1_11comp_targetILNS1_3genE10ELNS1_11target_archE1201ELNS1_3gpuE5ELNS1_3repE0EEENS1_30default_config_static_selectorELNS0_4arch9wavefront6targetE1EEEvT1_, .Lfunc_end1373-_ZN7rocprim17ROCPRIM_400000_NS6detail17trampoline_kernelINS0_14default_configENS1_27scan_by_key_config_selectorIisEEZZNS1_16scan_by_key_implILNS1_25lookback_scan_determinismE0ELb0ES3_N6thrust23THRUST_200600_302600_NS6detail15normal_iteratorINS9_10device_ptrIiEEEENSB_INSC_IsEEEESG_sNS9_4plusIvEENS9_8equal_toIvEEsEE10hipError_tPvRmT2_T3_T4_T5_mT6_T7_P12ihipStream_tbENKUlT_T0_E_clISt17integral_constantIbLb1EES10_IbLb0EEEEDaSW_SX_EUlSW_E_NS1_11comp_targetILNS1_3genE10ELNS1_11target_archE1201ELNS1_3gpuE5ELNS1_3repE0EEENS1_30default_config_static_selectorELNS0_4arch9wavefront6targetE1EEEvT1_
                                        ; -- End function
	.section	.AMDGPU.csdata,"",@progbits
; Kernel info:
; codeLenInByte = 0
; NumSgprs: 4
; NumVgprs: 0
; NumAgprs: 0
; TotalNumVgprs: 0
; ScratchSize: 0
; MemoryBound: 0
; FloatMode: 240
; IeeeMode: 1
; LDSByteSize: 0 bytes/workgroup (compile time only)
; SGPRBlocks: 0
; VGPRBlocks: 0
; NumSGPRsForWavesPerEU: 4
; NumVGPRsForWavesPerEU: 1
; AccumOffset: 4
; Occupancy: 8
; WaveLimiterHint : 0
; COMPUTE_PGM_RSRC2:SCRATCH_EN: 0
; COMPUTE_PGM_RSRC2:USER_SGPR: 6
; COMPUTE_PGM_RSRC2:TRAP_HANDLER: 0
; COMPUTE_PGM_RSRC2:TGID_X_EN: 1
; COMPUTE_PGM_RSRC2:TGID_Y_EN: 0
; COMPUTE_PGM_RSRC2:TGID_Z_EN: 0
; COMPUTE_PGM_RSRC2:TIDIG_COMP_CNT: 0
; COMPUTE_PGM_RSRC3_GFX90A:ACCUM_OFFSET: 0
; COMPUTE_PGM_RSRC3_GFX90A:TG_SPLIT: 0
	.section	.text._ZN7rocprim17ROCPRIM_400000_NS6detail17trampoline_kernelINS0_14default_configENS1_27scan_by_key_config_selectorIisEEZZNS1_16scan_by_key_implILNS1_25lookback_scan_determinismE0ELb0ES3_N6thrust23THRUST_200600_302600_NS6detail15normal_iteratorINS9_10device_ptrIiEEEENSB_INSC_IsEEEESG_sNS9_4plusIvEENS9_8equal_toIvEEsEE10hipError_tPvRmT2_T3_T4_T5_mT6_T7_P12ihipStream_tbENKUlT_T0_E_clISt17integral_constantIbLb1EES10_IbLb0EEEEDaSW_SX_EUlSW_E_NS1_11comp_targetILNS1_3genE5ELNS1_11target_archE942ELNS1_3gpuE9ELNS1_3repE0EEENS1_30default_config_static_selectorELNS0_4arch9wavefront6targetE1EEEvT1_,"axG",@progbits,_ZN7rocprim17ROCPRIM_400000_NS6detail17trampoline_kernelINS0_14default_configENS1_27scan_by_key_config_selectorIisEEZZNS1_16scan_by_key_implILNS1_25lookback_scan_determinismE0ELb0ES3_N6thrust23THRUST_200600_302600_NS6detail15normal_iteratorINS9_10device_ptrIiEEEENSB_INSC_IsEEEESG_sNS9_4plusIvEENS9_8equal_toIvEEsEE10hipError_tPvRmT2_T3_T4_T5_mT6_T7_P12ihipStream_tbENKUlT_T0_E_clISt17integral_constantIbLb1EES10_IbLb0EEEEDaSW_SX_EUlSW_E_NS1_11comp_targetILNS1_3genE5ELNS1_11target_archE942ELNS1_3gpuE9ELNS1_3repE0EEENS1_30default_config_static_selectorELNS0_4arch9wavefront6targetE1EEEvT1_,comdat
	.protected	_ZN7rocprim17ROCPRIM_400000_NS6detail17trampoline_kernelINS0_14default_configENS1_27scan_by_key_config_selectorIisEEZZNS1_16scan_by_key_implILNS1_25lookback_scan_determinismE0ELb0ES3_N6thrust23THRUST_200600_302600_NS6detail15normal_iteratorINS9_10device_ptrIiEEEENSB_INSC_IsEEEESG_sNS9_4plusIvEENS9_8equal_toIvEEsEE10hipError_tPvRmT2_T3_T4_T5_mT6_T7_P12ihipStream_tbENKUlT_T0_E_clISt17integral_constantIbLb1EES10_IbLb0EEEEDaSW_SX_EUlSW_E_NS1_11comp_targetILNS1_3genE5ELNS1_11target_archE942ELNS1_3gpuE9ELNS1_3repE0EEENS1_30default_config_static_selectorELNS0_4arch9wavefront6targetE1EEEvT1_ ; -- Begin function _ZN7rocprim17ROCPRIM_400000_NS6detail17trampoline_kernelINS0_14default_configENS1_27scan_by_key_config_selectorIisEEZZNS1_16scan_by_key_implILNS1_25lookback_scan_determinismE0ELb0ES3_N6thrust23THRUST_200600_302600_NS6detail15normal_iteratorINS9_10device_ptrIiEEEENSB_INSC_IsEEEESG_sNS9_4plusIvEENS9_8equal_toIvEEsEE10hipError_tPvRmT2_T3_T4_T5_mT6_T7_P12ihipStream_tbENKUlT_T0_E_clISt17integral_constantIbLb1EES10_IbLb0EEEEDaSW_SX_EUlSW_E_NS1_11comp_targetILNS1_3genE5ELNS1_11target_archE942ELNS1_3gpuE9ELNS1_3repE0EEENS1_30default_config_static_selectorELNS0_4arch9wavefront6targetE1EEEvT1_
	.globl	_ZN7rocprim17ROCPRIM_400000_NS6detail17trampoline_kernelINS0_14default_configENS1_27scan_by_key_config_selectorIisEEZZNS1_16scan_by_key_implILNS1_25lookback_scan_determinismE0ELb0ES3_N6thrust23THRUST_200600_302600_NS6detail15normal_iteratorINS9_10device_ptrIiEEEENSB_INSC_IsEEEESG_sNS9_4plusIvEENS9_8equal_toIvEEsEE10hipError_tPvRmT2_T3_T4_T5_mT6_T7_P12ihipStream_tbENKUlT_T0_E_clISt17integral_constantIbLb1EES10_IbLb0EEEEDaSW_SX_EUlSW_E_NS1_11comp_targetILNS1_3genE5ELNS1_11target_archE942ELNS1_3gpuE9ELNS1_3repE0EEENS1_30default_config_static_selectorELNS0_4arch9wavefront6targetE1EEEvT1_
	.p2align	8
	.type	_ZN7rocprim17ROCPRIM_400000_NS6detail17trampoline_kernelINS0_14default_configENS1_27scan_by_key_config_selectorIisEEZZNS1_16scan_by_key_implILNS1_25lookback_scan_determinismE0ELb0ES3_N6thrust23THRUST_200600_302600_NS6detail15normal_iteratorINS9_10device_ptrIiEEEENSB_INSC_IsEEEESG_sNS9_4plusIvEENS9_8equal_toIvEEsEE10hipError_tPvRmT2_T3_T4_T5_mT6_T7_P12ihipStream_tbENKUlT_T0_E_clISt17integral_constantIbLb1EES10_IbLb0EEEEDaSW_SX_EUlSW_E_NS1_11comp_targetILNS1_3genE5ELNS1_11target_archE942ELNS1_3gpuE9ELNS1_3repE0EEENS1_30default_config_static_selectorELNS0_4arch9wavefront6targetE1EEEvT1_,@function
_ZN7rocprim17ROCPRIM_400000_NS6detail17trampoline_kernelINS0_14default_configENS1_27scan_by_key_config_selectorIisEEZZNS1_16scan_by_key_implILNS1_25lookback_scan_determinismE0ELb0ES3_N6thrust23THRUST_200600_302600_NS6detail15normal_iteratorINS9_10device_ptrIiEEEENSB_INSC_IsEEEESG_sNS9_4plusIvEENS9_8equal_toIvEEsEE10hipError_tPvRmT2_T3_T4_T5_mT6_T7_P12ihipStream_tbENKUlT_T0_E_clISt17integral_constantIbLb1EES10_IbLb0EEEEDaSW_SX_EUlSW_E_NS1_11comp_targetILNS1_3genE5ELNS1_11target_archE942ELNS1_3gpuE9ELNS1_3repE0EEENS1_30default_config_static_selectorELNS0_4arch9wavefront6targetE1EEEvT1_: ; @_ZN7rocprim17ROCPRIM_400000_NS6detail17trampoline_kernelINS0_14default_configENS1_27scan_by_key_config_selectorIisEEZZNS1_16scan_by_key_implILNS1_25lookback_scan_determinismE0ELb0ES3_N6thrust23THRUST_200600_302600_NS6detail15normal_iteratorINS9_10device_ptrIiEEEENSB_INSC_IsEEEESG_sNS9_4plusIvEENS9_8equal_toIvEEsEE10hipError_tPvRmT2_T3_T4_T5_mT6_T7_P12ihipStream_tbENKUlT_T0_E_clISt17integral_constantIbLb1EES10_IbLb0EEEEDaSW_SX_EUlSW_E_NS1_11comp_targetILNS1_3genE5ELNS1_11target_archE942ELNS1_3gpuE9ELNS1_3repE0EEENS1_30default_config_static_selectorELNS0_4arch9wavefront6targetE1EEEvT1_
; %bb.0:
	.section	.rodata,"a",@progbits
	.p2align	6, 0x0
	.amdhsa_kernel _ZN7rocprim17ROCPRIM_400000_NS6detail17trampoline_kernelINS0_14default_configENS1_27scan_by_key_config_selectorIisEEZZNS1_16scan_by_key_implILNS1_25lookback_scan_determinismE0ELb0ES3_N6thrust23THRUST_200600_302600_NS6detail15normal_iteratorINS9_10device_ptrIiEEEENSB_INSC_IsEEEESG_sNS9_4plusIvEENS9_8equal_toIvEEsEE10hipError_tPvRmT2_T3_T4_T5_mT6_T7_P12ihipStream_tbENKUlT_T0_E_clISt17integral_constantIbLb1EES10_IbLb0EEEEDaSW_SX_EUlSW_E_NS1_11comp_targetILNS1_3genE5ELNS1_11target_archE942ELNS1_3gpuE9ELNS1_3repE0EEENS1_30default_config_static_selectorELNS0_4arch9wavefront6targetE1EEEvT1_
		.amdhsa_group_segment_fixed_size 0
		.amdhsa_private_segment_fixed_size 0
		.amdhsa_kernarg_size 112
		.amdhsa_user_sgpr_count 6
		.amdhsa_user_sgpr_private_segment_buffer 1
		.amdhsa_user_sgpr_dispatch_ptr 0
		.amdhsa_user_sgpr_queue_ptr 0
		.amdhsa_user_sgpr_kernarg_segment_ptr 1
		.amdhsa_user_sgpr_dispatch_id 0
		.amdhsa_user_sgpr_flat_scratch_init 0
		.amdhsa_user_sgpr_kernarg_preload_length 0
		.amdhsa_user_sgpr_kernarg_preload_offset 0
		.amdhsa_user_sgpr_private_segment_size 0
		.amdhsa_uses_dynamic_stack 0
		.amdhsa_system_sgpr_private_segment_wavefront_offset 0
		.amdhsa_system_sgpr_workgroup_id_x 1
		.amdhsa_system_sgpr_workgroup_id_y 0
		.amdhsa_system_sgpr_workgroup_id_z 0
		.amdhsa_system_sgpr_workgroup_info 0
		.amdhsa_system_vgpr_workitem_id 0
		.amdhsa_next_free_vgpr 1
		.amdhsa_next_free_sgpr 0
		.amdhsa_accum_offset 4
		.amdhsa_reserve_vcc 0
		.amdhsa_reserve_flat_scratch 0
		.amdhsa_float_round_mode_32 0
		.amdhsa_float_round_mode_16_64 0
		.amdhsa_float_denorm_mode_32 3
		.amdhsa_float_denorm_mode_16_64 3
		.amdhsa_dx10_clamp 1
		.amdhsa_ieee_mode 1
		.amdhsa_fp16_overflow 0
		.amdhsa_tg_split 0
		.amdhsa_exception_fp_ieee_invalid_op 0
		.amdhsa_exception_fp_denorm_src 0
		.amdhsa_exception_fp_ieee_div_zero 0
		.amdhsa_exception_fp_ieee_overflow 0
		.amdhsa_exception_fp_ieee_underflow 0
		.amdhsa_exception_fp_ieee_inexact 0
		.amdhsa_exception_int_div_zero 0
	.end_amdhsa_kernel
	.section	.text._ZN7rocprim17ROCPRIM_400000_NS6detail17trampoline_kernelINS0_14default_configENS1_27scan_by_key_config_selectorIisEEZZNS1_16scan_by_key_implILNS1_25lookback_scan_determinismE0ELb0ES3_N6thrust23THRUST_200600_302600_NS6detail15normal_iteratorINS9_10device_ptrIiEEEENSB_INSC_IsEEEESG_sNS9_4plusIvEENS9_8equal_toIvEEsEE10hipError_tPvRmT2_T3_T4_T5_mT6_T7_P12ihipStream_tbENKUlT_T0_E_clISt17integral_constantIbLb1EES10_IbLb0EEEEDaSW_SX_EUlSW_E_NS1_11comp_targetILNS1_3genE5ELNS1_11target_archE942ELNS1_3gpuE9ELNS1_3repE0EEENS1_30default_config_static_selectorELNS0_4arch9wavefront6targetE1EEEvT1_,"axG",@progbits,_ZN7rocprim17ROCPRIM_400000_NS6detail17trampoline_kernelINS0_14default_configENS1_27scan_by_key_config_selectorIisEEZZNS1_16scan_by_key_implILNS1_25lookback_scan_determinismE0ELb0ES3_N6thrust23THRUST_200600_302600_NS6detail15normal_iteratorINS9_10device_ptrIiEEEENSB_INSC_IsEEEESG_sNS9_4plusIvEENS9_8equal_toIvEEsEE10hipError_tPvRmT2_T3_T4_T5_mT6_T7_P12ihipStream_tbENKUlT_T0_E_clISt17integral_constantIbLb1EES10_IbLb0EEEEDaSW_SX_EUlSW_E_NS1_11comp_targetILNS1_3genE5ELNS1_11target_archE942ELNS1_3gpuE9ELNS1_3repE0EEENS1_30default_config_static_selectorELNS0_4arch9wavefront6targetE1EEEvT1_,comdat
.Lfunc_end1374:
	.size	_ZN7rocprim17ROCPRIM_400000_NS6detail17trampoline_kernelINS0_14default_configENS1_27scan_by_key_config_selectorIisEEZZNS1_16scan_by_key_implILNS1_25lookback_scan_determinismE0ELb0ES3_N6thrust23THRUST_200600_302600_NS6detail15normal_iteratorINS9_10device_ptrIiEEEENSB_INSC_IsEEEESG_sNS9_4plusIvEENS9_8equal_toIvEEsEE10hipError_tPvRmT2_T3_T4_T5_mT6_T7_P12ihipStream_tbENKUlT_T0_E_clISt17integral_constantIbLb1EES10_IbLb0EEEEDaSW_SX_EUlSW_E_NS1_11comp_targetILNS1_3genE5ELNS1_11target_archE942ELNS1_3gpuE9ELNS1_3repE0EEENS1_30default_config_static_selectorELNS0_4arch9wavefront6targetE1EEEvT1_, .Lfunc_end1374-_ZN7rocprim17ROCPRIM_400000_NS6detail17trampoline_kernelINS0_14default_configENS1_27scan_by_key_config_selectorIisEEZZNS1_16scan_by_key_implILNS1_25lookback_scan_determinismE0ELb0ES3_N6thrust23THRUST_200600_302600_NS6detail15normal_iteratorINS9_10device_ptrIiEEEENSB_INSC_IsEEEESG_sNS9_4plusIvEENS9_8equal_toIvEEsEE10hipError_tPvRmT2_T3_T4_T5_mT6_T7_P12ihipStream_tbENKUlT_T0_E_clISt17integral_constantIbLb1EES10_IbLb0EEEEDaSW_SX_EUlSW_E_NS1_11comp_targetILNS1_3genE5ELNS1_11target_archE942ELNS1_3gpuE9ELNS1_3repE0EEENS1_30default_config_static_selectorELNS0_4arch9wavefront6targetE1EEEvT1_
                                        ; -- End function
	.section	.AMDGPU.csdata,"",@progbits
; Kernel info:
; codeLenInByte = 0
; NumSgprs: 4
; NumVgprs: 0
; NumAgprs: 0
; TotalNumVgprs: 0
; ScratchSize: 0
; MemoryBound: 0
; FloatMode: 240
; IeeeMode: 1
; LDSByteSize: 0 bytes/workgroup (compile time only)
; SGPRBlocks: 0
; VGPRBlocks: 0
; NumSGPRsForWavesPerEU: 4
; NumVGPRsForWavesPerEU: 1
; AccumOffset: 4
; Occupancy: 8
; WaveLimiterHint : 0
; COMPUTE_PGM_RSRC2:SCRATCH_EN: 0
; COMPUTE_PGM_RSRC2:USER_SGPR: 6
; COMPUTE_PGM_RSRC2:TRAP_HANDLER: 0
; COMPUTE_PGM_RSRC2:TGID_X_EN: 1
; COMPUTE_PGM_RSRC2:TGID_Y_EN: 0
; COMPUTE_PGM_RSRC2:TGID_Z_EN: 0
; COMPUTE_PGM_RSRC2:TIDIG_COMP_CNT: 0
; COMPUTE_PGM_RSRC3_GFX90A:ACCUM_OFFSET: 0
; COMPUTE_PGM_RSRC3_GFX90A:TG_SPLIT: 0
	.section	.text._ZN7rocprim17ROCPRIM_400000_NS6detail17trampoline_kernelINS0_14default_configENS1_27scan_by_key_config_selectorIisEEZZNS1_16scan_by_key_implILNS1_25lookback_scan_determinismE0ELb0ES3_N6thrust23THRUST_200600_302600_NS6detail15normal_iteratorINS9_10device_ptrIiEEEENSB_INSC_IsEEEESG_sNS9_4plusIvEENS9_8equal_toIvEEsEE10hipError_tPvRmT2_T3_T4_T5_mT6_T7_P12ihipStream_tbENKUlT_T0_E_clISt17integral_constantIbLb1EES10_IbLb0EEEEDaSW_SX_EUlSW_E_NS1_11comp_targetILNS1_3genE4ELNS1_11target_archE910ELNS1_3gpuE8ELNS1_3repE0EEENS1_30default_config_static_selectorELNS0_4arch9wavefront6targetE1EEEvT1_,"axG",@progbits,_ZN7rocprim17ROCPRIM_400000_NS6detail17trampoline_kernelINS0_14default_configENS1_27scan_by_key_config_selectorIisEEZZNS1_16scan_by_key_implILNS1_25lookback_scan_determinismE0ELb0ES3_N6thrust23THRUST_200600_302600_NS6detail15normal_iteratorINS9_10device_ptrIiEEEENSB_INSC_IsEEEESG_sNS9_4plusIvEENS9_8equal_toIvEEsEE10hipError_tPvRmT2_T3_T4_T5_mT6_T7_P12ihipStream_tbENKUlT_T0_E_clISt17integral_constantIbLb1EES10_IbLb0EEEEDaSW_SX_EUlSW_E_NS1_11comp_targetILNS1_3genE4ELNS1_11target_archE910ELNS1_3gpuE8ELNS1_3repE0EEENS1_30default_config_static_selectorELNS0_4arch9wavefront6targetE1EEEvT1_,comdat
	.protected	_ZN7rocprim17ROCPRIM_400000_NS6detail17trampoline_kernelINS0_14default_configENS1_27scan_by_key_config_selectorIisEEZZNS1_16scan_by_key_implILNS1_25lookback_scan_determinismE0ELb0ES3_N6thrust23THRUST_200600_302600_NS6detail15normal_iteratorINS9_10device_ptrIiEEEENSB_INSC_IsEEEESG_sNS9_4plusIvEENS9_8equal_toIvEEsEE10hipError_tPvRmT2_T3_T4_T5_mT6_T7_P12ihipStream_tbENKUlT_T0_E_clISt17integral_constantIbLb1EES10_IbLb0EEEEDaSW_SX_EUlSW_E_NS1_11comp_targetILNS1_3genE4ELNS1_11target_archE910ELNS1_3gpuE8ELNS1_3repE0EEENS1_30default_config_static_selectorELNS0_4arch9wavefront6targetE1EEEvT1_ ; -- Begin function _ZN7rocprim17ROCPRIM_400000_NS6detail17trampoline_kernelINS0_14default_configENS1_27scan_by_key_config_selectorIisEEZZNS1_16scan_by_key_implILNS1_25lookback_scan_determinismE0ELb0ES3_N6thrust23THRUST_200600_302600_NS6detail15normal_iteratorINS9_10device_ptrIiEEEENSB_INSC_IsEEEESG_sNS9_4plusIvEENS9_8equal_toIvEEsEE10hipError_tPvRmT2_T3_T4_T5_mT6_T7_P12ihipStream_tbENKUlT_T0_E_clISt17integral_constantIbLb1EES10_IbLb0EEEEDaSW_SX_EUlSW_E_NS1_11comp_targetILNS1_3genE4ELNS1_11target_archE910ELNS1_3gpuE8ELNS1_3repE0EEENS1_30default_config_static_selectorELNS0_4arch9wavefront6targetE1EEEvT1_
	.globl	_ZN7rocprim17ROCPRIM_400000_NS6detail17trampoline_kernelINS0_14default_configENS1_27scan_by_key_config_selectorIisEEZZNS1_16scan_by_key_implILNS1_25lookback_scan_determinismE0ELb0ES3_N6thrust23THRUST_200600_302600_NS6detail15normal_iteratorINS9_10device_ptrIiEEEENSB_INSC_IsEEEESG_sNS9_4plusIvEENS9_8equal_toIvEEsEE10hipError_tPvRmT2_T3_T4_T5_mT6_T7_P12ihipStream_tbENKUlT_T0_E_clISt17integral_constantIbLb1EES10_IbLb0EEEEDaSW_SX_EUlSW_E_NS1_11comp_targetILNS1_3genE4ELNS1_11target_archE910ELNS1_3gpuE8ELNS1_3repE0EEENS1_30default_config_static_selectorELNS0_4arch9wavefront6targetE1EEEvT1_
	.p2align	8
	.type	_ZN7rocprim17ROCPRIM_400000_NS6detail17trampoline_kernelINS0_14default_configENS1_27scan_by_key_config_selectorIisEEZZNS1_16scan_by_key_implILNS1_25lookback_scan_determinismE0ELb0ES3_N6thrust23THRUST_200600_302600_NS6detail15normal_iteratorINS9_10device_ptrIiEEEENSB_INSC_IsEEEESG_sNS9_4plusIvEENS9_8equal_toIvEEsEE10hipError_tPvRmT2_T3_T4_T5_mT6_T7_P12ihipStream_tbENKUlT_T0_E_clISt17integral_constantIbLb1EES10_IbLb0EEEEDaSW_SX_EUlSW_E_NS1_11comp_targetILNS1_3genE4ELNS1_11target_archE910ELNS1_3gpuE8ELNS1_3repE0EEENS1_30default_config_static_selectorELNS0_4arch9wavefront6targetE1EEEvT1_,@function
_ZN7rocprim17ROCPRIM_400000_NS6detail17trampoline_kernelINS0_14default_configENS1_27scan_by_key_config_selectorIisEEZZNS1_16scan_by_key_implILNS1_25lookback_scan_determinismE0ELb0ES3_N6thrust23THRUST_200600_302600_NS6detail15normal_iteratorINS9_10device_ptrIiEEEENSB_INSC_IsEEEESG_sNS9_4plusIvEENS9_8equal_toIvEEsEE10hipError_tPvRmT2_T3_T4_T5_mT6_T7_P12ihipStream_tbENKUlT_T0_E_clISt17integral_constantIbLb1EES10_IbLb0EEEEDaSW_SX_EUlSW_E_NS1_11comp_targetILNS1_3genE4ELNS1_11target_archE910ELNS1_3gpuE8ELNS1_3repE0EEENS1_30default_config_static_selectorELNS0_4arch9wavefront6targetE1EEEvT1_: ; @_ZN7rocprim17ROCPRIM_400000_NS6detail17trampoline_kernelINS0_14default_configENS1_27scan_by_key_config_selectorIisEEZZNS1_16scan_by_key_implILNS1_25lookback_scan_determinismE0ELb0ES3_N6thrust23THRUST_200600_302600_NS6detail15normal_iteratorINS9_10device_ptrIiEEEENSB_INSC_IsEEEESG_sNS9_4plusIvEENS9_8equal_toIvEEsEE10hipError_tPvRmT2_T3_T4_T5_mT6_T7_P12ihipStream_tbENKUlT_T0_E_clISt17integral_constantIbLb1EES10_IbLb0EEEEDaSW_SX_EUlSW_E_NS1_11comp_targetILNS1_3genE4ELNS1_11target_archE910ELNS1_3gpuE8ELNS1_3repE0EEENS1_30default_config_static_selectorELNS0_4arch9wavefront6targetE1EEEvT1_
; %bb.0:
	s_load_dwordx8 s[52:59], s[4:5], 0x0
	s_load_dwordx4 s[68:71], s[4:5], 0x28
	s_load_dwordx2 s[74:75], s[4:5], 0x38
	s_load_dword s2, s[4:5], 0x40
	s_load_dwordx8 s[60:67], s[4:5], 0x48
	s_waitcnt lgkmcnt(0)
	s_lshl_b64 s[0:1], s[54:55], 2
	s_add_u32 s4, s52, s0
	s_addc_u32 s5, s53, s1
	s_lshl_b64 s[72:73], s[54:55], 1
	s_add_u32 s7, s56, s72
	s_mul_i32 s0, s75, s2
	s_mul_hi_u32 s1, s74, s2
	s_addc_u32 s8, s57, s73
	s_add_i32 s9, s1, s0
	s_cmp_lg_u64 s[64:65], 0
	s_mul_i32 s0, s6, 0x600
	s_mov_b32 s1, 0
	s_mul_i32 s10, s74, s2
	s_cselect_b64 s[64:65], -1, 0
	s_lshl_b64 s[2:3], s[0:1], 2
	s_add_u32 s54, s4, s2
	s_addc_u32 s55, s5, s3
	s_lshl_b64 s[56:57], s[0:1], 1
	s_add_u32 s7, s7, s56
	s_addc_u32 s71, s8, s57
	s_add_u32 s76, s10, s6
	s_addc_u32 s77, s9, 0
	s_add_u32 s2, s60, -1
	s_addc_u32 s3, s61, -1
	v_pk_mov_b32 v[2:3], s[2:3], s[2:3] op_sel:[0,1]
	v_cmp_ge_u64_e64 s[0:1], s[76:77], v[2:3]
	s_mov_b64 s[12:13], 0
	s_mov_b64 s[4:5], -1
	s_and_b64 vcc, exec, s[0:1]
	s_mul_i32 s33, s2, 0xfffffa00
	s_waitcnt lgkmcnt(0)
	; wave barrier
	s_cbranch_vccz .LBB1375_127
; %bb.1:
	v_pk_mov_b32 v[2:3], s[54:55], s[54:55] op_sel:[0,1]
	flat_load_dword v1, v[2:3]
	s_add_i32 s82, s33, s70
	v_cmp_gt_u32_e64 s[2:3], s82, v0
	s_waitcnt vmcnt(0) lgkmcnt(0)
	v_mov_b32_e32 v2, v1
	s_and_saveexec_b64 s[4:5], s[2:3]
	s_cbranch_execz .LBB1375_3
; %bb.2:
	v_lshlrev_b32_e32 v2, 2, v0
	v_mov_b32_e32 v3, s55
	v_add_co_u32_e32 v2, vcc, s54, v2
	v_addc_co_u32_e32 v3, vcc, 0, v3, vcc
	flat_load_dword v2, v[2:3]
.LBB1375_3:
	s_or_b64 exec, exec, s[4:5]
	v_or_b32_e32 v3, 64, v0
	v_cmp_gt_u32_e64 s[4:5], s82, v3
	v_mov_b32_e32 v3, v1
	s_and_saveexec_b64 s[8:9], s[4:5]
	s_cbranch_execz .LBB1375_5
; %bb.4:
	v_lshlrev_b32_e32 v3, 2, v0
	v_mov_b32_e32 v5, s55
	v_add_co_u32_e32 v4, vcc, s54, v3
	v_addc_co_u32_e32 v5, vcc, 0, v5, vcc
	flat_load_dword v3, v[4:5] offset:256
.LBB1375_5:
	s_or_b64 exec, exec, s[8:9]
	v_or_b32_e32 v4, 0x80, v0
	v_cmp_gt_u32_e64 s[52:53], s82, v4
	v_mov_b32_e32 v4, v1
	s_and_saveexec_b64 s[8:9], s[52:53]
	s_cbranch_execz .LBB1375_7
; %bb.6:
	v_lshlrev_b32_e32 v4, 2, v0
	v_mov_b32_e32 v5, s55
	v_add_co_u32_e32 v4, vcc, s54, v4
	v_addc_co_u32_e32 v5, vcc, 0, v5, vcc
	flat_load_dword v4, v[4:5] offset:512
.LBB1375_7:
	;; [unrolled: 13-line block ×15, first 2 shown]
	s_or_b64 exec, exec, s[36:37]
	v_or_b32_e32 v19, 0x400, v0
	v_cmp_gt_u32_e64 s[36:37], s82, v19
	v_mov_b32_e32 v18, v1
	s_and_saveexec_b64 s[38:39], s[36:37]
	s_cbranch_execz .LBB1375_35
; %bb.34:
	v_lshlrev_b32_e32 v18, 2, v19
	v_mov_b32_e32 v19, s55
	v_add_co_u32_e32 v18, vcc, s54, v18
	v_addc_co_u32_e32 v19, vcc, 0, v19, vcc
	flat_load_dword v18, v[18:19]
.LBB1375_35:
	s_or_b64 exec, exec, s[38:39]
	v_or_b32_e32 v20, 0x440, v0
	v_cmp_gt_u32_e64 s[38:39], s82, v20
	v_mov_b32_e32 v19, v1
	s_and_saveexec_b64 s[40:41], s[38:39]
	s_cbranch_execz .LBB1375_37
; %bb.36:
	v_lshlrev_b32_e32 v19, 2, v20
	v_mov_b32_e32 v21, s55
	v_add_co_u32_e32 v20, vcc, s54, v19
	v_addc_co_u32_e32 v21, vcc, 0, v21, vcc
	flat_load_dword v19, v[20:21]
.LBB1375_37:
	;; [unrolled: 13-line block ×7, first 2 shown]
	s_or_b64 exec, exec, s[50:51]
	v_or_b32_e32 v25, 0x5c0, v0
	v_cmp_gt_u32_e64 s[50:51], s82, v25
	s_and_saveexec_b64 s[60:61], s[50:51]
	s_cbranch_execz .LBB1375_49
; %bb.48:
	v_lshlrev_b32_e32 v1, 2, v25
	v_mov_b32_e32 v25, s55
	v_add_co_u32_e32 v26, vcc, s54, v1
	v_addc_co_u32_e32 v27, vcc, 0, v25, vcc
	flat_load_dword v1, v[26:27]
.LBB1375_49:
	s_or_b64 exec, exec, s[60:61]
	v_lshlrev_b32_e32 v25, 2, v0
	s_movk_i32 s60, 0x5c
	s_waitcnt vmcnt(0) lgkmcnt(0)
	ds_write2st64_b32 v25, v2, v3 offset1:1
	ds_write2st64_b32 v25, v4, v5 offset0:2 offset1:3
	ds_write2st64_b32 v25, v6, v7 offset0:4 offset1:5
	;; [unrolled: 1-line block ×11, first 2 shown]
	v_mad_u32_u24 v1, v0, s60, v25
	s_waitcnt lgkmcnt(0)
	; wave barrier
	s_waitcnt lgkmcnt(0)
	ds_read_b128 v[42:45], v1
	ds_read_b128 v[38:41], v1 offset:16
	ds_read_b128 v[34:37], v1 offset:32
	;; [unrolled: 1-line block ×5, first 2 shown]
	s_cmp_eq_u64 s[76:77], 0
	s_mov_b64 s[60:61], s[54:55]
	s_cbranch_scc1 .LBB1375_53
; %bb.50:
	s_andn2_b64 vcc, exec, s[64:65]
	s_cbranch_vccnz .LBB1375_303
; %bb.51:
	s_lshl_b64 s[60:61], s[76:77], 2
	s_add_u32 s60, s66, s60
	s_addc_u32 s61, s67, s61
	s_add_u32 s60, s60, -4
	s_addc_u32 s61, s61, -1
	s_cbranch_execnz .LBB1375_53
.LBB1375_52:
	s_add_u32 s60, s54, -4
	s_addc_u32 s61, s55, -1
.LBB1375_53:
	v_pk_mov_b32 v[2:3], s[60:61], s[60:61] op_sel:[0,1]
	flat_load_dword v46, v[2:3]
	s_movk_i32 s60, 0xffa4
	v_mad_i32_i24 v1, v0, s60, v1
	v_cmp_ne_u32_e32 vcc, 0, v0
	s_waitcnt lgkmcnt(0)
	ds_write_b32 v1, v25 offset:6144
	s_waitcnt lgkmcnt(0)
	; wave barrier
	s_waitcnt lgkmcnt(0)
	s_and_saveexec_b64 s[60:61], vcc
	s_cbranch_execz .LBB1375_55
; %bb.54:
	s_waitcnt vmcnt(0)
	ds_read_b32 v46, v1 offset:6140
.LBB1375_55:
	s_or_b64 exec, exec, s[60:61]
	s_waitcnt lgkmcnt(0)
	; wave barrier
	s_waitcnt lgkmcnt(0)
                                        ; implicit-def: $vgpr2
	s_and_saveexec_b64 s[60:61], s[2:3]
	s_cbranch_execnz .LBB1375_280
; %bb.56:
	s_or_b64 exec, exec, s[60:61]
                                        ; implicit-def: $vgpr3
	s_and_saveexec_b64 s[2:3], s[4:5]
	s_cbranch_execnz .LBB1375_281
.LBB1375_57:
	s_or_b64 exec, exec, s[2:3]
                                        ; implicit-def: $vgpr4
	s_and_saveexec_b64 s[2:3], s[52:53]
	s_cbranch_execnz .LBB1375_282
.LBB1375_58:
	s_or_b64 exec, exec, s[2:3]
                                        ; implicit-def: $vgpr5
	s_and_saveexec_b64 s[2:3], s[8:9]
	s_cbranch_execnz .LBB1375_283
.LBB1375_59:
	s_or_b64 exec, exec, s[2:3]
                                        ; implicit-def: $vgpr6
	s_and_saveexec_b64 s[2:3], s[10:11]
	s_cbranch_execnz .LBB1375_284
.LBB1375_60:
	s_or_b64 exec, exec, s[2:3]
                                        ; implicit-def: $vgpr7
	s_and_saveexec_b64 s[2:3], s[12:13]
	s_cbranch_execnz .LBB1375_285
.LBB1375_61:
	s_or_b64 exec, exec, s[2:3]
                                        ; implicit-def: $vgpr8
	s_and_saveexec_b64 s[2:3], s[14:15]
	s_cbranch_execnz .LBB1375_286
.LBB1375_62:
	s_or_b64 exec, exec, s[2:3]
                                        ; implicit-def: $vgpr9
	s_and_saveexec_b64 s[2:3], s[16:17]
	s_cbranch_execnz .LBB1375_287
.LBB1375_63:
	s_or_b64 exec, exec, s[2:3]
                                        ; implicit-def: $vgpr10
	s_and_saveexec_b64 s[2:3], s[18:19]
	s_cbranch_execnz .LBB1375_288
.LBB1375_64:
	s_or_b64 exec, exec, s[2:3]
                                        ; implicit-def: $vgpr11
	s_and_saveexec_b64 s[2:3], s[20:21]
	s_cbranch_execnz .LBB1375_289
.LBB1375_65:
	s_or_b64 exec, exec, s[2:3]
                                        ; implicit-def: $vgpr12
	s_and_saveexec_b64 s[2:3], s[22:23]
	s_cbranch_execnz .LBB1375_290
.LBB1375_66:
	s_or_b64 exec, exec, s[2:3]
                                        ; implicit-def: $vgpr13
	s_and_saveexec_b64 s[2:3], s[24:25]
	s_cbranch_execnz .LBB1375_291
.LBB1375_67:
	s_or_b64 exec, exec, s[2:3]
                                        ; implicit-def: $vgpr14
	s_and_saveexec_b64 s[2:3], s[26:27]
	s_cbranch_execnz .LBB1375_292
.LBB1375_68:
	s_or_b64 exec, exec, s[2:3]
                                        ; implicit-def: $vgpr15
	s_and_saveexec_b64 s[2:3], s[28:29]
	s_cbranch_execnz .LBB1375_293
.LBB1375_69:
	s_or_b64 exec, exec, s[2:3]
                                        ; implicit-def: $vgpr16
	s_and_saveexec_b64 s[2:3], s[30:31]
	s_cbranch_execnz .LBB1375_294
.LBB1375_70:
	s_or_b64 exec, exec, s[2:3]
                                        ; implicit-def: $vgpr17
	s_and_saveexec_b64 s[2:3], s[34:35]
	s_cbranch_execnz .LBB1375_295
.LBB1375_71:
	s_or_b64 exec, exec, s[2:3]
                                        ; implicit-def: $vgpr18
	s_and_saveexec_b64 s[2:3], s[36:37]
	s_cbranch_execnz .LBB1375_296
.LBB1375_72:
	s_or_b64 exec, exec, s[2:3]
                                        ; implicit-def: $vgpr19
	s_and_saveexec_b64 s[2:3], s[38:39]
	s_cbranch_execnz .LBB1375_297
.LBB1375_73:
	s_or_b64 exec, exec, s[2:3]
                                        ; implicit-def: $vgpr20
	s_and_saveexec_b64 s[2:3], s[40:41]
	s_cbranch_execnz .LBB1375_298
.LBB1375_74:
	s_or_b64 exec, exec, s[2:3]
                                        ; implicit-def: $vgpr21
	s_and_saveexec_b64 s[2:3], s[42:43]
	s_cbranch_execnz .LBB1375_299
.LBB1375_75:
	s_or_b64 exec, exec, s[2:3]
                                        ; implicit-def: $vgpr48
	s_and_saveexec_b64 s[2:3], s[44:45]
	s_cbranch_execnz .LBB1375_300
.LBB1375_76:
	s_or_b64 exec, exec, s[2:3]
                                        ; implicit-def: $vgpr49
	s_and_saveexec_b64 s[2:3], s[46:47]
	s_cbranch_execnz .LBB1375_301
.LBB1375_77:
	s_or_b64 exec, exec, s[2:3]
                                        ; implicit-def: $vgpr50
	s_and_saveexec_b64 s[2:3], s[48:49]
	s_cbranch_execnz .LBB1375_302
.LBB1375_78:
	s_or_b64 exec, exec, s[2:3]
                                        ; implicit-def: $vgpr51
	s_and_saveexec_b64 s[2:3], s[50:51]
	s_cbranch_execz .LBB1375_80
.LBB1375_79:
	v_lshlrev_b32_e32 v47, 1, v0
	v_mov_b32_e32 v51, s71
	v_add_co_u32_e32 v52, vcc, s7, v47
	v_addc_co_u32_e32 v53, vcc, 0, v51, vcc
	flat_load_ushort v51, v[52:53] offset:2944
.LBB1375_80:
	s_or_b64 exec, exec, s[2:3]
	v_lshlrev_b32_e32 v47, 1, v0
	s_mov_b32 s8, 0
	v_sub_u32_e32 v47, v1, v47
	s_mov_b32 s9, s8
	s_mov_b32 s24, s8
	;; [unrolled: 1-line block ×3, first 2 shown]
	v_mul_u32_u24_e32 v53, 24, v0
	s_waitcnt vmcnt(0) lgkmcnt(0)
	ds_write_b16 v47, v2
	ds_write_b16 v47, v3 offset:128
	ds_write_b16 v47, v4 offset:256
	ds_write_b16 v47, v5 offset:384
	ds_write_b16 v47, v6 offset:512
	ds_write_b16 v47, v7 offset:640
	ds_write_b16 v47, v8 offset:768
	ds_write_b16 v47, v9 offset:896
	ds_write_b16 v47, v10 offset:1024
	ds_write_b16 v47, v11 offset:1152
	ds_write_b16 v47, v12 offset:1280
	ds_write_b16 v47, v13 offset:1408
	ds_write_b16 v47, v14 offset:1536
	ds_write_b16 v47, v15 offset:1664
	ds_write_b16 v47, v16 offset:1792
	ds_write_b16 v47, v17 offset:1920
	ds_write_b16 v47, v18 offset:2048
	ds_write_b16 v47, v19 offset:2176
	ds_write_b16 v47, v20 offset:2304
	ds_write_b16 v47, v21 offset:2432
	ds_write_b16 v47, v48 offset:2560
	ds_write_b16 v47, v49 offset:2688
	ds_write_b16 v47, v50 offset:2816
	ds_write_b16 v47, v51 offset:2944
	s_mov_b32 s10, s8
	s_mov_b32 s11, s8
	;; [unrolled: 1-line block ×18, first 2 shown]
	v_pk_mov_b32 v[18:19], s[24:25], s[24:25] op_sel:[0,1]
	v_pk_mov_b32 v[2:3], s[8:9], s[8:9] op_sel:[0,1]
	v_cmp_gt_u32_e32 vcc, s82, v53
	s_mov_b64 s[4:5], 0
	v_pk_mov_b32 v[50:51], s[2:3], s[2:3] op_sel:[0,1]
	v_pk_mov_b32 v[20:21], s[26:27], s[26:27] op_sel:[0,1]
	;; [unrolled: 1-line block ×9, first 2 shown]
	v_mov_b32_e32 v1, 0
	s_mov_b64 s[12:13], 0
	s_waitcnt lgkmcnt(0)
	; wave barrier
	s_waitcnt lgkmcnt(0)
                                        ; implicit-def: $sgpr2_sgpr3
                                        ; implicit-def: $vgpr52
	s_and_saveexec_b64 s[10:11], vcc
	s_cbranch_execz .LBB1375_126
; %bb.81:
	v_mad_u32_u24 v1, v0, 46, v47
	ds_read_u16 v1, v1
	v_cmp_ne_u32_e32 vcc, v46, v42
	s_mov_b32 s12, 0
	v_or_b32_e32 v2, 1, v53
	v_cndmask_b32_e64 v3, 0, 1, vcc
	s_mov_b32 s13, s12
	s_mov_b32 s28, s12
	;; [unrolled: 1-line block ×3, first 2 shown]
	v_cmp_gt_u32_e32 vcc, s82, v2
	s_waitcnt lgkmcnt(0)
	v_lshl_or_b32 v1, v3, 16, v1
	s_mov_b32 s14, s12
	s_mov_b32 s15, s12
	s_mov_b32 s16, s12
	s_mov_b32 s17, s12
	s_mov_b32 s18, s12
	s_mov_b32 s19, s12
	s_mov_b32 s20, s12
	s_mov_b32 s21, s12
	s_mov_b32 s22, s12
	s_mov_b32 s23, s12
	s_mov_b32 s24, s12
	s_mov_b32 s25, s12
	s_mov_b32 s26, s12
	s_mov_b32 s27, s12
	s_mov_b32 s30, s12
	s_mov_b32 s31, s12
	s_mov_b32 s2, s12
	s_mov_b32 s3, s12
	v_pk_mov_b32 v[18:19], s[28:29], s[28:29] op_sel:[0,1]
	v_pk_mov_b32 v[2:3], s[12:13], s[12:13] op_sel:[0,1]
	s_mov_b64 s[36:37], 0
	v_pk_mov_b32 v[50:51], s[2:3], s[2:3] op_sel:[0,1]
	v_pk_mov_b32 v[20:21], s[30:31], s[30:31] op_sel:[0,1]
	;; [unrolled: 1-line block ×9, first 2 shown]
                                        ; implicit-def: $sgpr38_sgpr39
                                        ; implicit-def: $vgpr52
	s_and_saveexec_b64 s[34:35], vcc
	s_cbranch_execz .LBB1375_125
; %bb.82:
	v_mul_u32_u24_e32 v2, 46, v0
	v_add_u32_e32 v54, v47, v2
	ds_read_b128 v[46:49], v54 offset:2
	v_or_b32_e32 v2, 2, v53
	v_cmp_ne_u32_e32 vcc, v42, v43
	v_cndmask_b32_e64 v3, 0, 1, vcc
	v_cmp_gt_u32_e32 vcc, s82, v2
	s_waitcnt lgkmcnt(0)
	v_and_b32_e32 v2, 0xffff, v46
	v_lshl_or_b32 v50, v3, 16, v2
	v_pk_mov_b32 v[18:19], s[28:29], s[28:29] op_sel:[0,1]
	v_pk_mov_b32 v[2:3], s[12:13], s[12:13] op_sel:[0,1]
	v_mov_b32_e32 v51, 0
	s_mov_b64 s[2:3], 0
	v_pk_mov_b32 v[20:21], s[30:31], s[30:31] op_sel:[0,1]
	v_pk_mov_b32 v[4:5], s[14:15], s[14:15] op_sel:[0,1]
	;; [unrolled: 1-line block ×8, first 2 shown]
                                        ; implicit-def: $sgpr12_sgpr13
                                        ; implicit-def: $vgpr52
	s_and_saveexec_b64 s[28:29], vcc
	s_cbranch_execz .LBB1375_124
; %bb.83:
	v_cmp_ne_u32_e32 vcc, v43, v44
	s_mov_b32 s12, 0
	v_or_b32_e32 v2, 3, v53
	v_cndmask_b32_e64 v3, 0, 1, vcc
	s_mov_b32 s13, s12
	s_mov_b32 s36, s12
	;; [unrolled: 1-line block ×3, first 2 shown]
	v_alignbit_b32 v51, v3, v46, 16
	v_cmp_gt_u32_e32 vcc, s82, v2
	s_mov_b32 s14, s12
	s_mov_b32 s15, s12
	;; [unrolled: 1-line block ×16, first 2 shown]
	v_pk_mov_b32 v[18:19], s[36:37], s[36:37] op_sel:[0,1]
	v_pk_mov_b32 v[2:3], s[12:13], s[12:13] op_sel:[0,1]
	;; [unrolled: 1-line block ×10, first 2 shown]
                                        ; implicit-def: $sgpr36_sgpr37
                                        ; implicit-def: $vgpr52
	s_and_saveexec_b64 s[30:31], vcc
	s_cbranch_execz .LBB1375_123
; %bb.84:
	v_cmp_ne_u32_e32 vcc, v44, v45
	v_and_b32_e32 v2, 0xffff, v47
	v_or_b32_e32 v3, 4, v53
	v_cndmask_b32_e64 v4, 0, 1, vcc
	v_lshl_or_b32 v18, v4, 16, v2
	v_cmp_gt_u32_e32 vcc, s82, v3
	v_mov_b32_e32 v20, 0
	v_pk_mov_b32 v[2:3], s[12:13], s[12:13] op_sel:[0,1]
	v_mov_b32_e32 v19, v20
	v_mov_b32_e32 v21, v20
	v_pk_mov_b32 v[4:5], s[14:15], s[14:15] op_sel:[0,1]
	v_pk_mov_b32 v[6:7], s[16:17], s[16:17] op_sel:[0,1]
	;; [unrolled: 1-line block ×7, first 2 shown]
                                        ; implicit-def: $sgpr12_sgpr13
                                        ; implicit-def: $vgpr52
	s_and_saveexec_b64 s[36:37], vcc
	s_cbranch_execz .LBB1375_122
; %bb.85:
	v_cmp_ne_u32_e32 vcc, v45, v38
	s_mov_b32 s12, 0
	v_or_b32_e32 v2, 5, v53
	v_cndmask_b32_e64 v3, 0, 1, vcc
	s_mov_b32 s13, s12
	v_alignbit_b32 v19, v3, v47, 16
	v_cmp_gt_u32_e32 vcc, s82, v2
	s_mov_b32 s14, s12
	s_mov_b32 s15, s12
	;; [unrolled: 1-line block ×14, first 2 shown]
	v_pk_mov_b32 v[2:3], s[12:13], s[12:13] op_sel:[0,1]
	v_mov_b32_e32 v21, v20
	v_pk_mov_b32 v[4:5], s[14:15], s[14:15] op_sel:[0,1]
	v_pk_mov_b32 v[6:7], s[16:17], s[16:17] op_sel:[0,1]
	;; [unrolled: 1-line block ×7, first 2 shown]
                                        ; implicit-def: $sgpr40_sgpr41
                                        ; implicit-def: $vgpr52
	s_and_saveexec_b64 s[38:39], vcc
	s_cbranch_execz .LBB1375_121
; %bb.86:
	v_cmp_ne_u32_e32 vcc, v38, v39
	v_and_b32_e32 v2, 0xffff, v48
	v_or_b32_e32 v3, 6, v53
	v_cndmask_b32_e64 v4, 0, 1, vcc
	v_lshl_or_b32 v20, v4, 16, v2
	v_cmp_gt_u32_e32 vcc, s82, v3
	v_pk_mov_b32 v[2:3], s[12:13], s[12:13] op_sel:[0,1]
	v_mov_b32_e32 v21, s12
	v_pk_mov_b32 v[4:5], s[14:15], s[14:15] op_sel:[0,1]
	v_pk_mov_b32 v[6:7], s[16:17], s[16:17] op_sel:[0,1]
	;; [unrolled: 1-line block ×7, first 2 shown]
                                        ; implicit-def: $sgpr12_sgpr13
                                        ; implicit-def: $vgpr52
	s_and_saveexec_b64 s[40:41], vcc
	s_cbranch_execz .LBB1375_120
; %bb.87:
	v_cmp_ne_u32_e32 vcc, v39, v40
	s_mov_b32 s12, 0
	v_or_b32_e32 v2, 7, v53
	v_cndmask_b32_e64 v3, 0, 1, vcc
	s_mov_b32 s13, s12
	v_alignbit_b32 v21, v3, v48, 16
	v_cmp_gt_u32_e32 vcc, s82, v2
	s_mov_b32 s14, s12
	s_mov_b32 s15, s12
	;; [unrolled: 1-line block ×14, first 2 shown]
	v_pk_mov_b32 v[2:3], s[12:13], s[12:13] op_sel:[0,1]
	v_pk_mov_b32 v[4:5], s[14:15], s[14:15] op_sel:[0,1]
	;; [unrolled: 1-line block ×8, first 2 shown]
                                        ; implicit-def: $sgpr14_sgpr15
                                        ; implicit-def: $vgpr52
	s_and_saveexec_b64 s[12:13], vcc
	s_cbranch_execz .LBB1375_119
; %bb.88:
	v_cmp_ne_u32_e32 vcc, v40, v41
	v_and_b32_e32 v2, 0xffff, v49
	v_cndmask_b32_e64 v4, 0, 1, vcc
	v_add_u32_e32 v3, 8, v53
	v_lshl_or_b32 v2, v4, 16, v2
	v_mov_b32_e32 v4, 0
	v_cmp_gt_u32_e32 vcc, s82, v3
	v_mov_b32_e32 v3, v4
	v_mov_b32_e32 v5, v4
	;; [unrolled: 1-line block ×14, first 2 shown]
                                        ; implicit-def: $sgpr16_sgpr17
                                        ; implicit-def: $vgpr52
	s_and_saveexec_b64 s[14:15], vcc
	s_cbranch_execz .LBB1375_118
; %bb.89:
	v_cmp_ne_u32_e32 vcc, v41, v34
	v_add_u32_e32 v5, 9, v53
	v_cndmask_b32_e64 v3, 0, 1, vcc
	v_alignbit_b32 v3, v3, v49, 16
	v_cmp_gt_u32_e32 vcc, s82, v5
	v_mov_b32_e32 v5, v4
	v_mov_b32_e32 v6, v4
	;; [unrolled: 1-line block ×13, first 2 shown]
                                        ; implicit-def: $sgpr18_sgpr19
                                        ; implicit-def: $vgpr52
	s_and_saveexec_b64 s[16:17], vcc
	s_cbranch_execz .LBB1375_117
; %bb.90:
	ds_read_b128 v[38:41], v54 offset:18
	v_add_u32_e32 v4, 10, v53
	v_cmp_ne_u32_e32 vcc, v34, v35
	v_cndmask_b32_e64 v5, 0, 1, vcc
	v_cmp_gt_u32_e32 vcc, s82, v4
	s_waitcnt lgkmcnt(0)
	v_and_b32_e32 v4, 0xffff, v38
	v_mov_b32_e32 v6, 0
	v_lshl_or_b32 v4, v5, 16, v4
	v_mov_b32_e32 v5, v6
	v_mov_b32_e32 v7, v6
	;; [unrolled: 1-line block ×12, first 2 shown]
                                        ; implicit-def: $sgpr20_sgpr21
                                        ; implicit-def: $vgpr52
	s_and_saveexec_b64 s[18:19], vcc
	s_cbranch_execz .LBB1375_116
; %bb.91:
	v_cmp_ne_u32_e32 vcc, v35, v36
	v_add_u32_e32 v7, 11, v53
	v_cndmask_b32_e64 v5, 0, 1, vcc
	v_alignbit_b32 v5, v5, v38, 16
	v_cmp_gt_u32_e32 vcc, s82, v7
	v_mov_b32_e32 v7, v6
	v_mov_b32_e32 v8, v6
	;; [unrolled: 1-line block ×11, first 2 shown]
                                        ; implicit-def: $sgpr22_sgpr23
                                        ; implicit-def: $vgpr52
	s_and_saveexec_b64 s[20:21], vcc
	s_cbranch_execz .LBB1375_115
; %bb.92:
	v_cmp_ne_u32_e32 vcc, v36, v37
	v_and_b32_e32 v6, 0xffff, v39
	v_cndmask_b32_e64 v8, 0, 1, vcc
	v_add_u32_e32 v7, 12, v53
	v_lshl_or_b32 v6, v8, 16, v6
	v_mov_b32_e32 v8, 0
	v_cmp_gt_u32_e32 vcc, s82, v7
	v_mov_b32_e32 v7, v8
	v_mov_b32_e32 v9, v8
	v_mov_b32_e32 v10, v8
	v_mov_b32_e32 v11, v8
	v_mov_b32_e32 v12, v8
	v_mov_b32_e32 v13, v8
	v_mov_b32_e32 v14, v8
	v_mov_b32_e32 v15, v8
	v_mov_b32_e32 v16, v8
	v_mov_b32_e32 v17, v8
                                        ; implicit-def: $sgpr24_sgpr25
                                        ; implicit-def: $vgpr52
	s_and_saveexec_b64 s[22:23], vcc
	s_cbranch_execz .LBB1375_114
; %bb.93:
	v_cmp_ne_u32_e32 vcc, v37, v30
	v_add_u32_e32 v9, 13, v53
	v_cndmask_b32_e64 v7, 0, 1, vcc
	v_alignbit_b32 v7, v7, v39, 16
	v_cmp_gt_u32_e32 vcc, s82, v9
	v_mov_b32_e32 v9, v8
	v_mov_b32_e32 v10, v8
	;; [unrolled: 1-line block ×9, first 2 shown]
                                        ; implicit-def: $sgpr26_sgpr27
                                        ; implicit-def: $vgpr52
	s_and_saveexec_b64 s[24:25], vcc
	s_cbranch_execz .LBB1375_113
; %bb.94:
	v_cmp_ne_u32_e32 vcc, v30, v31
	v_and_b32_e32 v8, 0xffff, v40
	v_cndmask_b32_e64 v10, 0, 1, vcc
	v_add_u32_e32 v9, 14, v53
	v_lshl_or_b32 v8, v10, 16, v8
	v_mov_b32_e32 v10, 0
	v_cmp_gt_u32_e32 vcc, s82, v9
	v_mov_b32_e32 v9, v10
	v_mov_b32_e32 v11, v10
	;; [unrolled: 1-line block ×8, first 2 shown]
                                        ; implicit-def: $sgpr42_sgpr43
                                        ; implicit-def: $vgpr52
	s_and_saveexec_b64 s[26:27], vcc
	s_cbranch_execz .LBB1375_112
; %bb.95:
	v_cmp_ne_u32_e32 vcc, v31, v32
	v_add_u32_e32 v11, 15, v53
	v_cndmask_b32_e64 v9, 0, 1, vcc
	v_alignbit_b32 v9, v9, v40, 16
	v_cmp_gt_u32_e32 vcc, s82, v11
	v_mov_b32_e32 v11, v10
	v_mov_b32_e32 v12, v10
	;; [unrolled: 1-line block ×7, first 2 shown]
                                        ; implicit-def: $sgpr44_sgpr45
                                        ; implicit-def: $vgpr52
	s_and_saveexec_b64 s[42:43], vcc
	s_cbranch_execz .LBB1375_111
; %bb.96:
	v_cmp_ne_u32_e32 vcc, v32, v33
	v_and_b32_e32 v10, 0xffff, v41
	v_cndmask_b32_e64 v12, 0, 1, vcc
	v_add_u32_e32 v11, 16, v53
	v_lshl_or_b32 v10, v12, 16, v10
	v_mov_b32_e32 v12, 0
	v_cmp_gt_u32_e32 vcc, s82, v11
	v_mov_b32_e32 v11, v12
	v_mov_b32_e32 v13, v12
	;; [unrolled: 1-line block ×6, first 2 shown]
                                        ; implicit-def: $sgpr46_sgpr47
                                        ; implicit-def: $vgpr52
	s_and_saveexec_b64 s[44:45], vcc
	s_cbranch_execz .LBB1375_110
; %bb.97:
	v_cmp_ne_u32_e32 vcc, v33, v26
	v_add_u32_e32 v13, 17, v53
	v_cndmask_b32_e64 v11, 0, 1, vcc
	v_alignbit_b32 v11, v11, v41, 16
	v_cmp_gt_u32_e32 vcc, s82, v13
	v_mov_b32_e32 v13, v12
	v_mov_b32_e32 v14, v12
	;; [unrolled: 1-line block ×5, first 2 shown]
                                        ; implicit-def: $sgpr48_sgpr49
                                        ; implicit-def: $vgpr52
	s_and_saveexec_b64 s[46:47], vcc
	s_cbranch_execz .LBB1375_109
; %bb.98:
	ds_read_b96 v[30:32], v54 offset:34
	v_add_u32_e32 v12, 18, v53
	v_cmp_ne_u32_e32 vcc, v26, v27
	v_cndmask_b32_e64 v13, 0, 1, vcc
	v_cmp_gt_u32_e32 vcc, s82, v12
	s_waitcnt lgkmcnt(0)
	v_and_b32_e32 v12, 0xffff, v30
	v_mov_b32_e32 v14, 0
	v_lshl_or_b32 v12, v13, 16, v12
	v_mov_b32_e32 v13, v14
	v_mov_b32_e32 v15, v14
	;; [unrolled: 1-line block ×4, first 2 shown]
                                        ; implicit-def: $sgpr50_sgpr51
                                        ; implicit-def: $vgpr52
	s_and_saveexec_b64 s[48:49], vcc
	s_cbranch_execz .LBB1375_108
; %bb.99:
	v_cmp_ne_u32_e32 vcc, v27, v28
	v_add_u32_e32 v15, 19, v53
	v_cndmask_b32_e64 v13, 0, 1, vcc
	v_alignbit_b32 v13, v13, v30, 16
	v_cmp_gt_u32_e32 vcc, s82, v15
	v_mov_b32_e32 v15, v14
	v_mov_b32_e32 v16, v14
	;; [unrolled: 1-line block ×3, first 2 shown]
                                        ; implicit-def: $sgpr52_sgpr53
                                        ; implicit-def: $vgpr52
	s_and_saveexec_b64 s[50:51], vcc
	s_cbranch_execz .LBB1375_107
; %bb.100:
	v_cmp_ne_u32_e32 vcc, v28, v29
	v_and_b32_e32 v14, 0xffff, v31
	v_cndmask_b32_e64 v16, 0, 1, vcc
	v_add_u32_e32 v15, 20, v53
	v_lshl_or_b32 v14, v16, 16, v14
	v_mov_b32_e32 v16, 0
	v_cmp_gt_u32_e32 vcc, s82, v15
	v_mov_b32_e32 v15, v16
	v_mov_b32_e32 v17, v16
                                        ; implicit-def: $sgpr60_sgpr61
                                        ; implicit-def: $vgpr52
	s_and_saveexec_b64 s[52:53], vcc
	s_cbranch_execz .LBB1375_106
; %bb.101:
	v_cmp_ne_u32_e32 vcc, v29, v22
	v_add_u32_e32 v17, 21, v53
	v_cndmask_b32_e64 v15, 0, 1, vcc
	v_alignbit_b32 v15, v15, v31, 16
	v_cmp_gt_u32_e32 vcc, s82, v17
	s_mov_b32 s9, 0
	v_mov_b32_e32 v17, v16
                                        ; implicit-def: $sgpr78_sgpr79
                                        ; implicit-def: $vgpr52
	s_and_saveexec_b64 s[60:61], vcc
	s_cbranch_execz .LBB1375_105
; %bb.102:
	v_cmp_ne_u32_e32 vcc, v22, v23
	v_and_b32_e32 v16, 0xffff, v32
	v_add_u32_e32 v17, 22, v53
	v_cndmask_b32_e64 v22, 0, 1, vcc
	v_lshl_or_b32 v16, v22, 16, v16
	v_cmp_gt_u32_e32 vcc, s82, v17
	v_mov_b32_e32 v17, s9
                                        ; implicit-def: $sgpr78_sgpr79
                                        ; implicit-def: $vgpr52
	s_and_saveexec_b64 s[80:81], vcc
	s_xor_b64 s[80:81], exec, s[80:81]
	s_cbranch_execz .LBB1375_104
; %bb.103:
	ds_read_u16 v52, v54 offset:46
	v_add_u32_e32 v22, 23, v53
	v_cmp_ne_u32_e64 s[2:3], v23, v24
	v_cmp_ne_u32_e32 vcc, v24, v25
	v_cndmask_b32_e64 v17, 0, 1, s[2:3]
	v_cmp_gt_u32_e64 s[2:3], s82, v22
	v_alignbit_b32 v17, v17, v32, 16
	s_and_b64 s[78:79], vcc, exec
	s_and_b64 s[2:3], s[2:3], exec
.LBB1375_104:
	s_or_b64 exec, exec, s[80:81]
	s_and_b64 s[78:79], s[78:79], exec
	s_and_b64 s[2:3], s[2:3], exec
.LBB1375_105:
	s_or_b64 exec, exec, s[60:61]
	s_and_b64 s[60:61], s[78:79], exec
	s_and_b64 s[2:3], s[2:3], exec
.LBB1375_106:
	s_or_b64 exec, exec, s[52:53]
	s_and_b64 s[52:53], s[60:61], exec
	s_and_b64 s[2:3], s[2:3], exec
.LBB1375_107:
	s_or_b64 exec, exec, s[50:51]
	s_and_b64 s[50:51], s[52:53], exec
	s_and_b64 s[2:3], s[2:3], exec
.LBB1375_108:
	s_or_b64 exec, exec, s[48:49]
	s_and_b64 s[48:49], s[50:51], exec
	s_and_b64 s[2:3], s[2:3], exec
.LBB1375_109:
	s_or_b64 exec, exec, s[46:47]
	s_and_b64 s[46:47], s[48:49], exec
	s_and_b64 s[2:3], s[2:3], exec
.LBB1375_110:
	s_or_b64 exec, exec, s[44:45]
	s_and_b64 s[44:45], s[46:47], exec
	s_and_b64 s[2:3], s[2:3], exec
.LBB1375_111:
	s_or_b64 exec, exec, s[42:43]
	s_and_b64 s[42:43], s[44:45], exec
	s_and_b64 s[2:3], s[2:3], exec
.LBB1375_112:
	s_or_b64 exec, exec, s[26:27]
	s_and_b64 s[26:27], s[42:43], exec
	s_and_b64 s[2:3], s[2:3], exec
.LBB1375_113:
	s_or_b64 exec, exec, s[24:25]
	s_and_b64 s[24:25], s[26:27], exec
	s_and_b64 s[2:3], s[2:3], exec
.LBB1375_114:
	s_or_b64 exec, exec, s[22:23]
	s_and_b64 s[22:23], s[24:25], exec
	s_and_b64 s[2:3], s[2:3], exec
.LBB1375_115:
	s_or_b64 exec, exec, s[20:21]
	s_and_b64 s[20:21], s[22:23], exec
	s_and_b64 s[2:3], s[2:3], exec
.LBB1375_116:
	s_or_b64 exec, exec, s[18:19]
	s_and_b64 s[18:19], s[20:21], exec
	s_and_b64 s[2:3], s[2:3], exec
.LBB1375_117:
	s_or_b64 exec, exec, s[16:17]
	s_and_b64 s[16:17], s[18:19], exec
	s_and_b64 s[2:3], s[2:3], exec
.LBB1375_118:
	s_or_b64 exec, exec, s[14:15]
	s_and_b64 s[14:15], s[16:17], exec
	s_and_b64 s[2:3], s[2:3], exec
.LBB1375_119:
	s_or_b64 exec, exec, s[12:13]
	s_and_b64 s[12:13], s[14:15], exec
	s_and_b64 s[2:3], s[2:3], exec
.LBB1375_120:
	s_or_b64 exec, exec, s[40:41]
	s_and_b64 s[40:41], s[12:13], exec
	s_and_b64 s[2:3], s[2:3], exec
.LBB1375_121:
	s_or_b64 exec, exec, s[38:39]
	s_and_b64 s[12:13], s[40:41], exec
	s_and_b64 s[2:3], s[2:3], exec
.LBB1375_122:
	s_or_b64 exec, exec, s[36:37]
	s_and_b64 s[36:37], s[12:13], exec
	s_and_b64 s[2:3], s[2:3], exec
.LBB1375_123:
	s_or_b64 exec, exec, s[30:31]
	s_and_b64 s[12:13], s[36:37], exec
	s_and_b64 s[2:3], s[2:3], exec
.LBB1375_124:
	s_or_b64 exec, exec, s[28:29]
	s_and_b64 s[38:39], s[12:13], exec
	s_and_b64 s[36:37], s[2:3], exec
.LBB1375_125:
	s_or_b64 exec, exec, s[34:35]
	s_and_b64 s[2:3], s[38:39], exec
	s_and_b64 s[12:13], s[36:37], exec
.LBB1375_126:
	s_or_b64 exec, exec, s[10:11]
	s_and_b64 vcc, exec, s[4:5]
	s_cbranch_vccnz .LBB1375_128
	s_branch .LBB1375_136
.LBB1375_127:
                                        ; implicit-def: $sgpr2_sgpr3
                                        ; implicit-def: $vgpr50_vgpr51
                                        ; implicit-def: $vgpr18_vgpr19_vgpr20_vgpr21
                                        ; implicit-def: $vgpr2_vgpr3_vgpr4_vgpr5_vgpr6_vgpr7_vgpr8_vgpr9_vgpr10_vgpr11_vgpr12_vgpr13_vgpr14_vgpr15_vgpr16_vgpr17
                                        ; implicit-def: $vgpr52
                                        ; implicit-def: $vgpr1
                                        ; implicit-def: $sgpr8
	s_and_b64 vcc, exec, s[4:5]
	s_cbranch_vccz .LBB1375_136
.LBB1375_128:
	v_lshlrev_b32_e32 v4, 2, v0
	v_mov_b32_e32 v1, s55
	v_add_co_u32_e32 v2, vcc, s54, v4
	v_addc_co_u32_e32 v3, vcc, 0, v1, vcc
	s_movk_i32 s2, 0x1000
	flat_load_dword v5, v[2:3]
	flat_load_dword v6, v[2:3] offset:256
	flat_load_dword v7, v[2:3] offset:512
	;; [unrolled: 1-line block ×15, first 2 shown]
	v_add_co_u32_e32 v2, vcc, s2, v2
	v_addc_co_u32_e32 v3, vcc, 0, v3, vcc
	flat_load_dword v21, v[2:3]
	flat_load_dword v22, v[2:3] offset:256
	flat_load_dword v23, v[2:3] offset:512
	;; [unrolled: 1-line block ×7, first 2 shown]
	s_movk_i32 s2, 0x5c
	v_mad_u32_u24 v1, v0, s2, v4
	s_cmp_eq_u64 s[76:77], 0
	s_waitcnt vmcnt(0) lgkmcnt(0)
	ds_write2st64_b32 v4, v5, v6 offset1:1
	ds_write2st64_b32 v4, v7, v8 offset0:2 offset1:3
	ds_write2st64_b32 v4, v9, v10 offset0:4 offset1:5
	ds_write2st64_b32 v4, v11, v12 offset0:6 offset1:7
	ds_write2st64_b32 v4, v13, v14 offset0:8 offset1:9
	ds_write2st64_b32 v4, v15, v16 offset0:10 offset1:11
	ds_write2st64_b32 v4, v17, v18 offset0:12 offset1:13
	ds_write2st64_b32 v4, v19, v20 offset0:14 offset1:15
	ds_write2st64_b32 v4, v21, v22 offset0:16 offset1:17
	ds_write2st64_b32 v4, v23, v24 offset0:18 offset1:19
	ds_write2st64_b32 v4, v25, v26 offset0:20 offset1:21
	ds_write2st64_b32 v4, v27, v28 offset0:22 offset1:23
	s_waitcnt lgkmcnt(0)
	; wave barrier
	s_waitcnt lgkmcnt(0)
	ds_read2_b64 v[2:5], v1 offset1:11
	ds_read2_b64 v[34:37], v1 offset0:9 offset1:10
	ds_read2_b64 v[30:33], v1 offset0:7 offset1:8
	;; [unrolled: 1-line block ×5, first 2 shown]
	s_cbranch_scc1 .LBB1375_133
; %bb.129:
	s_andn2_b64 vcc, exec, s[64:65]
	s_cbranch_vccnz .LBB1375_304
; %bb.130:
	s_lshl_b64 s[2:3], s[76:77], 2
	s_add_u32 s2, s66, s2
	s_addc_u32 s3, s67, s3
	s_add_u32 s2, s2, -4
	s_addc_u32 s3, s3, -1
	s_cbranch_execnz .LBB1375_132
.LBB1375_131:
	s_add_u32 s2, s54, -4
	s_addc_u32 s3, s55, -1
.LBB1375_132:
	s_mov_b64 s[54:55], s[2:3]
.LBB1375_133:
	v_pk_mov_b32 v[10:11], s[54:55], s[54:55] op_sel:[0,1]
	flat_load_dword v10, v[10:11]
	s_movk_i32 s2, 0xffa4
	v_mad_i32_i24 v1, v0, s2, v1
	v_cmp_ne_u32_e32 vcc, 0, v0
	s_waitcnt lgkmcnt(0)
	ds_write_b32 v1, v5 offset:6144
	s_waitcnt lgkmcnt(0)
	; wave barrier
	s_waitcnt lgkmcnt(0)
	s_and_saveexec_b64 s[2:3], vcc
	s_cbranch_execz .LBB1375_135
; %bb.134:
	s_waitcnt vmcnt(0)
	ds_read_b32 v10, v1 offset:6140
.LBB1375_135:
	s_or_b64 exec, exec, s[2:3]
	v_lshlrev_b32_e32 v11, 1, v0
	v_mov_b32_e32 v13, s71
	v_add_co_u32_e32 v12, vcc, s7, v11
	v_addc_co_u32_e32 v13, vcc, 0, v13, vcc
	s_waitcnt lgkmcnt(0)
	; wave barrier
	s_waitcnt lgkmcnt(0)
	flat_load_ushort v14, v[12:13]
	flat_load_ushort v15, v[12:13] offset:128
	flat_load_ushort v16, v[12:13] offset:256
	flat_load_ushort v17, v[12:13] offset:384
	flat_load_ushort v18, v[12:13] offset:512
	flat_load_ushort v19, v[12:13] offset:640
	flat_load_ushort v20, v[12:13] offset:768
	flat_load_ushort v21, v[12:13] offset:896
	flat_load_ushort v38, v[12:13] offset:1024
	flat_load_ushort v39, v[12:13] offset:1152
	flat_load_ushort v40, v[12:13] offset:1280
	flat_load_ushort v41, v[12:13] offset:1408
	flat_load_ushort v42, v[12:13] offset:1536
	flat_load_ushort v43, v[12:13] offset:1664
	flat_load_ushort v44, v[12:13] offset:1792
	flat_load_ushort v45, v[12:13] offset:1920
	flat_load_ushort v46, v[12:13] offset:2048
	flat_load_ushort v47, v[12:13] offset:2176
	flat_load_ushort v48, v[12:13] offset:2304
	flat_load_ushort v49, v[12:13] offset:2432
	flat_load_ushort v50, v[12:13] offset:2560
	flat_load_ushort v51, v[12:13] offset:2688
	flat_load_ushort v52, v[12:13] offset:2816
	flat_load_ushort v53, v[12:13] offset:2944
	s_waitcnt vmcnt(0)
	v_cmp_ne_u32_e32 vcc, v10, v2
	v_cmp_ne_u32_e64 s[2:3], v4, v5
	v_cndmask_b32_e64 v5, 0, 1, vcc
	v_cmp_ne_u32_e32 vcc, v3, v6
	v_cndmask_b32_e64 v13, 0, 1, vcc
	v_cmp_ne_u32_e32 vcc, v2, v3
	;; [unrolled: 2-line block ×4, first 2 shown]
	v_sub_u32_e32 v1, v1, v11
	v_cndmask_b32_e64 v54, 0, 1, vcc
	v_cmp_ne_u32_e32 vcc, v8, v9
	v_mad_u32_u24 v57, v0, 46, v1
	v_cndmask_b32_e64 v55, 0, 1, vcc
	v_cmp_ne_u32_e32 vcc, v6, v7
	v_cndmask_b32_e64 v56, 0, 1, vcc
	v_cmp_ne_u32_e32 vcc, v37, v4
	s_mov_b64 s[12:13], -1
                                        ; implicit-def: $sgpr8
	s_waitcnt lgkmcnt(0)
	ds_write_b16 v1, v14
	ds_write_b16 v1, v15 offset:128
	ds_write_b16 v1, v16 offset:256
	;; [unrolled: 1-line block ×23, first 2 shown]
	s_waitcnt lgkmcnt(0)
	; wave barrier
	s_waitcnt lgkmcnt(0)
	ds_read_u16 v1, v57
	ds_read_b96 v[10:12], v57 offset:2
	ds_read_b128 v[38:41], v57 offset:14
	ds_read_b128 v[6:9], v57 offset:30
	ds_read_u16 v52, v57 offset:46
	s_waitcnt lgkmcnt(4)
	v_lshl_or_b32 v1, v5, 16, v1
	s_waitcnt lgkmcnt(3)
	v_alignbit_b32 v21, v3, v12, 16
	v_cndmask_b32_e64 v3, 0, 1, vcc
	v_cmp_ne_u32_e32 vcc, v35, v36
	s_waitcnt lgkmcnt(1)
	v_alignbit_b32 v17, v3, v9, 16
	v_cndmask_b32_e64 v3, 0, 1, vcc
	v_cmp_ne_u32_e32 vcc, v33, v34
	v_alignbit_b32 v51, v13, v10, 16
	v_and_b32_e32 v13, 0xffff, v12
	v_alignbit_b32 v15, v3, v8, 16
	v_cndmask_b32_e64 v3, 0, 1, vcc
	v_cmp_ne_u32_e32 vcc, v31, v32
	v_lshl_or_b32 v20, v55, 16, v13
	v_alignbit_b32 v13, v3, v7, 16
	v_cndmask_b32_e64 v3, 0, 1, vcc
	v_cmp_ne_u32_e32 vcc, v29, v30
	v_and_b32_e32 v5, 0xffff, v10
	v_and_b32_e32 v10, 0xffff, v11
	v_alignbit_b32 v19, v54, v11, 16
	v_alignbit_b32 v11, v3, v6, 16
	v_cndmask_b32_e64 v3, 0, 1, vcc
	v_cmp_ne_u32_e32 vcc, v27, v28
	v_and_b32_e32 v16, 0xffff, v9
	v_alignbit_b32 v9, v3, v41, 16
	v_cndmask_b32_e64 v3, 0, 1, vcc
	v_cmp_ne_u32_e32 vcc, v25, v26
	v_and_b32_e32 v12, 0xffff, v7
	v_alignbit_b32 v7, v3, v40, 16
	v_cndmask_b32_e64 v3, 0, 1, vcc
	v_cmp_ne_u32_e32 vcc, v23, v24
	v_lshl_or_b32 v50, v2, 16, v5
	v_alignbit_b32 v5, v3, v39, 16
	v_cndmask_b32_e64 v3, 0, 1, vcc
	v_cmp_ne_u32_e32 vcc, v36, v37
	v_cndmask_b32_e64 v4, 0, 1, vcc
	v_cmp_ne_u32_e32 vcc, v34, v35
	v_and_b32_e32 v14, 0xffff, v8
	v_lshl_or_b32 v16, v4, 16, v16
	v_cndmask_b32_e64 v4, 0, 1, vcc
	v_cmp_ne_u32_e32 vcc, v32, v33
	v_lshl_or_b32 v14, v4, 16, v14
	v_cndmask_b32_e64 v4, 0, 1, vcc
	v_cmp_ne_u32_e32 vcc, v30, v31
	v_lshl_or_b32 v18, v56, 16, v10
	v_and_b32_e32 v10, 0xffff, v6
	v_lshl_or_b32 v12, v4, 16, v12
	v_cndmask_b32_e64 v4, 0, 1, vcc
	v_cmp_ne_u32_e32 vcc, v28, v29
	v_and_b32_e32 v44, 0xffff, v41
	v_lshl_or_b32 v10, v4, 16, v10
	v_cndmask_b32_e64 v4, 0, 1, vcc
	v_cmp_ne_u32_e32 vcc, v26, v27
	v_and_b32_e32 v43, 0xffff, v40
	v_lshl_or_b32 v8, v4, 16, v44
	v_cndmask_b32_e64 v4, 0, 1, vcc
	v_cmp_ne_u32_e32 vcc, v24, v25
	v_lshl_or_b32 v6, v4, 16, v43
	v_cndmask_b32_e64 v4, 0, 1, vcc
	v_cmp_ne_u32_e32 vcc, v22, v23
	v_and_b32_e32 v2, 0xffff, v38
	v_and_b32_e32 v42, 0xffff, v39
	v_cndmask_b32_e64 v22, 0, 1, vcc
	v_alignbit_b32 v3, v3, v38, 16
	v_lshl_or_b32 v4, v4, 16, v42
	v_lshl_or_b32 v2, v22, 16, v2
.LBB1375_136:
	v_mov_b32_e32 v32, s8
	s_and_saveexec_b64 s[4:5], s[12:13]
	s_cbranch_execz .LBB1375_138
; %bb.137:
	v_mov_b32_e32 v22, 0x10000
	v_cndmask_b32_e64 v22, 0, v22, s[2:3]
	s_waitcnt lgkmcnt(0)
	v_or_b32_sdwa v32, v22, v52 dst_sel:DWORD dst_unused:UNUSED_PAD src0_sel:DWORD src1_sel:WORD_0
.LBB1375_138:
	s_or_b64 exec, exec, s[4:5]
	s_cmp_lg_u32 s6, 0
	v_mbcnt_lo_u32_b32 v33, -1, 0
	s_waitcnt lgkmcnt(0)
	; wave barrier
	s_waitcnt lgkmcnt(0)
	s_cbranch_scc0 .LBB1375_201
; %bb.139:
	s_mov_b32 s7, 0x10000
	v_cmp_gt_u32_e64 s[2:3], s7, v50
	v_cndmask_b32_e64 v22, 0, v1, s[2:3]
	v_add_u16_e32 v22, v22, v50
	v_cmp_gt_u32_e64 s[4:5], s7, v51
	v_cndmask_b32_e64 v22, 0, v22, s[4:5]
	v_add_u16_e32 v22, v22, v51
	;; [unrolled: 3-line block ×16, first 2 shown]
	v_cmp_gt_u32_e64 s[36:37], s7, v12
	v_cndmask_b32_e64 v22, 0, v22, s[36:37]
	v_or3_b32 v23, v32, v17, v16
	v_add_u16_e32 v22, v22, v12
	v_cmp_gt_u32_e64 s[38:39], s7, v13
	v_or3_b32 v23, v23, v15, v14
	v_cndmask_b32_e64 v22, 0, v22, s[38:39]
	v_or3_b32 v23, v23, v13, v12
	v_add_u16_e32 v22, v22, v13
	v_cmp_gt_u32_e64 s[40:41], s7, v14
	v_or3_b32 v23, v23, v11, v10
	v_cndmask_b32_e64 v22, 0, v22, s[40:41]
	v_or3_b32 v23, v23, v9, v8
	v_add_u16_e32 v22, v22, v14
	v_cmp_gt_u32_e64 s[42:43], s7, v15
	v_or3_b32 v23, v23, v7, v6
	v_cndmask_b32_e64 v22, 0, v22, s[42:43]
	v_or3_b32 v23, v23, v5, v4
	v_add_u16_e32 v22, v22, v15
	v_cmp_gt_u32_e64 s[44:45], s7, v16
	v_or3_b32 v23, v23, v3, v2
	v_cndmask_b32_e64 v22, 0, v22, s[44:45]
	v_or3_b32 v23, v23, v21, v20
	v_add_u16_e32 v22, v22, v16
	v_cmp_gt_u32_e64 s[46:47], s7, v17
	v_or3_b32 v23, v23, v19, v18
	v_cndmask_b32_e64 v22, 0, v22, s[46:47]
	v_or3_b32 v23, v23, v51, v50
	v_add_u16_e32 v22, v22, v17
	v_cmp_gt_u32_e64 s[48:49], s7, v32
	v_and_b32_e32 v23, 0x10000, v23
	v_lshrrev_b32_e32 v34, 16, v1
	v_cndmask_b32_e64 v24, 0, v22, s[48:49]
	v_cmp_eq_u32_e32 vcc, 0, v23
	v_add_u16_e32 v22, v24, v32
	v_cndmask_b32_e32 v23, 1, v34, vcc
	v_mbcnt_hi_u32_b32 v25, -1, v33
	v_add_u16_e32 v24, v24, v32
	v_and_b32_e32 v27, 15, v25
	v_lshl_or_b32 v26, v23, 16, v24
	v_cmp_ne_u32_e32 vcc, 0, v27
	s_nop 0
	v_mov_b32_dpp v24, v26 row_shr:1 row_mask:0xf bank_mask:0xf
	s_and_saveexec_b64 s[50:51], vcc
	s_cbranch_execz .LBB1375_141
; %bb.140:
	v_cmp_eq_u32_e32 vcc, 0, v23
	v_and_b32_e32 v23, 1, v23
	v_mov_b32_e32 v29, 1
	v_cndmask_b32_e32 v26, 0, v24, vcc
	v_and_b32_sdwa v24, v24, v29 dst_sel:DWORD dst_unused:UNUSED_PAD src0_sel:WORD_1 src1_sel:DWORD
	v_cmp_eq_u32_e32 vcc, 1, v23
	v_cndmask_b32_e64 v23, v24, 1, vcc
	v_add_u16_e32 v28, v26, v22
	v_lshlrev_b32_e32 v24, 16, v23
	v_add_u16_e32 v22, v26, v22
	v_or_b32_e32 v26, v24, v22
	v_mov_b32_e32 v22, v28
.LBB1375_141:
	s_or_b64 exec, exec, s[50:51]
	v_lshrrev_b32_e32 v24, 16, v26
	v_mov_b32_dpp v28, v26 row_shr:2 row_mask:0xf bank_mask:0xf
	v_cmp_lt_u32_e32 vcc, 1, v27
	s_and_saveexec_b64 s[50:51], vcc
	s_cbranch_execz .LBB1375_143
; %bb.142:
	v_cmp_gt_u32_e32 vcc, s7, v26
	v_and_b32_e32 v23, 0x10000, v26
	v_mov_b32_e32 v26, 1
	v_cndmask_b32_e32 v24, 0, v28, vcc
	v_and_b32_sdwa v26, v28, v26 dst_sel:DWORD dst_unused:UNUSED_PAD src0_sel:WORD_1 src1_sel:DWORD
	v_cmp_ne_u32_e32 vcc, 0, v23
	v_cndmask_b32_e64 v23, v26, 1, vcc
	v_add_u16_e32 v29, v24, v22
	v_lshlrev_b32_e32 v26, 16, v23
	v_add_u16_e32 v22, v24, v22
	v_or_b32_e32 v26, v26, v22
	v_mov_b32_e32 v22, v29
	v_mov_b32_e32 v24, v23
.LBB1375_143:
	s_or_b64 exec, exec, s[50:51]
	v_mov_b32_dpp v28, v26 row_shr:4 row_mask:0xf bank_mask:0xf
	v_cmp_lt_u32_e32 vcc, 3, v27
	s_and_saveexec_b64 s[50:51], vcc
	s_cbranch_execz .LBB1375_145
; %bb.144:
	v_mov_b32_e32 v23, 0
	v_cmp_eq_u16_sdwa vcc, v24, v23 src0_sel:BYTE_0 src1_sel:DWORD
	v_and_b32_e32 v23, 1, v24
	v_mov_b32_e32 v24, 1
	v_cndmask_b32_e32 v26, 0, v28, vcc
	v_and_b32_sdwa v24, v28, v24 dst_sel:DWORD dst_unused:UNUSED_PAD src0_sel:WORD_1 src1_sel:DWORD
	v_cmp_eq_u32_e32 vcc, 1, v23
	v_cndmask_b32_e64 v23, v24, 1, vcc
	v_add_u16_e32 v29, v26, v22
	v_lshlrev_b32_e32 v24, 16, v23
	v_add_u16_e32 v22, v26, v22
	v_or_b32_e32 v26, v24, v22
	v_mov_b32_e32 v22, v29
	v_mov_b32_e32 v24, v23
.LBB1375_145:
	s_or_b64 exec, exec, s[50:51]
	v_mov_b32_dpp v28, v26 row_shr:8 row_mask:0xf bank_mask:0xf
	v_cmp_lt_u32_e32 vcc, 7, v27
	s_and_saveexec_b64 s[50:51], vcc
	s_cbranch_execz .LBB1375_147
; %bb.146:
	v_mov_b32_e32 v23, 0
	v_cmp_eq_u16_sdwa vcc, v24, v23 src0_sel:BYTE_0 src1_sel:DWORD
	v_and_b32_e32 v23, 1, v24
	v_mov_b32_e32 v24, 1
	v_cndmask_b32_e32 v26, 0, v28, vcc
	v_and_b32_sdwa v24, v28, v24 dst_sel:DWORD dst_unused:UNUSED_PAD src0_sel:WORD_1 src1_sel:DWORD
	v_cmp_eq_u32_e32 vcc, 1, v23
	v_cndmask_b32_e64 v23, v24, 1, vcc
	v_add_u16_e32 v27, v26, v22
	v_lshlrev_b32_e32 v24, 16, v23
	v_add_u16_e32 v22, v26, v22
	v_or_b32_e32 v26, v24, v22
	v_mov_b32_e32 v22, v27
	v_mov_b32_e32 v24, v23
.LBB1375_147:
	s_or_b64 exec, exec, s[50:51]
	v_and_b32_e32 v28, 16, v25
	v_mov_b32_dpp v27, v26 row_bcast:15 row_mask:0xf bank_mask:0xf
	v_cmp_ne_u32_e32 vcc, 0, v28
	s_and_saveexec_b64 s[50:51], vcc
	s_cbranch_execz .LBB1375_149
; %bb.148:
	v_mov_b32_e32 v23, 0
	v_cmp_eq_u16_sdwa vcc, v24, v23 src0_sel:BYTE_0 src1_sel:DWORD
	v_and_b32_e32 v23, 1, v24
	v_mov_b32_e32 v24, 1
	v_cndmask_b32_e32 v26, 0, v27, vcc
	v_and_b32_sdwa v24, v27, v24 dst_sel:DWORD dst_unused:UNUSED_PAD src0_sel:WORD_1 src1_sel:DWORD
	v_cmp_eq_u32_e32 vcc, 1, v23
	v_cndmask_b32_e64 v23, v24, 1, vcc
	v_add_u16_e32 v28, v26, v22
	v_lshlrev_b32_e32 v24, 16, v23
	v_add_u16_e32 v22, v26, v22
	v_or_b32_e32 v26, v24, v22
	v_mov_b32_e32 v22, v28
	v_mov_b32_e32 v24, v23
.LBB1375_149:
	s_or_b64 exec, exec, s[50:51]
	v_mov_b32_dpp v26, v26 row_bcast:31 row_mask:0xf bank_mask:0xf
	v_cmp_lt_u32_e32 vcc, 31, v25
	s_and_saveexec_b64 s[50:51], vcc
; %bb.150:
	v_mov_b32_e32 v23, 0
	v_cmp_eq_u16_sdwa vcc, v24, v23 src0_sel:BYTE_0 src1_sel:DWORD
	v_cndmask_b32_e32 v23, 0, v26, vcc
	v_add_u16_e32 v22, v23, v22
	v_and_b32_e32 v23, 1, v24
	v_mov_b32_e32 v24, 1
	v_and_b32_sdwa v24, v26, v24 dst_sel:DWORD dst_unused:UNUSED_PAD src0_sel:WORD_1 src1_sel:DWORD
	v_cmp_eq_u32_e32 vcc, 1, v23
	v_cndmask_b32_e64 v23, v24, 1, vcc
	v_mov_b32_e32 v24, v23
; %bb.151:
	s_or_b64 exec, exec, s[50:51]
	v_cmp_eq_u32_e32 vcc, 63, v0
	s_and_saveexec_b64 s[50:51], vcc
	s_cbranch_execz .LBB1375_153
; %bb.152:
	v_mov_b32_e32 v26, 0
	ds_write_b16 v26, v22
	ds_write_b8 v26, v24 offset:2
.LBB1375_153:
	s_or_b64 exec, exec, s[50:51]
	v_and_b32_e32 v23, 0xff, v23
	v_and_b32_e32 v22, 0xffff, v22
	v_lshl_or_b32 v22, v23, 16, v22
	v_add_u32_e32 v23, -1, v25
	v_and_b32_e32 v24, 64, v25
	v_cmp_lt_i32_e32 vcc, v23, v24
	v_cndmask_b32_e32 v23, v23, v25, vcc
	v_lshlrev_b32_e32 v23, 2, v23
	ds_bpermute_b32 v35, v23, v22
	v_cmp_gt_u32_e32 vcc, 64, v0
	s_waitcnt lgkmcnt(0)
	; wave barrier
	s_waitcnt lgkmcnt(0)
	s_and_saveexec_b64 s[54:55], vcc
	s_cbranch_execz .LBB1375_200
; %bb.154:
	v_mov_b32_e32 v31, 0
	ds_read_b32 v22, v31
	s_mov_b32 s65, 0
	v_cmp_eq_u32_e64 s[50:51], 0, v25
	s_and_saveexec_b64 s[60:61], s[50:51]
	s_cbranch_execz .LBB1375_156
; %bb.155:
	s_add_i32 s64, s6, 64
	s_lshl_b64 s[64:65], s[64:65], 3
	s_add_u32 s64, s68, s64
	v_mov_b32_e32 v23, 1
	s_addc_u32 s65, s69, s65
	s_waitcnt lgkmcnt(0)
	global_store_dwordx2 v31, v[22:23], s[64:65]
.LBB1375_156:
	s_or_b64 exec, exec, s[60:61]
	v_xad_u32 v24, v25, -1, s6
	v_add_u32_e32 v30, 64, v24
	v_lshlrev_b64 v[26:27], 3, v[30:31]
	v_mov_b32_e32 v23, s69
	v_add_co_u32_e32 v26, vcc, s68, v26
	v_addc_co_u32_e32 v27, vcc, v23, v27, vcc
	global_load_dwordx2 v[28:29], v[26:27], off glc
	s_waitcnt vmcnt(0)
	v_cmp_eq_u16_sdwa s[64:65], v29, v31 src0_sel:BYTE_0 src1_sel:DWORD
	s_and_saveexec_b64 s[60:61], s[64:65]
	s_cbranch_execz .LBB1375_162
; %bb.157:
	s_mov_b32 s7, 1
	s_mov_b64 s[64:65], 0
	v_mov_b32_e32 v23, 0
.LBB1375_158:                           ; =>This Loop Header: Depth=1
                                        ;     Child Loop BB1375_159 Depth 2
	s_max_u32 s66, s7, 1
.LBB1375_159:                           ;   Parent Loop BB1375_158 Depth=1
                                        ; =>  This Inner Loop Header: Depth=2
	s_add_i32 s66, s66, -1
	s_cmp_eq_u32 s66, 0
	s_sleep 1
	s_cbranch_scc0 .LBB1375_159
; %bb.160:                              ;   in Loop: Header=BB1375_158 Depth=1
	global_load_dwordx2 v[28:29], v[26:27], off glc
	s_cmp_lt_u32 s7, 32
	s_cselect_b64 s[66:67], -1, 0
	s_cmp_lg_u64 s[66:67], 0
	s_addc_u32 s7, s7, 0
	s_waitcnt vmcnt(0)
	v_cmp_ne_u16_sdwa s[66:67], v29, v23 src0_sel:BYTE_0 src1_sel:DWORD
	s_or_b64 s[64:65], s[66:67], s[64:65]
	s_andn2_b64 exec, exec, s[64:65]
	s_cbranch_execnz .LBB1375_158
; %bb.161:
	s_or_b64 exec, exec, s[64:65]
.LBB1375_162:
	s_or_b64 exec, exec, s[60:61]
	v_mov_b32_e32 v23, 2
	v_cmp_eq_u16_sdwa s[60:61], v29, v23 src0_sel:BYTE_0 src1_sel:DWORD
	v_lshlrev_b64 v[26:27], v25, -1
	v_and_b32_e32 v23, s61, v27
	v_or_b32_e32 v23, 0x80000000, v23
	v_ffbl_b32_e32 v23, v23
	v_add_u32_e32 v31, 32, v23
	v_and_b32_e32 v23, 63, v25
	v_cmp_ne_u32_e32 vcc, 63, v23
	v_addc_co_u32_e32 v36, vcc, 0, v25, vcc
	v_and_b32_e32 v47, 0xffffff, v28
	v_lshlrev_b32_e32 v36, 2, v36
	ds_bpermute_b32 v37, v36, v47
	v_and_b32_e32 v30, s60, v26
	v_ffbl_b32_e32 v30, v30
	v_min_u32_e32 v31, v30, v31
	v_lshrrev_b32_e32 v30, 16, v28
	v_cmp_lt_u32_e32 vcc, v23, v31
	v_bfe_u32 v45, v28, 16, 8
	s_and_saveexec_b64 s[60:61], vcc
	s_cbranch_execz .LBB1375_164
; %bb.163:
	v_and_b32_e32 v30, 0xff0000, v28
	v_cmp_eq_u32_e32 vcc, 0, v30
	v_and_b32_e32 v30, 0x10000, v30
	v_mov_b32_e32 v40, 1
	s_waitcnt lgkmcnt(0)
	v_cndmask_b32_e32 v38, 0, v37, vcc
	v_and_b32_sdwa v37, v37, v40 dst_sel:DWORD dst_unused:UNUSED_PAD src0_sel:WORD_1 src1_sel:DWORD
	v_cmp_ne_u32_e32 vcc, 0, v30
	v_cndmask_b32_e64 v30, v37, 1, vcc
	v_add_u16_e32 v39, v38, v28
	v_lshlrev_b32_e32 v37, 16, v30
	v_add_u16_e32 v28, v38, v28
	v_or_b32_e32 v47, v37, v28
	v_mov_b32_e32 v28, v39
	v_mov_b32_e32 v45, v30
.LBB1375_164:
	s_or_b64 exec, exec, s[60:61]
	v_cmp_gt_u32_e32 vcc, 62, v23
	s_waitcnt lgkmcnt(0)
	v_cndmask_b32_e64 v37, 0, 1, vcc
	v_lshlrev_b32_e32 v37, 1, v37
	v_add_lshl_u32 v37, v37, v25, 2
	ds_bpermute_b32 v39, v37, v47
	v_add_u32_e32 v38, 2, v23
	v_cmp_le_u32_e32 vcc, v38, v31
	s_and_saveexec_b64 s[60:61], vcc
	s_cbranch_execz .LBB1375_166
; %bb.165:
	v_cmp_eq_u16_e32 vcc, 0, v45
	v_and_b32_e32 v30, 1, v45
	v_mov_b32_e32 v42, 1
	s_waitcnt lgkmcnt(0)
	v_cndmask_b32_e32 v40, 0, v39, vcc
	v_and_b32_sdwa v39, v39, v42 dst_sel:DWORD dst_unused:UNUSED_PAD src0_sel:WORD_1 src1_sel:DWORD
	v_cmp_eq_u32_e32 vcc, 1, v30
	v_cndmask_b32_e64 v30, v39, 1, vcc
	v_add_u16_e32 v41, v40, v28
	v_lshlrev_b32_e32 v39, 16, v30
	v_add_u16_e32 v28, v40, v28
	v_or_b32_e32 v47, v39, v28
	v_mov_b32_e32 v28, v41
	v_mov_b32_e32 v45, v30
.LBB1375_166:
	s_or_b64 exec, exec, s[60:61]
	v_cmp_gt_u32_e32 vcc, 60, v23
	s_waitcnt lgkmcnt(0)
	v_cndmask_b32_e64 v39, 0, 1, vcc
	v_lshlrev_b32_e32 v39, 2, v39
	v_add_lshl_u32 v39, v39, v25, 2
	ds_bpermute_b32 v41, v39, v47
	v_add_u32_e32 v40, 4, v23
	v_cmp_le_u32_e32 vcc, v40, v31
	s_and_saveexec_b64 s[60:61], vcc
	s_cbranch_execz .LBB1375_168
; %bb.167:
	v_cmp_eq_u16_e32 vcc, 0, v45
	v_and_b32_e32 v30, 1, v45
	v_mov_b32_e32 v44, 1
	s_waitcnt lgkmcnt(0)
	v_cndmask_b32_e32 v42, 0, v41, vcc
	v_and_b32_sdwa v41, v41, v44 dst_sel:DWORD dst_unused:UNUSED_PAD src0_sel:WORD_1 src1_sel:DWORD
	v_cmp_eq_u32_e32 vcc, 1, v30
	v_cndmask_b32_e64 v30, v41, 1, vcc
	v_add_u16_e32 v43, v42, v28
	v_lshlrev_b32_e32 v41, 16, v30
	v_add_u16_e32 v28, v42, v28
	v_or_b32_e32 v47, v41, v28
	v_mov_b32_e32 v28, v43
	v_mov_b32_e32 v45, v30
.LBB1375_168:
	;; [unrolled: 27-line block ×4, first 2 shown]
	s_or_b64 exec, exec, s[60:61]
	v_cmp_gt_u32_e32 vcc, 32, v23
	s_waitcnt lgkmcnt(0)
	v_cndmask_b32_e64 v46, 0, 1, vcc
	v_lshlrev_b32_e32 v46, 5, v46
	v_add_lshl_u32 v46, v46, v25, 2
	ds_bpermute_b32 v25, v46, v47
	v_add_u32_e32 v48, 32, v23
	v_cmp_le_u32_e32 vcc, v48, v31
	s_and_saveexec_b64 s[60:61], vcc
	s_cbranch_execz .LBB1375_174
; %bb.173:
	v_cmp_eq_u16_e32 vcc, 0, v45
	s_waitcnt lgkmcnt(0)
	v_cndmask_b32_e32 v30, 0, v25, vcc
	v_add_u16_e32 v28, v30, v28
	v_and_b32_e32 v30, 1, v45
	v_mov_b32_e32 v31, 1
	v_and_b32_sdwa v25, v25, v31 dst_sel:DWORD dst_unused:UNUSED_PAD src0_sel:WORD_1 src1_sel:DWORD
	v_cmp_eq_u32_e32 vcc, 1, v30
	v_cndmask_b32_e64 v30, v25, 1, vcc
.LBB1375_174:
	s_or_b64 exec, exec, s[60:61]
	s_waitcnt lgkmcnt(0)
	v_mov_b32_e32 v25, 0
	v_mov_b32_e32 v49, 2
	;; [unrolled: 1-line block ×3, first 2 shown]
	s_branch .LBB1375_176
.LBB1375_175:                           ;   in Loop: Header=BB1375_176 Depth=1
	s_or_b64 exec, exec, s[60:61]
	v_cmp_eq_u16_sdwa vcc, v45, v25 src0_sel:BYTE_0 src1_sel:DWORD
	v_and_b32_e32 v30, 1, v45
	v_cndmask_b32_e32 v28, 0, v28, vcc
	v_and_b32_e32 v31, 1, v31
	v_cmp_eq_u32_e32 vcc, 1, v30
	v_subrev_u32_e32 v24, 64, v24
	v_add_u16_e32 v28, v28, v47
	v_cndmask_b32_e64 v30, v31, 1, vcc
.LBB1375_176:                           ; =>This Loop Header: Depth=1
                                        ;     Child Loop BB1375_179 Depth 2
                                        ;       Child Loop BB1375_180 Depth 3
	v_cmp_ne_u16_sdwa s[60:61], v29, v49 src0_sel:BYTE_0 src1_sel:DWORD
	v_cndmask_b32_e64 v29, 0, 1, s[60:61]
	;;#ASMSTART
	;;#ASMEND
	v_cmp_ne_u32_e32 vcc, 0, v29
	v_mov_b32_e32 v45, v30
	s_cmp_lg_u64 vcc, exec
	v_mov_b32_e32 v47, v28
	s_cbranch_scc1 .LBB1375_195
; %bb.177:                              ;   in Loop: Header=BB1375_176 Depth=1
	v_lshlrev_b64 v[28:29], 3, v[24:25]
	v_mov_b32_e32 v31, s69
	v_add_co_u32_e32 v30, vcc, s68, v28
	v_addc_co_u32_e32 v31, vcc, v31, v29, vcc
	global_load_dwordx2 v[28:29], v[30:31], off glc
	s_waitcnt vmcnt(0)
	v_cmp_eq_u16_sdwa s[64:65], v29, v25 src0_sel:BYTE_0 src1_sel:DWORD
	s_and_saveexec_b64 s[60:61], s[64:65]
	s_cbranch_execz .LBB1375_183
; %bb.178:                              ;   in Loop: Header=BB1375_176 Depth=1
	s_mov_b32 s7, 1
	s_mov_b64 s[64:65], 0
.LBB1375_179:                           ;   Parent Loop BB1375_176 Depth=1
                                        ; =>  This Loop Header: Depth=2
                                        ;       Child Loop BB1375_180 Depth 3
	s_max_u32 s66, s7, 1
.LBB1375_180:                           ;   Parent Loop BB1375_176 Depth=1
                                        ;     Parent Loop BB1375_179 Depth=2
                                        ; =>    This Inner Loop Header: Depth=3
	s_add_i32 s66, s66, -1
	s_cmp_eq_u32 s66, 0
	s_sleep 1
	s_cbranch_scc0 .LBB1375_180
; %bb.181:                              ;   in Loop: Header=BB1375_179 Depth=2
	global_load_dwordx2 v[28:29], v[30:31], off glc
	s_cmp_lt_u32 s7, 32
	s_cselect_b64 s[66:67], -1, 0
	s_cmp_lg_u64 s[66:67], 0
	s_addc_u32 s7, s7, 0
	s_waitcnt vmcnt(0)
	v_cmp_ne_u16_sdwa s[66:67], v29, v25 src0_sel:BYTE_0 src1_sel:DWORD
	s_or_b64 s[64:65], s[66:67], s[64:65]
	s_andn2_b64 exec, exec, s[64:65]
	s_cbranch_execnz .LBB1375_179
; %bb.182:                              ;   in Loop: Header=BB1375_176 Depth=1
	s_or_b64 exec, exec, s[64:65]
.LBB1375_183:                           ;   in Loop: Header=BB1375_176 Depth=1
	s_or_b64 exec, exec, s[60:61]
	v_cmp_eq_u16_sdwa s[60:61], v29, v49 src0_sel:BYTE_0 src1_sel:DWORD
	v_and_b32_e32 v30, s61, v27
	s_waitcnt lgkmcnt(0)
	v_and_b32_e32 v54, 0xffffff, v28
	v_or_b32_e32 v30, 0x80000000, v30
	ds_bpermute_b32 v55, v36, v54
	v_and_b32_e32 v31, s60, v26
	v_ffbl_b32_e32 v30, v30
	v_add_u32_e32 v30, 32, v30
	v_ffbl_b32_e32 v31, v31
	v_min_u32_e32 v30, v31, v30
	v_lshrrev_b32_e32 v31, 16, v28
	v_cmp_lt_u32_e32 vcc, v23, v30
	v_bfe_u32 v53, v28, 16, 8
	s_and_saveexec_b64 s[60:61], vcc
	s_cbranch_execz .LBB1375_185
; %bb.184:                              ;   in Loop: Header=BB1375_176 Depth=1
	v_and_b32_e32 v31, 0xff0000, v28
	v_cmp_eq_u32_e32 vcc, 0, v31
	v_and_b32_e32 v31, 0x10000, v31
	s_waitcnt lgkmcnt(0)
	v_cndmask_b32_e32 v53, 0, v55, vcc
	v_and_b32_sdwa v54, v55, v52 dst_sel:DWORD dst_unused:UNUSED_PAD src0_sel:WORD_1 src1_sel:DWORD
	v_cmp_ne_u32_e32 vcc, 0, v31
	v_cndmask_b32_e64 v31, v54, 1, vcc
	v_add_u16_e32 v56, v53, v28
	v_lshlrev_b32_e32 v54, 16, v31
	v_add_u16_e32 v28, v53, v28
	v_or_b32_e32 v54, v54, v28
	v_mov_b32_e32 v28, v56
	v_mov_b32_e32 v53, v31
.LBB1375_185:                           ;   in Loop: Header=BB1375_176 Depth=1
	s_or_b64 exec, exec, s[60:61]
	s_waitcnt lgkmcnt(0)
	ds_bpermute_b32 v55, v37, v54
	v_cmp_le_u32_e32 vcc, v38, v30
	s_and_saveexec_b64 s[60:61], vcc
	s_cbranch_execz .LBB1375_187
; %bb.186:                              ;   in Loop: Header=BB1375_176 Depth=1
	v_cmp_eq_u16_e32 vcc, 0, v53
	v_and_b32_e32 v31, 1, v53
	s_waitcnt lgkmcnt(0)
	v_cndmask_b32_e32 v54, 0, v55, vcc
	v_and_b32_sdwa v53, v55, v52 dst_sel:DWORD dst_unused:UNUSED_PAD src0_sel:WORD_1 src1_sel:DWORD
	v_cmp_eq_u32_e32 vcc, 1, v31
	v_cndmask_b32_e64 v31, v53, 1, vcc
	v_add_u16_e32 v56, v54, v28
	v_lshlrev_b32_e32 v53, 16, v31
	v_add_u16_e32 v28, v54, v28
	v_or_b32_e32 v54, v53, v28
	v_mov_b32_e32 v28, v56
	v_mov_b32_e32 v53, v31
.LBB1375_187:                           ;   in Loop: Header=BB1375_176 Depth=1
	s_or_b64 exec, exec, s[60:61]
	s_waitcnt lgkmcnt(0)
	ds_bpermute_b32 v55, v39, v54
	v_cmp_le_u32_e32 vcc, v40, v30
	s_and_saveexec_b64 s[60:61], vcc
	s_cbranch_execz .LBB1375_189
; %bb.188:                              ;   in Loop: Header=BB1375_176 Depth=1
	v_cmp_eq_u16_e32 vcc, 0, v53
	v_and_b32_e32 v31, 1, v53
	s_waitcnt lgkmcnt(0)
	v_cndmask_b32_e32 v54, 0, v55, vcc
	v_and_b32_sdwa v53, v55, v52 dst_sel:DWORD dst_unused:UNUSED_PAD src0_sel:WORD_1 src1_sel:DWORD
	v_cmp_eq_u32_e32 vcc, 1, v31
	v_cndmask_b32_e64 v31, v53, 1, vcc
	v_add_u16_e32 v56, v54, v28
	v_lshlrev_b32_e32 v53, 16, v31
	v_add_u16_e32 v28, v54, v28
	v_or_b32_e32 v54, v53, v28
	v_mov_b32_e32 v28, v56
	v_mov_b32_e32 v53, v31
.LBB1375_189:                           ;   in Loop: Header=BB1375_176 Depth=1
	;; [unrolled: 21-line block ×4, first 2 shown]
	s_or_b64 exec, exec, s[60:61]
	ds_bpermute_b32 v54, v46, v54
	v_cmp_le_u32_e32 vcc, v48, v30
	s_and_saveexec_b64 s[60:61], vcc
	s_cbranch_execz .LBB1375_175
; %bb.194:                              ;   in Loop: Header=BB1375_176 Depth=1
	v_cmp_eq_u16_e32 vcc, 0, v53
	s_waitcnt lgkmcnt(0)
	v_cndmask_b32_e32 v30, 0, v54, vcc
	v_add_u16_e32 v28, v30, v28
	v_and_b32_e32 v30, 1, v53
	v_lshrrev_b32_e32 v31, 16, v54
	v_cmp_eq_u32_e32 vcc, 1, v30
	v_cndmask_b32_e64 v31, v31, 1, vcc
	s_branch .LBB1375_175
.LBB1375_195:                           ;   in Loop: Header=BB1375_176 Depth=1
                                        ; implicit-def: $vgpr30
                                        ; implicit-def: $vgpr28
	s_cbranch_execz .LBB1375_176
; %bb.196:
	s_and_saveexec_b64 s[60:61], s[50:51]
	s_cbranch_execz .LBB1375_198
; %bb.197:
	v_and_b32_e32 v23, 0xff0000, v22
	s_mov_b32 s7, 0
	v_cmp_eq_u32_e32 vcc, 0, v23
	v_and_b32_e32 v24, 0x10000, v22
	v_mov_b32_e32 v25, 1
	s_add_i32 s6, s6, 64
	v_cndmask_b32_e32 v23, 0, v47, vcc
	v_and_b32_sdwa v25, v45, v25 dst_sel:WORD_1 dst_unused:UNUSED_PAD src0_sel:DWORD src1_sel:DWORD
	v_mov_b32_e32 v26, 0x10000
	v_cmp_eq_u32_e32 vcc, 0, v24
	s_lshl_b64 s[6:7], s[6:7], 3
	v_cndmask_b32_e32 v24, v26, v25, vcc
	s_add_u32 s6, s68, s6
	v_add_u16_e32 v22, v23, v22
	s_addc_u32 s7, s69, s7
	v_mov_b32_e32 v25, 0
	v_or_b32_e32 v22, v24, v22
	v_mov_b32_e32 v23, 2
	global_store_dwordx2 v25, v[22:23], s[6:7]
.LBB1375_198:
	s_or_b64 exec, exec, s[60:61]
	v_cmp_eq_u32_e32 vcc, 0, v0
	s_and_b64 exec, exec, vcc
	s_cbranch_execz .LBB1375_200
; %bb.199:
	v_mov_b32_e32 v22, 0
	ds_write_b16 v22, v47
	ds_write_b8 v22, v45 offset:2
.LBB1375_200:
	s_or_b64 exec, exec, s[54:55]
	v_mov_b32_e32 v22, 0
	s_mov_b32 s6, 0x10000
	s_waitcnt lgkmcnt(0)
	; wave barrier
	s_waitcnt lgkmcnt(0)
	ds_read_b32 v23, v22
	v_cmp_gt_u32_e32 vcc, s6, v1
	v_and_b32_e32 v25, 0x10000, v1
	v_mov_b32_e32 v26, 1
	v_cndmask_b32_e32 v24, 0, v35, vcc
	v_and_b32_sdwa v26, v35, v26 dst_sel:DWORD dst_unused:UNUSED_PAD src0_sel:WORD_1 src1_sel:DWORD
	v_cmp_ne_u32_e32 vcc, 0, v25
	v_cndmask_b32_e64 v25, v26, 1, vcc
	v_cmp_eq_u32_e32 vcc, 0, v0
	v_cndmask_b32_e32 v25, v25, v34, vcc
	v_cndmask_b32_e64 v24, v24, 0, vcc
	v_cmp_eq_u16_sdwa vcc, v25, v22 src0_sel:BYTE_0 src1_sel:DWORD
	v_add_u16_e32 v24, v24, v1
	s_waitcnt lgkmcnt(0)
	v_cndmask_b32_e32 v22, 0, v23, vcc
	v_add_u16_e32 v47, v24, v22
	v_cndmask_b32_e64 v22, 0, v47, s[2:3]
	v_add_u16_e32 v22, v22, v50
	v_cndmask_b32_e64 v23, 0, v22, s[4:5]
	;; [unrolled: 2-line block ×23, first 2 shown]
	v_add_u16_e32 v46, v46, v32
	s_branch .LBB1375_223
.LBB1375_201:
                                        ; implicit-def: $vgpr47
                                        ; implicit-def: $vgpr22
                                        ; implicit-def: $vgpr23
                                        ; implicit-def: $vgpr24
                                        ; implicit-def: $vgpr25
                                        ; implicit-def: $vgpr26
                                        ; implicit-def: $vgpr27
                                        ; implicit-def: $vgpr29
                                        ; implicit-def: $vgpr28
                                        ; implicit-def: $vgpr30
                                        ; implicit-def: $vgpr31
                                        ; implicit-def: $vgpr34
                                        ; implicit-def: $vgpr35
                                        ; implicit-def: $vgpr36
                                        ; implicit-def: $vgpr37
                                        ; implicit-def: $vgpr39
                                        ; implicit-def: $vgpr38
                                        ; implicit-def: $vgpr40
                                        ; implicit-def: $vgpr41
                                        ; implicit-def: $vgpr42
                                        ; implicit-def: $vgpr43
                                        ; implicit-def: $vgpr44
                                        ; implicit-def: $vgpr45
                                        ; implicit-def: $vgpr46
	s_cbranch_execz .LBB1375_223
; %bb.202:
	s_cmp_lg_u64 s[74:75], 0
	s_cselect_b32 s5, s63, 0
	s_cselect_b32 s4, s62, 0
	s_cmp_lg_u64 s[4:5], 0
	s_cselect_b64 s[6:7], -1, 0
	v_cmp_eq_u32_e32 vcc, 0, v0
	v_cmp_ne_u32_e64 s[2:3], 0, v0
	s_and_b64 s[8:9], vcc, s[6:7]
	s_and_saveexec_b64 s[6:7], s[8:9]
	s_cbranch_execz .LBB1375_204
; %bb.203:
	v_mov_b32_e32 v22, 0
	global_load_ushort v23, v22, s[4:5]
	global_load_ubyte v24, v22, s[4:5] offset:2
	s_mov_b32 s4, 0x10000
	v_and_b32_e32 v22, 0x10000, v1
	v_mov_b32_e32 v25, 1
	v_cmp_gt_u32_e64 s[4:5], s4, v1
	v_mov_b32_e32 v26, 0x10000
	s_waitcnt vmcnt(1)
	v_cndmask_b32_e64 v23, 0, v23, s[4:5]
	s_waitcnt vmcnt(0)
	v_and_b32_sdwa v24, v24, v25 dst_sel:WORD_1 dst_unused:UNUSED_PAD src0_sel:DWORD src1_sel:DWORD
	v_cmp_eq_u32_e64 s[4:5], 0, v22
	v_add_u16_e32 v1, v23, v1
	v_cndmask_b32_e64 v22, v26, v24, s[4:5]
	v_or_b32_e32 v1, v22, v1
.LBB1375_204:
	s_or_b64 exec, exec, s[6:7]
	s_mov_b32 s50, 0x10000
	v_cmp_gt_u32_e64 s[4:5], s50, v50
	v_cndmask_b32_e64 v22, 0, v1, s[4:5]
	v_add_u16_e32 v22, v22, v50
	v_cmp_gt_u32_e64 s[6:7], s50, v51
	v_cndmask_b32_e64 v23, 0, v22, s[6:7]
	v_add_u16_e32 v23, v23, v51
	;; [unrolled: 3-line block ×4, first 2 shown]
	v_cmp_gt_u32_e64 s[12:13], s50, v20
	v_bfe_u32 v28, v19, 16, 1
	v_mov_b32_e32 v52, 1
	v_cndmask_b32_e64 v26, 0, v25, s[12:13]
	v_lshlrev_b16_e32 v28, 1, v28
	v_and_b32_sdwa v29, v18, v52 dst_sel:DWORD dst_unused:UNUSED_PAD src0_sel:WORD_1 src1_sel:DWORD
	v_add_u16_e32 v26, v26, v20
	v_cmp_gt_u32_e64 s[14:15], s50, v21
	v_or_b32_e32 v28, v29, v28
	v_bfe_u32 v29, v21, 16, 1
	v_and_b32_sdwa v30, v20, v52 dst_sel:DWORD dst_unused:UNUSED_PAD src0_sel:WORD_1 src1_sel:DWORD
	v_cndmask_b32_e64 v27, 0, v26, s[14:15]
	v_lshlrev_b16_e32 v29, 3, v29
	v_lshlrev_b16_e32 v30, 2, v30
	v_add_u16_e32 v27, v27, v21
	v_or_b32_e32 v29, v29, v30
	v_cmp_gt_u32_e64 s[16:17], s50, v2
	v_or_b32_e32 v46, v28, v29
	v_cndmask_b32_e64 v28, 0, v27, s[16:17]
	v_add_u16_e32 v29, v28, v2
	v_cmp_gt_u32_e64 s[18:19], s50, v3
	v_cndmask_b32_e64 v28, 0, v29, s[18:19]
	v_bfe_u32 v48, v11, 16, 1
	v_add_u16_e32 v28, v28, v3
	v_cmp_gt_u32_e64 s[20:21], s50, v4
	v_lshlrev_b16_e32 v48, 1, v48
	v_and_b32_sdwa v49, v10, v52 dst_sel:DWORD dst_unused:UNUSED_PAD src0_sel:WORD_1 src1_sel:DWORD
	v_cndmask_b32_e64 v30, 0, v28, s[20:21]
	v_or_b32_e32 v48, v49, v48
	v_bfe_u32 v49, v13, 16, 1
	v_and_b32_sdwa v53, v12, v52 dst_sel:DWORD dst_unused:UNUSED_PAD src0_sel:WORD_1 src1_sel:DWORD
	v_add_u16_e32 v30, v30, v4
	v_cmp_gt_u32_e64 s[22:23], s50, v5
	v_lshlrev_b16_e32 v49, 3, v49
	v_lshlrev_b16_e32 v53, 2, v53
	v_cndmask_b32_e64 v31, 0, v30, s[22:23]
	v_or_b32_e32 v49, v49, v53
	v_add_u16_e32 v31, v31, v5
	v_cmp_gt_u32_e64 s[24:25], s50, v6
	v_or_b32_sdwa v48, v48, v49 dst_sel:BYTE_1 dst_unused:UNUSED_PAD src0_sel:DWORD src1_sel:DWORD
	v_bfe_u32 v49, v15, 16, 1
	v_cndmask_b32_e64 v34, 0, v31, s[24:25]
	v_lshlrev_b16_e32 v49, 1, v49
	v_and_b32_sdwa v53, v14, v52 dst_sel:DWORD dst_unused:UNUSED_PAD src0_sel:WORD_1 src1_sel:DWORD
	v_add_u16_e32 v34, v34, v6
	v_cmp_gt_u32_e64 s[26:27], s50, v7
	v_or_b32_e32 v49, v53, v49
	v_bfe_u32 v53, v17, 16, 1
	v_and_b32_sdwa v54, v16, v52 dst_sel:DWORD dst_unused:UNUSED_PAD src0_sel:WORD_1 src1_sel:DWORD
	v_cndmask_b32_e64 v35, 0, v34, s[26:27]
	v_lshlrev_b16_e32 v53, 3, v53
	v_lshlrev_b16_e32 v54, 2, v54
	v_add_u16_e32 v35, v35, v7
	v_cmp_gt_u32_e64 s[28:29], s50, v8
	v_or_b32_e32 v53, v53, v54
	v_cndmask_b32_e64 v36, 0, v35, s[28:29]
	v_or_b32_e32 v49, v49, v53
	v_add_u16_e32 v36, v36, v8
	v_cmp_gt_u32_e64 s[30:31], s50, v9
	v_lshlrev_b16_e32 v49, 12, v49
	v_cndmask_b32_e64 v37, 0, v36, s[30:31]
	v_or_b32_e32 v48, v49, v48
	v_bfe_u32 v49, v3, 16, 1
	v_add_u16_e32 v37, v37, v9
	v_cmp_gt_u32_e64 s[34:35], s50, v10
	v_lshlrev_b16_e32 v49, 1, v49
	v_and_b32_sdwa v53, v2, v52 dst_sel:DWORD dst_unused:UNUSED_PAD src0_sel:WORD_1 src1_sel:DWORD
	v_cndmask_b32_e64 v38, 0, v37, s[34:35]
	v_or_b32_e32 v49, v53, v49
	v_bfe_u32 v53, v5, 16, 1
	v_and_b32_sdwa v54, v4, v52 dst_sel:DWORD dst_unused:UNUSED_PAD src0_sel:WORD_1 src1_sel:DWORD
	v_add_u16_e32 v39, v38, v10
	v_cmp_gt_u32_e64 s[36:37], s50, v11
	v_lshlrev_b16_e32 v53, 3, v53
	v_lshlrev_b16_e32 v54, 2, v54
	v_cndmask_b32_e64 v38, 0, v39, s[36:37]
	v_or_b32_e32 v53, v53, v54
	v_add_u16_e32 v38, v38, v11
	v_cmp_gt_u32_e64 s[38:39], s50, v12
	v_or_b32_e32 v49, v49, v53
	v_bfe_u32 v53, v7, 16, 1
	v_cndmask_b32_e64 v40, 0, v38, s[38:39]
	v_lshlrev_b16_e32 v53, 1, v53
	v_and_b32_sdwa v54, v6, v52 dst_sel:DWORD dst_unused:UNUSED_PAD src0_sel:WORD_1 src1_sel:DWORD
	v_add_u16_e32 v40, v40, v12
	v_cmp_gt_u32_e64 s[40:41], s50, v13
	v_or_b32_e32 v53, v54, v53
	v_bfe_u32 v54, v9, 16, 1
	v_and_b32_sdwa v55, v8, v52 dst_sel:DWORD dst_unused:UNUSED_PAD src0_sel:WORD_1 src1_sel:DWORD
	v_cndmask_b32_e64 v41, 0, v40, s[40:41]
	v_lshlrev_b16_e32 v54, 3, v54
	v_lshlrev_b16_e32 v55, 2, v55
	v_add_u16_e32 v41, v41, v13
	v_cmp_gt_u32_e64 s[42:43], s50, v14
	v_or_b32_e32 v54, v54, v55
	v_cndmask_b32_e64 v42, 0, v41, s[42:43]
	v_or_b32_e32 v53, v53, v54
	v_add_u16_e32 v42, v42, v14
	v_cmp_gt_u32_e64 s[44:45], s50, v15
	v_lshlrev_b16_e32 v53, 4, v53
	v_cndmask_b32_e64 v43, 0, v42, s[44:45]
	v_or_b32_e32 v49, v49, v53
	v_add_u16_e32 v43, v43, v15
	v_cmp_gt_u32_e64 s[46:47], s50, v16
	v_or_b32_sdwa v49, v49, v48 dst_sel:DWORD dst_unused:UNUSED_PAD src0_sel:BYTE_0 src1_sel:DWORD
	v_cndmask_b32_e64 v44, 0, v43, s[46:47]
	v_or_b32_e32 v46, v49, v46
	v_add_u16_e32 v44, v44, v16
	v_cmp_gt_u32_e64 s[48:49], s50, v17
	v_cmp_ne_u16_e64 s[52:53], 0, v46
	v_or3_b32 v46, v51, v50, v32
	v_cndmask_b32_e64 v45, 0, v44, s[48:49]
	v_and_b32_e32 v46, 0x10000, v46
	v_add_u16_e32 v45, v45, v17
	v_cmp_gt_u32_e64 s[50:51], s50, v32
	v_cmp_ne_u32_e64 s[54:55], 0, v46
	v_lshrrev_b32_e32 v47, 16, v1
	v_cndmask_b32_e64 v53, 0, v45, s[50:51]
	s_or_b64 s[52:53], s[54:55], s[52:53]
	v_cndmask_b32_e64 v49, v47, 1, s[52:53]
	v_mbcnt_hi_u32_b32 v33, -1, v33
	v_add_u16_e32 v46, v53, v32
	v_add_u16_e32 v48, v53, v32
	v_and_b32_e32 v54, 15, v33
	v_lshl_or_b32 v53, v49, 16, v46
	v_cmp_ne_u32_e64 s[52:53], 0, v54
	s_nop 0
	v_mov_b32_dpp v55, v53 row_shr:1 row_mask:0xf bank_mask:0xf
	s_and_saveexec_b64 s[54:55], s[52:53]
; %bb.205:
	v_cmp_eq_u32_e64 s[52:53], 0, v49
	v_and_b32_e32 v49, 1, v49
	v_cndmask_b32_e64 v53, 0, v55, s[52:53]
	v_and_b32_sdwa v52, v55, v52 dst_sel:DWORD dst_unused:UNUSED_PAD src0_sel:WORD_1 src1_sel:DWORD
	v_cmp_eq_u32_e64 s[52:53], 1, v49
	v_cndmask_b32_e64 v49, v52, 1, s[52:53]
	v_add_u16_e32 v56, v48, v53
	v_lshlrev_b32_e32 v52, 16, v49
	v_add_u16_e32 v48, v48, v53
	v_or_b32_e32 v53, v52, v48
	v_mov_b32_e32 v48, v56
; %bb.206:
	s_or_b64 exec, exec, s[54:55]
	v_lshrrev_b32_e32 v52, 16, v53
	v_mov_b32_dpp v55, v53 row_shr:2 row_mask:0xf bank_mask:0xf
	v_cmp_lt_u32_e64 s[52:53], 1, v54
	s_and_saveexec_b64 s[54:55], s[52:53]
	s_cbranch_execz .LBB1375_208
; %bb.207:
	s_mov_b32 s52, 0x10000
	v_cmp_gt_u32_e64 s[52:53], s52, v53
	v_and_b32_e32 v49, 0x10000, v53
	v_mov_b32_e32 v53, 1
	v_cndmask_b32_e64 v52, 0, v55, s[52:53]
	v_and_b32_sdwa v53, v55, v53 dst_sel:DWORD dst_unused:UNUSED_PAD src0_sel:WORD_1 src1_sel:DWORD
	v_cmp_ne_u32_e64 s[52:53], 0, v49
	v_cndmask_b32_e64 v49, v53, 1, s[52:53]
	v_add_u16_e32 v56, v52, v48
	v_lshlrev_b32_e32 v53, 16, v49
	v_add_u16_e32 v48, v52, v48
	v_or_b32_e32 v53, v53, v48
	v_mov_b32_e32 v48, v56
	v_mov_b32_e32 v52, v49
.LBB1375_208:
	s_or_b64 exec, exec, s[54:55]
	v_mov_b32_dpp v55, v53 row_shr:4 row_mask:0xf bank_mask:0xf
	v_cmp_lt_u32_e64 s[52:53], 3, v54
	s_and_saveexec_b64 s[54:55], s[52:53]
	s_cbranch_execz .LBB1375_210
; %bb.209:
	v_mov_b32_e32 v49, 0
	v_cmp_eq_u16_sdwa s[52:53], v52, v49 src0_sel:BYTE_0 src1_sel:DWORD
	v_and_b32_e32 v49, 1, v52
	v_mov_b32_e32 v52, 1
	v_cndmask_b32_e64 v53, 0, v55, s[52:53]
	v_and_b32_sdwa v52, v55, v52 dst_sel:DWORD dst_unused:UNUSED_PAD src0_sel:WORD_1 src1_sel:DWORD
	v_cmp_eq_u32_e64 s[52:53], 1, v49
	v_cndmask_b32_e64 v49, v52, 1, s[52:53]
	v_add_u16_e32 v56, v53, v48
	v_lshlrev_b32_e32 v52, 16, v49
	v_add_u16_e32 v48, v53, v48
	v_or_b32_e32 v53, v52, v48
	v_mov_b32_e32 v48, v56
	v_mov_b32_e32 v52, v49
.LBB1375_210:
	s_or_b64 exec, exec, s[54:55]
	v_mov_b32_dpp v55, v53 row_shr:8 row_mask:0xf bank_mask:0xf
	v_cmp_lt_u32_e64 s[52:53], 7, v54
	s_and_saveexec_b64 s[54:55], s[52:53]
	s_cbranch_execz .LBB1375_212
; %bb.211:
	v_mov_b32_e32 v49, 0
	v_cmp_eq_u16_sdwa s[52:53], v52, v49 src0_sel:BYTE_0 src1_sel:DWORD
	v_and_b32_e32 v49, 1, v52
	v_mov_b32_e32 v52, 1
	v_cndmask_b32_e64 v53, 0, v55, s[52:53]
	v_and_b32_sdwa v52, v55, v52 dst_sel:DWORD dst_unused:UNUSED_PAD src0_sel:WORD_1 src1_sel:DWORD
	v_cmp_eq_u32_e64 s[52:53], 1, v49
	v_cndmask_b32_e64 v49, v52, 1, s[52:53]
	v_add_u16_e32 v54, v53, v48
	v_lshlrev_b32_e32 v52, 16, v49
	v_add_u16_e32 v48, v53, v48
	v_or_b32_e32 v53, v52, v48
	v_mov_b32_e32 v48, v54
	v_mov_b32_e32 v52, v49
.LBB1375_212:
	s_or_b64 exec, exec, s[54:55]
	v_and_b32_e32 v55, 16, v33
	v_mov_b32_dpp v54, v53 row_bcast:15 row_mask:0xf bank_mask:0xf
	v_cmp_ne_u32_e64 s[52:53], 0, v55
	s_and_saveexec_b64 s[54:55], s[52:53]
	s_cbranch_execz .LBB1375_214
; %bb.213:
	v_mov_b32_e32 v49, 0
	v_cmp_eq_u16_sdwa s[52:53], v52, v49 src0_sel:BYTE_0 src1_sel:DWORD
	v_and_b32_e32 v49, 1, v52
	v_mov_b32_e32 v52, 1
	v_cndmask_b32_e64 v53, 0, v54, s[52:53]
	v_and_b32_sdwa v52, v54, v52 dst_sel:DWORD dst_unused:UNUSED_PAD src0_sel:WORD_1 src1_sel:DWORD
	v_cmp_eq_u32_e64 s[52:53], 1, v49
	v_cndmask_b32_e64 v49, v52, 1, s[52:53]
	v_add_u16_e32 v55, v53, v48
	v_lshlrev_b32_e32 v52, 16, v49
	v_add_u16_e32 v48, v53, v48
	v_or_b32_e32 v53, v52, v48
	v_mov_b32_e32 v48, v55
	v_mov_b32_e32 v52, v49
.LBB1375_214:
	s_or_b64 exec, exec, s[54:55]
	v_mov_b32_dpp v53, v53 row_bcast:31 row_mask:0xf bank_mask:0xf
	v_cmp_lt_u32_e64 s[52:53], 31, v33
	s_and_saveexec_b64 s[54:55], s[52:53]
; %bb.215:
	v_mov_b32_e32 v49, 0
	v_cmp_eq_u16_sdwa s[52:53], v52, v49 src0_sel:BYTE_0 src1_sel:DWORD
	v_cndmask_b32_e64 v49, 0, v53, s[52:53]
	v_add_u16_e32 v48, v49, v48
	v_and_b32_e32 v49, 1, v52
	v_mov_b32_e32 v52, 1
	v_and_b32_sdwa v52, v53, v52 dst_sel:DWORD dst_unused:UNUSED_PAD src0_sel:WORD_1 src1_sel:DWORD
	v_cmp_eq_u32_e64 s[52:53], 1, v49
	v_cndmask_b32_e64 v49, v52, 1, s[52:53]
	v_mov_b32_e32 v52, v49
; %bb.216:
	s_or_b64 exec, exec, s[54:55]
	v_cmp_eq_u32_e64 s[52:53], 63, v0
	s_and_saveexec_b64 s[54:55], s[52:53]
	s_cbranch_execz .LBB1375_218
; %bb.217:
	v_mov_b32_e32 v53, 0
	ds_write_b16 v53, v48
	ds_write_b8 v53, v52 offset:2
.LBB1375_218:
	s_or_b64 exec, exec, s[54:55]
	v_and_b32_e32 v49, 0xff, v49
	v_and_b32_e32 v48, 0xffff, v48
	v_lshl_or_b32 v48, v49, 16, v48
	v_add_u32_e32 v49, -1, v33
	v_and_b32_e32 v52, 64, v33
	v_cmp_lt_i32_e64 s[52:53], v49, v52
	v_cndmask_b32_e64 v33, v49, v33, s[52:53]
	v_lshlrev_b32_e32 v33, 2, v33
	ds_bpermute_b32 v33, v33, v48
	s_waitcnt lgkmcnt(0)
	; wave barrier
	s_waitcnt lgkmcnt(0)
	s_and_saveexec_b64 s[52:53], s[2:3]
	s_cbranch_execz .LBB1375_220
; %bb.219:
	v_and_b32_e32 v22, 0xff0000, v1
	v_cmp_eq_u32_e64 s[2:3], 0, v22
	v_cndmask_b32_e64 v22, 0, v33, s[2:3]
	v_add_u32_e32 v1, v22, v1
	v_cndmask_b32_e64 v22, 0, v1, s[4:5]
	v_add_u16_e32 v22, v22, v50
	v_cndmask_b32_e64 v23, 0, v22, s[6:7]
	v_add_u16_e32 v23, v23, v51
	;; [unrolled: 2-line block ×22, first 2 shown]
	v_cndmask_b32_e64 v2, 0, v45, s[50:51]
	v_mov_b32_e32 v47, 0
	v_add_u16_e32 v46, v2, v32
	;;#ASMSTART
	;;#ASMEND
.LBB1375_220:
	s_or_b64 exec, exec, s[52:53]
	s_and_saveexec_b64 s[2:3], vcc
	s_cbranch_execz .LBB1375_222
; %bb.221:
	v_mov_b32_e32 v4, 0
	ds_read_u8 v2, v4 offset:2
	ds_read_u16 v3, v4
	s_waitcnt lgkmcnt(1)
	v_lshlrev_b32_e32 v2, 16, v2
	s_waitcnt lgkmcnt(0)
	v_or_b32_e32 v2, v2, v3
	v_mov_b32_e32 v3, 2
	global_store_dwordx2 v4, v[2:3], s[68:69] offset:512
.LBB1375_222:
	s_or_b64 exec, exec, s[2:3]
	v_lshl_or_b32 v47, v47, 16, v1
.LBB1375_223:
	s_add_u32 s2, s58, s72
	s_addc_u32 s3, s59, s73
	s_add_u32 s4, s2, s56
	s_addc_u32 s5, s3, s57
	s_and_b64 vcc, exec, s[0:1]
	v_mul_u32_u24_e32 v4, 24, v0
	s_cbranch_vccz .LBB1375_275
; %bb.224:
	s_add_i32 s33, s33, s70
	v_cmp_le_u32_e32 vcc, s33, v4
                                        ; implicit-def: $vgpr1
                                        ; implicit-def: $vgpr2
                                        ; implicit-def: $vgpr3
                                        ; implicit-def: $vgpr5
                                        ; implicit-def: $vgpr6
                                        ; implicit-def: $vgpr7
                                        ; implicit-def: $vgpr8
	s_and_saveexec_b64 s[0:1], vcc
	s_xor_b64 s[0:1], exec, s[0:1]
; %bb.225:
	v_or_b32_e32 v1, 1, v4
	v_or_b32_e32 v2, 2, v4
	;; [unrolled: 1-line block ×7, first 2 shown]
; %bb.226:
	s_andn2_saveexec_b64 s[0:1], s[0:1]
; %bb.227:
	v_or_b32_e32 v1, 1, v4
	v_or_b32_e32 v2, 2, v4
	;; [unrolled: 1-line block ×7, first 2 shown]
; %bb.228:
	s_or_b64 exec, exec, s[0:1]
	v_lshlrev_b32_e32 v49, 1, v4
	v_lshlrev_b32_e32 v1, 1, v1
	s_waitcnt lgkmcnt(0)
	; wave barrier
	ds_write_b16 v49, v47
	ds_write_b16 v1, v22
	v_lshlrev_b32_e32 v1, 1, v2
	ds_write_b16 v1, v23
	v_lshlrev_b32_e32 v1, 1, v3
	;; [unrolled: 2-line block ×5, first 2 shown]
	s_mov_b32 s0, 0x5040100
	ds_write_b16 v1, v27
	v_lshlrev_b32_e32 v1, 1, v8
	v_perm_b32 v9, v39, v37, s0
	v_perm_b32 v8, v36, v35, s0
	;; [unrolled: 1-line block ×4, first 2 shown]
	ds_write_b16 v1, v29
	ds_write_b128 v49, v[6:9] offset:16
	v_perm_b32 v9, v46, v45, s0
	v_perm_b32 v8, v44, v43, s0
	;; [unrolled: 1-line block ×4, first 2 shown]
	s_movk_i32 s0, 0xffd2
	v_mad_i32_i24 v2, v0, s0, v49
	ds_write_b128 v49, v[6:9] offset:32
	s_waitcnt lgkmcnt(0)
	; wave barrier
	s_waitcnt lgkmcnt(0)
	ds_read_u16 v52, v2 offset:128
	ds_read_u16 v51, v2 offset:256
	;; [unrolled: 1-line block ×23, first 2 shown]
	v_lshlrev_b32_e32 v2, 1, v0
	v_mov_b32_e32 v3, s5
	v_add_co_u32_e32 v2, vcc, s4, v2
	v_addc_co_u32_e32 v3, vcc, 0, v3, vcc
	v_mov_b32_e32 v1, 0
	v_cmp_gt_u32_e32 vcc, s33, v0
	s_and_saveexec_b64 s[0:1], vcc
	s_cbranch_execz .LBB1375_230
; %bb.229:
	v_mul_i32_i24_e32 v53, 0xffffffd2, v0
	v_add_u32_e32 v49, v49, v53
	ds_read_u16 v49, v49
	s_waitcnt lgkmcnt(0)
	flat_store_short v[2:3], v49
.LBB1375_230:
	s_or_b64 exec, exec, s[0:1]
	v_or_b32_e32 v49, 64, v0
	v_cmp_gt_u32_e32 vcc, s33, v49
	s_and_saveexec_b64 s[0:1], vcc
	s_cbranch_execz .LBB1375_232
; %bb.231:
	s_waitcnt lgkmcnt(0)
	flat_store_short v[2:3], v52 offset:128
.LBB1375_232:
	s_or_b64 exec, exec, s[0:1]
	v_or_b32_e32 v49, 0x80, v0
	v_cmp_gt_u32_e32 vcc, s33, v49
	s_and_saveexec_b64 s[0:1], vcc
	s_cbranch_execz .LBB1375_234
; %bb.233:
	s_waitcnt lgkmcnt(0)
	flat_store_short v[2:3], v51 offset:256
.LBB1375_234:
	;; [unrolled: 9-line block ×4, first 2 shown]
	s_or_b64 exec, exec, s[0:1]
	s_waitcnt lgkmcnt(0)
	v_or_b32_e32 v48, 0x140, v0
	v_cmp_gt_u32_e32 vcc, s33, v48
	s_and_saveexec_b64 s[0:1], vcc
	s_cbranch_execz .LBB1375_240
; %bb.239:
	flat_store_short v[2:3], v33 offset:640
.LBB1375_240:
	s_or_b64 exec, exec, s[0:1]
	v_or_b32_e32 v33, 0x180, v0
	v_cmp_gt_u32_e32 vcc, s33, v33
	s_and_saveexec_b64 s[0:1], vcc
	s_cbranch_execz .LBB1375_242
; %bb.241:
	flat_store_short v[2:3], v32 offset:768
.LBB1375_242:
	s_or_b64 exec, exec, s[0:1]
	;; [unrolled: 8-line block ×18, first 2 shown]
	v_or_b32_e32 v2, 0x5c0, v0
	v_cmp_gt_u32_e64 s[0:1], s33, v2
	s_branch .LBB1375_277
.LBB1375_275:
	s_mov_b64 s[0:1], 0
                                        ; implicit-def: $vgpr5
	s_cbranch_execz .LBB1375_277
; %bb.276:
	s_mov_b32 s2, 0x5040100
	v_lshlrev_b32_e32 v6, 1, v4
	v_perm_b32 v5, v29, v27, s2
	v_perm_b32 v4, v26, v25, s2
	;; [unrolled: 1-line block ×4, first 2 shown]
	s_waitcnt lgkmcnt(0)
	; wave barrier
	s_waitcnt lgkmcnt(0)
	ds_write_b128 v6, v[2:5]
	v_perm_b32 v5, v39, v37, s2
	v_perm_b32 v4, v36, v35, s2
	;; [unrolled: 1-line block ×4, first 2 shown]
	ds_write_b128 v6, v[2:5] offset:16
	v_perm_b32 v4, v44, v43, s2
	v_perm_b32 v3, v42, v41, s2
	;; [unrolled: 1-line block ×4, first 2 shown]
	s_movk_i32 s2, 0xffd2
	ds_write_b128 v6, v[2:5] offset:32
	v_mad_i32_i24 v2, v0, s2, v6
	s_waitcnt lgkmcnt(0)
	; wave barrier
	s_waitcnt lgkmcnt(0)
	ds_read_u16 v4, v2
	ds_read_u16 v6, v2 offset:128
	ds_read_u16 v7, v2 offset:256
	;; [unrolled: 1-line block ×23, first 2 shown]
	v_lshlrev_b32_e32 v2, 1, v0
	v_mov_b32_e32 v3, s5
	v_add_co_u32_e32 v2, vcc, s4, v2
	v_mov_b32_e32 v1, 0
	v_addc_co_u32_e32 v3, vcc, 0, v3, vcc
	s_or_b64 s[0:1], s[0:1], exec
	s_waitcnt lgkmcnt(0)
	flat_store_short v[2:3], v4
	flat_store_short v[2:3], v6 offset:128
	flat_store_short v[2:3], v7 offset:256
	;; [unrolled: 1-line block ×22, first 2 shown]
.LBB1375_277:
	s_and_saveexec_b64 s[2:3], s[0:1]
	s_cbranch_execnz .LBB1375_279
; %bb.278:
	s_endpgm
.LBB1375_279:
	v_lshlrev_b64 v[0:1], 1, v[0:1]
	v_mov_b32_e32 v2, s5
	v_add_co_u32_e32 v0, vcc, s4, v0
	v_addc_co_u32_e32 v1, vcc, v2, v1, vcc
	flat_store_short v[0:1], v5 offset:2944
	s_endpgm
.LBB1375_280:
	v_lshlrev_b32_e32 v2, 1, v0
	v_mov_b32_e32 v3, s71
	v_add_co_u32_e32 v2, vcc, s7, v2
	v_addc_co_u32_e32 v3, vcc, 0, v3, vcc
	flat_load_ushort v2, v[2:3]
	s_or_b64 exec, exec, s[60:61]
                                        ; implicit-def: $vgpr3
	s_and_saveexec_b64 s[2:3], s[4:5]
	s_cbranch_execz .LBB1375_57
.LBB1375_281:
	v_lshlrev_b32_e32 v3, 1, v0
	v_mov_b32_e32 v5, s71
	v_add_co_u32_e32 v4, vcc, s7, v3
	v_addc_co_u32_e32 v5, vcc, 0, v5, vcc
	flat_load_ushort v3, v[4:5] offset:128
	s_or_b64 exec, exec, s[2:3]
                                        ; implicit-def: $vgpr4
	s_and_saveexec_b64 s[2:3], s[52:53]
	s_cbranch_execz .LBB1375_58
.LBB1375_282:
	v_lshlrev_b32_e32 v4, 1, v0
	v_mov_b32_e32 v5, s71
	v_add_co_u32_e32 v4, vcc, s7, v4
	v_addc_co_u32_e32 v5, vcc, 0, v5, vcc
	flat_load_ushort v4, v[4:5] offset:256
	s_or_b64 exec, exec, s[2:3]
                                        ; implicit-def: $vgpr5
	s_and_saveexec_b64 s[2:3], s[8:9]
	s_cbranch_execz .LBB1375_59
.LBB1375_283:
	v_lshlrev_b32_e32 v5, 1, v0
	v_mov_b32_e32 v7, s71
	v_add_co_u32_e32 v6, vcc, s7, v5
	v_addc_co_u32_e32 v7, vcc, 0, v7, vcc
	flat_load_ushort v5, v[6:7] offset:384
	s_or_b64 exec, exec, s[2:3]
                                        ; implicit-def: $vgpr6
	s_and_saveexec_b64 s[2:3], s[10:11]
	s_cbranch_execz .LBB1375_60
.LBB1375_284:
	v_lshlrev_b32_e32 v6, 1, v0
	v_mov_b32_e32 v7, s71
	v_add_co_u32_e32 v6, vcc, s7, v6
	v_addc_co_u32_e32 v7, vcc, 0, v7, vcc
	flat_load_ushort v6, v[6:7] offset:512
	s_or_b64 exec, exec, s[2:3]
                                        ; implicit-def: $vgpr7
	s_and_saveexec_b64 s[2:3], s[12:13]
	s_cbranch_execz .LBB1375_61
.LBB1375_285:
	v_lshlrev_b32_e32 v7, 1, v0
	v_mov_b32_e32 v9, s71
	v_add_co_u32_e32 v8, vcc, s7, v7
	v_addc_co_u32_e32 v9, vcc, 0, v9, vcc
	flat_load_ushort v7, v[8:9] offset:640
	s_or_b64 exec, exec, s[2:3]
                                        ; implicit-def: $vgpr8
	s_and_saveexec_b64 s[2:3], s[14:15]
	s_cbranch_execz .LBB1375_62
.LBB1375_286:
	v_lshlrev_b32_e32 v8, 1, v0
	v_mov_b32_e32 v9, s71
	v_add_co_u32_e32 v8, vcc, s7, v8
	v_addc_co_u32_e32 v9, vcc, 0, v9, vcc
	flat_load_ushort v8, v[8:9] offset:768
	s_or_b64 exec, exec, s[2:3]
                                        ; implicit-def: $vgpr9
	s_and_saveexec_b64 s[2:3], s[16:17]
	s_cbranch_execz .LBB1375_63
.LBB1375_287:
	v_lshlrev_b32_e32 v9, 1, v0
	v_mov_b32_e32 v11, s71
	v_add_co_u32_e32 v10, vcc, s7, v9
	v_addc_co_u32_e32 v11, vcc, 0, v11, vcc
	flat_load_ushort v9, v[10:11] offset:896
	s_or_b64 exec, exec, s[2:3]
                                        ; implicit-def: $vgpr10
	s_and_saveexec_b64 s[2:3], s[18:19]
	s_cbranch_execz .LBB1375_64
.LBB1375_288:
	v_lshlrev_b32_e32 v10, 1, v0
	v_mov_b32_e32 v11, s71
	v_add_co_u32_e32 v10, vcc, s7, v10
	v_addc_co_u32_e32 v11, vcc, 0, v11, vcc
	flat_load_ushort v10, v[10:11] offset:1024
	s_or_b64 exec, exec, s[2:3]
                                        ; implicit-def: $vgpr11
	s_and_saveexec_b64 s[2:3], s[20:21]
	s_cbranch_execz .LBB1375_65
.LBB1375_289:
	v_lshlrev_b32_e32 v11, 1, v0
	v_mov_b32_e32 v13, s71
	v_add_co_u32_e32 v12, vcc, s7, v11
	v_addc_co_u32_e32 v13, vcc, 0, v13, vcc
	flat_load_ushort v11, v[12:13] offset:1152
	s_or_b64 exec, exec, s[2:3]
                                        ; implicit-def: $vgpr12
	s_and_saveexec_b64 s[2:3], s[22:23]
	s_cbranch_execz .LBB1375_66
.LBB1375_290:
	v_lshlrev_b32_e32 v12, 1, v0
	v_mov_b32_e32 v13, s71
	v_add_co_u32_e32 v12, vcc, s7, v12
	v_addc_co_u32_e32 v13, vcc, 0, v13, vcc
	flat_load_ushort v12, v[12:13] offset:1280
	s_or_b64 exec, exec, s[2:3]
                                        ; implicit-def: $vgpr13
	s_and_saveexec_b64 s[2:3], s[24:25]
	s_cbranch_execz .LBB1375_67
.LBB1375_291:
	v_lshlrev_b32_e32 v13, 1, v0
	v_mov_b32_e32 v15, s71
	v_add_co_u32_e32 v14, vcc, s7, v13
	v_addc_co_u32_e32 v15, vcc, 0, v15, vcc
	flat_load_ushort v13, v[14:15] offset:1408
	s_or_b64 exec, exec, s[2:3]
                                        ; implicit-def: $vgpr14
	s_and_saveexec_b64 s[2:3], s[26:27]
	s_cbranch_execz .LBB1375_68
.LBB1375_292:
	v_lshlrev_b32_e32 v14, 1, v0
	v_mov_b32_e32 v15, s71
	v_add_co_u32_e32 v14, vcc, s7, v14
	v_addc_co_u32_e32 v15, vcc, 0, v15, vcc
	flat_load_ushort v14, v[14:15] offset:1536
	s_or_b64 exec, exec, s[2:3]
                                        ; implicit-def: $vgpr15
	s_and_saveexec_b64 s[2:3], s[28:29]
	s_cbranch_execz .LBB1375_69
.LBB1375_293:
	v_lshlrev_b32_e32 v15, 1, v0
	v_mov_b32_e32 v17, s71
	v_add_co_u32_e32 v16, vcc, s7, v15
	v_addc_co_u32_e32 v17, vcc, 0, v17, vcc
	flat_load_ushort v15, v[16:17] offset:1664
	s_or_b64 exec, exec, s[2:3]
                                        ; implicit-def: $vgpr16
	s_and_saveexec_b64 s[2:3], s[30:31]
	s_cbranch_execz .LBB1375_70
.LBB1375_294:
	v_lshlrev_b32_e32 v16, 1, v0
	v_mov_b32_e32 v17, s71
	v_add_co_u32_e32 v16, vcc, s7, v16
	v_addc_co_u32_e32 v17, vcc, 0, v17, vcc
	flat_load_ushort v16, v[16:17] offset:1792
	s_or_b64 exec, exec, s[2:3]
                                        ; implicit-def: $vgpr17
	s_and_saveexec_b64 s[2:3], s[34:35]
	s_cbranch_execz .LBB1375_71
.LBB1375_295:
	v_lshlrev_b32_e32 v17, 1, v0
	v_mov_b32_e32 v19, s71
	v_add_co_u32_e32 v18, vcc, s7, v17
	v_addc_co_u32_e32 v19, vcc, 0, v19, vcc
	flat_load_ushort v17, v[18:19] offset:1920
	s_or_b64 exec, exec, s[2:3]
                                        ; implicit-def: $vgpr18
	s_and_saveexec_b64 s[2:3], s[36:37]
	s_cbranch_execz .LBB1375_72
.LBB1375_296:
	v_lshlrev_b32_e32 v18, 1, v0
	v_mov_b32_e32 v19, s71
	v_add_co_u32_e32 v18, vcc, s7, v18
	v_addc_co_u32_e32 v19, vcc, 0, v19, vcc
	flat_load_ushort v18, v[18:19] offset:2048
	s_or_b64 exec, exec, s[2:3]
                                        ; implicit-def: $vgpr19
	s_and_saveexec_b64 s[2:3], s[38:39]
	s_cbranch_execz .LBB1375_73
.LBB1375_297:
	v_lshlrev_b32_e32 v19, 1, v0
	v_mov_b32_e32 v21, s71
	v_add_co_u32_e32 v20, vcc, s7, v19
	v_addc_co_u32_e32 v21, vcc, 0, v21, vcc
	flat_load_ushort v19, v[20:21] offset:2176
	s_or_b64 exec, exec, s[2:3]
                                        ; implicit-def: $vgpr20
	s_and_saveexec_b64 s[2:3], s[40:41]
	s_cbranch_execz .LBB1375_74
.LBB1375_298:
	v_lshlrev_b32_e32 v20, 1, v0
	v_mov_b32_e32 v21, s71
	v_add_co_u32_e32 v20, vcc, s7, v20
	v_addc_co_u32_e32 v21, vcc, 0, v21, vcc
	flat_load_ushort v20, v[20:21] offset:2304
	s_or_b64 exec, exec, s[2:3]
                                        ; implicit-def: $vgpr21
	s_and_saveexec_b64 s[2:3], s[42:43]
	s_cbranch_execz .LBB1375_75
.LBB1375_299:
	v_lshlrev_b32_e32 v21, 1, v0
	v_mov_b32_e32 v47, s71
	v_add_co_u32_e32 v48, vcc, s7, v21
	v_addc_co_u32_e32 v49, vcc, 0, v47, vcc
	flat_load_ushort v21, v[48:49] offset:2432
	s_or_b64 exec, exec, s[2:3]
                                        ; implicit-def: $vgpr48
	s_and_saveexec_b64 s[2:3], s[44:45]
	s_cbranch_execz .LBB1375_76
.LBB1375_300:
	v_lshlrev_b32_e32 v47, 1, v0
	v_mov_b32_e32 v49, s71
	v_add_co_u32_e32 v48, vcc, s7, v47
	v_addc_co_u32_e32 v49, vcc, 0, v49, vcc
	flat_load_ushort v48, v[48:49] offset:2560
	s_or_b64 exec, exec, s[2:3]
                                        ; implicit-def: $vgpr49
	s_and_saveexec_b64 s[2:3], s[46:47]
	s_cbranch_execz .LBB1375_77
.LBB1375_301:
	v_lshlrev_b32_e32 v47, 1, v0
	v_mov_b32_e32 v49, s71
	v_add_co_u32_e32 v50, vcc, s7, v47
	v_addc_co_u32_e32 v51, vcc, 0, v49, vcc
	flat_load_ushort v49, v[50:51] offset:2688
	s_or_b64 exec, exec, s[2:3]
                                        ; implicit-def: $vgpr50
	s_and_saveexec_b64 s[2:3], s[48:49]
	s_cbranch_execz .LBB1375_78
.LBB1375_302:
	v_lshlrev_b32_e32 v47, 1, v0
	v_mov_b32_e32 v51, s71
	v_add_co_u32_e32 v50, vcc, s7, v47
	v_addc_co_u32_e32 v51, vcc, 0, v51, vcc
	flat_load_ushort v50, v[50:51] offset:2816
	s_or_b64 exec, exec, s[2:3]
                                        ; implicit-def: $vgpr51
	s_and_saveexec_b64 s[2:3], s[50:51]
	s_cbranch_execnz .LBB1375_79
	s_branch .LBB1375_80
.LBB1375_303:
                                        ; implicit-def: $sgpr60_sgpr61
	s_branch .LBB1375_52
.LBB1375_304:
                                        ; implicit-def: $sgpr2_sgpr3
	s_branch .LBB1375_131
	.section	.rodata,"a",@progbits
	.p2align	6, 0x0
	.amdhsa_kernel _ZN7rocprim17ROCPRIM_400000_NS6detail17trampoline_kernelINS0_14default_configENS1_27scan_by_key_config_selectorIisEEZZNS1_16scan_by_key_implILNS1_25lookback_scan_determinismE0ELb0ES3_N6thrust23THRUST_200600_302600_NS6detail15normal_iteratorINS9_10device_ptrIiEEEENSB_INSC_IsEEEESG_sNS9_4plusIvEENS9_8equal_toIvEEsEE10hipError_tPvRmT2_T3_T4_T5_mT6_T7_P12ihipStream_tbENKUlT_T0_E_clISt17integral_constantIbLb1EES10_IbLb0EEEEDaSW_SX_EUlSW_E_NS1_11comp_targetILNS1_3genE4ELNS1_11target_archE910ELNS1_3gpuE8ELNS1_3repE0EEENS1_30default_config_static_selectorELNS0_4arch9wavefront6targetE1EEEvT1_
		.amdhsa_group_segment_fixed_size 6656
		.amdhsa_private_segment_fixed_size 0
		.amdhsa_kernarg_size 112
		.amdhsa_user_sgpr_count 6
		.amdhsa_user_sgpr_private_segment_buffer 1
		.amdhsa_user_sgpr_dispatch_ptr 0
		.amdhsa_user_sgpr_queue_ptr 0
		.amdhsa_user_sgpr_kernarg_segment_ptr 1
		.amdhsa_user_sgpr_dispatch_id 0
		.amdhsa_user_sgpr_flat_scratch_init 0
		.amdhsa_user_sgpr_kernarg_preload_length 0
		.amdhsa_user_sgpr_kernarg_preload_offset 0
		.amdhsa_user_sgpr_private_segment_size 0
		.amdhsa_uses_dynamic_stack 0
		.amdhsa_system_sgpr_private_segment_wavefront_offset 0
		.amdhsa_system_sgpr_workgroup_id_x 1
		.amdhsa_system_sgpr_workgroup_id_y 0
		.amdhsa_system_sgpr_workgroup_id_z 0
		.amdhsa_system_sgpr_workgroup_info 0
		.amdhsa_system_vgpr_workitem_id 0
		.amdhsa_next_free_vgpr 58
		.amdhsa_next_free_sgpr 83
		.amdhsa_accum_offset 60
		.amdhsa_reserve_vcc 1
		.amdhsa_reserve_flat_scratch 0
		.amdhsa_float_round_mode_32 0
		.amdhsa_float_round_mode_16_64 0
		.amdhsa_float_denorm_mode_32 3
		.amdhsa_float_denorm_mode_16_64 3
		.amdhsa_dx10_clamp 1
		.amdhsa_ieee_mode 1
		.amdhsa_fp16_overflow 0
		.amdhsa_tg_split 0
		.amdhsa_exception_fp_ieee_invalid_op 0
		.amdhsa_exception_fp_denorm_src 0
		.amdhsa_exception_fp_ieee_div_zero 0
		.amdhsa_exception_fp_ieee_overflow 0
		.amdhsa_exception_fp_ieee_underflow 0
		.amdhsa_exception_fp_ieee_inexact 0
		.amdhsa_exception_int_div_zero 0
	.end_amdhsa_kernel
	.section	.text._ZN7rocprim17ROCPRIM_400000_NS6detail17trampoline_kernelINS0_14default_configENS1_27scan_by_key_config_selectorIisEEZZNS1_16scan_by_key_implILNS1_25lookback_scan_determinismE0ELb0ES3_N6thrust23THRUST_200600_302600_NS6detail15normal_iteratorINS9_10device_ptrIiEEEENSB_INSC_IsEEEESG_sNS9_4plusIvEENS9_8equal_toIvEEsEE10hipError_tPvRmT2_T3_T4_T5_mT6_T7_P12ihipStream_tbENKUlT_T0_E_clISt17integral_constantIbLb1EES10_IbLb0EEEEDaSW_SX_EUlSW_E_NS1_11comp_targetILNS1_3genE4ELNS1_11target_archE910ELNS1_3gpuE8ELNS1_3repE0EEENS1_30default_config_static_selectorELNS0_4arch9wavefront6targetE1EEEvT1_,"axG",@progbits,_ZN7rocprim17ROCPRIM_400000_NS6detail17trampoline_kernelINS0_14default_configENS1_27scan_by_key_config_selectorIisEEZZNS1_16scan_by_key_implILNS1_25lookback_scan_determinismE0ELb0ES3_N6thrust23THRUST_200600_302600_NS6detail15normal_iteratorINS9_10device_ptrIiEEEENSB_INSC_IsEEEESG_sNS9_4plusIvEENS9_8equal_toIvEEsEE10hipError_tPvRmT2_T3_T4_T5_mT6_T7_P12ihipStream_tbENKUlT_T0_E_clISt17integral_constantIbLb1EES10_IbLb0EEEEDaSW_SX_EUlSW_E_NS1_11comp_targetILNS1_3genE4ELNS1_11target_archE910ELNS1_3gpuE8ELNS1_3repE0EEENS1_30default_config_static_selectorELNS0_4arch9wavefront6targetE1EEEvT1_,comdat
.Lfunc_end1375:
	.size	_ZN7rocprim17ROCPRIM_400000_NS6detail17trampoline_kernelINS0_14default_configENS1_27scan_by_key_config_selectorIisEEZZNS1_16scan_by_key_implILNS1_25lookback_scan_determinismE0ELb0ES3_N6thrust23THRUST_200600_302600_NS6detail15normal_iteratorINS9_10device_ptrIiEEEENSB_INSC_IsEEEESG_sNS9_4plusIvEENS9_8equal_toIvEEsEE10hipError_tPvRmT2_T3_T4_T5_mT6_T7_P12ihipStream_tbENKUlT_T0_E_clISt17integral_constantIbLb1EES10_IbLb0EEEEDaSW_SX_EUlSW_E_NS1_11comp_targetILNS1_3genE4ELNS1_11target_archE910ELNS1_3gpuE8ELNS1_3repE0EEENS1_30default_config_static_selectorELNS0_4arch9wavefront6targetE1EEEvT1_, .Lfunc_end1375-_ZN7rocprim17ROCPRIM_400000_NS6detail17trampoline_kernelINS0_14default_configENS1_27scan_by_key_config_selectorIisEEZZNS1_16scan_by_key_implILNS1_25lookback_scan_determinismE0ELb0ES3_N6thrust23THRUST_200600_302600_NS6detail15normal_iteratorINS9_10device_ptrIiEEEENSB_INSC_IsEEEESG_sNS9_4plusIvEENS9_8equal_toIvEEsEE10hipError_tPvRmT2_T3_T4_T5_mT6_T7_P12ihipStream_tbENKUlT_T0_E_clISt17integral_constantIbLb1EES10_IbLb0EEEEDaSW_SX_EUlSW_E_NS1_11comp_targetILNS1_3genE4ELNS1_11target_archE910ELNS1_3gpuE8ELNS1_3repE0EEENS1_30default_config_static_selectorELNS0_4arch9wavefront6targetE1EEEvT1_
                                        ; -- End function
	.section	.AMDGPU.csdata,"",@progbits
; Kernel info:
; codeLenInByte = 15228
; NumSgprs: 87
; NumVgprs: 58
; NumAgprs: 0
; TotalNumVgprs: 58
; ScratchSize: 0
; MemoryBound: 0
; FloatMode: 240
; IeeeMode: 1
; LDSByteSize: 6656 bytes/workgroup (compile time only)
; SGPRBlocks: 10
; VGPRBlocks: 7
; NumSGPRsForWavesPerEU: 87
; NumVGPRsForWavesPerEU: 58
; AccumOffset: 60
; Occupancy: 3
; WaveLimiterHint : 1
; COMPUTE_PGM_RSRC2:SCRATCH_EN: 0
; COMPUTE_PGM_RSRC2:USER_SGPR: 6
; COMPUTE_PGM_RSRC2:TRAP_HANDLER: 0
; COMPUTE_PGM_RSRC2:TGID_X_EN: 1
; COMPUTE_PGM_RSRC2:TGID_Y_EN: 0
; COMPUTE_PGM_RSRC2:TGID_Z_EN: 0
; COMPUTE_PGM_RSRC2:TIDIG_COMP_CNT: 0
; COMPUTE_PGM_RSRC3_GFX90A:ACCUM_OFFSET: 14
; COMPUTE_PGM_RSRC3_GFX90A:TG_SPLIT: 0
	.section	.text._ZN7rocprim17ROCPRIM_400000_NS6detail17trampoline_kernelINS0_14default_configENS1_27scan_by_key_config_selectorIisEEZZNS1_16scan_by_key_implILNS1_25lookback_scan_determinismE0ELb0ES3_N6thrust23THRUST_200600_302600_NS6detail15normal_iteratorINS9_10device_ptrIiEEEENSB_INSC_IsEEEESG_sNS9_4plusIvEENS9_8equal_toIvEEsEE10hipError_tPvRmT2_T3_T4_T5_mT6_T7_P12ihipStream_tbENKUlT_T0_E_clISt17integral_constantIbLb1EES10_IbLb0EEEEDaSW_SX_EUlSW_E_NS1_11comp_targetILNS1_3genE3ELNS1_11target_archE908ELNS1_3gpuE7ELNS1_3repE0EEENS1_30default_config_static_selectorELNS0_4arch9wavefront6targetE1EEEvT1_,"axG",@progbits,_ZN7rocprim17ROCPRIM_400000_NS6detail17trampoline_kernelINS0_14default_configENS1_27scan_by_key_config_selectorIisEEZZNS1_16scan_by_key_implILNS1_25lookback_scan_determinismE0ELb0ES3_N6thrust23THRUST_200600_302600_NS6detail15normal_iteratorINS9_10device_ptrIiEEEENSB_INSC_IsEEEESG_sNS9_4plusIvEENS9_8equal_toIvEEsEE10hipError_tPvRmT2_T3_T4_T5_mT6_T7_P12ihipStream_tbENKUlT_T0_E_clISt17integral_constantIbLb1EES10_IbLb0EEEEDaSW_SX_EUlSW_E_NS1_11comp_targetILNS1_3genE3ELNS1_11target_archE908ELNS1_3gpuE7ELNS1_3repE0EEENS1_30default_config_static_selectorELNS0_4arch9wavefront6targetE1EEEvT1_,comdat
	.protected	_ZN7rocprim17ROCPRIM_400000_NS6detail17trampoline_kernelINS0_14default_configENS1_27scan_by_key_config_selectorIisEEZZNS1_16scan_by_key_implILNS1_25lookback_scan_determinismE0ELb0ES3_N6thrust23THRUST_200600_302600_NS6detail15normal_iteratorINS9_10device_ptrIiEEEENSB_INSC_IsEEEESG_sNS9_4plusIvEENS9_8equal_toIvEEsEE10hipError_tPvRmT2_T3_T4_T5_mT6_T7_P12ihipStream_tbENKUlT_T0_E_clISt17integral_constantIbLb1EES10_IbLb0EEEEDaSW_SX_EUlSW_E_NS1_11comp_targetILNS1_3genE3ELNS1_11target_archE908ELNS1_3gpuE7ELNS1_3repE0EEENS1_30default_config_static_selectorELNS0_4arch9wavefront6targetE1EEEvT1_ ; -- Begin function _ZN7rocprim17ROCPRIM_400000_NS6detail17trampoline_kernelINS0_14default_configENS1_27scan_by_key_config_selectorIisEEZZNS1_16scan_by_key_implILNS1_25lookback_scan_determinismE0ELb0ES3_N6thrust23THRUST_200600_302600_NS6detail15normal_iteratorINS9_10device_ptrIiEEEENSB_INSC_IsEEEESG_sNS9_4plusIvEENS9_8equal_toIvEEsEE10hipError_tPvRmT2_T3_T4_T5_mT6_T7_P12ihipStream_tbENKUlT_T0_E_clISt17integral_constantIbLb1EES10_IbLb0EEEEDaSW_SX_EUlSW_E_NS1_11comp_targetILNS1_3genE3ELNS1_11target_archE908ELNS1_3gpuE7ELNS1_3repE0EEENS1_30default_config_static_selectorELNS0_4arch9wavefront6targetE1EEEvT1_
	.globl	_ZN7rocprim17ROCPRIM_400000_NS6detail17trampoline_kernelINS0_14default_configENS1_27scan_by_key_config_selectorIisEEZZNS1_16scan_by_key_implILNS1_25lookback_scan_determinismE0ELb0ES3_N6thrust23THRUST_200600_302600_NS6detail15normal_iteratorINS9_10device_ptrIiEEEENSB_INSC_IsEEEESG_sNS9_4plusIvEENS9_8equal_toIvEEsEE10hipError_tPvRmT2_T3_T4_T5_mT6_T7_P12ihipStream_tbENKUlT_T0_E_clISt17integral_constantIbLb1EES10_IbLb0EEEEDaSW_SX_EUlSW_E_NS1_11comp_targetILNS1_3genE3ELNS1_11target_archE908ELNS1_3gpuE7ELNS1_3repE0EEENS1_30default_config_static_selectorELNS0_4arch9wavefront6targetE1EEEvT1_
	.p2align	8
	.type	_ZN7rocprim17ROCPRIM_400000_NS6detail17trampoline_kernelINS0_14default_configENS1_27scan_by_key_config_selectorIisEEZZNS1_16scan_by_key_implILNS1_25lookback_scan_determinismE0ELb0ES3_N6thrust23THRUST_200600_302600_NS6detail15normal_iteratorINS9_10device_ptrIiEEEENSB_INSC_IsEEEESG_sNS9_4plusIvEENS9_8equal_toIvEEsEE10hipError_tPvRmT2_T3_T4_T5_mT6_T7_P12ihipStream_tbENKUlT_T0_E_clISt17integral_constantIbLb1EES10_IbLb0EEEEDaSW_SX_EUlSW_E_NS1_11comp_targetILNS1_3genE3ELNS1_11target_archE908ELNS1_3gpuE7ELNS1_3repE0EEENS1_30default_config_static_selectorELNS0_4arch9wavefront6targetE1EEEvT1_,@function
_ZN7rocprim17ROCPRIM_400000_NS6detail17trampoline_kernelINS0_14default_configENS1_27scan_by_key_config_selectorIisEEZZNS1_16scan_by_key_implILNS1_25lookback_scan_determinismE0ELb0ES3_N6thrust23THRUST_200600_302600_NS6detail15normal_iteratorINS9_10device_ptrIiEEEENSB_INSC_IsEEEESG_sNS9_4plusIvEENS9_8equal_toIvEEsEE10hipError_tPvRmT2_T3_T4_T5_mT6_T7_P12ihipStream_tbENKUlT_T0_E_clISt17integral_constantIbLb1EES10_IbLb0EEEEDaSW_SX_EUlSW_E_NS1_11comp_targetILNS1_3genE3ELNS1_11target_archE908ELNS1_3gpuE7ELNS1_3repE0EEENS1_30default_config_static_selectorELNS0_4arch9wavefront6targetE1EEEvT1_: ; @_ZN7rocprim17ROCPRIM_400000_NS6detail17trampoline_kernelINS0_14default_configENS1_27scan_by_key_config_selectorIisEEZZNS1_16scan_by_key_implILNS1_25lookback_scan_determinismE0ELb0ES3_N6thrust23THRUST_200600_302600_NS6detail15normal_iteratorINS9_10device_ptrIiEEEENSB_INSC_IsEEEESG_sNS9_4plusIvEENS9_8equal_toIvEEsEE10hipError_tPvRmT2_T3_T4_T5_mT6_T7_P12ihipStream_tbENKUlT_T0_E_clISt17integral_constantIbLb1EES10_IbLb0EEEEDaSW_SX_EUlSW_E_NS1_11comp_targetILNS1_3genE3ELNS1_11target_archE908ELNS1_3gpuE7ELNS1_3repE0EEENS1_30default_config_static_selectorELNS0_4arch9wavefront6targetE1EEEvT1_
; %bb.0:
	.section	.rodata,"a",@progbits
	.p2align	6, 0x0
	.amdhsa_kernel _ZN7rocprim17ROCPRIM_400000_NS6detail17trampoline_kernelINS0_14default_configENS1_27scan_by_key_config_selectorIisEEZZNS1_16scan_by_key_implILNS1_25lookback_scan_determinismE0ELb0ES3_N6thrust23THRUST_200600_302600_NS6detail15normal_iteratorINS9_10device_ptrIiEEEENSB_INSC_IsEEEESG_sNS9_4plusIvEENS9_8equal_toIvEEsEE10hipError_tPvRmT2_T3_T4_T5_mT6_T7_P12ihipStream_tbENKUlT_T0_E_clISt17integral_constantIbLb1EES10_IbLb0EEEEDaSW_SX_EUlSW_E_NS1_11comp_targetILNS1_3genE3ELNS1_11target_archE908ELNS1_3gpuE7ELNS1_3repE0EEENS1_30default_config_static_selectorELNS0_4arch9wavefront6targetE1EEEvT1_
		.amdhsa_group_segment_fixed_size 0
		.amdhsa_private_segment_fixed_size 0
		.amdhsa_kernarg_size 112
		.amdhsa_user_sgpr_count 6
		.amdhsa_user_sgpr_private_segment_buffer 1
		.amdhsa_user_sgpr_dispatch_ptr 0
		.amdhsa_user_sgpr_queue_ptr 0
		.amdhsa_user_sgpr_kernarg_segment_ptr 1
		.amdhsa_user_sgpr_dispatch_id 0
		.amdhsa_user_sgpr_flat_scratch_init 0
		.amdhsa_user_sgpr_kernarg_preload_length 0
		.amdhsa_user_sgpr_kernarg_preload_offset 0
		.amdhsa_user_sgpr_private_segment_size 0
		.amdhsa_uses_dynamic_stack 0
		.amdhsa_system_sgpr_private_segment_wavefront_offset 0
		.amdhsa_system_sgpr_workgroup_id_x 1
		.amdhsa_system_sgpr_workgroup_id_y 0
		.amdhsa_system_sgpr_workgroup_id_z 0
		.amdhsa_system_sgpr_workgroup_info 0
		.amdhsa_system_vgpr_workitem_id 0
		.amdhsa_next_free_vgpr 1
		.amdhsa_next_free_sgpr 0
		.amdhsa_accum_offset 4
		.amdhsa_reserve_vcc 0
		.amdhsa_reserve_flat_scratch 0
		.amdhsa_float_round_mode_32 0
		.amdhsa_float_round_mode_16_64 0
		.amdhsa_float_denorm_mode_32 3
		.amdhsa_float_denorm_mode_16_64 3
		.amdhsa_dx10_clamp 1
		.amdhsa_ieee_mode 1
		.amdhsa_fp16_overflow 0
		.amdhsa_tg_split 0
		.amdhsa_exception_fp_ieee_invalid_op 0
		.amdhsa_exception_fp_denorm_src 0
		.amdhsa_exception_fp_ieee_div_zero 0
		.amdhsa_exception_fp_ieee_overflow 0
		.amdhsa_exception_fp_ieee_underflow 0
		.amdhsa_exception_fp_ieee_inexact 0
		.amdhsa_exception_int_div_zero 0
	.end_amdhsa_kernel
	.section	.text._ZN7rocprim17ROCPRIM_400000_NS6detail17trampoline_kernelINS0_14default_configENS1_27scan_by_key_config_selectorIisEEZZNS1_16scan_by_key_implILNS1_25lookback_scan_determinismE0ELb0ES3_N6thrust23THRUST_200600_302600_NS6detail15normal_iteratorINS9_10device_ptrIiEEEENSB_INSC_IsEEEESG_sNS9_4plusIvEENS9_8equal_toIvEEsEE10hipError_tPvRmT2_T3_T4_T5_mT6_T7_P12ihipStream_tbENKUlT_T0_E_clISt17integral_constantIbLb1EES10_IbLb0EEEEDaSW_SX_EUlSW_E_NS1_11comp_targetILNS1_3genE3ELNS1_11target_archE908ELNS1_3gpuE7ELNS1_3repE0EEENS1_30default_config_static_selectorELNS0_4arch9wavefront6targetE1EEEvT1_,"axG",@progbits,_ZN7rocprim17ROCPRIM_400000_NS6detail17trampoline_kernelINS0_14default_configENS1_27scan_by_key_config_selectorIisEEZZNS1_16scan_by_key_implILNS1_25lookback_scan_determinismE0ELb0ES3_N6thrust23THRUST_200600_302600_NS6detail15normal_iteratorINS9_10device_ptrIiEEEENSB_INSC_IsEEEESG_sNS9_4plusIvEENS9_8equal_toIvEEsEE10hipError_tPvRmT2_T3_T4_T5_mT6_T7_P12ihipStream_tbENKUlT_T0_E_clISt17integral_constantIbLb1EES10_IbLb0EEEEDaSW_SX_EUlSW_E_NS1_11comp_targetILNS1_3genE3ELNS1_11target_archE908ELNS1_3gpuE7ELNS1_3repE0EEENS1_30default_config_static_selectorELNS0_4arch9wavefront6targetE1EEEvT1_,comdat
.Lfunc_end1376:
	.size	_ZN7rocprim17ROCPRIM_400000_NS6detail17trampoline_kernelINS0_14default_configENS1_27scan_by_key_config_selectorIisEEZZNS1_16scan_by_key_implILNS1_25lookback_scan_determinismE0ELb0ES3_N6thrust23THRUST_200600_302600_NS6detail15normal_iteratorINS9_10device_ptrIiEEEENSB_INSC_IsEEEESG_sNS9_4plusIvEENS9_8equal_toIvEEsEE10hipError_tPvRmT2_T3_T4_T5_mT6_T7_P12ihipStream_tbENKUlT_T0_E_clISt17integral_constantIbLb1EES10_IbLb0EEEEDaSW_SX_EUlSW_E_NS1_11comp_targetILNS1_3genE3ELNS1_11target_archE908ELNS1_3gpuE7ELNS1_3repE0EEENS1_30default_config_static_selectorELNS0_4arch9wavefront6targetE1EEEvT1_, .Lfunc_end1376-_ZN7rocprim17ROCPRIM_400000_NS6detail17trampoline_kernelINS0_14default_configENS1_27scan_by_key_config_selectorIisEEZZNS1_16scan_by_key_implILNS1_25lookback_scan_determinismE0ELb0ES3_N6thrust23THRUST_200600_302600_NS6detail15normal_iteratorINS9_10device_ptrIiEEEENSB_INSC_IsEEEESG_sNS9_4plusIvEENS9_8equal_toIvEEsEE10hipError_tPvRmT2_T3_T4_T5_mT6_T7_P12ihipStream_tbENKUlT_T0_E_clISt17integral_constantIbLb1EES10_IbLb0EEEEDaSW_SX_EUlSW_E_NS1_11comp_targetILNS1_3genE3ELNS1_11target_archE908ELNS1_3gpuE7ELNS1_3repE0EEENS1_30default_config_static_selectorELNS0_4arch9wavefront6targetE1EEEvT1_
                                        ; -- End function
	.section	.AMDGPU.csdata,"",@progbits
; Kernel info:
; codeLenInByte = 0
; NumSgprs: 4
; NumVgprs: 0
; NumAgprs: 0
; TotalNumVgprs: 0
; ScratchSize: 0
; MemoryBound: 0
; FloatMode: 240
; IeeeMode: 1
; LDSByteSize: 0 bytes/workgroup (compile time only)
; SGPRBlocks: 0
; VGPRBlocks: 0
; NumSGPRsForWavesPerEU: 4
; NumVGPRsForWavesPerEU: 1
; AccumOffset: 4
; Occupancy: 8
; WaveLimiterHint : 0
; COMPUTE_PGM_RSRC2:SCRATCH_EN: 0
; COMPUTE_PGM_RSRC2:USER_SGPR: 6
; COMPUTE_PGM_RSRC2:TRAP_HANDLER: 0
; COMPUTE_PGM_RSRC2:TGID_X_EN: 1
; COMPUTE_PGM_RSRC2:TGID_Y_EN: 0
; COMPUTE_PGM_RSRC2:TGID_Z_EN: 0
; COMPUTE_PGM_RSRC2:TIDIG_COMP_CNT: 0
; COMPUTE_PGM_RSRC3_GFX90A:ACCUM_OFFSET: 0
; COMPUTE_PGM_RSRC3_GFX90A:TG_SPLIT: 0
	.section	.text._ZN7rocprim17ROCPRIM_400000_NS6detail17trampoline_kernelINS0_14default_configENS1_27scan_by_key_config_selectorIisEEZZNS1_16scan_by_key_implILNS1_25lookback_scan_determinismE0ELb0ES3_N6thrust23THRUST_200600_302600_NS6detail15normal_iteratorINS9_10device_ptrIiEEEENSB_INSC_IsEEEESG_sNS9_4plusIvEENS9_8equal_toIvEEsEE10hipError_tPvRmT2_T3_T4_T5_mT6_T7_P12ihipStream_tbENKUlT_T0_E_clISt17integral_constantIbLb1EES10_IbLb0EEEEDaSW_SX_EUlSW_E_NS1_11comp_targetILNS1_3genE2ELNS1_11target_archE906ELNS1_3gpuE6ELNS1_3repE0EEENS1_30default_config_static_selectorELNS0_4arch9wavefront6targetE1EEEvT1_,"axG",@progbits,_ZN7rocprim17ROCPRIM_400000_NS6detail17trampoline_kernelINS0_14default_configENS1_27scan_by_key_config_selectorIisEEZZNS1_16scan_by_key_implILNS1_25lookback_scan_determinismE0ELb0ES3_N6thrust23THRUST_200600_302600_NS6detail15normal_iteratorINS9_10device_ptrIiEEEENSB_INSC_IsEEEESG_sNS9_4plusIvEENS9_8equal_toIvEEsEE10hipError_tPvRmT2_T3_T4_T5_mT6_T7_P12ihipStream_tbENKUlT_T0_E_clISt17integral_constantIbLb1EES10_IbLb0EEEEDaSW_SX_EUlSW_E_NS1_11comp_targetILNS1_3genE2ELNS1_11target_archE906ELNS1_3gpuE6ELNS1_3repE0EEENS1_30default_config_static_selectorELNS0_4arch9wavefront6targetE1EEEvT1_,comdat
	.protected	_ZN7rocprim17ROCPRIM_400000_NS6detail17trampoline_kernelINS0_14default_configENS1_27scan_by_key_config_selectorIisEEZZNS1_16scan_by_key_implILNS1_25lookback_scan_determinismE0ELb0ES3_N6thrust23THRUST_200600_302600_NS6detail15normal_iteratorINS9_10device_ptrIiEEEENSB_INSC_IsEEEESG_sNS9_4plusIvEENS9_8equal_toIvEEsEE10hipError_tPvRmT2_T3_T4_T5_mT6_T7_P12ihipStream_tbENKUlT_T0_E_clISt17integral_constantIbLb1EES10_IbLb0EEEEDaSW_SX_EUlSW_E_NS1_11comp_targetILNS1_3genE2ELNS1_11target_archE906ELNS1_3gpuE6ELNS1_3repE0EEENS1_30default_config_static_selectorELNS0_4arch9wavefront6targetE1EEEvT1_ ; -- Begin function _ZN7rocprim17ROCPRIM_400000_NS6detail17trampoline_kernelINS0_14default_configENS1_27scan_by_key_config_selectorIisEEZZNS1_16scan_by_key_implILNS1_25lookback_scan_determinismE0ELb0ES3_N6thrust23THRUST_200600_302600_NS6detail15normal_iteratorINS9_10device_ptrIiEEEENSB_INSC_IsEEEESG_sNS9_4plusIvEENS9_8equal_toIvEEsEE10hipError_tPvRmT2_T3_T4_T5_mT6_T7_P12ihipStream_tbENKUlT_T0_E_clISt17integral_constantIbLb1EES10_IbLb0EEEEDaSW_SX_EUlSW_E_NS1_11comp_targetILNS1_3genE2ELNS1_11target_archE906ELNS1_3gpuE6ELNS1_3repE0EEENS1_30default_config_static_selectorELNS0_4arch9wavefront6targetE1EEEvT1_
	.globl	_ZN7rocprim17ROCPRIM_400000_NS6detail17trampoline_kernelINS0_14default_configENS1_27scan_by_key_config_selectorIisEEZZNS1_16scan_by_key_implILNS1_25lookback_scan_determinismE0ELb0ES3_N6thrust23THRUST_200600_302600_NS6detail15normal_iteratorINS9_10device_ptrIiEEEENSB_INSC_IsEEEESG_sNS9_4plusIvEENS9_8equal_toIvEEsEE10hipError_tPvRmT2_T3_T4_T5_mT6_T7_P12ihipStream_tbENKUlT_T0_E_clISt17integral_constantIbLb1EES10_IbLb0EEEEDaSW_SX_EUlSW_E_NS1_11comp_targetILNS1_3genE2ELNS1_11target_archE906ELNS1_3gpuE6ELNS1_3repE0EEENS1_30default_config_static_selectorELNS0_4arch9wavefront6targetE1EEEvT1_
	.p2align	8
	.type	_ZN7rocprim17ROCPRIM_400000_NS6detail17trampoline_kernelINS0_14default_configENS1_27scan_by_key_config_selectorIisEEZZNS1_16scan_by_key_implILNS1_25lookback_scan_determinismE0ELb0ES3_N6thrust23THRUST_200600_302600_NS6detail15normal_iteratorINS9_10device_ptrIiEEEENSB_INSC_IsEEEESG_sNS9_4plusIvEENS9_8equal_toIvEEsEE10hipError_tPvRmT2_T3_T4_T5_mT6_T7_P12ihipStream_tbENKUlT_T0_E_clISt17integral_constantIbLb1EES10_IbLb0EEEEDaSW_SX_EUlSW_E_NS1_11comp_targetILNS1_3genE2ELNS1_11target_archE906ELNS1_3gpuE6ELNS1_3repE0EEENS1_30default_config_static_selectorELNS0_4arch9wavefront6targetE1EEEvT1_,@function
_ZN7rocprim17ROCPRIM_400000_NS6detail17trampoline_kernelINS0_14default_configENS1_27scan_by_key_config_selectorIisEEZZNS1_16scan_by_key_implILNS1_25lookback_scan_determinismE0ELb0ES3_N6thrust23THRUST_200600_302600_NS6detail15normal_iteratorINS9_10device_ptrIiEEEENSB_INSC_IsEEEESG_sNS9_4plusIvEENS9_8equal_toIvEEsEE10hipError_tPvRmT2_T3_T4_T5_mT6_T7_P12ihipStream_tbENKUlT_T0_E_clISt17integral_constantIbLb1EES10_IbLb0EEEEDaSW_SX_EUlSW_E_NS1_11comp_targetILNS1_3genE2ELNS1_11target_archE906ELNS1_3gpuE6ELNS1_3repE0EEENS1_30default_config_static_selectorELNS0_4arch9wavefront6targetE1EEEvT1_: ; @_ZN7rocprim17ROCPRIM_400000_NS6detail17trampoline_kernelINS0_14default_configENS1_27scan_by_key_config_selectorIisEEZZNS1_16scan_by_key_implILNS1_25lookback_scan_determinismE0ELb0ES3_N6thrust23THRUST_200600_302600_NS6detail15normal_iteratorINS9_10device_ptrIiEEEENSB_INSC_IsEEEESG_sNS9_4plusIvEENS9_8equal_toIvEEsEE10hipError_tPvRmT2_T3_T4_T5_mT6_T7_P12ihipStream_tbENKUlT_T0_E_clISt17integral_constantIbLb1EES10_IbLb0EEEEDaSW_SX_EUlSW_E_NS1_11comp_targetILNS1_3genE2ELNS1_11target_archE906ELNS1_3gpuE6ELNS1_3repE0EEENS1_30default_config_static_selectorELNS0_4arch9wavefront6targetE1EEEvT1_
; %bb.0:
	.section	.rodata,"a",@progbits
	.p2align	6, 0x0
	.amdhsa_kernel _ZN7rocprim17ROCPRIM_400000_NS6detail17trampoline_kernelINS0_14default_configENS1_27scan_by_key_config_selectorIisEEZZNS1_16scan_by_key_implILNS1_25lookback_scan_determinismE0ELb0ES3_N6thrust23THRUST_200600_302600_NS6detail15normal_iteratorINS9_10device_ptrIiEEEENSB_INSC_IsEEEESG_sNS9_4plusIvEENS9_8equal_toIvEEsEE10hipError_tPvRmT2_T3_T4_T5_mT6_T7_P12ihipStream_tbENKUlT_T0_E_clISt17integral_constantIbLb1EES10_IbLb0EEEEDaSW_SX_EUlSW_E_NS1_11comp_targetILNS1_3genE2ELNS1_11target_archE906ELNS1_3gpuE6ELNS1_3repE0EEENS1_30default_config_static_selectorELNS0_4arch9wavefront6targetE1EEEvT1_
		.amdhsa_group_segment_fixed_size 0
		.amdhsa_private_segment_fixed_size 0
		.amdhsa_kernarg_size 112
		.amdhsa_user_sgpr_count 6
		.amdhsa_user_sgpr_private_segment_buffer 1
		.amdhsa_user_sgpr_dispatch_ptr 0
		.amdhsa_user_sgpr_queue_ptr 0
		.amdhsa_user_sgpr_kernarg_segment_ptr 1
		.amdhsa_user_sgpr_dispatch_id 0
		.amdhsa_user_sgpr_flat_scratch_init 0
		.amdhsa_user_sgpr_kernarg_preload_length 0
		.amdhsa_user_sgpr_kernarg_preload_offset 0
		.amdhsa_user_sgpr_private_segment_size 0
		.amdhsa_uses_dynamic_stack 0
		.amdhsa_system_sgpr_private_segment_wavefront_offset 0
		.amdhsa_system_sgpr_workgroup_id_x 1
		.amdhsa_system_sgpr_workgroup_id_y 0
		.amdhsa_system_sgpr_workgroup_id_z 0
		.amdhsa_system_sgpr_workgroup_info 0
		.amdhsa_system_vgpr_workitem_id 0
		.amdhsa_next_free_vgpr 1
		.amdhsa_next_free_sgpr 0
		.amdhsa_accum_offset 4
		.amdhsa_reserve_vcc 0
		.amdhsa_reserve_flat_scratch 0
		.amdhsa_float_round_mode_32 0
		.amdhsa_float_round_mode_16_64 0
		.amdhsa_float_denorm_mode_32 3
		.amdhsa_float_denorm_mode_16_64 3
		.amdhsa_dx10_clamp 1
		.amdhsa_ieee_mode 1
		.amdhsa_fp16_overflow 0
		.amdhsa_tg_split 0
		.amdhsa_exception_fp_ieee_invalid_op 0
		.amdhsa_exception_fp_denorm_src 0
		.amdhsa_exception_fp_ieee_div_zero 0
		.amdhsa_exception_fp_ieee_overflow 0
		.amdhsa_exception_fp_ieee_underflow 0
		.amdhsa_exception_fp_ieee_inexact 0
		.amdhsa_exception_int_div_zero 0
	.end_amdhsa_kernel
	.section	.text._ZN7rocprim17ROCPRIM_400000_NS6detail17trampoline_kernelINS0_14default_configENS1_27scan_by_key_config_selectorIisEEZZNS1_16scan_by_key_implILNS1_25lookback_scan_determinismE0ELb0ES3_N6thrust23THRUST_200600_302600_NS6detail15normal_iteratorINS9_10device_ptrIiEEEENSB_INSC_IsEEEESG_sNS9_4plusIvEENS9_8equal_toIvEEsEE10hipError_tPvRmT2_T3_T4_T5_mT6_T7_P12ihipStream_tbENKUlT_T0_E_clISt17integral_constantIbLb1EES10_IbLb0EEEEDaSW_SX_EUlSW_E_NS1_11comp_targetILNS1_3genE2ELNS1_11target_archE906ELNS1_3gpuE6ELNS1_3repE0EEENS1_30default_config_static_selectorELNS0_4arch9wavefront6targetE1EEEvT1_,"axG",@progbits,_ZN7rocprim17ROCPRIM_400000_NS6detail17trampoline_kernelINS0_14default_configENS1_27scan_by_key_config_selectorIisEEZZNS1_16scan_by_key_implILNS1_25lookback_scan_determinismE0ELb0ES3_N6thrust23THRUST_200600_302600_NS6detail15normal_iteratorINS9_10device_ptrIiEEEENSB_INSC_IsEEEESG_sNS9_4plusIvEENS9_8equal_toIvEEsEE10hipError_tPvRmT2_T3_T4_T5_mT6_T7_P12ihipStream_tbENKUlT_T0_E_clISt17integral_constantIbLb1EES10_IbLb0EEEEDaSW_SX_EUlSW_E_NS1_11comp_targetILNS1_3genE2ELNS1_11target_archE906ELNS1_3gpuE6ELNS1_3repE0EEENS1_30default_config_static_selectorELNS0_4arch9wavefront6targetE1EEEvT1_,comdat
.Lfunc_end1377:
	.size	_ZN7rocprim17ROCPRIM_400000_NS6detail17trampoline_kernelINS0_14default_configENS1_27scan_by_key_config_selectorIisEEZZNS1_16scan_by_key_implILNS1_25lookback_scan_determinismE0ELb0ES3_N6thrust23THRUST_200600_302600_NS6detail15normal_iteratorINS9_10device_ptrIiEEEENSB_INSC_IsEEEESG_sNS9_4plusIvEENS9_8equal_toIvEEsEE10hipError_tPvRmT2_T3_T4_T5_mT6_T7_P12ihipStream_tbENKUlT_T0_E_clISt17integral_constantIbLb1EES10_IbLb0EEEEDaSW_SX_EUlSW_E_NS1_11comp_targetILNS1_3genE2ELNS1_11target_archE906ELNS1_3gpuE6ELNS1_3repE0EEENS1_30default_config_static_selectorELNS0_4arch9wavefront6targetE1EEEvT1_, .Lfunc_end1377-_ZN7rocprim17ROCPRIM_400000_NS6detail17trampoline_kernelINS0_14default_configENS1_27scan_by_key_config_selectorIisEEZZNS1_16scan_by_key_implILNS1_25lookback_scan_determinismE0ELb0ES3_N6thrust23THRUST_200600_302600_NS6detail15normal_iteratorINS9_10device_ptrIiEEEENSB_INSC_IsEEEESG_sNS9_4plusIvEENS9_8equal_toIvEEsEE10hipError_tPvRmT2_T3_T4_T5_mT6_T7_P12ihipStream_tbENKUlT_T0_E_clISt17integral_constantIbLb1EES10_IbLb0EEEEDaSW_SX_EUlSW_E_NS1_11comp_targetILNS1_3genE2ELNS1_11target_archE906ELNS1_3gpuE6ELNS1_3repE0EEENS1_30default_config_static_selectorELNS0_4arch9wavefront6targetE1EEEvT1_
                                        ; -- End function
	.section	.AMDGPU.csdata,"",@progbits
; Kernel info:
; codeLenInByte = 0
; NumSgprs: 4
; NumVgprs: 0
; NumAgprs: 0
; TotalNumVgprs: 0
; ScratchSize: 0
; MemoryBound: 0
; FloatMode: 240
; IeeeMode: 1
; LDSByteSize: 0 bytes/workgroup (compile time only)
; SGPRBlocks: 0
; VGPRBlocks: 0
; NumSGPRsForWavesPerEU: 4
; NumVGPRsForWavesPerEU: 1
; AccumOffset: 4
; Occupancy: 8
; WaveLimiterHint : 0
; COMPUTE_PGM_RSRC2:SCRATCH_EN: 0
; COMPUTE_PGM_RSRC2:USER_SGPR: 6
; COMPUTE_PGM_RSRC2:TRAP_HANDLER: 0
; COMPUTE_PGM_RSRC2:TGID_X_EN: 1
; COMPUTE_PGM_RSRC2:TGID_Y_EN: 0
; COMPUTE_PGM_RSRC2:TGID_Z_EN: 0
; COMPUTE_PGM_RSRC2:TIDIG_COMP_CNT: 0
; COMPUTE_PGM_RSRC3_GFX90A:ACCUM_OFFSET: 0
; COMPUTE_PGM_RSRC3_GFX90A:TG_SPLIT: 0
	.section	.text._ZN7rocprim17ROCPRIM_400000_NS6detail17trampoline_kernelINS0_14default_configENS1_27scan_by_key_config_selectorIisEEZZNS1_16scan_by_key_implILNS1_25lookback_scan_determinismE0ELb0ES3_N6thrust23THRUST_200600_302600_NS6detail15normal_iteratorINS9_10device_ptrIiEEEENSB_INSC_IsEEEESG_sNS9_4plusIvEENS9_8equal_toIvEEsEE10hipError_tPvRmT2_T3_T4_T5_mT6_T7_P12ihipStream_tbENKUlT_T0_E_clISt17integral_constantIbLb1EES10_IbLb0EEEEDaSW_SX_EUlSW_E_NS1_11comp_targetILNS1_3genE10ELNS1_11target_archE1200ELNS1_3gpuE4ELNS1_3repE0EEENS1_30default_config_static_selectorELNS0_4arch9wavefront6targetE1EEEvT1_,"axG",@progbits,_ZN7rocprim17ROCPRIM_400000_NS6detail17trampoline_kernelINS0_14default_configENS1_27scan_by_key_config_selectorIisEEZZNS1_16scan_by_key_implILNS1_25lookback_scan_determinismE0ELb0ES3_N6thrust23THRUST_200600_302600_NS6detail15normal_iteratorINS9_10device_ptrIiEEEENSB_INSC_IsEEEESG_sNS9_4plusIvEENS9_8equal_toIvEEsEE10hipError_tPvRmT2_T3_T4_T5_mT6_T7_P12ihipStream_tbENKUlT_T0_E_clISt17integral_constantIbLb1EES10_IbLb0EEEEDaSW_SX_EUlSW_E_NS1_11comp_targetILNS1_3genE10ELNS1_11target_archE1200ELNS1_3gpuE4ELNS1_3repE0EEENS1_30default_config_static_selectorELNS0_4arch9wavefront6targetE1EEEvT1_,comdat
	.protected	_ZN7rocprim17ROCPRIM_400000_NS6detail17trampoline_kernelINS0_14default_configENS1_27scan_by_key_config_selectorIisEEZZNS1_16scan_by_key_implILNS1_25lookback_scan_determinismE0ELb0ES3_N6thrust23THRUST_200600_302600_NS6detail15normal_iteratorINS9_10device_ptrIiEEEENSB_INSC_IsEEEESG_sNS9_4plusIvEENS9_8equal_toIvEEsEE10hipError_tPvRmT2_T3_T4_T5_mT6_T7_P12ihipStream_tbENKUlT_T0_E_clISt17integral_constantIbLb1EES10_IbLb0EEEEDaSW_SX_EUlSW_E_NS1_11comp_targetILNS1_3genE10ELNS1_11target_archE1200ELNS1_3gpuE4ELNS1_3repE0EEENS1_30default_config_static_selectorELNS0_4arch9wavefront6targetE1EEEvT1_ ; -- Begin function _ZN7rocprim17ROCPRIM_400000_NS6detail17trampoline_kernelINS0_14default_configENS1_27scan_by_key_config_selectorIisEEZZNS1_16scan_by_key_implILNS1_25lookback_scan_determinismE0ELb0ES3_N6thrust23THRUST_200600_302600_NS6detail15normal_iteratorINS9_10device_ptrIiEEEENSB_INSC_IsEEEESG_sNS9_4plusIvEENS9_8equal_toIvEEsEE10hipError_tPvRmT2_T3_T4_T5_mT6_T7_P12ihipStream_tbENKUlT_T0_E_clISt17integral_constantIbLb1EES10_IbLb0EEEEDaSW_SX_EUlSW_E_NS1_11comp_targetILNS1_3genE10ELNS1_11target_archE1200ELNS1_3gpuE4ELNS1_3repE0EEENS1_30default_config_static_selectorELNS0_4arch9wavefront6targetE1EEEvT1_
	.globl	_ZN7rocprim17ROCPRIM_400000_NS6detail17trampoline_kernelINS0_14default_configENS1_27scan_by_key_config_selectorIisEEZZNS1_16scan_by_key_implILNS1_25lookback_scan_determinismE0ELb0ES3_N6thrust23THRUST_200600_302600_NS6detail15normal_iteratorINS9_10device_ptrIiEEEENSB_INSC_IsEEEESG_sNS9_4plusIvEENS9_8equal_toIvEEsEE10hipError_tPvRmT2_T3_T4_T5_mT6_T7_P12ihipStream_tbENKUlT_T0_E_clISt17integral_constantIbLb1EES10_IbLb0EEEEDaSW_SX_EUlSW_E_NS1_11comp_targetILNS1_3genE10ELNS1_11target_archE1200ELNS1_3gpuE4ELNS1_3repE0EEENS1_30default_config_static_selectorELNS0_4arch9wavefront6targetE1EEEvT1_
	.p2align	8
	.type	_ZN7rocprim17ROCPRIM_400000_NS6detail17trampoline_kernelINS0_14default_configENS1_27scan_by_key_config_selectorIisEEZZNS1_16scan_by_key_implILNS1_25lookback_scan_determinismE0ELb0ES3_N6thrust23THRUST_200600_302600_NS6detail15normal_iteratorINS9_10device_ptrIiEEEENSB_INSC_IsEEEESG_sNS9_4plusIvEENS9_8equal_toIvEEsEE10hipError_tPvRmT2_T3_T4_T5_mT6_T7_P12ihipStream_tbENKUlT_T0_E_clISt17integral_constantIbLb1EES10_IbLb0EEEEDaSW_SX_EUlSW_E_NS1_11comp_targetILNS1_3genE10ELNS1_11target_archE1200ELNS1_3gpuE4ELNS1_3repE0EEENS1_30default_config_static_selectorELNS0_4arch9wavefront6targetE1EEEvT1_,@function
_ZN7rocprim17ROCPRIM_400000_NS6detail17trampoline_kernelINS0_14default_configENS1_27scan_by_key_config_selectorIisEEZZNS1_16scan_by_key_implILNS1_25lookback_scan_determinismE0ELb0ES3_N6thrust23THRUST_200600_302600_NS6detail15normal_iteratorINS9_10device_ptrIiEEEENSB_INSC_IsEEEESG_sNS9_4plusIvEENS9_8equal_toIvEEsEE10hipError_tPvRmT2_T3_T4_T5_mT6_T7_P12ihipStream_tbENKUlT_T0_E_clISt17integral_constantIbLb1EES10_IbLb0EEEEDaSW_SX_EUlSW_E_NS1_11comp_targetILNS1_3genE10ELNS1_11target_archE1200ELNS1_3gpuE4ELNS1_3repE0EEENS1_30default_config_static_selectorELNS0_4arch9wavefront6targetE1EEEvT1_: ; @_ZN7rocprim17ROCPRIM_400000_NS6detail17trampoline_kernelINS0_14default_configENS1_27scan_by_key_config_selectorIisEEZZNS1_16scan_by_key_implILNS1_25lookback_scan_determinismE0ELb0ES3_N6thrust23THRUST_200600_302600_NS6detail15normal_iteratorINS9_10device_ptrIiEEEENSB_INSC_IsEEEESG_sNS9_4plusIvEENS9_8equal_toIvEEsEE10hipError_tPvRmT2_T3_T4_T5_mT6_T7_P12ihipStream_tbENKUlT_T0_E_clISt17integral_constantIbLb1EES10_IbLb0EEEEDaSW_SX_EUlSW_E_NS1_11comp_targetILNS1_3genE10ELNS1_11target_archE1200ELNS1_3gpuE4ELNS1_3repE0EEENS1_30default_config_static_selectorELNS0_4arch9wavefront6targetE1EEEvT1_
; %bb.0:
	.section	.rodata,"a",@progbits
	.p2align	6, 0x0
	.amdhsa_kernel _ZN7rocprim17ROCPRIM_400000_NS6detail17trampoline_kernelINS0_14default_configENS1_27scan_by_key_config_selectorIisEEZZNS1_16scan_by_key_implILNS1_25lookback_scan_determinismE0ELb0ES3_N6thrust23THRUST_200600_302600_NS6detail15normal_iteratorINS9_10device_ptrIiEEEENSB_INSC_IsEEEESG_sNS9_4plusIvEENS9_8equal_toIvEEsEE10hipError_tPvRmT2_T3_T4_T5_mT6_T7_P12ihipStream_tbENKUlT_T0_E_clISt17integral_constantIbLb1EES10_IbLb0EEEEDaSW_SX_EUlSW_E_NS1_11comp_targetILNS1_3genE10ELNS1_11target_archE1200ELNS1_3gpuE4ELNS1_3repE0EEENS1_30default_config_static_selectorELNS0_4arch9wavefront6targetE1EEEvT1_
		.amdhsa_group_segment_fixed_size 0
		.amdhsa_private_segment_fixed_size 0
		.amdhsa_kernarg_size 112
		.amdhsa_user_sgpr_count 6
		.amdhsa_user_sgpr_private_segment_buffer 1
		.amdhsa_user_sgpr_dispatch_ptr 0
		.amdhsa_user_sgpr_queue_ptr 0
		.amdhsa_user_sgpr_kernarg_segment_ptr 1
		.amdhsa_user_sgpr_dispatch_id 0
		.amdhsa_user_sgpr_flat_scratch_init 0
		.amdhsa_user_sgpr_kernarg_preload_length 0
		.amdhsa_user_sgpr_kernarg_preload_offset 0
		.amdhsa_user_sgpr_private_segment_size 0
		.amdhsa_uses_dynamic_stack 0
		.amdhsa_system_sgpr_private_segment_wavefront_offset 0
		.amdhsa_system_sgpr_workgroup_id_x 1
		.amdhsa_system_sgpr_workgroup_id_y 0
		.amdhsa_system_sgpr_workgroup_id_z 0
		.amdhsa_system_sgpr_workgroup_info 0
		.amdhsa_system_vgpr_workitem_id 0
		.amdhsa_next_free_vgpr 1
		.amdhsa_next_free_sgpr 0
		.amdhsa_accum_offset 4
		.amdhsa_reserve_vcc 0
		.amdhsa_reserve_flat_scratch 0
		.amdhsa_float_round_mode_32 0
		.amdhsa_float_round_mode_16_64 0
		.amdhsa_float_denorm_mode_32 3
		.amdhsa_float_denorm_mode_16_64 3
		.amdhsa_dx10_clamp 1
		.amdhsa_ieee_mode 1
		.amdhsa_fp16_overflow 0
		.amdhsa_tg_split 0
		.amdhsa_exception_fp_ieee_invalid_op 0
		.amdhsa_exception_fp_denorm_src 0
		.amdhsa_exception_fp_ieee_div_zero 0
		.amdhsa_exception_fp_ieee_overflow 0
		.amdhsa_exception_fp_ieee_underflow 0
		.amdhsa_exception_fp_ieee_inexact 0
		.amdhsa_exception_int_div_zero 0
	.end_amdhsa_kernel
	.section	.text._ZN7rocprim17ROCPRIM_400000_NS6detail17trampoline_kernelINS0_14default_configENS1_27scan_by_key_config_selectorIisEEZZNS1_16scan_by_key_implILNS1_25lookback_scan_determinismE0ELb0ES3_N6thrust23THRUST_200600_302600_NS6detail15normal_iteratorINS9_10device_ptrIiEEEENSB_INSC_IsEEEESG_sNS9_4plusIvEENS9_8equal_toIvEEsEE10hipError_tPvRmT2_T3_T4_T5_mT6_T7_P12ihipStream_tbENKUlT_T0_E_clISt17integral_constantIbLb1EES10_IbLb0EEEEDaSW_SX_EUlSW_E_NS1_11comp_targetILNS1_3genE10ELNS1_11target_archE1200ELNS1_3gpuE4ELNS1_3repE0EEENS1_30default_config_static_selectorELNS0_4arch9wavefront6targetE1EEEvT1_,"axG",@progbits,_ZN7rocprim17ROCPRIM_400000_NS6detail17trampoline_kernelINS0_14default_configENS1_27scan_by_key_config_selectorIisEEZZNS1_16scan_by_key_implILNS1_25lookback_scan_determinismE0ELb0ES3_N6thrust23THRUST_200600_302600_NS6detail15normal_iteratorINS9_10device_ptrIiEEEENSB_INSC_IsEEEESG_sNS9_4plusIvEENS9_8equal_toIvEEsEE10hipError_tPvRmT2_T3_T4_T5_mT6_T7_P12ihipStream_tbENKUlT_T0_E_clISt17integral_constantIbLb1EES10_IbLb0EEEEDaSW_SX_EUlSW_E_NS1_11comp_targetILNS1_3genE10ELNS1_11target_archE1200ELNS1_3gpuE4ELNS1_3repE0EEENS1_30default_config_static_selectorELNS0_4arch9wavefront6targetE1EEEvT1_,comdat
.Lfunc_end1378:
	.size	_ZN7rocprim17ROCPRIM_400000_NS6detail17trampoline_kernelINS0_14default_configENS1_27scan_by_key_config_selectorIisEEZZNS1_16scan_by_key_implILNS1_25lookback_scan_determinismE0ELb0ES3_N6thrust23THRUST_200600_302600_NS6detail15normal_iteratorINS9_10device_ptrIiEEEENSB_INSC_IsEEEESG_sNS9_4plusIvEENS9_8equal_toIvEEsEE10hipError_tPvRmT2_T3_T4_T5_mT6_T7_P12ihipStream_tbENKUlT_T0_E_clISt17integral_constantIbLb1EES10_IbLb0EEEEDaSW_SX_EUlSW_E_NS1_11comp_targetILNS1_3genE10ELNS1_11target_archE1200ELNS1_3gpuE4ELNS1_3repE0EEENS1_30default_config_static_selectorELNS0_4arch9wavefront6targetE1EEEvT1_, .Lfunc_end1378-_ZN7rocprim17ROCPRIM_400000_NS6detail17trampoline_kernelINS0_14default_configENS1_27scan_by_key_config_selectorIisEEZZNS1_16scan_by_key_implILNS1_25lookback_scan_determinismE0ELb0ES3_N6thrust23THRUST_200600_302600_NS6detail15normal_iteratorINS9_10device_ptrIiEEEENSB_INSC_IsEEEESG_sNS9_4plusIvEENS9_8equal_toIvEEsEE10hipError_tPvRmT2_T3_T4_T5_mT6_T7_P12ihipStream_tbENKUlT_T0_E_clISt17integral_constantIbLb1EES10_IbLb0EEEEDaSW_SX_EUlSW_E_NS1_11comp_targetILNS1_3genE10ELNS1_11target_archE1200ELNS1_3gpuE4ELNS1_3repE0EEENS1_30default_config_static_selectorELNS0_4arch9wavefront6targetE1EEEvT1_
                                        ; -- End function
	.section	.AMDGPU.csdata,"",@progbits
; Kernel info:
; codeLenInByte = 0
; NumSgprs: 4
; NumVgprs: 0
; NumAgprs: 0
; TotalNumVgprs: 0
; ScratchSize: 0
; MemoryBound: 0
; FloatMode: 240
; IeeeMode: 1
; LDSByteSize: 0 bytes/workgroup (compile time only)
; SGPRBlocks: 0
; VGPRBlocks: 0
; NumSGPRsForWavesPerEU: 4
; NumVGPRsForWavesPerEU: 1
; AccumOffset: 4
; Occupancy: 8
; WaveLimiterHint : 0
; COMPUTE_PGM_RSRC2:SCRATCH_EN: 0
; COMPUTE_PGM_RSRC2:USER_SGPR: 6
; COMPUTE_PGM_RSRC2:TRAP_HANDLER: 0
; COMPUTE_PGM_RSRC2:TGID_X_EN: 1
; COMPUTE_PGM_RSRC2:TGID_Y_EN: 0
; COMPUTE_PGM_RSRC2:TGID_Z_EN: 0
; COMPUTE_PGM_RSRC2:TIDIG_COMP_CNT: 0
; COMPUTE_PGM_RSRC3_GFX90A:ACCUM_OFFSET: 0
; COMPUTE_PGM_RSRC3_GFX90A:TG_SPLIT: 0
	.section	.text._ZN7rocprim17ROCPRIM_400000_NS6detail17trampoline_kernelINS0_14default_configENS1_27scan_by_key_config_selectorIisEEZZNS1_16scan_by_key_implILNS1_25lookback_scan_determinismE0ELb0ES3_N6thrust23THRUST_200600_302600_NS6detail15normal_iteratorINS9_10device_ptrIiEEEENSB_INSC_IsEEEESG_sNS9_4plusIvEENS9_8equal_toIvEEsEE10hipError_tPvRmT2_T3_T4_T5_mT6_T7_P12ihipStream_tbENKUlT_T0_E_clISt17integral_constantIbLb1EES10_IbLb0EEEEDaSW_SX_EUlSW_E_NS1_11comp_targetILNS1_3genE9ELNS1_11target_archE1100ELNS1_3gpuE3ELNS1_3repE0EEENS1_30default_config_static_selectorELNS0_4arch9wavefront6targetE1EEEvT1_,"axG",@progbits,_ZN7rocprim17ROCPRIM_400000_NS6detail17trampoline_kernelINS0_14default_configENS1_27scan_by_key_config_selectorIisEEZZNS1_16scan_by_key_implILNS1_25lookback_scan_determinismE0ELb0ES3_N6thrust23THRUST_200600_302600_NS6detail15normal_iteratorINS9_10device_ptrIiEEEENSB_INSC_IsEEEESG_sNS9_4plusIvEENS9_8equal_toIvEEsEE10hipError_tPvRmT2_T3_T4_T5_mT6_T7_P12ihipStream_tbENKUlT_T0_E_clISt17integral_constantIbLb1EES10_IbLb0EEEEDaSW_SX_EUlSW_E_NS1_11comp_targetILNS1_3genE9ELNS1_11target_archE1100ELNS1_3gpuE3ELNS1_3repE0EEENS1_30default_config_static_selectorELNS0_4arch9wavefront6targetE1EEEvT1_,comdat
	.protected	_ZN7rocprim17ROCPRIM_400000_NS6detail17trampoline_kernelINS0_14default_configENS1_27scan_by_key_config_selectorIisEEZZNS1_16scan_by_key_implILNS1_25lookback_scan_determinismE0ELb0ES3_N6thrust23THRUST_200600_302600_NS6detail15normal_iteratorINS9_10device_ptrIiEEEENSB_INSC_IsEEEESG_sNS9_4plusIvEENS9_8equal_toIvEEsEE10hipError_tPvRmT2_T3_T4_T5_mT6_T7_P12ihipStream_tbENKUlT_T0_E_clISt17integral_constantIbLb1EES10_IbLb0EEEEDaSW_SX_EUlSW_E_NS1_11comp_targetILNS1_3genE9ELNS1_11target_archE1100ELNS1_3gpuE3ELNS1_3repE0EEENS1_30default_config_static_selectorELNS0_4arch9wavefront6targetE1EEEvT1_ ; -- Begin function _ZN7rocprim17ROCPRIM_400000_NS6detail17trampoline_kernelINS0_14default_configENS1_27scan_by_key_config_selectorIisEEZZNS1_16scan_by_key_implILNS1_25lookback_scan_determinismE0ELb0ES3_N6thrust23THRUST_200600_302600_NS6detail15normal_iteratorINS9_10device_ptrIiEEEENSB_INSC_IsEEEESG_sNS9_4plusIvEENS9_8equal_toIvEEsEE10hipError_tPvRmT2_T3_T4_T5_mT6_T7_P12ihipStream_tbENKUlT_T0_E_clISt17integral_constantIbLb1EES10_IbLb0EEEEDaSW_SX_EUlSW_E_NS1_11comp_targetILNS1_3genE9ELNS1_11target_archE1100ELNS1_3gpuE3ELNS1_3repE0EEENS1_30default_config_static_selectorELNS0_4arch9wavefront6targetE1EEEvT1_
	.globl	_ZN7rocprim17ROCPRIM_400000_NS6detail17trampoline_kernelINS0_14default_configENS1_27scan_by_key_config_selectorIisEEZZNS1_16scan_by_key_implILNS1_25lookback_scan_determinismE0ELb0ES3_N6thrust23THRUST_200600_302600_NS6detail15normal_iteratorINS9_10device_ptrIiEEEENSB_INSC_IsEEEESG_sNS9_4plusIvEENS9_8equal_toIvEEsEE10hipError_tPvRmT2_T3_T4_T5_mT6_T7_P12ihipStream_tbENKUlT_T0_E_clISt17integral_constantIbLb1EES10_IbLb0EEEEDaSW_SX_EUlSW_E_NS1_11comp_targetILNS1_3genE9ELNS1_11target_archE1100ELNS1_3gpuE3ELNS1_3repE0EEENS1_30default_config_static_selectorELNS0_4arch9wavefront6targetE1EEEvT1_
	.p2align	8
	.type	_ZN7rocprim17ROCPRIM_400000_NS6detail17trampoline_kernelINS0_14default_configENS1_27scan_by_key_config_selectorIisEEZZNS1_16scan_by_key_implILNS1_25lookback_scan_determinismE0ELb0ES3_N6thrust23THRUST_200600_302600_NS6detail15normal_iteratorINS9_10device_ptrIiEEEENSB_INSC_IsEEEESG_sNS9_4plusIvEENS9_8equal_toIvEEsEE10hipError_tPvRmT2_T3_T4_T5_mT6_T7_P12ihipStream_tbENKUlT_T0_E_clISt17integral_constantIbLb1EES10_IbLb0EEEEDaSW_SX_EUlSW_E_NS1_11comp_targetILNS1_3genE9ELNS1_11target_archE1100ELNS1_3gpuE3ELNS1_3repE0EEENS1_30default_config_static_selectorELNS0_4arch9wavefront6targetE1EEEvT1_,@function
_ZN7rocprim17ROCPRIM_400000_NS6detail17trampoline_kernelINS0_14default_configENS1_27scan_by_key_config_selectorIisEEZZNS1_16scan_by_key_implILNS1_25lookback_scan_determinismE0ELb0ES3_N6thrust23THRUST_200600_302600_NS6detail15normal_iteratorINS9_10device_ptrIiEEEENSB_INSC_IsEEEESG_sNS9_4plusIvEENS9_8equal_toIvEEsEE10hipError_tPvRmT2_T3_T4_T5_mT6_T7_P12ihipStream_tbENKUlT_T0_E_clISt17integral_constantIbLb1EES10_IbLb0EEEEDaSW_SX_EUlSW_E_NS1_11comp_targetILNS1_3genE9ELNS1_11target_archE1100ELNS1_3gpuE3ELNS1_3repE0EEENS1_30default_config_static_selectorELNS0_4arch9wavefront6targetE1EEEvT1_: ; @_ZN7rocprim17ROCPRIM_400000_NS6detail17trampoline_kernelINS0_14default_configENS1_27scan_by_key_config_selectorIisEEZZNS1_16scan_by_key_implILNS1_25lookback_scan_determinismE0ELb0ES3_N6thrust23THRUST_200600_302600_NS6detail15normal_iteratorINS9_10device_ptrIiEEEENSB_INSC_IsEEEESG_sNS9_4plusIvEENS9_8equal_toIvEEsEE10hipError_tPvRmT2_T3_T4_T5_mT6_T7_P12ihipStream_tbENKUlT_T0_E_clISt17integral_constantIbLb1EES10_IbLb0EEEEDaSW_SX_EUlSW_E_NS1_11comp_targetILNS1_3genE9ELNS1_11target_archE1100ELNS1_3gpuE3ELNS1_3repE0EEENS1_30default_config_static_selectorELNS0_4arch9wavefront6targetE1EEEvT1_
; %bb.0:
	.section	.rodata,"a",@progbits
	.p2align	6, 0x0
	.amdhsa_kernel _ZN7rocprim17ROCPRIM_400000_NS6detail17trampoline_kernelINS0_14default_configENS1_27scan_by_key_config_selectorIisEEZZNS1_16scan_by_key_implILNS1_25lookback_scan_determinismE0ELb0ES3_N6thrust23THRUST_200600_302600_NS6detail15normal_iteratorINS9_10device_ptrIiEEEENSB_INSC_IsEEEESG_sNS9_4plusIvEENS9_8equal_toIvEEsEE10hipError_tPvRmT2_T3_T4_T5_mT6_T7_P12ihipStream_tbENKUlT_T0_E_clISt17integral_constantIbLb1EES10_IbLb0EEEEDaSW_SX_EUlSW_E_NS1_11comp_targetILNS1_3genE9ELNS1_11target_archE1100ELNS1_3gpuE3ELNS1_3repE0EEENS1_30default_config_static_selectorELNS0_4arch9wavefront6targetE1EEEvT1_
		.amdhsa_group_segment_fixed_size 0
		.amdhsa_private_segment_fixed_size 0
		.amdhsa_kernarg_size 112
		.amdhsa_user_sgpr_count 6
		.amdhsa_user_sgpr_private_segment_buffer 1
		.amdhsa_user_sgpr_dispatch_ptr 0
		.amdhsa_user_sgpr_queue_ptr 0
		.amdhsa_user_sgpr_kernarg_segment_ptr 1
		.amdhsa_user_sgpr_dispatch_id 0
		.amdhsa_user_sgpr_flat_scratch_init 0
		.amdhsa_user_sgpr_kernarg_preload_length 0
		.amdhsa_user_sgpr_kernarg_preload_offset 0
		.amdhsa_user_sgpr_private_segment_size 0
		.amdhsa_uses_dynamic_stack 0
		.amdhsa_system_sgpr_private_segment_wavefront_offset 0
		.amdhsa_system_sgpr_workgroup_id_x 1
		.amdhsa_system_sgpr_workgroup_id_y 0
		.amdhsa_system_sgpr_workgroup_id_z 0
		.amdhsa_system_sgpr_workgroup_info 0
		.amdhsa_system_vgpr_workitem_id 0
		.amdhsa_next_free_vgpr 1
		.amdhsa_next_free_sgpr 0
		.amdhsa_accum_offset 4
		.amdhsa_reserve_vcc 0
		.amdhsa_reserve_flat_scratch 0
		.amdhsa_float_round_mode_32 0
		.amdhsa_float_round_mode_16_64 0
		.amdhsa_float_denorm_mode_32 3
		.amdhsa_float_denorm_mode_16_64 3
		.amdhsa_dx10_clamp 1
		.amdhsa_ieee_mode 1
		.amdhsa_fp16_overflow 0
		.amdhsa_tg_split 0
		.amdhsa_exception_fp_ieee_invalid_op 0
		.amdhsa_exception_fp_denorm_src 0
		.amdhsa_exception_fp_ieee_div_zero 0
		.amdhsa_exception_fp_ieee_overflow 0
		.amdhsa_exception_fp_ieee_underflow 0
		.amdhsa_exception_fp_ieee_inexact 0
		.amdhsa_exception_int_div_zero 0
	.end_amdhsa_kernel
	.section	.text._ZN7rocprim17ROCPRIM_400000_NS6detail17trampoline_kernelINS0_14default_configENS1_27scan_by_key_config_selectorIisEEZZNS1_16scan_by_key_implILNS1_25lookback_scan_determinismE0ELb0ES3_N6thrust23THRUST_200600_302600_NS6detail15normal_iteratorINS9_10device_ptrIiEEEENSB_INSC_IsEEEESG_sNS9_4plusIvEENS9_8equal_toIvEEsEE10hipError_tPvRmT2_T3_T4_T5_mT6_T7_P12ihipStream_tbENKUlT_T0_E_clISt17integral_constantIbLb1EES10_IbLb0EEEEDaSW_SX_EUlSW_E_NS1_11comp_targetILNS1_3genE9ELNS1_11target_archE1100ELNS1_3gpuE3ELNS1_3repE0EEENS1_30default_config_static_selectorELNS0_4arch9wavefront6targetE1EEEvT1_,"axG",@progbits,_ZN7rocprim17ROCPRIM_400000_NS6detail17trampoline_kernelINS0_14default_configENS1_27scan_by_key_config_selectorIisEEZZNS1_16scan_by_key_implILNS1_25lookback_scan_determinismE0ELb0ES3_N6thrust23THRUST_200600_302600_NS6detail15normal_iteratorINS9_10device_ptrIiEEEENSB_INSC_IsEEEESG_sNS9_4plusIvEENS9_8equal_toIvEEsEE10hipError_tPvRmT2_T3_T4_T5_mT6_T7_P12ihipStream_tbENKUlT_T0_E_clISt17integral_constantIbLb1EES10_IbLb0EEEEDaSW_SX_EUlSW_E_NS1_11comp_targetILNS1_3genE9ELNS1_11target_archE1100ELNS1_3gpuE3ELNS1_3repE0EEENS1_30default_config_static_selectorELNS0_4arch9wavefront6targetE1EEEvT1_,comdat
.Lfunc_end1379:
	.size	_ZN7rocprim17ROCPRIM_400000_NS6detail17trampoline_kernelINS0_14default_configENS1_27scan_by_key_config_selectorIisEEZZNS1_16scan_by_key_implILNS1_25lookback_scan_determinismE0ELb0ES3_N6thrust23THRUST_200600_302600_NS6detail15normal_iteratorINS9_10device_ptrIiEEEENSB_INSC_IsEEEESG_sNS9_4plusIvEENS9_8equal_toIvEEsEE10hipError_tPvRmT2_T3_T4_T5_mT6_T7_P12ihipStream_tbENKUlT_T0_E_clISt17integral_constantIbLb1EES10_IbLb0EEEEDaSW_SX_EUlSW_E_NS1_11comp_targetILNS1_3genE9ELNS1_11target_archE1100ELNS1_3gpuE3ELNS1_3repE0EEENS1_30default_config_static_selectorELNS0_4arch9wavefront6targetE1EEEvT1_, .Lfunc_end1379-_ZN7rocprim17ROCPRIM_400000_NS6detail17trampoline_kernelINS0_14default_configENS1_27scan_by_key_config_selectorIisEEZZNS1_16scan_by_key_implILNS1_25lookback_scan_determinismE0ELb0ES3_N6thrust23THRUST_200600_302600_NS6detail15normal_iteratorINS9_10device_ptrIiEEEENSB_INSC_IsEEEESG_sNS9_4plusIvEENS9_8equal_toIvEEsEE10hipError_tPvRmT2_T3_T4_T5_mT6_T7_P12ihipStream_tbENKUlT_T0_E_clISt17integral_constantIbLb1EES10_IbLb0EEEEDaSW_SX_EUlSW_E_NS1_11comp_targetILNS1_3genE9ELNS1_11target_archE1100ELNS1_3gpuE3ELNS1_3repE0EEENS1_30default_config_static_selectorELNS0_4arch9wavefront6targetE1EEEvT1_
                                        ; -- End function
	.section	.AMDGPU.csdata,"",@progbits
; Kernel info:
; codeLenInByte = 0
; NumSgprs: 4
; NumVgprs: 0
; NumAgprs: 0
; TotalNumVgprs: 0
; ScratchSize: 0
; MemoryBound: 0
; FloatMode: 240
; IeeeMode: 1
; LDSByteSize: 0 bytes/workgroup (compile time only)
; SGPRBlocks: 0
; VGPRBlocks: 0
; NumSGPRsForWavesPerEU: 4
; NumVGPRsForWavesPerEU: 1
; AccumOffset: 4
; Occupancy: 8
; WaveLimiterHint : 0
; COMPUTE_PGM_RSRC2:SCRATCH_EN: 0
; COMPUTE_PGM_RSRC2:USER_SGPR: 6
; COMPUTE_PGM_RSRC2:TRAP_HANDLER: 0
; COMPUTE_PGM_RSRC2:TGID_X_EN: 1
; COMPUTE_PGM_RSRC2:TGID_Y_EN: 0
; COMPUTE_PGM_RSRC2:TGID_Z_EN: 0
; COMPUTE_PGM_RSRC2:TIDIG_COMP_CNT: 0
; COMPUTE_PGM_RSRC3_GFX90A:ACCUM_OFFSET: 0
; COMPUTE_PGM_RSRC3_GFX90A:TG_SPLIT: 0
	.section	.text._ZN7rocprim17ROCPRIM_400000_NS6detail17trampoline_kernelINS0_14default_configENS1_27scan_by_key_config_selectorIisEEZZNS1_16scan_by_key_implILNS1_25lookback_scan_determinismE0ELb0ES3_N6thrust23THRUST_200600_302600_NS6detail15normal_iteratorINS9_10device_ptrIiEEEENSB_INSC_IsEEEESG_sNS9_4plusIvEENS9_8equal_toIvEEsEE10hipError_tPvRmT2_T3_T4_T5_mT6_T7_P12ihipStream_tbENKUlT_T0_E_clISt17integral_constantIbLb1EES10_IbLb0EEEEDaSW_SX_EUlSW_E_NS1_11comp_targetILNS1_3genE8ELNS1_11target_archE1030ELNS1_3gpuE2ELNS1_3repE0EEENS1_30default_config_static_selectorELNS0_4arch9wavefront6targetE1EEEvT1_,"axG",@progbits,_ZN7rocprim17ROCPRIM_400000_NS6detail17trampoline_kernelINS0_14default_configENS1_27scan_by_key_config_selectorIisEEZZNS1_16scan_by_key_implILNS1_25lookback_scan_determinismE0ELb0ES3_N6thrust23THRUST_200600_302600_NS6detail15normal_iteratorINS9_10device_ptrIiEEEENSB_INSC_IsEEEESG_sNS9_4plusIvEENS9_8equal_toIvEEsEE10hipError_tPvRmT2_T3_T4_T5_mT6_T7_P12ihipStream_tbENKUlT_T0_E_clISt17integral_constantIbLb1EES10_IbLb0EEEEDaSW_SX_EUlSW_E_NS1_11comp_targetILNS1_3genE8ELNS1_11target_archE1030ELNS1_3gpuE2ELNS1_3repE0EEENS1_30default_config_static_selectorELNS0_4arch9wavefront6targetE1EEEvT1_,comdat
	.protected	_ZN7rocprim17ROCPRIM_400000_NS6detail17trampoline_kernelINS0_14default_configENS1_27scan_by_key_config_selectorIisEEZZNS1_16scan_by_key_implILNS1_25lookback_scan_determinismE0ELb0ES3_N6thrust23THRUST_200600_302600_NS6detail15normal_iteratorINS9_10device_ptrIiEEEENSB_INSC_IsEEEESG_sNS9_4plusIvEENS9_8equal_toIvEEsEE10hipError_tPvRmT2_T3_T4_T5_mT6_T7_P12ihipStream_tbENKUlT_T0_E_clISt17integral_constantIbLb1EES10_IbLb0EEEEDaSW_SX_EUlSW_E_NS1_11comp_targetILNS1_3genE8ELNS1_11target_archE1030ELNS1_3gpuE2ELNS1_3repE0EEENS1_30default_config_static_selectorELNS0_4arch9wavefront6targetE1EEEvT1_ ; -- Begin function _ZN7rocprim17ROCPRIM_400000_NS6detail17trampoline_kernelINS0_14default_configENS1_27scan_by_key_config_selectorIisEEZZNS1_16scan_by_key_implILNS1_25lookback_scan_determinismE0ELb0ES3_N6thrust23THRUST_200600_302600_NS6detail15normal_iteratorINS9_10device_ptrIiEEEENSB_INSC_IsEEEESG_sNS9_4plusIvEENS9_8equal_toIvEEsEE10hipError_tPvRmT2_T3_T4_T5_mT6_T7_P12ihipStream_tbENKUlT_T0_E_clISt17integral_constantIbLb1EES10_IbLb0EEEEDaSW_SX_EUlSW_E_NS1_11comp_targetILNS1_3genE8ELNS1_11target_archE1030ELNS1_3gpuE2ELNS1_3repE0EEENS1_30default_config_static_selectorELNS0_4arch9wavefront6targetE1EEEvT1_
	.globl	_ZN7rocprim17ROCPRIM_400000_NS6detail17trampoline_kernelINS0_14default_configENS1_27scan_by_key_config_selectorIisEEZZNS1_16scan_by_key_implILNS1_25lookback_scan_determinismE0ELb0ES3_N6thrust23THRUST_200600_302600_NS6detail15normal_iteratorINS9_10device_ptrIiEEEENSB_INSC_IsEEEESG_sNS9_4plusIvEENS9_8equal_toIvEEsEE10hipError_tPvRmT2_T3_T4_T5_mT6_T7_P12ihipStream_tbENKUlT_T0_E_clISt17integral_constantIbLb1EES10_IbLb0EEEEDaSW_SX_EUlSW_E_NS1_11comp_targetILNS1_3genE8ELNS1_11target_archE1030ELNS1_3gpuE2ELNS1_3repE0EEENS1_30default_config_static_selectorELNS0_4arch9wavefront6targetE1EEEvT1_
	.p2align	8
	.type	_ZN7rocprim17ROCPRIM_400000_NS6detail17trampoline_kernelINS0_14default_configENS1_27scan_by_key_config_selectorIisEEZZNS1_16scan_by_key_implILNS1_25lookback_scan_determinismE0ELb0ES3_N6thrust23THRUST_200600_302600_NS6detail15normal_iteratorINS9_10device_ptrIiEEEENSB_INSC_IsEEEESG_sNS9_4plusIvEENS9_8equal_toIvEEsEE10hipError_tPvRmT2_T3_T4_T5_mT6_T7_P12ihipStream_tbENKUlT_T0_E_clISt17integral_constantIbLb1EES10_IbLb0EEEEDaSW_SX_EUlSW_E_NS1_11comp_targetILNS1_3genE8ELNS1_11target_archE1030ELNS1_3gpuE2ELNS1_3repE0EEENS1_30default_config_static_selectorELNS0_4arch9wavefront6targetE1EEEvT1_,@function
_ZN7rocprim17ROCPRIM_400000_NS6detail17trampoline_kernelINS0_14default_configENS1_27scan_by_key_config_selectorIisEEZZNS1_16scan_by_key_implILNS1_25lookback_scan_determinismE0ELb0ES3_N6thrust23THRUST_200600_302600_NS6detail15normal_iteratorINS9_10device_ptrIiEEEENSB_INSC_IsEEEESG_sNS9_4plusIvEENS9_8equal_toIvEEsEE10hipError_tPvRmT2_T3_T4_T5_mT6_T7_P12ihipStream_tbENKUlT_T0_E_clISt17integral_constantIbLb1EES10_IbLb0EEEEDaSW_SX_EUlSW_E_NS1_11comp_targetILNS1_3genE8ELNS1_11target_archE1030ELNS1_3gpuE2ELNS1_3repE0EEENS1_30default_config_static_selectorELNS0_4arch9wavefront6targetE1EEEvT1_: ; @_ZN7rocprim17ROCPRIM_400000_NS6detail17trampoline_kernelINS0_14default_configENS1_27scan_by_key_config_selectorIisEEZZNS1_16scan_by_key_implILNS1_25lookback_scan_determinismE0ELb0ES3_N6thrust23THRUST_200600_302600_NS6detail15normal_iteratorINS9_10device_ptrIiEEEENSB_INSC_IsEEEESG_sNS9_4plusIvEENS9_8equal_toIvEEsEE10hipError_tPvRmT2_T3_T4_T5_mT6_T7_P12ihipStream_tbENKUlT_T0_E_clISt17integral_constantIbLb1EES10_IbLb0EEEEDaSW_SX_EUlSW_E_NS1_11comp_targetILNS1_3genE8ELNS1_11target_archE1030ELNS1_3gpuE2ELNS1_3repE0EEENS1_30default_config_static_selectorELNS0_4arch9wavefront6targetE1EEEvT1_
; %bb.0:
	.section	.rodata,"a",@progbits
	.p2align	6, 0x0
	.amdhsa_kernel _ZN7rocprim17ROCPRIM_400000_NS6detail17trampoline_kernelINS0_14default_configENS1_27scan_by_key_config_selectorIisEEZZNS1_16scan_by_key_implILNS1_25lookback_scan_determinismE0ELb0ES3_N6thrust23THRUST_200600_302600_NS6detail15normal_iteratorINS9_10device_ptrIiEEEENSB_INSC_IsEEEESG_sNS9_4plusIvEENS9_8equal_toIvEEsEE10hipError_tPvRmT2_T3_T4_T5_mT6_T7_P12ihipStream_tbENKUlT_T0_E_clISt17integral_constantIbLb1EES10_IbLb0EEEEDaSW_SX_EUlSW_E_NS1_11comp_targetILNS1_3genE8ELNS1_11target_archE1030ELNS1_3gpuE2ELNS1_3repE0EEENS1_30default_config_static_selectorELNS0_4arch9wavefront6targetE1EEEvT1_
		.amdhsa_group_segment_fixed_size 0
		.amdhsa_private_segment_fixed_size 0
		.amdhsa_kernarg_size 112
		.amdhsa_user_sgpr_count 6
		.amdhsa_user_sgpr_private_segment_buffer 1
		.amdhsa_user_sgpr_dispatch_ptr 0
		.amdhsa_user_sgpr_queue_ptr 0
		.amdhsa_user_sgpr_kernarg_segment_ptr 1
		.amdhsa_user_sgpr_dispatch_id 0
		.amdhsa_user_sgpr_flat_scratch_init 0
		.amdhsa_user_sgpr_kernarg_preload_length 0
		.amdhsa_user_sgpr_kernarg_preload_offset 0
		.amdhsa_user_sgpr_private_segment_size 0
		.amdhsa_uses_dynamic_stack 0
		.amdhsa_system_sgpr_private_segment_wavefront_offset 0
		.amdhsa_system_sgpr_workgroup_id_x 1
		.amdhsa_system_sgpr_workgroup_id_y 0
		.amdhsa_system_sgpr_workgroup_id_z 0
		.amdhsa_system_sgpr_workgroup_info 0
		.amdhsa_system_vgpr_workitem_id 0
		.amdhsa_next_free_vgpr 1
		.amdhsa_next_free_sgpr 0
		.amdhsa_accum_offset 4
		.amdhsa_reserve_vcc 0
		.amdhsa_reserve_flat_scratch 0
		.amdhsa_float_round_mode_32 0
		.amdhsa_float_round_mode_16_64 0
		.amdhsa_float_denorm_mode_32 3
		.amdhsa_float_denorm_mode_16_64 3
		.amdhsa_dx10_clamp 1
		.amdhsa_ieee_mode 1
		.amdhsa_fp16_overflow 0
		.amdhsa_tg_split 0
		.amdhsa_exception_fp_ieee_invalid_op 0
		.amdhsa_exception_fp_denorm_src 0
		.amdhsa_exception_fp_ieee_div_zero 0
		.amdhsa_exception_fp_ieee_overflow 0
		.amdhsa_exception_fp_ieee_underflow 0
		.amdhsa_exception_fp_ieee_inexact 0
		.amdhsa_exception_int_div_zero 0
	.end_amdhsa_kernel
	.section	.text._ZN7rocprim17ROCPRIM_400000_NS6detail17trampoline_kernelINS0_14default_configENS1_27scan_by_key_config_selectorIisEEZZNS1_16scan_by_key_implILNS1_25lookback_scan_determinismE0ELb0ES3_N6thrust23THRUST_200600_302600_NS6detail15normal_iteratorINS9_10device_ptrIiEEEENSB_INSC_IsEEEESG_sNS9_4plusIvEENS9_8equal_toIvEEsEE10hipError_tPvRmT2_T3_T4_T5_mT6_T7_P12ihipStream_tbENKUlT_T0_E_clISt17integral_constantIbLb1EES10_IbLb0EEEEDaSW_SX_EUlSW_E_NS1_11comp_targetILNS1_3genE8ELNS1_11target_archE1030ELNS1_3gpuE2ELNS1_3repE0EEENS1_30default_config_static_selectorELNS0_4arch9wavefront6targetE1EEEvT1_,"axG",@progbits,_ZN7rocprim17ROCPRIM_400000_NS6detail17trampoline_kernelINS0_14default_configENS1_27scan_by_key_config_selectorIisEEZZNS1_16scan_by_key_implILNS1_25lookback_scan_determinismE0ELb0ES3_N6thrust23THRUST_200600_302600_NS6detail15normal_iteratorINS9_10device_ptrIiEEEENSB_INSC_IsEEEESG_sNS9_4plusIvEENS9_8equal_toIvEEsEE10hipError_tPvRmT2_T3_T4_T5_mT6_T7_P12ihipStream_tbENKUlT_T0_E_clISt17integral_constantIbLb1EES10_IbLb0EEEEDaSW_SX_EUlSW_E_NS1_11comp_targetILNS1_3genE8ELNS1_11target_archE1030ELNS1_3gpuE2ELNS1_3repE0EEENS1_30default_config_static_selectorELNS0_4arch9wavefront6targetE1EEEvT1_,comdat
.Lfunc_end1380:
	.size	_ZN7rocprim17ROCPRIM_400000_NS6detail17trampoline_kernelINS0_14default_configENS1_27scan_by_key_config_selectorIisEEZZNS1_16scan_by_key_implILNS1_25lookback_scan_determinismE0ELb0ES3_N6thrust23THRUST_200600_302600_NS6detail15normal_iteratorINS9_10device_ptrIiEEEENSB_INSC_IsEEEESG_sNS9_4plusIvEENS9_8equal_toIvEEsEE10hipError_tPvRmT2_T3_T4_T5_mT6_T7_P12ihipStream_tbENKUlT_T0_E_clISt17integral_constantIbLb1EES10_IbLb0EEEEDaSW_SX_EUlSW_E_NS1_11comp_targetILNS1_3genE8ELNS1_11target_archE1030ELNS1_3gpuE2ELNS1_3repE0EEENS1_30default_config_static_selectorELNS0_4arch9wavefront6targetE1EEEvT1_, .Lfunc_end1380-_ZN7rocprim17ROCPRIM_400000_NS6detail17trampoline_kernelINS0_14default_configENS1_27scan_by_key_config_selectorIisEEZZNS1_16scan_by_key_implILNS1_25lookback_scan_determinismE0ELb0ES3_N6thrust23THRUST_200600_302600_NS6detail15normal_iteratorINS9_10device_ptrIiEEEENSB_INSC_IsEEEESG_sNS9_4plusIvEENS9_8equal_toIvEEsEE10hipError_tPvRmT2_T3_T4_T5_mT6_T7_P12ihipStream_tbENKUlT_T0_E_clISt17integral_constantIbLb1EES10_IbLb0EEEEDaSW_SX_EUlSW_E_NS1_11comp_targetILNS1_3genE8ELNS1_11target_archE1030ELNS1_3gpuE2ELNS1_3repE0EEENS1_30default_config_static_selectorELNS0_4arch9wavefront6targetE1EEEvT1_
                                        ; -- End function
	.section	.AMDGPU.csdata,"",@progbits
; Kernel info:
; codeLenInByte = 0
; NumSgprs: 4
; NumVgprs: 0
; NumAgprs: 0
; TotalNumVgprs: 0
; ScratchSize: 0
; MemoryBound: 0
; FloatMode: 240
; IeeeMode: 1
; LDSByteSize: 0 bytes/workgroup (compile time only)
; SGPRBlocks: 0
; VGPRBlocks: 0
; NumSGPRsForWavesPerEU: 4
; NumVGPRsForWavesPerEU: 1
; AccumOffset: 4
; Occupancy: 8
; WaveLimiterHint : 0
; COMPUTE_PGM_RSRC2:SCRATCH_EN: 0
; COMPUTE_PGM_RSRC2:USER_SGPR: 6
; COMPUTE_PGM_RSRC2:TRAP_HANDLER: 0
; COMPUTE_PGM_RSRC2:TGID_X_EN: 1
; COMPUTE_PGM_RSRC2:TGID_Y_EN: 0
; COMPUTE_PGM_RSRC2:TGID_Z_EN: 0
; COMPUTE_PGM_RSRC2:TIDIG_COMP_CNT: 0
; COMPUTE_PGM_RSRC3_GFX90A:ACCUM_OFFSET: 0
; COMPUTE_PGM_RSRC3_GFX90A:TG_SPLIT: 0
	.section	.text._ZN7rocprim17ROCPRIM_400000_NS6detail30init_device_scan_by_key_kernelINS1_19lookback_scan_stateINS0_5tupleIJsbEEELb0ELb1EEEN6thrust23THRUST_200600_302600_NS6detail15normal_iteratorINS8_10device_ptrIiEEEEjNS1_16block_id_wrapperIjLb1EEEEEvT_jjPNSG_10value_typeET0_PNSt15iterator_traitsISJ_E10value_typeEmT1_T2_,"axG",@progbits,_ZN7rocprim17ROCPRIM_400000_NS6detail30init_device_scan_by_key_kernelINS1_19lookback_scan_stateINS0_5tupleIJsbEEELb0ELb1EEEN6thrust23THRUST_200600_302600_NS6detail15normal_iteratorINS8_10device_ptrIiEEEEjNS1_16block_id_wrapperIjLb1EEEEEvT_jjPNSG_10value_typeET0_PNSt15iterator_traitsISJ_E10value_typeEmT1_T2_,comdat
	.protected	_ZN7rocprim17ROCPRIM_400000_NS6detail30init_device_scan_by_key_kernelINS1_19lookback_scan_stateINS0_5tupleIJsbEEELb0ELb1EEEN6thrust23THRUST_200600_302600_NS6detail15normal_iteratorINS8_10device_ptrIiEEEEjNS1_16block_id_wrapperIjLb1EEEEEvT_jjPNSG_10value_typeET0_PNSt15iterator_traitsISJ_E10value_typeEmT1_T2_ ; -- Begin function _ZN7rocprim17ROCPRIM_400000_NS6detail30init_device_scan_by_key_kernelINS1_19lookback_scan_stateINS0_5tupleIJsbEEELb0ELb1EEEN6thrust23THRUST_200600_302600_NS6detail15normal_iteratorINS8_10device_ptrIiEEEEjNS1_16block_id_wrapperIjLb1EEEEEvT_jjPNSG_10value_typeET0_PNSt15iterator_traitsISJ_E10value_typeEmT1_T2_
	.globl	_ZN7rocprim17ROCPRIM_400000_NS6detail30init_device_scan_by_key_kernelINS1_19lookback_scan_stateINS0_5tupleIJsbEEELb0ELb1EEEN6thrust23THRUST_200600_302600_NS6detail15normal_iteratorINS8_10device_ptrIiEEEEjNS1_16block_id_wrapperIjLb1EEEEEvT_jjPNSG_10value_typeET0_PNSt15iterator_traitsISJ_E10value_typeEmT1_T2_
	.p2align	8
	.type	_ZN7rocprim17ROCPRIM_400000_NS6detail30init_device_scan_by_key_kernelINS1_19lookback_scan_stateINS0_5tupleIJsbEEELb0ELb1EEEN6thrust23THRUST_200600_302600_NS6detail15normal_iteratorINS8_10device_ptrIiEEEEjNS1_16block_id_wrapperIjLb1EEEEEvT_jjPNSG_10value_typeET0_PNSt15iterator_traitsISJ_E10value_typeEmT1_T2_,@function
_ZN7rocprim17ROCPRIM_400000_NS6detail30init_device_scan_by_key_kernelINS1_19lookback_scan_stateINS0_5tupleIJsbEEELb0ELb1EEEN6thrust23THRUST_200600_302600_NS6detail15normal_iteratorINS8_10device_ptrIiEEEEjNS1_16block_id_wrapperIjLb1EEEEEvT_jjPNSG_10value_typeET0_PNSt15iterator_traitsISJ_E10value_typeEmT1_T2_: ; @_ZN7rocprim17ROCPRIM_400000_NS6detail30init_device_scan_by_key_kernelINS1_19lookback_scan_stateINS0_5tupleIJsbEEELb0ELb1EEEN6thrust23THRUST_200600_302600_NS6detail15normal_iteratorINS8_10device_ptrIiEEEEjNS1_16block_id_wrapperIjLb1EEEEEvT_jjPNSG_10value_typeET0_PNSt15iterator_traitsISJ_E10value_typeEmT1_T2_
; %bb.0:
	s_load_dword s0, s[4:5], 0x4c
	s_load_dwordx8 s[8:15], s[4:5], 0x0
	s_load_dword s7, s[4:5], 0x40
	s_waitcnt lgkmcnt(0)
	s_and_b32 s16, s0, 0xffff
	s_mul_i32 s6, s6, s16
	s_cmp_eq_u64 s[12:13], 0
	v_add_u32_e32 v0, s6, v0
	s_cbranch_scc1 .LBB1381_6
; %bb.1:
	s_cmp_lt_u32 s11, s10
	s_cselect_b32 s0, s11, 0
	s_mov_b32 s3, 0
	v_cmp_eq_u32_e32 vcc, s0, v0
	s_and_saveexec_b64 s[0:1], vcc
	s_cbranch_execz .LBB1381_5
; %bb.2:
	s_add_i32 s2, s11, 64
	s_lshl_b64 s[2:3], s[2:3], 3
	s_add_u32 s2, s8, s2
	s_addc_u32 s3, s9, s3
	v_mov_b32_e32 v4, 0
	global_load_dwordx2 v[2:3], v4, s[2:3] glc
	s_waitcnt vmcnt(0)
	v_and_b32_e32 v5, 0xff, v3
	v_cmp_ne_u64_e32 vcc, 0, v[4:5]
	s_cbranch_vccnz .LBB1381_4
.LBB1381_3:                             ; =>This Inner Loop Header: Depth=1
	global_load_dwordx2 v[2:3], v4, s[2:3] glc
	s_waitcnt vmcnt(0)
	v_and_b32_e32 v5, 0xff, v3
	v_cmp_eq_u64_e32 vcc, 0, v[4:5]
	s_cbranch_vccnz .LBB1381_3
.LBB1381_4:
	v_mov_b32_e32 v1, 0
	global_store_short v1, v2, s[12:13]
	global_store_byte_d16_hi v1, v2, s[12:13] offset:2
.LBB1381_5:
	s_or_b64 exec, exec, s[0:1]
.LBB1381_6:
	v_cmp_eq_u32_e32 vcc, 0, v0
	s_and_saveexec_b64 s[0:1], vcc
	s_cbranch_execz .LBB1381_8
; %bb.7:
	s_load_dwordx2 s[2:3], s[4:5], 0x38
	v_mov_b32_e32 v1, 0
	s_waitcnt lgkmcnt(0)
	global_store_dword v1, v1, s[2:3]
.LBB1381_8:
	s_or_b64 exec, exec, s[0:1]
	v_cmp_gt_u32_e32 vcc, s10, v0
	s_and_saveexec_b64 s[0:1], vcc
	s_cbranch_execz .LBB1381_10
; %bb.9:
	v_add_u32_e32 v2, 64, v0
	v_mov_b32_e32 v3, 0
	v_lshlrev_b64 v[4:5], 3, v[2:3]
	v_mov_b32_e32 v1, s9
	v_add_co_u32_e32 v4, vcc, s8, v4
	v_addc_co_u32_e32 v5, vcc, v1, v5, vcc
	v_mov_b32_e32 v2, v3
	global_store_dwordx2 v[4:5], v[2:3], off
.LBB1381_10:
	s_or_b64 exec, exec, s[0:1]
	v_cmp_gt_u32_e32 vcc, 64, v0
	v_mov_b32_e32 v1, 0
	s_and_saveexec_b64 s[0:1], vcc
	s_cbranch_execz .LBB1381_12
; %bb.11:
	v_lshlrev_b64 v[2:3], 3, v[0:1]
	v_mov_b32_e32 v4, s9
	v_add_co_u32_e32 v2, vcc, s8, v2
	v_addc_co_u32_e32 v3, vcc, v4, v3, vcc
	v_mov_b32_e32 v5, 0xff
	v_mov_b32_e32 v4, v1
	global_store_dwordx2 v[2:3], v[4:5], off
.LBB1381_12:
	s_or_b64 exec, exec, s[0:1]
	s_load_dwordx2 s[0:1], s[4:5], 0x28
	s_waitcnt lgkmcnt(0)
	v_cmp_gt_u64_e32 vcc, s[0:1], v[0:1]
	s_and_saveexec_b64 s[2:3], vcc
	s_cbranch_execz .LBB1381_15
; %bb.13:
	s_load_dword s10, s[4:5], 0x30
	s_load_dwordx2 s[8:9], s[4:5], 0x20
	s_mov_b32 s5, 0
	s_mov_b32 s3, s5
	s_mul_i32 s2, s7, s16
	s_waitcnt lgkmcnt(0)
	s_add_i32 s4, s10, -1
	s_lshl_b64 s[4:5], s[4:5], 2
	v_mad_u64_u32 v[2:3], s[6:7], s10, v0, 0
	s_add_u32 s4, s14, s4
	v_lshlrev_b64 v[2:3], 2, v[2:3]
	s_addc_u32 s5, s15, s5
	v_mov_b32_e32 v4, s5
	v_add_co_u32_e32 v2, vcc, s4, v2
	v_addc_co_u32_e32 v3, vcc, v4, v3, vcc
	s_mul_hi_u32 s5, s10, s2
	s_mul_i32 s4, s10, s2
	v_lshlrev_b64 v[4:5], 2, v[0:1]
	s_lshl_b64 s[4:5], s[4:5], 2
	v_mov_b32_e32 v6, s9
	v_add_co_u32_e32 v4, vcc, s8, v4
	s_lshl_b64 s[6:7], s[2:3], 2
	v_addc_co_u32_e32 v5, vcc, v6, v5, vcc
	s_mov_b64 s[8:9], 0
	v_mov_b32_e32 v6, s3
	v_mov_b32_e32 v7, s5
	;; [unrolled: 1-line block ×3, first 2 shown]
.LBB1381_14:                            ; =>This Inner Loop Header: Depth=1
	global_load_dword v9, v[2:3], off
	v_add_co_u32_e32 v0, vcc, s2, v0
	v_addc_co_u32_e32 v1, vcc, v1, v6, vcc
	v_add_co_u32_e32 v2, vcc, s4, v2
	v_addc_co_u32_e32 v3, vcc, v3, v7, vcc
	v_cmp_le_u64_e32 vcc, s[0:1], v[0:1]
	s_or_b64 s[8:9], vcc, s[8:9]
	s_waitcnt vmcnt(0)
	global_store_dword v[4:5], v9, off
	v_add_co_u32_e32 v4, vcc, s6, v4
	v_addc_co_u32_e32 v5, vcc, v5, v8, vcc
	s_andn2_b64 exec, exec, s[8:9]
	s_cbranch_execnz .LBB1381_14
.LBB1381_15:
	s_endpgm
	.section	.rodata,"a",@progbits
	.p2align	6, 0x0
	.amdhsa_kernel _ZN7rocprim17ROCPRIM_400000_NS6detail30init_device_scan_by_key_kernelINS1_19lookback_scan_stateINS0_5tupleIJsbEEELb0ELb1EEEN6thrust23THRUST_200600_302600_NS6detail15normal_iteratorINS8_10device_ptrIiEEEEjNS1_16block_id_wrapperIjLb1EEEEEvT_jjPNSG_10value_typeET0_PNSt15iterator_traitsISJ_E10value_typeEmT1_T2_
		.amdhsa_group_segment_fixed_size 0
		.amdhsa_private_segment_fixed_size 0
		.amdhsa_kernarg_size 320
		.amdhsa_user_sgpr_count 6
		.amdhsa_user_sgpr_private_segment_buffer 1
		.amdhsa_user_sgpr_dispatch_ptr 0
		.amdhsa_user_sgpr_queue_ptr 0
		.amdhsa_user_sgpr_kernarg_segment_ptr 1
		.amdhsa_user_sgpr_dispatch_id 0
		.amdhsa_user_sgpr_flat_scratch_init 0
		.amdhsa_user_sgpr_kernarg_preload_length 0
		.amdhsa_user_sgpr_kernarg_preload_offset 0
		.amdhsa_user_sgpr_private_segment_size 0
		.amdhsa_uses_dynamic_stack 0
		.amdhsa_system_sgpr_private_segment_wavefront_offset 0
		.amdhsa_system_sgpr_workgroup_id_x 1
		.amdhsa_system_sgpr_workgroup_id_y 0
		.amdhsa_system_sgpr_workgroup_id_z 0
		.amdhsa_system_sgpr_workgroup_info 0
		.amdhsa_system_vgpr_workitem_id 0
		.amdhsa_next_free_vgpr 10
		.amdhsa_next_free_sgpr 17
		.amdhsa_accum_offset 12
		.amdhsa_reserve_vcc 1
		.amdhsa_reserve_flat_scratch 0
		.amdhsa_float_round_mode_32 0
		.amdhsa_float_round_mode_16_64 0
		.amdhsa_float_denorm_mode_32 3
		.amdhsa_float_denorm_mode_16_64 3
		.amdhsa_dx10_clamp 1
		.amdhsa_ieee_mode 1
		.amdhsa_fp16_overflow 0
		.amdhsa_tg_split 0
		.amdhsa_exception_fp_ieee_invalid_op 0
		.amdhsa_exception_fp_denorm_src 0
		.amdhsa_exception_fp_ieee_div_zero 0
		.amdhsa_exception_fp_ieee_overflow 0
		.amdhsa_exception_fp_ieee_underflow 0
		.amdhsa_exception_fp_ieee_inexact 0
		.amdhsa_exception_int_div_zero 0
	.end_amdhsa_kernel
	.section	.text._ZN7rocprim17ROCPRIM_400000_NS6detail30init_device_scan_by_key_kernelINS1_19lookback_scan_stateINS0_5tupleIJsbEEELb0ELb1EEEN6thrust23THRUST_200600_302600_NS6detail15normal_iteratorINS8_10device_ptrIiEEEEjNS1_16block_id_wrapperIjLb1EEEEEvT_jjPNSG_10value_typeET0_PNSt15iterator_traitsISJ_E10value_typeEmT1_T2_,"axG",@progbits,_ZN7rocprim17ROCPRIM_400000_NS6detail30init_device_scan_by_key_kernelINS1_19lookback_scan_stateINS0_5tupleIJsbEEELb0ELb1EEEN6thrust23THRUST_200600_302600_NS6detail15normal_iteratorINS8_10device_ptrIiEEEEjNS1_16block_id_wrapperIjLb1EEEEEvT_jjPNSG_10value_typeET0_PNSt15iterator_traitsISJ_E10value_typeEmT1_T2_,comdat
.Lfunc_end1381:
	.size	_ZN7rocprim17ROCPRIM_400000_NS6detail30init_device_scan_by_key_kernelINS1_19lookback_scan_stateINS0_5tupleIJsbEEELb0ELb1EEEN6thrust23THRUST_200600_302600_NS6detail15normal_iteratorINS8_10device_ptrIiEEEEjNS1_16block_id_wrapperIjLb1EEEEEvT_jjPNSG_10value_typeET0_PNSt15iterator_traitsISJ_E10value_typeEmT1_T2_, .Lfunc_end1381-_ZN7rocprim17ROCPRIM_400000_NS6detail30init_device_scan_by_key_kernelINS1_19lookback_scan_stateINS0_5tupleIJsbEEELb0ELb1EEEN6thrust23THRUST_200600_302600_NS6detail15normal_iteratorINS8_10device_ptrIiEEEEjNS1_16block_id_wrapperIjLb1EEEEEvT_jjPNSG_10value_typeET0_PNSt15iterator_traitsISJ_E10value_typeEmT1_T2_
                                        ; -- End function
	.section	.AMDGPU.csdata,"",@progbits
; Kernel info:
; codeLenInByte = 548
; NumSgprs: 21
; NumVgprs: 10
; NumAgprs: 0
; TotalNumVgprs: 10
; ScratchSize: 0
; MemoryBound: 0
; FloatMode: 240
; IeeeMode: 1
; LDSByteSize: 0 bytes/workgroup (compile time only)
; SGPRBlocks: 2
; VGPRBlocks: 1
; NumSGPRsForWavesPerEU: 21
; NumVGPRsForWavesPerEU: 10
; AccumOffset: 12
; Occupancy: 8
; WaveLimiterHint : 0
; COMPUTE_PGM_RSRC2:SCRATCH_EN: 0
; COMPUTE_PGM_RSRC2:USER_SGPR: 6
; COMPUTE_PGM_RSRC2:TRAP_HANDLER: 0
; COMPUTE_PGM_RSRC2:TGID_X_EN: 1
; COMPUTE_PGM_RSRC2:TGID_Y_EN: 0
; COMPUTE_PGM_RSRC2:TGID_Z_EN: 0
; COMPUTE_PGM_RSRC2:TIDIG_COMP_CNT: 0
; COMPUTE_PGM_RSRC3_GFX90A:ACCUM_OFFSET: 2
; COMPUTE_PGM_RSRC3_GFX90A:TG_SPLIT: 0
	.section	.text._ZN7rocprim17ROCPRIM_400000_NS6detail17trampoline_kernelINS0_14default_configENS1_27scan_by_key_config_selectorIisEEZZNS1_16scan_by_key_implILNS1_25lookback_scan_determinismE0ELb0ES3_N6thrust23THRUST_200600_302600_NS6detail15normal_iteratorINS9_10device_ptrIiEEEENSB_INSC_IsEEEESG_sNS9_4plusIvEENS9_8equal_toIvEEsEE10hipError_tPvRmT2_T3_T4_T5_mT6_T7_P12ihipStream_tbENKUlT_T0_E_clISt17integral_constantIbLb0EES10_IbLb1EEEEDaSW_SX_EUlSW_E_NS1_11comp_targetILNS1_3genE0ELNS1_11target_archE4294967295ELNS1_3gpuE0ELNS1_3repE0EEENS1_30default_config_static_selectorELNS0_4arch9wavefront6targetE1EEEvT1_,"axG",@progbits,_ZN7rocprim17ROCPRIM_400000_NS6detail17trampoline_kernelINS0_14default_configENS1_27scan_by_key_config_selectorIisEEZZNS1_16scan_by_key_implILNS1_25lookback_scan_determinismE0ELb0ES3_N6thrust23THRUST_200600_302600_NS6detail15normal_iteratorINS9_10device_ptrIiEEEENSB_INSC_IsEEEESG_sNS9_4plusIvEENS9_8equal_toIvEEsEE10hipError_tPvRmT2_T3_T4_T5_mT6_T7_P12ihipStream_tbENKUlT_T0_E_clISt17integral_constantIbLb0EES10_IbLb1EEEEDaSW_SX_EUlSW_E_NS1_11comp_targetILNS1_3genE0ELNS1_11target_archE4294967295ELNS1_3gpuE0ELNS1_3repE0EEENS1_30default_config_static_selectorELNS0_4arch9wavefront6targetE1EEEvT1_,comdat
	.protected	_ZN7rocprim17ROCPRIM_400000_NS6detail17trampoline_kernelINS0_14default_configENS1_27scan_by_key_config_selectorIisEEZZNS1_16scan_by_key_implILNS1_25lookback_scan_determinismE0ELb0ES3_N6thrust23THRUST_200600_302600_NS6detail15normal_iteratorINS9_10device_ptrIiEEEENSB_INSC_IsEEEESG_sNS9_4plusIvEENS9_8equal_toIvEEsEE10hipError_tPvRmT2_T3_T4_T5_mT6_T7_P12ihipStream_tbENKUlT_T0_E_clISt17integral_constantIbLb0EES10_IbLb1EEEEDaSW_SX_EUlSW_E_NS1_11comp_targetILNS1_3genE0ELNS1_11target_archE4294967295ELNS1_3gpuE0ELNS1_3repE0EEENS1_30default_config_static_selectorELNS0_4arch9wavefront6targetE1EEEvT1_ ; -- Begin function _ZN7rocprim17ROCPRIM_400000_NS6detail17trampoline_kernelINS0_14default_configENS1_27scan_by_key_config_selectorIisEEZZNS1_16scan_by_key_implILNS1_25lookback_scan_determinismE0ELb0ES3_N6thrust23THRUST_200600_302600_NS6detail15normal_iteratorINS9_10device_ptrIiEEEENSB_INSC_IsEEEESG_sNS9_4plusIvEENS9_8equal_toIvEEsEE10hipError_tPvRmT2_T3_T4_T5_mT6_T7_P12ihipStream_tbENKUlT_T0_E_clISt17integral_constantIbLb0EES10_IbLb1EEEEDaSW_SX_EUlSW_E_NS1_11comp_targetILNS1_3genE0ELNS1_11target_archE4294967295ELNS1_3gpuE0ELNS1_3repE0EEENS1_30default_config_static_selectorELNS0_4arch9wavefront6targetE1EEEvT1_
	.globl	_ZN7rocprim17ROCPRIM_400000_NS6detail17trampoline_kernelINS0_14default_configENS1_27scan_by_key_config_selectorIisEEZZNS1_16scan_by_key_implILNS1_25lookback_scan_determinismE0ELb0ES3_N6thrust23THRUST_200600_302600_NS6detail15normal_iteratorINS9_10device_ptrIiEEEENSB_INSC_IsEEEESG_sNS9_4plusIvEENS9_8equal_toIvEEsEE10hipError_tPvRmT2_T3_T4_T5_mT6_T7_P12ihipStream_tbENKUlT_T0_E_clISt17integral_constantIbLb0EES10_IbLb1EEEEDaSW_SX_EUlSW_E_NS1_11comp_targetILNS1_3genE0ELNS1_11target_archE4294967295ELNS1_3gpuE0ELNS1_3repE0EEENS1_30default_config_static_selectorELNS0_4arch9wavefront6targetE1EEEvT1_
	.p2align	8
	.type	_ZN7rocprim17ROCPRIM_400000_NS6detail17trampoline_kernelINS0_14default_configENS1_27scan_by_key_config_selectorIisEEZZNS1_16scan_by_key_implILNS1_25lookback_scan_determinismE0ELb0ES3_N6thrust23THRUST_200600_302600_NS6detail15normal_iteratorINS9_10device_ptrIiEEEENSB_INSC_IsEEEESG_sNS9_4plusIvEENS9_8equal_toIvEEsEE10hipError_tPvRmT2_T3_T4_T5_mT6_T7_P12ihipStream_tbENKUlT_T0_E_clISt17integral_constantIbLb0EES10_IbLb1EEEEDaSW_SX_EUlSW_E_NS1_11comp_targetILNS1_3genE0ELNS1_11target_archE4294967295ELNS1_3gpuE0ELNS1_3repE0EEENS1_30default_config_static_selectorELNS0_4arch9wavefront6targetE1EEEvT1_,@function
_ZN7rocprim17ROCPRIM_400000_NS6detail17trampoline_kernelINS0_14default_configENS1_27scan_by_key_config_selectorIisEEZZNS1_16scan_by_key_implILNS1_25lookback_scan_determinismE0ELb0ES3_N6thrust23THRUST_200600_302600_NS6detail15normal_iteratorINS9_10device_ptrIiEEEENSB_INSC_IsEEEESG_sNS9_4plusIvEENS9_8equal_toIvEEsEE10hipError_tPvRmT2_T3_T4_T5_mT6_T7_P12ihipStream_tbENKUlT_T0_E_clISt17integral_constantIbLb0EES10_IbLb1EEEEDaSW_SX_EUlSW_E_NS1_11comp_targetILNS1_3genE0ELNS1_11target_archE4294967295ELNS1_3gpuE0ELNS1_3repE0EEENS1_30default_config_static_selectorELNS0_4arch9wavefront6targetE1EEEvT1_: ; @_ZN7rocprim17ROCPRIM_400000_NS6detail17trampoline_kernelINS0_14default_configENS1_27scan_by_key_config_selectorIisEEZZNS1_16scan_by_key_implILNS1_25lookback_scan_determinismE0ELb0ES3_N6thrust23THRUST_200600_302600_NS6detail15normal_iteratorINS9_10device_ptrIiEEEENSB_INSC_IsEEEESG_sNS9_4plusIvEENS9_8equal_toIvEEsEE10hipError_tPvRmT2_T3_T4_T5_mT6_T7_P12ihipStream_tbENKUlT_T0_E_clISt17integral_constantIbLb0EES10_IbLb1EEEEDaSW_SX_EUlSW_E_NS1_11comp_targetILNS1_3genE0ELNS1_11target_archE4294967295ELNS1_3gpuE0ELNS1_3repE0EEENS1_30default_config_static_selectorELNS0_4arch9wavefront6targetE1EEEvT1_
; %bb.0:
	.section	.rodata,"a",@progbits
	.p2align	6, 0x0
	.amdhsa_kernel _ZN7rocprim17ROCPRIM_400000_NS6detail17trampoline_kernelINS0_14default_configENS1_27scan_by_key_config_selectorIisEEZZNS1_16scan_by_key_implILNS1_25lookback_scan_determinismE0ELb0ES3_N6thrust23THRUST_200600_302600_NS6detail15normal_iteratorINS9_10device_ptrIiEEEENSB_INSC_IsEEEESG_sNS9_4plusIvEENS9_8equal_toIvEEsEE10hipError_tPvRmT2_T3_T4_T5_mT6_T7_P12ihipStream_tbENKUlT_T0_E_clISt17integral_constantIbLb0EES10_IbLb1EEEEDaSW_SX_EUlSW_E_NS1_11comp_targetILNS1_3genE0ELNS1_11target_archE4294967295ELNS1_3gpuE0ELNS1_3repE0EEENS1_30default_config_static_selectorELNS0_4arch9wavefront6targetE1EEEvT1_
		.amdhsa_group_segment_fixed_size 0
		.amdhsa_private_segment_fixed_size 0
		.amdhsa_kernarg_size 112
		.amdhsa_user_sgpr_count 6
		.amdhsa_user_sgpr_private_segment_buffer 1
		.amdhsa_user_sgpr_dispatch_ptr 0
		.amdhsa_user_sgpr_queue_ptr 0
		.amdhsa_user_sgpr_kernarg_segment_ptr 1
		.amdhsa_user_sgpr_dispatch_id 0
		.amdhsa_user_sgpr_flat_scratch_init 0
		.amdhsa_user_sgpr_kernarg_preload_length 0
		.amdhsa_user_sgpr_kernarg_preload_offset 0
		.amdhsa_user_sgpr_private_segment_size 0
		.amdhsa_uses_dynamic_stack 0
		.amdhsa_system_sgpr_private_segment_wavefront_offset 0
		.amdhsa_system_sgpr_workgroup_id_x 1
		.amdhsa_system_sgpr_workgroup_id_y 0
		.amdhsa_system_sgpr_workgroup_id_z 0
		.amdhsa_system_sgpr_workgroup_info 0
		.amdhsa_system_vgpr_workitem_id 0
		.amdhsa_next_free_vgpr 1
		.amdhsa_next_free_sgpr 0
		.amdhsa_accum_offset 4
		.amdhsa_reserve_vcc 0
		.amdhsa_reserve_flat_scratch 0
		.amdhsa_float_round_mode_32 0
		.amdhsa_float_round_mode_16_64 0
		.amdhsa_float_denorm_mode_32 3
		.amdhsa_float_denorm_mode_16_64 3
		.amdhsa_dx10_clamp 1
		.amdhsa_ieee_mode 1
		.amdhsa_fp16_overflow 0
		.amdhsa_tg_split 0
		.amdhsa_exception_fp_ieee_invalid_op 0
		.amdhsa_exception_fp_denorm_src 0
		.amdhsa_exception_fp_ieee_div_zero 0
		.amdhsa_exception_fp_ieee_overflow 0
		.amdhsa_exception_fp_ieee_underflow 0
		.amdhsa_exception_fp_ieee_inexact 0
		.amdhsa_exception_int_div_zero 0
	.end_amdhsa_kernel
	.section	.text._ZN7rocprim17ROCPRIM_400000_NS6detail17trampoline_kernelINS0_14default_configENS1_27scan_by_key_config_selectorIisEEZZNS1_16scan_by_key_implILNS1_25lookback_scan_determinismE0ELb0ES3_N6thrust23THRUST_200600_302600_NS6detail15normal_iteratorINS9_10device_ptrIiEEEENSB_INSC_IsEEEESG_sNS9_4plusIvEENS9_8equal_toIvEEsEE10hipError_tPvRmT2_T3_T4_T5_mT6_T7_P12ihipStream_tbENKUlT_T0_E_clISt17integral_constantIbLb0EES10_IbLb1EEEEDaSW_SX_EUlSW_E_NS1_11comp_targetILNS1_3genE0ELNS1_11target_archE4294967295ELNS1_3gpuE0ELNS1_3repE0EEENS1_30default_config_static_selectorELNS0_4arch9wavefront6targetE1EEEvT1_,"axG",@progbits,_ZN7rocprim17ROCPRIM_400000_NS6detail17trampoline_kernelINS0_14default_configENS1_27scan_by_key_config_selectorIisEEZZNS1_16scan_by_key_implILNS1_25lookback_scan_determinismE0ELb0ES3_N6thrust23THRUST_200600_302600_NS6detail15normal_iteratorINS9_10device_ptrIiEEEENSB_INSC_IsEEEESG_sNS9_4plusIvEENS9_8equal_toIvEEsEE10hipError_tPvRmT2_T3_T4_T5_mT6_T7_P12ihipStream_tbENKUlT_T0_E_clISt17integral_constantIbLb0EES10_IbLb1EEEEDaSW_SX_EUlSW_E_NS1_11comp_targetILNS1_3genE0ELNS1_11target_archE4294967295ELNS1_3gpuE0ELNS1_3repE0EEENS1_30default_config_static_selectorELNS0_4arch9wavefront6targetE1EEEvT1_,comdat
.Lfunc_end1382:
	.size	_ZN7rocprim17ROCPRIM_400000_NS6detail17trampoline_kernelINS0_14default_configENS1_27scan_by_key_config_selectorIisEEZZNS1_16scan_by_key_implILNS1_25lookback_scan_determinismE0ELb0ES3_N6thrust23THRUST_200600_302600_NS6detail15normal_iteratorINS9_10device_ptrIiEEEENSB_INSC_IsEEEESG_sNS9_4plusIvEENS9_8equal_toIvEEsEE10hipError_tPvRmT2_T3_T4_T5_mT6_T7_P12ihipStream_tbENKUlT_T0_E_clISt17integral_constantIbLb0EES10_IbLb1EEEEDaSW_SX_EUlSW_E_NS1_11comp_targetILNS1_3genE0ELNS1_11target_archE4294967295ELNS1_3gpuE0ELNS1_3repE0EEENS1_30default_config_static_selectorELNS0_4arch9wavefront6targetE1EEEvT1_, .Lfunc_end1382-_ZN7rocprim17ROCPRIM_400000_NS6detail17trampoline_kernelINS0_14default_configENS1_27scan_by_key_config_selectorIisEEZZNS1_16scan_by_key_implILNS1_25lookback_scan_determinismE0ELb0ES3_N6thrust23THRUST_200600_302600_NS6detail15normal_iteratorINS9_10device_ptrIiEEEENSB_INSC_IsEEEESG_sNS9_4plusIvEENS9_8equal_toIvEEsEE10hipError_tPvRmT2_T3_T4_T5_mT6_T7_P12ihipStream_tbENKUlT_T0_E_clISt17integral_constantIbLb0EES10_IbLb1EEEEDaSW_SX_EUlSW_E_NS1_11comp_targetILNS1_3genE0ELNS1_11target_archE4294967295ELNS1_3gpuE0ELNS1_3repE0EEENS1_30default_config_static_selectorELNS0_4arch9wavefront6targetE1EEEvT1_
                                        ; -- End function
	.section	.AMDGPU.csdata,"",@progbits
; Kernel info:
; codeLenInByte = 0
; NumSgprs: 4
; NumVgprs: 0
; NumAgprs: 0
; TotalNumVgprs: 0
; ScratchSize: 0
; MemoryBound: 0
; FloatMode: 240
; IeeeMode: 1
; LDSByteSize: 0 bytes/workgroup (compile time only)
; SGPRBlocks: 0
; VGPRBlocks: 0
; NumSGPRsForWavesPerEU: 4
; NumVGPRsForWavesPerEU: 1
; AccumOffset: 4
; Occupancy: 8
; WaveLimiterHint : 0
; COMPUTE_PGM_RSRC2:SCRATCH_EN: 0
; COMPUTE_PGM_RSRC2:USER_SGPR: 6
; COMPUTE_PGM_RSRC2:TRAP_HANDLER: 0
; COMPUTE_PGM_RSRC2:TGID_X_EN: 1
; COMPUTE_PGM_RSRC2:TGID_Y_EN: 0
; COMPUTE_PGM_RSRC2:TGID_Z_EN: 0
; COMPUTE_PGM_RSRC2:TIDIG_COMP_CNT: 0
; COMPUTE_PGM_RSRC3_GFX90A:ACCUM_OFFSET: 0
; COMPUTE_PGM_RSRC3_GFX90A:TG_SPLIT: 0
	.section	.text._ZN7rocprim17ROCPRIM_400000_NS6detail17trampoline_kernelINS0_14default_configENS1_27scan_by_key_config_selectorIisEEZZNS1_16scan_by_key_implILNS1_25lookback_scan_determinismE0ELb0ES3_N6thrust23THRUST_200600_302600_NS6detail15normal_iteratorINS9_10device_ptrIiEEEENSB_INSC_IsEEEESG_sNS9_4plusIvEENS9_8equal_toIvEEsEE10hipError_tPvRmT2_T3_T4_T5_mT6_T7_P12ihipStream_tbENKUlT_T0_E_clISt17integral_constantIbLb0EES10_IbLb1EEEEDaSW_SX_EUlSW_E_NS1_11comp_targetILNS1_3genE10ELNS1_11target_archE1201ELNS1_3gpuE5ELNS1_3repE0EEENS1_30default_config_static_selectorELNS0_4arch9wavefront6targetE1EEEvT1_,"axG",@progbits,_ZN7rocprim17ROCPRIM_400000_NS6detail17trampoline_kernelINS0_14default_configENS1_27scan_by_key_config_selectorIisEEZZNS1_16scan_by_key_implILNS1_25lookback_scan_determinismE0ELb0ES3_N6thrust23THRUST_200600_302600_NS6detail15normal_iteratorINS9_10device_ptrIiEEEENSB_INSC_IsEEEESG_sNS9_4plusIvEENS9_8equal_toIvEEsEE10hipError_tPvRmT2_T3_T4_T5_mT6_T7_P12ihipStream_tbENKUlT_T0_E_clISt17integral_constantIbLb0EES10_IbLb1EEEEDaSW_SX_EUlSW_E_NS1_11comp_targetILNS1_3genE10ELNS1_11target_archE1201ELNS1_3gpuE5ELNS1_3repE0EEENS1_30default_config_static_selectorELNS0_4arch9wavefront6targetE1EEEvT1_,comdat
	.protected	_ZN7rocprim17ROCPRIM_400000_NS6detail17trampoline_kernelINS0_14default_configENS1_27scan_by_key_config_selectorIisEEZZNS1_16scan_by_key_implILNS1_25lookback_scan_determinismE0ELb0ES3_N6thrust23THRUST_200600_302600_NS6detail15normal_iteratorINS9_10device_ptrIiEEEENSB_INSC_IsEEEESG_sNS9_4plusIvEENS9_8equal_toIvEEsEE10hipError_tPvRmT2_T3_T4_T5_mT6_T7_P12ihipStream_tbENKUlT_T0_E_clISt17integral_constantIbLb0EES10_IbLb1EEEEDaSW_SX_EUlSW_E_NS1_11comp_targetILNS1_3genE10ELNS1_11target_archE1201ELNS1_3gpuE5ELNS1_3repE0EEENS1_30default_config_static_selectorELNS0_4arch9wavefront6targetE1EEEvT1_ ; -- Begin function _ZN7rocprim17ROCPRIM_400000_NS6detail17trampoline_kernelINS0_14default_configENS1_27scan_by_key_config_selectorIisEEZZNS1_16scan_by_key_implILNS1_25lookback_scan_determinismE0ELb0ES3_N6thrust23THRUST_200600_302600_NS6detail15normal_iteratorINS9_10device_ptrIiEEEENSB_INSC_IsEEEESG_sNS9_4plusIvEENS9_8equal_toIvEEsEE10hipError_tPvRmT2_T3_T4_T5_mT6_T7_P12ihipStream_tbENKUlT_T0_E_clISt17integral_constantIbLb0EES10_IbLb1EEEEDaSW_SX_EUlSW_E_NS1_11comp_targetILNS1_3genE10ELNS1_11target_archE1201ELNS1_3gpuE5ELNS1_3repE0EEENS1_30default_config_static_selectorELNS0_4arch9wavefront6targetE1EEEvT1_
	.globl	_ZN7rocprim17ROCPRIM_400000_NS6detail17trampoline_kernelINS0_14default_configENS1_27scan_by_key_config_selectorIisEEZZNS1_16scan_by_key_implILNS1_25lookback_scan_determinismE0ELb0ES3_N6thrust23THRUST_200600_302600_NS6detail15normal_iteratorINS9_10device_ptrIiEEEENSB_INSC_IsEEEESG_sNS9_4plusIvEENS9_8equal_toIvEEsEE10hipError_tPvRmT2_T3_T4_T5_mT6_T7_P12ihipStream_tbENKUlT_T0_E_clISt17integral_constantIbLb0EES10_IbLb1EEEEDaSW_SX_EUlSW_E_NS1_11comp_targetILNS1_3genE10ELNS1_11target_archE1201ELNS1_3gpuE5ELNS1_3repE0EEENS1_30default_config_static_selectorELNS0_4arch9wavefront6targetE1EEEvT1_
	.p2align	8
	.type	_ZN7rocprim17ROCPRIM_400000_NS6detail17trampoline_kernelINS0_14default_configENS1_27scan_by_key_config_selectorIisEEZZNS1_16scan_by_key_implILNS1_25lookback_scan_determinismE0ELb0ES3_N6thrust23THRUST_200600_302600_NS6detail15normal_iteratorINS9_10device_ptrIiEEEENSB_INSC_IsEEEESG_sNS9_4plusIvEENS9_8equal_toIvEEsEE10hipError_tPvRmT2_T3_T4_T5_mT6_T7_P12ihipStream_tbENKUlT_T0_E_clISt17integral_constantIbLb0EES10_IbLb1EEEEDaSW_SX_EUlSW_E_NS1_11comp_targetILNS1_3genE10ELNS1_11target_archE1201ELNS1_3gpuE5ELNS1_3repE0EEENS1_30default_config_static_selectorELNS0_4arch9wavefront6targetE1EEEvT1_,@function
_ZN7rocprim17ROCPRIM_400000_NS6detail17trampoline_kernelINS0_14default_configENS1_27scan_by_key_config_selectorIisEEZZNS1_16scan_by_key_implILNS1_25lookback_scan_determinismE0ELb0ES3_N6thrust23THRUST_200600_302600_NS6detail15normal_iteratorINS9_10device_ptrIiEEEENSB_INSC_IsEEEESG_sNS9_4plusIvEENS9_8equal_toIvEEsEE10hipError_tPvRmT2_T3_T4_T5_mT6_T7_P12ihipStream_tbENKUlT_T0_E_clISt17integral_constantIbLb0EES10_IbLb1EEEEDaSW_SX_EUlSW_E_NS1_11comp_targetILNS1_3genE10ELNS1_11target_archE1201ELNS1_3gpuE5ELNS1_3repE0EEENS1_30default_config_static_selectorELNS0_4arch9wavefront6targetE1EEEvT1_: ; @_ZN7rocprim17ROCPRIM_400000_NS6detail17trampoline_kernelINS0_14default_configENS1_27scan_by_key_config_selectorIisEEZZNS1_16scan_by_key_implILNS1_25lookback_scan_determinismE0ELb0ES3_N6thrust23THRUST_200600_302600_NS6detail15normal_iteratorINS9_10device_ptrIiEEEENSB_INSC_IsEEEESG_sNS9_4plusIvEENS9_8equal_toIvEEsEE10hipError_tPvRmT2_T3_T4_T5_mT6_T7_P12ihipStream_tbENKUlT_T0_E_clISt17integral_constantIbLb0EES10_IbLb1EEEEDaSW_SX_EUlSW_E_NS1_11comp_targetILNS1_3genE10ELNS1_11target_archE1201ELNS1_3gpuE5ELNS1_3repE0EEENS1_30default_config_static_selectorELNS0_4arch9wavefront6targetE1EEEvT1_
; %bb.0:
	.section	.rodata,"a",@progbits
	.p2align	6, 0x0
	.amdhsa_kernel _ZN7rocprim17ROCPRIM_400000_NS6detail17trampoline_kernelINS0_14default_configENS1_27scan_by_key_config_selectorIisEEZZNS1_16scan_by_key_implILNS1_25lookback_scan_determinismE0ELb0ES3_N6thrust23THRUST_200600_302600_NS6detail15normal_iteratorINS9_10device_ptrIiEEEENSB_INSC_IsEEEESG_sNS9_4plusIvEENS9_8equal_toIvEEsEE10hipError_tPvRmT2_T3_T4_T5_mT6_T7_P12ihipStream_tbENKUlT_T0_E_clISt17integral_constantIbLb0EES10_IbLb1EEEEDaSW_SX_EUlSW_E_NS1_11comp_targetILNS1_3genE10ELNS1_11target_archE1201ELNS1_3gpuE5ELNS1_3repE0EEENS1_30default_config_static_selectorELNS0_4arch9wavefront6targetE1EEEvT1_
		.amdhsa_group_segment_fixed_size 0
		.amdhsa_private_segment_fixed_size 0
		.amdhsa_kernarg_size 112
		.amdhsa_user_sgpr_count 6
		.amdhsa_user_sgpr_private_segment_buffer 1
		.amdhsa_user_sgpr_dispatch_ptr 0
		.amdhsa_user_sgpr_queue_ptr 0
		.amdhsa_user_sgpr_kernarg_segment_ptr 1
		.amdhsa_user_sgpr_dispatch_id 0
		.amdhsa_user_sgpr_flat_scratch_init 0
		.amdhsa_user_sgpr_kernarg_preload_length 0
		.amdhsa_user_sgpr_kernarg_preload_offset 0
		.amdhsa_user_sgpr_private_segment_size 0
		.amdhsa_uses_dynamic_stack 0
		.amdhsa_system_sgpr_private_segment_wavefront_offset 0
		.amdhsa_system_sgpr_workgroup_id_x 1
		.amdhsa_system_sgpr_workgroup_id_y 0
		.amdhsa_system_sgpr_workgroup_id_z 0
		.amdhsa_system_sgpr_workgroup_info 0
		.amdhsa_system_vgpr_workitem_id 0
		.amdhsa_next_free_vgpr 1
		.amdhsa_next_free_sgpr 0
		.amdhsa_accum_offset 4
		.amdhsa_reserve_vcc 0
		.amdhsa_reserve_flat_scratch 0
		.amdhsa_float_round_mode_32 0
		.amdhsa_float_round_mode_16_64 0
		.amdhsa_float_denorm_mode_32 3
		.amdhsa_float_denorm_mode_16_64 3
		.amdhsa_dx10_clamp 1
		.amdhsa_ieee_mode 1
		.amdhsa_fp16_overflow 0
		.amdhsa_tg_split 0
		.amdhsa_exception_fp_ieee_invalid_op 0
		.amdhsa_exception_fp_denorm_src 0
		.amdhsa_exception_fp_ieee_div_zero 0
		.amdhsa_exception_fp_ieee_overflow 0
		.amdhsa_exception_fp_ieee_underflow 0
		.amdhsa_exception_fp_ieee_inexact 0
		.amdhsa_exception_int_div_zero 0
	.end_amdhsa_kernel
	.section	.text._ZN7rocprim17ROCPRIM_400000_NS6detail17trampoline_kernelINS0_14default_configENS1_27scan_by_key_config_selectorIisEEZZNS1_16scan_by_key_implILNS1_25lookback_scan_determinismE0ELb0ES3_N6thrust23THRUST_200600_302600_NS6detail15normal_iteratorINS9_10device_ptrIiEEEENSB_INSC_IsEEEESG_sNS9_4plusIvEENS9_8equal_toIvEEsEE10hipError_tPvRmT2_T3_T4_T5_mT6_T7_P12ihipStream_tbENKUlT_T0_E_clISt17integral_constantIbLb0EES10_IbLb1EEEEDaSW_SX_EUlSW_E_NS1_11comp_targetILNS1_3genE10ELNS1_11target_archE1201ELNS1_3gpuE5ELNS1_3repE0EEENS1_30default_config_static_selectorELNS0_4arch9wavefront6targetE1EEEvT1_,"axG",@progbits,_ZN7rocprim17ROCPRIM_400000_NS6detail17trampoline_kernelINS0_14default_configENS1_27scan_by_key_config_selectorIisEEZZNS1_16scan_by_key_implILNS1_25lookback_scan_determinismE0ELb0ES3_N6thrust23THRUST_200600_302600_NS6detail15normal_iteratorINS9_10device_ptrIiEEEENSB_INSC_IsEEEESG_sNS9_4plusIvEENS9_8equal_toIvEEsEE10hipError_tPvRmT2_T3_T4_T5_mT6_T7_P12ihipStream_tbENKUlT_T0_E_clISt17integral_constantIbLb0EES10_IbLb1EEEEDaSW_SX_EUlSW_E_NS1_11comp_targetILNS1_3genE10ELNS1_11target_archE1201ELNS1_3gpuE5ELNS1_3repE0EEENS1_30default_config_static_selectorELNS0_4arch9wavefront6targetE1EEEvT1_,comdat
.Lfunc_end1383:
	.size	_ZN7rocprim17ROCPRIM_400000_NS6detail17trampoline_kernelINS0_14default_configENS1_27scan_by_key_config_selectorIisEEZZNS1_16scan_by_key_implILNS1_25lookback_scan_determinismE0ELb0ES3_N6thrust23THRUST_200600_302600_NS6detail15normal_iteratorINS9_10device_ptrIiEEEENSB_INSC_IsEEEESG_sNS9_4plusIvEENS9_8equal_toIvEEsEE10hipError_tPvRmT2_T3_T4_T5_mT6_T7_P12ihipStream_tbENKUlT_T0_E_clISt17integral_constantIbLb0EES10_IbLb1EEEEDaSW_SX_EUlSW_E_NS1_11comp_targetILNS1_3genE10ELNS1_11target_archE1201ELNS1_3gpuE5ELNS1_3repE0EEENS1_30default_config_static_selectorELNS0_4arch9wavefront6targetE1EEEvT1_, .Lfunc_end1383-_ZN7rocprim17ROCPRIM_400000_NS6detail17trampoline_kernelINS0_14default_configENS1_27scan_by_key_config_selectorIisEEZZNS1_16scan_by_key_implILNS1_25lookback_scan_determinismE0ELb0ES3_N6thrust23THRUST_200600_302600_NS6detail15normal_iteratorINS9_10device_ptrIiEEEENSB_INSC_IsEEEESG_sNS9_4plusIvEENS9_8equal_toIvEEsEE10hipError_tPvRmT2_T3_T4_T5_mT6_T7_P12ihipStream_tbENKUlT_T0_E_clISt17integral_constantIbLb0EES10_IbLb1EEEEDaSW_SX_EUlSW_E_NS1_11comp_targetILNS1_3genE10ELNS1_11target_archE1201ELNS1_3gpuE5ELNS1_3repE0EEENS1_30default_config_static_selectorELNS0_4arch9wavefront6targetE1EEEvT1_
                                        ; -- End function
	.section	.AMDGPU.csdata,"",@progbits
; Kernel info:
; codeLenInByte = 0
; NumSgprs: 4
; NumVgprs: 0
; NumAgprs: 0
; TotalNumVgprs: 0
; ScratchSize: 0
; MemoryBound: 0
; FloatMode: 240
; IeeeMode: 1
; LDSByteSize: 0 bytes/workgroup (compile time only)
; SGPRBlocks: 0
; VGPRBlocks: 0
; NumSGPRsForWavesPerEU: 4
; NumVGPRsForWavesPerEU: 1
; AccumOffset: 4
; Occupancy: 8
; WaveLimiterHint : 0
; COMPUTE_PGM_RSRC2:SCRATCH_EN: 0
; COMPUTE_PGM_RSRC2:USER_SGPR: 6
; COMPUTE_PGM_RSRC2:TRAP_HANDLER: 0
; COMPUTE_PGM_RSRC2:TGID_X_EN: 1
; COMPUTE_PGM_RSRC2:TGID_Y_EN: 0
; COMPUTE_PGM_RSRC2:TGID_Z_EN: 0
; COMPUTE_PGM_RSRC2:TIDIG_COMP_CNT: 0
; COMPUTE_PGM_RSRC3_GFX90A:ACCUM_OFFSET: 0
; COMPUTE_PGM_RSRC3_GFX90A:TG_SPLIT: 0
	.section	.text._ZN7rocprim17ROCPRIM_400000_NS6detail17trampoline_kernelINS0_14default_configENS1_27scan_by_key_config_selectorIisEEZZNS1_16scan_by_key_implILNS1_25lookback_scan_determinismE0ELb0ES3_N6thrust23THRUST_200600_302600_NS6detail15normal_iteratorINS9_10device_ptrIiEEEENSB_INSC_IsEEEESG_sNS9_4plusIvEENS9_8equal_toIvEEsEE10hipError_tPvRmT2_T3_T4_T5_mT6_T7_P12ihipStream_tbENKUlT_T0_E_clISt17integral_constantIbLb0EES10_IbLb1EEEEDaSW_SX_EUlSW_E_NS1_11comp_targetILNS1_3genE5ELNS1_11target_archE942ELNS1_3gpuE9ELNS1_3repE0EEENS1_30default_config_static_selectorELNS0_4arch9wavefront6targetE1EEEvT1_,"axG",@progbits,_ZN7rocprim17ROCPRIM_400000_NS6detail17trampoline_kernelINS0_14default_configENS1_27scan_by_key_config_selectorIisEEZZNS1_16scan_by_key_implILNS1_25lookback_scan_determinismE0ELb0ES3_N6thrust23THRUST_200600_302600_NS6detail15normal_iteratorINS9_10device_ptrIiEEEENSB_INSC_IsEEEESG_sNS9_4plusIvEENS9_8equal_toIvEEsEE10hipError_tPvRmT2_T3_T4_T5_mT6_T7_P12ihipStream_tbENKUlT_T0_E_clISt17integral_constantIbLb0EES10_IbLb1EEEEDaSW_SX_EUlSW_E_NS1_11comp_targetILNS1_3genE5ELNS1_11target_archE942ELNS1_3gpuE9ELNS1_3repE0EEENS1_30default_config_static_selectorELNS0_4arch9wavefront6targetE1EEEvT1_,comdat
	.protected	_ZN7rocprim17ROCPRIM_400000_NS6detail17trampoline_kernelINS0_14default_configENS1_27scan_by_key_config_selectorIisEEZZNS1_16scan_by_key_implILNS1_25lookback_scan_determinismE0ELb0ES3_N6thrust23THRUST_200600_302600_NS6detail15normal_iteratorINS9_10device_ptrIiEEEENSB_INSC_IsEEEESG_sNS9_4plusIvEENS9_8equal_toIvEEsEE10hipError_tPvRmT2_T3_T4_T5_mT6_T7_P12ihipStream_tbENKUlT_T0_E_clISt17integral_constantIbLb0EES10_IbLb1EEEEDaSW_SX_EUlSW_E_NS1_11comp_targetILNS1_3genE5ELNS1_11target_archE942ELNS1_3gpuE9ELNS1_3repE0EEENS1_30default_config_static_selectorELNS0_4arch9wavefront6targetE1EEEvT1_ ; -- Begin function _ZN7rocprim17ROCPRIM_400000_NS6detail17trampoline_kernelINS0_14default_configENS1_27scan_by_key_config_selectorIisEEZZNS1_16scan_by_key_implILNS1_25lookback_scan_determinismE0ELb0ES3_N6thrust23THRUST_200600_302600_NS6detail15normal_iteratorINS9_10device_ptrIiEEEENSB_INSC_IsEEEESG_sNS9_4plusIvEENS9_8equal_toIvEEsEE10hipError_tPvRmT2_T3_T4_T5_mT6_T7_P12ihipStream_tbENKUlT_T0_E_clISt17integral_constantIbLb0EES10_IbLb1EEEEDaSW_SX_EUlSW_E_NS1_11comp_targetILNS1_3genE5ELNS1_11target_archE942ELNS1_3gpuE9ELNS1_3repE0EEENS1_30default_config_static_selectorELNS0_4arch9wavefront6targetE1EEEvT1_
	.globl	_ZN7rocprim17ROCPRIM_400000_NS6detail17trampoline_kernelINS0_14default_configENS1_27scan_by_key_config_selectorIisEEZZNS1_16scan_by_key_implILNS1_25lookback_scan_determinismE0ELb0ES3_N6thrust23THRUST_200600_302600_NS6detail15normal_iteratorINS9_10device_ptrIiEEEENSB_INSC_IsEEEESG_sNS9_4plusIvEENS9_8equal_toIvEEsEE10hipError_tPvRmT2_T3_T4_T5_mT6_T7_P12ihipStream_tbENKUlT_T0_E_clISt17integral_constantIbLb0EES10_IbLb1EEEEDaSW_SX_EUlSW_E_NS1_11comp_targetILNS1_3genE5ELNS1_11target_archE942ELNS1_3gpuE9ELNS1_3repE0EEENS1_30default_config_static_selectorELNS0_4arch9wavefront6targetE1EEEvT1_
	.p2align	8
	.type	_ZN7rocprim17ROCPRIM_400000_NS6detail17trampoline_kernelINS0_14default_configENS1_27scan_by_key_config_selectorIisEEZZNS1_16scan_by_key_implILNS1_25lookback_scan_determinismE0ELb0ES3_N6thrust23THRUST_200600_302600_NS6detail15normal_iteratorINS9_10device_ptrIiEEEENSB_INSC_IsEEEESG_sNS9_4plusIvEENS9_8equal_toIvEEsEE10hipError_tPvRmT2_T3_T4_T5_mT6_T7_P12ihipStream_tbENKUlT_T0_E_clISt17integral_constantIbLb0EES10_IbLb1EEEEDaSW_SX_EUlSW_E_NS1_11comp_targetILNS1_3genE5ELNS1_11target_archE942ELNS1_3gpuE9ELNS1_3repE0EEENS1_30default_config_static_selectorELNS0_4arch9wavefront6targetE1EEEvT1_,@function
_ZN7rocprim17ROCPRIM_400000_NS6detail17trampoline_kernelINS0_14default_configENS1_27scan_by_key_config_selectorIisEEZZNS1_16scan_by_key_implILNS1_25lookback_scan_determinismE0ELb0ES3_N6thrust23THRUST_200600_302600_NS6detail15normal_iteratorINS9_10device_ptrIiEEEENSB_INSC_IsEEEESG_sNS9_4plusIvEENS9_8equal_toIvEEsEE10hipError_tPvRmT2_T3_T4_T5_mT6_T7_P12ihipStream_tbENKUlT_T0_E_clISt17integral_constantIbLb0EES10_IbLb1EEEEDaSW_SX_EUlSW_E_NS1_11comp_targetILNS1_3genE5ELNS1_11target_archE942ELNS1_3gpuE9ELNS1_3repE0EEENS1_30default_config_static_selectorELNS0_4arch9wavefront6targetE1EEEvT1_: ; @_ZN7rocprim17ROCPRIM_400000_NS6detail17trampoline_kernelINS0_14default_configENS1_27scan_by_key_config_selectorIisEEZZNS1_16scan_by_key_implILNS1_25lookback_scan_determinismE0ELb0ES3_N6thrust23THRUST_200600_302600_NS6detail15normal_iteratorINS9_10device_ptrIiEEEENSB_INSC_IsEEEESG_sNS9_4plusIvEENS9_8equal_toIvEEsEE10hipError_tPvRmT2_T3_T4_T5_mT6_T7_P12ihipStream_tbENKUlT_T0_E_clISt17integral_constantIbLb0EES10_IbLb1EEEEDaSW_SX_EUlSW_E_NS1_11comp_targetILNS1_3genE5ELNS1_11target_archE942ELNS1_3gpuE9ELNS1_3repE0EEENS1_30default_config_static_selectorELNS0_4arch9wavefront6targetE1EEEvT1_
; %bb.0:
	.section	.rodata,"a",@progbits
	.p2align	6, 0x0
	.amdhsa_kernel _ZN7rocprim17ROCPRIM_400000_NS6detail17trampoline_kernelINS0_14default_configENS1_27scan_by_key_config_selectorIisEEZZNS1_16scan_by_key_implILNS1_25lookback_scan_determinismE0ELb0ES3_N6thrust23THRUST_200600_302600_NS6detail15normal_iteratorINS9_10device_ptrIiEEEENSB_INSC_IsEEEESG_sNS9_4plusIvEENS9_8equal_toIvEEsEE10hipError_tPvRmT2_T3_T4_T5_mT6_T7_P12ihipStream_tbENKUlT_T0_E_clISt17integral_constantIbLb0EES10_IbLb1EEEEDaSW_SX_EUlSW_E_NS1_11comp_targetILNS1_3genE5ELNS1_11target_archE942ELNS1_3gpuE9ELNS1_3repE0EEENS1_30default_config_static_selectorELNS0_4arch9wavefront6targetE1EEEvT1_
		.amdhsa_group_segment_fixed_size 0
		.amdhsa_private_segment_fixed_size 0
		.amdhsa_kernarg_size 112
		.amdhsa_user_sgpr_count 6
		.amdhsa_user_sgpr_private_segment_buffer 1
		.amdhsa_user_sgpr_dispatch_ptr 0
		.amdhsa_user_sgpr_queue_ptr 0
		.amdhsa_user_sgpr_kernarg_segment_ptr 1
		.amdhsa_user_sgpr_dispatch_id 0
		.amdhsa_user_sgpr_flat_scratch_init 0
		.amdhsa_user_sgpr_kernarg_preload_length 0
		.amdhsa_user_sgpr_kernarg_preload_offset 0
		.amdhsa_user_sgpr_private_segment_size 0
		.amdhsa_uses_dynamic_stack 0
		.amdhsa_system_sgpr_private_segment_wavefront_offset 0
		.amdhsa_system_sgpr_workgroup_id_x 1
		.amdhsa_system_sgpr_workgroup_id_y 0
		.amdhsa_system_sgpr_workgroup_id_z 0
		.amdhsa_system_sgpr_workgroup_info 0
		.amdhsa_system_vgpr_workitem_id 0
		.amdhsa_next_free_vgpr 1
		.amdhsa_next_free_sgpr 0
		.amdhsa_accum_offset 4
		.amdhsa_reserve_vcc 0
		.amdhsa_reserve_flat_scratch 0
		.amdhsa_float_round_mode_32 0
		.amdhsa_float_round_mode_16_64 0
		.amdhsa_float_denorm_mode_32 3
		.amdhsa_float_denorm_mode_16_64 3
		.amdhsa_dx10_clamp 1
		.amdhsa_ieee_mode 1
		.amdhsa_fp16_overflow 0
		.amdhsa_tg_split 0
		.amdhsa_exception_fp_ieee_invalid_op 0
		.amdhsa_exception_fp_denorm_src 0
		.amdhsa_exception_fp_ieee_div_zero 0
		.amdhsa_exception_fp_ieee_overflow 0
		.amdhsa_exception_fp_ieee_underflow 0
		.amdhsa_exception_fp_ieee_inexact 0
		.amdhsa_exception_int_div_zero 0
	.end_amdhsa_kernel
	.section	.text._ZN7rocprim17ROCPRIM_400000_NS6detail17trampoline_kernelINS0_14default_configENS1_27scan_by_key_config_selectorIisEEZZNS1_16scan_by_key_implILNS1_25lookback_scan_determinismE0ELb0ES3_N6thrust23THRUST_200600_302600_NS6detail15normal_iteratorINS9_10device_ptrIiEEEENSB_INSC_IsEEEESG_sNS9_4plusIvEENS9_8equal_toIvEEsEE10hipError_tPvRmT2_T3_T4_T5_mT6_T7_P12ihipStream_tbENKUlT_T0_E_clISt17integral_constantIbLb0EES10_IbLb1EEEEDaSW_SX_EUlSW_E_NS1_11comp_targetILNS1_3genE5ELNS1_11target_archE942ELNS1_3gpuE9ELNS1_3repE0EEENS1_30default_config_static_selectorELNS0_4arch9wavefront6targetE1EEEvT1_,"axG",@progbits,_ZN7rocprim17ROCPRIM_400000_NS6detail17trampoline_kernelINS0_14default_configENS1_27scan_by_key_config_selectorIisEEZZNS1_16scan_by_key_implILNS1_25lookback_scan_determinismE0ELb0ES3_N6thrust23THRUST_200600_302600_NS6detail15normal_iteratorINS9_10device_ptrIiEEEENSB_INSC_IsEEEESG_sNS9_4plusIvEENS9_8equal_toIvEEsEE10hipError_tPvRmT2_T3_T4_T5_mT6_T7_P12ihipStream_tbENKUlT_T0_E_clISt17integral_constantIbLb0EES10_IbLb1EEEEDaSW_SX_EUlSW_E_NS1_11comp_targetILNS1_3genE5ELNS1_11target_archE942ELNS1_3gpuE9ELNS1_3repE0EEENS1_30default_config_static_selectorELNS0_4arch9wavefront6targetE1EEEvT1_,comdat
.Lfunc_end1384:
	.size	_ZN7rocprim17ROCPRIM_400000_NS6detail17trampoline_kernelINS0_14default_configENS1_27scan_by_key_config_selectorIisEEZZNS1_16scan_by_key_implILNS1_25lookback_scan_determinismE0ELb0ES3_N6thrust23THRUST_200600_302600_NS6detail15normal_iteratorINS9_10device_ptrIiEEEENSB_INSC_IsEEEESG_sNS9_4plusIvEENS9_8equal_toIvEEsEE10hipError_tPvRmT2_T3_T4_T5_mT6_T7_P12ihipStream_tbENKUlT_T0_E_clISt17integral_constantIbLb0EES10_IbLb1EEEEDaSW_SX_EUlSW_E_NS1_11comp_targetILNS1_3genE5ELNS1_11target_archE942ELNS1_3gpuE9ELNS1_3repE0EEENS1_30default_config_static_selectorELNS0_4arch9wavefront6targetE1EEEvT1_, .Lfunc_end1384-_ZN7rocprim17ROCPRIM_400000_NS6detail17trampoline_kernelINS0_14default_configENS1_27scan_by_key_config_selectorIisEEZZNS1_16scan_by_key_implILNS1_25lookback_scan_determinismE0ELb0ES3_N6thrust23THRUST_200600_302600_NS6detail15normal_iteratorINS9_10device_ptrIiEEEENSB_INSC_IsEEEESG_sNS9_4plusIvEENS9_8equal_toIvEEsEE10hipError_tPvRmT2_T3_T4_T5_mT6_T7_P12ihipStream_tbENKUlT_T0_E_clISt17integral_constantIbLb0EES10_IbLb1EEEEDaSW_SX_EUlSW_E_NS1_11comp_targetILNS1_3genE5ELNS1_11target_archE942ELNS1_3gpuE9ELNS1_3repE0EEENS1_30default_config_static_selectorELNS0_4arch9wavefront6targetE1EEEvT1_
                                        ; -- End function
	.section	.AMDGPU.csdata,"",@progbits
; Kernel info:
; codeLenInByte = 0
; NumSgprs: 4
; NumVgprs: 0
; NumAgprs: 0
; TotalNumVgprs: 0
; ScratchSize: 0
; MemoryBound: 0
; FloatMode: 240
; IeeeMode: 1
; LDSByteSize: 0 bytes/workgroup (compile time only)
; SGPRBlocks: 0
; VGPRBlocks: 0
; NumSGPRsForWavesPerEU: 4
; NumVGPRsForWavesPerEU: 1
; AccumOffset: 4
; Occupancy: 8
; WaveLimiterHint : 0
; COMPUTE_PGM_RSRC2:SCRATCH_EN: 0
; COMPUTE_PGM_RSRC2:USER_SGPR: 6
; COMPUTE_PGM_RSRC2:TRAP_HANDLER: 0
; COMPUTE_PGM_RSRC2:TGID_X_EN: 1
; COMPUTE_PGM_RSRC2:TGID_Y_EN: 0
; COMPUTE_PGM_RSRC2:TGID_Z_EN: 0
; COMPUTE_PGM_RSRC2:TIDIG_COMP_CNT: 0
; COMPUTE_PGM_RSRC3_GFX90A:ACCUM_OFFSET: 0
; COMPUTE_PGM_RSRC3_GFX90A:TG_SPLIT: 0
	.section	.text._ZN7rocprim17ROCPRIM_400000_NS6detail17trampoline_kernelINS0_14default_configENS1_27scan_by_key_config_selectorIisEEZZNS1_16scan_by_key_implILNS1_25lookback_scan_determinismE0ELb0ES3_N6thrust23THRUST_200600_302600_NS6detail15normal_iteratorINS9_10device_ptrIiEEEENSB_INSC_IsEEEESG_sNS9_4plusIvEENS9_8equal_toIvEEsEE10hipError_tPvRmT2_T3_T4_T5_mT6_T7_P12ihipStream_tbENKUlT_T0_E_clISt17integral_constantIbLb0EES10_IbLb1EEEEDaSW_SX_EUlSW_E_NS1_11comp_targetILNS1_3genE4ELNS1_11target_archE910ELNS1_3gpuE8ELNS1_3repE0EEENS1_30default_config_static_selectorELNS0_4arch9wavefront6targetE1EEEvT1_,"axG",@progbits,_ZN7rocprim17ROCPRIM_400000_NS6detail17trampoline_kernelINS0_14default_configENS1_27scan_by_key_config_selectorIisEEZZNS1_16scan_by_key_implILNS1_25lookback_scan_determinismE0ELb0ES3_N6thrust23THRUST_200600_302600_NS6detail15normal_iteratorINS9_10device_ptrIiEEEENSB_INSC_IsEEEESG_sNS9_4plusIvEENS9_8equal_toIvEEsEE10hipError_tPvRmT2_T3_T4_T5_mT6_T7_P12ihipStream_tbENKUlT_T0_E_clISt17integral_constantIbLb0EES10_IbLb1EEEEDaSW_SX_EUlSW_E_NS1_11comp_targetILNS1_3genE4ELNS1_11target_archE910ELNS1_3gpuE8ELNS1_3repE0EEENS1_30default_config_static_selectorELNS0_4arch9wavefront6targetE1EEEvT1_,comdat
	.protected	_ZN7rocprim17ROCPRIM_400000_NS6detail17trampoline_kernelINS0_14default_configENS1_27scan_by_key_config_selectorIisEEZZNS1_16scan_by_key_implILNS1_25lookback_scan_determinismE0ELb0ES3_N6thrust23THRUST_200600_302600_NS6detail15normal_iteratorINS9_10device_ptrIiEEEENSB_INSC_IsEEEESG_sNS9_4plusIvEENS9_8equal_toIvEEsEE10hipError_tPvRmT2_T3_T4_T5_mT6_T7_P12ihipStream_tbENKUlT_T0_E_clISt17integral_constantIbLb0EES10_IbLb1EEEEDaSW_SX_EUlSW_E_NS1_11comp_targetILNS1_3genE4ELNS1_11target_archE910ELNS1_3gpuE8ELNS1_3repE0EEENS1_30default_config_static_selectorELNS0_4arch9wavefront6targetE1EEEvT1_ ; -- Begin function _ZN7rocprim17ROCPRIM_400000_NS6detail17trampoline_kernelINS0_14default_configENS1_27scan_by_key_config_selectorIisEEZZNS1_16scan_by_key_implILNS1_25lookback_scan_determinismE0ELb0ES3_N6thrust23THRUST_200600_302600_NS6detail15normal_iteratorINS9_10device_ptrIiEEEENSB_INSC_IsEEEESG_sNS9_4plusIvEENS9_8equal_toIvEEsEE10hipError_tPvRmT2_T3_T4_T5_mT6_T7_P12ihipStream_tbENKUlT_T0_E_clISt17integral_constantIbLb0EES10_IbLb1EEEEDaSW_SX_EUlSW_E_NS1_11comp_targetILNS1_3genE4ELNS1_11target_archE910ELNS1_3gpuE8ELNS1_3repE0EEENS1_30default_config_static_selectorELNS0_4arch9wavefront6targetE1EEEvT1_
	.globl	_ZN7rocprim17ROCPRIM_400000_NS6detail17trampoline_kernelINS0_14default_configENS1_27scan_by_key_config_selectorIisEEZZNS1_16scan_by_key_implILNS1_25lookback_scan_determinismE0ELb0ES3_N6thrust23THRUST_200600_302600_NS6detail15normal_iteratorINS9_10device_ptrIiEEEENSB_INSC_IsEEEESG_sNS9_4plusIvEENS9_8equal_toIvEEsEE10hipError_tPvRmT2_T3_T4_T5_mT6_T7_P12ihipStream_tbENKUlT_T0_E_clISt17integral_constantIbLb0EES10_IbLb1EEEEDaSW_SX_EUlSW_E_NS1_11comp_targetILNS1_3genE4ELNS1_11target_archE910ELNS1_3gpuE8ELNS1_3repE0EEENS1_30default_config_static_selectorELNS0_4arch9wavefront6targetE1EEEvT1_
	.p2align	8
	.type	_ZN7rocprim17ROCPRIM_400000_NS6detail17trampoline_kernelINS0_14default_configENS1_27scan_by_key_config_selectorIisEEZZNS1_16scan_by_key_implILNS1_25lookback_scan_determinismE0ELb0ES3_N6thrust23THRUST_200600_302600_NS6detail15normal_iteratorINS9_10device_ptrIiEEEENSB_INSC_IsEEEESG_sNS9_4plusIvEENS9_8equal_toIvEEsEE10hipError_tPvRmT2_T3_T4_T5_mT6_T7_P12ihipStream_tbENKUlT_T0_E_clISt17integral_constantIbLb0EES10_IbLb1EEEEDaSW_SX_EUlSW_E_NS1_11comp_targetILNS1_3genE4ELNS1_11target_archE910ELNS1_3gpuE8ELNS1_3repE0EEENS1_30default_config_static_selectorELNS0_4arch9wavefront6targetE1EEEvT1_,@function
_ZN7rocprim17ROCPRIM_400000_NS6detail17trampoline_kernelINS0_14default_configENS1_27scan_by_key_config_selectorIisEEZZNS1_16scan_by_key_implILNS1_25lookback_scan_determinismE0ELb0ES3_N6thrust23THRUST_200600_302600_NS6detail15normal_iteratorINS9_10device_ptrIiEEEENSB_INSC_IsEEEESG_sNS9_4plusIvEENS9_8equal_toIvEEsEE10hipError_tPvRmT2_T3_T4_T5_mT6_T7_P12ihipStream_tbENKUlT_T0_E_clISt17integral_constantIbLb0EES10_IbLb1EEEEDaSW_SX_EUlSW_E_NS1_11comp_targetILNS1_3genE4ELNS1_11target_archE910ELNS1_3gpuE8ELNS1_3repE0EEENS1_30default_config_static_selectorELNS0_4arch9wavefront6targetE1EEEvT1_: ; @_ZN7rocprim17ROCPRIM_400000_NS6detail17trampoline_kernelINS0_14default_configENS1_27scan_by_key_config_selectorIisEEZZNS1_16scan_by_key_implILNS1_25lookback_scan_determinismE0ELb0ES3_N6thrust23THRUST_200600_302600_NS6detail15normal_iteratorINS9_10device_ptrIiEEEENSB_INSC_IsEEEESG_sNS9_4plusIvEENS9_8equal_toIvEEsEE10hipError_tPvRmT2_T3_T4_T5_mT6_T7_P12ihipStream_tbENKUlT_T0_E_clISt17integral_constantIbLb0EES10_IbLb1EEEEDaSW_SX_EUlSW_E_NS1_11comp_targetILNS1_3genE4ELNS1_11target_archE910ELNS1_3gpuE8ELNS1_3repE0EEENS1_30default_config_static_selectorELNS0_4arch9wavefront6targetE1EEEvT1_
; %bb.0:
	s_load_dwordx4 s[76:79], s[4:5], 0x28
	s_load_dwordx2 s[80:81], s[4:5], 0x38
	v_cmp_ne_u32_e64 s[56:57], 0, v0
	v_cmp_eq_u32_e64 s[0:1], 0, v0
	s_and_saveexec_b64 s[2:3], s[0:1]
	s_cbranch_execz .LBB1385_4
; %bb.1:
	s_mov_b64 s[8:9], exec
	v_mbcnt_lo_u32_b32 v1, s8, 0
	v_mbcnt_hi_u32_b32 v1, s9, v1
	v_cmp_eq_u32_e32 vcc, 0, v1
                                        ; implicit-def: $vgpr2
	s_and_saveexec_b64 s[6:7], vcc
	s_cbranch_execz .LBB1385_3
; %bb.2:
	s_load_dwordx2 s[10:11], s[4:5], 0x68
	s_bcnt1_i32_b64 s8, s[8:9]
	v_mov_b32_e32 v2, 0
	v_mov_b32_e32 v3, s8
	s_waitcnt lgkmcnt(0)
	global_atomic_add v2, v2, v3, s[10:11] glc
.LBB1385_3:
	s_or_b64 exec, exec, s[6:7]
	s_waitcnt vmcnt(0)
	v_readfirstlane_b32 s6, v2
	v_add_u32_e32 v1, s6, v1
	v_mov_b32_e32 v2, 0
	ds_write_b32 v2, v1
.LBB1385_4:
	s_or_b64 exec, exec, s[2:3]
	s_load_dwordx8 s[60:67], s[4:5], 0x0
	s_load_dword s2, s[4:5], 0x40
	s_load_dwordx8 s[68:75], s[4:5], 0x48
	v_mov_b32_e32 v1, 0
	s_waitcnt lgkmcnt(0)
	; wave barrier
	s_waitcnt lgkmcnt(0)
	ds_read_b32 v1, v1
	s_lshl_b64 s[4:5], s[62:63], 2
	s_add_u32 s8, s60, s4
	s_addc_u32 s9, s61, s5
	s_lshl_b64 s[58:59], s[62:63], 1
	s_add_u32 s10, s64, s58
	s_mul_i32 s3, s81, s2
	s_mul_hi_u32 s4, s80, s2
	s_addc_u32 s11, s65, s59
	s_add_i32 s12, s4, s3
	s_waitcnt lgkmcnt(0)
	v_readfirstlane_b32 s79, v1
	s_mul_i32 s13, s80, s2
	s_cmp_lg_u64 s[72:73], 0
	s_mov_b32 s3, 0
	s_mul_i32 s2, s79, 0x600
	s_cselect_b64 s[64:65], -1, 0
	s_lshl_b64 s[4:5], s[2:3], 2
	s_add_u32 s62, s8, s4
	s_addc_u32 s63, s9, s5
	s_lshl_b64 s[60:61], s[2:3], 1
	s_add_u32 s84, s10, s60
	s_addc_u32 s85, s11, s61
	s_add_u32 s72, s13, s79
	s_addc_u32 s73, s12, 0
	s_add_u32 s4, s68, -1
	s_addc_u32 s5, s69, -1
	v_pk_mov_b32 v[2:3], s[4:5], s[4:5] op_sel:[0,1]
	v_cmp_ge_u64_e64 s[2:3], s[72:73], v[2:3]
	s_mov_b64 s[6:7], 0
	s_mov_b64 s[28:29], -1
	s_and_b64 vcc, exec, s[2:3]
	s_mul_i32 s33, s4, 0xfffffa00
	s_waitcnt lgkmcnt(0)
	; wave barrier
	s_waitcnt lgkmcnt(0)
	s_waitcnt lgkmcnt(0)
	; wave barrier
	s_cbranch_vccz .LBB1385_131
; %bb.5:
	v_pk_mov_b32 v[2:3], s[62:63], s[62:63] op_sel:[0,1]
	flat_load_dword v1, v[2:3]
	s_add_i32 s86, s33, s78
	v_cmp_gt_u32_e64 s[6:7], s86, v0
	s_waitcnt vmcnt(0) lgkmcnt(0)
	v_mov_b32_e32 v2, v1
	s_and_saveexec_b64 s[4:5], s[6:7]
	s_cbranch_execz .LBB1385_7
; %bb.6:
	v_lshlrev_b32_e32 v2, 2, v0
	v_mov_b32_e32 v3, s63
	v_add_co_u32_e32 v2, vcc, s62, v2
	v_addc_co_u32_e32 v3, vcc, 0, v3, vcc
	flat_load_dword v2, v[2:3]
.LBB1385_7:
	s_or_b64 exec, exec, s[4:5]
	v_or_b32_e32 v3, 64, v0
	v_cmp_gt_u32_e64 s[8:9], s86, v3
	v_mov_b32_e32 v3, v1
	s_and_saveexec_b64 s[4:5], s[8:9]
	s_cbranch_execz .LBB1385_9
; %bb.8:
	v_lshlrev_b32_e32 v3, 2, v0
	v_mov_b32_e32 v5, s63
	v_add_co_u32_e32 v4, vcc, s62, v3
	v_addc_co_u32_e32 v5, vcc, 0, v5, vcc
	flat_load_dword v3, v[4:5] offset:256
.LBB1385_9:
	s_or_b64 exec, exec, s[4:5]
	v_or_b32_e32 v4, 0x80, v0
	v_cmp_gt_u32_e64 s[10:11], s86, v4
	v_mov_b32_e32 v4, v1
	s_and_saveexec_b64 s[4:5], s[10:11]
	s_cbranch_execz .LBB1385_11
; %bb.10:
	v_lshlrev_b32_e32 v4, 2, v0
	v_mov_b32_e32 v5, s63
	v_add_co_u32_e32 v4, vcc, s62, v4
	v_addc_co_u32_e32 v5, vcc, 0, v5, vcc
	flat_load_dword v4, v[4:5] offset:512
.LBB1385_11:
	;; [unrolled: 13-line block ×15, first 2 shown]
	s_or_b64 exec, exec, s[4:5]
	v_or_b32_e32 v19, 0x400, v0
	v_cmp_gt_u32_e64 s[40:41], s86, v19
	v_mov_b32_e32 v18, v1
	s_and_saveexec_b64 s[4:5], s[40:41]
	s_cbranch_execz .LBB1385_39
; %bb.38:
	v_lshlrev_b32_e32 v18, 2, v19
	v_mov_b32_e32 v19, s63
	v_add_co_u32_e32 v18, vcc, s62, v18
	v_addc_co_u32_e32 v19, vcc, 0, v19, vcc
	flat_load_dword v18, v[18:19]
.LBB1385_39:
	s_or_b64 exec, exec, s[4:5]
	v_or_b32_e32 v20, 0x440, v0
	v_cmp_gt_u32_e64 s[42:43], s86, v20
	v_mov_b32_e32 v19, v1
	s_and_saveexec_b64 s[4:5], s[42:43]
	s_cbranch_execz .LBB1385_41
; %bb.40:
	v_lshlrev_b32_e32 v19, 2, v20
	v_mov_b32_e32 v21, s63
	v_add_co_u32_e32 v20, vcc, s62, v19
	v_addc_co_u32_e32 v21, vcc, 0, v21, vcc
	flat_load_dword v19, v[20:21]
.LBB1385_41:
	;; [unrolled: 13-line block ×7, first 2 shown]
	s_or_b64 exec, exec, s[4:5]
	v_or_b32_e32 v25, 0x5c0, v0
	v_cmp_gt_u32_e64 s[54:55], s86, v25
	s_and_saveexec_b64 s[4:5], s[54:55]
	s_cbranch_execz .LBB1385_53
; %bb.52:
	v_lshlrev_b32_e32 v1, 2, v25
	v_mov_b32_e32 v25, s63
	v_add_co_u32_e32 v26, vcc, s62, v1
	v_addc_co_u32_e32 v27, vcc, 0, v25, vcc
	flat_load_dword v1, v[26:27]
.LBB1385_53:
	s_or_b64 exec, exec, s[4:5]
	v_lshlrev_b32_e32 v25, 2, v0
	s_movk_i32 s4, 0x5c
	s_waitcnt vmcnt(0) lgkmcnt(0)
	ds_write2st64_b32 v25, v2, v3 offset1:1
	ds_write2st64_b32 v25, v4, v5 offset0:2 offset1:3
	ds_write2st64_b32 v25, v6, v7 offset0:4 offset1:5
	;; [unrolled: 1-line block ×11, first 2 shown]
	v_mad_u32_u24 v1, v0, s4, v25
	s_waitcnt lgkmcnt(0)
	; wave barrier
	s_waitcnt lgkmcnt(0)
	ds_read_b128 v[42:45], v1
	ds_read_b128 v[38:41], v1 offset:16
	ds_read_b128 v[34:37], v1 offset:32
	;; [unrolled: 1-line block ×5, first 2 shown]
	s_cmp_eq_u64 s[72:73], 0
	s_mov_b64 s[4:5], s[62:63]
	s_cbranch_scc1 .LBB1385_57
; %bb.54:
	s_andn2_b64 vcc, exec, s[64:65]
	s_cbranch_vccnz .LBB1385_301
; %bb.55:
	s_lshl_b64 s[4:5], s[72:73], 2
	s_add_u32 s4, s74, s4
	s_addc_u32 s5, s75, s5
	s_add_u32 s4, s4, -4
	s_addc_u32 s5, s5, -1
	s_cbranch_execnz .LBB1385_57
.LBB1385_56:
	s_add_u32 s4, s62, -4
	s_addc_u32 s5, s63, -1
.LBB1385_57:
	v_pk_mov_b32 v[2:3], s[4:5], s[4:5] op_sel:[0,1]
	flat_load_dword v46, v[2:3]
	s_movk_i32 s4, 0xffa4
	v_mad_i32_i24 v1, v0, s4, v1
	s_waitcnt lgkmcnt(0)
	ds_write_b32 v1, v25 offset:6144
	s_waitcnt lgkmcnt(0)
	; wave barrier
	s_waitcnt lgkmcnt(0)
	s_and_saveexec_b64 s[4:5], s[56:57]
	s_cbranch_execz .LBB1385_59
; %bb.58:
	s_waitcnt vmcnt(0)
	ds_read_b32 v46, v1 offset:6140
.LBB1385_59:
	s_or_b64 exec, exec, s[4:5]
	s_waitcnt lgkmcnt(0)
	; wave barrier
	s_waitcnt lgkmcnt(0)
                                        ; implicit-def: $vgpr2
	s_and_saveexec_b64 s[4:5], s[6:7]
	s_cbranch_execnz .LBB1385_278
; %bb.60:
	s_or_b64 exec, exec, s[4:5]
                                        ; implicit-def: $vgpr3
	s_and_saveexec_b64 s[4:5], s[8:9]
	s_cbranch_execnz .LBB1385_279
.LBB1385_61:
	s_or_b64 exec, exec, s[4:5]
                                        ; implicit-def: $vgpr4
	s_and_saveexec_b64 s[4:5], s[10:11]
	s_cbranch_execnz .LBB1385_280
.LBB1385_62:
	s_or_b64 exec, exec, s[4:5]
                                        ; implicit-def: $vgpr5
	s_and_saveexec_b64 s[4:5], s[12:13]
	s_cbranch_execnz .LBB1385_281
.LBB1385_63:
	s_or_b64 exec, exec, s[4:5]
                                        ; implicit-def: $vgpr6
	s_and_saveexec_b64 s[4:5], s[14:15]
	s_cbranch_execnz .LBB1385_282
.LBB1385_64:
	s_or_b64 exec, exec, s[4:5]
                                        ; implicit-def: $vgpr7
	s_and_saveexec_b64 s[4:5], s[16:17]
	s_cbranch_execnz .LBB1385_283
.LBB1385_65:
	s_or_b64 exec, exec, s[4:5]
                                        ; implicit-def: $vgpr8
	s_and_saveexec_b64 s[4:5], s[18:19]
	s_cbranch_execnz .LBB1385_284
.LBB1385_66:
	s_or_b64 exec, exec, s[4:5]
                                        ; implicit-def: $vgpr9
	s_and_saveexec_b64 s[4:5], s[20:21]
	s_cbranch_execnz .LBB1385_285
.LBB1385_67:
	s_or_b64 exec, exec, s[4:5]
                                        ; implicit-def: $vgpr10
	s_and_saveexec_b64 s[4:5], s[22:23]
	s_cbranch_execnz .LBB1385_286
.LBB1385_68:
	s_or_b64 exec, exec, s[4:5]
                                        ; implicit-def: $vgpr11
	s_and_saveexec_b64 s[4:5], s[24:25]
	s_cbranch_execnz .LBB1385_287
.LBB1385_69:
	s_or_b64 exec, exec, s[4:5]
                                        ; implicit-def: $vgpr12
	s_and_saveexec_b64 s[4:5], s[26:27]
	s_cbranch_execnz .LBB1385_288
.LBB1385_70:
	s_or_b64 exec, exec, s[4:5]
                                        ; implicit-def: $vgpr13
	s_and_saveexec_b64 s[4:5], s[28:29]
	s_cbranch_execnz .LBB1385_289
.LBB1385_71:
	s_or_b64 exec, exec, s[4:5]
                                        ; implicit-def: $vgpr14
	s_and_saveexec_b64 s[4:5], s[30:31]
	s_cbranch_execnz .LBB1385_290
.LBB1385_72:
	s_or_b64 exec, exec, s[4:5]
                                        ; implicit-def: $vgpr15
	s_and_saveexec_b64 s[4:5], s[34:35]
	s_cbranch_execnz .LBB1385_291
.LBB1385_73:
	s_or_b64 exec, exec, s[4:5]
                                        ; implicit-def: $vgpr16
	s_and_saveexec_b64 s[4:5], s[36:37]
	s_cbranch_execnz .LBB1385_292
.LBB1385_74:
	s_or_b64 exec, exec, s[4:5]
                                        ; implicit-def: $vgpr17
	s_and_saveexec_b64 s[4:5], s[38:39]
	s_cbranch_execnz .LBB1385_293
.LBB1385_75:
	s_or_b64 exec, exec, s[4:5]
                                        ; implicit-def: $vgpr18
	s_and_saveexec_b64 s[4:5], s[40:41]
	s_cbranch_execnz .LBB1385_294
.LBB1385_76:
	s_or_b64 exec, exec, s[4:5]
                                        ; implicit-def: $vgpr19
	s_and_saveexec_b64 s[4:5], s[42:43]
	s_cbranch_execnz .LBB1385_295
.LBB1385_77:
	s_or_b64 exec, exec, s[4:5]
                                        ; implicit-def: $vgpr20
	s_and_saveexec_b64 s[4:5], s[44:45]
	s_cbranch_execnz .LBB1385_296
.LBB1385_78:
	s_or_b64 exec, exec, s[4:5]
                                        ; implicit-def: $vgpr21
	s_and_saveexec_b64 s[4:5], s[46:47]
	s_cbranch_execnz .LBB1385_297
.LBB1385_79:
	s_or_b64 exec, exec, s[4:5]
                                        ; implicit-def: $vgpr48
	s_and_saveexec_b64 s[4:5], s[48:49]
	s_cbranch_execnz .LBB1385_298
.LBB1385_80:
	s_or_b64 exec, exec, s[4:5]
                                        ; implicit-def: $vgpr49
	s_and_saveexec_b64 s[4:5], s[50:51]
	s_cbranch_execnz .LBB1385_299
.LBB1385_81:
	s_or_b64 exec, exec, s[4:5]
                                        ; implicit-def: $vgpr50
	s_and_saveexec_b64 s[4:5], s[52:53]
	s_cbranch_execnz .LBB1385_300
.LBB1385_82:
	s_or_b64 exec, exec, s[4:5]
                                        ; implicit-def: $vgpr51
	s_and_saveexec_b64 s[4:5], s[54:55]
	s_cbranch_execz .LBB1385_84
.LBB1385_83:
	v_lshlrev_b32_e32 v47, 1, v0
	v_mov_b32_e32 v51, s85
	v_add_co_u32_e32 v52, vcc, s84, v47
	v_addc_co_u32_e32 v53, vcc, 0, v51, vcc
	flat_load_ushort v51, v[52:53] offset:2944
.LBB1385_84:
	s_or_b64 exec, exec, s[4:5]
	v_lshlrev_b32_e32 v47, 1, v0
	s_mov_b32 s8, 0
	v_sub_u32_e32 v47, v1, v47
	s_mov_b32 s9, s8
	s_mov_b32 s6, s8
	;; [unrolled: 1-line block ×3, first 2 shown]
	v_mul_u32_u24_e32 v53, 24, v0
	s_waitcnt vmcnt(0) lgkmcnt(0)
	ds_write_b16 v47, v2
	ds_write_b16 v47, v3 offset:128
	ds_write_b16 v47, v4 offset:256
	;; [unrolled: 1-line block ×23, first 2 shown]
	s_mov_b32 s10, s8
	s_mov_b32 s11, s8
	;; [unrolled: 1-line block ×18, first 2 shown]
	v_pk_mov_b32 v[20:21], s[6:7], s[6:7] op_sel:[0,1]
	v_pk_mov_b32 v[2:3], s[8:9], s[8:9] op_sel:[0,1]
	v_cmp_gt_u32_e32 vcc, s86, v53
	s_mov_b64 s[28:29], 0
	v_pk_mov_b32 v[50:51], s[24:25], s[24:25] op_sel:[0,1]
	v_pk_mov_b32 v[18:19], s[4:5], s[4:5] op_sel:[0,1]
	;; [unrolled: 1-line block ×9, first 2 shown]
	v_mov_b32_e32 v1, 0
	s_mov_b64 s[6:7], 0
	s_waitcnt lgkmcnt(0)
	; wave barrier
	s_waitcnt lgkmcnt(0)
                                        ; implicit-def: $sgpr4_sgpr5
                                        ; implicit-def: $vgpr52
	s_and_saveexec_b64 s[10:11], vcc
	s_cbranch_execz .LBB1385_130
; %bb.85:
	v_mad_u32_u24 v1, v0, 46, v47
	ds_read_u16 v1, v1
	v_cmp_ne_u32_e32 vcc, v46, v42
	s_mov_b32 s12, 0
	v_or_b32_e32 v2, 1, v53
	v_cndmask_b32_e64 v3, 0, 1, vcc
	s_mov_b32 s13, s12
	s_mov_b32 s6, s12
	;; [unrolled: 1-line block ×3, first 2 shown]
	v_cmp_gt_u32_e32 vcc, s86, v2
	s_waitcnt lgkmcnt(0)
	v_lshl_or_b32 v1, v3, 16, v1
	s_mov_b32 s14, s12
	s_mov_b32 s15, s12
	;; [unrolled: 1-line block ×18, first 2 shown]
	v_pk_mov_b32 v[20:21], s[6:7], s[6:7] op_sel:[0,1]
	v_pk_mov_b32 v[2:3], s[12:13], s[12:13] op_sel:[0,1]
	s_mov_b64 s[34:35], 0
	v_pk_mov_b32 v[50:51], s[30:31], s[30:31] op_sel:[0,1]
	v_pk_mov_b32 v[18:19], s[4:5], s[4:5] op_sel:[0,1]
	v_pk_mov_b32 v[4:5], s[14:15], s[14:15] op_sel:[0,1]
	v_pk_mov_b32 v[6:7], s[16:17], s[16:17] op_sel:[0,1]
	v_pk_mov_b32 v[8:9], s[18:19], s[18:19] op_sel:[0,1]
	v_pk_mov_b32 v[10:11], s[20:21], s[20:21] op_sel:[0,1]
	v_pk_mov_b32 v[12:13], s[22:23], s[22:23] op_sel:[0,1]
	v_pk_mov_b32 v[14:15], s[24:25], s[24:25] op_sel:[0,1]
	v_pk_mov_b32 v[16:17], s[26:27], s[26:27] op_sel:[0,1]
                                        ; implicit-def: $sgpr36_sgpr37
                                        ; implicit-def: $vgpr52
	s_and_saveexec_b64 s[30:31], vcc
	s_cbranch_execz .LBB1385_129
; %bb.86:
	v_mul_u32_u24_e32 v2, 46, v0
	v_add_u32_e32 v54, v47, v2
	ds_read_b128 v[46:49], v54 offset:2
	v_or_b32_e32 v2, 2, v53
	v_cmp_ne_u32_e32 vcc, v42, v43
	v_cndmask_b32_e64 v3, 0, 1, vcc
	v_cmp_gt_u32_e32 vcc, s86, v2
	s_waitcnt lgkmcnt(0)
	v_and_b32_e32 v2, 0xffff, v46
	v_lshl_or_b32 v50, v3, 16, v2
	v_pk_mov_b32 v[20:21], s[6:7], s[6:7] op_sel:[0,1]
	v_pk_mov_b32 v[2:3], s[12:13], s[12:13] op_sel:[0,1]
	v_mov_b32_e32 v51, 0
	v_pk_mov_b32 v[18:19], s[4:5], s[4:5] op_sel:[0,1]
	v_pk_mov_b32 v[4:5], s[14:15], s[14:15] op_sel:[0,1]
	;; [unrolled: 1-line block ×8, first 2 shown]
                                        ; implicit-def: $sgpr12_sgpr13
                                        ; implicit-def: $vgpr52
	s_and_saveexec_b64 s[6:7], vcc
	s_cbranch_execz .LBB1385_128
; %bb.87:
	v_cmp_ne_u32_e32 vcc, v43, v44
	s_mov_b32 s12, 0
	v_or_b32_e32 v2, 3, v53
	v_cndmask_b32_e64 v3, 0, 1, vcc
	s_mov_b32 s13, s12
	s_mov_b32 s36, s12
	s_mov_b32 s37, s12
	v_alignbit_b32 v51, v3, v46, 16
	v_cmp_gt_u32_e32 vcc, s86, v2
	s_mov_b32 s14, s12
	s_mov_b32 s15, s12
	s_mov_b32 s16, s12
	s_mov_b32 s17, s12
	s_mov_b32 s18, s12
	s_mov_b32 s19, s12
	s_mov_b32 s20, s12
	s_mov_b32 s21, s12
	s_mov_b32 s22, s12
	s_mov_b32 s23, s12
	s_mov_b32 s24, s12
	s_mov_b32 s25, s12
	s_mov_b32 s26, s12
	s_mov_b32 s27, s12
	s_mov_b32 s38, s12
	s_mov_b32 s39, s12
	v_pk_mov_b32 v[18:19], s[36:37], s[36:37] op_sel:[0,1]
	v_pk_mov_b32 v[2:3], s[12:13], s[12:13] op_sel:[0,1]
	s_mov_b64 s[4:5], 0
	v_pk_mov_b32 v[20:21], s[38:39], s[38:39] op_sel:[0,1]
	v_pk_mov_b32 v[4:5], s[14:15], s[14:15] op_sel:[0,1]
	;; [unrolled: 1-line block ×8, first 2 shown]
                                        ; implicit-def: $sgpr36_sgpr37
                                        ; implicit-def: $vgpr52
	s_and_saveexec_b64 s[34:35], vcc
	s_cbranch_execz .LBB1385_127
; %bb.88:
	v_cmp_ne_u32_e32 vcc, v44, v45
	v_and_b32_e32 v2, 0xffff, v47
	v_or_b32_e32 v3, 4, v53
	v_cndmask_b32_e64 v4, 0, 1, vcc
	v_lshl_or_b32 v18, v4, 16, v2
	v_cmp_gt_u32_e32 vcc, s86, v3
	v_mov_b32_e32 v20, 0
	v_pk_mov_b32 v[2:3], s[12:13], s[12:13] op_sel:[0,1]
	v_mov_b32_e32 v19, v20
	v_mov_b32_e32 v21, v20
	v_pk_mov_b32 v[4:5], s[14:15], s[14:15] op_sel:[0,1]
	v_pk_mov_b32 v[6:7], s[16:17], s[16:17] op_sel:[0,1]
	;; [unrolled: 1-line block ×7, first 2 shown]
                                        ; implicit-def: $sgpr12_sgpr13
                                        ; implicit-def: $vgpr52
	s_and_saveexec_b64 s[36:37], vcc
	s_cbranch_execz .LBB1385_126
; %bb.89:
	v_cmp_ne_u32_e32 vcc, v45, v38
	s_mov_b32 s12, 0
	v_or_b32_e32 v2, 5, v53
	v_cndmask_b32_e64 v3, 0, 1, vcc
	s_mov_b32 s13, s12
	v_alignbit_b32 v19, v3, v47, 16
	v_cmp_gt_u32_e32 vcc, s86, v2
	s_mov_b32 s14, s12
	s_mov_b32 s15, s12
	;; [unrolled: 1-line block ×14, first 2 shown]
	v_pk_mov_b32 v[2:3], s[12:13], s[12:13] op_sel:[0,1]
	v_mov_b32_e32 v21, v20
	v_pk_mov_b32 v[4:5], s[14:15], s[14:15] op_sel:[0,1]
	v_pk_mov_b32 v[6:7], s[16:17], s[16:17] op_sel:[0,1]
	v_pk_mov_b32 v[8:9], s[18:19], s[18:19] op_sel:[0,1]
	v_pk_mov_b32 v[10:11], s[20:21], s[20:21] op_sel:[0,1]
	v_pk_mov_b32 v[12:13], s[22:23], s[22:23] op_sel:[0,1]
	v_pk_mov_b32 v[14:15], s[24:25], s[24:25] op_sel:[0,1]
	v_pk_mov_b32 v[16:17], s[26:27], s[26:27] op_sel:[0,1]
                                        ; implicit-def: $sgpr40_sgpr41
                                        ; implicit-def: $vgpr52
	s_and_saveexec_b64 s[38:39], vcc
	s_cbranch_execz .LBB1385_125
; %bb.90:
	v_cmp_ne_u32_e32 vcc, v38, v39
	v_and_b32_e32 v2, 0xffff, v48
	v_or_b32_e32 v3, 6, v53
	v_cndmask_b32_e64 v4, 0, 1, vcc
	v_lshl_or_b32 v20, v4, 16, v2
	v_cmp_gt_u32_e32 vcc, s86, v3
	v_pk_mov_b32 v[2:3], s[12:13], s[12:13] op_sel:[0,1]
	v_mov_b32_e32 v21, s12
	v_pk_mov_b32 v[4:5], s[14:15], s[14:15] op_sel:[0,1]
	v_pk_mov_b32 v[6:7], s[16:17], s[16:17] op_sel:[0,1]
	;; [unrolled: 1-line block ×7, first 2 shown]
                                        ; implicit-def: $sgpr12_sgpr13
                                        ; implicit-def: $vgpr52
	s_and_saveexec_b64 s[40:41], vcc
	s_cbranch_execz .LBB1385_124
; %bb.91:
	v_cmp_ne_u32_e32 vcc, v39, v40
	s_mov_b32 s12, 0
	v_or_b32_e32 v2, 7, v53
	v_cndmask_b32_e64 v3, 0, 1, vcc
	s_mov_b32 s13, s12
	v_alignbit_b32 v21, v3, v48, 16
	v_cmp_gt_u32_e32 vcc, s86, v2
	s_mov_b32 s14, s12
	s_mov_b32 s15, s12
	;; [unrolled: 1-line block ×14, first 2 shown]
	v_pk_mov_b32 v[2:3], s[12:13], s[12:13] op_sel:[0,1]
	v_pk_mov_b32 v[4:5], s[14:15], s[14:15] op_sel:[0,1]
	;; [unrolled: 1-line block ×8, first 2 shown]
                                        ; implicit-def: $sgpr14_sgpr15
                                        ; implicit-def: $vgpr52
	s_and_saveexec_b64 s[12:13], vcc
	s_cbranch_execz .LBB1385_123
; %bb.92:
	v_cmp_ne_u32_e32 vcc, v40, v41
	v_and_b32_e32 v2, 0xffff, v49
	v_cndmask_b32_e64 v4, 0, 1, vcc
	v_add_u32_e32 v3, 8, v53
	v_lshl_or_b32 v2, v4, 16, v2
	v_mov_b32_e32 v4, 0
	v_cmp_gt_u32_e32 vcc, s86, v3
	v_mov_b32_e32 v3, v4
	v_mov_b32_e32 v5, v4
	v_mov_b32_e32 v6, v4
	v_mov_b32_e32 v7, v4
	v_mov_b32_e32 v8, v4
	v_mov_b32_e32 v9, v4
	v_mov_b32_e32 v10, v4
	v_mov_b32_e32 v11, v4
	v_mov_b32_e32 v12, v4
	v_mov_b32_e32 v13, v4
	v_mov_b32_e32 v14, v4
	v_mov_b32_e32 v15, v4
	v_mov_b32_e32 v16, v4
	v_mov_b32_e32 v17, v4
                                        ; implicit-def: $sgpr16_sgpr17
                                        ; implicit-def: $vgpr52
	s_and_saveexec_b64 s[14:15], vcc
	s_cbranch_execz .LBB1385_122
; %bb.93:
	v_cmp_ne_u32_e32 vcc, v41, v34
	v_add_u32_e32 v5, 9, v53
	v_cndmask_b32_e64 v3, 0, 1, vcc
	v_alignbit_b32 v3, v3, v49, 16
	v_cmp_gt_u32_e32 vcc, s86, v5
	v_mov_b32_e32 v5, v4
	v_mov_b32_e32 v6, v4
	;; [unrolled: 1-line block ×13, first 2 shown]
                                        ; implicit-def: $sgpr18_sgpr19
                                        ; implicit-def: $vgpr52
	s_and_saveexec_b64 s[16:17], vcc
	s_cbranch_execz .LBB1385_121
; %bb.94:
	ds_read_b128 v[38:41], v54 offset:18
	v_add_u32_e32 v4, 10, v53
	v_cmp_ne_u32_e32 vcc, v34, v35
	v_cndmask_b32_e64 v5, 0, 1, vcc
	v_cmp_gt_u32_e32 vcc, s86, v4
	s_waitcnt lgkmcnt(0)
	v_and_b32_e32 v4, 0xffff, v38
	v_mov_b32_e32 v6, 0
	v_lshl_or_b32 v4, v5, 16, v4
	v_mov_b32_e32 v5, v6
	v_mov_b32_e32 v7, v6
	v_mov_b32_e32 v8, v6
	v_mov_b32_e32 v9, v6
	v_mov_b32_e32 v10, v6
	v_mov_b32_e32 v11, v6
	v_mov_b32_e32 v12, v6
	v_mov_b32_e32 v13, v6
	v_mov_b32_e32 v14, v6
	v_mov_b32_e32 v15, v6
	v_mov_b32_e32 v16, v6
	v_mov_b32_e32 v17, v6
                                        ; implicit-def: $sgpr20_sgpr21
                                        ; implicit-def: $vgpr52
	s_and_saveexec_b64 s[18:19], vcc
	s_cbranch_execz .LBB1385_120
; %bb.95:
	v_cmp_ne_u32_e32 vcc, v35, v36
	v_add_u32_e32 v7, 11, v53
	v_cndmask_b32_e64 v5, 0, 1, vcc
	v_alignbit_b32 v5, v5, v38, 16
	v_cmp_gt_u32_e32 vcc, s86, v7
	v_mov_b32_e32 v7, v6
	v_mov_b32_e32 v8, v6
	v_mov_b32_e32 v9, v6
	v_mov_b32_e32 v10, v6
	v_mov_b32_e32 v11, v6
	v_mov_b32_e32 v12, v6
	v_mov_b32_e32 v13, v6
	v_mov_b32_e32 v14, v6
	v_mov_b32_e32 v15, v6
	v_mov_b32_e32 v16, v6
	v_mov_b32_e32 v17, v6
                                        ; implicit-def: $sgpr22_sgpr23
                                        ; implicit-def: $vgpr52
	s_and_saveexec_b64 s[20:21], vcc
	s_cbranch_execz .LBB1385_119
; %bb.96:
	v_cmp_ne_u32_e32 vcc, v36, v37
	v_and_b32_e32 v6, 0xffff, v39
	v_cndmask_b32_e64 v8, 0, 1, vcc
	v_add_u32_e32 v7, 12, v53
	v_lshl_or_b32 v6, v8, 16, v6
	v_mov_b32_e32 v8, 0
	v_cmp_gt_u32_e32 vcc, s86, v7
	v_mov_b32_e32 v7, v8
	v_mov_b32_e32 v9, v8
	v_mov_b32_e32 v10, v8
	v_mov_b32_e32 v11, v8
	v_mov_b32_e32 v12, v8
	v_mov_b32_e32 v13, v8
	v_mov_b32_e32 v14, v8
	v_mov_b32_e32 v15, v8
	v_mov_b32_e32 v16, v8
	v_mov_b32_e32 v17, v8
                                        ; implicit-def: $sgpr24_sgpr25
                                        ; implicit-def: $vgpr52
	s_and_saveexec_b64 s[22:23], vcc
	s_cbranch_execz .LBB1385_118
; %bb.97:
	v_cmp_ne_u32_e32 vcc, v37, v30
	v_add_u32_e32 v9, 13, v53
	v_cndmask_b32_e64 v7, 0, 1, vcc
	v_alignbit_b32 v7, v7, v39, 16
	v_cmp_gt_u32_e32 vcc, s86, v9
	v_mov_b32_e32 v9, v8
	v_mov_b32_e32 v10, v8
	v_mov_b32_e32 v11, v8
	v_mov_b32_e32 v12, v8
	v_mov_b32_e32 v13, v8
	v_mov_b32_e32 v14, v8
	v_mov_b32_e32 v15, v8
	v_mov_b32_e32 v16, v8
	v_mov_b32_e32 v17, v8
                                        ; implicit-def: $sgpr26_sgpr27
                                        ; implicit-def: $vgpr52
	s_and_saveexec_b64 s[24:25], vcc
	s_cbranch_execz .LBB1385_117
; %bb.98:
	v_cmp_ne_u32_e32 vcc, v30, v31
	v_and_b32_e32 v8, 0xffff, v40
	v_cndmask_b32_e64 v10, 0, 1, vcc
	v_add_u32_e32 v9, 14, v53
	v_lshl_or_b32 v8, v10, 16, v8
	v_mov_b32_e32 v10, 0
	v_cmp_gt_u32_e32 vcc, s86, v9
	v_mov_b32_e32 v9, v10
	v_mov_b32_e32 v11, v10
	;; [unrolled: 1-line block ×8, first 2 shown]
                                        ; implicit-def: $sgpr42_sgpr43
                                        ; implicit-def: $vgpr52
	s_and_saveexec_b64 s[26:27], vcc
	s_cbranch_execz .LBB1385_116
; %bb.99:
	v_cmp_ne_u32_e32 vcc, v31, v32
	v_add_u32_e32 v11, 15, v53
	v_cndmask_b32_e64 v9, 0, 1, vcc
	v_alignbit_b32 v9, v9, v40, 16
	v_cmp_gt_u32_e32 vcc, s86, v11
	v_mov_b32_e32 v11, v10
	v_mov_b32_e32 v12, v10
	;; [unrolled: 1-line block ×7, first 2 shown]
                                        ; implicit-def: $sgpr44_sgpr45
                                        ; implicit-def: $vgpr52
	s_and_saveexec_b64 s[42:43], vcc
	s_cbranch_execz .LBB1385_115
; %bb.100:
	v_cmp_ne_u32_e32 vcc, v32, v33
	v_and_b32_e32 v10, 0xffff, v41
	v_cndmask_b32_e64 v12, 0, 1, vcc
	v_add_u32_e32 v11, 16, v53
	v_lshl_or_b32 v10, v12, 16, v10
	v_mov_b32_e32 v12, 0
	v_cmp_gt_u32_e32 vcc, s86, v11
	v_mov_b32_e32 v11, v12
	v_mov_b32_e32 v13, v12
	;; [unrolled: 1-line block ×6, first 2 shown]
                                        ; implicit-def: $sgpr46_sgpr47
                                        ; implicit-def: $vgpr52
	s_and_saveexec_b64 s[44:45], vcc
	s_cbranch_execz .LBB1385_114
; %bb.101:
	v_cmp_ne_u32_e32 vcc, v33, v26
	v_add_u32_e32 v13, 17, v53
	v_cndmask_b32_e64 v11, 0, 1, vcc
	v_alignbit_b32 v11, v11, v41, 16
	v_cmp_gt_u32_e32 vcc, s86, v13
	v_mov_b32_e32 v13, v12
	v_mov_b32_e32 v14, v12
	;; [unrolled: 1-line block ×5, first 2 shown]
                                        ; implicit-def: $sgpr48_sgpr49
                                        ; implicit-def: $vgpr52
	s_and_saveexec_b64 s[46:47], vcc
	s_cbranch_execz .LBB1385_113
; %bb.102:
	ds_read_b96 v[30:32], v54 offset:34
	v_add_u32_e32 v12, 18, v53
	v_cmp_ne_u32_e32 vcc, v26, v27
	v_cndmask_b32_e64 v13, 0, 1, vcc
	v_cmp_gt_u32_e32 vcc, s86, v12
	s_waitcnt lgkmcnt(0)
	v_and_b32_e32 v12, 0xffff, v30
	v_mov_b32_e32 v14, 0
	v_lshl_or_b32 v12, v13, 16, v12
	v_mov_b32_e32 v13, v14
	v_mov_b32_e32 v15, v14
	;; [unrolled: 1-line block ×4, first 2 shown]
                                        ; implicit-def: $sgpr50_sgpr51
                                        ; implicit-def: $vgpr52
	s_and_saveexec_b64 s[48:49], vcc
	s_cbranch_execz .LBB1385_112
; %bb.103:
	v_cmp_ne_u32_e32 vcc, v27, v28
	v_add_u32_e32 v15, 19, v53
	v_cndmask_b32_e64 v13, 0, 1, vcc
	v_alignbit_b32 v13, v13, v30, 16
	v_cmp_gt_u32_e32 vcc, s86, v15
	v_mov_b32_e32 v15, v14
	v_mov_b32_e32 v16, v14
	v_mov_b32_e32 v17, v14
                                        ; implicit-def: $sgpr52_sgpr53
                                        ; implicit-def: $vgpr52
	s_and_saveexec_b64 s[50:51], vcc
	s_cbranch_execz .LBB1385_111
; %bb.104:
	v_cmp_ne_u32_e32 vcc, v28, v29
	v_and_b32_e32 v14, 0xffff, v31
	v_cndmask_b32_e64 v16, 0, 1, vcc
	v_add_u32_e32 v15, 20, v53
	v_lshl_or_b32 v14, v16, 16, v14
	v_mov_b32_e32 v16, 0
	v_cmp_gt_u32_e32 vcc, s86, v15
	v_mov_b32_e32 v15, v16
	v_mov_b32_e32 v17, v16
                                        ; implicit-def: $sgpr54_sgpr55
                                        ; implicit-def: $vgpr52
	s_and_saveexec_b64 s[52:53], vcc
	s_cbranch_execz .LBB1385_110
; %bb.105:
	v_cmp_ne_u32_e32 vcc, v29, v22
	v_add_u32_e32 v17, 21, v53
	v_cndmask_b32_e64 v15, 0, 1, vcc
	v_alignbit_b32 v15, v15, v31, 16
	v_cmp_gt_u32_e32 vcc, s86, v17
	s_mov_b32 s9, 0
	v_mov_b32_e32 v17, v16
                                        ; implicit-def: $sgpr68_sgpr69
                                        ; implicit-def: $vgpr52
	s_and_saveexec_b64 s[54:55], vcc
	s_cbranch_execz .LBB1385_109
; %bb.106:
	v_cmp_ne_u32_e32 vcc, v22, v23
	v_and_b32_e32 v16, 0xffff, v32
	v_add_u32_e32 v17, 22, v53
	v_cndmask_b32_e64 v22, 0, 1, vcc
	v_lshl_or_b32 v16, v22, 16, v16
	v_cmp_gt_u32_e32 vcc, s86, v17
	v_mov_b32_e32 v17, s9
                                        ; implicit-def: $sgpr68_sgpr69
                                        ; implicit-def: $vgpr52
	s_and_saveexec_b64 s[82:83], vcc
	s_xor_b64 s[82:83], exec, s[82:83]
	s_cbranch_execz .LBB1385_108
; %bb.107:
	ds_read_u16 v52, v54 offset:46
	v_add_u32_e32 v22, 23, v53
	v_cmp_ne_u32_e64 s[4:5], v23, v24
	v_cmp_ne_u32_e32 vcc, v24, v25
	v_cndmask_b32_e64 v17, 0, 1, s[4:5]
	v_cmp_gt_u32_e64 s[4:5], s86, v22
	v_alignbit_b32 v17, v17, v32, 16
	s_and_b64 s[68:69], vcc, exec
	s_and_b64 s[4:5], s[4:5], exec
.LBB1385_108:
	s_or_b64 exec, exec, s[82:83]
	s_and_b64 s[68:69], s[68:69], exec
	s_and_b64 s[4:5], s[4:5], exec
.LBB1385_109:
	s_or_b64 exec, exec, s[54:55]
	s_and_b64 s[54:55], s[68:69], exec
	s_and_b64 s[4:5], s[4:5], exec
.LBB1385_110:
	s_or_b64 exec, exec, s[52:53]
	s_and_b64 s[52:53], s[54:55], exec
	s_and_b64 s[4:5], s[4:5], exec
.LBB1385_111:
	s_or_b64 exec, exec, s[50:51]
	s_and_b64 s[50:51], s[52:53], exec
	s_and_b64 s[4:5], s[4:5], exec
.LBB1385_112:
	s_or_b64 exec, exec, s[48:49]
	s_and_b64 s[48:49], s[50:51], exec
	s_and_b64 s[4:5], s[4:5], exec
.LBB1385_113:
	s_or_b64 exec, exec, s[46:47]
	s_and_b64 s[46:47], s[48:49], exec
	s_and_b64 s[4:5], s[4:5], exec
.LBB1385_114:
	s_or_b64 exec, exec, s[44:45]
	s_and_b64 s[44:45], s[46:47], exec
	s_and_b64 s[4:5], s[4:5], exec
.LBB1385_115:
	s_or_b64 exec, exec, s[42:43]
	s_and_b64 s[42:43], s[44:45], exec
	s_and_b64 s[4:5], s[4:5], exec
.LBB1385_116:
	s_or_b64 exec, exec, s[26:27]
	s_and_b64 s[26:27], s[42:43], exec
	s_and_b64 s[4:5], s[4:5], exec
.LBB1385_117:
	s_or_b64 exec, exec, s[24:25]
	s_and_b64 s[24:25], s[26:27], exec
	s_and_b64 s[4:5], s[4:5], exec
.LBB1385_118:
	s_or_b64 exec, exec, s[22:23]
	s_and_b64 s[22:23], s[24:25], exec
	s_and_b64 s[4:5], s[4:5], exec
.LBB1385_119:
	s_or_b64 exec, exec, s[20:21]
	s_and_b64 s[20:21], s[22:23], exec
	s_and_b64 s[4:5], s[4:5], exec
.LBB1385_120:
	s_or_b64 exec, exec, s[18:19]
	s_and_b64 s[18:19], s[20:21], exec
	s_and_b64 s[4:5], s[4:5], exec
.LBB1385_121:
	s_or_b64 exec, exec, s[16:17]
	s_and_b64 s[16:17], s[18:19], exec
	s_and_b64 s[4:5], s[4:5], exec
.LBB1385_122:
	s_or_b64 exec, exec, s[14:15]
	s_and_b64 s[14:15], s[16:17], exec
	s_and_b64 s[4:5], s[4:5], exec
.LBB1385_123:
	s_or_b64 exec, exec, s[12:13]
	s_and_b64 s[12:13], s[14:15], exec
	s_and_b64 s[4:5], s[4:5], exec
.LBB1385_124:
	s_or_b64 exec, exec, s[40:41]
	s_and_b64 s[40:41], s[12:13], exec
	s_and_b64 s[4:5], s[4:5], exec
.LBB1385_125:
	s_or_b64 exec, exec, s[38:39]
	s_and_b64 s[12:13], s[40:41], exec
	s_and_b64 s[4:5], s[4:5], exec
.LBB1385_126:
	s_or_b64 exec, exec, s[36:37]
	s_and_b64 s[36:37], s[12:13], exec
	s_and_b64 s[4:5], s[4:5], exec
.LBB1385_127:
	s_or_b64 exec, exec, s[34:35]
	s_and_b64 s[12:13], s[36:37], exec
	s_and_b64 s[34:35], s[4:5], exec
.LBB1385_128:
	s_or_b64 exec, exec, s[6:7]
	s_and_b64 s[36:37], s[12:13], exec
	s_and_b64 s[34:35], s[34:35], exec
.LBB1385_129:
	s_or_b64 exec, exec, s[30:31]
	s_and_b64 s[4:5], s[36:37], exec
	s_and_b64 s[6:7], s[34:35], exec
.LBB1385_130:
	s_or_b64 exec, exec, s[10:11]
	s_and_b64 vcc, exec, s[28:29]
	s_cbranch_vccnz .LBB1385_132
	s_branch .LBB1385_140
.LBB1385_131:
                                        ; implicit-def: $sgpr4_sgpr5
                                        ; implicit-def: $vgpr50_vgpr51
                                        ; implicit-def: $vgpr18_vgpr19_vgpr20_vgpr21
                                        ; implicit-def: $vgpr2_vgpr3_vgpr4_vgpr5_vgpr6_vgpr7_vgpr8_vgpr9_vgpr10_vgpr11_vgpr12_vgpr13_vgpr14_vgpr15_vgpr16_vgpr17
                                        ; implicit-def: $vgpr52
                                        ; implicit-def: $vgpr1
                                        ; implicit-def: $sgpr8
	s_and_b64 vcc, exec, s[28:29]
	s_cbranch_vccz .LBB1385_140
.LBB1385_132:
	v_lshlrev_b32_e32 v4, 2, v0
	v_mov_b32_e32 v1, s63
	v_add_co_u32_e32 v2, vcc, s62, v4
	v_addc_co_u32_e32 v3, vcc, 0, v1, vcc
	s_movk_i32 s4, 0x1000
	flat_load_dword v5, v[2:3]
	flat_load_dword v6, v[2:3] offset:256
	flat_load_dword v7, v[2:3] offset:512
	;; [unrolled: 1-line block ×15, first 2 shown]
	v_add_co_u32_e32 v2, vcc, s4, v2
	v_addc_co_u32_e32 v3, vcc, 0, v3, vcc
	flat_load_dword v21, v[2:3]
	flat_load_dword v22, v[2:3] offset:256
	flat_load_dword v23, v[2:3] offset:512
	flat_load_dword v24, v[2:3] offset:768
	flat_load_dword v25, v[2:3] offset:1024
	flat_load_dword v26, v[2:3] offset:1280
	flat_load_dword v27, v[2:3] offset:1536
	flat_load_dword v28, v[2:3] offset:1792
	s_movk_i32 s4, 0x5c
	v_mad_u32_u24 v1, v0, s4, v4
	s_cmp_eq_u64 s[72:73], 0
	s_waitcnt vmcnt(0) lgkmcnt(0)
	ds_write2st64_b32 v4, v5, v6 offset1:1
	ds_write2st64_b32 v4, v7, v8 offset0:2 offset1:3
	ds_write2st64_b32 v4, v9, v10 offset0:4 offset1:5
	;; [unrolled: 1-line block ×11, first 2 shown]
	s_waitcnt lgkmcnt(0)
	; wave barrier
	s_waitcnt lgkmcnt(0)
	ds_read2_b64 v[2:5], v1 offset1:11
	ds_read2_b64 v[34:37], v1 offset0:9 offset1:10
	ds_read2_b64 v[30:33], v1 offset0:7 offset1:8
	;; [unrolled: 1-line block ×5, first 2 shown]
	s_cbranch_scc1 .LBB1385_137
; %bb.133:
	s_andn2_b64 vcc, exec, s[64:65]
	s_cbranch_vccnz .LBB1385_302
; %bb.134:
	s_lshl_b64 s[4:5], s[72:73], 2
	s_add_u32 s4, s74, s4
	s_addc_u32 s5, s75, s5
	s_add_u32 s4, s4, -4
	s_addc_u32 s5, s5, -1
	s_cbranch_execnz .LBB1385_136
.LBB1385_135:
	s_add_u32 s4, s62, -4
	s_addc_u32 s5, s63, -1
.LBB1385_136:
	s_mov_b64 s[62:63], s[4:5]
.LBB1385_137:
	v_pk_mov_b32 v[10:11], s[62:63], s[62:63] op_sel:[0,1]
	flat_load_dword v10, v[10:11]
	s_movk_i32 s4, 0xffa4
	v_mad_i32_i24 v1, v0, s4, v1
	s_waitcnt lgkmcnt(0)
	ds_write_b32 v1, v5 offset:6144
	s_waitcnt lgkmcnt(0)
	; wave barrier
	s_waitcnt lgkmcnt(0)
	s_and_saveexec_b64 s[4:5], s[56:57]
	s_cbranch_execz .LBB1385_139
; %bb.138:
	s_waitcnt vmcnt(0)
	ds_read_b32 v10, v1 offset:6140
.LBB1385_139:
	s_or_b64 exec, exec, s[4:5]
	v_lshlrev_b32_e32 v11, 1, v0
	v_mov_b32_e32 v13, s85
	v_add_co_u32_e32 v12, vcc, s84, v11
	v_addc_co_u32_e32 v13, vcc, 0, v13, vcc
	s_waitcnt lgkmcnt(0)
	; wave barrier
	s_waitcnt lgkmcnt(0)
	flat_load_ushort v14, v[12:13]
	flat_load_ushort v15, v[12:13] offset:128
	flat_load_ushort v16, v[12:13] offset:256
	;; [unrolled: 1-line block ×23, first 2 shown]
	s_waitcnt vmcnt(0)
	v_cmp_ne_u32_e32 vcc, v10, v2
	v_cmp_ne_u32_e64 s[4:5], v4, v5
	v_cndmask_b32_e64 v5, 0, 1, vcc
	v_cmp_ne_u32_e32 vcc, v3, v6
	v_cndmask_b32_e64 v13, 0, 1, vcc
	v_cmp_ne_u32_e32 vcc, v2, v3
	;; [unrolled: 2-line block ×4, first 2 shown]
	v_sub_u32_e32 v1, v1, v11
	v_cndmask_b32_e64 v54, 0, 1, vcc
	v_cmp_ne_u32_e32 vcc, v8, v9
	v_mad_u32_u24 v57, v0, 46, v1
	v_cndmask_b32_e64 v55, 0, 1, vcc
	v_cmp_ne_u32_e32 vcc, v6, v7
	v_cndmask_b32_e64 v56, 0, 1, vcc
	v_cmp_ne_u32_e32 vcc, v37, v4
	s_mov_b64 s[6:7], -1
                                        ; implicit-def: $sgpr8
	s_waitcnt lgkmcnt(0)
	ds_write_b16 v1, v14
	ds_write_b16 v1, v15 offset:128
	ds_write_b16 v1, v16 offset:256
	;; [unrolled: 1-line block ×23, first 2 shown]
	s_waitcnt lgkmcnt(0)
	; wave barrier
	s_waitcnt lgkmcnt(0)
	ds_read_u16 v1, v57
	ds_read_b96 v[10:12], v57 offset:2
	ds_read_b128 v[38:41], v57 offset:14
	ds_read_b128 v[6:9], v57 offset:30
	ds_read_u16 v52, v57 offset:46
	s_waitcnt lgkmcnt(4)
	v_lshl_or_b32 v1, v5, 16, v1
	s_waitcnt lgkmcnt(3)
	v_alignbit_b32 v21, v3, v12, 16
	v_cndmask_b32_e64 v3, 0, 1, vcc
	v_cmp_ne_u32_e32 vcc, v35, v36
	s_waitcnt lgkmcnt(1)
	v_alignbit_b32 v17, v3, v9, 16
	v_cndmask_b32_e64 v3, 0, 1, vcc
	v_cmp_ne_u32_e32 vcc, v33, v34
	v_alignbit_b32 v51, v13, v10, 16
	v_and_b32_e32 v13, 0xffff, v12
	v_alignbit_b32 v15, v3, v8, 16
	v_cndmask_b32_e64 v3, 0, 1, vcc
	v_cmp_ne_u32_e32 vcc, v31, v32
	v_lshl_or_b32 v20, v55, 16, v13
	v_alignbit_b32 v13, v3, v7, 16
	v_cndmask_b32_e64 v3, 0, 1, vcc
	v_cmp_ne_u32_e32 vcc, v29, v30
	v_and_b32_e32 v5, 0xffff, v10
	v_and_b32_e32 v10, 0xffff, v11
	v_alignbit_b32 v19, v54, v11, 16
	v_alignbit_b32 v11, v3, v6, 16
	v_cndmask_b32_e64 v3, 0, 1, vcc
	v_cmp_ne_u32_e32 vcc, v27, v28
	v_and_b32_e32 v16, 0xffff, v9
	v_alignbit_b32 v9, v3, v41, 16
	v_cndmask_b32_e64 v3, 0, 1, vcc
	v_cmp_ne_u32_e32 vcc, v25, v26
	v_and_b32_e32 v12, 0xffff, v7
	v_alignbit_b32 v7, v3, v40, 16
	v_cndmask_b32_e64 v3, 0, 1, vcc
	v_cmp_ne_u32_e32 vcc, v23, v24
	v_lshl_or_b32 v50, v2, 16, v5
	v_alignbit_b32 v5, v3, v39, 16
	v_cndmask_b32_e64 v3, 0, 1, vcc
	v_cmp_ne_u32_e32 vcc, v36, v37
	v_cndmask_b32_e64 v4, 0, 1, vcc
	v_cmp_ne_u32_e32 vcc, v34, v35
	v_and_b32_e32 v14, 0xffff, v8
	v_lshl_or_b32 v16, v4, 16, v16
	v_cndmask_b32_e64 v4, 0, 1, vcc
	v_cmp_ne_u32_e32 vcc, v32, v33
	v_lshl_or_b32 v14, v4, 16, v14
	v_cndmask_b32_e64 v4, 0, 1, vcc
	v_cmp_ne_u32_e32 vcc, v30, v31
	v_lshl_or_b32 v18, v56, 16, v10
	v_and_b32_e32 v10, 0xffff, v6
	v_lshl_or_b32 v12, v4, 16, v12
	v_cndmask_b32_e64 v4, 0, 1, vcc
	v_cmp_ne_u32_e32 vcc, v28, v29
	v_and_b32_e32 v44, 0xffff, v41
	v_lshl_or_b32 v10, v4, 16, v10
	v_cndmask_b32_e64 v4, 0, 1, vcc
	v_cmp_ne_u32_e32 vcc, v26, v27
	;; [unrolled: 4-line block ×3, first 2 shown]
	v_lshl_or_b32 v6, v4, 16, v43
	v_cndmask_b32_e64 v4, 0, 1, vcc
	v_cmp_ne_u32_e32 vcc, v22, v23
	v_and_b32_e32 v2, 0xffff, v38
	v_and_b32_e32 v42, 0xffff, v39
	v_cndmask_b32_e64 v22, 0, 1, vcc
	v_alignbit_b32 v3, v3, v38, 16
	v_lshl_or_b32 v4, v4, 16, v42
	v_lshl_or_b32 v2, v22, 16, v2
.LBB1385_140:
	v_mov_b32_e32 v32, s8
	s_and_saveexec_b64 s[8:9], s[6:7]
	s_cbranch_execz .LBB1385_142
; %bb.141:
	v_mov_b32_e32 v22, 0x10000
	v_cndmask_b32_e64 v22, 0, v22, s[4:5]
	s_waitcnt lgkmcnt(0)
	v_or_b32_sdwa v32, v22, v52 dst_sel:DWORD dst_unused:UNUSED_PAD src0_sel:DWORD src1_sel:WORD_0
.LBB1385_142:
	s_or_b64 exec, exec, s[8:9]
	s_cmp_lg_u32 s79, 0
	v_mbcnt_lo_u32_b32 v33, -1, 0
	s_waitcnt lgkmcnt(0)
	; wave barrier
	s_waitcnt lgkmcnt(0)
	s_cbranch_scc0 .LBB1385_201
; %bb.143:
	s_mov_b32 s4, 0x10000
	v_cmp_gt_u32_e64 s[6:7], s4, v50
	v_cndmask_b32_e64 v22, 0, v1, s[6:7]
	v_add_u16_e32 v22, v22, v50
	v_cmp_gt_u32_e64 s[8:9], s4, v51
	v_cndmask_b32_e64 v22, 0, v22, s[8:9]
	v_add_u16_e32 v22, v22, v51
	;; [unrolled: 3-line block ×16, first 2 shown]
	v_cmp_gt_u32_e64 s[40:41], s4, v12
	v_cndmask_b32_e64 v22, 0, v22, s[40:41]
	v_or3_b32 v23, v32, v17, v16
	v_add_u16_e32 v22, v22, v12
	v_cmp_gt_u32_e64 s[42:43], s4, v13
	v_or3_b32 v23, v23, v15, v14
	v_cndmask_b32_e64 v22, 0, v22, s[42:43]
	v_or3_b32 v23, v23, v13, v12
	v_add_u16_e32 v22, v22, v13
	v_cmp_gt_u32_e64 s[44:45], s4, v14
	v_or3_b32 v23, v23, v11, v10
	;; [unrolled: 5-line block ×5, first 2 shown]
	v_cndmask_b32_e64 v22, 0, v22, s[50:51]
	v_or3_b32 v23, v23, v51, v50
	v_add_u16_e32 v22, v22, v17
	v_cmp_gt_u32_e64 s[52:53], s4, v32
	v_and_b32_e32 v23, 0x10000, v23
	v_lshrrev_b32_e32 v34, 16, v1
	v_cndmask_b32_e64 v24, 0, v22, s[52:53]
	v_cmp_eq_u32_e32 vcc, 0, v23
	v_add_u16_e32 v22, v24, v32
	v_cndmask_b32_e32 v23, 1, v34, vcc
	v_mbcnt_hi_u32_b32 v25, -1, v33
	v_add_u16_e32 v24, v24, v32
	v_and_b32_e32 v27, 15, v25
	v_lshl_or_b32 v26, v23, 16, v24
	v_cmp_ne_u32_e32 vcc, 0, v27
	s_nop 0
	v_mov_b32_dpp v24, v26 row_shr:1 row_mask:0xf bank_mask:0xf
	s_and_saveexec_b64 s[4:5], vcc
	s_cbranch_execz .LBB1385_145
; %bb.144:
	v_cmp_eq_u32_e32 vcc, 0, v23
	v_and_b32_e32 v23, 1, v23
	v_mov_b32_e32 v29, 1
	v_cndmask_b32_e32 v26, 0, v24, vcc
	v_and_b32_sdwa v24, v24, v29 dst_sel:DWORD dst_unused:UNUSED_PAD src0_sel:WORD_1 src1_sel:DWORD
	v_cmp_eq_u32_e32 vcc, 1, v23
	v_cndmask_b32_e64 v23, v24, 1, vcc
	v_add_u16_e32 v28, v26, v22
	v_lshlrev_b32_e32 v24, 16, v23
	v_add_u16_e32 v22, v26, v22
	v_or_b32_e32 v26, v24, v22
	v_mov_b32_e32 v22, v28
.LBB1385_145:
	s_or_b64 exec, exec, s[4:5]
	v_lshrrev_b32_e32 v24, 16, v26
	v_mov_b32_dpp v28, v26 row_shr:2 row_mask:0xf bank_mask:0xf
	v_cmp_lt_u32_e32 vcc, 1, v27
	s_and_saveexec_b64 s[4:5], vcc
	s_cbranch_execz .LBB1385_147
; %bb.146:
	s_mov_b32 s54, 0x10000
	v_cmp_gt_u32_e32 vcc, s54, v26
	v_and_b32_e32 v23, 0x10000, v26
	v_mov_b32_e32 v26, 1
	v_cndmask_b32_e32 v24, 0, v28, vcc
	v_and_b32_sdwa v26, v28, v26 dst_sel:DWORD dst_unused:UNUSED_PAD src0_sel:WORD_1 src1_sel:DWORD
	v_cmp_ne_u32_e32 vcc, 0, v23
	v_cndmask_b32_e64 v23, v26, 1, vcc
	v_add_u16_e32 v29, v24, v22
	v_lshlrev_b32_e32 v26, 16, v23
	v_add_u16_e32 v22, v24, v22
	v_or_b32_e32 v26, v26, v22
	v_mov_b32_e32 v22, v29
	v_mov_b32_e32 v24, v23
.LBB1385_147:
	s_or_b64 exec, exec, s[4:5]
	v_mov_b32_dpp v28, v26 row_shr:4 row_mask:0xf bank_mask:0xf
	v_cmp_lt_u32_e32 vcc, 3, v27
	s_and_saveexec_b64 s[4:5], vcc
	s_cbranch_execz .LBB1385_149
; %bb.148:
	v_mov_b32_e32 v23, 0
	v_cmp_eq_u16_sdwa vcc, v24, v23 src0_sel:BYTE_0 src1_sel:DWORD
	v_and_b32_e32 v23, 1, v24
	v_mov_b32_e32 v24, 1
	v_cndmask_b32_e32 v26, 0, v28, vcc
	v_and_b32_sdwa v24, v28, v24 dst_sel:DWORD dst_unused:UNUSED_PAD src0_sel:WORD_1 src1_sel:DWORD
	v_cmp_eq_u32_e32 vcc, 1, v23
	v_cndmask_b32_e64 v23, v24, 1, vcc
	v_add_u16_e32 v29, v26, v22
	v_lshlrev_b32_e32 v24, 16, v23
	v_add_u16_e32 v22, v26, v22
	v_or_b32_e32 v26, v24, v22
	v_mov_b32_e32 v22, v29
	v_mov_b32_e32 v24, v23
.LBB1385_149:
	s_or_b64 exec, exec, s[4:5]
	v_mov_b32_dpp v28, v26 row_shr:8 row_mask:0xf bank_mask:0xf
	v_cmp_lt_u32_e32 vcc, 7, v27
	s_and_saveexec_b64 s[4:5], vcc
	s_cbranch_execz .LBB1385_151
; %bb.150:
	v_mov_b32_e32 v23, 0
	v_cmp_eq_u16_sdwa vcc, v24, v23 src0_sel:BYTE_0 src1_sel:DWORD
	v_and_b32_e32 v23, 1, v24
	v_mov_b32_e32 v24, 1
	v_cndmask_b32_e32 v26, 0, v28, vcc
	v_and_b32_sdwa v24, v28, v24 dst_sel:DWORD dst_unused:UNUSED_PAD src0_sel:WORD_1 src1_sel:DWORD
	v_cmp_eq_u32_e32 vcc, 1, v23
	v_cndmask_b32_e64 v23, v24, 1, vcc
	v_add_u16_e32 v27, v26, v22
	v_lshlrev_b32_e32 v24, 16, v23
	v_add_u16_e32 v22, v26, v22
	v_or_b32_e32 v26, v24, v22
	v_mov_b32_e32 v22, v27
	v_mov_b32_e32 v24, v23
.LBB1385_151:
	s_or_b64 exec, exec, s[4:5]
	v_and_b32_e32 v28, 16, v25
	v_mov_b32_dpp v27, v26 row_bcast:15 row_mask:0xf bank_mask:0xf
	v_cmp_ne_u32_e32 vcc, 0, v28
	s_and_saveexec_b64 s[4:5], vcc
	s_cbranch_execz .LBB1385_153
; %bb.152:
	v_mov_b32_e32 v23, 0
	v_cmp_eq_u16_sdwa vcc, v24, v23 src0_sel:BYTE_0 src1_sel:DWORD
	v_and_b32_e32 v23, 1, v24
	v_mov_b32_e32 v24, 1
	v_cndmask_b32_e32 v26, 0, v27, vcc
	v_and_b32_sdwa v24, v27, v24 dst_sel:DWORD dst_unused:UNUSED_PAD src0_sel:WORD_1 src1_sel:DWORD
	v_cmp_eq_u32_e32 vcc, 1, v23
	v_cndmask_b32_e64 v23, v24, 1, vcc
	v_add_u16_e32 v28, v26, v22
	v_lshlrev_b32_e32 v24, 16, v23
	v_add_u16_e32 v22, v26, v22
	v_or_b32_e32 v26, v24, v22
	v_mov_b32_e32 v22, v28
	v_mov_b32_e32 v24, v23
.LBB1385_153:
	s_or_b64 exec, exec, s[4:5]
	v_mov_b32_dpp v26, v26 row_bcast:31 row_mask:0xf bank_mask:0xf
	v_cmp_lt_u32_e32 vcc, 31, v25
	s_and_saveexec_b64 s[4:5], vcc
; %bb.154:
	v_mov_b32_e32 v23, 0
	v_cmp_eq_u16_sdwa vcc, v24, v23 src0_sel:BYTE_0 src1_sel:DWORD
	v_cndmask_b32_e32 v23, 0, v26, vcc
	v_add_u16_e32 v22, v23, v22
	v_and_b32_e32 v23, 1, v24
	v_mov_b32_e32 v24, 1
	v_and_b32_sdwa v24, v26, v24 dst_sel:DWORD dst_unused:UNUSED_PAD src0_sel:WORD_1 src1_sel:DWORD
	v_cmp_eq_u32_e32 vcc, 1, v23
	v_cndmask_b32_e64 v23, v24, 1, vcc
	v_mov_b32_e32 v24, v23
; %bb.155:
	s_or_b64 exec, exec, s[4:5]
	v_cmp_eq_u32_e32 vcc, 63, v0
	s_and_saveexec_b64 s[4:5], vcc
	s_cbranch_execz .LBB1385_157
; %bb.156:
	v_mov_b32_e32 v26, 0
	ds_write_b16 v26, v22
	ds_write_b8 v26, v24 offset:2
.LBB1385_157:
	s_or_b64 exec, exec, s[4:5]
	v_and_b32_e32 v23, 0xff, v23
	v_and_b32_e32 v22, 0xffff, v22
	v_lshl_or_b32 v22, v23, 16, v22
	v_add_u32_e32 v23, -1, v25
	v_and_b32_e32 v24, 64, v25
	v_cmp_lt_i32_e32 vcc, v23, v24
	v_cndmask_b32_e32 v23, v23, v25, vcc
	v_lshlrev_b32_e32 v23, 2, v23
	ds_bpermute_b32 v35, v23, v22
	v_cmp_gt_u32_e32 vcc, 64, v0
	s_waitcnt lgkmcnt(0)
	; wave barrier
	s_waitcnt lgkmcnt(0)
	s_and_saveexec_b64 s[4:5], vcc
	s_cbranch_execz .LBB1385_200
; %bb.158:
	v_mov_b32_e32 v29, 0
	ds_read_b32 v22, v29
	s_mov_b32 s65, 0
	v_cmp_eq_u32_e64 s[54:55], 0, v25
	s_and_saveexec_b64 s[62:63], s[54:55]
	s_cbranch_execz .LBB1385_160
; %bb.159:
	s_add_i32 s64, s79, 64
	s_lshl_b64 s[64:65], s[64:65], 3
	s_add_u32 s64, s76, s64
	v_mov_b32_e32 v23, 1
	s_addc_u32 s65, s77, s65
	s_waitcnt lgkmcnt(0)
	global_store_dwordx2 v29, v[22:23], s[64:65]
.LBB1385_160:
	s_or_b64 exec, exec, s[62:63]
	v_xad_u32 v24, v25, -1, s79
	v_add_u32_e32 v28, 64, v24
	v_lshlrev_b64 v[26:27], 3, v[28:29]
	v_mov_b32_e32 v23, s77
	v_add_co_u32_e32 v30, vcc, s76, v26
	v_addc_co_u32_e32 v31, vcc, v23, v27, vcc
	global_load_dwordx2 v[26:27], v[30:31], off glc
	s_waitcnt vmcnt(0)
	v_cmp_eq_u16_sdwa s[64:65], v27, v29 src0_sel:BYTE_0 src1_sel:DWORD
	s_and_saveexec_b64 s[62:63], s[64:65]
	s_cbranch_execz .LBB1385_164
; %bb.161:
	s_mov_b64 s[64:65], 0
	v_mov_b32_e32 v23, 0
.LBB1385_162:                           ; =>This Inner Loop Header: Depth=1
	global_load_dwordx2 v[26:27], v[30:31], off glc
	s_waitcnt vmcnt(0)
	v_cmp_ne_u16_sdwa s[68:69], v27, v23 src0_sel:BYTE_0 src1_sel:DWORD
	s_or_b64 s[64:65], s[68:69], s[64:65]
	s_andn2_b64 exec, exec, s[64:65]
	s_cbranch_execnz .LBB1385_162
; %bb.163:
	s_or_b64 exec, exec, s[64:65]
.LBB1385_164:
	s_or_b64 exec, exec, s[62:63]
	v_mov_b32_e32 v23, 2
	v_cmp_eq_u16_sdwa s[62:63], v27, v23 src0_sel:BYTE_0 src1_sel:DWORD
	v_lshlrev_b64 v[28:29], v25, -1
	v_and_b32_e32 v23, s63, v29
	v_or_b32_e32 v23, 0x80000000, v23
	v_ffbl_b32_e32 v23, v23
	v_add_u32_e32 v31, 32, v23
	v_and_b32_e32 v23, 63, v25
	v_cmp_ne_u32_e32 vcc, 63, v23
	v_addc_co_u32_e32 v36, vcc, 0, v25, vcc
	v_and_b32_e32 v47, 0xffffff, v26
	v_lshlrev_b32_e32 v36, 2, v36
	ds_bpermute_b32 v37, v36, v47
	v_and_b32_e32 v30, s62, v28
	v_ffbl_b32_e32 v30, v30
	v_min_u32_e32 v31, v30, v31
	v_lshrrev_b32_e32 v30, 16, v26
	v_cmp_lt_u32_e32 vcc, v23, v31
	v_bfe_u32 v45, v26, 16, 8
	s_and_saveexec_b64 s[62:63], vcc
	s_cbranch_execz .LBB1385_166
; %bb.165:
	v_and_b32_e32 v30, 0xff0000, v26
	v_cmp_eq_u32_e32 vcc, 0, v30
	v_and_b32_e32 v30, 0x10000, v30
	v_mov_b32_e32 v40, 1
	s_waitcnt lgkmcnt(0)
	v_cndmask_b32_e32 v38, 0, v37, vcc
	v_and_b32_sdwa v37, v37, v40 dst_sel:DWORD dst_unused:UNUSED_PAD src0_sel:WORD_1 src1_sel:DWORD
	v_cmp_ne_u32_e32 vcc, 0, v30
	v_cndmask_b32_e64 v30, v37, 1, vcc
	v_add_u16_e32 v39, v38, v26
	v_lshlrev_b32_e32 v37, 16, v30
	v_add_u16_e32 v26, v38, v26
	v_or_b32_e32 v47, v37, v26
	v_mov_b32_e32 v26, v39
	v_mov_b32_e32 v45, v30
.LBB1385_166:
	s_or_b64 exec, exec, s[62:63]
	v_cmp_gt_u32_e32 vcc, 62, v23
	s_waitcnt lgkmcnt(0)
	v_cndmask_b32_e64 v37, 0, 1, vcc
	v_lshlrev_b32_e32 v37, 1, v37
	v_add_lshl_u32 v37, v37, v25, 2
	ds_bpermute_b32 v39, v37, v47
	v_add_u32_e32 v38, 2, v23
	v_cmp_le_u32_e32 vcc, v38, v31
	s_and_saveexec_b64 s[62:63], vcc
	s_cbranch_execz .LBB1385_168
; %bb.167:
	v_cmp_eq_u16_e32 vcc, 0, v45
	v_and_b32_e32 v30, 1, v45
	v_mov_b32_e32 v42, 1
	s_waitcnt lgkmcnt(0)
	v_cndmask_b32_e32 v40, 0, v39, vcc
	v_and_b32_sdwa v39, v39, v42 dst_sel:DWORD dst_unused:UNUSED_PAD src0_sel:WORD_1 src1_sel:DWORD
	v_cmp_eq_u32_e32 vcc, 1, v30
	v_cndmask_b32_e64 v30, v39, 1, vcc
	v_add_u16_e32 v41, v40, v26
	v_lshlrev_b32_e32 v39, 16, v30
	v_add_u16_e32 v26, v40, v26
	v_or_b32_e32 v47, v39, v26
	v_mov_b32_e32 v26, v41
	v_mov_b32_e32 v45, v30
.LBB1385_168:
	s_or_b64 exec, exec, s[62:63]
	v_cmp_gt_u32_e32 vcc, 60, v23
	s_waitcnt lgkmcnt(0)
	v_cndmask_b32_e64 v39, 0, 1, vcc
	v_lshlrev_b32_e32 v39, 2, v39
	v_add_lshl_u32 v39, v39, v25, 2
	ds_bpermute_b32 v41, v39, v47
	v_add_u32_e32 v40, 4, v23
	v_cmp_le_u32_e32 vcc, v40, v31
	s_and_saveexec_b64 s[62:63], vcc
	s_cbranch_execz .LBB1385_170
; %bb.169:
	v_cmp_eq_u16_e32 vcc, 0, v45
	v_and_b32_e32 v30, 1, v45
	v_mov_b32_e32 v44, 1
	s_waitcnt lgkmcnt(0)
	v_cndmask_b32_e32 v42, 0, v41, vcc
	v_and_b32_sdwa v41, v41, v44 dst_sel:DWORD dst_unused:UNUSED_PAD src0_sel:WORD_1 src1_sel:DWORD
	v_cmp_eq_u32_e32 vcc, 1, v30
	v_cndmask_b32_e64 v30, v41, 1, vcc
	v_add_u16_e32 v43, v42, v26
	v_lshlrev_b32_e32 v41, 16, v30
	v_add_u16_e32 v26, v42, v26
	v_or_b32_e32 v47, v41, v26
	v_mov_b32_e32 v26, v43
	v_mov_b32_e32 v45, v30
.LBB1385_170:
	;; [unrolled: 27-line block ×4, first 2 shown]
	s_or_b64 exec, exec, s[62:63]
	v_cmp_gt_u32_e32 vcc, 32, v23
	s_waitcnt lgkmcnt(0)
	v_cndmask_b32_e64 v46, 0, 1, vcc
	v_lshlrev_b32_e32 v46, 5, v46
	v_add_lshl_u32 v46, v46, v25, 2
	ds_bpermute_b32 v25, v46, v47
	v_add_u32_e32 v47, 32, v23
	v_cmp_le_u32_e32 vcc, v47, v31
	s_and_saveexec_b64 s[62:63], vcc
	s_cbranch_execz .LBB1385_176
; %bb.175:
	v_cmp_eq_u16_e32 vcc, 0, v45
	s_waitcnt lgkmcnt(0)
	v_cndmask_b32_e32 v30, 0, v25, vcc
	v_add_u16_e32 v26, v30, v26
	v_and_b32_e32 v30, 1, v45
	v_mov_b32_e32 v31, 1
	v_and_b32_sdwa v25, v25, v31 dst_sel:DWORD dst_unused:UNUSED_PAD src0_sel:WORD_1 src1_sel:DWORD
	v_cmp_eq_u32_e32 vcc, 1, v30
	v_cndmask_b32_e64 v30, v25, 1, vcc
.LBB1385_176:
	s_or_b64 exec, exec, s[62:63]
	s_waitcnt lgkmcnt(0)
	v_mov_b32_e32 v25, 0
	v_mov_b32_e32 v49, 2
	;; [unrolled: 1-line block ×3, first 2 shown]
	s_branch .LBB1385_178
.LBB1385_177:                           ;   in Loop: Header=BB1385_178 Depth=1
	s_or_b64 exec, exec, s[62:63]
	v_cmp_eq_u16_sdwa vcc, v45, v25 src0_sel:BYTE_0 src1_sel:DWORD
	v_and_b32_e32 v30, 1, v45
	v_cndmask_b32_e32 v26, 0, v26, vcc
	v_and_b32_e32 v31, 1, v31
	v_cmp_eq_u32_e32 vcc, 1, v30
	v_subrev_u32_e32 v24, 64, v24
	v_add_u16_e32 v26, v26, v48
	v_cndmask_b32_e64 v30, v31, 1, vcc
.LBB1385_178:                           ; =>This Loop Header: Depth=1
                                        ;     Child Loop BB1385_181 Depth 2
	v_cmp_ne_u16_sdwa s[62:63], v27, v49 src0_sel:BYTE_0 src1_sel:DWORD
	v_cndmask_b32_e64 v27, 0, 1, s[62:63]
	;;#ASMSTART
	;;#ASMEND
	v_cmp_ne_u32_e32 vcc, 0, v27
	v_mov_b32_e32 v45, v30
	s_cmp_lg_u64 vcc, exec
	v_mov_b32_e32 v48, v26
	s_cbranch_scc1 .LBB1385_195
; %bb.179:                              ;   in Loop: Header=BB1385_178 Depth=1
	v_lshlrev_b64 v[26:27], 3, v[24:25]
	v_mov_b32_e32 v31, s77
	v_add_co_u32_e32 v30, vcc, s76, v26
	v_addc_co_u32_e32 v31, vcc, v31, v27, vcc
	global_load_dwordx2 v[26:27], v[30:31], off glc
	s_waitcnt vmcnt(0)
	v_cmp_eq_u16_sdwa s[64:65], v27, v25 src0_sel:BYTE_0 src1_sel:DWORD
	s_and_saveexec_b64 s[62:63], s[64:65]
	s_cbranch_execz .LBB1385_183
; %bb.180:                              ;   in Loop: Header=BB1385_178 Depth=1
	s_mov_b64 s[64:65], 0
.LBB1385_181:                           ;   Parent Loop BB1385_178 Depth=1
                                        ; =>  This Inner Loop Header: Depth=2
	global_load_dwordx2 v[26:27], v[30:31], off glc
	s_waitcnt vmcnt(0)
	v_cmp_ne_u16_sdwa s[68:69], v27, v25 src0_sel:BYTE_0 src1_sel:DWORD
	s_or_b64 s[64:65], s[68:69], s[64:65]
	s_andn2_b64 exec, exec, s[64:65]
	s_cbranch_execnz .LBB1385_181
; %bb.182:                              ;   in Loop: Header=BB1385_178 Depth=1
	s_or_b64 exec, exec, s[64:65]
.LBB1385_183:                           ;   in Loop: Header=BB1385_178 Depth=1
	s_or_b64 exec, exec, s[62:63]
	v_cmp_eq_u16_sdwa s[62:63], v27, v49 src0_sel:BYTE_0 src1_sel:DWORD
	v_and_b32_e32 v30, s63, v29
	s_waitcnt lgkmcnt(0)
	v_and_b32_e32 v54, 0xffffff, v26
	v_or_b32_e32 v30, 0x80000000, v30
	ds_bpermute_b32 v55, v36, v54
	v_and_b32_e32 v31, s62, v28
	v_ffbl_b32_e32 v30, v30
	v_add_u32_e32 v30, 32, v30
	v_ffbl_b32_e32 v31, v31
	v_min_u32_e32 v30, v31, v30
	v_lshrrev_b32_e32 v31, 16, v26
	v_cmp_lt_u32_e32 vcc, v23, v30
	v_bfe_u32 v53, v26, 16, 8
	s_and_saveexec_b64 s[62:63], vcc
	s_cbranch_execz .LBB1385_185
; %bb.184:                              ;   in Loop: Header=BB1385_178 Depth=1
	v_and_b32_e32 v31, 0xff0000, v26
	v_cmp_eq_u32_e32 vcc, 0, v31
	v_and_b32_e32 v31, 0x10000, v31
	s_waitcnt lgkmcnt(0)
	v_cndmask_b32_e32 v53, 0, v55, vcc
	v_and_b32_sdwa v54, v55, v52 dst_sel:DWORD dst_unused:UNUSED_PAD src0_sel:WORD_1 src1_sel:DWORD
	v_cmp_ne_u32_e32 vcc, 0, v31
	v_cndmask_b32_e64 v31, v54, 1, vcc
	v_add_u16_e32 v56, v53, v26
	v_lshlrev_b32_e32 v54, 16, v31
	v_add_u16_e32 v26, v53, v26
	v_or_b32_e32 v54, v54, v26
	v_mov_b32_e32 v26, v56
	v_mov_b32_e32 v53, v31
.LBB1385_185:                           ;   in Loop: Header=BB1385_178 Depth=1
	s_or_b64 exec, exec, s[62:63]
	s_waitcnt lgkmcnt(0)
	ds_bpermute_b32 v55, v37, v54
	v_cmp_le_u32_e32 vcc, v38, v30
	s_and_saveexec_b64 s[62:63], vcc
	s_cbranch_execz .LBB1385_187
; %bb.186:                              ;   in Loop: Header=BB1385_178 Depth=1
	v_cmp_eq_u16_e32 vcc, 0, v53
	v_and_b32_e32 v31, 1, v53
	s_waitcnt lgkmcnt(0)
	v_cndmask_b32_e32 v54, 0, v55, vcc
	v_and_b32_sdwa v53, v55, v52 dst_sel:DWORD dst_unused:UNUSED_PAD src0_sel:WORD_1 src1_sel:DWORD
	v_cmp_eq_u32_e32 vcc, 1, v31
	v_cndmask_b32_e64 v31, v53, 1, vcc
	v_add_u16_e32 v56, v54, v26
	v_lshlrev_b32_e32 v53, 16, v31
	v_add_u16_e32 v26, v54, v26
	v_or_b32_e32 v54, v53, v26
	v_mov_b32_e32 v26, v56
	v_mov_b32_e32 v53, v31
.LBB1385_187:                           ;   in Loop: Header=BB1385_178 Depth=1
	s_or_b64 exec, exec, s[62:63]
	s_waitcnt lgkmcnt(0)
	ds_bpermute_b32 v55, v39, v54
	v_cmp_le_u32_e32 vcc, v40, v30
	s_and_saveexec_b64 s[62:63], vcc
	s_cbranch_execz .LBB1385_189
; %bb.188:                              ;   in Loop: Header=BB1385_178 Depth=1
	v_cmp_eq_u16_e32 vcc, 0, v53
	v_and_b32_e32 v31, 1, v53
	s_waitcnt lgkmcnt(0)
	v_cndmask_b32_e32 v54, 0, v55, vcc
	v_and_b32_sdwa v53, v55, v52 dst_sel:DWORD dst_unused:UNUSED_PAD src0_sel:WORD_1 src1_sel:DWORD
	v_cmp_eq_u32_e32 vcc, 1, v31
	v_cndmask_b32_e64 v31, v53, 1, vcc
	v_add_u16_e32 v56, v54, v26
	v_lshlrev_b32_e32 v53, 16, v31
	v_add_u16_e32 v26, v54, v26
	v_or_b32_e32 v54, v53, v26
	v_mov_b32_e32 v26, v56
	v_mov_b32_e32 v53, v31
.LBB1385_189:                           ;   in Loop: Header=BB1385_178 Depth=1
	;; [unrolled: 21-line block ×4, first 2 shown]
	s_or_b64 exec, exec, s[62:63]
	ds_bpermute_b32 v54, v46, v54
	v_cmp_le_u32_e32 vcc, v47, v30
	s_and_saveexec_b64 s[62:63], vcc
	s_cbranch_execz .LBB1385_177
; %bb.194:                              ;   in Loop: Header=BB1385_178 Depth=1
	v_cmp_eq_u16_e32 vcc, 0, v53
	s_waitcnt lgkmcnt(0)
	v_cndmask_b32_e32 v30, 0, v54, vcc
	v_add_u16_e32 v26, v30, v26
	v_and_b32_e32 v30, 1, v53
	v_lshrrev_b32_e32 v31, 16, v54
	v_cmp_eq_u32_e32 vcc, 1, v30
	v_cndmask_b32_e64 v31, v31, 1, vcc
	s_branch .LBB1385_177
.LBB1385_195:                           ;   in Loop: Header=BB1385_178 Depth=1
                                        ; implicit-def: $vgpr30
                                        ; implicit-def: $vgpr26
	s_cbranch_execz .LBB1385_178
; %bb.196:
	s_and_saveexec_b64 s[62:63], s[54:55]
	s_cbranch_execz .LBB1385_198
; %bb.197:
	v_and_b32_e32 v23, 0xff0000, v22
	s_mov_b32 s55, 0
	v_cmp_eq_u32_e32 vcc, 0, v23
	v_and_b32_e32 v24, 0x10000, v22
	v_mov_b32_e32 v25, 1
	s_add_i32 s54, s79, 64
	v_cndmask_b32_e32 v23, 0, v48, vcc
	v_and_b32_sdwa v25, v45, v25 dst_sel:WORD_1 dst_unused:UNUSED_PAD src0_sel:DWORD src1_sel:DWORD
	v_mov_b32_e32 v26, 0x10000
	v_cmp_eq_u32_e32 vcc, 0, v24
	s_lshl_b64 s[54:55], s[54:55], 3
	v_cndmask_b32_e32 v24, v26, v25, vcc
	s_add_u32 s54, s76, s54
	v_add_u16_e32 v22, v23, v22
	s_addc_u32 s55, s77, s55
	v_mov_b32_e32 v25, 0
	v_or_b32_e32 v22, v24, v22
	v_mov_b32_e32 v23, 2
	global_store_dwordx2 v25, v[22:23], s[54:55]
.LBB1385_198:
	s_or_b64 exec, exec, s[62:63]
	s_and_b64 exec, exec, s[0:1]
	s_cbranch_execz .LBB1385_200
; %bb.199:
	v_mov_b32_e32 v22, 0
	ds_write_b16 v22, v48
	ds_write_b8 v22, v45 offset:2
.LBB1385_200:
	s_or_b64 exec, exec, s[4:5]
	v_mov_b32_e32 v22, 0
	s_mov_b32 s4, 0x10000
	s_waitcnt lgkmcnt(0)
	; wave barrier
	s_waitcnt lgkmcnt(0)
	ds_read_b32 v23, v22
	v_cmp_gt_u32_e32 vcc, s4, v1
	v_and_b32_e32 v25, 0x10000, v1
	v_mov_b32_e32 v26, 1
	v_cndmask_b32_e32 v24, 0, v35, vcc
	v_and_b32_sdwa v26, v35, v26 dst_sel:DWORD dst_unused:UNUSED_PAD src0_sel:WORD_1 src1_sel:DWORD
	v_cmp_ne_u32_e32 vcc, 0, v25
	v_cndmask_b32_e64 v25, v26, 1, vcc
	v_cndmask_b32_e64 v25, v25, v34, s[0:1]
	v_cndmask_b32_e64 v24, v24, 0, s[0:1]
	v_cmp_eq_u16_sdwa vcc, v25, v22 src0_sel:BYTE_0 src1_sel:DWORD
	v_add_u16_e32 v24, v24, v1
	s_waitcnt lgkmcnt(0)
	v_cndmask_b32_e32 v22, 0, v23, vcc
	v_add_u16_e32 v47, v24, v22
	v_cndmask_b32_e64 v22, 0, v47, s[6:7]
	v_add_u16_e32 v22, v22, v50
	v_cndmask_b32_e64 v23, 0, v22, s[8:9]
	;; [unrolled: 2-line block ×23, first 2 shown]
	v_add_u16_e32 v46, v46, v32
	s_branch .LBB1385_223
.LBB1385_201:
                                        ; implicit-def: $vgpr47
                                        ; implicit-def: $vgpr22
                                        ; implicit-def: $vgpr23
                                        ; implicit-def: $vgpr24
                                        ; implicit-def: $vgpr25
                                        ; implicit-def: $vgpr26
                                        ; implicit-def: $vgpr27
                                        ; implicit-def: $vgpr29
                                        ; implicit-def: $vgpr28
                                        ; implicit-def: $vgpr30
                                        ; implicit-def: $vgpr31
                                        ; implicit-def: $vgpr34
                                        ; implicit-def: $vgpr35
                                        ; implicit-def: $vgpr36
                                        ; implicit-def: $vgpr37
                                        ; implicit-def: $vgpr39
                                        ; implicit-def: $vgpr38
                                        ; implicit-def: $vgpr40
                                        ; implicit-def: $vgpr41
                                        ; implicit-def: $vgpr42
                                        ; implicit-def: $vgpr43
                                        ; implicit-def: $vgpr44
                                        ; implicit-def: $vgpr45
                                        ; implicit-def: $vgpr46
	s_cbranch_execz .LBB1385_223
; %bb.202:
	s_cmp_lg_u64 s[80:81], 0
	s_cselect_b32 s7, s71, 0
	s_cselect_b32 s6, s70, 0
	s_cmp_lg_u64 s[6:7], 0
	s_cselect_b64 s[4:5], -1, 0
	s_and_b64 s[8:9], s[0:1], s[4:5]
	s_and_saveexec_b64 s[4:5], s[8:9]
	s_cbranch_execz .LBB1385_204
; %bb.203:
	v_mov_b32_e32 v22, 0
	global_load_ushort v23, v22, s[6:7]
	global_load_ubyte v24, v22, s[6:7] offset:2
	s_mov_b32 s6, 0x10000
	v_and_b32_e32 v22, 0x10000, v1
	v_mov_b32_e32 v25, 1
	v_cmp_gt_u32_e32 vcc, s6, v1
	v_mov_b32_e32 v26, 0x10000
	s_waitcnt vmcnt(1)
	v_cndmask_b32_e32 v23, 0, v23, vcc
	s_waitcnt vmcnt(0)
	v_and_b32_sdwa v24, v24, v25 dst_sel:WORD_1 dst_unused:UNUSED_PAD src0_sel:DWORD src1_sel:DWORD
	v_cmp_eq_u32_e32 vcc, 0, v22
	v_add_u16_e32 v1, v23, v1
	v_cndmask_b32_e32 v22, v26, v24, vcc
	v_or_b32_e32 v1, v22, v1
.LBB1385_204:
	s_or_b64 exec, exec, s[4:5]
	s_mov_b32 s4, 0x10000
	v_cmp_gt_u32_e32 vcc, s4, v50
	v_cndmask_b32_e32 v22, 0, v1, vcc
	v_add_u16_e32 v22, v22, v50
	v_cmp_gt_u32_e64 s[6:7], s4, v51
	v_cndmask_b32_e64 v23, 0, v22, s[6:7]
	v_add_u16_e32 v23, v23, v51
	v_cmp_gt_u32_e64 s[8:9], s4, v18
	v_cndmask_b32_e64 v24, 0, v23, s[8:9]
	v_add_u16_e32 v24, v24, v18
	v_cmp_gt_u32_e64 s[10:11], s4, v19
	v_cndmask_b32_e64 v25, 0, v24, s[10:11]
	v_add_u16_e32 v25, v25, v19
	v_cmp_gt_u32_e64 s[12:13], s4, v20
	v_bfe_u32 v28, v19, 16, 1
	v_mov_b32_e32 v52, 1
	v_cndmask_b32_e64 v26, 0, v25, s[12:13]
	v_lshlrev_b16_e32 v28, 1, v28
	v_and_b32_sdwa v29, v18, v52 dst_sel:DWORD dst_unused:UNUSED_PAD src0_sel:WORD_1 src1_sel:DWORD
	v_add_u16_e32 v26, v26, v20
	v_cmp_gt_u32_e64 s[14:15], s4, v21
	v_or_b32_e32 v28, v29, v28
	v_bfe_u32 v29, v21, 16, 1
	v_and_b32_sdwa v30, v20, v52 dst_sel:DWORD dst_unused:UNUSED_PAD src0_sel:WORD_1 src1_sel:DWORD
	v_cndmask_b32_e64 v27, 0, v26, s[14:15]
	v_lshlrev_b16_e32 v29, 3, v29
	v_lshlrev_b16_e32 v30, 2, v30
	v_add_u16_e32 v27, v27, v21
	v_or_b32_e32 v29, v29, v30
	v_cmp_gt_u32_e64 s[16:17], s4, v2
	v_or_b32_e32 v46, v28, v29
	v_cndmask_b32_e64 v28, 0, v27, s[16:17]
	v_add_u16_e32 v29, v28, v2
	v_cmp_gt_u32_e64 s[18:19], s4, v3
	v_cndmask_b32_e64 v28, 0, v29, s[18:19]
	v_bfe_u32 v48, v11, 16, 1
	v_add_u16_e32 v28, v28, v3
	v_cmp_gt_u32_e64 s[20:21], s4, v4
	v_lshlrev_b16_e32 v48, 1, v48
	v_and_b32_sdwa v49, v10, v52 dst_sel:DWORD dst_unused:UNUSED_PAD src0_sel:WORD_1 src1_sel:DWORD
	v_cndmask_b32_e64 v30, 0, v28, s[20:21]
	v_or_b32_e32 v48, v49, v48
	v_bfe_u32 v49, v13, 16, 1
	v_and_b32_sdwa v53, v12, v52 dst_sel:DWORD dst_unused:UNUSED_PAD src0_sel:WORD_1 src1_sel:DWORD
	v_add_u16_e32 v30, v30, v4
	v_cmp_gt_u32_e64 s[22:23], s4, v5
	v_lshlrev_b16_e32 v49, 3, v49
	v_lshlrev_b16_e32 v53, 2, v53
	v_cndmask_b32_e64 v31, 0, v30, s[22:23]
	v_or_b32_e32 v49, v49, v53
	v_add_u16_e32 v31, v31, v5
	v_cmp_gt_u32_e64 s[24:25], s4, v6
	v_or_b32_sdwa v48, v48, v49 dst_sel:BYTE_1 dst_unused:UNUSED_PAD src0_sel:DWORD src1_sel:DWORD
	v_bfe_u32 v49, v15, 16, 1
	v_cndmask_b32_e64 v34, 0, v31, s[24:25]
	v_lshlrev_b16_e32 v49, 1, v49
	v_and_b32_sdwa v53, v14, v52 dst_sel:DWORD dst_unused:UNUSED_PAD src0_sel:WORD_1 src1_sel:DWORD
	v_add_u16_e32 v34, v34, v6
	v_cmp_gt_u32_e64 s[26:27], s4, v7
	v_or_b32_e32 v49, v53, v49
	v_bfe_u32 v53, v17, 16, 1
	v_and_b32_sdwa v54, v16, v52 dst_sel:DWORD dst_unused:UNUSED_PAD src0_sel:WORD_1 src1_sel:DWORD
	v_cndmask_b32_e64 v35, 0, v34, s[26:27]
	v_lshlrev_b16_e32 v53, 3, v53
	v_lshlrev_b16_e32 v54, 2, v54
	v_add_u16_e32 v35, v35, v7
	v_cmp_gt_u32_e64 s[28:29], s4, v8
	v_or_b32_e32 v53, v53, v54
	v_cndmask_b32_e64 v36, 0, v35, s[28:29]
	v_or_b32_e32 v49, v49, v53
	v_add_u16_e32 v36, v36, v8
	v_cmp_gt_u32_e64 s[30:31], s4, v9
	v_lshlrev_b16_e32 v49, 12, v49
	v_cndmask_b32_e64 v37, 0, v36, s[30:31]
	v_or_b32_e32 v48, v49, v48
	v_bfe_u32 v49, v3, 16, 1
	v_add_u16_e32 v37, v37, v9
	v_cmp_gt_u32_e64 s[34:35], s4, v10
	v_lshlrev_b16_e32 v49, 1, v49
	v_and_b32_sdwa v53, v2, v52 dst_sel:DWORD dst_unused:UNUSED_PAD src0_sel:WORD_1 src1_sel:DWORD
	v_cndmask_b32_e64 v38, 0, v37, s[34:35]
	v_or_b32_e32 v49, v53, v49
	v_bfe_u32 v53, v5, 16, 1
	v_and_b32_sdwa v54, v4, v52 dst_sel:DWORD dst_unused:UNUSED_PAD src0_sel:WORD_1 src1_sel:DWORD
	v_add_u16_e32 v39, v38, v10
	v_cmp_gt_u32_e64 s[36:37], s4, v11
	v_lshlrev_b16_e32 v53, 3, v53
	v_lshlrev_b16_e32 v54, 2, v54
	v_cndmask_b32_e64 v38, 0, v39, s[36:37]
	v_or_b32_e32 v53, v53, v54
	v_add_u16_e32 v38, v38, v11
	v_cmp_gt_u32_e64 s[38:39], s4, v12
	v_or_b32_e32 v49, v49, v53
	v_bfe_u32 v53, v7, 16, 1
	v_cndmask_b32_e64 v40, 0, v38, s[38:39]
	v_lshlrev_b16_e32 v53, 1, v53
	v_and_b32_sdwa v54, v6, v52 dst_sel:DWORD dst_unused:UNUSED_PAD src0_sel:WORD_1 src1_sel:DWORD
	v_add_u16_e32 v40, v40, v12
	v_cmp_gt_u32_e64 s[40:41], s4, v13
	v_or_b32_e32 v53, v54, v53
	v_bfe_u32 v54, v9, 16, 1
	v_and_b32_sdwa v55, v8, v52 dst_sel:DWORD dst_unused:UNUSED_PAD src0_sel:WORD_1 src1_sel:DWORD
	v_cndmask_b32_e64 v41, 0, v40, s[40:41]
	v_lshlrev_b16_e32 v54, 3, v54
	v_lshlrev_b16_e32 v55, 2, v55
	v_add_u16_e32 v41, v41, v13
	v_cmp_gt_u32_e64 s[42:43], s4, v14
	v_or_b32_e32 v54, v54, v55
	v_cndmask_b32_e64 v42, 0, v41, s[42:43]
	v_or_b32_e32 v53, v53, v54
	v_add_u16_e32 v42, v42, v14
	v_cmp_gt_u32_e64 s[44:45], s4, v15
	v_lshlrev_b16_e32 v53, 4, v53
	v_cndmask_b32_e64 v43, 0, v42, s[44:45]
	v_or_b32_e32 v49, v49, v53
	v_add_u16_e32 v43, v43, v15
	v_cmp_gt_u32_e64 s[46:47], s4, v16
	v_or_b32_sdwa v49, v49, v48 dst_sel:DWORD dst_unused:UNUSED_PAD src0_sel:BYTE_0 src1_sel:DWORD
	v_cndmask_b32_e64 v44, 0, v43, s[46:47]
	v_or_b32_e32 v46, v49, v46
	v_add_u16_e32 v44, v44, v16
	v_cmp_gt_u32_e64 s[48:49], s4, v17
	v_cmp_gt_u32_e64 s[50:51], s4, v32
	v_cmp_ne_u16_e64 s[4:5], 0, v46
	v_or3_b32 v46, v51, v50, v32
	v_cndmask_b32_e64 v45, 0, v44, s[48:49]
	v_and_b32_e32 v46, 0x10000, v46
	v_add_u16_e32 v45, v45, v17
	v_cmp_ne_u32_e64 s[52:53], 0, v46
	v_lshrrev_b32_e32 v47, 16, v1
	v_cndmask_b32_e64 v53, 0, v45, s[50:51]
	s_or_b64 s[4:5], s[52:53], s[4:5]
	v_cndmask_b32_e64 v49, v47, 1, s[4:5]
	v_mbcnt_hi_u32_b32 v33, -1, v33
	v_add_u16_e32 v46, v53, v32
	v_add_u16_e32 v48, v53, v32
	v_and_b32_e32 v54, 15, v33
	v_lshl_or_b32 v53, v49, 16, v46
	v_cmp_ne_u32_e64 s[4:5], 0, v54
	s_nop 0
	v_mov_b32_dpp v55, v53 row_shr:1 row_mask:0xf bank_mask:0xf
	s_and_saveexec_b64 s[52:53], s[4:5]
; %bb.205:
	v_cmp_eq_u32_e64 s[4:5], 0, v49
	v_and_b32_e32 v49, 1, v49
	v_cndmask_b32_e64 v53, 0, v55, s[4:5]
	v_and_b32_sdwa v52, v55, v52 dst_sel:DWORD dst_unused:UNUSED_PAD src0_sel:WORD_1 src1_sel:DWORD
	v_cmp_eq_u32_e64 s[4:5], 1, v49
	v_cndmask_b32_e64 v49, v52, 1, s[4:5]
	v_add_u16_e32 v56, v48, v53
	v_lshlrev_b32_e32 v52, 16, v49
	v_add_u16_e32 v48, v48, v53
	v_or_b32_e32 v53, v52, v48
	v_mov_b32_e32 v48, v56
; %bb.206:
	s_or_b64 exec, exec, s[52:53]
	v_lshrrev_b32_e32 v52, 16, v53
	v_mov_b32_dpp v55, v53 row_shr:2 row_mask:0xf bank_mask:0xf
	v_cmp_lt_u32_e64 s[4:5], 1, v54
	s_and_saveexec_b64 s[52:53], s[4:5]
	s_cbranch_execz .LBB1385_208
; %bb.207:
	s_mov_b32 s4, 0x10000
	v_cmp_gt_u32_e64 s[4:5], s4, v53
	v_and_b32_e32 v49, 0x10000, v53
	v_mov_b32_e32 v53, 1
	v_cndmask_b32_e64 v52, 0, v55, s[4:5]
	v_and_b32_sdwa v53, v55, v53 dst_sel:DWORD dst_unused:UNUSED_PAD src0_sel:WORD_1 src1_sel:DWORD
	v_cmp_ne_u32_e64 s[4:5], 0, v49
	v_cndmask_b32_e64 v49, v53, 1, s[4:5]
	v_add_u16_e32 v56, v52, v48
	v_lshlrev_b32_e32 v53, 16, v49
	v_add_u16_e32 v48, v52, v48
	v_or_b32_e32 v53, v53, v48
	v_mov_b32_e32 v48, v56
	v_mov_b32_e32 v52, v49
.LBB1385_208:
	s_or_b64 exec, exec, s[52:53]
	v_mov_b32_dpp v55, v53 row_shr:4 row_mask:0xf bank_mask:0xf
	v_cmp_lt_u32_e64 s[4:5], 3, v54
	s_and_saveexec_b64 s[52:53], s[4:5]
	s_cbranch_execz .LBB1385_210
; %bb.209:
	v_mov_b32_e32 v49, 0
	v_cmp_eq_u16_sdwa s[4:5], v52, v49 src0_sel:BYTE_0 src1_sel:DWORD
	v_and_b32_e32 v49, 1, v52
	v_mov_b32_e32 v52, 1
	v_cndmask_b32_e64 v53, 0, v55, s[4:5]
	v_and_b32_sdwa v52, v55, v52 dst_sel:DWORD dst_unused:UNUSED_PAD src0_sel:WORD_1 src1_sel:DWORD
	v_cmp_eq_u32_e64 s[4:5], 1, v49
	v_cndmask_b32_e64 v49, v52, 1, s[4:5]
	v_add_u16_e32 v56, v53, v48
	v_lshlrev_b32_e32 v52, 16, v49
	v_add_u16_e32 v48, v53, v48
	v_or_b32_e32 v53, v52, v48
	v_mov_b32_e32 v48, v56
	v_mov_b32_e32 v52, v49
.LBB1385_210:
	s_or_b64 exec, exec, s[52:53]
	v_mov_b32_dpp v55, v53 row_shr:8 row_mask:0xf bank_mask:0xf
	v_cmp_lt_u32_e64 s[4:5], 7, v54
	s_and_saveexec_b64 s[52:53], s[4:5]
	s_cbranch_execz .LBB1385_212
; %bb.211:
	v_mov_b32_e32 v49, 0
	v_cmp_eq_u16_sdwa s[4:5], v52, v49 src0_sel:BYTE_0 src1_sel:DWORD
	v_and_b32_e32 v49, 1, v52
	v_mov_b32_e32 v52, 1
	v_cndmask_b32_e64 v53, 0, v55, s[4:5]
	v_and_b32_sdwa v52, v55, v52 dst_sel:DWORD dst_unused:UNUSED_PAD src0_sel:WORD_1 src1_sel:DWORD
	v_cmp_eq_u32_e64 s[4:5], 1, v49
	v_cndmask_b32_e64 v49, v52, 1, s[4:5]
	v_add_u16_e32 v54, v53, v48
	v_lshlrev_b32_e32 v52, 16, v49
	v_add_u16_e32 v48, v53, v48
	v_or_b32_e32 v53, v52, v48
	v_mov_b32_e32 v48, v54
	v_mov_b32_e32 v52, v49
.LBB1385_212:
	s_or_b64 exec, exec, s[52:53]
	v_and_b32_e32 v55, 16, v33
	v_mov_b32_dpp v54, v53 row_bcast:15 row_mask:0xf bank_mask:0xf
	v_cmp_ne_u32_e64 s[4:5], 0, v55
	s_and_saveexec_b64 s[52:53], s[4:5]
	s_cbranch_execz .LBB1385_214
; %bb.213:
	v_mov_b32_e32 v49, 0
	v_cmp_eq_u16_sdwa s[4:5], v52, v49 src0_sel:BYTE_0 src1_sel:DWORD
	v_and_b32_e32 v49, 1, v52
	v_mov_b32_e32 v52, 1
	v_cndmask_b32_e64 v53, 0, v54, s[4:5]
	v_and_b32_sdwa v52, v54, v52 dst_sel:DWORD dst_unused:UNUSED_PAD src0_sel:WORD_1 src1_sel:DWORD
	v_cmp_eq_u32_e64 s[4:5], 1, v49
	v_cndmask_b32_e64 v49, v52, 1, s[4:5]
	v_add_u16_e32 v55, v53, v48
	v_lshlrev_b32_e32 v52, 16, v49
	v_add_u16_e32 v48, v53, v48
	v_or_b32_e32 v53, v52, v48
	v_mov_b32_e32 v48, v55
	v_mov_b32_e32 v52, v49
.LBB1385_214:
	s_or_b64 exec, exec, s[52:53]
	v_mov_b32_dpp v53, v53 row_bcast:31 row_mask:0xf bank_mask:0xf
	v_cmp_lt_u32_e64 s[4:5], 31, v33
	s_and_saveexec_b64 s[52:53], s[4:5]
; %bb.215:
	v_mov_b32_e32 v49, 0
	v_cmp_eq_u16_sdwa s[4:5], v52, v49 src0_sel:BYTE_0 src1_sel:DWORD
	v_cndmask_b32_e64 v49, 0, v53, s[4:5]
	v_add_u16_e32 v48, v49, v48
	v_and_b32_e32 v49, 1, v52
	v_mov_b32_e32 v52, 1
	v_and_b32_sdwa v52, v53, v52 dst_sel:DWORD dst_unused:UNUSED_PAD src0_sel:WORD_1 src1_sel:DWORD
	v_cmp_eq_u32_e64 s[4:5], 1, v49
	v_cndmask_b32_e64 v49, v52, 1, s[4:5]
	v_mov_b32_e32 v52, v49
; %bb.216:
	s_or_b64 exec, exec, s[52:53]
	v_cmp_eq_u32_e64 s[4:5], 63, v0
	s_and_saveexec_b64 s[52:53], s[4:5]
	s_cbranch_execz .LBB1385_218
; %bb.217:
	v_mov_b32_e32 v53, 0
	ds_write_b16 v53, v48
	ds_write_b8 v53, v52 offset:2
.LBB1385_218:
	s_or_b64 exec, exec, s[52:53]
	v_and_b32_e32 v49, 0xff, v49
	v_and_b32_e32 v48, 0xffff, v48
	v_lshl_or_b32 v48, v49, 16, v48
	v_add_u32_e32 v49, -1, v33
	v_and_b32_e32 v52, 64, v33
	v_cmp_lt_i32_e64 s[4:5], v49, v52
	v_cndmask_b32_e64 v33, v49, v33, s[4:5]
	v_lshlrev_b32_e32 v33, 2, v33
	ds_bpermute_b32 v33, v33, v48
	s_waitcnt lgkmcnt(0)
	; wave barrier
	s_waitcnt lgkmcnt(0)
	s_and_saveexec_b64 s[52:53], s[56:57]
	s_cbranch_execz .LBB1385_220
; %bb.219:
	v_and_b32_e32 v22, 0xff0000, v1
	v_cmp_eq_u32_e64 s[4:5], 0, v22
	v_cndmask_b32_e64 v22, 0, v33, s[4:5]
	v_add_u32_e32 v1, v22, v1
	v_cndmask_b32_e32 v22, 0, v1, vcc
	v_add_u16_e32 v22, v22, v50
	v_cndmask_b32_e64 v23, 0, v22, s[6:7]
	v_add_u16_e32 v23, v23, v51
	v_cndmask_b32_e64 v24, 0, v23, s[8:9]
	;; [unrolled: 2-line block ×22, first 2 shown]
	v_mov_b32_e32 v47, 0
	v_add_u16_e32 v46, v2, v32
	;;#ASMSTART
	;;#ASMEND
.LBB1385_220:
	s_or_b64 exec, exec, s[52:53]
	s_and_saveexec_b64 s[4:5], s[0:1]
	s_cbranch_execz .LBB1385_222
; %bb.221:
	v_mov_b32_e32 v4, 0
	ds_read_u8 v2, v4 offset:2
	ds_read_u16 v3, v4
	s_waitcnt lgkmcnt(1)
	v_lshlrev_b32_e32 v2, 16, v2
	s_waitcnt lgkmcnt(0)
	v_or_b32_e32 v2, v2, v3
	v_mov_b32_e32 v3, 2
	global_store_dwordx2 v4, v[2:3], s[76:77] offset:512
.LBB1385_222:
	s_or_b64 exec, exec, s[4:5]
	v_lshl_or_b32 v47, v47, 16, v1
.LBB1385_223:
	s_add_u32 s0, s66, s58
	s_addc_u32 s1, s67, s59
	s_add_u32 s4, s0, s60
	s_addc_u32 s5, s1, s61
	s_and_b64 vcc, exec, s[2:3]
	v_mul_u32_u24_e32 v4, 24, v0
	s_cbranch_vccz .LBB1385_273
; %bb.224:
	s_add_i32 s33, s33, s78
	v_cmp_le_u32_e32 vcc, s33, v4
	v_or_b32_e32 v8, 1, v4
	v_or_b32_e32 v7, 2, v4
	;; [unrolled: 1-line block ×7, first 2 shown]
	s_and_saveexec_b64 s[0:1], vcc
	s_xor_b64 s[0:1], exec, s[0:1]
; %bb.225:
	v_or_b32_e32 v8, 1, v4
	v_or_b32_e32 v7, 2, v4
	;; [unrolled: 1-line block ×7, first 2 shown]
; %bb.226:
	s_andn2_saveexec_b64 s[0:1], s[0:1]
	s_or_b64 exec, exec, s[0:1]
	v_lshlrev_b32_e32 v49, 1, v4
	v_lshlrev_b32_e32 v8, 1, v8
	v_lshlrev_b32_e32 v7, 1, v7
	v_lshlrev_b32_e32 v6, 1, v6
	s_mov_b32 s0, 0x5040100
	s_waitcnt lgkmcnt(0)
	; wave barrier
	ds_write_b16 v49, v47
	ds_write_b16 v8, v22
	;; [unrolled: 1-line block ×4, first 2 shown]
	v_lshlrev_b32_e32 v5, 1, v5
	v_lshlrev_b32_e32 v3, 1, v3
	;; [unrolled: 1-line block ×4, first 2 shown]
	v_perm_b32 v9, v39, v37, s0
	v_perm_b32 v8, v36, v35, s0
	;; [unrolled: 1-line block ×4, first 2 shown]
	ds_write_b16 v5, v25
	ds_write_b16 v3, v26
	;; [unrolled: 1-line block ×4, first 2 shown]
	ds_write_b128 v49, v[6:9] offset:16
	v_perm_b32 v9, v46, v45, s0
	v_perm_b32 v8, v44, v43, s0
	v_perm_b32 v7, v42, v41, s0
	v_perm_b32 v6, v40, v38, s0
	s_movk_i32 s0, 0xffd2
	v_mad_i32_i24 v2, v0, s0, v49
	ds_write_b128 v49, v[6:9] offset:32
	s_waitcnt lgkmcnt(0)
	; wave barrier
	s_waitcnt lgkmcnt(0)
	ds_read_u16 v52, v2 offset:128
	ds_read_u16 v51, v2 offset:256
	;; [unrolled: 1-line block ×23, first 2 shown]
	v_lshlrev_b32_e32 v2, 1, v0
	v_mov_b32_e32 v3, s5
	v_add_co_u32_e32 v2, vcc, s4, v2
	v_addc_co_u32_e32 v3, vcc, 0, v3, vcc
	v_mov_b32_e32 v1, 0
	v_cmp_gt_u32_e32 vcc, s33, v0
	s_and_saveexec_b64 s[0:1], vcc
	s_cbranch_execz .LBB1385_228
; %bb.227:
	v_mul_i32_i24_e32 v53, 0xffffffd2, v0
	v_add_u32_e32 v49, v49, v53
	ds_read_u16 v49, v49
	s_waitcnt lgkmcnt(0)
	flat_store_short v[2:3], v49
.LBB1385_228:
	s_or_b64 exec, exec, s[0:1]
	v_or_b32_e32 v49, 64, v0
	v_cmp_gt_u32_e32 vcc, s33, v49
	s_and_saveexec_b64 s[0:1], vcc
	s_cbranch_execz .LBB1385_230
; %bb.229:
	s_waitcnt lgkmcnt(0)
	flat_store_short v[2:3], v52 offset:128
.LBB1385_230:
	s_or_b64 exec, exec, s[0:1]
	v_or_b32_e32 v49, 0x80, v0
	v_cmp_gt_u32_e32 vcc, s33, v49
	s_and_saveexec_b64 s[0:1], vcc
	s_cbranch_execz .LBB1385_232
; %bb.231:
	s_waitcnt lgkmcnt(0)
	flat_store_short v[2:3], v51 offset:256
.LBB1385_232:
	;; [unrolled: 9-line block ×4, first 2 shown]
	s_or_b64 exec, exec, s[0:1]
	s_waitcnt lgkmcnt(0)
	v_or_b32_e32 v48, 0x140, v0
	v_cmp_gt_u32_e32 vcc, s33, v48
	s_and_saveexec_b64 s[0:1], vcc
	s_cbranch_execz .LBB1385_238
; %bb.237:
	flat_store_short v[2:3], v33 offset:640
.LBB1385_238:
	s_or_b64 exec, exec, s[0:1]
	v_or_b32_e32 v33, 0x180, v0
	v_cmp_gt_u32_e32 vcc, s33, v33
	s_and_saveexec_b64 s[0:1], vcc
	s_cbranch_execz .LBB1385_240
; %bb.239:
	flat_store_short v[2:3], v32 offset:768
.LBB1385_240:
	s_or_b64 exec, exec, s[0:1]
	;; [unrolled: 8-line block ×18, first 2 shown]
	v_or_b32_e32 v2, 0x5c0, v0
	v_cmp_gt_u32_e64 s[0:1], s33, v2
	s_branch .LBB1385_275
.LBB1385_273:
	s_mov_b64 s[0:1], 0
                                        ; implicit-def: $vgpr5
	s_cbranch_execz .LBB1385_275
; %bb.274:
	s_mov_b32 s2, 0x5040100
	v_lshlrev_b32_e32 v6, 1, v4
	v_perm_b32 v5, v29, v27, s2
	v_perm_b32 v4, v26, v25, s2
	;; [unrolled: 1-line block ×4, first 2 shown]
	s_waitcnt lgkmcnt(0)
	; wave barrier
	s_waitcnt lgkmcnt(0)
	ds_write_b128 v6, v[2:5]
	v_perm_b32 v5, v39, v37, s2
	v_perm_b32 v4, v36, v35, s2
	;; [unrolled: 1-line block ×4, first 2 shown]
	ds_write_b128 v6, v[2:5] offset:16
	v_perm_b32 v4, v44, v43, s2
	v_perm_b32 v3, v42, v41, s2
	;; [unrolled: 1-line block ×4, first 2 shown]
	s_movk_i32 s2, 0xffd2
	ds_write_b128 v6, v[2:5] offset:32
	v_mad_i32_i24 v2, v0, s2, v6
	s_waitcnt lgkmcnt(0)
	; wave barrier
	s_waitcnt lgkmcnt(0)
	ds_read_u16 v4, v2
	ds_read_u16 v6, v2 offset:128
	ds_read_u16 v7, v2 offset:256
	;; [unrolled: 1-line block ×23, first 2 shown]
	v_lshlrev_b32_e32 v2, 1, v0
	v_mov_b32_e32 v3, s5
	v_add_co_u32_e32 v2, vcc, s4, v2
	v_mov_b32_e32 v1, 0
	v_addc_co_u32_e32 v3, vcc, 0, v3, vcc
	s_or_b64 s[0:1], s[0:1], exec
	s_waitcnt lgkmcnt(0)
	flat_store_short v[2:3], v4
	flat_store_short v[2:3], v6 offset:128
	flat_store_short v[2:3], v7 offset:256
	;; [unrolled: 1-line block ×22, first 2 shown]
.LBB1385_275:
	s_and_saveexec_b64 s[2:3], s[0:1]
	s_cbranch_execnz .LBB1385_277
; %bb.276:
	s_endpgm
.LBB1385_277:
	v_lshlrev_b64 v[0:1], 1, v[0:1]
	v_mov_b32_e32 v2, s5
	v_add_co_u32_e32 v0, vcc, s4, v0
	v_addc_co_u32_e32 v1, vcc, v2, v1, vcc
	flat_store_short v[0:1], v5 offset:2944
	s_endpgm
.LBB1385_278:
	v_lshlrev_b32_e32 v2, 1, v0
	v_mov_b32_e32 v3, s85
	v_add_co_u32_e32 v2, vcc, s84, v2
	v_addc_co_u32_e32 v3, vcc, 0, v3, vcc
	flat_load_ushort v2, v[2:3]
	s_or_b64 exec, exec, s[4:5]
                                        ; implicit-def: $vgpr3
	s_and_saveexec_b64 s[4:5], s[8:9]
	s_cbranch_execz .LBB1385_61
.LBB1385_279:
	v_lshlrev_b32_e32 v3, 1, v0
	v_mov_b32_e32 v5, s85
	v_add_co_u32_e32 v4, vcc, s84, v3
	v_addc_co_u32_e32 v5, vcc, 0, v5, vcc
	flat_load_ushort v3, v[4:5] offset:128
	s_or_b64 exec, exec, s[4:5]
                                        ; implicit-def: $vgpr4
	s_and_saveexec_b64 s[4:5], s[10:11]
	s_cbranch_execz .LBB1385_62
.LBB1385_280:
	v_lshlrev_b32_e32 v4, 1, v0
	v_mov_b32_e32 v5, s85
	v_add_co_u32_e32 v4, vcc, s84, v4
	v_addc_co_u32_e32 v5, vcc, 0, v5, vcc
	flat_load_ushort v4, v[4:5] offset:256
	s_or_b64 exec, exec, s[4:5]
                                        ; implicit-def: $vgpr5
	s_and_saveexec_b64 s[4:5], s[12:13]
	s_cbranch_execz .LBB1385_63
.LBB1385_281:
	v_lshlrev_b32_e32 v5, 1, v0
	v_mov_b32_e32 v7, s85
	v_add_co_u32_e32 v6, vcc, s84, v5
	v_addc_co_u32_e32 v7, vcc, 0, v7, vcc
	flat_load_ushort v5, v[6:7] offset:384
	s_or_b64 exec, exec, s[4:5]
                                        ; implicit-def: $vgpr6
	s_and_saveexec_b64 s[4:5], s[14:15]
	s_cbranch_execz .LBB1385_64
.LBB1385_282:
	v_lshlrev_b32_e32 v6, 1, v0
	v_mov_b32_e32 v7, s85
	v_add_co_u32_e32 v6, vcc, s84, v6
	v_addc_co_u32_e32 v7, vcc, 0, v7, vcc
	flat_load_ushort v6, v[6:7] offset:512
	s_or_b64 exec, exec, s[4:5]
                                        ; implicit-def: $vgpr7
	s_and_saveexec_b64 s[4:5], s[16:17]
	s_cbranch_execz .LBB1385_65
.LBB1385_283:
	v_lshlrev_b32_e32 v7, 1, v0
	v_mov_b32_e32 v9, s85
	v_add_co_u32_e32 v8, vcc, s84, v7
	v_addc_co_u32_e32 v9, vcc, 0, v9, vcc
	flat_load_ushort v7, v[8:9] offset:640
	s_or_b64 exec, exec, s[4:5]
                                        ; implicit-def: $vgpr8
	s_and_saveexec_b64 s[4:5], s[18:19]
	s_cbranch_execz .LBB1385_66
.LBB1385_284:
	v_lshlrev_b32_e32 v8, 1, v0
	v_mov_b32_e32 v9, s85
	v_add_co_u32_e32 v8, vcc, s84, v8
	v_addc_co_u32_e32 v9, vcc, 0, v9, vcc
	flat_load_ushort v8, v[8:9] offset:768
	s_or_b64 exec, exec, s[4:5]
                                        ; implicit-def: $vgpr9
	s_and_saveexec_b64 s[4:5], s[20:21]
	s_cbranch_execz .LBB1385_67
.LBB1385_285:
	v_lshlrev_b32_e32 v9, 1, v0
	v_mov_b32_e32 v11, s85
	v_add_co_u32_e32 v10, vcc, s84, v9
	v_addc_co_u32_e32 v11, vcc, 0, v11, vcc
	flat_load_ushort v9, v[10:11] offset:896
	s_or_b64 exec, exec, s[4:5]
                                        ; implicit-def: $vgpr10
	s_and_saveexec_b64 s[4:5], s[22:23]
	s_cbranch_execz .LBB1385_68
.LBB1385_286:
	v_lshlrev_b32_e32 v10, 1, v0
	v_mov_b32_e32 v11, s85
	v_add_co_u32_e32 v10, vcc, s84, v10
	v_addc_co_u32_e32 v11, vcc, 0, v11, vcc
	flat_load_ushort v10, v[10:11] offset:1024
	s_or_b64 exec, exec, s[4:5]
                                        ; implicit-def: $vgpr11
	s_and_saveexec_b64 s[4:5], s[24:25]
	s_cbranch_execz .LBB1385_69
.LBB1385_287:
	v_lshlrev_b32_e32 v11, 1, v0
	v_mov_b32_e32 v13, s85
	v_add_co_u32_e32 v12, vcc, s84, v11
	v_addc_co_u32_e32 v13, vcc, 0, v13, vcc
	flat_load_ushort v11, v[12:13] offset:1152
	s_or_b64 exec, exec, s[4:5]
                                        ; implicit-def: $vgpr12
	s_and_saveexec_b64 s[4:5], s[26:27]
	s_cbranch_execz .LBB1385_70
.LBB1385_288:
	v_lshlrev_b32_e32 v12, 1, v0
	v_mov_b32_e32 v13, s85
	v_add_co_u32_e32 v12, vcc, s84, v12
	v_addc_co_u32_e32 v13, vcc, 0, v13, vcc
	flat_load_ushort v12, v[12:13] offset:1280
	s_or_b64 exec, exec, s[4:5]
                                        ; implicit-def: $vgpr13
	s_and_saveexec_b64 s[4:5], s[28:29]
	s_cbranch_execz .LBB1385_71
.LBB1385_289:
	v_lshlrev_b32_e32 v13, 1, v0
	v_mov_b32_e32 v15, s85
	v_add_co_u32_e32 v14, vcc, s84, v13
	v_addc_co_u32_e32 v15, vcc, 0, v15, vcc
	flat_load_ushort v13, v[14:15] offset:1408
	s_or_b64 exec, exec, s[4:5]
                                        ; implicit-def: $vgpr14
	s_and_saveexec_b64 s[4:5], s[30:31]
	s_cbranch_execz .LBB1385_72
.LBB1385_290:
	v_lshlrev_b32_e32 v14, 1, v0
	v_mov_b32_e32 v15, s85
	v_add_co_u32_e32 v14, vcc, s84, v14
	v_addc_co_u32_e32 v15, vcc, 0, v15, vcc
	flat_load_ushort v14, v[14:15] offset:1536
	s_or_b64 exec, exec, s[4:5]
                                        ; implicit-def: $vgpr15
	s_and_saveexec_b64 s[4:5], s[34:35]
	s_cbranch_execz .LBB1385_73
.LBB1385_291:
	v_lshlrev_b32_e32 v15, 1, v0
	v_mov_b32_e32 v17, s85
	v_add_co_u32_e32 v16, vcc, s84, v15
	v_addc_co_u32_e32 v17, vcc, 0, v17, vcc
	flat_load_ushort v15, v[16:17] offset:1664
	s_or_b64 exec, exec, s[4:5]
                                        ; implicit-def: $vgpr16
	s_and_saveexec_b64 s[4:5], s[36:37]
	s_cbranch_execz .LBB1385_74
.LBB1385_292:
	v_lshlrev_b32_e32 v16, 1, v0
	v_mov_b32_e32 v17, s85
	v_add_co_u32_e32 v16, vcc, s84, v16
	v_addc_co_u32_e32 v17, vcc, 0, v17, vcc
	flat_load_ushort v16, v[16:17] offset:1792
	s_or_b64 exec, exec, s[4:5]
                                        ; implicit-def: $vgpr17
	s_and_saveexec_b64 s[4:5], s[38:39]
	s_cbranch_execz .LBB1385_75
.LBB1385_293:
	v_lshlrev_b32_e32 v17, 1, v0
	v_mov_b32_e32 v19, s85
	v_add_co_u32_e32 v18, vcc, s84, v17
	v_addc_co_u32_e32 v19, vcc, 0, v19, vcc
	flat_load_ushort v17, v[18:19] offset:1920
	s_or_b64 exec, exec, s[4:5]
                                        ; implicit-def: $vgpr18
	s_and_saveexec_b64 s[4:5], s[40:41]
	s_cbranch_execz .LBB1385_76
.LBB1385_294:
	v_lshlrev_b32_e32 v18, 1, v0
	v_mov_b32_e32 v19, s85
	v_add_co_u32_e32 v18, vcc, s84, v18
	v_addc_co_u32_e32 v19, vcc, 0, v19, vcc
	flat_load_ushort v18, v[18:19] offset:2048
	s_or_b64 exec, exec, s[4:5]
                                        ; implicit-def: $vgpr19
	s_and_saveexec_b64 s[4:5], s[42:43]
	s_cbranch_execz .LBB1385_77
.LBB1385_295:
	v_lshlrev_b32_e32 v19, 1, v0
	v_mov_b32_e32 v21, s85
	v_add_co_u32_e32 v20, vcc, s84, v19
	v_addc_co_u32_e32 v21, vcc, 0, v21, vcc
	flat_load_ushort v19, v[20:21] offset:2176
	s_or_b64 exec, exec, s[4:5]
                                        ; implicit-def: $vgpr20
	s_and_saveexec_b64 s[4:5], s[44:45]
	s_cbranch_execz .LBB1385_78
.LBB1385_296:
	v_lshlrev_b32_e32 v20, 1, v0
	v_mov_b32_e32 v21, s85
	v_add_co_u32_e32 v20, vcc, s84, v20
	v_addc_co_u32_e32 v21, vcc, 0, v21, vcc
	flat_load_ushort v20, v[20:21] offset:2304
	s_or_b64 exec, exec, s[4:5]
                                        ; implicit-def: $vgpr21
	s_and_saveexec_b64 s[4:5], s[46:47]
	s_cbranch_execz .LBB1385_79
.LBB1385_297:
	v_lshlrev_b32_e32 v21, 1, v0
	v_mov_b32_e32 v47, s85
	v_add_co_u32_e32 v48, vcc, s84, v21
	v_addc_co_u32_e32 v49, vcc, 0, v47, vcc
	flat_load_ushort v21, v[48:49] offset:2432
	s_or_b64 exec, exec, s[4:5]
                                        ; implicit-def: $vgpr48
	s_and_saveexec_b64 s[4:5], s[48:49]
	s_cbranch_execz .LBB1385_80
.LBB1385_298:
	v_lshlrev_b32_e32 v47, 1, v0
	v_mov_b32_e32 v49, s85
	v_add_co_u32_e32 v48, vcc, s84, v47
	v_addc_co_u32_e32 v49, vcc, 0, v49, vcc
	flat_load_ushort v48, v[48:49] offset:2560
	s_or_b64 exec, exec, s[4:5]
                                        ; implicit-def: $vgpr49
	s_and_saveexec_b64 s[4:5], s[50:51]
	s_cbranch_execz .LBB1385_81
.LBB1385_299:
	v_lshlrev_b32_e32 v47, 1, v0
	v_mov_b32_e32 v49, s85
	v_add_co_u32_e32 v50, vcc, s84, v47
	v_addc_co_u32_e32 v51, vcc, 0, v49, vcc
	flat_load_ushort v49, v[50:51] offset:2688
	s_or_b64 exec, exec, s[4:5]
                                        ; implicit-def: $vgpr50
	s_and_saveexec_b64 s[4:5], s[52:53]
	s_cbranch_execz .LBB1385_82
.LBB1385_300:
	v_lshlrev_b32_e32 v47, 1, v0
	v_mov_b32_e32 v51, s85
	v_add_co_u32_e32 v50, vcc, s84, v47
	v_addc_co_u32_e32 v51, vcc, 0, v51, vcc
	flat_load_ushort v50, v[50:51] offset:2816
	s_or_b64 exec, exec, s[4:5]
                                        ; implicit-def: $vgpr51
	s_and_saveexec_b64 s[4:5], s[54:55]
	s_cbranch_execnz .LBB1385_83
	s_branch .LBB1385_84
.LBB1385_301:
                                        ; implicit-def: $sgpr4_sgpr5
	s_branch .LBB1385_56
.LBB1385_302:
                                        ; implicit-def: $sgpr4_sgpr5
	s_branch .LBB1385_135
	.section	.rodata,"a",@progbits
	.p2align	6, 0x0
	.amdhsa_kernel _ZN7rocprim17ROCPRIM_400000_NS6detail17trampoline_kernelINS0_14default_configENS1_27scan_by_key_config_selectorIisEEZZNS1_16scan_by_key_implILNS1_25lookback_scan_determinismE0ELb0ES3_N6thrust23THRUST_200600_302600_NS6detail15normal_iteratorINS9_10device_ptrIiEEEENSB_INSC_IsEEEESG_sNS9_4plusIvEENS9_8equal_toIvEEsEE10hipError_tPvRmT2_T3_T4_T5_mT6_T7_P12ihipStream_tbENKUlT_T0_E_clISt17integral_constantIbLb0EES10_IbLb1EEEEDaSW_SX_EUlSW_E_NS1_11comp_targetILNS1_3genE4ELNS1_11target_archE910ELNS1_3gpuE8ELNS1_3repE0EEENS1_30default_config_static_selectorELNS0_4arch9wavefront6targetE1EEEvT1_
		.amdhsa_group_segment_fixed_size 6656
		.amdhsa_private_segment_fixed_size 0
		.amdhsa_kernarg_size 112
		.amdhsa_user_sgpr_count 6
		.amdhsa_user_sgpr_private_segment_buffer 1
		.amdhsa_user_sgpr_dispatch_ptr 0
		.amdhsa_user_sgpr_queue_ptr 0
		.amdhsa_user_sgpr_kernarg_segment_ptr 1
		.amdhsa_user_sgpr_dispatch_id 0
		.amdhsa_user_sgpr_flat_scratch_init 0
		.amdhsa_user_sgpr_kernarg_preload_length 0
		.amdhsa_user_sgpr_kernarg_preload_offset 0
		.amdhsa_user_sgpr_private_segment_size 0
		.amdhsa_uses_dynamic_stack 0
		.amdhsa_system_sgpr_private_segment_wavefront_offset 0
		.amdhsa_system_sgpr_workgroup_id_x 1
		.amdhsa_system_sgpr_workgroup_id_y 0
		.amdhsa_system_sgpr_workgroup_id_z 0
		.amdhsa_system_sgpr_workgroup_info 0
		.amdhsa_system_vgpr_workitem_id 0
		.amdhsa_next_free_vgpr 58
		.amdhsa_next_free_sgpr 87
		.amdhsa_accum_offset 60
		.amdhsa_reserve_vcc 1
		.amdhsa_reserve_flat_scratch 0
		.amdhsa_float_round_mode_32 0
		.amdhsa_float_round_mode_16_64 0
		.amdhsa_float_denorm_mode_32 3
		.amdhsa_float_denorm_mode_16_64 3
		.amdhsa_dx10_clamp 1
		.amdhsa_ieee_mode 1
		.amdhsa_fp16_overflow 0
		.amdhsa_tg_split 0
		.amdhsa_exception_fp_ieee_invalid_op 0
		.amdhsa_exception_fp_denorm_src 0
		.amdhsa_exception_fp_ieee_div_zero 0
		.amdhsa_exception_fp_ieee_overflow 0
		.amdhsa_exception_fp_ieee_underflow 0
		.amdhsa_exception_fp_ieee_inexact 0
		.amdhsa_exception_int_div_zero 0
	.end_amdhsa_kernel
	.section	.text._ZN7rocprim17ROCPRIM_400000_NS6detail17trampoline_kernelINS0_14default_configENS1_27scan_by_key_config_selectorIisEEZZNS1_16scan_by_key_implILNS1_25lookback_scan_determinismE0ELb0ES3_N6thrust23THRUST_200600_302600_NS6detail15normal_iteratorINS9_10device_ptrIiEEEENSB_INSC_IsEEEESG_sNS9_4plusIvEENS9_8equal_toIvEEsEE10hipError_tPvRmT2_T3_T4_T5_mT6_T7_P12ihipStream_tbENKUlT_T0_E_clISt17integral_constantIbLb0EES10_IbLb1EEEEDaSW_SX_EUlSW_E_NS1_11comp_targetILNS1_3genE4ELNS1_11target_archE910ELNS1_3gpuE8ELNS1_3repE0EEENS1_30default_config_static_selectorELNS0_4arch9wavefront6targetE1EEEvT1_,"axG",@progbits,_ZN7rocprim17ROCPRIM_400000_NS6detail17trampoline_kernelINS0_14default_configENS1_27scan_by_key_config_selectorIisEEZZNS1_16scan_by_key_implILNS1_25lookback_scan_determinismE0ELb0ES3_N6thrust23THRUST_200600_302600_NS6detail15normal_iteratorINS9_10device_ptrIiEEEENSB_INSC_IsEEEESG_sNS9_4plusIvEENS9_8equal_toIvEEsEE10hipError_tPvRmT2_T3_T4_T5_mT6_T7_P12ihipStream_tbENKUlT_T0_E_clISt17integral_constantIbLb0EES10_IbLb1EEEEDaSW_SX_EUlSW_E_NS1_11comp_targetILNS1_3genE4ELNS1_11target_archE910ELNS1_3gpuE8ELNS1_3repE0EEENS1_30default_config_static_selectorELNS0_4arch9wavefront6targetE1EEEvT1_,comdat
.Lfunc_end1385:
	.size	_ZN7rocprim17ROCPRIM_400000_NS6detail17trampoline_kernelINS0_14default_configENS1_27scan_by_key_config_selectorIisEEZZNS1_16scan_by_key_implILNS1_25lookback_scan_determinismE0ELb0ES3_N6thrust23THRUST_200600_302600_NS6detail15normal_iteratorINS9_10device_ptrIiEEEENSB_INSC_IsEEEESG_sNS9_4plusIvEENS9_8equal_toIvEEsEE10hipError_tPvRmT2_T3_T4_T5_mT6_T7_P12ihipStream_tbENKUlT_T0_E_clISt17integral_constantIbLb0EES10_IbLb1EEEEDaSW_SX_EUlSW_E_NS1_11comp_targetILNS1_3genE4ELNS1_11target_archE910ELNS1_3gpuE8ELNS1_3repE0EEENS1_30default_config_static_selectorELNS0_4arch9wavefront6targetE1EEEvT1_, .Lfunc_end1385-_ZN7rocprim17ROCPRIM_400000_NS6detail17trampoline_kernelINS0_14default_configENS1_27scan_by_key_config_selectorIisEEZZNS1_16scan_by_key_implILNS1_25lookback_scan_determinismE0ELb0ES3_N6thrust23THRUST_200600_302600_NS6detail15normal_iteratorINS9_10device_ptrIiEEEENSB_INSC_IsEEEESG_sNS9_4plusIvEENS9_8equal_toIvEEsEE10hipError_tPvRmT2_T3_T4_T5_mT6_T7_P12ihipStream_tbENKUlT_T0_E_clISt17integral_constantIbLb0EES10_IbLb1EEEEDaSW_SX_EUlSW_E_NS1_11comp_targetILNS1_3genE4ELNS1_11target_archE910ELNS1_3gpuE8ELNS1_3repE0EEENS1_30default_config_static_selectorELNS0_4arch9wavefront6targetE1EEEvT1_
                                        ; -- End function
	.section	.AMDGPU.csdata,"",@progbits
; Kernel info:
; codeLenInByte = 15256
; NumSgprs: 91
; NumVgprs: 58
; NumAgprs: 0
; TotalNumVgprs: 58
; ScratchSize: 0
; MemoryBound: 0
; FloatMode: 240
; IeeeMode: 1
; LDSByteSize: 6656 bytes/workgroup (compile time only)
; SGPRBlocks: 11
; VGPRBlocks: 7
; NumSGPRsForWavesPerEU: 91
; NumVGPRsForWavesPerEU: 58
; AccumOffset: 60
; Occupancy: 3
; WaveLimiterHint : 1
; COMPUTE_PGM_RSRC2:SCRATCH_EN: 0
; COMPUTE_PGM_RSRC2:USER_SGPR: 6
; COMPUTE_PGM_RSRC2:TRAP_HANDLER: 0
; COMPUTE_PGM_RSRC2:TGID_X_EN: 1
; COMPUTE_PGM_RSRC2:TGID_Y_EN: 0
; COMPUTE_PGM_RSRC2:TGID_Z_EN: 0
; COMPUTE_PGM_RSRC2:TIDIG_COMP_CNT: 0
; COMPUTE_PGM_RSRC3_GFX90A:ACCUM_OFFSET: 14
; COMPUTE_PGM_RSRC3_GFX90A:TG_SPLIT: 0
	.section	.text._ZN7rocprim17ROCPRIM_400000_NS6detail17trampoline_kernelINS0_14default_configENS1_27scan_by_key_config_selectorIisEEZZNS1_16scan_by_key_implILNS1_25lookback_scan_determinismE0ELb0ES3_N6thrust23THRUST_200600_302600_NS6detail15normal_iteratorINS9_10device_ptrIiEEEENSB_INSC_IsEEEESG_sNS9_4plusIvEENS9_8equal_toIvEEsEE10hipError_tPvRmT2_T3_T4_T5_mT6_T7_P12ihipStream_tbENKUlT_T0_E_clISt17integral_constantIbLb0EES10_IbLb1EEEEDaSW_SX_EUlSW_E_NS1_11comp_targetILNS1_3genE3ELNS1_11target_archE908ELNS1_3gpuE7ELNS1_3repE0EEENS1_30default_config_static_selectorELNS0_4arch9wavefront6targetE1EEEvT1_,"axG",@progbits,_ZN7rocprim17ROCPRIM_400000_NS6detail17trampoline_kernelINS0_14default_configENS1_27scan_by_key_config_selectorIisEEZZNS1_16scan_by_key_implILNS1_25lookback_scan_determinismE0ELb0ES3_N6thrust23THRUST_200600_302600_NS6detail15normal_iteratorINS9_10device_ptrIiEEEENSB_INSC_IsEEEESG_sNS9_4plusIvEENS9_8equal_toIvEEsEE10hipError_tPvRmT2_T3_T4_T5_mT6_T7_P12ihipStream_tbENKUlT_T0_E_clISt17integral_constantIbLb0EES10_IbLb1EEEEDaSW_SX_EUlSW_E_NS1_11comp_targetILNS1_3genE3ELNS1_11target_archE908ELNS1_3gpuE7ELNS1_3repE0EEENS1_30default_config_static_selectorELNS0_4arch9wavefront6targetE1EEEvT1_,comdat
	.protected	_ZN7rocprim17ROCPRIM_400000_NS6detail17trampoline_kernelINS0_14default_configENS1_27scan_by_key_config_selectorIisEEZZNS1_16scan_by_key_implILNS1_25lookback_scan_determinismE0ELb0ES3_N6thrust23THRUST_200600_302600_NS6detail15normal_iteratorINS9_10device_ptrIiEEEENSB_INSC_IsEEEESG_sNS9_4plusIvEENS9_8equal_toIvEEsEE10hipError_tPvRmT2_T3_T4_T5_mT6_T7_P12ihipStream_tbENKUlT_T0_E_clISt17integral_constantIbLb0EES10_IbLb1EEEEDaSW_SX_EUlSW_E_NS1_11comp_targetILNS1_3genE3ELNS1_11target_archE908ELNS1_3gpuE7ELNS1_3repE0EEENS1_30default_config_static_selectorELNS0_4arch9wavefront6targetE1EEEvT1_ ; -- Begin function _ZN7rocprim17ROCPRIM_400000_NS6detail17trampoline_kernelINS0_14default_configENS1_27scan_by_key_config_selectorIisEEZZNS1_16scan_by_key_implILNS1_25lookback_scan_determinismE0ELb0ES3_N6thrust23THRUST_200600_302600_NS6detail15normal_iteratorINS9_10device_ptrIiEEEENSB_INSC_IsEEEESG_sNS9_4plusIvEENS9_8equal_toIvEEsEE10hipError_tPvRmT2_T3_T4_T5_mT6_T7_P12ihipStream_tbENKUlT_T0_E_clISt17integral_constantIbLb0EES10_IbLb1EEEEDaSW_SX_EUlSW_E_NS1_11comp_targetILNS1_3genE3ELNS1_11target_archE908ELNS1_3gpuE7ELNS1_3repE0EEENS1_30default_config_static_selectorELNS0_4arch9wavefront6targetE1EEEvT1_
	.globl	_ZN7rocprim17ROCPRIM_400000_NS6detail17trampoline_kernelINS0_14default_configENS1_27scan_by_key_config_selectorIisEEZZNS1_16scan_by_key_implILNS1_25lookback_scan_determinismE0ELb0ES3_N6thrust23THRUST_200600_302600_NS6detail15normal_iteratorINS9_10device_ptrIiEEEENSB_INSC_IsEEEESG_sNS9_4plusIvEENS9_8equal_toIvEEsEE10hipError_tPvRmT2_T3_T4_T5_mT6_T7_P12ihipStream_tbENKUlT_T0_E_clISt17integral_constantIbLb0EES10_IbLb1EEEEDaSW_SX_EUlSW_E_NS1_11comp_targetILNS1_3genE3ELNS1_11target_archE908ELNS1_3gpuE7ELNS1_3repE0EEENS1_30default_config_static_selectorELNS0_4arch9wavefront6targetE1EEEvT1_
	.p2align	8
	.type	_ZN7rocprim17ROCPRIM_400000_NS6detail17trampoline_kernelINS0_14default_configENS1_27scan_by_key_config_selectorIisEEZZNS1_16scan_by_key_implILNS1_25lookback_scan_determinismE0ELb0ES3_N6thrust23THRUST_200600_302600_NS6detail15normal_iteratorINS9_10device_ptrIiEEEENSB_INSC_IsEEEESG_sNS9_4plusIvEENS9_8equal_toIvEEsEE10hipError_tPvRmT2_T3_T4_T5_mT6_T7_P12ihipStream_tbENKUlT_T0_E_clISt17integral_constantIbLb0EES10_IbLb1EEEEDaSW_SX_EUlSW_E_NS1_11comp_targetILNS1_3genE3ELNS1_11target_archE908ELNS1_3gpuE7ELNS1_3repE0EEENS1_30default_config_static_selectorELNS0_4arch9wavefront6targetE1EEEvT1_,@function
_ZN7rocprim17ROCPRIM_400000_NS6detail17trampoline_kernelINS0_14default_configENS1_27scan_by_key_config_selectorIisEEZZNS1_16scan_by_key_implILNS1_25lookback_scan_determinismE0ELb0ES3_N6thrust23THRUST_200600_302600_NS6detail15normal_iteratorINS9_10device_ptrIiEEEENSB_INSC_IsEEEESG_sNS9_4plusIvEENS9_8equal_toIvEEsEE10hipError_tPvRmT2_T3_T4_T5_mT6_T7_P12ihipStream_tbENKUlT_T0_E_clISt17integral_constantIbLb0EES10_IbLb1EEEEDaSW_SX_EUlSW_E_NS1_11comp_targetILNS1_3genE3ELNS1_11target_archE908ELNS1_3gpuE7ELNS1_3repE0EEENS1_30default_config_static_selectorELNS0_4arch9wavefront6targetE1EEEvT1_: ; @_ZN7rocprim17ROCPRIM_400000_NS6detail17trampoline_kernelINS0_14default_configENS1_27scan_by_key_config_selectorIisEEZZNS1_16scan_by_key_implILNS1_25lookback_scan_determinismE0ELb0ES3_N6thrust23THRUST_200600_302600_NS6detail15normal_iteratorINS9_10device_ptrIiEEEENSB_INSC_IsEEEESG_sNS9_4plusIvEENS9_8equal_toIvEEsEE10hipError_tPvRmT2_T3_T4_T5_mT6_T7_P12ihipStream_tbENKUlT_T0_E_clISt17integral_constantIbLb0EES10_IbLb1EEEEDaSW_SX_EUlSW_E_NS1_11comp_targetILNS1_3genE3ELNS1_11target_archE908ELNS1_3gpuE7ELNS1_3repE0EEENS1_30default_config_static_selectorELNS0_4arch9wavefront6targetE1EEEvT1_
; %bb.0:
	.section	.rodata,"a",@progbits
	.p2align	6, 0x0
	.amdhsa_kernel _ZN7rocprim17ROCPRIM_400000_NS6detail17trampoline_kernelINS0_14default_configENS1_27scan_by_key_config_selectorIisEEZZNS1_16scan_by_key_implILNS1_25lookback_scan_determinismE0ELb0ES3_N6thrust23THRUST_200600_302600_NS6detail15normal_iteratorINS9_10device_ptrIiEEEENSB_INSC_IsEEEESG_sNS9_4plusIvEENS9_8equal_toIvEEsEE10hipError_tPvRmT2_T3_T4_T5_mT6_T7_P12ihipStream_tbENKUlT_T0_E_clISt17integral_constantIbLb0EES10_IbLb1EEEEDaSW_SX_EUlSW_E_NS1_11comp_targetILNS1_3genE3ELNS1_11target_archE908ELNS1_3gpuE7ELNS1_3repE0EEENS1_30default_config_static_selectorELNS0_4arch9wavefront6targetE1EEEvT1_
		.amdhsa_group_segment_fixed_size 0
		.amdhsa_private_segment_fixed_size 0
		.amdhsa_kernarg_size 112
		.amdhsa_user_sgpr_count 6
		.amdhsa_user_sgpr_private_segment_buffer 1
		.amdhsa_user_sgpr_dispatch_ptr 0
		.amdhsa_user_sgpr_queue_ptr 0
		.amdhsa_user_sgpr_kernarg_segment_ptr 1
		.amdhsa_user_sgpr_dispatch_id 0
		.amdhsa_user_sgpr_flat_scratch_init 0
		.amdhsa_user_sgpr_kernarg_preload_length 0
		.amdhsa_user_sgpr_kernarg_preload_offset 0
		.amdhsa_user_sgpr_private_segment_size 0
		.amdhsa_uses_dynamic_stack 0
		.amdhsa_system_sgpr_private_segment_wavefront_offset 0
		.amdhsa_system_sgpr_workgroup_id_x 1
		.amdhsa_system_sgpr_workgroup_id_y 0
		.amdhsa_system_sgpr_workgroup_id_z 0
		.amdhsa_system_sgpr_workgroup_info 0
		.amdhsa_system_vgpr_workitem_id 0
		.amdhsa_next_free_vgpr 1
		.amdhsa_next_free_sgpr 0
		.amdhsa_accum_offset 4
		.amdhsa_reserve_vcc 0
		.amdhsa_reserve_flat_scratch 0
		.amdhsa_float_round_mode_32 0
		.amdhsa_float_round_mode_16_64 0
		.amdhsa_float_denorm_mode_32 3
		.amdhsa_float_denorm_mode_16_64 3
		.amdhsa_dx10_clamp 1
		.amdhsa_ieee_mode 1
		.amdhsa_fp16_overflow 0
		.amdhsa_tg_split 0
		.amdhsa_exception_fp_ieee_invalid_op 0
		.amdhsa_exception_fp_denorm_src 0
		.amdhsa_exception_fp_ieee_div_zero 0
		.amdhsa_exception_fp_ieee_overflow 0
		.amdhsa_exception_fp_ieee_underflow 0
		.amdhsa_exception_fp_ieee_inexact 0
		.amdhsa_exception_int_div_zero 0
	.end_amdhsa_kernel
	.section	.text._ZN7rocprim17ROCPRIM_400000_NS6detail17trampoline_kernelINS0_14default_configENS1_27scan_by_key_config_selectorIisEEZZNS1_16scan_by_key_implILNS1_25lookback_scan_determinismE0ELb0ES3_N6thrust23THRUST_200600_302600_NS6detail15normal_iteratorINS9_10device_ptrIiEEEENSB_INSC_IsEEEESG_sNS9_4plusIvEENS9_8equal_toIvEEsEE10hipError_tPvRmT2_T3_T4_T5_mT6_T7_P12ihipStream_tbENKUlT_T0_E_clISt17integral_constantIbLb0EES10_IbLb1EEEEDaSW_SX_EUlSW_E_NS1_11comp_targetILNS1_3genE3ELNS1_11target_archE908ELNS1_3gpuE7ELNS1_3repE0EEENS1_30default_config_static_selectorELNS0_4arch9wavefront6targetE1EEEvT1_,"axG",@progbits,_ZN7rocprim17ROCPRIM_400000_NS6detail17trampoline_kernelINS0_14default_configENS1_27scan_by_key_config_selectorIisEEZZNS1_16scan_by_key_implILNS1_25lookback_scan_determinismE0ELb0ES3_N6thrust23THRUST_200600_302600_NS6detail15normal_iteratorINS9_10device_ptrIiEEEENSB_INSC_IsEEEESG_sNS9_4plusIvEENS9_8equal_toIvEEsEE10hipError_tPvRmT2_T3_T4_T5_mT6_T7_P12ihipStream_tbENKUlT_T0_E_clISt17integral_constantIbLb0EES10_IbLb1EEEEDaSW_SX_EUlSW_E_NS1_11comp_targetILNS1_3genE3ELNS1_11target_archE908ELNS1_3gpuE7ELNS1_3repE0EEENS1_30default_config_static_selectorELNS0_4arch9wavefront6targetE1EEEvT1_,comdat
.Lfunc_end1386:
	.size	_ZN7rocprim17ROCPRIM_400000_NS6detail17trampoline_kernelINS0_14default_configENS1_27scan_by_key_config_selectorIisEEZZNS1_16scan_by_key_implILNS1_25lookback_scan_determinismE0ELb0ES3_N6thrust23THRUST_200600_302600_NS6detail15normal_iteratorINS9_10device_ptrIiEEEENSB_INSC_IsEEEESG_sNS9_4plusIvEENS9_8equal_toIvEEsEE10hipError_tPvRmT2_T3_T4_T5_mT6_T7_P12ihipStream_tbENKUlT_T0_E_clISt17integral_constantIbLb0EES10_IbLb1EEEEDaSW_SX_EUlSW_E_NS1_11comp_targetILNS1_3genE3ELNS1_11target_archE908ELNS1_3gpuE7ELNS1_3repE0EEENS1_30default_config_static_selectorELNS0_4arch9wavefront6targetE1EEEvT1_, .Lfunc_end1386-_ZN7rocprim17ROCPRIM_400000_NS6detail17trampoline_kernelINS0_14default_configENS1_27scan_by_key_config_selectorIisEEZZNS1_16scan_by_key_implILNS1_25lookback_scan_determinismE0ELb0ES3_N6thrust23THRUST_200600_302600_NS6detail15normal_iteratorINS9_10device_ptrIiEEEENSB_INSC_IsEEEESG_sNS9_4plusIvEENS9_8equal_toIvEEsEE10hipError_tPvRmT2_T3_T4_T5_mT6_T7_P12ihipStream_tbENKUlT_T0_E_clISt17integral_constantIbLb0EES10_IbLb1EEEEDaSW_SX_EUlSW_E_NS1_11comp_targetILNS1_3genE3ELNS1_11target_archE908ELNS1_3gpuE7ELNS1_3repE0EEENS1_30default_config_static_selectorELNS0_4arch9wavefront6targetE1EEEvT1_
                                        ; -- End function
	.section	.AMDGPU.csdata,"",@progbits
; Kernel info:
; codeLenInByte = 0
; NumSgprs: 4
; NumVgprs: 0
; NumAgprs: 0
; TotalNumVgprs: 0
; ScratchSize: 0
; MemoryBound: 0
; FloatMode: 240
; IeeeMode: 1
; LDSByteSize: 0 bytes/workgroup (compile time only)
; SGPRBlocks: 0
; VGPRBlocks: 0
; NumSGPRsForWavesPerEU: 4
; NumVGPRsForWavesPerEU: 1
; AccumOffset: 4
; Occupancy: 8
; WaveLimiterHint : 0
; COMPUTE_PGM_RSRC2:SCRATCH_EN: 0
; COMPUTE_PGM_RSRC2:USER_SGPR: 6
; COMPUTE_PGM_RSRC2:TRAP_HANDLER: 0
; COMPUTE_PGM_RSRC2:TGID_X_EN: 1
; COMPUTE_PGM_RSRC2:TGID_Y_EN: 0
; COMPUTE_PGM_RSRC2:TGID_Z_EN: 0
; COMPUTE_PGM_RSRC2:TIDIG_COMP_CNT: 0
; COMPUTE_PGM_RSRC3_GFX90A:ACCUM_OFFSET: 0
; COMPUTE_PGM_RSRC3_GFX90A:TG_SPLIT: 0
	.section	.text._ZN7rocprim17ROCPRIM_400000_NS6detail17trampoline_kernelINS0_14default_configENS1_27scan_by_key_config_selectorIisEEZZNS1_16scan_by_key_implILNS1_25lookback_scan_determinismE0ELb0ES3_N6thrust23THRUST_200600_302600_NS6detail15normal_iteratorINS9_10device_ptrIiEEEENSB_INSC_IsEEEESG_sNS9_4plusIvEENS9_8equal_toIvEEsEE10hipError_tPvRmT2_T3_T4_T5_mT6_T7_P12ihipStream_tbENKUlT_T0_E_clISt17integral_constantIbLb0EES10_IbLb1EEEEDaSW_SX_EUlSW_E_NS1_11comp_targetILNS1_3genE2ELNS1_11target_archE906ELNS1_3gpuE6ELNS1_3repE0EEENS1_30default_config_static_selectorELNS0_4arch9wavefront6targetE1EEEvT1_,"axG",@progbits,_ZN7rocprim17ROCPRIM_400000_NS6detail17trampoline_kernelINS0_14default_configENS1_27scan_by_key_config_selectorIisEEZZNS1_16scan_by_key_implILNS1_25lookback_scan_determinismE0ELb0ES3_N6thrust23THRUST_200600_302600_NS6detail15normal_iteratorINS9_10device_ptrIiEEEENSB_INSC_IsEEEESG_sNS9_4plusIvEENS9_8equal_toIvEEsEE10hipError_tPvRmT2_T3_T4_T5_mT6_T7_P12ihipStream_tbENKUlT_T0_E_clISt17integral_constantIbLb0EES10_IbLb1EEEEDaSW_SX_EUlSW_E_NS1_11comp_targetILNS1_3genE2ELNS1_11target_archE906ELNS1_3gpuE6ELNS1_3repE0EEENS1_30default_config_static_selectorELNS0_4arch9wavefront6targetE1EEEvT1_,comdat
	.protected	_ZN7rocprim17ROCPRIM_400000_NS6detail17trampoline_kernelINS0_14default_configENS1_27scan_by_key_config_selectorIisEEZZNS1_16scan_by_key_implILNS1_25lookback_scan_determinismE0ELb0ES3_N6thrust23THRUST_200600_302600_NS6detail15normal_iteratorINS9_10device_ptrIiEEEENSB_INSC_IsEEEESG_sNS9_4plusIvEENS9_8equal_toIvEEsEE10hipError_tPvRmT2_T3_T4_T5_mT6_T7_P12ihipStream_tbENKUlT_T0_E_clISt17integral_constantIbLb0EES10_IbLb1EEEEDaSW_SX_EUlSW_E_NS1_11comp_targetILNS1_3genE2ELNS1_11target_archE906ELNS1_3gpuE6ELNS1_3repE0EEENS1_30default_config_static_selectorELNS0_4arch9wavefront6targetE1EEEvT1_ ; -- Begin function _ZN7rocprim17ROCPRIM_400000_NS6detail17trampoline_kernelINS0_14default_configENS1_27scan_by_key_config_selectorIisEEZZNS1_16scan_by_key_implILNS1_25lookback_scan_determinismE0ELb0ES3_N6thrust23THRUST_200600_302600_NS6detail15normal_iteratorINS9_10device_ptrIiEEEENSB_INSC_IsEEEESG_sNS9_4plusIvEENS9_8equal_toIvEEsEE10hipError_tPvRmT2_T3_T4_T5_mT6_T7_P12ihipStream_tbENKUlT_T0_E_clISt17integral_constantIbLb0EES10_IbLb1EEEEDaSW_SX_EUlSW_E_NS1_11comp_targetILNS1_3genE2ELNS1_11target_archE906ELNS1_3gpuE6ELNS1_3repE0EEENS1_30default_config_static_selectorELNS0_4arch9wavefront6targetE1EEEvT1_
	.globl	_ZN7rocprim17ROCPRIM_400000_NS6detail17trampoline_kernelINS0_14default_configENS1_27scan_by_key_config_selectorIisEEZZNS1_16scan_by_key_implILNS1_25lookback_scan_determinismE0ELb0ES3_N6thrust23THRUST_200600_302600_NS6detail15normal_iteratorINS9_10device_ptrIiEEEENSB_INSC_IsEEEESG_sNS9_4plusIvEENS9_8equal_toIvEEsEE10hipError_tPvRmT2_T3_T4_T5_mT6_T7_P12ihipStream_tbENKUlT_T0_E_clISt17integral_constantIbLb0EES10_IbLb1EEEEDaSW_SX_EUlSW_E_NS1_11comp_targetILNS1_3genE2ELNS1_11target_archE906ELNS1_3gpuE6ELNS1_3repE0EEENS1_30default_config_static_selectorELNS0_4arch9wavefront6targetE1EEEvT1_
	.p2align	8
	.type	_ZN7rocprim17ROCPRIM_400000_NS6detail17trampoline_kernelINS0_14default_configENS1_27scan_by_key_config_selectorIisEEZZNS1_16scan_by_key_implILNS1_25lookback_scan_determinismE0ELb0ES3_N6thrust23THRUST_200600_302600_NS6detail15normal_iteratorINS9_10device_ptrIiEEEENSB_INSC_IsEEEESG_sNS9_4plusIvEENS9_8equal_toIvEEsEE10hipError_tPvRmT2_T3_T4_T5_mT6_T7_P12ihipStream_tbENKUlT_T0_E_clISt17integral_constantIbLb0EES10_IbLb1EEEEDaSW_SX_EUlSW_E_NS1_11comp_targetILNS1_3genE2ELNS1_11target_archE906ELNS1_3gpuE6ELNS1_3repE0EEENS1_30default_config_static_selectorELNS0_4arch9wavefront6targetE1EEEvT1_,@function
_ZN7rocprim17ROCPRIM_400000_NS6detail17trampoline_kernelINS0_14default_configENS1_27scan_by_key_config_selectorIisEEZZNS1_16scan_by_key_implILNS1_25lookback_scan_determinismE0ELb0ES3_N6thrust23THRUST_200600_302600_NS6detail15normal_iteratorINS9_10device_ptrIiEEEENSB_INSC_IsEEEESG_sNS9_4plusIvEENS9_8equal_toIvEEsEE10hipError_tPvRmT2_T3_T4_T5_mT6_T7_P12ihipStream_tbENKUlT_T0_E_clISt17integral_constantIbLb0EES10_IbLb1EEEEDaSW_SX_EUlSW_E_NS1_11comp_targetILNS1_3genE2ELNS1_11target_archE906ELNS1_3gpuE6ELNS1_3repE0EEENS1_30default_config_static_selectorELNS0_4arch9wavefront6targetE1EEEvT1_: ; @_ZN7rocprim17ROCPRIM_400000_NS6detail17trampoline_kernelINS0_14default_configENS1_27scan_by_key_config_selectorIisEEZZNS1_16scan_by_key_implILNS1_25lookback_scan_determinismE0ELb0ES3_N6thrust23THRUST_200600_302600_NS6detail15normal_iteratorINS9_10device_ptrIiEEEENSB_INSC_IsEEEESG_sNS9_4plusIvEENS9_8equal_toIvEEsEE10hipError_tPvRmT2_T3_T4_T5_mT6_T7_P12ihipStream_tbENKUlT_T0_E_clISt17integral_constantIbLb0EES10_IbLb1EEEEDaSW_SX_EUlSW_E_NS1_11comp_targetILNS1_3genE2ELNS1_11target_archE906ELNS1_3gpuE6ELNS1_3repE0EEENS1_30default_config_static_selectorELNS0_4arch9wavefront6targetE1EEEvT1_
; %bb.0:
	.section	.rodata,"a",@progbits
	.p2align	6, 0x0
	.amdhsa_kernel _ZN7rocprim17ROCPRIM_400000_NS6detail17trampoline_kernelINS0_14default_configENS1_27scan_by_key_config_selectorIisEEZZNS1_16scan_by_key_implILNS1_25lookback_scan_determinismE0ELb0ES3_N6thrust23THRUST_200600_302600_NS6detail15normal_iteratorINS9_10device_ptrIiEEEENSB_INSC_IsEEEESG_sNS9_4plusIvEENS9_8equal_toIvEEsEE10hipError_tPvRmT2_T3_T4_T5_mT6_T7_P12ihipStream_tbENKUlT_T0_E_clISt17integral_constantIbLb0EES10_IbLb1EEEEDaSW_SX_EUlSW_E_NS1_11comp_targetILNS1_3genE2ELNS1_11target_archE906ELNS1_3gpuE6ELNS1_3repE0EEENS1_30default_config_static_selectorELNS0_4arch9wavefront6targetE1EEEvT1_
		.amdhsa_group_segment_fixed_size 0
		.amdhsa_private_segment_fixed_size 0
		.amdhsa_kernarg_size 112
		.amdhsa_user_sgpr_count 6
		.amdhsa_user_sgpr_private_segment_buffer 1
		.amdhsa_user_sgpr_dispatch_ptr 0
		.amdhsa_user_sgpr_queue_ptr 0
		.amdhsa_user_sgpr_kernarg_segment_ptr 1
		.amdhsa_user_sgpr_dispatch_id 0
		.amdhsa_user_sgpr_flat_scratch_init 0
		.amdhsa_user_sgpr_kernarg_preload_length 0
		.amdhsa_user_sgpr_kernarg_preload_offset 0
		.amdhsa_user_sgpr_private_segment_size 0
		.amdhsa_uses_dynamic_stack 0
		.amdhsa_system_sgpr_private_segment_wavefront_offset 0
		.amdhsa_system_sgpr_workgroup_id_x 1
		.amdhsa_system_sgpr_workgroup_id_y 0
		.amdhsa_system_sgpr_workgroup_id_z 0
		.amdhsa_system_sgpr_workgroup_info 0
		.amdhsa_system_vgpr_workitem_id 0
		.amdhsa_next_free_vgpr 1
		.amdhsa_next_free_sgpr 0
		.amdhsa_accum_offset 4
		.amdhsa_reserve_vcc 0
		.amdhsa_reserve_flat_scratch 0
		.amdhsa_float_round_mode_32 0
		.amdhsa_float_round_mode_16_64 0
		.amdhsa_float_denorm_mode_32 3
		.amdhsa_float_denorm_mode_16_64 3
		.amdhsa_dx10_clamp 1
		.amdhsa_ieee_mode 1
		.amdhsa_fp16_overflow 0
		.amdhsa_tg_split 0
		.amdhsa_exception_fp_ieee_invalid_op 0
		.amdhsa_exception_fp_denorm_src 0
		.amdhsa_exception_fp_ieee_div_zero 0
		.amdhsa_exception_fp_ieee_overflow 0
		.amdhsa_exception_fp_ieee_underflow 0
		.amdhsa_exception_fp_ieee_inexact 0
		.amdhsa_exception_int_div_zero 0
	.end_amdhsa_kernel
	.section	.text._ZN7rocprim17ROCPRIM_400000_NS6detail17trampoline_kernelINS0_14default_configENS1_27scan_by_key_config_selectorIisEEZZNS1_16scan_by_key_implILNS1_25lookback_scan_determinismE0ELb0ES3_N6thrust23THRUST_200600_302600_NS6detail15normal_iteratorINS9_10device_ptrIiEEEENSB_INSC_IsEEEESG_sNS9_4plusIvEENS9_8equal_toIvEEsEE10hipError_tPvRmT2_T3_T4_T5_mT6_T7_P12ihipStream_tbENKUlT_T0_E_clISt17integral_constantIbLb0EES10_IbLb1EEEEDaSW_SX_EUlSW_E_NS1_11comp_targetILNS1_3genE2ELNS1_11target_archE906ELNS1_3gpuE6ELNS1_3repE0EEENS1_30default_config_static_selectorELNS0_4arch9wavefront6targetE1EEEvT1_,"axG",@progbits,_ZN7rocprim17ROCPRIM_400000_NS6detail17trampoline_kernelINS0_14default_configENS1_27scan_by_key_config_selectorIisEEZZNS1_16scan_by_key_implILNS1_25lookback_scan_determinismE0ELb0ES3_N6thrust23THRUST_200600_302600_NS6detail15normal_iteratorINS9_10device_ptrIiEEEENSB_INSC_IsEEEESG_sNS9_4plusIvEENS9_8equal_toIvEEsEE10hipError_tPvRmT2_T3_T4_T5_mT6_T7_P12ihipStream_tbENKUlT_T0_E_clISt17integral_constantIbLb0EES10_IbLb1EEEEDaSW_SX_EUlSW_E_NS1_11comp_targetILNS1_3genE2ELNS1_11target_archE906ELNS1_3gpuE6ELNS1_3repE0EEENS1_30default_config_static_selectorELNS0_4arch9wavefront6targetE1EEEvT1_,comdat
.Lfunc_end1387:
	.size	_ZN7rocprim17ROCPRIM_400000_NS6detail17trampoline_kernelINS0_14default_configENS1_27scan_by_key_config_selectorIisEEZZNS1_16scan_by_key_implILNS1_25lookback_scan_determinismE0ELb0ES3_N6thrust23THRUST_200600_302600_NS6detail15normal_iteratorINS9_10device_ptrIiEEEENSB_INSC_IsEEEESG_sNS9_4plusIvEENS9_8equal_toIvEEsEE10hipError_tPvRmT2_T3_T4_T5_mT6_T7_P12ihipStream_tbENKUlT_T0_E_clISt17integral_constantIbLb0EES10_IbLb1EEEEDaSW_SX_EUlSW_E_NS1_11comp_targetILNS1_3genE2ELNS1_11target_archE906ELNS1_3gpuE6ELNS1_3repE0EEENS1_30default_config_static_selectorELNS0_4arch9wavefront6targetE1EEEvT1_, .Lfunc_end1387-_ZN7rocprim17ROCPRIM_400000_NS6detail17trampoline_kernelINS0_14default_configENS1_27scan_by_key_config_selectorIisEEZZNS1_16scan_by_key_implILNS1_25lookback_scan_determinismE0ELb0ES3_N6thrust23THRUST_200600_302600_NS6detail15normal_iteratorINS9_10device_ptrIiEEEENSB_INSC_IsEEEESG_sNS9_4plusIvEENS9_8equal_toIvEEsEE10hipError_tPvRmT2_T3_T4_T5_mT6_T7_P12ihipStream_tbENKUlT_T0_E_clISt17integral_constantIbLb0EES10_IbLb1EEEEDaSW_SX_EUlSW_E_NS1_11comp_targetILNS1_3genE2ELNS1_11target_archE906ELNS1_3gpuE6ELNS1_3repE0EEENS1_30default_config_static_selectorELNS0_4arch9wavefront6targetE1EEEvT1_
                                        ; -- End function
	.section	.AMDGPU.csdata,"",@progbits
; Kernel info:
; codeLenInByte = 0
; NumSgprs: 4
; NumVgprs: 0
; NumAgprs: 0
; TotalNumVgprs: 0
; ScratchSize: 0
; MemoryBound: 0
; FloatMode: 240
; IeeeMode: 1
; LDSByteSize: 0 bytes/workgroup (compile time only)
; SGPRBlocks: 0
; VGPRBlocks: 0
; NumSGPRsForWavesPerEU: 4
; NumVGPRsForWavesPerEU: 1
; AccumOffset: 4
; Occupancy: 8
; WaveLimiterHint : 0
; COMPUTE_PGM_RSRC2:SCRATCH_EN: 0
; COMPUTE_PGM_RSRC2:USER_SGPR: 6
; COMPUTE_PGM_RSRC2:TRAP_HANDLER: 0
; COMPUTE_PGM_RSRC2:TGID_X_EN: 1
; COMPUTE_PGM_RSRC2:TGID_Y_EN: 0
; COMPUTE_PGM_RSRC2:TGID_Z_EN: 0
; COMPUTE_PGM_RSRC2:TIDIG_COMP_CNT: 0
; COMPUTE_PGM_RSRC3_GFX90A:ACCUM_OFFSET: 0
; COMPUTE_PGM_RSRC3_GFX90A:TG_SPLIT: 0
	.section	.text._ZN7rocprim17ROCPRIM_400000_NS6detail17trampoline_kernelINS0_14default_configENS1_27scan_by_key_config_selectorIisEEZZNS1_16scan_by_key_implILNS1_25lookback_scan_determinismE0ELb0ES3_N6thrust23THRUST_200600_302600_NS6detail15normal_iteratorINS9_10device_ptrIiEEEENSB_INSC_IsEEEESG_sNS9_4plusIvEENS9_8equal_toIvEEsEE10hipError_tPvRmT2_T3_T4_T5_mT6_T7_P12ihipStream_tbENKUlT_T0_E_clISt17integral_constantIbLb0EES10_IbLb1EEEEDaSW_SX_EUlSW_E_NS1_11comp_targetILNS1_3genE10ELNS1_11target_archE1200ELNS1_3gpuE4ELNS1_3repE0EEENS1_30default_config_static_selectorELNS0_4arch9wavefront6targetE1EEEvT1_,"axG",@progbits,_ZN7rocprim17ROCPRIM_400000_NS6detail17trampoline_kernelINS0_14default_configENS1_27scan_by_key_config_selectorIisEEZZNS1_16scan_by_key_implILNS1_25lookback_scan_determinismE0ELb0ES3_N6thrust23THRUST_200600_302600_NS6detail15normal_iteratorINS9_10device_ptrIiEEEENSB_INSC_IsEEEESG_sNS9_4plusIvEENS9_8equal_toIvEEsEE10hipError_tPvRmT2_T3_T4_T5_mT6_T7_P12ihipStream_tbENKUlT_T0_E_clISt17integral_constantIbLb0EES10_IbLb1EEEEDaSW_SX_EUlSW_E_NS1_11comp_targetILNS1_3genE10ELNS1_11target_archE1200ELNS1_3gpuE4ELNS1_3repE0EEENS1_30default_config_static_selectorELNS0_4arch9wavefront6targetE1EEEvT1_,comdat
	.protected	_ZN7rocprim17ROCPRIM_400000_NS6detail17trampoline_kernelINS0_14default_configENS1_27scan_by_key_config_selectorIisEEZZNS1_16scan_by_key_implILNS1_25lookback_scan_determinismE0ELb0ES3_N6thrust23THRUST_200600_302600_NS6detail15normal_iteratorINS9_10device_ptrIiEEEENSB_INSC_IsEEEESG_sNS9_4plusIvEENS9_8equal_toIvEEsEE10hipError_tPvRmT2_T3_T4_T5_mT6_T7_P12ihipStream_tbENKUlT_T0_E_clISt17integral_constantIbLb0EES10_IbLb1EEEEDaSW_SX_EUlSW_E_NS1_11comp_targetILNS1_3genE10ELNS1_11target_archE1200ELNS1_3gpuE4ELNS1_3repE0EEENS1_30default_config_static_selectorELNS0_4arch9wavefront6targetE1EEEvT1_ ; -- Begin function _ZN7rocprim17ROCPRIM_400000_NS6detail17trampoline_kernelINS0_14default_configENS1_27scan_by_key_config_selectorIisEEZZNS1_16scan_by_key_implILNS1_25lookback_scan_determinismE0ELb0ES3_N6thrust23THRUST_200600_302600_NS6detail15normal_iteratorINS9_10device_ptrIiEEEENSB_INSC_IsEEEESG_sNS9_4plusIvEENS9_8equal_toIvEEsEE10hipError_tPvRmT2_T3_T4_T5_mT6_T7_P12ihipStream_tbENKUlT_T0_E_clISt17integral_constantIbLb0EES10_IbLb1EEEEDaSW_SX_EUlSW_E_NS1_11comp_targetILNS1_3genE10ELNS1_11target_archE1200ELNS1_3gpuE4ELNS1_3repE0EEENS1_30default_config_static_selectorELNS0_4arch9wavefront6targetE1EEEvT1_
	.globl	_ZN7rocprim17ROCPRIM_400000_NS6detail17trampoline_kernelINS0_14default_configENS1_27scan_by_key_config_selectorIisEEZZNS1_16scan_by_key_implILNS1_25lookback_scan_determinismE0ELb0ES3_N6thrust23THRUST_200600_302600_NS6detail15normal_iteratorINS9_10device_ptrIiEEEENSB_INSC_IsEEEESG_sNS9_4plusIvEENS9_8equal_toIvEEsEE10hipError_tPvRmT2_T3_T4_T5_mT6_T7_P12ihipStream_tbENKUlT_T0_E_clISt17integral_constantIbLb0EES10_IbLb1EEEEDaSW_SX_EUlSW_E_NS1_11comp_targetILNS1_3genE10ELNS1_11target_archE1200ELNS1_3gpuE4ELNS1_3repE0EEENS1_30default_config_static_selectorELNS0_4arch9wavefront6targetE1EEEvT1_
	.p2align	8
	.type	_ZN7rocprim17ROCPRIM_400000_NS6detail17trampoline_kernelINS0_14default_configENS1_27scan_by_key_config_selectorIisEEZZNS1_16scan_by_key_implILNS1_25lookback_scan_determinismE0ELb0ES3_N6thrust23THRUST_200600_302600_NS6detail15normal_iteratorINS9_10device_ptrIiEEEENSB_INSC_IsEEEESG_sNS9_4plusIvEENS9_8equal_toIvEEsEE10hipError_tPvRmT2_T3_T4_T5_mT6_T7_P12ihipStream_tbENKUlT_T0_E_clISt17integral_constantIbLb0EES10_IbLb1EEEEDaSW_SX_EUlSW_E_NS1_11comp_targetILNS1_3genE10ELNS1_11target_archE1200ELNS1_3gpuE4ELNS1_3repE0EEENS1_30default_config_static_selectorELNS0_4arch9wavefront6targetE1EEEvT1_,@function
_ZN7rocprim17ROCPRIM_400000_NS6detail17trampoline_kernelINS0_14default_configENS1_27scan_by_key_config_selectorIisEEZZNS1_16scan_by_key_implILNS1_25lookback_scan_determinismE0ELb0ES3_N6thrust23THRUST_200600_302600_NS6detail15normal_iteratorINS9_10device_ptrIiEEEENSB_INSC_IsEEEESG_sNS9_4plusIvEENS9_8equal_toIvEEsEE10hipError_tPvRmT2_T3_T4_T5_mT6_T7_P12ihipStream_tbENKUlT_T0_E_clISt17integral_constantIbLb0EES10_IbLb1EEEEDaSW_SX_EUlSW_E_NS1_11comp_targetILNS1_3genE10ELNS1_11target_archE1200ELNS1_3gpuE4ELNS1_3repE0EEENS1_30default_config_static_selectorELNS0_4arch9wavefront6targetE1EEEvT1_: ; @_ZN7rocprim17ROCPRIM_400000_NS6detail17trampoline_kernelINS0_14default_configENS1_27scan_by_key_config_selectorIisEEZZNS1_16scan_by_key_implILNS1_25lookback_scan_determinismE0ELb0ES3_N6thrust23THRUST_200600_302600_NS6detail15normal_iteratorINS9_10device_ptrIiEEEENSB_INSC_IsEEEESG_sNS9_4plusIvEENS9_8equal_toIvEEsEE10hipError_tPvRmT2_T3_T4_T5_mT6_T7_P12ihipStream_tbENKUlT_T0_E_clISt17integral_constantIbLb0EES10_IbLb1EEEEDaSW_SX_EUlSW_E_NS1_11comp_targetILNS1_3genE10ELNS1_11target_archE1200ELNS1_3gpuE4ELNS1_3repE0EEENS1_30default_config_static_selectorELNS0_4arch9wavefront6targetE1EEEvT1_
; %bb.0:
	.section	.rodata,"a",@progbits
	.p2align	6, 0x0
	.amdhsa_kernel _ZN7rocprim17ROCPRIM_400000_NS6detail17trampoline_kernelINS0_14default_configENS1_27scan_by_key_config_selectorIisEEZZNS1_16scan_by_key_implILNS1_25lookback_scan_determinismE0ELb0ES3_N6thrust23THRUST_200600_302600_NS6detail15normal_iteratorINS9_10device_ptrIiEEEENSB_INSC_IsEEEESG_sNS9_4plusIvEENS9_8equal_toIvEEsEE10hipError_tPvRmT2_T3_T4_T5_mT6_T7_P12ihipStream_tbENKUlT_T0_E_clISt17integral_constantIbLb0EES10_IbLb1EEEEDaSW_SX_EUlSW_E_NS1_11comp_targetILNS1_3genE10ELNS1_11target_archE1200ELNS1_3gpuE4ELNS1_3repE0EEENS1_30default_config_static_selectorELNS0_4arch9wavefront6targetE1EEEvT1_
		.amdhsa_group_segment_fixed_size 0
		.amdhsa_private_segment_fixed_size 0
		.amdhsa_kernarg_size 112
		.amdhsa_user_sgpr_count 6
		.amdhsa_user_sgpr_private_segment_buffer 1
		.amdhsa_user_sgpr_dispatch_ptr 0
		.amdhsa_user_sgpr_queue_ptr 0
		.amdhsa_user_sgpr_kernarg_segment_ptr 1
		.amdhsa_user_sgpr_dispatch_id 0
		.amdhsa_user_sgpr_flat_scratch_init 0
		.amdhsa_user_sgpr_kernarg_preload_length 0
		.amdhsa_user_sgpr_kernarg_preload_offset 0
		.amdhsa_user_sgpr_private_segment_size 0
		.amdhsa_uses_dynamic_stack 0
		.amdhsa_system_sgpr_private_segment_wavefront_offset 0
		.amdhsa_system_sgpr_workgroup_id_x 1
		.amdhsa_system_sgpr_workgroup_id_y 0
		.amdhsa_system_sgpr_workgroup_id_z 0
		.amdhsa_system_sgpr_workgroup_info 0
		.amdhsa_system_vgpr_workitem_id 0
		.amdhsa_next_free_vgpr 1
		.amdhsa_next_free_sgpr 0
		.amdhsa_accum_offset 4
		.amdhsa_reserve_vcc 0
		.amdhsa_reserve_flat_scratch 0
		.amdhsa_float_round_mode_32 0
		.amdhsa_float_round_mode_16_64 0
		.amdhsa_float_denorm_mode_32 3
		.amdhsa_float_denorm_mode_16_64 3
		.amdhsa_dx10_clamp 1
		.amdhsa_ieee_mode 1
		.amdhsa_fp16_overflow 0
		.amdhsa_tg_split 0
		.amdhsa_exception_fp_ieee_invalid_op 0
		.amdhsa_exception_fp_denorm_src 0
		.amdhsa_exception_fp_ieee_div_zero 0
		.amdhsa_exception_fp_ieee_overflow 0
		.amdhsa_exception_fp_ieee_underflow 0
		.amdhsa_exception_fp_ieee_inexact 0
		.amdhsa_exception_int_div_zero 0
	.end_amdhsa_kernel
	.section	.text._ZN7rocprim17ROCPRIM_400000_NS6detail17trampoline_kernelINS0_14default_configENS1_27scan_by_key_config_selectorIisEEZZNS1_16scan_by_key_implILNS1_25lookback_scan_determinismE0ELb0ES3_N6thrust23THRUST_200600_302600_NS6detail15normal_iteratorINS9_10device_ptrIiEEEENSB_INSC_IsEEEESG_sNS9_4plusIvEENS9_8equal_toIvEEsEE10hipError_tPvRmT2_T3_T4_T5_mT6_T7_P12ihipStream_tbENKUlT_T0_E_clISt17integral_constantIbLb0EES10_IbLb1EEEEDaSW_SX_EUlSW_E_NS1_11comp_targetILNS1_3genE10ELNS1_11target_archE1200ELNS1_3gpuE4ELNS1_3repE0EEENS1_30default_config_static_selectorELNS0_4arch9wavefront6targetE1EEEvT1_,"axG",@progbits,_ZN7rocprim17ROCPRIM_400000_NS6detail17trampoline_kernelINS0_14default_configENS1_27scan_by_key_config_selectorIisEEZZNS1_16scan_by_key_implILNS1_25lookback_scan_determinismE0ELb0ES3_N6thrust23THRUST_200600_302600_NS6detail15normal_iteratorINS9_10device_ptrIiEEEENSB_INSC_IsEEEESG_sNS9_4plusIvEENS9_8equal_toIvEEsEE10hipError_tPvRmT2_T3_T4_T5_mT6_T7_P12ihipStream_tbENKUlT_T0_E_clISt17integral_constantIbLb0EES10_IbLb1EEEEDaSW_SX_EUlSW_E_NS1_11comp_targetILNS1_3genE10ELNS1_11target_archE1200ELNS1_3gpuE4ELNS1_3repE0EEENS1_30default_config_static_selectorELNS0_4arch9wavefront6targetE1EEEvT1_,comdat
.Lfunc_end1388:
	.size	_ZN7rocprim17ROCPRIM_400000_NS6detail17trampoline_kernelINS0_14default_configENS1_27scan_by_key_config_selectorIisEEZZNS1_16scan_by_key_implILNS1_25lookback_scan_determinismE0ELb0ES3_N6thrust23THRUST_200600_302600_NS6detail15normal_iteratorINS9_10device_ptrIiEEEENSB_INSC_IsEEEESG_sNS9_4plusIvEENS9_8equal_toIvEEsEE10hipError_tPvRmT2_T3_T4_T5_mT6_T7_P12ihipStream_tbENKUlT_T0_E_clISt17integral_constantIbLb0EES10_IbLb1EEEEDaSW_SX_EUlSW_E_NS1_11comp_targetILNS1_3genE10ELNS1_11target_archE1200ELNS1_3gpuE4ELNS1_3repE0EEENS1_30default_config_static_selectorELNS0_4arch9wavefront6targetE1EEEvT1_, .Lfunc_end1388-_ZN7rocprim17ROCPRIM_400000_NS6detail17trampoline_kernelINS0_14default_configENS1_27scan_by_key_config_selectorIisEEZZNS1_16scan_by_key_implILNS1_25lookback_scan_determinismE0ELb0ES3_N6thrust23THRUST_200600_302600_NS6detail15normal_iteratorINS9_10device_ptrIiEEEENSB_INSC_IsEEEESG_sNS9_4plusIvEENS9_8equal_toIvEEsEE10hipError_tPvRmT2_T3_T4_T5_mT6_T7_P12ihipStream_tbENKUlT_T0_E_clISt17integral_constantIbLb0EES10_IbLb1EEEEDaSW_SX_EUlSW_E_NS1_11comp_targetILNS1_3genE10ELNS1_11target_archE1200ELNS1_3gpuE4ELNS1_3repE0EEENS1_30default_config_static_selectorELNS0_4arch9wavefront6targetE1EEEvT1_
                                        ; -- End function
	.section	.AMDGPU.csdata,"",@progbits
; Kernel info:
; codeLenInByte = 0
; NumSgprs: 4
; NumVgprs: 0
; NumAgprs: 0
; TotalNumVgprs: 0
; ScratchSize: 0
; MemoryBound: 0
; FloatMode: 240
; IeeeMode: 1
; LDSByteSize: 0 bytes/workgroup (compile time only)
; SGPRBlocks: 0
; VGPRBlocks: 0
; NumSGPRsForWavesPerEU: 4
; NumVGPRsForWavesPerEU: 1
; AccumOffset: 4
; Occupancy: 8
; WaveLimiterHint : 0
; COMPUTE_PGM_RSRC2:SCRATCH_EN: 0
; COMPUTE_PGM_RSRC2:USER_SGPR: 6
; COMPUTE_PGM_RSRC2:TRAP_HANDLER: 0
; COMPUTE_PGM_RSRC2:TGID_X_EN: 1
; COMPUTE_PGM_RSRC2:TGID_Y_EN: 0
; COMPUTE_PGM_RSRC2:TGID_Z_EN: 0
; COMPUTE_PGM_RSRC2:TIDIG_COMP_CNT: 0
; COMPUTE_PGM_RSRC3_GFX90A:ACCUM_OFFSET: 0
; COMPUTE_PGM_RSRC3_GFX90A:TG_SPLIT: 0
	.section	.text._ZN7rocprim17ROCPRIM_400000_NS6detail17trampoline_kernelINS0_14default_configENS1_27scan_by_key_config_selectorIisEEZZNS1_16scan_by_key_implILNS1_25lookback_scan_determinismE0ELb0ES3_N6thrust23THRUST_200600_302600_NS6detail15normal_iteratorINS9_10device_ptrIiEEEENSB_INSC_IsEEEESG_sNS9_4plusIvEENS9_8equal_toIvEEsEE10hipError_tPvRmT2_T3_T4_T5_mT6_T7_P12ihipStream_tbENKUlT_T0_E_clISt17integral_constantIbLb0EES10_IbLb1EEEEDaSW_SX_EUlSW_E_NS1_11comp_targetILNS1_3genE9ELNS1_11target_archE1100ELNS1_3gpuE3ELNS1_3repE0EEENS1_30default_config_static_selectorELNS0_4arch9wavefront6targetE1EEEvT1_,"axG",@progbits,_ZN7rocprim17ROCPRIM_400000_NS6detail17trampoline_kernelINS0_14default_configENS1_27scan_by_key_config_selectorIisEEZZNS1_16scan_by_key_implILNS1_25lookback_scan_determinismE0ELb0ES3_N6thrust23THRUST_200600_302600_NS6detail15normal_iteratorINS9_10device_ptrIiEEEENSB_INSC_IsEEEESG_sNS9_4plusIvEENS9_8equal_toIvEEsEE10hipError_tPvRmT2_T3_T4_T5_mT6_T7_P12ihipStream_tbENKUlT_T0_E_clISt17integral_constantIbLb0EES10_IbLb1EEEEDaSW_SX_EUlSW_E_NS1_11comp_targetILNS1_3genE9ELNS1_11target_archE1100ELNS1_3gpuE3ELNS1_3repE0EEENS1_30default_config_static_selectorELNS0_4arch9wavefront6targetE1EEEvT1_,comdat
	.protected	_ZN7rocprim17ROCPRIM_400000_NS6detail17trampoline_kernelINS0_14default_configENS1_27scan_by_key_config_selectorIisEEZZNS1_16scan_by_key_implILNS1_25lookback_scan_determinismE0ELb0ES3_N6thrust23THRUST_200600_302600_NS6detail15normal_iteratorINS9_10device_ptrIiEEEENSB_INSC_IsEEEESG_sNS9_4plusIvEENS9_8equal_toIvEEsEE10hipError_tPvRmT2_T3_T4_T5_mT6_T7_P12ihipStream_tbENKUlT_T0_E_clISt17integral_constantIbLb0EES10_IbLb1EEEEDaSW_SX_EUlSW_E_NS1_11comp_targetILNS1_3genE9ELNS1_11target_archE1100ELNS1_3gpuE3ELNS1_3repE0EEENS1_30default_config_static_selectorELNS0_4arch9wavefront6targetE1EEEvT1_ ; -- Begin function _ZN7rocprim17ROCPRIM_400000_NS6detail17trampoline_kernelINS0_14default_configENS1_27scan_by_key_config_selectorIisEEZZNS1_16scan_by_key_implILNS1_25lookback_scan_determinismE0ELb0ES3_N6thrust23THRUST_200600_302600_NS6detail15normal_iteratorINS9_10device_ptrIiEEEENSB_INSC_IsEEEESG_sNS9_4plusIvEENS9_8equal_toIvEEsEE10hipError_tPvRmT2_T3_T4_T5_mT6_T7_P12ihipStream_tbENKUlT_T0_E_clISt17integral_constantIbLb0EES10_IbLb1EEEEDaSW_SX_EUlSW_E_NS1_11comp_targetILNS1_3genE9ELNS1_11target_archE1100ELNS1_3gpuE3ELNS1_3repE0EEENS1_30default_config_static_selectorELNS0_4arch9wavefront6targetE1EEEvT1_
	.globl	_ZN7rocprim17ROCPRIM_400000_NS6detail17trampoline_kernelINS0_14default_configENS1_27scan_by_key_config_selectorIisEEZZNS1_16scan_by_key_implILNS1_25lookback_scan_determinismE0ELb0ES3_N6thrust23THRUST_200600_302600_NS6detail15normal_iteratorINS9_10device_ptrIiEEEENSB_INSC_IsEEEESG_sNS9_4plusIvEENS9_8equal_toIvEEsEE10hipError_tPvRmT2_T3_T4_T5_mT6_T7_P12ihipStream_tbENKUlT_T0_E_clISt17integral_constantIbLb0EES10_IbLb1EEEEDaSW_SX_EUlSW_E_NS1_11comp_targetILNS1_3genE9ELNS1_11target_archE1100ELNS1_3gpuE3ELNS1_3repE0EEENS1_30default_config_static_selectorELNS0_4arch9wavefront6targetE1EEEvT1_
	.p2align	8
	.type	_ZN7rocprim17ROCPRIM_400000_NS6detail17trampoline_kernelINS0_14default_configENS1_27scan_by_key_config_selectorIisEEZZNS1_16scan_by_key_implILNS1_25lookback_scan_determinismE0ELb0ES3_N6thrust23THRUST_200600_302600_NS6detail15normal_iteratorINS9_10device_ptrIiEEEENSB_INSC_IsEEEESG_sNS9_4plusIvEENS9_8equal_toIvEEsEE10hipError_tPvRmT2_T3_T4_T5_mT6_T7_P12ihipStream_tbENKUlT_T0_E_clISt17integral_constantIbLb0EES10_IbLb1EEEEDaSW_SX_EUlSW_E_NS1_11comp_targetILNS1_3genE9ELNS1_11target_archE1100ELNS1_3gpuE3ELNS1_3repE0EEENS1_30default_config_static_selectorELNS0_4arch9wavefront6targetE1EEEvT1_,@function
_ZN7rocprim17ROCPRIM_400000_NS6detail17trampoline_kernelINS0_14default_configENS1_27scan_by_key_config_selectorIisEEZZNS1_16scan_by_key_implILNS1_25lookback_scan_determinismE0ELb0ES3_N6thrust23THRUST_200600_302600_NS6detail15normal_iteratorINS9_10device_ptrIiEEEENSB_INSC_IsEEEESG_sNS9_4plusIvEENS9_8equal_toIvEEsEE10hipError_tPvRmT2_T3_T4_T5_mT6_T7_P12ihipStream_tbENKUlT_T0_E_clISt17integral_constantIbLb0EES10_IbLb1EEEEDaSW_SX_EUlSW_E_NS1_11comp_targetILNS1_3genE9ELNS1_11target_archE1100ELNS1_3gpuE3ELNS1_3repE0EEENS1_30default_config_static_selectorELNS0_4arch9wavefront6targetE1EEEvT1_: ; @_ZN7rocprim17ROCPRIM_400000_NS6detail17trampoline_kernelINS0_14default_configENS1_27scan_by_key_config_selectorIisEEZZNS1_16scan_by_key_implILNS1_25lookback_scan_determinismE0ELb0ES3_N6thrust23THRUST_200600_302600_NS6detail15normal_iteratorINS9_10device_ptrIiEEEENSB_INSC_IsEEEESG_sNS9_4plusIvEENS9_8equal_toIvEEsEE10hipError_tPvRmT2_T3_T4_T5_mT6_T7_P12ihipStream_tbENKUlT_T0_E_clISt17integral_constantIbLb0EES10_IbLb1EEEEDaSW_SX_EUlSW_E_NS1_11comp_targetILNS1_3genE9ELNS1_11target_archE1100ELNS1_3gpuE3ELNS1_3repE0EEENS1_30default_config_static_selectorELNS0_4arch9wavefront6targetE1EEEvT1_
; %bb.0:
	.section	.rodata,"a",@progbits
	.p2align	6, 0x0
	.amdhsa_kernel _ZN7rocprim17ROCPRIM_400000_NS6detail17trampoline_kernelINS0_14default_configENS1_27scan_by_key_config_selectorIisEEZZNS1_16scan_by_key_implILNS1_25lookback_scan_determinismE0ELb0ES3_N6thrust23THRUST_200600_302600_NS6detail15normal_iteratorINS9_10device_ptrIiEEEENSB_INSC_IsEEEESG_sNS9_4plusIvEENS9_8equal_toIvEEsEE10hipError_tPvRmT2_T3_T4_T5_mT6_T7_P12ihipStream_tbENKUlT_T0_E_clISt17integral_constantIbLb0EES10_IbLb1EEEEDaSW_SX_EUlSW_E_NS1_11comp_targetILNS1_3genE9ELNS1_11target_archE1100ELNS1_3gpuE3ELNS1_3repE0EEENS1_30default_config_static_selectorELNS0_4arch9wavefront6targetE1EEEvT1_
		.amdhsa_group_segment_fixed_size 0
		.amdhsa_private_segment_fixed_size 0
		.amdhsa_kernarg_size 112
		.amdhsa_user_sgpr_count 6
		.amdhsa_user_sgpr_private_segment_buffer 1
		.amdhsa_user_sgpr_dispatch_ptr 0
		.amdhsa_user_sgpr_queue_ptr 0
		.amdhsa_user_sgpr_kernarg_segment_ptr 1
		.amdhsa_user_sgpr_dispatch_id 0
		.amdhsa_user_sgpr_flat_scratch_init 0
		.amdhsa_user_sgpr_kernarg_preload_length 0
		.amdhsa_user_sgpr_kernarg_preload_offset 0
		.amdhsa_user_sgpr_private_segment_size 0
		.amdhsa_uses_dynamic_stack 0
		.amdhsa_system_sgpr_private_segment_wavefront_offset 0
		.amdhsa_system_sgpr_workgroup_id_x 1
		.amdhsa_system_sgpr_workgroup_id_y 0
		.amdhsa_system_sgpr_workgroup_id_z 0
		.amdhsa_system_sgpr_workgroup_info 0
		.amdhsa_system_vgpr_workitem_id 0
		.amdhsa_next_free_vgpr 1
		.amdhsa_next_free_sgpr 0
		.amdhsa_accum_offset 4
		.amdhsa_reserve_vcc 0
		.amdhsa_reserve_flat_scratch 0
		.amdhsa_float_round_mode_32 0
		.amdhsa_float_round_mode_16_64 0
		.amdhsa_float_denorm_mode_32 3
		.amdhsa_float_denorm_mode_16_64 3
		.amdhsa_dx10_clamp 1
		.amdhsa_ieee_mode 1
		.amdhsa_fp16_overflow 0
		.amdhsa_tg_split 0
		.amdhsa_exception_fp_ieee_invalid_op 0
		.amdhsa_exception_fp_denorm_src 0
		.amdhsa_exception_fp_ieee_div_zero 0
		.amdhsa_exception_fp_ieee_overflow 0
		.amdhsa_exception_fp_ieee_underflow 0
		.amdhsa_exception_fp_ieee_inexact 0
		.amdhsa_exception_int_div_zero 0
	.end_amdhsa_kernel
	.section	.text._ZN7rocprim17ROCPRIM_400000_NS6detail17trampoline_kernelINS0_14default_configENS1_27scan_by_key_config_selectorIisEEZZNS1_16scan_by_key_implILNS1_25lookback_scan_determinismE0ELb0ES3_N6thrust23THRUST_200600_302600_NS6detail15normal_iteratorINS9_10device_ptrIiEEEENSB_INSC_IsEEEESG_sNS9_4plusIvEENS9_8equal_toIvEEsEE10hipError_tPvRmT2_T3_T4_T5_mT6_T7_P12ihipStream_tbENKUlT_T0_E_clISt17integral_constantIbLb0EES10_IbLb1EEEEDaSW_SX_EUlSW_E_NS1_11comp_targetILNS1_3genE9ELNS1_11target_archE1100ELNS1_3gpuE3ELNS1_3repE0EEENS1_30default_config_static_selectorELNS0_4arch9wavefront6targetE1EEEvT1_,"axG",@progbits,_ZN7rocprim17ROCPRIM_400000_NS6detail17trampoline_kernelINS0_14default_configENS1_27scan_by_key_config_selectorIisEEZZNS1_16scan_by_key_implILNS1_25lookback_scan_determinismE0ELb0ES3_N6thrust23THRUST_200600_302600_NS6detail15normal_iteratorINS9_10device_ptrIiEEEENSB_INSC_IsEEEESG_sNS9_4plusIvEENS9_8equal_toIvEEsEE10hipError_tPvRmT2_T3_T4_T5_mT6_T7_P12ihipStream_tbENKUlT_T0_E_clISt17integral_constantIbLb0EES10_IbLb1EEEEDaSW_SX_EUlSW_E_NS1_11comp_targetILNS1_3genE9ELNS1_11target_archE1100ELNS1_3gpuE3ELNS1_3repE0EEENS1_30default_config_static_selectorELNS0_4arch9wavefront6targetE1EEEvT1_,comdat
.Lfunc_end1389:
	.size	_ZN7rocprim17ROCPRIM_400000_NS6detail17trampoline_kernelINS0_14default_configENS1_27scan_by_key_config_selectorIisEEZZNS1_16scan_by_key_implILNS1_25lookback_scan_determinismE0ELb0ES3_N6thrust23THRUST_200600_302600_NS6detail15normal_iteratorINS9_10device_ptrIiEEEENSB_INSC_IsEEEESG_sNS9_4plusIvEENS9_8equal_toIvEEsEE10hipError_tPvRmT2_T3_T4_T5_mT6_T7_P12ihipStream_tbENKUlT_T0_E_clISt17integral_constantIbLb0EES10_IbLb1EEEEDaSW_SX_EUlSW_E_NS1_11comp_targetILNS1_3genE9ELNS1_11target_archE1100ELNS1_3gpuE3ELNS1_3repE0EEENS1_30default_config_static_selectorELNS0_4arch9wavefront6targetE1EEEvT1_, .Lfunc_end1389-_ZN7rocprim17ROCPRIM_400000_NS6detail17trampoline_kernelINS0_14default_configENS1_27scan_by_key_config_selectorIisEEZZNS1_16scan_by_key_implILNS1_25lookback_scan_determinismE0ELb0ES3_N6thrust23THRUST_200600_302600_NS6detail15normal_iteratorINS9_10device_ptrIiEEEENSB_INSC_IsEEEESG_sNS9_4plusIvEENS9_8equal_toIvEEsEE10hipError_tPvRmT2_T3_T4_T5_mT6_T7_P12ihipStream_tbENKUlT_T0_E_clISt17integral_constantIbLb0EES10_IbLb1EEEEDaSW_SX_EUlSW_E_NS1_11comp_targetILNS1_3genE9ELNS1_11target_archE1100ELNS1_3gpuE3ELNS1_3repE0EEENS1_30default_config_static_selectorELNS0_4arch9wavefront6targetE1EEEvT1_
                                        ; -- End function
	.section	.AMDGPU.csdata,"",@progbits
; Kernel info:
; codeLenInByte = 0
; NumSgprs: 4
; NumVgprs: 0
; NumAgprs: 0
; TotalNumVgprs: 0
; ScratchSize: 0
; MemoryBound: 0
; FloatMode: 240
; IeeeMode: 1
; LDSByteSize: 0 bytes/workgroup (compile time only)
; SGPRBlocks: 0
; VGPRBlocks: 0
; NumSGPRsForWavesPerEU: 4
; NumVGPRsForWavesPerEU: 1
; AccumOffset: 4
; Occupancy: 8
; WaveLimiterHint : 0
; COMPUTE_PGM_RSRC2:SCRATCH_EN: 0
; COMPUTE_PGM_RSRC2:USER_SGPR: 6
; COMPUTE_PGM_RSRC2:TRAP_HANDLER: 0
; COMPUTE_PGM_RSRC2:TGID_X_EN: 1
; COMPUTE_PGM_RSRC2:TGID_Y_EN: 0
; COMPUTE_PGM_RSRC2:TGID_Z_EN: 0
; COMPUTE_PGM_RSRC2:TIDIG_COMP_CNT: 0
; COMPUTE_PGM_RSRC3_GFX90A:ACCUM_OFFSET: 0
; COMPUTE_PGM_RSRC3_GFX90A:TG_SPLIT: 0
	.section	.text._ZN7rocprim17ROCPRIM_400000_NS6detail17trampoline_kernelINS0_14default_configENS1_27scan_by_key_config_selectorIisEEZZNS1_16scan_by_key_implILNS1_25lookback_scan_determinismE0ELb0ES3_N6thrust23THRUST_200600_302600_NS6detail15normal_iteratorINS9_10device_ptrIiEEEENSB_INSC_IsEEEESG_sNS9_4plusIvEENS9_8equal_toIvEEsEE10hipError_tPvRmT2_T3_T4_T5_mT6_T7_P12ihipStream_tbENKUlT_T0_E_clISt17integral_constantIbLb0EES10_IbLb1EEEEDaSW_SX_EUlSW_E_NS1_11comp_targetILNS1_3genE8ELNS1_11target_archE1030ELNS1_3gpuE2ELNS1_3repE0EEENS1_30default_config_static_selectorELNS0_4arch9wavefront6targetE1EEEvT1_,"axG",@progbits,_ZN7rocprim17ROCPRIM_400000_NS6detail17trampoline_kernelINS0_14default_configENS1_27scan_by_key_config_selectorIisEEZZNS1_16scan_by_key_implILNS1_25lookback_scan_determinismE0ELb0ES3_N6thrust23THRUST_200600_302600_NS6detail15normal_iteratorINS9_10device_ptrIiEEEENSB_INSC_IsEEEESG_sNS9_4plusIvEENS9_8equal_toIvEEsEE10hipError_tPvRmT2_T3_T4_T5_mT6_T7_P12ihipStream_tbENKUlT_T0_E_clISt17integral_constantIbLb0EES10_IbLb1EEEEDaSW_SX_EUlSW_E_NS1_11comp_targetILNS1_3genE8ELNS1_11target_archE1030ELNS1_3gpuE2ELNS1_3repE0EEENS1_30default_config_static_selectorELNS0_4arch9wavefront6targetE1EEEvT1_,comdat
	.protected	_ZN7rocprim17ROCPRIM_400000_NS6detail17trampoline_kernelINS0_14default_configENS1_27scan_by_key_config_selectorIisEEZZNS1_16scan_by_key_implILNS1_25lookback_scan_determinismE0ELb0ES3_N6thrust23THRUST_200600_302600_NS6detail15normal_iteratorINS9_10device_ptrIiEEEENSB_INSC_IsEEEESG_sNS9_4plusIvEENS9_8equal_toIvEEsEE10hipError_tPvRmT2_T3_T4_T5_mT6_T7_P12ihipStream_tbENKUlT_T0_E_clISt17integral_constantIbLb0EES10_IbLb1EEEEDaSW_SX_EUlSW_E_NS1_11comp_targetILNS1_3genE8ELNS1_11target_archE1030ELNS1_3gpuE2ELNS1_3repE0EEENS1_30default_config_static_selectorELNS0_4arch9wavefront6targetE1EEEvT1_ ; -- Begin function _ZN7rocprim17ROCPRIM_400000_NS6detail17trampoline_kernelINS0_14default_configENS1_27scan_by_key_config_selectorIisEEZZNS1_16scan_by_key_implILNS1_25lookback_scan_determinismE0ELb0ES3_N6thrust23THRUST_200600_302600_NS6detail15normal_iteratorINS9_10device_ptrIiEEEENSB_INSC_IsEEEESG_sNS9_4plusIvEENS9_8equal_toIvEEsEE10hipError_tPvRmT2_T3_T4_T5_mT6_T7_P12ihipStream_tbENKUlT_T0_E_clISt17integral_constantIbLb0EES10_IbLb1EEEEDaSW_SX_EUlSW_E_NS1_11comp_targetILNS1_3genE8ELNS1_11target_archE1030ELNS1_3gpuE2ELNS1_3repE0EEENS1_30default_config_static_selectorELNS0_4arch9wavefront6targetE1EEEvT1_
	.globl	_ZN7rocprim17ROCPRIM_400000_NS6detail17trampoline_kernelINS0_14default_configENS1_27scan_by_key_config_selectorIisEEZZNS1_16scan_by_key_implILNS1_25lookback_scan_determinismE0ELb0ES3_N6thrust23THRUST_200600_302600_NS6detail15normal_iteratorINS9_10device_ptrIiEEEENSB_INSC_IsEEEESG_sNS9_4plusIvEENS9_8equal_toIvEEsEE10hipError_tPvRmT2_T3_T4_T5_mT6_T7_P12ihipStream_tbENKUlT_T0_E_clISt17integral_constantIbLb0EES10_IbLb1EEEEDaSW_SX_EUlSW_E_NS1_11comp_targetILNS1_3genE8ELNS1_11target_archE1030ELNS1_3gpuE2ELNS1_3repE0EEENS1_30default_config_static_selectorELNS0_4arch9wavefront6targetE1EEEvT1_
	.p2align	8
	.type	_ZN7rocprim17ROCPRIM_400000_NS6detail17trampoline_kernelINS0_14default_configENS1_27scan_by_key_config_selectorIisEEZZNS1_16scan_by_key_implILNS1_25lookback_scan_determinismE0ELb0ES3_N6thrust23THRUST_200600_302600_NS6detail15normal_iteratorINS9_10device_ptrIiEEEENSB_INSC_IsEEEESG_sNS9_4plusIvEENS9_8equal_toIvEEsEE10hipError_tPvRmT2_T3_T4_T5_mT6_T7_P12ihipStream_tbENKUlT_T0_E_clISt17integral_constantIbLb0EES10_IbLb1EEEEDaSW_SX_EUlSW_E_NS1_11comp_targetILNS1_3genE8ELNS1_11target_archE1030ELNS1_3gpuE2ELNS1_3repE0EEENS1_30default_config_static_selectorELNS0_4arch9wavefront6targetE1EEEvT1_,@function
_ZN7rocprim17ROCPRIM_400000_NS6detail17trampoline_kernelINS0_14default_configENS1_27scan_by_key_config_selectorIisEEZZNS1_16scan_by_key_implILNS1_25lookback_scan_determinismE0ELb0ES3_N6thrust23THRUST_200600_302600_NS6detail15normal_iteratorINS9_10device_ptrIiEEEENSB_INSC_IsEEEESG_sNS9_4plusIvEENS9_8equal_toIvEEsEE10hipError_tPvRmT2_T3_T4_T5_mT6_T7_P12ihipStream_tbENKUlT_T0_E_clISt17integral_constantIbLb0EES10_IbLb1EEEEDaSW_SX_EUlSW_E_NS1_11comp_targetILNS1_3genE8ELNS1_11target_archE1030ELNS1_3gpuE2ELNS1_3repE0EEENS1_30default_config_static_selectorELNS0_4arch9wavefront6targetE1EEEvT1_: ; @_ZN7rocprim17ROCPRIM_400000_NS6detail17trampoline_kernelINS0_14default_configENS1_27scan_by_key_config_selectorIisEEZZNS1_16scan_by_key_implILNS1_25lookback_scan_determinismE0ELb0ES3_N6thrust23THRUST_200600_302600_NS6detail15normal_iteratorINS9_10device_ptrIiEEEENSB_INSC_IsEEEESG_sNS9_4plusIvEENS9_8equal_toIvEEsEE10hipError_tPvRmT2_T3_T4_T5_mT6_T7_P12ihipStream_tbENKUlT_T0_E_clISt17integral_constantIbLb0EES10_IbLb1EEEEDaSW_SX_EUlSW_E_NS1_11comp_targetILNS1_3genE8ELNS1_11target_archE1030ELNS1_3gpuE2ELNS1_3repE0EEENS1_30default_config_static_selectorELNS0_4arch9wavefront6targetE1EEEvT1_
; %bb.0:
	.section	.rodata,"a",@progbits
	.p2align	6, 0x0
	.amdhsa_kernel _ZN7rocprim17ROCPRIM_400000_NS6detail17trampoline_kernelINS0_14default_configENS1_27scan_by_key_config_selectorIisEEZZNS1_16scan_by_key_implILNS1_25lookback_scan_determinismE0ELb0ES3_N6thrust23THRUST_200600_302600_NS6detail15normal_iteratorINS9_10device_ptrIiEEEENSB_INSC_IsEEEESG_sNS9_4plusIvEENS9_8equal_toIvEEsEE10hipError_tPvRmT2_T3_T4_T5_mT6_T7_P12ihipStream_tbENKUlT_T0_E_clISt17integral_constantIbLb0EES10_IbLb1EEEEDaSW_SX_EUlSW_E_NS1_11comp_targetILNS1_3genE8ELNS1_11target_archE1030ELNS1_3gpuE2ELNS1_3repE0EEENS1_30default_config_static_selectorELNS0_4arch9wavefront6targetE1EEEvT1_
		.amdhsa_group_segment_fixed_size 0
		.amdhsa_private_segment_fixed_size 0
		.amdhsa_kernarg_size 112
		.amdhsa_user_sgpr_count 6
		.amdhsa_user_sgpr_private_segment_buffer 1
		.amdhsa_user_sgpr_dispatch_ptr 0
		.amdhsa_user_sgpr_queue_ptr 0
		.amdhsa_user_sgpr_kernarg_segment_ptr 1
		.amdhsa_user_sgpr_dispatch_id 0
		.amdhsa_user_sgpr_flat_scratch_init 0
		.amdhsa_user_sgpr_kernarg_preload_length 0
		.amdhsa_user_sgpr_kernarg_preload_offset 0
		.amdhsa_user_sgpr_private_segment_size 0
		.amdhsa_uses_dynamic_stack 0
		.amdhsa_system_sgpr_private_segment_wavefront_offset 0
		.amdhsa_system_sgpr_workgroup_id_x 1
		.amdhsa_system_sgpr_workgroup_id_y 0
		.amdhsa_system_sgpr_workgroup_id_z 0
		.amdhsa_system_sgpr_workgroup_info 0
		.amdhsa_system_vgpr_workitem_id 0
		.amdhsa_next_free_vgpr 1
		.amdhsa_next_free_sgpr 0
		.amdhsa_accum_offset 4
		.amdhsa_reserve_vcc 0
		.amdhsa_reserve_flat_scratch 0
		.amdhsa_float_round_mode_32 0
		.amdhsa_float_round_mode_16_64 0
		.amdhsa_float_denorm_mode_32 3
		.amdhsa_float_denorm_mode_16_64 3
		.amdhsa_dx10_clamp 1
		.amdhsa_ieee_mode 1
		.amdhsa_fp16_overflow 0
		.amdhsa_tg_split 0
		.amdhsa_exception_fp_ieee_invalid_op 0
		.amdhsa_exception_fp_denorm_src 0
		.amdhsa_exception_fp_ieee_div_zero 0
		.amdhsa_exception_fp_ieee_overflow 0
		.amdhsa_exception_fp_ieee_underflow 0
		.amdhsa_exception_fp_ieee_inexact 0
		.amdhsa_exception_int_div_zero 0
	.end_amdhsa_kernel
	.section	.text._ZN7rocprim17ROCPRIM_400000_NS6detail17trampoline_kernelINS0_14default_configENS1_27scan_by_key_config_selectorIisEEZZNS1_16scan_by_key_implILNS1_25lookback_scan_determinismE0ELb0ES3_N6thrust23THRUST_200600_302600_NS6detail15normal_iteratorINS9_10device_ptrIiEEEENSB_INSC_IsEEEESG_sNS9_4plusIvEENS9_8equal_toIvEEsEE10hipError_tPvRmT2_T3_T4_T5_mT6_T7_P12ihipStream_tbENKUlT_T0_E_clISt17integral_constantIbLb0EES10_IbLb1EEEEDaSW_SX_EUlSW_E_NS1_11comp_targetILNS1_3genE8ELNS1_11target_archE1030ELNS1_3gpuE2ELNS1_3repE0EEENS1_30default_config_static_selectorELNS0_4arch9wavefront6targetE1EEEvT1_,"axG",@progbits,_ZN7rocprim17ROCPRIM_400000_NS6detail17trampoline_kernelINS0_14default_configENS1_27scan_by_key_config_selectorIisEEZZNS1_16scan_by_key_implILNS1_25lookback_scan_determinismE0ELb0ES3_N6thrust23THRUST_200600_302600_NS6detail15normal_iteratorINS9_10device_ptrIiEEEENSB_INSC_IsEEEESG_sNS9_4plusIvEENS9_8equal_toIvEEsEE10hipError_tPvRmT2_T3_T4_T5_mT6_T7_P12ihipStream_tbENKUlT_T0_E_clISt17integral_constantIbLb0EES10_IbLb1EEEEDaSW_SX_EUlSW_E_NS1_11comp_targetILNS1_3genE8ELNS1_11target_archE1030ELNS1_3gpuE2ELNS1_3repE0EEENS1_30default_config_static_selectorELNS0_4arch9wavefront6targetE1EEEvT1_,comdat
.Lfunc_end1390:
	.size	_ZN7rocprim17ROCPRIM_400000_NS6detail17trampoline_kernelINS0_14default_configENS1_27scan_by_key_config_selectorIisEEZZNS1_16scan_by_key_implILNS1_25lookback_scan_determinismE0ELb0ES3_N6thrust23THRUST_200600_302600_NS6detail15normal_iteratorINS9_10device_ptrIiEEEENSB_INSC_IsEEEESG_sNS9_4plusIvEENS9_8equal_toIvEEsEE10hipError_tPvRmT2_T3_T4_T5_mT6_T7_P12ihipStream_tbENKUlT_T0_E_clISt17integral_constantIbLb0EES10_IbLb1EEEEDaSW_SX_EUlSW_E_NS1_11comp_targetILNS1_3genE8ELNS1_11target_archE1030ELNS1_3gpuE2ELNS1_3repE0EEENS1_30default_config_static_selectorELNS0_4arch9wavefront6targetE1EEEvT1_, .Lfunc_end1390-_ZN7rocprim17ROCPRIM_400000_NS6detail17trampoline_kernelINS0_14default_configENS1_27scan_by_key_config_selectorIisEEZZNS1_16scan_by_key_implILNS1_25lookback_scan_determinismE0ELb0ES3_N6thrust23THRUST_200600_302600_NS6detail15normal_iteratorINS9_10device_ptrIiEEEENSB_INSC_IsEEEESG_sNS9_4plusIvEENS9_8equal_toIvEEsEE10hipError_tPvRmT2_T3_T4_T5_mT6_T7_P12ihipStream_tbENKUlT_T0_E_clISt17integral_constantIbLb0EES10_IbLb1EEEEDaSW_SX_EUlSW_E_NS1_11comp_targetILNS1_3genE8ELNS1_11target_archE1030ELNS1_3gpuE2ELNS1_3repE0EEENS1_30default_config_static_selectorELNS0_4arch9wavefront6targetE1EEEvT1_
                                        ; -- End function
	.section	.AMDGPU.csdata,"",@progbits
; Kernel info:
; codeLenInByte = 0
; NumSgprs: 4
; NumVgprs: 0
; NumAgprs: 0
; TotalNumVgprs: 0
; ScratchSize: 0
; MemoryBound: 0
; FloatMode: 240
; IeeeMode: 1
; LDSByteSize: 0 bytes/workgroup (compile time only)
; SGPRBlocks: 0
; VGPRBlocks: 0
; NumSGPRsForWavesPerEU: 4
; NumVGPRsForWavesPerEU: 1
; AccumOffset: 4
; Occupancy: 8
; WaveLimiterHint : 0
; COMPUTE_PGM_RSRC2:SCRATCH_EN: 0
; COMPUTE_PGM_RSRC2:USER_SGPR: 6
; COMPUTE_PGM_RSRC2:TRAP_HANDLER: 0
; COMPUTE_PGM_RSRC2:TGID_X_EN: 1
; COMPUTE_PGM_RSRC2:TGID_Y_EN: 0
; COMPUTE_PGM_RSRC2:TGID_Z_EN: 0
; COMPUTE_PGM_RSRC2:TIDIG_COMP_CNT: 0
; COMPUTE_PGM_RSRC3_GFX90A:ACCUM_OFFSET: 0
; COMPUTE_PGM_RSRC3_GFX90A:TG_SPLIT: 0
	.section	.text._ZN7rocprim17ROCPRIM_400000_NS6detail17trampoline_kernelINS0_14default_configENS1_27scan_by_key_config_selectorIidEEZZNS1_16scan_by_key_implILNS1_25lookback_scan_determinismE0ELb1ES3_N6thrust23THRUST_200600_302600_NS6detail15normal_iteratorINS9_10device_ptrIiEEEENSB_INSC_IdEEEESG_dNS9_4plusIvEENS9_8equal_toIvEEdEE10hipError_tPvRmT2_T3_T4_T5_mT6_T7_P12ihipStream_tbENKUlT_T0_E_clISt17integral_constantIbLb0EES11_EEDaSW_SX_EUlSW_E_NS1_11comp_targetILNS1_3genE0ELNS1_11target_archE4294967295ELNS1_3gpuE0ELNS1_3repE0EEENS1_30default_config_static_selectorELNS0_4arch9wavefront6targetE1EEEvT1_,"axG",@progbits,_ZN7rocprim17ROCPRIM_400000_NS6detail17trampoline_kernelINS0_14default_configENS1_27scan_by_key_config_selectorIidEEZZNS1_16scan_by_key_implILNS1_25lookback_scan_determinismE0ELb1ES3_N6thrust23THRUST_200600_302600_NS6detail15normal_iteratorINS9_10device_ptrIiEEEENSB_INSC_IdEEEESG_dNS9_4plusIvEENS9_8equal_toIvEEdEE10hipError_tPvRmT2_T3_T4_T5_mT6_T7_P12ihipStream_tbENKUlT_T0_E_clISt17integral_constantIbLb0EES11_EEDaSW_SX_EUlSW_E_NS1_11comp_targetILNS1_3genE0ELNS1_11target_archE4294967295ELNS1_3gpuE0ELNS1_3repE0EEENS1_30default_config_static_selectorELNS0_4arch9wavefront6targetE1EEEvT1_,comdat
	.protected	_ZN7rocprim17ROCPRIM_400000_NS6detail17trampoline_kernelINS0_14default_configENS1_27scan_by_key_config_selectorIidEEZZNS1_16scan_by_key_implILNS1_25lookback_scan_determinismE0ELb1ES3_N6thrust23THRUST_200600_302600_NS6detail15normal_iteratorINS9_10device_ptrIiEEEENSB_INSC_IdEEEESG_dNS9_4plusIvEENS9_8equal_toIvEEdEE10hipError_tPvRmT2_T3_T4_T5_mT6_T7_P12ihipStream_tbENKUlT_T0_E_clISt17integral_constantIbLb0EES11_EEDaSW_SX_EUlSW_E_NS1_11comp_targetILNS1_3genE0ELNS1_11target_archE4294967295ELNS1_3gpuE0ELNS1_3repE0EEENS1_30default_config_static_selectorELNS0_4arch9wavefront6targetE1EEEvT1_ ; -- Begin function _ZN7rocprim17ROCPRIM_400000_NS6detail17trampoline_kernelINS0_14default_configENS1_27scan_by_key_config_selectorIidEEZZNS1_16scan_by_key_implILNS1_25lookback_scan_determinismE0ELb1ES3_N6thrust23THRUST_200600_302600_NS6detail15normal_iteratorINS9_10device_ptrIiEEEENSB_INSC_IdEEEESG_dNS9_4plusIvEENS9_8equal_toIvEEdEE10hipError_tPvRmT2_T3_T4_T5_mT6_T7_P12ihipStream_tbENKUlT_T0_E_clISt17integral_constantIbLb0EES11_EEDaSW_SX_EUlSW_E_NS1_11comp_targetILNS1_3genE0ELNS1_11target_archE4294967295ELNS1_3gpuE0ELNS1_3repE0EEENS1_30default_config_static_selectorELNS0_4arch9wavefront6targetE1EEEvT1_
	.globl	_ZN7rocprim17ROCPRIM_400000_NS6detail17trampoline_kernelINS0_14default_configENS1_27scan_by_key_config_selectorIidEEZZNS1_16scan_by_key_implILNS1_25lookback_scan_determinismE0ELb1ES3_N6thrust23THRUST_200600_302600_NS6detail15normal_iteratorINS9_10device_ptrIiEEEENSB_INSC_IdEEEESG_dNS9_4plusIvEENS9_8equal_toIvEEdEE10hipError_tPvRmT2_T3_T4_T5_mT6_T7_P12ihipStream_tbENKUlT_T0_E_clISt17integral_constantIbLb0EES11_EEDaSW_SX_EUlSW_E_NS1_11comp_targetILNS1_3genE0ELNS1_11target_archE4294967295ELNS1_3gpuE0ELNS1_3repE0EEENS1_30default_config_static_selectorELNS0_4arch9wavefront6targetE1EEEvT1_
	.p2align	8
	.type	_ZN7rocprim17ROCPRIM_400000_NS6detail17trampoline_kernelINS0_14default_configENS1_27scan_by_key_config_selectorIidEEZZNS1_16scan_by_key_implILNS1_25lookback_scan_determinismE0ELb1ES3_N6thrust23THRUST_200600_302600_NS6detail15normal_iteratorINS9_10device_ptrIiEEEENSB_INSC_IdEEEESG_dNS9_4plusIvEENS9_8equal_toIvEEdEE10hipError_tPvRmT2_T3_T4_T5_mT6_T7_P12ihipStream_tbENKUlT_T0_E_clISt17integral_constantIbLb0EES11_EEDaSW_SX_EUlSW_E_NS1_11comp_targetILNS1_3genE0ELNS1_11target_archE4294967295ELNS1_3gpuE0ELNS1_3repE0EEENS1_30default_config_static_selectorELNS0_4arch9wavefront6targetE1EEEvT1_,@function
_ZN7rocprim17ROCPRIM_400000_NS6detail17trampoline_kernelINS0_14default_configENS1_27scan_by_key_config_selectorIidEEZZNS1_16scan_by_key_implILNS1_25lookback_scan_determinismE0ELb1ES3_N6thrust23THRUST_200600_302600_NS6detail15normal_iteratorINS9_10device_ptrIiEEEENSB_INSC_IdEEEESG_dNS9_4plusIvEENS9_8equal_toIvEEdEE10hipError_tPvRmT2_T3_T4_T5_mT6_T7_P12ihipStream_tbENKUlT_T0_E_clISt17integral_constantIbLb0EES11_EEDaSW_SX_EUlSW_E_NS1_11comp_targetILNS1_3genE0ELNS1_11target_archE4294967295ELNS1_3gpuE0ELNS1_3repE0EEENS1_30default_config_static_selectorELNS0_4arch9wavefront6targetE1EEEvT1_: ; @_ZN7rocprim17ROCPRIM_400000_NS6detail17trampoline_kernelINS0_14default_configENS1_27scan_by_key_config_selectorIidEEZZNS1_16scan_by_key_implILNS1_25lookback_scan_determinismE0ELb1ES3_N6thrust23THRUST_200600_302600_NS6detail15normal_iteratorINS9_10device_ptrIiEEEENSB_INSC_IdEEEESG_dNS9_4plusIvEENS9_8equal_toIvEEdEE10hipError_tPvRmT2_T3_T4_T5_mT6_T7_P12ihipStream_tbENKUlT_T0_E_clISt17integral_constantIbLb0EES11_EEDaSW_SX_EUlSW_E_NS1_11comp_targetILNS1_3genE0ELNS1_11target_archE4294967295ELNS1_3gpuE0ELNS1_3repE0EEENS1_30default_config_static_selectorELNS0_4arch9wavefront6targetE1EEEvT1_
; %bb.0:
	.section	.rodata,"a",@progbits
	.p2align	6, 0x0
	.amdhsa_kernel _ZN7rocprim17ROCPRIM_400000_NS6detail17trampoline_kernelINS0_14default_configENS1_27scan_by_key_config_selectorIidEEZZNS1_16scan_by_key_implILNS1_25lookback_scan_determinismE0ELb1ES3_N6thrust23THRUST_200600_302600_NS6detail15normal_iteratorINS9_10device_ptrIiEEEENSB_INSC_IdEEEESG_dNS9_4plusIvEENS9_8equal_toIvEEdEE10hipError_tPvRmT2_T3_T4_T5_mT6_T7_P12ihipStream_tbENKUlT_T0_E_clISt17integral_constantIbLb0EES11_EEDaSW_SX_EUlSW_E_NS1_11comp_targetILNS1_3genE0ELNS1_11target_archE4294967295ELNS1_3gpuE0ELNS1_3repE0EEENS1_30default_config_static_selectorELNS0_4arch9wavefront6targetE1EEEvT1_
		.amdhsa_group_segment_fixed_size 0
		.amdhsa_private_segment_fixed_size 0
		.amdhsa_kernarg_size 136
		.amdhsa_user_sgpr_count 6
		.amdhsa_user_sgpr_private_segment_buffer 1
		.amdhsa_user_sgpr_dispatch_ptr 0
		.amdhsa_user_sgpr_queue_ptr 0
		.amdhsa_user_sgpr_kernarg_segment_ptr 1
		.amdhsa_user_sgpr_dispatch_id 0
		.amdhsa_user_sgpr_flat_scratch_init 0
		.amdhsa_user_sgpr_kernarg_preload_length 0
		.amdhsa_user_sgpr_kernarg_preload_offset 0
		.amdhsa_user_sgpr_private_segment_size 0
		.amdhsa_uses_dynamic_stack 0
		.amdhsa_system_sgpr_private_segment_wavefront_offset 0
		.amdhsa_system_sgpr_workgroup_id_x 1
		.amdhsa_system_sgpr_workgroup_id_y 0
		.amdhsa_system_sgpr_workgroup_id_z 0
		.amdhsa_system_sgpr_workgroup_info 0
		.amdhsa_system_vgpr_workitem_id 0
		.amdhsa_next_free_vgpr 1
		.amdhsa_next_free_sgpr 0
		.amdhsa_accum_offset 4
		.amdhsa_reserve_vcc 0
		.amdhsa_reserve_flat_scratch 0
		.amdhsa_float_round_mode_32 0
		.amdhsa_float_round_mode_16_64 0
		.amdhsa_float_denorm_mode_32 3
		.amdhsa_float_denorm_mode_16_64 3
		.amdhsa_dx10_clamp 1
		.amdhsa_ieee_mode 1
		.amdhsa_fp16_overflow 0
		.amdhsa_tg_split 0
		.amdhsa_exception_fp_ieee_invalid_op 0
		.amdhsa_exception_fp_denorm_src 0
		.amdhsa_exception_fp_ieee_div_zero 0
		.amdhsa_exception_fp_ieee_overflow 0
		.amdhsa_exception_fp_ieee_underflow 0
		.amdhsa_exception_fp_ieee_inexact 0
		.amdhsa_exception_int_div_zero 0
	.end_amdhsa_kernel
	.section	.text._ZN7rocprim17ROCPRIM_400000_NS6detail17trampoline_kernelINS0_14default_configENS1_27scan_by_key_config_selectorIidEEZZNS1_16scan_by_key_implILNS1_25lookback_scan_determinismE0ELb1ES3_N6thrust23THRUST_200600_302600_NS6detail15normal_iteratorINS9_10device_ptrIiEEEENSB_INSC_IdEEEESG_dNS9_4plusIvEENS9_8equal_toIvEEdEE10hipError_tPvRmT2_T3_T4_T5_mT6_T7_P12ihipStream_tbENKUlT_T0_E_clISt17integral_constantIbLb0EES11_EEDaSW_SX_EUlSW_E_NS1_11comp_targetILNS1_3genE0ELNS1_11target_archE4294967295ELNS1_3gpuE0ELNS1_3repE0EEENS1_30default_config_static_selectorELNS0_4arch9wavefront6targetE1EEEvT1_,"axG",@progbits,_ZN7rocprim17ROCPRIM_400000_NS6detail17trampoline_kernelINS0_14default_configENS1_27scan_by_key_config_selectorIidEEZZNS1_16scan_by_key_implILNS1_25lookback_scan_determinismE0ELb1ES3_N6thrust23THRUST_200600_302600_NS6detail15normal_iteratorINS9_10device_ptrIiEEEENSB_INSC_IdEEEESG_dNS9_4plusIvEENS9_8equal_toIvEEdEE10hipError_tPvRmT2_T3_T4_T5_mT6_T7_P12ihipStream_tbENKUlT_T0_E_clISt17integral_constantIbLb0EES11_EEDaSW_SX_EUlSW_E_NS1_11comp_targetILNS1_3genE0ELNS1_11target_archE4294967295ELNS1_3gpuE0ELNS1_3repE0EEENS1_30default_config_static_selectorELNS0_4arch9wavefront6targetE1EEEvT1_,comdat
.Lfunc_end1391:
	.size	_ZN7rocprim17ROCPRIM_400000_NS6detail17trampoline_kernelINS0_14default_configENS1_27scan_by_key_config_selectorIidEEZZNS1_16scan_by_key_implILNS1_25lookback_scan_determinismE0ELb1ES3_N6thrust23THRUST_200600_302600_NS6detail15normal_iteratorINS9_10device_ptrIiEEEENSB_INSC_IdEEEESG_dNS9_4plusIvEENS9_8equal_toIvEEdEE10hipError_tPvRmT2_T3_T4_T5_mT6_T7_P12ihipStream_tbENKUlT_T0_E_clISt17integral_constantIbLb0EES11_EEDaSW_SX_EUlSW_E_NS1_11comp_targetILNS1_3genE0ELNS1_11target_archE4294967295ELNS1_3gpuE0ELNS1_3repE0EEENS1_30default_config_static_selectorELNS0_4arch9wavefront6targetE1EEEvT1_, .Lfunc_end1391-_ZN7rocprim17ROCPRIM_400000_NS6detail17trampoline_kernelINS0_14default_configENS1_27scan_by_key_config_selectorIidEEZZNS1_16scan_by_key_implILNS1_25lookback_scan_determinismE0ELb1ES3_N6thrust23THRUST_200600_302600_NS6detail15normal_iteratorINS9_10device_ptrIiEEEENSB_INSC_IdEEEESG_dNS9_4plusIvEENS9_8equal_toIvEEdEE10hipError_tPvRmT2_T3_T4_T5_mT6_T7_P12ihipStream_tbENKUlT_T0_E_clISt17integral_constantIbLb0EES11_EEDaSW_SX_EUlSW_E_NS1_11comp_targetILNS1_3genE0ELNS1_11target_archE4294967295ELNS1_3gpuE0ELNS1_3repE0EEENS1_30default_config_static_selectorELNS0_4arch9wavefront6targetE1EEEvT1_
                                        ; -- End function
	.section	.AMDGPU.csdata,"",@progbits
; Kernel info:
; codeLenInByte = 0
; NumSgprs: 4
; NumVgprs: 0
; NumAgprs: 0
; TotalNumVgprs: 0
; ScratchSize: 0
; MemoryBound: 0
; FloatMode: 240
; IeeeMode: 1
; LDSByteSize: 0 bytes/workgroup (compile time only)
; SGPRBlocks: 0
; VGPRBlocks: 0
; NumSGPRsForWavesPerEU: 4
; NumVGPRsForWavesPerEU: 1
; AccumOffset: 4
; Occupancy: 8
; WaveLimiterHint : 0
; COMPUTE_PGM_RSRC2:SCRATCH_EN: 0
; COMPUTE_PGM_RSRC2:USER_SGPR: 6
; COMPUTE_PGM_RSRC2:TRAP_HANDLER: 0
; COMPUTE_PGM_RSRC2:TGID_X_EN: 1
; COMPUTE_PGM_RSRC2:TGID_Y_EN: 0
; COMPUTE_PGM_RSRC2:TGID_Z_EN: 0
; COMPUTE_PGM_RSRC2:TIDIG_COMP_CNT: 0
; COMPUTE_PGM_RSRC3_GFX90A:ACCUM_OFFSET: 0
; COMPUTE_PGM_RSRC3_GFX90A:TG_SPLIT: 0
	.section	.text._ZN7rocprim17ROCPRIM_400000_NS6detail17trampoline_kernelINS0_14default_configENS1_27scan_by_key_config_selectorIidEEZZNS1_16scan_by_key_implILNS1_25lookback_scan_determinismE0ELb1ES3_N6thrust23THRUST_200600_302600_NS6detail15normal_iteratorINS9_10device_ptrIiEEEENSB_INSC_IdEEEESG_dNS9_4plusIvEENS9_8equal_toIvEEdEE10hipError_tPvRmT2_T3_T4_T5_mT6_T7_P12ihipStream_tbENKUlT_T0_E_clISt17integral_constantIbLb0EES11_EEDaSW_SX_EUlSW_E_NS1_11comp_targetILNS1_3genE10ELNS1_11target_archE1201ELNS1_3gpuE5ELNS1_3repE0EEENS1_30default_config_static_selectorELNS0_4arch9wavefront6targetE1EEEvT1_,"axG",@progbits,_ZN7rocprim17ROCPRIM_400000_NS6detail17trampoline_kernelINS0_14default_configENS1_27scan_by_key_config_selectorIidEEZZNS1_16scan_by_key_implILNS1_25lookback_scan_determinismE0ELb1ES3_N6thrust23THRUST_200600_302600_NS6detail15normal_iteratorINS9_10device_ptrIiEEEENSB_INSC_IdEEEESG_dNS9_4plusIvEENS9_8equal_toIvEEdEE10hipError_tPvRmT2_T3_T4_T5_mT6_T7_P12ihipStream_tbENKUlT_T0_E_clISt17integral_constantIbLb0EES11_EEDaSW_SX_EUlSW_E_NS1_11comp_targetILNS1_3genE10ELNS1_11target_archE1201ELNS1_3gpuE5ELNS1_3repE0EEENS1_30default_config_static_selectorELNS0_4arch9wavefront6targetE1EEEvT1_,comdat
	.protected	_ZN7rocprim17ROCPRIM_400000_NS6detail17trampoline_kernelINS0_14default_configENS1_27scan_by_key_config_selectorIidEEZZNS1_16scan_by_key_implILNS1_25lookback_scan_determinismE0ELb1ES3_N6thrust23THRUST_200600_302600_NS6detail15normal_iteratorINS9_10device_ptrIiEEEENSB_INSC_IdEEEESG_dNS9_4plusIvEENS9_8equal_toIvEEdEE10hipError_tPvRmT2_T3_T4_T5_mT6_T7_P12ihipStream_tbENKUlT_T0_E_clISt17integral_constantIbLb0EES11_EEDaSW_SX_EUlSW_E_NS1_11comp_targetILNS1_3genE10ELNS1_11target_archE1201ELNS1_3gpuE5ELNS1_3repE0EEENS1_30default_config_static_selectorELNS0_4arch9wavefront6targetE1EEEvT1_ ; -- Begin function _ZN7rocprim17ROCPRIM_400000_NS6detail17trampoline_kernelINS0_14default_configENS1_27scan_by_key_config_selectorIidEEZZNS1_16scan_by_key_implILNS1_25lookback_scan_determinismE0ELb1ES3_N6thrust23THRUST_200600_302600_NS6detail15normal_iteratorINS9_10device_ptrIiEEEENSB_INSC_IdEEEESG_dNS9_4plusIvEENS9_8equal_toIvEEdEE10hipError_tPvRmT2_T3_T4_T5_mT6_T7_P12ihipStream_tbENKUlT_T0_E_clISt17integral_constantIbLb0EES11_EEDaSW_SX_EUlSW_E_NS1_11comp_targetILNS1_3genE10ELNS1_11target_archE1201ELNS1_3gpuE5ELNS1_3repE0EEENS1_30default_config_static_selectorELNS0_4arch9wavefront6targetE1EEEvT1_
	.globl	_ZN7rocprim17ROCPRIM_400000_NS6detail17trampoline_kernelINS0_14default_configENS1_27scan_by_key_config_selectorIidEEZZNS1_16scan_by_key_implILNS1_25lookback_scan_determinismE0ELb1ES3_N6thrust23THRUST_200600_302600_NS6detail15normal_iteratorINS9_10device_ptrIiEEEENSB_INSC_IdEEEESG_dNS9_4plusIvEENS9_8equal_toIvEEdEE10hipError_tPvRmT2_T3_T4_T5_mT6_T7_P12ihipStream_tbENKUlT_T0_E_clISt17integral_constantIbLb0EES11_EEDaSW_SX_EUlSW_E_NS1_11comp_targetILNS1_3genE10ELNS1_11target_archE1201ELNS1_3gpuE5ELNS1_3repE0EEENS1_30default_config_static_selectorELNS0_4arch9wavefront6targetE1EEEvT1_
	.p2align	8
	.type	_ZN7rocprim17ROCPRIM_400000_NS6detail17trampoline_kernelINS0_14default_configENS1_27scan_by_key_config_selectorIidEEZZNS1_16scan_by_key_implILNS1_25lookback_scan_determinismE0ELb1ES3_N6thrust23THRUST_200600_302600_NS6detail15normal_iteratorINS9_10device_ptrIiEEEENSB_INSC_IdEEEESG_dNS9_4plusIvEENS9_8equal_toIvEEdEE10hipError_tPvRmT2_T3_T4_T5_mT6_T7_P12ihipStream_tbENKUlT_T0_E_clISt17integral_constantIbLb0EES11_EEDaSW_SX_EUlSW_E_NS1_11comp_targetILNS1_3genE10ELNS1_11target_archE1201ELNS1_3gpuE5ELNS1_3repE0EEENS1_30default_config_static_selectorELNS0_4arch9wavefront6targetE1EEEvT1_,@function
_ZN7rocprim17ROCPRIM_400000_NS6detail17trampoline_kernelINS0_14default_configENS1_27scan_by_key_config_selectorIidEEZZNS1_16scan_by_key_implILNS1_25lookback_scan_determinismE0ELb1ES3_N6thrust23THRUST_200600_302600_NS6detail15normal_iteratorINS9_10device_ptrIiEEEENSB_INSC_IdEEEESG_dNS9_4plusIvEENS9_8equal_toIvEEdEE10hipError_tPvRmT2_T3_T4_T5_mT6_T7_P12ihipStream_tbENKUlT_T0_E_clISt17integral_constantIbLb0EES11_EEDaSW_SX_EUlSW_E_NS1_11comp_targetILNS1_3genE10ELNS1_11target_archE1201ELNS1_3gpuE5ELNS1_3repE0EEENS1_30default_config_static_selectorELNS0_4arch9wavefront6targetE1EEEvT1_: ; @_ZN7rocprim17ROCPRIM_400000_NS6detail17trampoline_kernelINS0_14default_configENS1_27scan_by_key_config_selectorIidEEZZNS1_16scan_by_key_implILNS1_25lookback_scan_determinismE0ELb1ES3_N6thrust23THRUST_200600_302600_NS6detail15normal_iteratorINS9_10device_ptrIiEEEENSB_INSC_IdEEEESG_dNS9_4plusIvEENS9_8equal_toIvEEdEE10hipError_tPvRmT2_T3_T4_T5_mT6_T7_P12ihipStream_tbENKUlT_T0_E_clISt17integral_constantIbLb0EES11_EEDaSW_SX_EUlSW_E_NS1_11comp_targetILNS1_3genE10ELNS1_11target_archE1201ELNS1_3gpuE5ELNS1_3repE0EEENS1_30default_config_static_selectorELNS0_4arch9wavefront6targetE1EEEvT1_
; %bb.0:
	.section	.rodata,"a",@progbits
	.p2align	6, 0x0
	.amdhsa_kernel _ZN7rocprim17ROCPRIM_400000_NS6detail17trampoline_kernelINS0_14default_configENS1_27scan_by_key_config_selectorIidEEZZNS1_16scan_by_key_implILNS1_25lookback_scan_determinismE0ELb1ES3_N6thrust23THRUST_200600_302600_NS6detail15normal_iteratorINS9_10device_ptrIiEEEENSB_INSC_IdEEEESG_dNS9_4plusIvEENS9_8equal_toIvEEdEE10hipError_tPvRmT2_T3_T4_T5_mT6_T7_P12ihipStream_tbENKUlT_T0_E_clISt17integral_constantIbLb0EES11_EEDaSW_SX_EUlSW_E_NS1_11comp_targetILNS1_3genE10ELNS1_11target_archE1201ELNS1_3gpuE5ELNS1_3repE0EEENS1_30default_config_static_selectorELNS0_4arch9wavefront6targetE1EEEvT1_
		.amdhsa_group_segment_fixed_size 0
		.amdhsa_private_segment_fixed_size 0
		.amdhsa_kernarg_size 136
		.amdhsa_user_sgpr_count 6
		.amdhsa_user_sgpr_private_segment_buffer 1
		.amdhsa_user_sgpr_dispatch_ptr 0
		.amdhsa_user_sgpr_queue_ptr 0
		.amdhsa_user_sgpr_kernarg_segment_ptr 1
		.amdhsa_user_sgpr_dispatch_id 0
		.amdhsa_user_sgpr_flat_scratch_init 0
		.amdhsa_user_sgpr_kernarg_preload_length 0
		.amdhsa_user_sgpr_kernarg_preload_offset 0
		.amdhsa_user_sgpr_private_segment_size 0
		.amdhsa_uses_dynamic_stack 0
		.amdhsa_system_sgpr_private_segment_wavefront_offset 0
		.amdhsa_system_sgpr_workgroup_id_x 1
		.amdhsa_system_sgpr_workgroup_id_y 0
		.amdhsa_system_sgpr_workgroup_id_z 0
		.amdhsa_system_sgpr_workgroup_info 0
		.amdhsa_system_vgpr_workitem_id 0
		.amdhsa_next_free_vgpr 1
		.amdhsa_next_free_sgpr 0
		.amdhsa_accum_offset 4
		.amdhsa_reserve_vcc 0
		.amdhsa_reserve_flat_scratch 0
		.amdhsa_float_round_mode_32 0
		.amdhsa_float_round_mode_16_64 0
		.amdhsa_float_denorm_mode_32 3
		.amdhsa_float_denorm_mode_16_64 3
		.amdhsa_dx10_clamp 1
		.amdhsa_ieee_mode 1
		.amdhsa_fp16_overflow 0
		.amdhsa_tg_split 0
		.amdhsa_exception_fp_ieee_invalid_op 0
		.amdhsa_exception_fp_denorm_src 0
		.amdhsa_exception_fp_ieee_div_zero 0
		.amdhsa_exception_fp_ieee_overflow 0
		.amdhsa_exception_fp_ieee_underflow 0
		.amdhsa_exception_fp_ieee_inexact 0
		.amdhsa_exception_int_div_zero 0
	.end_amdhsa_kernel
	.section	.text._ZN7rocprim17ROCPRIM_400000_NS6detail17trampoline_kernelINS0_14default_configENS1_27scan_by_key_config_selectorIidEEZZNS1_16scan_by_key_implILNS1_25lookback_scan_determinismE0ELb1ES3_N6thrust23THRUST_200600_302600_NS6detail15normal_iteratorINS9_10device_ptrIiEEEENSB_INSC_IdEEEESG_dNS9_4plusIvEENS9_8equal_toIvEEdEE10hipError_tPvRmT2_T3_T4_T5_mT6_T7_P12ihipStream_tbENKUlT_T0_E_clISt17integral_constantIbLb0EES11_EEDaSW_SX_EUlSW_E_NS1_11comp_targetILNS1_3genE10ELNS1_11target_archE1201ELNS1_3gpuE5ELNS1_3repE0EEENS1_30default_config_static_selectorELNS0_4arch9wavefront6targetE1EEEvT1_,"axG",@progbits,_ZN7rocprim17ROCPRIM_400000_NS6detail17trampoline_kernelINS0_14default_configENS1_27scan_by_key_config_selectorIidEEZZNS1_16scan_by_key_implILNS1_25lookback_scan_determinismE0ELb1ES3_N6thrust23THRUST_200600_302600_NS6detail15normal_iteratorINS9_10device_ptrIiEEEENSB_INSC_IdEEEESG_dNS9_4plusIvEENS9_8equal_toIvEEdEE10hipError_tPvRmT2_T3_T4_T5_mT6_T7_P12ihipStream_tbENKUlT_T0_E_clISt17integral_constantIbLb0EES11_EEDaSW_SX_EUlSW_E_NS1_11comp_targetILNS1_3genE10ELNS1_11target_archE1201ELNS1_3gpuE5ELNS1_3repE0EEENS1_30default_config_static_selectorELNS0_4arch9wavefront6targetE1EEEvT1_,comdat
.Lfunc_end1392:
	.size	_ZN7rocprim17ROCPRIM_400000_NS6detail17trampoline_kernelINS0_14default_configENS1_27scan_by_key_config_selectorIidEEZZNS1_16scan_by_key_implILNS1_25lookback_scan_determinismE0ELb1ES3_N6thrust23THRUST_200600_302600_NS6detail15normal_iteratorINS9_10device_ptrIiEEEENSB_INSC_IdEEEESG_dNS9_4plusIvEENS9_8equal_toIvEEdEE10hipError_tPvRmT2_T3_T4_T5_mT6_T7_P12ihipStream_tbENKUlT_T0_E_clISt17integral_constantIbLb0EES11_EEDaSW_SX_EUlSW_E_NS1_11comp_targetILNS1_3genE10ELNS1_11target_archE1201ELNS1_3gpuE5ELNS1_3repE0EEENS1_30default_config_static_selectorELNS0_4arch9wavefront6targetE1EEEvT1_, .Lfunc_end1392-_ZN7rocprim17ROCPRIM_400000_NS6detail17trampoline_kernelINS0_14default_configENS1_27scan_by_key_config_selectorIidEEZZNS1_16scan_by_key_implILNS1_25lookback_scan_determinismE0ELb1ES3_N6thrust23THRUST_200600_302600_NS6detail15normal_iteratorINS9_10device_ptrIiEEEENSB_INSC_IdEEEESG_dNS9_4plusIvEENS9_8equal_toIvEEdEE10hipError_tPvRmT2_T3_T4_T5_mT6_T7_P12ihipStream_tbENKUlT_T0_E_clISt17integral_constantIbLb0EES11_EEDaSW_SX_EUlSW_E_NS1_11comp_targetILNS1_3genE10ELNS1_11target_archE1201ELNS1_3gpuE5ELNS1_3repE0EEENS1_30default_config_static_selectorELNS0_4arch9wavefront6targetE1EEEvT1_
                                        ; -- End function
	.section	.AMDGPU.csdata,"",@progbits
; Kernel info:
; codeLenInByte = 0
; NumSgprs: 4
; NumVgprs: 0
; NumAgprs: 0
; TotalNumVgprs: 0
; ScratchSize: 0
; MemoryBound: 0
; FloatMode: 240
; IeeeMode: 1
; LDSByteSize: 0 bytes/workgroup (compile time only)
; SGPRBlocks: 0
; VGPRBlocks: 0
; NumSGPRsForWavesPerEU: 4
; NumVGPRsForWavesPerEU: 1
; AccumOffset: 4
; Occupancy: 8
; WaveLimiterHint : 0
; COMPUTE_PGM_RSRC2:SCRATCH_EN: 0
; COMPUTE_PGM_RSRC2:USER_SGPR: 6
; COMPUTE_PGM_RSRC2:TRAP_HANDLER: 0
; COMPUTE_PGM_RSRC2:TGID_X_EN: 1
; COMPUTE_PGM_RSRC2:TGID_Y_EN: 0
; COMPUTE_PGM_RSRC2:TGID_Z_EN: 0
; COMPUTE_PGM_RSRC2:TIDIG_COMP_CNT: 0
; COMPUTE_PGM_RSRC3_GFX90A:ACCUM_OFFSET: 0
; COMPUTE_PGM_RSRC3_GFX90A:TG_SPLIT: 0
	.section	.text._ZN7rocprim17ROCPRIM_400000_NS6detail17trampoline_kernelINS0_14default_configENS1_27scan_by_key_config_selectorIidEEZZNS1_16scan_by_key_implILNS1_25lookback_scan_determinismE0ELb1ES3_N6thrust23THRUST_200600_302600_NS6detail15normal_iteratorINS9_10device_ptrIiEEEENSB_INSC_IdEEEESG_dNS9_4plusIvEENS9_8equal_toIvEEdEE10hipError_tPvRmT2_T3_T4_T5_mT6_T7_P12ihipStream_tbENKUlT_T0_E_clISt17integral_constantIbLb0EES11_EEDaSW_SX_EUlSW_E_NS1_11comp_targetILNS1_3genE5ELNS1_11target_archE942ELNS1_3gpuE9ELNS1_3repE0EEENS1_30default_config_static_selectorELNS0_4arch9wavefront6targetE1EEEvT1_,"axG",@progbits,_ZN7rocprim17ROCPRIM_400000_NS6detail17trampoline_kernelINS0_14default_configENS1_27scan_by_key_config_selectorIidEEZZNS1_16scan_by_key_implILNS1_25lookback_scan_determinismE0ELb1ES3_N6thrust23THRUST_200600_302600_NS6detail15normal_iteratorINS9_10device_ptrIiEEEENSB_INSC_IdEEEESG_dNS9_4plusIvEENS9_8equal_toIvEEdEE10hipError_tPvRmT2_T3_T4_T5_mT6_T7_P12ihipStream_tbENKUlT_T0_E_clISt17integral_constantIbLb0EES11_EEDaSW_SX_EUlSW_E_NS1_11comp_targetILNS1_3genE5ELNS1_11target_archE942ELNS1_3gpuE9ELNS1_3repE0EEENS1_30default_config_static_selectorELNS0_4arch9wavefront6targetE1EEEvT1_,comdat
	.protected	_ZN7rocprim17ROCPRIM_400000_NS6detail17trampoline_kernelINS0_14default_configENS1_27scan_by_key_config_selectorIidEEZZNS1_16scan_by_key_implILNS1_25lookback_scan_determinismE0ELb1ES3_N6thrust23THRUST_200600_302600_NS6detail15normal_iteratorINS9_10device_ptrIiEEEENSB_INSC_IdEEEESG_dNS9_4plusIvEENS9_8equal_toIvEEdEE10hipError_tPvRmT2_T3_T4_T5_mT6_T7_P12ihipStream_tbENKUlT_T0_E_clISt17integral_constantIbLb0EES11_EEDaSW_SX_EUlSW_E_NS1_11comp_targetILNS1_3genE5ELNS1_11target_archE942ELNS1_3gpuE9ELNS1_3repE0EEENS1_30default_config_static_selectorELNS0_4arch9wavefront6targetE1EEEvT1_ ; -- Begin function _ZN7rocprim17ROCPRIM_400000_NS6detail17trampoline_kernelINS0_14default_configENS1_27scan_by_key_config_selectorIidEEZZNS1_16scan_by_key_implILNS1_25lookback_scan_determinismE0ELb1ES3_N6thrust23THRUST_200600_302600_NS6detail15normal_iteratorINS9_10device_ptrIiEEEENSB_INSC_IdEEEESG_dNS9_4plusIvEENS9_8equal_toIvEEdEE10hipError_tPvRmT2_T3_T4_T5_mT6_T7_P12ihipStream_tbENKUlT_T0_E_clISt17integral_constantIbLb0EES11_EEDaSW_SX_EUlSW_E_NS1_11comp_targetILNS1_3genE5ELNS1_11target_archE942ELNS1_3gpuE9ELNS1_3repE0EEENS1_30default_config_static_selectorELNS0_4arch9wavefront6targetE1EEEvT1_
	.globl	_ZN7rocprim17ROCPRIM_400000_NS6detail17trampoline_kernelINS0_14default_configENS1_27scan_by_key_config_selectorIidEEZZNS1_16scan_by_key_implILNS1_25lookback_scan_determinismE0ELb1ES3_N6thrust23THRUST_200600_302600_NS6detail15normal_iteratorINS9_10device_ptrIiEEEENSB_INSC_IdEEEESG_dNS9_4plusIvEENS9_8equal_toIvEEdEE10hipError_tPvRmT2_T3_T4_T5_mT6_T7_P12ihipStream_tbENKUlT_T0_E_clISt17integral_constantIbLb0EES11_EEDaSW_SX_EUlSW_E_NS1_11comp_targetILNS1_3genE5ELNS1_11target_archE942ELNS1_3gpuE9ELNS1_3repE0EEENS1_30default_config_static_selectorELNS0_4arch9wavefront6targetE1EEEvT1_
	.p2align	8
	.type	_ZN7rocprim17ROCPRIM_400000_NS6detail17trampoline_kernelINS0_14default_configENS1_27scan_by_key_config_selectorIidEEZZNS1_16scan_by_key_implILNS1_25lookback_scan_determinismE0ELb1ES3_N6thrust23THRUST_200600_302600_NS6detail15normal_iteratorINS9_10device_ptrIiEEEENSB_INSC_IdEEEESG_dNS9_4plusIvEENS9_8equal_toIvEEdEE10hipError_tPvRmT2_T3_T4_T5_mT6_T7_P12ihipStream_tbENKUlT_T0_E_clISt17integral_constantIbLb0EES11_EEDaSW_SX_EUlSW_E_NS1_11comp_targetILNS1_3genE5ELNS1_11target_archE942ELNS1_3gpuE9ELNS1_3repE0EEENS1_30default_config_static_selectorELNS0_4arch9wavefront6targetE1EEEvT1_,@function
_ZN7rocprim17ROCPRIM_400000_NS6detail17trampoline_kernelINS0_14default_configENS1_27scan_by_key_config_selectorIidEEZZNS1_16scan_by_key_implILNS1_25lookback_scan_determinismE0ELb1ES3_N6thrust23THRUST_200600_302600_NS6detail15normal_iteratorINS9_10device_ptrIiEEEENSB_INSC_IdEEEESG_dNS9_4plusIvEENS9_8equal_toIvEEdEE10hipError_tPvRmT2_T3_T4_T5_mT6_T7_P12ihipStream_tbENKUlT_T0_E_clISt17integral_constantIbLb0EES11_EEDaSW_SX_EUlSW_E_NS1_11comp_targetILNS1_3genE5ELNS1_11target_archE942ELNS1_3gpuE9ELNS1_3repE0EEENS1_30default_config_static_selectorELNS0_4arch9wavefront6targetE1EEEvT1_: ; @_ZN7rocprim17ROCPRIM_400000_NS6detail17trampoline_kernelINS0_14default_configENS1_27scan_by_key_config_selectorIidEEZZNS1_16scan_by_key_implILNS1_25lookback_scan_determinismE0ELb1ES3_N6thrust23THRUST_200600_302600_NS6detail15normal_iteratorINS9_10device_ptrIiEEEENSB_INSC_IdEEEESG_dNS9_4plusIvEENS9_8equal_toIvEEdEE10hipError_tPvRmT2_T3_T4_T5_mT6_T7_P12ihipStream_tbENKUlT_T0_E_clISt17integral_constantIbLb0EES11_EEDaSW_SX_EUlSW_E_NS1_11comp_targetILNS1_3genE5ELNS1_11target_archE942ELNS1_3gpuE9ELNS1_3repE0EEENS1_30default_config_static_selectorELNS0_4arch9wavefront6targetE1EEEvT1_
; %bb.0:
	.section	.rodata,"a",@progbits
	.p2align	6, 0x0
	.amdhsa_kernel _ZN7rocprim17ROCPRIM_400000_NS6detail17trampoline_kernelINS0_14default_configENS1_27scan_by_key_config_selectorIidEEZZNS1_16scan_by_key_implILNS1_25lookback_scan_determinismE0ELb1ES3_N6thrust23THRUST_200600_302600_NS6detail15normal_iteratorINS9_10device_ptrIiEEEENSB_INSC_IdEEEESG_dNS9_4plusIvEENS9_8equal_toIvEEdEE10hipError_tPvRmT2_T3_T4_T5_mT6_T7_P12ihipStream_tbENKUlT_T0_E_clISt17integral_constantIbLb0EES11_EEDaSW_SX_EUlSW_E_NS1_11comp_targetILNS1_3genE5ELNS1_11target_archE942ELNS1_3gpuE9ELNS1_3repE0EEENS1_30default_config_static_selectorELNS0_4arch9wavefront6targetE1EEEvT1_
		.amdhsa_group_segment_fixed_size 0
		.amdhsa_private_segment_fixed_size 0
		.amdhsa_kernarg_size 136
		.amdhsa_user_sgpr_count 6
		.amdhsa_user_sgpr_private_segment_buffer 1
		.amdhsa_user_sgpr_dispatch_ptr 0
		.amdhsa_user_sgpr_queue_ptr 0
		.amdhsa_user_sgpr_kernarg_segment_ptr 1
		.amdhsa_user_sgpr_dispatch_id 0
		.amdhsa_user_sgpr_flat_scratch_init 0
		.amdhsa_user_sgpr_kernarg_preload_length 0
		.amdhsa_user_sgpr_kernarg_preload_offset 0
		.amdhsa_user_sgpr_private_segment_size 0
		.amdhsa_uses_dynamic_stack 0
		.amdhsa_system_sgpr_private_segment_wavefront_offset 0
		.amdhsa_system_sgpr_workgroup_id_x 1
		.amdhsa_system_sgpr_workgroup_id_y 0
		.amdhsa_system_sgpr_workgroup_id_z 0
		.amdhsa_system_sgpr_workgroup_info 0
		.amdhsa_system_vgpr_workitem_id 0
		.amdhsa_next_free_vgpr 1
		.amdhsa_next_free_sgpr 0
		.amdhsa_accum_offset 4
		.amdhsa_reserve_vcc 0
		.amdhsa_reserve_flat_scratch 0
		.amdhsa_float_round_mode_32 0
		.amdhsa_float_round_mode_16_64 0
		.amdhsa_float_denorm_mode_32 3
		.amdhsa_float_denorm_mode_16_64 3
		.amdhsa_dx10_clamp 1
		.amdhsa_ieee_mode 1
		.amdhsa_fp16_overflow 0
		.amdhsa_tg_split 0
		.amdhsa_exception_fp_ieee_invalid_op 0
		.amdhsa_exception_fp_denorm_src 0
		.amdhsa_exception_fp_ieee_div_zero 0
		.amdhsa_exception_fp_ieee_overflow 0
		.amdhsa_exception_fp_ieee_underflow 0
		.amdhsa_exception_fp_ieee_inexact 0
		.amdhsa_exception_int_div_zero 0
	.end_amdhsa_kernel
	.section	.text._ZN7rocprim17ROCPRIM_400000_NS6detail17trampoline_kernelINS0_14default_configENS1_27scan_by_key_config_selectorIidEEZZNS1_16scan_by_key_implILNS1_25lookback_scan_determinismE0ELb1ES3_N6thrust23THRUST_200600_302600_NS6detail15normal_iteratorINS9_10device_ptrIiEEEENSB_INSC_IdEEEESG_dNS9_4plusIvEENS9_8equal_toIvEEdEE10hipError_tPvRmT2_T3_T4_T5_mT6_T7_P12ihipStream_tbENKUlT_T0_E_clISt17integral_constantIbLb0EES11_EEDaSW_SX_EUlSW_E_NS1_11comp_targetILNS1_3genE5ELNS1_11target_archE942ELNS1_3gpuE9ELNS1_3repE0EEENS1_30default_config_static_selectorELNS0_4arch9wavefront6targetE1EEEvT1_,"axG",@progbits,_ZN7rocprim17ROCPRIM_400000_NS6detail17trampoline_kernelINS0_14default_configENS1_27scan_by_key_config_selectorIidEEZZNS1_16scan_by_key_implILNS1_25lookback_scan_determinismE0ELb1ES3_N6thrust23THRUST_200600_302600_NS6detail15normal_iteratorINS9_10device_ptrIiEEEENSB_INSC_IdEEEESG_dNS9_4plusIvEENS9_8equal_toIvEEdEE10hipError_tPvRmT2_T3_T4_T5_mT6_T7_P12ihipStream_tbENKUlT_T0_E_clISt17integral_constantIbLb0EES11_EEDaSW_SX_EUlSW_E_NS1_11comp_targetILNS1_3genE5ELNS1_11target_archE942ELNS1_3gpuE9ELNS1_3repE0EEENS1_30default_config_static_selectorELNS0_4arch9wavefront6targetE1EEEvT1_,comdat
.Lfunc_end1393:
	.size	_ZN7rocprim17ROCPRIM_400000_NS6detail17trampoline_kernelINS0_14default_configENS1_27scan_by_key_config_selectorIidEEZZNS1_16scan_by_key_implILNS1_25lookback_scan_determinismE0ELb1ES3_N6thrust23THRUST_200600_302600_NS6detail15normal_iteratorINS9_10device_ptrIiEEEENSB_INSC_IdEEEESG_dNS9_4plusIvEENS9_8equal_toIvEEdEE10hipError_tPvRmT2_T3_T4_T5_mT6_T7_P12ihipStream_tbENKUlT_T0_E_clISt17integral_constantIbLb0EES11_EEDaSW_SX_EUlSW_E_NS1_11comp_targetILNS1_3genE5ELNS1_11target_archE942ELNS1_3gpuE9ELNS1_3repE0EEENS1_30default_config_static_selectorELNS0_4arch9wavefront6targetE1EEEvT1_, .Lfunc_end1393-_ZN7rocprim17ROCPRIM_400000_NS6detail17trampoline_kernelINS0_14default_configENS1_27scan_by_key_config_selectorIidEEZZNS1_16scan_by_key_implILNS1_25lookback_scan_determinismE0ELb1ES3_N6thrust23THRUST_200600_302600_NS6detail15normal_iteratorINS9_10device_ptrIiEEEENSB_INSC_IdEEEESG_dNS9_4plusIvEENS9_8equal_toIvEEdEE10hipError_tPvRmT2_T3_T4_T5_mT6_T7_P12ihipStream_tbENKUlT_T0_E_clISt17integral_constantIbLb0EES11_EEDaSW_SX_EUlSW_E_NS1_11comp_targetILNS1_3genE5ELNS1_11target_archE942ELNS1_3gpuE9ELNS1_3repE0EEENS1_30default_config_static_selectorELNS0_4arch9wavefront6targetE1EEEvT1_
                                        ; -- End function
	.section	.AMDGPU.csdata,"",@progbits
; Kernel info:
; codeLenInByte = 0
; NumSgprs: 4
; NumVgprs: 0
; NumAgprs: 0
; TotalNumVgprs: 0
; ScratchSize: 0
; MemoryBound: 0
; FloatMode: 240
; IeeeMode: 1
; LDSByteSize: 0 bytes/workgroup (compile time only)
; SGPRBlocks: 0
; VGPRBlocks: 0
; NumSGPRsForWavesPerEU: 4
; NumVGPRsForWavesPerEU: 1
; AccumOffset: 4
; Occupancy: 8
; WaveLimiterHint : 0
; COMPUTE_PGM_RSRC2:SCRATCH_EN: 0
; COMPUTE_PGM_RSRC2:USER_SGPR: 6
; COMPUTE_PGM_RSRC2:TRAP_HANDLER: 0
; COMPUTE_PGM_RSRC2:TGID_X_EN: 1
; COMPUTE_PGM_RSRC2:TGID_Y_EN: 0
; COMPUTE_PGM_RSRC2:TGID_Z_EN: 0
; COMPUTE_PGM_RSRC2:TIDIG_COMP_CNT: 0
; COMPUTE_PGM_RSRC3_GFX90A:ACCUM_OFFSET: 0
; COMPUTE_PGM_RSRC3_GFX90A:TG_SPLIT: 0
	.section	.text._ZN7rocprim17ROCPRIM_400000_NS6detail17trampoline_kernelINS0_14default_configENS1_27scan_by_key_config_selectorIidEEZZNS1_16scan_by_key_implILNS1_25lookback_scan_determinismE0ELb1ES3_N6thrust23THRUST_200600_302600_NS6detail15normal_iteratorINS9_10device_ptrIiEEEENSB_INSC_IdEEEESG_dNS9_4plusIvEENS9_8equal_toIvEEdEE10hipError_tPvRmT2_T3_T4_T5_mT6_T7_P12ihipStream_tbENKUlT_T0_E_clISt17integral_constantIbLb0EES11_EEDaSW_SX_EUlSW_E_NS1_11comp_targetILNS1_3genE4ELNS1_11target_archE910ELNS1_3gpuE8ELNS1_3repE0EEENS1_30default_config_static_selectorELNS0_4arch9wavefront6targetE1EEEvT1_,"axG",@progbits,_ZN7rocprim17ROCPRIM_400000_NS6detail17trampoline_kernelINS0_14default_configENS1_27scan_by_key_config_selectorIidEEZZNS1_16scan_by_key_implILNS1_25lookback_scan_determinismE0ELb1ES3_N6thrust23THRUST_200600_302600_NS6detail15normal_iteratorINS9_10device_ptrIiEEEENSB_INSC_IdEEEESG_dNS9_4plusIvEENS9_8equal_toIvEEdEE10hipError_tPvRmT2_T3_T4_T5_mT6_T7_P12ihipStream_tbENKUlT_T0_E_clISt17integral_constantIbLb0EES11_EEDaSW_SX_EUlSW_E_NS1_11comp_targetILNS1_3genE4ELNS1_11target_archE910ELNS1_3gpuE8ELNS1_3repE0EEENS1_30default_config_static_selectorELNS0_4arch9wavefront6targetE1EEEvT1_,comdat
	.protected	_ZN7rocprim17ROCPRIM_400000_NS6detail17trampoline_kernelINS0_14default_configENS1_27scan_by_key_config_selectorIidEEZZNS1_16scan_by_key_implILNS1_25lookback_scan_determinismE0ELb1ES3_N6thrust23THRUST_200600_302600_NS6detail15normal_iteratorINS9_10device_ptrIiEEEENSB_INSC_IdEEEESG_dNS9_4plusIvEENS9_8equal_toIvEEdEE10hipError_tPvRmT2_T3_T4_T5_mT6_T7_P12ihipStream_tbENKUlT_T0_E_clISt17integral_constantIbLb0EES11_EEDaSW_SX_EUlSW_E_NS1_11comp_targetILNS1_3genE4ELNS1_11target_archE910ELNS1_3gpuE8ELNS1_3repE0EEENS1_30default_config_static_selectorELNS0_4arch9wavefront6targetE1EEEvT1_ ; -- Begin function _ZN7rocprim17ROCPRIM_400000_NS6detail17trampoline_kernelINS0_14default_configENS1_27scan_by_key_config_selectorIidEEZZNS1_16scan_by_key_implILNS1_25lookback_scan_determinismE0ELb1ES3_N6thrust23THRUST_200600_302600_NS6detail15normal_iteratorINS9_10device_ptrIiEEEENSB_INSC_IdEEEESG_dNS9_4plusIvEENS9_8equal_toIvEEdEE10hipError_tPvRmT2_T3_T4_T5_mT6_T7_P12ihipStream_tbENKUlT_T0_E_clISt17integral_constantIbLb0EES11_EEDaSW_SX_EUlSW_E_NS1_11comp_targetILNS1_3genE4ELNS1_11target_archE910ELNS1_3gpuE8ELNS1_3repE0EEENS1_30default_config_static_selectorELNS0_4arch9wavefront6targetE1EEEvT1_
	.globl	_ZN7rocprim17ROCPRIM_400000_NS6detail17trampoline_kernelINS0_14default_configENS1_27scan_by_key_config_selectorIidEEZZNS1_16scan_by_key_implILNS1_25lookback_scan_determinismE0ELb1ES3_N6thrust23THRUST_200600_302600_NS6detail15normal_iteratorINS9_10device_ptrIiEEEENSB_INSC_IdEEEESG_dNS9_4plusIvEENS9_8equal_toIvEEdEE10hipError_tPvRmT2_T3_T4_T5_mT6_T7_P12ihipStream_tbENKUlT_T0_E_clISt17integral_constantIbLb0EES11_EEDaSW_SX_EUlSW_E_NS1_11comp_targetILNS1_3genE4ELNS1_11target_archE910ELNS1_3gpuE8ELNS1_3repE0EEENS1_30default_config_static_selectorELNS0_4arch9wavefront6targetE1EEEvT1_
	.p2align	8
	.type	_ZN7rocprim17ROCPRIM_400000_NS6detail17trampoline_kernelINS0_14default_configENS1_27scan_by_key_config_selectorIidEEZZNS1_16scan_by_key_implILNS1_25lookback_scan_determinismE0ELb1ES3_N6thrust23THRUST_200600_302600_NS6detail15normal_iteratorINS9_10device_ptrIiEEEENSB_INSC_IdEEEESG_dNS9_4plusIvEENS9_8equal_toIvEEdEE10hipError_tPvRmT2_T3_T4_T5_mT6_T7_P12ihipStream_tbENKUlT_T0_E_clISt17integral_constantIbLb0EES11_EEDaSW_SX_EUlSW_E_NS1_11comp_targetILNS1_3genE4ELNS1_11target_archE910ELNS1_3gpuE8ELNS1_3repE0EEENS1_30default_config_static_selectorELNS0_4arch9wavefront6targetE1EEEvT1_,@function
_ZN7rocprim17ROCPRIM_400000_NS6detail17trampoline_kernelINS0_14default_configENS1_27scan_by_key_config_selectorIidEEZZNS1_16scan_by_key_implILNS1_25lookback_scan_determinismE0ELb1ES3_N6thrust23THRUST_200600_302600_NS6detail15normal_iteratorINS9_10device_ptrIiEEEENSB_INSC_IdEEEESG_dNS9_4plusIvEENS9_8equal_toIvEEdEE10hipError_tPvRmT2_T3_T4_T5_mT6_T7_P12ihipStream_tbENKUlT_T0_E_clISt17integral_constantIbLb0EES11_EEDaSW_SX_EUlSW_E_NS1_11comp_targetILNS1_3genE4ELNS1_11target_archE910ELNS1_3gpuE8ELNS1_3repE0EEENS1_30default_config_static_selectorELNS0_4arch9wavefront6targetE1EEEvT1_: ; @_ZN7rocprim17ROCPRIM_400000_NS6detail17trampoline_kernelINS0_14default_configENS1_27scan_by_key_config_selectorIidEEZZNS1_16scan_by_key_implILNS1_25lookback_scan_determinismE0ELb1ES3_N6thrust23THRUST_200600_302600_NS6detail15normal_iteratorINS9_10device_ptrIiEEEENSB_INSC_IdEEEESG_dNS9_4plusIvEENS9_8equal_toIvEEdEE10hipError_tPvRmT2_T3_T4_T5_mT6_T7_P12ihipStream_tbENKUlT_T0_E_clISt17integral_constantIbLb0EES11_EEDaSW_SX_EUlSW_E_NS1_11comp_targetILNS1_3genE4ELNS1_11target_archE910ELNS1_3gpuE8ELNS1_3repE0EEENS1_30default_config_static_selectorELNS0_4arch9wavefront6targetE1EEEvT1_
; %bb.0:
	s_load_dwordx8 s[56:63], s[4:5], 0x0
	s_load_dwordx2 s[68:69], s[4:5], 0x20
	s_load_dwordx8 s[48:55], s[4:5], 0x30
	s_load_dwordx2 s[70:71], s[4:5], 0x50
	s_load_dword s2, s[4:5], 0x58
	s_load_dwordx4 s[64:67], s[4:5], 0x60
	s_waitcnt lgkmcnt(0)
	s_lshl_b64 s[0:1], s[58:59], 2
	s_add_u32 s4, s56, s0
	s_addc_u32 s5, s57, s1
	s_lshl_b64 s[56:57], s[58:59], 3
	s_add_u32 s7, s60, s56
	s_mul_i32 s0, s71, s2
	s_mul_hi_u32 s1, s70, s2
	s_addc_u32 s8, s61, s57
	s_add_i32 s9, s1, s0
	s_mul_i32 s0, s6, 0x540
	s_mov_b32 s1, 0
	s_mul_i32 s10, s70, s2
	s_lshl_b64 s[2:3], s[0:1], 2
	s_add_u32 s60, s4, s2
	s_addc_u32 s61, s5, s3
	s_lshl_b64 s[58:59], s[0:1], 3
	s_add_u32 s7, s7, s58
	s_addc_u32 s55, s8, s59
	s_add_u32 s0, s10, s6
	s_addc_u32 s1, s9, 0
	s_add_u32 s4, s64, -1
	s_addc_u32 s5, s65, -1
	v_pk_mov_b32 v[2:3], s[4:5], s[4:5] op_sel:[0,1]
	v_cmp_ge_u64_e64 s[0:1], s[0:1], v[2:3]
	s_mov_b64 s[2:3], -1
	s_and_b64 vcc, exec, s[0:1]
	s_mul_i32 s33, s4, 0xfffffac0
	s_waitcnt lgkmcnt(0)
	; wave barrier
	s_cbranch_vccz .LBB1394_65
; %bb.1:
	v_pk_mov_b32 v[2:3], s[60:61], s[60:61] op_sel:[0,1]
	flat_load_dword v2, v[2:3]
	s_add_i32 s74, s33, s54
	v_cmp_gt_u32_e32 vcc, s74, v0
	s_waitcnt vmcnt(0) lgkmcnt(0)
	v_mov_b32_e32 v3, v2
	s_and_saveexec_b64 s[4:5], vcc
	s_cbranch_execz .LBB1394_3
; %bb.2:
	v_lshlrev_b32_e32 v1, 2, v0
	v_mov_b32_e32 v3, s61
	v_add_co_u32_e64 v4, s[2:3], s60, v1
	v_addc_co_u32_e64 v5, s[2:3], 0, v3, s[2:3]
	flat_load_dword v3, v[4:5]
.LBB1394_3:
	s_or_b64 exec, exec, s[4:5]
	v_or_b32_e32 v1, 64, v0
	v_cmp_gt_u32_e64 s[2:3], s74, v1
	v_mov_b32_e32 v4, v2
	s_and_saveexec_b64 s[8:9], s[2:3]
	s_cbranch_execz .LBB1394_5
; %bb.4:
	v_lshlrev_b32_e32 v1, 2, v0
	v_mov_b32_e32 v5, s61
	v_add_co_u32_e64 v4, s[4:5], s60, v1
	v_addc_co_u32_e64 v5, s[4:5], 0, v5, s[4:5]
	flat_load_dword v4, v[4:5] offset:256
.LBB1394_5:
	s_or_b64 exec, exec, s[8:9]
	v_or_b32_e32 v1, 0x80, v0
	v_cmp_gt_u32_e64 s[4:5], s74, v1
	v_mov_b32_e32 v5, v2
	s_and_saveexec_b64 s[10:11], s[4:5]
	s_cbranch_execz .LBB1394_7
; %bb.6:
	v_lshlrev_b32_e32 v1, 2, v0
	v_mov_b32_e32 v5, s61
	v_add_co_u32_e64 v6, s[8:9], s60, v1
	v_addc_co_u32_e64 v7, s[8:9], 0, v5, s[8:9]
	flat_load_dword v5, v[6:7] offset:512
.LBB1394_7:
	s_or_b64 exec, exec, s[10:11]
	v_or_b32_e32 v1, 0xc0, v0
	v_cmp_gt_u32_e64 s[44:45], s74, v1
	v_mov_b32_e32 v6, v2
	s_and_saveexec_b64 s[10:11], s[44:45]
	s_cbranch_execz .LBB1394_9
; %bb.8:
	v_lshlrev_b32_e32 v1, 2, v0
	v_mov_b32_e32 v7, s61
	v_add_co_u32_e64 v6, s[8:9], s60, v1
	v_addc_co_u32_e64 v7, s[8:9], 0, v7, s[8:9]
	flat_load_dword v6, v[6:7] offset:768
.LBB1394_9:
	s_or_b64 exec, exec, s[10:11]
	v_or_b32_e32 v1, 0x100, v0
	v_cmp_gt_u32_e64 s[8:9], s74, v1
	v_mov_b32_e32 v7, v2
	s_and_saveexec_b64 s[12:13], s[8:9]
	s_cbranch_execz .LBB1394_11
; %bb.10:
	v_lshlrev_b32_e32 v1, 2, v0
	v_mov_b32_e32 v7, s61
	v_add_co_u32_e64 v8, s[10:11], s60, v1
	v_addc_co_u32_e64 v9, s[10:11], 0, v7, s[10:11]
	flat_load_dword v7, v[8:9] offset:1024
.LBB1394_11:
	s_or_b64 exec, exec, s[12:13]
	v_or_b32_e32 v1, 0x140, v0
	v_cmp_gt_u32_e64 s[10:11], s74, v1
	v_mov_b32_e32 v8, v2
	s_and_saveexec_b64 s[14:15], s[10:11]
	s_cbranch_execz .LBB1394_13
; %bb.12:
	v_lshlrev_b32_e32 v1, 2, v0
	v_mov_b32_e32 v9, s61
	v_add_co_u32_e64 v8, s[12:13], s60, v1
	v_addc_co_u32_e64 v9, s[12:13], 0, v9, s[12:13]
	flat_load_dword v8, v[8:9] offset:1280
.LBB1394_13:
	s_or_b64 exec, exec, s[14:15]
	v_or_b32_e32 v1, 0x180, v0
	v_cmp_gt_u32_e64 s[12:13], s74, v1
	v_mov_b32_e32 v9, v2
	s_and_saveexec_b64 s[16:17], s[12:13]
	s_cbranch_execz .LBB1394_15
; %bb.14:
	v_lshlrev_b32_e32 v1, 2, v0
	v_mov_b32_e32 v9, s61
	v_add_co_u32_e64 v10, s[14:15], s60, v1
	v_addc_co_u32_e64 v11, s[14:15], 0, v9, s[14:15]
	flat_load_dword v9, v[10:11] offset:1536
.LBB1394_15:
	s_or_b64 exec, exec, s[16:17]
	v_or_b32_e32 v1, 0x1c0, v0
	v_cmp_gt_u32_e64 s[14:15], s74, v1
	v_mov_b32_e32 v10, v2
	s_and_saveexec_b64 s[18:19], s[14:15]
	s_cbranch_execz .LBB1394_17
; %bb.16:
	v_lshlrev_b32_e32 v1, 2, v0
	v_mov_b32_e32 v11, s61
	v_add_co_u32_e64 v10, s[16:17], s60, v1
	v_addc_co_u32_e64 v11, s[16:17], 0, v11, s[16:17]
	flat_load_dword v10, v[10:11] offset:1792
.LBB1394_17:
	s_or_b64 exec, exec, s[18:19]
	v_or_b32_e32 v1, 0x200, v0
	v_cmp_gt_u32_e64 s[16:17], s74, v1
	v_mov_b32_e32 v11, v2
	s_and_saveexec_b64 s[20:21], s[16:17]
	s_cbranch_execz .LBB1394_19
; %bb.18:
	v_lshlrev_b32_e32 v11, 2, v0
	v_mov_b32_e32 v13, s61
	v_add_co_u32_e64 v12, s[18:19], s60, v11
	v_addc_co_u32_e64 v13, s[18:19], 0, v13, s[18:19]
	flat_load_dword v11, v[12:13] offset:2048
.LBB1394_19:
	s_or_b64 exec, exec, s[20:21]
	v_or_b32_e32 v42, 0x240, v0
	v_cmp_gt_u32_e64 s[18:19], s74, v42
	v_mov_b32_e32 v12, v2
	s_and_saveexec_b64 s[22:23], s[18:19]
	s_cbranch_execz .LBB1394_21
; %bb.20:
	v_lshlrev_b32_e32 v12, 2, v0
	v_mov_b32_e32 v13, s61
	v_add_co_u32_e64 v12, s[20:21], s60, v12
	v_addc_co_u32_e64 v13, s[20:21], 0, v13, s[20:21]
	flat_load_dword v12, v[12:13] offset:2304
.LBB1394_21:
	s_or_b64 exec, exec, s[22:23]
	v_or_b32_e32 v44, 0x280, v0
	v_cmp_gt_u32_e64 s[20:21], s74, v44
	v_mov_b32_e32 v13, v2
	s_and_saveexec_b64 s[24:25], s[20:21]
	s_cbranch_execz .LBB1394_23
; %bb.22:
	v_lshlrev_b32_e32 v13, 2, v0
	v_mov_b32_e32 v15, s61
	v_add_co_u32_e64 v14, s[22:23], s60, v13
	v_addc_co_u32_e64 v15, s[22:23], 0, v15, s[22:23]
	flat_load_dword v13, v[14:15] offset:2560
.LBB1394_23:
	s_or_b64 exec, exec, s[24:25]
	v_or_b32_e32 v46, 0x2c0, v0
	v_cmp_gt_u32_e64 s[22:23], s74, v46
	v_mov_b32_e32 v14, v2
	s_and_saveexec_b64 s[26:27], s[22:23]
	s_cbranch_execz .LBB1394_25
; %bb.24:
	v_lshlrev_b32_e32 v14, 2, v0
	v_mov_b32_e32 v15, s61
	v_add_co_u32_e64 v14, s[24:25], s60, v14
	v_addc_co_u32_e64 v15, s[24:25], 0, v15, s[24:25]
	flat_load_dword v14, v[14:15] offset:2816
.LBB1394_25:
	s_or_b64 exec, exec, s[26:27]
	v_or_b32_e32 v48, 0x300, v0
	v_cmp_gt_u32_e64 s[24:25], s74, v48
	v_mov_b32_e32 v15, v2
	s_and_saveexec_b64 s[28:29], s[24:25]
	s_cbranch_execz .LBB1394_27
; %bb.26:
	v_lshlrev_b32_e32 v15, 2, v0
	v_mov_b32_e32 v17, s61
	v_add_co_u32_e64 v16, s[26:27], s60, v15
	v_addc_co_u32_e64 v17, s[26:27], 0, v17, s[26:27]
	flat_load_dword v15, v[16:17] offset:3072
.LBB1394_27:
	s_or_b64 exec, exec, s[28:29]
	v_or_b32_e32 v50, 0x340, v0
	v_cmp_gt_u32_e64 s[26:27], s74, v50
	v_mov_b32_e32 v16, v2
	s_and_saveexec_b64 s[30:31], s[26:27]
	s_cbranch_execz .LBB1394_29
; %bb.28:
	v_lshlrev_b32_e32 v16, 2, v0
	v_mov_b32_e32 v17, s61
	v_add_co_u32_e64 v16, s[28:29], s60, v16
	v_addc_co_u32_e64 v17, s[28:29], 0, v17, s[28:29]
	flat_load_dword v16, v[16:17] offset:3328
.LBB1394_29:
	s_or_b64 exec, exec, s[30:31]
	v_or_b32_e32 v52, 0x380, v0
	v_cmp_gt_u32_e64 s[28:29], s74, v52
	v_mov_b32_e32 v17, v2
	s_and_saveexec_b64 s[34:35], s[28:29]
	s_cbranch_execz .LBB1394_31
; %bb.30:
	v_lshlrev_b32_e32 v17, 2, v0
	v_mov_b32_e32 v19, s61
	v_add_co_u32_e64 v18, s[30:31], s60, v17
	v_addc_co_u32_e64 v19, s[30:31], 0, v19, s[30:31]
	flat_load_dword v17, v[18:19] offset:3584
.LBB1394_31:
	s_or_b64 exec, exec, s[34:35]
	v_or_b32_e32 v54, 0x3c0, v0
	v_cmp_gt_u32_e64 s[30:31], s74, v54
	v_mov_b32_e32 v18, v2
	s_and_saveexec_b64 s[36:37], s[30:31]
	s_cbranch_execz .LBB1394_33
; %bb.32:
	v_lshlrev_b32_e32 v18, 2, v0
	v_mov_b32_e32 v19, s61
	v_add_co_u32_e64 v18, s[34:35], s60, v18
	v_addc_co_u32_e64 v19, s[34:35], 0, v19, s[34:35]
	flat_load_dword v18, v[18:19] offset:3840
.LBB1394_33:
	s_or_b64 exec, exec, s[36:37]
	v_or_b32_e32 v56, 0x400, v0
	v_cmp_gt_u32_e64 s[34:35], s74, v56
	v_mov_b32_e32 v19, v2
	s_and_saveexec_b64 s[38:39], s[34:35]
	s_cbranch_execz .LBB1394_35
; %bb.34:
	v_lshlrev_b32_e32 v19, 2, v56
	v_mov_b32_e32 v21, s61
	v_add_co_u32_e64 v20, s[36:37], s60, v19
	v_addc_co_u32_e64 v21, s[36:37], 0, v21, s[36:37]
	flat_load_dword v19, v[20:21]
.LBB1394_35:
	s_or_b64 exec, exec, s[38:39]
	v_or_b32_e32 v58, 0x440, v0
	v_cmp_gt_u32_e64 s[36:37], s74, v58
	v_mov_b32_e32 v20, v2
	s_and_saveexec_b64 s[40:41], s[36:37]
	s_cbranch_execz .LBB1394_37
; %bb.36:
	v_lshlrev_b32_e32 v20, 2, v58
	v_mov_b32_e32 v21, s61
	v_add_co_u32_e64 v20, s[38:39], s60, v20
	v_addc_co_u32_e64 v21, s[38:39], 0, v21, s[38:39]
	flat_load_dword v20, v[20:21]
.LBB1394_37:
	s_or_b64 exec, exec, s[40:41]
	v_or_b32_e32 v60, 0x480, v0
	v_cmp_gt_u32_e64 s[38:39], s74, v60
	v_mov_b32_e32 v21, v2
	s_and_saveexec_b64 s[42:43], s[38:39]
	s_cbranch_execz .LBB1394_39
; %bb.38:
	v_lshlrev_b32_e32 v21, 2, v60
	v_mov_b32_e32 v23, s61
	v_add_co_u32_e64 v22, s[40:41], s60, v21
	v_addc_co_u32_e64 v23, s[40:41], 0, v23, s[40:41]
	flat_load_dword v21, v[22:23]
.LBB1394_39:
	s_or_b64 exec, exec, s[42:43]
	v_or_b32_e32 v62, 0x4c0, v0
	v_cmp_gt_u32_e64 s[40:41], s74, v62
	v_mov_b32_e32 v22, v2
	s_and_saveexec_b64 s[46:47], s[40:41]
	s_cbranch_execz .LBB1394_41
; %bb.40:
	v_lshlrev_b32_e32 v22, 2, v62
	v_mov_b32_e32 v23, s61
	v_add_co_u32_e64 v22, s[42:43], s60, v22
	v_addc_co_u32_e64 v23, s[42:43], 0, v23, s[42:43]
	flat_load_dword v22, v[22:23]
.LBB1394_41:
	s_or_b64 exec, exec, s[46:47]
	v_or_b32_e32 v64, 0x500, v0
	v_cmp_gt_u32_e64 s[42:43], s74, v64
	s_and_saveexec_b64 s[64:65], s[42:43]
	s_cbranch_execz .LBB1394_43
; %bb.42:
	v_lshlrev_b32_e32 v2, 2, v64
	v_mov_b32_e32 v23, s61
	v_add_co_u32_e64 v24, s[46:47], s60, v2
	v_addc_co_u32_e64 v25, s[46:47], 0, v23, s[46:47]
	flat_load_dword v2, v[24:25]
.LBB1394_43:
	s_or_b64 exec, exec, s[64:65]
	v_lshlrev_b32_e32 v26, 2, v0
	s_waitcnt vmcnt(0) lgkmcnt(0)
	ds_write2st64_b32 v26, v3, v4 offset1:1
	ds_write2st64_b32 v26, v5, v6 offset0:2 offset1:3
	ds_write2st64_b32 v26, v7, v8 offset0:4 offset1:5
	ds_write2st64_b32 v26, v9, v10 offset0:6 offset1:7
	ds_write2st64_b32 v26, v11, v12 offset0:8 offset1:9
	ds_write2st64_b32 v26, v13, v14 offset0:10 offset1:11
	ds_write2st64_b32 v26, v15, v16 offset0:12 offset1:13
	ds_write2st64_b32 v26, v17, v18 offset0:14 offset1:15
	ds_write2st64_b32 v26, v19, v20 offset0:16 offset1:17
	ds_write2st64_b32 v26, v21, v22 offset0:18 offset1:19
	ds_write_b32 v26, v2 offset:5120
	v_pk_mov_b32 v[2:3], s[60:61], s[60:61] op_sel:[0,1]
	s_waitcnt lgkmcnt(0)
	; wave barrier
	s_waitcnt lgkmcnt(0)
	flat_load_dword v82, v[2:3]
	s_movk_i32 s46, 0x50
	v_mad_u32_u24 v2, v0, s46, v26
	s_movk_i32 s46, 0xffb0
	v_mad_i32_i24 v65, v0, s46, v2
	v_cmp_ne_u32_e64 s[46:47], 63, v0
	ds_read_b32 v84, v2
	ds_read2_b32 v[24:25], v2 offset0:1 offset1:2
	ds_read2_b32 v[22:23], v2 offset0:3 offset1:4
	;; [unrolled: 1-line block ×10, first 2 shown]
	s_waitcnt lgkmcnt(0)
	ds_write_b32 v65, v84 offset:5632
	s_waitcnt lgkmcnt(0)
	; wave barrier
	s_waitcnt lgkmcnt(0)
	s_and_saveexec_b64 s[64:65], s[46:47]
	s_cbranch_execz .LBB1394_45
; %bb.44:
	s_waitcnt vmcnt(0)
	ds_read_b32 v82, v26 offset:5636
.LBB1394_45:
	s_or_b64 exec, exec, s[64:65]
	s_waitcnt lgkmcnt(0)
	; wave barrier
	s_waitcnt lgkmcnt(0)
                                        ; implicit-def: $vgpr2_vgpr3
	s_and_saveexec_b64 s[46:47], vcc
	s_cbranch_execz .LBB1394_66
; %bb.46:
	v_lshlrev_b32_e32 v2, 3, v0
	v_mov_b32_e32 v3, s55
	v_add_co_u32_e32 v2, vcc, s7, v2
	v_addc_co_u32_e32 v3, vcc, 0, v3, vcc
	flat_load_dwordx2 v[2:3], v[2:3]
	s_or_b64 exec, exec, s[46:47]
                                        ; implicit-def: $vgpr4_vgpr5
	s_and_saveexec_b64 s[46:47], s[2:3]
	s_cbranch_execnz .LBB1394_67
.LBB1394_47:
	s_or_b64 exec, exec, s[46:47]
                                        ; implicit-def: $vgpr26_vgpr27
	s_and_saveexec_b64 s[2:3], s[4:5]
	s_cbranch_execz .LBB1394_68
.LBB1394_48:
	v_lshlrev_b32_e32 v26, 3, v0
	v_mov_b32_e32 v27, s55
	v_add_co_u32_e32 v26, vcc, s7, v26
	v_addc_co_u32_e32 v27, vcc, 0, v27, vcc
	flat_load_dwordx2 v[26:27], v[26:27] offset:1024
	s_or_b64 exec, exec, s[2:3]
                                        ; implicit-def: $vgpr28_vgpr29
	s_and_saveexec_b64 s[2:3], s[44:45]
	s_cbranch_execnz .LBB1394_69
.LBB1394_49:
	s_or_b64 exec, exec, s[2:3]
                                        ; implicit-def: $vgpr30_vgpr31
	s_and_saveexec_b64 s[2:3], s[8:9]
	s_cbranch_execz .LBB1394_70
.LBB1394_50:
	v_lshlrev_b32_e32 v30, 3, v0
	v_mov_b32_e32 v31, s55
	v_add_co_u32_e32 v30, vcc, s7, v30
	v_addc_co_u32_e32 v31, vcc, 0, v31, vcc
	flat_load_dwordx2 v[30:31], v[30:31] offset:2048
	s_or_b64 exec, exec, s[2:3]
                                        ; implicit-def: $vgpr32_vgpr33
	s_and_saveexec_b64 s[2:3], s[10:11]
	s_cbranch_execnz .LBB1394_71
.LBB1394_51:
	s_or_b64 exec, exec, s[2:3]
                                        ; implicit-def: $vgpr34_vgpr35
	s_and_saveexec_b64 s[2:3], s[12:13]
	s_cbranch_execz .LBB1394_72
.LBB1394_52:
	v_lshlrev_b32_e32 v34, 3, v0
	v_mov_b32_e32 v35, s55
	v_add_co_u32_e32 v34, vcc, s7, v34
	v_addc_co_u32_e32 v35, vcc, 0, v35, vcc
	flat_load_dwordx2 v[34:35], v[34:35] offset:3072
	s_or_b64 exec, exec, s[2:3]
                                        ; implicit-def: $vgpr36_vgpr37
	s_and_saveexec_b64 s[2:3], s[14:15]
	s_cbranch_execnz .LBB1394_73
.LBB1394_53:
	s_or_b64 exec, exec, s[2:3]
                                        ; implicit-def: $vgpr38_vgpr39
	s_and_saveexec_b64 s[2:3], s[16:17]
	s_cbranch_execz .LBB1394_74
.LBB1394_54:
	v_lshlrev_b32_e32 v1, 3, v1
	v_mov_b32_e32 v39, s55
	v_add_co_u32_e32 v38, vcc, s7, v1
	v_addc_co_u32_e32 v39, vcc, 0, v39, vcc
	flat_load_dwordx2 v[38:39], v[38:39]
	s_or_b64 exec, exec, s[2:3]
                                        ; implicit-def: $vgpr40_vgpr41
	s_and_saveexec_b64 s[2:3], s[18:19]
	s_cbranch_execnz .LBB1394_75
.LBB1394_55:
	s_or_b64 exec, exec, s[2:3]
                                        ; implicit-def: $vgpr42_vgpr43
	s_and_saveexec_b64 s[2:3], s[20:21]
	s_cbranch_execz .LBB1394_76
.LBB1394_56:
	v_lshlrev_b32_e32 v1, 3, v44
	v_mov_b32_e32 v43, s55
	v_add_co_u32_e32 v42, vcc, s7, v1
	v_addc_co_u32_e32 v43, vcc, 0, v43, vcc
	flat_load_dwordx2 v[42:43], v[42:43]
	s_or_b64 exec, exec, s[2:3]
                                        ; implicit-def: $vgpr44_vgpr45
	s_and_saveexec_b64 s[2:3], s[22:23]
	s_cbranch_execnz .LBB1394_77
.LBB1394_57:
	s_or_b64 exec, exec, s[2:3]
                                        ; implicit-def: $vgpr46_vgpr47
	s_and_saveexec_b64 s[2:3], s[24:25]
	s_cbranch_execz .LBB1394_78
.LBB1394_58:
	v_lshlrev_b32_e32 v1, 3, v48
	v_mov_b32_e32 v47, s55
	v_add_co_u32_e32 v46, vcc, s7, v1
	v_addc_co_u32_e32 v47, vcc, 0, v47, vcc
	flat_load_dwordx2 v[46:47], v[46:47]
	s_or_b64 exec, exec, s[2:3]
                                        ; implicit-def: $vgpr48_vgpr49
	s_and_saveexec_b64 s[2:3], s[26:27]
	s_cbranch_execnz .LBB1394_79
.LBB1394_59:
	s_or_b64 exec, exec, s[2:3]
                                        ; implicit-def: $vgpr50_vgpr51
	s_and_saveexec_b64 s[2:3], s[28:29]
	s_cbranch_execz .LBB1394_80
.LBB1394_60:
	v_lshlrev_b32_e32 v1, 3, v52
	v_mov_b32_e32 v51, s55
	v_add_co_u32_e32 v50, vcc, s7, v1
	v_addc_co_u32_e32 v51, vcc, 0, v51, vcc
	flat_load_dwordx2 v[50:51], v[50:51]
	s_or_b64 exec, exec, s[2:3]
                                        ; implicit-def: $vgpr52_vgpr53
	s_and_saveexec_b64 s[2:3], s[30:31]
	s_cbranch_execnz .LBB1394_81
.LBB1394_61:
	s_or_b64 exec, exec, s[2:3]
                                        ; implicit-def: $vgpr54_vgpr55
	s_and_saveexec_b64 s[2:3], s[34:35]
	s_cbranch_execz .LBB1394_82
.LBB1394_62:
	v_lshlrev_b32_e32 v1, 3, v56
	v_mov_b32_e32 v55, s55
	v_add_co_u32_e32 v54, vcc, s7, v1
	v_addc_co_u32_e32 v55, vcc, 0, v55, vcc
	flat_load_dwordx2 v[54:55], v[54:55]
	s_or_b64 exec, exec, s[2:3]
                                        ; implicit-def: $vgpr56_vgpr57
	s_and_saveexec_b64 s[2:3], s[36:37]
	s_cbranch_execnz .LBB1394_83
.LBB1394_63:
	s_or_b64 exec, exec, s[2:3]
                                        ; implicit-def: $vgpr58_vgpr59
	s_and_saveexec_b64 s[2:3], s[38:39]
	s_cbranch_execz .LBB1394_84
.LBB1394_64:
	v_lshlrev_b32_e32 v1, 3, v60
	v_mov_b32_e32 v59, s55
	v_add_co_u32_e32 v58, vcc, s7, v1
	v_addc_co_u32_e32 v59, vcc, 0, v59, vcc
	flat_load_dwordx2 v[58:59], v[58:59]
	s_or_b64 exec, exec, s[2:3]
                                        ; implicit-def: $vgpr60_vgpr61
	s_and_saveexec_b64 s[2:3], s[40:41]
	s_cbranch_execz .LBB1394_86
	s_branch .LBB1394_85
.LBB1394_65:
	s_mov_b64 s[10:11], 0
                                        ; implicit-def: $sgpr8_sgpr9
                                        ; implicit-def: $vgpr2_vgpr3
                                        ; implicit-def: $vgpr42_vgpr43
                                        ; implicit-def: $vgpr110
                                        ; implicit-def: $vgpr48_vgpr49
                                        ; implicit-def: $vgpr126
                                        ; implicit-def: $vgpr80_vgpr81
                                        ; implicit-def: $vgpr125
                                        ; implicit-def: $vgpr78_vgpr79
                                        ; implicit-def: $vgpr124
                                        ; implicit-def: $vgpr76_vgpr77
                                        ; implicit-def: $vgpr123
                                        ; implicit-def: $vgpr74_vgpr75
                                        ; implicit-def: $vgpr122
                                        ; implicit-def: $vgpr72_vgpr73
                                        ; implicit-def: $vgpr121
                                        ; implicit-def: $vgpr70_vgpr71
                                        ; implicit-def: $vgpr120
                                        ; implicit-def: $vgpr68_vgpr69
                                        ; implicit-def: $vgpr119
                                        ; implicit-def: $vgpr66_vgpr67
                                        ; implicit-def: $vgpr118
                                        ; implicit-def: $vgpr64_vgpr65
                                        ; implicit-def: $vgpr117
                                        ; implicit-def: $vgpr62_vgpr63
                                        ; implicit-def: $vgpr116
                                        ; implicit-def: $vgpr60_vgpr61
                                        ; implicit-def: $vgpr115
                                        ; implicit-def: $vgpr58_vgpr59
                                        ; implicit-def: $vgpr114
                                        ; implicit-def: $vgpr56_vgpr57
                                        ; implicit-def: $vgpr113
                                        ; implicit-def: $vgpr54_vgpr55
                                        ; implicit-def: $vgpr112
                                        ; implicit-def: $vgpr52_vgpr53
                                        ; implicit-def: $vgpr111
                                        ; implicit-def: $vgpr50_vgpr51
                                        ; implicit-def: $vgpr109
                                        ; implicit-def: $vgpr46_vgpr47
                                        ; implicit-def: $vgpr108
                                        ; implicit-def: $vgpr44_vgpr45
                                        ; implicit-def: $vgpr1
                                        ; implicit-def: $sgpr76
                                        ; implicit-def: $sgpr4_sgpr5
	s_and_b64 vcc, exec, s[2:3]
	s_cbranch_vccz .LBB1394_136
	s_branch .LBB1394_131
.LBB1394_66:
	s_or_b64 exec, exec, s[46:47]
                                        ; implicit-def: $vgpr4_vgpr5
	s_and_saveexec_b64 s[46:47], s[2:3]
	s_cbranch_execz .LBB1394_47
.LBB1394_67:
	v_lshlrev_b32_e32 v4, 3, v0
	v_mov_b32_e32 v5, s55
	v_add_co_u32_e32 v4, vcc, s7, v4
	v_addc_co_u32_e32 v5, vcc, 0, v5, vcc
	flat_load_dwordx2 v[4:5], v[4:5] offset:512
	s_or_b64 exec, exec, s[46:47]
                                        ; implicit-def: $vgpr26_vgpr27
	s_and_saveexec_b64 s[2:3], s[4:5]
	s_cbranch_execnz .LBB1394_48
.LBB1394_68:
	s_or_b64 exec, exec, s[2:3]
                                        ; implicit-def: $vgpr28_vgpr29
	s_and_saveexec_b64 s[2:3], s[44:45]
	s_cbranch_execz .LBB1394_49
.LBB1394_69:
	v_lshlrev_b32_e32 v28, 3, v0
	v_mov_b32_e32 v29, s55
	v_add_co_u32_e32 v28, vcc, s7, v28
	v_addc_co_u32_e32 v29, vcc, 0, v29, vcc
	flat_load_dwordx2 v[28:29], v[28:29] offset:1536
	s_or_b64 exec, exec, s[2:3]
                                        ; implicit-def: $vgpr30_vgpr31
	s_and_saveexec_b64 s[2:3], s[8:9]
	s_cbranch_execnz .LBB1394_50
.LBB1394_70:
	s_or_b64 exec, exec, s[2:3]
                                        ; implicit-def: $vgpr32_vgpr33
	s_and_saveexec_b64 s[2:3], s[10:11]
	s_cbranch_execz .LBB1394_51
.LBB1394_71:
	v_lshlrev_b32_e32 v32, 3, v0
	v_mov_b32_e32 v33, s55
	v_add_co_u32_e32 v32, vcc, s7, v32
	v_addc_co_u32_e32 v33, vcc, 0, v33, vcc
	flat_load_dwordx2 v[32:33], v[32:33] offset:2560
	s_or_b64 exec, exec, s[2:3]
                                        ; implicit-def: $vgpr34_vgpr35
	s_and_saveexec_b64 s[2:3], s[12:13]
	s_cbranch_execnz .LBB1394_52
.LBB1394_72:
	s_or_b64 exec, exec, s[2:3]
                                        ; implicit-def: $vgpr36_vgpr37
	s_and_saveexec_b64 s[2:3], s[14:15]
	s_cbranch_execz .LBB1394_53
.LBB1394_73:
	v_lshlrev_b32_e32 v36, 3, v0
	v_mov_b32_e32 v37, s55
	v_add_co_u32_e32 v36, vcc, s7, v36
	v_addc_co_u32_e32 v37, vcc, 0, v37, vcc
	flat_load_dwordx2 v[36:37], v[36:37] offset:3584
	s_or_b64 exec, exec, s[2:3]
                                        ; implicit-def: $vgpr38_vgpr39
	s_and_saveexec_b64 s[2:3], s[16:17]
	s_cbranch_execnz .LBB1394_54
.LBB1394_74:
	s_or_b64 exec, exec, s[2:3]
                                        ; implicit-def: $vgpr40_vgpr41
	s_and_saveexec_b64 s[2:3], s[18:19]
	s_cbranch_execz .LBB1394_55
.LBB1394_75:
	v_lshlrev_b32_e32 v1, 3, v42
	v_mov_b32_e32 v41, s55
	v_add_co_u32_e32 v40, vcc, s7, v1
	v_addc_co_u32_e32 v41, vcc, 0, v41, vcc
	flat_load_dwordx2 v[40:41], v[40:41]
	s_or_b64 exec, exec, s[2:3]
                                        ; implicit-def: $vgpr42_vgpr43
	s_and_saveexec_b64 s[2:3], s[20:21]
	s_cbranch_execnz .LBB1394_56
.LBB1394_76:
	s_or_b64 exec, exec, s[2:3]
                                        ; implicit-def: $vgpr44_vgpr45
	s_and_saveexec_b64 s[2:3], s[22:23]
	s_cbranch_execz .LBB1394_57
.LBB1394_77:
	v_lshlrev_b32_e32 v1, 3, v46
	v_mov_b32_e32 v45, s55
	v_add_co_u32_e32 v44, vcc, s7, v1
	v_addc_co_u32_e32 v45, vcc, 0, v45, vcc
	flat_load_dwordx2 v[44:45], v[44:45]
	s_or_b64 exec, exec, s[2:3]
                                        ; implicit-def: $vgpr46_vgpr47
	s_and_saveexec_b64 s[2:3], s[24:25]
	s_cbranch_execnz .LBB1394_58
.LBB1394_78:
	s_or_b64 exec, exec, s[2:3]
                                        ; implicit-def: $vgpr48_vgpr49
	s_and_saveexec_b64 s[2:3], s[26:27]
	s_cbranch_execz .LBB1394_59
.LBB1394_79:
	v_lshlrev_b32_e32 v1, 3, v50
	v_mov_b32_e32 v49, s55
	v_add_co_u32_e32 v48, vcc, s7, v1
	v_addc_co_u32_e32 v49, vcc, 0, v49, vcc
	flat_load_dwordx2 v[48:49], v[48:49]
	s_or_b64 exec, exec, s[2:3]
                                        ; implicit-def: $vgpr50_vgpr51
	s_and_saveexec_b64 s[2:3], s[28:29]
	s_cbranch_execnz .LBB1394_60
.LBB1394_80:
	s_or_b64 exec, exec, s[2:3]
                                        ; implicit-def: $vgpr52_vgpr53
	s_and_saveexec_b64 s[2:3], s[30:31]
	s_cbranch_execz .LBB1394_61
.LBB1394_81:
	v_lshlrev_b32_e32 v1, 3, v54
	v_mov_b32_e32 v53, s55
	v_add_co_u32_e32 v52, vcc, s7, v1
	v_addc_co_u32_e32 v53, vcc, 0, v53, vcc
	flat_load_dwordx2 v[52:53], v[52:53]
	s_or_b64 exec, exec, s[2:3]
                                        ; implicit-def: $vgpr54_vgpr55
	s_and_saveexec_b64 s[2:3], s[34:35]
	s_cbranch_execnz .LBB1394_62
.LBB1394_82:
	s_or_b64 exec, exec, s[2:3]
                                        ; implicit-def: $vgpr56_vgpr57
	s_and_saveexec_b64 s[2:3], s[36:37]
	s_cbranch_execz .LBB1394_63
.LBB1394_83:
	v_lshlrev_b32_e32 v1, 3, v58
	v_mov_b32_e32 v57, s55
	v_add_co_u32_e32 v56, vcc, s7, v1
	v_addc_co_u32_e32 v57, vcc, 0, v57, vcc
	flat_load_dwordx2 v[56:57], v[56:57]
	s_or_b64 exec, exec, s[2:3]
                                        ; implicit-def: $vgpr58_vgpr59
	s_and_saveexec_b64 s[2:3], s[38:39]
	s_cbranch_execnz .LBB1394_64
.LBB1394_84:
	s_or_b64 exec, exec, s[2:3]
                                        ; implicit-def: $vgpr60_vgpr61
	s_and_saveexec_b64 s[2:3], s[40:41]
	s_cbranch_execz .LBB1394_86
.LBB1394_85:
	v_lshlrev_b32_e32 v1, 3, v62
	v_mov_b32_e32 v61, s55
	v_add_co_u32_e32 v60, vcc, s7, v1
	v_addc_co_u32_e32 v61, vcc, 0, v61, vcc
	flat_load_dwordx2 v[60:61], v[60:61]
.LBB1394_86:
	s_or_b64 exec, exec, s[2:3]
	v_mul_u32_u24_e32 v83, 21, v0
                                        ; implicit-def: $vgpr62_vgpr63
	s_and_saveexec_b64 s[2:3], s[42:43]
	s_cbranch_execz .LBB1394_88
; %bb.87:
	v_lshlrev_b32_e32 v1, 3, v64
	v_mov_b32_e32 v63, s55
	v_add_co_u32_e32 v62, vcc, s7, v1
	v_addc_co_u32_e32 v63, vcc, 0, v63, vcc
	flat_load_dwordx2 v[62:63], v[62:63]
.LBB1394_88:
	s_or_b64 exec, exec, s[2:3]
	v_lshl_add_u32 v85, v0, 2, v65
	s_waitcnt vmcnt(0) lgkmcnt(0)
	ds_write2st64_b64 v85, v[2:3], v[4:5] offset1:1
	ds_write2st64_b64 v85, v[26:27], v[28:29] offset0:2 offset1:3
	ds_write2st64_b64 v85, v[30:31], v[32:33] offset0:4 offset1:5
	;; [unrolled: 1-line block ×9, first 2 shown]
	ds_write_b64 v85, v[62:63] offset:10240
	v_pk_mov_b32 v[42:43], 0, 0
	v_cmp_gt_u32_e32 vcc, s74, v83
	s_mov_b64 s[10:11], 0
	s_mov_b32 s76, 0
	s_mov_b64 s[2:3], 0
	v_mov_b32_e32 v110, 0
	v_pk_mov_b32 v[48:49], v[42:43], v[42:43] op_sel:[0,1]
	v_mov_b32_e32 v126, 0
	v_pk_mov_b32 v[80:81], v[42:43], v[42:43] op_sel:[0,1]
	;; [unrolled: 2-line block ×19, first 2 shown]
	v_mov_b32_e32 v1, 0
	s_waitcnt lgkmcnt(0)
	; wave barrier
	s_waitcnt lgkmcnt(0)
                                        ; implicit-def: $sgpr8_sgpr9
                                        ; implicit-def: $vgpr2_vgpr3
	s_and_saveexec_b64 s[4:5], vcc
	s_cbranch_execz .LBB1394_130
; %bb.89:
	s_movk_i32 s8, 0xa0
	v_mad_u32_u24 v1, v0, s8, v85
	ds_read_b64 v[2:3], v1
	v_cmp_ne_u32_e32 vcc, v84, v24
	v_mov_b32_e32 v5, s69
	v_add_u32_e32 v4, 1, v83
	v_pk_mov_b32 v[48:49], 0, 0
	s_waitcnt lgkmcnt(0)
	v_cndmask_b32_e32 v43, v3, v5, vcc
	v_mov_b32_e32 v3, s68
	v_cndmask_b32_e64 v1, 0, 1, vcc
	v_cndmask_b32_e32 v42, v2, v3, vcc
	v_cmp_gt_u32_e32 vcc, s74, v4
	s_mov_b64 s[12:13], 0
	v_mov_b32_e32 v110, 0
	v_mov_b32_e32 v126, 0
	v_pk_mov_b32 v[80:81], v[48:49], v[48:49] op_sel:[0,1]
	v_mov_b32_e32 v125, 0
	v_pk_mov_b32 v[78:79], v[48:49], v[48:49] op_sel:[0,1]
	;; [unrolled: 2-line block ×18, first 2 shown]
                                        ; implicit-def: $sgpr14_sgpr15
                                        ; implicit-def: $vgpr2_vgpr3
	s_and_saveexec_b64 s[8:9], vcc
	s_cbranch_execz .LBB1394_129
; %bb.90:
	v_mul_u32_u24_e32 v2, 0xa0, v0
	v_add_u32_e32 v26, v85, v2
	ds_read2_b64 v[2:5], v26 offset0:1 offset1:2
	v_cmp_ne_u32_e32 vcc, v24, v25
	v_mov_b32_e32 v24, s69
	v_add_u32_e32 v27, 2, v83
	v_pk_mov_b32 v[48:49], 0, 0
	s_waitcnt lgkmcnt(0)
	v_cndmask_b32_e32 v45, v3, v24, vcc
	v_mov_b32_e32 v3, s68
	v_cndmask_b32_e64 v108, 0, 1, vcc
	v_cndmask_b32_e32 v44, v2, v3, vcc
	v_cmp_gt_u32_e32 vcc, s74, v27
	s_mov_b64 s[14:15], 0
	v_mov_b32_e32 v110, 0
	v_mov_b32_e32 v126, 0
	v_pk_mov_b32 v[80:81], v[48:49], v[48:49] op_sel:[0,1]
	v_mov_b32_e32 v125, 0
	v_pk_mov_b32 v[78:79], v[48:49], v[48:49] op_sel:[0,1]
	;; [unrolled: 2-line block ×17, first 2 shown]
                                        ; implicit-def: $sgpr16_sgpr17
                                        ; implicit-def: $vgpr2_vgpr3
	s_and_saveexec_b64 s[10:11], vcc
	s_cbranch_execz .LBB1394_128
; %bb.91:
	v_cmp_ne_u32_e32 vcc, v25, v22
	v_mov_b32_e32 v3, s69
	v_add_u32_e32 v2, 3, v83
	v_cndmask_b32_e32 v47, v5, v3, vcc
	v_mov_b32_e32 v3, s68
	v_pk_mov_b32 v[48:49], 0, 0
	v_cndmask_b32_e64 v109, 0, 1, vcc
	v_cndmask_b32_e32 v46, v4, v3, vcc
	v_cmp_gt_u32_e32 vcc, s74, v2
	s_mov_b64 s[16:17], 0
	v_mov_b32_e32 v110, 0
	v_mov_b32_e32 v126, 0
	v_pk_mov_b32 v[80:81], v[48:49], v[48:49] op_sel:[0,1]
	v_mov_b32_e32 v125, 0
	v_pk_mov_b32 v[78:79], v[48:49], v[48:49] op_sel:[0,1]
	;; [unrolled: 2-line block ×16, first 2 shown]
                                        ; implicit-def: $sgpr18_sgpr19
                                        ; implicit-def: $vgpr2_vgpr3
	s_and_saveexec_b64 s[12:13], vcc
	s_cbranch_execz .LBB1394_127
; %bb.92:
	ds_read2_b64 v[2:5], v26 offset0:3 offset1:4
	v_cmp_ne_u32_e32 vcc, v22, v23
	v_mov_b32_e32 v22, s69
	v_add_u32_e32 v24, 4, v83
	v_pk_mov_b32 v[48:49], 0, 0
	s_waitcnt lgkmcnt(0)
	v_cndmask_b32_e32 v51, v3, v22, vcc
	v_mov_b32_e32 v3, s68
	v_cndmask_b32_e64 v111, 0, 1, vcc
	v_cndmask_b32_e32 v50, v2, v3, vcc
	v_cmp_gt_u32_e32 vcc, s74, v24
	s_mov_b64 s[18:19], 0
	v_mov_b32_e32 v110, 0
	v_mov_b32_e32 v126, 0
	v_pk_mov_b32 v[80:81], v[48:49], v[48:49] op_sel:[0,1]
	v_mov_b32_e32 v125, 0
	v_pk_mov_b32 v[78:79], v[48:49], v[48:49] op_sel:[0,1]
	;; [unrolled: 2-line block ×15, first 2 shown]
                                        ; implicit-def: $sgpr20_sgpr21
                                        ; implicit-def: $vgpr2_vgpr3
	s_and_saveexec_b64 s[14:15], vcc
	s_cbranch_execz .LBB1394_126
; %bb.93:
	v_cmp_ne_u32_e32 vcc, v23, v20
	v_mov_b32_e32 v3, s69
	v_add_u32_e32 v2, 5, v83
	v_cndmask_b32_e32 v53, v5, v3, vcc
	v_mov_b32_e32 v3, s68
	v_pk_mov_b32 v[48:49], 0, 0
	v_cndmask_b32_e64 v112, 0, 1, vcc
	v_cndmask_b32_e32 v52, v4, v3, vcc
	v_cmp_gt_u32_e32 vcc, s74, v2
	s_mov_b64 s[20:21], 0
	v_mov_b32_e32 v110, 0
	v_mov_b32_e32 v126, 0
	v_pk_mov_b32 v[80:81], v[48:49], v[48:49] op_sel:[0,1]
	v_mov_b32_e32 v125, 0
	v_pk_mov_b32 v[78:79], v[48:49], v[48:49] op_sel:[0,1]
	;; [unrolled: 2-line block ×14, first 2 shown]
                                        ; implicit-def: $sgpr22_sgpr23
                                        ; implicit-def: $vgpr2_vgpr3
	s_and_saveexec_b64 s[16:17], vcc
	s_cbranch_execz .LBB1394_125
; %bb.94:
	ds_read2_b64 v[2:5], v26 offset0:5 offset1:6
	v_cmp_ne_u32_e32 vcc, v20, v21
	v_mov_b32_e32 v20, s69
	v_add_u32_e32 v22, 6, v83
	v_pk_mov_b32 v[48:49], 0, 0
	s_waitcnt lgkmcnt(0)
	v_cndmask_b32_e32 v55, v3, v20, vcc
	v_mov_b32_e32 v3, s68
	v_cndmask_b32_e64 v113, 0, 1, vcc
	v_cndmask_b32_e32 v54, v2, v3, vcc
	v_cmp_gt_u32_e32 vcc, s74, v22
	s_mov_b64 s[22:23], 0
	v_mov_b32_e32 v110, 0
	v_mov_b32_e32 v126, 0
	v_pk_mov_b32 v[80:81], v[48:49], v[48:49] op_sel:[0,1]
	v_mov_b32_e32 v125, 0
	v_pk_mov_b32 v[78:79], v[48:49], v[48:49] op_sel:[0,1]
	;; [unrolled: 2-line block ×13, first 2 shown]
                                        ; implicit-def: $sgpr24_sgpr25
                                        ; implicit-def: $vgpr2_vgpr3
	s_and_saveexec_b64 s[18:19], vcc
	s_cbranch_execz .LBB1394_124
; %bb.95:
	v_cmp_ne_u32_e32 vcc, v21, v18
	v_mov_b32_e32 v3, s69
	v_add_u32_e32 v2, 7, v83
	v_cndmask_b32_e32 v57, v5, v3, vcc
	v_mov_b32_e32 v3, s68
	v_pk_mov_b32 v[48:49], 0, 0
	v_cndmask_b32_e64 v114, 0, 1, vcc
	v_cndmask_b32_e32 v56, v4, v3, vcc
	v_cmp_gt_u32_e32 vcc, s74, v2
	s_mov_b64 s[24:25], 0
	v_mov_b32_e32 v110, 0
	v_mov_b32_e32 v126, 0
	v_pk_mov_b32 v[80:81], v[48:49], v[48:49] op_sel:[0,1]
	v_mov_b32_e32 v125, 0
	v_pk_mov_b32 v[78:79], v[48:49], v[48:49] op_sel:[0,1]
	;; [unrolled: 2-line block ×12, first 2 shown]
                                        ; implicit-def: $sgpr26_sgpr27
                                        ; implicit-def: $vgpr2_vgpr3
	s_and_saveexec_b64 s[20:21], vcc
	s_cbranch_execz .LBB1394_123
; %bb.96:
	ds_read2_b64 v[2:5], v26 offset0:7 offset1:8
	v_cmp_ne_u32_e32 vcc, v18, v19
	v_mov_b32_e32 v18, s69
	v_add_u32_e32 v20, 8, v83
	v_pk_mov_b32 v[48:49], 0, 0
	s_waitcnt lgkmcnt(0)
	v_cndmask_b32_e32 v59, v3, v18, vcc
	v_mov_b32_e32 v3, s68
	v_cndmask_b32_e64 v115, 0, 1, vcc
	v_cndmask_b32_e32 v58, v2, v3, vcc
	v_cmp_gt_u32_e32 vcc, s74, v20
	s_mov_b64 s[26:27], 0
	v_mov_b32_e32 v110, 0
	v_mov_b32_e32 v126, 0
	v_pk_mov_b32 v[80:81], v[48:49], v[48:49] op_sel:[0,1]
	v_mov_b32_e32 v125, 0
	v_pk_mov_b32 v[78:79], v[48:49], v[48:49] op_sel:[0,1]
	;; [unrolled: 2-line block ×11, first 2 shown]
                                        ; implicit-def: $sgpr28_sgpr29
                                        ; implicit-def: $vgpr2_vgpr3
	s_and_saveexec_b64 s[22:23], vcc
	s_cbranch_execz .LBB1394_122
; %bb.97:
	v_cmp_ne_u32_e32 vcc, v19, v16
	v_mov_b32_e32 v3, s69
	v_add_u32_e32 v2, 9, v83
	v_cndmask_b32_e32 v61, v5, v3, vcc
	v_mov_b32_e32 v3, s68
	v_pk_mov_b32 v[48:49], 0, 0
	v_cndmask_b32_e64 v116, 0, 1, vcc
	v_cndmask_b32_e32 v60, v4, v3, vcc
	v_cmp_gt_u32_e32 vcc, s74, v2
	s_mov_b64 s[28:29], 0
	v_mov_b32_e32 v110, 0
	v_mov_b32_e32 v126, 0
	v_pk_mov_b32 v[80:81], v[48:49], v[48:49] op_sel:[0,1]
	v_mov_b32_e32 v125, 0
	v_pk_mov_b32 v[78:79], v[48:49], v[48:49] op_sel:[0,1]
	;; [unrolled: 2-line block ×10, first 2 shown]
                                        ; implicit-def: $sgpr30_sgpr31
                                        ; implicit-def: $vgpr2_vgpr3
	s_and_saveexec_b64 s[24:25], vcc
	s_cbranch_execz .LBB1394_121
; %bb.98:
	ds_read2_b64 v[2:5], v26 offset0:9 offset1:10
	v_cmp_ne_u32_e32 vcc, v16, v17
	v_mov_b32_e32 v16, s69
	v_add_u32_e32 v18, 10, v83
	v_pk_mov_b32 v[48:49], 0, 0
	s_waitcnt lgkmcnt(0)
	v_cndmask_b32_e32 v63, v3, v16, vcc
	v_mov_b32_e32 v3, s68
	v_cndmask_b32_e64 v117, 0, 1, vcc
	v_cndmask_b32_e32 v62, v2, v3, vcc
	v_cmp_gt_u32_e32 vcc, s74, v18
	s_mov_b64 s[30:31], 0
	v_mov_b32_e32 v110, 0
	v_mov_b32_e32 v126, 0
	v_pk_mov_b32 v[80:81], v[48:49], v[48:49] op_sel:[0,1]
	v_mov_b32_e32 v125, 0
	v_pk_mov_b32 v[78:79], v[48:49], v[48:49] op_sel:[0,1]
	;; [unrolled: 2-line block ×9, first 2 shown]
                                        ; implicit-def: $sgpr34_sgpr35
                                        ; implicit-def: $vgpr2_vgpr3
	s_and_saveexec_b64 s[26:27], vcc
	s_cbranch_execz .LBB1394_120
; %bb.99:
	v_cmp_ne_u32_e32 vcc, v17, v14
	v_mov_b32_e32 v3, s69
	v_add_u32_e32 v2, 11, v83
	v_cndmask_b32_e32 v65, v5, v3, vcc
	v_mov_b32_e32 v3, s68
	v_pk_mov_b32 v[48:49], 0, 0
	v_cndmask_b32_e64 v118, 0, 1, vcc
	v_cndmask_b32_e32 v64, v4, v3, vcc
	v_cmp_gt_u32_e32 vcc, s74, v2
	s_mov_b64 s[34:35], 0
	v_mov_b32_e32 v110, 0
	v_mov_b32_e32 v126, 0
	v_pk_mov_b32 v[80:81], v[48:49], v[48:49] op_sel:[0,1]
	v_mov_b32_e32 v125, 0
	v_pk_mov_b32 v[78:79], v[48:49], v[48:49] op_sel:[0,1]
	;; [unrolled: 2-line block ×8, first 2 shown]
                                        ; implicit-def: $sgpr36_sgpr37
                                        ; implicit-def: $vgpr2_vgpr3
	s_and_saveexec_b64 s[28:29], vcc
	s_cbranch_execz .LBB1394_119
; %bb.100:
	ds_read2_b64 v[2:5], v26 offset0:11 offset1:12
	v_cmp_ne_u32_e32 vcc, v14, v15
	v_mov_b32_e32 v14, s69
	v_add_u32_e32 v16, 12, v83
	v_pk_mov_b32 v[48:49], 0, 0
	s_waitcnt lgkmcnt(0)
	v_cndmask_b32_e32 v67, v3, v14, vcc
	v_mov_b32_e32 v3, s68
	v_cndmask_b32_e64 v119, 0, 1, vcc
	v_cndmask_b32_e32 v66, v2, v3, vcc
	v_cmp_gt_u32_e32 vcc, s74, v16
	s_mov_b64 s[36:37], 0
	v_mov_b32_e32 v110, 0
	v_mov_b32_e32 v126, 0
	v_pk_mov_b32 v[80:81], v[48:49], v[48:49] op_sel:[0,1]
	v_mov_b32_e32 v125, 0
	v_pk_mov_b32 v[78:79], v[48:49], v[48:49] op_sel:[0,1]
	;; [unrolled: 2-line block ×7, first 2 shown]
                                        ; implicit-def: $sgpr38_sgpr39
                                        ; implicit-def: $vgpr2_vgpr3
	s_and_saveexec_b64 s[30:31], vcc
	s_cbranch_execz .LBB1394_118
; %bb.101:
	v_cmp_ne_u32_e32 vcc, v15, v12
	v_mov_b32_e32 v3, s69
	v_add_u32_e32 v2, 13, v83
	v_cndmask_b32_e32 v69, v5, v3, vcc
	v_mov_b32_e32 v3, s68
	v_pk_mov_b32 v[48:49], 0, 0
	v_cndmask_b32_e64 v120, 0, 1, vcc
	v_cndmask_b32_e32 v68, v4, v3, vcc
	v_cmp_gt_u32_e32 vcc, s74, v2
	s_mov_b64 s[38:39], 0
	v_mov_b32_e32 v110, 0
	v_mov_b32_e32 v126, 0
	v_pk_mov_b32 v[80:81], v[48:49], v[48:49] op_sel:[0,1]
	v_mov_b32_e32 v125, 0
	v_pk_mov_b32 v[78:79], v[48:49], v[48:49] op_sel:[0,1]
	;; [unrolled: 2-line block ×6, first 2 shown]
                                        ; implicit-def: $sgpr40_sgpr41
                                        ; implicit-def: $vgpr2_vgpr3
	s_and_saveexec_b64 s[34:35], vcc
	s_cbranch_execz .LBB1394_117
; %bb.102:
	ds_read2_b64 v[2:5], v26 offset0:13 offset1:14
	v_cmp_ne_u32_e32 vcc, v12, v13
	v_mov_b32_e32 v12, s69
	v_add_u32_e32 v14, 14, v83
	v_pk_mov_b32 v[48:49], 0, 0
	s_waitcnt lgkmcnt(0)
	v_cndmask_b32_e32 v71, v3, v12, vcc
	v_mov_b32_e32 v3, s68
	v_cndmask_b32_e64 v121, 0, 1, vcc
	v_cndmask_b32_e32 v70, v2, v3, vcc
	v_cmp_gt_u32_e32 vcc, s74, v14
	s_mov_b64 s[40:41], 0
	v_mov_b32_e32 v110, 0
	v_mov_b32_e32 v126, 0
	v_pk_mov_b32 v[80:81], v[48:49], v[48:49] op_sel:[0,1]
	v_mov_b32_e32 v125, 0
	v_pk_mov_b32 v[78:79], v[48:49], v[48:49] op_sel:[0,1]
	;; [unrolled: 2-line block ×5, first 2 shown]
                                        ; implicit-def: $sgpr42_sgpr43
                                        ; implicit-def: $vgpr2_vgpr3
	s_and_saveexec_b64 s[36:37], vcc
	s_cbranch_execz .LBB1394_116
; %bb.103:
	v_cmp_ne_u32_e32 vcc, v13, v10
	v_mov_b32_e32 v3, s69
	v_add_u32_e32 v2, 15, v83
	v_cndmask_b32_e32 v73, v5, v3, vcc
	v_mov_b32_e32 v3, s68
	v_pk_mov_b32 v[48:49], 0, 0
	v_cndmask_b32_e64 v122, 0, 1, vcc
	v_cndmask_b32_e32 v72, v4, v3, vcc
	v_cmp_gt_u32_e32 vcc, s74, v2
	s_mov_b64 s[42:43], 0
	v_mov_b32_e32 v110, 0
	v_mov_b32_e32 v126, 0
	v_pk_mov_b32 v[80:81], v[48:49], v[48:49] op_sel:[0,1]
	v_mov_b32_e32 v125, 0
	v_pk_mov_b32 v[78:79], v[48:49], v[48:49] op_sel:[0,1]
	;; [unrolled: 2-line block ×4, first 2 shown]
                                        ; implicit-def: $sgpr44_sgpr45
                                        ; implicit-def: $vgpr2_vgpr3
	s_and_saveexec_b64 s[38:39], vcc
	s_cbranch_execz .LBB1394_115
; %bb.104:
	ds_read2_b64 v[2:5], v26 offset0:15 offset1:16
	v_cmp_ne_u32_e32 vcc, v10, v11
	v_mov_b32_e32 v10, s69
	v_add_u32_e32 v12, 16, v83
	v_pk_mov_b32 v[48:49], 0, 0
	s_waitcnt lgkmcnt(0)
	v_cndmask_b32_e32 v75, v3, v10, vcc
	v_mov_b32_e32 v3, s68
	v_cndmask_b32_e64 v123, 0, 1, vcc
	v_cndmask_b32_e32 v74, v2, v3, vcc
	v_cmp_gt_u32_e32 vcc, s74, v12
	s_mov_b64 s[44:45], 0
	v_mov_b32_e32 v110, 0
	v_mov_b32_e32 v126, 0
	v_pk_mov_b32 v[80:81], v[48:49], v[48:49] op_sel:[0,1]
	v_mov_b32_e32 v125, 0
	v_pk_mov_b32 v[78:79], v[48:49], v[48:49] op_sel:[0,1]
	;; [unrolled: 2-line block ×3, first 2 shown]
                                        ; implicit-def: $sgpr46_sgpr47
                                        ; implicit-def: $vgpr2_vgpr3
	s_and_saveexec_b64 s[40:41], vcc
	s_cbranch_execz .LBB1394_114
; %bb.105:
	v_cmp_ne_u32_e32 vcc, v11, v8
	v_mov_b32_e32 v3, s69
	v_add_u32_e32 v2, 17, v83
	v_cndmask_b32_e32 v77, v5, v3, vcc
	v_mov_b32_e32 v3, s68
	v_pk_mov_b32 v[48:49], 0, 0
	v_cndmask_b32_e64 v124, 0, 1, vcc
	v_cndmask_b32_e32 v76, v4, v3, vcc
	v_cmp_gt_u32_e32 vcc, s74, v2
	s_mov_b64 s[46:47], 0
	v_mov_b32_e32 v110, 0
	v_mov_b32_e32 v126, 0
	v_pk_mov_b32 v[80:81], v[48:49], v[48:49] op_sel:[0,1]
	v_mov_b32_e32 v125, 0
	v_pk_mov_b32 v[78:79], v[48:49], v[48:49] op_sel:[0,1]
                                        ; implicit-def: $sgpr64_sgpr65
                                        ; implicit-def: $vgpr2_vgpr3
	s_and_saveexec_b64 s[42:43], vcc
	s_cbranch_execz .LBB1394_113
; %bb.106:
	ds_read2_b64 v[2:5], v26 offset0:17 offset1:18
	v_cmp_ne_u32_e32 vcc, v8, v9
	v_mov_b32_e32 v8, s69
	v_add_u32_e32 v10, 18, v83
	v_pk_mov_b32 v[48:49], 0, 0
	s_waitcnt lgkmcnt(0)
	v_cndmask_b32_e32 v79, v3, v8, vcc
	v_mov_b32_e32 v3, s68
	v_cndmask_b32_e64 v125, 0, 1, vcc
	v_cndmask_b32_e32 v78, v2, v3, vcc
	v_cmp_gt_u32_e32 vcc, s74, v10
	s_mov_b64 s[64:65], 0
	v_mov_b32_e32 v110, 0
	v_mov_b32_e32 v126, 0
	v_pk_mov_b32 v[80:81], v[48:49], v[48:49] op_sel:[0,1]
                                        ; implicit-def: $sgpr72_sgpr73
                                        ; implicit-def: $vgpr2_vgpr3
	s_and_saveexec_b64 s[44:45], vcc
	s_cbranch_execz .LBB1394_112
; %bb.107:
	v_cmp_ne_u32_e32 vcc, v9, v6
	v_mov_b32_e32 v3, s69
	v_add_u32_e32 v2, 19, v83
	v_cndmask_b32_e32 v81, v5, v3, vcc
	v_mov_b32_e32 v3, s68
	v_cndmask_b32_e64 v126, 0, 1, vcc
	v_cndmask_b32_e32 v80, v4, v3, vcc
	v_cmp_gt_u32_e32 vcc, s74, v2
	v_mov_b32_e32 v110, 0
	v_pk_mov_b32 v[48:49], 0, 0
                                        ; implicit-def: $sgpr72_sgpr73
                                        ; implicit-def: $vgpr2_vgpr3
	s_and_saveexec_b64 s[46:47], vcc
	s_cbranch_execz .LBB1394_111
; %bb.108:
	ds_read2_b64 v[2:5], v26 offset0:19 offset1:20
	v_cmp_ne_u32_e32 vcc, v6, v7
	v_mov_b32_e32 v6, s69
	v_add_u32_e32 v8, 20, v83
	v_cndmask_b32_e64 v110, 0, 1, vcc
	s_waitcnt lgkmcnt(0)
	v_cndmask_b32_e32 v49, v3, v6, vcc
	v_mov_b32_e32 v3, s68
	v_cndmask_b32_e32 v48, v2, v3, vcc
	v_cmp_gt_u32_e32 vcc, s74, v8
                                        ; implicit-def: $sgpr72_sgpr73
                                        ; implicit-def: $vgpr2_vgpr3
	s_and_saveexec_b64 s[74:75], vcc
	s_xor_b64 s[74:75], exec, s[74:75]
; %bb.109:
	v_mov_b32_e32 v2, s69
	v_cmp_ne_u32_e32 vcc, v7, v82
	v_cndmask_b32_e32 v3, v5, v2, vcc
	v_mov_b32_e32 v2, s68
	s_mov_b64 s[64:65], exec
	v_cndmask_b32_e32 v2, v4, v2, vcc
	s_and_b64 s[72:73], vcc, exec
; %bb.110:
	s_or_b64 exec, exec, s[74:75]
	s_and_b64 s[72:73], s[72:73], exec
	s_and_b64 s[64:65], s[64:65], exec
.LBB1394_111:
	s_or_b64 exec, exec, s[46:47]
	s_and_b64 s[72:73], s[72:73], exec
	s_and_b64 s[46:47], s[64:65], exec
.LBB1394_112:
	s_or_b64 exec, exec, s[44:45]
	s_and_b64 s[64:65], s[72:73], exec
	s_and_b64 s[44:45], s[46:47], exec
.LBB1394_113:
	s_or_b64 exec, exec, s[42:43]
	s_and_b64 s[46:47], s[64:65], exec
	s_and_b64 s[42:43], s[44:45], exec
.LBB1394_114:
	s_or_b64 exec, exec, s[40:41]
	s_and_b64 s[44:45], s[46:47], exec
	s_and_b64 s[40:41], s[42:43], exec
.LBB1394_115:
	s_or_b64 exec, exec, s[38:39]
	s_and_b64 s[42:43], s[44:45], exec
	s_and_b64 s[38:39], s[40:41], exec
.LBB1394_116:
	s_or_b64 exec, exec, s[36:37]
	s_and_b64 s[40:41], s[42:43], exec
	s_and_b64 s[36:37], s[38:39], exec
.LBB1394_117:
	s_or_b64 exec, exec, s[34:35]
	s_and_b64 s[38:39], s[40:41], exec
	s_and_b64 s[34:35], s[36:37], exec
.LBB1394_118:
	s_or_b64 exec, exec, s[30:31]
	s_and_b64 s[36:37], s[38:39], exec
	s_and_b64 s[30:31], s[34:35], exec
.LBB1394_119:
	s_or_b64 exec, exec, s[28:29]
	s_and_b64 s[34:35], s[36:37], exec
	s_and_b64 s[28:29], s[30:31], exec
.LBB1394_120:
	s_or_b64 exec, exec, s[26:27]
	s_and_b64 s[30:31], s[34:35], exec
	s_and_b64 s[26:27], s[28:29], exec
.LBB1394_121:
	s_or_b64 exec, exec, s[24:25]
	s_and_b64 s[28:29], s[30:31], exec
	s_and_b64 s[24:25], s[26:27], exec
.LBB1394_122:
	s_or_b64 exec, exec, s[22:23]
	s_and_b64 s[26:27], s[28:29], exec
	s_and_b64 s[22:23], s[24:25], exec
.LBB1394_123:
	s_or_b64 exec, exec, s[20:21]
	s_and_b64 s[24:25], s[26:27], exec
	s_and_b64 s[20:21], s[22:23], exec
.LBB1394_124:
	s_or_b64 exec, exec, s[18:19]
	s_and_b64 s[22:23], s[24:25], exec
	s_and_b64 s[18:19], s[20:21], exec
.LBB1394_125:
	s_or_b64 exec, exec, s[16:17]
	s_and_b64 s[20:21], s[22:23], exec
	s_and_b64 s[16:17], s[18:19], exec
.LBB1394_126:
	s_or_b64 exec, exec, s[14:15]
	s_and_b64 s[18:19], s[20:21], exec
	s_and_b64 s[14:15], s[16:17], exec
.LBB1394_127:
	s_or_b64 exec, exec, s[12:13]
	s_and_b64 s[16:17], s[18:19], exec
	s_and_b64 s[12:13], s[14:15], exec
.LBB1394_128:
	s_or_b64 exec, exec, s[10:11]
	s_and_b64 s[14:15], s[16:17], exec
	s_and_b64 s[10:11], s[12:13], exec
.LBB1394_129:
	s_or_b64 exec, exec, s[8:9]
	s_and_b64 s[8:9], s[14:15], exec
	s_and_b64 s[10:11], s[10:11], exec
.LBB1394_130:
	s_or_b64 exec, exec, s[4:5]
	s_mov_b64 s[4:5], 0
	s_and_b64 vcc, exec, s[2:3]
	s_cbranch_vccz .LBB1394_136
.LBB1394_131:
	v_lshlrev_b32_e32 v2, 2, v0
	v_mov_b32_e32 v1, s61
	v_add_co_u32_e32 v4, vcc, s60, v2
	v_addc_co_u32_e32 v5, vcc, 0, v1, vcc
	s_movk_i32 s4, 0x1000
	flat_load_dword v1, v[4:5]
	flat_load_dword v3, v[4:5] offset:256
	flat_load_dword v6, v[4:5] offset:512
	;; [unrolled: 1-line block ×15, first 2 shown]
	v_add_co_u32_e32 v4, vcc, s4, v4
	v_addc_co_u32_e32 v5, vcc, 0, v5, vcc
	flat_load_dword v20, v[4:5]
	flat_load_dword v21, v[4:5] offset:256
	flat_load_dword v22, v[4:5] offset:512
	;; [unrolled: 1-line block ×4, first 2 shown]
	v_mov_b32_e32 v4, s60
	v_mov_b32_e32 v5, s61
	v_add_co_u32_e32 v4, vcc, 0x1000, v4
	v_addc_co_u32_e32 v5, vcc, 0, v5, vcc
	s_movk_i32 s2, 0x50
	v_cmp_ne_u32_e32 vcc, 63, v0
	s_waitcnt vmcnt(0) lgkmcnt(0)
	ds_write2st64_b32 v2, v1, v3 offset1:1
	ds_write2st64_b32 v2, v6, v7 offset0:2 offset1:3
	ds_write2st64_b32 v2, v8, v9 offset0:4 offset1:5
	ds_write2st64_b32 v2, v10, v11 offset0:6 offset1:7
	ds_write2st64_b32 v2, v12, v13 offset0:8 offset1:9
	ds_write2st64_b32 v2, v14, v15 offset0:10 offset1:11
	ds_write2st64_b32 v2, v16, v17 offset0:12 offset1:13
	ds_write2st64_b32 v2, v18, v19 offset0:14 offset1:15
	ds_write2st64_b32 v2, v20, v21 offset0:16 offset1:17
	ds_write2st64_b32 v2, v22, v23 offset0:18 offset1:19
	ds_write_b32 v2, v24 offset:5120
	s_waitcnt lgkmcnt(0)
	; wave barrier
	s_waitcnt lgkmcnt(0)
	flat_load_dword v84, v[4:5] offset:1280
	v_mad_u32_u24 v3, v0, s2, v2
	s_movk_i32 s2, 0xffb0
	ds_read_b32 v1, v3
	ds_read2_b32 v[60:61], v3 offset0:1 offset1:2
	ds_read2_b32 v[58:59], v3 offset0:3 offset1:4
	;; [unrolled: 1-line block ×10, first 2 shown]
	v_mad_i32_i24 v3, v0, s2, v3
	s_waitcnt lgkmcnt(0)
	ds_write_b32 v3, v1 offset:5632
	s_waitcnt lgkmcnt(0)
	; wave barrier
	s_waitcnt lgkmcnt(0)
	s_and_saveexec_b64 s[2:3], vcc
	s_cbranch_execz .LBB1394_133
; %bb.132:
	s_waitcnt vmcnt(0)
	ds_read_b32 v84, v2 offset:5636
.LBB1394_133:
	s_or_b64 exec, exec, s[2:3]
	v_lshlrev_b32_e32 v2, 3, v0
	v_mov_b32_e32 v5, s55
	v_add_co_u32_e32 v4, vcc, s7, v2
	v_addc_co_u32_e32 v5, vcc, 0, v5, vcc
	v_add_co_u32_e32 v22, vcc, s4, v4
	v_addc_co_u32_e32 v23, vcc, 0, v5, vcc
	s_movk_i32 s2, 0x2000
	s_waitcnt lgkmcnt(0)
	; wave barrier
	s_waitcnt lgkmcnt(0)
	flat_load_dwordx2 v[6:7], v[4:5]
	flat_load_dwordx2 v[8:9], v[4:5] offset:512
	flat_load_dwordx2 v[10:11], v[4:5] offset:1024
	;; [unrolled: 1-line block ×7, first 2 shown]
	v_add_co_u32_e32 v4, vcc, s2, v4
	v_addc_co_u32_e32 v5, vcc, 0, v5, vcc
	flat_load_dwordx2 v[24:25], v[22:23]
	flat_load_dwordx2 v[26:27], v[22:23] offset:512
	flat_load_dwordx2 v[28:29], v[22:23] offset:1024
	;; [unrolled: 1-line block ×7, first 2 shown]
	s_nop 0
	flat_load_dwordx2 v[22:23], v[4:5]
	flat_load_dwordx2 v[40:41], v[4:5] offset:512
	flat_load_dwordx2 v[42:43], v[4:5] offset:1024
	;; [unrolled: 1-line block ×4, first 2 shown]
	v_lshl_add_u32 v62, v0, 2, v3
	s_movk_i32 s2, 0xa0
	v_mad_u32_u24 v2, v0, s2, v62
	v_cmp_ne_u32_e32 vcc, v1, v60
	v_cmp_eq_u32_e64 s[2:3], v1, v60
	s_waitcnt vmcnt(0) lgkmcnt(0)
	ds_write2st64_b64 v62, v[6:7], v[8:9] offset1:1
	ds_write2st64_b64 v62, v[10:11], v[12:13] offset0:2 offset1:3
	ds_write2st64_b64 v62, v[14:15], v[16:17] offset0:4 offset1:5
	;; [unrolled: 1-line block ×9, first 2 shown]
	ds_write_b64 v62, v[66:67] offset:10240
	s_waitcnt lgkmcnt(0)
	; wave barrier
	s_waitcnt lgkmcnt(0)
	ds_read2_b64 v[38:41], v2 offset0:1 offset1:2
	ds_read2_b64 v[34:37], v2 offset0:3 offset1:4
	;; [unrolled: 1-line block ×10, first 2 shown]
	v_pk_mov_b32 v[42:43], s[68:69], s[68:69] op_sel:[0,1]
	s_and_saveexec_b64 s[4:5], s[2:3]
	s_cbranch_execz .LBB1394_135
; %bb.134:
	v_mul_u32_u24_e32 v1, 0xa0, v0
	v_add_u32_e32 v1, v62, v1
	ds_read_b64 v[42:43], v1
.LBB1394_135:
	s_or_b64 exec, exec, s[4:5]
	v_cndmask_b32_e64 v1, 0, 1, vcc
	v_cmp_ne_u32_e32 vcc, v60, v61
	v_cmp_ne_u32_e64 s[38:39], v45, v82
	v_cmp_ne_u32_e64 s[40:41], v82, v83
	v_mov_b32_e32 v82, s69
	v_cmp_ne_u32_e64 s[8:9], v59, v56
	v_cmp_ne_u32_e64 s[36:37], v44, v45
	s_waitcnt lgkmcnt(9)
	v_cndmask_b32_e32 v45, v39, v82, vcc
	v_mov_b32_e32 v39, s68
	v_cmp_ne_u32_e64 s[2:3], v61, v58
	v_cmp_ne_u32_e64 s[4:5], v58, v59
	v_cndmask_b32_e64 v112, 0, 1, s[8:9]
	v_cmp_ne_u32_e64 s[10:11], v56, v57
	v_cmp_ne_u32_e64 s[12:13], v57, v54
	;; [unrolled: 1-line block ×12, first 2 shown]
	s_waitcnt lgkmcnt(8)
	v_cndmask_b32_e64 v53, v37, v82, s[8:9]
	v_cndmask_b32_e64 v52, v36, v39, s[8:9]
	v_cmp_ne_u32_e64 s[8:9], v83, v84
	v_cndmask_b32_e64 v108, 0, 1, vcc
	v_cndmask_b32_e64 v109, 0, 1, s[2:3]
	v_cndmask_b32_e64 v111, 0, 1, s[4:5]
	;; [unrolled: 1-line block ×17, first 2 shown]
	v_cndmask_b32_e32 v44, v38, v39, vcc
	v_cndmask_b32_e64 v47, v41, v82, s[2:3]
	v_cndmask_b32_e64 v46, v40, v39, s[2:3]
	v_cndmask_b32_e64 v51, v35, v82, s[4:5]
	v_cndmask_b32_e64 v50, v34, v39, s[4:5]
	s_waitcnt lgkmcnt(7)
	v_cndmask_b32_e64 v55, v31, v82, s[10:11]
	v_cndmask_b32_e64 v54, v30, v39, s[10:11]
	v_cndmask_b32_e64 v57, v33, v82, s[12:13]
	v_cndmask_b32_e64 v56, v32, v39, s[12:13]
	s_waitcnt lgkmcnt(6)
	;; [unrolled: 5-line block ×8, first 2 shown]
	v_cndmask_b32_e64 v49, v3, v82, s[40:41]
	v_cndmask_b32_e64 v48, v2, v39, s[40:41]
	v_cndmask_b32_e64 v3, v5, v82, s[8:9]
	v_cndmask_b32_e64 v2, v4, v39, s[8:9]
	s_mov_b64 s[10:11], -1
                                        ; implicit-def: $sgpr76
                                        ; implicit-def: $sgpr4_sgpr5
.LBB1394_136:
	v_pk_mov_b32 v[82:83], s[4:5], s[4:5] op_sel:[0,1]
	v_mov_b32_e32 v127, s76
	s_and_saveexec_b64 s[2:3], s[10:11]
; %bb.137:
	v_cndmask_b32_e64 v127, 0, 1, s[8:9]
	v_pk_mov_b32 v[82:83], v[2:3], v[2:3] op_sel:[0,1]
; %bb.138:
	s_or_b64 exec, exec, s[2:3]
	v_or_b32_e32 v2, v127, v110
	s_cmp_lg_u32 s6, 0
	v_add_f64 v[84:85], v[44:45], v[42:43]
	v_or_b32_e32 v129, v2, v126
	v_mbcnt_lo_u32_b32 v128, -1, 0
	s_waitcnt lgkmcnt(0)
	; wave barrier
	s_waitcnt lgkmcnt(0)
	s_cbranch_scc0 .LBB1394_197
; %bb.139:
	v_mov_b32_e32 v4, 0
	v_cmp_eq_u16_sdwa s[2:3], v108, v4 src0_sel:BYTE_0 src1_sel:DWORD
	v_cndmask_b32_e64 v3, v45, v85, s[2:3]
	v_cndmask_b32_e64 v2, v44, v84, s[2:3]
	v_add_f64 v[2:3], v[46:47], v[2:3]
	v_cmp_eq_u16_sdwa s[4:5], v109, v4 src0_sel:BYTE_0 src1_sel:DWORD
	v_cndmask_b32_e64 v3, v47, v3, s[4:5]
	v_cndmask_b32_e64 v2, v46, v2, s[4:5]
	v_add_f64 v[2:3], v[50:51], v[2:3]
	;; [unrolled: 4-line block ×10, first 2 shown]
	v_cmp_eq_u16_sdwa s[22:23], v119, v4 src0_sel:BYTE_0 src1_sel:DWORD
	v_cndmask_b32_e64 v3, v67, v3, s[22:23]
	v_cndmask_b32_e64 v2, v66, v2, s[22:23]
	v_cmp_eq_u16_sdwa s[24:25], v120, v4 src0_sel:BYTE_0 src1_sel:DWORD
	v_cmp_eq_u16_sdwa s[26:27], v121, v4 src0_sel:BYTE_0 src1_sel:DWORD
	;; [unrolled: 1-line block ×8, first 2 shown]
	v_cmp_eq_u16_sdwa vcc, v127, v4 src0_sel:BYTE_0 src1_sel:DWORD
	v_or_b32_e32 v4, v129, v125
	v_add_f64 v[2:3], v[68:69], v[2:3]
	v_or_b32_e32 v4, v4, v124
	v_cndmask_b32_e64 v3, v69, v3, s[24:25]
	v_cndmask_b32_e64 v2, v68, v2, s[24:25]
	v_or_b32_e32 v4, v4, v123
	v_add_f64 v[2:3], v[70:71], v[2:3]
	v_or_b32_e32 v4, v4, v122
	v_cndmask_b32_e64 v3, v71, v3, s[26:27]
	v_cndmask_b32_e64 v2, v70, v2, s[26:27]
	v_or_b32_e32 v4, v4, v121
	v_add_f64 v[2:3], v[72:73], v[2:3]
	v_or_b32_e32 v4, v4, v120
	v_cndmask_b32_e64 v3, v73, v3, s[28:29]
	v_cndmask_b32_e64 v2, v72, v2, s[28:29]
	v_or_b32_e32 v4, v4, v119
	v_add_f64 v[2:3], v[74:75], v[2:3]
	v_or_b32_e32 v4, v4, v118
	v_cndmask_b32_e64 v3, v75, v3, s[30:31]
	v_cndmask_b32_e64 v2, v74, v2, s[30:31]
	v_or_b32_e32 v4, v4, v117
	v_add_f64 v[2:3], v[76:77], v[2:3]
	v_or_b32_e32 v4, v4, v116
	v_cndmask_b32_e64 v3, v77, v3, s[34:35]
	v_cndmask_b32_e64 v2, v76, v2, s[34:35]
	v_or_b32_e32 v4, v4, v115
	v_add_f64 v[2:3], v[78:79], v[2:3]
	v_or_b32_e32 v4, v4, v114
	v_cndmask_b32_e64 v3, v79, v3, s[36:37]
	v_cndmask_b32_e64 v2, v78, v2, s[36:37]
	v_or_b32_e32 v4, v4, v113
	v_add_f64 v[2:3], v[80:81], v[2:3]
	v_or_b32_e32 v4, v4, v112
	v_cndmask_b32_e64 v3, v81, v3, s[38:39]
	v_cndmask_b32_e64 v2, v80, v2, s[38:39]
	v_or_b32_e32 v4, v4, v111
	v_add_f64 v[2:3], v[48:49], v[2:3]
	v_or_b32_e32 v4, v4, v109
	v_cndmask_b32_e64 v3, v49, v3, s[40:41]
	v_cndmask_b32_e64 v2, v48, v2, s[40:41]
	v_or_b32_e32 v4, v4, v108
	v_add_f64 v[2:3], v[82:83], v[2:3]
	v_or_b32_e32 v4, v4, v1
	v_mbcnt_hi_u32_b32 v7, -1, v128
	v_cndmask_b32_e32 v3, v83, v3, vcc
	v_cndmask_b32_e32 v2, v82, v2, vcc
	v_and_b32_e32 v6, 1, v4
	v_and_b32_e32 v8, 15, v7
	v_cmp_eq_u32_e32 vcc, 1, v6
	v_mov_b32_dpp v4, v2 row_shr:1 row_mask:0xf bank_mask:0xf
	v_mov_b32_dpp v5, v3 row_shr:1 row_mask:0xf bank_mask:0xf
	;; [unrolled: 1-line block ×3, first 2 shown]
	v_cmp_ne_u32_e64 s[42:43], 0, v8
	v_mov_b32_e32 v9, v6
	s_and_saveexec_b64 s[46:47], s[42:43]
; %bb.140:
	v_add_f64 v[4:5], v[2:3], v[4:5]
	v_cndmask_b32_e32 v2, v4, v2, vcc
	v_and_b32_e32 v4, 1, v10
	v_or_b32_e32 v6, v4, v6
	v_cndmask_b32_e32 v3, v5, v3, vcc
	v_and_b32_e32 v9, 0xffff, v6
; %bb.141:
	s_or_b64 exec, exec, s[46:47]
	v_mov_b32_dpp v4, v2 row_shr:2 row_mask:0xf bank_mask:0xf
	v_mov_b32_dpp v5, v3 row_shr:2 row_mask:0xf bank_mask:0xf
	v_mov_b32_dpp v10, v9 row_shr:2 row_mask:0xf bank_mask:0xf
	v_cmp_lt_u32_e32 vcc, 1, v8
	s_and_saveexec_b64 s[46:47], vcc
; %bb.142:
	v_add_f64 v[4:5], v[2:3], v[4:5]
	v_cmp_eq_u16_e32 vcc, 0, v6
	v_cndmask_b32_e32 v2, v2, v4, vcc
	v_and_b32_e32 v4, 1, v6
	v_cndmask_b32_e32 v3, v3, v5, vcc
	v_cmp_eq_u32_e32 vcc, 1, v4
	v_and_b32_e32 v4, 1, v10
	v_cmp_eq_u32_e64 s[42:43], 1, v4
	s_or_b64 s[42:43], vcc, s[42:43]
	v_cndmask_b32_e64 v6, 0, 1, s[42:43]
	v_cndmask_b32_e64 v9, 0, 1, s[42:43]
; %bb.143:
	s_or_b64 exec, exec, s[46:47]
	v_mov_b32_dpp v4, v2 row_shr:4 row_mask:0xf bank_mask:0xf
	v_mov_b32_dpp v5, v3 row_shr:4 row_mask:0xf bank_mask:0xf
	v_mov_b32_dpp v10, v9 row_shr:4 row_mask:0xf bank_mask:0xf
	v_cmp_lt_u32_e32 vcc, 3, v8
	s_and_saveexec_b64 s[46:47], vcc
; %bb.144:
	v_add_f64 v[4:5], v[2:3], v[4:5]
	v_cmp_eq_u16_e32 vcc, 0, v6
	v_cndmask_b32_e32 v2, v2, v4, vcc
	v_and_b32_e32 v4, 1, v6
	v_cndmask_b32_e32 v3, v3, v5, vcc
	v_cmp_eq_u32_e32 vcc, 1, v4
	v_and_b32_e32 v4, 1, v10
	v_cmp_eq_u32_e64 s[42:43], 1, v4
	s_or_b64 s[42:43], vcc, s[42:43]
	v_cndmask_b32_e64 v6, 0, 1, s[42:43]
	v_cndmask_b32_e64 v9, 0, 1, s[42:43]
	;; [unrolled: 19-line block ×3, first 2 shown]
; %bb.147:
	s_or_b64 exec, exec, s[46:47]
	v_and_b32_e32 v10, 16, v7
	v_mov_b32_dpp v4, v2 row_bcast:15 row_mask:0xf bank_mask:0xf
	v_mov_b32_dpp v5, v3 row_bcast:15 row_mask:0xf bank_mask:0xf
	;; [unrolled: 1-line block ×3, first 2 shown]
	v_cmp_ne_u32_e32 vcc, 0, v10
	s_and_saveexec_b64 s[46:47], vcc
; %bb.148:
	v_add_f64 v[4:5], v[2:3], v[4:5]
	v_cmp_eq_u16_e32 vcc, 0, v6
	v_cndmask_b32_e32 v2, v2, v4, vcc
	v_and_b32_e32 v4, 1, v6
	v_cndmask_b32_e32 v3, v3, v5, vcc
	v_cmp_eq_u32_e32 vcc, 1, v4
	v_and_b32_e32 v4, 1, v8
	v_cmp_eq_u32_e64 s[42:43], 1, v4
	s_or_b64 s[42:43], vcc, s[42:43]
	v_cndmask_b32_e64 v6, 0, 1, s[42:43]
	v_cndmask_b32_e64 v9, 0, 1, s[42:43]
; %bb.149:
	s_or_b64 exec, exec, s[46:47]
	v_mov_b32_dpp v4, v2 row_bcast:31 row_mask:0xf bank_mask:0xf
	v_mov_b32_dpp v5, v3 row_bcast:31 row_mask:0xf bank_mask:0xf
	;; [unrolled: 1-line block ×3, first 2 shown]
	v_cmp_lt_u32_e32 vcc, 31, v7
	s_and_saveexec_b64 s[46:47], vcc
; %bb.150:
	v_add_f64 v[4:5], v[2:3], v[4:5]
	v_cmp_eq_u16_e32 vcc, 0, v6
	v_cndmask_b32_e32 v2, v2, v4, vcc
	v_and_b32_e32 v4, 1, v6
	v_cndmask_b32_e32 v3, v3, v5, vcc
	v_cmp_eq_u32_e32 vcc, 1, v4
	v_and_b32_e32 v4, 1, v8
	v_cmp_eq_u32_e64 s[42:43], 1, v4
	s_or_b64 s[42:43], vcc, s[42:43]
	v_cndmask_b32_e64 v6, 0, 1, s[42:43]
; %bb.151:
	s_or_b64 exec, exec, s[46:47]
	v_cmp_eq_u32_e32 vcc, 63, v0
	s_and_saveexec_b64 s[42:43], vcc
	s_cbranch_execz .LBB1394_153
; %bb.152:
	v_mov_b32_e32 v4, 0
	ds_write_b64 v4, v[2:3]
	ds_write_b8 v4, v6 offset:8
.LBB1394_153:
	s_or_b64 exec, exec, s[42:43]
	v_add_u32_e32 v4, -1, v7
	v_and_b32_e32 v5, 64, v7
	v_cmp_lt_i32_e32 vcc, v4, v5
	v_cndmask_b32_e32 v4, v4, v7, vcc
	v_lshlrev_b32_e32 v4, 2, v4
	v_and_b32_e32 v5, 0xffff, v6
	ds_bpermute_b32 v2, v4, v2
	ds_bpermute_b32 v3, v4, v3
	ds_bpermute_b32 v16, v4, v5
	v_cmp_gt_u32_e32 vcc, 64, v0
	s_waitcnt lgkmcnt(0)
	; wave barrier
	s_waitcnt lgkmcnt(0)
	s_and_saveexec_b64 s[60:61], vcc
	s_cbranch_execz .LBB1394_196
; %bb.154:
	v_mov_b32_e32 v9, 0
	ds_read_b64 v[4:5], v9
	ds_read_u8 v17, v9 offset:8
	s_mov_b32 s65, 0
	v_cmp_eq_u32_e64 s[42:43], 0, v7
	s_and_saveexec_b64 s[46:47], s[42:43]
	s_cbranch_execz .LBB1394_156
; %bb.155:
	s_add_i32 s64, s6, 64
	s_lshl_b64 s[72:73], s[64:65], 4
	s_add_u32 s72, s48, s72
	s_addc_u32 s73, s49, s73
	v_mov_b32_e32 v6, s64
	v_mov_b32_e32 v8, 1
	s_waitcnt lgkmcnt(1)
	global_store_dwordx2 v9, v[4:5], s[72:73]
	s_waitcnt lgkmcnt(0)
	global_store_byte v9, v17, s[72:73] offset:8
	s_waitcnt vmcnt(0)
	buffer_wbinvl1_vol
	global_store_byte v6, v8, s[52:53]
.LBB1394_156:
	s_or_b64 exec, exec, s[46:47]
	v_xad_u32 v6, v7, -1, s6
	v_add_u32_e32 v8, 64, v6
	global_load_ubyte v18, v8, s[52:53] glc
	s_waitcnt vmcnt(0)
	v_cmp_eq_u16_e32 vcc, 0, v18
	s_and_saveexec_b64 s[46:47], vcc
	s_cbranch_execz .LBB1394_160
; %bb.157:
	v_mov_b32_e32 v11, s53
	v_add_co_u32_e32 v10, vcc, s52, v8
	v_addc_co_u32_e32 v11, vcc, 0, v11, vcc
	s_mov_b64 s[64:65], 0
.LBB1394_158:                           ; =>This Inner Loop Header: Depth=1
	global_load_ubyte v18, v[10:11], off glc
	s_waitcnt vmcnt(0)
	v_cmp_ne_u16_e32 vcc, 0, v18
	s_or_b64 s[64:65], vcc, s[64:65]
	s_andn2_b64 exec, exec, s[64:65]
	s_cbranch_execnz .LBB1394_158
; %bb.159:
	s_or_b64 exec, exec, s[64:65]
.LBB1394_160:
	s_or_b64 exec, exec, s[46:47]
	v_mov_b32_e32 v10, s51
	v_mov_b32_e32 v11, s49
	v_cmp_eq_u16_e32 vcc, 1, v18
	v_cndmask_b32_e32 v10, v10, v11, vcc
	v_mov_b32_e32 v11, s50
	v_mov_b32_e32 v12, s48
	v_cndmask_b32_e32 v11, v11, v12, vcc
	v_lshlrev_b64 v[8:9], 4, v[8:9]
	v_add_co_u32_e32 v8, vcc, v11, v8
	v_addc_co_u32_e32 v9, vcc, v10, v9, vcc
	s_waitcnt lgkmcnt(0)
	buffer_wbinvl1_vol
	global_load_dwordx2 v[12:13], v[8:9], off
	global_load_ubyte v14, v[8:9], off offset:8
	v_cmp_eq_u16_e32 vcc, 2, v18
	v_lshlrev_b64 v[8:9], v7, -1
	v_and_b32_e32 v19, 63, v7
	v_and_b32_e32 v10, vcc_hi, v9
	v_and_b32_e32 v15, vcc_lo, v8
	v_cmp_ne_u32_e32 vcc, 63, v19
	v_addc_co_u32_e32 v11, vcc, 0, v7, vcc
	v_or_b32_e32 v10, 0x80000000, v10
	v_lshlrev_b32_e32 v20, 2, v11
	v_ffbl_b32_e32 v22, v10
	v_add_u32_e32 v22, 32, v22
	v_ffbl_b32_e32 v15, v15
	v_min_u32_e32 v15, v15, v22
	v_cmp_lt_u32_e32 vcc, v19, v15
	s_waitcnt vmcnt(1)
	ds_bpermute_b32 v10, v20, v12
	s_waitcnt vmcnt(0)
	v_and_b32_e32 v30, 1, v14
	ds_bpermute_b32 v11, v20, v13
	ds_bpermute_b32 v21, v20, v30
	s_and_saveexec_b64 s[46:47], vcc
	s_cbranch_execz .LBB1394_162
; %bb.161:
	v_mov_b32_e32 v22, 0
	s_waitcnt lgkmcnt(1)
	v_add_f64 v[10:11], v[12:13], v[10:11]
	v_cmp_eq_u16_sdwa vcc, v14, v22 src0_sel:BYTE_0 src1_sel:DWORD
	v_cndmask_b32_e32 v12, v12, v10, vcc
	s_waitcnt lgkmcnt(0)
	v_and_b32_e32 v10, 1, v21
	v_or_b32_e32 v14, v10, v14
	v_cndmask_b32_e32 v13, v13, v11, vcc
	v_and_b32_e32 v30, 0xff, v14
.LBB1394_162:
	s_or_b64 exec, exec, s[46:47]
	v_cmp_gt_u32_e32 vcc, 62, v19
	s_waitcnt lgkmcnt(2)
	v_cndmask_b32_e64 v10, 0, 1, vcc
	v_lshlrev_b32_e32 v10, 1, v10
	s_waitcnt lgkmcnt(0)
	v_add_lshl_u32 v21, v10, v7, 2
	ds_bpermute_b32 v10, v21, v12
	ds_bpermute_b32 v11, v21, v13
	ds_bpermute_b32 v23, v21, v30
	v_add_u32_e32 v22, 2, v19
	v_cmp_le_u32_e32 vcc, v22, v15
	s_and_saveexec_b64 s[64:65], vcc
	s_cbranch_execz .LBB1394_164
; %bb.163:
	v_mov_b32_e32 v24, 0
	s_waitcnt lgkmcnt(1)
	v_add_f64 v[10:11], v[12:13], v[10:11]
	v_cmp_eq_u16_sdwa vcc, v14, v24 src0_sel:BYTE_0 src1_sel:DWORD
	v_cndmask_b32_e32 v12, v12, v10, vcc
	v_and_b32_e32 v10, 1, v14
	v_cndmask_b32_e32 v13, v13, v11, vcc
	v_cmp_eq_u32_e32 vcc, 1, v10
	s_waitcnt lgkmcnt(0)
	v_and_b32_e32 v10, 1, v23
	v_cmp_eq_u32_e64 s[46:47], 1, v10
	s_or_b64 s[46:47], vcc, s[46:47]
	v_cndmask_b32_e64 v14, 0, 1, s[46:47]
	v_cndmask_b32_e64 v30, 0, 1, s[46:47]
.LBB1394_164:
	s_or_b64 exec, exec, s[64:65]
	v_cmp_gt_u32_e32 vcc, 60, v19
	s_waitcnt lgkmcnt(2)
	v_cndmask_b32_e64 v10, 0, 1, vcc
	v_lshlrev_b32_e32 v10, 2, v10
	s_waitcnt lgkmcnt(0)
	v_add_lshl_u32 v23, v10, v7, 2
	ds_bpermute_b32 v10, v23, v12
	ds_bpermute_b32 v11, v23, v13
	ds_bpermute_b32 v25, v23, v30
	v_add_u32_e32 v24, 4, v19
	v_cmp_le_u32_e32 vcc, v24, v15
	s_and_saveexec_b64 s[64:65], vcc
	s_cbranch_execz .LBB1394_166
; %bb.165:
	v_mov_b32_e32 v26, 0
	s_waitcnt lgkmcnt(1)
	v_add_f64 v[10:11], v[12:13], v[10:11]
	v_cmp_eq_u16_sdwa vcc, v14, v26 src0_sel:BYTE_0 src1_sel:DWORD
	v_cndmask_b32_e32 v12, v12, v10, vcc
	v_and_b32_e32 v10, 1, v14
	v_cndmask_b32_e32 v13, v13, v11, vcc
	v_cmp_eq_u32_e32 vcc, 1, v10
	s_waitcnt lgkmcnt(0)
	v_and_b32_e32 v10, 1, v25
	v_cmp_eq_u32_e64 s[46:47], 1, v10
	s_or_b64 s[46:47], vcc, s[46:47]
	v_cndmask_b32_e64 v14, 0, 1, s[46:47]
	v_cndmask_b32_e64 v30, 0, 1, s[46:47]
.LBB1394_166:
	;; [unrolled: 30-line block ×4, first 2 shown]
	s_or_b64 exec, exec, s[64:65]
	v_cmp_gt_u32_e32 vcc, 32, v19
	s_waitcnt lgkmcnt(2)
	v_cndmask_b32_e64 v10, 0, 1, vcc
	v_lshlrev_b32_e32 v10, 5, v10
	s_waitcnt lgkmcnt(0)
	v_add_lshl_u32 v29, v10, v7, 2
	ds_bpermute_b32 v10, v29, v12
	ds_bpermute_b32 v11, v29, v13
	;; [unrolled: 1-line block ×3, first 2 shown]
	v_add_u32_e32 v31, 32, v19
	v_cmp_le_u32_e32 vcc, v31, v15
	s_and_saveexec_b64 s[64:65], vcc
	s_cbranch_execz .LBB1394_172
; %bb.171:
	v_mov_b32_e32 v15, 0
	s_waitcnt lgkmcnt(1)
	v_add_f64 v[10:11], v[12:13], v[10:11]
	v_cmp_eq_u16_sdwa vcc, v14, v15 src0_sel:BYTE_0 src1_sel:DWORD
	v_cndmask_b32_e32 v12, v12, v10, vcc
	v_and_b32_e32 v10, 1, v14
	s_waitcnt lgkmcnt(0)
	v_and_b32_e32 v7, 1, v7
	v_cndmask_b32_e32 v13, v13, v11, vcc
	v_cmp_eq_u32_e32 vcc, 1, v10
	v_cmp_eq_u32_e64 s[46:47], 1, v7
	s_or_b64 s[46:47], vcc, s[46:47]
	v_cndmask_b32_e64 v14, 0, 1, s[46:47]
.LBB1394_172:
	s_or_b64 exec, exec, s[64:65]
	s_waitcnt lgkmcnt(0)
	v_mov_b32_e32 v7, 0
	v_mov_b32_e32 v32, 2
	s_branch .LBB1394_174
.LBB1394_173:                           ;   in Loop: Header=BB1394_174 Depth=1
	s_or_b64 exec, exec, s[72:73]
	v_add_f64 v[12:13], v[10:11], v[12:13]
	v_cmp_eq_u16_sdwa vcc, v30, v7 src0_sel:BYTE_0 src1_sel:DWORD
	s_waitcnt lgkmcnt(2)
	v_and_b32_e32 v14, 1, v30
	v_cndmask_b32_e32 v13, v11, v13, vcc
	v_cndmask_b32_e32 v12, v10, v12, vcc
	v_cmp_eq_u32_e32 vcc, 1, v14
	s_or_b64 s[46:47], vcc, s[64:65]
	v_subrev_u32_e32 v6, 64, v6
	v_cndmask_b32_e64 v14, 0, 1, s[46:47]
.LBB1394_174:                           ; =>This Loop Header: Depth=1
                                        ;     Child Loop BB1394_177 Depth 2
	v_cmp_ne_u16_sdwa s[46:47], v18, v32 src0_sel:BYTE_0 src1_sel:DWORD
	v_cndmask_b32_e64 v10, 0, 1, s[46:47]
	;;#ASMSTART
	;;#ASMEND
	v_cmp_ne_u32_e32 vcc, 0, v10
	v_mov_b32_e32 v30, v14
	s_cmp_lg_u64 vcc, exec
	v_pk_mov_b32 v[10:11], v[12:13], v[12:13] op_sel:[0,1]
	s_cbranch_scc1 .LBB1394_191
; %bb.175:                              ;   in Loop: Header=BB1394_174 Depth=1
	global_load_ubyte v18, v6, s[52:53] glc
	s_waitcnt vmcnt(0)
	v_cmp_eq_u16_e32 vcc, 0, v18
	s_and_saveexec_b64 s[46:47], vcc
	s_cbranch_execz .LBB1394_179
; %bb.176:                              ;   in Loop: Header=BB1394_174 Depth=1
	v_mov_b32_e32 v13, s53
	v_add_co_u32_e32 v12, vcc, s52, v6
	v_addc_co_u32_e32 v13, vcc, 0, v13, vcc
	s_mov_b64 s[64:65], 0
.LBB1394_177:                           ;   Parent Loop BB1394_174 Depth=1
                                        ; =>  This Inner Loop Header: Depth=2
	global_load_ubyte v18, v[12:13], off glc
	s_waitcnt vmcnt(0)
	v_cmp_ne_u16_e32 vcc, 0, v18
	s_or_b64 s[64:65], vcc, s[64:65]
	s_andn2_b64 exec, exec, s[64:65]
	s_cbranch_execnz .LBB1394_177
; %bb.178:                              ;   in Loop: Header=BB1394_174 Depth=1
	s_or_b64 exec, exec, s[64:65]
.LBB1394_179:                           ;   in Loop: Header=BB1394_174 Depth=1
	s_or_b64 exec, exec, s[46:47]
	v_mov_b32_e32 v12, s51
	v_mov_b32_e32 v13, s49
	v_cmp_eq_u16_e32 vcc, 1, v18
	s_waitcnt lgkmcnt(1)
	v_cndmask_b32_e32 v15, v12, v13, vcc
	v_mov_b32_e32 v12, s50
	v_mov_b32_e32 v13, s48
	v_cndmask_b32_e32 v14, v12, v13, vcc
	v_lshlrev_b64 v[12:13], 4, v[6:7]
	v_add_co_u32_e32 v14, vcc, v14, v12
	v_addc_co_u32_e32 v15, vcc, v15, v13, vcc
	buffer_wbinvl1_vol
	global_load_dwordx2 v[12:13], v[14:15], off
	global_load_ubyte v33, v[14:15], off offset:8
	v_cmp_eq_u16_e32 vcc, 2, v18
	v_and_b32_e32 v14, vcc_hi, v9
	v_or_b32_e32 v14, 0x80000000, v14
	v_ffbl_b32_e32 v37, v14
	v_and_b32_e32 v34, vcc_lo, v8
	v_add_u32_e32 v37, 32, v37
	v_ffbl_b32_e32 v34, v34
	v_min_u32_e32 v34, v34, v37
	v_cmp_lt_u32_e32 vcc, v19, v34
	s_waitcnt vmcnt(1)
	ds_bpermute_b32 v14, v20, v12
	s_waitcnt vmcnt(0) lgkmcnt(1)
	v_and_b32_e32 v35, 1, v33
	ds_bpermute_b32 v15, v20, v13
	ds_bpermute_b32 v36, v20, v35
	s_and_saveexec_b64 s[46:47], vcc
	s_cbranch_execz .LBB1394_181
; %bb.180:                              ;   in Loop: Header=BB1394_174 Depth=1
	s_waitcnt lgkmcnt(1)
	v_add_f64 v[14:15], v[12:13], v[14:15]
	v_cmp_eq_u16_sdwa vcc, v33, v7 src0_sel:BYTE_0 src1_sel:DWORD
	v_cndmask_b32_e32 v12, v12, v14, vcc
	s_waitcnt lgkmcnt(0)
	v_and_b32_e32 v14, 1, v36
	v_or_b32_e32 v33, v14, v33
	v_cndmask_b32_e32 v13, v13, v15, vcc
	v_and_b32_e32 v35, 0xff, v33
.LBB1394_181:                           ;   in Loop: Header=BB1394_174 Depth=1
	s_or_b64 exec, exec, s[46:47]
	s_waitcnt lgkmcnt(2)
	ds_bpermute_b32 v14, v21, v12
	s_waitcnt lgkmcnt(2)
	ds_bpermute_b32 v15, v21, v13
	;; [unrolled: 2-line block ×3, first 2 shown]
	v_and_b32_e32 v37, 1, v33
	v_cmp_le_u32_e32 vcc, v22, v34
	v_cmp_eq_u32_e64 s[64:65], 1, v37
	s_and_saveexec_b64 s[46:47], vcc
	s_cbranch_execz .LBB1394_183
; %bb.182:                              ;   in Loop: Header=BB1394_174 Depth=1
	s_waitcnt lgkmcnt(1)
	v_add_f64 v[14:15], v[12:13], v[14:15]
	v_cmp_eq_u16_sdwa vcc, v33, v7 src0_sel:BYTE_0 src1_sel:DWORD
	v_cndmask_b32_e32 v12, v12, v14, vcc
	s_waitcnt lgkmcnt(0)
	v_and_b32_e32 v14, 1, v36
	v_cndmask_b32_e32 v13, v13, v15, vcc
	v_cmp_eq_u32_e32 vcc, 1, v14
	s_or_b64 s[72:73], s[64:65], vcc
	v_cndmask_b32_e64 v33, 0, 1, s[72:73]
	v_cndmask_b32_e64 v35, 0, 1, s[72:73]
	s_andn2_b64 s[64:65], s[64:65], exec
	s_and_b64 s[72:73], s[72:73], exec
	s_or_b64 s[64:65], s[64:65], s[72:73]
.LBB1394_183:                           ;   in Loop: Header=BB1394_174 Depth=1
	s_or_b64 exec, exec, s[46:47]
	s_waitcnt lgkmcnt(2)
	ds_bpermute_b32 v14, v23, v12
	s_waitcnt lgkmcnt(2)
	ds_bpermute_b32 v15, v23, v13
	s_waitcnt lgkmcnt(2)
	ds_bpermute_b32 v36, v23, v35
	v_cmp_le_u32_e32 vcc, v24, v34
	s_and_saveexec_b64 s[72:73], vcc
	s_cbranch_execz .LBB1394_185
; %bb.184:                              ;   in Loop: Header=BB1394_174 Depth=1
	s_waitcnt lgkmcnt(1)
	v_add_f64 v[14:15], v[12:13], v[14:15]
	v_cmp_eq_u16_sdwa vcc, v33, v7 src0_sel:BYTE_0 src1_sel:DWORD
	v_cndmask_b32_e32 v12, v12, v14, vcc
	v_and_b32_e32 v14, 1, v33
	v_cndmask_b32_e32 v13, v13, v15, vcc
	v_cmp_eq_u32_e32 vcc, 1, v14
	s_waitcnt lgkmcnt(0)
	v_and_b32_e32 v14, 1, v36
	v_cmp_eq_u32_e64 s[46:47], 1, v14
	s_or_b64 s[46:47], vcc, s[46:47]
	v_cndmask_b32_e64 v33, 0, 1, s[46:47]
	v_cndmask_b32_e64 v35, 0, 1, s[46:47]
	s_andn2_b64 s[64:65], s[64:65], exec
	s_and_b64 s[46:47], s[46:47], exec
	s_or_b64 s[64:65], s[64:65], s[46:47]
.LBB1394_185:                           ;   in Loop: Header=BB1394_174 Depth=1
	s_or_b64 exec, exec, s[72:73]
	s_waitcnt lgkmcnt(2)
	ds_bpermute_b32 v14, v25, v12
	s_waitcnt lgkmcnt(2)
	ds_bpermute_b32 v15, v25, v13
	s_waitcnt lgkmcnt(2)
	ds_bpermute_b32 v36, v25, v35
	v_cmp_le_u32_e32 vcc, v26, v34
	s_and_saveexec_b64 s[72:73], vcc
	s_cbranch_execz .LBB1394_187
; %bb.186:                              ;   in Loop: Header=BB1394_174 Depth=1
	s_waitcnt lgkmcnt(1)
	v_add_f64 v[14:15], v[12:13], v[14:15]
	v_cmp_eq_u16_sdwa vcc, v33, v7 src0_sel:BYTE_0 src1_sel:DWORD
	v_cndmask_b32_e32 v12, v12, v14, vcc
	v_and_b32_e32 v14, 1, v33
	v_cndmask_b32_e32 v13, v13, v15, vcc
	v_cmp_eq_u32_e32 vcc, 1, v14
	s_waitcnt lgkmcnt(0)
	v_and_b32_e32 v14, 1, v36
	v_cmp_eq_u32_e64 s[46:47], 1, v14
	s_or_b64 s[46:47], vcc, s[46:47]
	v_cndmask_b32_e64 v33, 0, 1, s[46:47]
	v_cndmask_b32_e64 v35, 0, 1, s[46:47]
	s_andn2_b64 s[64:65], s[64:65], exec
	s_and_b64 s[46:47], s[46:47], exec
	s_or_b64 s[64:65], s[64:65], s[46:47]
.LBB1394_187:                           ;   in Loop: Header=BB1394_174 Depth=1
	;; [unrolled: 28-line block ×3, first 2 shown]
	s_or_b64 exec, exec, s[72:73]
	s_waitcnt lgkmcnt(2)
	ds_bpermute_b32 v14, v29, v12
	s_waitcnt lgkmcnt(2)
	ds_bpermute_b32 v15, v29, v13
	ds_bpermute_b32 v35, v29, v35
	v_cmp_le_u32_e32 vcc, v31, v34
	s_and_saveexec_b64 s[72:73], vcc
	s_cbranch_execz .LBB1394_173
; %bb.190:                              ;   in Loop: Header=BB1394_174 Depth=1
	s_waitcnt lgkmcnt(1)
	v_add_f64 v[14:15], v[12:13], v[14:15]
	v_cmp_eq_u16_sdwa vcc, v33, v7 src0_sel:BYTE_0 src1_sel:DWORD
	v_cndmask_b32_e32 v12, v12, v14, vcc
	v_and_b32_e32 v14, 1, v33
	v_cndmask_b32_e32 v13, v13, v15, vcc
	v_cmp_eq_u32_e32 vcc, 1, v14
	s_waitcnt lgkmcnt(0)
	v_and_b32_e32 v14, 1, v35
	v_cmp_eq_u32_e64 s[46:47], 1, v14
	s_or_b64 s[46:47], vcc, s[46:47]
	s_andn2_b64 s[64:65], s[64:65], exec
	s_and_b64 s[46:47], s[46:47], exec
	s_or_b64 s[64:65], s[64:65], s[46:47]
	s_branch .LBB1394_173
.LBB1394_191:                           ;   in Loop: Header=BB1394_174 Depth=1
                                        ; implicit-def: $vgpr14
                                        ; implicit-def: $vgpr12_vgpr13
                                        ; implicit-def: $vgpr18
	s_cbranch_execz .LBB1394_174
; %bb.192:
	s_and_saveexec_b64 s[46:47], s[42:43]
	s_cbranch_execz .LBB1394_194
; %bb.193:
	s_mov_b32 s7, 0
	s_add_i32 s6, s6, 64
	v_mov_b32_e32 v8, 0
	s_lshl_b64 s[42:43], s[6:7], 4
	v_add_f64 v[6:7], v[4:5], v[10:11]
	v_cmp_eq_u16_sdwa vcc, v17, v8 src0_sel:BYTE_0 src1_sel:DWORD
	s_add_u32 s42, s50, s42
	v_cndmask_b32_e32 v5, v5, v7, vcc
	v_cndmask_b32_e32 v4, v4, v6, vcc
	v_or_b32_e32 v6, v17, v30
	s_addc_u32 s43, s51, s43
	v_and_b32_e32 v6, 1, v6
	global_store_dwordx2 v8, v[4:5], s[42:43]
	global_store_byte v8, v6, s[42:43] offset:8
	v_mov_b32_e32 v4, s6
	v_mov_b32_e32 v5, 2
	s_waitcnt vmcnt(0) lgkmcnt(0)
	buffer_wbinvl1_vol
	global_store_byte v4, v5, s[52:53]
.LBB1394_194:
	s_or_b64 exec, exec, s[46:47]
	v_cmp_eq_u32_e32 vcc, 0, v0
	s_and_b64 exec, exec, vcc
	s_cbranch_execz .LBB1394_196
; %bb.195:
	v_mov_b32_e32 v4, 0
	ds_write_b64 v4, v[10:11]
	ds_write_b8 v4, v30 offset:8
.LBB1394_196:
	s_or_b64 exec, exec, s[60:61]
	v_mov_b32_e32 v8, 0
	s_waitcnt lgkmcnt(0)
	; wave barrier
	s_waitcnt lgkmcnt(0)
	ds_read_b64 v[4:5], v8
	v_cmp_eq_u32_sdwa vcc, v16, v8 src0_sel:BYTE_0 src1_sel:DWORD
	s_waitcnt lgkmcnt(0)
	v_add_f64 v[6:7], v[4:5], v[2:3]
	v_cndmask_b32_e32 v2, v2, v6, vcc
	v_cndmask_b32_e32 v3, v3, v7, vcc
	v_cmp_eq_u32_e32 vcc, 0, v0
	v_cndmask_b32_e32 v87, v3, v5, vcc
	v_cndmask_b32_e32 v86, v2, v4, vcc
	v_add_f64 v[2:3], v[42:43], v[86:87]
	v_cmp_eq_u16_sdwa vcc, v1, v8 src0_sel:BYTE_0 src1_sel:DWORD
	v_cndmask_b32_e32 v5, v43, v3, vcc
	v_cndmask_b32_e32 v4, v42, v2, vcc
	v_add_f64 v[2:3], v[44:45], v[4:5]
	v_cndmask_b32_e64 v7, v45, v3, s[2:3]
	v_cndmask_b32_e64 v6, v44, v2, s[2:3]
	v_add_f64 v[2:3], v[46:47], v[6:7]
	v_cndmask_b32_e64 v89, v47, v3, s[4:5]
	v_cndmask_b32_e64 v88, v46, v2, s[4:5]
	;; [unrolled: 3-line block ×19, first 2 shown]
	s_branch .LBB1394_217
.LBB1394_197:
                                        ; implicit-def: $vgpr86_vgpr87
                                        ; implicit-def: $vgpr106_vgpr107
                                        ; implicit-def: $vgpr104_vgpr105
                                        ; implicit-def: $vgpr102_vgpr103
                                        ; implicit-def: $vgpr100_vgpr101
                                        ; implicit-def: $vgpr98_vgpr99
                                        ; implicit-def: $vgpr96_vgpr97
                                        ; implicit-def: $vgpr94_vgpr95
                                        ; implicit-def: $vgpr92_vgpr93
                                        ; implicit-def: $vgpr90_vgpr91
                                        ; implicit-def: $vgpr88_vgpr89
                                        ; implicit-def: $vgpr38_vgpr39_vgpr40_vgpr41
                                        ; implicit-def: $vgpr34_vgpr35_vgpr36_vgpr37
                                        ; implicit-def: $vgpr30_vgpr31_vgpr32_vgpr33
                                        ; implicit-def: $vgpr26_vgpr27_vgpr28_vgpr29
                                        ; implicit-def: $vgpr22_vgpr23_vgpr24_vgpr25
                                        ; implicit-def: $vgpr18_vgpr19_vgpr20_vgpr21
                                        ; implicit-def: $vgpr14_vgpr15_vgpr16_vgpr17
                                        ; implicit-def: $vgpr10_vgpr11_vgpr12_vgpr13
                                        ; implicit-def: $vgpr6_vgpr7_vgpr8_vgpr9
                                        ; implicit-def: $vgpr2_vgpr3_vgpr4_vgpr5
	s_cbranch_execz .LBB1394_217
; %bb.198:
	s_cmp_lg_u64 s[70:71], 0
	s_cselect_b32 s3, s67, 0
	s_cselect_b32 s2, s66, 0
	s_cmp_eq_u64 s[2:3], 0
	v_pk_mov_b32 v[2:3], s[68:69], s[68:69] op_sel:[0,1]
	s_cbranch_scc1 .LBB1394_200
; %bb.199:
	v_mov_b32_e32 v2, 0
	global_load_dwordx2 v[2:3], v2, s[2:3]
.LBB1394_200:
	v_mov_b32_e32 v6, 0
	v_cmp_eq_u16_sdwa vcc, v108, v6 src0_sel:BYTE_0 src1_sel:DWORD
	v_cndmask_b32_e32 v5, v45, v85, vcc
	v_cndmask_b32_e32 v4, v44, v84, vcc
	v_add_f64 v[4:5], v[46:47], v[4:5]
	v_cmp_eq_u16_sdwa s[2:3], v109, v6 src0_sel:BYTE_0 src1_sel:DWORD
	v_cndmask_b32_e64 v5, v47, v5, s[2:3]
	v_cndmask_b32_e64 v4, v46, v4, s[2:3]
	v_add_f64 v[4:5], v[50:51], v[4:5]
	v_cmp_eq_u16_sdwa s[4:5], v111, v6 src0_sel:BYTE_0 src1_sel:DWORD
	v_cndmask_b32_e64 v5, v51, v5, s[4:5]
	v_cndmask_b32_e64 v4, v50, v4, s[4:5]
	;; [unrolled: 4-line block ×10, first 2 shown]
	v_cmp_eq_u16_sdwa s[22:23], v120, v6 src0_sel:BYTE_0 src1_sel:DWORD
	v_cmp_eq_u16_sdwa s[24:25], v121, v6 src0_sel:BYTE_0 src1_sel:DWORD
	;; [unrolled: 1-line block ×9, first 2 shown]
	v_or_b32_e32 v6, v129, v125
	v_add_f64 v[4:5], v[68:69], v[4:5]
	v_or_b32_e32 v6, v6, v124
	v_cndmask_b32_e64 v5, v69, v5, s[22:23]
	v_cndmask_b32_e64 v4, v68, v4, s[22:23]
	v_or_b32_e32 v6, v6, v123
	v_add_f64 v[4:5], v[70:71], v[4:5]
	v_or_b32_e32 v6, v6, v122
	v_cndmask_b32_e64 v5, v71, v5, s[24:25]
	v_cndmask_b32_e64 v4, v70, v4, s[24:25]
	;; [unrolled: 5-line block ×8, first 2 shown]
	v_or_b32_e32 v6, v6, v108
	v_add_f64 v[4:5], v[82:83], v[4:5]
	v_or_b32_e32 v6, v6, v1
	v_mbcnt_hi_u32_b32 v8, -1, v128
	v_cndmask_b32_e64 v5, v83, v5, s[40:41]
	v_cndmask_b32_e64 v4, v82, v4, s[40:41]
	v_and_b32_e32 v9, 1, v6
	v_and_b32_e32 v10, 15, v8
	v_cmp_eq_u32_e64 s[40:41], 1, v9
	v_mov_b32_dpp v6, v4 row_shr:1 row_mask:0xf bank_mask:0xf
	v_mov_b32_dpp v7, v5 row_shr:1 row_mask:0xf bank_mask:0xf
	;; [unrolled: 1-line block ×3, first 2 shown]
	v_cmp_ne_u32_e64 s[42:43], 0, v10
	v_mov_b32_e32 v11, v9
	s_and_saveexec_b64 s[44:45], s[42:43]
; %bb.201:
	v_add_f64 v[6:7], v[4:5], v[6:7]
	v_cndmask_b32_e64 v4, v6, v4, s[40:41]
	v_and_b32_e32 v6, 1, v12
	v_or_b32_e32 v9, v6, v9
	v_cndmask_b32_e64 v5, v7, v5, s[40:41]
	v_and_b32_e32 v11, 0xffff, v9
; %bb.202:
	s_or_b64 exec, exec, s[44:45]
	v_mov_b32_dpp v6, v4 row_shr:2 row_mask:0xf bank_mask:0xf
	v_mov_b32_dpp v7, v5 row_shr:2 row_mask:0xf bank_mask:0xf
	v_mov_b32_dpp v12, v11 row_shr:2 row_mask:0xf bank_mask:0xf
	v_cmp_lt_u32_e64 s[40:41], 1, v10
	s_and_saveexec_b64 s[44:45], s[40:41]
; %bb.203:
	v_add_f64 v[6:7], v[4:5], v[6:7]
	v_cmp_eq_u16_e64 s[40:41], 0, v9
	v_cndmask_b32_e64 v4, v4, v6, s[40:41]
	v_and_b32_e32 v6, 1, v9
	v_cndmask_b32_e64 v5, v5, v7, s[40:41]
	v_cmp_eq_u32_e64 s[40:41], 1, v6
	v_and_b32_e32 v6, 1, v12
	v_cmp_eq_u32_e64 s[42:43], 1, v6
	s_or_b64 s[40:41], s[40:41], s[42:43]
	v_cndmask_b32_e64 v9, 0, 1, s[40:41]
	v_cndmask_b32_e64 v11, 0, 1, s[40:41]
; %bb.204:
	s_or_b64 exec, exec, s[44:45]
	v_mov_b32_dpp v6, v4 row_shr:4 row_mask:0xf bank_mask:0xf
	v_mov_b32_dpp v7, v5 row_shr:4 row_mask:0xf bank_mask:0xf
	v_mov_b32_dpp v12, v11 row_shr:4 row_mask:0xf bank_mask:0xf
	v_cmp_lt_u32_e64 s[40:41], 3, v10
	s_and_saveexec_b64 s[44:45], s[40:41]
; %bb.205:
	v_add_f64 v[6:7], v[4:5], v[6:7]
	v_cmp_eq_u16_e64 s[40:41], 0, v9
	v_cndmask_b32_e64 v4, v4, v6, s[40:41]
	v_and_b32_e32 v6, 1, v9
	v_cndmask_b32_e64 v5, v5, v7, s[40:41]
	v_cmp_eq_u32_e64 s[40:41], 1, v6
	v_and_b32_e32 v6, 1, v12
	v_cmp_eq_u32_e64 s[42:43], 1, v6
	s_or_b64 s[40:41], s[40:41], s[42:43]
	v_cndmask_b32_e64 v9, 0, 1, s[40:41]
	v_cndmask_b32_e64 v11, 0, 1, s[40:41]
	;; [unrolled: 19-line block ×3, first 2 shown]
; %bb.208:
	s_or_b64 exec, exec, s[44:45]
	v_and_b32_e32 v12, 16, v8
	v_mov_b32_dpp v6, v4 row_bcast:15 row_mask:0xf bank_mask:0xf
	v_mov_b32_dpp v7, v5 row_bcast:15 row_mask:0xf bank_mask:0xf
	;; [unrolled: 1-line block ×3, first 2 shown]
	v_cmp_ne_u32_e64 s[40:41], 0, v12
	s_and_saveexec_b64 s[44:45], s[40:41]
; %bb.209:
	v_add_f64 v[6:7], v[4:5], v[6:7]
	v_cmp_eq_u16_e64 s[40:41], 0, v9
	v_cndmask_b32_e64 v4, v4, v6, s[40:41]
	v_and_b32_e32 v6, 1, v9
	v_cndmask_b32_e64 v5, v5, v7, s[40:41]
	v_cmp_eq_u32_e64 s[40:41], 1, v6
	v_and_b32_e32 v6, 1, v10
	v_cmp_eq_u32_e64 s[42:43], 1, v6
	s_or_b64 s[40:41], s[40:41], s[42:43]
	v_cndmask_b32_e64 v9, 0, 1, s[40:41]
	v_cndmask_b32_e64 v11, 0, 1, s[40:41]
; %bb.210:
	s_or_b64 exec, exec, s[44:45]
	v_mov_b32_dpp v6, v4 row_bcast:31 row_mask:0xf bank_mask:0xf
	v_mov_b32_dpp v7, v5 row_bcast:31 row_mask:0xf bank_mask:0xf
	;; [unrolled: 1-line block ×3, first 2 shown]
	v_cmp_lt_u32_e64 s[40:41], 31, v8
	s_and_saveexec_b64 s[44:45], s[40:41]
; %bb.211:
	v_add_f64 v[6:7], v[4:5], v[6:7]
	v_cmp_eq_u16_e64 s[40:41], 0, v9
	v_cndmask_b32_e64 v4, v4, v6, s[40:41]
	v_and_b32_e32 v6, 1, v9
	v_cndmask_b32_e64 v5, v5, v7, s[40:41]
	v_cmp_eq_u32_e64 s[40:41], 1, v6
	v_and_b32_e32 v6, 1, v10
	v_cmp_eq_u32_e64 s[42:43], 1, v6
	s_or_b64 s[40:41], s[40:41], s[42:43]
	v_cndmask_b32_e64 v9, 0, 1, s[40:41]
; %bb.212:
	s_or_b64 exec, exec, s[44:45]
	v_cmp_eq_u32_e64 s[40:41], 63, v0
	s_and_saveexec_b64 s[42:43], s[40:41]
	s_cbranch_execz .LBB1394_214
; %bb.213:
	v_mov_b32_e32 v6, 0
	ds_write_b64 v6, v[4:5]
	ds_write_b8 v6, v9 offset:8
.LBB1394_214:
	s_or_b64 exec, exec, s[42:43]
	s_waitcnt vmcnt(0)
	v_add_f64 v[6:7], v[2:3], v[4:5]
	v_cmp_eq_u16_e64 s[40:41], 0, v9
	v_cndmask_b32_e64 v5, v5, v7, s[40:41]
	v_cndmask_b32_e64 v4, v4, v6, s[40:41]
	v_add_u32_e32 v6, -1, v8
	v_and_b32_e32 v7, 64, v8
	v_cmp_lt_i32_e64 s[40:41], v6, v7
	v_cndmask_b32_e64 v6, v6, v8, s[40:41]
	v_lshlrev_b32_e32 v6, 2, v6
	ds_bpermute_b32 v5, v6, v5
	ds_bpermute_b32 v4, v6, v4
	v_cmp_eq_u32_e64 s[42:43], 0, v8
	v_cmp_eq_u32_e64 s[40:41], 0, v0
	s_or_b64 s[42:43], s[40:41], s[42:43]
	s_waitcnt lgkmcnt(1)
	v_cndmask_b32_e64 v87, v5, v3, s[42:43]
	s_waitcnt lgkmcnt(0)
	v_cndmask_b32_e64 v86, v4, v2, s[42:43]
	v_mov_b32_e32 v8, 0
	v_add_f64 v[4:5], v[42:43], v[86:87]
	v_cmp_eq_u16_sdwa s[42:43], v1, v8 src0_sel:BYTE_0 src1_sel:DWORD
	v_cndmask_b32_e64 v5, v43, v5, s[42:43]
	v_cndmask_b32_e64 v4, v42, v4, s[42:43]
	v_add_f64 v[6:7], v[44:45], v[4:5]
	v_cndmask_b32_e32 v7, v45, v7, vcc
	v_cndmask_b32_e32 v6, v44, v6, vcc
	v_add_f64 v[10:11], v[46:47], v[6:7]
	v_cndmask_b32_e64 v89, v47, v11, s[2:3]
	v_cndmask_b32_e64 v88, v46, v10, s[2:3]
	v_add_f64 v[10:11], v[50:51], v[88:89]
	v_cndmask_b32_e64 v11, v51, v11, s[4:5]
	v_cndmask_b32_e64 v10, v50, v10, s[4:5]
	;; [unrolled: 3-line block ×18, first 2 shown]
	s_waitcnt lgkmcnt(0)
	; wave barrier
	s_and_saveexec_b64 s[2:3], s[40:41]
	s_cbranch_execz .LBB1394_216
; %bb.215:
	ds_read_b64 v[12:13], v8
	ds_read_u8 v1, v8 offset:8
	v_pk_mov_b32 v[86:87], v[2:3], v[2:3] op_sel:[0,1]
	s_waitcnt lgkmcnt(1)
	v_add_f64 v[16:17], v[2:3], v[12:13]
	s_waitcnt lgkmcnt(0)
	v_cmp_eq_u16_e32 vcc, 0, v1
	global_store_byte v8, v1, s[50:51] offset:1032
	v_cndmask_b32_e32 v13, v13, v17, vcc
	v_cndmask_b32_e32 v12, v12, v16, vcc
	v_mov_b32_e32 v1, 2
	global_store_dwordx2 v8, v[12:13], s[50:51] offset:1024
	s_waitcnt vmcnt(0)
	buffer_wbinvl1_vol
	global_store_byte v8, v1, s[52:53] offset:64
.LBB1394_216:
	s_or_b64 exec, exec, s[2:3]
.LBB1394_217:
	s_add_u32 s2, s62, s56
	s_addc_u32 s3, s63, s57
	s_add_u32 s4, s2, s58
	s_addc_u32 s5, s3, s59
	s_and_b64 vcc, exec, s[0:1]
	v_lshlrev_b32_e32 v8, 3, v0
	s_cbranch_vccz .LBB1394_259
; %bb.218:
	s_movk_i32 s0, 0xa8
	v_mul_i32_i24_e32 v12, 0xffffff60, v0
	v_mul_u32_u24_e32 v9, 0xa8, v0
	v_mad_u32_u24 v2, v0, s0, v12
	s_waitcnt lgkmcnt(0)
	; wave barrier
	ds_write2_b64 v9, v[86:87], v[4:5] offset1:1
	ds_write2_b64 v9, v[6:7], v[88:89] offset0:2 offset1:3
	ds_write2_b64 v9, v[10:11], v[90:91] offset0:4 offset1:5
	ds_write2_b64 v9, v[14:15], v[92:93] offset0:6 offset1:7
	ds_write2_b64 v9, v[18:19], v[94:95] offset0:8 offset1:9
	ds_write2_b64 v9, v[22:23], v[96:97] offset0:10 offset1:11
	ds_write2_b64 v9, v[26:27], v[98:99] offset0:12 offset1:13
	ds_write2_b64 v9, v[30:31], v[100:101] offset0:14 offset1:15
	ds_write2_b64 v9, v[34:35], v[102:103] offset0:16 offset1:17
	ds_write2_b64 v9, v[38:39], v[104:105] offset0:18 offset1:19
	ds_write_b64 v9, v[106:107] offset:160
	s_waitcnt lgkmcnt(0)
	; wave barrier
	s_waitcnt lgkmcnt(0)
	ds_read2st64_b64 v[76:79], v2 offset0:1 offset1:2
	ds_read2st64_b64 v[72:75], v2 offset0:3 offset1:4
	;; [unrolled: 1-line block ×10, first 2 shown]
	v_mov_b32_e32 v3, s5
	v_add_co_u32_e32 v2, vcc, s4, v8
	s_add_i32 s33, s33, s54
	v_addc_co_u32_e32 v3, vcc, 0, v3, vcc
	v_mov_b32_e32 v1, 0
	v_cmp_gt_u32_e32 vcc, s33, v0
	s_and_saveexec_b64 s[0:1], vcc
	s_cbranch_execz .LBB1394_220
; %bb.219:
	v_add_u32_e32 v9, v9, v12
	ds_read_b64 v[12:13], v9
	s_waitcnt lgkmcnt(0)
	flat_store_dwordx2 v[2:3], v[12:13]
.LBB1394_220:
	s_or_b64 exec, exec, s[0:1]
	v_or_b32_e32 v9, 64, v0
	v_cmp_gt_u32_e32 vcc, s33, v9
	s_and_saveexec_b64 s[0:1], vcc
	s_cbranch_execz .LBB1394_222
; %bb.221:
	s_waitcnt lgkmcnt(0)
	flat_store_dwordx2 v[2:3], v[76:77] offset:512
.LBB1394_222:
	s_or_b64 exec, exec, s[0:1]
	v_or_b32_e32 v9, 0x80, v0
	v_cmp_gt_u32_e32 vcc, s33, v9
	s_and_saveexec_b64 s[0:1], vcc
	s_cbranch_execz .LBB1394_224
; %bb.223:
	s_waitcnt lgkmcnt(0)
	flat_store_dwordx2 v[2:3], v[78:79] offset:1024
.LBB1394_224:
	s_or_b64 exec, exec, s[0:1]
	v_or_b32_e32 v9, 0xc0, v0
	v_cmp_gt_u32_e32 vcc, s33, v9
	s_and_saveexec_b64 s[0:1], vcc
	s_cbranch_execz .LBB1394_226
; %bb.225:
	s_waitcnt lgkmcnt(0)
	flat_store_dwordx2 v[2:3], v[72:73] offset:1536
.LBB1394_226:
	s_or_b64 exec, exec, s[0:1]
	v_or_b32_e32 v9, 0x100, v0
	v_cmp_gt_u32_e32 vcc, s33, v9
	s_and_saveexec_b64 s[0:1], vcc
	s_cbranch_execz .LBB1394_228
; %bb.227:
	s_waitcnt lgkmcnt(0)
	flat_store_dwordx2 v[2:3], v[74:75] offset:2048
.LBB1394_228:
	s_or_b64 exec, exec, s[0:1]
	v_or_b32_e32 v9, 0x140, v0
	v_cmp_gt_u32_e32 vcc, s33, v9
	s_and_saveexec_b64 s[0:1], vcc
	s_cbranch_execz .LBB1394_230
; %bb.229:
	s_waitcnt lgkmcnt(0)
	flat_store_dwordx2 v[2:3], v[68:69] offset:2560
.LBB1394_230:
	s_or_b64 exec, exec, s[0:1]
	v_or_b32_e32 v9, 0x180, v0
	v_cmp_gt_u32_e32 vcc, s33, v9
	s_and_saveexec_b64 s[0:1], vcc
	s_cbranch_execz .LBB1394_232
; %bb.231:
	s_waitcnt lgkmcnt(0)
	flat_store_dwordx2 v[2:3], v[70:71] offset:3072
.LBB1394_232:
	s_or_b64 exec, exec, s[0:1]
	v_or_b32_e32 v9, 0x1c0, v0
	v_cmp_gt_u32_e32 vcc, s33, v9
	s_and_saveexec_b64 s[0:1], vcc
	s_cbranch_execz .LBB1394_234
; %bb.233:
	s_waitcnt lgkmcnt(0)
	flat_store_dwordx2 v[2:3], v[64:65] offset:3584
.LBB1394_234:
	s_or_b64 exec, exec, s[0:1]
	v_or_b32_e32 v9, 0x200, v0
	v_cmp_gt_u32_e32 vcc, s33, v9
	s_and_saveexec_b64 s[0:1], vcc
	s_cbranch_execz .LBB1394_236
; %bb.235:
	v_add_co_u32_e32 v12, vcc, 0x1000, v2
	v_addc_co_u32_e32 v13, vcc, 0, v3, vcc
	s_waitcnt lgkmcnt(0)
	flat_store_dwordx2 v[12:13], v[66:67]
.LBB1394_236:
	s_or_b64 exec, exec, s[0:1]
	v_or_b32_e32 v9, 0x240, v0
	v_cmp_gt_u32_e32 vcc, s33, v9
	s_and_saveexec_b64 s[0:1], vcc
	s_cbranch_execz .LBB1394_238
; %bb.237:
	v_add_co_u32_e32 v12, vcc, 0x1000, v2
	v_addc_co_u32_e32 v13, vcc, 0, v3, vcc
	s_waitcnt lgkmcnt(0)
	flat_store_dwordx2 v[12:13], v[60:61] offset:512
.LBB1394_238:
	s_or_b64 exec, exec, s[0:1]
	v_or_b32_e32 v9, 0x280, v0
	v_cmp_gt_u32_e32 vcc, s33, v9
	s_and_saveexec_b64 s[0:1], vcc
	s_cbranch_execz .LBB1394_240
; %bb.239:
	v_add_co_u32_e32 v12, vcc, 0x1000, v2
	v_addc_co_u32_e32 v13, vcc, 0, v3, vcc
	s_waitcnt lgkmcnt(0)
	flat_store_dwordx2 v[12:13], v[62:63] offset:1024
.LBB1394_240:
	s_or_b64 exec, exec, s[0:1]
	v_or_b32_e32 v9, 0x2c0, v0
	v_cmp_gt_u32_e32 vcc, s33, v9
	s_and_saveexec_b64 s[0:1], vcc
	s_cbranch_execz .LBB1394_242
; %bb.241:
	v_add_co_u32_e32 v12, vcc, 0x1000, v2
	v_addc_co_u32_e32 v13, vcc, 0, v3, vcc
	s_waitcnt lgkmcnt(0)
	flat_store_dwordx2 v[12:13], v[56:57] offset:1536
.LBB1394_242:
	s_or_b64 exec, exec, s[0:1]
	v_or_b32_e32 v9, 0x300, v0
	v_cmp_gt_u32_e32 vcc, s33, v9
	s_and_saveexec_b64 s[0:1], vcc
	s_cbranch_execz .LBB1394_244
; %bb.243:
	v_add_co_u32_e32 v12, vcc, 0x1000, v2
	v_addc_co_u32_e32 v13, vcc, 0, v3, vcc
	s_waitcnt lgkmcnt(0)
	flat_store_dwordx2 v[12:13], v[58:59] offset:2048
.LBB1394_244:
	s_or_b64 exec, exec, s[0:1]
	v_or_b32_e32 v9, 0x340, v0
	v_cmp_gt_u32_e32 vcc, s33, v9
	s_and_saveexec_b64 s[0:1], vcc
	s_cbranch_execz .LBB1394_246
; %bb.245:
	v_add_co_u32_e32 v12, vcc, 0x1000, v2
	v_addc_co_u32_e32 v13, vcc, 0, v3, vcc
	s_waitcnt lgkmcnt(0)
	flat_store_dwordx2 v[12:13], v[52:53] offset:2560
.LBB1394_246:
	s_or_b64 exec, exec, s[0:1]
	v_or_b32_e32 v9, 0x380, v0
	v_cmp_gt_u32_e32 vcc, s33, v9
	s_and_saveexec_b64 s[0:1], vcc
	s_cbranch_execz .LBB1394_248
; %bb.247:
	v_add_co_u32_e32 v12, vcc, 0x1000, v2
	v_addc_co_u32_e32 v13, vcc, 0, v3, vcc
	s_waitcnt lgkmcnt(0)
	flat_store_dwordx2 v[12:13], v[54:55] offset:3072
.LBB1394_248:
	s_or_b64 exec, exec, s[0:1]
	v_or_b32_e32 v9, 0x3c0, v0
	v_cmp_gt_u32_e32 vcc, s33, v9
	s_and_saveexec_b64 s[0:1], vcc
	s_cbranch_execz .LBB1394_250
; %bb.249:
	v_add_co_u32_e32 v12, vcc, 0x1000, v2
	v_addc_co_u32_e32 v13, vcc, 0, v3, vcc
	s_waitcnt lgkmcnt(0)
	flat_store_dwordx2 v[12:13], v[48:49] offset:3584
.LBB1394_250:
	s_or_b64 exec, exec, s[0:1]
	v_or_b32_e32 v9, 0x400, v0
	v_cmp_gt_u32_e32 vcc, s33, v9
	s_and_saveexec_b64 s[0:1], vcc
	s_cbranch_execz .LBB1394_252
; %bb.251:
	v_add_co_u32_e32 v12, vcc, 0x2000, v2
	v_addc_co_u32_e32 v13, vcc, 0, v3, vcc
	s_waitcnt lgkmcnt(0)
	flat_store_dwordx2 v[12:13], v[50:51]
.LBB1394_252:
	s_or_b64 exec, exec, s[0:1]
	v_or_b32_e32 v9, 0x440, v0
	v_cmp_gt_u32_e32 vcc, s33, v9
	s_and_saveexec_b64 s[0:1], vcc
	s_cbranch_execz .LBB1394_254
; %bb.253:
	v_add_co_u32_e32 v12, vcc, 0x2000, v2
	v_addc_co_u32_e32 v13, vcc, 0, v3, vcc
	s_waitcnt lgkmcnt(0)
	flat_store_dwordx2 v[12:13], v[44:45] offset:512
.LBB1394_254:
	s_or_b64 exec, exec, s[0:1]
	v_or_b32_e32 v9, 0x480, v0
	v_cmp_gt_u32_e32 vcc, s33, v9
	s_and_saveexec_b64 s[0:1], vcc
	s_cbranch_execz .LBB1394_256
; %bb.255:
	v_add_co_u32_e32 v12, vcc, 0x2000, v2
	v_addc_co_u32_e32 v13, vcc, 0, v3, vcc
	s_waitcnt lgkmcnt(0)
	flat_store_dwordx2 v[12:13], v[46:47] offset:1024
.LBB1394_256:
	s_or_b64 exec, exec, s[0:1]
	v_or_b32_e32 v9, 0x4c0, v0
	v_cmp_gt_u32_e32 vcc, s33, v9
	s_and_saveexec_b64 s[0:1], vcc
	s_cbranch_execz .LBB1394_258
; %bb.257:
	v_add_co_u32_e32 v2, vcc, 0x2000, v2
	v_addc_co_u32_e32 v3, vcc, 0, v3, vcc
	s_waitcnt lgkmcnt(0)
	flat_store_dwordx2 v[2:3], v[40:41] offset:1536
.LBB1394_258:
	s_or_b64 exec, exec, s[0:1]
	v_or_b32_e32 v2, 0x500, v0
	v_cmp_gt_u32_e64 s[0:1], s33, v2
	s_branch .LBB1394_261
.LBB1394_259:
	s_mov_b64 s[0:1], 0
                                        ; implicit-def: $vgpr42_vgpr43
	s_cbranch_execz .LBB1394_261
; %bb.260:
	s_movk_i32 s2, 0xa8
	v_mul_u32_u24_e32 v1, 0xa8, v0
	v_mul_i32_i24_e32 v2, 0xffffff60, v0
	s_waitcnt lgkmcnt(0)
	; wave barrier
	s_waitcnt lgkmcnt(0)
	ds_write2_b64 v1, v[86:87], v[4:5] offset1:1
	ds_write2_b64 v1, v[6:7], v[88:89] offset0:2 offset1:3
	ds_write2_b64 v1, v[10:11], v[90:91] offset0:4 offset1:5
	ds_write2_b64 v1, v[14:15], v[92:93] offset0:6 offset1:7
	ds_write2_b64 v1, v[18:19], v[94:95] offset0:8 offset1:9
	ds_write2_b64 v1, v[22:23], v[96:97] offset0:10 offset1:11
	ds_write2_b64 v1, v[26:27], v[98:99] offset0:12 offset1:13
	ds_write2_b64 v1, v[30:31], v[100:101] offset0:14 offset1:15
	ds_write2_b64 v1, v[34:35], v[102:103] offset0:16 offset1:17
	ds_write2_b64 v1, v[38:39], v[104:105] offset0:18 offset1:19
	ds_write_b64 v1, v[106:107] offset:160
	v_mad_u32_u24 v6, v0, s2, v2
	s_waitcnt lgkmcnt(0)
	; wave barrier
	s_waitcnt lgkmcnt(0)
	ds_read2st64_b64 v[2:5], v6 offset1:1
	ds_read2st64_b64 v[10:13], v6 offset0:2 offset1:3
	ds_read2st64_b64 v[14:17], v6 offset0:4 offset1:5
	;; [unrolled: 1-line block ×9, first 2 shown]
	ds_read_b64 v[42:43], v6 offset:10240
	v_mov_b32_e32 v7, s5
	v_add_co_u32_e32 v6, vcc, s4, v8
	v_addc_co_u32_e32 v7, vcc, 0, v7, vcc
	s_movk_i32 s2, 0x1000
	s_waitcnt lgkmcnt(0)
	flat_store_dwordx2 v[6:7], v[2:3]
	flat_store_dwordx2 v[6:7], v[4:5] offset:512
	flat_store_dwordx2 v[6:7], v[10:11] offset:1024
	;; [unrolled: 1-line block ×7, first 2 shown]
	v_add_co_u32_e32 v2, vcc, s2, v6
	v_addc_co_u32_e32 v3, vcc, 0, v7, vcc
	flat_store_dwordx2 v[2:3], v[22:23]
	flat_store_dwordx2 v[2:3], v[24:25] offset:512
	flat_store_dwordx2 v[2:3], v[26:27] offset:1024
	;; [unrolled: 1-line block ×7, first 2 shown]
	v_add_co_u32_e32 v2, vcc, 0x2000, v6
	v_mov_b32_e32 v1, 0
	v_addc_co_u32_e32 v3, vcc, 0, v7, vcc
	s_or_b64 s[0:1], s[0:1], exec
	flat_store_dwordx2 v[2:3], v[38:39]
	flat_store_dwordx2 v[2:3], v[40:41] offset:512
	flat_store_dwordx2 v[2:3], v[44:45] offset:1024
	;; [unrolled: 1-line block ×3, first 2 shown]
.LBB1394_261:
	s_and_saveexec_b64 s[2:3], s[0:1]
	s_cbranch_execz .LBB1394_263
; %bb.262:
	v_lshlrev_b64 v[0:1], 3, v[0:1]
	v_mov_b32_e32 v2, s5
	v_add_co_u32_e32 v0, vcc, s4, v0
	v_addc_co_u32_e32 v1, vcc, v2, v1, vcc
	v_add_co_u32_e32 v0, vcc, 0x2000, v0
	v_addc_co_u32_e32 v1, vcc, 0, v1, vcc
	s_waitcnt lgkmcnt(0)
	flat_store_dwordx2 v[0:1], v[42:43] offset:2048
	s_endpgm
.LBB1394_263:
	s_endpgm
	.section	.rodata,"a",@progbits
	.p2align	6, 0x0
	.amdhsa_kernel _ZN7rocprim17ROCPRIM_400000_NS6detail17trampoline_kernelINS0_14default_configENS1_27scan_by_key_config_selectorIidEEZZNS1_16scan_by_key_implILNS1_25lookback_scan_determinismE0ELb1ES3_N6thrust23THRUST_200600_302600_NS6detail15normal_iteratorINS9_10device_ptrIiEEEENSB_INSC_IdEEEESG_dNS9_4plusIvEENS9_8equal_toIvEEdEE10hipError_tPvRmT2_T3_T4_T5_mT6_T7_P12ihipStream_tbENKUlT_T0_E_clISt17integral_constantIbLb0EES11_EEDaSW_SX_EUlSW_E_NS1_11comp_targetILNS1_3genE4ELNS1_11target_archE910ELNS1_3gpuE8ELNS1_3repE0EEENS1_30default_config_static_selectorELNS0_4arch9wavefront6targetE1EEEvT1_
		.amdhsa_group_segment_fixed_size 10752
		.amdhsa_private_segment_fixed_size 0
		.amdhsa_kernarg_size 136
		.amdhsa_user_sgpr_count 6
		.amdhsa_user_sgpr_private_segment_buffer 1
		.amdhsa_user_sgpr_dispatch_ptr 0
		.amdhsa_user_sgpr_queue_ptr 0
		.amdhsa_user_sgpr_kernarg_segment_ptr 1
		.amdhsa_user_sgpr_dispatch_id 0
		.amdhsa_user_sgpr_flat_scratch_init 0
		.amdhsa_user_sgpr_kernarg_preload_length 0
		.amdhsa_user_sgpr_kernarg_preload_offset 0
		.amdhsa_user_sgpr_private_segment_size 0
		.amdhsa_uses_dynamic_stack 0
		.amdhsa_system_sgpr_private_segment_wavefront_offset 0
		.amdhsa_system_sgpr_workgroup_id_x 1
		.amdhsa_system_sgpr_workgroup_id_y 0
		.amdhsa_system_sgpr_workgroup_id_z 0
		.amdhsa_system_sgpr_workgroup_info 0
		.amdhsa_system_vgpr_workitem_id 0
		.amdhsa_next_free_vgpr 130
		.amdhsa_next_free_sgpr 77
		.amdhsa_accum_offset 132
		.amdhsa_reserve_vcc 1
		.amdhsa_reserve_flat_scratch 0
		.amdhsa_float_round_mode_32 0
		.amdhsa_float_round_mode_16_64 0
		.amdhsa_float_denorm_mode_32 3
		.amdhsa_float_denorm_mode_16_64 3
		.amdhsa_dx10_clamp 1
		.amdhsa_ieee_mode 1
		.amdhsa_fp16_overflow 0
		.amdhsa_tg_split 0
		.amdhsa_exception_fp_ieee_invalid_op 0
		.amdhsa_exception_fp_denorm_src 0
		.amdhsa_exception_fp_ieee_div_zero 0
		.amdhsa_exception_fp_ieee_overflow 0
		.amdhsa_exception_fp_ieee_underflow 0
		.amdhsa_exception_fp_ieee_inexact 0
		.amdhsa_exception_int_div_zero 0
	.end_amdhsa_kernel
	.section	.text._ZN7rocprim17ROCPRIM_400000_NS6detail17trampoline_kernelINS0_14default_configENS1_27scan_by_key_config_selectorIidEEZZNS1_16scan_by_key_implILNS1_25lookback_scan_determinismE0ELb1ES3_N6thrust23THRUST_200600_302600_NS6detail15normal_iteratorINS9_10device_ptrIiEEEENSB_INSC_IdEEEESG_dNS9_4plusIvEENS9_8equal_toIvEEdEE10hipError_tPvRmT2_T3_T4_T5_mT6_T7_P12ihipStream_tbENKUlT_T0_E_clISt17integral_constantIbLb0EES11_EEDaSW_SX_EUlSW_E_NS1_11comp_targetILNS1_3genE4ELNS1_11target_archE910ELNS1_3gpuE8ELNS1_3repE0EEENS1_30default_config_static_selectorELNS0_4arch9wavefront6targetE1EEEvT1_,"axG",@progbits,_ZN7rocprim17ROCPRIM_400000_NS6detail17trampoline_kernelINS0_14default_configENS1_27scan_by_key_config_selectorIidEEZZNS1_16scan_by_key_implILNS1_25lookback_scan_determinismE0ELb1ES3_N6thrust23THRUST_200600_302600_NS6detail15normal_iteratorINS9_10device_ptrIiEEEENSB_INSC_IdEEEESG_dNS9_4plusIvEENS9_8equal_toIvEEdEE10hipError_tPvRmT2_T3_T4_T5_mT6_T7_P12ihipStream_tbENKUlT_T0_E_clISt17integral_constantIbLb0EES11_EEDaSW_SX_EUlSW_E_NS1_11comp_targetILNS1_3genE4ELNS1_11target_archE910ELNS1_3gpuE8ELNS1_3repE0EEENS1_30default_config_static_selectorELNS0_4arch9wavefront6targetE1EEEvT1_,comdat
.Lfunc_end1394:
	.size	_ZN7rocprim17ROCPRIM_400000_NS6detail17trampoline_kernelINS0_14default_configENS1_27scan_by_key_config_selectorIidEEZZNS1_16scan_by_key_implILNS1_25lookback_scan_determinismE0ELb1ES3_N6thrust23THRUST_200600_302600_NS6detail15normal_iteratorINS9_10device_ptrIiEEEENSB_INSC_IdEEEESG_dNS9_4plusIvEENS9_8equal_toIvEEdEE10hipError_tPvRmT2_T3_T4_T5_mT6_T7_P12ihipStream_tbENKUlT_T0_E_clISt17integral_constantIbLb0EES11_EEDaSW_SX_EUlSW_E_NS1_11comp_targetILNS1_3genE4ELNS1_11target_archE910ELNS1_3gpuE8ELNS1_3repE0EEENS1_30default_config_static_selectorELNS0_4arch9wavefront6targetE1EEEvT1_, .Lfunc_end1394-_ZN7rocprim17ROCPRIM_400000_NS6detail17trampoline_kernelINS0_14default_configENS1_27scan_by_key_config_selectorIidEEZZNS1_16scan_by_key_implILNS1_25lookback_scan_determinismE0ELb1ES3_N6thrust23THRUST_200600_302600_NS6detail15normal_iteratorINS9_10device_ptrIiEEEENSB_INSC_IdEEEESG_dNS9_4plusIvEENS9_8equal_toIvEEdEE10hipError_tPvRmT2_T3_T4_T5_mT6_T7_P12ihipStream_tbENKUlT_T0_E_clISt17integral_constantIbLb0EES11_EEDaSW_SX_EUlSW_E_NS1_11comp_targetILNS1_3genE4ELNS1_11target_archE910ELNS1_3gpuE8ELNS1_3repE0EEENS1_30default_config_static_selectorELNS0_4arch9wavefront6targetE1EEEvT1_
                                        ; -- End function
	.section	.AMDGPU.csdata,"",@progbits
; Kernel info:
; codeLenInByte = 16724
; NumSgprs: 81
; NumVgprs: 130
; NumAgprs: 0
; TotalNumVgprs: 130
; ScratchSize: 0
; MemoryBound: 0
; FloatMode: 240
; IeeeMode: 1
; LDSByteSize: 10752 bytes/workgroup (compile time only)
; SGPRBlocks: 10
; VGPRBlocks: 16
; NumSGPRsForWavesPerEU: 81
; NumVGPRsForWavesPerEU: 130
; AccumOffset: 132
; Occupancy: 2
; WaveLimiterHint : 1
; COMPUTE_PGM_RSRC2:SCRATCH_EN: 0
; COMPUTE_PGM_RSRC2:USER_SGPR: 6
; COMPUTE_PGM_RSRC2:TRAP_HANDLER: 0
; COMPUTE_PGM_RSRC2:TGID_X_EN: 1
; COMPUTE_PGM_RSRC2:TGID_Y_EN: 0
; COMPUTE_PGM_RSRC2:TGID_Z_EN: 0
; COMPUTE_PGM_RSRC2:TIDIG_COMP_CNT: 0
; COMPUTE_PGM_RSRC3_GFX90A:ACCUM_OFFSET: 32
; COMPUTE_PGM_RSRC3_GFX90A:TG_SPLIT: 0
	.section	.text._ZN7rocprim17ROCPRIM_400000_NS6detail17trampoline_kernelINS0_14default_configENS1_27scan_by_key_config_selectorIidEEZZNS1_16scan_by_key_implILNS1_25lookback_scan_determinismE0ELb1ES3_N6thrust23THRUST_200600_302600_NS6detail15normal_iteratorINS9_10device_ptrIiEEEENSB_INSC_IdEEEESG_dNS9_4plusIvEENS9_8equal_toIvEEdEE10hipError_tPvRmT2_T3_T4_T5_mT6_T7_P12ihipStream_tbENKUlT_T0_E_clISt17integral_constantIbLb0EES11_EEDaSW_SX_EUlSW_E_NS1_11comp_targetILNS1_3genE3ELNS1_11target_archE908ELNS1_3gpuE7ELNS1_3repE0EEENS1_30default_config_static_selectorELNS0_4arch9wavefront6targetE1EEEvT1_,"axG",@progbits,_ZN7rocprim17ROCPRIM_400000_NS6detail17trampoline_kernelINS0_14default_configENS1_27scan_by_key_config_selectorIidEEZZNS1_16scan_by_key_implILNS1_25lookback_scan_determinismE0ELb1ES3_N6thrust23THRUST_200600_302600_NS6detail15normal_iteratorINS9_10device_ptrIiEEEENSB_INSC_IdEEEESG_dNS9_4plusIvEENS9_8equal_toIvEEdEE10hipError_tPvRmT2_T3_T4_T5_mT6_T7_P12ihipStream_tbENKUlT_T0_E_clISt17integral_constantIbLb0EES11_EEDaSW_SX_EUlSW_E_NS1_11comp_targetILNS1_3genE3ELNS1_11target_archE908ELNS1_3gpuE7ELNS1_3repE0EEENS1_30default_config_static_selectorELNS0_4arch9wavefront6targetE1EEEvT1_,comdat
	.protected	_ZN7rocprim17ROCPRIM_400000_NS6detail17trampoline_kernelINS0_14default_configENS1_27scan_by_key_config_selectorIidEEZZNS1_16scan_by_key_implILNS1_25lookback_scan_determinismE0ELb1ES3_N6thrust23THRUST_200600_302600_NS6detail15normal_iteratorINS9_10device_ptrIiEEEENSB_INSC_IdEEEESG_dNS9_4plusIvEENS9_8equal_toIvEEdEE10hipError_tPvRmT2_T3_T4_T5_mT6_T7_P12ihipStream_tbENKUlT_T0_E_clISt17integral_constantIbLb0EES11_EEDaSW_SX_EUlSW_E_NS1_11comp_targetILNS1_3genE3ELNS1_11target_archE908ELNS1_3gpuE7ELNS1_3repE0EEENS1_30default_config_static_selectorELNS0_4arch9wavefront6targetE1EEEvT1_ ; -- Begin function _ZN7rocprim17ROCPRIM_400000_NS6detail17trampoline_kernelINS0_14default_configENS1_27scan_by_key_config_selectorIidEEZZNS1_16scan_by_key_implILNS1_25lookback_scan_determinismE0ELb1ES3_N6thrust23THRUST_200600_302600_NS6detail15normal_iteratorINS9_10device_ptrIiEEEENSB_INSC_IdEEEESG_dNS9_4plusIvEENS9_8equal_toIvEEdEE10hipError_tPvRmT2_T3_T4_T5_mT6_T7_P12ihipStream_tbENKUlT_T0_E_clISt17integral_constantIbLb0EES11_EEDaSW_SX_EUlSW_E_NS1_11comp_targetILNS1_3genE3ELNS1_11target_archE908ELNS1_3gpuE7ELNS1_3repE0EEENS1_30default_config_static_selectorELNS0_4arch9wavefront6targetE1EEEvT1_
	.globl	_ZN7rocprim17ROCPRIM_400000_NS6detail17trampoline_kernelINS0_14default_configENS1_27scan_by_key_config_selectorIidEEZZNS1_16scan_by_key_implILNS1_25lookback_scan_determinismE0ELb1ES3_N6thrust23THRUST_200600_302600_NS6detail15normal_iteratorINS9_10device_ptrIiEEEENSB_INSC_IdEEEESG_dNS9_4plusIvEENS9_8equal_toIvEEdEE10hipError_tPvRmT2_T3_T4_T5_mT6_T7_P12ihipStream_tbENKUlT_T0_E_clISt17integral_constantIbLb0EES11_EEDaSW_SX_EUlSW_E_NS1_11comp_targetILNS1_3genE3ELNS1_11target_archE908ELNS1_3gpuE7ELNS1_3repE0EEENS1_30default_config_static_selectorELNS0_4arch9wavefront6targetE1EEEvT1_
	.p2align	8
	.type	_ZN7rocprim17ROCPRIM_400000_NS6detail17trampoline_kernelINS0_14default_configENS1_27scan_by_key_config_selectorIidEEZZNS1_16scan_by_key_implILNS1_25lookback_scan_determinismE0ELb1ES3_N6thrust23THRUST_200600_302600_NS6detail15normal_iteratorINS9_10device_ptrIiEEEENSB_INSC_IdEEEESG_dNS9_4plusIvEENS9_8equal_toIvEEdEE10hipError_tPvRmT2_T3_T4_T5_mT6_T7_P12ihipStream_tbENKUlT_T0_E_clISt17integral_constantIbLb0EES11_EEDaSW_SX_EUlSW_E_NS1_11comp_targetILNS1_3genE3ELNS1_11target_archE908ELNS1_3gpuE7ELNS1_3repE0EEENS1_30default_config_static_selectorELNS0_4arch9wavefront6targetE1EEEvT1_,@function
_ZN7rocprim17ROCPRIM_400000_NS6detail17trampoline_kernelINS0_14default_configENS1_27scan_by_key_config_selectorIidEEZZNS1_16scan_by_key_implILNS1_25lookback_scan_determinismE0ELb1ES3_N6thrust23THRUST_200600_302600_NS6detail15normal_iteratorINS9_10device_ptrIiEEEENSB_INSC_IdEEEESG_dNS9_4plusIvEENS9_8equal_toIvEEdEE10hipError_tPvRmT2_T3_T4_T5_mT6_T7_P12ihipStream_tbENKUlT_T0_E_clISt17integral_constantIbLb0EES11_EEDaSW_SX_EUlSW_E_NS1_11comp_targetILNS1_3genE3ELNS1_11target_archE908ELNS1_3gpuE7ELNS1_3repE0EEENS1_30default_config_static_selectorELNS0_4arch9wavefront6targetE1EEEvT1_: ; @_ZN7rocprim17ROCPRIM_400000_NS6detail17trampoline_kernelINS0_14default_configENS1_27scan_by_key_config_selectorIidEEZZNS1_16scan_by_key_implILNS1_25lookback_scan_determinismE0ELb1ES3_N6thrust23THRUST_200600_302600_NS6detail15normal_iteratorINS9_10device_ptrIiEEEENSB_INSC_IdEEEESG_dNS9_4plusIvEENS9_8equal_toIvEEdEE10hipError_tPvRmT2_T3_T4_T5_mT6_T7_P12ihipStream_tbENKUlT_T0_E_clISt17integral_constantIbLb0EES11_EEDaSW_SX_EUlSW_E_NS1_11comp_targetILNS1_3genE3ELNS1_11target_archE908ELNS1_3gpuE7ELNS1_3repE0EEENS1_30default_config_static_selectorELNS0_4arch9wavefront6targetE1EEEvT1_
; %bb.0:
	.section	.rodata,"a",@progbits
	.p2align	6, 0x0
	.amdhsa_kernel _ZN7rocprim17ROCPRIM_400000_NS6detail17trampoline_kernelINS0_14default_configENS1_27scan_by_key_config_selectorIidEEZZNS1_16scan_by_key_implILNS1_25lookback_scan_determinismE0ELb1ES3_N6thrust23THRUST_200600_302600_NS6detail15normal_iteratorINS9_10device_ptrIiEEEENSB_INSC_IdEEEESG_dNS9_4plusIvEENS9_8equal_toIvEEdEE10hipError_tPvRmT2_T3_T4_T5_mT6_T7_P12ihipStream_tbENKUlT_T0_E_clISt17integral_constantIbLb0EES11_EEDaSW_SX_EUlSW_E_NS1_11comp_targetILNS1_3genE3ELNS1_11target_archE908ELNS1_3gpuE7ELNS1_3repE0EEENS1_30default_config_static_selectorELNS0_4arch9wavefront6targetE1EEEvT1_
		.amdhsa_group_segment_fixed_size 0
		.amdhsa_private_segment_fixed_size 0
		.amdhsa_kernarg_size 136
		.amdhsa_user_sgpr_count 6
		.amdhsa_user_sgpr_private_segment_buffer 1
		.amdhsa_user_sgpr_dispatch_ptr 0
		.amdhsa_user_sgpr_queue_ptr 0
		.amdhsa_user_sgpr_kernarg_segment_ptr 1
		.amdhsa_user_sgpr_dispatch_id 0
		.amdhsa_user_sgpr_flat_scratch_init 0
		.amdhsa_user_sgpr_kernarg_preload_length 0
		.amdhsa_user_sgpr_kernarg_preload_offset 0
		.amdhsa_user_sgpr_private_segment_size 0
		.amdhsa_uses_dynamic_stack 0
		.amdhsa_system_sgpr_private_segment_wavefront_offset 0
		.amdhsa_system_sgpr_workgroup_id_x 1
		.amdhsa_system_sgpr_workgroup_id_y 0
		.amdhsa_system_sgpr_workgroup_id_z 0
		.amdhsa_system_sgpr_workgroup_info 0
		.amdhsa_system_vgpr_workitem_id 0
		.amdhsa_next_free_vgpr 1
		.amdhsa_next_free_sgpr 0
		.amdhsa_accum_offset 4
		.amdhsa_reserve_vcc 0
		.amdhsa_reserve_flat_scratch 0
		.amdhsa_float_round_mode_32 0
		.amdhsa_float_round_mode_16_64 0
		.amdhsa_float_denorm_mode_32 3
		.amdhsa_float_denorm_mode_16_64 3
		.amdhsa_dx10_clamp 1
		.amdhsa_ieee_mode 1
		.amdhsa_fp16_overflow 0
		.amdhsa_tg_split 0
		.amdhsa_exception_fp_ieee_invalid_op 0
		.amdhsa_exception_fp_denorm_src 0
		.amdhsa_exception_fp_ieee_div_zero 0
		.amdhsa_exception_fp_ieee_overflow 0
		.amdhsa_exception_fp_ieee_underflow 0
		.amdhsa_exception_fp_ieee_inexact 0
		.amdhsa_exception_int_div_zero 0
	.end_amdhsa_kernel
	.section	.text._ZN7rocprim17ROCPRIM_400000_NS6detail17trampoline_kernelINS0_14default_configENS1_27scan_by_key_config_selectorIidEEZZNS1_16scan_by_key_implILNS1_25lookback_scan_determinismE0ELb1ES3_N6thrust23THRUST_200600_302600_NS6detail15normal_iteratorINS9_10device_ptrIiEEEENSB_INSC_IdEEEESG_dNS9_4plusIvEENS9_8equal_toIvEEdEE10hipError_tPvRmT2_T3_T4_T5_mT6_T7_P12ihipStream_tbENKUlT_T0_E_clISt17integral_constantIbLb0EES11_EEDaSW_SX_EUlSW_E_NS1_11comp_targetILNS1_3genE3ELNS1_11target_archE908ELNS1_3gpuE7ELNS1_3repE0EEENS1_30default_config_static_selectorELNS0_4arch9wavefront6targetE1EEEvT1_,"axG",@progbits,_ZN7rocprim17ROCPRIM_400000_NS6detail17trampoline_kernelINS0_14default_configENS1_27scan_by_key_config_selectorIidEEZZNS1_16scan_by_key_implILNS1_25lookback_scan_determinismE0ELb1ES3_N6thrust23THRUST_200600_302600_NS6detail15normal_iteratorINS9_10device_ptrIiEEEENSB_INSC_IdEEEESG_dNS9_4plusIvEENS9_8equal_toIvEEdEE10hipError_tPvRmT2_T3_T4_T5_mT6_T7_P12ihipStream_tbENKUlT_T0_E_clISt17integral_constantIbLb0EES11_EEDaSW_SX_EUlSW_E_NS1_11comp_targetILNS1_3genE3ELNS1_11target_archE908ELNS1_3gpuE7ELNS1_3repE0EEENS1_30default_config_static_selectorELNS0_4arch9wavefront6targetE1EEEvT1_,comdat
.Lfunc_end1395:
	.size	_ZN7rocprim17ROCPRIM_400000_NS6detail17trampoline_kernelINS0_14default_configENS1_27scan_by_key_config_selectorIidEEZZNS1_16scan_by_key_implILNS1_25lookback_scan_determinismE0ELb1ES3_N6thrust23THRUST_200600_302600_NS6detail15normal_iteratorINS9_10device_ptrIiEEEENSB_INSC_IdEEEESG_dNS9_4plusIvEENS9_8equal_toIvEEdEE10hipError_tPvRmT2_T3_T4_T5_mT6_T7_P12ihipStream_tbENKUlT_T0_E_clISt17integral_constantIbLb0EES11_EEDaSW_SX_EUlSW_E_NS1_11comp_targetILNS1_3genE3ELNS1_11target_archE908ELNS1_3gpuE7ELNS1_3repE0EEENS1_30default_config_static_selectorELNS0_4arch9wavefront6targetE1EEEvT1_, .Lfunc_end1395-_ZN7rocprim17ROCPRIM_400000_NS6detail17trampoline_kernelINS0_14default_configENS1_27scan_by_key_config_selectorIidEEZZNS1_16scan_by_key_implILNS1_25lookback_scan_determinismE0ELb1ES3_N6thrust23THRUST_200600_302600_NS6detail15normal_iteratorINS9_10device_ptrIiEEEENSB_INSC_IdEEEESG_dNS9_4plusIvEENS9_8equal_toIvEEdEE10hipError_tPvRmT2_T3_T4_T5_mT6_T7_P12ihipStream_tbENKUlT_T0_E_clISt17integral_constantIbLb0EES11_EEDaSW_SX_EUlSW_E_NS1_11comp_targetILNS1_3genE3ELNS1_11target_archE908ELNS1_3gpuE7ELNS1_3repE0EEENS1_30default_config_static_selectorELNS0_4arch9wavefront6targetE1EEEvT1_
                                        ; -- End function
	.section	.AMDGPU.csdata,"",@progbits
; Kernel info:
; codeLenInByte = 0
; NumSgprs: 4
; NumVgprs: 0
; NumAgprs: 0
; TotalNumVgprs: 0
; ScratchSize: 0
; MemoryBound: 0
; FloatMode: 240
; IeeeMode: 1
; LDSByteSize: 0 bytes/workgroup (compile time only)
; SGPRBlocks: 0
; VGPRBlocks: 0
; NumSGPRsForWavesPerEU: 4
; NumVGPRsForWavesPerEU: 1
; AccumOffset: 4
; Occupancy: 8
; WaveLimiterHint : 0
; COMPUTE_PGM_RSRC2:SCRATCH_EN: 0
; COMPUTE_PGM_RSRC2:USER_SGPR: 6
; COMPUTE_PGM_RSRC2:TRAP_HANDLER: 0
; COMPUTE_PGM_RSRC2:TGID_X_EN: 1
; COMPUTE_PGM_RSRC2:TGID_Y_EN: 0
; COMPUTE_PGM_RSRC2:TGID_Z_EN: 0
; COMPUTE_PGM_RSRC2:TIDIG_COMP_CNT: 0
; COMPUTE_PGM_RSRC3_GFX90A:ACCUM_OFFSET: 0
; COMPUTE_PGM_RSRC3_GFX90A:TG_SPLIT: 0
	.section	.text._ZN7rocprim17ROCPRIM_400000_NS6detail17trampoline_kernelINS0_14default_configENS1_27scan_by_key_config_selectorIidEEZZNS1_16scan_by_key_implILNS1_25lookback_scan_determinismE0ELb1ES3_N6thrust23THRUST_200600_302600_NS6detail15normal_iteratorINS9_10device_ptrIiEEEENSB_INSC_IdEEEESG_dNS9_4plusIvEENS9_8equal_toIvEEdEE10hipError_tPvRmT2_T3_T4_T5_mT6_T7_P12ihipStream_tbENKUlT_T0_E_clISt17integral_constantIbLb0EES11_EEDaSW_SX_EUlSW_E_NS1_11comp_targetILNS1_3genE2ELNS1_11target_archE906ELNS1_3gpuE6ELNS1_3repE0EEENS1_30default_config_static_selectorELNS0_4arch9wavefront6targetE1EEEvT1_,"axG",@progbits,_ZN7rocprim17ROCPRIM_400000_NS6detail17trampoline_kernelINS0_14default_configENS1_27scan_by_key_config_selectorIidEEZZNS1_16scan_by_key_implILNS1_25lookback_scan_determinismE0ELb1ES3_N6thrust23THRUST_200600_302600_NS6detail15normal_iteratorINS9_10device_ptrIiEEEENSB_INSC_IdEEEESG_dNS9_4plusIvEENS9_8equal_toIvEEdEE10hipError_tPvRmT2_T3_T4_T5_mT6_T7_P12ihipStream_tbENKUlT_T0_E_clISt17integral_constantIbLb0EES11_EEDaSW_SX_EUlSW_E_NS1_11comp_targetILNS1_3genE2ELNS1_11target_archE906ELNS1_3gpuE6ELNS1_3repE0EEENS1_30default_config_static_selectorELNS0_4arch9wavefront6targetE1EEEvT1_,comdat
	.protected	_ZN7rocprim17ROCPRIM_400000_NS6detail17trampoline_kernelINS0_14default_configENS1_27scan_by_key_config_selectorIidEEZZNS1_16scan_by_key_implILNS1_25lookback_scan_determinismE0ELb1ES3_N6thrust23THRUST_200600_302600_NS6detail15normal_iteratorINS9_10device_ptrIiEEEENSB_INSC_IdEEEESG_dNS9_4plusIvEENS9_8equal_toIvEEdEE10hipError_tPvRmT2_T3_T4_T5_mT6_T7_P12ihipStream_tbENKUlT_T0_E_clISt17integral_constantIbLb0EES11_EEDaSW_SX_EUlSW_E_NS1_11comp_targetILNS1_3genE2ELNS1_11target_archE906ELNS1_3gpuE6ELNS1_3repE0EEENS1_30default_config_static_selectorELNS0_4arch9wavefront6targetE1EEEvT1_ ; -- Begin function _ZN7rocprim17ROCPRIM_400000_NS6detail17trampoline_kernelINS0_14default_configENS1_27scan_by_key_config_selectorIidEEZZNS1_16scan_by_key_implILNS1_25lookback_scan_determinismE0ELb1ES3_N6thrust23THRUST_200600_302600_NS6detail15normal_iteratorINS9_10device_ptrIiEEEENSB_INSC_IdEEEESG_dNS9_4plusIvEENS9_8equal_toIvEEdEE10hipError_tPvRmT2_T3_T4_T5_mT6_T7_P12ihipStream_tbENKUlT_T0_E_clISt17integral_constantIbLb0EES11_EEDaSW_SX_EUlSW_E_NS1_11comp_targetILNS1_3genE2ELNS1_11target_archE906ELNS1_3gpuE6ELNS1_3repE0EEENS1_30default_config_static_selectorELNS0_4arch9wavefront6targetE1EEEvT1_
	.globl	_ZN7rocprim17ROCPRIM_400000_NS6detail17trampoline_kernelINS0_14default_configENS1_27scan_by_key_config_selectorIidEEZZNS1_16scan_by_key_implILNS1_25lookback_scan_determinismE0ELb1ES3_N6thrust23THRUST_200600_302600_NS6detail15normal_iteratorINS9_10device_ptrIiEEEENSB_INSC_IdEEEESG_dNS9_4plusIvEENS9_8equal_toIvEEdEE10hipError_tPvRmT2_T3_T4_T5_mT6_T7_P12ihipStream_tbENKUlT_T0_E_clISt17integral_constantIbLb0EES11_EEDaSW_SX_EUlSW_E_NS1_11comp_targetILNS1_3genE2ELNS1_11target_archE906ELNS1_3gpuE6ELNS1_3repE0EEENS1_30default_config_static_selectorELNS0_4arch9wavefront6targetE1EEEvT1_
	.p2align	8
	.type	_ZN7rocprim17ROCPRIM_400000_NS6detail17trampoline_kernelINS0_14default_configENS1_27scan_by_key_config_selectorIidEEZZNS1_16scan_by_key_implILNS1_25lookback_scan_determinismE0ELb1ES3_N6thrust23THRUST_200600_302600_NS6detail15normal_iteratorINS9_10device_ptrIiEEEENSB_INSC_IdEEEESG_dNS9_4plusIvEENS9_8equal_toIvEEdEE10hipError_tPvRmT2_T3_T4_T5_mT6_T7_P12ihipStream_tbENKUlT_T0_E_clISt17integral_constantIbLb0EES11_EEDaSW_SX_EUlSW_E_NS1_11comp_targetILNS1_3genE2ELNS1_11target_archE906ELNS1_3gpuE6ELNS1_3repE0EEENS1_30default_config_static_selectorELNS0_4arch9wavefront6targetE1EEEvT1_,@function
_ZN7rocprim17ROCPRIM_400000_NS6detail17trampoline_kernelINS0_14default_configENS1_27scan_by_key_config_selectorIidEEZZNS1_16scan_by_key_implILNS1_25lookback_scan_determinismE0ELb1ES3_N6thrust23THRUST_200600_302600_NS6detail15normal_iteratorINS9_10device_ptrIiEEEENSB_INSC_IdEEEESG_dNS9_4plusIvEENS9_8equal_toIvEEdEE10hipError_tPvRmT2_T3_T4_T5_mT6_T7_P12ihipStream_tbENKUlT_T0_E_clISt17integral_constantIbLb0EES11_EEDaSW_SX_EUlSW_E_NS1_11comp_targetILNS1_3genE2ELNS1_11target_archE906ELNS1_3gpuE6ELNS1_3repE0EEENS1_30default_config_static_selectorELNS0_4arch9wavefront6targetE1EEEvT1_: ; @_ZN7rocprim17ROCPRIM_400000_NS6detail17trampoline_kernelINS0_14default_configENS1_27scan_by_key_config_selectorIidEEZZNS1_16scan_by_key_implILNS1_25lookback_scan_determinismE0ELb1ES3_N6thrust23THRUST_200600_302600_NS6detail15normal_iteratorINS9_10device_ptrIiEEEENSB_INSC_IdEEEESG_dNS9_4plusIvEENS9_8equal_toIvEEdEE10hipError_tPvRmT2_T3_T4_T5_mT6_T7_P12ihipStream_tbENKUlT_T0_E_clISt17integral_constantIbLb0EES11_EEDaSW_SX_EUlSW_E_NS1_11comp_targetILNS1_3genE2ELNS1_11target_archE906ELNS1_3gpuE6ELNS1_3repE0EEENS1_30default_config_static_selectorELNS0_4arch9wavefront6targetE1EEEvT1_
; %bb.0:
	.section	.rodata,"a",@progbits
	.p2align	6, 0x0
	.amdhsa_kernel _ZN7rocprim17ROCPRIM_400000_NS6detail17trampoline_kernelINS0_14default_configENS1_27scan_by_key_config_selectorIidEEZZNS1_16scan_by_key_implILNS1_25lookback_scan_determinismE0ELb1ES3_N6thrust23THRUST_200600_302600_NS6detail15normal_iteratorINS9_10device_ptrIiEEEENSB_INSC_IdEEEESG_dNS9_4plusIvEENS9_8equal_toIvEEdEE10hipError_tPvRmT2_T3_T4_T5_mT6_T7_P12ihipStream_tbENKUlT_T0_E_clISt17integral_constantIbLb0EES11_EEDaSW_SX_EUlSW_E_NS1_11comp_targetILNS1_3genE2ELNS1_11target_archE906ELNS1_3gpuE6ELNS1_3repE0EEENS1_30default_config_static_selectorELNS0_4arch9wavefront6targetE1EEEvT1_
		.amdhsa_group_segment_fixed_size 0
		.amdhsa_private_segment_fixed_size 0
		.amdhsa_kernarg_size 136
		.amdhsa_user_sgpr_count 6
		.amdhsa_user_sgpr_private_segment_buffer 1
		.amdhsa_user_sgpr_dispatch_ptr 0
		.amdhsa_user_sgpr_queue_ptr 0
		.amdhsa_user_sgpr_kernarg_segment_ptr 1
		.amdhsa_user_sgpr_dispatch_id 0
		.amdhsa_user_sgpr_flat_scratch_init 0
		.amdhsa_user_sgpr_kernarg_preload_length 0
		.amdhsa_user_sgpr_kernarg_preload_offset 0
		.amdhsa_user_sgpr_private_segment_size 0
		.amdhsa_uses_dynamic_stack 0
		.amdhsa_system_sgpr_private_segment_wavefront_offset 0
		.amdhsa_system_sgpr_workgroup_id_x 1
		.amdhsa_system_sgpr_workgroup_id_y 0
		.amdhsa_system_sgpr_workgroup_id_z 0
		.amdhsa_system_sgpr_workgroup_info 0
		.amdhsa_system_vgpr_workitem_id 0
		.amdhsa_next_free_vgpr 1
		.amdhsa_next_free_sgpr 0
		.amdhsa_accum_offset 4
		.amdhsa_reserve_vcc 0
		.amdhsa_reserve_flat_scratch 0
		.amdhsa_float_round_mode_32 0
		.amdhsa_float_round_mode_16_64 0
		.amdhsa_float_denorm_mode_32 3
		.amdhsa_float_denorm_mode_16_64 3
		.amdhsa_dx10_clamp 1
		.amdhsa_ieee_mode 1
		.amdhsa_fp16_overflow 0
		.amdhsa_tg_split 0
		.amdhsa_exception_fp_ieee_invalid_op 0
		.amdhsa_exception_fp_denorm_src 0
		.amdhsa_exception_fp_ieee_div_zero 0
		.amdhsa_exception_fp_ieee_overflow 0
		.amdhsa_exception_fp_ieee_underflow 0
		.amdhsa_exception_fp_ieee_inexact 0
		.amdhsa_exception_int_div_zero 0
	.end_amdhsa_kernel
	.section	.text._ZN7rocprim17ROCPRIM_400000_NS6detail17trampoline_kernelINS0_14default_configENS1_27scan_by_key_config_selectorIidEEZZNS1_16scan_by_key_implILNS1_25lookback_scan_determinismE0ELb1ES3_N6thrust23THRUST_200600_302600_NS6detail15normal_iteratorINS9_10device_ptrIiEEEENSB_INSC_IdEEEESG_dNS9_4plusIvEENS9_8equal_toIvEEdEE10hipError_tPvRmT2_T3_T4_T5_mT6_T7_P12ihipStream_tbENKUlT_T0_E_clISt17integral_constantIbLb0EES11_EEDaSW_SX_EUlSW_E_NS1_11comp_targetILNS1_3genE2ELNS1_11target_archE906ELNS1_3gpuE6ELNS1_3repE0EEENS1_30default_config_static_selectorELNS0_4arch9wavefront6targetE1EEEvT1_,"axG",@progbits,_ZN7rocprim17ROCPRIM_400000_NS6detail17trampoline_kernelINS0_14default_configENS1_27scan_by_key_config_selectorIidEEZZNS1_16scan_by_key_implILNS1_25lookback_scan_determinismE0ELb1ES3_N6thrust23THRUST_200600_302600_NS6detail15normal_iteratorINS9_10device_ptrIiEEEENSB_INSC_IdEEEESG_dNS9_4plusIvEENS9_8equal_toIvEEdEE10hipError_tPvRmT2_T3_T4_T5_mT6_T7_P12ihipStream_tbENKUlT_T0_E_clISt17integral_constantIbLb0EES11_EEDaSW_SX_EUlSW_E_NS1_11comp_targetILNS1_3genE2ELNS1_11target_archE906ELNS1_3gpuE6ELNS1_3repE0EEENS1_30default_config_static_selectorELNS0_4arch9wavefront6targetE1EEEvT1_,comdat
.Lfunc_end1396:
	.size	_ZN7rocprim17ROCPRIM_400000_NS6detail17trampoline_kernelINS0_14default_configENS1_27scan_by_key_config_selectorIidEEZZNS1_16scan_by_key_implILNS1_25lookback_scan_determinismE0ELb1ES3_N6thrust23THRUST_200600_302600_NS6detail15normal_iteratorINS9_10device_ptrIiEEEENSB_INSC_IdEEEESG_dNS9_4plusIvEENS9_8equal_toIvEEdEE10hipError_tPvRmT2_T3_T4_T5_mT6_T7_P12ihipStream_tbENKUlT_T0_E_clISt17integral_constantIbLb0EES11_EEDaSW_SX_EUlSW_E_NS1_11comp_targetILNS1_3genE2ELNS1_11target_archE906ELNS1_3gpuE6ELNS1_3repE0EEENS1_30default_config_static_selectorELNS0_4arch9wavefront6targetE1EEEvT1_, .Lfunc_end1396-_ZN7rocprim17ROCPRIM_400000_NS6detail17trampoline_kernelINS0_14default_configENS1_27scan_by_key_config_selectorIidEEZZNS1_16scan_by_key_implILNS1_25lookback_scan_determinismE0ELb1ES3_N6thrust23THRUST_200600_302600_NS6detail15normal_iteratorINS9_10device_ptrIiEEEENSB_INSC_IdEEEESG_dNS9_4plusIvEENS9_8equal_toIvEEdEE10hipError_tPvRmT2_T3_T4_T5_mT6_T7_P12ihipStream_tbENKUlT_T0_E_clISt17integral_constantIbLb0EES11_EEDaSW_SX_EUlSW_E_NS1_11comp_targetILNS1_3genE2ELNS1_11target_archE906ELNS1_3gpuE6ELNS1_3repE0EEENS1_30default_config_static_selectorELNS0_4arch9wavefront6targetE1EEEvT1_
                                        ; -- End function
	.section	.AMDGPU.csdata,"",@progbits
; Kernel info:
; codeLenInByte = 0
; NumSgprs: 4
; NumVgprs: 0
; NumAgprs: 0
; TotalNumVgprs: 0
; ScratchSize: 0
; MemoryBound: 0
; FloatMode: 240
; IeeeMode: 1
; LDSByteSize: 0 bytes/workgroup (compile time only)
; SGPRBlocks: 0
; VGPRBlocks: 0
; NumSGPRsForWavesPerEU: 4
; NumVGPRsForWavesPerEU: 1
; AccumOffset: 4
; Occupancy: 8
; WaveLimiterHint : 0
; COMPUTE_PGM_RSRC2:SCRATCH_EN: 0
; COMPUTE_PGM_RSRC2:USER_SGPR: 6
; COMPUTE_PGM_RSRC2:TRAP_HANDLER: 0
; COMPUTE_PGM_RSRC2:TGID_X_EN: 1
; COMPUTE_PGM_RSRC2:TGID_Y_EN: 0
; COMPUTE_PGM_RSRC2:TGID_Z_EN: 0
; COMPUTE_PGM_RSRC2:TIDIG_COMP_CNT: 0
; COMPUTE_PGM_RSRC3_GFX90A:ACCUM_OFFSET: 0
; COMPUTE_PGM_RSRC3_GFX90A:TG_SPLIT: 0
	.section	.text._ZN7rocprim17ROCPRIM_400000_NS6detail17trampoline_kernelINS0_14default_configENS1_27scan_by_key_config_selectorIidEEZZNS1_16scan_by_key_implILNS1_25lookback_scan_determinismE0ELb1ES3_N6thrust23THRUST_200600_302600_NS6detail15normal_iteratorINS9_10device_ptrIiEEEENSB_INSC_IdEEEESG_dNS9_4plusIvEENS9_8equal_toIvEEdEE10hipError_tPvRmT2_T3_T4_T5_mT6_T7_P12ihipStream_tbENKUlT_T0_E_clISt17integral_constantIbLb0EES11_EEDaSW_SX_EUlSW_E_NS1_11comp_targetILNS1_3genE10ELNS1_11target_archE1200ELNS1_3gpuE4ELNS1_3repE0EEENS1_30default_config_static_selectorELNS0_4arch9wavefront6targetE1EEEvT1_,"axG",@progbits,_ZN7rocprim17ROCPRIM_400000_NS6detail17trampoline_kernelINS0_14default_configENS1_27scan_by_key_config_selectorIidEEZZNS1_16scan_by_key_implILNS1_25lookback_scan_determinismE0ELb1ES3_N6thrust23THRUST_200600_302600_NS6detail15normal_iteratorINS9_10device_ptrIiEEEENSB_INSC_IdEEEESG_dNS9_4plusIvEENS9_8equal_toIvEEdEE10hipError_tPvRmT2_T3_T4_T5_mT6_T7_P12ihipStream_tbENKUlT_T0_E_clISt17integral_constantIbLb0EES11_EEDaSW_SX_EUlSW_E_NS1_11comp_targetILNS1_3genE10ELNS1_11target_archE1200ELNS1_3gpuE4ELNS1_3repE0EEENS1_30default_config_static_selectorELNS0_4arch9wavefront6targetE1EEEvT1_,comdat
	.protected	_ZN7rocprim17ROCPRIM_400000_NS6detail17trampoline_kernelINS0_14default_configENS1_27scan_by_key_config_selectorIidEEZZNS1_16scan_by_key_implILNS1_25lookback_scan_determinismE0ELb1ES3_N6thrust23THRUST_200600_302600_NS6detail15normal_iteratorINS9_10device_ptrIiEEEENSB_INSC_IdEEEESG_dNS9_4plusIvEENS9_8equal_toIvEEdEE10hipError_tPvRmT2_T3_T4_T5_mT6_T7_P12ihipStream_tbENKUlT_T0_E_clISt17integral_constantIbLb0EES11_EEDaSW_SX_EUlSW_E_NS1_11comp_targetILNS1_3genE10ELNS1_11target_archE1200ELNS1_3gpuE4ELNS1_3repE0EEENS1_30default_config_static_selectorELNS0_4arch9wavefront6targetE1EEEvT1_ ; -- Begin function _ZN7rocprim17ROCPRIM_400000_NS6detail17trampoline_kernelINS0_14default_configENS1_27scan_by_key_config_selectorIidEEZZNS1_16scan_by_key_implILNS1_25lookback_scan_determinismE0ELb1ES3_N6thrust23THRUST_200600_302600_NS6detail15normal_iteratorINS9_10device_ptrIiEEEENSB_INSC_IdEEEESG_dNS9_4plusIvEENS9_8equal_toIvEEdEE10hipError_tPvRmT2_T3_T4_T5_mT6_T7_P12ihipStream_tbENKUlT_T0_E_clISt17integral_constantIbLb0EES11_EEDaSW_SX_EUlSW_E_NS1_11comp_targetILNS1_3genE10ELNS1_11target_archE1200ELNS1_3gpuE4ELNS1_3repE0EEENS1_30default_config_static_selectorELNS0_4arch9wavefront6targetE1EEEvT1_
	.globl	_ZN7rocprim17ROCPRIM_400000_NS6detail17trampoline_kernelINS0_14default_configENS1_27scan_by_key_config_selectorIidEEZZNS1_16scan_by_key_implILNS1_25lookback_scan_determinismE0ELb1ES3_N6thrust23THRUST_200600_302600_NS6detail15normal_iteratorINS9_10device_ptrIiEEEENSB_INSC_IdEEEESG_dNS9_4plusIvEENS9_8equal_toIvEEdEE10hipError_tPvRmT2_T3_T4_T5_mT6_T7_P12ihipStream_tbENKUlT_T0_E_clISt17integral_constantIbLb0EES11_EEDaSW_SX_EUlSW_E_NS1_11comp_targetILNS1_3genE10ELNS1_11target_archE1200ELNS1_3gpuE4ELNS1_3repE0EEENS1_30default_config_static_selectorELNS0_4arch9wavefront6targetE1EEEvT1_
	.p2align	8
	.type	_ZN7rocprim17ROCPRIM_400000_NS6detail17trampoline_kernelINS0_14default_configENS1_27scan_by_key_config_selectorIidEEZZNS1_16scan_by_key_implILNS1_25lookback_scan_determinismE0ELb1ES3_N6thrust23THRUST_200600_302600_NS6detail15normal_iteratorINS9_10device_ptrIiEEEENSB_INSC_IdEEEESG_dNS9_4plusIvEENS9_8equal_toIvEEdEE10hipError_tPvRmT2_T3_T4_T5_mT6_T7_P12ihipStream_tbENKUlT_T0_E_clISt17integral_constantIbLb0EES11_EEDaSW_SX_EUlSW_E_NS1_11comp_targetILNS1_3genE10ELNS1_11target_archE1200ELNS1_3gpuE4ELNS1_3repE0EEENS1_30default_config_static_selectorELNS0_4arch9wavefront6targetE1EEEvT1_,@function
_ZN7rocprim17ROCPRIM_400000_NS6detail17trampoline_kernelINS0_14default_configENS1_27scan_by_key_config_selectorIidEEZZNS1_16scan_by_key_implILNS1_25lookback_scan_determinismE0ELb1ES3_N6thrust23THRUST_200600_302600_NS6detail15normal_iteratorINS9_10device_ptrIiEEEENSB_INSC_IdEEEESG_dNS9_4plusIvEENS9_8equal_toIvEEdEE10hipError_tPvRmT2_T3_T4_T5_mT6_T7_P12ihipStream_tbENKUlT_T0_E_clISt17integral_constantIbLb0EES11_EEDaSW_SX_EUlSW_E_NS1_11comp_targetILNS1_3genE10ELNS1_11target_archE1200ELNS1_3gpuE4ELNS1_3repE0EEENS1_30default_config_static_selectorELNS0_4arch9wavefront6targetE1EEEvT1_: ; @_ZN7rocprim17ROCPRIM_400000_NS6detail17trampoline_kernelINS0_14default_configENS1_27scan_by_key_config_selectorIidEEZZNS1_16scan_by_key_implILNS1_25lookback_scan_determinismE0ELb1ES3_N6thrust23THRUST_200600_302600_NS6detail15normal_iteratorINS9_10device_ptrIiEEEENSB_INSC_IdEEEESG_dNS9_4plusIvEENS9_8equal_toIvEEdEE10hipError_tPvRmT2_T3_T4_T5_mT6_T7_P12ihipStream_tbENKUlT_T0_E_clISt17integral_constantIbLb0EES11_EEDaSW_SX_EUlSW_E_NS1_11comp_targetILNS1_3genE10ELNS1_11target_archE1200ELNS1_3gpuE4ELNS1_3repE0EEENS1_30default_config_static_selectorELNS0_4arch9wavefront6targetE1EEEvT1_
; %bb.0:
	.section	.rodata,"a",@progbits
	.p2align	6, 0x0
	.amdhsa_kernel _ZN7rocprim17ROCPRIM_400000_NS6detail17trampoline_kernelINS0_14default_configENS1_27scan_by_key_config_selectorIidEEZZNS1_16scan_by_key_implILNS1_25lookback_scan_determinismE0ELb1ES3_N6thrust23THRUST_200600_302600_NS6detail15normal_iteratorINS9_10device_ptrIiEEEENSB_INSC_IdEEEESG_dNS9_4plusIvEENS9_8equal_toIvEEdEE10hipError_tPvRmT2_T3_T4_T5_mT6_T7_P12ihipStream_tbENKUlT_T0_E_clISt17integral_constantIbLb0EES11_EEDaSW_SX_EUlSW_E_NS1_11comp_targetILNS1_3genE10ELNS1_11target_archE1200ELNS1_3gpuE4ELNS1_3repE0EEENS1_30default_config_static_selectorELNS0_4arch9wavefront6targetE1EEEvT1_
		.amdhsa_group_segment_fixed_size 0
		.amdhsa_private_segment_fixed_size 0
		.amdhsa_kernarg_size 136
		.amdhsa_user_sgpr_count 6
		.amdhsa_user_sgpr_private_segment_buffer 1
		.amdhsa_user_sgpr_dispatch_ptr 0
		.amdhsa_user_sgpr_queue_ptr 0
		.amdhsa_user_sgpr_kernarg_segment_ptr 1
		.amdhsa_user_sgpr_dispatch_id 0
		.amdhsa_user_sgpr_flat_scratch_init 0
		.amdhsa_user_sgpr_kernarg_preload_length 0
		.amdhsa_user_sgpr_kernarg_preload_offset 0
		.amdhsa_user_sgpr_private_segment_size 0
		.amdhsa_uses_dynamic_stack 0
		.amdhsa_system_sgpr_private_segment_wavefront_offset 0
		.amdhsa_system_sgpr_workgroup_id_x 1
		.amdhsa_system_sgpr_workgroup_id_y 0
		.amdhsa_system_sgpr_workgroup_id_z 0
		.amdhsa_system_sgpr_workgroup_info 0
		.amdhsa_system_vgpr_workitem_id 0
		.amdhsa_next_free_vgpr 1
		.amdhsa_next_free_sgpr 0
		.amdhsa_accum_offset 4
		.amdhsa_reserve_vcc 0
		.amdhsa_reserve_flat_scratch 0
		.amdhsa_float_round_mode_32 0
		.amdhsa_float_round_mode_16_64 0
		.amdhsa_float_denorm_mode_32 3
		.amdhsa_float_denorm_mode_16_64 3
		.amdhsa_dx10_clamp 1
		.amdhsa_ieee_mode 1
		.amdhsa_fp16_overflow 0
		.amdhsa_tg_split 0
		.amdhsa_exception_fp_ieee_invalid_op 0
		.amdhsa_exception_fp_denorm_src 0
		.amdhsa_exception_fp_ieee_div_zero 0
		.amdhsa_exception_fp_ieee_overflow 0
		.amdhsa_exception_fp_ieee_underflow 0
		.amdhsa_exception_fp_ieee_inexact 0
		.amdhsa_exception_int_div_zero 0
	.end_amdhsa_kernel
	.section	.text._ZN7rocprim17ROCPRIM_400000_NS6detail17trampoline_kernelINS0_14default_configENS1_27scan_by_key_config_selectorIidEEZZNS1_16scan_by_key_implILNS1_25lookback_scan_determinismE0ELb1ES3_N6thrust23THRUST_200600_302600_NS6detail15normal_iteratorINS9_10device_ptrIiEEEENSB_INSC_IdEEEESG_dNS9_4plusIvEENS9_8equal_toIvEEdEE10hipError_tPvRmT2_T3_T4_T5_mT6_T7_P12ihipStream_tbENKUlT_T0_E_clISt17integral_constantIbLb0EES11_EEDaSW_SX_EUlSW_E_NS1_11comp_targetILNS1_3genE10ELNS1_11target_archE1200ELNS1_3gpuE4ELNS1_3repE0EEENS1_30default_config_static_selectorELNS0_4arch9wavefront6targetE1EEEvT1_,"axG",@progbits,_ZN7rocprim17ROCPRIM_400000_NS6detail17trampoline_kernelINS0_14default_configENS1_27scan_by_key_config_selectorIidEEZZNS1_16scan_by_key_implILNS1_25lookback_scan_determinismE0ELb1ES3_N6thrust23THRUST_200600_302600_NS6detail15normal_iteratorINS9_10device_ptrIiEEEENSB_INSC_IdEEEESG_dNS9_4plusIvEENS9_8equal_toIvEEdEE10hipError_tPvRmT2_T3_T4_T5_mT6_T7_P12ihipStream_tbENKUlT_T0_E_clISt17integral_constantIbLb0EES11_EEDaSW_SX_EUlSW_E_NS1_11comp_targetILNS1_3genE10ELNS1_11target_archE1200ELNS1_3gpuE4ELNS1_3repE0EEENS1_30default_config_static_selectorELNS0_4arch9wavefront6targetE1EEEvT1_,comdat
.Lfunc_end1397:
	.size	_ZN7rocprim17ROCPRIM_400000_NS6detail17trampoline_kernelINS0_14default_configENS1_27scan_by_key_config_selectorIidEEZZNS1_16scan_by_key_implILNS1_25lookback_scan_determinismE0ELb1ES3_N6thrust23THRUST_200600_302600_NS6detail15normal_iteratorINS9_10device_ptrIiEEEENSB_INSC_IdEEEESG_dNS9_4plusIvEENS9_8equal_toIvEEdEE10hipError_tPvRmT2_T3_T4_T5_mT6_T7_P12ihipStream_tbENKUlT_T0_E_clISt17integral_constantIbLb0EES11_EEDaSW_SX_EUlSW_E_NS1_11comp_targetILNS1_3genE10ELNS1_11target_archE1200ELNS1_3gpuE4ELNS1_3repE0EEENS1_30default_config_static_selectorELNS0_4arch9wavefront6targetE1EEEvT1_, .Lfunc_end1397-_ZN7rocprim17ROCPRIM_400000_NS6detail17trampoline_kernelINS0_14default_configENS1_27scan_by_key_config_selectorIidEEZZNS1_16scan_by_key_implILNS1_25lookback_scan_determinismE0ELb1ES3_N6thrust23THRUST_200600_302600_NS6detail15normal_iteratorINS9_10device_ptrIiEEEENSB_INSC_IdEEEESG_dNS9_4plusIvEENS9_8equal_toIvEEdEE10hipError_tPvRmT2_T3_T4_T5_mT6_T7_P12ihipStream_tbENKUlT_T0_E_clISt17integral_constantIbLb0EES11_EEDaSW_SX_EUlSW_E_NS1_11comp_targetILNS1_3genE10ELNS1_11target_archE1200ELNS1_3gpuE4ELNS1_3repE0EEENS1_30default_config_static_selectorELNS0_4arch9wavefront6targetE1EEEvT1_
                                        ; -- End function
	.section	.AMDGPU.csdata,"",@progbits
; Kernel info:
; codeLenInByte = 0
; NumSgprs: 4
; NumVgprs: 0
; NumAgprs: 0
; TotalNumVgprs: 0
; ScratchSize: 0
; MemoryBound: 0
; FloatMode: 240
; IeeeMode: 1
; LDSByteSize: 0 bytes/workgroup (compile time only)
; SGPRBlocks: 0
; VGPRBlocks: 0
; NumSGPRsForWavesPerEU: 4
; NumVGPRsForWavesPerEU: 1
; AccumOffset: 4
; Occupancy: 8
; WaveLimiterHint : 0
; COMPUTE_PGM_RSRC2:SCRATCH_EN: 0
; COMPUTE_PGM_RSRC2:USER_SGPR: 6
; COMPUTE_PGM_RSRC2:TRAP_HANDLER: 0
; COMPUTE_PGM_RSRC2:TGID_X_EN: 1
; COMPUTE_PGM_RSRC2:TGID_Y_EN: 0
; COMPUTE_PGM_RSRC2:TGID_Z_EN: 0
; COMPUTE_PGM_RSRC2:TIDIG_COMP_CNT: 0
; COMPUTE_PGM_RSRC3_GFX90A:ACCUM_OFFSET: 0
; COMPUTE_PGM_RSRC3_GFX90A:TG_SPLIT: 0
	.section	.text._ZN7rocprim17ROCPRIM_400000_NS6detail17trampoline_kernelINS0_14default_configENS1_27scan_by_key_config_selectorIidEEZZNS1_16scan_by_key_implILNS1_25lookback_scan_determinismE0ELb1ES3_N6thrust23THRUST_200600_302600_NS6detail15normal_iteratorINS9_10device_ptrIiEEEENSB_INSC_IdEEEESG_dNS9_4plusIvEENS9_8equal_toIvEEdEE10hipError_tPvRmT2_T3_T4_T5_mT6_T7_P12ihipStream_tbENKUlT_T0_E_clISt17integral_constantIbLb0EES11_EEDaSW_SX_EUlSW_E_NS1_11comp_targetILNS1_3genE9ELNS1_11target_archE1100ELNS1_3gpuE3ELNS1_3repE0EEENS1_30default_config_static_selectorELNS0_4arch9wavefront6targetE1EEEvT1_,"axG",@progbits,_ZN7rocprim17ROCPRIM_400000_NS6detail17trampoline_kernelINS0_14default_configENS1_27scan_by_key_config_selectorIidEEZZNS1_16scan_by_key_implILNS1_25lookback_scan_determinismE0ELb1ES3_N6thrust23THRUST_200600_302600_NS6detail15normal_iteratorINS9_10device_ptrIiEEEENSB_INSC_IdEEEESG_dNS9_4plusIvEENS9_8equal_toIvEEdEE10hipError_tPvRmT2_T3_T4_T5_mT6_T7_P12ihipStream_tbENKUlT_T0_E_clISt17integral_constantIbLb0EES11_EEDaSW_SX_EUlSW_E_NS1_11comp_targetILNS1_3genE9ELNS1_11target_archE1100ELNS1_3gpuE3ELNS1_3repE0EEENS1_30default_config_static_selectorELNS0_4arch9wavefront6targetE1EEEvT1_,comdat
	.protected	_ZN7rocprim17ROCPRIM_400000_NS6detail17trampoline_kernelINS0_14default_configENS1_27scan_by_key_config_selectorIidEEZZNS1_16scan_by_key_implILNS1_25lookback_scan_determinismE0ELb1ES3_N6thrust23THRUST_200600_302600_NS6detail15normal_iteratorINS9_10device_ptrIiEEEENSB_INSC_IdEEEESG_dNS9_4plusIvEENS9_8equal_toIvEEdEE10hipError_tPvRmT2_T3_T4_T5_mT6_T7_P12ihipStream_tbENKUlT_T0_E_clISt17integral_constantIbLb0EES11_EEDaSW_SX_EUlSW_E_NS1_11comp_targetILNS1_3genE9ELNS1_11target_archE1100ELNS1_3gpuE3ELNS1_3repE0EEENS1_30default_config_static_selectorELNS0_4arch9wavefront6targetE1EEEvT1_ ; -- Begin function _ZN7rocprim17ROCPRIM_400000_NS6detail17trampoline_kernelINS0_14default_configENS1_27scan_by_key_config_selectorIidEEZZNS1_16scan_by_key_implILNS1_25lookback_scan_determinismE0ELb1ES3_N6thrust23THRUST_200600_302600_NS6detail15normal_iteratorINS9_10device_ptrIiEEEENSB_INSC_IdEEEESG_dNS9_4plusIvEENS9_8equal_toIvEEdEE10hipError_tPvRmT2_T3_T4_T5_mT6_T7_P12ihipStream_tbENKUlT_T0_E_clISt17integral_constantIbLb0EES11_EEDaSW_SX_EUlSW_E_NS1_11comp_targetILNS1_3genE9ELNS1_11target_archE1100ELNS1_3gpuE3ELNS1_3repE0EEENS1_30default_config_static_selectorELNS0_4arch9wavefront6targetE1EEEvT1_
	.globl	_ZN7rocprim17ROCPRIM_400000_NS6detail17trampoline_kernelINS0_14default_configENS1_27scan_by_key_config_selectorIidEEZZNS1_16scan_by_key_implILNS1_25lookback_scan_determinismE0ELb1ES3_N6thrust23THRUST_200600_302600_NS6detail15normal_iteratorINS9_10device_ptrIiEEEENSB_INSC_IdEEEESG_dNS9_4plusIvEENS9_8equal_toIvEEdEE10hipError_tPvRmT2_T3_T4_T5_mT6_T7_P12ihipStream_tbENKUlT_T0_E_clISt17integral_constantIbLb0EES11_EEDaSW_SX_EUlSW_E_NS1_11comp_targetILNS1_3genE9ELNS1_11target_archE1100ELNS1_3gpuE3ELNS1_3repE0EEENS1_30default_config_static_selectorELNS0_4arch9wavefront6targetE1EEEvT1_
	.p2align	8
	.type	_ZN7rocprim17ROCPRIM_400000_NS6detail17trampoline_kernelINS0_14default_configENS1_27scan_by_key_config_selectorIidEEZZNS1_16scan_by_key_implILNS1_25lookback_scan_determinismE0ELb1ES3_N6thrust23THRUST_200600_302600_NS6detail15normal_iteratorINS9_10device_ptrIiEEEENSB_INSC_IdEEEESG_dNS9_4plusIvEENS9_8equal_toIvEEdEE10hipError_tPvRmT2_T3_T4_T5_mT6_T7_P12ihipStream_tbENKUlT_T0_E_clISt17integral_constantIbLb0EES11_EEDaSW_SX_EUlSW_E_NS1_11comp_targetILNS1_3genE9ELNS1_11target_archE1100ELNS1_3gpuE3ELNS1_3repE0EEENS1_30default_config_static_selectorELNS0_4arch9wavefront6targetE1EEEvT1_,@function
_ZN7rocprim17ROCPRIM_400000_NS6detail17trampoline_kernelINS0_14default_configENS1_27scan_by_key_config_selectorIidEEZZNS1_16scan_by_key_implILNS1_25lookback_scan_determinismE0ELb1ES3_N6thrust23THRUST_200600_302600_NS6detail15normal_iteratorINS9_10device_ptrIiEEEENSB_INSC_IdEEEESG_dNS9_4plusIvEENS9_8equal_toIvEEdEE10hipError_tPvRmT2_T3_T4_T5_mT6_T7_P12ihipStream_tbENKUlT_T0_E_clISt17integral_constantIbLb0EES11_EEDaSW_SX_EUlSW_E_NS1_11comp_targetILNS1_3genE9ELNS1_11target_archE1100ELNS1_3gpuE3ELNS1_3repE0EEENS1_30default_config_static_selectorELNS0_4arch9wavefront6targetE1EEEvT1_: ; @_ZN7rocprim17ROCPRIM_400000_NS6detail17trampoline_kernelINS0_14default_configENS1_27scan_by_key_config_selectorIidEEZZNS1_16scan_by_key_implILNS1_25lookback_scan_determinismE0ELb1ES3_N6thrust23THRUST_200600_302600_NS6detail15normal_iteratorINS9_10device_ptrIiEEEENSB_INSC_IdEEEESG_dNS9_4plusIvEENS9_8equal_toIvEEdEE10hipError_tPvRmT2_T3_T4_T5_mT6_T7_P12ihipStream_tbENKUlT_T0_E_clISt17integral_constantIbLb0EES11_EEDaSW_SX_EUlSW_E_NS1_11comp_targetILNS1_3genE9ELNS1_11target_archE1100ELNS1_3gpuE3ELNS1_3repE0EEENS1_30default_config_static_selectorELNS0_4arch9wavefront6targetE1EEEvT1_
; %bb.0:
	.section	.rodata,"a",@progbits
	.p2align	6, 0x0
	.amdhsa_kernel _ZN7rocprim17ROCPRIM_400000_NS6detail17trampoline_kernelINS0_14default_configENS1_27scan_by_key_config_selectorIidEEZZNS1_16scan_by_key_implILNS1_25lookback_scan_determinismE0ELb1ES3_N6thrust23THRUST_200600_302600_NS6detail15normal_iteratorINS9_10device_ptrIiEEEENSB_INSC_IdEEEESG_dNS9_4plusIvEENS9_8equal_toIvEEdEE10hipError_tPvRmT2_T3_T4_T5_mT6_T7_P12ihipStream_tbENKUlT_T0_E_clISt17integral_constantIbLb0EES11_EEDaSW_SX_EUlSW_E_NS1_11comp_targetILNS1_3genE9ELNS1_11target_archE1100ELNS1_3gpuE3ELNS1_3repE0EEENS1_30default_config_static_selectorELNS0_4arch9wavefront6targetE1EEEvT1_
		.amdhsa_group_segment_fixed_size 0
		.amdhsa_private_segment_fixed_size 0
		.amdhsa_kernarg_size 136
		.amdhsa_user_sgpr_count 6
		.amdhsa_user_sgpr_private_segment_buffer 1
		.amdhsa_user_sgpr_dispatch_ptr 0
		.amdhsa_user_sgpr_queue_ptr 0
		.amdhsa_user_sgpr_kernarg_segment_ptr 1
		.amdhsa_user_sgpr_dispatch_id 0
		.amdhsa_user_sgpr_flat_scratch_init 0
		.amdhsa_user_sgpr_kernarg_preload_length 0
		.amdhsa_user_sgpr_kernarg_preload_offset 0
		.amdhsa_user_sgpr_private_segment_size 0
		.amdhsa_uses_dynamic_stack 0
		.amdhsa_system_sgpr_private_segment_wavefront_offset 0
		.amdhsa_system_sgpr_workgroup_id_x 1
		.amdhsa_system_sgpr_workgroup_id_y 0
		.amdhsa_system_sgpr_workgroup_id_z 0
		.amdhsa_system_sgpr_workgroup_info 0
		.amdhsa_system_vgpr_workitem_id 0
		.amdhsa_next_free_vgpr 1
		.amdhsa_next_free_sgpr 0
		.amdhsa_accum_offset 4
		.amdhsa_reserve_vcc 0
		.amdhsa_reserve_flat_scratch 0
		.amdhsa_float_round_mode_32 0
		.amdhsa_float_round_mode_16_64 0
		.amdhsa_float_denorm_mode_32 3
		.amdhsa_float_denorm_mode_16_64 3
		.amdhsa_dx10_clamp 1
		.amdhsa_ieee_mode 1
		.amdhsa_fp16_overflow 0
		.amdhsa_tg_split 0
		.amdhsa_exception_fp_ieee_invalid_op 0
		.amdhsa_exception_fp_denorm_src 0
		.amdhsa_exception_fp_ieee_div_zero 0
		.amdhsa_exception_fp_ieee_overflow 0
		.amdhsa_exception_fp_ieee_underflow 0
		.amdhsa_exception_fp_ieee_inexact 0
		.amdhsa_exception_int_div_zero 0
	.end_amdhsa_kernel
	.section	.text._ZN7rocprim17ROCPRIM_400000_NS6detail17trampoline_kernelINS0_14default_configENS1_27scan_by_key_config_selectorIidEEZZNS1_16scan_by_key_implILNS1_25lookback_scan_determinismE0ELb1ES3_N6thrust23THRUST_200600_302600_NS6detail15normal_iteratorINS9_10device_ptrIiEEEENSB_INSC_IdEEEESG_dNS9_4plusIvEENS9_8equal_toIvEEdEE10hipError_tPvRmT2_T3_T4_T5_mT6_T7_P12ihipStream_tbENKUlT_T0_E_clISt17integral_constantIbLb0EES11_EEDaSW_SX_EUlSW_E_NS1_11comp_targetILNS1_3genE9ELNS1_11target_archE1100ELNS1_3gpuE3ELNS1_3repE0EEENS1_30default_config_static_selectorELNS0_4arch9wavefront6targetE1EEEvT1_,"axG",@progbits,_ZN7rocprim17ROCPRIM_400000_NS6detail17trampoline_kernelINS0_14default_configENS1_27scan_by_key_config_selectorIidEEZZNS1_16scan_by_key_implILNS1_25lookback_scan_determinismE0ELb1ES3_N6thrust23THRUST_200600_302600_NS6detail15normal_iteratorINS9_10device_ptrIiEEEENSB_INSC_IdEEEESG_dNS9_4plusIvEENS9_8equal_toIvEEdEE10hipError_tPvRmT2_T3_T4_T5_mT6_T7_P12ihipStream_tbENKUlT_T0_E_clISt17integral_constantIbLb0EES11_EEDaSW_SX_EUlSW_E_NS1_11comp_targetILNS1_3genE9ELNS1_11target_archE1100ELNS1_3gpuE3ELNS1_3repE0EEENS1_30default_config_static_selectorELNS0_4arch9wavefront6targetE1EEEvT1_,comdat
.Lfunc_end1398:
	.size	_ZN7rocprim17ROCPRIM_400000_NS6detail17trampoline_kernelINS0_14default_configENS1_27scan_by_key_config_selectorIidEEZZNS1_16scan_by_key_implILNS1_25lookback_scan_determinismE0ELb1ES3_N6thrust23THRUST_200600_302600_NS6detail15normal_iteratorINS9_10device_ptrIiEEEENSB_INSC_IdEEEESG_dNS9_4plusIvEENS9_8equal_toIvEEdEE10hipError_tPvRmT2_T3_T4_T5_mT6_T7_P12ihipStream_tbENKUlT_T0_E_clISt17integral_constantIbLb0EES11_EEDaSW_SX_EUlSW_E_NS1_11comp_targetILNS1_3genE9ELNS1_11target_archE1100ELNS1_3gpuE3ELNS1_3repE0EEENS1_30default_config_static_selectorELNS0_4arch9wavefront6targetE1EEEvT1_, .Lfunc_end1398-_ZN7rocprim17ROCPRIM_400000_NS6detail17trampoline_kernelINS0_14default_configENS1_27scan_by_key_config_selectorIidEEZZNS1_16scan_by_key_implILNS1_25lookback_scan_determinismE0ELb1ES3_N6thrust23THRUST_200600_302600_NS6detail15normal_iteratorINS9_10device_ptrIiEEEENSB_INSC_IdEEEESG_dNS9_4plusIvEENS9_8equal_toIvEEdEE10hipError_tPvRmT2_T3_T4_T5_mT6_T7_P12ihipStream_tbENKUlT_T0_E_clISt17integral_constantIbLb0EES11_EEDaSW_SX_EUlSW_E_NS1_11comp_targetILNS1_3genE9ELNS1_11target_archE1100ELNS1_3gpuE3ELNS1_3repE0EEENS1_30default_config_static_selectorELNS0_4arch9wavefront6targetE1EEEvT1_
                                        ; -- End function
	.section	.AMDGPU.csdata,"",@progbits
; Kernel info:
; codeLenInByte = 0
; NumSgprs: 4
; NumVgprs: 0
; NumAgprs: 0
; TotalNumVgprs: 0
; ScratchSize: 0
; MemoryBound: 0
; FloatMode: 240
; IeeeMode: 1
; LDSByteSize: 0 bytes/workgroup (compile time only)
; SGPRBlocks: 0
; VGPRBlocks: 0
; NumSGPRsForWavesPerEU: 4
; NumVGPRsForWavesPerEU: 1
; AccumOffset: 4
; Occupancy: 8
; WaveLimiterHint : 0
; COMPUTE_PGM_RSRC2:SCRATCH_EN: 0
; COMPUTE_PGM_RSRC2:USER_SGPR: 6
; COMPUTE_PGM_RSRC2:TRAP_HANDLER: 0
; COMPUTE_PGM_RSRC2:TGID_X_EN: 1
; COMPUTE_PGM_RSRC2:TGID_Y_EN: 0
; COMPUTE_PGM_RSRC2:TGID_Z_EN: 0
; COMPUTE_PGM_RSRC2:TIDIG_COMP_CNT: 0
; COMPUTE_PGM_RSRC3_GFX90A:ACCUM_OFFSET: 0
; COMPUTE_PGM_RSRC3_GFX90A:TG_SPLIT: 0
	.section	.text._ZN7rocprim17ROCPRIM_400000_NS6detail17trampoline_kernelINS0_14default_configENS1_27scan_by_key_config_selectorIidEEZZNS1_16scan_by_key_implILNS1_25lookback_scan_determinismE0ELb1ES3_N6thrust23THRUST_200600_302600_NS6detail15normal_iteratorINS9_10device_ptrIiEEEENSB_INSC_IdEEEESG_dNS9_4plusIvEENS9_8equal_toIvEEdEE10hipError_tPvRmT2_T3_T4_T5_mT6_T7_P12ihipStream_tbENKUlT_T0_E_clISt17integral_constantIbLb0EES11_EEDaSW_SX_EUlSW_E_NS1_11comp_targetILNS1_3genE8ELNS1_11target_archE1030ELNS1_3gpuE2ELNS1_3repE0EEENS1_30default_config_static_selectorELNS0_4arch9wavefront6targetE1EEEvT1_,"axG",@progbits,_ZN7rocprim17ROCPRIM_400000_NS6detail17trampoline_kernelINS0_14default_configENS1_27scan_by_key_config_selectorIidEEZZNS1_16scan_by_key_implILNS1_25lookback_scan_determinismE0ELb1ES3_N6thrust23THRUST_200600_302600_NS6detail15normal_iteratorINS9_10device_ptrIiEEEENSB_INSC_IdEEEESG_dNS9_4plusIvEENS9_8equal_toIvEEdEE10hipError_tPvRmT2_T3_T4_T5_mT6_T7_P12ihipStream_tbENKUlT_T0_E_clISt17integral_constantIbLb0EES11_EEDaSW_SX_EUlSW_E_NS1_11comp_targetILNS1_3genE8ELNS1_11target_archE1030ELNS1_3gpuE2ELNS1_3repE0EEENS1_30default_config_static_selectorELNS0_4arch9wavefront6targetE1EEEvT1_,comdat
	.protected	_ZN7rocprim17ROCPRIM_400000_NS6detail17trampoline_kernelINS0_14default_configENS1_27scan_by_key_config_selectorIidEEZZNS1_16scan_by_key_implILNS1_25lookback_scan_determinismE0ELb1ES3_N6thrust23THRUST_200600_302600_NS6detail15normal_iteratorINS9_10device_ptrIiEEEENSB_INSC_IdEEEESG_dNS9_4plusIvEENS9_8equal_toIvEEdEE10hipError_tPvRmT2_T3_T4_T5_mT6_T7_P12ihipStream_tbENKUlT_T0_E_clISt17integral_constantIbLb0EES11_EEDaSW_SX_EUlSW_E_NS1_11comp_targetILNS1_3genE8ELNS1_11target_archE1030ELNS1_3gpuE2ELNS1_3repE0EEENS1_30default_config_static_selectorELNS0_4arch9wavefront6targetE1EEEvT1_ ; -- Begin function _ZN7rocprim17ROCPRIM_400000_NS6detail17trampoline_kernelINS0_14default_configENS1_27scan_by_key_config_selectorIidEEZZNS1_16scan_by_key_implILNS1_25lookback_scan_determinismE0ELb1ES3_N6thrust23THRUST_200600_302600_NS6detail15normal_iteratorINS9_10device_ptrIiEEEENSB_INSC_IdEEEESG_dNS9_4plusIvEENS9_8equal_toIvEEdEE10hipError_tPvRmT2_T3_T4_T5_mT6_T7_P12ihipStream_tbENKUlT_T0_E_clISt17integral_constantIbLb0EES11_EEDaSW_SX_EUlSW_E_NS1_11comp_targetILNS1_3genE8ELNS1_11target_archE1030ELNS1_3gpuE2ELNS1_3repE0EEENS1_30default_config_static_selectorELNS0_4arch9wavefront6targetE1EEEvT1_
	.globl	_ZN7rocprim17ROCPRIM_400000_NS6detail17trampoline_kernelINS0_14default_configENS1_27scan_by_key_config_selectorIidEEZZNS1_16scan_by_key_implILNS1_25lookback_scan_determinismE0ELb1ES3_N6thrust23THRUST_200600_302600_NS6detail15normal_iteratorINS9_10device_ptrIiEEEENSB_INSC_IdEEEESG_dNS9_4plusIvEENS9_8equal_toIvEEdEE10hipError_tPvRmT2_T3_T4_T5_mT6_T7_P12ihipStream_tbENKUlT_T0_E_clISt17integral_constantIbLb0EES11_EEDaSW_SX_EUlSW_E_NS1_11comp_targetILNS1_3genE8ELNS1_11target_archE1030ELNS1_3gpuE2ELNS1_3repE0EEENS1_30default_config_static_selectorELNS0_4arch9wavefront6targetE1EEEvT1_
	.p2align	8
	.type	_ZN7rocprim17ROCPRIM_400000_NS6detail17trampoline_kernelINS0_14default_configENS1_27scan_by_key_config_selectorIidEEZZNS1_16scan_by_key_implILNS1_25lookback_scan_determinismE0ELb1ES3_N6thrust23THRUST_200600_302600_NS6detail15normal_iteratorINS9_10device_ptrIiEEEENSB_INSC_IdEEEESG_dNS9_4plusIvEENS9_8equal_toIvEEdEE10hipError_tPvRmT2_T3_T4_T5_mT6_T7_P12ihipStream_tbENKUlT_T0_E_clISt17integral_constantIbLb0EES11_EEDaSW_SX_EUlSW_E_NS1_11comp_targetILNS1_3genE8ELNS1_11target_archE1030ELNS1_3gpuE2ELNS1_3repE0EEENS1_30default_config_static_selectorELNS0_4arch9wavefront6targetE1EEEvT1_,@function
_ZN7rocprim17ROCPRIM_400000_NS6detail17trampoline_kernelINS0_14default_configENS1_27scan_by_key_config_selectorIidEEZZNS1_16scan_by_key_implILNS1_25lookback_scan_determinismE0ELb1ES3_N6thrust23THRUST_200600_302600_NS6detail15normal_iteratorINS9_10device_ptrIiEEEENSB_INSC_IdEEEESG_dNS9_4plusIvEENS9_8equal_toIvEEdEE10hipError_tPvRmT2_T3_T4_T5_mT6_T7_P12ihipStream_tbENKUlT_T0_E_clISt17integral_constantIbLb0EES11_EEDaSW_SX_EUlSW_E_NS1_11comp_targetILNS1_3genE8ELNS1_11target_archE1030ELNS1_3gpuE2ELNS1_3repE0EEENS1_30default_config_static_selectorELNS0_4arch9wavefront6targetE1EEEvT1_: ; @_ZN7rocprim17ROCPRIM_400000_NS6detail17trampoline_kernelINS0_14default_configENS1_27scan_by_key_config_selectorIidEEZZNS1_16scan_by_key_implILNS1_25lookback_scan_determinismE0ELb1ES3_N6thrust23THRUST_200600_302600_NS6detail15normal_iteratorINS9_10device_ptrIiEEEENSB_INSC_IdEEEESG_dNS9_4plusIvEENS9_8equal_toIvEEdEE10hipError_tPvRmT2_T3_T4_T5_mT6_T7_P12ihipStream_tbENKUlT_T0_E_clISt17integral_constantIbLb0EES11_EEDaSW_SX_EUlSW_E_NS1_11comp_targetILNS1_3genE8ELNS1_11target_archE1030ELNS1_3gpuE2ELNS1_3repE0EEENS1_30default_config_static_selectorELNS0_4arch9wavefront6targetE1EEEvT1_
; %bb.0:
	.section	.rodata,"a",@progbits
	.p2align	6, 0x0
	.amdhsa_kernel _ZN7rocprim17ROCPRIM_400000_NS6detail17trampoline_kernelINS0_14default_configENS1_27scan_by_key_config_selectorIidEEZZNS1_16scan_by_key_implILNS1_25lookback_scan_determinismE0ELb1ES3_N6thrust23THRUST_200600_302600_NS6detail15normal_iteratorINS9_10device_ptrIiEEEENSB_INSC_IdEEEESG_dNS9_4plusIvEENS9_8equal_toIvEEdEE10hipError_tPvRmT2_T3_T4_T5_mT6_T7_P12ihipStream_tbENKUlT_T0_E_clISt17integral_constantIbLb0EES11_EEDaSW_SX_EUlSW_E_NS1_11comp_targetILNS1_3genE8ELNS1_11target_archE1030ELNS1_3gpuE2ELNS1_3repE0EEENS1_30default_config_static_selectorELNS0_4arch9wavefront6targetE1EEEvT1_
		.amdhsa_group_segment_fixed_size 0
		.amdhsa_private_segment_fixed_size 0
		.amdhsa_kernarg_size 136
		.amdhsa_user_sgpr_count 6
		.amdhsa_user_sgpr_private_segment_buffer 1
		.amdhsa_user_sgpr_dispatch_ptr 0
		.amdhsa_user_sgpr_queue_ptr 0
		.amdhsa_user_sgpr_kernarg_segment_ptr 1
		.amdhsa_user_sgpr_dispatch_id 0
		.amdhsa_user_sgpr_flat_scratch_init 0
		.amdhsa_user_sgpr_kernarg_preload_length 0
		.amdhsa_user_sgpr_kernarg_preload_offset 0
		.amdhsa_user_sgpr_private_segment_size 0
		.amdhsa_uses_dynamic_stack 0
		.amdhsa_system_sgpr_private_segment_wavefront_offset 0
		.amdhsa_system_sgpr_workgroup_id_x 1
		.amdhsa_system_sgpr_workgroup_id_y 0
		.amdhsa_system_sgpr_workgroup_id_z 0
		.amdhsa_system_sgpr_workgroup_info 0
		.amdhsa_system_vgpr_workitem_id 0
		.amdhsa_next_free_vgpr 1
		.amdhsa_next_free_sgpr 0
		.amdhsa_accum_offset 4
		.amdhsa_reserve_vcc 0
		.amdhsa_reserve_flat_scratch 0
		.amdhsa_float_round_mode_32 0
		.amdhsa_float_round_mode_16_64 0
		.amdhsa_float_denorm_mode_32 3
		.amdhsa_float_denorm_mode_16_64 3
		.amdhsa_dx10_clamp 1
		.amdhsa_ieee_mode 1
		.amdhsa_fp16_overflow 0
		.amdhsa_tg_split 0
		.amdhsa_exception_fp_ieee_invalid_op 0
		.amdhsa_exception_fp_denorm_src 0
		.amdhsa_exception_fp_ieee_div_zero 0
		.amdhsa_exception_fp_ieee_overflow 0
		.amdhsa_exception_fp_ieee_underflow 0
		.amdhsa_exception_fp_ieee_inexact 0
		.amdhsa_exception_int_div_zero 0
	.end_amdhsa_kernel
	.section	.text._ZN7rocprim17ROCPRIM_400000_NS6detail17trampoline_kernelINS0_14default_configENS1_27scan_by_key_config_selectorIidEEZZNS1_16scan_by_key_implILNS1_25lookback_scan_determinismE0ELb1ES3_N6thrust23THRUST_200600_302600_NS6detail15normal_iteratorINS9_10device_ptrIiEEEENSB_INSC_IdEEEESG_dNS9_4plusIvEENS9_8equal_toIvEEdEE10hipError_tPvRmT2_T3_T4_T5_mT6_T7_P12ihipStream_tbENKUlT_T0_E_clISt17integral_constantIbLb0EES11_EEDaSW_SX_EUlSW_E_NS1_11comp_targetILNS1_3genE8ELNS1_11target_archE1030ELNS1_3gpuE2ELNS1_3repE0EEENS1_30default_config_static_selectorELNS0_4arch9wavefront6targetE1EEEvT1_,"axG",@progbits,_ZN7rocprim17ROCPRIM_400000_NS6detail17trampoline_kernelINS0_14default_configENS1_27scan_by_key_config_selectorIidEEZZNS1_16scan_by_key_implILNS1_25lookback_scan_determinismE0ELb1ES3_N6thrust23THRUST_200600_302600_NS6detail15normal_iteratorINS9_10device_ptrIiEEEENSB_INSC_IdEEEESG_dNS9_4plusIvEENS9_8equal_toIvEEdEE10hipError_tPvRmT2_T3_T4_T5_mT6_T7_P12ihipStream_tbENKUlT_T0_E_clISt17integral_constantIbLb0EES11_EEDaSW_SX_EUlSW_E_NS1_11comp_targetILNS1_3genE8ELNS1_11target_archE1030ELNS1_3gpuE2ELNS1_3repE0EEENS1_30default_config_static_selectorELNS0_4arch9wavefront6targetE1EEEvT1_,comdat
.Lfunc_end1399:
	.size	_ZN7rocprim17ROCPRIM_400000_NS6detail17trampoline_kernelINS0_14default_configENS1_27scan_by_key_config_selectorIidEEZZNS1_16scan_by_key_implILNS1_25lookback_scan_determinismE0ELb1ES3_N6thrust23THRUST_200600_302600_NS6detail15normal_iteratorINS9_10device_ptrIiEEEENSB_INSC_IdEEEESG_dNS9_4plusIvEENS9_8equal_toIvEEdEE10hipError_tPvRmT2_T3_T4_T5_mT6_T7_P12ihipStream_tbENKUlT_T0_E_clISt17integral_constantIbLb0EES11_EEDaSW_SX_EUlSW_E_NS1_11comp_targetILNS1_3genE8ELNS1_11target_archE1030ELNS1_3gpuE2ELNS1_3repE0EEENS1_30default_config_static_selectorELNS0_4arch9wavefront6targetE1EEEvT1_, .Lfunc_end1399-_ZN7rocprim17ROCPRIM_400000_NS6detail17trampoline_kernelINS0_14default_configENS1_27scan_by_key_config_selectorIidEEZZNS1_16scan_by_key_implILNS1_25lookback_scan_determinismE0ELb1ES3_N6thrust23THRUST_200600_302600_NS6detail15normal_iteratorINS9_10device_ptrIiEEEENSB_INSC_IdEEEESG_dNS9_4plusIvEENS9_8equal_toIvEEdEE10hipError_tPvRmT2_T3_T4_T5_mT6_T7_P12ihipStream_tbENKUlT_T0_E_clISt17integral_constantIbLb0EES11_EEDaSW_SX_EUlSW_E_NS1_11comp_targetILNS1_3genE8ELNS1_11target_archE1030ELNS1_3gpuE2ELNS1_3repE0EEENS1_30default_config_static_selectorELNS0_4arch9wavefront6targetE1EEEvT1_
                                        ; -- End function
	.section	.AMDGPU.csdata,"",@progbits
; Kernel info:
; codeLenInByte = 0
; NumSgprs: 4
; NumVgprs: 0
; NumAgprs: 0
; TotalNumVgprs: 0
; ScratchSize: 0
; MemoryBound: 0
; FloatMode: 240
; IeeeMode: 1
; LDSByteSize: 0 bytes/workgroup (compile time only)
; SGPRBlocks: 0
; VGPRBlocks: 0
; NumSGPRsForWavesPerEU: 4
; NumVGPRsForWavesPerEU: 1
; AccumOffset: 4
; Occupancy: 8
; WaveLimiterHint : 0
; COMPUTE_PGM_RSRC2:SCRATCH_EN: 0
; COMPUTE_PGM_RSRC2:USER_SGPR: 6
; COMPUTE_PGM_RSRC2:TRAP_HANDLER: 0
; COMPUTE_PGM_RSRC2:TGID_X_EN: 1
; COMPUTE_PGM_RSRC2:TGID_Y_EN: 0
; COMPUTE_PGM_RSRC2:TGID_Z_EN: 0
; COMPUTE_PGM_RSRC2:TIDIG_COMP_CNT: 0
; COMPUTE_PGM_RSRC3_GFX90A:ACCUM_OFFSET: 0
; COMPUTE_PGM_RSRC3_GFX90A:TG_SPLIT: 0
	.section	.text._ZN7rocprim17ROCPRIM_400000_NS6detail17trampoline_kernelINS0_14default_configENS1_27scan_by_key_config_selectorIidEEZZNS1_16scan_by_key_implILNS1_25lookback_scan_determinismE0ELb1ES3_N6thrust23THRUST_200600_302600_NS6detail15normal_iteratorINS9_10device_ptrIiEEEENSB_INSC_IdEEEESG_dNS9_4plusIvEENS9_8equal_toIvEEdEE10hipError_tPvRmT2_T3_T4_T5_mT6_T7_P12ihipStream_tbENKUlT_T0_E_clISt17integral_constantIbLb1EES11_EEDaSW_SX_EUlSW_E_NS1_11comp_targetILNS1_3genE0ELNS1_11target_archE4294967295ELNS1_3gpuE0ELNS1_3repE0EEENS1_30default_config_static_selectorELNS0_4arch9wavefront6targetE1EEEvT1_,"axG",@progbits,_ZN7rocprim17ROCPRIM_400000_NS6detail17trampoline_kernelINS0_14default_configENS1_27scan_by_key_config_selectorIidEEZZNS1_16scan_by_key_implILNS1_25lookback_scan_determinismE0ELb1ES3_N6thrust23THRUST_200600_302600_NS6detail15normal_iteratorINS9_10device_ptrIiEEEENSB_INSC_IdEEEESG_dNS9_4plusIvEENS9_8equal_toIvEEdEE10hipError_tPvRmT2_T3_T4_T5_mT6_T7_P12ihipStream_tbENKUlT_T0_E_clISt17integral_constantIbLb1EES11_EEDaSW_SX_EUlSW_E_NS1_11comp_targetILNS1_3genE0ELNS1_11target_archE4294967295ELNS1_3gpuE0ELNS1_3repE0EEENS1_30default_config_static_selectorELNS0_4arch9wavefront6targetE1EEEvT1_,comdat
	.protected	_ZN7rocprim17ROCPRIM_400000_NS6detail17trampoline_kernelINS0_14default_configENS1_27scan_by_key_config_selectorIidEEZZNS1_16scan_by_key_implILNS1_25lookback_scan_determinismE0ELb1ES3_N6thrust23THRUST_200600_302600_NS6detail15normal_iteratorINS9_10device_ptrIiEEEENSB_INSC_IdEEEESG_dNS9_4plusIvEENS9_8equal_toIvEEdEE10hipError_tPvRmT2_T3_T4_T5_mT6_T7_P12ihipStream_tbENKUlT_T0_E_clISt17integral_constantIbLb1EES11_EEDaSW_SX_EUlSW_E_NS1_11comp_targetILNS1_3genE0ELNS1_11target_archE4294967295ELNS1_3gpuE0ELNS1_3repE0EEENS1_30default_config_static_selectorELNS0_4arch9wavefront6targetE1EEEvT1_ ; -- Begin function _ZN7rocprim17ROCPRIM_400000_NS6detail17trampoline_kernelINS0_14default_configENS1_27scan_by_key_config_selectorIidEEZZNS1_16scan_by_key_implILNS1_25lookback_scan_determinismE0ELb1ES3_N6thrust23THRUST_200600_302600_NS6detail15normal_iteratorINS9_10device_ptrIiEEEENSB_INSC_IdEEEESG_dNS9_4plusIvEENS9_8equal_toIvEEdEE10hipError_tPvRmT2_T3_T4_T5_mT6_T7_P12ihipStream_tbENKUlT_T0_E_clISt17integral_constantIbLb1EES11_EEDaSW_SX_EUlSW_E_NS1_11comp_targetILNS1_3genE0ELNS1_11target_archE4294967295ELNS1_3gpuE0ELNS1_3repE0EEENS1_30default_config_static_selectorELNS0_4arch9wavefront6targetE1EEEvT1_
	.globl	_ZN7rocprim17ROCPRIM_400000_NS6detail17trampoline_kernelINS0_14default_configENS1_27scan_by_key_config_selectorIidEEZZNS1_16scan_by_key_implILNS1_25lookback_scan_determinismE0ELb1ES3_N6thrust23THRUST_200600_302600_NS6detail15normal_iteratorINS9_10device_ptrIiEEEENSB_INSC_IdEEEESG_dNS9_4plusIvEENS9_8equal_toIvEEdEE10hipError_tPvRmT2_T3_T4_T5_mT6_T7_P12ihipStream_tbENKUlT_T0_E_clISt17integral_constantIbLb1EES11_EEDaSW_SX_EUlSW_E_NS1_11comp_targetILNS1_3genE0ELNS1_11target_archE4294967295ELNS1_3gpuE0ELNS1_3repE0EEENS1_30default_config_static_selectorELNS0_4arch9wavefront6targetE1EEEvT1_
	.p2align	8
	.type	_ZN7rocprim17ROCPRIM_400000_NS6detail17trampoline_kernelINS0_14default_configENS1_27scan_by_key_config_selectorIidEEZZNS1_16scan_by_key_implILNS1_25lookback_scan_determinismE0ELb1ES3_N6thrust23THRUST_200600_302600_NS6detail15normal_iteratorINS9_10device_ptrIiEEEENSB_INSC_IdEEEESG_dNS9_4plusIvEENS9_8equal_toIvEEdEE10hipError_tPvRmT2_T3_T4_T5_mT6_T7_P12ihipStream_tbENKUlT_T0_E_clISt17integral_constantIbLb1EES11_EEDaSW_SX_EUlSW_E_NS1_11comp_targetILNS1_3genE0ELNS1_11target_archE4294967295ELNS1_3gpuE0ELNS1_3repE0EEENS1_30default_config_static_selectorELNS0_4arch9wavefront6targetE1EEEvT1_,@function
_ZN7rocprim17ROCPRIM_400000_NS6detail17trampoline_kernelINS0_14default_configENS1_27scan_by_key_config_selectorIidEEZZNS1_16scan_by_key_implILNS1_25lookback_scan_determinismE0ELb1ES3_N6thrust23THRUST_200600_302600_NS6detail15normal_iteratorINS9_10device_ptrIiEEEENSB_INSC_IdEEEESG_dNS9_4plusIvEENS9_8equal_toIvEEdEE10hipError_tPvRmT2_T3_T4_T5_mT6_T7_P12ihipStream_tbENKUlT_T0_E_clISt17integral_constantIbLb1EES11_EEDaSW_SX_EUlSW_E_NS1_11comp_targetILNS1_3genE0ELNS1_11target_archE4294967295ELNS1_3gpuE0ELNS1_3repE0EEENS1_30default_config_static_selectorELNS0_4arch9wavefront6targetE1EEEvT1_: ; @_ZN7rocprim17ROCPRIM_400000_NS6detail17trampoline_kernelINS0_14default_configENS1_27scan_by_key_config_selectorIidEEZZNS1_16scan_by_key_implILNS1_25lookback_scan_determinismE0ELb1ES3_N6thrust23THRUST_200600_302600_NS6detail15normal_iteratorINS9_10device_ptrIiEEEENSB_INSC_IdEEEESG_dNS9_4plusIvEENS9_8equal_toIvEEdEE10hipError_tPvRmT2_T3_T4_T5_mT6_T7_P12ihipStream_tbENKUlT_T0_E_clISt17integral_constantIbLb1EES11_EEDaSW_SX_EUlSW_E_NS1_11comp_targetILNS1_3genE0ELNS1_11target_archE4294967295ELNS1_3gpuE0ELNS1_3repE0EEENS1_30default_config_static_selectorELNS0_4arch9wavefront6targetE1EEEvT1_
; %bb.0:
	.section	.rodata,"a",@progbits
	.p2align	6, 0x0
	.amdhsa_kernel _ZN7rocprim17ROCPRIM_400000_NS6detail17trampoline_kernelINS0_14default_configENS1_27scan_by_key_config_selectorIidEEZZNS1_16scan_by_key_implILNS1_25lookback_scan_determinismE0ELb1ES3_N6thrust23THRUST_200600_302600_NS6detail15normal_iteratorINS9_10device_ptrIiEEEENSB_INSC_IdEEEESG_dNS9_4plusIvEENS9_8equal_toIvEEdEE10hipError_tPvRmT2_T3_T4_T5_mT6_T7_P12ihipStream_tbENKUlT_T0_E_clISt17integral_constantIbLb1EES11_EEDaSW_SX_EUlSW_E_NS1_11comp_targetILNS1_3genE0ELNS1_11target_archE4294967295ELNS1_3gpuE0ELNS1_3repE0EEENS1_30default_config_static_selectorELNS0_4arch9wavefront6targetE1EEEvT1_
		.amdhsa_group_segment_fixed_size 0
		.amdhsa_private_segment_fixed_size 0
		.amdhsa_kernarg_size 136
		.amdhsa_user_sgpr_count 6
		.amdhsa_user_sgpr_private_segment_buffer 1
		.amdhsa_user_sgpr_dispatch_ptr 0
		.amdhsa_user_sgpr_queue_ptr 0
		.amdhsa_user_sgpr_kernarg_segment_ptr 1
		.amdhsa_user_sgpr_dispatch_id 0
		.amdhsa_user_sgpr_flat_scratch_init 0
		.amdhsa_user_sgpr_kernarg_preload_length 0
		.amdhsa_user_sgpr_kernarg_preload_offset 0
		.amdhsa_user_sgpr_private_segment_size 0
		.amdhsa_uses_dynamic_stack 0
		.amdhsa_system_sgpr_private_segment_wavefront_offset 0
		.amdhsa_system_sgpr_workgroup_id_x 1
		.amdhsa_system_sgpr_workgroup_id_y 0
		.amdhsa_system_sgpr_workgroup_id_z 0
		.amdhsa_system_sgpr_workgroup_info 0
		.amdhsa_system_vgpr_workitem_id 0
		.amdhsa_next_free_vgpr 1
		.amdhsa_next_free_sgpr 0
		.amdhsa_accum_offset 4
		.amdhsa_reserve_vcc 0
		.amdhsa_reserve_flat_scratch 0
		.amdhsa_float_round_mode_32 0
		.amdhsa_float_round_mode_16_64 0
		.amdhsa_float_denorm_mode_32 3
		.amdhsa_float_denorm_mode_16_64 3
		.amdhsa_dx10_clamp 1
		.amdhsa_ieee_mode 1
		.amdhsa_fp16_overflow 0
		.amdhsa_tg_split 0
		.amdhsa_exception_fp_ieee_invalid_op 0
		.amdhsa_exception_fp_denorm_src 0
		.amdhsa_exception_fp_ieee_div_zero 0
		.amdhsa_exception_fp_ieee_overflow 0
		.amdhsa_exception_fp_ieee_underflow 0
		.amdhsa_exception_fp_ieee_inexact 0
		.amdhsa_exception_int_div_zero 0
	.end_amdhsa_kernel
	.section	.text._ZN7rocprim17ROCPRIM_400000_NS6detail17trampoline_kernelINS0_14default_configENS1_27scan_by_key_config_selectorIidEEZZNS1_16scan_by_key_implILNS1_25lookback_scan_determinismE0ELb1ES3_N6thrust23THRUST_200600_302600_NS6detail15normal_iteratorINS9_10device_ptrIiEEEENSB_INSC_IdEEEESG_dNS9_4plusIvEENS9_8equal_toIvEEdEE10hipError_tPvRmT2_T3_T4_T5_mT6_T7_P12ihipStream_tbENKUlT_T0_E_clISt17integral_constantIbLb1EES11_EEDaSW_SX_EUlSW_E_NS1_11comp_targetILNS1_3genE0ELNS1_11target_archE4294967295ELNS1_3gpuE0ELNS1_3repE0EEENS1_30default_config_static_selectorELNS0_4arch9wavefront6targetE1EEEvT1_,"axG",@progbits,_ZN7rocprim17ROCPRIM_400000_NS6detail17trampoline_kernelINS0_14default_configENS1_27scan_by_key_config_selectorIidEEZZNS1_16scan_by_key_implILNS1_25lookback_scan_determinismE0ELb1ES3_N6thrust23THRUST_200600_302600_NS6detail15normal_iteratorINS9_10device_ptrIiEEEENSB_INSC_IdEEEESG_dNS9_4plusIvEENS9_8equal_toIvEEdEE10hipError_tPvRmT2_T3_T4_T5_mT6_T7_P12ihipStream_tbENKUlT_T0_E_clISt17integral_constantIbLb1EES11_EEDaSW_SX_EUlSW_E_NS1_11comp_targetILNS1_3genE0ELNS1_11target_archE4294967295ELNS1_3gpuE0ELNS1_3repE0EEENS1_30default_config_static_selectorELNS0_4arch9wavefront6targetE1EEEvT1_,comdat
.Lfunc_end1400:
	.size	_ZN7rocprim17ROCPRIM_400000_NS6detail17trampoline_kernelINS0_14default_configENS1_27scan_by_key_config_selectorIidEEZZNS1_16scan_by_key_implILNS1_25lookback_scan_determinismE0ELb1ES3_N6thrust23THRUST_200600_302600_NS6detail15normal_iteratorINS9_10device_ptrIiEEEENSB_INSC_IdEEEESG_dNS9_4plusIvEENS9_8equal_toIvEEdEE10hipError_tPvRmT2_T3_T4_T5_mT6_T7_P12ihipStream_tbENKUlT_T0_E_clISt17integral_constantIbLb1EES11_EEDaSW_SX_EUlSW_E_NS1_11comp_targetILNS1_3genE0ELNS1_11target_archE4294967295ELNS1_3gpuE0ELNS1_3repE0EEENS1_30default_config_static_selectorELNS0_4arch9wavefront6targetE1EEEvT1_, .Lfunc_end1400-_ZN7rocprim17ROCPRIM_400000_NS6detail17trampoline_kernelINS0_14default_configENS1_27scan_by_key_config_selectorIidEEZZNS1_16scan_by_key_implILNS1_25lookback_scan_determinismE0ELb1ES3_N6thrust23THRUST_200600_302600_NS6detail15normal_iteratorINS9_10device_ptrIiEEEENSB_INSC_IdEEEESG_dNS9_4plusIvEENS9_8equal_toIvEEdEE10hipError_tPvRmT2_T3_T4_T5_mT6_T7_P12ihipStream_tbENKUlT_T0_E_clISt17integral_constantIbLb1EES11_EEDaSW_SX_EUlSW_E_NS1_11comp_targetILNS1_3genE0ELNS1_11target_archE4294967295ELNS1_3gpuE0ELNS1_3repE0EEENS1_30default_config_static_selectorELNS0_4arch9wavefront6targetE1EEEvT1_
                                        ; -- End function
	.section	.AMDGPU.csdata,"",@progbits
; Kernel info:
; codeLenInByte = 0
; NumSgprs: 4
; NumVgprs: 0
; NumAgprs: 0
; TotalNumVgprs: 0
; ScratchSize: 0
; MemoryBound: 0
; FloatMode: 240
; IeeeMode: 1
; LDSByteSize: 0 bytes/workgroup (compile time only)
; SGPRBlocks: 0
; VGPRBlocks: 0
; NumSGPRsForWavesPerEU: 4
; NumVGPRsForWavesPerEU: 1
; AccumOffset: 4
; Occupancy: 8
; WaveLimiterHint : 0
; COMPUTE_PGM_RSRC2:SCRATCH_EN: 0
; COMPUTE_PGM_RSRC2:USER_SGPR: 6
; COMPUTE_PGM_RSRC2:TRAP_HANDLER: 0
; COMPUTE_PGM_RSRC2:TGID_X_EN: 1
; COMPUTE_PGM_RSRC2:TGID_Y_EN: 0
; COMPUTE_PGM_RSRC2:TGID_Z_EN: 0
; COMPUTE_PGM_RSRC2:TIDIG_COMP_CNT: 0
; COMPUTE_PGM_RSRC3_GFX90A:ACCUM_OFFSET: 0
; COMPUTE_PGM_RSRC3_GFX90A:TG_SPLIT: 0
	.section	.text._ZN7rocprim17ROCPRIM_400000_NS6detail17trampoline_kernelINS0_14default_configENS1_27scan_by_key_config_selectorIidEEZZNS1_16scan_by_key_implILNS1_25lookback_scan_determinismE0ELb1ES3_N6thrust23THRUST_200600_302600_NS6detail15normal_iteratorINS9_10device_ptrIiEEEENSB_INSC_IdEEEESG_dNS9_4plusIvEENS9_8equal_toIvEEdEE10hipError_tPvRmT2_T3_T4_T5_mT6_T7_P12ihipStream_tbENKUlT_T0_E_clISt17integral_constantIbLb1EES11_EEDaSW_SX_EUlSW_E_NS1_11comp_targetILNS1_3genE10ELNS1_11target_archE1201ELNS1_3gpuE5ELNS1_3repE0EEENS1_30default_config_static_selectorELNS0_4arch9wavefront6targetE1EEEvT1_,"axG",@progbits,_ZN7rocprim17ROCPRIM_400000_NS6detail17trampoline_kernelINS0_14default_configENS1_27scan_by_key_config_selectorIidEEZZNS1_16scan_by_key_implILNS1_25lookback_scan_determinismE0ELb1ES3_N6thrust23THRUST_200600_302600_NS6detail15normal_iteratorINS9_10device_ptrIiEEEENSB_INSC_IdEEEESG_dNS9_4plusIvEENS9_8equal_toIvEEdEE10hipError_tPvRmT2_T3_T4_T5_mT6_T7_P12ihipStream_tbENKUlT_T0_E_clISt17integral_constantIbLb1EES11_EEDaSW_SX_EUlSW_E_NS1_11comp_targetILNS1_3genE10ELNS1_11target_archE1201ELNS1_3gpuE5ELNS1_3repE0EEENS1_30default_config_static_selectorELNS0_4arch9wavefront6targetE1EEEvT1_,comdat
	.protected	_ZN7rocprim17ROCPRIM_400000_NS6detail17trampoline_kernelINS0_14default_configENS1_27scan_by_key_config_selectorIidEEZZNS1_16scan_by_key_implILNS1_25lookback_scan_determinismE0ELb1ES3_N6thrust23THRUST_200600_302600_NS6detail15normal_iteratorINS9_10device_ptrIiEEEENSB_INSC_IdEEEESG_dNS9_4plusIvEENS9_8equal_toIvEEdEE10hipError_tPvRmT2_T3_T4_T5_mT6_T7_P12ihipStream_tbENKUlT_T0_E_clISt17integral_constantIbLb1EES11_EEDaSW_SX_EUlSW_E_NS1_11comp_targetILNS1_3genE10ELNS1_11target_archE1201ELNS1_3gpuE5ELNS1_3repE0EEENS1_30default_config_static_selectorELNS0_4arch9wavefront6targetE1EEEvT1_ ; -- Begin function _ZN7rocprim17ROCPRIM_400000_NS6detail17trampoline_kernelINS0_14default_configENS1_27scan_by_key_config_selectorIidEEZZNS1_16scan_by_key_implILNS1_25lookback_scan_determinismE0ELb1ES3_N6thrust23THRUST_200600_302600_NS6detail15normal_iteratorINS9_10device_ptrIiEEEENSB_INSC_IdEEEESG_dNS9_4plusIvEENS9_8equal_toIvEEdEE10hipError_tPvRmT2_T3_T4_T5_mT6_T7_P12ihipStream_tbENKUlT_T0_E_clISt17integral_constantIbLb1EES11_EEDaSW_SX_EUlSW_E_NS1_11comp_targetILNS1_3genE10ELNS1_11target_archE1201ELNS1_3gpuE5ELNS1_3repE0EEENS1_30default_config_static_selectorELNS0_4arch9wavefront6targetE1EEEvT1_
	.globl	_ZN7rocprim17ROCPRIM_400000_NS6detail17trampoline_kernelINS0_14default_configENS1_27scan_by_key_config_selectorIidEEZZNS1_16scan_by_key_implILNS1_25lookback_scan_determinismE0ELb1ES3_N6thrust23THRUST_200600_302600_NS6detail15normal_iteratorINS9_10device_ptrIiEEEENSB_INSC_IdEEEESG_dNS9_4plusIvEENS9_8equal_toIvEEdEE10hipError_tPvRmT2_T3_T4_T5_mT6_T7_P12ihipStream_tbENKUlT_T0_E_clISt17integral_constantIbLb1EES11_EEDaSW_SX_EUlSW_E_NS1_11comp_targetILNS1_3genE10ELNS1_11target_archE1201ELNS1_3gpuE5ELNS1_3repE0EEENS1_30default_config_static_selectorELNS0_4arch9wavefront6targetE1EEEvT1_
	.p2align	8
	.type	_ZN7rocprim17ROCPRIM_400000_NS6detail17trampoline_kernelINS0_14default_configENS1_27scan_by_key_config_selectorIidEEZZNS1_16scan_by_key_implILNS1_25lookback_scan_determinismE0ELb1ES3_N6thrust23THRUST_200600_302600_NS6detail15normal_iteratorINS9_10device_ptrIiEEEENSB_INSC_IdEEEESG_dNS9_4plusIvEENS9_8equal_toIvEEdEE10hipError_tPvRmT2_T3_T4_T5_mT6_T7_P12ihipStream_tbENKUlT_T0_E_clISt17integral_constantIbLb1EES11_EEDaSW_SX_EUlSW_E_NS1_11comp_targetILNS1_3genE10ELNS1_11target_archE1201ELNS1_3gpuE5ELNS1_3repE0EEENS1_30default_config_static_selectorELNS0_4arch9wavefront6targetE1EEEvT1_,@function
_ZN7rocprim17ROCPRIM_400000_NS6detail17trampoline_kernelINS0_14default_configENS1_27scan_by_key_config_selectorIidEEZZNS1_16scan_by_key_implILNS1_25lookback_scan_determinismE0ELb1ES3_N6thrust23THRUST_200600_302600_NS6detail15normal_iteratorINS9_10device_ptrIiEEEENSB_INSC_IdEEEESG_dNS9_4plusIvEENS9_8equal_toIvEEdEE10hipError_tPvRmT2_T3_T4_T5_mT6_T7_P12ihipStream_tbENKUlT_T0_E_clISt17integral_constantIbLb1EES11_EEDaSW_SX_EUlSW_E_NS1_11comp_targetILNS1_3genE10ELNS1_11target_archE1201ELNS1_3gpuE5ELNS1_3repE0EEENS1_30default_config_static_selectorELNS0_4arch9wavefront6targetE1EEEvT1_: ; @_ZN7rocprim17ROCPRIM_400000_NS6detail17trampoline_kernelINS0_14default_configENS1_27scan_by_key_config_selectorIidEEZZNS1_16scan_by_key_implILNS1_25lookback_scan_determinismE0ELb1ES3_N6thrust23THRUST_200600_302600_NS6detail15normal_iteratorINS9_10device_ptrIiEEEENSB_INSC_IdEEEESG_dNS9_4plusIvEENS9_8equal_toIvEEdEE10hipError_tPvRmT2_T3_T4_T5_mT6_T7_P12ihipStream_tbENKUlT_T0_E_clISt17integral_constantIbLb1EES11_EEDaSW_SX_EUlSW_E_NS1_11comp_targetILNS1_3genE10ELNS1_11target_archE1201ELNS1_3gpuE5ELNS1_3repE0EEENS1_30default_config_static_selectorELNS0_4arch9wavefront6targetE1EEEvT1_
; %bb.0:
	.section	.rodata,"a",@progbits
	.p2align	6, 0x0
	.amdhsa_kernel _ZN7rocprim17ROCPRIM_400000_NS6detail17trampoline_kernelINS0_14default_configENS1_27scan_by_key_config_selectorIidEEZZNS1_16scan_by_key_implILNS1_25lookback_scan_determinismE0ELb1ES3_N6thrust23THRUST_200600_302600_NS6detail15normal_iteratorINS9_10device_ptrIiEEEENSB_INSC_IdEEEESG_dNS9_4plusIvEENS9_8equal_toIvEEdEE10hipError_tPvRmT2_T3_T4_T5_mT6_T7_P12ihipStream_tbENKUlT_T0_E_clISt17integral_constantIbLb1EES11_EEDaSW_SX_EUlSW_E_NS1_11comp_targetILNS1_3genE10ELNS1_11target_archE1201ELNS1_3gpuE5ELNS1_3repE0EEENS1_30default_config_static_selectorELNS0_4arch9wavefront6targetE1EEEvT1_
		.amdhsa_group_segment_fixed_size 0
		.amdhsa_private_segment_fixed_size 0
		.amdhsa_kernarg_size 136
		.amdhsa_user_sgpr_count 6
		.amdhsa_user_sgpr_private_segment_buffer 1
		.amdhsa_user_sgpr_dispatch_ptr 0
		.amdhsa_user_sgpr_queue_ptr 0
		.amdhsa_user_sgpr_kernarg_segment_ptr 1
		.amdhsa_user_sgpr_dispatch_id 0
		.amdhsa_user_sgpr_flat_scratch_init 0
		.amdhsa_user_sgpr_kernarg_preload_length 0
		.amdhsa_user_sgpr_kernarg_preload_offset 0
		.amdhsa_user_sgpr_private_segment_size 0
		.amdhsa_uses_dynamic_stack 0
		.amdhsa_system_sgpr_private_segment_wavefront_offset 0
		.amdhsa_system_sgpr_workgroup_id_x 1
		.amdhsa_system_sgpr_workgroup_id_y 0
		.amdhsa_system_sgpr_workgroup_id_z 0
		.amdhsa_system_sgpr_workgroup_info 0
		.amdhsa_system_vgpr_workitem_id 0
		.amdhsa_next_free_vgpr 1
		.amdhsa_next_free_sgpr 0
		.amdhsa_accum_offset 4
		.amdhsa_reserve_vcc 0
		.amdhsa_reserve_flat_scratch 0
		.amdhsa_float_round_mode_32 0
		.amdhsa_float_round_mode_16_64 0
		.amdhsa_float_denorm_mode_32 3
		.amdhsa_float_denorm_mode_16_64 3
		.amdhsa_dx10_clamp 1
		.amdhsa_ieee_mode 1
		.amdhsa_fp16_overflow 0
		.amdhsa_tg_split 0
		.amdhsa_exception_fp_ieee_invalid_op 0
		.amdhsa_exception_fp_denorm_src 0
		.amdhsa_exception_fp_ieee_div_zero 0
		.amdhsa_exception_fp_ieee_overflow 0
		.amdhsa_exception_fp_ieee_underflow 0
		.amdhsa_exception_fp_ieee_inexact 0
		.amdhsa_exception_int_div_zero 0
	.end_amdhsa_kernel
	.section	.text._ZN7rocprim17ROCPRIM_400000_NS6detail17trampoline_kernelINS0_14default_configENS1_27scan_by_key_config_selectorIidEEZZNS1_16scan_by_key_implILNS1_25lookback_scan_determinismE0ELb1ES3_N6thrust23THRUST_200600_302600_NS6detail15normal_iteratorINS9_10device_ptrIiEEEENSB_INSC_IdEEEESG_dNS9_4plusIvEENS9_8equal_toIvEEdEE10hipError_tPvRmT2_T3_T4_T5_mT6_T7_P12ihipStream_tbENKUlT_T0_E_clISt17integral_constantIbLb1EES11_EEDaSW_SX_EUlSW_E_NS1_11comp_targetILNS1_3genE10ELNS1_11target_archE1201ELNS1_3gpuE5ELNS1_3repE0EEENS1_30default_config_static_selectorELNS0_4arch9wavefront6targetE1EEEvT1_,"axG",@progbits,_ZN7rocprim17ROCPRIM_400000_NS6detail17trampoline_kernelINS0_14default_configENS1_27scan_by_key_config_selectorIidEEZZNS1_16scan_by_key_implILNS1_25lookback_scan_determinismE0ELb1ES3_N6thrust23THRUST_200600_302600_NS6detail15normal_iteratorINS9_10device_ptrIiEEEENSB_INSC_IdEEEESG_dNS9_4plusIvEENS9_8equal_toIvEEdEE10hipError_tPvRmT2_T3_T4_T5_mT6_T7_P12ihipStream_tbENKUlT_T0_E_clISt17integral_constantIbLb1EES11_EEDaSW_SX_EUlSW_E_NS1_11comp_targetILNS1_3genE10ELNS1_11target_archE1201ELNS1_3gpuE5ELNS1_3repE0EEENS1_30default_config_static_selectorELNS0_4arch9wavefront6targetE1EEEvT1_,comdat
.Lfunc_end1401:
	.size	_ZN7rocprim17ROCPRIM_400000_NS6detail17trampoline_kernelINS0_14default_configENS1_27scan_by_key_config_selectorIidEEZZNS1_16scan_by_key_implILNS1_25lookback_scan_determinismE0ELb1ES3_N6thrust23THRUST_200600_302600_NS6detail15normal_iteratorINS9_10device_ptrIiEEEENSB_INSC_IdEEEESG_dNS9_4plusIvEENS9_8equal_toIvEEdEE10hipError_tPvRmT2_T3_T4_T5_mT6_T7_P12ihipStream_tbENKUlT_T0_E_clISt17integral_constantIbLb1EES11_EEDaSW_SX_EUlSW_E_NS1_11comp_targetILNS1_3genE10ELNS1_11target_archE1201ELNS1_3gpuE5ELNS1_3repE0EEENS1_30default_config_static_selectorELNS0_4arch9wavefront6targetE1EEEvT1_, .Lfunc_end1401-_ZN7rocprim17ROCPRIM_400000_NS6detail17trampoline_kernelINS0_14default_configENS1_27scan_by_key_config_selectorIidEEZZNS1_16scan_by_key_implILNS1_25lookback_scan_determinismE0ELb1ES3_N6thrust23THRUST_200600_302600_NS6detail15normal_iteratorINS9_10device_ptrIiEEEENSB_INSC_IdEEEESG_dNS9_4plusIvEENS9_8equal_toIvEEdEE10hipError_tPvRmT2_T3_T4_T5_mT6_T7_P12ihipStream_tbENKUlT_T0_E_clISt17integral_constantIbLb1EES11_EEDaSW_SX_EUlSW_E_NS1_11comp_targetILNS1_3genE10ELNS1_11target_archE1201ELNS1_3gpuE5ELNS1_3repE0EEENS1_30default_config_static_selectorELNS0_4arch9wavefront6targetE1EEEvT1_
                                        ; -- End function
	.section	.AMDGPU.csdata,"",@progbits
; Kernel info:
; codeLenInByte = 0
; NumSgprs: 4
; NumVgprs: 0
; NumAgprs: 0
; TotalNumVgprs: 0
; ScratchSize: 0
; MemoryBound: 0
; FloatMode: 240
; IeeeMode: 1
; LDSByteSize: 0 bytes/workgroup (compile time only)
; SGPRBlocks: 0
; VGPRBlocks: 0
; NumSGPRsForWavesPerEU: 4
; NumVGPRsForWavesPerEU: 1
; AccumOffset: 4
; Occupancy: 8
; WaveLimiterHint : 0
; COMPUTE_PGM_RSRC2:SCRATCH_EN: 0
; COMPUTE_PGM_RSRC2:USER_SGPR: 6
; COMPUTE_PGM_RSRC2:TRAP_HANDLER: 0
; COMPUTE_PGM_RSRC2:TGID_X_EN: 1
; COMPUTE_PGM_RSRC2:TGID_Y_EN: 0
; COMPUTE_PGM_RSRC2:TGID_Z_EN: 0
; COMPUTE_PGM_RSRC2:TIDIG_COMP_CNT: 0
; COMPUTE_PGM_RSRC3_GFX90A:ACCUM_OFFSET: 0
; COMPUTE_PGM_RSRC3_GFX90A:TG_SPLIT: 0
	.section	.text._ZN7rocprim17ROCPRIM_400000_NS6detail17trampoline_kernelINS0_14default_configENS1_27scan_by_key_config_selectorIidEEZZNS1_16scan_by_key_implILNS1_25lookback_scan_determinismE0ELb1ES3_N6thrust23THRUST_200600_302600_NS6detail15normal_iteratorINS9_10device_ptrIiEEEENSB_INSC_IdEEEESG_dNS9_4plusIvEENS9_8equal_toIvEEdEE10hipError_tPvRmT2_T3_T4_T5_mT6_T7_P12ihipStream_tbENKUlT_T0_E_clISt17integral_constantIbLb1EES11_EEDaSW_SX_EUlSW_E_NS1_11comp_targetILNS1_3genE5ELNS1_11target_archE942ELNS1_3gpuE9ELNS1_3repE0EEENS1_30default_config_static_selectorELNS0_4arch9wavefront6targetE1EEEvT1_,"axG",@progbits,_ZN7rocprim17ROCPRIM_400000_NS6detail17trampoline_kernelINS0_14default_configENS1_27scan_by_key_config_selectorIidEEZZNS1_16scan_by_key_implILNS1_25lookback_scan_determinismE0ELb1ES3_N6thrust23THRUST_200600_302600_NS6detail15normal_iteratorINS9_10device_ptrIiEEEENSB_INSC_IdEEEESG_dNS9_4plusIvEENS9_8equal_toIvEEdEE10hipError_tPvRmT2_T3_T4_T5_mT6_T7_P12ihipStream_tbENKUlT_T0_E_clISt17integral_constantIbLb1EES11_EEDaSW_SX_EUlSW_E_NS1_11comp_targetILNS1_3genE5ELNS1_11target_archE942ELNS1_3gpuE9ELNS1_3repE0EEENS1_30default_config_static_selectorELNS0_4arch9wavefront6targetE1EEEvT1_,comdat
	.protected	_ZN7rocprim17ROCPRIM_400000_NS6detail17trampoline_kernelINS0_14default_configENS1_27scan_by_key_config_selectorIidEEZZNS1_16scan_by_key_implILNS1_25lookback_scan_determinismE0ELb1ES3_N6thrust23THRUST_200600_302600_NS6detail15normal_iteratorINS9_10device_ptrIiEEEENSB_INSC_IdEEEESG_dNS9_4plusIvEENS9_8equal_toIvEEdEE10hipError_tPvRmT2_T3_T4_T5_mT6_T7_P12ihipStream_tbENKUlT_T0_E_clISt17integral_constantIbLb1EES11_EEDaSW_SX_EUlSW_E_NS1_11comp_targetILNS1_3genE5ELNS1_11target_archE942ELNS1_3gpuE9ELNS1_3repE0EEENS1_30default_config_static_selectorELNS0_4arch9wavefront6targetE1EEEvT1_ ; -- Begin function _ZN7rocprim17ROCPRIM_400000_NS6detail17trampoline_kernelINS0_14default_configENS1_27scan_by_key_config_selectorIidEEZZNS1_16scan_by_key_implILNS1_25lookback_scan_determinismE0ELb1ES3_N6thrust23THRUST_200600_302600_NS6detail15normal_iteratorINS9_10device_ptrIiEEEENSB_INSC_IdEEEESG_dNS9_4plusIvEENS9_8equal_toIvEEdEE10hipError_tPvRmT2_T3_T4_T5_mT6_T7_P12ihipStream_tbENKUlT_T0_E_clISt17integral_constantIbLb1EES11_EEDaSW_SX_EUlSW_E_NS1_11comp_targetILNS1_3genE5ELNS1_11target_archE942ELNS1_3gpuE9ELNS1_3repE0EEENS1_30default_config_static_selectorELNS0_4arch9wavefront6targetE1EEEvT1_
	.globl	_ZN7rocprim17ROCPRIM_400000_NS6detail17trampoline_kernelINS0_14default_configENS1_27scan_by_key_config_selectorIidEEZZNS1_16scan_by_key_implILNS1_25lookback_scan_determinismE0ELb1ES3_N6thrust23THRUST_200600_302600_NS6detail15normal_iteratorINS9_10device_ptrIiEEEENSB_INSC_IdEEEESG_dNS9_4plusIvEENS9_8equal_toIvEEdEE10hipError_tPvRmT2_T3_T4_T5_mT6_T7_P12ihipStream_tbENKUlT_T0_E_clISt17integral_constantIbLb1EES11_EEDaSW_SX_EUlSW_E_NS1_11comp_targetILNS1_3genE5ELNS1_11target_archE942ELNS1_3gpuE9ELNS1_3repE0EEENS1_30default_config_static_selectorELNS0_4arch9wavefront6targetE1EEEvT1_
	.p2align	8
	.type	_ZN7rocprim17ROCPRIM_400000_NS6detail17trampoline_kernelINS0_14default_configENS1_27scan_by_key_config_selectorIidEEZZNS1_16scan_by_key_implILNS1_25lookback_scan_determinismE0ELb1ES3_N6thrust23THRUST_200600_302600_NS6detail15normal_iteratorINS9_10device_ptrIiEEEENSB_INSC_IdEEEESG_dNS9_4plusIvEENS9_8equal_toIvEEdEE10hipError_tPvRmT2_T3_T4_T5_mT6_T7_P12ihipStream_tbENKUlT_T0_E_clISt17integral_constantIbLb1EES11_EEDaSW_SX_EUlSW_E_NS1_11comp_targetILNS1_3genE5ELNS1_11target_archE942ELNS1_3gpuE9ELNS1_3repE0EEENS1_30default_config_static_selectorELNS0_4arch9wavefront6targetE1EEEvT1_,@function
_ZN7rocprim17ROCPRIM_400000_NS6detail17trampoline_kernelINS0_14default_configENS1_27scan_by_key_config_selectorIidEEZZNS1_16scan_by_key_implILNS1_25lookback_scan_determinismE0ELb1ES3_N6thrust23THRUST_200600_302600_NS6detail15normal_iteratorINS9_10device_ptrIiEEEENSB_INSC_IdEEEESG_dNS9_4plusIvEENS9_8equal_toIvEEdEE10hipError_tPvRmT2_T3_T4_T5_mT6_T7_P12ihipStream_tbENKUlT_T0_E_clISt17integral_constantIbLb1EES11_EEDaSW_SX_EUlSW_E_NS1_11comp_targetILNS1_3genE5ELNS1_11target_archE942ELNS1_3gpuE9ELNS1_3repE0EEENS1_30default_config_static_selectorELNS0_4arch9wavefront6targetE1EEEvT1_: ; @_ZN7rocprim17ROCPRIM_400000_NS6detail17trampoline_kernelINS0_14default_configENS1_27scan_by_key_config_selectorIidEEZZNS1_16scan_by_key_implILNS1_25lookback_scan_determinismE0ELb1ES3_N6thrust23THRUST_200600_302600_NS6detail15normal_iteratorINS9_10device_ptrIiEEEENSB_INSC_IdEEEESG_dNS9_4plusIvEENS9_8equal_toIvEEdEE10hipError_tPvRmT2_T3_T4_T5_mT6_T7_P12ihipStream_tbENKUlT_T0_E_clISt17integral_constantIbLb1EES11_EEDaSW_SX_EUlSW_E_NS1_11comp_targetILNS1_3genE5ELNS1_11target_archE942ELNS1_3gpuE9ELNS1_3repE0EEENS1_30default_config_static_selectorELNS0_4arch9wavefront6targetE1EEEvT1_
; %bb.0:
	.section	.rodata,"a",@progbits
	.p2align	6, 0x0
	.amdhsa_kernel _ZN7rocprim17ROCPRIM_400000_NS6detail17trampoline_kernelINS0_14default_configENS1_27scan_by_key_config_selectorIidEEZZNS1_16scan_by_key_implILNS1_25lookback_scan_determinismE0ELb1ES3_N6thrust23THRUST_200600_302600_NS6detail15normal_iteratorINS9_10device_ptrIiEEEENSB_INSC_IdEEEESG_dNS9_4plusIvEENS9_8equal_toIvEEdEE10hipError_tPvRmT2_T3_T4_T5_mT6_T7_P12ihipStream_tbENKUlT_T0_E_clISt17integral_constantIbLb1EES11_EEDaSW_SX_EUlSW_E_NS1_11comp_targetILNS1_3genE5ELNS1_11target_archE942ELNS1_3gpuE9ELNS1_3repE0EEENS1_30default_config_static_selectorELNS0_4arch9wavefront6targetE1EEEvT1_
		.amdhsa_group_segment_fixed_size 0
		.amdhsa_private_segment_fixed_size 0
		.amdhsa_kernarg_size 136
		.amdhsa_user_sgpr_count 6
		.amdhsa_user_sgpr_private_segment_buffer 1
		.amdhsa_user_sgpr_dispatch_ptr 0
		.amdhsa_user_sgpr_queue_ptr 0
		.amdhsa_user_sgpr_kernarg_segment_ptr 1
		.amdhsa_user_sgpr_dispatch_id 0
		.amdhsa_user_sgpr_flat_scratch_init 0
		.amdhsa_user_sgpr_kernarg_preload_length 0
		.amdhsa_user_sgpr_kernarg_preload_offset 0
		.amdhsa_user_sgpr_private_segment_size 0
		.amdhsa_uses_dynamic_stack 0
		.amdhsa_system_sgpr_private_segment_wavefront_offset 0
		.amdhsa_system_sgpr_workgroup_id_x 1
		.amdhsa_system_sgpr_workgroup_id_y 0
		.amdhsa_system_sgpr_workgroup_id_z 0
		.amdhsa_system_sgpr_workgroup_info 0
		.amdhsa_system_vgpr_workitem_id 0
		.amdhsa_next_free_vgpr 1
		.amdhsa_next_free_sgpr 0
		.amdhsa_accum_offset 4
		.amdhsa_reserve_vcc 0
		.amdhsa_reserve_flat_scratch 0
		.amdhsa_float_round_mode_32 0
		.amdhsa_float_round_mode_16_64 0
		.amdhsa_float_denorm_mode_32 3
		.amdhsa_float_denorm_mode_16_64 3
		.amdhsa_dx10_clamp 1
		.amdhsa_ieee_mode 1
		.amdhsa_fp16_overflow 0
		.amdhsa_tg_split 0
		.amdhsa_exception_fp_ieee_invalid_op 0
		.amdhsa_exception_fp_denorm_src 0
		.amdhsa_exception_fp_ieee_div_zero 0
		.amdhsa_exception_fp_ieee_overflow 0
		.amdhsa_exception_fp_ieee_underflow 0
		.amdhsa_exception_fp_ieee_inexact 0
		.amdhsa_exception_int_div_zero 0
	.end_amdhsa_kernel
	.section	.text._ZN7rocprim17ROCPRIM_400000_NS6detail17trampoline_kernelINS0_14default_configENS1_27scan_by_key_config_selectorIidEEZZNS1_16scan_by_key_implILNS1_25lookback_scan_determinismE0ELb1ES3_N6thrust23THRUST_200600_302600_NS6detail15normal_iteratorINS9_10device_ptrIiEEEENSB_INSC_IdEEEESG_dNS9_4plusIvEENS9_8equal_toIvEEdEE10hipError_tPvRmT2_T3_T4_T5_mT6_T7_P12ihipStream_tbENKUlT_T0_E_clISt17integral_constantIbLb1EES11_EEDaSW_SX_EUlSW_E_NS1_11comp_targetILNS1_3genE5ELNS1_11target_archE942ELNS1_3gpuE9ELNS1_3repE0EEENS1_30default_config_static_selectorELNS0_4arch9wavefront6targetE1EEEvT1_,"axG",@progbits,_ZN7rocprim17ROCPRIM_400000_NS6detail17trampoline_kernelINS0_14default_configENS1_27scan_by_key_config_selectorIidEEZZNS1_16scan_by_key_implILNS1_25lookback_scan_determinismE0ELb1ES3_N6thrust23THRUST_200600_302600_NS6detail15normal_iteratorINS9_10device_ptrIiEEEENSB_INSC_IdEEEESG_dNS9_4plusIvEENS9_8equal_toIvEEdEE10hipError_tPvRmT2_T3_T4_T5_mT6_T7_P12ihipStream_tbENKUlT_T0_E_clISt17integral_constantIbLb1EES11_EEDaSW_SX_EUlSW_E_NS1_11comp_targetILNS1_3genE5ELNS1_11target_archE942ELNS1_3gpuE9ELNS1_3repE0EEENS1_30default_config_static_selectorELNS0_4arch9wavefront6targetE1EEEvT1_,comdat
.Lfunc_end1402:
	.size	_ZN7rocprim17ROCPRIM_400000_NS6detail17trampoline_kernelINS0_14default_configENS1_27scan_by_key_config_selectorIidEEZZNS1_16scan_by_key_implILNS1_25lookback_scan_determinismE0ELb1ES3_N6thrust23THRUST_200600_302600_NS6detail15normal_iteratorINS9_10device_ptrIiEEEENSB_INSC_IdEEEESG_dNS9_4plusIvEENS9_8equal_toIvEEdEE10hipError_tPvRmT2_T3_T4_T5_mT6_T7_P12ihipStream_tbENKUlT_T0_E_clISt17integral_constantIbLb1EES11_EEDaSW_SX_EUlSW_E_NS1_11comp_targetILNS1_3genE5ELNS1_11target_archE942ELNS1_3gpuE9ELNS1_3repE0EEENS1_30default_config_static_selectorELNS0_4arch9wavefront6targetE1EEEvT1_, .Lfunc_end1402-_ZN7rocprim17ROCPRIM_400000_NS6detail17trampoline_kernelINS0_14default_configENS1_27scan_by_key_config_selectorIidEEZZNS1_16scan_by_key_implILNS1_25lookback_scan_determinismE0ELb1ES3_N6thrust23THRUST_200600_302600_NS6detail15normal_iteratorINS9_10device_ptrIiEEEENSB_INSC_IdEEEESG_dNS9_4plusIvEENS9_8equal_toIvEEdEE10hipError_tPvRmT2_T3_T4_T5_mT6_T7_P12ihipStream_tbENKUlT_T0_E_clISt17integral_constantIbLb1EES11_EEDaSW_SX_EUlSW_E_NS1_11comp_targetILNS1_3genE5ELNS1_11target_archE942ELNS1_3gpuE9ELNS1_3repE0EEENS1_30default_config_static_selectorELNS0_4arch9wavefront6targetE1EEEvT1_
                                        ; -- End function
	.section	.AMDGPU.csdata,"",@progbits
; Kernel info:
; codeLenInByte = 0
; NumSgprs: 4
; NumVgprs: 0
; NumAgprs: 0
; TotalNumVgprs: 0
; ScratchSize: 0
; MemoryBound: 0
; FloatMode: 240
; IeeeMode: 1
; LDSByteSize: 0 bytes/workgroup (compile time only)
; SGPRBlocks: 0
; VGPRBlocks: 0
; NumSGPRsForWavesPerEU: 4
; NumVGPRsForWavesPerEU: 1
; AccumOffset: 4
; Occupancy: 8
; WaveLimiterHint : 0
; COMPUTE_PGM_RSRC2:SCRATCH_EN: 0
; COMPUTE_PGM_RSRC2:USER_SGPR: 6
; COMPUTE_PGM_RSRC2:TRAP_HANDLER: 0
; COMPUTE_PGM_RSRC2:TGID_X_EN: 1
; COMPUTE_PGM_RSRC2:TGID_Y_EN: 0
; COMPUTE_PGM_RSRC2:TGID_Z_EN: 0
; COMPUTE_PGM_RSRC2:TIDIG_COMP_CNT: 0
; COMPUTE_PGM_RSRC3_GFX90A:ACCUM_OFFSET: 0
; COMPUTE_PGM_RSRC3_GFX90A:TG_SPLIT: 0
	.section	.text._ZN7rocprim17ROCPRIM_400000_NS6detail17trampoline_kernelINS0_14default_configENS1_27scan_by_key_config_selectorIidEEZZNS1_16scan_by_key_implILNS1_25lookback_scan_determinismE0ELb1ES3_N6thrust23THRUST_200600_302600_NS6detail15normal_iteratorINS9_10device_ptrIiEEEENSB_INSC_IdEEEESG_dNS9_4plusIvEENS9_8equal_toIvEEdEE10hipError_tPvRmT2_T3_T4_T5_mT6_T7_P12ihipStream_tbENKUlT_T0_E_clISt17integral_constantIbLb1EES11_EEDaSW_SX_EUlSW_E_NS1_11comp_targetILNS1_3genE4ELNS1_11target_archE910ELNS1_3gpuE8ELNS1_3repE0EEENS1_30default_config_static_selectorELNS0_4arch9wavefront6targetE1EEEvT1_,"axG",@progbits,_ZN7rocprim17ROCPRIM_400000_NS6detail17trampoline_kernelINS0_14default_configENS1_27scan_by_key_config_selectorIidEEZZNS1_16scan_by_key_implILNS1_25lookback_scan_determinismE0ELb1ES3_N6thrust23THRUST_200600_302600_NS6detail15normal_iteratorINS9_10device_ptrIiEEEENSB_INSC_IdEEEESG_dNS9_4plusIvEENS9_8equal_toIvEEdEE10hipError_tPvRmT2_T3_T4_T5_mT6_T7_P12ihipStream_tbENKUlT_T0_E_clISt17integral_constantIbLb1EES11_EEDaSW_SX_EUlSW_E_NS1_11comp_targetILNS1_3genE4ELNS1_11target_archE910ELNS1_3gpuE8ELNS1_3repE0EEENS1_30default_config_static_selectorELNS0_4arch9wavefront6targetE1EEEvT1_,comdat
	.protected	_ZN7rocprim17ROCPRIM_400000_NS6detail17trampoline_kernelINS0_14default_configENS1_27scan_by_key_config_selectorIidEEZZNS1_16scan_by_key_implILNS1_25lookback_scan_determinismE0ELb1ES3_N6thrust23THRUST_200600_302600_NS6detail15normal_iteratorINS9_10device_ptrIiEEEENSB_INSC_IdEEEESG_dNS9_4plusIvEENS9_8equal_toIvEEdEE10hipError_tPvRmT2_T3_T4_T5_mT6_T7_P12ihipStream_tbENKUlT_T0_E_clISt17integral_constantIbLb1EES11_EEDaSW_SX_EUlSW_E_NS1_11comp_targetILNS1_3genE4ELNS1_11target_archE910ELNS1_3gpuE8ELNS1_3repE0EEENS1_30default_config_static_selectorELNS0_4arch9wavefront6targetE1EEEvT1_ ; -- Begin function _ZN7rocprim17ROCPRIM_400000_NS6detail17trampoline_kernelINS0_14default_configENS1_27scan_by_key_config_selectorIidEEZZNS1_16scan_by_key_implILNS1_25lookback_scan_determinismE0ELb1ES3_N6thrust23THRUST_200600_302600_NS6detail15normal_iteratorINS9_10device_ptrIiEEEENSB_INSC_IdEEEESG_dNS9_4plusIvEENS9_8equal_toIvEEdEE10hipError_tPvRmT2_T3_T4_T5_mT6_T7_P12ihipStream_tbENKUlT_T0_E_clISt17integral_constantIbLb1EES11_EEDaSW_SX_EUlSW_E_NS1_11comp_targetILNS1_3genE4ELNS1_11target_archE910ELNS1_3gpuE8ELNS1_3repE0EEENS1_30default_config_static_selectorELNS0_4arch9wavefront6targetE1EEEvT1_
	.globl	_ZN7rocprim17ROCPRIM_400000_NS6detail17trampoline_kernelINS0_14default_configENS1_27scan_by_key_config_selectorIidEEZZNS1_16scan_by_key_implILNS1_25lookback_scan_determinismE0ELb1ES3_N6thrust23THRUST_200600_302600_NS6detail15normal_iteratorINS9_10device_ptrIiEEEENSB_INSC_IdEEEESG_dNS9_4plusIvEENS9_8equal_toIvEEdEE10hipError_tPvRmT2_T3_T4_T5_mT6_T7_P12ihipStream_tbENKUlT_T0_E_clISt17integral_constantIbLb1EES11_EEDaSW_SX_EUlSW_E_NS1_11comp_targetILNS1_3genE4ELNS1_11target_archE910ELNS1_3gpuE8ELNS1_3repE0EEENS1_30default_config_static_selectorELNS0_4arch9wavefront6targetE1EEEvT1_
	.p2align	8
	.type	_ZN7rocprim17ROCPRIM_400000_NS6detail17trampoline_kernelINS0_14default_configENS1_27scan_by_key_config_selectorIidEEZZNS1_16scan_by_key_implILNS1_25lookback_scan_determinismE0ELb1ES3_N6thrust23THRUST_200600_302600_NS6detail15normal_iteratorINS9_10device_ptrIiEEEENSB_INSC_IdEEEESG_dNS9_4plusIvEENS9_8equal_toIvEEdEE10hipError_tPvRmT2_T3_T4_T5_mT6_T7_P12ihipStream_tbENKUlT_T0_E_clISt17integral_constantIbLb1EES11_EEDaSW_SX_EUlSW_E_NS1_11comp_targetILNS1_3genE4ELNS1_11target_archE910ELNS1_3gpuE8ELNS1_3repE0EEENS1_30default_config_static_selectorELNS0_4arch9wavefront6targetE1EEEvT1_,@function
_ZN7rocprim17ROCPRIM_400000_NS6detail17trampoline_kernelINS0_14default_configENS1_27scan_by_key_config_selectorIidEEZZNS1_16scan_by_key_implILNS1_25lookback_scan_determinismE0ELb1ES3_N6thrust23THRUST_200600_302600_NS6detail15normal_iteratorINS9_10device_ptrIiEEEENSB_INSC_IdEEEESG_dNS9_4plusIvEENS9_8equal_toIvEEdEE10hipError_tPvRmT2_T3_T4_T5_mT6_T7_P12ihipStream_tbENKUlT_T0_E_clISt17integral_constantIbLb1EES11_EEDaSW_SX_EUlSW_E_NS1_11comp_targetILNS1_3genE4ELNS1_11target_archE910ELNS1_3gpuE8ELNS1_3repE0EEENS1_30default_config_static_selectorELNS0_4arch9wavefront6targetE1EEEvT1_: ; @_ZN7rocprim17ROCPRIM_400000_NS6detail17trampoline_kernelINS0_14default_configENS1_27scan_by_key_config_selectorIidEEZZNS1_16scan_by_key_implILNS1_25lookback_scan_determinismE0ELb1ES3_N6thrust23THRUST_200600_302600_NS6detail15normal_iteratorINS9_10device_ptrIiEEEENSB_INSC_IdEEEESG_dNS9_4plusIvEENS9_8equal_toIvEEdEE10hipError_tPvRmT2_T3_T4_T5_mT6_T7_P12ihipStream_tbENKUlT_T0_E_clISt17integral_constantIbLb1EES11_EEDaSW_SX_EUlSW_E_NS1_11comp_targetILNS1_3genE4ELNS1_11target_archE910ELNS1_3gpuE8ELNS1_3repE0EEENS1_30default_config_static_selectorELNS0_4arch9wavefront6targetE1EEEvT1_
; %bb.0:
	s_load_dwordx8 s[56:63], s[4:5], 0x0
	s_load_dwordx2 s[68:69], s[4:5], 0x20
	s_load_dwordx8 s[48:55], s[4:5], 0x30
	s_load_dwordx2 s[70:71], s[4:5], 0x50
	v_cmp_eq_u32_e64 s[2:3], 0, v0
	s_and_saveexec_b64 s[0:1], s[2:3]
	s_cbranch_execz .LBB1403_4
; %bb.1:
	s_mov_b64 s[8:9], exec
	v_mbcnt_lo_u32_b32 v1, s8, 0
	v_mbcnt_hi_u32_b32 v1, s9, v1
	v_cmp_eq_u32_e32 vcc, 0, v1
                                        ; implicit-def: $vgpr2
	s_and_saveexec_b64 s[6:7], vcc
	s_cbranch_execz .LBB1403_3
; %bb.2:
	s_load_dwordx2 s[10:11], s[4:5], 0x80
	s_bcnt1_i32_b64 s8, s[8:9]
	v_mov_b32_e32 v2, 0
	v_mov_b32_e32 v3, s8
	s_waitcnt lgkmcnt(0)
	global_atomic_add v2, v2, v3, s[10:11] glc
.LBB1403_3:
	s_or_b64 exec, exec, s[6:7]
	s_waitcnt vmcnt(0)
	v_readfirstlane_b32 s6, v2
	v_add_u32_e32 v1, s6, v1
	v_mov_b32_e32 v2, 0
	ds_write_b32 v2, v1
.LBB1403_4:
	s_or_b64 exec, exec, s[0:1]
	s_load_dword s0, s[4:5], 0x58
	s_load_dwordx4 s[64:67], s[4:5], 0x60
	v_mov_b32_e32 v3, 0
	s_waitcnt lgkmcnt(0)
	s_lshl_b64 s[4:5], s[58:59], 2
	s_waitcnt lgkmcnt(0)
	; wave barrier
	ds_read_b32 v1, v3
	s_add_u32 s1, s56, s4
	s_addc_u32 s4, s57, s5
	s_lshl_b64 s[56:57], s[58:59], 3
	s_add_u32 s5, s60, s56
	s_mul_i32 s7, s71, s0
	s_mul_hi_u32 s8, s70, s0
	s_addc_u32 s6, s61, s57
	s_add_i32 s7, s8, s7
	s_movk_i32 s8, 0x540
	s_waitcnt lgkmcnt(0)
	v_mul_lo_u32 v2, v1, s8
	v_lshlrev_b64 v[4:5], 2, v[2:3]
	v_mov_b32_e32 v7, s4
	v_add_co_u32_e32 v6, vcc, s1, v4
	v_addc_co_u32_e32 v7, vcc, v7, v5, vcc
	v_lshlrev_b64 v[42:43], 3, v[2:3]
	v_mov_b32_e32 v2, s6
	v_add_co_u32_e32 v86, vcc, s5, v42
	s_mul_i32 s0, s70, s0
	v_addc_co_u32_e32 v87, vcc, v2, v43, vcc
	v_mov_b32_e32 v3, s7
	v_add_co_u32_e32 v2, vcc, s0, v1
	s_add_u32 s6, s64, -1
	v_addc_co_u32_e32 v3, vcc, 0, v3, vcc
	s_addc_u32 s7, s65, -1
	v_cmp_le_u64_e64 s[0:1], s[6:7], v[2:3]
	v_readfirstlane_b32 s55, v1
	s_mov_b64 s[4:5], -1
	s_and_b64 vcc, exec, s[0:1]
	s_mul_i32 s33, s6, 0xfffffac0
	s_waitcnt lgkmcnt(0)
	; wave barrier
	s_waitcnt lgkmcnt(0)
	s_waitcnt lgkmcnt(0)
	; wave barrier
	s_cbranch_vccz .LBB1403_69
; %bb.5:
	flat_load_dword v2, v[6:7]
	s_add_i32 s64, s33, s54
	v_cmp_gt_u32_e32 vcc, s64, v0
	s_waitcnt vmcnt(0) lgkmcnt(0)
	v_mov_b32_e32 v3, v2
	s_and_saveexec_b64 s[6:7], vcc
	s_cbranch_execz .LBB1403_7
; %bb.6:
	v_lshlrev_b32_e32 v1, 2, v0
	v_add_co_u32_e64 v4, s[4:5], v6, v1
	v_addc_co_u32_e64 v5, s[4:5], 0, v7, s[4:5]
	flat_load_dword v3, v[4:5]
.LBB1403_7:
	s_or_b64 exec, exec, s[6:7]
	v_or_b32_e32 v1, 64, v0
	v_cmp_gt_u32_e64 s[4:5], s64, v1
	v_mov_b32_e32 v4, v2
	s_and_saveexec_b64 s[8:9], s[4:5]
	s_cbranch_execz .LBB1403_9
; %bb.8:
	v_lshlrev_b32_e32 v1, 2, v0
	v_add_co_u32_e64 v4, s[6:7], v6, v1
	v_addc_co_u32_e64 v5, s[6:7], 0, v7, s[6:7]
	flat_load_dword v4, v[4:5] offset:256
.LBB1403_9:
	s_or_b64 exec, exec, s[8:9]
	v_or_b32_e32 v1, 0x80, v0
	v_cmp_gt_u32_e64 s[6:7], s64, v1
	v_mov_b32_e32 v5, v2
	s_and_saveexec_b64 s[10:11], s[6:7]
	s_cbranch_execz .LBB1403_11
; %bb.10:
	v_lshlrev_b32_e32 v1, 2, v0
	v_add_co_u32_e64 v8, s[8:9], v6, v1
	v_addc_co_u32_e64 v9, s[8:9], 0, v7, s[8:9]
	flat_load_dword v5, v[8:9] offset:512
.LBB1403_11:
	;; [unrolled: 12-line block ×15, first 2 shown]
	s_or_b64 exec, exec, s[38:39]
	v_or_b32_e32 v60, 0x400, v0
	v_cmp_gt_u32_e64 s[36:37], s64, v60
	v_mov_b32_e32 v21, v2
	s_and_saveexec_b64 s[40:41], s[36:37]
	s_cbranch_execz .LBB1403_39
; %bb.38:
	v_lshlrev_b32_e32 v21, 2, v60
	v_add_co_u32_e64 v22, s[38:39], v6, v21
	v_addc_co_u32_e64 v23, s[38:39], 0, v7, s[38:39]
	flat_load_dword v21, v[22:23]
.LBB1403_39:
	s_or_b64 exec, exec, s[40:41]
	v_or_b32_e32 v62, 0x440, v0
	v_cmp_gt_u32_e64 s[38:39], s64, v62
	v_mov_b32_e32 v22, v2
	s_and_saveexec_b64 s[42:43], s[38:39]
	s_cbranch_execz .LBB1403_41
; %bb.40:
	v_lshlrev_b32_e32 v22, 2, v62
	v_add_co_u32_e64 v22, s[40:41], v6, v22
	v_addc_co_u32_e64 v23, s[40:41], 0, v7, s[40:41]
	flat_load_dword v22, v[22:23]
.LBB1403_41:
	;; [unrolled: 12-line block ×4, first 2 shown]
	s_or_b64 exec, exec, s[46:47]
	v_or_b32_e32 v68, 0x500, v0
	v_cmp_gt_u32_e64 s[44:45], s64, v68
	s_and_saveexec_b64 s[58:59], s[44:45]
	s_cbranch_execz .LBB1403_47
; %bb.46:
	v_lshlrev_b32_e32 v2, 2, v68
	v_add_co_u32_e64 v26, s[46:47], v6, v2
	v_addc_co_u32_e64 v27, s[46:47], 0, v7, s[46:47]
	flat_load_dword v2, v[26:27]
.LBB1403_47:
	s_or_b64 exec, exec, s[58:59]
	v_lshlrev_b32_e32 v28, 2, v0
	s_waitcnt vmcnt(0) lgkmcnt(0)
	ds_write2st64_b32 v28, v3, v4 offset1:1
	ds_write2st64_b32 v28, v5, v8 offset0:2 offset1:3
	ds_write2st64_b32 v28, v9, v10 offset0:4 offset1:5
	;; [unrolled: 1-line block ×9, first 2 shown]
	ds_write_b32 v28, v2 offset:5120
	s_waitcnt lgkmcnt(0)
	; wave barrier
	s_waitcnt lgkmcnt(0)
	flat_load_dword v84, v[6:7]
	s_movk_i32 s46, 0x50
	v_mad_u32_u24 v2, v0, s46, v28
	s_movk_i32 s46, 0xffb0
	v_mad_i32_i24 v69, v0, s46, v2
	v_cmp_ne_u32_e64 s[46:47], 63, v0
	ds_read_b32 v88, v2
	ds_read2_b32 v[26:27], v2 offset0:1 offset1:2
	ds_read2_b32 v[24:25], v2 offset0:3 offset1:4
	;; [unrolled: 1-line block ×10, first 2 shown]
	s_waitcnt lgkmcnt(0)
	ds_write_b32 v69, v88 offset:5632
	s_waitcnt lgkmcnt(0)
	; wave barrier
	s_waitcnt lgkmcnt(0)
	s_and_saveexec_b64 s[58:59], s[46:47]
	s_cbranch_execz .LBB1403_49
; %bb.48:
	s_waitcnt vmcnt(0)
	ds_read_b32 v84, v28 offset:5636
.LBB1403_49:
	s_or_b64 exec, exec, s[58:59]
	s_waitcnt lgkmcnt(0)
	; wave barrier
	s_waitcnt lgkmcnt(0)
                                        ; implicit-def: $vgpr2_vgpr3
	s_and_saveexec_b64 s[46:47], vcc
	s_cbranch_execz .LBB1403_70
; %bb.50:
	v_lshlrev_b32_e32 v2, 3, v0
	v_add_co_u32_e32 v2, vcc, v86, v2
	v_addc_co_u32_e32 v3, vcc, 0, v87, vcc
	flat_load_dwordx2 v[2:3], v[2:3]
	s_or_b64 exec, exec, s[46:47]
                                        ; implicit-def: $vgpr4_vgpr5
	s_and_saveexec_b64 s[46:47], s[4:5]
	s_cbranch_execnz .LBB1403_71
.LBB1403_51:
	s_or_b64 exec, exec, s[46:47]
                                        ; implicit-def: $vgpr28_vgpr29
	s_and_saveexec_b64 s[4:5], s[6:7]
	s_cbranch_execz .LBB1403_72
.LBB1403_52:
	v_lshlrev_b32_e32 v28, 3, v0
	v_add_co_u32_e32 v28, vcc, v86, v28
	v_addc_co_u32_e32 v29, vcc, 0, v87, vcc
	flat_load_dwordx2 v[28:29], v[28:29] offset:1024
	s_or_b64 exec, exec, s[4:5]
                                        ; implicit-def: $vgpr30_vgpr31
	s_and_saveexec_b64 s[4:5], s[8:9]
	s_cbranch_execnz .LBB1403_73
.LBB1403_53:
	s_or_b64 exec, exec, s[4:5]
                                        ; implicit-def: $vgpr32_vgpr33
	s_and_saveexec_b64 s[4:5], s[10:11]
	s_cbranch_execz .LBB1403_74
.LBB1403_54:
	v_lshlrev_b32_e32 v32, 3, v0
	v_add_co_u32_e32 v32, vcc, v86, v32
	v_addc_co_u32_e32 v33, vcc, 0, v87, vcc
	flat_load_dwordx2 v[32:33], v[32:33] offset:2048
	s_or_b64 exec, exec, s[4:5]
                                        ; implicit-def: $vgpr34_vgpr35
	s_and_saveexec_b64 s[4:5], s[12:13]
	s_cbranch_execnz .LBB1403_75
.LBB1403_55:
	s_or_b64 exec, exec, s[4:5]
                                        ; implicit-def: $vgpr36_vgpr37
	s_and_saveexec_b64 s[4:5], s[14:15]
	s_cbranch_execz .LBB1403_76
.LBB1403_56:
	v_lshlrev_b32_e32 v36, 3, v0
	v_add_co_u32_e32 v36, vcc, v86, v36
	v_addc_co_u32_e32 v37, vcc, 0, v87, vcc
	flat_load_dwordx2 v[36:37], v[36:37] offset:3072
	s_or_b64 exec, exec, s[4:5]
                                        ; implicit-def: $vgpr38_vgpr39
	s_and_saveexec_b64 s[4:5], s[16:17]
	s_cbranch_execnz .LBB1403_77
.LBB1403_57:
	s_or_b64 exec, exec, s[4:5]
                                        ; implicit-def: $vgpr40_vgpr41
	s_and_saveexec_b64 s[4:5], s[18:19]
	s_cbranch_execz .LBB1403_78
.LBB1403_58:
	v_lshlrev_b32_e32 v1, 3, v1
	v_add_co_u32_e32 v40, vcc, v86, v1
	v_addc_co_u32_e32 v41, vcc, 0, v87, vcc
	flat_load_dwordx2 v[40:41], v[40:41]
	s_or_b64 exec, exec, s[4:5]
                                        ; implicit-def: $vgpr44_vgpr45
	s_and_saveexec_b64 s[4:5], s[20:21]
	s_cbranch_execnz .LBB1403_79
.LBB1403_59:
	s_or_b64 exec, exec, s[4:5]
                                        ; implicit-def: $vgpr46_vgpr47
	s_and_saveexec_b64 s[4:5], s[22:23]
	s_cbranch_execz .LBB1403_80
.LBB1403_60:
	v_lshlrev_b32_e32 v1, 3, v48
	v_add_co_u32_e32 v46, vcc, v86, v1
	v_addc_co_u32_e32 v47, vcc, 0, v87, vcc
	flat_load_dwordx2 v[46:47], v[46:47]
	s_or_b64 exec, exec, s[4:5]
                                        ; implicit-def: $vgpr48_vgpr49
	s_and_saveexec_b64 s[4:5], s[24:25]
	s_cbranch_execnz .LBB1403_81
.LBB1403_61:
	s_or_b64 exec, exec, s[4:5]
                                        ; implicit-def: $vgpr50_vgpr51
	s_and_saveexec_b64 s[4:5], s[26:27]
	s_cbranch_execz .LBB1403_82
.LBB1403_62:
	v_lshlrev_b32_e32 v1, 3, v52
	v_add_co_u32_e32 v50, vcc, v86, v1
	v_addc_co_u32_e32 v51, vcc, 0, v87, vcc
	flat_load_dwordx2 v[50:51], v[50:51]
	s_or_b64 exec, exec, s[4:5]
                                        ; implicit-def: $vgpr52_vgpr53
	s_and_saveexec_b64 s[4:5], s[28:29]
	s_cbranch_execnz .LBB1403_83
.LBB1403_63:
	s_or_b64 exec, exec, s[4:5]
                                        ; implicit-def: $vgpr54_vgpr55
	s_and_saveexec_b64 s[4:5], s[30:31]
	s_cbranch_execz .LBB1403_84
.LBB1403_64:
	v_lshlrev_b32_e32 v1, 3, v56
	v_add_co_u32_e32 v54, vcc, v86, v1
	v_addc_co_u32_e32 v55, vcc, 0, v87, vcc
	flat_load_dwordx2 v[54:55], v[54:55]
	s_or_b64 exec, exec, s[4:5]
                                        ; implicit-def: $vgpr56_vgpr57
	s_and_saveexec_b64 s[4:5], s[34:35]
	s_cbranch_execnz .LBB1403_85
.LBB1403_65:
	s_or_b64 exec, exec, s[4:5]
                                        ; implicit-def: $vgpr58_vgpr59
	s_and_saveexec_b64 s[4:5], s[36:37]
	s_cbranch_execz .LBB1403_86
.LBB1403_66:
	v_lshlrev_b32_e32 v1, 3, v60
	v_add_co_u32_e32 v58, vcc, v86, v1
	v_addc_co_u32_e32 v59, vcc, 0, v87, vcc
	flat_load_dwordx2 v[58:59], v[58:59]
	s_or_b64 exec, exec, s[4:5]
                                        ; implicit-def: $vgpr60_vgpr61
	s_and_saveexec_b64 s[4:5], s[38:39]
	s_cbranch_execnz .LBB1403_87
.LBB1403_67:
	s_or_b64 exec, exec, s[4:5]
                                        ; implicit-def: $vgpr62_vgpr63
	s_and_saveexec_b64 s[4:5], s[40:41]
	s_cbranch_execz .LBB1403_88
.LBB1403_68:
	v_lshlrev_b32_e32 v1, 3, v64
	v_add_co_u32_e32 v62, vcc, v86, v1
	v_addc_co_u32_e32 v63, vcc, 0, v87, vcc
	flat_load_dwordx2 v[62:63], v[62:63]
	s_or_b64 exec, exec, s[4:5]
                                        ; implicit-def: $vgpr64_vgpr65
	s_and_saveexec_b64 s[4:5], s[42:43]
	s_cbranch_execz .LBB1403_90
	s_branch .LBB1403_89
.LBB1403_69:
	s_mov_b64 s[10:11], 0
                                        ; implicit-def: $sgpr8_sgpr9
                                        ; implicit-def: $vgpr2_vgpr3
                                        ; implicit-def: $vgpr44_vgpr45
                                        ; implicit-def: $vgpr112
                                        ; implicit-def: $vgpr50_vgpr51
                                        ; implicit-def: $vgpr128
                                        ; implicit-def: $vgpr82_vgpr83
                                        ; implicit-def: $vgpr127
                                        ; implicit-def: $vgpr80_vgpr81
                                        ; implicit-def: $vgpr126
                                        ; implicit-def: $vgpr78_vgpr79
                                        ; implicit-def: $vgpr125
                                        ; implicit-def: $vgpr76_vgpr77
                                        ; implicit-def: $vgpr124
                                        ; implicit-def: $vgpr74_vgpr75
                                        ; implicit-def: $vgpr123
                                        ; implicit-def: $vgpr72_vgpr73
                                        ; implicit-def: $vgpr122
                                        ; implicit-def: $vgpr70_vgpr71
                                        ; implicit-def: $vgpr121
                                        ; implicit-def: $vgpr68_vgpr69
                                        ; implicit-def: $vgpr120
                                        ; implicit-def: $vgpr66_vgpr67
                                        ; implicit-def: $vgpr119
                                        ; implicit-def: $vgpr64_vgpr65
                                        ; implicit-def: $vgpr118
                                        ; implicit-def: $vgpr62_vgpr63
                                        ; implicit-def: $vgpr117
                                        ; implicit-def: $vgpr60_vgpr61
                                        ; implicit-def: $vgpr116
                                        ; implicit-def: $vgpr58_vgpr59
                                        ; implicit-def: $vgpr115
                                        ; implicit-def: $vgpr56_vgpr57
                                        ; implicit-def: $vgpr114
                                        ; implicit-def: $vgpr54_vgpr55
                                        ; implicit-def: $vgpr113
                                        ; implicit-def: $vgpr52_vgpr53
                                        ; implicit-def: $vgpr111
                                        ; implicit-def: $vgpr48_vgpr49
                                        ; implicit-def: $vgpr110
                                        ; implicit-def: $vgpr46_vgpr47
                                        ; implicit-def: $vgpr1
                                        ; implicit-def: $sgpr72
                                        ; implicit-def: $sgpr6_sgpr7
	s_and_b64 vcc, exec, s[4:5]
	s_cbranch_vccz .LBB1403_140
	s_branch .LBB1403_135
.LBB1403_70:
	s_or_b64 exec, exec, s[46:47]
                                        ; implicit-def: $vgpr4_vgpr5
	s_and_saveexec_b64 s[46:47], s[4:5]
	s_cbranch_execz .LBB1403_51
.LBB1403_71:
	v_lshlrev_b32_e32 v4, 3, v0
	v_add_co_u32_e32 v4, vcc, v86, v4
	v_addc_co_u32_e32 v5, vcc, 0, v87, vcc
	flat_load_dwordx2 v[4:5], v[4:5] offset:512
	s_or_b64 exec, exec, s[46:47]
                                        ; implicit-def: $vgpr28_vgpr29
	s_and_saveexec_b64 s[4:5], s[6:7]
	s_cbranch_execnz .LBB1403_52
.LBB1403_72:
	s_or_b64 exec, exec, s[4:5]
                                        ; implicit-def: $vgpr30_vgpr31
	s_and_saveexec_b64 s[4:5], s[8:9]
	s_cbranch_execz .LBB1403_53
.LBB1403_73:
	v_lshlrev_b32_e32 v30, 3, v0
	v_add_co_u32_e32 v30, vcc, v86, v30
	v_addc_co_u32_e32 v31, vcc, 0, v87, vcc
	flat_load_dwordx2 v[30:31], v[30:31] offset:1536
	s_or_b64 exec, exec, s[4:5]
                                        ; implicit-def: $vgpr32_vgpr33
	s_and_saveexec_b64 s[4:5], s[10:11]
	s_cbranch_execnz .LBB1403_54
.LBB1403_74:
	s_or_b64 exec, exec, s[4:5]
                                        ; implicit-def: $vgpr34_vgpr35
	s_and_saveexec_b64 s[4:5], s[12:13]
	s_cbranch_execz .LBB1403_55
.LBB1403_75:
	v_lshlrev_b32_e32 v34, 3, v0
	v_add_co_u32_e32 v34, vcc, v86, v34
	v_addc_co_u32_e32 v35, vcc, 0, v87, vcc
	flat_load_dwordx2 v[34:35], v[34:35] offset:2560
	s_or_b64 exec, exec, s[4:5]
                                        ; implicit-def: $vgpr36_vgpr37
	s_and_saveexec_b64 s[4:5], s[14:15]
	s_cbranch_execnz .LBB1403_56
.LBB1403_76:
	s_or_b64 exec, exec, s[4:5]
                                        ; implicit-def: $vgpr38_vgpr39
	s_and_saveexec_b64 s[4:5], s[16:17]
	s_cbranch_execz .LBB1403_57
.LBB1403_77:
	v_lshlrev_b32_e32 v38, 3, v0
	v_add_co_u32_e32 v38, vcc, v86, v38
	v_addc_co_u32_e32 v39, vcc, 0, v87, vcc
	flat_load_dwordx2 v[38:39], v[38:39] offset:3584
	s_or_b64 exec, exec, s[4:5]
                                        ; implicit-def: $vgpr40_vgpr41
	s_and_saveexec_b64 s[4:5], s[18:19]
	s_cbranch_execnz .LBB1403_58
.LBB1403_78:
	s_or_b64 exec, exec, s[4:5]
                                        ; implicit-def: $vgpr44_vgpr45
	s_and_saveexec_b64 s[4:5], s[20:21]
	s_cbranch_execz .LBB1403_59
.LBB1403_79:
	v_lshlrev_b32_e32 v1, 3, v46
	v_add_co_u32_e32 v44, vcc, v86, v1
	v_addc_co_u32_e32 v45, vcc, 0, v87, vcc
	flat_load_dwordx2 v[44:45], v[44:45]
	s_or_b64 exec, exec, s[4:5]
                                        ; implicit-def: $vgpr46_vgpr47
	s_and_saveexec_b64 s[4:5], s[22:23]
	s_cbranch_execnz .LBB1403_60
.LBB1403_80:
	s_or_b64 exec, exec, s[4:5]
                                        ; implicit-def: $vgpr48_vgpr49
	s_and_saveexec_b64 s[4:5], s[24:25]
	s_cbranch_execz .LBB1403_61
.LBB1403_81:
	v_lshlrev_b32_e32 v1, 3, v50
	v_add_co_u32_e32 v48, vcc, v86, v1
	v_addc_co_u32_e32 v49, vcc, 0, v87, vcc
	flat_load_dwordx2 v[48:49], v[48:49]
	s_or_b64 exec, exec, s[4:5]
                                        ; implicit-def: $vgpr50_vgpr51
	s_and_saveexec_b64 s[4:5], s[26:27]
	s_cbranch_execnz .LBB1403_62
.LBB1403_82:
	s_or_b64 exec, exec, s[4:5]
                                        ; implicit-def: $vgpr52_vgpr53
	s_and_saveexec_b64 s[4:5], s[28:29]
	s_cbranch_execz .LBB1403_63
.LBB1403_83:
	v_lshlrev_b32_e32 v1, 3, v54
	v_add_co_u32_e32 v52, vcc, v86, v1
	v_addc_co_u32_e32 v53, vcc, 0, v87, vcc
	flat_load_dwordx2 v[52:53], v[52:53]
	s_or_b64 exec, exec, s[4:5]
                                        ; implicit-def: $vgpr54_vgpr55
	s_and_saveexec_b64 s[4:5], s[30:31]
	s_cbranch_execnz .LBB1403_64
.LBB1403_84:
	s_or_b64 exec, exec, s[4:5]
                                        ; implicit-def: $vgpr56_vgpr57
	s_and_saveexec_b64 s[4:5], s[34:35]
	s_cbranch_execz .LBB1403_65
.LBB1403_85:
	v_lshlrev_b32_e32 v1, 3, v58
	v_add_co_u32_e32 v56, vcc, v86, v1
	v_addc_co_u32_e32 v57, vcc, 0, v87, vcc
	flat_load_dwordx2 v[56:57], v[56:57]
	s_or_b64 exec, exec, s[4:5]
                                        ; implicit-def: $vgpr58_vgpr59
	s_and_saveexec_b64 s[4:5], s[36:37]
	s_cbranch_execnz .LBB1403_66
.LBB1403_86:
	s_or_b64 exec, exec, s[4:5]
                                        ; implicit-def: $vgpr60_vgpr61
	s_and_saveexec_b64 s[4:5], s[38:39]
	s_cbranch_execz .LBB1403_67
.LBB1403_87:
	v_lshlrev_b32_e32 v1, 3, v62
	v_add_co_u32_e32 v60, vcc, v86, v1
	v_addc_co_u32_e32 v61, vcc, 0, v87, vcc
	flat_load_dwordx2 v[60:61], v[60:61]
	s_or_b64 exec, exec, s[4:5]
                                        ; implicit-def: $vgpr62_vgpr63
	s_and_saveexec_b64 s[4:5], s[40:41]
	s_cbranch_execnz .LBB1403_68
.LBB1403_88:
	s_or_b64 exec, exec, s[4:5]
                                        ; implicit-def: $vgpr64_vgpr65
	s_and_saveexec_b64 s[4:5], s[42:43]
	s_cbranch_execz .LBB1403_90
.LBB1403_89:
	v_lshlrev_b32_e32 v1, 3, v66
	v_add_co_u32_e32 v64, vcc, v86, v1
	v_addc_co_u32_e32 v65, vcc, 0, v87, vcc
	flat_load_dwordx2 v[64:65], v[64:65]
.LBB1403_90:
	s_or_b64 exec, exec, s[4:5]
	v_mul_u32_u24_e32 v85, 21, v0
                                        ; implicit-def: $vgpr66_vgpr67
	s_and_saveexec_b64 s[4:5], s[44:45]
	s_cbranch_execz .LBB1403_92
; %bb.91:
	v_lshlrev_b32_e32 v1, 3, v68
	v_add_co_u32_e32 v66, vcc, v86, v1
	v_addc_co_u32_e32 v67, vcc, 0, v87, vcc
	flat_load_dwordx2 v[66:67], v[66:67]
.LBB1403_92:
	s_or_b64 exec, exec, s[4:5]
	v_lshl_add_u32 v89, v0, 2, v69
	s_waitcnt vmcnt(0) lgkmcnt(0)
	ds_write2st64_b64 v89, v[2:3], v[4:5] offset1:1
	ds_write2st64_b64 v89, v[28:29], v[30:31] offset0:2 offset1:3
	ds_write2st64_b64 v89, v[32:33], v[34:35] offset0:4 offset1:5
	;; [unrolled: 1-line block ×9, first 2 shown]
	ds_write_b64 v89, v[66:67] offset:10240
	v_pk_mov_b32 v[44:45], 0, 0
	v_cmp_gt_u32_e32 vcc, s64, v85
	s_mov_b64 s[10:11], 0
	s_mov_b32 s72, 0
	s_mov_b64 s[4:5], 0
	v_mov_b32_e32 v112, 0
	v_pk_mov_b32 v[50:51], v[44:45], v[44:45] op_sel:[0,1]
	v_mov_b32_e32 v128, 0
	v_pk_mov_b32 v[82:83], v[44:45], v[44:45] op_sel:[0,1]
	;; [unrolled: 2-line block ×19, first 2 shown]
	v_mov_b32_e32 v1, 0
	s_waitcnt lgkmcnt(0)
	; wave barrier
	s_waitcnt lgkmcnt(0)
                                        ; implicit-def: $sgpr8_sgpr9
                                        ; implicit-def: $vgpr2_vgpr3
	s_and_saveexec_b64 s[6:7], vcc
	s_cbranch_execz .LBB1403_134
; %bb.93:
	s_movk_i32 s8, 0xa0
	v_mad_u32_u24 v1, v0, s8, v89
	ds_read_b64 v[2:3], v1
	v_cmp_ne_u32_e32 vcc, v88, v26
	v_mov_b32_e32 v5, s69
	v_add_u32_e32 v4, 1, v85
	v_pk_mov_b32 v[50:51], 0, 0
	s_waitcnt lgkmcnt(0)
	v_cndmask_b32_e32 v45, v3, v5, vcc
	v_mov_b32_e32 v3, s68
	v_cndmask_b32_e64 v1, 0, 1, vcc
	v_cndmask_b32_e32 v44, v2, v3, vcc
	v_cmp_gt_u32_e32 vcc, s64, v4
	s_mov_b64 s[12:13], 0
	v_mov_b32_e32 v112, 0
	v_mov_b32_e32 v128, 0
	v_pk_mov_b32 v[82:83], v[50:51], v[50:51] op_sel:[0,1]
	v_mov_b32_e32 v127, 0
	v_pk_mov_b32 v[80:81], v[50:51], v[50:51] op_sel:[0,1]
	;; [unrolled: 2-line block ×18, first 2 shown]
                                        ; implicit-def: $sgpr14_sgpr15
                                        ; implicit-def: $vgpr2_vgpr3
	s_and_saveexec_b64 s[8:9], vcc
	s_cbranch_execz .LBB1403_133
; %bb.94:
	v_mul_u32_u24_e32 v2, 0xa0, v0
	v_add_u32_e32 v28, v89, v2
	ds_read2_b64 v[2:5], v28 offset0:1 offset1:2
	v_cmp_ne_u32_e32 vcc, v26, v27
	v_mov_b32_e32 v26, s69
	v_add_u32_e32 v29, 2, v85
	v_pk_mov_b32 v[50:51], 0, 0
	s_waitcnt lgkmcnt(0)
	v_cndmask_b32_e32 v47, v3, v26, vcc
	v_mov_b32_e32 v3, s68
	v_cndmask_b32_e64 v110, 0, 1, vcc
	v_cndmask_b32_e32 v46, v2, v3, vcc
	v_cmp_gt_u32_e32 vcc, s64, v29
	s_mov_b64 s[14:15], 0
	v_mov_b32_e32 v112, 0
	v_mov_b32_e32 v128, 0
	v_pk_mov_b32 v[82:83], v[50:51], v[50:51] op_sel:[0,1]
	v_mov_b32_e32 v127, 0
	v_pk_mov_b32 v[80:81], v[50:51], v[50:51] op_sel:[0,1]
	;; [unrolled: 2-line block ×17, first 2 shown]
                                        ; implicit-def: $sgpr16_sgpr17
                                        ; implicit-def: $vgpr2_vgpr3
	s_and_saveexec_b64 s[10:11], vcc
	s_cbranch_execz .LBB1403_132
; %bb.95:
	v_cmp_ne_u32_e32 vcc, v27, v24
	v_mov_b32_e32 v3, s69
	v_add_u32_e32 v2, 3, v85
	v_cndmask_b32_e32 v49, v5, v3, vcc
	v_mov_b32_e32 v3, s68
	v_pk_mov_b32 v[50:51], 0, 0
	v_cndmask_b32_e64 v111, 0, 1, vcc
	v_cndmask_b32_e32 v48, v4, v3, vcc
	v_cmp_gt_u32_e32 vcc, s64, v2
	s_mov_b64 s[16:17], 0
	v_mov_b32_e32 v112, 0
	v_mov_b32_e32 v128, 0
	v_pk_mov_b32 v[82:83], v[50:51], v[50:51] op_sel:[0,1]
	v_mov_b32_e32 v127, 0
	v_pk_mov_b32 v[80:81], v[50:51], v[50:51] op_sel:[0,1]
	v_mov_b32_e32 v126, 0
	v_pk_mov_b32 v[78:79], v[50:51], v[50:51] op_sel:[0,1]
	v_mov_b32_e32 v125, 0
	v_pk_mov_b32 v[76:77], v[50:51], v[50:51] op_sel:[0,1]
	v_mov_b32_e32 v124, 0
	v_pk_mov_b32 v[74:75], v[50:51], v[50:51] op_sel:[0,1]
	v_mov_b32_e32 v123, 0
	v_pk_mov_b32 v[72:73], v[50:51], v[50:51] op_sel:[0,1]
	v_mov_b32_e32 v122, 0
	v_pk_mov_b32 v[70:71], v[50:51], v[50:51] op_sel:[0,1]
	v_mov_b32_e32 v121, 0
	v_pk_mov_b32 v[68:69], v[50:51], v[50:51] op_sel:[0,1]
	v_mov_b32_e32 v120, 0
	v_pk_mov_b32 v[66:67], v[50:51], v[50:51] op_sel:[0,1]
	v_mov_b32_e32 v119, 0
	v_pk_mov_b32 v[64:65], v[50:51], v[50:51] op_sel:[0,1]
	v_mov_b32_e32 v118, 0
	v_pk_mov_b32 v[62:63], v[50:51], v[50:51] op_sel:[0,1]
	v_mov_b32_e32 v117, 0
	v_pk_mov_b32 v[60:61], v[50:51], v[50:51] op_sel:[0,1]
	v_mov_b32_e32 v116, 0
	v_pk_mov_b32 v[58:59], v[50:51], v[50:51] op_sel:[0,1]
	v_mov_b32_e32 v115, 0
	v_pk_mov_b32 v[56:57], v[50:51], v[50:51] op_sel:[0,1]
	v_mov_b32_e32 v114, 0
	v_pk_mov_b32 v[54:55], v[50:51], v[50:51] op_sel:[0,1]
	v_mov_b32_e32 v113, 0
	v_pk_mov_b32 v[52:53], v[50:51], v[50:51] op_sel:[0,1]
                                        ; implicit-def: $sgpr18_sgpr19
                                        ; implicit-def: $vgpr2_vgpr3
	s_and_saveexec_b64 s[12:13], vcc
	s_cbranch_execz .LBB1403_131
; %bb.96:
	ds_read2_b64 v[2:5], v28 offset0:3 offset1:4
	v_cmp_ne_u32_e32 vcc, v24, v25
	v_mov_b32_e32 v24, s69
	v_add_u32_e32 v26, 4, v85
	v_pk_mov_b32 v[50:51], 0, 0
	s_waitcnt lgkmcnt(0)
	v_cndmask_b32_e32 v53, v3, v24, vcc
	v_mov_b32_e32 v3, s68
	v_cndmask_b32_e64 v113, 0, 1, vcc
	v_cndmask_b32_e32 v52, v2, v3, vcc
	v_cmp_gt_u32_e32 vcc, s64, v26
	s_mov_b64 s[18:19], 0
	v_mov_b32_e32 v112, 0
	v_mov_b32_e32 v128, 0
	v_pk_mov_b32 v[82:83], v[50:51], v[50:51] op_sel:[0,1]
	v_mov_b32_e32 v127, 0
	v_pk_mov_b32 v[80:81], v[50:51], v[50:51] op_sel:[0,1]
	v_mov_b32_e32 v126, 0
	v_pk_mov_b32 v[78:79], v[50:51], v[50:51] op_sel:[0,1]
	v_mov_b32_e32 v125, 0
	v_pk_mov_b32 v[76:77], v[50:51], v[50:51] op_sel:[0,1]
	v_mov_b32_e32 v124, 0
	v_pk_mov_b32 v[74:75], v[50:51], v[50:51] op_sel:[0,1]
	v_mov_b32_e32 v123, 0
	v_pk_mov_b32 v[72:73], v[50:51], v[50:51] op_sel:[0,1]
	v_mov_b32_e32 v122, 0
	v_pk_mov_b32 v[70:71], v[50:51], v[50:51] op_sel:[0,1]
	v_mov_b32_e32 v121, 0
	v_pk_mov_b32 v[68:69], v[50:51], v[50:51] op_sel:[0,1]
	v_mov_b32_e32 v120, 0
	v_pk_mov_b32 v[66:67], v[50:51], v[50:51] op_sel:[0,1]
	v_mov_b32_e32 v119, 0
	v_pk_mov_b32 v[64:65], v[50:51], v[50:51] op_sel:[0,1]
	v_mov_b32_e32 v118, 0
	v_pk_mov_b32 v[62:63], v[50:51], v[50:51] op_sel:[0,1]
	v_mov_b32_e32 v117, 0
	v_pk_mov_b32 v[60:61], v[50:51], v[50:51] op_sel:[0,1]
	v_mov_b32_e32 v116, 0
	v_pk_mov_b32 v[58:59], v[50:51], v[50:51] op_sel:[0,1]
	v_mov_b32_e32 v115, 0
	v_pk_mov_b32 v[56:57], v[50:51], v[50:51] op_sel:[0,1]
	v_mov_b32_e32 v114, 0
	v_pk_mov_b32 v[54:55], v[50:51], v[50:51] op_sel:[0,1]
                                        ; implicit-def: $sgpr20_sgpr21
                                        ; implicit-def: $vgpr2_vgpr3
	s_and_saveexec_b64 s[14:15], vcc
	s_cbranch_execz .LBB1403_130
; %bb.97:
	v_cmp_ne_u32_e32 vcc, v25, v22
	v_mov_b32_e32 v3, s69
	v_add_u32_e32 v2, 5, v85
	v_cndmask_b32_e32 v55, v5, v3, vcc
	v_mov_b32_e32 v3, s68
	v_pk_mov_b32 v[50:51], 0, 0
	v_cndmask_b32_e64 v114, 0, 1, vcc
	v_cndmask_b32_e32 v54, v4, v3, vcc
	v_cmp_gt_u32_e32 vcc, s64, v2
	s_mov_b64 s[20:21], 0
	v_mov_b32_e32 v112, 0
	v_mov_b32_e32 v128, 0
	v_pk_mov_b32 v[82:83], v[50:51], v[50:51] op_sel:[0,1]
	v_mov_b32_e32 v127, 0
	v_pk_mov_b32 v[80:81], v[50:51], v[50:51] op_sel:[0,1]
	;; [unrolled: 2-line block ×14, first 2 shown]
                                        ; implicit-def: $sgpr22_sgpr23
                                        ; implicit-def: $vgpr2_vgpr3
	s_and_saveexec_b64 s[16:17], vcc
	s_cbranch_execz .LBB1403_129
; %bb.98:
	ds_read2_b64 v[2:5], v28 offset0:5 offset1:6
	v_cmp_ne_u32_e32 vcc, v22, v23
	v_mov_b32_e32 v22, s69
	v_add_u32_e32 v24, 6, v85
	v_pk_mov_b32 v[50:51], 0, 0
	s_waitcnt lgkmcnt(0)
	v_cndmask_b32_e32 v57, v3, v22, vcc
	v_mov_b32_e32 v3, s68
	v_cndmask_b32_e64 v115, 0, 1, vcc
	v_cndmask_b32_e32 v56, v2, v3, vcc
	v_cmp_gt_u32_e32 vcc, s64, v24
	s_mov_b64 s[22:23], 0
	v_mov_b32_e32 v112, 0
	v_mov_b32_e32 v128, 0
	v_pk_mov_b32 v[82:83], v[50:51], v[50:51] op_sel:[0,1]
	v_mov_b32_e32 v127, 0
	v_pk_mov_b32 v[80:81], v[50:51], v[50:51] op_sel:[0,1]
	;; [unrolled: 2-line block ×13, first 2 shown]
                                        ; implicit-def: $sgpr24_sgpr25
                                        ; implicit-def: $vgpr2_vgpr3
	s_and_saveexec_b64 s[18:19], vcc
	s_cbranch_execz .LBB1403_128
; %bb.99:
	v_cmp_ne_u32_e32 vcc, v23, v20
	v_mov_b32_e32 v3, s69
	v_add_u32_e32 v2, 7, v85
	v_cndmask_b32_e32 v59, v5, v3, vcc
	v_mov_b32_e32 v3, s68
	v_pk_mov_b32 v[50:51], 0, 0
	v_cndmask_b32_e64 v116, 0, 1, vcc
	v_cndmask_b32_e32 v58, v4, v3, vcc
	v_cmp_gt_u32_e32 vcc, s64, v2
	s_mov_b64 s[24:25], 0
	v_mov_b32_e32 v112, 0
	v_mov_b32_e32 v128, 0
	v_pk_mov_b32 v[82:83], v[50:51], v[50:51] op_sel:[0,1]
	v_mov_b32_e32 v127, 0
	v_pk_mov_b32 v[80:81], v[50:51], v[50:51] op_sel:[0,1]
	;; [unrolled: 2-line block ×12, first 2 shown]
                                        ; implicit-def: $sgpr26_sgpr27
                                        ; implicit-def: $vgpr2_vgpr3
	s_and_saveexec_b64 s[20:21], vcc
	s_cbranch_execz .LBB1403_127
; %bb.100:
	ds_read2_b64 v[2:5], v28 offset0:7 offset1:8
	v_cmp_ne_u32_e32 vcc, v20, v21
	v_mov_b32_e32 v20, s69
	v_add_u32_e32 v22, 8, v85
	v_pk_mov_b32 v[50:51], 0, 0
	s_waitcnt lgkmcnt(0)
	v_cndmask_b32_e32 v61, v3, v20, vcc
	v_mov_b32_e32 v3, s68
	v_cndmask_b32_e64 v117, 0, 1, vcc
	v_cndmask_b32_e32 v60, v2, v3, vcc
	v_cmp_gt_u32_e32 vcc, s64, v22
	s_mov_b64 s[26:27], 0
	v_mov_b32_e32 v112, 0
	v_mov_b32_e32 v128, 0
	v_pk_mov_b32 v[82:83], v[50:51], v[50:51] op_sel:[0,1]
	v_mov_b32_e32 v127, 0
	v_pk_mov_b32 v[80:81], v[50:51], v[50:51] op_sel:[0,1]
	;; [unrolled: 2-line block ×11, first 2 shown]
                                        ; implicit-def: $sgpr28_sgpr29
                                        ; implicit-def: $vgpr2_vgpr3
	s_and_saveexec_b64 s[22:23], vcc
	s_cbranch_execz .LBB1403_126
; %bb.101:
	v_cmp_ne_u32_e32 vcc, v21, v18
	v_mov_b32_e32 v3, s69
	v_add_u32_e32 v2, 9, v85
	v_cndmask_b32_e32 v63, v5, v3, vcc
	v_mov_b32_e32 v3, s68
	v_pk_mov_b32 v[50:51], 0, 0
	v_cndmask_b32_e64 v118, 0, 1, vcc
	v_cndmask_b32_e32 v62, v4, v3, vcc
	v_cmp_gt_u32_e32 vcc, s64, v2
	s_mov_b64 s[28:29], 0
	v_mov_b32_e32 v112, 0
	v_mov_b32_e32 v128, 0
	v_pk_mov_b32 v[82:83], v[50:51], v[50:51] op_sel:[0,1]
	v_mov_b32_e32 v127, 0
	v_pk_mov_b32 v[80:81], v[50:51], v[50:51] op_sel:[0,1]
	;; [unrolled: 2-line block ×10, first 2 shown]
                                        ; implicit-def: $sgpr30_sgpr31
                                        ; implicit-def: $vgpr2_vgpr3
	s_and_saveexec_b64 s[24:25], vcc
	s_cbranch_execz .LBB1403_125
; %bb.102:
	ds_read2_b64 v[2:5], v28 offset0:9 offset1:10
	v_cmp_ne_u32_e32 vcc, v18, v19
	v_mov_b32_e32 v18, s69
	v_add_u32_e32 v20, 10, v85
	v_pk_mov_b32 v[50:51], 0, 0
	s_waitcnt lgkmcnt(0)
	v_cndmask_b32_e32 v65, v3, v18, vcc
	v_mov_b32_e32 v3, s68
	v_cndmask_b32_e64 v119, 0, 1, vcc
	v_cndmask_b32_e32 v64, v2, v3, vcc
	v_cmp_gt_u32_e32 vcc, s64, v20
	s_mov_b64 s[30:31], 0
	v_mov_b32_e32 v112, 0
	v_mov_b32_e32 v128, 0
	v_pk_mov_b32 v[82:83], v[50:51], v[50:51] op_sel:[0,1]
	v_mov_b32_e32 v127, 0
	v_pk_mov_b32 v[80:81], v[50:51], v[50:51] op_sel:[0,1]
	;; [unrolled: 2-line block ×9, first 2 shown]
                                        ; implicit-def: $sgpr34_sgpr35
                                        ; implicit-def: $vgpr2_vgpr3
	s_and_saveexec_b64 s[26:27], vcc
	s_cbranch_execz .LBB1403_124
; %bb.103:
	v_cmp_ne_u32_e32 vcc, v19, v16
	v_mov_b32_e32 v3, s69
	v_add_u32_e32 v2, 11, v85
	v_cndmask_b32_e32 v67, v5, v3, vcc
	v_mov_b32_e32 v3, s68
	v_pk_mov_b32 v[50:51], 0, 0
	v_cndmask_b32_e64 v120, 0, 1, vcc
	v_cndmask_b32_e32 v66, v4, v3, vcc
	v_cmp_gt_u32_e32 vcc, s64, v2
	s_mov_b64 s[34:35], 0
	v_mov_b32_e32 v112, 0
	v_mov_b32_e32 v128, 0
	v_pk_mov_b32 v[82:83], v[50:51], v[50:51] op_sel:[0,1]
	v_mov_b32_e32 v127, 0
	v_pk_mov_b32 v[80:81], v[50:51], v[50:51] op_sel:[0,1]
	;; [unrolled: 2-line block ×8, first 2 shown]
                                        ; implicit-def: $sgpr36_sgpr37
                                        ; implicit-def: $vgpr2_vgpr3
	s_and_saveexec_b64 s[28:29], vcc
	s_cbranch_execz .LBB1403_123
; %bb.104:
	ds_read2_b64 v[2:5], v28 offset0:11 offset1:12
	v_cmp_ne_u32_e32 vcc, v16, v17
	v_mov_b32_e32 v16, s69
	v_add_u32_e32 v18, 12, v85
	v_pk_mov_b32 v[50:51], 0, 0
	s_waitcnt lgkmcnt(0)
	v_cndmask_b32_e32 v69, v3, v16, vcc
	v_mov_b32_e32 v3, s68
	v_cndmask_b32_e64 v121, 0, 1, vcc
	v_cndmask_b32_e32 v68, v2, v3, vcc
	v_cmp_gt_u32_e32 vcc, s64, v18
	s_mov_b64 s[36:37], 0
	v_mov_b32_e32 v112, 0
	v_mov_b32_e32 v128, 0
	v_pk_mov_b32 v[82:83], v[50:51], v[50:51] op_sel:[0,1]
	v_mov_b32_e32 v127, 0
	v_pk_mov_b32 v[80:81], v[50:51], v[50:51] op_sel:[0,1]
	;; [unrolled: 2-line block ×7, first 2 shown]
                                        ; implicit-def: $sgpr38_sgpr39
                                        ; implicit-def: $vgpr2_vgpr3
	s_and_saveexec_b64 s[30:31], vcc
	s_cbranch_execz .LBB1403_122
; %bb.105:
	v_cmp_ne_u32_e32 vcc, v17, v14
	v_mov_b32_e32 v3, s69
	v_add_u32_e32 v2, 13, v85
	v_cndmask_b32_e32 v71, v5, v3, vcc
	v_mov_b32_e32 v3, s68
	v_pk_mov_b32 v[50:51], 0, 0
	v_cndmask_b32_e64 v122, 0, 1, vcc
	v_cndmask_b32_e32 v70, v4, v3, vcc
	v_cmp_gt_u32_e32 vcc, s64, v2
	s_mov_b64 s[38:39], 0
	v_mov_b32_e32 v112, 0
	v_mov_b32_e32 v128, 0
	v_pk_mov_b32 v[82:83], v[50:51], v[50:51] op_sel:[0,1]
	v_mov_b32_e32 v127, 0
	v_pk_mov_b32 v[80:81], v[50:51], v[50:51] op_sel:[0,1]
	v_mov_b32_e32 v126, 0
	v_pk_mov_b32 v[78:79], v[50:51], v[50:51] op_sel:[0,1]
	v_mov_b32_e32 v125, 0
	v_pk_mov_b32 v[76:77], v[50:51], v[50:51] op_sel:[0,1]
	v_mov_b32_e32 v124, 0
	v_pk_mov_b32 v[74:75], v[50:51], v[50:51] op_sel:[0,1]
	v_mov_b32_e32 v123, 0
	v_pk_mov_b32 v[72:73], v[50:51], v[50:51] op_sel:[0,1]
                                        ; implicit-def: $sgpr40_sgpr41
                                        ; implicit-def: $vgpr2_vgpr3
	s_and_saveexec_b64 s[34:35], vcc
	s_cbranch_execz .LBB1403_121
; %bb.106:
	ds_read2_b64 v[2:5], v28 offset0:13 offset1:14
	v_cmp_ne_u32_e32 vcc, v14, v15
	v_mov_b32_e32 v14, s69
	v_add_u32_e32 v16, 14, v85
	v_pk_mov_b32 v[50:51], 0, 0
	s_waitcnt lgkmcnt(0)
	v_cndmask_b32_e32 v73, v3, v14, vcc
	v_mov_b32_e32 v3, s68
	v_cndmask_b32_e64 v123, 0, 1, vcc
	v_cndmask_b32_e32 v72, v2, v3, vcc
	v_cmp_gt_u32_e32 vcc, s64, v16
	s_mov_b64 s[40:41], 0
	v_mov_b32_e32 v112, 0
	v_mov_b32_e32 v128, 0
	v_pk_mov_b32 v[82:83], v[50:51], v[50:51] op_sel:[0,1]
	v_mov_b32_e32 v127, 0
	v_pk_mov_b32 v[80:81], v[50:51], v[50:51] op_sel:[0,1]
	;; [unrolled: 2-line block ×5, first 2 shown]
                                        ; implicit-def: $sgpr42_sgpr43
                                        ; implicit-def: $vgpr2_vgpr3
	s_and_saveexec_b64 s[36:37], vcc
	s_cbranch_execz .LBB1403_120
; %bb.107:
	v_cmp_ne_u32_e32 vcc, v15, v12
	v_mov_b32_e32 v3, s69
	v_add_u32_e32 v2, 15, v85
	v_cndmask_b32_e32 v75, v5, v3, vcc
	v_mov_b32_e32 v3, s68
	v_pk_mov_b32 v[50:51], 0, 0
	v_cndmask_b32_e64 v124, 0, 1, vcc
	v_cndmask_b32_e32 v74, v4, v3, vcc
	v_cmp_gt_u32_e32 vcc, s64, v2
	s_mov_b64 s[42:43], 0
	v_mov_b32_e32 v112, 0
	v_mov_b32_e32 v128, 0
	v_pk_mov_b32 v[82:83], v[50:51], v[50:51] op_sel:[0,1]
	v_mov_b32_e32 v127, 0
	v_pk_mov_b32 v[80:81], v[50:51], v[50:51] op_sel:[0,1]
	;; [unrolled: 2-line block ×4, first 2 shown]
                                        ; implicit-def: $sgpr44_sgpr45
                                        ; implicit-def: $vgpr2_vgpr3
	s_and_saveexec_b64 s[38:39], vcc
	s_cbranch_execz .LBB1403_119
; %bb.108:
	ds_read2_b64 v[2:5], v28 offset0:15 offset1:16
	v_cmp_ne_u32_e32 vcc, v12, v13
	v_mov_b32_e32 v12, s69
	v_add_u32_e32 v14, 16, v85
	v_pk_mov_b32 v[50:51], 0, 0
	s_waitcnt lgkmcnt(0)
	v_cndmask_b32_e32 v77, v3, v12, vcc
	v_mov_b32_e32 v3, s68
	v_cndmask_b32_e64 v125, 0, 1, vcc
	v_cndmask_b32_e32 v76, v2, v3, vcc
	v_cmp_gt_u32_e32 vcc, s64, v14
	s_mov_b64 s[44:45], 0
	v_mov_b32_e32 v112, 0
	v_mov_b32_e32 v128, 0
	v_pk_mov_b32 v[82:83], v[50:51], v[50:51] op_sel:[0,1]
	v_mov_b32_e32 v127, 0
	v_pk_mov_b32 v[80:81], v[50:51], v[50:51] op_sel:[0,1]
	;; [unrolled: 2-line block ×3, first 2 shown]
                                        ; implicit-def: $sgpr46_sgpr47
                                        ; implicit-def: $vgpr2_vgpr3
	s_and_saveexec_b64 s[40:41], vcc
	s_cbranch_execz .LBB1403_118
; %bb.109:
	v_cmp_ne_u32_e32 vcc, v13, v10
	v_mov_b32_e32 v3, s69
	v_add_u32_e32 v2, 17, v85
	v_cndmask_b32_e32 v79, v5, v3, vcc
	v_mov_b32_e32 v3, s68
	v_pk_mov_b32 v[50:51], 0, 0
	v_cndmask_b32_e64 v126, 0, 1, vcc
	v_cndmask_b32_e32 v78, v4, v3, vcc
	v_cmp_gt_u32_e32 vcc, s64, v2
	s_mov_b64 s[46:47], 0
	v_mov_b32_e32 v112, 0
	v_mov_b32_e32 v128, 0
	v_pk_mov_b32 v[82:83], v[50:51], v[50:51] op_sel:[0,1]
	v_mov_b32_e32 v127, 0
	v_pk_mov_b32 v[80:81], v[50:51], v[50:51] op_sel:[0,1]
                                        ; implicit-def: $sgpr58_sgpr59
                                        ; implicit-def: $vgpr2_vgpr3
	s_and_saveexec_b64 s[42:43], vcc
	s_cbranch_execz .LBB1403_117
; %bb.110:
	ds_read2_b64 v[2:5], v28 offset0:17 offset1:18
	v_cmp_ne_u32_e32 vcc, v10, v11
	v_mov_b32_e32 v10, s69
	v_add_u32_e32 v12, 18, v85
	v_pk_mov_b32 v[50:51], 0, 0
	s_waitcnt lgkmcnt(0)
	v_cndmask_b32_e32 v81, v3, v10, vcc
	v_mov_b32_e32 v3, s68
	v_cndmask_b32_e64 v127, 0, 1, vcc
	v_cndmask_b32_e32 v80, v2, v3, vcc
	v_cmp_gt_u32_e32 vcc, s64, v12
	s_mov_b64 s[58:59], 0
	v_mov_b32_e32 v112, 0
	v_mov_b32_e32 v128, 0
	v_pk_mov_b32 v[82:83], v[50:51], v[50:51] op_sel:[0,1]
                                        ; implicit-def: $sgpr60_sgpr61
                                        ; implicit-def: $vgpr2_vgpr3
	s_and_saveexec_b64 s[44:45], vcc
	s_cbranch_execz .LBB1403_116
; %bb.111:
	v_cmp_ne_u32_e32 vcc, v11, v8
	v_mov_b32_e32 v3, s69
	v_add_u32_e32 v2, 19, v85
	v_cndmask_b32_e32 v83, v5, v3, vcc
	v_mov_b32_e32 v3, s68
	v_cndmask_b32_e64 v128, 0, 1, vcc
	v_cndmask_b32_e32 v82, v4, v3, vcc
	v_cmp_gt_u32_e32 vcc, s64, v2
	v_mov_b32_e32 v112, 0
	v_pk_mov_b32 v[50:51], 0, 0
                                        ; implicit-def: $sgpr60_sgpr61
                                        ; implicit-def: $vgpr2_vgpr3
	s_and_saveexec_b64 s[46:47], vcc
	s_cbranch_execz .LBB1403_115
; %bb.112:
	ds_read2_b64 v[2:5], v28 offset0:19 offset1:20
	v_cmp_ne_u32_e32 vcc, v8, v9
	v_mov_b32_e32 v8, s69
	v_add_u32_e32 v10, 20, v85
	v_cndmask_b32_e64 v112, 0, 1, vcc
	s_waitcnt lgkmcnt(0)
	v_cndmask_b32_e32 v51, v3, v8, vcc
	v_mov_b32_e32 v3, s68
	v_cndmask_b32_e32 v50, v2, v3, vcc
	v_cmp_gt_u32_e32 vcc, s64, v10
                                        ; implicit-def: $sgpr60_sgpr61
                                        ; implicit-def: $vgpr2_vgpr3
	s_and_saveexec_b64 s[64:65], vcc
	s_xor_b64 s[64:65], exec, s[64:65]
; %bb.113:
	v_mov_b32_e32 v2, s69
	v_cmp_ne_u32_e32 vcc, v9, v84
	v_cndmask_b32_e32 v3, v5, v2, vcc
	v_mov_b32_e32 v2, s68
	s_mov_b64 s[58:59], exec
	v_cndmask_b32_e32 v2, v4, v2, vcc
	s_and_b64 s[60:61], vcc, exec
; %bb.114:
	s_or_b64 exec, exec, s[64:65]
	s_and_b64 s[60:61], s[60:61], exec
	s_and_b64 s[58:59], s[58:59], exec
.LBB1403_115:
	s_or_b64 exec, exec, s[46:47]
	s_and_b64 s[60:61], s[60:61], exec
	s_and_b64 s[46:47], s[58:59], exec
.LBB1403_116:
	s_or_b64 exec, exec, s[44:45]
	s_and_b64 s[58:59], s[60:61], exec
	s_and_b64 s[44:45], s[46:47], exec
.LBB1403_117:
	s_or_b64 exec, exec, s[42:43]
	s_and_b64 s[46:47], s[58:59], exec
	s_and_b64 s[42:43], s[44:45], exec
.LBB1403_118:
	s_or_b64 exec, exec, s[40:41]
	s_and_b64 s[44:45], s[46:47], exec
	s_and_b64 s[40:41], s[42:43], exec
.LBB1403_119:
	s_or_b64 exec, exec, s[38:39]
	s_and_b64 s[42:43], s[44:45], exec
	s_and_b64 s[38:39], s[40:41], exec
.LBB1403_120:
	s_or_b64 exec, exec, s[36:37]
	s_and_b64 s[40:41], s[42:43], exec
	s_and_b64 s[36:37], s[38:39], exec
.LBB1403_121:
	s_or_b64 exec, exec, s[34:35]
	s_and_b64 s[38:39], s[40:41], exec
	s_and_b64 s[34:35], s[36:37], exec
.LBB1403_122:
	s_or_b64 exec, exec, s[30:31]
	s_and_b64 s[36:37], s[38:39], exec
	s_and_b64 s[30:31], s[34:35], exec
.LBB1403_123:
	s_or_b64 exec, exec, s[28:29]
	s_and_b64 s[34:35], s[36:37], exec
	s_and_b64 s[28:29], s[30:31], exec
.LBB1403_124:
	s_or_b64 exec, exec, s[26:27]
	s_and_b64 s[30:31], s[34:35], exec
	s_and_b64 s[26:27], s[28:29], exec
.LBB1403_125:
	s_or_b64 exec, exec, s[24:25]
	s_and_b64 s[28:29], s[30:31], exec
	s_and_b64 s[24:25], s[26:27], exec
.LBB1403_126:
	s_or_b64 exec, exec, s[22:23]
	s_and_b64 s[26:27], s[28:29], exec
	s_and_b64 s[22:23], s[24:25], exec
.LBB1403_127:
	s_or_b64 exec, exec, s[20:21]
	s_and_b64 s[24:25], s[26:27], exec
	s_and_b64 s[20:21], s[22:23], exec
.LBB1403_128:
	s_or_b64 exec, exec, s[18:19]
	s_and_b64 s[22:23], s[24:25], exec
	s_and_b64 s[18:19], s[20:21], exec
.LBB1403_129:
	s_or_b64 exec, exec, s[16:17]
	s_and_b64 s[20:21], s[22:23], exec
	s_and_b64 s[16:17], s[18:19], exec
.LBB1403_130:
	s_or_b64 exec, exec, s[14:15]
	s_and_b64 s[18:19], s[20:21], exec
	s_and_b64 s[14:15], s[16:17], exec
.LBB1403_131:
	s_or_b64 exec, exec, s[12:13]
	s_and_b64 s[16:17], s[18:19], exec
	s_and_b64 s[12:13], s[14:15], exec
.LBB1403_132:
	s_or_b64 exec, exec, s[10:11]
	s_and_b64 s[14:15], s[16:17], exec
	s_and_b64 s[10:11], s[12:13], exec
.LBB1403_133:
	s_or_b64 exec, exec, s[8:9]
	s_and_b64 s[8:9], s[14:15], exec
	s_and_b64 s[10:11], s[10:11], exec
.LBB1403_134:
	s_or_b64 exec, exec, s[6:7]
	s_mov_b64 s[6:7], 0
	s_and_b64 vcc, exec, s[4:5]
	s_cbranch_vccz .LBB1403_140
.LBB1403_135:
	v_lshlrev_b32_e32 v2, 2, v0
	v_add_co_u32_e32 v4, vcc, v6, v2
	v_addc_co_u32_e32 v5, vcc, 0, v7, vcc
	s_movk_i32 s6, 0x1000
	flat_load_dword v1, v[4:5]
	flat_load_dword v3, v[4:5] offset:256
	flat_load_dword v8, v[4:5] offset:512
	;; [unrolled: 1-line block ×15, first 2 shown]
	v_add_co_u32_e32 v4, vcc, s6, v4
	v_addc_co_u32_e32 v5, vcc, 0, v5, vcc
	flat_load_dword v22, v[4:5]
	flat_load_dword v23, v[4:5] offset:256
	flat_load_dword v24, v[4:5] offset:512
	;; [unrolled: 1-line block ×4, first 2 shown]
	v_add_co_u32_e32 v4, vcc, 0x1000, v6
	v_addc_co_u32_e32 v5, vcc, 0, v7, vcc
	s_movk_i32 s4, 0x50
	v_cmp_ne_u32_e32 vcc, 63, v0
	s_waitcnt vmcnt(0) lgkmcnt(0)
	ds_write2st64_b32 v2, v1, v3 offset1:1
	ds_write2st64_b32 v2, v8, v9 offset0:2 offset1:3
	ds_write2st64_b32 v2, v10, v11 offset0:4 offset1:5
	ds_write2st64_b32 v2, v12, v13 offset0:6 offset1:7
	ds_write2st64_b32 v2, v14, v15 offset0:8 offset1:9
	ds_write2st64_b32 v2, v16, v17 offset0:10 offset1:11
	ds_write2st64_b32 v2, v18, v19 offset0:12 offset1:13
	ds_write2st64_b32 v2, v20, v21 offset0:14 offset1:15
	ds_write2st64_b32 v2, v22, v23 offset0:16 offset1:17
	ds_write2st64_b32 v2, v24, v25 offset0:18 offset1:19
	ds_write_b32 v2, v26 offset:5120
	s_waitcnt lgkmcnt(0)
	; wave barrier
	s_waitcnt lgkmcnt(0)
	flat_load_dword v88, v[4:5] offset:1280
	v_mad_u32_u24 v3, v0, s4, v2
	s_movk_i32 s4, 0xffb0
	ds_read_b32 v1, v3
	ds_read2_b32 v[62:63], v3 offset0:1 offset1:2
	ds_read2_b32 v[60:61], v3 offset0:3 offset1:4
	;; [unrolled: 1-line block ×10, first 2 shown]
	v_mad_i32_i24 v3, v0, s4, v3
	s_waitcnt lgkmcnt(0)
	ds_write_b32 v3, v1 offset:5632
	s_waitcnt lgkmcnt(0)
	; wave barrier
	s_waitcnt lgkmcnt(0)
	s_and_saveexec_b64 s[4:5], vcc
	s_cbranch_execz .LBB1403_137
; %bb.136:
	s_waitcnt vmcnt(0)
	ds_read_b32 v88, v2 offset:5636
.LBB1403_137:
	s_or_b64 exec, exec, s[4:5]
	v_lshlrev_b32_e32 v2, 3, v0
	v_add_co_u32_e32 v4, vcc, v86, v2
	v_addc_co_u32_e32 v5, vcc, 0, v87, vcc
	v_add_co_u32_e32 v22, vcc, s6, v4
	v_addc_co_u32_e32 v23, vcc, 0, v5, vcc
	s_movk_i32 s4, 0x2000
	s_waitcnt lgkmcnt(0)
	; wave barrier
	s_waitcnt lgkmcnt(0)
	flat_load_dwordx2 v[6:7], v[4:5]
	flat_load_dwordx2 v[8:9], v[4:5] offset:512
	flat_load_dwordx2 v[10:11], v[4:5] offset:1024
	;; [unrolled: 1-line block ×7, first 2 shown]
	v_add_co_u32_e32 v4, vcc, s4, v4
	v_addc_co_u32_e32 v5, vcc, 0, v5, vcc
	flat_load_dwordx2 v[24:25], v[22:23]
	flat_load_dwordx2 v[26:27], v[22:23] offset:512
	flat_load_dwordx2 v[28:29], v[22:23] offset:1024
	;; [unrolled: 1-line block ×7, first 2 shown]
	s_nop 0
	flat_load_dwordx2 v[22:23], v[4:5]
	flat_load_dwordx2 v[40:41], v[4:5] offset:512
	flat_load_dwordx2 v[44:45], v[4:5] offset:1024
	;; [unrolled: 1-line block ×4, first 2 shown]
	v_lshl_add_u32 v64, v0, 2, v3
	s_movk_i32 s4, 0xa0
	v_mad_u32_u24 v2, v0, s4, v64
	v_cmp_ne_u32_e32 vcc, v1, v62
	v_cmp_eq_u32_e64 s[4:5], v1, v62
	s_waitcnt vmcnt(0) lgkmcnt(0)
	ds_write2st64_b64 v64, v[6:7], v[8:9] offset1:1
	ds_write2st64_b64 v64, v[10:11], v[12:13] offset0:2 offset1:3
	ds_write2st64_b64 v64, v[14:15], v[16:17] offset0:4 offset1:5
	;; [unrolled: 1-line block ×9, first 2 shown]
	ds_write_b64 v64, v[68:69] offset:10240
	s_waitcnt lgkmcnt(0)
	; wave barrier
	s_waitcnt lgkmcnt(0)
	ds_read2_b64 v[38:41], v2 offset0:1 offset1:2
	ds_read2_b64 v[34:37], v2 offset0:3 offset1:4
	ds_read2_b64 v[30:33], v2 offset0:5 offset1:6
	ds_read2_b64 v[26:29], v2 offset0:7 offset1:8
	ds_read2_b64 v[22:25], v2 offset0:9 offset1:10
	ds_read2_b64 v[18:21], v2 offset0:11 offset1:12
	ds_read2_b64 v[14:17], v2 offset0:13 offset1:14
	ds_read2_b64 v[10:13], v2 offset0:15 offset1:16
	ds_read2_b64 v[6:9], v2 offset0:17 offset1:18
	ds_read2_b64 v[2:5], v2 offset0:19 offset1:20
	v_pk_mov_b32 v[44:45], s[68:69], s[68:69] op_sel:[0,1]
	s_and_saveexec_b64 s[6:7], s[4:5]
	s_cbranch_execz .LBB1403_139
; %bb.138:
	v_mul_u32_u24_e32 v1, 0xa0, v0
	v_add_u32_e32 v1, v64, v1
	ds_read_b64 v[44:45], v1
.LBB1403_139:
	s_or_b64 exec, exec, s[6:7]
	v_cndmask_b32_e64 v1, 0, 1, vcc
	v_cmp_ne_u32_e32 vcc, v62, v63
	v_cmp_ne_u32_e64 s[38:39], v47, v84
	v_cmp_ne_u32_e64 s[40:41], v84, v85
	v_mov_b32_e32 v84, s69
	v_cmp_ne_u32_e64 s[8:9], v61, v58
	v_cmp_ne_u32_e64 s[36:37], v46, v47
	s_waitcnt lgkmcnt(9)
	v_cndmask_b32_e32 v47, v39, v84, vcc
	v_mov_b32_e32 v39, s68
	v_cmp_ne_u32_e64 s[4:5], v63, v60
	v_cmp_ne_u32_e64 s[6:7], v60, v61
	v_cndmask_b32_e64 v114, 0, 1, s[8:9]
	v_cmp_ne_u32_e64 s[10:11], v58, v59
	v_cmp_ne_u32_e64 s[12:13], v59, v56
	;; [unrolled: 1-line block ×12, first 2 shown]
	s_waitcnt lgkmcnt(8)
	v_cndmask_b32_e64 v55, v37, v84, s[8:9]
	v_cndmask_b32_e64 v54, v36, v39, s[8:9]
	v_cmp_ne_u32_e64 s[8:9], v85, v88
	v_cndmask_b32_e64 v110, 0, 1, vcc
	v_cndmask_b32_e64 v111, 0, 1, s[4:5]
	v_cndmask_b32_e64 v113, 0, 1, s[6:7]
	;; [unrolled: 1-line block ×17, first 2 shown]
	v_cndmask_b32_e32 v46, v38, v39, vcc
	v_cndmask_b32_e64 v49, v41, v84, s[4:5]
	v_cndmask_b32_e64 v48, v40, v39, s[4:5]
	v_cndmask_b32_e64 v53, v35, v84, s[6:7]
	v_cndmask_b32_e64 v52, v34, v39, s[6:7]
	s_waitcnt lgkmcnt(7)
	v_cndmask_b32_e64 v57, v31, v84, s[10:11]
	v_cndmask_b32_e64 v56, v30, v39, s[10:11]
	v_cndmask_b32_e64 v59, v33, v84, s[12:13]
	v_cndmask_b32_e64 v58, v32, v39, s[12:13]
	s_waitcnt lgkmcnt(6)
	;; [unrolled: 5-line block ×8, first 2 shown]
	v_cndmask_b32_e64 v51, v3, v84, s[40:41]
	v_cndmask_b32_e64 v50, v2, v39, s[40:41]
	;; [unrolled: 1-line block ×4, first 2 shown]
	s_mov_b64 s[10:11], -1
                                        ; implicit-def: $sgpr72
                                        ; implicit-def: $sgpr6_sgpr7
.LBB1403_140:
	v_pk_mov_b32 v[84:85], s[6:7], s[6:7] op_sel:[0,1]
	v_mov_b32_e32 v129, s72
	s_and_saveexec_b64 s[4:5], s[10:11]
; %bb.141:
	v_cndmask_b32_e64 v129, 0, 1, s[8:9]
	v_pk_mov_b32 v[84:85], v[2:3], v[2:3] op_sel:[0,1]
; %bb.142:
	s_or_b64 exec, exec, s[4:5]
	v_or_b32_e32 v2, v129, v112
	s_cmp_lg_u32 s55, 0
	v_add_f64 v[86:87], v[46:47], v[44:45]
	v_or_b32_e32 v131, v2, v128
	v_mbcnt_lo_u32_b32 v130, -1, 0
	s_waitcnt lgkmcnt(0)
	; wave barrier
	s_waitcnt lgkmcnt(0)
	s_cbranch_scc0 .LBB1403_205
; %bb.143:
	v_mov_b32_e32 v4, 0
	v_cmp_eq_u16_sdwa s[4:5], v110, v4 src0_sel:BYTE_0 src1_sel:DWORD
	v_cndmask_b32_e64 v3, v47, v87, s[4:5]
	v_cndmask_b32_e64 v2, v46, v86, s[4:5]
	v_add_f64 v[2:3], v[48:49], v[2:3]
	v_cmp_eq_u16_sdwa s[6:7], v111, v4 src0_sel:BYTE_0 src1_sel:DWORD
	v_cndmask_b32_e64 v3, v49, v3, s[6:7]
	v_cndmask_b32_e64 v2, v48, v2, s[6:7]
	v_add_f64 v[2:3], v[52:53], v[2:3]
	v_cmp_eq_u16_sdwa s[8:9], v113, v4 src0_sel:BYTE_0 src1_sel:DWORD
	v_cndmask_b32_e64 v3, v53, v3, s[8:9]
	v_cndmask_b32_e64 v2, v52, v2, s[8:9]
	v_add_f64 v[2:3], v[54:55], v[2:3]
	v_cmp_eq_u16_sdwa s[10:11], v114, v4 src0_sel:BYTE_0 src1_sel:DWORD
	v_cndmask_b32_e64 v3, v55, v3, s[10:11]
	v_cndmask_b32_e64 v2, v54, v2, s[10:11]
	v_add_f64 v[2:3], v[56:57], v[2:3]
	v_cmp_eq_u16_sdwa s[12:13], v115, v4 src0_sel:BYTE_0 src1_sel:DWORD
	v_cndmask_b32_e64 v3, v57, v3, s[12:13]
	v_cndmask_b32_e64 v2, v56, v2, s[12:13]
	v_add_f64 v[2:3], v[58:59], v[2:3]
	v_cmp_eq_u16_sdwa s[14:15], v116, v4 src0_sel:BYTE_0 src1_sel:DWORD
	v_cndmask_b32_e64 v3, v59, v3, s[14:15]
	v_cndmask_b32_e64 v2, v58, v2, s[14:15]
	v_add_f64 v[2:3], v[60:61], v[2:3]
	v_cmp_eq_u16_sdwa s[16:17], v117, v4 src0_sel:BYTE_0 src1_sel:DWORD
	v_cndmask_b32_e64 v3, v61, v3, s[16:17]
	v_cndmask_b32_e64 v2, v60, v2, s[16:17]
	v_add_f64 v[2:3], v[62:63], v[2:3]
	v_cmp_eq_u16_sdwa s[18:19], v118, v4 src0_sel:BYTE_0 src1_sel:DWORD
	v_cndmask_b32_e64 v3, v63, v3, s[18:19]
	v_cndmask_b32_e64 v2, v62, v2, s[18:19]
	v_add_f64 v[2:3], v[64:65], v[2:3]
	v_cmp_eq_u16_sdwa s[20:21], v119, v4 src0_sel:BYTE_0 src1_sel:DWORD
	v_cndmask_b32_e64 v3, v65, v3, s[20:21]
	v_cndmask_b32_e64 v2, v64, v2, s[20:21]
	v_add_f64 v[2:3], v[66:67], v[2:3]
	v_cmp_eq_u16_sdwa s[22:23], v120, v4 src0_sel:BYTE_0 src1_sel:DWORD
	v_cndmask_b32_e64 v3, v67, v3, s[22:23]
	v_cndmask_b32_e64 v2, v66, v2, s[22:23]
	v_add_f64 v[2:3], v[68:69], v[2:3]
	v_cmp_eq_u16_sdwa s[24:25], v121, v4 src0_sel:BYTE_0 src1_sel:DWORD
	v_cndmask_b32_e64 v3, v69, v3, s[24:25]
	v_cndmask_b32_e64 v2, v68, v2, s[24:25]
	v_cmp_eq_u16_sdwa s[26:27], v122, v4 src0_sel:BYTE_0 src1_sel:DWORD
	v_cmp_eq_u16_sdwa s[28:29], v123, v4 src0_sel:BYTE_0 src1_sel:DWORD
	;; [unrolled: 1-line block ×8, first 2 shown]
	v_cmp_eq_u16_sdwa vcc, v129, v4 src0_sel:BYTE_0 src1_sel:DWORD
	v_or_b32_e32 v4, v131, v127
	v_add_f64 v[2:3], v[70:71], v[2:3]
	v_or_b32_e32 v4, v4, v126
	v_cndmask_b32_e64 v3, v71, v3, s[26:27]
	v_cndmask_b32_e64 v2, v70, v2, s[26:27]
	v_or_b32_e32 v4, v4, v125
	v_add_f64 v[2:3], v[72:73], v[2:3]
	v_or_b32_e32 v4, v4, v124
	v_cndmask_b32_e64 v3, v73, v3, s[28:29]
	v_cndmask_b32_e64 v2, v72, v2, s[28:29]
	;; [unrolled: 5-line block ×8, first 2 shown]
	v_or_b32_e32 v4, v4, v110
	v_add_f64 v[2:3], v[84:85], v[2:3]
	v_or_b32_e32 v4, v4, v1
	v_mbcnt_hi_u32_b32 v7, -1, v130
	v_cndmask_b32_e32 v3, v85, v3, vcc
	v_cndmask_b32_e32 v2, v84, v2, vcc
	v_and_b32_e32 v6, 1, v4
	v_and_b32_e32 v8, 15, v7
	v_cmp_eq_u32_e32 vcc, 1, v6
	v_mov_b32_dpp v4, v2 row_shr:1 row_mask:0xf bank_mask:0xf
	v_mov_b32_dpp v5, v3 row_shr:1 row_mask:0xf bank_mask:0xf
	;; [unrolled: 1-line block ×3, first 2 shown]
	v_cmp_ne_u32_e64 s[44:45], 0, v8
	v_mov_b32_e32 v9, v6
	s_and_saveexec_b64 s[46:47], s[44:45]
; %bb.144:
	v_add_f64 v[4:5], v[2:3], v[4:5]
	v_cndmask_b32_e32 v2, v4, v2, vcc
	v_and_b32_e32 v4, 1, v10
	v_or_b32_e32 v6, v4, v6
	v_cndmask_b32_e32 v3, v5, v3, vcc
	v_and_b32_e32 v9, 0xffff, v6
; %bb.145:
	s_or_b64 exec, exec, s[46:47]
	v_mov_b32_dpp v4, v2 row_shr:2 row_mask:0xf bank_mask:0xf
	v_mov_b32_dpp v5, v3 row_shr:2 row_mask:0xf bank_mask:0xf
	v_mov_b32_dpp v10, v9 row_shr:2 row_mask:0xf bank_mask:0xf
	v_cmp_lt_u32_e32 vcc, 1, v8
	s_and_saveexec_b64 s[46:47], vcc
; %bb.146:
	v_add_f64 v[4:5], v[2:3], v[4:5]
	v_cmp_eq_u16_e32 vcc, 0, v6
	v_cndmask_b32_e32 v2, v2, v4, vcc
	v_and_b32_e32 v4, 1, v6
	v_cndmask_b32_e32 v3, v3, v5, vcc
	v_cmp_eq_u32_e32 vcc, 1, v4
	v_and_b32_e32 v4, 1, v10
	v_cmp_eq_u32_e64 s[44:45], 1, v4
	s_or_b64 s[44:45], vcc, s[44:45]
	v_cndmask_b32_e64 v6, 0, 1, s[44:45]
	v_cndmask_b32_e64 v9, 0, 1, s[44:45]
; %bb.147:
	s_or_b64 exec, exec, s[46:47]
	v_mov_b32_dpp v4, v2 row_shr:4 row_mask:0xf bank_mask:0xf
	v_mov_b32_dpp v5, v3 row_shr:4 row_mask:0xf bank_mask:0xf
	v_mov_b32_dpp v10, v9 row_shr:4 row_mask:0xf bank_mask:0xf
	v_cmp_lt_u32_e32 vcc, 3, v8
	s_and_saveexec_b64 s[46:47], vcc
; %bb.148:
	v_add_f64 v[4:5], v[2:3], v[4:5]
	v_cmp_eq_u16_e32 vcc, 0, v6
	v_cndmask_b32_e32 v2, v2, v4, vcc
	v_and_b32_e32 v4, 1, v6
	v_cndmask_b32_e32 v3, v3, v5, vcc
	v_cmp_eq_u32_e32 vcc, 1, v4
	v_and_b32_e32 v4, 1, v10
	v_cmp_eq_u32_e64 s[44:45], 1, v4
	s_or_b64 s[44:45], vcc, s[44:45]
	v_cndmask_b32_e64 v6, 0, 1, s[44:45]
	v_cndmask_b32_e64 v9, 0, 1, s[44:45]
	;; [unrolled: 19-line block ×3, first 2 shown]
; %bb.151:
	s_or_b64 exec, exec, s[46:47]
	v_and_b32_e32 v10, 16, v7
	v_mov_b32_dpp v4, v2 row_bcast:15 row_mask:0xf bank_mask:0xf
	v_mov_b32_dpp v5, v3 row_bcast:15 row_mask:0xf bank_mask:0xf
	;; [unrolled: 1-line block ×3, first 2 shown]
	v_cmp_ne_u32_e32 vcc, 0, v10
	s_and_saveexec_b64 s[46:47], vcc
; %bb.152:
	v_add_f64 v[4:5], v[2:3], v[4:5]
	v_cmp_eq_u16_e32 vcc, 0, v6
	v_cndmask_b32_e32 v2, v2, v4, vcc
	v_and_b32_e32 v4, 1, v6
	v_cndmask_b32_e32 v3, v3, v5, vcc
	v_cmp_eq_u32_e32 vcc, 1, v4
	v_and_b32_e32 v4, 1, v8
	v_cmp_eq_u32_e64 s[44:45], 1, v4
	s_or_b64 s[44:45], vcc, s[44:45]
	v_cndmask_b32_e64 v6, 0, 1, s[44:45]
	v_cndmask_b32_e64 v9, 0, 1, s[44:45]
; %bb.153:
	s_or_b64 exec, exec, s[46:47]
	v_mov_b32_dpp v4, v2 row_bcast:31 row_mask:0xf bank_mask:0xf
	v_mov_b32_dpp v5, v3 row_bcast:31 row_mask:0xf bank_mask:0xf
	;; [unrolled: 1-line block ×3, first 2 shown]
	v_cmp_lt_u32_e32 vcc, 31, v7
	s_and_saveexec_b64 s[46:47], vcc
; %bb.154:
	v_add_f64 v[4:5], v[2:3], v[4:5]
	v_cmp_eq_u16_e32 vcc, 0, v6
	v_cndmask_b32_e32 v2, v2, v4, vcc
	v_and_b32_e32 v4, 1, v6
	v_cndmask_b32_e32 v3, v3, v5, vcc
	v_cmp_eq_u32_e32 vcc, 1, v4
	v_and_b32_e32 v4, 1, v8
	v_cmp_eq_u32_e64 s[44:45], 1, v4
	s_or_b64 s[44:45], vcc, s[44:45]
	v_cndmask_b32_e64 v6, 0, 1, s[44:45]
; %bb.155:
	s_or_b64 exec, exec, s[46:47]
	v_cmp_eq_u32_e32 vcc, 63, v0
	s_and_saveexec_b64 s[44:45], vcc
	s_cbranch_execz .LBB1403_157
; %bb.156:
	v_mov_b32_e32 v4, 0
	ds_write_b64 v4, v[2:3]
	ds_write_b8 v4, v6 offset:8
.LBB1403_157:
	s_or_b64 exec, exec, s[44:45]
	v_add_u32_e32 v4, -1, v7
	v_and_b32_e32 v5, 64, v7
	v_cmp_lt_i32_e32 vcc, v4, v5
	v_cndmask_b32_e32 v4, v4, v7, vcc
	v_lshlrev_b32_e32 v4, 2, v4
	v_and_b32_e32 v5, 0xffff, v6
	ds_bpermute_b32 v2, v4, v2
	ds_bpermute_b32 v3, v4, v3
	ds_bpermute_b32 v16, v4, v5
	v_cmp_gt_u32_e32 vcc, 64, v0
	s_waitcnt lgkmcnt(0)
	; wave barrier
	s_waitcnt lgkmcnt(0)
	s_and_saveexec_b64 s[58:59], vcc
	s_cbranch_execz .LBB1403_204
; %bb.158:
	v_mov_b32_e32 v9, 0
	ds_read_b64 v[4:5], v9
	ds_read_u8 v17, v9 offset:8
	s_mov_b32 s61, 0
	v_cmp_eq_u32_e64 s[44:45], 0, v7
	s_and_saveexec_b64 s[46:47], s[44:45]
	s_cbranch_execz .LBB1403_160
; %bb.159:
	s_add_i32 s60, s55, 64
	s_lshl_b64 s[64:65], s[60:61], 4
	s_add_u32 s64, s48, s64
	s_addc_u32 s65, s49, s65
	v_mov_b32_e32 v6, s60
	v_mov_b32_e32 v8, 1
	s_waitcnt lgkmcnt(1)
	global_store_dwordx2 v9, v[4:5], s[64:65]
	s_waitcnt lgkmcnt(0)
	global_store_byte v9, v17, s[64:65] offset:8
	s_waitcnt vmcnt(0)
	buffer_wbinvl1_vol
	global_store_byte v6, v8, s[52:53]
.LBB1403_160:
	s_or_b64 exec, exec, s[46:47]
	v_xad_u32 v6, v7, -1, s55
	v_add_u32_e32 v8, 64, v6
	global_load_ubyte v18, v8, s[52:53] glc
	s_waitcnt vmcnt(0)
	v_cmp_eq_u16_e32 vcc, 0, v18
	s_and_saveexec_b64 s[46:47], vcc
	s_cbranch_execz .LBB1403_166
; %bb.161:
	v_mov_b32_e32 v11, s53
	v_add_co_u32_e32 v10, vcc, s52, v8
	v_addc_co_u32_e32 v11, vcc, 0, v11, vcc
	s_mov_b32 s64, 1
	s_mov_b64 s[60:61], 0
.LBB1403_162:                           ; =>This Loop Header: Depth=1
                                        ;     Child Loop BB1403_163 Depth 2
	s_max_u32 s65, s64, 1
.LBB1403_163:                           ;   Parent Loop BB1403_162 Depth=1
                                        ; =>  This Inner Loop Header: Depth=2
	s_add_i32 s65, s65, -1
	s_cmp_eq_u32 s65, 0
	s_sleep 1
	s_cbranch_scc0 .LBB1403_163
; %bb.164:                              ;   in Loop: Header=BB1403_162 Depth=1
	global_load_ubyte v18, v[10:11], off glc
	s_cmp_lt_u32 s64, 32
	s_cselect_b64 s[72:73], -1, 0
	s_cmp_lg_u64 s[72:73], 0
	s_addc_u32 s64, s64, 0
	s_waitcnt vmcnt(0)
	v_cmp_ne_u16_e32 vcc, 0, v18
	s_or_b64 s[60:61], vcc, s[60:61]
	s_andn2_b64 exec, exec, s[60:61]
	s_cbranch_execnz .LBB1403_162
; %bb.165:
	s_or_b64 exec, exec, s[60:61]
.LBB1403_166:
	s_or_b64 exec, exec, s[46:47]
	v_mov_b32_e32 v10, s51
	v_mov_b32_e32 v11, s49
	v_cmp_eq_u16_e32 vcc, 1, v18
	v_cndmask_b32_e32 v10, v10, v11, vcc
	v_mov_b32_e32 v11, s50
	v_mov_b32_e32 v12, s48
	v_cndmask_b32_e32 v11, v11, v12, vcc
	v_lshlrev_b64 v[8:9], 4, v[8:9]
	v_add_co_u32_e32 v8, vcc, v11, v8
	v_addc_co_u32_e32 v9, vcc, v10, v9, vcc
	s_waitcnt lgkmcnt(0)
	buffer_wbinvl1_vol
	global_load_dwordx2 v[12:13], v[8:9], off
	global_load_ubyte v14, v[8:9], off offset:8
	v_cmp_eq_u16_e32 vcc, 2, v18
	v_lshlrev_b64 v[8:9], v7, -1
	v_and_b32_e32 v19, 63, v7
	v_and_b32_e32 v10, vcc_hi, v9
	v_and_b32_e32 v15, vcc_lo, v8
	v_cmp_ne_u32_e32 vcc, 63, v19
	v_addc_co_u32_e32 v11, vcc, 0, v7, vcc
	v_or_b32_e32 v10, 0x80000000, v10
	v_lshlrev_b32_e32 v20, 2, v11
	v_ffbl_b32_e32 v22, v10
	v_add_u32_e32 v22, 32, v22
	v_ffbl_b32_e32 v15, v15
	v_min_u32_e32 v15, v15, v22
	v_cmp_lt_u32_e32 vcc, v19, v15
	s_waitcnt vmcnt(1)
	ds_bpermute_b32 v10, v20, v12
	s_waitcnt vmcnt(0)
	v_and_b32_e32 v30, 1, v14
	ds_bpermute_b32 v11, v20, v13
	ds_bpermute_b32 v21, v20, v30
	s_and_saveexec_b64 s[46:47], vcc
	s_cbranch_execz .LBB1403_168
; %bb.167:
	v_mov_b32_e32 v22, 0
	s_waitcnt lgkmcnt(1)
	v_add_f64 v[10:11], v[12:13], v[10:11]
	v_cmp_eq_u16_sdwa vcc, v14, v22 src0_sel:BYTE_0 src1_sel:DWORD
	v_cndmask_b32_e32 v12, v12, v10, vcc
	s_waitcnt lgkmcnt(0)
	v_and_b32_e32 v10, 1, v21
	v_or_b32_e32 v14, v10, v14
	v_cndmask_b32_e32 v13, v13, v11, vcc
	v_and_b32_e32 v30, 0xff, v14
.LBB1403_168:
	s_or_b64 exec, exec, s[46:47]
	v_cmp_gt_u32_e32 vcc, 62, v19
	s_waitcnt lgkmcnt(2)
	v_cndmask_b32_e64 v10, 0, 1, vcc
	v_lshlrev_b32_e32 v10, 1, v10
	s_waitcnt lgkmcnt(0)
	v_add_lshl_u32 v21, v10, v7, 2
	ds_bpermute_b32 v10, v21, v12
	ds_bpermute_b32 v11, v21, v13
	ds_bpermute_b32 v23, v21, v30
	v_add_u32_e32 v22, 2, v19
	v_cmp_le_u32_e32 vcc, v22, v15
	s_and_saveexec_b64 s[60:61], vcc
	s_cbranch_execz .LBB1403_170
; %bb.169:
	v_mov_b32_e32 v24, 0
	s_waitcnt lgkmcnt(1)
	v_add_f64 v[10:11], v[12:13], v[10:11]
	v_cmp_eq_u16_sdwa vcc, v14, v24 src0_sel:BYTE_0 src1_sel:DWORD
	v_cndmask_b32_e32 v12, v12, v10, vcc
	v_and_b32_e32 v10, 1, v14
	v_cndmask_b32_e32 v13, v13, v11, vcc
	v_cmp_eq_u32_e32 vcc, 1, v10
	s_waitcnt lgkmcnt(0)
	v_and_b32_e32 v10, 1, v23
	v_cmp_eq_u32_e64 s[46:47], 1, v10
	s_or_b64 s[46:47], vcc, s[46:47]
	v_cndmask_b32_e64 v14, 0, 1, s[46:47]
	v_cndmask_b32_e64 v30, 0, 1, s[46:47]
.LBB1403_170:
	s_or_b64 exec, exec, s[60:61]
	v_cmp_gt_u32_e32 vcc, 60, v19
	s_waitcnt lgkmcnt(2)
	v_cndmask_b32_e64 v10, 0, 1, vcc
	v_lshlrev_b32_e32 v10, 2, v10
	s_waitcnt lgkmcnt(0)
	v_add_lshl_u32 v23, v10, v7, 2
	ds_bpermute_b32 v10, v23, v12
	ds_bpermute_b32 v11, v23, v13
	ds_bpermute_b32 v25, v23, v30
	v_add_u32_e32 v24, 4, v19
	v_cmp_le_u32_e32 vcc, v24, v15
	s_and_saveexec_b64 s[60:61], vcc
	s_cbranch_execz .LBB1403_172
; %bb.171:
	v_mov_b32_e32 v26, 0
	s_waitcnt lgkmcnt(1)
	v_add_f64 v[10:11], v[12:13], v[10:11]
	v_cmp_eq_u16_sdwa vcc, v14, v26 src0_sel:BYTE_0 src1_sel:DWORD
	v_cndmask_b32_e32 v12, v12, v10, vcc
	v_and_b32_e32 v10, 1, v14
	v_cndmask_b32_e32 v13, v13, v11, vcc
	v_cmp_eq_u32_e32 vcc, 1, v10
	s_waitcnt lgkmcnt(0)
	v_and_b32_e32 v10, 1, v25
	v_cmp_eq_u32_e64 s[46:47], 1, v10
	s_or_b64 s[46:47], vcc, s[46:47]
	v_cndmask_b32_e64 v14, 0, 1, s[46:47]
	v_cndmask_b32_e64 v30, 0, 1, s[46:47]
.LBB1403_172:
	;; [unrolled: 30-line block ×4, first 2 shown]
	s_or_b64 exec, exec, s[60:61]
	v_cmp_gt_u32_e32 vcc, 32, v19
	s_waitcnt lgkmcnt(2)
	v_cndmask_b32_e64 v10, 0, 1, vcc
	v_lshlrev_b32_e32 v10, 5, v10
	s_waitcnt lgkmcnt(0)
	v_add_lshl_u32 v29, v10, v7, 2
	ds_bpermute_b32 v10, v29, v12
	ds_bpermute_b32 v11, v29, v13
	;; [unrolled: 1-line block ×3, first 2 shown]
	v_add_u32_e32 v31, 32, v19
	v_cmp_le_u32_e32 vcc, v31, v15
	s_and_saveexec_b64 s[60:61], vcc
	s_cbranch_execz .LBB1403_178
; %bb.177:
	v_mov_b32_e32 v15, 0
	s_waitcnt lgkmcnt(1)
	v_add_f64 v[10:11], v[12:13], v[10:11]
	v_cmp_eq_u16_sdwa vcc, v14, v15 src0_sel:BYTE_0 src1_sel:DWORD
	v_cndmask_b32_e32 v12, v12, v10, vcc
	v_and_b32_e32 v10, 1, v14
	s_waitcnt lgkmcnt(0)
	v_and_b32_e32 v7, 1, v7
	v_cndmask_b32_e32 v13, v13, v11, vcc
	v_cmp_eq_u32_e32 vcc, 1, v10
	v_cmp_eq_u32_e64 s[46:47], 1, v7
	s_or_b64 s[46:47], vcc, s[46:47]
	v_cndmask_b32_e64 v14, 0, 1, s[46:47]
.LBB1403_178:
	s_or_b64 exec, exec, s[60:61]
	s_waitcnt lgkmcnt(0)
	v_mov_b32_e32 v7, 0
	v_mov_b32_e32 v32, 2
	s_branch .LBB1403_180
.LBB1403_179:                           ;   in Loop: Header=BB1403_180 Depth=1
	s_or_b64 exec, exec, s[64:65]
	v_add_f64 v[12:13], v[10:11], v[12:13]
	v_cmp_eq_u16_sdwa vcc, v30, v7 src0_sel:BYTE_0 src1_sel:DWORD
	s_waitcnt lgkmcnt(2)
	v_and_b32_e32 v14, 1, v30
	v_cndmask_b32_e32 v13, v11, v13, vcc
	v_cndmask_b32_e32 v12, v10, v12, vcc
	v_cmp_eq_u32_e32 vcc, 1, v14
	s_or_b64 s[46:47], vcc, s[60:61]
	v_subrev_u32_e32 v6, 64, v6
	v_cndmask_b32_e64 v14, 0, 1, s[46:47]
.LBB1403_180:                           ; =>This Loop Header: Depth=1
                                        ;     Child Loop BB1403_183 Depth 2
                                        ;       Child Loop BB1403_184 Depth 3
	v_cmp_ne_u16_sdwa s[46:47], v18, v32 src0_sel:BYTE_0 src1_sel:DWORD
	v_cndmask_b32_e64 v10, 0, 1, s[46:47]
	;;#ASMSTART
	;;#ASMEND
	v_cmp_ne_u32_e32 vcc, 0, v10
	v_mov_b32_e32 v30, v14
	s_cmp_lg_u64 vcc, exec
	v_pk_mov_b32 v[10:11], v[12:13], v[12:13] op_sel:[0,1]
	s_cbranch_scc1 .LBB1403_199
; %bb.181:                              ;   in Loop: Header=BB1403_180 Depth=1
	global_load_ubyte v18, v6, s[52:53] glc
	s_waitcnt vmcnt(0)
	v_cmp_eq_u16_e32 vcc, 0, v18
	s_and_saveexec_b64 s[46:47], vcc
	s_cbranch_execz .LBB1403_187
; %bb.182:                              ;   in Loop: Header=BB1403_180 Depth=1
	v_mov_b32_e32 v13, s53
	v_add_co_u32_e32 v12, vcc, s52, v6
	v_addc_co_u32_e32 v13, vcc, 0, v13, vcc
	s_mov_b32 s64, 1
	s_mov_b64 s[60:61], 0
.LBB1403_183:                           ;   Parent Loop BB1403_180 Depth=1
                                        ; =>  This Loop Header: Depth=2
                                        ;       Child Loop BB1403_184 Depth 3
	s_max_u32 s65, s64, 1
.LBB1403_184:                           ;   Parent Loop BB1403_180 Depth=1
                                        ;     Parent Loop BB1403_183 Depth=2
                                        ; =>    This Inner Loop Header: Depth=3
	s_add_i32 s65, s65, -1
	s_cmp_eq_u32 s65, 0
	s_sleep 1
	s_cbranch_scc0 .LBB1403_184
; %bb.185:                              ;   in Loop: Header=BB1403_183 Depth=2
	global_load_ubyte v18, v[12:13], off glc
	s_cmp_lt_u32 s64, 32
	s_cselect_b64 s[72:73], -1, 0
	s_cmp_lg_u64 s[72:73], 0
	s_addc_u32 s64, s64, 0
	s_waitcnt vmcnt(0)
	v_cmp_ne_u16_e32 vcc, 0, v18
	s_or_b64 s[60:61], vcc, s[60:61]
	s_andn2_b64 exec, exec, s[60:61]
	s_cbranch_execnz .LBB1403_183
; %bb.186:                              ;   in Loop: Header=BB1403_180 Depth=1
	s_or_b64 exec, exec, s[60:61]
.LBB1403_187:                           ;   in Loop: Header=BB1403_180 Depth=1
	s_or_b64 exec, exec, s[46:47]
	v_mov_b32_e32 v12, s51
	v_mov_b32_e32 v13, s49
	v_cmp_eq_u16_e32 vcc, 1, v18
	s_waitcnt lgkmcnt(1)
	v_cndmask_b32_e32 v15, v12, v13, vcc
	v_mov_b32_e32 v12, s50
	v_mov_b32_e32 v13, s48
	v_cndmask_b32_e32 v14, v12, v13, vcc
	v_lshlrev_b64 v[12:13], 4, v[6:7]
	v_add_co_u32_e32 v14, vcc, v14, v12
	v_addc_co_u32_e32 v15, vcc, v15, v13, vcc
	buffer_wbinvl1_vol
	global_load_dwordx2 v[12:13], v[14:15], off
	global_load_ubyte v33, v[14:15], off offset:8
	v_cmp_eq_u16_e32 vcc, 2, v18
	v_and_b32_e32 v14, vcc_hi, v9
	v_or_b32_e32 v14, 0x80000000, v14
	v_ffbl_b32_e32 v37, v14
	v_and_b32_e32 v34, vcc_lo, v8
	v_add_u32_e32 v37, 32, v37
	v_ffbl_b32_e32 v34, v34
	v_min_u32_e32 v34, v34, v37
	v_cmp_lt_u32_e32 vcc, v19, v34
	s_waitcnt vmcnt(1)
	ds_bpermute_b32 v14, v20, v12
	s_waitcnt vmcnt(0) lgkmcnt(1)
	v_and_b32_e32 v35, 1, v33
	ds_bpermute_b32 v15, v20, v13
	ds_bpermute_b32 v36, v20, v35
	s_and_saveexec_b64 s[46:47], vcc
	s_cbranch_execz .LBB1403_189
; %bb.188:                              ;   in Loop: Header=BB1403_180 Depth=1
	s_waitcnt lgkmcnt(1)
	v_add_f64 v[14:15], v[12:13], v[14:15]
	v_cmp_eq_u16_sdwa vcc, v33, v7 src0_sel:BYTE_0 src1_sel:DWORD
	v_cndmask_b32_e32 v12, v12, v14, vcc
	s_waitcnt lgkmcnt(0)
	v_and_b32_e32 v14, 1, v36
	v_or_b32_e32 v33, v14, v33
	v_cndmask_b32_e32 v13, v13, v15, vcc
	v_and_b32_e32 v35, 0xff, v33
.LBB1403_189:                           ;   in Loop: Header=BB1403_180 Depth=1
	s_or_b64 exec, exec, s[46:47]
	s_waitcnt lgkmcnt(2)
	ds_bpermute_b32 v14, v21, v12
	s_waitcnt lgkmcnt(2)
	ds_bpermute_b32 v15, v21, v13
	;; [unrolled: 2-line block ×3, first 2 shown]
	v_and_b32_e32 v37, 1, v33
	v_cmp_le_u32_e32 vcc, v22, v34
	v_cmp_eq_u32_e64 s[60:61], 1, v37
	s_and_saveexec_b64 s[46:47], vcc
	s_cbranch_execz .LBB1403_191
; %bb.190:                              ;   in Loop: Header=BB1403_180 Depth=1
	s_waitcnt lgkmcnt(1)
	v_add_f64 v[14:15], v[12:13], v[14:15]
	v_cmp_eq_u16_sdwa vcc, v33, v7 src0_sel:BYTE_0 src1_sel:DWORD
	v_cndmask_b32_e32 v12, v12, v14, vcc
	s_waitcnt lgkmcnt(0)
	v_and_b32_e32 v14, 1, v36
	v_cndmask_b32_e32 v13, v13, v15, vcc
	v_cmp_eq_u32_e32 vcc, 1, v14
	s_or_b64 s[64:65], s[60:61], vcc
	v_cndmask_b32_e64 v33, 0, 1, s[64:65]
	v_cndmask_b32_e64 v35, 0, 1, s[64:65]
	s_andn2_b64 s[60:61], s[60:61], exec
	s_and_b64 s[64:65], s[64:65], exec
	s_or_b64 s[60:61], s[60:61], s[64:65]
.LBB1403_191:                           ;   in Loop: Header=BB1403_180 Depth=1
	s_or_b64 exec, exec, s[46:47]
	s_waitcnt lgkmcnt(2)
	ds_bpermute_b32 v14, v23, v12
	s_waitcnt lgkmcnt(2)
	ds_bpermute_b32 v15, v23, v13
	s_waitcnt lgkmcnt(2)
	ds_bpermute_b32 v36, v23, v35
	v_cmp_le_u32_e32 vcc, v24, v34
	s_and_saveexec_b64 s[64:65], vcc
	s_cbranch_execz .LBB1403_193
; %bb.192:                              ;   in Loop: Header=BB1403_180 Depth=1
	s_waitcnt lgkmcnt(1)
	v_add_f64 v[14:15], v[12:13], v[14:15]
	v_cmp_eq_u16_sdwa vcc, v33, v7 src0_sel:BYTE_0 src1_sel:DWORD
	v_cndmask_b32_e32 v12, v12, v14, vcc
	v_and_b32_e32 v14, 1, v33
	v_cndmask_b32_e32 v13, v13, v15, vcc
	v_cmp_eq_u32_e32 vcc, 1, v14
	s_waitcnt lgkmcnt(0)
	v_and_b32_e32 v14, 1, v36
	v_cmp_eq_u32_e64 s[46:47], 1, v14
	s_or_b64 s[46:47], vcc, s[46:47]
	v_cndmask_b32_e64 v33, 0, 1, s[46:47]
	v_cndmask_b32_e64 v35, 0, 1, s[46:47]
	s_andn2_b64 s[60:61], s[60:61], exec
	s_and_b64 s[46:47], s[46:47], exec
	s_or_b64 s[60:61], s[60:61], s[46:47]
.LBB1403_193:                           ;   in Loop: Header=BB1403_180 Depth=1
	s_or_b64 exec, exec, s[64:65]
	s_waitcnt lgkmcnt(2)
	ds_bpermute_b32 v14, v25, v12
	s_waitcnt lgkmcnt(2)
	ds_bpermute_b32 v15, v25, v13
	s_waitcnt lgkmcnt(2)
	ds_bpermute_b32 v36, v25, v35
	v_cmp_le_u32_e32 vcc, v26, v34
	s_and_saveexec_b64 s[64:65], vcc
	s_cbranch_execz .LBB1403_195
; %bb.194:                              ;   in Loop: Header=BB1403_180 Depth=1
	s_waitcnt lgkmcnt(1)
	v_add_f64 v[14:15], v[12:13], v[14:15]
	v_cmp_eq_u16_sdwa vcc, v33, v7 src0_sel:BYTE_0 src1_sel:DWORD
	v_cndmask_b32_e32 v12, v12, v14, vcc
	v_and_b32_e32 v14, 1, v33
	v_cndmask_b32_e32 v13, v13, v15, vcc
	v_cmp_eq_u32_e32 vcc, 1, v14
	s_waitcnt lgkmcnt(0)
	v_and_b32_e32 v14, 1, v36
	v_cmp_eq_u32_e64 s[46:47], 1, v14
	s_or_b64 s[46:47], vcc, s[46:47]
	v_cndmask_b32_e64 v33, 0, 1, s[46:47]
	v_cndmask_b32_e64 v35, 0, 1, s[46:47]
	s_andn2_b64 s[60:61], s[60:61], exec
	s_and_b64 s[46:47], s[46:47], exec
	s_or_b64 s[60:61], s[60:61], s[46:47]
.LBB1403_195:                           ;   in Loop: Header=BB1403_180 Depth=1
	;; [unrolled: 28-line block ×3, first 2 shown]
	s_or_b64 exec, exec, s[64:65]
	s_waitcnt lgkmcnt(2)
	ds_bpermute_b32 v14, v29, v12
	s_waitcnt lgkmcnt(2)
	ds_bpermute_b32 v15, v29, v13
	ds_bpermute_b32 v35, v29, v35
	v_cmp_le_u32_e32 vcc, v31, v34
	s_and_saveexec_b64 s[64:65], vcc
	s_cbranch_execz .LBB1403_179
; %bb.198:                              ;   in Loop: Header=BB1403_180 Depth=1
	s_waitcnt lgkmcnt(1)
	v_add_f64 v[14:15], v[12:13], v[14:15]
	v_cmp_eq_u16_sdwa vcc, v33, v7 src0_sel:BYTE_0 src1_sel:DWORD
	v_cndmask_b32_e32 v12, v12, v14, vcc
	v_and_b32_e32 v14, 1, v33
	v_cndmask_b32_e32 v13, v13, v15, vcc
	v_cmp_eq_u32_e32 vcc, 1, v14
	s_waitcnt lgkmcnt(0)
	v_and_b32_e32 v14, 1, v35
	v_cmp_eq_u32_e64 s[46:47], 1, v14
	s_or_b64 s[46:47], vcc, s[46:47]
	s_andn2_b64 s[60:61], s[60:61], exec
	s_and_b64 s[46:47], s[46:47], exec
	s_or_b64 s[60:61], s[60:61], s[46:47]
	s_branch .LBB1403_179
.LBB1403_199:                           ;   in Loop: Header=BB1403_180 Depth=1
                                        ; implicit-def: $vgpr14
                                        ; implicit-def: $vgpr12_vgpr13
                                        ; implicit-def: $vgpr18
	s_cbranch_execz .LBB1403_180
; %bb.200:
	s_and_saveexec_b64 s[46:47], s[44:45]
	s_cbranch_execz .LBB1403_202
; %bb.201:
	s_mov_b32 s45, 0
	s_add_i32 s44, s55, 64
	v_mov_b32_e32 v8, 0
	s_lshl_b64 s[48:49], s[44:45], 4
	v_add_f64 v[6:7], v[4:5], v[10:11]
	v_cmp_eq_u16_sdwa vcc, v17, v8 src0_sel:BYTE_0 src1_sel:DWORD
	s_add_u32 s48, s50, s48
	v_cndmask_b32_e32 v5, v5, v7, vcc
	v_cndmask_b32_e32 v4, v4, v6, vcc
	v_or_b32_e32 v6, v17, v30
	s_addc_u32 s49, s51, s49
	v_and_b32_e32 v6, 1, v6
	global_store_dwordx2 v8, v[4:5], s[48:49]
	global_store_byte v8, v6, s[48:49] offset:8
	v_mov_b32_e32 v4, s44
	v_mov_b32_e32 v5, 2
	s_waitcnt vmcnt(0) lgkmcnt(0)
	buffer_wbinvl1_vol
	global_store_byte v4, v5, s[52:53]
.LBB1403_202:
	s_or_b64 exec, exec, s[46:47]
	s_and_b64 exec, exec, s[2:3]
	s_cbranch_execz .LBB1403_204
; %bb.203:
	v_mov_b32_e32 v4, 0
	ds_write_b64 v4, v[10:11]
	ds_write_b8 v4, v30 offset:8
.LBB1403_204:
	s_or_b64 exec, exec, s[58:59]
	v_mov_b32_e32 v8, 0
	s_waitcnt lgkmcnt(0)
	; wave barrier
	s_waitcnt lgkmcnt(0)
	ds_read_b64 v[4:5], v8
	v_cmp_eq_u32_sdwa vcc, v16, v8 src0_sel:BYTE_0 src1_sel:DWORD
	s_waitcnt lgkmcnt(0)
	v_add_f64 v[6:7], v[4:5], v[2:3]
	v_cndmask_b32_e32 v2, v2, v6, vcc
	v_cndmask_b32_e32 v3, v3, v7, vcc
	v_cndmask_b32_e64 v89, v3, v5, s[2:3]
	v_cndmask_b32_e64 v88, v2, v4, s[2:3]
	v_add_f64 v[2:3], v[44:45], v[88:89]
	v_cmp_eq_u16_sdwa vcc, v1, v8 src0_sel:BYTE_0 src1_sel:DWORD
	v_cndmask_b32_e32 v5, v45, v3, vcc
	v_cndmask_b32_e32 v4, v44, v2, vcc
	v_add_f64 v[2:3], v[46:47], v[4:5]
	v_cndmask_b32_e64 v7, v47, v3, s[4:5]
	v_cndmask_b32_e64 v6, v46, v2, s[4:5]
	v_add_f64 v[2:3], v[48:49], v[6:7]
	v_cndmask_b32_e64 v91, v49, v3, s[6:7]
	v_cndmask_b32_e64 v90, v48, v2, s[6:7]
	;; [unrolled: 3-line block ×19, first 2 shown]
	s_branch .LBB1403_225
.LBB1403_205:
                                        ; implicit-def: $vgpr88_vgpr89
                                        ; implicit-def: $vgpr108_vgpr109
                                        ; implicit-def: $vgpr106_vgpr107
                                        ; implicit-def: $vgpr104_vgpr105
                                        ; implicit-def: $vgpr102_vgpr103
                                        ; implicit-def: $vgpr100_vgpr101
                                        ; implicit-def: $vgpr98_vgpr99
                                        ; implicit-def: $vgpr96_vgpr97
                                        ; implicit-def: $vgpr94_vgpr95
                                        ; implicit-def: $vgpr92_vgpr93
                                        ; implicit-def: $vgpr90_vgpr91
                                        ; implicit-def: $vgpr38_vgpr39_vgpr40_vgpr41
                                        ; implicit-def: $vgpr34_vgpr35_vgpr36_vgpr37
                                        ; implicit-def: $vgpr30_vgpr31_vgpr32_vgpr33
                                        ; implicit-def: $vgpr26_vgpr27_vgpr28_vgpr29
                                        ; implicit-def: $vgpr22_vgpr23_vgpr24_vgpr25
                                        ; implicit-def: $vgpr18_vgpr19_vgpr20_vgpr21
                                        ; implicit-def: $vgpr14_vgpr15_vgpr16_vgpr17
                                        ; implicit-def: $vgpr10_vgpr11_vgpr12_vgpr13
                                        ; implicit-def: $vgpr6_vgpr7_vgpr8_vgpr9
                                        ; implicit-def: $vgpr2_vgpr3_vgpr4_vgpr5
	s_cbranch_execz .LBB1403_225
; %bb.206:
	s_cmp_lg_u64 s[70:71], 0
	s_cselect_b32 s5, s67, 0
	s_cselect_b32 s4, s66, 0
	s_cmp_eq_u64 s[4:5], 0
	v_pk_mov_b32 v[2:3], s[68:69], s[68:69] op_sel:[0,1]
	s_cbranch_scc1 .LBB1403_208
; %bb.207:
	v_mov_b32_e32 v2, 0
	global_load_dwordx2 v[2:3], v2, s[4:5]
.LBB1403_208:
	v_mov_b32_e32 v6, 0
	v_cmp_eq_u16_sdwa vcc, v110, v6 src0_sel:BYTE_0 src1_sel:DWORD
	v_cndmask_b32_e32 v5, v47, v87, vcc
	v_cndmask_b32_e32 v4, v46, v86, vcc
	v_add_f64 v[4:5], v[48:49], v[4:5]
	v_cmp_eq_u16_sdwa s[4:5], v111, v6 src0_sel:BYTE_0 src1_sel:DWORD
	v_cndmask_b32_e64 v5, v49, v5, s[4:5]
	v_cndmask_b32_e64 v4, v48, v4, s[4:5]
	v_add_f64 v[4:5], v[52:53], v[4:5]
	v_cmp_eq_u16_sdwa s[6:7], v113, v6 src0_sel:BYTE_0 src1_sel:DWORD
	v_cndmask_b32_e64 v5, v53, v5, s[6:7]
	v_cndmask_b32_e64 v4, v52, v4, s[6:7]
	;; [unrolled: 4-line block ×10, first 2 shown]
	v_cmp_eq_u16_sdwa s[24:25], v122, v6 src0_sel:BYTE_0 src1_sel:DWORD
	v_cmp_eq_u16_sdwa s[26:27], v123, v6 src0_sel:BYTE_0 src1_sel:DWORD
	;; [unrolled: 1-line block ×9, first 2 shown]
	v_or_b32_e32 v6, v131, v127
	v_add_f64 v[4:5], v[70:71], v[4:5]
	v_or_b32_e32 v6, v6, v126
	v_cndmask_b32_e64 v5, v71, v5, s[24:25]
	v_cndmask_b32_e64 v4, v70, v4, s[24:25]
	v_or_b32_e32 v6, v6, v125
	v_add_f64 v[4:5], v[72:73], v[4:5]
	v_or_b32_e32 v6, v6, v124
	v_cndmask_b32_e64 v5, v73, v5, s[26:27]
	v_cndmask_b32_e64 v4, v72, v4, s[26:27]
	;; [unrolled: 5-line block ×8, first 2 shown]
	v_or_b32_e32 v6, v6, v110
	v_add_f64 v[4:5], v[84:85], v[4:5]
	v_or_b32_e32 v6, v6, v1
	v_mbcnt_hi_u32_b32 v8, -1, v130
	v_cndmask_b32_e64 v5, v85, v5, s[42:43]
	v_cndmask_b32_e64 v4, v84, v4, s[42:43]
	v_and_b32_e32 v9, 1, v6
	v_and_b32_e32 v10, 15, v8
	v_cmp_eq_u32_e64 s[42:43], 1, v9
	v_mov_b32_dpp v6, v4 row_shr:1 row_mask:0xf bank_mask:0xf
	v_mov_b32_dpp v7, v5 row_shr:1 row_mask:0xf bank_mask:0xf
	;; [unrolled: 1-line block ×3, first 2 shown]
	v_cmp_ne_u32_e64 s[44:45], 0, v10
	v_mov_b32_e32 v11, v9
	s_and_saveexec_b64 s[46:47], s[44:45]
; %bb.209:
	v_add_f64 v[6:7], v[4:5], v[6:7]
	v_cndmask_b32_e64 v4, v6, v4, s[42:43]
	v_and_b32_e32 v6, 1, v12
	v_or_b32_e32 v9, v6, v9
	v_cndmask_b32_e64 v5, v7, v5, s[42:43]
	v_and_b32_e32 v11, 0xffff, v9
; %bb.210:
	s_or_b64 exec, exec, s[46:47]
	v_mov_b32_dpp v6, v4 row_shr:2 row_mask:0xf bank_mask:0xf
	v_mov_b32_dpp v7, v5 row_shr:2 row_mask:0xf bank_mask:0xf
	v_mov_b32_dpp v12, v11 row_shr:2 row_mask:0xf bank_mask:0xf
	v_cmp_lt_u32_e64 s[42:43], 1, v10
	s_and_saveexec_b64 s[46:47], s[42:43]
; %bb.211:
	v_add_f64 v[6:7], v[4:5], v[6:7]
	v_cmp_eq_u16_e64 s[42:43], 0, v9
	v_cndmask_b32_e64 v4, v4, v6, s[42:43]
	v_and_b32_e32 v6, 1, v9
	v_cndmask_b32_e64 v5, v5, v7, s[42:43]
	v_cmp_eq_u32_e64 s[42:43], 1, v6
	v_and_b32_e32 v6, 1, v12
	v_cmp_eq_u32_e64 s[44:45], 1, v6
	s_or_b64 s[42:43], s[42:43], s[44:45]
	v_cndmask_b32_e64 v9, 0, 1, s[42:43]
	v_cndmask_b32_e64 v11, 0, 1, s[42:43]
; %bb.212:
	s_or_b64 exec, exec, s[46:47]
	v_mov_b32_dpp v6, v4 row_shr:4 row_mask:0xf bank_mask:0xf
	v_mov_b32_dpp v7, v5 row_shr:4 row_mask:0xf bank_mask:0xf
	v_mov_b32_dpp v12, v11 row_shr:4 row_mask:0xf bank_mask:0xf
	v_cmp_lt_u32_e64 s[42:43], 3, v10
	s_and_saveexec_b64 s[46:47], s[42:43]
; %bb.213:
	v_add_f64 v[6:7], v[4:5], v[6:7]
	v_cmp_eq_u16_e64 s[42:43], 0, v9
	v_cndmask_b32_e64 v4, v4, v6, s[42:43]
	v_and_b32_e32 v6, 1, v9
	v_cndmask_b32_e64 v5, v5, v7, s[42:43]
	v_cmp_eq_u32_e64 s[42:43], 1, v6
	v_and_b32_e32 v6, 1, v12
	v_cmp_eq_u32_e64 s[44:45], 1, v6
	s_or_b64 s[42:43], s[42:43], s[44:45]
	v_cndmask_b32_e64 v9, 0, 1, s[42:43]
	v_cndmask_b32_e64 v11, 0, 1, s[42:43]
	;; [unrolled: 19-line block ×3, first 2 shown]
; %bb.216:
	s_or_b64 exec, exec, s[46:47]
	v_and_b32_e32 v12, 16, v8
	v_mov_b32_dpp v6, v4 row_bcast:15 row_mask:0xf bank_mask:0xf
	v_mov_b32_dpp v7, v5 row_bcast:15 row_mask:0xf bank_mask:0xf
	;; [unrolled: 1-line block ×3, first 2 shown]
	v_cmp_ne_u32_e64 s[42:43], 0, v12
	s_and_saveexec_b64 s[46:47], s[42:43]
; %bb.217:
	v_add_f64 v[6:7], v[4:5], v[6:7]
	v_cmp_eq_u16_e64 s[42:43], 0, v9
	v_cndmask_b32_e64 v4, v4, v6, s[42:43]
	v_and_b32_e32 v6, 1, v9
	v_cndmask_b32_e64 v5, v5, v7, s[42:43]
	v_cmp_eq_u32_e64 s[42:43], 1, v6
	v_and_b32_e32 v6, 1, v10
	v_cmp_eq_u32_e64 s[44:45], 1, v6
	s_or_b64 s[42:43], s[42:43], s[44:45]
	v_cndmask_b32_e64 v9, 0, 1, s[42:43]
	v_cndmask_b32_e64 v11, 0, 1, s[42:43]
; %bb.218:
	s_or_b64 exec, exec, s[46:47]
	v_mov_b32_dpp v6, v4 row_bcast:31 row_mask:0xf bank_mask:0xf
	v_mov_b32_dpp v7, v5 row_bcast:31 row_mask:0xf bank_mask:0xf
	;; [unrolled: 1-line block ×3, first 2 shown]
	v_cmp_lt_u32_e64 s[42:43], 31, v8
	s_and_saveexec_b64 s[46:47], s[42:43]
; %bb.219:
	v_add_f64 v[6:7], v[4:5], v[6:7]
	v_cmp_eq_u16_e64 s[42:43], 0, v9
	v_cndmask_b32_e64 v4, v4, v6, s[42:43]
	v_and_b32_e32 v6, 1, v9
	v_cndmask_b32_e64 v5, v5, v7, s[42:43]
	v_cmp_eq_u32_e64 s[42:43], 1, v6
	v_and_b32_e32 v6, 1, v10
	v_cmp_eq_u32_e64 s[44:45], 1, v6
	s_or_b64 s[42:43], s[42:43], s[44:45]
	v_cndmask_b32_e64 v9, 0, 1, s[42:43]
; %bb.220:
	s_or_b64 exec, exec, s[46:47]
	v_cmp_eq_u32_e64 s[42:43], 63, v0
	s_and_saveexec_b64 s[44:45], s[42:43]
	s_cbranch_execz .LBB1403_222
; %bb.221:
	v_mov_b32_e32 v6, 0
	ds_write_b64 v6, v[4:5]
	ds_write_b8 v6, v9 offset:8
.LBB1403_222:
	s_or_b64 exec, exec, s[44:45]
	s_waitcnt vmcnt(0)
	v_add_f64 v[6:7], v[2:3], v[4:5]
	v_cmp_eq_u16_e64 s[42:43], 0, v9
	v_cndmask_b32_e64 v5, v5, v7, s[42:43]
	v_cndmask_b32_e64 v4, v4, v6, s[42:43]
	v_add_u32_e32 v6, -1, v8
	v_and_b32_e32 v7, 64, v8
	v_cmp_lt_i32_e64 s[42:43], v6, v7
	v_cndmask_b32_e64 v6, v6, v8, s[42:43]
	v_lshlrev_b32_e32 v6, 2, v6
	ds_bpermute_b32 v5, v6, v5
	ds_bpermute_b32 v4, v6, v4
	v_cmp_eq_u32_e64 s[42:43], 0, v8
	s_or_b64 s[42:43], s[2:3], s[42:43]
	v_mov_b32_e32 v8, 0
	s_waitcnt lgkmcnt(1)
	v_cndmask_b32_e64 v89, v5, v3, s[42:43]
	s_waitcnt lgkmcnt(0)
	v_cndmask_b32_e64 v88, v4, v2, s[42:43]
	v_add_f64 v[4:5], v[44:45], v[88:89]
	v_cmp_eq_u16_sdwa s[42:43], v1, v8 src0_sel:BYTE_0 src1_sel:DWORD
	v_cndmask_b32_e64 v5, v45, v5, s[42:43]
	v_cndmask_b32_e64 v4, v44, v4, s[42:43]
	v_add_f64 v[6:7], v[46:47], v[4:5]
	v_cndmask_b32_e32 v7, v47, v7, vcc
	v_cndmask_b32_e32 v6, v46, v6, vcc
	v_add_f64 v[10:11], v[48:49], v[6:7]
	v_cndmask_b32_e64 v91, v49, v11, s[4:5]
	v_cndmask_b32_e64 v90, v48, v10, s[4:5]
	v_add_f64 v[10:11], v[52:53], v[90:91]
	v_cndmask_b32_e64 v11, v53, v11, s[6:7]
	v_cndmask_b32_e64 v10, v52, v10, s[6:7]
	;; [unrolled: 3-line block ×18, first 2 shown]
	s_waitcnt lgkmcnt(0)
	; wave barrier
	s_and_saveexec_b64 s[4:5], s[2:3]
	s_cbranch_execz .LBB1403_224
; %bb.223:
	ds_read_b64 v[12:13], v8
	ds_read_u8 v1, v8 offset:8
	v_pk_mov_b32 v[88:89], v[2:3], v[2:3] op_sel:[0,1]
	s_waitcnt lgkmcnt(1)
	v_add_f64 v[16:17], v[2:3], v[12:13]
	s_waitcnt lgkmcnt(0)
	v_cmp_eq_u16_e32 vcc, 0, v1
	global_store_byte v8, v1, s[50:51] offset:1032
	v_cndmask_b32_e32 v13, v13, v17, vcc
	v_cndmask_b32_e32 v12, v12, v16, vcc
	v_mov_b32_e32 v1, 2
	global_store_dwordx2 v8, v[12:13], s[50:51] offset:1024
	s_waitcnt vmcnt(0)
	buffer_wbinvl1_vol
	global_store_byte v8, v1, s[52:53] offset:64
.LBB1403_224:
	s_or_b64 exec, exec, s[4:5]
.LBB1403_225:
	s_add_u32 s2, s62, s56
	s_addc_u32 s3, s63, s57
	v_mov_b32_e32 v1, s3
	v_add_co_u32_e32 v8, vcc, s2, v42
	v_addc_co_u32_e32 v9, vcc, v1, v43, vcc
	s_and_b64 vcc, exec, s[0:1]
	v_lshlrev_b32_e32 v12, 3, v0
	s_cbranch_vccz .LBB1403_267
; %bb.226:
	s_movk_i32 s0, 0xa8
	v_mul_i32_i24_e32 v16, 0xffffff60, v0
	v_mul_u32_u24_e32 v13, 0xa8, v0
	v_mad_u32_u24 v2, v0, s0, v16
	s_waitcnt lgkmcnt(0)
	; wave barrier
	ds_write2_b64 v13, v[88:89], v[4:5] offset1:1
	ds_write2_b64 v13, v[6:7], v[90:91] offset0:2 offset1:3
	ds_write2_b64 v13, v[10:11], v[92:93] offset0:4 offset1:5
	ds_write2_b64 v13, v[14:15], v[94:95] offset0:6 offset1:7
	ds_write2_b64 v13, v[18:19], v[96:97] offset0:8 offset1:9
	ds_write2_b64 v13, v[22:23], v[98:99] offset0:10 offset1:11
	ds_write2_b64 v13, v[26:27], v[100:101] offset0:12 offset1:13
	ds_write2_b64 v13, v[30:31], v[102:103] offset0:14 offset1:15
	ds_write2_b64 v13, v[34:35], v[104:105] offset0:16 offset1:17
	ds_write2_b64 v13, v[38:39], v[106:107] offset0:18 offset1:19
	ds_write_b64 v13, v[108:109] offset:160
	s_waitcnt lgkmcnt(0)
	; wave barrier
	s_waitcnt lgkmcnt(0)
	ds_read2st64_b64 v[76:79], v2 offset0:1 offset1:2
	ds_read2st64_b64 v[72:75], v2 offset0:3 offset1:4
	;; [unrolled: 1-line block ×10, first 2 shown]
	v_add_co_u32_e32 v2, vcc, v8, v12
	s_add_i32 s33, s33, s54
	v_addc_co_u32_e32 v3, vcc, 0, v9, vcc
	v_mov_b32_e32 v1, 0
	v_cmp_gt_u32_e32 vcc, s33, v0
	s_and_saveexec_b64 s[0:1], vcc
	s_cbranch_execz .LBB1403_228
; %bb.227:
	v_add_u32_e32 v13, v13, v16
	ds_read_b64 v[16:17], v13
	s_waitcnt lgkmcnt(0)
	flat_store_dwordx2 v[2:3], v[16:17]
.LBB1403_228:
	s_or_b64 exec, exec, s[0:1]
	v_or_b32_e32 v13, 64, v0
	v_cmp_gt_u32_e32 vcc, s33, v13
	s_and_saveexec_b64 s[0:1], vcc
	s_cbranch_execz .LBB1403_230
; %bb.229:
	s_waitcnt lgkmcnt(0)
	flat_store_dwordx2 v[2:3], v[76:77] offset:512
.LBB1403_230:
	s_or_b64 exec, exec, s[0:1]
	v_or_b32_e32 v13, 0x80, v0
	v_cmp_gt_u32_e32 vcc, s33, v13
	s_and_saveexec_b64 s[0:1], vcc
	s_cbranch_execz .LBB1403_232
; %bb.231:
	s_waitcnt lgkmcnt(0)
	flat_store_dwordx2 v[2:3], v[78:79] offset:1024
.LBB1403_232:
	;; [unrolled: 9-line block ×7, first 2 shown]
	s_or_b64 exec, exec, s[0:1]
	v_or_b32_e32 v13, 0x200, v0
	v_cmp_gt_u32_e32 vcc, s33, v13
	s_and_saveexec_b64 s[0:1], vcc
	s_cbranch_execz .LBB1403_244
; %bb.243:
	v_add_co_u32_e32 v16, vcc, 0x1000, v2
	v_addc_co_u32_e32 v17, vcc, 0, v3, vcc
	s_waitcnt lgkmcnt(0)
	flat_store_dwordx2 v[16:17], v[66:67]
.LBB1403_244:
	s_or_b64 exec, exec, s[0:1]
	v_or_b32_e32 v13, 0x240, v0
	v_cmp_gt_u32_e32 vcc, s33, v13
	s_and_saveexec_b64 s[0:1], vcc
	s_cbranch_execz .LBB1403_246
; %bb.245:
	v_add_co_u32_e32 v16, vcc, 0x1000, v2
	v_addc_co_u32_e32 v17, vcc, 0, v3, vcc
	s_waitcnt lgkmcnt(0)
	flat_store_dwordx2 v[16:17], v[60:61] offset:512
.LBB1403_246:
	s_or_b64 exec, exec, s[0:1]
	v_or_b32_e32 v13, 0x280, v0
	v_cmp_gt_u32_e32 vcc, s33, v13
	s_and_saveexec_b64 s[0:1], vcc
	s_cbranch_execz .LBB1403_248
; %bb.247:
	v_add_co_u32_e32 v16, vcc, 0x1000, v2
	v_addc_co_u32_e32 v17, vcc, 0, v3, vcc
	s_waitcnt lgkmcnt(0)
	flat_store_dwordx2 v[16:17], v[62:63] offset:1024
.LBB1403_248:
	;; [unrolled: 11-line block ×7, first 2 shown]
	s_or_b64 exec, exec, s[0:1]
	v_or_b32_e32 v13, 0x400, v0
	v_cmp_gt_u32_e32 vcc, s33, v13
	s_and_saveexec_b64 s[0:1], vcc
	s_cbranch_execz .LBB1403_260
; %bb.259:
	v_add_co_u32_e32 v16, vcc, 0x2000, v2
	v_addc_co_u32_e32 v17, vcc, 0, v3, vcc
	s_waitcnt lgkmcnt(0)
	flat_store_dwordx2 v[16:17], v[50:51]
.LBB1403_260:
	s_or_b64 exec, exec, s[0:1]
	v_or_b32_e32 v13, 0x440, v0
	v_cmp_gt_u32_e32 vcc, s33, v13
	s_and_saveexec_b64 s[0:1], vcc
	s_cbranch_execz .LBB1403_262
; %bb.261:
	v_add_co_u32_e32 v16, vcc, 0x2000, v2
	v_addc_co_u32_e32 v17, vcc, 0, v3, vcc
	s_waitcnt lgkmcnt(0)
	flat_store_dwordx2 v[16:17], v[44:45] offset:512
.LBB1403_262:
	s_or_b64 exec, exec, s[0:1]
	v_or_b32_e32 v13, 0x480, v0
	v_cmp_gt_u32_e32 vcc, s33, v13
	s_and_saveexec_b64 s[0:1], vcc
	s_cbranch_execz .LBB1403_264
; %bb.263:
	v_add_co_u32_e32 v16, vcc, 0x2000, v2
	v_addc_co_u32_e32 v17, vcc, 0, v3, vcc
	s_waitcnt lgkmcnt(0)
	flat_store_dwordx2 v[16:17], v[46:47] offset:1024
.LBB1403_264:
	;; [unrolled: 11-line block ×3, first 2 shown]
	s_or_b64 exec, exec, s[0:1]
	v_or_b32_e32 v2, 0x500, v0
	v_cmp_gt_u32_e64 s[0:1], s33, v2
	s_branch .LBB1403_269
.LBB1403_267:
	s_mov_b64 s[0:1], 0
                                        ; implicit-def: $vgpr42_vgpr43
	s_cbranch_execz .LBB1403_269
; %bb.268:
	s_movk_i32 s2, 0xa8
	v_mul_u32_u24_e32 v1, 0xa8, v0
	v_mul_i32_i24_e32 v2, 0xffffff60, v0
	s_waitcnt lgkmcnt(0)
	; wave barrier
	s_waitcnt lgkmcnt(0)
	ds_write2_b64 v1, v[88:89], v[4:5] offset1:1
	ds_write2_b64 v1, v[6:7], v[90:91] offset0:2 offset1:3
	ds_write2_b64 v1, v[10:11], v[92:93] offset0:4 offset1:5
	;; [unrolled: 1-line block ×9, first 2 shown]
	ds_write_b64 v1, v[108:109] offset:160
	v_mad_u32_u24 v6, v0, s2, v2
	s_waitcnt lgkmcnt(0)
	; wave barrier
	s_waitcnt lgkmcnt(0)
	ds_read2st64_b64 v[2:5], v6 offset1:1
	ds_read2st64_b64 v[14:17], v6 offset0:2 offset1:3
	ds_read2st64_b64 v[18:21], v6 offset0:4 offset1:5
	;; [unrolled: 1-line block ×9, first 2 shown]
	ds_read_b64 v[42:43], v6 offset:10240
	v_add_co_u32_e32 v6, vcc, v8, v12
	v_addc_co_u32_e32 v7, vcc, 0, v9, vcc
	s_movk_i32 s2, 0x1000
	s_waitcnt lgkmcnt(0)
	flat_store_dwordx2 v[6:7], v[2:3]
	flat_store_dwordx2 v[6:7], v[4:5] offset:512
	flat_store_dwordx2 v[6:7], v[14:15] offset:1024
	;; [unrolled: 1-line block ×7, first 2 shown]
	v_add_co_u32_e32 v2, vcc, s2, v6
	v_addc_co_u32_e32 v3, vcc, 0, v7, vcc
	flat_store_dwordx2 v[2:3], v[26:27]
	flat_store_dwordx2 v[2:3], v[28:29] offset:512
	flat_store_dwordx2 v[2:3], v[30:31] offset:1024
	;; [unrolled: 1-line block ×7, first 2 shown]
	v_add_co_u32_e32 v2, vcc, 0x2000, v6
	v_mov_b32_e32 v1, 0
	v_addc_co_u32_e32 v3, vcc, 0, v7, vcc
	s_or_b64 s[0:1], s[0:1], exec
	flat_store_dwordx2 v[2:3], v[44:45]
	flat_store_dwordx2 v[2:3], v[46:47] offset:512
	flat_store_dwordx2 v[2:3], v[48:49] offset:1024
	;; [unrolled: 1-line block ×3, first 2 shown]
.LBB1403_269:
	s_and_saveexec_b64 s[2:3], s[0:1]
	s_cbranch_execz .LBB1403_271
; %bb.270:
	v_lshlrev_b64 v[0:1], 3, v[0:1]
	v_add_co_u32_e32 v0, vcc, v8, v0
	v_addc_co_u32_e32 v1, vcc, v9, v1, vcc
	v_add_co_u32_e32 v0, vcc, 0x2000, v0
	v_addc_co_u32_e32 v1, vcc, 0, v1, vcc
	s_waitcnt lgkmcnt(0)
	flat_store_dwordx2 v[0:1], v[42:43] offset:2048
	s_endpgm
.LBB1403_271:
	s_endpgm
	.section	.rodata,"a",@progbits
	.p2align	6, 0x0
	.amdhsa_kernel _ZN7rocprim17ROCPRIM_400000_NS6detail17trampoline_kernelINS0_14default_configENS1_27scan_by_key_config_selectorIidEEZZNS1_16scan_by_key_implILNS1_25lookback_scan_determinismE0ELb1ES3_N6thrust23THRUST_200600_302600_NS6detail15normal_iteratorINS9_10device_ptrIiEEEENSB_INSC_IdEEEESG_dNS9_4plusIvEENS9_8equal_toIvEEdEE10hipError_tPvRmT2_T3_T4_T5_mT6_T7_P12ihipStream_tbENKUlT_T0_E_clISt17integral_constantIbLb1EES11_EEDaSW_SX_EUlSW_E_NS1_11comp_targetILNS1_3genE4ELNS1_11target_archE910ELNS1_3gpuE8ELNS1_3repE0EEENS1_30default_config_static_selectorELNS0_4arch9wavefront6targetE1EEEvT1_
		.amdhsa_group_segment_fixed_size 10752
		.amdhsa_private_segment_fixed_size 0
		.amdhsa_kernarg_size 136
		.amdhsa_user_sgpr_count 6
		.amdhsa_user_sgpr_private_segment_buffer 1
		.amdhsa_user_sgpr_dispatch_ptr 0
		.amdhsa_user_sgpr_queue_ptr 0
		.amdhsa_user_sgpr_kernarg_segment_ptr 1
		.amdhsa_user_sgpr_dispatch_id 0
		.amdhsa_user_sgpr_flat_scratch_init 0
		.amdhsa_user_sgpr_kernarg_preload_length 0
		.amdhsa_user_sgpr_kernarg_preload_offset 0
		.amdhsa_user_sgpr_private_segment_size 0
		.amdhsa_uses_dynamic_stack 0
		.amdhsa_system_sgpr_private_segment_wavefront_offset 0
		.amdhsa_system_sgpr_workgroup_id_x 1
		.amdhsa_system_sgpr_workgroup_id_y 0
		.amdhsa_system_sgpr_workgroup_id_z 0
		.amdhsa_system_sgpr_workgroup_info 0
		.amdhsa_system_vgpr_workitem_id 0
		.amdhsa_next_free_vgpr 132
		.amdhsa_next_free_sgpr 74
		.amdhsa_accum_offset 132
		.amdhsa_reserve_vcc 1
		.amdhsa_reserve_flat_scratch 0
		.amdhsa_float_round_mode_32 0
		.amdhsa_float_round_mode_16_64 0
		.amdhsa_float_denorm_mode_32 3
		.amdhsa_float_denorm_mode_16_64 3
		.amdhsa_dx10_clamp 1
		.amdhsa_ieee_mode 1
		.amdhsa_fp16_overflow 0
		.amdhsa_tg_split 0
		.amdhsa_exception_fp_ieee_invalid_op 0
		.amdhsa_exception_fp_denorm_src 0
		.amdhsa_exception_fp_ieee_div_zero 0
		.amdhsa_exception_fp_ieee_overflow 0
		.amdhsa_exception_fp_ieee_underflow 0
		.amdhsa_exception_fp_ieee_inexact 0
		.amdhsa_exception_int_div_zero 0
	.end_amdhsa_kernel
	.section	.text._ZN7rocprim17ROCPRIM_400000_NS6detail17trampoline_kernelINS0_14default_configENS1_27scan_by_key_config_selectorIidEEZZNS1_16scan_by_key_implILNS1_25lookback_scan_determinismE0ELb1ES3_N6thrust23THRUST_200600_302600_NS6detail15normal_iteratorINS9_10device_ptrIiEEEENSB_INSC_IdEEEESG_dNS9_4plusIvEENS9_8equal_toIvEEdEE10hipError_tPvRmT2_T3_T4_T5_mT6_T7_P12ihipStream_tbENKUlT_T0_E_clISt17integral_constantIbLb1EES11_EEDaSW_SX_EUlSW_E_NS1_11comp_targetILNS1_3genE4ELNS1_11target_archE910ELNS1_3gpuE8ELNS1_3repE0EEENS1_30default_config_static_selectorELNS0_4arch9wavefront6targetE1EEEvT1_,"axG",@progbits,_ZN7rocprim17ROCPRIM_400000_NS6detail17trampoline_kernelINS0_14default_configENS1_27scan_by_key_config_selectorIidEEZZNS1_16scan_by_key_implILNS1_25lookback_scan_determinismE0ELb1ES3_N6thrust23THRUST_200600_302600_NS6detail15normal_iteratorINS9_10device_ptrIiEEEENSB_INSC_IdEEEESG_dNS9_4plusIvEENS9_8equal_toIvEEdEE10hipError_tPvRmT2_T3_T4_T5_mT6_T7_P12ihipStream_tbENKUlT_T0_E_clISt17integral_constantIbLb1EES11_EEDaSW_SX_EUlSW_E_NS1_11comp_targetILNS1_3genE4ELNS1_11target_archE910ELNS1_3gpuE8ELNS1_3repE0EEENS1_30default_config_static_selectorELNS0_4arch9wavefront6targetE1EEEvT1_,comdat
.Lfunc_end1403:
	.size	_ZN7rocprim17ROCPRIM_400000_NS6detail17trampoline_kernelINS0_14default_configENS1_27scan_by_key_config_selectorIidEEZZNS1_16scan_by_key_implILNS1_25lookback_scan_determinismE0ELb1ES3_N6thrust23THRUST_200600_302600_NS6detail15normal_iteratorINS9_10device_ptrIiEEEENSB_INSC_IdEEEESG_dNS9_4plusIvEENS9_8equal_toIvEEdEE10hipError_tPvRmT2_T3_T4_T5_mT6_T7_P12ihipStream_tbENKUlT_T0_E_clISt17integral_constantIbLb1EES11_EEDaSW_SX_EUlSW_E_NS1_11comp_targetILNS1_3genE4ELNS1_11target_archE910ELNS1_3gpuE8ELNS1_3repE0EEENS1_30default_config_static_selectorELNS0_4arch9wavefront6targetE1EEEvT1_, .Lfunc_end1403-_ZN7rocprim17ROCPRIM_400000_NS6detail17trampoline_kernelINS0_14default_configENS1_27scan_by_key_config_selectorIidEEZZNS1_16scan_by_key_implILNS1_25lookback_scan_determinismE0ELb1ES3_N6thrust23THRUST_200600_302600_NS6detail15normal_iteratorINS9_10device_ptrIiEEEENSB_INSC_IdEEEESG_dNS9_4plusIvEENS9_8equal_toIvEEdEE10hipError_tPvRmT2_T3_T4_T5_mT6_T7_P12ihipStream_tbENKUlT_T0_E_clISt17integral_constantIbLb1EES11_EEDaSW_SX_EUlSW_E_NS1_11comp_targetILNS1_3genE4ELNS1_11target_archE910ELNS1_3gpuE8ELNS1_3repE0EEENS1_30default_config_static_selectorELNS0_4arch9wavefront6targetE1EEEvT1_
                                        ; -- End function
	.section	.AMDGPU.csdata,"",@progbits
; Kernel info:
; codeLenInByte = 16744
; NumSgprs: 78
; NumVgprs: 132
; NumAgprs: 0
; TotalNumVgprs: 132
; ScratchSize: 0
; MemoryBound: 0
; FloatMode: 240
; IeeeMode: 1
; LDSByteSize: 10752 bytes/workgroup (compile time only)
; SGPRBlocks: 9
; VGPRBlocks: 16
; NumSGPRsForWavesPerEU: 78
; NumVGPRsForWavesPerEU: 132
; AccumOffset: 132
; Occupancy: 2
; WaveLimiterHint : 1
; COMPUTE_PGM_RSRC2:SCRATCH_EN: 0
; COMPUTE_PGM_RSRC2:USER_SGPR: 6
; COMPUTE_PGM_RSRC2:TRAP_HANDLER: 0
; COMPUTE_PGM_RSRC2:TGID_X_EN: 1
; COMPUTE_PGM_RSRC2:TGID_Y_EN: 0
; COMPUTE_PGM_RSRC2:TGID_Z_EN: 0
; COMPUTE_PGM_RSRC2:TIDIG_COMP_CNT: 0
; COMPUTE_PGM_RSRC3_GFX90A:ACCUM_OFFSET: 32
; COMPUTE_PGM_RSRC3_GFX90A:TG_SPLIT: 0
	.section	.text._ZN7rocprim17ROCPRIM_400000_NS6detail17trampoline_kernelINS0_14default_configENS1_27scan_by_key_config_selectorIidEEZZNS1_16scan_by_key_implILNS1_25lookback_scan_determinismE0ELb1ES3_N6thrust23THRUST_200600_302600_NS6detail15normal_iteratorINS9_10device_ptrIiEEEENSB_INSC_IdEEEESG_dNS9_4plusIvEENS9_8equal_toIvEEdEE10hipError_tPvRmT2_T3_T4_T5_mT6_T7_P12ihipStream_tbENKUlT_T0_E_clISt17integral_constantIbLb1EES11_EEDaSW_SX_EUlSW_E_NS1_11comp_targetILNS1_3genE3ELNS1_11target_archE908ELNS1_3gpuE7ELNS1_3repE0EEENS1_30default_config_static_selectorELNS0_4arch9wavefront6targetE1EEEvT1_,"axG",@progbits,_ZN7rocprim17ROCPRIM_400000_NS6detail17trampoline_kernelINS0_14default_configENS1_27scan_by_key_config_selectorIidEEZZNS1_16scan_by_key_implILNS1_25lookback_scan_determinismE0ELb1ES3_N6thrust23THRUST_200600_302600_NS6detail15normal_iteratorINS9_10device_ptrIiEEEENSB_INSC_IdEEEESG_dNS9_4plusIvEENS9_8equal_toIvEEdEE10hipError_tPvRmT2_T3_T4_T5_mT6_T7_P12ihipStream_tbENKUlT_T0_E_clISt17integral_constantIbLb1EES11_EEDaSW_SX_EUlSW_E_NS1_11comp_targetILNS1_3genE3ELNS1_11target_archE908ELNS1_3gpuE7ELNS1_3repE0EEENS1_30default_config_static_selectorELNS0_4arch9wavefront6targetE1EEEvT1_,comdat
	.protected	_ZN7rocprim17ROCPRIM_400000_NS6detail17trampoline_kernelINS0_14default_configENS1_27scan_by_key_config_selectorIidEEZZNS1_16scan_by_key_implILNS1_25lookback_scan_determinismE0ELb1ES3_N6thrust23THRUST_200600_302600_NS6detail15normal_iteratorINS9_10device_ptrIiEEEENSB_INSC_IdEEEESG_dNS9_4plusIvEENS9_8equal_toIvEEdEE10hipError_tPvRmT2_T3_T4_T5_mT6_T7_P12ihipStream_tbENKUlT_T0_E_clISt17integral_constantIbLb1EES11_EEDaSW_SX_EUlSW_E_NS1_11comp_targetILNS1_3genE3ELNS1_11target_archE908ELNS1_3gpuE7ELNS1_3repE0EEENS1_30default_config_static_selectorELNS0_4arch9wavefront6targetE1EEEvT1_ ; -- Begin function _ZN7rocprim17ROCPRIM_400000_NS6detail17trampoline_kernelINS0_14default_configENS1_27scan_by_key_config_selectorIidEEZZNS1_16scan_by_key_implILNS1_25lookback_scan_determinismE0ELb1ES3_N6thrust23THRUST_200600_302600_NS6detail15normal_iteratorINS9_10device_ptrIiEEEENSB_INSC_IdEEEESG_dNS9_4plusIvEENS9_8equal_toIvEEdEE10hipError_tPvRmT2_T3_T4_T5_mT6_T7_P12ihipStream_tbENKUlT_T0_E_clISt17integral_constantIbLb1EES11_EEDaSW_SX_EUlSW_E_NS1_11comp_targetILNS1_3genE3ELNS1_11target_archE908ELNS1_3gpuE7ELNS1_3repE0EEENS1_30default_config_static_selectorELNS0_4arch9wavefront6targetE1EEEvT1_
	.globl	_ZN7rocprim17ROCPRIM_400000_NS6detail17trampoline_kernelINS0_14default_configENS1_27scan_by_key_config_selectorIidEEZZNS1_16scan_by_key_implILNS1_25lookback_scan_determinismE0ELb1ES3_N6thrust23THRUST_200600_302600_NS6detail15normal_iteratorINS9_10device_ptrIiEEEENSB_INSC_IdEEEESG_dNS9_4plusIvEENS9_8equal_toIvEEdEE10hipError_tPvRmT2_T3_T4_T5_mT6_T7_P12ihipStream_tbENKUlT_T0_E_clISt17integral_constantIbLb1EES11_EEDaSW_SX_EUlSW_E_NS1_11comp_targetILNS1_3genE3ELNS1_11target_archE908ELNS1_3gpuE7ELNS1_3repE0EEENS1_30default_config_static_selectorELNS0_4arch9wavefront6targetE1EEEvT1_
	.p2align	8
	.type	_ZN7rocprim17ROCPRIM_400000_NS6detail17trampoline_kernelINS0_14default_configENS1_27scan_by_key_config_selectorIidEEZZNS1_16scan_by_key_implILNS1_25lookback_scan_determinismE0ELb1ES3_N6thrust23THRUST_200600_302600_NS6detail15normal_iteratorINS9_10device_ptrIiEEEENSB_INSC_IdEEEESG_dNS9_4plusIvEENS9_8equal_toIvEEdEE10hipError_tPvRmT2_T3_T4_T5_mT6_T7_P12ihipStream_tbENKUlT_T0_E_clISt17integral_constantIbLb1EES11_EEDaSW_SX_EUlSW_E_NS1_11comp_targetILNS1_3genE3ELNS1_11target_archE908ELNS1_3gpuE7ELNS1_3repE0EEENS1_30default_config_static_selectorELNS0_4arch9wavefront6targetE1EEEvT1_,@function
_ZN7rocprim17ROCPRIM_400000_NS6detail17trampoline_kernelINS0_14default_configENS1_27scan_by_key_config_selectorIidEEZZNS1_16scan_by_key_implILNS1_25lookback_scan_determinismE0ELb1ES3_N6thrust23THRUST_200600_302600_NS6detail15normal_iteratorINS9_10device_ptrIiEEEENSB_INSC_IdEEEESG_dNS9_4plusIvEENS9_8equal_toIvEEdEE10hipError_tPvRmT2_T3_T4_T5_mT6_T7_P12ihipStream_tbENKUlT_T0_E_clISt17integral_constantIbLb1EES11_EEDaSW_SX_EUlSW_E_NS1_11comp_targetILNS1_3genE3ELNS1_11target_archE908ELNS1_3gpuE7ELNS1_3repE0EEENS1_30default_config_static_selectorELNS0_4arch9wavefront6targetE1EEEvT1_: ; @_ZN7rocprim17ROCPRIM_400000_NS6detail17trampoline_kernelINS0_14default_configENS1_27scan_by_key_config_selectorIidEEZZNS1_16scan_by_key_implILNS1_25lookback_scan_determinismE0ELb1ES3_N6thrust23THRUST_200600_302600_NS6detail15normal_iteratorINS9_10device_ptrIiEEEENSB_INSC_IdEEEESG_dNS9_4plusIvEENS9_8equal_toIvEEdEE10hipError_tPvRmT2_T3_T4_T5_mT6_T7_P12ihipStream_tbENKUlT_T0_E_clISt17integral_constantIbLb1EES11_EEDaSW_SX_EUlSW_E_NS1_11comp_targetILNS1_3genE3ELNS1_11target_archE908ELNS1_3gpuE7ELNS1_3repE0EEENS1_30default_config_static_selectorELNS0_4arch9wavefront6targetE1EEEvT1_
; %bb.0:
	.section	.rodata,"a",@progbits
	.p2align	6, 0x0
	.amdhsa_kernel _ZN7rocprim17ROCPRIM_400000_NS6detail17trampoline_kernelINS0_14default_configENS1_27scan_by_key_config_selectorIidEEZZNS1_16scan_by_key_implILNS1_25lookback_scan_determinismE0ELb1ES3_N6thrust23THRUST_200600_302600_NS6detail15normal_iteratorINS9_10device_ptrIiEEEENSB_INSC_IdEEEESG_dNS9_4plusIvEENS9_8equal_toIvEEdEE10hipError_tPvRmT2_T3_T4_T5_mT6_T7_P12ihipStream_tbENKUlT_T0_E_clISt17integral_constantIbLb1EES11_EEDaSW_SX_EUlSW_E_NS1_11comp_targetILNS1_3genE3ELNS1_11target_archE908ELNS1_3gpuE7ELNS1_3repE0EEENS1_30default_config_static_selectorELNS0_4arch9wavefront6targetE1EEEvT1_
		.amdhsa_group_segment_fixed_size 0
		.amdhsa_private_segment_fixed_size 0
		.amdhsa_kernarg_size 136
		.amdhsa_user_sgpr_count 6
		.amdhsa_user_sgpr_private_segment_buffer 1
		.amdhsa_user_sgpr_dispatch_ptr 0
		.amdhsa_user_sgpr_queue_ptr 0
		.amdhsa_user_sgpr_kernarg_segment_ptr 1
		.amdhsa_user_sgpr_dispatch_id 0
		.amdhsa_user_sgpr_flat_scratch_init 0
		.amdhsa_user_sgpr_kernarg_preload_length 0
		.amdhsa_user_sgpr_kernarg_preload_offset 0
		.amdhsa_user_sgpr_private_segment_size 0
		.amdhsa_uses_dynamic_stack 0
		.amdhsa_system_sgpr_private_segment_wavefront_offset 0
		.amdhsa_system_sgpr_workgroup_id_x 1
		.amdhsa_system_sgpr_workgroup_id_y 0
		.amdhsa_system_sgpr_workgroup_id_z 0
		.amdhsa_system_sgpr_workgroup_info 0
		.amdhsa_system_vgpr_workitem_id 0
		.amdhsa_next_free_vgpr 1
		.amdhsa_next_free_sgpr 0
		.amdhsa_accum_offset 4
		.amdhsa_reserve_vcc 0
		.amdhsa_reserve_flat_scratch 0
		.amdhsa_float_round_mode_32 0
		.amdhsa_float_round_mode_16_64 0
		.amdhsa_float_denorm_mode_32 3
		.amdhsa_float_denorm_mode_16_64 3
		.amdhsa_dx10_clamp 1
		.amdhsa_ieee_mode 1
		.amdhsa_fp16_overflow 0
		.amdhsa_tg_split 0
		.amdhsa_exception_fp_ieee_invalid_op 0
		.amdhsa_exception_fp_denorm_src 0
		.amdhsa_exception_fp_ieee_div_zero 0
		.amdhsa_exception_fp_ieee_overflow 0
		.amdhsa_exception_fp_ieee_underflow 0
		.amdhsa_exception_fp_ieee_inexact 0
		.amdhsa_exception_int_div_zero 0
	.end_amdhsa_kernel
	.section	.text._ZN7rocprim17ROCPRIM_400000_NS6detail17trampoline_kernelINS0_14default_configENS1_27scan_by_key_config_selectorIidEEZZNS1_16scan_by_key_implILNS1_25lookback_scan_determinismE0ELb1ES3_N6thrust23THRUST_200600_302600_NS6detail15normal_iteratorINS9_10device_ptrIiEEEENSB_INSC_IdEEEESG_dNS9_4plusIvEENS9_8equal_toIvEEdEE10hipError_tPvRmT2_T3_T4_T5_mT6_T7_P12ihipStream_tbENKUlT_T0_E_clISt17integral_constantIbLb1EES11_EEDaSW_SX_EUlSW_E_NS1_11comp_targetILNS1_3genE3ELNS1_11target_archE908ELNS1_3gpuE7ELNS1_3repE0EEENS1_30default_config_static_selectorELNS0_4arch9wavefront6targetE1EEEvT1_,"axG",@progbits,_ZN7rocprim17ROCPRIM_400000_NS6detail17trampoline_kernelINS0_14default_configENS1_27scan_by_key_config_selectorIidEEZZNS1_16scan_by_key_implILNS1_25lookback_scan_determinismE0ELb1ES3_N6thrust23THRUST_200600_302600_NS6detail15normal_iteratorINS9_10device_ptrIiEEEENSB_INSC_IdEEEESG_dNS9_4plusIvEENS9_8equal_toIvEEdEE10hipError_tPvRmT2_T3_T4_T5_mT6_T7_P12ihipStream_tbENKUlT_T0_E_clISt17integral_constantIbLb1EES11_EEDaSW_SX_EUlSW_E_NS1_11comp_targetILNS1_3genE3ELNS1_11target_archE908ELNS1_3gpuE7ELNS1_3repE0EEENS1_30default_config_static_selectorELNS0_4arch9wavefront6targetE1EEEvT1_,comdat
.Lfunc_end1404:
	.size	_ZN7rocprim17ROCPRIM_400000_NS6detail17trampoline_kernelINS0_14default_configENS1_27scan_by_key_config_selectorIidEEZZNS1_16scan_by_key_implILNS1_25lookback_scan_determinismE0ELb1ES3_N6thrust23THRUST_200600_302600_NS6detail15normal_iteratorINS9_10device_ptrIiEEEENSB_INSC_IdEEEESG_dNS9_4plusIvEENS9_8equal_toIvEEdEE10hipError_tPvRmT2_T3_T4_T5_mT6_T7_P12ihipStream_tbENKUlT_T0_E_clISt17integral_constantIbLb1EES11_EEDaSW_SX_EUlSW_E_NS1_11comp_targetILNS1_3genE3ELNS1_11target_archE908ELNS1_3gpuE7ELNS1_3repE0EEENS1_30default_config_static_selectorELNS0_4arch9wavefront6targetE1EEEvT1_, .Lfunc_end1404-_ZN7rocprim17ROCPRIM_400000_NS6detail17trampoline_kernelINS0_14default_configENS1_27scan_by_key_config_selectorIidEEZZNS1_16scan_by_key_implILNS1_25lookback_scan_determinismE0ELb1ES3_N6thrust23THRUST_200600_302600_NS6detail15normal_iteratorINS9_10device_ptrIiEEEENSB_INSC_IdEEEESG_dNS9_4plusIvEENS9_8equal_toIvEEdEE10hipError_tPvRmT2_T3_T4_T5_mT6_T7_P12ihipStream_tbENKUlT_T0_E_clISt17integral_constantIbLb1EES11_EEDaSW_SX_EUlSW_E_NS1_11comp_targetILNS1_3genE3ELNS1_11target_archE908ELNS1_3gpuE7ELNS1_3repE0EEENS1_30default_config_static_selectorELNS0_4arch9wavefront6targetE1EEEvT1_
                                        ; -- End function
	.section	.AMDGPU.csdata,"",@progbits
; Kernel info:
; codeLenInByte = 0
; NumSgprs: 4
; NumVgprs: 0
; NumAgprs: 0
; TotalNumVgprs: 0
; ScratchSize: 0
; MemoryBound: 0
; FloatMode: 240
; IeeeMode: 1
; LDSByteSize: 0 bytes/workgroup (compile time only)
; SGPRBlocks: 0
; VGPRBlocks: 0
; NumSGPRsForWavesPerEU: 4
; NumVGPRsForWavesPerEU: 1
; AccumOffset: 4
; Occupancy: 8
; WaveLimiterHint : 0
; COMPUTE_PGM_RSRC2:SCRATCH_EN: 0
; COMPUTE_PGM_RSRC2:USER_SGPR: 6
; COMPUTE_PGM_RSRC2:TRAP_HANDLER: 0
; COMPUTE_PGM_RSRC2:TGID_X_EN: 1
; COMPUTE_PGM_RSRC2:TGID_Y_EN: 0
; COMPUTE_PGM_RSRC2:TGID_Z_EN: 0
; COMPUTE_PGM_RSRC2:TIDIG_COMP_CNT: 0
; COMPUTE_PGM_RSRC3_GFX90A:ACCUM_OFFSET: 0
; COMPUTE_PGM_RSRC3_GFX90A:TG_SPLIT: 0
	.section	.text._ZN7rocprim17ROCPRIM_400000_NS6detail17trampoline_kernelINS0_14default_configENS1_27scan_by_key_config_selectorIidEEZZNS1_16scan_by_key_implILNS1_25lookback_scan_determinismE0ELb1ES3_N6thrust23THRUST_200600_302600_NS6detail15normal_iteratorINS9_10device_ptrIiEEEENSB_INSC_IdEEEESG_dNS9_4plusIvEENS9_8equal_toIvEEdEE10hipError_tPvRmT2_T3_T4_T5_mT6_T7_P12ihipStream_tbENKUlT_T0_E_clISt17integral_constantIbLb1EES11_EEDaSW_SX_EUlSW_E_NS1_11comp_targetILNS1_3genE2ELNS1_11target_archE906ELNS1_3gpuE6ELNS1_3repE0EEENS1_30default_config_static_selectorELNS0_4arch9wavefront6targetE1EEEvT1_,"axG",@progbits,_ZN7rocprim17ROCPRIM_400000_NS6detail17trampoline_kernelINS0_14default_configENS1_27scan_by_key_config_selectorIidEEZZNS1_16scan_by_key_implILNS1_25lookback_scan_determinismE0ELb1ES3_N6thrust23THRUST_200600_302600_NS6detail15normal_iteratorINS9_10device_ptrIiEEEENSB_INSC_IdEEEESG_dNS9_4plusIvEENS9_8equal_toIvEEdEE10hipError_tPvRmT2_T3_T4_T5_mT6_T7_P12ihipStream_tbENKUlT_T0_E_clISt17integral_constantIbLb1EES11_EEDaSW_SX_EUlSW_E_NS1_11comp_targetILNS1_3genE2ELNS1_11target_archE906ELNS1_3gpuE6ELNS1_3repE0EEENS1_30default_config_static_selectorELNS0_4arch9wavefront6targetE1EEEvT1_,comdat
	.protected	_ZN7rocprim17ROCPRIM_400000_NS6detail17trampoline_kernelINS0_14default_configENS1_27scan_by_key_config_selectorIidEEZZNS1_16scan_by_key_implILNS1_25lookback_scan_determinismE0ELb1ES3_N6thrust23THRUST_200600_302600_NS6detail15normal_iteratorINS9_10device_ptrIiEEEENSB_INSC_IdEEEESG_dNS9_4plusIvEENS9_8equal_toIvEEdEE10hipError_tPvRmT2_T3_T4_T5_mT6_T7_P12ihipStream_tbENKUlT_T0_E_clISt17integral_constantIbLb1EES11_EEDaSW_SX_EUlSW_E_NS1_11comp_targetILNS1_3genE2ELNS1_11target_archE906ELNS1_3gpuE6ELNS1_3repE0EEENS1_30default_config_static_selectorELNS0_4arch9wavefront6targetE1EEEvT1_ ; -- Begin function _ZN7rocprim17ROCPRIM_400000_NS6detail17trampoline_kernelINS0_14default_configENS1_27scan_by_key_config_selectorIidEEZZNS1_16scan_by_key_implILNS1_25lookback_scan_determinismE0ELb1ES3_N6thrust23THRUST_200600_302600_NS6detail15normal_iteratorINS9_10device_ptrIiEEEENSB_INSC_IdEEEESG_dNS9_4plusIvEENS9_8equal_toIvEEdEE10hipError_tPvRmT2_T3_T4_T5_mT6_T7_P12ihipStream_tbENKUlT_T0_E_clISt17integral_constantIbLb1EES11_EEDaSW_SX_EUlSW_E_NS1_11comp_targetILNS1_3genE2ELNS1_11target_archE906ELNS1_3gpuE6ELNS1_3repE0EEENS1_30default_config_static_selectorELNS0_4arch9wavefront6targetE1EEEvT1_
	.globl	_ZN7rocprim17ROCPRIM_400000_NS6detail17trampoline_kernelINS0_14default_configENS1_27scan_by_key_config_selectorIidEEZZNS1_16scan_by_key_implILNS1_25lookback_scan_determinismE0ELb1ES3_N6thrust23THRUST_200600_302600_NS6detail15normal_iteratorINS9_10device_ptrIiEEEENSB_INSC_IdEEEESG_dNS9_4plusIvEENS9_8equal_toIvEEdEE10hipError_tPvRmT2_T3_T4_T5_mT6_T7_P12ihipStream_tbENKUlT_T0_E_clISt17integral_constantIbLb1EES11_EEDaSW_SX_EUlSW_E_NS1_11comp_targetILNS1_3genE2ELNS1_11target_archE906ELNS1_3gpuE6ELNS1_3repE0EEENS1_30default_config_static_selectorELNS0_4arch9wavefront6targetE1EEEvT1_
	.p2align	8
	.type	_ZN7rocprim17ROCPRIM_400000_NS6detail17trampoline_kernelINS0_14default_configENS1_27scan_by_key_config_selectorIidEEZZNS1_16scan_by_key_implILNS1_25lookback_scan_determinismE0ELb1ES3_N6thrust23THRUST_200600_302600_NS6detail15normal_iteratorINS9_10device_ptrIiEEEENSB_INSC_IdEEEESG_dNS9_4plusIvEENS9_8equal_toIvEEdEE10hipError_tPvRmT2_T3_T4_T5_mT6_T7_P12ihipStream_tbENKUlT_T0_E_clISt17integral_constantIbLb1EES11_EEDaSW_SX_EUlSW_E_NS1_11comp_targetILNS1_3genE2ELNS1_11target_archE906ELNS1_3gpuE6ELNS1_3repE0EEENS1_30default_config_static_selectorELNS0_4arch9wavefront6targetE1EEEvT1_,@function
_ZN7rocprim17ROCPRIM_400000_NS6detail17trampoline_kernelINS0_14default_configENS1_27scan_by_key_config_selectorIidEEZZNS1_16scan_by_key_implILNS1_25lookback_scan_determinismE0ELb1ES3_N6thrust23THRUST_200600_302600_NS6detail15normal_iteratorINS9_10device_ptrIiEEEENSB_INSC_IdEEEESG_dNS9_4plusIvEENS9_8equal_toIvEEdEE10hipError_tPvRmT2_T3_T4_T5_mT6_T7_P12ihipStream_tbENKUlT_T0_E_clISt17integral_constantIbLb1EES11_EEDaSW_SX_EUlSW_E_NS1_11comp_targetILNS1_3genE2ELNS1_11target_archE906ELNS1_3gpuE6ELNS1_3repE0EEENS1_30default_config_static_selectorELNS0_4arch9wavefront6targetE1EEEvT1_: ; @_ZN7rocprim17ROCPRIM_400000_NS6detail17trampoline_kernelINS0_14default_configENS1_27scan_by_key_config_selectorIidEEZZNS1_16scan_by_key_implILNS1_25lookback_scan_determinismE0ELb1ES3_N6thrust23THRUST_200600_302600_NS6detail15normal_iteratorINS9_10device_ptrIiEEEENSB_INSC_IdEEEESG_dNS9_4plusIvEENS9_8equal_toIvEEdEE10hipError_tPvRmT2_T3_T4_T5_mT6_T7_P12ihipStream_tbENKUlT_T0_E_clISt17integral_constantIbLb1EES11_EEDaSW_SX_EUlSW_E_NS1_11comp_targetILNS1_3genE2ELNS1_11target_archE906ELNS1_3gpuE6ELNS1_3repE0EEENS1_30default_config_static_selectorELNS0_4arch9wavefront6targetE1EEEvT1_
; %bb.0:
	.section	.rodata,"a",@progbits
	.p2align	6, 0x0
	.amdhsa_kernel _ZN7rocprim17ROCPRIM_400000_NS6detail17trampoline_kernelINS0_14default_configENS1_27scan_by_key_config_selectorIidEEZZNS1_16scan_by_key_implILNS1_25lookback_scan_determinismE0ELb1ES3_N6thrust23THRUST_200600_302600_NS6detail15normal_iteratorINS9_10device_ptrIiEEEENSB_INSC_IdEEEESG_dNS9_4plusIvEENS9_8equal_toIvEEdEE10hipError_tPvRmT2_T3_T4_T5_mT6_T7_P12ihipStream_tbENKUlT_T0_E_clISt17integral_constantIbLb1EES11_EEDaSW_SX_EUlSW_E_NS1_11comp_targetILNS1_3genE2ELNS1_11target_archE906ELNS1_3gpuE6ELNS1_3repE0EEENS1_30default_config_static_selectorELNS0_4arch9wavefront6targetE1EEEvT1_
		.amdhsa_group_segment_fixed_size 0
		.amdhsa_private_segment_fixed_size 0
		.amdhsa_kernarg_size 136
		.amdhsa_user_sgpr_count 6
		.amdhsa_user_sgpr_private_segment_buffer 1
		.amdhsa_user_sgpr_dispatch_ptr 0
		.amdhsa_user_sgpr_queue_ptr 0
		.amdhsa_user_sgpr_kernarg_segment_ptr 1
		.amdhsa_user_sgpr_dispatch_id 0
		.amdhsa_user_sgpr_flat_scratch_init 0
		.amdhsa_user_sgpr_kernarg_preload_length 0
		.amdhsa_user_sgpr_kernarg_preload_offset 0
		.amdhsa_user_sgpr_private_segment_size 0
		.amdhsa_uses_dynamic_stack 0
		.amdhsa_system_sgpr_private_segment_wavefront_offset 0
		.amdhsa_system_sgpr_workgroup_id_x 1
		.amdhsa_system_sgpr_workgroup_id_y 0
		.amdhsa_system_sgpr_workgroup_id_z 0
		.amdhsa_system_sgpr_workgroup_info 0
		.amdhsa_system_vgpr_workitem_id 0
		.amdhsa_next_free_vgpr 1
		.amdhsa_next_free_sgpr 0
		.amdhsa_accum_offset 4
		.amdhsa_reserve_vcc 0
		.amdhsa_reserve_flat_scratch 0
		.amdhsa_float_round_mode_32 0
		.amdhsa_float_round_mode_16_64 0
		.amdhsa_float_denorm_mode_32 3
		.amdhsa_float_denorm_mode_16_64 3
		.amdhsa_dx10_clamp 1
		.amdhsa_ieee_mode 1
		.amdhsa_fp16_overflow 0
		.amdhsa_tg_split 0
		.amdhsa_exception_fp_ieee_invalid_op 0
		.amdhsa_exception_fp_denorm_src 0
		.amdhsa_exception_fp_ieee_div_zero 0
		.amdhsa_exception_fp_ieee_overflow 0
		.amdhsa_exception_fp_ieee_underflow 0
		.amdhsa_exception_fp_ieee_inexact 0
		.amdhsa_exception_int_div_zero 0
	.end_amdhsa_kernel
	.section	.text._ZN7rocprim17ROCPRIM_400000_NS6detail17trampoline_kernelINS0_14default_configENS1_27scan_by_key_config_selectorIidEEZZNS1_16scan_by_key_implILNS1_25lookback_scan_determinismE0ELb1ES3_N6thrust23THRUST_200600_302600_NS6detail15normal_iteratorINS9_10device_ptrIiEEEENSB_INSC_IdEEEESG_dNS9_4plusIvEENS9_8equal_toIvEEdEE10hipError_tPvRmT2_T3_T4_T5_mT6_T7_P12ihipStream_tbENKUlT_T0_E_clISt17integral_constantIbLb1EES11_EEDaSW_SX_EUlSW_E_NS1_11comp_targetILNS1_3genE2ELNS1_11target_archE906ELNS1_3gpuE6ELNS1_3repE0EEENS1_30default_config_static_selectorELNS0_4arch9wavefront6targetE1EEEvT1_,"axG",@progbits,_ZN7rocprim17ROCPRIM_400000_NS6detail17trampoline_kernelINS0_14default_configENS1_27scan_by_key_config_selectorIidEEZZNS1_16scan_by_key_implILNS1_25lookback_scan_determinismE0ELb1ES3_N6thrust23THRUST_200600_302600_NS6detail15normal_iteratorINS9_10device_ptrIiEEEENSB_INSC_IdEEEESG_dNS9_4plusIvEENS9_8equal_toIvEEdEE10hipError_tPvRmT2_T3_T4_T5_mT6_T7_P12ihipStream_tbENKUlT_T0_E_clISt17integral_constantIbLb1EES11_EEDaSW_SX_EUlSW_E_NS1_11comp_targetILNS1_3genE2ELNS1_11target_archE906ELNS1_3gpuE6ELNS1_3repE0EEENS1_30default_config_static_selectorELNS0_4arch9wavefront6targetE1EEEvT1_,comdat
.Lfunc_end1405:
	.size	_ZN7rocprim17ROCPRIM_400000_NS6detail17trampoline_kernelINS0_14default_configENS1_27scan_by_key_config_selectorIidEEZZNS1_16scan_by_key_implILNS1_25lookback_scan_determinismE0ELb1ES3_N6thrust23THRUST_200600_302600_NS6detail15normal_iteratorINS9_10device_ptrIiEEEENSB_INSC_IdEEEESG_dNS9_4plusIvEENS9_8equal_toIvEEdEE10hipError_tPvRmT2_T3_T4_T5_mT6_T7_P12ihipStream_tbENKUlT_T0_E_clISt17integral_constantIbLb1EES11_EEDaSW_SX_EUlSW_E_NS1_11comp_targetILNS1_3genE2ELNS1_11target_archE906ELNS1_3gpuE6ELNS1_3repE0EEENS1_30default_config_static_selectorELNS0_4arch9wavefront6targetE1EEEvT1_, .Lfunc_end1405-_ZN7rocprim17ROCPRIM_400000_NS6detail17trampoline_kernelINS0_14default_configENS1_27scan_by_key_config_selectorIidEEZZNS1_16scan_by_key_implILNS1_25lookback_scan_determinismE0ELb1ES3_N6thrust23THRUST_200600_302600_NS6detail15normal_iteratorINS9_10device_ptrIiEEEENSB_INSC_IdEEEESG_dNS9_4plusIvEENS9_8equal_toIvEEdEE10hipError_tPvRmT2_T3_T4_T5_mT6_T7_P12ihipStream_tbENKUlT_T0_E_clISt17integral_constantIbLb1EES11_EEDaSW_SX_EUlSW_E_NS1_11comp_targetILNS1_3genE2ELNS1_11target_archE906ELNS1_3gpuE6ELNS1_3repE0EEENS1_30default_config_static_selectorELNS0_4arch9wavefront6targetE1EEEvT1_
                                        ; -- End function
	.section	.AMDGPU.csdata,"",@progbits
; Kernel info:
; codeLenInByte = 0
; NumSgprs: 4
; NumVgprs: 0
; NumAgprs: 0
; TotalNumVgprs: 0
; ScratchSize: 0
; MemoryBound: 0
; FloatMode: 240
; IeeeMode: 1
; LDSByteSize: 0 bytes/workgroup (compile time only)
; SGPRBlocks: 0
; VGPRBlocks: 0
; NumSGPRsForWavesPerEU: 4
; NumVGPRsForWavesPerEU: 1
; AccumOffset: 4
; Occupancy: 8
; WaveLimiterHint : 0
; COMPUTE_PGM_RSRC2:SCRATCH_EN: 0
; COMPUTE_PGM_RSRC2:USER_SGPR: 6
; COMPUTE_PGM_RSRC2:TRAP_HANDLER: 0
; COMPUTE_PGM_RSRC2:TGID_X_EN: 1
; COMPUTE_PGM_RSRC2:TGID_Y_EN: 0
; COMPUTE_PGM_RSRC2:TGID_Z_EN: 0
; COMPUTE_PGM_RSRC2:TIDIG_COMP_CNT: 0
; COMPUTE_PGM_RSRC3_GFX90A:ACCUM_OFFSET: 0
; COMPUTE_PGM_RSRC3_GFX90A:TG_SPLIT: 0
	.section	.text._ZN7rocprim17ROCPRIM_400000_NS6detail17trampoline_kernelINS0_14default_configENS1_27scan_by_key_config_selectorIidEEZZNS1_16scan_by_key_implILNS1_25lookback_scan_determinismE0ELb1ES3_N6thrust23THRUST_200600_302600_NS6detail15normal_iteratorINS9_10device_ptrIiEEEENSB_INSC_IdEEEESG_dNS9_4plusIvEENS9_8equal_toIvEEdEE10hipError_tPvRmT2_T3_T4_T5_mT6_T7_P12ihipStream_tbENKUlT_T0_E_clISt17integral_constantIbLb1EES11_EEDaSW_SX_EUlSW_E_NS1_11comp_targetILNS1_3genE10ELNS1_11target_archE1200ELNS1_3gpuE4ELNS1_3repE0EEENS1_30default_config_static_selectorELNS0_4arch9wavefront6targetE1EEEvT1_,"axG",@progbits,_ZN7rocprim17ROCPRIM_400000_NS6detail17trampoline_kernelINS0_14default_configENS1_27scan_by_key_config_selectorIidEEZZNS1_16scan_by_key_implILNS1_25lookback_scan_determinismE0ELb1ES3_N6thrust23THRUST_200600_302600_NS6detail15normal_iteratorINS9_10device_ptrIiEEEENSB_INSC_IdEEEESG_dNS9_4plusIvEENS9_8equal_toIvEEdEE10hipError_tPvRmT2_T3_T4_T5_mT6_T7_P12ihipStream_tbENKUlT_T0_E_clISt17integral_constantIbLb1EES11_EEDaSW_SX_EUlSW_E_NS1_11comp_targetILNS1_3genE10ELNS1_11target_archE1200ELNS1_3gpuE4ELNS1_3repE0EEENS1_30default_config_static_selectorELNS0_4arch9wavefront6targetE1EEEvT1_,comdat
	.protected	_ZN7rocprim17ROCPRIM_400000_NS6detail17trampoline_kernelINS0_14default_configENS1_27scan_by_key_config_selectorIidEEZZNS1_16scan_by_key_implILNS1_25lookback_scan_determinismE0ELb1ES3_N6thrust23THRUST_200600_302600_NS6detail15normal_iteratorINS9_10device_ptrIiEEEENSB_INSC_IdEEEESG_dNS9_4plusIvEENS9_8equal_toIvEEdEE10hipError_tPvRmT2_T3_T4_T5_mT6_T7_P12ihipStream_tbENKUlT_T0_E_clISt17integral_constantIbLb1EES11_EEDaSW_SX_EUlSW_E_NS1_11comp_targetILNS1_3genE10ELNS1_11target_archE1200ELNS1_3gpuE4ELNS1_3repE0EEENS1_30default_config_static_selectorELNS0_4arch9wavefront6targetE1EEEvT1_ ; -- Begin function _ZN7rocprim17ROCPRIM_400000_NS6detail17trampoline_kernelINS0_14default_configENS1_27scan_by_key_config_selectorIidEEZZNS1_16scan_by_key_implILNS1_25lookback_scan_determinismE0ELb1ES3_N6thrust23THRUST_200600_302600_NS6detail15normal_iteratorINS9_10device_ptrIiEEEENSB_INSC_IdEEEESG_dNS9_4plusIvEENS9_8equal_toIvEEdEE10hipError_tPvRmT2_T3_T4_T5_mT6_T7_P12ihipStream_tbENKUlT_T0_E_clISt17integral_constantIbLb1EES11_EEDaSW_SX_EUlSW_E_NS1_11comp_targetILNS1_3genE10ELNS1_11target_archE1200ELNS1_3gpuE4ELNS1_3repE0EEENS1_30default_config_static_selectorELNS0_4arch9wavefront6targetE1EEEvT1_
	.globl	_ZN7rocprim17ROCPRIM_400000_NS6detail17trampoline_kernelINS0_14default_configENS1_27scan_by_key_config_selectorIidEEZZNS1_16scan_by_key_implILNS1_25lookback_scan_determinismE0ELb1ES3_N6thrust23THRUST_200600_302600_NS6detail15normal_iteratorINS9_10device_ptrIiEEEENSB_INSC_IdEEEESG_dNS9_4plusIvEENS9_8equal_toIvEEdEE10hipError_tPvRmT2_T3_T4_T5_mT6_T7_P12ihipStream_tbENKUlT_T0_E_clISt17integral_constantIbLb1EES11_EEDaSW_SX_EUlSW_E_NS1_11comp_targetILNS1_3genE10ELNS1_11target_archE1200ELNS1_3gpuE4ELNS1_3repE0EEENS1_30default_config_static_selectorELNS0_4arch9wavefront6targetE1EEEvT1_
	.p2align	8
	.type	_ZN7rocprim17ROCPRIM_400000_NS6detail17trampoline_kernelINS0_14default_configENS1_27scan_by_key_config_selectorIidEEZZNS1_16scan_by_key_implILNS1_25lookback_scan_determinismE0ELb1ES3_N6thrust23THRUST_200600_302600_NS6detail15normal_iteratorINS9_10device_ptrIiEEEENSB_INSC_IdEEEESG_dNS9_4plusIvEENS9_8equal_toIvEEdEE10hipError_tPvRmT2_T3_T4_T5_mT6_T7_P12ihipStream_tbENKUlT_T0_E_clISt17integral_constantIbLb1EES11_EEDaSW_SX_EUlSW_E_NS1_11comp_targetILNS1_3genE10ELNS1_11target_archE1200ELNS1_3gpuE4ELNS1_3repE0EEENS1_30default_config_static_selectorELNS0_4arch9wavefront6targetE1EEEvT1_,@function
_ZN7rocprim17ROCPRIM_400000_NS6detail17trampoline_kernelINS0_14default_configENS1_27scan_by_key_config_selectorIidEEZZNS1_16scan_by_key_implILNS1_25lookback_scan_determinismE0ELb1ES3_N6thrust23THRUST_200600_302600_NS6detail15normal_iteratorINS9_10device_ptrIiEEEENSB_INSC_IdEEEESG_dNS9_4plusIvEENS9_8equal_toIvEEdEE10hipError_tPvRmT2_T3_T4_T5_mT6_T7_P12ihipStream_tbENKUlT_T0_E_clISt17integral_constantIbLb1EES11_EEDaSW_SX_EUlSW_E_NS1_11comp_targetILNS1_3genE10ELNS1_11target_archE1200ELNS1_3gpuE4ELNS1_3repE0EEENS1_30default_config_static_selectorELNS0_4arch9wavefront6targetE1EEEvT1_: ; @_ZN7rocprim17ROCPRIM_400000_NS6detail17trampoline_kernelINS0_14default_configENS1_27scan_by_key_config_selectorIidEEZZNS1_16scan_by_key_implILNS1_25lookback_scan_determinismE0ELb1ES3_N6thrust23THRUST_200600_302600_NS6detail15normal_iteratorINS9_10device_ptrIiEEEENSB_INSC_IdEEEESG_dNS9_4plusIvEENS9_8equal_toIvEEdEE10hipError_tPvRmT2_T3_T4_T5_mT6_T7_P12ihipStream_tbENKUlT_T0_E_clISt17integral_constantIbLb1EES11_EEDaSW_SX_EUlSW_E_NS1_11comp_targetILNS1_3genE10ELNS1_11target_archE1200ELNS1_3gpuE4ELNS1_3repE0EEENS1_30default_config_static_selectorELNS0_4arch9wavefront6targetE1EEEvT1_
; %bb.0:
	.section	.rodata,"a",@progbits
	.p2align	6, 0x0
	.amdhsa_kernel _ZN7rocprim17ROCPRIM_400000_NS6detail17trampoline_kernelINS0_14default_configENS1_27scan_by_key_config_selectorIidEEZZNS1_16scan_by_key_implILNS1_25lookback_scan_determinismE0ELb1ES3_N6thrust23THRUST_200600_302600_NS6detail15normal_iteratorINS9_10device_ptrIiEEEENSB_INSC_IdEEEESG_dNS9_4plusIvEENS9_8equal_toIvEEdEE10hipError_tPvRmT2_T3_T4_T5_mT6_T7_P12ihipStream_tbENKUlT_T0_E_clISt17integral_constantIbLb1EES11_EEDaSW_SX_EUlSW_E_NS1_11comp_targetILNS1_3genE10ELNS1_11target_archE1200ELNS1_3gpuE4ELNS1_3repE0EEENS1_30default_config_static_selectorELNS0_4arch9wavefront6targetE1EEEvT1_
		.amdhsa_group_segment_fixed_size 0
		.amdhsa_private_segment_fixed_size 0
		.amdhsa_kernarg_size 136
		.amdhsa_user_sgpr_count 6
		.amdhsa_user_sgpr_private_segment_buffer 1
		.amdhsa_user_sgpr_dispatch_ptr 0
		.amdhsa_user_sgpr_queue_ptr 0
		.amdhsa_user_sgpr_kernarg_segment_ptr 1
		.amdhsa_user_sgpr_dispatch_id 0
		.amdhsa_user_sgpr_flat_scratch_init 0
		.amdhsa_user_sgpr_kernarg_preload_length 0
		.amdhsa_user_sgpr_kernarg_preload_offset 0
		.amdhsa_user_sgpr_private_segment_size 0
		.amdhsa_uses_dynamic_stack 0
		.amdhsa_system_sgpr_private_segment_wavefront_offset 0
		.amdhsa_system_sgpr_workgroup_id_x 1
		.amdhsa_system_sgpr_workgroup_id_y 0
		.amdhsa_system_sgpr_workgroup_id_z 0
		.amdhsa_system_sgpr_workgroup_info 0
		.amdhsa_system_vgpr_workitem_id 0
		.amdhsa_next_free_vgpr 1
		.amdhsa_next_free_sgpr 0
		.amdhsa_accum_offset 4
		.amdhsa_reserve_vcc 0
		.amdhsa_reserve_flat_scratch 0
		.amdhsa_float_round_mode_32 0
		.amdhsa_float_round_mode_16_64 0
		.amdhsa_float_denorm_mode_32 3
		.amdhsa_float_denorm_mode_16_64 3
		.amdhsa_dx10_clamp 1
		.amdhsa_ieee_mode 1
		.amdhsa_fp16_overflow 0
		.amdhsa_tg_split 0
		.amdhsa_exception_fp_ieee_invalid_op 0
		.amdhsa_exception_fp_denorm_src 0
		.amdhsa_exception_fp_ieee_div_zero 0
		.amdhsa_exception_fp_ieee_overflow 0
		.amdhsa_exception_fp_ieee_underflow 0
		.amdhsa_exception_fp_ieee_inexact 0
		.amdhsa_exception_int_div_zero 0
	.end_amdhsa_kernel
	.section	.text._ZN7rocprim17ROCPRIM_400000_NS6detail17trampoline_kernelINS0_14default_configENS1_27scan_by_key_config_selectorIidEEZZNS1_16scan_by_key_implILNS1_25lookback_scan_determinismE0ELb1ES3_N6thrust23THRUST_200600_302600_NS6detail15normal_iteratorINS9_10device_ptrIiEEEENSB_INSC_IdEEEESG_dNS9_4plusIvEENS9_8equal_toIvEEdEE10hipError_tPvRmT2_T3_T4_T5_mT6_T7_P12ihipStream_tbENKUlT_T0_E_clISt17integral_constantIbLb1EES11_EEDaSW_SX_EUlSW_E_NS1_11comp_targetILNS1_3genE10ELNS1_11target_archE1200ELNS1_3gpuE4ELNS1_3repE0EEENS1_30default_config_static_selectorELNS0_4arch9wavefront6targetE1EEEvT1_,"axG",@progbits,_ZN7rocprim17ROCPRIM_400000_NS6detail17trampoline_kernelINS0_14default_configENS1_27scan_by_key_config_selectorIidEEZZNS1_16scan_by_key_implILNS1_25lookback_scan_determinismE0ELb1ES3_N6thrust23THRUST_200600_302600_NS6detail15normal_iteratorINS9_10device_ptrIiEEEENSB_INSC_IdEEEESG_dNS9_4plusIvEENS9_8equal_toIvEEdEE10hipError_tPvRmT2_T3_T4_T5_mT6_T7_P12ihipStream_tbENKUlT_T0_E_clISt17integral_constantIbLb1EES11_EEDaSW_SX_EUlSW_E_NS1_11comp_targetILNS1_3genE10ELNS1_11target_archE1200ELNS1_3gpuE4ELNS1_3repE0EEENS1_30default_config_static_selectorELNS0_4arch9wavefront6targetE1EEEvT1_,comdat
.Lfunc_end1406:
	.size	_ZN7rocprim17ROCPRIM_400000_NS6detail17trampoline_kernelINS0_14default_configENS1_27scan_by_key_config_selectorIidEEZZNS1_16scan_by_key_implILNS1_25lookback_scan_determinismE0ELb1ES3_N6thrust23THRUST_200600_302600_NS6detail15normal_iteratorINS9_10device_ptrIiEEEENSB_INSC_IdEEEESG_dNS9_4plusIvEENS9_8equal_toIvEEdEE10hipError_tPvRmT2_T3_T4_T5_mT6_T7_P12ihipStream_tbENKUlT_T0_E_clISt17integral_constantIbLb1EES11_EEDaSW_SX_EUlSW_E_NS1_11comp_targetILNS1_3genE10ELNS1_11target_archE1200ELNS1_3gpuE4ELNS1_3repE0EEENS1_30default_config_static_selectorELNS0_4arch9wavefront6targetE1EEEvT1_, .Lfunc_end1406-_ZN7rocprim17ROCPRIM_400000_NS6detail17trampoline_kernelINS0_14default_configENS1_27scan_by_key_config_selectorIidEEZZNS1_16scan_by_key_implILNS1_25lookback_scan_determinismE0ELb1ES3_N6thrust23THRUST_200600_302600_NS6detail15normal_iteratorINS9_10device_ptrIiEEEENSB_INSC_IdEEEESG_dNS9_4plusIvEENS9_8equal_toIvEEdEE10hipError_tPvRmT2_T3_T4_T5_mT6_T7_P12ihipStream_tbENKUlT_T0_E_clISt17integral_constantIbLb1EES11_EEDaSW_SX_EUlSW_E_NS1_11comp_targetILNS1_3genE10ELNS1_11target_archE1200ELNS1_3gpuE4ELNS1_3repE0EEENS1_30default_config_static_selectorELNS0_4arch9wavefront6targetE1EEEvT1_
                                        ; -- End function
	.section	.AMDGPU.csdata,"",@progbits
; Kernel info:
; codeLenInByte = 0
; NumSgprs: 4
; NumVgprs: 0
; NumAgprs: 0
; TotalNumVgprs: 0
; ScratchSize: 0
; MemoryBound: 0
; FloatMode: 240
; IeeeMode: 1
; LDSByteSize: 0 bytes/workgroup (compile time only)
; SGPRBlocks: 0
; VGPRBlocks: 0
; NumSGPRsForWavesPerEU: 4
; NumVGPRsForWavesPerEU: 1
; AccumOffset: 4
; Occupancy: 8
; WaveLimiterHint : 0
; COMPUTE_PGM_RSRC2:SCRATCH_EN: 0
; COMPUTE_PGM_RSRC2:USER_SGPR: 6
; COMPUTE_PGM_RSRC2:TRAP_HANDLER: 0
; COMPUTE_PGM_RSRC2:TGID_X_EN: 1
; COMPUTE_PGM_RSRC2:TGID_Y_EN: 0
; COMPUTE_PGM_RSRC2:TGID_Z_EN: 0
; COMPUTE_PGM_RSRC2:TIDIG_COMP_CNT: 0
; COMPUTE_PGM_RSRC3_GFX90A:ACCUM_OFFSET: 0
; COMPUTE_PGM_RSRC3_GFX90A:TG_SPLIT: 0
	.section	.text._ZN7rocprim17ROCPRIM_400000_NS6detail17trampoline_kernelINS0_14default_configENS1_27scan_by_key_config_selectorIidEEZZNS1_16scan_by_key_implILNS1_25lookback_scan_determinismE0ELb1ES3_N6thrust23THRUST_200600_302600_NS6detail15normal_iteratorINS9_10device_ptrIiEEEENSB_INSC_IdEEEESG_dNS9_4plusIvEENS9_8equal_toIvEEdEE10hipError_tPvRmT2_T3_T4_T5_mT6_T7_P12ihipStream_tbENKUlT_T0_E_clISt17integral_constantIbLb1EES11_EEDaSW_SX_EUlSW_E_NS1_11comp_targetILNS1_3genE9ELNS1_11target_archE1100ELNS1_3gpuE3ELNS1_3repE0EEENS1_30default_config_static_selectorELNS0_4arch9wavefront6targetE1EEEvT1_,"axG",@progbits,_ZN7rocprim17ROCPRIM_400000_NS6detail17trampoline_kernelINS0_14default_configENS1_27scan_by_key_config_selectorIidEEZZNS1_16scan_by_key_implILNS1_25lookback_scan_determinismE0ELb1ES3_N6thrust23THRUST_200600_302600_NS6detail15normal_iteratorINS9_10device_ptrIiEEEENSB_INSC_IdEEEESG_dNS9_4plusIvEENS9_8equal_toIvEEdEE10hipError_tPvRmT2_T3_T4_T5_mT6_T7_P12ihipStream_tbENKUlT_T0_E_clISt17integral_constantIbLb1EES11_EEDaSW_SX_EUlSW_E_NS1_11comp_targetILNS1_3genE9ELNS1_11target_archE1100ELNS1_3gpuE3ELNS1_3repE0EEENS1_30default_config_static_selectorELNS0_4arch9wavefront6targetE1EEEvT1_,comdat
	.protected	_ZN7rocprim17ROCPRIM_400000_NS6detail17trampoline_kernelINS0_14default_configENS1_27scan_by_key_config_selectorIidEEZZNS1_16scan_by_key_implILNS1_25lookback_scan_determinismE0ELb1ES3_N6thrust23THRUST_200600_302600_NS6detail15normal_iteratorINS9_10device_ptrIiEEEENSB_INSC_IdEEEESG_dNS9_4plusIvEENS9_8equal_toIvEEdEE10hipError_tPvRmT2_T3_T4_T5_mT6_T7_P12ihipStream_tbENKUlT_T0_E_clISt17integral_constantIbLb1EES11_EEDaSW_SX_EUlSW_E_NS1_11comp_targetILNS1_3genE9ELNS1_11target_archE1100ELNS1_3gpuE3ELNS1_3repE0EEENS1_30default_config_static_selectorELNS0_4arch9wavefront6targetE1EEEvT1_ ; -- Begin function _ZN7rocprim17ROCPRIM_400000_NS6detail17trampoline_kernelINS0_14default_configENS1_27scan_by_key_config_selectorIidEEZZNS1_16scan_by_key_implILNS1_25lookback_scan_determinismE0ELb1ES3_N6thrust23THRUST_200600_302600_NS6detail15normal_iteratorINS9_10device_ptrIiEEEENSB_INSC_IdEEEESG_dNS9_4plusIvEENS9_8equal_toIvEEdEE10hipError_tPvRmT2_T3_T4_T5_mT6_T7_P12ihipStream_tbENKUlT_T0_E_clISt17integral_constantIbLb1EES11_EEDaSW_SX_EUlSW_E_NS1_11comp_targetILNS1_3genE9ELNS1_11target_archE1100ELNS1_3gpuE3ELNS1_3repE0EEENS1_30default_config_static_selectorELNS0_4arch9wavefront6targetE1EEEvT1_
	.globl	_ZN7rocprim17ROCPRIM_400000_NS6detail17trampoline_kernelINS0_14default_configENS1_27scan_by_key_config_selectorIidEEZZNS1_16scan_by_key_implILNS1_25lookback_scan_determinismE0ELb1ES3_N6thrust23THRUST_200600_302600_NS6detail15normal_iteratorINS9_10device_ptrIiEEEENSB_INSC_IdEEEESG_dNS9_4plusIvEENS9_8equal_toIvEEdEE10hipError_tPvRmT2_T3_T4_T5_mT6_T7_P12ihipStream_tbENKUlT_T0_E_clISt17integral_constantIbLb1EES11_EEDaSW_SX_EUlSW_E_NS1_11comp_targetILNS1_3genE9ELNS1_11target_archE1100ELNS1_3gpuE3ELNS1_3repE0EEENS1_30default_config_static_selectorELNS0_4arch9wavefront6targetE1EEEvT1_
	.p2align	8
	.type	_ZN7rocprim17ROCPRIM_400000_NS6detail17trampoline_kernelINS0_14default_configENS1_27scan_by_key_config_selectorIidEEZZNS1_16scan_by_key_implILNS1_25lookback_scan_determinismE0ELb1ES3_N6thrust23THRUST_200600_302600_NS6detail15normal_iteratorINS9_10device_ptrIiEEEENSB_INSC_IdEEEESG_dNS9_4plusIvEENS9_8equal_toIvEEdEE10hipError_tPvRmT2_T3_T4_T5_mT6_T7_P12ihipStream_tbENKUlT_T0_E_clISt17integral_constantIbLb1EES11_EEDaSW_SX_EUlSW_E_NS1_11comp_targetILNS1_3genE9ELNS1_11target_archE1100ELNS1_3gpuE3ELNS1_3repE0EEENS1_30default_config_static_selectorELNS0_4arch9wavefront6targetE1EEEvT1_,@function
_ZN7rocprim17ROCPRIM_400000_NS6detail17trampoline_kernelINS0_14default_configENS1_27scan_by_key_config_selectorIidEEZZNS1_16scan_by_key_implILNS1_25lookback_scan_determinismE0ELb1ES3_N6thrust23THRUST_200600_302600_NS6detail15normal_iteratorINS9_10device_ptrIiEEEENSB_INSC_IdEEEESG_dNS9_4plusIvEENS9_8equal_toIvEEdEE10hipError_tPvRmT2_T3_T4_T5_mT6_T7_P12ihipStream_tbENKUlT_T0_E_clISt17integral_constantIbLb1EES11_EEDaSW_SX_EUlSW_E_NS1_11comp_targetILNS1_3genE9ELNS1_11target_archE1100ELNS1_3gpuE3ELNS1_3repE0EEENS1_30default_config_static_selectorELNS0_4arch9wavefront6targetE1EEEvT1_: ; @_ZN7rocprim17ROCPRIM_400000_NS6detail17trampoline_kernelINS0_14default_configENS1_27scan_by_key_config_selectorIidEEZZNS1_16scan_by_key_implILNS1_25lookback_scan_determinismE0ELb1ES3_N6thrust23THRUST_200600_302600_NS6detail15normal_iteratorINS9_10device_ptrIiEEEENSB_INSC_IdEEEESG_dNS9_4plusIvEENS9_8equal_toIvEEdEE10hipError_tPvRmT2_T3_T4_T5_mT6_T7_P12ihipStream_tbENKUlT_T0_E_clISt17integral_constantIbLb1EES11_EEDaSW_SX_EUlSW_E_NS1_11comp_targetILNS1_3genE9ELNS1_11target_archE1100ELNS1_3gpuE3ELNS1_3repE0EEENS1_30default_config_static_selectorELNS0_4arch9wavefront6targetE1EEEvT1_
; %bb.0:
	.section	.rodata,"a",@progbits
	.p2align	6, 0x0
	.amdhsa_kernel _ZN7rocprim17ROCPRIM_400000_NS6detail17trampoline_kernelINS0_14default_configENS1_27scan_by_key_config_selectorIidEEZZNS1_16scan_by_key_implILNS1_25lookback_scan_determinismE0ELb1ES3_N6thrust23THRUST_200600_302600_NS6detail15normal_iteratorINS9_10device_ptrIiEEEENSB_INSC_IdEEEESG_dNS9_4plusIvEENS9_8equal_toIvEEdEE10hipError_tPvRmT2_T3_T4_T5_mT6_T7_P12ihipStream_tbENKUlT_T0_E_clISt17integral_constantIbLb1EES11_EEDaSW_SX_EUlSW_E_NS1_11comp_targetILNS1_3genE9ELNS1_11target_archE1100ELNS1_3gpuE3ELNS1_3repE0EEENS1_30default_config_static_selectorELNS0_4arch9wavefront6targetE1EEEvT1_
		.amdhsa_group_segment_fixed_size 0
		.amdhsa_private_segment_fixed_size 0
		.amdhsa_kernarg_size 136
		.amdhsa_user_sgpr_count 6
		.amdhsa_user_sgpr_private_segment_buffer 1
		.amdhsa_user_sgpr_dispatch_ptr 0
		.amdhsa_user_sgpr_queue_ptr 0
		.amdhsa_user_sgpr_kernarg_segment_ptr 1
		.amdhsa_user_sgpr_dispatch_id 0
		.amdhsa_user_sgpr_flat_scratch_init 0
		.amdhsa_user_sgpr_kernarg_preload_length 0
		.amdhsa_user_sgpr_kernarg_preload_offset 0
		.amdhsa_user_sgpr_private_segment_size 0
		.amdhsa_uses_dynamic_stack 0
		.amdhsa_system_sgpr_private_segment_wavefront_offset 0
		.amdhsa_system_sgpr_workgroup_id_x 1
		.amdhsa_system_sgpr_workgroup_id_y 0
		.amdhsa_system_sgpr_workgroup_id_z 0
		.amdhsa_system_sgpr_workgroup_info 0
		.amdhsa_system_vgpr_workitem_id 0
		.amdhsa_next_free_vgpr 1
		.amdhsa_next_free_sgpr 0
		.amdhsa_accum_offset 4
		.amdhsa_reserve_vcc 0
		.amdhsa_reserve_flat_scratch 0
		.amdhsa_float_round_mode_32 0
		.amdhsa_float_round_mode_16_64 0
		.amdhsa_float_denorm_mode_32 3
		.amdhsa_float_denorm_mode_16_64 3
		.amdhsa_dx10_clamp 1
		.amdhsa_ieee_mode 1
		.amdhsa_fp16_overflow 0
		.amdhsa_tg_split 0
		.amdhsa_exception_fp_ieee_invalid_op 0
		.amdhsa_exception_fp_denorm_src 0
		.amdhsa_exception_fp_ieee_div_zero 0
		.amdhsa_exception_fp_ieee_overflow 0
		.amdhsa_exception_fp_ieee_underflow 0
		.amdhsa_exception_fp_ieee_inexact 0
		.amdhsa_exception_int_div_zero 0
	.end_amdhsa_kernel
	.section	.text._ZN7rocprim17ROCPRIM_400000_NS6detail17trampoline_kernelINS0_14default_configENS1_27scan_by_key_config_selectorIidEEZZNS1_16scan_by_key_implILNS1_25lookback_scan_determinismE0ELb1ES3_N6thrust23THRUST_200600_302600_NS6detail15normal_iteratorINS9_10device_ptrIiEEEENSB_INSC_IdEEEESG_dNS9_4plusIvEENS9_8equal_toIvEEdEE10hipError_tPvRmT2_T3_T4_T5_mT6_T7_P12ihipStream_tbENKUlT_T0_E_clISt17integral_constantIbLb1EES11_EEDaSW_SX_EUlSW_E_NS1_11comp_targetILNS1_3genE9ELNS1_11target_archE1100ELNS1_3gpuE3ELNS1_3repE0EEENS1_30default_config_static_selectorELNS0_4arch9wavefront6targetE1EEEvT1_,"axG",@progbits,_ZN7rocprim17ROCPRIM_400000_NS6detail17trampoline_kernelINS0_14default_configENS1_27scan_by_key_config_selectorIidEEZZNS1_16scan_by_key_implILNS1_25lookback_scan_determinismE0ELb1ES3_N6thrust23THRUST_200600_302600_NS6detail15normal_iteratorINS9_10device_ptrIiEEEENSB_INSC_IdEEEESG_dNS9_4plusIvEENS9_8equal_toIvEEdEE10hipError_tPvRmT2_T3_T4_T5_mT6_T7_P12ihipStream_tbENKUlT_T0_E_clISt17integral_constantIbLb1EES11_EEDaSW_SX_EUlSW_E_NS1_11comp_targetILNS1_3genE9ELNS1_11target_archE1100ELNS1_3gpuE3ELNS1_3repE0EEENS1_30default_config_static_selectorELNS0_4arch9wavefront6targetE1EEEvT1_,comdat
.Lfunc_end1407:
	.size	_ZN7rocprim17ROCPRIM_400000_NS6detail17trampoline_kernelINS0_14default_configENS1_27scan_by_key_config_selectorIidEEZZNS1_16scan_by_key_implILNS1_25lookback_scan_determinismE0ELb1ES3_N6thrust23THRUST_200600_302600_NS6detail15normal_iteratorINS9_10device_ptrIiEEEENSB_INSC_IdEEEESG_dNS9_4plusIvEENS9_8equal_toIvEEdEE10hipError_tPvRmT2_T3_T4_T5_mT6_T7_P12ihipStream_tbENKUlT_T0_E_clISt17integral_constantIbLb1EES11_EEDaSW_SX_EUlSW_E_NS1_11comp_targetILNS1_3genE9ELNS1_11target_archE1100ELNS1_3gpuE3ELNS1_3repE0EEENS1_30default_config_static_selectorELNS0_4arch9wavefront6targetE1EEEvT1_, .Lfunc_end1407-_ZN7rocprim17ROCPRIM_400000_NS6detail17trampoline_kernelINS0_14default_configENS1_27scan_by_key_config_selectorIidEEZZNS1_16scan_by_key_implILNS1_25lookback_scan_determinismE0ELb1ES3_N6thrust23THRUST_200600_302600_NS6detail15normal_iteratorINS9_10device_ptrIiEEEENSB_INSC_IdEEEESG_dNS9_4plusIvEENS9_8equal_toIvEEdEE10hipError_tPvRmT2_T3_T4_T5_mT6_T7_P12ihipStream_tbENKUlT_T0_E_clISt17integral_constantIbLb1EES11_EEDaSW_SX_EUlSW_E_NS1_11comp_targetILNS1_3genE9ELNS1_11target_archE1100ELNS1_3gpuE3ELNS1_3repE0EEENS1_30default_config_static_selectorELNS0_4arch9wavefront6targetE1EEEvT1_
                                        ; -- End function
	.section	.AMDGPU.csdata,"",@progbits
; Kernel info:
; codeLenInByte = 0
; NumSgprs: 4
; NumVgprs: 0
; NumAgprs: 0
; TotalNumVgprs: 0
; ScratchSize: 0
; MemoryBound: 0
; FloatMode: 240
; IeeeMode: 1
; LDSByteSize: 0 bytes/workgroup (compile time only)
; SGPRBlocks: 0
; VGPRBlocks: 0
; NumSGPRsForWavesPerEU: 4
; NumVGPRsForWavesPerEU: 1
; AccumOffset: 4
; Occupancy: 8
; WaveLimiterHint : 0
; COMPUTE_PGM_RSRC2:SCRATCH_EN: 0
; COMPUTE_PGM_RSRC2:USER_SGPR: 6
; COMPUTE_PGM_RSRC2:TRAP_HANDLER: 0
; COMPUTE_PGM_RSRC2:TGID_X_EN: 1
; COMPUTE_PGM_RSRC2:TGID_Y_EN: 0
; COMPUTE_PGM_RSRC2:TGID_Z_EN: 0
; COMPUTE_PGM_RSRC2:TIDIG_COMP_CNT: 0
; COMPUTE_PGM_RSRC3_GFX90A:ACCUM_OFFSET: 0
; COMPUTE_PGM_RSRC3_GFX90A:TG_SPLIT: 0
	.section	.text._ZN7rocprim17ROCPRIM_400000_NS6detail17trampoline_kernelINS0_14default_configENS1_27scan_by_key_config_selectorIidEEZZNS1_16scan_by_key_implILNS1_25lookback_scan_determinismE0ELb1ES3_N6thrust23THRUST_200600_302600_NS6detail15normal_iteratorINS9_10device_ptrIiEEEENSB_INSC_IdEEEESG_dNS9_4plusIvEENS9_8equal_toIvEEdEE10hipError_tPvRmT2_T3_T4_T5_mT6_T7_P12ihipStream_tbENKUlT_T0_E_clISt17integral_constantIbLb1EES11_EEDaSW_SX_EUlSW_E_NS1_11comp_targetILNS1_3genE8ELNS1_11target_archE1030ELNS1_3gpuE2ELNS1_3repE0EEENS1_30default_config_static_selectorELNS0_4arch9wavefront6targetE1EEEvT1_,"axG",@progbits,_ZN7rocprim17ROCPRIM_400000_NS6detail17trampoline_kernelINS0_14default_configENS1_27scan_by_key_config_selectorIidEEZZNS1_16scan_by_key_implILNS1_25lookback_scan_determinismE0ELb1ES3_N6thrust23THRUST_200600_302600_NS6detail15normal_iteratorINS9_10device_ptrIiEEEENSB_INSC_IdEEEESG_dNS9_4plusIvEENS9_8equal_toIvEEdEE10hipError_tPvRmT2_T3_T4_T5_mT6_T7_P12ihipStream_tbENKUlT_T0_E_clISt17integral_constantIbLb1EES11_EEDaSW_SX_EUlSW_E_NS1_11comp_targetILNS1_3genE8ELNS1_11target_archE1030ELNS1_3gpuE2ELNS1_3repE0EEENS1_30default_config_static_selectorELNS0_4arch9wavefront6targetE1EEEvT1_,comdat
	.protected	_ZN7rocprim17ROCPRIM_400000_NS6detail17trampoline_kernelINS0_14default_configENS1_27scan_by_key_config_selectorIidEEZZNS1_16scan_by_key_implILNS1_25lookback_scan_determinismE0ELb1ES3_N6thrust23THRUST_200600_302600_NS6detail15normal_iteratorINS9_10device_ptrIiEEEENSB_INSC_IdEEEESG_dNS9_4plusIvEENS9_8equal_toIvEEdEE10hipError_tPvRmT2_T3_T4_T5_mT6_T7_P12ihipStream_tbENKUlT_T0_E_clISt17integral_constantIbLb1EES11_EEDaSW_SX_EUlSW_E_NS1_11comp_targetILNS1_3genE8ELNS1_11target_archE1030ELNS1_3gpuE2ELNS1_3repE0EEENS1_30default_config_static_selectorELNS0_4arch9wavefront6targetE1EEEvT1_ ; -- Begin function _ZN7rocprim17ROCPRIM_400000_NS6detail17trampoline_kernelINS0_14default_configENS1_27scan_by_key_config_selectorIidEEZZNS1_16scan_by_key_implILNS1_25lookback_scan_determinismE0ELb1ES3_N6thrust23THRUST_200600_302600_NS6detail15normal_iteratorINS9_10device_ptrIiEEEENSB_INSC_IdEEEESG_dNS9_4plusIvEENS9_8equal_toIvEEdEE10hipError_tPvRmT2_T3_T4_T5_mT6_T7_P12ihipStream_tbENKUlT_T0_E_clISt17integral_constantIbLb1EES11_EEDaSW_SX_EUlSW_E_NS1_11comp_targetILNS1_3genE8ELNS1_11target_archE1030ELNS1_3gpuE2ELNS1_3repE0EEENS1_30default_config_static_selectorELNS0_4arch9wavefront6targetE1EEEvT1_
	.globl	_ZN7rocprim17ROCPRIM_400000_NS6detail17trampoline_kernelINS0_14default_configENS1_27scan_by_key_config_selectorIidEEZZNS1_16scan_by_key_implILNS1_25lookback_scan_determinismE0ELb1ES3_N6thrust23THRUST_200600_302600_NS6detail15normal_iteratorINS9_10device_ptrIiEEEENSB_INSC_IdEEEESG_dNS9_4plusIvEENS9_8equal_toIvEEdEE10hipError_tPvRmT2_T3_T4_T5_mT6_T7_P12ihipStream_tbENKUlT_T0_E_clISt17integral_constantIbLb1EES11_EEDaSW_SX_EUlSW_E_NS1_11comp_targetILNS1_3genE8ELNS1_11target_archE1030ELNS1_3gpuE2ELNS1_3repE0EEENS1_30default_config_static_selectorELNS0_4arch9wavefront6targetE1EEEvT1_
	.p2align	8
	.type	_ZN7rocprim17ROCPRIM_400000_NS6detail17trampoline_kernelINS0_14default_configENS1_27scan_by_key_config_selectorIidEEZZNS1_16scan_by_key_implILNS1_25lookback_scan_determinismE0ELb1ES3_N6thrust23THRUST_200600_302600_NS6detail15normal_iteratorINS9_10device_ptrIiEEEENSB_INSC_IdEEEESG_dNS9_4plusIvEENS9_8equal_toIvEEdEE10hipError_tPvRmT2_T3_T4_T5_mT6_T7_P12ihipStream_tbENKUlT_T0_E_clISt17integral_constantIbLb1EES11_EEDaSW_SX_EUlSW_E_NS1_11comp_targetILNS1_3genE8ELNS1_11target_archE1030ELNS1_3gpuE2ELNS1_3repE0EEENS1_30default_config_static_selectorELNS0_4arch9wavefront6targetE1EEEvT1_,@function
_ZN7rocprim17ROCPRIM_400000_NS6detail17trampoline_kernelINS0_14default_configENS1_27scan_by_key_config_selectorIidEEZZNS1_16scan_by_key_implILNS1_25lookback_scan_determinismE0ELb1ES3_N6thrust23THRUST_200600_302600_NS6detail15normal_iteratorINS9_10device_ptrIiEEEENSB_INSC_IdEEEESG_dNS9_4plusIvEENS9_8equal_toIvEEdEE10hipError_tPvRmT2_T3_T4_T5_mT6_T7_P12ihipStream_tbENKUlT_T0_E_clISt17integral_constantIbLb1EES11_EEDaSW_SX_EUlSW_E_NS1_11comp_targetILNS1_3genE8ELNS1_11target_archE1030ELNS1_3gpuE2ELNS1_3repE0EEENS1_30default_config_static_selectorELNS0_4arch9wavefront6targetE1EEEvT1_: ; @_ZN7rocprim17ROCPRIM_400000_NS6detail17trampoline_kernelINS0_14default_configENS1_27scan_by_key_config_selectorIidEEZZNS1_16scan_by_key_implILNS1_25lookback_scan_determinismE0ELb1ES3_N6thrust23THRUST_200600_302600_NS6detail15normal_iteratorINS9_10device_ptrIiEEEENSB_INSC_IdEEEESG_dNS9_4plusIvEENS9_8equal_toIvEEdEE10hipError_tPvRmT2_T3_T4_T5_mT6_T7_P12ihipStream_tbENKUlT_T0_E_clISt17integral_constantIbLb1EES11_EEDaSW_SX_EUlSW_E_NS1_11comp_targetILNS1_3genE8ELNS1_11target_archE1030ELNS1_3gpuE2ELNS1_3repE0EEENS1_30default_config_static_selectorELNS0_4arch9wavefront6targetE1EEEvT1_
; %bb.0:
	.section	.rodata,"a",@progbits
	.p2align	6, 0x0
	.amdhsa_kernel _ZN7rocprim17ROCPRIM_400000_NS6detail17trampoline_kernelINS0_14default_configENS1_27scan_by_key_config_selectorIidEEZZNS1_16scan_by_key_implILNS1_25lookback_scan_determinismE0ELb1ES3_N6thrust23THRUST_200600_302600_NS6detail15normal_iteratorINS9_10device_ptrIiEEEENSB_INSC_IdEEEESG_dNS9_4plusIvEENS9_8equal_toIvEEdEE10hipError_tPvRmT2_T3_T4_T5_mT6_T7_P12ihipStream_tbENKUlT_T0_E_clISt17integral_constantIbLb1EES11_EEDaSW_SX_EUlSW_E_NS1_11comp_targetILNS1_3genE8ELNS1_11target_archE1030ELNS1_3gpuE2ELNS1_3repE0EEENS1_30default_config_static_selectorELNS0_4arch9wavefront6targetE1EEEvT1_
		.amdhsa_group_segment_fixed_size 0
		.amdhsa_private_segment_fixed_size 0
		.amdhsa_kernarg_size 136
		.amdhsa_user_sgpr_count 6
		.amdhsa_user_sgpr_private_segment_buffer 1
		.amdhsa_user_sgpr_dispatch_ptr 0
		.amdhsa_user_sgpr_queue_ptr 0
		.amdhsa_user_sgpr_kernarg_segment_ptr 1
		.amdhsa_user_sgpr_dispatch_id 0
		.amdhsa_user_sgpr_flat_scratch_init 0
		.amdhsa_user_sgpr_kernarg_preload_length 0
		.amdhsa_user_sgpr_kernarg_preload_offset 0
		.amdhsa_user_sgpr_private_segment_size 0
		.amdhsa_uses_dynamic_stack 0
		.amdhsa_system_sgpr_private_segment_wavefront_offset 0
		.amdhsa_system_sgpr_workgroup_id_x 1
		.amdhsa_system_sgpr_workgroup_id_y 0
		.amdhsa_system_sgpr_workgroup_id_z 0
		.amdhsa_system_sgpr_workgroup_info 0
		.amdhsa_system_vgpr_workitem_id 0
		.amdhsa_next_free_vgpr 1
		.amdhsa_next_free_sgpr 0
		.amdhsa_accum_offset 4
		.amdhsa_reserve_vcc 0
		.amdhsa_reserve_flat_scratch 0
		.amdhsa_float_round_mode_32 0
		.amdhsa_float_round_mode_16_64 0
		.amdhsa_float_denorm_mode_32 3
		.amdhsa_float_denorm_mode_16_64 3
		.amdhsa_dx10_clamp 1
		.amdhsa_ieee_mode 1
		.amdhsa_fp16_overflow 0
		.amdhsa_tg_split 0
		.amdhsa_exception_fp_ieee_invalid_op 0
		.amdhsa_exception_fp_denorm_src 0
		.amdhsa_exception_fp_ieee_div_zero 0
		.amdhsa_exception_fp_ieee_overflow 0
		.amdhsa_exception_fp_ieee_underflow 0
		.amdhsa_exception_fp_ieee_inexact 0
		.amdhsa_exception_int_div_zero 0
	.end_amdhsa_kernel
	.section	.text._ZN7rocprim17ROCPRIM_400000_NS6detail17trampoline_kernelINS0_14default_configENS1_27scan_by_key_config_selectorIidEEZZNS1_16scan_by_key_implILNS1_25lookback_scan_determinismE0ELb1ES3_N6thrust23THRUST_200600_302600_NS6detail15normal_iteratorINS9_10device_ptrIiEEEENSB_INSC_IdEEEESG_dNS9_4plusIvEENS9_8equal_toIvEEdEE10hipError_tPvRmT2_T3_T4_T5_mT6_T7_P12ihipStream_tbENKUlT_T0_E_clISt17integral_constantIbLb1EES11_EEDaSW_SX_EUlSW_E_NS1_11comp_targetILNS1_3genE8ELNS1_11target_archE1030ELNS1_3gpuE2ELNS1_3repE0EEENS1_30default_config_static_selectorELNS0_4arch9wavefront6targetE1EEEvT1_,"axG",@progbits,_ZN7rocprim17ROCPRIM_400000_NS6detail17trampoline_kernelINS0_14default_configENS1_27scan_by_key_config_selectorIidEEZZNS1_16scan_by_key_implILNS1_25lookback_scan_determinismE0ELb1ES3_N6thrust23THRUST_200600_302600_NS6detail15normal_iteratorINS9_10device_ptrIiEEEENSB_INSC_IdEEEESG_dNS9_4plusIvEENS9_8equal_toIvEEdEE10hipError_tPvRmT2_T3_T4_T5_mT6_T7_P12ihipStream_tbENKUlT_T0_E_clISt17integral_constantIbLb1EES11_EEDaSW_SX_EUlSW_E_NS1_11comp_targetILNS1_3genE8ELNS1_11target_archE1030ELNS1_3gpuE2ELNS1_3repE0EEENS1_30default_config_static_selectorELNS0_4arch9wavefront6targetE1EEEvT1_,comdat
.Lfunc_end1408:
	.size	_ZN7rocprim17ROCPRIM_400000_NS6detail17trampoline_kernelINS0_14default_configENS1_27scan_by_key_config_selectorIidEEZZNS1_16scan_by_key_implILNS1_25lookback_scan_determinismE0ELb1ES3_N6thrust23THRUST_200600_302600_NS6detail15normal_iteratorINS9_10device_ptrIiEEEENSB_INSC_IdEEEESG_dNS9_4plusIvEENS9_8equal_toIvEEdEE10hipError_tPvRmT2_T3_T4_T5_mT6_T7_P12ihipStream_tbENKUlT_T0_E_clISt17integral_constantIbLb1EES11_EEDaSW_SX_EUlSW_E_NS1_11comp_targetILNS1_3genE8ELNS1_11target_archE1030ELNS1_3gpuE2ELNS1_3repE0EEENS1_30default_config_static_selectorELNS0_4arch9wavefront6targetE1EEEvT1_, .Lfunc_end1408-_ZN7rocprim17ROCPRIM_400000_NS6detail17trampoline_kernelINS0_14default_configENS1_27scan_by_key_config_selectorIidEEZZNS1_16scan_by_key_implILNS1_25lookback_scan_determinismE0ELb1ES3_N6thrust23THRUST_200600_302600_NS6detail15normal_iteratorINS9_10device_ptrIiEEEENSB_INSC_IdEEEESG_dNS9_4plusIvEENS9_8equal_toIvEEdEE10hipError_tPvRmT2_T3_T4_T5_mT6_T7_P12ihipStream_tbENKUlT_T0_E_clISt17integral_constantIbLb1EES11_EEDaSW_SX_EUlSW_E_NS1_11comp_targetILNS1_3genE8ELNS1_11target_archE1030ELNS1_3gpuE2ELNS1_3repE0EEENS1_30default_config_static_selectorELNS0_4arch9wavefront6targetE1EEEvT1_
                                        ; -- End function
	.section	.AMDGPU.csdata,"",@progbits
; Kernel info:
; codeLenInByte = 0
; NumSgprs: 4
; NumVgprs: 0
; NumAgprs: 0
; TotalNumVgprs: 0
; ScratchSize: 0
; MemoryBound: 0
; FloatMode: 240
; IeeeMode: 1
; LDSByteSize: 0 bytes/workgroup (compile time only)
; SGPRBlocks: 0
; VGPRBlocks: 0
; NumSGPRsForWavesPerEU: 4
; NumVGPRsForWavesPerEU: 1
; AccumOffset: 4
; Occupancy: 8
; WaveLimiterHint : 0
; COMPUTE_PGM_RSRC2:SCRATCH_EN: 0
; COMPUTE_PGM_RSRC2:USER_SGPR: 6
; COMPUTE_PGM_RSRC2:TRAP_HANDLER: 0
; COMPUTE_PGM_RSRC2:TGID_X_EN: 1
; COMPUTE_PGM_RSRC2:TGID_Y_EN: 0
; COMPUTE_PGM_RSRC2:TGID_Z_EN: 0
; COMPUTE_PGM_RSRC2:TIDIG_COMP_CNT: 0
; COMPUTE_PGM_RSRC3_GFX90A:ACCUM_OFFSET: 0
; COMPUTE_PGM_RSRC3_GFX90A:TG_SPLIT: 0
	.section	.text._ZN7rocprim17ROCPRIM_400000_NS6detail17trampoline_kernelINS0_14default_configENS1_27scan_by_key_config_selectorIidEEZZNS1_16scan_by_key_implILNS1_25lookback_scan_determinismE0ELb1ES3_N6thrust23THRUST_200600_302600_NS6detail15normal_iteratorINS9_10device_ptrIiEEEENSB_INSC_IdEEEESG_dNS9_4plusIvEENS9_8equal_toIvEEdEE10hipError_tPvRmT2_T3_T4_T5_mT6_T7_P12ihipStream_tbENKUlT_T0_E_clISt17integral_constantIbLb1EES10_IbLb0EEEEDaSW_SX_EUlSW_E_NS1_11comp_targetILNS1_3genE0ELNS1_11target_archE4294967295ELNS1_3gpuE0ELNS1_3repE0EEENS1_30default_config_static_selectorELNS0_4arch9wavefront6targetE1EEEvT1_,"axG",@progbits,_ZN7rocprim17ROCPRIM_400000_NS6detail17trampoline_kernelINS0_14default_configENS1_27scan_by_key_config_selectorIidEEZZNS1_16scan_by_key_implILNS1_25lookback_scan_determinismE0ELb1ES3_N6thrust23THRUST_200600_302600_NS6detail15normal_iteratorINS9_10device_ptrIiEEEENSB_INSC_IdEEEESG_dNS9_4plusIvEENS9_8equal_toIvEEdEE10hipError_tPvRmT2_T3_T4_T5_mT6_T7_P12ihipStream_tbENKUlT_T0_E_clISt17integral_constantIbLb1EES10_IbLb0EEEEDaSW_SX_EUlSW_E_NS1_11comp_targetILNS1_3genE0ELNS1_11target_archE4294967295ELNS1_3gpuE0ELNS1_3repE0EEENS1_30default_config_static_selectorELNS0_4arch9wavefront6targetE1EEEvT1_,comdat
	.protected	_ZN7rocprim17ROCPRIM_400000_NS6detail17trampoline_kernelINS0_14default_configENS1_27scan_by_key_config_selectorIidEEZZNS1_16scan_by_key_implILNS1_25lookback_scan_determinismE0ELb1ES3_N6thrust23THRUST_200600_302600_NS6detail15normal_iteratorINS9_10device_ptrIiEEEENSB_INSC_IdEEEESG_dNS9_4plusIvEENS9_8equal_toIvEEdEE10hipError_tPvRmT2_T3_T4_T5_mT6_T7_P12ihipStream_tbENKUlT_T0_E_clISt17integral_constantIbLb1EES10_IbLb0EEEEDaSW_SX_EUlSW_E_NS1_11comp_targetILNS1_3genE0ELNS1_11target_archE4294967295ELNS1_3gpuE0ELNS1_3repE0EEENS1_30default_config_static_selectorELNS0_4arch9wavefront6targetE1EEEvT1_ ; -- Begin function _ZN7rocprim17ROCPRIM_400000_NS6detail17trampoline_kernelINS0_14default_configENS1_27scan_by_key_config_selectorIidEEZZNS1_16scan_by_key_implILNS1_25lookback_scan_determinismE0ELb1ES3_N6thrust23THRUST_200600_302600_NS6detail15normal_iteratorINS9_10device_ptrIiEEEENSB_INSC_IdEEEESG_dNS9_4plusIvEENS9_8equal_toIvEEdEE10hipError_tPvRmT2_T3_T4_T5_mT6_T7_P12ihipStream_tbENKUlT_T0_E_clISt17integral_constantIbLb1EES10_IbLb0EEEEDaSW_SX_EUlSW_E_NS1_11comp_targetILNS1_3genE0ELNS1_11target_archE4294967295ELNS1_3gpuE0ELNS1_3repE0EEENS1_30default_config_static_selectorELNS0_4arch9wavefront6targetE1EEEvT1_
	.globl	_ZN7rocprim17ROCPRIM_400000_NS6detail17trampoline_kernelINS0_14default_configENS1_27scan_by_key_config_selectorIidEEZZNS1_16scan_by_key_implILNS1_25lookback_scan_determinismE0ELb1ES3_N6thrust23THRUST_200600_302600_NS6detail15normal_iteratorINS9_10device_ptrIiEEEENSB_INSC_IdEEEESG_dNS9_4plusIvEENS9_8equal_toIvEEdEE10hipError_tPvRmT2_T3_T4_T5_mT6_T7_P12ihipStream_tbENKUlT_T0_E_clISt17integral_constantIbLb1EES10_IbLb0EEEEDaSW_SX_EUlSW_E_NS1_11comp_targetILNS1_3genE0ELNS1_11target_archE4294967295ELNS1_3gpuE0ELNS1_3repE0EEENS1_30default_config_static_selectorELNS0_4arch9wavefront6targetE1EEEvT1_
	.p2align	8
	.type	_ZN7rocprim17ROCPRIM_400000_NS6detail17trampoline_kernelINS0_14default_configENS1_27scan_by_key_config_selectorIidEEZZNS1_16scan_by_key_implILNS1_25lookback_scan_determinismE0ELb1ES3_N6thrust23THRUST_200600_302600_NS6detail15normal_iteratorINS9_10device_ptrIiEEEENSB_INSC_IdEEEESG_dNS9_4plusIvEENS9_8equal_toIvEEdEE10hipError_tPvRmT2_T3_T4_T5_mT6_T7_P12ihipStream_tbENKUlT_T0_E_clISt17integral_constantIbLb1EES10_IbLb0EEEEDaSW_SX_EUlSW_E_NS1_11comp_targetILNS1_3genE0ELNS1_11target_archE4294967295ELNS1_3gpuE0ELNS1_3repE0EEENS1_30default_config_static_selectorELNS0_4arch9wavefront6targetE1EEEvT1_,@function
_ZN7rocprim17ROCPRIM_400000_NS6detail17trampoline_kernelINS0_14default_configENS1_27scan_by_key_config_selectorIidEEZZNS1_16scan_by_key_implILNS1_25lookback_scan_determinismE0ELb1ES3_N6thrust23THRUST_200600_302600_NS6detail15normal_iteratorINS9_10device_ptrIiEEEENSB_INSC_IdEEEESG_dNS9_4plusIvEENS9_8equal_toIvEEdEE10hipError_tPvRmT2_T3_T4_T5_mT6_T7_P12ihipStream_tbENKUlT_T0_E_clISt17integral_constantIbLb1EES10_IbLb0EEEEDaSW_SX_EUlSW_E_NS1_11comp_targetILNS1_3genE0ELNS1_11target_archE4294967295ELNS1_3gpuE0ELNS1_3repE0EEENS1_30default_config_static_selectorELNS0_4arch9wavefront6targetE1EEEvT1_: ; @_ZN7rocprim17ROCPRIM_400000_NS6detail17trampoline_kernelINS0_14default_configENS1_27scan_by_key_config_selectorIidEEZZNS1_16scan_by_key_implILNS1_25lookback_scan_determinismE0ELb1ES3_N6thrust23THRUST_200600_302600_NS6detail15normal_iteratorINS9_10device_ptrIiEEEENSB_INSC_IdEEEESG_dNS9_4plusIvEENS9_8equal_toIvEEdEE10hipError_tPvRmT2_T3_T4_T5_mT6_T7_P12ihipStream_tbENKUlT_T0_E_clISt17integral_constantIbLb1EES10_IbLb0EEEEDaSW_SX_EUlSW_E_NS1_11comp_targetILNS1_3genE0ELNS1_11target_archE4294967295ELNS1_3gpuE0ELNS1_3repE0EEENS1_30default_config_static_selectorELNS0_4arch9wavefront6targetE1EEEvT1_
; %bb.0:
	.section	.rodata,"a",@progbits
	.p2align	6, 0x0
	.amdhsa_kernel _ZN7rocprim17ROCPRIM_400000_NS6detail17trampoline_kernelINS0_14default_configENS1_27scan_by_key_config_selectorIidEEZZNS1_16scan_by_key_implILNS1_25lookback_scan_determinismE0ELb1ES3_N6thrust23THRUST_200600_302600_NS6detail15normal_iteratorINS9_10device_ptrIiEEEENSB_INSC_IdEEEESG_dNS9_4plusIvEENS9_8equal_toIvEEdEE10hipError_tPvRmT2_T3_T4_T5_mT6_T7_P12ihipStream_tbENKUlT_T0_E_clISt17integral_constantIbLb1EES10_IbLb0EEEEDaSW_SX_EUlSW_E_NS1_11comp_targetILNS1_3genE0ELNS1_11target_archE4294967295ELNS1_3gpuE0ELNS1_3repE0EEENS1_30default_config_static_selectorELNS0_4arch9wavefront6targetE1EEEvT1_
		.amdhsa_group_segment_fixed_size 0
		.amdhsa_private_segment_fixed_size 0
		.amdhsa_kernarg_size 136
		.amdhsa_user_sgpr_count 6
		.amdhsa_user_sgpr_private_segment_buffer 1
		.amdhsa_user_sgpr_dispatch_ptr 0
		.amdhsa_user_sgpr_queue_ptr 0
		.amdhsa_user_sgpr_kernarg_segment_ptr 1
		.amdhsa_user_sgpr_dispatch_id 0
		.amdhsa_user_sgpr_flat_scratch_init 0
		.amdhsa_user_sgpr_kernarg_preload_length 0
		.amdhsa_user_sgpr_kernarg_preload_offset 0
		.amdhsa_user_sgpr_private_segment_size 0
		.amdhsa_uses_dynamic_stack 0
		.amdhsa_system_sgpr_private_segment_wavefront_offset 0
		.amdhsa_system_sgpr_workgroup_id_x 1
		.amdhsa_system_sgpr_workgroup_id_y 0
		.amdhsa_system_sgpr_workgroup_id_z 0
		.amdhsa_system_sgpr_workgroup_info 0
		.amdhsa_system_vgpr_workitem_id 0
		.amdhsa_next_free_vgpr 1
		.amdhsa_next_free_sgpr 0
		.amdhsa_accum_offset 4
		.amdhsa_reserve_vcc 0
		.amdhsa_reserve_flat_scratch 0
		.amdhsa_float_round_mode_32 0
		.amdhsa_float_round_mode_16_64 0
		.amdhsa_float_denorm_mode_32 3
		.amdhsa_float_denorm_mode_16_64 3
		.amdhsa_dx10_clamp 1
		.amdhsa_ieee_mode 1
		.amdhsa_fp16_overflow 0
		.amdhsa_tg_split 0
		.amdhsa_exception_fp_ieee_invalid_op 0
		.amdhsa_exception_fp_denorm_src 0
		.amdhsa_exception_fp_ieee_div_zero 0
		.amdhsa_exception_fp_ieee_overflow 0
		.amdhsa_exception_fp_ieee_underflow 0
		.amdhsa_exception_fp_ieee_inexact 0
		.amdhsa_exception_int_div_zero 0
	.end_amdhsa_kernel
	.section	.text._ZN7rocprim17ROCPRIM_400000_NS6detail17trampoline_kernelINS0_14default_configENS1_27scan_by_key_config_selectorIidEEZZNS1_16scan_by_key_implILNS1_25lookback_scan_determinismE0ELb1ES3_N6thrust23THRUST_200600_302600_NS6detail15normal_iteratorINS9_10device_ptrIiEEEENSB_INSC_IdEEEESG_dNS9_4plusIvEENS9_8equal_toIvEEdEE10hipError_tPvRmT2_T3_T4_T5_mT6_T7_P12ihipStream_tbENKUlT_T0_E_clISt17integral_constantIbLb1EES10_IbLb0EEEEDaSW_SX_EUlSW_E_NS1_11comp_targetILNS1_3genE0ELNS1_11target_archE4294967295ELNS1_3gpuE0ELNS1_3repE0EEENS1_30default_config_static_selectorELNS0_4arch9wavefront6targetE1EEEvT1_,"axG",@progbits,_ZN7rocprim17ROCPRIM_400000_NS6detail17trampoline_kernelINS0_14default_configENS1_27scan_by_key_config_selectorIidEEZZNS1_16scan_by_key_implILNS1_25lookback_scan_determinismE0ELb1ES3_N6thrust23THRUST_200600_302600_NS6detail15normal_iteratorINS9_10device_ptrIiEEEENSB_INSC_IdEEEESG_dNS9_4plusIvEENS9_8equal_toIvEEdEE10hipError_tPvRmT2_T3_T4_T5_mT6_T7_P12ihipStream_tbENKUlT_T0_E_clISt17integral_constantIbLb1EES10_IbLb0EEEEDaSW_SX_EUlSW_E_NS1_11comp_targetILNS1_3genE0ELNS1_11target_archE4294967295ELNS1_3gpuE0ELNS1_3repE0EEENS1_30default_config_static_selectorELNS0_4arch9wavefront6targetE1EEEvT1_,comdat
.Lfunc_end1409:
	.size	_ZN7rocprim17ROCPRIM_400000_NS6detail17trampoline_kernelINS0_14default_configENS1_27scan_by_key_config_selectorIidEEZZNS1_16scan_by_key_implILNS1_25lookback_scan_determinismE0ELb1ES3_N6thrust23THRUST_200600_302600_NS6detail15normal_iteratorINS9_10device_ptrIiEEEENSB_INSC_IdEEEESG_dNS9_4plusIvEENS9_8equal_toIvEEdEE10hipError_tPvRmT2_T3_T4_T5_mT6_T7_P12ihipStream_tbENKUlT_T0_E_clISt17integral_constantIbLb1EES10_IbLb0EEEEDaSW_SX_EUlSW_E_NS1_11comp_targetILNS1_3genE0ELNS1_11target_archE4294967295ELNS1_3gpuE0ELNS1_3repE0EEENS1_30default_config_static_selectorELNS0_4arch9wavefront6targetE1EEEvT1_, .Lfunc_end1409-_ZN7rocprim17ROCPRIM_400000_NS6detail17trampoline_kernelINS0_14default_configENS1_27scan_by_key_config_selectorIidEEZZNS1_16scan_by_key_implILNS1_25lookback_scan_determinismE0ELb1ES3_N6thrust23THRUST_200600_302600_NS6detail15normal_iteratorINS9_10device_ptrIiEEEENSB_INSC_IdEEEESG_dNS9_4plusIvEENS9_8equal_toIvEEdEE10hipError_tPvRmT2_T3_T4_T5_mT6_T7_P12ihipStream_tbENKUlT_T0_E_clISt17integral_constantIbLb1EES10_IbLb0EEEEDaSW_SX_EUlSW_E_NS1_11comp_targetILNS1_3genE0ELNS1_11target_archE4294967295ELNS1_3gpuE0ELNS1_3repE0EEENS1_30default_config_static_selectorELNS0_4arch9wavefront6targetE1EEEvT1_
                                        ; -- End function
	.section	.AMDGPU.csdata,"",@progbits
; Kernel info:
; codeLenInByte = 0
; NumSgprs: 4
; NumVgprs: 0
; NumAgprs: 0
; TotalNumVgprs: 0
; ScratchSize: 0
; MemoryBound: 0
; FloatMode: 240
; IeeeMode: 1
; LDSByteSize: 0 bytes/workgroup (compile time only)
; SGPRBlocks: 0
; VGPRBlocks: 0
; NumSGPRsForWavesPerEU: 4
; NumVGPRsForWavesPerEU: 1
; AccumOffset: 4
; Occupancy: 8
; WaveLimiterHint : 0
; COMPUTE_PGM_RSRC2:SCRATCH_EN: 0
; COMPUTE_PGM_RSRC2:USER_SGPR: 6
; COMPUTE_PGM_RSRC2:TRAP_HANDLER: 0
; COMPUTE_PGM_RSRC2:TGID_X_EN: 1
; COMPUTE_PGM_RSRC2:TGID_Y_EN: 0
; COMPUTE_PGM_RSRC2:TGID_Z_EN: 0
; COMPUTE_PGM_RSRC2:TIDIG_COMP_CNT: 0
; COMPUTE_PGM_RSRC3_GFX90A:ACCUM_OFFSET: 0
; COMPUTE_PGM_RSRC3_GFX90A:TG_SPLIT: 0
	.section	.text._ZN7rocprim17ROCPRIM_400000_NS6detail17trampoline_kernelINS0_14default_configENS1_27scan_by_key_config_selectorIidEEZZNS1_16scan_by_key_implILNS1_25lookback_scan_determinismE0ELb1ES3_N6thrust23THRUST_200600_302600_NS6detail15normal_iteratorINS9_10device_ptrIiEEEENSB_INSC_IdEEEESG_dNS9_4plusIvEENS9_8equal_toIvEEdEE10hipError_tPvRmT2_T3_T4_T5_mT6_T7_P12ihipStream_tbENKUlT_T0_E_clISt17integral_constantIbLb1EES10_IbLb0EEEEDaSW_SX_EUlSW_E_NS1_11comp_targetILNS1_3genE10ELNS1_11target_archE1201ELNS1_3gpuE5ELNS1_3repE0EEENS1_30default_config_static_selectorELNS0_4arch9wavefront6targetE1EEEvT1_,"axG",@progbits,_ZN7rocprim17ROCPRIM_400000_NS6detail17trampoline_kernelINS0_14default_configENS1_27scan_by_key_config_selectorIidEEZZNS1_16scan_by_key_implILNS1_25lookback_scan_determinismE0ELb1ES3_N6thrust23THRUST_200600_302600_NS6detail15normal_iteratorINS9_10device_ptrIiEEEENSB_INSC_IdEEEESG_dNS9_4plusIvEENS9_8equal_toIvEEdEE10hipError_tPvRmT2_T3_T4_T5_mT6_T7_P12ihipStream_tbENKUlT_T0_E_clISt17integral_constantIbLb1EES10_IbLb0EEEEDaSW_SX_EUlSW_E_NS1_11comp_targetILNS1_3genE10ELNS1_11target_archE1201ELNS1_3gpuE5ELNS1_3repE0EEENS1_30default_config_static_selectorELNS0_4arch9wavefront6targetE1EEEvT1_,comdat
	.protected	_ZN7rocprim17ROCPRIM_400000_NS6detail17trampoline_kernelINS0_14default_configENS1_27scan_by_key_config_selectorIidEEZZNS1_16scan_by_key_implILNS1_25lookback_scan_determinismE0ELb1ES3_N6thrust23THRUST_200600_302600_NS6detail15normal_iteratorINS9_10device_ptrIiEEEENSB_INSC_IdEEEESG_dNS9_4plusIvEENS9_8equal_toIvEEdEE10hipError_tPvRmT2_T3_T4_T5_mT6_T7_P12ihipStream_tbENKUlT_T0_E_clISt17integral_constantIbLb1EES10_IbLb0EEEEDaSW_SX_EUlSW_E_NS1_11comp_targetILNS1_3genE10ELNS1_11target_archE1201ELNS1_3gpuE5ELNS1_3repE0EEENS1_30default_config_static_selectorELNS0_4arch9wavefront6targetE1EEEvT1_ ; -- Begin function _ZN7rocprim17ROCPRIM_400000_NS6detail17trampoline_kernelINS0_14default_configENS1_27scan_by_key_config_selectorIidEEZZNS1_16scan_by_key_implILNS1_25lookback_scan_determinismE0ELb1ES3_N6thrust23THRUST_200600_302600_NS6detail15normal_iteratorINS9_10device_ptrIiEEEENSB_INSC_IdEEEESG_dNS9_4plusIvEENS9_8equal_toIvEEdEE10hipError_tPvRmT2_T3_T4_T5_mT6_T7_P12ihipStream_tbENKUlT_T0_E_clISt17integral_constantIbLb1EES10_IbLb0EEEEDaSW_SX_EUlSW_E_NS1_11comp_targetILNS1_3genE10ELNS1_11target_archE1201ELNS1_3gpuE5ELNS1_3repE0EEENS1_30default_config_static_selectorELNS0_4arch9wavefront6targetE1EEEvT1_
	.globl	_ZN7rocprim17ROCPRIM_400000_NS6detail17trampoline_kernelINS0_14default_configENS1_27scan_by_key_config_selectorIidEEZZNS1_16scan_by_key_implILNS1_25lookback_scan_determinismE0ELb1ES3_N6thrust23THRUST_200600_302600_NS6detail15normal_iteratorINS9_10device_ptrIiEEEENSB_INSC_IdEEEESG_dNS9_4plusIvEENS9_8equal_toIvEEdEE10hipError_tPvRmT2_T3_T4_T5_mT6_T7_P12ihipStream_tbENKUlT_T0_E_clISt17integral_constantIbLb1EES10_IbLb0EEEEDaSW_SX_EUlSW_E_NS1_11comp_targetILNS1_3genE10ELNS1_11target_archE1201ELNS1_3gpuE5ELNS1_3repE0EEENS1_30default_config_static_selectorELNS0_4arch9wavefront6targetE1EEEvT1_
	.p2align	8
	.type	_ZN7rocprim17ROCPRIM_400000_NS6detail17trampoline_kernelINS0_14default_configENS1_27scan_by_key_config_selectorIidEEZZNS1_16scan_by_key_implILNS1_25lookback_scan_determinismE0ELb1ES3_N6thrust23THRUST_200600_302600_NS6detail15normal_iteratorINS9_10device_ptrIiEEEENSB_INSC_IdEEEESG_dNS9_4plusIvEENS9_8equal_toIvEEdEE10hipError_tPvRmT2_T3_T4_T5_mT6_T7_P12ihipStream_tbENKUlT_T0_E_clISt17integral_constantIbLb1EES10_IbLb0EEEEDaSW_SX_EUlSW_E_NS1_11comp_targetILNS1_3genE10ELNS1_11target_archE1201ELNS1_3gpuE5ELNS1_3repE0EEENS1_30default_config_static_selectorELNS0_4arch9wavefront6targetE1EEEvT1_,@function
_ZN7rocprim17ROCPRIM_400000_NS6detail17trampoline_kernelINS0_14default_configENS1_27scan_by_key_config_selectorIidEEZZNS1_16scan_by_key_implILNS1_25lookback_scan_determinismE0ELb1ES3_N6thrust23THRUST_200600_302600_NS6detail15normal_iteratorINS9_10device_ptrIiEEEENSB_INSC_IdEEEESG_dNS9_4plusIvEENS9_8equal_toIvEEdEE10hipError_tPvRmT2_T3_T4_T5_mT6_T7_P12ihipStream_tbENKUlT_T0_E_clISt17integral_constantIbLb1EES10_IbLb0EEEEDaSW_SX_EUlSW_E_NS1_11comp_targetILNS1_3genE10ELNS1_11target_archE1201ELNS1_3gpuE5ELNS1_3repE0EEENS1_30default_config_static_selectorELNS0_4arch9wavefront6targetE1EEEvT1_: ; @_ZN7rocprim17ROCPRIM_400000_NS6detail17trampoline_kernelINS0_14default_configENS1_27scan_by_key_config_selectorIidEEZZNS1_16scan_by_key_implILNS1_25lookback_scan_determinismE0ELb1ES3_N6thrust23THRUST_200600_302600_NS6detail15normal_iteratorINS9_10device_ptrIiEEEENSB_INSC_IdEEEESG_dNS9_4plusIvEENS9_8equal_toIvEEdEE10hipError_tPvRmT2_T3_T4_T5_mT6_T7_P12ihipStream_tbENKUlT_T0_E_clISt17integral_constantIbLb1EES10_IbLb0EEEEDaSW_SX_EUlSW_E_NS1_11comp_targetILNS1_3genE10ELNS1_11target_archE1201ELNS1_3gpuE5ELNS1_3repE0EEENS1_30default_config_static_selectorELNS0_4arch9wavefront6targetE1EEEvT1_
; %bb.0:
	.section	.rodata,"a",@progbits
	.p2align	6, 0x0
	.amdhsa_kernel _ZN7rocprim17ROCPRIM_400000_NS6detail17trampoline_kernelINS0_14default_configENS1_27scan_by_key_config_selectorIidEEZZNS1_16scan_by_key_implILNS1_25lookback_scan_determinismE0ELb1ES3_N6thrust23THRUST_200600_302600_NS6detail15normal_iteratorINS9_10device_ptrIiEEEENSB_INSC_IdEEEESG_dNS9_4plusIvEENS9_8equal_toIvEEdEE10hipError_tPvRmT2_T3_T4_T5_mT6_T7_P12ihipStream_tbENKUlT_T0_E_clISt17integral_constantIbLb1EES10_IbLb0EEEEDaSW_SX_EUlSW_E_NS1_11comp_targetILNS1_3genE10ELNS1_11target_archE1201ELNS1_3gpuE5ELNS1_3repE0EEENS1_30default_config_static_selectorELNS0_4arch9wavefront6targetE1EEEvT1_
		.amdhsa_group_segment_fixed_size 0
		.amdhsa_private_segment_fixed_size 0
		.amdhsa_kernarg_size 136
		.amdhsa_user_sgpr_count 6
		.amdhsa_user_sgpr_private_segment_buffer 1
		.amdhsa_user_sgpr_dispatch_ptr 0
		.amdhsa_user_sgpr_queue_ptr 0
		.amdhsa_user_sgpr_kernarg_segment_ptr 1
		.amdhsa_user_sgpr_dispatch_id 0
		.amdhsa_user_sgpr_flat_scratch_init 0
		.amdhsa_user_sgpr_kernarg_preload_length 0
		.amdhsa_user_sgpr_kernarg_preload_offset 0
		.amdhsa_user_sgpr_private_segment_size 0
		.amdhsa_uses_dynamic_stack 0
		.amdhsa_system_sgpr_private_segment_wavefront_offset 0
		.amdhsa_system_sgpr_workgroup_id_x 1
		.amdhsa_system_sgpr_workgroup_id_y 0
		.amdhsa_system_sgpr_workgroup_id_z 0
		.amdhsa_system_sgpr_workgroup_info 0
		.amdhsa_system_vgpr_workitem_id 0
		.amdhsa_next_free_vgpr 1
		.amdhsa_next_free_sgpr 0
		.amdhsa_accum_offset 4
		.amdhsa_reserve_vcc 0
		.amdhsa_reserve_flat_scratch 0
		.amdhsa_float_round_mode_32 0
		.amdhsa_float_round_mode_16_64 0
		.amdhsa_float_denorm_mode_32 3
		.amdhsa_float_denorm_mode_16_64 3
		.amdhsa_dx10_clamp 1
		.amdhsa_ieee_mode 1
		.amdhsa_fp16_overflow 0
		.amdhsa_tg_split 0
		.amdhsa_exception_fp_ieee_invalid_op 0
		.amdhsa_exception_fp_denorm_src 0
		.amdhsa_exception_fp_ieee_div_zero 0
		.amdhsa_exception_fp_ieee_overflow 0
		.amdhsa_exception_fp_ieee_underflow 0
		.amdhsa_exception_fp_ieee_inexact 0
		.amdhsa_exception_int_div_zero 0
	.end_amdhsa_kernel
	.section	.text._ZN7rocprim17ROCPRIM_400000_NS6detail17trampoline_kernelINS0_14default_configENS1_27scan_by_key_config_selectorIidEEZZNS1_16scan_by_key_implILNS1_25lookback_scan_determinismE0ELb1ES3_N6thrust23THRUST_200600_302600_NS6detail15normal_iteratorINS9_10device_ptrIiEEEENSB_INSC_IdEEEESG_dNS9_4plusIvEENS9_8equal_toIvEEdEE10hipError_tPvRmT2_T3_T4_T5_mT6_T7_P12ihipStream_tbENKUlT_T0_E_clISt17integral_constantIbLb1EES10_IbLb0EEEEDaSW_SX_EUlSW_E_NS1_11comp_targetILNS1_3genE10ELNS1_11target_archE1201ELNS1_3gpuE5ELNS1_3repE0EEENS1_30default_config_static_selectorELNS0_4arch9wavefront6targetE1EEEvT1_,"axG",@progbits,_ZN7rocprim17ROCPRIM_400000_NS6detail17trampoline_kernelINS0_14default_configENS1_27scan_by_key_config_selectorIidEEZZNS1_16scan_by_key_implILNS1_25lookback_scan_determinismE0ELb1ES3_N6thrust23THRUST_200600_302600_NS6detail15normal_iteratorINS9_10device_ptrIiEEEENSB_INSC_IdEEEESG_dNS9_4plusIvEENS9_8equal_toIvEEdEE10hipError_tPvRmT2_T3_T4_T5_mT6_T7_P12ihipStream_tbENKUlT_T0_E_clISt17integral_constantIbLb1EES10_IbLb0EEEEDaSW_SX_EUlSW_E_NS1_11comp_targetILNS1_3genE10ELNS1_11target_archE1201ELNS1_3gpuE5ELNS1_3repE0EEENS1_30default_config_static_selectorELNS0_4arch9wavefront6targetE1EEEvT1_,comdat
.Lfunc_end1410:
	.size	_ZN7rocprim17ROCPRIM_400000_NS6detail17trampoline_kernelINS0_14default_configENS1_27scan_by_key_config_selectorIidEEZZNS1_16scan_by_key_implILNS1_25lookback_scan_determinismE0ELb1ES3_N6thrust23THRUST_200600_302600_NS6detail15normal_iteratorINS9_10device_ptrIiEEEENSB_INSC_IdEEEESG_dNS9_4plusIvEENS9_8equal_toIvEEdEE10hipError_tPvRmT2_T3_T4_T5_mT6_T7_P12ihipStream_tbENKUlT_T0_E_clISt17integral_constantIbLb1EES10_IbLb0EEEEDaSW_SX_EUlSW_E_NS1_11comp_targetILNS1_3genE10ELNS1_11target_archE1201ELNS1_3gpuE5ELNS1_3repE0EEENS1_30default_config_static_selectorELNS0_4arch9wavefront6targetE1EEEvT1_, .Lfunc_end1410-_ZN7rocprim17ROCPRIM_400000_NS6detail17trampoline_kernelINS0_14default_configENS1_27scan_by_key_config_selectorIidEEZZNS1_16scan_by_key_implILNS1_25lookback_scan_determinismE0ELb1ES3_N6thrust23THRUST_200600_302600_NS6detail15normal_iteratorINS9_10device_ptrIiEEEENSB_INSC_IdEEEESG_dNS9_4plusIvEENS9_8equal_toIvEEdEE10hipError_tPvRmT2_T3_T4_T5_mT6_T7_P12ihipStream_tbENKUlT_T0_E_clISt17integral_constantIbLb1EES10_IbLb0EEEEDaSW_SX_EUlSW_E_NS1_11comp_targetILNS1_3genE10ELNS1_11target_archE1201ELNS1_3gpuE5ELNS1_3repE0EEENS1_30default_config_static_selectorELNS0_4arch9wavefront6targetE1EEEvT1_
                                        ; -- End function
	.section	.AMDGPU.csdata,"",@progbits
; Kernel info:
; codeLenInByte = 0
; NumSgprs: 4
; NumVgprs: 0
; NumAgprs: 0
; TotalNumVgprs: 0
; ScratchSize: 0
; MemoryBound: 0
; FloatMode: 240
; IeeeMode: 1
; LDSByteSize: 0 bytes/workgroup (compile time only)
; SGPRBlocks: 0
; VGPRBlocks: 0
; NumSGPRsForWavesPerEU: 4
; NumVGPRsForWavesPerEU: 1
; AccumOffset: 4
; Occupancy: 8
; WaveLimiterHint : 0
; COMPUTE_PGM_RSRC2:SCRATCH_EN: 0
; COMPUTE_PGM_RSRC2:USER_SGPR: 6
; COMPUTE_PGM_RSRC2:TRAP_HANDLER: 0
; COMPUTE_PGM_RSRC2:TGID_X_EN: 1
; COMPUTE_PGM_RSRC2:TGID_Y_EN: 0
; COMPUTE_PGM_RSRC2:TGID_Z_EN: 0
; COMPUTE_PGM_RSRC2:TIDIG_COMP_CNT: 0
; COMPUTE_PGM_RSRC3_GFX90A:ACCUM_OFFSET: 0
; COMPUTE_PGM_RSRC3_GFX90A:TG_SPLIT: 0
	.section	.text._ZN7rocprim17ROCPRIM_400000_NS6detail17trampoline_kernelINS0_14default_configENS1_27scan_by_key_config_selectorIidEEZZNS1_16scan_by_key_implILNS1_25lookback_scan_determinismE0ELb1ES3_N6thrust23THRUST_200600_302600_NS6detail15normal_iteratorINS9_10device_ptrIiEEEENSB_INSC_IdEEEESG_dNS9_4plusIvEENS9_8equal_toIvEEdEE10hipError_tPvRmT2_T3_T4_T5_mT6_T7_P12ihipStream_tbENKUlT_T0_E_clISt17integral_constantIbLb1EES10_IbLb0EEEEDaSW_SX_EUlSW_E_NS1_11comp_targetILNS1_3genE5ELNS1_11target_archE942ELNS1_3gpuE9ELNS1_3repE0EEENS1_30default_config_static_selectorELNS0_4arch9wavefront6targetE1EEEvT1_,"axG",@progbits,_ZN7rocprim17ROCPRIM_400000_NS6detail17trampoline_kernelINS0_14default_configENS1_27scan_by_key_config_selectorIidEEZZNS1_16scan_by_key_implILNS1_25lookback_scan_determinismE0ELb1ES3_N6thrust23THRUST_200600_302600_NS6detail15normal_iteratorINS9_10device_ptrIiEEEENSB_INSC_IdEEEESG_dNS9_4plusIvEENS9_8equal_toIvEEdEE10hipError_tPvRmT2_T3_T4_T5_mT6_T7_P12ihipStream_tbENKUlT_T0_E_clISt17integral_constantIbLb1EES10_IbLb0EEEEDaSW_SX_EUlSW_E_NS1_11comp_targetILNS1_3genE5ELNS1_11target_archE942ELNS1_3gpuE9ELNS1_3repE0EEENS1_30default_config_static_selectorELNS0_4arch9wavefront6targetE1EEEvT1_,comdat
	.protected	_ZN7rocprim17ROCPRIM_400000_NS6detail17trampoline_kernelINS0_14default_configENS1_27scan_by_key_config_selectorIidEEZZNS1_16scan_by_key_implILNS1_25lookback_scan_determinismE0ELb1ES3_N6thrust23THRUST_200600_302600_NS6detail15normal_iteratorINS9_10device_ptrIiEEEENSB_INSC_IdEEEESG_dNS9_4plusIvEENS9_8equal_toIvEEdEE10hipError_tPvRmT2_T3_T4_T5_mT6_T7_P12ihipStream_tbENKUlT_T0_E_clISt17integral_constantIbLb1EES10_IbLb0EEEEDaSW_SX_EUlSW_E_NS1_11comp_targetILNS1_3genE5ELNS1_11target_archE942ELNS1_3gpuE9ELNS1_3repE0EEENS1_30default_config_static_selectorELNS0_4arch9wavefront6targetE1EEEvT1_ ; -- Begin function _ZN7rocprim17ROCPRIM_400000_NS6detail17trampoline_kernelINS0_14default_configENS1_27scan_by_key_config_selectorIidEEZZNS1_16scan_by_key_implILNS1_25lookback_scan_determinismE0ELb1ES3_N6thrust23THRUST_200600_302600_NS6detail15normal_iteratorINS9_10device_ptrIiEEEENSB_INSC_IdEEEESG_dNS9_4plusIvEENS9_8equal_toIvEEdEE10hipError_tPvRmT2_T3_T4_T5_mT6_T7_P12ihipStream_tbENKUlT_T0_E_clISt17integral_constantIbLb1EES10_IbLb0EEEEDaSW_SX_EUlSW_E_NS1_11comp_targetILNS1_3genE5ELNS1_11target_archE942ELNS1_3gpuE9ELNS1_3repE0EEENS1_30default_config_static_selectorELNS0_4arch9wavefront6targetE1EEEvT1_
	.globl	_ZN7rocprim17ROCPRIM_400000_NS6detail17trampoline_kernelINS0_14default_configENS1_27scan_by_key_config_selectorIidEEZZNS1_16scan_by_key_implILNS1_25lookback_scan_determinismE0ELb1ES3_N6thrust23THRUST_200600_302600_NS6detail15normal_iteratorINS9_10device_ptrIiEEEENSB_INSC_IdEEEESG_dNS9_4plusIvEENS9_8equal_toIvEEdEE10hipError_tPvRmT2_T3_T4_T5_mT6_T7_P12ihipStream_tbENKUlT_T0_E_clISt17integral_constantIbLb1EES10_IbLb0EEEEDaSW_SX_EUlSW_E_NS1_11comp_targetILNS1_3genE5ELNS1_11target_archE942ELNS1_3gpuE9ELNS1_3repE0EEENS1_30default_config_static_selectorELNS0_4arch9wavefront6targetE1EEEvT1_
	.p2align	8
	.type	_ZN7rocprim17ROCPRIM_400000_NS6detail17trampoline_kernelINS0_14default_configENS1_27scan_by_key_config_selectorIidEEZZNS1_16scan_by_key_implILNS1_25lookback_scan_determinismE0ELb1ES3_N6thrust23THRUST_200600_302600_NS6detail15normal_iteratorINS9_10device_ptrIiEEEENSB_INSC_IdEEEESG_dNS9_4plusIvEENS9_8equal_toIvEEdEE10hipError_tPvRmT2_T3_T4_T5_mT6_T7_P12ihipStream_tbENKUlT_T0_E_clISt17integral_constantIbLb1EES10_IbLb0EEEEDaSW_SX_EUlSW_E_NS1_11comp_targetILNS1_3genE5ELNS1_11target_archE942ELNS1_3gpuE9ELNS1_3repE0EEENS1_30default_config_static_selectorELNS0_4arch9wavefront6targetE1EEEvT1_,@function
_ZN7rocprim17ROCPRIM_400000_NS6detail17trampoline_kernelINS0_14default_configENS1_27scan_by_key_config_selectorIidEEZZNS1_16scan_by_key_implILNS1_25lookback_scan_determinismE0ELb1ES3_N6thrust23THRUST_200600_302600_NS6detail15normal_iteratorINS9_10device_ptrIiEEEENSB_INSC_IdEEEESG_dNS9_4plusIvEENS9_8equal_toIvEEdEE10hipError_tPvRmT2_T3_T4_T5_mT6_T7_P12ihipStream_tbENKUlT_T0_E_clISt17integral_constantIbLb1EES10_IbLb0EEEEDaSW_SX_EUlSW_E_NS1_11comp_targetILNS1_3genE5ELNS1_11target_archE942ELNS1_3gpuE9ELNS1_3repE0EEENS1_30default_config_static_selectorELNS0_4arch9wavefront6targetE1EEEvT1_: ; @_ZN7rocprim17ROCPRIM_400000_NS6detail17trampoline_kernelINS0_14default_configENS1_27scan_by_key_config_selectorIidEEZZNS1_16scan_by_key_implILNS1_25lookback_scan_determinismE0ELb1ES3_N6thrust23THRUST_200600_302600_NS6detail15normal_iteratorINS9_10device_ptrIiEEEENSB_INSC_IdEEEESG_dNS9_4plusIvEENS9_8equal_toIvEEdEE10hipError_tPvRmT2_T3_T4_T5_mT6_T7_P12ihipStream_tbENKUlT_T0_E_clISt17integral_constantIbLb1EES10_IbLb0EEEEDaSW_SX_EUlSW_E_NS1_11comp_targetILNS1_3genE5ELNS1_11target_archE942ELNS1_3gpuE9ELNS1_3repE0EEENS1_30default_config_static_selectorELNS0_4arch9wavefront6targetE1EEEvT1_
; %bb.0:
	.section	.rodata,"a",@progbits
	.p2align	6, 0x0
	.amdhsa_kernel _ZN7rocprim17ROCPRIM_400000_NS6detail17trampoline_kernelINS0_14default_configENS1_27scan_by_key_config_selectorIidEEZZNS1_16scan_by_key_implILNS1_25lookback_scan_determinismE0ELb1ES3_N6thrust23THRUST_200600_302600_NS6detail15normal_iteratorINS9_10device_ptrIiEEEENSB_INSC_IdEEEESG_dNS9_4plusIvEENS9_8equal_toIvEEdEE10hipError_tPvRmT2_T3_T4_T5_mT6_T7_P12ihipStream_tbENKUlT_T0_E_clISt17integral_constantIbLb1EES10_IbLb0EEEEDaSW_SX_EUlSW_E_NS1_11comp_targetILNS1_3genE5ELNS1_11target_archE942ELNS1_3gpuE9ELNS1_3repE0EEENS1_30default_config_static_selectorELNS0_4arch9wavefront6targetE1EEEvT1_
		.amdhsa_group_segment_fixed_size 0
		.amdhsa_private_segment_fixed_size 0
		.amdhsa_kernarg_size 136
		.amdhsa_user_sgpr_count 6
		.amdhsa_user_sgpr_private_segment_buffer 1
		.amdhsa_user_sgpr_dispatch_ptr 0
		.amdhsa_user_sgpr_queue_ptr 0
		.amdhsa_user_sgpr_kernarg_segment_ptr 1
		.amdhsa_user_sgpr_dispatch_id 0
		.amdhsa_user_sgpr_flat_scratch_init 0
		.amdhsa_user_sgpr_kernarg_preload_length 0
		.amdhsa_user_sgpr_kernarg_preload_offset 0
		.amdhsa_user_sgpr_private_segment_size 0
		.amdhsa_uses_dynamic_stack 0
		.amdhsa_system_sgpr_private_segment_wavefront_offset 0
		.amdhsa_system_sgpr_workgroup_id_x 1
		.amdhsa_system_sgpr_workgroup_id_y 0
		.amdhsa_system_sgpr_workgroup_id_z 0
		.amdhsa_system_sgpr_workgroup_info 0
		.amdhsa_system_vgpr_workitem_id 0
		.amdhsa_next_free_vgpr 1
		.amdhsa_next_free_sgpr 0
		.amdhsa_accum_offset 4
		.amdhsa_reserve_vcc 0
		.amdhsa_reserve_flat_scratch 0
		.amdhsa_float_round_mode_32 0
		.amdhsa_float_round_mode_16_64 0
		.amdhsa_float_denorm_mode_32 3
		.amdhsa_float_denorm_mode_16_64 3
		.amdhsa_dx10_clamp 1
		.amdhsa_ieee_mode 1
		.amdhsa_fp16_overflow 0
		.amdhsa_tg_split 0
		.amdhsa_exception_fp_ieee_invalid_op 0
		.amdhsa_exception_fp_denorm_src 0
		.amdhsa_exception_fp_ieee_div_zero 0
		.amdhsa_exception_fp_ieee_overflow 0
		.amdhsa_exception_fp_ieee_underflow 0
		.amdhsa_exception_fp_ieee_inexact 0
		.amdhsa_exception_int_div_zero 0
	.end_amdhsa_kernel
	.section	.text._ZN7rocprim17ROCPRIM_400000_NS6detail17trampoline_kernelINS0_14default_configENS1_27scan_by_key_config_selectorIidEEZZNS1_16scan_by_key_implILNS1_25lookback_scan_determinismE0ELb1ES3_N6thrust23THRUST_200600_302600_NS6detail15normal_iteratorINS9_10device_ptrIiEEEENSB_INSC_IdEEEESG_dNS9_4plusIvEENS9_8equal_toIvEEdEE10hipError_tPvRmT2_T3_T4_T5_mT6_T7_P12ihipStream_tbENKUlT_T0_E_clISt17integral_constantIbLb1EES10_IbLb0EEEEDaSW_SX_EUlSW_E_NS1_11comp_targetILNS1_3genE5ELNS1_11target_archE942ELNS1_3gpuE9ELNS1_3repE0EEENS1_30default_config_static_selectorELNS0_4arch9wavefront6targetE1EEEvT1_,"axG",@progbits,_ZN7rocprim17ROCPRIM_400000_NS6detail17trampoline_kernelINS0_14default_configENS1_27scan_by_key_config_selectorIidEEZZNS1_16scan_by_key_implILNS1_25lookback_scan_determinismE0ELb1ES3_N6thrust23THRUST_200600_302600_NS6detail15normal_iteratorINS9_10device_ptrIiEEEENSB_INSC_IdEEEESG_dNS9_4plusIvEENS9_8equal_toIvEEdEE10hipError_tPvRmT2_T3_T4_T5_mT6_T7_P12ihipStream_tbENKUlT_T0_E_clISt17integral_constantIbLb1EES10_IbLb0EEEEDaSW_SX_EUlSW_E_NS1_11comp_targetILNS1_3genE5ELNS1_11target_archE942ELNS1_3gpuE9ELNS1_3repE0EEENS1_30default_config_static_selectorELNS0_4arch9wavefront6targetE1EEEvT1_,comdat
.Lfunc_end1411:
	.size	_ZN7rocprim17ROCPRIM_400000_NS6detail17trampoline_kernelINS0_14default_configENS1_27scan_by_key_config_selectorIidEEZZNS1_16scan_by_key_implILNS1_25lookback_scan_determinismE0ELb1ES3_N6thrust23THRUST_200600_302600_NS6detail15normal_iteratorINS9_10device_ptrIiEEEENSB_INSC_IdEEEESG_dNS9_4plusIvEENS9_8equal_toIvEEdEE10hipError_tPvRmT2_T3_T4_T5_mT6_T7_P12ihipStream_tbENKUlT_T0_E_clISt17integral_constantIbLb1EES10_IbLb0EEEEDaSW_SX_EUlSW_E_NS1_11comp_targetILNS1_3genE5ELNS1_11target_archE942ELNS1_3gpuE9ELNS1_3repE0EEENS1_30default_config_static_selectorELNS0_4arch9wavefront6targetE1EEEvT1_, .Lfunc_end1411-_ZN7rocprim17ROCPRIM_400000_NS6detail17trampoline_kernelINS0_14default_configENS1_27scan_by_key_config_selectorIidEEZZNS1_16scan_by_key_implILNS1_25lookback_scan_determinismE0ELb1ES3_N6thrust23THRUST_200600_302600_NS6detail15normal_iteratorINS9_10device_ptrIiEEEENSB_INSC_IdEEEESG_dNS9_4plusIvEENS9_8equal_toIvEEdEE10hipError_tPvRmT2_T3_T4_T5_mT6_T7_P12ihipStream_tbENKUlT_T0_E_clISt17integral_constantIbLb1EES10_IbLb0EEEEDaSW_SX_EUlSW_E_NS1_11comp_targetILNS1_3genE5ELNS1_11target_archE942ELNS1_3gpuE9ELNS1_3repE0EEENS1_30default_config_static_selectorELNS0_4arch9wavefront6targetE1EEEvT1_
                                        ; -- End function
	.section	.AMDGPU.csdata,"",@progbits
; Kernel info:
; codeLenInByte = 0
; NumSgprs: 4
; NumVgprs: 0
; NumAgprs: 0
; TotalNumVgprs: 0
; ScratchSize: 0
; MemoryBound: 0
; FloatMode: 240
; IeeeMode: 1
; LDSByteSize: 0 bytes/workgroup (compile time only)
; SGPRBlocks: 0
; VGPRBlocks: 0
; NumSGPRsForWavesPerEU: 4
; NumVGPRsForWavesPerEU: 1
; AccumOffset: 4
; Occupancy: 8
; WaveLimiterHint : 0
; COMPUTE_PGM_RSRC2:SCRATCH_EN: 0
; COMPUTE_PGM_RSRC2:USER_SGPR: 6
; COMPUTE_PGM_RSRC2:TRAP_HANDLER: 0
; COMPUTE_PGM_RSRC2:TGID_X_EN: 1
; COMPUTE_PGM_RSRC2:TGID_Y_EN: 0
; COMPUTE_PGM_RSRC2:TGID_Z_EN: 0
; COMPUTE_PGM_RSRC2:TIDIG_COMP_CNT: 0
; COMPUTE_PGM_RSRC3_GFX90A:ACCUM_OFFSET: 0
; COMPUTE_PGM_RSRC3_GFX90A:TG_SPLIT: 0
	.section	.text._ZN7rocprim17ROCPRIM_400000_NS6detail17trampoline_kernelINS0_14default_configENS1_27scan_by_key_config_selectorIidEEZZNS1_16scan_by_key_implILNS1_25lookback_scan_determinismE0ELb1ES3_N6thrust23THRUST_200600_302600_NS6detail15normal_iteratorINS9_10device_ptrIiEEEENSB_INSC_IdEEEESG_dNS9_4plusIvEENS9_8equal_toIvEEdEE10hipError_tPvRmT2_T3_T4_T5_mT6_T7_P12ihipStream_tbENKUlT_T0_E_clISt17integral_constantIbLb1EES10_IbLb0EEEEDaSW_SX_EUlSW_E_NS1_11comp_targetILNS1_3genE4ELNS1_11target_archE910ELNS1_3gpuE8ELNS1_3repE0EEENS1_30default_config_static_selectorELNS0_4arch9wavefront6targetE1EEEvT1_,"axG",@progbits,_ZN7rocprim17ROCPRIM_400000_NS6detail17trampoline_kernelINS0_14default_configENS1_27scan_by_key_config_selectorIidEEZZNS1_16scan_by_key_implILNS1_25lookback_scan_determinismE0ELb1ES3_N6thrust23THRUST_200600_302600_NS6detail15normal_iteratorINS9_10device_ptrIiEEEENSB_INSC_IdEEEESG_dNS9_4plusIvEENS9_8equal_toIvEEdEE10hipError_tPvRmT2_T3_T4_T5_mT6_T7_P12ihipStream_tbENKUlT_T0_E_clISt17integral_constantIbLb1EES10_IbLb0EEEEDaSW_SX_EUlSW_E_NS1_11comp_targetILNS1_3genE4ELNS1_11target_archE910ELNS1_3gpuE8ELNS1_3repE0EEENS1_30default_config_static_selectorELNS0_4arch9wavefront6targetE1EEEvT1_,comdat
	.protected	_ZN7rocprim17ROCPRIM_400000_NS6detail17trampoline_kernelINS0_14default_configENS1_27scan_by_key_config_selectorIidEEZZNS1_16scan_by_key_implILNS1_25lookback_scan_determinismE0ELb1ES3_N6thrust23THRUST_200600_302600_NS6detail15normal_iteratorINS9_10device_ptrIiEEEENSB_INSC_IdEEEESG_dNS9_4plusIvEENS9_8equal_toIvEEdEE10hipError_tPvRmT2_T3_T4_T5_mT6_T7_P12ihipStream_tbENKUlT_T0_E_clISt17integral_constantIbLb1EES10_IbLb0EEEEDaSW_SX_EUlSW_E_NS1_11comp_targetILNS1_3genE4ELNS1_11target_archE910ELNS1_3gpuE8ELNS1_3repE0EEENS1_30default_config_static_selectorELNS0_4arch9wavefront6targetE1EEEvT1_ ; -- Begin function _ZN7rocprim17ROCPRIM_400000_NS6detail17trampoline_kernelINS0_14default_configENS1_27scan_by_key_config_selectorIidEEZZNS1_16scan_by_key_implILNS1_25lookback_scan_determinismE0ELb1ES3_N6thrust23THRUST_200600_302600_NS6detail15normal_iteratorINS9_10device_ptrIiEEEENSB_INSC_IdEEEESG_dNS9_4plusIvEENS9_8equal_toIvEEdEE10hipError_tPvRmT2_T3_T4_T5_mT6_T7_P12ihipStream_tbENKUlT_T0_E_clISt17integral_constantIbLb1EES10_IbLb0EEEEDaSW_SX_EUlSW_E_NS1_11comp_targetILNS1_3genE4ELNS1_11target_archE910ELNS1_3gpuE8ELNS1_3repE0EEENS1_30default_config_static_selectorELNS0_4arch9wavefront6targetE1EEEvT1_
	.globl	_ZN7rocprim17ROCPRIM_400000_NS6detail17trampoline_kernelINS0_14default_configENS1_27scan_by_key_config_selectorIidEEZZNS1_16scan_by_key_implILNS1_25lookback_scan_determinismE0ELb1ES3_N6thrust23THRUST_200600_302600_NS6detail15normal_iteratorINS9_10device_ptrIiEEEENSB_INSC_IdEEEESG_dNS9_4plusIvEENS9_8equal_toIvEEdEE10hipError_tPvRmT2_T3_T4_T5_mT6_T7_P12ihipStream_tbENKUlT_T0_E_clISt17integral_constantIbLb1EES10_IbLb0EEEEDaSW_SX_EUlSW_E_NS1_11comp_targetILNS1_3genE4ELNS1_11target_archE910ELNS1_3gpuE8ELNS1_3repE0EEENS1_30default_config_static_selectorELNS0_4arch9wavefront6targetE1EEEvT1_
	.p2align	8
	.type	_ZN7rocprim17ROCPRIM_400000_NS6detail17trampoline_kernelINS0_14default_configENS1_27scan_by_key_config_selectorIidEEZZNS1_16scan_by_key_implILNS1_25lookback_scan_determinismE0ELb1ES3_N6thrust23THRUST_200600_302600_NS6detail15normal_iteratorINS9_10device_ptrIiEEEENSB_INSC_IdEEEESG_dNS9_4plusIvEENS9_8equal_toIvEEdEE10hipError_tPvRmT2_T3_T4_T5_mT6_T7_P12ihipStream_tbENKUlT_T0_E_clISt17integral_constantIbLb1EES10_IbLb0EEEEDaSW_SX_EUlSW_E_NS1_11comp_targetILNS1_3genE4ELNS1_11target_archE910ELNS1_3gpuE8ELNS1_3repE0EEENS1_30default_config_static_selectorELNS0_4arch9wavefront6targetE1EEEvT1_,@function
_ZN7rocprim17ROCPRIM_400000_NS6detail17trampoline_kernelINS0_14default_configENS1_27scan_by_key_config_selectorIidEEZZNS1_16scan_by_key_implILNS1_25lookback_scan_determinismE0ELb1ES3_N6thrust23THRUST_200600_302600_NS6detail15normal_iteratorINS9_10device_ptrIiEEEENSB_INSC_IdEEEESG_dNS9_4plusIvEENS9_8equal_toIvEEdEE10hipError_tPvRmT2_T3_T4_T5_mT6_T7_P12ihipStream_tbENKUlT_T0_E_clISt17integral_constantIbLb1EES10_IbLb0EEEEDaSW_SX_EUlSW_E_NS1_11comp_targetILNS1_3genE4ELNS1_11target_archE910ELNS1_3gpuE8ELNS1_3repE0EEENS1_30default_config_static_selectorELNS0_4arch9wavefront6targetE1EEEvT1_: ; @_ZN7rocprim17ROCPRIM_400000_NS6detail17trampoline_kernelINS0_14default_configENS1_27scan_by_key_config_selectorIidEEZZNS1_16scan_by_key_implILNS1_25lookback_scan_determinismE0ELb1ES3_N6thrust23THRUST_200600_302600_NS6detail15normal_iteratorINS9_10device_ptrIiEEEENSB_INSC_IdEEEESG_dNS9_4plusIvEENS9_8equal_toIvEEdEE10hipError_tPvRmT2_T3_T4_T5_mT6_T7_P12ihipStream_tbENKUlT_T0_E_clISt17integral_constantIbLb1EES10_IbLb0EEEEDaSW_SX_EUlSW_E_NS1_11comp_targetILNS1_3genE4ELNS1_11target_archE910ELNS1_3gpuE8ELNS1_3repE0EEENS1_30default_config_static_selectorELNS0_4arch9wavefront6targetE1EEEvT1_
; %bb.0:
	s_load_dwordx8 s[56:63], s[4:5], 0x0
	s_load_dwordx2 s[68:69], s[4:5], 0x20
	s_load_dwordx8 s[48:55], s[4:5], 0x30
	s_load_dwordx2 s[70:71], s[4:5], 0x50
	s_load_dword s2, s[4:5], 0x58
	s_load_dwordx4 s[64:67], s[4:5], 0x60
	s_waitcnt lgkmcnt(0)
	s_lshl_b64 s[0:1], s[58:59], 2
	s_add_u32 s4, s56, s0
	s_addc_u32 s5, s57, s1
	s_lshl_b64 s[56:57], s[58:59], 3
	s_add_u32 s7, s60, s56
	s_mul_i32 s0, s71, s2
	s_mul_hi_u32 s1, s70, s2
	s_addc_u32 s8, s61, s57
	s_add_i32 s9, s1, s0
	s_mul_i32 s0, s6, 0x540
	s_mov_b32 s1, 0
	s_mul_i32 s10, s70, s2
	s_lshl_b64 s[2:3], s[0:1], 2
	s_add_u32 s60, s4, s2
	s_addc_u32 s61, s5, s3
	s_lshl_b64 s[58:59], s[0:1], 3
	s_add_u32 s7, s7, s58
	s_addc_u32 s55, s8, s59
	s_add_u32 s0, s10, s6
	s_addc_u32 s1, s9, 0
	s_add_u32 s4, s64, -1
	s_addc_u32 s5, s65, -1
	v_pk_mov_b32 v[2:3], s[4:5], s[4:5] op_sel:[0,1]
	v_cmp_ge_u64_e64 s[0:1], s[0:1], v[2:3]
	s_mov_b64 s[2:3], -1
	s_and_b64 vcc, exec, s[0:1]
	s_mul_i32 s33, s4, 0xfffffac0
	s_waitcnt lgkmcnt(0)
	; wave barrier
	s_cbranch_vccz .LBB1412_65
; %bb.1:
	v_pk_mov_b32 v[2:3], s[60:61], s[60:61] op_sel:[0,1]
	flat_load_dword v2, v[2:3]
	s_add_i32 s74, s33, s54
	v_cmp_gt_u32_e32 vcc, s74, v0
	s_waitcnt vmcnt(0) lgkmcnt(0)
	v_mov_b32_e32 v3, v2
	s_and_saveexec_b64 s[4:5], vcc
	s_cbranch_execz .LBB1412_3
; %bb.2:
	v_lshlrev_b32_e32 v1, 2, v0
	v_mov_b32_e32 v3, s61
	v_add_co_u32_e64 v4, s[2:3], s60, v1
	v_addc_co_u32_e64 v5, s[2:3], 0, v3, s[2:3]
	flat_load_dword v3, v[4:5]
.LBB1412_3:
	s_or_b64 exec, exec, s[4:5]
	v_or_b32_e32 v1, 64, v0
	v_cmp_gt_u32_e64 s[2:3], s74, v1
	v_mov_b32_e32 v4, v2
	s_and_saveexec_b64 s[8:9], s[2:3]
	s_cbranch_execz .LBB1412_5
; %bb.4:
	v_lshlrev_b32_e32 v1, 2, v0
	v_mov_b32_e32 v5, s61
	v_add_co_u32_e64 v4, s[4:5], s60, v1
	v_addc_co_u32_e64 v5, s[4:5], 0, v5, s[4:5]
	flat_load_dword v4, v[4:5] offset:256
.LBB1412_5:
	s_or_b64 exec, exec, s[8:9]
	v_or_b32_e32 v1, 0x80, v0
	v_cmp_gt_u32_e64 s[4:5], s74, v1
	v_mov_b32_e32 v5, v2
	s_and_saveexec_b64 s[10:11], s[4:5]
	s_cbranch_execz .LBB1412_7
; %bb.6:
	v_lshlrev_b32_e32 v1, 2, v0
	v_mov_b32_e32 v5, s61
	v_add_co_u32_e64 v6, s[8:9], s60, v1
	v_addc_co_u32_e64 v7, s[8:9], 0, v5, s[8:9]
	flat_load_dword v5, v[6:7] offset:512
.LBB1412_7:
	;; [unrolled: 13-line block ×15, first 2 shown]
	s_or_b64 exec, exec, s[36:37]
	v_or_b32_e32 v56, 0x400, v0
	v_cmp_gt_u32_e64 s[34:35], s74, v56
	v_mov_b32_e32 v19, v2
	s_and_saveexec_b64 s[38:39], s[34:35]
	s_cbranch_execz .LBB1412_35
; %bb.34:
	v_lshlrev_b32_e32 v19, 2, v56
	v_mov_b32_e32 v21, s61
	v_add_co_u32_e64 v20, s[36:37], s60, v19
	v_addc_co_u32_e64 v21, s[36:37], 0, v21, s[36:37]
	flat_load_dword v19, v[20:21]
.LBB1412_35:
	s_or_b64 exec, exec, s[38:39]
	v_or_b32_e32 v58, 0x440, v0
	v_cmp_gt_u32_e64 s[36:37], s74, v58
	v_mov_b32_e32 v20, v2
	s_and_saveexec_b64 s[40:41], s[36:37]
	s_cbranch_execz .LBB1412_37
; %bb.36:
	v_lshlrev_b32_e32 v20, 2, v58
	v_mov_b32_e32 v21, s61
	v_add_co_u32_e64 v20, s[38:39], s60, v20
	v_addc_co_u32_e64 v21, s[38:39], 0, v21, s[38:39]
	flat_load_dword v20, v[20:21]
.LBB1412_37:
	;; [unrolled: 13-line block ×4, first 2 shown]
	s_or_b64 exec, exec, s[46:47]
	v_or_b32_e32 v64, 0x500, v0
	v_cmp_gt_u32_e64 s[42:43], s74, v64
	s_and_saveexec_b64 s[64:65], s[42:43]
	s_cbranch_execz .LBB1412_43
; %bb.42:
	v_lshlrev_b32_e32 v2, 2, v64
	v_mov_b32_e32 v23, s61
	v_add_co_u32_e64 v24, s[46:47], s60, v2
	v_addc_co_u32_e64 v25, s[46:47], 0, v23, s[46:47]
	flat_load_dword v2, v[24:25]
.LBB1412_43:
	s_or_b64 exec, exec, s[64:65]
	v_lshlrev_b32_e32 v26, 2, v0
	s_waitcnt vmcnt(0) lgkmcnt(0)
	ds_write2st64_b32 v26, v3, v4 offset1:1
	ds_write2st64_b32 v26, v5, v6 offset0:2 offset1:3
	ds_write2st64_b32 v26, v7, v8 offset0:4 offset1:5
	;; [unrolled: 1-line block ×9, first 2 shown]
	ds_write_b32 v26, v2 offset:5120
	v_pk_mov_b32 v[2:3], s[60:61], s[60:61] op_sel:[0,1]
	s_waitcnt lgkmcnt(0)
	; wave barrier
	s_waitcnt lgkmcnt(0)
	flat_load_dword v82, v[2:3]
	s_movk_i32 s46, 0x50
	v_mad_u32_u24 v2, v0, s46, v26
	s_movk_i32 s46, 0xffb0
	v_mad_i32_i24 v65, v0, s46, v2
	v_cmp_ne_u32_e64 s[46:47], 63, v0
	ds_read_b32 v84, v2
	ds_read2_b32 v[24:25], v2 offset0:1 offset1:2
	ds_read2_b32 v[22:23], v2 offset0:3 offset1:4
	;; [unrolled: 1-line block ×10, first 2 shown]
	s_waitcnt lgkmcnt(0)
	ds_write_b32 v65, v84 offset:5632
	s_waitcnt lgkmcnt(0)
	; wave barrier
	s_waitcnt lgkmcnt(0)
	s_and_saveexec_b64 s[64:65], s[46:47]
	s_cbranch_execz .LBB1412_45
; %bb.44:
	s_waitcnt vmcnt(0)
	ds_read_b32 v82, v26 offset:5636
.LBB1412_45:
	s_or_b64 exec, exec, s[64:65]
	s_waitcnt lgkmcnt(0)
	; wave barrier
	s_waitcnt lgkmcnt(0)
                                        ; implicit-def: $vgpr2_vgpr3
	s_and_saveexec_b64 s[46:47], vcc
	s_cbranch_execz .LBB1412_66
; %bb.46:
	v_lshlrev_b32_e32 v2, 3, v0
	v_mov_b32_e32 v3, s55
	v_add_co_u32_e32 v2, vcc, s7, v2
	v_addc_co_u32_e32 v3, vcc, 0, v3, vcc
	flat_load_dwordx2 v[2:3], v[2:3]
	s_or_b64 exec, exec, s[46:47]
                                        ; implicit-def: $vgpr4_vgpr5
	s_and_saveexec_b64 s[46:47], s[2:3]
	s_cbranch_execnz .LBB1412_67
.LBB1412_47:
	s_or_b64 exec, exec, s[46:47]
                                        ; implicit-def: $vgpr26_vgpr27
	s_and_saveexec_b64 s[2:3], s[4:5]
	s_cbranch_execz .LBB1412_68
.LBB1412_48:
	v_lshlrev_b32_e32 v26, 3, v0
	v_mov_b32_e32 v27, s55
	v_add_co_u32_e32 v26, vcc, s7, v26
	v_addc_co_u32_e32 v27, vcc, 0, v27, vcc
	flat_load_dwordx2 v[26:27], v[26:27] offset:1024
	s_or_b64 exec, exec, s[2:3]
                                        ; implicit-def: $vgpr28_vgpr29
	s_and_saveexec_b64 s[2:3], s[44:45]
	s_cbranch_execnz .LBB1412_69
.LBB1412_49:
	s_or_b64 exec, exec, s[2:3]
                                        ; implicit-def: $vgpr30_vgpr31
	s_and_saveexec_b64 s[2:3], s[8:9]
	s_cbranch_execz .LBB1412_70
.LBB1412_50:
	v_lshlrev_b32_e32 v30, 3, v0
	v_mov_b32_e32 v31, s55
	v_add_co_u32_e32 v30, vcc, s7, v30
	v_addc_co_u32_e32 v31, vcc, 0, v31, vcc
	flat_load_dwordx2 v[30:31], v[30:31] offset:2048
	s_or_b64 exec, exec, s[2:3]
                                        ; implicit-def: $vgpr32_vgpr33
	s_and_saveexec_b64 s[2:3], s[10:11]
	s_cbranch_execnz .LBB1412_71
.LBB1412_51:
	s_or_b64 exec, exec, s[2:3]
                                        ; implicit-def: $vgpr34_vgpr35
	s_and_saveexec_b64 s[2:3], s[12:13]
	s_cbranch_execz .LBB1412_72
.LBB1412_52:
	v_lshlrev_b32_e32 v34, 3, v0
	v_mov_b32_e32 v35, s55
	v_add_co_u32_e32 v34, vcc, s7, v34
	v_addc_co_u32_e32 v35, vcc, 0, v35, vcc
	flat_load_dwordx2 v[34:35], v[34:35] offset:3072
	s_or_b64 exec, exec, s[2:3]
                                        ; implicit-def: $vgpr36_vgpr37
	s_and_saveexec_b64 s[2:3], s[14:15]
	s_cbranch_execnz .LBB1412_73
.LBB1412_53:
	s_or_b64 exec, exec, s[2:3]
                                        ; implicit-def: $vgpr38_vgpr39
	s_and_saveexec_b64 s[2:3], s[16:17]
	s_cbranch_execz .LBB1412_74
.LBB1412_54:
	v_lshlrev_b32_e32 v1, 3, v1
	v_mov_b32_e32 v39, s55
	v_add_co_u32_e32 v38, vcc, s7, v1
	v_addc_co_u32_e32 v39, vcc, 0, v39, vcc
	flat_load_dwordx2 v[38:39], v[38:39]
	s_or_b64 exec, exec, s[2:3]
                                        ; implicit-def: $vgpr40_vgpr41
	s_and_saveexec_b64 s[2:3], s[18:19]
	s_cbranch_execnz .LBB1412_75
.LBB1412_55:
	s_or_b64 exec, exec, s[2:3]
                                        ; implicit-def: $vgpr42_vgpr43
	s_and_saveexec_b64 s[2:3], s[20:21]
	s_cbranch_execz .LBB1412_76
.LBB1412_56:
	v_lshlrev_b32_e32 v1, 3, v44
	v_mov_b32_e32 v43, s55
	v_add_co_u32_e32 v42, vcc, s7, v1
	v_addc_co_u32_e32 v43, vcc, 0, v43, vcc
	flat_load_dwordx2 v[42:43], v[42:43]
	s_or_b64 exec, exec, s[2:3]
                                        ; implicit-def: $vgpr44_vgpr45
	s_and_saveexec_b64 s[2:3], s[22:23]
	s_cbranch_execnz .LBB1412_77
.LBB1412_57:
	s_or_b64 exec, exec, s[2:3]
                                        ; implicit-def: $vgpr46_vgpr47
	s_and_saveexec_b64 s[2:3], s[24:25]
	s_cbranch_execz .LBB1412_78
.LBB1412_58:
	v_lshlrev_b32_e32 v1, 3, v48
	v_mov_b32_e32 v47, s55
	v_add_co_u32_e32 v46, vcc, s7, v1
	v_addc_co_u32_e32 v47, vcc, 0, v47, vcc
	flat_load_dwordx2 v[46:47], v[46:47]
	s_or_b64 exec, exec, s[2:3]
                                        ; implicit-def: $vgpr48_vgpr49
	s_and_saveexec_b64 s[2:3], s[26:27]
	s_cbranch_execnz .LBB1412_79
.LBB1412_59:
	s_or_b64 exec, exec, s[2:3]
                                        ; implicit-def: $vgpr50_vgpr51
	s_and_saveexec_b64 s[2:3], s[28:29]
	s_cbranch_execz .LBB1412_80
.LBB1412_60:
	v_lshlrev_b32_e32 v1, 3, v52
	v_mov_b32_e32 v51, s55
	v_add_co_u32_e32 v50, vcc, s7, v1
	v_addc_co_u32_e32 v51, vcc, 0, v51, vcc
	flat_load_dwordx2 v[50:51], v[50:51]
	s_or_b64 exec, exec, s[2:3]
                                        ; implicit-def: $vgpr52_vgpr53
	s_and_saveexec_b64 s[2:3], s[30:31]
	s_cbranch_execnz .LBB1412_81
.LBB1412_61:
	s_or_b64 exec, exec, s[2:3]
                                        ; implicit-def: $vgpr54_vgpr55
	s_and_saveexec_b64 s[2:3], s[34:35]
	s_cbranch_execz .LBB1412_82
.LBB1412_62:
	v_lshlrev_b32_e32 v1, 3, v56
	v_mov_b32_e32 v55, s55
	v_add_co_u32_e32 v54, vcc, s7, v1
	v_addc_co_u32_e32 v55, vcc, 0, v55, vcc
	flat_load_dwordx2 v[54:55], v[54:55]
	s_or_b64 exec, exec, s[2:3]
                                        ; implicit-def: $vgpr56_vgpr57
	s_and_saveexec_b64 s[2:3], s[36:37]
	s_cbranch_execnz .LBB1412_83
.LBB1412_63:
	s_or_b64 exec, exec, s[2:3]
                                        ; implicit-def: $vgpr58_vgpr59
	s_and_saveexec_b64 s[2:3], s[38:39]
	s_cbranch_execz .LBB1412_84
.LBB1412_64:
	v_lshlrev_b32_e32 v1, 3, v60
	v_mov_b32_e32 v59, s55
	v_add_co_u32_e32 v58, vcc, s7, v1
	v_addc_co_u32_e32 v59, vcc, 0, v59, vcc
	flat_load_dwordx2 v[58:59], v[58:59]
	s_or_b64 exec, exec, s[2:3]
                                        ; implicit-def: $vgpr60_vgpr61
	s_and_saveexec_b64 s[2:3], s[40:41]
	s_cbranch_execz .LBB1412_86
	s_branch .LBB1412_85
.LBB1412_65:
	s_mov_b64 s[10:11], 0
                                        ; implicit-def: $sgpr8_sgpr9
                                        ; implicit-def: $vgpr2_vgpr3
                                        ; implicit-def: $vgpr42_vgpr43
                                        ; implicit-def: $vgpr110
                                        ; implicit-def: $vgpr48_vgpr49
                                        ; implicit-def: $vgpr126
                                        ; implicit-def: $vgpr80_vgpr81
                                        ; implicit-def: $vgpr125
                                        ; implicit-def: $vgpr78_vgpr79
                                        ; implicit-def: $vgpr124
                                        ; implicit-def: $vgpr76_vgpr77
                                        ; implicit-def: $vgpr123
                                        ; implicit-def: $vgpr74_vgpr75
                                        ; implicit-def: $vgpr122
                                        ; implicit-def: $vgpr72_vgpr73
                                        ; implicit-def: $vgpr121
                                        ; implicit-def: $vgpr70_vgpr71
                                        ; implicit-def: $vgpr120
                                        ; implicit-def: $vgpr68_vgpr69
                                        ; implicit-def: $vgpr119
                                        ; implicit-def: $vgpr66_vgpr67
                                        ; implicit-def: $vgpr118
                                        ; implicit-def: $vgpr64_vgpr65
                                        ; implicit-def: $vgpr117
                                        ; implicit-def: $vgpr62_vgpr63
                                        ; implicit-def: $vgpr116
                                        ; implicit-def: $vgpr60_vgpr61
                                        ; implicit-def: $vgpr115
                                        ; implicit-def: $vgpr58_vgpr59
                                        ; implicit-def: $vgpr114
                                        ; implicit-def: $vgpr56_vgpr57
                                        ; implicit-def: $vgpr113
                                        ; implicit-def: $vgpr54_vgpr55
                                        ; implicit-def: $vgpr112
                                        ; implicit-def: $vgpr52_vgpr53
                                        ; implicit-def: $vgpr111
                                        ; implicit-def: $vgpr50_vgpr51
                                        ; implicit-def: $vgpr109
                                        ; implicit-def: $vgpr46_vgpr47
                                        ; implicit-def: $vgpr108
                                        ; implicit-def: $vgpr44_vgpr45
                                        ; implicit-def: $vgpr1
                                        ; implicit-def: $sgpr76
                                        ; implicit-def: $sgpr4_sgpr5
	s_and_b64 vcc, exec, s[2:3]
	s_cbranch_vccz .LBB1412_136
	s_branch .LBB1412_131
.LBB1412_66:
	s_or_b64 exec, exec, s[46:47]
                                        ; implicit-def: $vgpr4_vgpr5
	s_and_saveexec_b64 s[46:47], s[2:3]
	s_cbranch_execz .LBB1412_47
.LBB1412_67:
	v_lshlrev_b32_e32 v4, 3, v0
	v_mov_b32_e32 v5, s55
	v_add_co_u32_e32 v4, vcc, s7, v4
	v_addc_co_u32_e32 v5, vcc, 0, v5, vcc
	flat_load_dwordx2 v[4:5], v[4:5] offset:512
	s_or_b64 exec, exec, s[46:47]
                                        ; implicit-def: $vgpr26_vgpr27
	s_and_saveexec_b64 s[2:3], s[4:5]
	s_cbranch_execnz .LBB1412_48
.LBB1412_68:
	s_or_b64 exec, exec, s[2:3]
                                        ; implicit-def: $vgpr28_vgpr29
	s_and_saveexec_b64 s[2:3], s[44:45]
	s_cbranch_execz .LBB1412_49
.LBB1412_69:
	v_lshlrev_b32_e32 v28, 3, v0
	v_mov_b32_e32 v29, s55
	v_add_co_u32_e32 v28, vcc, s7, v28
	v_addc_co_u32_e32 v29, vcc, 0, v29, vcc
	flat_load_dwordx2 v[28:29], v[28:29] offset:1536
	s_or_b64 exec, exec, s[2:3]
                                        ; implicit-def: $vgpr30_vgpr31
	s_and_saveexec_b64 s[2:3], s[8:9]
	s_cbranch_execnz .LBB1412_50
.LBB1412_70:
	s_or_b64 exec, exec, s[2:3]
                                        ; implicit-def: $vgpr32_vgpr33
	s_and_saveexec_b64 s[2:3], s[10:11]
	s_cbranch_execz .LBB1412_51
.LBB1412_71:
	v_lshlrev_b32_e32 v32, 3, v0
	v_mov_b32_e32 v33, s55
	v_add_co_u32_e32 v32, vcc, s7, v32
	v_addc_co_u32_e32 v33, vcc, 0, v33, vcc
	flat_load_dwordx2 v[32:33], v[32:33] offset:2560
	s_or_b64 exec, exec, s[2:3]
                                        ; implicit-def: $vgpr34_vgpr35
	s_and_saveexec_b64 s[2:3], s[12:13]
	s_cbranch_execnz .LBB1412_52
.LBB1412_72:
	s_or_b64 exec, exec, s[2:3]
                                        ; implicit-def: $vgpr36_vgpr37
	s_and_saveexec_b64 s[2:3], s[14:15]
	s_cbranch_execz .LBB1412_53
.LBB1412_73:
	v_lshlrev_b32_e32 v36, 3, v0
	v_mov_b32_e32 v37, s55
	v_add_co_u32_e32 v36, vcc, s7, v36
	v_addc_co_u32_e32 v37, vcc, 0, v37, vcc
	flat_load_dwordx2 v[36:37], v[36:37] offset:3584
	s_or_b64 exec, exec, s[2:3]
                                        ; implicit-def: $vgpr38_vgpr39
	s_and_saveexec_b64 s[2:3], s[16:17]
	s_cbranch_execnz .LBB1412_54
.LBB1412_74:
	s_or_b64 exec, exec, s[2:3]
                                        ; implicit-def: $vgpr40_vgpr41
	s_and_saveexec_b64 s[2:3], s[18:19]
	s_cbranch_execz .LBB1412_55
.LBB1412_75:
	v_lshlrev_b32_e32 v1, 3, v42
	v_mov_b32_e32 v41, s55
	v_add_co_u32_e32 v40, vcc, s7, v1
	v_addc_co_u32_e32 v41, vcc, 0, v41, vcc
	flat_load_dwordx2 v[40:41], v[40:41]
	s_or_b64 exec, exec, s[2:3]
                                        ; implicit-def: $vgpr42_vgpr43
	s_and_saveexec_b64 s[2:3], s[20:21]
	s_cbranch_execnz .LBB1412_56
.LBB1412_76:
	s_or_b64 exec, exec, s[2:3]
                                        ; implicit-def: $vgpr44_vgpr45
	s_and_saveexec_b64 s[2:3], s[22:23]
	s_cbranch_execz .LBB1412_57
.LBB1412_77:
	v_lshlrev_b32_e32 v1, 3, v46
	v_mov_b32_e32 v45, s55
	v_add_co_u32_e32 v44, vcc, s7, v1
	v_addc_co_u32_e32 v45, vcc, 0, v45, vcc
	flat_load_dwordx2 v[44:45], v[44:45]
	s_or_b64 exec, exec, s[2:3]
                                        ; implicit-def: $vgpr46_vgpr47
	s_and_saveexec_b64 s[2:3], s[24:25]
	s_cbranch_execnz .LBB1412_58
.LBB1412_78:
	s_or_b64 exec, exec, s[2:3]
                                        ; implicit-def: $vgpr48_vgpr49
	s_and_saveexec_b64 s[2:3], s[26:27]
	s_cbranch_execz .LBB1412_59
.LBB1412_79:
	v_lshlrev_b32_e32 v1, 3, v50
	v_mov_b32_e32 v49, s55
	v_add_co_u32_e32 v48, vcc, s7, v1
	v_addc_co_u32_e32 v49, vcc, 0, v49, vcc
	flat_load_dwordx2 v[48:49], v[48:49]
	s_or_b64 exec, exec, s[2:3]
                                        ; implicit-def: $vgpr50_vgpr51
	s_and_saveexec_b64 s[2:3], s[28:29]
	s_cbranch_execnz .LBB1412_60
.LBB1412_80:
	s_or_b64 exec, exec, s[2:3]
                                        ; implicit-def: $vgpr52_vgpr53
	s_and_saveexec_b64 s[2:3], s[30:31]
	s_cbranch_execz .LBB1412_61
.LBB1412_81:
	v_lshlrev_b32_e32 v1, 3, v54
	v_mov_b32_e32 v53, s55
	v_add_co_u32_e32 v52, vcc, s7, v1
	v_addc_co_u32_e32 v53, vcc, 0, v53, vcc
	flat_load_dwordx2 v[52:53], v[52:53]
	s_or_b64 exec, exec, s[2:3]
                                        ; implicit-def: $vgpr54_vgpr55
	s_and_saveexec_b64 s[2:3], s[34:35]
	s_cbranch_execnz .LBB1412_62
.LBB1412_82:
	s_or_b64 exec, exec, s[2:3]
                                        ; implicit-def: $vgpr56_vgpr57
	s_and_saveexec_b64 s[2:3], s[36:37]
	s_cbranch_execz .LBB1412_63
.LBB1412_83:
	v_lshlrev_b32_e32 v1, 3, v58
	v_mov_b32_e32 v57, s55
	v_add_co_u32_e32 v56, vcc, s7, v1
	v_addc_co_u32_e32 v57, vcc, 0, v57, vcc
	flat_load_dwordx2 v[56:57], v[56:57]
	s_or_b64 exec, exec, s[2:3]
                                        ; implicit-def: $vgpr58_vgpr59
	s_and_saveexec_b64 s[2:3], s[38:39]
	s_cbranch_execnz .LBB1412_64
.LBB1412_84:
	s_or_b64 exec, exec, s[2:3]
                                        ; implicit-def: $vgpr60_vgpr61
	s_and_saveexec_b64 s[2:3], s[40:41]
	s_cbranch_execz .LBB1412_86
.LBB1412_85:
	v_lshlrev_b32_e32 v1, 3, v62
	v_mov_b32_e32 v61, s55
	v_add_co_u32_e32 v60, vcc, s7, v1
	v_addc_co_u32_e32 v61, vcc, 0, v61, vcc
	flat_load_dwordx2 v[60:61], v[60:61]
.LBB1412_86:
	s_or_b64 exec, exec, s[2:3]
	v_mul_u32_u24_e32 v83, 21, v0
                                        ; implicit-def: $vgpr62_vgpr63
	s_and_saveexec_b64 s[2:3], s[42:43]
	s_cbranch_execz .LBB1412_88
; %bb.87:
	v_lshlrev_b32_e32 v1, 3, v64
	v_mov_b32_e32 v63, s55
	v_add_co_u32_e32 v62, vcc, s7, v1
	v_addc_co_u32_e32 v63, vcc, 0, v63, vcc
	flat_load_dwordx2 v[62:63], v[62:63]
.LBB1412_88:
	s_or_b64 exec, exec, s[2:3]
	v_lshl_add_u32 v85, v0, 2, v65
	s_waitcnt vmcnt(0) lgkmcnt(0)
	ds_write2st64_b64 v85, v[2:3], v[4:5] offset1:1
	ds_write2st64_b64 v85, v[26:27], v[28:29] offset0:2 offset1:3
	ds_write2st64_b64 v85, v[30:31], v[32:33] offset0:4 offset1:5
	;; [unrolled: 1-line block ×9, first 2 shown]
	ds_write_b64 v85, v[62:63] offset:10240
	v_pk_mov_b32 v[42:43], 0, 0
	v_cmp_gt_u32_e32 vcc, s74, v83
	s_mov_b64 s[10:11], 0
	s_mov_b32 s76, 0
	s_mov_b64 s[2:3], 0
	v_mov_b32_e32 v110, 0
	v_pk_mov_b32 v[48:49], v[42:43], v[42:43] op_sel:[0,1]
	v_mov_b32_e32 v126, 0
	v_pk_mov_b32 v[80:81], v[42:43], v[42:43] op_sel:[0,1]
	;; [unrolled: 2-line block ×19, first 2 shown]
	v_mov_b32_e32 v1, 0
	s_waitcnt lgkmcnt(0)
	; wave barrier
	s_waitcnt lgkmcnt(0)
                                        ; implicit-def: $sgpr8_sgpr9
                                        ; implicit-def: $vgpr2_vgpr3
	s_and_saveexec_b64 s[4:5], vcc
	s_cbranch_execz .LBB1412_130
; %bb.89:
	s_movk_i32 s8, 0xa0
	v_mad_u32_u24 v1, v0, s8, v85
	ds_read_b64 v[2:3], v1
	v_cmp_ne_u32_e32 vcc, v84, v24
	v_mov_b32_e32 v5, s69
	v_add_u32_e32 v4, 1, v83
	v_pk_mov_b32 v[48:49], 0, 0
	s_waitcnt lgkmcnt(0)
	v_cndmask_b32_e32 v43, v3, v5, vcc
	v_mov_b32_e32 v3, s68
	v_cndmask_b32_e64 v1, 0, 1, vcc
	v_cndmask_b32_e32 v42, v2, v3, vcc
	v_cmp_gt_u32_e32 vcc, s74, v4
	s_mov_b64 s[12:13], 0
	v_mov_b32_e32 v110, 0
	v_mov_b32_e32 v126, 0
	v_pk_mov_b32 v[80:81], v[48:49], v[48:49] op_sel:[0,1]
	v_mov_b32_e32 v125, 0
	v_pk_mov_b32 v[78:79], v[48:49], v[48:49] op_sel:[0,1]
	;; [unrolled: 2-line block ×18, first 2 shown]
                                        ; implicit-def: $sgpr14_sgpr15
                                        ; implicit-def: $vgpr2_vgpr3
	s_and_saveexec_b64 s[8:9], vcc
	s_cbranch_execz .LBB1412_129
; %bb.90:
	v_mul_u32_u24_e32 v2, 0xa0, v0
	v_add_u32_e32 v26, v85, v2
	ds_read2_b64 v[2:5], v26 offset0:1 offset1:2
	v_cmp_ne_u32_e32 vcc, v24, v25
	v_mov_b32_e32 v24, s69
	v_add_u32_e32 v27, 2, v83
	v_pk_mov_b32 v[48:49], 0, 0
	s_waitcnt lgkmcnt(0)
	v_cndmask_b32_e32 v45, v3, v24, vcc
	v_mov_b32_e32 v3, s68
	v_cndmask_b32_e64 v108, 0, 1, vcc
	v_cndmask_b32_e32 v44, v2, v3, vcc
	v_cmp_gt_u32_e32 vcc, s74, v27
	s_mov_b64 s[14:15], 0
	v_mov_b32_e32 v110, 0
	v_mov_b32_e32 v126, 0
	v_pk_mov_b32 v[80:81], v[48:49], v[48:49] op_sel:[0,1]
	v_mov_b32_e32 v125, 0
	v_pk_mov_b32 v[78:79], v[48:49], v[48:49] op_sel:[0,1]
	;; [unrolled: 2-line block ×17, first 2 shown]
                                        ; implicit-def: $sgpr16_sgpr17
                                        ; implicit-def: $vgpr2_vgpr3
	s_and_saveexec_b64 s[10:11], vcc
	s_cbranch_execz .LBB1412_128
; %bb.91:
	v_cmp_ne_u32_e32 vcc, v25, v22
	v_mov_b32_e32 v3, s69
	v_add_u32_e32 v2, 3, v83
	v_cndmask_b32_e32 v47, v5, v3, vcc
	v_mov_b32_e32 v3, s68
	v_pk_mov_b32 v[48:49], 0, 0
	v_cndmask_b32_e64 v109, 0, 1, vcc
	v_cndmask_b32_e32 v46, v4, v3, vcc
	v_cmp_gt_u32_e32 vcc, s74, v2
	s_mov_b64 s[16:17], 0
	v_mov_b32_e32 v110, 0
	v_mov_b32_e32 v126, 0
	v_pk_mov_b32 v[80:81], v[48:49], v[48:49] op_sel:[0,1]
	v_mov_b32_e32 v125, 0
	v_pk_mov_b32 v[78:79], v[48:49], v[48:49] op_sel:[0,1]
	;; [unrolled: 2-line block ×16, first 2 shown]
                                        ; implicit-def: $sgpr18_sgpr19
                                        ; implicit-def: $vgpr2_vgpr3
	s_and_saveexec_b64 s[12:13], vcc
	s_cbranch_execz .LBB1412_127
; %bb.92:
	ds_read2_b64 v[2:5], v26 offset0:3 offset1:4
	v_cmp_ne_u32_e32 vcc, v22, v23
	v_mov_b32_e32 v22, s69
	v_add_u32_e32 v24, 4, v83
	v_pk_mov_b32 v[48:49], 0, 0
	s_waitcnt lgkmcnt(0)
	v_cndmask_b32_e32 v51, v3, v22, vcc
	v_mov_b32_e32 v3, s68
	v_cndmask_b32_e64 v111, 0, 1, vcc
	v_cndmask_b32_e32 v50, v2, v3, vcc
	v_cmp_gt_u32_e32 vcc, s74, v24
	s_mov_b64 s[18:19], 0
	v_mov_b32_e32 v110, 0
	v_mov_b32_e32 v126, 0
	v_pk_mov_b32 v[80:81], v[48:49], v[48:49] op_sel:[0,1]
	v_mov_b32_e32 v125, 0
	v_pk_mov_b32 v[78:79], v[48:49], v[48:49] op_sel:[0,1]
	;; [unrolled: 2-line block ×15, first 2 shown]
                                        ; implicit-def: $sgpr20_sgpr21
                                        ; implicit-def: $vgpr2_vgpr3
	s_and_saveexec_b64 s[14:15], vcc
	s_cbranch_execz .LBB1412_126
; %bb.93:
	v_cmp_ne_u32_e32 vcc, v23, v20
	v_mov_b32_e32 v3, s69
	v_add_u32_e32 v2, 5, v83
	v_cndmask_b32_e32 v53, v5, v3, vcc
	v_mov_b32_e32 v3, s68
	v_pk_mov_b32 v[48:49], 0, 0
	v_cndmask_b32_e64 v112, 0, 1, vcc
	v_cndmask_b32_e32 v52, v4, v3, vcc
	v_cmp_gt_u32_e32 vcc, s74, v2
	s_mov_b64 s[20:21], 0
	v_mov_b32_e32 v110, 0
	v_mov_b32_e32 v126, 0
	v_pk_mov_b32 v[80:81], v[48:49], v[48:49] op_sel:[0,1]
	v_mov_b32_e32 v125, 0
	v_pk_mov_b32 v[78:79], v[48:49], v[48:49] op_sel:[0,1]
	;; [unrolled: 2-line block ×14, first 2 shown]
                                        ; implicit-def: $sgpr22_sgpr23
                                        ; implicit-def: $vgpr2_vgpr3
	s_and_saveexec_b64 s[16:17], vcc
	s_cbranch_execz .LBB1412_125
; %bb.94:
	ds_read2_b64 v[2:5], v26 offset0:5 offset1:6
	v_cmp_ne_u32_e32 vcc, v20, v21
	v_mov_b32_e32 v20, s69
	v_add_u32_e32 v22, 6, v83
	v_pk_mov_b32 v[48:49], 0, 0
	s_waitcnt lgkmcnt(0)
	v_cndmask_b32_e32 v55, v3, v20, vcc
	v_mov_b32_e32 v3, s68
	v_cndmask_b32_e64 v113, 0, 1, vcc
	v_cndmask_b32_e32 v54, v2, v3, vcc
	v_cmp_gt_u32_e32 vcc, s74, v22
	s_mov_b64 s[22:23], 0
	v_mov_b32_e32 v110, 0
	v_mov_b32_e32 v126, 0
	v_pk_mov_b32 v[80:81], v[48:49], v[48:49] op_sel:[0,1]
	v_mov_b32_e32 v125, 0
	v_pk_mov_b32 v[78:79], v[48:49], v[48:49] op_sel:[0,1]
	;; [unrolled: 2-line block ×13, first 2 shown]
                                        ; implicit-def: $sgpr24_sgpr25
                                        ; implicit-def: $vgpr2_vgpr3
	s_and_saveexec_b64 s[18:19], vcc
	s_cbranch_execz .LBB1412_124
; %bb.95:
	v_cmp_ne_u32_e32 vcc, v21, v18
	v_mov_b32_e32 v3, s69
	v_add_u32_e32 v2, 7, v83
	v_cndmask_b32_e32 v57, v5, v3, vcc
	v_mov_b32_e32 v3, s68
	v_pk_mov_b32 v[48:49], 0, 0
	v_cndmask_b32_e64 v114, 0, 1, vcc
	v_cndmask_b32_e32 v56, v4, v3, vcc
	v_cmp_gt_u32_e32 vcc, s74, v2
	s_mov_b64 s[24:25], 0
	v_mov_b32_e32 v110, 0
	v_mov_b32_e32 v126, 0
	v_pk_mov_b32 v[80:81], v[48:49], v[48:49] op_sel:[0,1]
	v_mov_b32_e32 v125, 0
	v_pk_mov_b32 v[78:79], v[48:49], v[48:49] op_sel:[0,1]
	;; [unrolled: 2-line block ×12, first 2 shown]
                                        ; implicit-def: $sgpr26_sgpr27
                                        ; implicit-def: $vgpr2_vgpr3
	s_and_saveexec_b64 s[20:21], vcc
	s_cbranch_execz .LBB1412_123
; %bb.96:
	ds_read2_b64 v[2:5], v26 offset0:7 offset1:8
	v_cmp_ne_u32_e32 vcc, v18, v19
	v_mov_b32_e32 v18, s69
	v_add_u32_e32 v20, 8, v83
	v_pk_mov_b32 v[48:49], 0, 0
	s_waitcnt lgkmcnt(0)
	v_cndmask_b32_e32 v59, v3, v18, vcc
	v_mov_b32_e32 v3, s68
	v_cndmask_b32_e64 v115, 0, 1, vcc
	v_cndmask_b32_e32 v58, v2, v3, vcc
	v_cmp_gt_u32_e32 vcc, s74, v20
	s_mov_b64 s[26:27], 0
	v_mov_b32_e32 v110, 0
	v_mov_b32_e32 v126, 0
	v_pk_mov_b32 v[80:81], v[48:49], v[48:49] op_sel:[0,1]
	v_mov_b32_e32 v125, 0
	v_pk_mov_b32 v[78:79], v[48:49], v[48:49] op_sel:[0,1]
	;; [unrolled: 2-line block ×11, first 2 shown]
                                        ; implicit-def: $sgpr28_sgpr29
                                        ; implicit-def: $vgpr2_vgpr3
	s_and_saveexec_b64 s[22:23], vcc
	s_cbranch_execz .LBB1412_122
; %bb.97:
	v_cmp_ne_u32_e32 vcc, v19, v16
	v_mov_b32_e32 v3, s69
	v_add_u32_e32 v2, 9, v83
	v_cndmask_b32_e32 v61, v5, v3, vcc
	v_mov_b32_e32 v3, s68
	v_pk_mov_b32 v[48:49], 0, 0
	v_cndmask_b32_e64 v116, 0, 1, vcc
	v_cndmask_b32_e32 v60, v4, v3, vcc
	v_cmp_gt_u32_e32 vcc, s74, v2
	s_mov_b64 s[28:29], 0
	v_mov_b32_e32 v110, 0
	v_mov_b32_e32 v126, 0
	v_pk_mov_b32 v[80:81], v[48:49], v[48:49] op_sel:[0,1]
	v_mov_b32_e32 v125, 0
	v_pk_mov_b32 v[78:79], v[48:49], v[48:49] op_sel:[0,1]
	;; [unrolled: 2-line block ×10, first 2 shown]
                                        ; implicit-def: $sgpr30_sgpr31
                                        ; implicit-def: $vgpr2_vgpr3
	s_and_saveexec_b64 s[24:25], vcc
	s_cbranch_execz .LBB1412_121
; %bb.98:
	ds_read2_b64 v[2:5], v26 offset0:9 offset1:10
	v_cmp_ne_u32_e32 vcc, v16, v17
	v_mov_b32_e32 v16, s69
	v_add_u32_e32 v18, 10, v83
	v_pk_mov_b32 v[48:49], 0, 0
	s_waitcnt lgkmcnt(0)
	v_cndmask_b32_e32 v63, v3, v16, vcc
	v_mov_b32_e32 v3, s68
	v_cndmask_b32_e64 v117, 0, 1, vcc
	v_cndmask_b32_e32 v62, v2, v3, vcc
	v_cmp_gt_u32_e32 vcc, s74, v18
	s_mov_b64 s[30:31], 0
	v_mov_b32_e32 v110, 0
	v_mov_b32_e32 v126, 0
	v_pk_mov_b32 v[80:81], v[48:49], v[48:49] op_sel:[0,1]
	v_mov_b32_e32 v125, 0
	v_pk_mov_b32 v[78:79], v[48:49], v[48:49] op_sel:[0,1]
	;; [unrolled: 2-line block ×9, first 2 shown]
                                        ; implicit-def: $sgpr34_sgpr35
                                        ; implicit-def: $vgpr2_vgpr3
	s_and_saveexec_b64 s[26:27], vcc
	s_cbranch_execz .LBB1412_120
; %bb.99:
	v_cmp_ne_u32_e32 vcc, v17, v14
	v_mov_b32_e32 v3, s69
	v_add_u32_e32 v2, 11, v83
	v_cndmask_b32_e32 v65, v5, v3, vcc
	v_mov_b32_e32 v3, s68
	v_pk_mov_b32 v[48:49], 0, 0
	v_cndmask_b32_e64 v118, 0, 1, vcc
	v_cndmask_b32_e32 v64, v4, v3, vcc
	v_cmp_gt_u32_e32 vcc, s74, v2
	s_mov_b64 s[34:35], 0
	v_mov_b32_e32 v110, 0
	v_mov_b32_e32 v126, 0
	v_pk_mov_b32 v[80:81], v[48:49], v[48:49] op_sel:[0,1]
	v_mov_b32_e32 v125, 0
	v_pk_mov_b32 v[78:79], v[48:49], v[48:49] op_sel:[0,1]
	;; [unrolled: 2-line block ×8, first 2 shown]
                                        ; implicit-def: $sgpr36_sgpr37
                                        ; implicit-def: $vgpr2_vgpr3
	s_and_saveexec_b64 s[28:29], vcc
	s_cbranch_execz .LBB1412_119
; %bb.100:
	ds_read2_b64 v[2:5], v26 offset0:11 offset1:12
	v_cmp_ne_u32_e32 vcc, v14, v15
	v_mov_b32_e32 v14, s69
	v_add_u32_e32 v16, 12, v83
	v_pk_mov_b32 v[48:49], 0, 0
	s_waitcnt lgkmcnt(0)
	v_cndmask_b32_e32 v67, v3, v14, vcc
	v_mov_b32_e32 v3, s68
	v_cndmask_b32_e64 v119, 0, 1, vcc
	v_cndmask_b32_e32 v66, v2, v3, vcc
	v_cmp_gt_u32_e32 vcc, s74, v16
	s_mov_b64 s[36:37], 0
	v_mov_b32_e32 v110, 0
	v_mov_b32_e32 v126, 0
	v_pk_mov_b32 v[80:81], v[48:49], v[48:49] op_sel:[0,1]
	v_mov_b32_e32 v125, 0
	v_pk_mov_b32 v[78:79], v[48:49], v[48:49] op_sel:[0,1]
	;; [unrolled: 2-line block ×7, first 2 shown]
                                        ; implicit-def: $sgpr38_sgpr39
                                        ; implicit-def: $vgpr2_vgpr3
	s_and_saveexec_b64 s[30:31], vcc
	s_cbranch_execz .LBB1412_118
; %bb.101:
	v_cmp_ne_u32_e32 vcc, v15, v12
	v_mov_b32_e32 v3, s69
	v_add_u32_e32 v2, 13, v83
	v_cndmask_b32_e32 v69, v5, v3, vcc
	v_mov_b32_e32 v3, s68
	v_pk_mov_b32 v[48:49], 0, 0
	v_cndmask_b32_e64 v120, 0, 1, vcc
	v_cndmask_b32_e32 v68, v4, v3, vcc
	v_cmp_gt_u32_e32 vcc, s74, v2
	s_mov_b64 s[38:39], 0
	v_mov_b32_e32 v110, 0
	v_mov_b32_e32 v126, 0
	v_pk_mov_b32 v[80:81], v[48:49], v[48:49] op_sel:[0,1]
	v_mov_b32_e32 v125, 0
	v_pk_mov_b32 v[78:79], v[48:49], v[48:49] op_sel:[0,1]
	;; [unrolled: 2-line block ×6, first 2 shown]
                                        ; implicit-def: $sgpr40_sgpr41
                                        ; implicit-def: $vgpr2_vgpr3
	s_and_saveexec_b64 s[34:35], vcc
	s_cbranch_execz .LBB1412_117
; %bb.102:
	ds_read2_b64 v[2:5], v26 offset0:13 offset1:14
	v_cmp_ne_u32_e32 vcc, v12, v13
	v_mov_b32_e32 v12, s69
	v_add_u32_e32 v14, 14, v83
	v_pk_mov_b32 v[48:49], 0, 0
	s_waitcnt lgkmcnt(0)
	v_cndmask_b32_e32 v71, v3, v12, vcc
	v_mov_b32_e32 v3, s68
	v_cndmask_b32_e64 v121, 0, 1, vcc
	v_cndmask_b32_e32 v70, v2, v3, vcc
	v_cmp_gt_u32_e32 vcc, s74, v14
	s_mov_b64 s[40:41], 0
	v_mov_b32_e32 v110, 0
	v_mov_b32_e32 v126, 0
	v_pk_mov_b32 v[80:81], v[48:49], v[48:49] op_sel:[0,1]
	v_mov_b32_e32 v125, 0
	v_pk_mov_b32 v[78:79], v[48:49], v[48:49] op_sel:[0,1]
	v_mov_b32_e32 v124, 0
	v_pk_mov_b32 v[76:77], v[48:49], v[48:49] op_sel:[0,1]
	v_mov_b32_e32 v123, 0
	v_pk_mov_b32 v[74:75], v[48:49], v[48:49] op_sel:[0,1]
	v_mov_b32_e32 v122, 0
	v_pk_mov_b32 v[72:73], v[48:49], v[48:49] op_sel:[0,1]
                                        ; implicit-def: $sgpr42_sgpr43
                                        ; implicit-def: $vgpr2_vgpr3
	s_and_saveexec_b64 s[36:37], vcc
	s_cbranch_execz .LBB1412_116
; %bb.103:
	v_cmp_ne_u32_e32 vcc, v13, v10
	v_mov_b32_e32 v3, s69
	v_add_u32_e32 v2, 15, v83
	v_cndmask_b32_e32 v73, v5, v3, vcc
	v_mov_b32_e32 v3, s68
	v_pk_mov_b32 v[48:49], 0, 0
	v_cndmask_b32_e64 v122, 0, 1, vcc
	v_cndmask_b32_e32 v72, v4, v3, vcc
	v_cmp_gt_u32_e32 vcc, s74, v2
	s_mov_b64 s[42:43], 0
	v_mov_b32_e32 v110, 0
	v_mov_b32_e32 v126, 0
	v_pk_mov_b32 v[80:81], v[48:49], v[48:49] op_sel:[0,1]
	v_mov_b32_e32 v125, 0
	v_pk_mov_b32 v[78:79], v[48:49], v[48:49] op_sel:[0,1]
	;; [unrolled: 2-line block ×4, first 2 shown]
                                        ; implicit-def: $sgpr44_sgpr45
                                        ; implicit-def: $vgpr2_vgpr3
	s_and_saveexec_b64 s[38:39], vcc
	s_cbranch_execz .LBB1412_115
; %bb.104:
	ds_read2_b64 v[2:5], v26 offset0:15 offset1:16
	v_cmp_ne_u32_e32 vcc, v10, v11
	v_mov_b32_e32 v10, s69
	v_add_u32_e32 v12, 16, v83
	v_pk_mov_b32 v[48:49], 0, 0
	s_waitcnt lgkmcnt(0)
	v_cndmask_b32_e32 v75, v3, v10, vcc
	v_mov_b32_e32 v3, s68
	v_cndmask_b32_e64 v123, 0, 1, vcc
	v_cndmask_b32_e32 v74, v2, v3, vcc
	v_cmp_gt_u32_e32 vcc, s74, v12
	s_mov_b64 s[44:45], 0
	v_mov_b32_e32 v110, 0
	v_mov_b32_e32 v126, 0
	v_pk_mov_b32 v[80:81], v[48:49], v[48:49] op_sel:[0,1]
	v_mov_b32_e32 v125, 0
	v_pk_mov_b32 v[78:79], v[48:49], v[48:49] op_sel:[0,1]
	;; [unrolled: 2-line block ×3, first 2 shown]
                                        ; implicit-def: $sgpr46_sgpr47
                                        ; implicit-def: $vgpr2_vgpr3
	s_and_saveexec_b64 s[40:41], vcc
	s_cbranch_execz .LBB1412_114
; %bb.105:
	v_cmp_ne_u32_e32 vcc, v11, v8
	v_mov_b32_e32 v3, s69
	v_add_u32_e32 v2, 17, v83
	v_cndmask_b32_e32 v77, v5, v3, vcc
	v_mov_b32_e32 v3, s68
	v_pk_mov_b32 v[48:49], 0, 0
	v_cndmask_b32_e64 v124, 0, 1, vcc
	v_cndmask_b32_e32 v76, v4, v3, vcc
	v_cmp_gt_u32_e32 vcc, s74, v2
	s_mov_b64 s[46:47], 0
	v_mov_b32_e32 v110, 0
	v_mov_b32_e32 v126, 0
	v_pk_mov_b32 v[80:81], v[48:49], v[48:49] op_sel:[0,1]
	v_mov_b32_e32 v125, 0
	v_pk_mov_b32 v[78:79], v[48:49], v[48:49] op_sel:[0,1]
                                        ; implicit-def: $sgpr64_sgpr65
                                        ; implicit-def: $vgpr2_vgpr3
	s_and_saveexec_b64 s[42:43], vcc
	s_cbranch_execz .LBB1412_113
; %bb.106:
	ds_read2_b64 v[2:5], v26 offset0:17 offset1:18
	v_cmp_ne_u32_e32 vcc, v8, v9
	v_mov_b32_e32 v8, s69
	v_add_u32_e32 v10, 18, v83
	v_pk_mov_b32 v[48:49], 0, 0
	s_waitcnt lgkmcnt(0)
	v_cndmask_b32_e32 v79, v3, v8, vcc
	v_mov_b32_e32 v3, s68
	v_cndmask_b32_e64 v125, 0, 1, vcc
	v_cndmask_b32_e32 v78, v2, v3, vcc
	v_cmp_gt_u32_e32 vcc, s74, v10
	s_mov_b64 s[64:65], 0
	v_mov_b32_e32 v110, 0
	v_mov_b32_e32 v126, 0
	v_pk_mov_b32 v[80:81], v[48:49], v[48:49] op_sel:[0,1]
                                        ; implicit-def: $sgpr72_sgpr73
                                        ; implicit-def: $vgpr2_vgpr3
	s_and_saveexec_b64 s[44:45], vcc
	s_cbranch_execz .LBB1412_112
; %bb.107:
	v_cmp_ne_u32_e32 vcc, v9, v6
	v_mov_b32_e32 v3, s69
	v_add_u32_e32 v2, 19, v83
	v_cndmask_b32_e32 v81, v5, v3, vcc
	v_mov_b32_e32 v3, s68
	v_cndmask_b32_e64 v126, 0, 1, vcc
	v_cndmask_b32_e32 v80, v4, v3, vcc
	v_cmp_gt_u32_e32 vcc, s74, v2
	v_mov_b32_e32 v110, 0
	v_pk_mov_b32 v[48:49], 0, 0
                                        ; implicit-def: $sgpr72_sgpr73
                                        ; implicit-def: $vgpr2_vgpr3
	s_and_saveexec_b64 s[46:47], vcc
	s_cbranch_execz .LBB1412_111
; %bb.108:
	ds_read2_b64 v[2:5], v26 offset0:19 offset1:20
	v_cmp_ne_u32_e32 vcc, v6, v7
	v_mov_b32_e32 v6, s69
	v_add_u32_e32 v8, 20, v83
	v_cndmask_b32_e64 v110, 0, 1, vcc
	s_waitcnt lgkmcnt(0)
	v_cndmask_b32_e32 v49, v3, v6, vcc
	v_mov_b32_e32 v3, s68
	v_cndmask_b32_e32 v48, v2, v3, vcc
	v_cmp_gt_u32_e32 vcc, s74, v8
                                        ; implicit-def: $sgpr72_sgpr73
                                        ; implicit-def: $vgpr2_vgpr3
	s_and_saveexec_b64 s[74:75], vcc
	s_xor_b64 s[74:75], exec, s[74:75]
; %bb.109:
	v_mov_b32_e32 v2, s69
	v_cmp_ne_u32_e32 vcc, v7, v82
	v_cndmask_b32_e32 v3, v5, v2, vcc
	v_mov_b32_e32 v2, s68
	s_mov_b64 s[64:65], exec
	v_cndmask_b32_e32 v2, v4, v2, vcc
	s_and_b64 s[72:73], vcc, exec
; %bb.110:
	s_or_b64 exec, exec, s[74:75]
	s_and_b64 s[72:73], s[72:73], exec
	s_and_b64 s[64:65], s[64:65], exec
.LBB1412_111:
	s_or_b64 exec, exec, s[46:47]
	s_and_b64 s[72:73], s[72:73], exec
	s_and_b64 s[46:47], s[64:65], exec
.LBB1412_112:
	s_or_b64 exec, exec, s[44:45]
	s_and_b64 s[64:65], s[72:73], exec
	s_and_b64 s[44:45], s[46:47], exec
.LBB1412_113:
	s_or_b64 exec, exec, s[42:43]
	s_and_b64 s[46:47], s[64:65], exec
	s_and_b64 s[42:43], s[44:45], exec
.LBB1412_114:
	s_or_b64 exec, exec, s[40:41]
	s_and_b64 s[44:45], s[46:47], exec
	s_and_b64 s[40:41], s[42:43], exec
.LBB1412_115:
	s_or_b64 exec, exec, s[38:39]
	s_and_b64 s[42:43], s[44:45], exec
	s_and_b64 s[38:39], s[40:41], exec
.LBB1412_116:
	s_or_b64 exec, exec, s[36:37]
	s_and_b64 s[40:41], s[42:43], exec
	s_and_b64 s[36:37], s[38:39], exec
.LBB1412_117:
	s_or_b64 exec, exec, s[34:35]
	s_and_b64 s[38:39], s[40:41], exec
	s_and_b64 s[34:35], s[36:37], exec
.LBB1412_118:
	s_or_b64 exec, exec, s[30:31]
	s_and_b64 s[36:37], s[38:39], exec
	s_and_b64 s[30:31], s[34:35], exec
.LBB1412_119:
	s_or_b64 exec, exec, s[28:29]
	s_and_b64 s[34:35], s[36:37], exec
	s_and_b64 s[28:29], s[30:31], exec
.LBB1412_120:
	s_or_b64 exec, exec, s[26:27]
	s_and_b64 s[30:31], s[34:35], exec
	s_and_b64 s[26:27], s[28:29], exec
.LBB1412_121:
	s_or_b64 exec, exec, s[24:25]
	s_and_b64 s[28:29], s[30:31], exec
	s_and_b64 s[24:25], s[26:27], exec
.LBB1412_122:
	s_or_b64 exec, exec, s[22:23]
	s_and_b64 s[26:27], s[28:29], exec
	s_and_b64 s[22:23], s[24:25], exec
.LBB1412_123:
	s_or_b64 exec, exec, s[20:21]
	s_and_b64 s[24:25], s[26:27], exec
	s_and_b64 s[20:21], s[22:23], exec
.LBB1412_124:
	s_or_b64 exec, exec, s[18:19]
	s_and_b64 s[22:23], s[24:25], exec
	s_and_b64 s[18:19], s[20:21], exec
.LBB1412_125:
	s_or_b64 exec, exec, s[16:17]
	s_and_b64 s[20:21], s[22:23], exec
	s_and_b64 s[16:17], s[18:19], exec
.LBB1412_126:
	s_or_b64 exec, exec, s[14:15]
	s_and_b64 s[18:19], s[20:21], exec
	s_and_b64 s[14:15], s[16:17], exec
.LBB1412_127:
	s_or_b64 exec, exec, s[12:13]
	s_and_b64 s[16:17], s[18:19], exec
	s_and_b64 s[12:13], s[14:15], exec
.LBB1412_128:
	s_or_b64 exec, exec, s[10:11]
	s_and_b64 s[14:15], s[16:17], exec
	s_and_b64 s[10:11], s[12:13], exec
.LBB1412_129:
	s_or_b64 exec, exec, s[8:9]
	s_and_b64 s[8:9], s[14:15], exec
	s_and_b64 s[10:11], s[10:11], exec
.LBB1412_130:
	s_or_b64 exec, exec, s[4:5]
	s_mov_b64 s[4:5], 0
	s_and_b64 vcc, exec, s[2:3]
	s_cbranch_vccz .LBB1412_136
.LBB1412_131:
	v_lshlrev_b32_e32 v2, 2, v0
	v_mov_b32_e32 v1, s61
	v_add_co_u32_e32 v4, vcc, s60, v2
	v_addc_co_u32_e32 v5, vcc, 0, v1, vcc
	s_movk_i32 s4, 0x1000
	flat_load_dword v1, v[4:5]
	flat_load_dword v3, v[4:5] offset:256
	flat_load_dword v6, v[4:5] offset:512
	;; [unrolled: 1-line block ×15, first 2 shown]
	v_add_co_u32_e32 v4, vcc, s4, v4
	v_addc_co_u32_e32 v5, vcc, 0, v5, vcc
	flat_load_dword v20, v[4:5]
	flat_load_dword v21, v[4:5] offset:256
	flat_load_dword v22, v[4:5] offset:512
	;; [unrolled: 1-line block ×4, first 2 shown]
	v_mov_b32_e32 v4, s60
	v_mov_b32_e32 v5, s61
	v_add_co_u32_e32 v4, vcc, 0x1000, v4
	v_addc_co_u32_e32 v5, vcc, 0, v5, vcc
	s_movk_i32 s2, 0x50
	v_cmp_ne_u32_e32 vcc, 63, v0
	s_waitcnt vmcnt(0) lgkmcnt(0)
	ds_write2st64_b32 v2, v1, v3 offset1:1
	ds_write2st64_b32 v2, v6, v7 offset0:2 offset1:3
	ds_write2st64_b32 v2, v8, v9 offset0:4 offset1:5
	;; [unrolled: 1-line block ×9, first 2 shown]
	ds_write_b32 v2, v24 offset:5120
	s_waitcnt lgkmcnt(0)
	; wave barrier
	s_waitcnt lgkmcnt(0)
	flat_load_dword v84, v[4:5] offset:1280
	v_mad_u32_u24 v3, v0, s2, v2
	s_movk_i32 s2, 0xffb0
	ds_read_b32 v1, v3
	ds_read2_b32 v[60:61], v3 offset0:1 offset1:2
	ds_read2_b32 v[58:59], v3 offset0:3 offset1:4
	ds_read2_b32 v[56:57], v3 offset0:5 offset1:6
	ds_read2_b32 v[54:55], v3 offset0:7 offset1:8
	ds_read2_b32 v[52:53], v3 offset0:9 offset1:10
	ds_read2_b32 v[50:51], v3 offset0:11 offset1:12
	ds_read2_b32 v[48:49], v3 offset0:13 offset1:14
	ds_read2_b32 v[46:47], v3 offset0:15 offset1:16
	ds_read2_b32 v[44:45], v3 offset0:17 offset1:18
	ds_read2_b32 v[82:83], v3 offset0:19 offset1:20
	v_mad_i32_i24 v3, v0, s2, v3
	s_waitcnt lgkmcnt(0)
	ds_write_b32 v3, v1 offset:5632
	s_waitcnt lgkmcnt(0)
	; wave barrier
	s_waitcnt lgkmcnt(0)
	s_and_saveexec_b64 s[2:3], vcc
	s_cbranch_execz .LBB1412_133
; %bb.132:
	s_waitcnt vmcnt(0)
	ds_read_b32 v84, v2 offset:5636
.LBB1412_133:
	s_or_b64 exec, exec, s[2:3]
	v_lshlrev_b32_e32 v2, 3, v0
	v_mov_b32_e32 v5, s55
	v_add_co_u32_e32 v4, vcc, s7, v2
	v_addc_co_u32_e32 v5, vcc, 0, v5, vcc
	v_add_co_u32_e32 v22, vcc, s4, v4
	v_addc_co_u32_e32 v23, vcc, 0, v5, vcc
	s_movk_i32 s2, 0x2000
	s_waitcnt lgkmcnt(0)
	; wave barrier
	s_waitcnt lgkmcnt(0)
	flat_load_dwordx2 v[6:7], v[4:5]
	flat_load_dwordx2 v[8:9], v[4:5] offset:512
	flat_load_dwordx2 v[10:11], v[4:5] offset:1024
	;; [unrolled: 1-line block ×7, first 2 shown]
	v_add_co_u32_e32 v4, vcc, s2, v4
	v_addc_co_u32_e32 v5, vcc, 0, v5, vcc
	flat_load_dwordx2 v[24:25], v[22:23]
	flat_load_dwordx2 v[26:27], v[22:23] offset:512
	flat_load_dwordx2 v[28:29], v[22:23] offset:1024
	;; [unrolled: 1-line block ×7, first 2 shown]
	s_nop 0
	flat_load_dwordx2 v[22:23], v[4:5]
	flat_load_dwordx2 v[40:41], v[4:5] offset:512
	flat_load_dwordx2 v[42:43], v[4:5] offset:1024
	;; [unrolled: 1-line block ×4, first 2 shown]
	v_lshl_add_u32 v62, v0, 2, v3
	s_movk_i32 s2, 0xa0
	v_mad_u32_u24 v2, v0, s2, v62
	v_cmp_ne_u32_e32 vcc, v1, v60
	v_cmp_eq_u32_e64 s[2:3], v1, v60
	s_waitcnt vmcnt(0) lgkmcnt(0)
	ds_write2st64_b64 v62, v[6:7], v[8:9] offset1:1
	ds_write2st64_b64 v62, v[10:11], v[12:13] offset0:2 offset1:3
	ds_write2st64_b64 v62, v[14:15], v[16:17] offset0:4 offset1:5
	;; [unrolled: 1-line block ×9, first 2 shown]
	ds_write_b64 v62, v[66:67] offset:10240
	s_waitcnt lgkmcnt(0)
	; wave barrier
	s_waitcnt lgkmcnt(0)
	ds_read2_b64 v[38:41], v2 offset0:1 offset1:2
	ds_read2_b64 v[34:37], v2 offset0:3 offset1:4
	;; [unrolled: 1-line block ×10, first 2 shown]
	v_pk_mov_b32 v[42:43], s[68:69], s[68:69] op_sel:[0,1]
	s_and_saveexec_b64 s[4:5], s[2:3]
	s_cbranch_execz .LBB1412_135
; %bb.134:
	v_mul_u32_u24_e32 v1, 0xa0, v0
	v_add_u32_e32 v1, v62, v1
	ds_read_b64 v[42:43], v1
.LBB1412_135:
	s_or_b64 exec, exec, s[4:5]
	v_cndmask_b32_e64 v1, 0, 1, vcc
	v_cmp_ne_u32_e32 vcc, v60, v61
	v_cmp_ne_u32_e64 s[38:39], v45, v82
	v_cmp_ne_u32_e64 s[40:41], v82, v83
	v_mov_b32_e32 v82, s69
	v_cmp_ne_u32_e64 s[8:9], v59, v56
	v_cmp_ne_u32_e64 s[36:37], v44, v45
	s_waitcnt lgkmcnt(9)
	v_cndmask_b32_e32 v45, v39, v82, vcc
	v_mov_b32_e32 v39, s68
	v_cmp_ne_u32_e64 s[2:3], v61, v58
	v_cmp_ne_u32_e64 s[4:5], v58, v59
	v_cndmask_b32_e64 v112, 0, 1, s[8:9]
	v_cmp_ne_u32_e64 s[10:11], v56, v57
	v_cmp_ne_u32_e64 s[12:13], v57, v54
	;; [unrolled: 1-line block ×12, first 2 shown]
	s_waitcnt lgkmcnt(8)
	v_cndmask_b32_e64 v53, v37, v82, s[8:9]
	v_cndmask_b32_e64 v52, v36, v39, s[8:9]
	v_cmp_ne_u32_e64 s[8:9], v83, v84
	v_cndmask_b32_e64 v108, 0, 1, vcc
	v_cndmask_b32_e64 v109, 0, 1, s[2:3]
	v_cndmask_b32_e64 v111, 0, 1, s[4:5]
	v_cndmask_b32_e64 v113, 0, 1, s[10:11]
	v_cndmask_b32_e64 v114, 0, 1, s[12:13]
	v_cndmask_b32_e64 v115, 0, 1, s[14:15]
	v_cndmask_b32_e64 v116, 0, 1, s[16:17]
	v_cndmask_b32_e64 v117, 0, 1, s[18:19]
	v_cndmask_b32_e64 v118, 0, 1, s[20:21]
	v_cndmask_b32_e64 v119, 0, 1, s[22:23]
	v_cndmask_b32_e64 v120, 0, 1, s[24:25]
	v_cndmask_b32_e64 v121, 0, 1, s[26:27]
	v_cndmask_b32_e64 v122, 0, 1, s[28:29]
	v_cndmask_b32_e64 v123, 0, 1, s[30:31]
	v_cndmask_b32_e64 v124, 0, 1, s[34:35]
	v_cndmask_b32_e64 v125, 0, 1, s[36:37]
	v_cndmask_b32_e64 v126, 0, 1, s[38:39]
	v_cndmask_b32_e64 v110, 0, 1, s[40:41]
	v_cndmask_b32_e32 v44, v38, v39, vcc
	v_cndmask_b32_e64 v47, v41, v82, s[2:3]
	v_cndmask_b32_e64 v46, v40, v39, s[2:3]
	v_cndmask_b32_e64 v51, v35, v82, s[4:5]
	v_cndmask_b32_e64 v50, v34, v39, s[4:5]
	s_waitcnt lgkmcnt(7)
	v_cndmask_b32_e64 v55, v31, v82, s[10:11]
	v_cndmask_b32_e64 v54, v30, v39, s[10:11]
	v_cndmask_b32_e64 v57, v33, v82, s[12:13]
	v_cndmask_b32_e64 v56, v32, v39, s[12:13]
	s_waitcnt lgkmcnt(6)
	;; [unrolled: 5-line block ×8, first 2 shown]
	v_cndmask_b32_e64 v49, v3, v82, s[40:41]
	v_cndmask_b32_e64 v48, v2, v39, s[40:41]
	;; [unrolled: 1-line block ×4, first 2 shown]
	s_mov_b64 s[10:11], -1
                                        ; implicit-def: $sgpr76
                                        ; implicit-def: $sgpr4_sgpr5
.LBB1412_136:
	v_pk_mov_b32 v[82:83], s[4:5], s[4:5] op_sel:[0,1]
	v_mov_b32_e32 v127, s76
	s_and_saveexec_b64 s[2:3], s[10:11]
; %bb.137:
	v_cndmask_b32_e64 v127, 0, 1, s[8:9]
	v_pk_mov_b32 v[82:83], v[2:3], v[2:3] op_sel:[0,1]
; %bb.138:
	s_or_b64 exec, exec, s[2:3]
	v_or_b32_e32 v2, v127, v110
	s_cmp_lg_u32 s6, 0
	v_add_f64 v[84:85], v[44:45], v[42:43]
	v_or_b32_e32 v129, v2, v126
	v_mbcnt_lo_u32_b32 v128, -1, 0
	s_waitcnt lgkmcnt(0)
	; wave barrier
	s_waitcnt lgkmcnt(0)
	s_cbranch_scc0 .LBB1412_201
; %bb.139:
	v_mov_b32_e32 v4, 0
	v_cmp_eq_u16_sdwa s[2:3], v108, v4 src0_sel:BYTE_0 src1_sel:DWORD
	v_cndmask_b32_e64 v3, v45, v85, s[2:3]
	v_cndmask_b32_e64 v2, v44, v84, s[2:3]
	v_add_f64 v[2:3], v[46:47], v[2:3]
	v_cmp_eq_u16_sdwa s[4:5], v109, v4 src0_sel:BYTE_0 src1_sel:DWORD
	v_cndmask_b32_e64 v3, v47, v3, s[4:5]
	v_cndmask_b32_e64 v2, v46, v2, s[4:5]
	v_add_f64 v[2:3], v[50:51], v[2:3]
	;; [unrolled: 4-line block ×10, first 2 shown]
	v_cmp_eq_u16_sdwa s[22:23], v119, v4 src0_sel:BYTE_0 src1_sel:DWORD
	v_cndmask_b32_e64 v3, v67, v3, s[22:23]
	v_cndmask_b32_e64 v2, v66, v2, s[22:23]
	v_cmp_eq_u16_sdwa s[24:25], v120, v4 src0_sel:BYTE_0 src1_sel:DWORD
	v_cmp_eq_u16_sdwa s[26:27], v121, v4 src0_sel:BYTE_0 src1_sel:DWORD
	v_cmp_eq_u16_sdwa s[28:29], v122, v4 src0_sel:BYTE_0 src1_sel:DWORD
	v_cmp_eq_u16_sdwa s[30:31], v123, v4 src0_sel:BYTE_0 src1_sel:DWORD
	v_cmp_eq_u16_sdwa s[34:35], v124, v4 src0_sel:BYTE_0 src1_sel:DWORD
	v_cmp_eq_u16_sdwa s[36:37], v125, v4 src0_sel:BYTE_0 src1_sel:DWORD
	v_cmp_eq_u16_sdwa s[38:39], v126, v4 src0_sel:BYTE_0 src1_sel:DWORD
	v_cmp_eq_u16_sdwa s[40:41], v110, v4 src0_sel:BYTE_0 src1_sel:DWORD
	v_cmp_eq_u16_sdwa vcc, v127, v4 src0_sel:BYTE_0 src1_sel:DWORD
	v_or_b32_e32 v4, v129, v125
	v_add_f64 v[2:3], v[68:69], v[2:3]
	v_or_b32_e32 v4, v4, v124
	v_cndmask_b32_e64 v3, v69, v3, s[24:25]
	v_cndmask_b32_e64 v2, v68, v2, s[24:25]
	v_or_b32_e32 v4, v4, v123
	v_add_f64 v[2:3], v[70:71], v[2:3]
	v_or_b32_e32 v4, v4, v122
	v_cndmask_b32_e64 v3, v71, v3, s[26:27]
	v_cndmask_b32_e64 v2, v70, v2, s[26:27]
	;; [unrolled: 5-line block ×8, first 2 shown]
	v_or_b32_e32 v4, v4, v108
	v_add_f64 v[2:3], v[82:83], v[2:3]
	v_or_b32_e32 v4, v4, v1
	v_mbcnt_hi_u32_b32 v7, -1, v128
	v_cndmask_b32_e32 v3, v83, v3, vcc
	v_cndmask_b32_e32 v2, v82, v2, vcc
	v_and_b32_e32 v6, 1, v4
	v_and_b32_e32 v8, 15, v7
	v_cmp_eq_u32_e32 vcc, 1, v6
	v_mov_b32_dpp v4, v2 row_shr:1 row_mask:0xf bank_mask:0xf
	v_mov_b32_dpp v5, v3 row_shr:1 row_mask:0xf bank_mask:0xf
	;; [unrolled: 1-line block ×3, first 2 shown]
	v_cmp_ne_u32_e64 s[42:43], 0, v8
	v_mov_b32_e32 v9, v6
	s_and_saveexec_b64 s[46:47], s[42:43]
; %bb.140:
	v_add_f64 v[4:5], v[2:3], v[4:5]
	v_cndmask_b32_e32 v2, v4, v2, vcc
	v_and_b32_e32 v4, 1, v10
	v_or_b32_e32 v6, v4, v6
	v_cndmask_b32_e32 v3, v5, v3, vcc
	v_and_b32_e32 v9, 0xffff, v6
; %bb.141:
	s_or_b64 exec, exec, s[46:47]
	v_mov_b32_dpp v4, v2 row_shr:2 row_mask:0xf bank_mask:0xf
	v_mov_b32_dpp v5, v3 row_shr:2 row_mask:0xf bank_mask:0xf
	v_mov_b32_dpp v10, v9 row_shr:2 row_mask:0xf bank_mask:0xf
	v_cmp_lt_u32_e32 vcc, 1, v8
	s_and_saveexec_b64 s[46:47], vcc
; %bb.142:
	v_add_f64 v[4:5], v[2:3], v[4:5]
	v_cmp_eq_u16_e32 vcc, 0, v6
	v_cndmask_b32_e32 v2, v2, v4, vcc
	v_and_b32_e32 v4, 1, v6
	v_cndmask_b32_e32 v3, v3, v5, vcc
	v_cmp_eq_u32_e32 vcc, 1, v4
	v_and_b32_e32 v4, 1, v10
	v_cmp_eq_u32_e64 s[42:43], 1, v4
	s_or_b64 s[42:43], vcc, s[42:43]
	v_cndmask_b32_e64 v6, 0, 1, s[42:43]
	v_cndmask_b32_e64 v9, 0, 1, s[42:43]
; %bb.143:
	s_or_b64 exec, exec, s[46:47]
	v_mov_b32_dpp v4, v2 row_shr:4 row_mask:0xf bank_mask:0xf
	v_mov_b32_dpp v5, v3 row_shr:4 row_mask:0xf bank_mask:0xf
	v_mov_b32_dpp v10, v9 row_shr:4 row_mask:0xf bank_mask:0xf
	v_cmp_lt_u32_e32 vcc, 3, v8
	s_and_saveexec_b64 s[46:47], vcc
; %bb.144:
	v_add_f64 v[4:5], v[2:3], v[4:5]
	v_cmp_eq_u16_e32 vcc, 0, v6
	v_cndmask_b32_e32 v2, v2, v4, vcc
	v_and_b32_e32 v4, 1, v6
	v_cndmask_b32_e32 v3, v3, v5, vcc
	v_cmp_eq_u32_e32 vcc, 1, v4
	v_and_b32_e32 v4, 1, v10
	v_cmp_eq_u32_e64 s[42:43], 1, v4
	s_or_b64 s[42:43], vcc, s[42:43]
	v_cndmask_b32_e64 v6, 0, 1, s[42:43]
	v_cndmask_b32_e64 v9, 0, 1, s[42:43]
	;; [unrolled: 19-line block ×3, first 2 shown]
; %bb.147:
	s_or_b64 exec, exec, s[46:47]
	v_and_b32_e32 v10, 16, v7
	v_mov_b32_dpp v4, v2 row_bcast:15 row_mask:0xf bank_mask:0xf
	v_mov_b32_dpp v5, v3 row_bcast:15 row_mask:0xf bank_mask:0xf
	;; [unrolled: 1-line block ×3, first 2 shown]
	v_cmp_ne_u32_e32 vcc, 0, v10
	s_and_saveexec_b64 s[46:47], vcc
; %bb.148:
	v_add_f64 v[4:5], v[2:3], v[4:5]
	v_cmp_eq_u16_e32 vcc, 0, v6
	v_cndmask_b32_e32 v2, v2, v4, vcc
	v_and_b32_e32 v4, 1, v6
	v_cndmask_b32_e32 v3, v3, v5, vcc
	v_cmp_eq_u32_e32 vcc, 1, v4
	v_and_b32_e32 v4, 1, v8
	v_cmp_eq_u32_e64 s[42:43], 1, v4
	s_or_b64 s[42:43], vcc, s[42:43]
	v_cndmask_b32_e64 v6, 0, 1, s[42:43]
	v_cndmask_b32_e64 v9, 0, 1, s[42:43]
; %bb.149:
	s_or_b64 exec, exec, s[46:47]
	v_mov_b32_dpp v4, v2 row_bcast:31 row_mask:0xf bank_mask:0xf
	v_mov_b32_dpp v5, v3 row_bcast:31 row_mask:0xf bank_mask:0xf
	;; [unrolled: 1-line block ×3, first 2 shown]
	v_cmp_lt_u32_e32 vcc, 31, v7
	s_and_saveexec_b64 s[46:47], vcc
; %bb.150:
	v_add_f64 v[4:5], v[2:3], v[4:5]
	v_cmp_eq_u16_e32 vcc, 0, v6
	v_cndmask_b32_e32 v2, v2, v4, vcc
	v_and_b32_e32 v4, 1, v6
	v_cndmask_b32_e32 v3, v3, v5, vcc
	v_cmp_eq_u32_e32 vcc, 1, v4
	v_and_b32_e32 v4, 1, v8
	v_cmp_eq_u32_e64 s[42:43], 1, v4
	s_or_b64 s[42:43], vcc, s[42:43]
	v_cndmask_b32_e64 v6, 0, 1, s[42:43]
; %bb.151:
	s_or_b64 exec, exec, s[46:47]
	v_cmp_eq_u32_e32 vcc, 63, v0
	s_and_saveexec_b64 s[42:43], vcc
	s_cbranch_execz .LBB1412_153
; %bb.152:
	v_mov_b32_e32 v4, 0
	ds_write_b64 v4, v[2:3]
	ds_write_b8 v4, v6 offset:8
.LBB1412_153:
	s_or_b64 exec, exec, s[42:43]
	v_add_u32_e32 v4, -1, v7
	v_and_b32_e32 v5, 64, v7
	v_cmp_lt_i32_e32 vcc, v4, v5
	v_cndmask_b32_e32 v4, v4, v7, vcc
	v_lshlrev_b32_e32 v4, 2, v4
	v_and_b32_e32 v5, 0xffff, v6
	ds_bpermute_b32 v2, v4, v2
	ds_bpermute_b32 v3, v4, v3
	;; [unrolled: 1-line block ×3, first 2 shown]
	v_cmp_gt_u32_e32 vcc, 64, v0
	s_waitcnt lgkmcnt(0)
	; wave barrier
	s_waitcnt lgkmcnt(0)
	s_and_saveexec_b64 s[60:61], vcc
	s_cbranch_execz .LBB1412_200
; %bb.154:
	v_mov_b32_e32 v9, 0
	ds_read_b64 v[4:5], v9
	ds_read_u8 v17, v9 offset:8
	s_mov_b32 s65, 0
	v_cmp_eq_u32_e64 s[42:43], 0, v7
	s_and_saveexec_b64 s[46:47], s[42:43]
	s_cbranch_execz .LBB1412_156
; %bb.155:
	s_add_i32 s64, s6, 64
	s_lshl_b64 s[72:73], s[64:65], 4
	s_add_u32 s72, s48, s72
	s_addc_u32 s73, s49, s73
	v_mov_b32_e32 v6, s64
	v_mov_b32_e32 v8, 1
	s_waitcnt lgkmcnt(1)
	global_store_dwordx2 v9, v[4:5], s[72:73]
	s_waitcnt lgkmcnt(0)
	global_store_byte v9, v17, s[72:73] offset:8
	s_waitcnt vmcnt(0)
	buffer_wbinvl1_vol
	global_store_byte v6, v8, s[52:53]
.LBB1412_156:
	s_or_b64 exec, exec, s[46:47]
	v_xad_u32 v6, v7, -1, s6
	v_add_u32_e32 v8, 64, v6
	global_load_ubyte v18, v8, s[52:53] glc
	s_waitcnt vmcnt(0)
	v_cmp_eq_u16_e32 vcc, 0, v18
	s_and_saveexec_b64 s[46:47], vcc
	s_cbranch_execz .LBB1412_162
; %bb.157:
	v_mov_b32_e32 v11, s53
	v_add_co_u32_e32 v10, vcc, s52, v8
	v_addc_co_u32_e32 v11, vcc, 0, v11, vcc
	s_mov_b32 s7, 1
	s_mov_b64 s[64:65], 0
.LBB1412_158:                           ; =>This Loop Header: Depth=1
                                        ;     Child Loop BB1412_159 Depth 2
	s_max_u32 s55, s7, 1
.LBB1412_159:                           ;   Parent Loop BB1412_158 Depth=1
                                        ; =>  This Inner Loop Header: Depth=2
	s_add_i32 s55, s55, -1
	s_cmp_eq_u32 s55, 0
	s_sleep 1
	s_cbranch_scc0 .LBB1412_159
; %bb.160:                              ;   in Loop: Header=BB1412_158 Depth=1
	global_load_ubyte v18, v[10:11], off glc
	s_cmp_lt_u32 s7, 32
	s_cselect_b64 s[72:73], -1, 0
	s_cmp_lg_u64 s[72:73], 0
	s_addc_u32 s7, s7, 0
	s_waitcnt vmcnt(0)
	v_cmp_ne_u16_e32 vcc, 0, v18
	s_or_b64 s[64:65], vcc, s[64:65]
	s_andn2_b64 exec, exec, s[64:65]
	s_cbranch_execnz .LBB1412_158
; %bb.161:
	s_or_b64 exec, exec, s[64:65]
.LBB1412_162:
	s_or_b64 exec, exec, s[46:47]
	v_mov_b32_e32 v10, s51
	v_mov_b32_e32 v11, s49
	v_cmp_eq_u16_e32 vcc, 1, v18
	v_cndmask_b32_e32 v10, v10, v11, vcc
	v_mov_b32_e32 v11, s50
	v_mov_b32_e32 v12, s48
	v_cndmask_b32_e32 v11, v11, v12, vcc
	v_lshlrev_b64 v[8:9], 4, v[8:9]
	v_add_co_u32_e32 v8, vcc, v11, v8
	v_addc_co_u32_e32 v9, vcc, v10, v9, vcc
	s_waitcnt lgkmcnt(0)
	buffer_wbinvl1_vol
	global_load_dwordx2 v[12:13], v[8:9], off
	global_load_ubyte v14, v[8:9], off offset:8
	v_cmp_eq_u16_e32 vcc, 2, v18
	v_lshlrev_b64 v[8:9], v7, -1
	v_and_b32_e32 v19, 63, v7
	v_and_b32_e32 v10, vcc_hi, v9
	v_and_b32_e32 v15, vcc_lo, v8
	v_cmp_ne_u32_e32 vcc, 63, v19
	v_addc_co_u32_e32 v11, vcc, 0, v7, vcc
	v_or_b32_e32 v10, 0x80000000, v10
	v_lshlrev_b32_e32 v20, 2, v11
	v_ffbl_b32_e32 v22, v10
	v_add_u32_e32 v22, 32, v22
	v_ffbl_b32_e32 v15, v15
	v_min_u32_e32 v15, v15, v22
	v_cmp_lt_u32_e32 vcc, v19, v15
	s_waitcnt vmcnt(1)
	ds_bpermute_b32 v10, v20, v12
	s_waitcnt vmcnt(0)
	v_and_b32_e32 v30, 1, v14
	ds_bpermute_b32 v11, v20, v13
	ds_bpermute_b32 v21, v20, v30
	s_and_saveexec_b64 s[46:47], vcc
	s_cbranch_execz .LBB1412_164
; %bb.163:
	v_mov_b32_e32 v22, 0
	s_waitcnt lgkmcnt(1)
	v_add_f64 v[10:11], v[12:13], v[10:11]
	v_cmp_eq_u16_sdwa vcc, v14, v22 src0_sel:BYTE_0 src1_sel:DWORD
	v_cndmask_b32_e32 v12, v12, v10, vcc
	s_waitcnt lgkmcnt(0)
	v_and_b32_e32 v10, 1, v21
	v_or_b32_e32 v14, v10, v14
	v_cndmask_b32_e32 v13, v13, v11, vcc
	v_and_b32_e32 v30, 0xff, v14
.LBB1412_164:
	s_or_b64 exec, exec, s[46:47]
	v_cmp_gt_u32_e32 vcc, 62, v19
	s_waitcnt lgkmcnt(2)
	v_cndmask_b32_e64 v10, 0, 1, vcc
	v_lshlrev_b32_e32 v10, 1, v10
	s_waitcnt lgkmcnt(0)
	v_add_lshl_u32 v21, v10, v7, 2
	ds_bpermute_b32 v10, v21, v12
	ds_bpermute_b32 v11, v21, v13
	ds_bpermute_b32 v23, v21, v30
	v_add_u32_e32 v22, 2, v19
	v_cmp_le_u32_e32 vcc, v22, v15
	s_and_saveexec_b64 s[64:65], vcc
	s_cbranch_execz .LBB1412_166
; %bb.165:
	v_mov_b32_e32 v24, 0
	s_waitcnt lgkmcnt(1)
	v_add_f64 v[10:11], v[12:13], v[10:11]
	v_cmp_eq_u16_sdwa vcc, v14, v24 src0_sel:BYTE_0 src1_sel:DWORD
	v_cndmask_b32_e32 v12, v12, v10, vcc
	v_and_b32_e32 v10, 1, v14
	v_cndmask_b32_e32 v13, v13, v11, vcc
	v_cmp_eq_u32_e32 vcc, 1, v10
	s_waitcnt lgkmcnt(0)
	v_and_b32_e32 v10, 1, v23
	v_cmp_eq_u32_e64 s[46:47], 1, v10
	s_or_b64 s[46:47], vcc, s[46:47]
	v_cndmask_b32_e64 v14, 0, 1, s[46:47]
	v_cndmask_b32_e64 v30, 0, 1, s[46:47]
.LBB1412_166:
	s_or_b64 exec, exec, s[64:65]
	v_cmp_gt_u32_e32 vcc, 60, v19
	s_waitcnt lgkmcnt(2)
	v_cndmask_b32_e64 v10, 0, 1, vcc
	v_lshlrev_b32_e32 v10, 2, v10
	s_waitcnt lgkmcnt(0)
	v_add_lshl_u32 v23, v10, v7, 2
	ds_bpermute_b32 v10, v23, v12
	ds_bpermute_b32 v11, v23, v13
	ds_bpermute_b32 v25, v23, v30
	v_add_u32_e32 v24, 4, v19
	v_cmp_le_u32_e32 vcc, v24, v15
	s_and_saveexec_b64 s[64:65], vcc
	s_cbranch_execz .LBB1412_168
; %bb.167:
	v_mov_b32_e32 v26, 0
	s_waitcnt lgkmcnt(1)
	v_add_f64 v[10:11], v[12:13], v[10:11]
	v_cmp_eq_u16_sdwa vcc, v14, v26 src0_sel:BYTE_0 src1_sel:DWORD
	v_cndmask_b32_e32 v12, v12, v10, vcc
	v_and_b32_e32 v10, 1, v14
	v_cndmask_b32_e32 v13, v13, v11, vcc
	v_cmp_eq_u32_e32 vcc, 1, v10
	s_waitcnt lgkmcnt(0)
	v_and_b32_e32 v10, 1, v25
	v_cmp_eq_u32_e64 s[46:47], 1, v10
	s_or_b64 s[46:47], vcc, s[46:47]
	v_cndmask_b32_e64 v14, 0, 1, s[46:47]
	v_cndmask_b32_e64 v30, 0, 1, s[46:47]
.LBB1412_168:
	;; [unrolled: 30-line block ×4, first 2 shown]
	s_or_b64 exec, exec, s[64:65]
	v_cmp_gt_u32_e32 vcc, 32, v19
	s_waitcnt lgkmcnt(2)
	v_cndmask_b32_e64 v10, 0, 1, vcc
	v_lshlrev_b32_e32 v10, 5, v10
	s_waitcnt lgkmcnt(0)
	v_add_lshl_u32 v29, v10, v7, 2
	ds_bpermute_b32 v10, v29, v12
	ds_bpermute_b32 v11, v29, v13
	;; [unrolled: 1-line block ×3, first 2 shown]
	v_add_u32_e32 v31, 32, v19
	v_cmp_le_u32_e32 vcc, v31, v15
	s_and_saveexec_b64 s[64:65], vcc
	s_cbranch_execz .LBB1412_174
; %bb.173:
	v_mov_b32_e32 v15, 0
	s_waitcnt lgkmcnt(1)
	v_add_f64 v[10:11], v[12:13], v[10:11]
	v_cmp_eq_u16_sdwa vcc, v14, v15 src0_sel:BYTE_0 src1_sel:DWORD
	v_cndmask_b32_e32 v12, v12, v10, vcc
	v_and_b32_e32 v10, 1, v14
	s_waitcnt lgkmcnt(0)
	v_and_b32_e32 v7, 1, v7
	v_cndmask_b32_e32 v13, v13, v11, vcc
	v_cmp_eq_u32_e32 vcc, 1, v10
	v_cmp_eq_u32_e64 s[46:47], 1, v7
	s_or_b64 s[46:47], vcc, s[46:47]
	v_cndmask_b32_e64 v14, 0, 1, s[46:47]
.LBB1412_174:
	s_or_b64 exec, exec, s[64:65]
	s_waitcnt lgkmcnt(0)
	v_mov_b32_e32 v7, 0
	v_mov_b32_e32 v32, 2
	s_branch .LBB1412_176
.LBB1412_175:                           ;   in Loop: Header=BB1412_176 Depth=1
	s_or_b64 exec, exec, s[72:73]
	v_add_f64 v[12:13], v[10:11], v[12:13]
	v_cmp_eq_u16_sdwa vcc, v30, v7 src0_sel:BYTE_0 src1_sel:DWORD
	s_waitcnt lgkmcnt(2)
	v_and_b32_e32 v14, 1, v30
	v_cndmask_b32_e32 v13, v11, v13, vcc
	v_cndmask_b32_e32 v12, v10, v12, vcc
	v_cmp_eq_u32_e32 vcc, 1, v14
	s_or_b64 s[46:47], vcc, s[64:65]
	v_subrev_u32_e32 v6, 64, v6
	v_cndmask_b32_e64 v14, 0, 1, s[46:47]
.LBB1412_176:                           ; =>This Loop Header: Depth=1
                                        ;     Child Loop BB1412_179 Depth 2
                                        ;       Child Loop BB1412_180 Depth 3
	v_cmp_ne_u16_sdwa s[46:47], v18, v32 src0_sel:BYTE_0 src1_sel:DWORD
	v_cndmask_b32_e64 v10, 0, 1, s[46:47]
	;;#ASMSTART
	;;#ASMEND
	v_cmp_ne_u32_e32 vcc, 0, v10
	v_mov_b32_e32 v30, v14
	s_cmp_lg_u64 vcc, exec
	v_pk_mov_b32 v[10:11], v[12:13], v[12:13] op_sel:[0,1]
	s_cbranch_scc1 .LBB1412_195
; %bb.177:                              ;   in Loop: Header=BB1412_176 Depth=1
	global_load_ubyte v18, v6, s[52:53] glc
	s_waitcnt vmcnt(0)
	v_cmp_eq_u16_e32 vcc, 0, v18
	s_and_saveexec_b64 s[46:47], vcc
	s_cbranch_execz .LBB1412_183
; %bb.178:                              ;   in Loop: Header=BB1412_176 Depth=1
	v_mov_b32_e32 v13, s53
	v_add_co_u32_e32 v12, vcc, s52, v6
	v_addc_co_u32_e32 v13, vcc, 0, v13, vcc
	s_mov_b32 s7, 1
	s_mov_b64 s[64:65], 0
.LBB1412_179:                           ;   Parent Loop BB1412_176 Depth=1
                                        ; =>  This Loop Header: Depth=2
                                        ;       Child Loop BB1412_180 Depth 3
	s_max_u32 s55, s7, 1
.LBB1412_180:                           ;   Parent Loop BB1412_176 Depth=1
                                        ;     Parent Loop BB1412_179 Depth=2
                                        ; =>    This Inner Loop Header: Depth=3
	s_add_i32 s55, s55, -1
	s_cmp_eq_u32 s55, 0
	s_sleep 1
	s_cbranch_scc0 .LBB1412_180
; %bb.181:                              ;   in Loop: Header=BB1412_179 Depth=2
	global_load_ubyte v18, v[12:13], off glc
	s_cmp_lt_u32 s7, 32
	s_cselect_b64 s[72:73], -1, 0
	s_cmp_lg_u64 s[72:73], 0
	s_addc_u32 s7, s7, 0
	s_waitcnt vmcnt(0)
	v_cmp_ne_u16_e32 vcc, 0, v18
	s_or_b64 s[64:65], vcc, s[64:65]
	s_andn2_b64 exec, exec, s[64:65]
	s_cbranch_execnz .LBB1412_179
; %bb.182:                              ;   in Loop: Header=BB1412_176 Depth=1
	s_or_b64 exec, exec, s[64:65]
.LBB1412_183:                           ;   in Loop: Header=BB1412_176 Depth=1
	s_or_b64 exec, exec, s[46:47]
	v_mov_b32_e32 v12, s51
	v_mov_b32_e32 v13, s49
	v_cmp_eq_u16_e32 vcc, 1, v18
	s_waitcnt lgkmcnt(1)
	v_cndmask_b32_e32 v15, v12, v13, vcc
	v_mov_b32_e32 v12, s50
	v_mov_b32_e32 v13, s48
	v_cndmask_b32_e32 v14, v12, v13, vcc
	v_lshlrev_b64 v[12:13], 4, v[6:7]
	v_add_co_u32_e32 v14, vcc, v14, v12
	v_addc_co_u32_e32 v15, vcc, v15, v13, vcc
	buffer_wbinvl1_vol
	global_load_dwordx2 v[12:13], v[14:15], off
	global_load_ubyte v33, v[14:15], off offset:8
	v_cmp_eq_u16_e32 vcc, 2, v18
	v_and_b32_e32 v14, vcc_hi, v9
	v_or_b32_e32 v14, 0x80000000, v14
	v_ffbl_b32_e32 v37, v14
	v_and_b32_e32 v34, vcc_lo, v8
	v_add_u32_e32 v37, 32, v37
	v_ffbl_b32_e32 v34, v34
	v_min_u32_e32 v34, v34, v37
	v_cmp_lt_u32_e32 vcc, v19, v34
	s_waitcnt vmcnt(1)
	ds_bpermute_b32 v14, v20, v12
	s_waitcnt vmcnt(0) lgkmcnt(1)
	v_and_b32_e32 v35, 1, v33
	ds_bpermute_b32 v15, v20, v13
	ds_bpermute_b32 v36, v20, v35
	s_and_saveexec_b64 s[46:47], vcc
	s_cbranch_execz .LBB1412_185
; %bb.184:                              ;   in Loop: Header=BB1412_176 Depth=1
	s_waitcnt lgkmcnt(1)
	v_add_f64 v[14:15], v[12:13], v[14:15]
	v_cmp_eq_u16_sdwa vcc, v33, v7 src0_sel:BYTE_0 src1_sel:DWORD
	v_cndmask_b32_e32 v12, v12, v14, vcc
	s_waitcnt lgkmcnt(0)
	v_and_b32_e32 v14, 1, v36
	v_or_b32_e32 v33, v14, v33
	v_cndmask_b32_e32 v13, v13, v15, vcc
	v_and_b32_e32 v35, 0xff, v33
.LBB1412_185:                           ;   in Loop: Header=BB1412_176 Depth=1
	s_or_b64 exec, exec, s[46:47]
	s_waitcnt lgkmcnt(2)
	ds_bpermute_b32 v14, v21, v12
	s_waitcnt lgkmcnt(2)
	ds_bpermute_b32 v15, v21, v13
	;; [unrolled: 2-line block ×3, first 2 shown]
	v_and_b32_e32 v37, 1, v33
	v_cmp_le_u32_e32 vcc, v22, v34
	v_cmp_eq_u32_e64 s[64:65], 1, v37
	s_and_saveexec_b64 s[46:47], vcc
	s_cbranch_execz .LBB1412_187
; %bb.186:                              ;   in Loop: Header=BB1412_176 Depth=1
	s_waitcnt lgkmcnt(1)
	v_add_f64 v[14:15], v[12:13], v[14:15]
	v_cmp_eq_u16_sdwa vcc, v33, v7 src0_sel:BYTE_0 src1_sel:DWORD
	v_cndmask_b32_e32 v12, v12, v14, vcc
	s_waitcnt lgkmcnt(0)
	v_and_b32_e32 v14, 1, v36
	v_cndmask_b32_e32 v13, v13, v15, vcc
	v_cmp_eq_u32_e32 vcc, 1, v14
	s_or_b64 s[72:73], s[64:65], vcc
	v_cndmask_b32_e64 v33, 0, 1, s[72:73]
	v_cndmask_b32_e64 v35, 0, 1, s[72:73]
	s_andn2_b64 s[64:65], s[64:65], exec
	s_and_b64 s[72:73], s[72:73], exec
	s_or_b64 s[64:65], s[64:65], s[72:73]
.LBB1412_187:                           ;   in Loop: Header=BB1412_176 Depth=1
	s_or_b64 exec, exec, s[46:47]
	s_waitcnt lgkmcnt(2)
	ds_bpermute_b32 v14, v23, v12
	s_waitcnt lgkmcnt(2)
	ds_bpermute_b32 v15, v23, v13
	s_waitcnt lgkmcnt(2)
	ds_bpermute_b32 v36, v23, v35
	v_cmp_le_u32_e32 vcc, v24, v34
	s_and_saveexec_b64 s[72:73], vcc
	s_cbranch_execz .LBB1412_189
; %bb.188:                              ;   in Loop: Header=BB1412_176 Depth=1
	s_waitcnt lgkmcnt(1)
	v_add_f64 v[14:15], v[12:13], v[14:15]
	v_cmp_eq_u16_sdwa vcc, v33, v7 src0_sel:BYTE_0 src1_sel:DWORD
	v_cndmask_b32_e32 v12, v12, v14, vcc
	v_and_b32_e32 v14, 1, v33
	v_cndmask_b32_e32 v13, v13, v15, vcc
	v_cmp_eq_u32_e32 vcc, 1, v14
	s_waitcnt lgkmcnt(0)
	v_and_b32_e32 v14, 1, v36
	v_cmp_eq_u32_e64 s[46:47], 1, v14
	s_or_b64 s[46:47], vcc, s[46:47]
	v_cndmask_b32_e64 v33, 0, 1, s[46:47]
	v_cndmask_b32_e64 v35, 0, 1, s[46:47]
	s_andn2_b64 s[64:65], s[64:65], exec
	s_and_b64 s[46:47], s[46:47], exec
	s_or_b64 s[64:65], s[64:65], s[46:47]
.LBB1412_189:                           ;   in Loop: Header=BB1412_176 Depth=1
	s_or_b64 exec, exec, s[72:73]
	s_waitcnt lgkmcnt(2)
	ds_bpermute_b32 v14, v25, v12
	s_waitcnt lgkmcnt(2)
	ds_bpermute_b32 v15, v25, v13
	s_waitcnt lgkmcnt(2)
	ds_bpermute_b32 v36, v25, v35
	v_cmp_le_u32_e32 vcc, v26, v34
	s_and_saveexec_b64 s[72:73], vcc
	s_cbranch_execz .LBB1412_191
; %bb.190:                              ;   in Loop: Header=BB1412_176 Depth=1
	s_waitcnt lgkmcnt(1)
	v_add_f64 v[14:15], v[12:13], v[14:15]
	v_cmp_eq_u16_sdwa vcc, v33, v7 src0_sel:BYTE_0 src1_sel:DWORD
	v_cndmask_b32_e32 v12, v12, v14, vcc
	v_and_b32_e32 v14, 1, v33
	v_cndmask_b32_e32 v13, v13, v15, vcc
	v_cmp_eq_u32_e32 vcc, 1, v14
	s_waitcnt lgkmcnt(0)
	v_and_b32_e32 v14, 1, v36
	v_cmp_eq_u32_e64 s[46:47], 1, v14
	s_or_b64 s[46:47], vcc, s[46:47]
	v_cndmask_b32_e64 v33, 0, 1, s[46:47]
	v_cndmask_b32_e64 v35, 0, 1, s[46:47]
	s_andn2_b64 s[64:65], s[64:65], exec
	s_and_b64 s[46:47], s[46:47], exec
	s_or_b64 s[64:65], s[64:65], s[46:47]
.LBB1412_191:                           ;   in Loop: Header=BB1412_176 Depth=1
	s_or_b64 exec, exec, s[72:73]
	s_waitcnt lgkmcnt(2)
	ds_bpermute_b32 v14, v27, v12
	s_waitcnt lgkmcnt(2)
	ds_bpermute_b32 v15, v27, v13
	s_waitcnt lgkmcnt(2)
	ds_bpermute_b32 v36, v27, v35
	v_cmp_le_u32_e32 vcc, v28, v34
	s_and_saveexec_b64 s[72:73], vcc
	s_cbranch_execz .LBB1412_193
; %bb.192:                              ;   in Loop: Header=BB1412_176 Depth=1
	s_waitcnt lgkmcnt(1)
	v_add_f64 v[14:15], v[12:13], v[14:15]
	v_cmp_eq_u16_sdwa vcc, v33, v7 src0_sel:BYTE_0 src1_sel:DWORD
	v_cndmask_b32_e32 v12, v12, v14, vcc
	v_and_b32_e32 v14, 1, v33
	v_cndmask_b32_e32 v13, v13, v15, vcc
	v_cmp_eq_u32_e32 vcc, 1, v14
	s_waitcnt lgkmcnt(0)
	v_and_b32_e32 v14, 1, v36
	v_cmp_eq_u32_e64 s[46:47], 1, v14
	s_or_b64 s[46:47], vcc, s[46:47]
	v_cndmask_b32_e64 v33, 0, 1, s[46:47]
	v_cndmask_b32_e64 v35, 0, 1, s[46:47]
	s_andn2_b64 s[64:65], s[64:65], exec
	s_and_b64 s[46:47], s[46:47], exec
	s_or_b64 s[64:65], s[64:65], s[46:47]
.LBB1412_193:                           ;   in Loop: Header=BB1412_176 Depth=1
	s_or_b64 exec, exec, s[72:73]
	s_waitcnt lgkmcnt(2)
	ds_bpermute_b32 v14, v29, v12
	s_waitcnt lgkmcnt(2)
	ds_bpermute_b32 v15, v29, v13
	ds_bpermute_b32 v35, v29, v35
	v_cmp_le_u32_e32 vcc, v31, v34
	s_and_saveexec_b64 s[72:73], vcc
	s_cbranch_execz .LBB1412_175
; %bb.194:                              ;   in Loop: Header=BB1412_176 Depth=1
	s_waitcnt lgkmcnt(1)
	v_add_f64 v[14:15], v[12:13], v[14:15]
	v_cmp_eq_u16_sdwa vcc, v33, v7 src0_sel:BYTE_0 src1_sel:DWORD
	v_cndmask_b32_e32 v12, v12, v14, vcc
	v_and_b32_e32 v14, 1, v33
	v_cndmask_b32_e32 v13, v13, v15, vcc
	v_cmp_eq_u32_e32 vcc, 1, v14
	s_waitcnt lgkmcnt(0)
	v_and_b32_e32 v14, 1, v35
	v_cmp_eq_u32_e64 s[46:47], 1, v14
	s_or_b64 s[46:47], vcc, s[46:47]
	s_andn2_b64 s[64:65], s[64:65], exec
	s_and_b64 s[46:47], s[46:47], exec
	s_or_b64 s[64:65], s[64:65], s[46:47]
	s_branch .LBB1412_175
.LBB1412_195:                           ;   in Loop: Header=BB1412_176 Depth=1
                                        ; implicit-def: $vgpr14
                                        ; implicit-def: $vgpr12_vgpr13
                                        ; implicit-def: $vgpr18
	s_cbranch_execz .LBB1412_176
; %bb.196:
	s_and_saveexec_b64 s[46:47], s[42:43]
	s_cbranch_execz .LBB1412_198
; %bb.197:
	s_mov_b32 s7, 0
	s_add_i32 s6, s6, 64
	v_mov_b32_e32 v8, 0
	s_lshl_b64 s[42:43], s[6:7], 4
	v_add_f64 v[6:7], v[4:5], v[10:11]
	v_cmp_eq_u16_sdwa vcc, v17, v8 src0_sel:BYTE_0 src1_sel:DWORD
	s_add_u32 s42, s50, s42
	v_cndmask_b32_e32 v5, v5, v7, vcc
	v_cndmask_b32_e32 v4, v4, v6, vcc
	v_or_b32_e32 v6, v17, v30
	s_addc_u32 s43, s51, s43
	v_and_b32_e32 v6, 1, v6
	global_store_dwordx2 v8, v[4:5], s[42:43]
	global_store_byte v8, v6, s[42:43] offset:8
	v_mov_b32_e32 v4, s6
	v_mov_b32_e32 v5, 2
	s_waitcnt vmcnt(0) lgkmcnt(0)
	buffer_wbinvl1_vol
	global_store_byte v4, v5, s[52:53]
.LBB1412_198:
	s_or_b64 exec, exec, s[46:47]
	v_cmp_eq_u32_e32 vcc, 0, v0
	s_and_b64 exec, exec, vcc
	s_cbranch_execz .LBB1412_200
; %bb.199:
	v_mov_b32_e32 v4, 0
	ds_write_b64 v4, v[10:11]
	ds_write_b8 v4, v30 offset:8
.LBB1412_200:
	s_or_b64 exec, exec, s[60:61]
	v_mov_b32_e32 v8, 0
	s_waitcnt lgkmcnt(0)
	; wave barrier
	s_waitcnt lgkmcnt(0)
	ds_read_b64 v[4:5], v8
	v_cmp_eq_u32_sdwa vcc, v16, v8 src0_sel:BYTE_0 src1_sel:DWORD
	s_waitcnt lgkmcnt(0)
	v_add_f64 v[6:7], v[4:5], v[2:3]
	v_cndmask_b32_e32 v2, v2, v6, vcc
	v_cndmask_b32_e32 v3, v3, v7, vcc
	v_cmp_eq_u32_e32 vcc, 0, v0
	v_cndmask_b32_e32 v87, v3, v5, vcc
	v_cndmask_b32_e32 v86, v2, v4, vcc
	v_add_f64 v[2:3], v[42:43], v[86:87]
	v_cmp_eq_u16_sdwa vcc, v1, v8 src0_sel:BYTE_0 src1_sel:DWORD
	v_cndmask_b32_e32 v5, v43, v3, vcc
	v_cndmask_b32_e32 v4, v42, v2, vcc
	v_add_f64 v[2:3], v[44:45], v[4:5]
	v_cndmask_b32_e64 v7, v45, v3, s[2:3]
	v_cndmask_b32_e64 v6, v44, v2, s[2:3]
	v_add_f64 v[2:3], v[46:47], v[6:7]
	v_cndmask_b32_e64 v89, v47, v3, s[4:5]
	v_cndmask_b32_e64 v88, v46, v2, s[4:5]
	;; [unrolled: 3-line block ×19, first 2 shown]
	s_branch .LBB1412_221
.LBB1412_201:
                                        ; implicit-def: $vgpr86_vgpr87
                                        ; implicit-def: $vgpr106_vgpr107
                                        ; implicit-def: $vgpr104_vgpr105
                                        ; implicit-def: $vgpr102_vgpr103
                                        ; implicit-def: $vgpr100_vgpr101
                                        ; implicit-def: $vgpr98_vgpr99
                                        ; implicit-def: $vgpr96_vgpr97
                                        ; implicit-def: $vgpr94_vgpr95
                                        ; implicit-def: $vgpr92_vgpr93
                                        ; implicit-def: $vgpr90_vgpr91
                                        ; implicit-def: $vgpr88_vgpr89
                                        ; implicit-def: $vgpr38_vgpr39_vgpr40_vgpr41
                                        ; implicit-def: $vgpr34_vgpr35_vgpr36_vgpr37
                                        ; implicit-def: $vgpr30_vgpr31_vgpr32_vgpr33
                                        ; implicit-def: $vgpr26_vgpr27_vgpr28_vgpr29
                                        ; implicit-def: $vgpr22_vgpr23_vgpr24_vgpr25
                                        ; implicit-def: $vgpr18_vgpr19_vgpr20_vgpr21
                                        ; implicit-def: $vgpr14_vgpr15_vgpr16_vgpr17
                                        ; implicit-def: $vgpr10_vgpr11_vgpr12_vgpr13
                                        ; implicit-def: $vgpr6_vgpr7_vgpr8_vgpr9
                                        ; implicit-def: $vgpr2_vgpr3_vgpr4_vgpr5
	s_cbranch_execz .LBB1412_221
; %bb.202:
	s_cmp_lg_u64 s[70:71], 0
	s_cselect_b32 s3, s67, 0
	s_cselect_b32 s2, s66, 0
	s_cmp_eq_u64 s[2:3], 0
	v_pk_mov_b32 v[2:3], s[68:69], s[68:69] op_sel:[0,1]
	s_cbranch_scc1 .LBB1412_204
; %bb.203:
	v_mov_b32_e32 v2, 0
	global_load_dwordx2 v[2:3], v2, s[2:3]
.LBB1412_204:
	v_mov_b32_e32 v6, 0
	v_cmp_eq_u16_sdwa vcc, v108, v6 src0_sel:BYTE_0 src1_sel:DWORD
	v_cndmask_b32_e32 v5, v45, v85, vcc
	v_cndmask_b32_e32 v4, v44, v84, vcc
	v_add_f64 v[4:5], v[46:47], v[4:5]
	v_cmp_eq_u16_sdwa s[2:3], v109, v6 src0_sel:BYTE_0 src1_sel:DWORD
	v_cndmask_b32_e64 v5, v47, v5, s[2:3]
	v_cndmask_b32_e64 v4, v46, v4, s[2:3]
	v_add_f64 v[4:5], v[50:51], v[4:5]
	v_cmp_eq_u16_sdwa s[4:5], v111, v6 src0_sel:BYTE_0 src1_sel:DWORD
	v_cndmask_b32_e64 v5, v51, v5, s[4:5]
	v_cndmask_b32_e64 v4, v50, v4, s[4:5]
	;; [unrolled: 4-line block ×10, first 2 shown]
	v_cmp_eq_u16_sdwa s[22:23], v120, v6 src0_sel:BYTE_0 src1_sel:DWORD
	v_cmp_eq_u16_sdwa s[24:25], v121, v6 src0_sel:BYTE_0 src1_sel:DWORD
	;; [unrolled: 1-line block ×9, first 2 shown]
	v_or_b32_e32 v6, v129, v125
	v_add_f64 v[4:5], v[68:69], v[4:5]
	v_or_b32_e32 v6, v6, v124
	v_cndmask_b32_e64 v5, v69, v5, s[22:23]
	v_cndmask_b32_e64 v4, v68, v4, s[22:23]
	v_or_b32_e32 v6, v6, v123
	v_add_f64 v[4:5], v[70:71], v[4:5]
	v_or_b32_e32 v6, v6, v122
	v_cndmask_b32_e64 v5, v71, v5, s[24:25]
	v_cndmask_b32_e64 v4, v70, v4, s[24:25]
	;; [unrolled: 5-line block ×8, first 2 shown]
	v_or_b32_e32 v6, v6, v108
	v_add_f64 v[4:5], v[82:83], v[4:5]
	v_or_b32_e32 v6, v6, v1
	v_mbcnt_hi_u32_b32 v8, -1, v128
	v_cndmask_b32_e64 v5, v83, v5, s[40:41]
	v_cndmask_b32_e64 v4, v82, v4, s[40:41]
	v_and_b32_e32 v9, 1, v6
	v_and_b32_e32 v10, 15, v8
	v_cmp_eq_u32_e64 s[40:41], 1, v9
	v_mov_b32_dpp v6, v4 row_shr:1 row_mask:0xf bank_mask:0xf
	v_mov_b32_dpp v7, v5 row_shr:1 row_mask:0xf bank_mask:0xf
	;; [unrolled: 1-line block ×3, first 2 shown]
	v_cmp_ne_u32_e64 s[42:43], 0, v10
	v_mov_b32_e32 v11, v9
	s_and_saveexec_b64 s[44:45], s[42:43]
; %bb.205:
	v_add_f64 v[6:7], v[4:5], v[6:7]
	v_cndmask_b32_e64 v4, v6, v4, s[40:41]
	v_and_b32_e32 v6, 1, v12
	v_or_b32_e32 v9, v6, v9
	v_cndmask_b32_e64 v5, v7, v5, s[40:41]
	v_and_b32_e32 v11, 0xffff, v9
; %bb.206:
	s_or_b64 exec, exec, s[44:45]
	v_mov_b32_dpp v6, v4 row_shr:2 row_mask:0xf bank_mask:0xf
	v_mov_b32_dpp v7, v5 row_shr:2 row_mask:0xf bank_mask:0xf
	v_mov_b32_dpp v12, v11 row_shr:2 row_mask:0xf bank_mask:0xf
	v_cmp_lt_u32_e64 s[40:41], 1, v10
	s_and_saveexec_b64 s[44:45], s[40:41]
; %bb.207:
	v_add_f64 v[6:7], v[4:5], v[6:7]
	v_cmp_eq_u16_e64 s[40:41], 0, v9
	v_cndmask_b32_e64 v4, v4, v6, s[40:41]
	v_and_b32_e32 v6, 1, v9
	v_cndmask_b32_e64 v5, v5, v7, s[40:41]
	v_cmp_eq_u32_e64 s[40:41], 1, v6
	v_and_b32_e32 v6, 1, v12
	v_cmp_eq_u32_e64 s[42:43], 1, v6
	s_or_b64 s[40:41], s[40:41], s[42:43]
	v_cndmask_b32_e64 v9, 0, 1, s[40:41]
	v_cndmask_b32_e64 v11, 0, 1, s[40:41]
; %bb.208:
	s_or_b64 exec, exec, s[44:45]
	v_mov_b32_dpp v6, v4 row_shr:4 row_mask:0xf bank_mask:0xf
	v_mov_b32_dpp v7, v5 row_shr:4 row_mask:0xf bank_mask:0xf
	v_mov_b32_dpp v12, v11 row_shr:4 row_mask:0xf bank_mask:0xf
	v_cmp_lt_u32_e64 s[40:41], 3, v10
	s_and_saveexec_b64 s[44:45], s[40:41]
; %bb.209:
	v_add_f64 v[6:7], v[4:5], v[6:7]
	v_cmp_eq_u16_e64 s[40:41], 0, v9
	v_cndmask_b32_e64 v4, v4, v6, s[40:41]
	v_and_b32_e32 v6, 1, v9
	v_cndmask_b32_e64 v5, v5, v7, s[40:41]
	v_cmp_eq_u32_e64 s[40:41], 1, v6
	v_and_b32_e32 v6, 1, v12
	v_cmp_eq_u32_e64 s[42:43], 1, v6
	s_or_b64 s[40:41], s[40:41], s[42:43]
	v_cndmask_b32_e64 v9, 0, 1, s[40:41]
	v_cndmask_b32_e64 v11, 0, 1, s[40:41]
	;; [unrolled: 19-line block ×3, first 2 shown]
; %bb.212:
	s_or_b64 exec, exec, s[44:45]
	v_and_b32_e32 v12, 16, v8
	v_mov_b32_dpp v6, v4 row_bcast:15 row_mask:0xf bank_mask:0xf
	v_mov_b32_dpp v7, v5 row_bcast:15 row_mask:0xf bank_mask:0xf
	;; [unrolled: 1-line block ×3, first 2 shown]
	v_cmp_ne_u32_e64 s[40:41], 0, v12
	s_and_saveexec_b64 s[44:45], s[40:41]
; %bb.213:
	v_add_f64 v[6:7], v[4:5], v[6:7]
	v_cmp_eq_u16_e64 s[40:41], 0, v9
	v_cndmask_b32_e64 v4, v4, v6, s[40:41]
	v_and_b32_e32 v6, 1, v9
	v_cndmask_b32_e64 v5, v5, v7, s[40:41]
	v_cmp_eq_u32_e64 s[40:41], 1, v6
	v_and_b32_e32 v6, 1, v10
	v_cmp_eq_u32_e64 s[42:43], 1, v6
	s_or_b64 s[40:41], s[40:41], s[42:43]
	v_cndmask_b32_e64 v9, 0, 1, s[40:41]
	v_cndmask_b32_e64 v11, 0, 1, s[40:41]
; %bb.214:
	s_or_b64 exec, exec, s[44:45]
	v_mov_b32_dpp v6, v4 row_bcast:31 row_mask:0xf bank_mask:0xf
	v_mov_b32_dpp v7, v5 row_bcast:31 row_mask:0xf bank_mask:0xf
	;; [unrolled: 1-line block ×3, first 2 shown]
	v_cmp_lt_u32_e64 s[40:41], 31, v8
	s_and_saveexec_b64 s[44:45], s[40:41]
; %bb.215:
	v_add_f64 v[6:7], v[4:5], v[6:7]
	v_cmp_eq_u16_e64 s[40:41], 0, v9
	v_cndmask_b32_e64 v4, v4, v6, s[40:41]
	v_and_b32_e32 v6, 1, v9
	v_cndmask_b32_e64 v5, v5, v7, s[40:41]
	v_cmp_eq_u32_e64 s[40:41], 1, v6
	v_and_b32_e32 v6, 1, v10
	v_cmp_eq_u32_e64 s[42:43], 1, v6
	s_or_b64 s[40:41], s[40:41], s[42:43]
	v_cndmask_b32_e64 v9, 0, 1, s[40:41]
; %bb.216:
	s_or_b64 exec, exec, s[44:45]
	v_cmp_eq_u32_e64 s[40:41], 63, v0
	s_and_saveexec_b64 s[42:43], s[40:41]
	s_cbranch_execz .LBB1412_218
; %bb.217:
	v_mov_b32_e32 v6, 0
	ds_write_b64 v6, v[4:5]
	ds_write_b8 v6, v9 offset:8
.LBB1412_218:
	s_or_b64 exec, exec, s[42:43]
	s_waitcnt vmcnt(0)
	v_add_f64 v[6:7], v[2:3], v[4:5]
	v_cmp_eq_u16_e64 s[40:41], 0, v9
	v_cndmask_b32_e64 v5, v5, v7, s[40:41]
	v_cndmask_b32_e64 v4, v4, v6, s[40:41]
	v_add_u32_e32 v6, -1, v8
	v_and_b32_e32 v7, 64, v8
	v_cmp_lt_i32_e64 s[40:41], v6, v7
	v_cndmask_b32_e64 v6, v6, v8, s[40:41]
	v_lshlrev_b32_e32 v6, 2, v6
	ds_bpermute_b32 v5, v6, v5
	ds_bpermute_b32 v4, v6, v4
	v_cmp_eq_u32_e64 s[42:43], 0, v8
	v_cmp_eq_u32_e64 s[40:41], 0, v0
	s_or_b64 s[42:43], s[40:41], s[42:43]
	s_waitcnt lgkmcnt(1)
	v_cndmask_b32_e64 v87, v5, v3, s[42:43]
	s_waitcnt lgkmcnt(0)
	v_cndmask_b32_e64 v86, v4, v2, s[42:43]
	v_mov_b32_e32 v8, 0
	v_add_f64 v[4:5], v[42:43], v[86:87]
	v_cmp_eq_u16_sdwa s[42:43], v1, v8 src0_sel:BYTE_0 src1_sel:DWORD
	v_cndmask_b32_e64 v5, v43, v5, s[42:43]
	v_cndmask_b32_e64 v4, v42, v4, s[42:43]
	v_add_f64 v[6:7], v[44:45], v[4:5]
	v_cndmask_b32_e32 v7, v45, v7, vcc
	v_cndmask_b32_e32 v6, v44, v6, vcc
	v_add_f64 v[10:11], v[46:47], v[6:7]
	v_cndmask_b32_e64 v89, v47, v11, s[2:3]
	v_cndmask_b32_e64 v88, v46, v10, s[2:3]
	v_add_f64 v[10:11], v[50:51], v[88:89]
	v_cndmask_b32_e64 v11, v51, v11, s[4:5]
	v_cndmask_b32_e64 v10, v50, v10, s[4:5]
	;; [unrolled: 3-line block ×18, first 2 shown]
	s_waitcnt lgkmcnt(0)
	; wave barrier
	s_and_saveexec_b64 s[2:3], s[40:41]
	s_cbranch_execz .LBB1412_220
; %bb.219:
	ds_read_b64 v[12:13], v8
	ds_read_u8 v1, v8 offset:8
	v_pk_mov_b32 v[86:87], v[2:3], v[2:3] op_sel:[0,1]
	s_waitcnt lgkmcnt(1)
	v_add_f64 v[16:17], v[2:3], v[12:13]
	s_waitcnt lgkmcnt(0)
	v_cmp_eq_u16_e32 vcc, 0, v1
	global_store_byte v8, v1, s[50:51] offset:1032
	v_cndmask_b32_e32 v13, v13, v17, vcc
	v_cndmask_b32_e32 v12, v12, v16, vcc
	v_mov_b32_e32 v1, 2
	global_store_dwordx2 v8, v[12:13], s[50:51] offset:1024
	s_waitcnt vmcnt(0)
	buffer_wbinvl1_vol
	global_store_byte v8, v1, s[52:53] offset:64
.LBB1412_220:
	s_or_b64 exec, exec, s[2:3]
.LBB1412_221:
	s_add_u32 s2, s62, s56
	s_addc_u32 s3, s63, s57
	s_add_u32 s4, s2, s58
	s_addc_u32 s5, s3, s59
	s_and_b64 vcc, exec, s[0:1]
	v_lshlrev_b32_e32 v8, 3, v0
	s_cbranch_vccz .LBB1412_263
; %bb.222:
	s_movk_i32 s0, 0xa8
	v_mul_i32_i24_e32 v12, 0xffffff60, v0
	v_mul_u32_u24_e32 v9, 0xa8, v0
	v_mad_u32_u24 v2, v0, s0, v12
	s_waitcnt lgkmcnt(0)
	; wave barrier
	ds_write2_b64 v9, v[86:87], v[4:5] offset1:1
	ds_write2_b64 v9, v[6:7], v[88:89] offset0:2 offset1:3
	ds_write2_b64 v9, v[10:11], v[90:91] offset0:4 offset1:5
	;; [unrolled: 1-line block ×9, first 2 shown]
	ds_write_b64 v9, v[106:107] offset:160
	s_waitcnt lgkmcnt(0)
	; wave barrier
	s_waitcnt lgkmcnt(0)
	ds_read2st64_b64 v[76:79], v2 offset0:1 offset1:2
	ds_read2st64_b64 v[72:75], v2 offset0:3 offset1:4
	;; [unrolled: 1-line block ×10, first 2 shown]
	v_mov_b32_e32 v3, s5
	v_add_co_u32_e32 v2, vcc, s4, v8
	s_add_i32 s33, s33, s54
	v_addc_co_u32_e32 v3, vcc, 0, v3, vcc
	v_mov_b32_e32 v1, 0
	v_cmp_gt_u32_e32 vcc, s33, v0
	s_and_saveexec_b64 s[0:1], vcc
	s_cbranch_execz .LBB1412_224
; %bb.223:
	v_add_u32_e32 v9, v9, v12
	ds_read_b64 v[12:13], v9
	s_waitcnt lgkmcnt(0)
	flat_store_dwordx2 v[2:3], v[12:13]
.LBB1412_224:
	s_or_b64 exec, exec, s[0:1]
	v_or_b32_e32 v9, 64, v0
	v_cmp_gt_u32_e32 vcc, s33, v9
	s_and_saveexec_b64 s[0:1], vcc
	s_cbranch_execz .LBB1412_226
; %bb.225:
	s_waitcnt lgkmcnt(0)
	flat_store_dwordx2 v[2:3], v[76:77] offset:512
.LBB1412_226:
	s_or_b64 exec, exec, s[0:1]
	v_or_b32_e32 v9, 0x80, v0
	v_cmp_gt_u32_e32 vcc, s33, v9
	s_and_saveexec_b64 s[0:1], vcc
	s_cbranch_execz .LBB1412_228
; %bb.227:
	s_waitcnt lgkmcnt(0)
	flat_store_dwordx2 v[2:3], v[78:79] offset:1024
.LBB1412_228:
	;; [unrolled: 9-line block ×7, first 2 shown]
	s_or_b64 exec, exec, s[0:1]
	v_or_b32_e32 v9, 0x200, v0
	v_cmp_gt_u32_e32 vcc, s33, v9
	s_and_saveexec_b64 s[0:1], vcc
	s_cbranch_execz .LBB1412_240
; %bb.239:
	v_add_co_u32_e32 v12, vcc, 0x1000, v2
	v_addc_co_u32_e32 v13, vcc, 0, v3, vcc
	s_waitcnt lgkmcnt(0)
	flat_store_dwordx2 v[12:13], v[66:67]
.LBB1412_240:
	s_or_b64 exec, exec, s[0:1]
	v_or_b32_e32 v9, 0x240, v0
	v_cmp_gt_u32_e32 vcc, s33, v9
	s_and_saveexec_b64 s[0:1], vcc
	s_cbranch_execz .LBB1412_242
; %bb.241:
	v_add_co_u32_e32 v12, vcc, 0x1000, v2
	v_addc_co_u32_e32 v13, vcc, 0, v3, vcc
	s_waitcnt lgkmcnt(0)
	flat_store_dwordx2 v[12:13], v[60:61] offset:512
.LBB1412_242:
	s_or_b64 exec, exec, s[0:1]
	v_or_b32_e32 v9, 0x280, v0
	v_cmp_gt_u32_e32 vcc, s33, v9
	s_and_saveexec_b64 s[0:1], vcc
	s_cbranch_execz .LBB1412_244
; %bb.243:
	v_add_co_u32_e32 v12, vcc, 0x1000, v2
	v_addc_co_u32_e32 v13, vcc, 0, v3, vcc
	s_waitcnt lgkmcnt(0)
	flat_store_dwordx2 v[12:13], v[62:63] offset:1024
.LBB1412_244:
	;; [unrolled: 11-line block ×7, first 2 shown]
	s_or_b64 exec, exec, s[0:1]
	v_or_b32_e32 v9, 0x400, v0
	v_cmp_gt_u32_e32 vcc, s33, v9
	s_and_saveexec_b64 s[0:1], vcc
	s_cbranch_execz .LBB1412_256
; %bb.255:
	v_add_co_u32_e32 v12, vcc, 0x2000, v2
	v_addc_co_u32_e32 v13, vcc, 0, v3, vcc
	s_waitcnt lgkmcnt(0)
	flat_store_dwordx2 v[12:13], v[50:51]
.LBB1412_256:
	s_or_b64 exec, exec, s[0:1]
	v_or_b32_e32 v9, 0x440, v0
	v_cmp_gt_u32_e32 vcc, s33, v9
	s_and_saveexec_b64 s[0:1], vcc
	s_cbranch_execz .LBB1412_258
; %bb.257:
	v_add_co_u32_e32 v12, vcc, 0x2000, v2
	v_addc_co_u32_e32 v13, vcc, 0, v3, vcc
	s_waitcnt lgkmcnt(0)
	flat_store_dwordx2 v[12:13], v[44:45] offset:512
.LBB1412_258:
	s_or_b64 exec, exec, s[0:1]
	v_or_b32_e32 v9, 0x480, v0
	v_cmp_gt_u32_e32 vcc, s33, v9
	s_and_saveexec_b64 s[0:1], vcc
	s_cbranch_execz .LBB1412_260
; %bb.259:
	v_add_co_u32_e32 v12, vcc, 0x2000, v2
	v_addc_co_u32_e32 v13, vcc, 0, v3, vcc
	s_waitcnt lgkmcnt(0)
	flat_store_dwordx2 v[12:13], v[46:47] offset:1024
.LBB1412_260:
	s_or_b64 exec, exec, s[0:1]
	v_or_b32_e32 v9, 0x4c0, v0
	v_cmp_gt_u32_e32 vcc, s33, v9
	s_and_saveexec_b64 s[0:1], vcc
	s_cbranch_execz .LBB1412_262
; %bb.261:
	v_add_co_u32_e32 v2, vcc, 0x2000, v2
	v_addc_co_u32_e32 v3, vcc, 0, v3, vcc
	s_waitcnt lgkmcnt(0)
	flat_store_dwordx2 v[2:3], v[40:41] offset:1536
.LBB1412_262:
	s_or_b64 exec, exec, s[0:1]
	v_or_b32_e32 v2, 0x500, v0
	v_cmp_gt_u32_e64 s[0:1], s33, v2
	s_branch .LBB1412_265
.LBB1412_263:
	s_mov_b64 s[0:1], 0
                                        ; implicit-def: $vgpr42_vgpr43
	s_cbranch_execz .LBB1412_265
; %bb.264:
	s_movk_i32 s2, 0xa8
	v_mul_u32_u24_e32 v1, 0xa8, v0
	v_mul_i32_i24_e32 v2, 0xffffff60, v0
	s_waitcnt lgkmcnt(0)
	; wave barrier
	s_waitcnt lgkmcnt(0)
	ds_write2_b64 v1, v[86:87], v[4:5] offset1:1
	ds_write2_b64 v1, v[6:7], v[88:89] offset0:2 offset1:3
	ds_write2_b64 v1, v[10:11], v[90:91] offset0:4 offset1:5
	;; [unrolled: 1-line block ×9, first 2 shown]
	ds_write_b64 v1, v[106:107] offset:160
	v_mad_u32_u24 v6, v0, s2, v2
	s_waitcnt lgkmcnt(0)
	; wave barrier
	s_waitcnt lgkmcnt(0)
	ds_read2st64_b64 v[2:5], v6 offset1:1
	ds_read2st64_b64 v[10:13], v6 offset0:2 offset1:3
	ds_read2st64_b64 v[14:17], v6 offset0:4 offset1:5
	;; [unrolled: 1-line block ×9, first 2 shown]
	ds_read_b64 v[42:43], v6 offset:10240
	v_mov_b32_e32 v7, s5
	v_add_co_u32_e32 v6, vcc, s4, v8
	v_addc_co_u32_e32 v7, vcc, 0, v7, vcc
	s_movk_i32 s2, 0x1000
	s_waitcnt lgkmcnt(0)
	flat_store_dwordx2 v[6:7], v[2:3]
	flat_store_dwordx2 v[6:7], v[4:5] offset:512
	flat_store_dwordx2 v[6:7], v[10:11] offset:1024
	;; [unrolled: 1-line block ×7, first 2 shown]
	v_add_co_u32_e32 v2, vcc, s2, v6
	v_addc_co_u32_e32 v3, vcc, 0, v7, vcc
	flat_store_dwordx2 v[2:3], v[22:23]
	flat_store_dwordx2 v[2:3], v[24:25] offset:512
	flat_store_dwordx2 v[2:3], v[26:27] offset:1024
	;; [unrolled: 1-line block ×7, first 2 shown]
	v_add_co_u32_e32 v2, vcc, 0x2000, v6
	v_mov_b32_e32 v1, 0
	v_addc_co_u32_e32 v3, vcc, 0, v7, vcc
	s_or_b64 s[0:1], s[0:1], exec
	flat_store_dwordx2 v[2:3], v[38:39]
	flat_store_dwordx2 v[2:3], v[40:41] offset:512
	flat_store_dwordx2 v[2:3], v[44:45] offset:1024
	;; [unrolled: 1-line block ×3, first 2 shown]
.LBB1412_265:
	s_and_saveexec_b64 s[2:3], s[0:1]
	s_cbranch_execz .LBB1412_267
; %bb.266:
	v_lshlrev_b64 v[0:1], 3, v[0:1]
	v_mov_b32_e32 v2, s5
	v_add_co_u32_e32 v0, vcc, s4, v0
	v_addc_co_u32_e32 v1, vcc, v2, v1, vcc
	v_add_co_u32_e32 v0, vcc, 0x2000, v0
	v_addc_co_u32_e32 v1, vcc, 0, v1, vcc
	s_waitcnt lgkmcnt(0)
	flat_store_dwordx2 v[0:1], v[42:43] offset:2048
	s_endpgm
.LBB1412_267:
	s_endpgm
	.section	.rodata,"a",@progbits
	.p2align	6, 0x0
	.amdhsa_kernel _ZN7rocprim17ROCPRIM_400000_NS6detail17trampoline_kernelINS0_14default_configENS1_27scan_by_key_config_selectorIidEEZZNS1_16scan_by_key_implILNS1_25lookback_scan_determinismE0ELb1ES3_N6thrust23THRUST_200600_302600_NS6detail15normal_iteratorINS9_10device_ptrIiEEEENSB_INSC_IdEEEESG_dNS9_4plusIvEENS9_8equal_toIvEEdEE10hipError_tPvRmT2_T3_T4_T5_mT6_T7_P12ihipStream_tbENKUlT_T0_E_clISt17integral_constantIbLb1EES10_IbLb0EEEEDaSW_SX_EUlSW_E_NS1_11comp_targetILNS1_3genE4ELNS1_11target_archE910ELNS1_3gpuE8ELNS1_3repE0EEENS1_30default_config_static_selectorELNS0_4arch9wavefront6targetE1EEEvT1_
		.amdhsa_group_segment_fixed_size 10752
		.amdhsa_private_segment_fixed_size 0
		.amdhsa_kernarg_size 136
		.amdhsa_user_sgpr_count 6
		.amdhsa_user_sgpr_private_segment_buffer 1
		.amdhsa_user_sgpr_dispatch_ptr 0
		.amdhsa_user_sgpr_queue_ptr 0
		.amdhsa_user_sgpr_kernarg_segment_ptr 1
		.amdhsa_user_sgpr_dispatch_id 0
		.amdhsa_user_sgpr_flat_scratch_init 0
		.amdhsa_user_sgpr_kernarg_preload_length 0
		.amdhsa_user_sgpr_kernarg_preload_offset 0
		.amdhsa_user_sgpr_private_segment_size 0
		.amdhsa_uses_dynamic_stack 0
		.amdhsa_system_sgpr_private_segment_wavefront_offset 0
		.amdhsa_system_sgpr_workgroup_id_x 1
		.amdhsa_system_sgpr_workgroup_id_y 0
		.amdhsa_system_sgpr_workgroup_id_z 0
		.amdhsa_system_sgpr_workgroup_info 0
		.amdhsa_system_vgpr_workitem_id 0
		.amdhsa_next_free_vgpr 130
		.amdhsa_next_free_sgpr 77
		.amdhsa_accum_offset 132
		.amdhsa_reserve_vcc 1
		.amdhsa_reserve_flat_scratch 0
		.amdhsa_float_round_mode_32 0
		.amdhsa_float_round_mode_16_64 0
		.amdhsa_float_denorm_mode_32 3
		.amdhsa_float_denorm_mode_16_64 3
		.amdhsa_dx10_clamp 1
		.amdhsa_ieee_mode 1
		.amdhsa_fp16_overflow 0
		.amdhsa_tg_split 0
		.amdhsa_exception_fp_ieee_invalid_op 0
		.amdhsa_exception_fp_denorm_src 0
		.amdhsa_exception_fp_ieee_div_zero 0
		.amdhsa_exception_fp_ieee_overflow 0
		.amdhsa_exception_fp_ieee_underflow 0
		.amdhsa_exception_fp_ieee_inexact 0
		.amdhsa_exception_int_div_zero 0
	.end_amdhsa_kernel
	.section	.text._ZN7rocprim17ROCPRIM_400000_NS6detail17trampoline_kernelINS0_14default_configENS1_27scan_by_key_config_selectorIidEEZZNS1_16scan_by_key_implILNS1_25lookback_scan_determinismE0ELb1ES3_N6thrust23THRUST_200600_302600_NS6detail15normal_iteratorINS9_10device_ptrIiEEEENSB_INSC_IdEEEESG_dNS9_4plusIvEENS9_8equal_toIvEEdEE10hipError_tPvRmT2_T3_T4_T5_mT6_T7_P12ihipStream_tbENKUlT_T0_E_clISt17integral_constantIbLb1EES10_IbLb0EEEEDaSW_SX_EUlSW_E_NS1_11comp_targetILNS1_3genE4ELNS1_11target_archE910ELNS1_3gpuE8ELNS1_3repE0EEENS1_30default_config_static_selectorELNS0_4arch9wavefront6targetE1EEEvT1_,"axG",@progbits,_ZN7rocprim17ROCPRIM_400000_NS6detail17trampoline_kernelINS0_14default_configENS1_27scan_by_key_config_selectorIidEEZZNS1_16scan_by_key_implILNS1_25lookback_scan_determinismE0ELb1ES3_N6thrust23THRUST_200600_302600_NS6detail15normal_iteratorINS9_10device_ptrIiEEEENSB_INSC_IdEEEESG_dNS9_4plusIvEENS9_8equal_toIvEEdEE10hipError_tPvRmT2_T3_T4_T5_mT6_T7_P12ihipStream_tbENKUlT_T0_E_clISt17integral_constantIbLb1EES10_IbLb0EEEEDaSW_SX_EUlSW_E_NS1_11comp_targetILNS1_3genE4ELNS1_11target_archE910ELNS1_3gpuE8ELNS1_3repE0EEENS1_30default_config_static_selectorELNS0_4arch9wavefront6targetE1EEEvT1_,comdat
.Lfunc_end1412:
	.size	_ZN7rocprim17ROCPRIM_400000_NS6detail17trampoline_kernelINS0_14default_configENS1_27scan_by_key_config_selectorIidEEZZNS1_16scan_by_key_implILNS1_25lookback_scan_determinismE0ELb1ES3_N6thrust23THRUST_200600_302600_NS6detail15normal_iteratorINS9_10device_ptrIiEEEENSB_INSC_IdEEEESG_dNS9_4plusIvEENS9_8equal_toIvEEdEE10hipError_tPvRmT2_T3_T4_T5_mT6_T7_P12ihipStream_tbENKUlT_T0_E_clISt17integral_constantIbLb1EES10_IbLb0EEEEDaSW_SX_EUlSW_E_NS1_11comp_targetILNS1_3genE4ELNS1_11target_archE910ELNS1_3gpuE8ELNS1_3repE0EEENS1_30default_config_static_selectorELNS0_4arch9wavefront6targetE1EEEvT1_, .Lfunc_end1412-_ZN7rocprim17ROCPRIM_400000_NS6detail17trampoline_kernelINS0_14default_configENS1_27scan_by_key_config_selectorIidEEZZNS1_16scan_by_key_implILNS1_25lookback_scan_determinismE0ELb1ES3_N6thrust23THRUST_200600_302600_NS6detail15normal_iteratorINS9_10device_ptrIiEEEENSB_INSC_IdEEEESG_dNS9_4plusIvEENS9_8equal_toIvEEdEE10hipError_tPvRmT2_T3_T4_T5_mT6_T7_P12ihipStream_tbENKUlT_T0_E_clISt17integral_constantIbLb1EES10_IbLb0EEEEDaSW_SX_EUlSW_E_NS1_11comp_targetILNS1_3genE4ELNS1_11target_archE910ELNS1_3gpuE8ELNS1_3repE0EEENS1_30default_config_static_selectorELNS0_4arch9wavefront6targetE1EEEvT1_
                                        ; -- End function
	.section	.AMDGPU.csdata,"",@progbits
; Kernel info:
; codeLenInByte = 16804
; NumSgprs: 81
; NumVgprs: 130
; NumAgprs: 0
; TotalNumVgprs: 130
; ScratchSize: 0
; MemoryBound: 0
; FloatMode: 240
; IeeeMode: 1
; LDSByteSize: 10752 bytes/workgroup (compile time only)
; SGPRBlocks: 10
; VGPRBlocks: 16
; NumSGPRsForWavesPerEU: 81
; NumVGPRsForWavesPerEU: 130
; AccumOffset: 132
; Occupancy: 2
; WaveLimiterHint : 1
; COMPUTE_PGM_RSRC2:SCRATCH_EN: 0
; COMPUTE_PGM_RSRC2:USER_SGPR: 6
; COMPUTE_PGM_RSRC2:TRAP_HANDLER: 0
; COMPUTE_PGM_RSRC2:TGID_X_EN: 1
; COMPUTE_PGM_RSRC2:TGID_Y_EN: 0
; COMPUTE_PGM_RSRC2:TGID_Z_EN: 0
; COMPUTE_PGM_RSRC2:TIDIG_COMP_CNT: 0
; COMPUTE_PGM_RSRC3_GFX90A:ACCUM_OFFSET: 32
; COMPUTE_PGM_RSRC3_GFX90A:TG_SPLIT: 0
	.section	.text._ZN7rocprim17ROCPRIM_400000_NS6detail17trampoline_kernelINS0_14default_configENS1_27scan_by_key_config_selectorIidEEZZNS1_16scan_by_key_implILNS1_25lookback_scan_determinismE0ELb1ES3_N6thrust23THRUST_200600_302600_NS6detail15normal_iteratorINS9_10device_ptrIiEEEENSB_INSC_IdEEEESG_dNS9_4plusIvEENS9_8equal_toIvEEdEE10hipError_tPvRmT2_T3_T4_T5_mT6_T7_P12ihipStream_tbENKUlT_T0_E_clISt17integral_constantIbLb1EES10_IbLb0EEEEDaSW_SX_EUlSW_E_NS1_11comp_targetILNS1_3genE3ELNS1_11target_archE908ELNS1_3gpuE7ELNS1_3repE0EEENS1_30default_config_static_selectorELNS0_4arch9wavefront6targetE1EEEvT1_,"axG",@progbits,_ZN7rocprim17ROCPRIM_400000_NS6detail17trampoline_kernelINS0_14default_configENS1_27scan_by_key_config_selectorIidEEZZNS1_16scan_by_key_implILNS1_25lookback_scan_determinismE0ELb1ES3_N6thrust23THRUST_200600_302600_NS6detail15normal_iteratorINS9_10device_ptrIiEEEENSB_INSC_IdEEEESG_dNS9_4plusIvEENS9_8equal_toIvEEdEE10hipError_tPvRmT2_T3_T4_T5_mT6_T7_P12ihipStream_tbENKUlT_T0_E_clISt17integral_constantIbLb1EES10_IbLb0EEEEDaSW_SX_EUlSW_E_NS1_11comp_targetILNS1_3genE3ELNS1_11target_archE908ELNS1_3gpuE7ELNS1_3repE0EEENS1_30default_config_static_selectorELNS0_4arch9wavefront6targetE1EEEvT1_,comdat
	.protected	_ZN7rocprim17ROCPRIM_400000_NS6detail17trampoline_kernelINS0_14default_configENS1_27scan_by_key_config_selectorIidEEZZNS1_16scan_by_key_implILNS1_25lookback_scan_determinismE0ELb1ES3_N6thrust23THRUST_200600_302600_NS6detail15normal_iteratorINS9_10device_ptrIiEEEENSB_INSC_IdEEEESG_dNS9_4plusIvEENS9_8equal_toIvEEdEE10hipError_tPvRmT2_T3_T4_T5_mT6_T7_P12ihipStream_tbENKUlT_T0_E_clISt17integral_constantIbLb1EES10_IbLb0EEEEDaSW_SX_EUlSW_E_NS1_11comp_targetILNS1_3genE3ELNS1_11target_archE908ELNS1_3gpuE7ELNS1_3repE0EEENS1_30default_config_static_selectorELNS0_4arch9wavefront6targetE1EEEvT1_ ; -- Begin function _ZN7rocprim17ROCPRIM_400000_NS6detail17trampoline_kernelINS0_14default_configENS1_27scan_by_key_config_selectorIidEEZZNS1_16scan_by_key_implILNS1_25lookback_scan_determinismE0ELb1ES3_N6thrust23THRUST_200600_302600_NS6detail15normal_iteratorINS9_10device_ptrIiEEEENSB_INSC_IdEEEESG_dNS9_4plusIvEENS9_8equal_toIvEEdEE10hipError_tPvRmT2_T3_T4_T5_mT6_T7_P12ihipStream_tbENKUlT_T0_E_clISt17integral_constantIbLb1EES10_IbLb0EEEEDaSW_SX_EUlSW_E_NS1_11comp_targetILNS1_3genE3ELNS1_11target_archE908ELNS1_3gpuE7ELNS1_3repE0EEENS1_30default_config_static_selectorELNS0_4arch9wavefront6targetE1EEEvT1_
	.globl	_ZN7rocprim17ROCPRIM_400000_NS6detail17trampoline_kernelINS0_14default_configENS1_27scan_by_key_config_selectorIidEEZZNS1_16scan_by_key_implILNS1_25lookback_scan_determinismE0ELb1ES3_N6thrust23THRUST_200600_302600_NS6detail15normal_iteratorINS9_10device_ptrIiEEEENSB_INSC_IdEEEESG_dNS9_4plusIvEENS9_8equal_toIvEEdEE10hipError_tPvRmT2_T3_T4_T5_mT6_T7_P12ihipStream_tbENKUlT_T0_E_clISt17integral_constantIbLb1EES10_IbLb0EEEEDaSW_SX_EUlSW_E_NS1_11comp_targetILNS1_3genE3ELNS1_11target_archE908ELNS1_3gpuE7ELNS1_3repE0EEENS1_30default_config_static_selectorELNS0_4arch9wavefront6targetE1EEEvT1_
	.p2align	8
	.type	_ZN7rocprim17ROCPRIM_400000_NS6detail17trampoline_kernelINS0_14default_configENS1_27scan_by_key_config_selectorIidEEZZNS1_16scan_by_key_implILNS1_25lookback_scan_determinismE0ELb1ES3_N6thrust23THRUST_200600_302600_NS6detail15normal_iteratorINS9_10device_ptrIiEEEENSB_INSC_IdEEEESG_dNS9_4plusIvEENS9_8equal_toIvEEdEE10hipError_tPvRmT2_T3_T4_T5_mT6_T7_P12ihipStream_tbENKUlT_T0_E_clISt17integral_constantIbLb1EES10_IbLb0EEEEDaSW_SX_EUlSW_E_NS1_11comp_targetILNS1_3genE3ELNS1_11target_archE908ELNS1_3gpuE7ELNS1_3repE0EEENS1_30default_config_static_selectorELNS0_4arch9wavefront6targetE1EEEvT1_,@function
_ZN7rocprim17ROCPRIM_400000_NS6detail17trampoline_kernelINS0_14default_configENS1_27scan_by_key_config_selectorIidEEZZNS1_16scan_by_key_implILNS1_25lookback_scan_determinismE0ELb1ES3_N6thrust23THRUST_200600_302600_NS6detail15normal_iteratorINS9_10device_ptrIiEEEENSB_INSC_IdEEEESG_dNS9_4plusIvEENS9_8equal_toIvEEdEE10hipError_tPvRmT2_T3_T4_T5_mT6_T7_P12ihipStream_tbENKUlT_T0_E_clISt17integral_constantIbLb1EES10_IbLb0EEEEDaSW_SX_EUlSW_E_NS1_11comp_targetILNS1_3genE3ELNS1_11target_archE908ELNS1_3gpuE7ELNS1_3repE0EEENS1_30default_config_static_selectorELNS0_4arch9wavefront6targetE1EEEvT1_: ; @_ZN7rocprim17ROCPRIM_400000_NS6detail17trampoline_kernelINS0_14default_configENS1_27scan_by_key_config_selectorIidEEZZNS1_16scan_by_key_implILNS1_25lookback_scan_determinismE0ELb1ES3_N6thrust23THRUST_200600_302600_NS6detail15normal_iteratorINS9_10device_ptrIiEEEENSB_INSC_IdEEEESG_dNS9_4plusIvEENS9_8equal_toIvEEdEE10hipError_tPvRmT2_T3_T4_T5_mT6_T7_P12ihipStream_tbENKUlT_T0_E_clISt17integral_constantIbLb1EES10_IbLb0EEEEDaSW_SX_EUlSW_E_NS1_11comp_targetILNS1_3genE3ELNS1_11target_archE908ELNS1_3gpuE7ELNS1_3repE0EEENS1_30default_config_static_selectorELNS0_4arch9wavefront6targetE1EEEvT1_
; %bb.0:
	.section	.rodata,"a",@progbits
	.p2align	6, 0x0
	.amdhsa_kernel _ZN7rocprim17ROCPRIM_400000_NS6detail17trampoline_kernelINS0_14default_configENS1_27scan_by_key_config_selectorIidEEZZNS1_16scan_by_key_implILNS1_25lookback_scan_determinismE0ELb1ES3_N6thrust23THRUST_200600_302600_NS6detail15normal_iteratorINS9_10device_ptrIiEEEENSB_INSC_IdEEEESG_dNS9_4plusIvEENS9_8equal_toIvEEdEE10hipError_tPvRmT2_T3_T4_T5_mT6_T7_P12ihipStream_tbENKUlT_T0_E_clISt17integral_constantIbLb1EES10_IbLb0EEEEDaSW_SX_EUlSW_E_NS1_11comp_targetILNS1_3genE3ELNS1_11target_archE908ELNS1_3gpuE7ELNS1_3repE0EEENS1_30default_config_static_selectorELNS0_4arch9wavefront6targetE1EEEvT1_
		.amdhsa_group_segment_fixed_size 0
		.amdhsa_private_segment_fixed_size 0
		.amdhsa_kernarg_size 136
		.amdhsa_user_sgpr_count 6
		.amdhsa_user_sgpr_private_segment_buffer 1
		.amdhsa_user_sgpr_dispatch_ptr 0
		.amdhsa_user_sgpr_queue_ptr 0
		.amdhsa_user_sgpr_kernarg_segment_ptr 1
		.amdhsa_user_sgpr_dispatch_id 0
		.amdhsa_user_sgpr_flat_scratch_init 0
		.amdhsa_user_sgpr_kernarg_preload_length 0
		.amdhsa_user_sgpr_kernarg_preload_offset 0
		.amdhsa_user_sgpr_private_segment_size 0
		.amdhsa_uses_dynamic_stack 0
		.amdhsa_system_sgpr_private_segment_wavefront_offset 0
		.amdhsa_system_sgpr_workgroup_id_x 1
		.amdhsa_system_sgpr_workgroup_id_y 0
		.amdhsa_system_sgpr_workgroup_id_z 0
		.amdhsa_system_sgpr_workgroup_info 0
		.amdhsa_system_vgpr_workitem_id 0
		.amdhsa_next_free_vgpr 1
		.amdhsa_next_free_sgpr 0
		.amdhsa_accum_offset 4
		.amdhsa_reserve_vcc 0
		.amdhsa_reserve_flat_scratch 0
		.amdhsa_float_round_mode_32 0
		.amdhsa_float_round_mode_16_64 0
		.amdhsa_float_denorm_mode_32 3
		.amdhsa_float_denorm_mode_16_64 3
		.amdhsa_dx10_clamp 1
		.amdhsa_ieee_mode 1
		.amdhsa_fp16_overflow 0
		.amdhsa_tg_split 0
		.amdhsa_exception_fp_ieee_invalid_op 0
		.amdhsa_exception_fp_denorm_src 0
		.amdhsa_exception_fp_ieee_div_zero 0
		.amdhsa_exception_fp_ieee_overflow 0
		.amdhsa_exception_fp_ieee_underflow 0
		.amdhsa_exception_fp_ieee_inexact 0
		.amdhsa_exception_int_div_zero 0
	.end_amdhsa_kernel
	.section	.text._ZN7rocprim17ROCPRIM_400000_NS6detail17trampoline_kernelINS0_14default_configENS1_27scan_by_key_config_selectorIidEEZZNS1_16scan_by_key_implILNS1_25lookback_scan_determinismE0ELb1ES3_N6thrust23THRUST_200600_302600_NS6detail15normal_iteratorINS9_10device_ptrIiEEEENSB_INSC_IdEEEESG_dNS9_4plusIvEENS9_8equal_toIvEEdEE10hipError_tPvRmT2_T3_T4_T5_mT6_T7_P12ihipStream_tbENKUlT_T0_E_clISt17integral_constantIbLb1EES10_IbLb0EEEEDaSW_SX_EUlSW_E_NS1_11comp_targetILNS1_3genE3ELNS1_11target_archE908ELNS1_3gpuE7ELNS1_3repE0EEENS1_30default_config_static_selectorELNS0_4arch9wavefront6targetE1EEEvT1_,"axG",@progbits,_ZN7rocprim17ROCPRIM_400000_NS6detail17trampoline_kernelINS0_14default_configENS1_27scan_by_key_config_selectorIidEEZZNS1_16scan_by_key_implILNS1_25lookback_scan_determinismE0ELb1ES3_N6thrust23THRUST_200600_302600_NS6detail15normal_iteratorINS9_10device_ptrIiEEEENSB_INSC_IdEEEESG_dNS9_4plusIvEENS9_8equal_toIvEEdEE10hipError_tPvRmT2_T3_T4_T5_mT6_T7_P12ihipStream_tbENKUlT_T0_E_clISt17integral_constantIbLb1EES10_IbLb0EEEEDaSW_SX_EUlSW_E_NS1_11comp_targetILNS1_3genE3ELNS1_11target_archE908ELNS1_3gpuE7ELNS1_3repE0EEENS1_30default_config_static_selectorELNS0_4arch9wavefront6targetE1EEEvT1_,comdat
.Lfunc_end1413:
	.size	_ZN7rocprim17ROCPRIM_400000_NS6detail17trampoline_kernelINS0_14default_configENS1_27scan_by_key_config_selectorIidEEZZNS1_16scan_by_key_implILNS1_25lookback_scan_determinismE0ELb1ES3_N6thrust23THRUST_200600_302600_NS6detail15normal_iteratorINS9_10device_ptrIiEEEENSB_INSC_IdEEEESG_dNS9_4plusIvEENS9_8equal_toIvEEdEE10hipError_tPvRmT2_T3_T4_T5_mT6_T7_P12ihipStream_tbENKUlT_T0_E_clISt17integral_constantIbLb1EES10_IbLb0EEEEDaSW_SX_EUlSW_E_NS1_11comp_targetILNS1_3genE3ELNS1_11target_archE908ELNS1_3gpuE7ELNS1_3repE0EEENS1_30default_config_static_selectorELNS0_4arch9wavefront6targetE1EEEvT1_, .Lfunc_end1413-_ZN7rocprim17ROCPRIM_400000_NS6detail17trampoline_kernelINS0_14default_configENS1_27scan_by_key_config_selectorIidEEZZNS1_16scan_by_key_implILNS1_25lookback_scan_determinismE0ELb1ES3_N6thrust23THRUST_200600_302600_NS6detail15normal_iteratorINS9_10device_ptrIiEEEENSB_INSC_IdEEEESG_dNS9_4plusIvEENS9_8equal_toIvEEdEE10hipError_tPvRmT2_T3_T4_T5_mT6_T7_P12ihipStream_tbENKUlT_T0_E_clISt17integral_constantIbLb1EES10_IbLb0EEEEDaSW_SX_EUlSW_E_NS1_11comp_targetILNS1_3genE3ELNS1_11target_archE908ELNS1_3gpuE7ELNS1_3repE0EEENS1_30default_config_static_selectorELNS0_4arch9wavefront6targetE1EEEvT1_
                                        ; -- End function
	.section	.AMDGPU.csdata,"",@progbits
; Kernel info:
; codeLenInByte = 0
; NumSgprs: 4
; NumVgprs: 0
; NumAgprs: 0
; TotalNumVgprs: 0
; ScratchSize: 0
; MemoryBound: 0
; FloatMode: 240
; IeeeMode: 1
; LDSByteSize: 0 bytes/workgroup (compile time only)
; SGPRBlocks: 0
; VGPRBlocks: 0
; NumSGPRsForWavesPerEU: 4
; NumVGPRsForWavesPerEU: 1
; AccumOffset: 4
; Occupancy: 8
; WaveLimiterHint : 0
; COMPUTE_PGM_RSRC2:SCRATCH_EN: 0
; COMPUTE_PGM_RSRC2:USER_SGPR: 6
; COMPUTE_PGM_RSRC2:TRAP_HANDLER: 0
; COMPUTE_PGM_RSRC2:TGID_X_EN: 1
; COMPUTE_PGM_RSRC2:TGID_Y_EN: 0
; COMPUTE_PGM_RSRC2:TGID_Z_EN: 0
; COMPUTE_PGM_RSRC2:TIDIG_COMP_CNT: 0
; COMPUTE_PGM_RSRC3_GFX90A:ACCUM_OFFSET: 0
; COMPUTE_PGM_RSRC3_GFX90A:TG_SPLIT: 0
	.section	.text._ZN7rocprim17ROCPRIM_400000_NS6detail17trampoline_kernelINS0_14default_configENS1_27scan_by_key_config_selectorIidEEZZNS1_16scan_by_key_implILNS1_25lookback_scan_determinismE0ELb1ES3_N6thrust23THRUST_200600_302600_NS6detail15normal_iteratorINS9_10device_ptrIiEEEENSB_INSC_IdEEEESG_dNS9_4plusIvEENS9_8equal_toIvEEdEE10hipError_tPvRmT2_T3_T4_T5_mT6_T7_P12ihipStream_tbENKUlT_T0_E_clISt17integral_constantIbLb1EES10_IbLb0EEEEDaSW_SX_EUlSW_E_NS1_11comp_targetILNS1_3genE2ELNS1_11target_archE906ELNS1_3gpuE6ELNS1_3repE0EEENS1_30default_config_static_selectorELNS0_4arch9wavefront6targetE1EEEvT1_,"axG",@progbits,_ZN7rocprim17ROCPRIM_400000_NS6detail17trampoline_kernelINS0_14default_configENS1_27scan_by_key_config_selectorIidEEZZNS1_16scan_by_key_implILNS1_25lookback_scan_determinismE0ELb1ES3_N6thrust23THRUST_200600_302600_NS6detail15normal_iteratorINS9_10device_ptrIiEEEENSB_INSC_IdEEEESG_dNS9_4plusIvEENS9_8equal_toIvEEdEE10hipError_tPvRmT2_T3_T4_T5_mT6_T7_P12ihipStream_tbENKUlT_T0_E_clISt17integral_constantIbLb1EES10_IbLb0EEEEDaSW_SX_EUlSW_E_NS1_11comp_targetILNS1_3genE2ELNS1_11target_archE906ELNS1_3gpuE6ELNS1_3repE0EEENS1_30default_config_static_selectorELNS0_4arch9wavefront6targetE1EEEvT1_,comdat
	.protected	_ZN7rocprim17ROCPRIM_400000_NS6detail17trampoline_kernelINS0_14default_configENS1_27scan_by_key_config_selectorIidEEZZNS1_16scan_by_key_implILNS1_25lookback_scan_determinismE0ELb1ES3_N6thrust23THRUST_200600_302600_NS6detail15normal_iteratorINS9_10device_ptrIiEEEENSB_INSC_IdEEEESG_dNS9_4plusIvEENS9_8equal_toIvEEdEE10hipError_tPvRmT2_T3_T4_T5_mT6_T7_P12ihipStream_tbENKUlT_T0_E_clISt17integral_constantIbLb1EES10_IbLb0EEEEDaSW_SX_EUlSW_E_NS1_11comp_targetILNS1_3genE2ELNS1_11target_archE906ELNS1_3gpuE6ELNS1_3repE0EEENS1_30default_config_static_selectorELNS0_4arch9wavefront6targetE1EEEvT1_ ; -- Begin function _ZN7rocprim17ROCPRIM_400000_NS6detail17trampoline_kernelINS0_14default_configENS1_27scan_by_key_config_selectorIidEEZZNS1_16scan_by_key_implILNS1_25lookback_scan_determinismE0ELb1ES3_N6thrust23THRUST_200600_302600_NS6detail15normal_iteratorINS9_10device_ptrIiEEEENSB_INSC_IdEEEESG_dNS9_4plusIvEENS9_8equal_toIvEEdEE10hipError_tPvRmT2_T3_T4_T5_mT6_T7_P12ihipStream_tbENKUlT_T0_E_clISt17integral_constantIbLb1EES10_IbLb0EEEEDaSW_SX_EUlSW_E_NS1_11comp_targetILNS1_3genE2ELNS1_11target_archE906ELNS1_3gpuE6ELNS1_3repE0EEENS1_30default_config_static_selectorELNS0_4arch9wavefront6targetE1EEEvT1_
	.globl	_ZN7rocprim17ROCPRIM_400000_NS6detail17trampoline_kernelINS0_14default_configENS1_27scan_by_key_config_selectorIidEEZZNS1_16scan_by_key_implILNS1_25lookback_scan_determinismE0ELb1ES3_N6thrust23THRUST_200600_302600_NS6detail15normal_iteratorINS9_10device_ptrIiEEEENSB_INSC_IdEEEESG_dNS9_4plusIvEENS9_8equal_toIvEEdEE10hipError_tPvRmT2_T3_T4_T5_mT6_T7_P12ihipStream_tbENKUlT_T0_E_clISt17integral_constantIbLb1EES10_IbLb0EEEEDaSW_SX_EUlSW_E_NS1_11comp_targetILNS1_3genE2ELNS1_11target_archE906ELNS1_3gpuE6ELNS1_3repE0EEENS1_30default_config_static_selectorELNS0_4arch9wavefront6targetE1EEEvT1_
	.p2align	8
	.type	_ZN7rocprim17ROCPRIM_400000_NS6detail17trampoline_kernelINS0_14default_configENS1_27scan_by_key_config_selectorIidEEZZNS1_16scan_by_key_implILNS1_25lookback_scan_determinismE0ELb1ES3_N6thrust23THRUST_200600_302600_NS6detail15normal_iteratorINS9_10device_ptrIiEEEENSB_INSC_IdEEEESG_dNS9_4plusIvEENS9_8equal_toIvEEdEE10hipError_tPvRmT2_T3_T4_T5_mT6_T7_P12ihipStream_tbENKUlT_T0_E_clISt17integral_constantIbLb1EES10_IbLb0EEEEDaSW_SX_EUlSW_E_NS1_11comp_targetILNS1_3genE2ELNS1_11target_archE906ELNS1_3gpuE6ELNS1_3repE0EEENS1_30default_config_static_selectorELNS0_4arch9wavefront6targetE1EEEvT1_,@function
_ZN7rocprim17ROCPRIM_400000_NS6detail17trampoline_kernelINS0_14default_configENS1_27scan_by_key_config_selectorIidEEZZNS1_16scan_by_key_implILNS1_25lookback_scan_determinismE0ELb1ES3_N6thrust23THRUST_200600_302600_NS6detail15normal_iteratorINS9_10device_ptrIiEEEENSB_INSC_IdEEEESG_dNS9_4plusIvEENS9_8equal_toIvEEdEE10hipError_tPvRmT2_T3_T4_T5_mT6_T7_P12ihipStream_tbENKUlT_T0_E_clISt17integral_constantIbLb1EES10_IbLb0EEEEDaSW_SX_EUlSW_E_NS1_11comp_targetILNS1_3genE2ELNS1_11target_archE906ELNS1_3gpuE6ELNS1_3repE0EEENS1_30default_config_static_selectorELNS0_4arch9wavefront6targetE1EEEvT1_: ; @_ZN7rocprim17ROCPRIM_400000_NS6detail17trampoline_kernelINS0_14default_configENS1_27scan_by_key_config_selectorIidEEZZNS1_16scan_by_key_implILNS1_25lookback_scan_determinismE0ELb1ES3_N6thrust23THRUST_200600_302600_NS6detail15normal_iteratorINS9_10device_ptrIiEEEENSB_INSC_IdEEEESG_dNS9_4plusIvEENS9_8equal_toIvEEdEE10hipError_tPvRmT2_T3_T4_T5_mT6_T7_P12ihipStream_tbENKUlT_T0_E_clISt17integral_constantIbLb1EES10_IbLb0EEEEDaSW_SX_EUlSW_E_NS1_11comp_targetILNS1_3genE2ELNS1_11target_archE906ELNS1_3gpuE6ELNS1_3repE0EEENS1_30default_config_static_selectorELNS0_4arch9wavefront6targetE1EEEvT1_
; %bb.0:
	.section	.rodata,"a",@progbits
	.p2align	6, 0x0
	.amdhsa_kernel _ZN7rocprim17ROCPRIM_400000_NS6detail17trampoline_kernelINS0_14default_configENS1_27scan_by_key_config_selectorIidEEZZNS1_16scan_by_key_implILNS1_25lookback_scan_determinismE0ELb1ES3_N6thrust23THRUST_200600_302600_NS6detail15normal_iteratorINS9_10device_ptrIiEEEENSB_INSC_IdEEEESG_dNS9_4plusIvEENS9_8equal_toIvEEdEE10hipError_tPvRmT2_T3_T4_T5_mT6_T7_P12ihipStream_tbENKUlT_T0_E_clISt17integral_constantIbLb1EES10_IbLb0EEEEDaSW_SX_EUlSW_E_NS1_11comp_targetILNS1_3genE2ELNS1_11target_archE906ELNS1_3gpuE6ELNS1_3repE0EEENS1_30default_config_static_selectorELNS0_4arch9wavefront6targetE1EEEvT1_
		.amdhsa_group_segment_fixed_size 0
		.amdhsa_private_segment_fixed_size 0
		.amdhsa_kernarg_size 136
		.amdhsa_user_sgpr_count 6
		.amdhsa_user_sgpr_private_segment_buffer 1
		.amdhsa_user_sgpr_dispatch_ptr 0
		.amdhsa_user_sgpr_queue_ptr 0
		.amdhsa_user_sgpr_kernarg_segment_ptr 1
		.amdhsa_user_sgpr_dispatch_id 0
		.amdhsa_user_sgpr_flat_scratch_init 0
		.amdhsa_user_sgpr_kernarg_preload_length 0
		.amdhsa_user_sgpr_kernarg_preload_offset 0
		.amdhsa_user_sgpr_private_segment_size 0
		.amdhsa_uses_dynamic_stack 0
		.amdhsa_system_sgpr_private_segment_wavefront_offset 0
		.amdhsa_system_sgpr_workgroup_id_x 1
		.amdhsa_system_sgpr_workgroup_id_y 0
		.amdhsa_system_sgpr_workgroup_id_z 0
		.amdhsa_system_sgpr_workgroup_info 0
		.amdhsa_system_vgpr_workitem_id 0
		.amdhsa_next_free_vgpr 1
		.amdhsa_next_free_sgpr 0
		.amdhsa_accum_offset 4
		.amdhsa_reserve_vcc 0
		.amdhsa_reserve_flat_scratch 0
		.amdhsa_float_round_mode_32 0
		.amdhsa_float_round_mode_16_64 0
		.amdhsa_float_denorm_mode_32 3
		.amdhsa_float_denorm_mode_16_64 3
		.amdhsa_dx10_clamp 1
		.amdhsa_ieee_mode 1
		.amdhsa_fp16_overflow 0
		.amdhsa_tg_split 0
		.amdhsa_exception_fp_ieee_invalid_op 0
		.amdhsa_exception_fp_denorm_src 0
		.amdhsa_exception_fp_ieee_div_zero 0
		.amdhsa_exception_fp_ieee_overflow 0
		.amdhsa_exception_fp_ieee_underflow 0
		.amdhsa_exception_fp_ieee_inexact 0
		.amdhsa_exception_int_div_zero 0
	.end_amdhsa_kernel
	.section	.text._ZN7rocprim17ROCPRIM_400000_NS6detail17trampoline_kernelINS0_14default_configENS1_27scan_by_key_config_selectorIidEEZZNS1_16scan_by_key_implILNS1_25lookback_scan_determinismE0ELb1ES3_N6thrust23THRUST_200600_302600_NS6detail15normal_iteratorINS9_10device_ptrIiEEEENSB_INSC_IdEEEESG_dNS9_4plusIvEENS9_8equal_toIvEEdEE10hipError_tPvRmT2_T3_T4_T5_mT6_T7_P12ihipStream_tbENKUlT_T0_E_clISt17integral_constantIbLb1EES10_IbLb0EEEEDaSW_SX_EUlSW_E_NS1_11comp_targetILNS1_3genE2ELNS1_11target_archE906ELNS1_3gpuE6ELNS1_3repE0EEENS1_30default_config_static_selectorELNS0_4arch9wavefront6targetE1EEEvT1_,"axG",@progbits,_ZN7rocprim17ROCPRIM_400000_NS6detail17trampoline_kernelINS0_14default_configENS1_27scan_by_key_config_selectorIidEEZZNS1_16scan_by_key_implILNS1_25lookback_scan_determinismE0ELb1ES3_N6thrust23THRUST_200600_302600_NS6detail15normal_iteratorINS9_10device_ptrIiEEEENSB_INSC_IdEEEESG_dNS9_4plusIvEENS9_8equal_toIvEEdEE10hipError_tPvRmT2_T3_T4_T5_mT6_T7_P12ihipStream_tbENKUlT_T0_E_clISt17integral_constantIbLb1EES10_IbLb0EEEEDaSW_SX_EUlSW_E_NS1_11comp_targetILNS1_3genE2ELNS1_11target_archE906ELNS1_3gpuE6ELNS1_3repE0EEENS1_30default_config_static_selectorELNS0_4arch9wavefront6targetE1EEEvT1_,comdat
.Lfunc_end1414:
	.size	_ZN7rocprim17ROCPRIM_400000_NS6detail17trampoline_kernelINS0_14default_configENS1_27scan_by_key_config_selectorIidEEZZNS1_16scan_by_key_implILNS1_25lookback_scan_determinismE0ELb1ES3_N6thrust23THRUST_200600_302600_NS6detail15normal_iteratorINS9_10device_ptrIiEEEENSB_INSC_IdEEEESG_dNS9_4plusIvEENS9_8equal_toIvEEdEE10hipError_tPvRmT2_T3_T4_T5_mT6_T7_P12ihipStream_tbENKUlT_T0_E_clISt17integral_constantIbLb1EES10_IbLb0EEEEDaSW_SX_EUlSW_E_NS1_11comp_targetILNS1_3genE2ELNS1_11target_archE906ELNS1_3gpuE6ELNS1_3repE0EEENS1_30default_config_static_selectorELNS0_4arch9wavefront6targetE1EEEvT1_, .Lfunc_end1414-_ZN7rocprim17ROCPRIM_400000_NS6detail17trampoline_kernelINS0_14default_configENS1_27scan_by_key_config_selectorIidEEZZNS1_16scan_by_key_implILNS1_25lookback_scan_determinismE0ELb1ES3_N6thrust23THRUST_200600_302600_NS6detail15normal_iteratorINS9_10device_ptrIiEEEENSB_INSC_IdEEEESG_dNS9_4plusIvEENS9_8equal_toIvEEdEE10hipError_tPvRmT2_T3_T4_T5_mT6_T7_P12ihipStream_tbENKUlT_T0_E_clISt17integral_constantIbLb1EES10_IbLb0EEEEDaSW_SX_EUlSW_E_NS1_11comp_targetILNS1_3genE2ELNS1_11target_archE906ELNS1_3gpuE6ELNS1_3repE0EEENS1_30default_config_static_selectorELNS0_4arch9wavefront6targetE1EEEvT1_
                                        ; -- End function
	.section	.AMDGPU.csdata,"",@progbits
; Kernel info:
; codeLenInByte = 0
; NumSgprs: 4
; NumVgprs: 0
; NumAgprs: 0
; TotalNumVgprs: 0
; ScratchSize: 0
; MemoryBound: 0
; FloatMode: 240
; IeeeMode: 1
; LDSByteSize: 0 bytes/workgroup (compile time only)
; SGPRBlocks: 0
; VGPRBlocks: 0
; NumSGPRsForWavesPerEU: 4
; NumVGPRsForWavesPerEU: 1
; AccumOffset: 4
; Occupancy: 8
; WaveLimiterHint : 0
; COMPUTE_PGM_RSRC2:SCRATCH_EN: 0
; COMPUTE_PGM_RSRC2:USER_SGPR: 6
; COMPUTE_PGM_RSRC2:TRAP_HANDLER: 0
; COMPUTE_PGM_RSRC2:TGID_X_EN: 1
; COMPUTE_PGM_RSRC2:TGID_Y_EN: 0
; COMPUTE_PGM_RSRC2:TGID_Z_EN: 0
; COMPUTE_PGM_RSRC2:TIDIG_COMP_CNT: 0
; COMPUTE_PGM_RSRC3_GFX90A:ACCUM_OFFSET: 0
; COMPUTE_PGM_RSRC3_GFX90A:TG_SPLIT: 0
	.section	.text._ZN7rocprim17ROCPRIM_400000_NS6detail17trampoline_kernelINS0_14default_configENS1_27scan_by_key_config_selectorIidEEZZNS1_16scan_by_key_implILNS1_25lookback_scan_determinismE0ELb1ES3_N6thrust23THRUST_200600_302600_NS6detail15normal_iteratorINS9_10device_ptrIiEEEENSB_INSC_IdEEEESG_dNS9_4plusIvEENS9_8equal_toIvEEdEE10hipError_tPvRmT2_T3_T4_T5_mT6_T7_P12ihipStream_tbENKUlT_T0_E_clISt17integral_constantIbLb1EES10_IbLb0EEEEDaSW_SX_EUlSW_E_NS1_11comp_targetILNS1_3genE10ELNS1_11target_archE1200ELNS1_3gpuE4ELNS1_3repE0EEENS1_30default_config_static_selectorELNS0_4arch9wavefront6targetE1EEEvT1_,"axG",@progbits,_ZN7rocprim17ROCPRIM_400000_NS6detail17trampoline_kernelINS0_14default_configENS1_27scan_by_key_config_selectorIidEEZZNS1_16scan_by_key_implILNS1_25lookback_scan_determinismE0ELb1ES3_N6thrust23THRUST_200600_302600_NS6detail15normal_iteratorINS9_10device_ptrIiEEEENSB_INSC_IdEEEESG_dNS9_4plusIvEENS9_8equal_toIvEEdEE10hipError_tPvRmT2_T3_T4_T5_mT6_T7_P12ihipStream_tbENKUlT_T0_E_clISt17integral_constantIbLb1EES10_IbLb0EEEEDaSW_SX_EUlSW_E_NS1_11comp_targetILNS1_3genE10ELNS1_11target_archE1200ELNS1_3gpuE4ELNS1_3repE0EEENS1_30default_config_static_selectorELNS0_4arch9wavefront6targetE1EEEvT1_,comdat
	.protected	_ZN7rocprim17ROCPRIM_400000_NS6detail17trampoline_kernelINS0_14default_configENS1_27scan_by_key_config_selectorIidEEZZNS1_16scan_by_key_implILNS1_25lookback_scan_determinismE0ELb1ES3_N6thrust23THRUST_200600_302600_NS6detail15normal_iteratorINS9_10device_ptrIiEEEENSB_INSC_IdEEEESG_dNS9_4plusIvEENS9_8equal_toIvEEdEE10hipError_tPvRmT2_T3_T4_T5_mT6_T7_P12ihipStream_tbENKUlT_T0_E_clISt17integral_constantIbLb1EES10_IbLb0EEEEDaSW_SX_EUlSW_E_NS1_11comp_targetILNS1_3genE10ELNS1_11target_archE1200ELNS1_3gpuE4ELNS1_3repE0EEENS1_30default_config_static_selectorELNS0_4arch9wavefront6targetE1EEEvT1_ ; -- Begin function _ZN7rocprim17ROCPRIM_400000_NS6detail17trampoline_kernelINS0_14default_configENS1_27scan_by_key_config_selectorIidEEZZNS1_16scan_by_key_implILNS1_25lookback_scan_determinismE0ELb1ES3_N6thrust23THRUST_200600_302600_NS6detail15normal_iteratorINS9_10device_ptrIiEEEENSB_INSC_IdEEEESG_dNS9_4plusIvEENS9_8equal_toIvEEdEE10hipError_tPvRmT2_T3_T4_T5_mT6_T7_P12ihipStream_tbENKUlT_T0_E_clISt17integral_constantIbLb1EES10_IbLb0EEEEDaSW_SX_EUlSW_E_NS1_11comp_targetILNS1_3genE10ELNS1_11target_archE1200ELNS1_3gpuE4ELNS1_3repE0EEENS1_30default_config_static_selectorELNS0_4arch9wavefront6targetE1EEEvT1_
	.globl	_ZN7rocprim17ROCPRIM_400000_NS6detail17trampoline_kernelINS0_14default_configENS1_27scan_by_key_config_selectorIidEEZZNS1_16scan_by_key_implILNS1_25lookback_scan_determinismE0ELb1ES3_N6thrust23THRUST_200600_302600_NS6detail15normal_iteratorINS9_10device_ptrIiEEEENSB_INSC_IdEEEESG_dNS9_4plusIvEENS9_8equal_toIvEEdEE10hipError_tPvRmT2_T3_T4_T5_mT6_T7_P12ihipStream_tbENKUlT_T0_E_clISt17integral_constantIbLb1EES10_IbLb0EEEEDaSW_SX_EUlSW_E_NS1_11comp_targetILNS1_3genE10ELNS1_11target_archE1200ELNS1_3gpuE4ELNS1_3repE0EEENS1_30default_config_static_selectorELNS0_4arch9wavefront6targetE1EEEvT1_
	.p2align	8
	.type	_ZN7rocprim17ROCPRIM_400000_NS6detail17trampoline_kernelINS0_14default_configENS1_27scan_by_key_config_selectorIidEEZZNS1_16scan_by_key_implILNS1_25lookback_scan_determinismE0ELb1ES3_N6thrust23THRUST_200600_302600_NS6detail15normal_iteratorINS9_10device_ptrIiEEEENSB_INSC_IdEEEESG_dNS9_4plusIvEENS9_8equal_toIvEEdEE10hipError_tPvRmT2_T3_T4_T5_mT6_T7_P12ihipStream_tbENKUlT_T0_E_clISt17integral_constantIbLb1EES10_IbLb0EEEEDaSW_SX_EUlSW_E_NS1_11comp_targetILNS1_3genE10ELNS1_11target_archE1200ELNS1_3gpuE4ELNS1_3repE0EEENS1_30default_config_static_selectorELNS0_4arch9wavefront6targetE1EEEvT1_,@function
_ZN7rocprim17ROCPRIM_400000_NS6detail17trampoline_kernelINS0_14default_configENS1_27scan_by_key_config_selectorIidEEZZNS1_16scan_by_key_implILNS1_25lookback_scan_determinismE0ELb1ES3_N6thrust23THRUST_200600_302600_NS6detail15normal_iteratorINS9_10device_ptrIiEEEENSB_INSC_IdEEEESG_dNS9_4plusIvEENS9_8equal_toIvEEdEE10hipError_tPvRmT2_T3_T4_T5_mT6_T7_P12ihipStream_tbENKUlT_T0_E_clISt17integral_constantIbLb1EES10_IbLb0EEEEDaSW_SX_EUlSW_E_NS1_11comp_targetILNS1_3genE10ELNS1_11target_archE1200ELNS1_3gpuE4ELNS1_3repE0EEENS1_30default_config_static_selectorELNS0_4arch9wavefront6targetE1EEEvT1_: ; @_ZN7rocprim17ROCPRIM_400000_NS6detail17trampoline_kernelINS0_14default_configENS1_27scan_by_key_config_selectorIidEEZZNS1_16scan_by_key_implILNS1_25lookback_scan_determinismE0ELb1ES3_N6thrust23THRUST_200600_302600_NS6detail15normal_iteratorINS9_10device_ptrIiEEEENSB_INSC_IdEEEESG_dNS9_4plusIvEENS9_8equal_toIvEEdEE10hipError_tPvRmT2_T3_T4_T5_mT6_T7_P12ihipStream_tbENKUlT_T0_E_clISt17integral_constantIbLb1EES10_IbLb0EEEEDaSW_SX_EUlSW_E_NS1_11comp_targetILNS1_3genE10ELNS1_11target_archE1200ELNS1_3gpuE4ELNS1_3repE0EEENS1_30default_config_static_selectorELNS0_4arch9wavefront6targetE1EEEvT1_
; %bb.0:
	.section	.rodata,"a",@progbits
	.p2align	6, 0x0
	.amdhsa_kernel _ZN7rocprim17ROCPRIM_400000_NS6detail17trampoline_kernelINS0_14default_configENS1_27scan_by_key_config_selectorIidEEZZNS1_16scan_by_key_implILNS1_25lookback_scan_determinismE0ELb1ES3_N6thrust23THRUST_200600_302600_NS6detail15normal_iteratorINS9_10device_ptrIiEEEENSB_INSC_IdEEEESG_dNS9_4plusIvEENS9_8equal_toIvEEdEE10hipError_tPvRmT2_T3_T4_T5_mT6_T7_P12ihipStream_tbENKUlT_T0_E_clISt17integral_constantIbLb1EES10_IbLb0EEEEDaSW_SX_EUlSW_E_NS1_11comp_targetILNS1_3genE10ELNS1_11target_archE1200ELNS1_3gpuE4ELNS1_3repE0EEENS1_30default_config_static_selectorELNS0_4arch9wavefront6targetE1EEEvT1_
		.amdhsa_group_segment_fixed_size 0
		.amdhsa_private_segment_fixed_size 0
		.amdhsa_kernarg_size 136
		.amdhsa_user_sgpr_count 6
		.amdhsa_user_sgpr_private_segment_buffer 1
		.amdhsa_user_sgpr_dispatch_ptr 0
		.amdhsa_user_sgpr_queue_ptr 0
		.amdhsa_user_sgpr_kernarg_segment_ptr 1
		.amdhsa_user_sgpr_dispatch_id 0
		.amdhsa_user_sgpr_flat_scratch_init 0
		.amdhsa_user_sgpr_kernarg_preload_length 0
		.amdhsa_user_sgpr_kernarg_preload_offset 0
		.amdhsa_user_sgpr_private_segment_size 0
		.amdhsa_uses_dynamic_stack 0
		.amdhsa_system_sgpr_private_segment_wavefront_offset 0
		.amdhsa_system_sgpr_workgroup_id_x 1
		.amdhsa_system_sgpr_workgroup_id_y 0
		.amdhsa_system_sgpr_workgroup_id_z 0
		.amdhsa_system_sgpr_workgroup_info 0
		.amdhsa_system_vgpr_workitem_id 0
		.amdhsa_next_free_vgpr 1
		.amdhsa_next_free_sgpr 0
		.amdhsa_accum_offset 4
		.amdhsa_reserve_vcc 0
		.amdhsa_reserve_flat_scratch 0
		.amdhsa_float_round_mode_32 0
		.amdhsa_float_round_mode_16_64 0
		.amdhsa_float_denorm_mode_32 3
		.amdhsa_float_denorm_mode_16_64 3
		.amdhsa_dx10_clamp 1
		.amdhsa_ieee_mode 1
		.amdhsa_fp16_overflow 0
		.amdhsa_tg_split 0
		.amdhsa_exception_fp_ieee_invalid_op 0
		.amdhsa_exception_fp_denorm_src 0
		.amdhsa_exception_fp_ieee_div_zero 0
		.amdhsa_exception_fp_ieee_overflow 0
		.amdhsa_exception_fp_ieee_underflow 0
		.amdhsa_exception_fp_ieee_inexact 0
		.amdhsa_exception_int_div_zero 0
	.end_amdhsa_kernel
	.section	.text._ZN7rocprim17ROCPRIM_400000_NS6detail17trampoline_kernelINS0_14default_configENS1_27scan_by_key_config_selectorIidEEZZNS1_16scan_by_key_implILNS1_25lookback_scan_determinismE0ELb1ES3_N6thrust23THRUST_200600_302600_NS6detail15normal_iteratorINS9_10device_ptrIiEEEENSB_INSC_IdEEEESG_dNS9_4plusIvEENS9_8equal_toIvEEdEE10hipError_tPvRmT2_T3_T4_T5_mT6_T7_P12ihipStream_tbENKUlT_T0_E_clISt17integral_constantIbLb1EES10_IbLb0EEEEDaSW_SX_EUlSW_E_NS1_11comp_targetILNS1_3genE10ELNS1_11target_archE1200ELNS1_3gpuE4ELNS1_3repE0EEENS1_30default_config_static_selectorELNS0_4arch9wavefront6targetE1EEEvT1_,"axG",@progbits,_ZN7rocprim17ROCPRIM_400000_NS6detail17trampoline_kernelINS0_14default_configENS1_27scan_by_key_config_selectorIidEEZZNS1_16scan_by_key_implILNS1_25lookback_scan_determinismE0ELb1ES3_N6thrust23THRUST_200600_302600_NS6detail15normal_iteratorINS9_10device_ptrIiEEEENSB_INSC_IdEEEESG_dNS9_4plusIvEENS9_8equal_toIvEEdEE10hipError_tPvRmT2_T3_T4_T5_mT6_T7_P12ihipStream_tbENKUlT_T0_E_clISt17integral_constantIbLb1EES10_IbLb0EEEEDaSW_SX_EUlSW_E_NS1_11comp_targetILNS1_3genE10ELNS1_11target_archE1200ELNS1_3gpuE4ELNS1_3repE0EEENS1_30default_config_static_selectorELNS0_4arch9wavefront6targetE1EEEvT1_,comdat
.Lfunc_end1415:
	.size	_ZN7rocprim17ROCPRIM_400000_NS6detail17trampoline_kernelINS0_14default_configENS1_27scan_by_key_config_selectorIidEEZZNS1_16scan_by_key_implILNS1_25lookback_scan_determinismE0ELb1ES3_N6thrust23THRUST_200600_302600_NS6detail15normal_iteratorINS9_10device_ptrIiEEEENSB_INSC_IdEEEESG_dNS9_4plusIvEENS9_8equal_toIvEEdEE10hipError_tPvRmT2_T3_T4_T5_mT6_T7_P12ihipStream_tbENKUlT_T0_E_clISt17integral_constantIbLb1EES10_IbLb0EEEEDaSW_SX_EUlSW_E_NS1_11comp_targetILNS1_3genE10ELNS1_11target_archE1200ELNS1_3gpuE4ELNS1_3repE0EEENS1_30default_config_static_selectorELNS0_4arch9wavefront6targetE1EEEvT1_, .Lfunc_end1415-_ZN7rocprim17ROCPRIM_400000_NS6detail17trampoline_kernelINS0_14default_configENS1_27scan_by_key_config_selectorIidEEZZNS1_16scan_by_key_implILNS1_25lookback_scan_determinismE0ELb1ES3_N6thrust23THRUST_200600_302600_NS6detail15normal_iteratorINS9_10device_ptrIiEEEENSB_INSC_IdEEEESG_dNS9_4plusIvEENS9_8equal_toIvEEdEE10hipError_tPvRmT2_T3_T4_T5_mT6_T7_P12ihipStream_tbENKUlT_T0_E_clISt17integral_constantIbLb1EES10_IbLb0EEEEDaSW_SX_EUlSW_E_NS1_11comp_targetILNS1_3genE10ELNS1_11target_archE1200ELNS1_3gpuE4ELNS1_3repE0EEENS1_30default_config_static_selectorELNS0_4arch9wavefront6targetE1EEEvT1_
                                        ; -- End function
	.section	.AMDGPU.csdata,"",@progbits
; Kernel info:
; codeLenInByte = 0
; NumSgprs: 4
; NumVgprs: 0
; NumAgprs: 0
; TotalNumVgprs: 0
; ScratchSize: 0
; MemoryBound: 0
; FloatMode: 240
; IeeeMode: 1
; LDSByteSize: 0 bytes/workgroup (compile time only)
; SGPRBlocks: 0
; VGPRBlocks: 0
; NumSGPRsForWavesPerEU: 4
; NumVGPRsForWavesPerEU: 1
; AccumOffset: 4
; Occupancy: 8
; WaveLimiterHint : 0
; COMPUTE_PGM_RSRC2:SCRATCH_EN: 0
; COMPUTE_PGM_RSRC2:USER_SGPR: 6
; COMPUTE_PGM_RSRC2:TRAP_HANDLER: 0
; COMPUTE_PGM_RSRC2:TGID_X_EN: 1
; COMPUTE_PGM_RSRC2:TGID_Y_EN: 0
; COMPUTE_PGM_RSRC2:TGID_Z_EN: 0
; COMPUTE_PGM_RSRC2:TIDIG_COMP_CNT: 0
; COMPUTE_PGM_RSRC3_GFX90A:ACCUM_OFFSET: 0
; COMPUTE_PGM_RSRC3_GFX90A:TG_SPLIT: 0
	.section	.text._ZN7rocprim17ROCPRIM_400000_NS6detail17trampoline_kernelINS0_14default_configENS1_27scan_by_key_config_selectorIidEEZZNS1_16scan_by_key_implILNS1_25lookback_scan_determinismE0ELb1ES3_N6thrust23THRUST_200600_302600_NS6detail15normal_iteratorINS9_10device_ptrIiEEEENSB_INSC_IdEEEESG_dNS9_4plusIvEENS9_8equal_toIvEEdEE10hipError_tPvRmT2_T3_T4_T5_mT6_T7_P12ihipStream_tbENKUlT_T0_E_clISt17integral_constantIbLb1EES10_IbLb0EEEEDaSW_SX_EUlSW_E_NS1_11comp_targetILNS1_3genE9ELNS1_11target_archE1100ELNS1_3gpuE3ELNS1_3repE0EEENS1_30default_config_static_selectorELNS0_4arch9wavefront6targetE1EEEvT1_,"axG",@progbits,_ZN7rocprim17ROCPRIM_400000_NS6detail17trampoline_kernelINS0_14default_configENS1_27scan_by_key_config_selectorIidEEZZNS1_16scan_by_key_implILNS1_25lookback_scan_determinismE0ELb1ES3_N6thrust23THRUST_200600_302600_NS6detail15normal_iteratorINS9_10device_ptrIiEEEENSB_INSC_IdEEEESG_dNS9_4plusIvEENS9_8equal_toIvEEdEE10hipError_tPvRmT2_T3_T4_T5_mT6_T7_P12ihipStream_tbENKUlT_T0_E_clISt17integral_constantIbLb1EES10_IbLb0EEEEDaSW_SX_EUlSW_E_NS1_11comp_targetILNS1_3genE9ELNS1_11target_archE1100ELNS1_3gpuE3ELNS1_3repE0EEENS1_30default_config_static_selectorELNS0_4arch9wavefront6targetE1EEEvT1_,comdat
	.protected	_ZN7rocprim17ROCPRIM_400000_NS6detail17trampoline_kernelINS0_14default_configENS1_27scan_by_key_config_selectorIidEEZZNS1_16scan_by_key_implILNS1_25lookback_scan_determinismE0ELb1ES3_N6thrust23THRUST_200600_302600_NS6detail15normal_iteratorINS9_10device_ptrIiEEEENSB_INSC_IdEEEESG_dNS9_4plusIvEENS9_8equal_toIvEEdEE10hipError_tPvRmT2_T3_T4_T5_mT6_T7_P12ihipStream_tbENKUlT_T0_E_clISt17integral_constantIbLb1EES10_IbLb0EEEEDaSW_SX_EUlSW_E_NS1_11comp_targetILNS1_3genE9ELNS1_11target_archE1100ELNS1_3gpuE3ELNS1_3repE0EEENS1_30default_config_static_selectorELNS0_4arch9wavefront6targetE1EEEvT1_ ; -- Begin function _ZN7rocprim17ROCPRIM_400000_NS6detail17trampoline_kernelINS0_14default_configENS1_27scan_by_key_config_selectorIidEEZZNS1_16scan_by_key_implILNS1_25lookback_scan_determinismE0ELb1ES3_N6thrust23THRUST_200600_302600_NS6detail15normal_iteratorINS9_10device_ptrIiEEEENSB_INSC_IdEEEESG_dNS9_4plusIvEENS9_8equal_toIvEEdEE10hipError_tPvRmT2_T3_T4_T5_mT6_T7_P12ihipStream_tbENKUlT_T0_E_clISt17integral_constantIbLb1EES10_IbLb0EEEEDaSW_SX_EUlSW_E_NS1_11comp_targetILNS1_3genE9ELNS1_11target_archE1100ELNS1_3gpuE3ELNS1_3repE0EEENS1_30default_config_static_selectorELNS0_4arch9wavefront6targetE1EEEvT1_
	.globl	_ZN7rocprim17ROCPRIM_400000_NS6detail17trampoline_kernelINS0_14default_configENS1_27scan_by_key_config_selectorIidEEZZNS1_16scan_by_key_implILNS1_25lookback_scan_determinismE0ELb1ES3_N6thrust23THRUST_200600_302600_NS6detail15normal_iteratorINS9_10device_ptrIiEEEENSB_INSC_IdEEEESG_dNS9_4plusIvEENS9_8equal_toIvEEdEE10hipError_tPvRmT2_T3_T4_T5_mT6_T7_P12ihipStream_tbENKUlT_T0_E_clISt17integral_constantIbLb1EES10_IbLb0EEEEDaSW_SX_EUlSW_E_NS1_11comp_targetILNS1_3genE9ELNS1_11target_archE1100ELNS1_3gpuE3ELNS1_3repE0EEENS1_30default_config_static_selectorELNS0_4arch9wavefront6targetE1EEEvT1_
	.p2align	8
	.type	_ZN7rocprim17ROCPRIM_400000_NS6detail17trampoline_kernelINS0_14default_configENS1_27scan_by_key_config_selectorIidEEZZNS1_16scan_by_key_implILNS1_25lookback_scan_determinismE0ELb1ES3_N6thrust23THRUST_200600_302600_NS6detail15normal_iteratorINS9_10device_ptrIiEEEENSB_INSC_IdEEEESG_dNS9_4plusIvEENS9_8equal_toIvEEdEE10hipError_tPvRmT2_T3_T4_T5_mT6_T7_P12ihipStream_tbENKUlT_T0_E_clISt17integral_constantIbLb1EES10_IbLb0EEEEDaSW_SX_EUlSW_E_NS1_11comp_targetILNS1_3genE9ELNS1_11target_archE1100ELNS1_3gpuE3ELNS1_3repE0EEENS1_30default_config_static_selectorELNS0_4arch9wavefront6targetE1EEEvT1_,@function
_ZN7rocprim17ROCPRIM_400000_NS6detail17trampoline_kernelINS0_14default_configENS1_27scan_by_key_config_selectorIidEEZZNS1_16scan_by_key_implILNS1_25lookback_scan_determinismE0ELb1ES3_N6thrust23THRUST_200600_302600_NS6detail15normal_iteratorINS9_10device_ptrIiEEEENSB_INSC_IdEEEESG_dNS9_4plusIvEENS9_8equal_toIvEEdEE10hipError_tPvRmT2_T3_T4_T5_mT6_T7_P12ihipStream_tbENKUlT_T0_E_clISt17integral_constantIbLb1EES10_IbLb0EEEEDaSW_SX_EUlSW_E_NS1_11comp_targetILNS1_3genE9ELNS1_11target_archE1100ELNS1_3gpuE3ELNS1_3repE0EEENS1_30default_config_static_selectorELNS0_4arch9wavefront6targetE1EEEvT1_: ; @_ZN7rocprim17ROCPRIM_400000_NS6detail17trampoline_kernelINS0_14default_configENS1_27scan_by_key_config_selectorIidEEZZNS1_16scan_by_key_implILNS1_25lookback_scan_determinismE0ELb1ES3_N6thrust23THRUST_200600_302600_NS6detail15normal_iteratorINS9_10device_ptrIiEEEENSB_INSC_IdEEEESG_dNS9_4plusIvEENS9_8equal_toIvEEdEE10hipError_tPvRmT2_T3_T4_T5_mT6_T7_P12ihipStream_tbENKUlT_T0_E_clISt17integral_constantIbLb1EES10_IbLb0EEEEDaSW_SX_EUlSW_E_NS1_11comp_targetILNS1_3genE9ELNS1_11target_archE1100ELNS1_3gpuE3ELNS1_3repE0EEENS1_30default_config_static_selectorELNS0_4arch9wavefront6targetE1EEEvT1_
; %bb.0:
	.section	.rodata,"a",@progbits
	.p2align	6, 0x0
	.amdhsa_kernel _ZN7rocprim17ROCPRIM_400000_NS6detail17trampoline_kernelINS0_14default_configENS1_27scan_by_key_config_selectorIidEEZZNS1_16scan_by_key_implILNS1_25lookback_scan_determinismE0ELb1ES3_N6thrust23THRUST_200600_302600_NS6detail15normal_iteratorINS9_10device_ptrIiEEEENSB_INSC_IdEEEESG_dNS9_4plusIvEENS9_8equal_toIvEEdEE10hipError_tPvRmT2_T3_T4_T5_mT6_T7_P12ihipStream_tbENKUlT_T0_E_clISt17integral_constantIbLb1EES10_IbLb0EEEEDaSW_SX_EUlSW_E_NS1_11comp_targetILNS1_3genE9ELNS1_11target_archE1100ELNS1_3gpuE3ELNS1_3repE0EEENS1_30default_config_static_selectorELNS0_4arch9wavefront6targetE1EEEvT1_
		.amdhsa_group_segment_fixed_size 0
		.amdhsa_private_segment_fixed_size 0
		.amdhsa_kernarg_size 136
		.amdhsa_user_sgpr_count 6
		.amdhsa_user_sgpr_private_segment_buffer 1
		.amdhsa_user_sgpr_dispatch_ptr 0
		.amdhsa_user_sgpr_queue_ptr 0
		.amdhsa_user_sgpr_kernarg_segment_ptr 1
		.amdhsa_user_sgpr_dispatch_id 0
		.amdhsa_user_sgpr_flat_scratch_init 0
		.amdhsa_user_sgpr_kernarg_preload_length 0
		.amdhsa_user_sgpr_kernarg_preload_offset 0
		.amdhsa_user_sgpr_private_segment_size 0
		.amdhsa_uses_dynamic_stack 0
		.amdhsa_system_sgpr_private_segment_wavefront_offset 0
		.amdhsa_system_sgpr_workgroup_id_x 1
		.amdhsa_system_sgpr_workgroup_id_y 0
		.amdhsa_system_sgpr_workgroup_id_z 0
		.amdhsa_system_sgpr_workgroup_info 0
		.amdhsa_system_vgpr_workitem_id 0
		.amdhsa_next_free_vgpr 1
		.amdhsa_next_free_sgpr 0
		.amdhsa_accum_offset 4
		.amdhsa_reserve_vcc 0
		.amdhsa_reserve_flat_scratch 0
		.amdhsa_float_round_mode_32 0
		.amdhsa_float_round_mode_16_64 0
		.amdhsa_float_denorm_mode_32 3
		.amdhsa_float_denorm_mode_16_64 3
		.amdhsa_dx10_clamp 1
		.amdhsa_ieee_mode 1
		.amdhsa_fp16_overflow 0
		.amdhsa_tg_split 0
		.amdhsa_exception_fp_ieee_invalid_op 0
		.amdhsa_exception_fp_denorm_src 0
		.amdhsa_exception_fp_ieee_div_zero 0
		.amdhsa_exception_fp_ieee_overflow 0
		.amdhsa_exception_fp_ieee_underflow 0
		.amdhsa_exception_fp_ieee_inexact 0
		.amdhsa_exception_int_div_zero 0
	.end_amdhsa_kernel
	.section	.text._ZN7rocprim17ROCPRIM_400000_NS6detail17trampoline_kernelINS0_14default_configENS1_27scan_by_key_config_selectorIidEEZZNS1_16scan_by_key_implILNS1_25lookback_scan_determinismE0ELb1ES3_N6thrust23THRUST_200600_302600_NS6detail15normal_iteratorINS9_10device_ptrIiEEEENSB_INSC_IdEEEESG_dNS9_4plusIvEENS9_8equal_toIvEEdEE10hipError_tPvRmT2_T3_T4_T5_mT6_T7_P12ihipStream_tbENKUlT_T0_E_clISt17integral_constantIbLb1EES10_IbLb0EEEEDaSW_SX_EUlSW_E_NS1_11comp_targetILNS1_3genE9ELNS1_11target_archE1100ELNS1_3gpuE3ELNS1_3repE0EEENS1_30default_config_static_selectorELNS0_4arch9wavefront6targetE1EEEvT1_,"axG",@progbits,_ZN7rocprim17ROCPRIM_400000_NS6detail17trampoline_kernelINS0_14default_configENS1_27scan_by_key_config_selectorIidEEZZNS1_16scan_by_key_implILNS1_25lookback_scan_determinismE0ELb1ES3_N6thrust23THRUST_200600_302600_NS6detail15normal_iteratorINS9_10device_ptrIiEEEENSB_INSC_IdEEEESG_dNS9_4plusIvEENS9_8equal_toIvEEdEE10hipError_tPvRmT2_T3_T4_T5_mT6_T7_P12ihipStream_tbENKUlT_T0_E_clISt17integral_constantIbLb1EES10_IbLb0EEEEDaSW_SX_EUlSW_E_NS1_11comp_targetILNS1_3genE9ELNS1_11target_archE1100ELNS1_3gpuE3ELNS1_3repE0EEENS1_30default_config_static_selectorELNS0_4arch9wavefront6targetE1EEEvT1_,comdat
.Lfunc_end1416:
	.size	_ZN7rocprim17ROCPRIM_400000_NS6detail17trampoline_kernelINS0_14default_configENS1_27scan_by_key_config_selectorIidEEZZNS1_16scan_by_key_implILNS1_25lookback_scan_determinismE0ELb1ES3_N6thrust23THRUST_200600_302600_NS6detail15normal_iteratorINS9_10device_ptrIiEEEENSB_INSC_IdEEEESG_dNS9_4plusIvEENS9_8equal_toIvEEdEE10hipError_tPvRmT2_T3_T4_T5_mT6_T7_P12ihipStream_tbENKUlT_T0_E_clISt17integral_constantIbLb1EES10_IbLb0EEEEDaSW_SX_EUlSW_E_NS1_11comp_targetILNS1_3genE9ELNS1_11target_archE1100ELNS1_3gpuE3ELNS1_3repE0EEENS1_30default_config_static_selectorELNS0_4arch9wavefront6targetE1EEEvT1_, .Lfunc_end1416-_ZN7rocprim17ROCPRIM_400000_NS6detail17trampoline_kernelINS0_14default_configENS1_27scan_by_key_config_selectorIidEEZZNS1_16scan_by_key_implILNS1_25lookback_scan_determinismE0ELb1ES3_N6thrust23THRUST_200600_302600_NS6detail15normal_iteratorINS9_10device_ptrIiEEEENSB_INSC_IdEEEESG_dNS9_4plusIvEENS9_8equal_toIvEEdEE10hipError_tPvRmT2_T3_T4_T5_mT6_T7_P12ihipStream_tbENKUlT_T0_E_clISt17integral_constantIbLb1EES10_IbLb0EEEEDaSW_SX_EUlSW_E_NS1_11comp_targetILNS1_3genE9ELNS1_11target_archE1100ELNS1_3gpuE3ELNS1_3repE0EEENS1_30default_config_static_selectorELNS0_4arch9wavefront6targetE1EEEvT1_
                                        ; -- End function
	.section	.AMDGPU.csdata,"",@progbits
; Kernel info:
; codeLenInByte = 0
; NumSgprs: 4
; NumVgprs: 0
; NumAgprs: 0
; TotalNumVgprs: 0
; ScratchSize: 0
; MemoryBound: 0
; FloatMode: 240
; IeeeMode: 1
; LDSByteSize: 0 bytes/workgroup (compile time only)
; SGPRBlocks: 0
; VGPRBlocks: 0
; NumSGPRsForWavesPerEU: 4
; NumVGPRsForWavesPerEU: 1
; AccumOffset: 4
; Occupancy: 8
; WaveLimiterHint : 0
; COMPUTE_PGM_RSRC2:SCRATCH_EN: 0
; COMPUTE_PGM_RSRC2:USER_SGPR: 6
; COMPUTE_PGM_RSRC2:TRAP_HANDLER: 0
; COMPUTE_PGM_RSRC2:TGID_X_EN: 1
; COMPUTE_PGM_RSRC2:TGID_Y_EN: 0
; COMPUTE_PGM_RSRC2:TGID_Z_EN: 0
; COMPUTE_PGM_RSRC2:TIDIG_COMP_CNT: 0
; COMPUTE_PGM_RSRC3_GFX90A:ACCUM_OFFSET: 0
; COMPUTE_PGM_RSRC3_GFX90A:TG_SPLIT: 0
	.section	.text._ZN7rocprim17ROCPRIM_400000_NS6detail17trampoline_kernelINS0_14default_configENS1_27scan_by_key_config_selectorIidEEZZNS1_16scan_by_key_implILNS1_25lookback_scan_determinismE0ELb1ES3_N6thrust23THRUST_200600_302600_NS6detail15normal_iteratorINS9_10device_ptrIiEEEENSB_INSC_IdEEEESG_dNS9_4plusIvEENS9_8equal_toIvEEdEE10hipError_tPvRmT2_T3_T4_T5_mT6_T7_P12ihipStream_tbENKUlT_T0_E_clISt17integral_constantIbLb1EES10_IbLb0EEEEDaSW_SX_EUlSW_E_NS1_11comp_targetILNS1_3genE8ELNS1_11target_archE1030ELNS1_3gpuE2ELNS1_3repE0EEENS1_30default_config_static_selectorELNS0_4arch9wavefront6targetE1EEEvT1_,"axG",@progbits,_ZN7rocprim17ROCPRIM_400000_NS6detail17trampoline_kernelINS0_14default_configENS1_27scan_by_key_config_selectorIidEEZZNS1_16scan_by_key_implILNS1_25lookback_scan_determinismE0ELb1ES3_N6thrust23THRUST_200600_302600_NS6detail15normal_iteratorINS9_10device_ptrIiEEEENSB_INSC_IdEEEESG_dNS9_4plusIvEENS9_8equal_toIvEEdEE10hipError_tPvRmT2_T3_T4_T5_mT6_T7_P12ihipStream_tbENKUlT_T0_E_clISt17integral_constantIbLb1EES10_IbLb0EEEEDaSW_SX_EUlSW_E_NS1_11comp_targetILNS1_3genE8ELNS1_11target_archE1030ELNS1_3gpuE2ELNS1_3repE0EEENS1_30default_config_static_selectorELNS0_4arch9wavefront6targetE1EEEvT1_,comdat
	.protected	_ZN7rocprim17ROCPRIM_400000_NS6detail17trampoline_kernelINS0_14default_configENS1_27scan_by_key_config_selectorIidEEZZNS1_16scan_by_key_implILNS1_25lookback_scan_determinismE0ELb1ES3_N6thrust23THRUST_200600_302600_NS6detail15normal_iteratorINS9_10device_ptrIiEEEENSB_INSC_IdEEEESG_dNS9_4plusIvEENS9_8equal_toIvEEdEE10hipError_tPvRmT2_T3_T4_T5_mT6_T7_P12ihipStream_tbENKUlT_T0_E_clISt17integral_constantIbLb1EES10_IbLb0EEEEDaSW_SX_EUlSW_E_NS1_11comp_targetILNS1_3genE8ELNS1_11target_archE1030ELNS1_3gpuE2ELNS1_3repE0EEENS1_30default_config_static_selectorELNS0_4arch9wavefront6targetE1EEEvT1_ ; -- Begin function _ZN7rocprim17ROCPRIM_400000_NS6detail17trampoline_kernelINS0_14default_configENS1_27scan_by_key_config_selectorIidEEZZNS1_16scan_by_key_implILNS1_25lookback_scan_determinismE0ELb1ES3_N6thrust23THRUST_200600_302600_NS6detail15normal_iteratorINS9_10device_ptrIiEEEENSB_INSC_IdEEEESG_dNS9_4plusIvEENS9_8equal_toIvEEdEE10hipError_tPvRmT2_T3_T4_T5_mT6_T7_P12ihipStream_tbENKUlT_T0_E_clISt17integral_constantIbLb1EES10_IbLb0EEEEDaSW_SX_EUlSW_E_NS1_11comp_targetILNS1_3genE8ELNS1_11target_archE1030ELNS1_3gpuE2ELNS1_3repE0EEENS1_30default_config_static_selectorELNS0_4arch9wavefront6targetE1EEEvT1_
	.globl	_ZN7rocprim17ROCPRIM_400000_NS6detail17trampoline_kernelINS0_14default_configENS1_27scan_by_key_config_selectorIidEEZZNS1_16scan_by_key_implILNS1_25lookback_scan_determinismE0ELb1ES3_N6thrust23THRUST_200600_302600_NS6detail15normal_iteratorINS9_10device_ptrIiEEEENSB_INSC_IdEEEESG_dNS9_4plusIvEENS9_8equal_toIvEEdEE10hipError_tPvRmT2_T3_T4_T5_mT6_T7_P12ihipStream_tbENKUlT_T0_E_clISt17integral_constantIbLb1EES10_IbLb0EEEEDaSW_SX_EUlSW_E_NS1_11comp_targetILNS1_3genE8ELNS1_11target_archE1030ELNS1_3gpuE2ELNS1_3repE0EEENS1_30default_config_static_selectorELNS0_4arch9wavefront6targetE1EEEvT1_
	.p2align	8
	.type	_ZN7rocprim17ROCPRIM_400000_NS6detail17trampoline_kernelINS0_14default_configENS1_27scan_by_key_config_selectorIidEEZZNS1_16scan_by_key_implILNS1_25lookback_scan_determinismE0ELb1ES3_N6thrust23THRUST_200600_302600_NS6detail15normal_iteratorINS9_10device_ptrIiEEEENSB_INSC_IdEEEESG_dNS9_4plusIvEENS9_8equal_toIvEEdEE10hipError_tPvRmT2_T3_T4_T5_mT6_T7_P12ihipStream_tbENKUlT_T0_E_clISt17integral_constantIbLb1EES10_IbLb0EEEEDaSW_SX_EUlSW_E_NS1_11comp_targetILNS1_3genE8ELNS1_11target_archE1030ELNS1_3gpuE2ELNS1_3repE0EEENS1_30default_config_static_selectorELNS0_4arch9wavefront6targetE1EEEvT1_,@function
_ZN7rocprim17ROCPRIM_400000_NS6detail17trampoline_kernelINS0_14default_configENS1_27scan_by_key_config_selectorIidEEZZNS1_16scan_by_key_implILNS1_25lookback_scan_determinismE0ELb1ES3_N6thrust23THRUST_200600_302600_NS6detail15normal_iteratorINS9_10device_ptrIiEEEENSB_INSC_IdEEEESG_dNS9_4plusIvEENS9_8equal_toIvEEdEE10hipError_tPvRmT2_T3_T4_T5_mT6_T7_P12ihipStream_tbENKUlT_T0_E_clISt17integral_constantIbLb1EES10_IbLb0EEEEDaSW_SX_EUlSW_E_NS1_11comp_targetILNS1_3genE8ELNS1_11target_archE1030ELNS1_3gpuE2ELNS1_3repE0EEENS1_30default_config_static_selectorELNS0_4arch9wavefront6targetE1EEEvT1_: ; @_ZN7rocprim17ROCPRIM_400000_NS6detail17trampoline_kernelINS0_14default_configENS1_27scan_by_key_config_selectorIidEEZZNS1_16scan_by_key_implILNS1_25lookback_scan_determinismE0ELb1ES3_N6thrust23THRUST_200600_302600_NS6detail15normal_iteratorINS9_10device_ptrIiEEEENSB_INSC_IdEEEESG_dNS9_4plusIvEENS9_8equal_toIvEEdEE10hipError_tPvRmT2_T3_T4_T5_mT6_T7_P12ihipStream_tbENKUlT_T0_E_clISt17integral_constantIbLb1EES10_IbLb0EEEEDaSW_SX_EUlSW_E_NS1_11comp_targetILNS1_3genE8ELNS1_11target_archE1030ELNS1_3gpuE2ELNS1_3repE0EEENS1_30default_config_static_selectorELNS0_4arch9wavefront6targetE1EEEvT1_
; %bb.0:
	.section	.rodata,"a",@progbits
	.p2align	6, 0x0
	.amdhsa_kernel _ZN7rocprim17ROCPRIM_400000_NS6detail17trampoline_kernelINS0_14default_configENS1_27scan_by_key_config_selectorIidEEZZNS1_16scan_by_key_implILNS1_25lookback_scan_determinismE0ELb1ES3_N6thrust23THRUST_200600_302600_NS6detail15normal_iteratorINS9_10device_ptrIiEEEENSB_INSC_IdEEEESG_dNS9_4plusIvEENS9_8equal_toIvEEdEE10hipError_tPvRmT2_T3_T4_T5_mT6_T7_P12ihipStream_tbENKUlT_T0_E_clISt17integral_constantIbLb1EES10_IbLb0EEEEDaSW_SX_EUlSW_E_NS1_11comp_targetILNS1_3genE8ELNS1_11target_archE1030ELNS1_3gpuE2ELNS1_3repE0EEENS1_30default_config_static_selectorELNS0_4arch9wavefront6targetE1EEEvT1_
		.amdhsa_group_segment_fixed_size 0
		.amdhsa_private_segment_fixed_size 0
		.amdhsa_kernarg_size 136
		.amdhsa_user_sgpr_count 6
		.amdhsa_user_sgpr_private_segment_buffer 1
		.amdhsa_user_sgpr_dispatch_ptr 0
		.amdhsa_user_sgpr_queue_ptr 0
		.amdhsa_user_sgpr_kernarg_segment_ptr 1
		.amdhsa_user_sgpr_dispatch_id 0
		.amdhsa_user_sgpr_flat_scratch_init 0
		.amdhsa_user_sgpr_kernarg_preload_length 0
		.amdhsa_user_sgpr_kernarg_preload_offset 0
		.amdhsa_user_sgpr_private_segment_size 0
		.amdhsa_uses_dynamic_stack 0
		.amdhsa_system_sgpr_private_segment_wavefront_offset 0
		.amdhsa_system_sgpr_workgroup_id_x 1
		.amdhsa_system_sgpr_workgroup_id_y 0
		.amdhsa_system_sgpr_workgroup_id_z 0
		.amdhsa_system_sgpr_workgroup_info 0
		.amdhsa_system_vgpr_workitem_id 0
		.amdhsa_next_free_vgpr 1
		.amdhsa_next_free_sgpr 0
		.amdhsa_accum_offset 4
		.amdhsa_reserve_vcc 0
		.amdhsa_reserve_flat_scratch 0
		.amdhsa_float_round_mode_32 0
		.amdhsa_float_round_mode_16_64 0
		.amdhsa_float_denorm_mode_32 3
		.amdhsa_float_denorm_mode_16_64 3
		.amdhsa_dx10_clamp 1
		.amdhsa_ieee_mode 1
		.amdhsa_fp16_overflow 0
		.amdhsa_tg_split 0
		.amdhsa_exception_fp_ieee_invalid_op 0
		.amdhsa_exception_fp_denorm_src 0
		.amdhsa_exception_fp_ieee_div_zero 0
		.amdhsa_exception_fp_ieee_overflow 0
		.amdhsa_exception_fp_ieee_underflow 0
		.amdhsa_exception_fp_ieee_inexact 0
		.amdhsa_exception_int_div_zero 0
	.end_amdhsa_kernel
	.section	.text._ZN7rocprim17ROCPRIM_400000_NS6detail17trampoline_kernelINS0_14default_configENS1_27scan_by_key_config_selectorIidEEZZNS1_16scan_by_key_implILNS1_25lookback_scan_determinismE0ELb1ES3_N6thrust23THRUST_200600_302600_NS6detail15normal_iteratorINS9_10device_ptrIiEEEENSB_INSC_IdEEEESG_dNS9_4plusIvEENS9_8equal_toIvEEdEE10hipError_tPvRmT2_T3_T4_T5_mT6_T7_P12ihipStream_tbENKUlT_T0_E_clISt17integral_constantIbLb1EES10_IbLb0EEEEDaSW_SX_EUlSW_E_NS1_11comp_targetILNS1_3genE8ELNS1_11target_archE1030ELNS1_3gpuE2ELNS1_3repE0EEENS1_30default_config_static_selectorELNS0_4arch9wavefront6targetE1EEEvT1_,"axG",@progbits,_ZN7rocprim17ROCPRIM_400000_NS6detail17trampoline_kernelINS0_14default_configENS1_27scan_by_key_config_selectorIidEEZZNS1_16scan_by_key_implILNS1_25lookback_scan_determinismE0ELb1ES3_N6thrust23THRUST_200600_302600_NS6detail15normal_iteratorINS9_10device_ptrIiEEEENSB_INSC_IdEEEESG_dNS9_4plusIvEENS9_8equal_toIvEEdEE10hipError_tPvRmT2_T3_T4_T5_mT6_T7_P12ihipStream_tbENKUlT_T0_E_clISt17integral_constantIbLb1EES10_IbLb0EEEEDaSW_SX_EUlSW_E_NS1_11comp_targetILNS1_3genE8ELNS1_11target_archE1030ELNS1_3gpuE2ELNS1_3repE0EEENS1_30default_config_static_selectorELNS0_4arch9wavefront6targetE1EEEvT1_,comdat
.Lfunc_end1417:
	.size	_ZN7rocprim17ROCPRIM_400000_NS6detail17trampoline_kernelINS0_14default_configENS1_27scan_by_key_config_selectorIidEEZZNS1_16scan_by_key_implILNS1_25lookback_scan_determinismE0ELb1ES3_N6thrust23THRUST_200600_302600_NS6detail15normal_iteratorINS9_10device_ptrIiEEEENSB_INSC_IdEEEESG_dNS9_4plusIvEENS9_8equal_toIvEEdEE10hipError_tPvRmT2_T3_T4_T5_mT6_T7_P12ihipStream_tbENKUlT_T0_E_clISt17integral_constantIbLb1EES10_IbLb0EEEEDaSW_SX_EUlSW_E_NS1_11comp_targetILNS1_3genE8ELNS1_11target_archE1030ELNS1_3gpuE2ELNS1_3repE0EEENS1_30default_config_static_selectorELNS0_4arch9wavefront6targetE1EEEvT1_, .Lfunc_end1417-_ZN7rocprim17ROCPRIM_400000_NS6detail17trampoline_kernelINS0_14default_configENS1_27scan_by_key_config_selectorIidEEZZNS1_16scan_by_key_implILNS1_25lookback_scan_determinismE0ELb1ES3_N6thrust23THRUST_200600_302600_NS6detail15normal_iteratorINS9_10device_ptrIiEEEENSB_INSC_IdEEEESG_dNS9_4plusIvEENS9_8equal_toIvEEdEE10hipError_tPvRmT2_T3_T4_T5_mT6_T7_P12ihipStream_tbENKUlT_T0_E_clISt17integral_constantIbLb1EES10_IbLb0EEEEDaSW_SX_EUlSW_E_NS1_11comp_targetILNS1_3genE8ELNS1_11target_archE1030ELNS1_3gpuE2ELNS1_3repE0EEENS1_30default_config_static_selectorELNS0_4arch9wavefront6targetE1EEEvT1_
                                        ; -- End function
	.section	.AMDGPU.csdata,"",@progbits
; Kernel info:
; codeLenInByte = 0
; NumSgprs: 4
; NumVgprs: 0
; NumAgprs: 0
; TotalNumVgprs: 0
; ScratchSize: 0
; MemoryBound: 0
; FloatMode: 240
; IeeeMode: 1
; LDSByteSize: 0 bytes/workgroup (compile time only)
; SGPRBlocks: 0
; VGPRBlocks: 0
; NumSGPRsForWavesPerEU: 4
; NumVGPRsForWavesPerEU: 1
; AccumOffset: 4
; Occupancy: 8
; WaveLimiterHint : 0
; COMPUTE_PGM_RSRC2:SCRATCH_EN: 0
; COMPUTE_PGM_RSRC2:USER_SGPR: 6
; COMPUTE_PGM_RSRC2:TRAP_HANDLER: 0
; COMPUTE_PGM_RSRC2:TGID_X_EN: 1
; COMPUTE_PGM_RSRC2:TGID_Y_EN: 0
; COMPUTE_PGM_RSRC2:TGID_Z_EN: 0
; COMPUTE_PGM_RSRC2:TIDIG_COMP_CNT: 0
; COMPUTE_PGM_RSRC3_GFX90A:ACCUM_OFFSET: 0
; COMPUTE_PGM_RSRC3_GFX90A:TG_SPLIT: 0
	.section	.text._ZN7rocprim17ROCPRIM_400000_NS6detail17trampoline_kernelINS0_14default_configENS1_27scan_by_key_config_selectorIidEEZZNS1_16scan_by_key_implILNS1_25lookback_scan_determinismE0ELb1ES3_N6thrust23THRUST_200600_302600_NS6detail15normal_iteratorINS9_10device_ptrIiEEEENSB_INSC_IdEEEESG_dNS9_4plusIvEENS9_8equal_toIvEEdEE10hipError_tPvRmT2_T3_T4_T5_mT6_T7_P12ihipStream_tbENKUlT_T0_E_clISt17integral_constantIbLb0EES10_IbLb1EEEEDaSW_SX_EUlSW_E_NS1_11comp_targetILNS1_3genE0ELNS1_11target_archE4294967295ELNS1_3gpuE0ELNS1_3repE0EEENS1_30default_config_static_selectorELNS0_4arch9wavefront6targetE1EEEvT1_,"axG",@progbits,_ZN7rocprim17ROCPRIM_400000_NS6detail17trampoline_kernelINS0_14default_configENS1_27scan_by_key_config_selectorIidEEZZNS1_16scan_by_key_implILNS1_25lookback_scan_determinismE0ELb1ES3_N6thrust23THRUST_200600_302600_NS6detail15normal_iteratorINS9_10device_ptrIiEEEENSB_INSC_IdEEEESG_dNS9_4plusIvEENS9_8equal_toIvEEdEE10hipError_tPvRmT2_T3_T4_T5_mT6_T7_P12ihipStream_tbENKUlT_T0_E_clISt17integral_constantIbLb0EES10_IbLb1EEEEDaSW_SX_EUlSW_E_NS1_11comp_targetILNS1_3genE0ELNS1_11target_archE4294967295ELNS1_3gpuE0ELNS1_3repE0EEENS1_30default_config_static_selectorELNS0_4arch9wavefront6targetE1EEEvT1_,comdat
	.protected	_ZN7rocprim17ROCPRIM_400000_NS6detail17trampoline_kernelINS0_14default_configENS1_27scan_by_key_config_selectorIidEEZZNS1_16scan_by_key_implILNS1_25lookback_scan_determinismE0ELb1ES3_N6thrust23THRUST_200600_302600_NS6detail15normal_iteratorINS9_10device_ptrIiEEEENSB_INSC_IdEEEESG_dNS9_4plusIvEENS9_8equal_toIvEEdEE10hipError_tPvRmT2_T3_T4_T5_mT6_T7_P12ihipStream_tbENKUlT_T0_E_clISt17integral_constantIbLb0EES10_IbLb1EEEEDaSW_SX_EUlSW_E_NS1_11comp_targetILNS1_3genE0ELNS1_11target_archE4294967295ELNS1_3gpuE0ELNS1_3repE0EEENS1_30default_config_static_selectorELNS0_4arch9wavefront6targetE1EEEvT1_ ; -- Begin function _ZN7rocprim17ROCPRIM_400000_NS6detail17trampoline_kernelINS0_14default_configENS1_27scan_by_key_config_selectorIidEEZZNS1_16scan_by_key_implILNS1_25lookback_scan_determinismE0ELb1ES3_N6thrust23THRUST_200600_302600_NS6detail15normal_iteratorINS9_10device_ptrIiEEEENSB_INSC_IdEEEESG_dNS9_4plusIvEENS9_8equal_toIvEEdEE10hipError_tPvRmT2_T3_T4_T5_mT6_T7_P12ihipStream_tbENKUlT_T0_E_clISt17integral_constantIbLb0EES10_IbLb1EEEEDaSW_SX_EUlSW_E_NS1_11comp_targetILNS1_3genE0ELNS1_11target_archE4294967295ELNS1_3gpuE0ELNS1_3repE0EEENS1_30default_config_static_selectorELNS0_4arch9wavefront6targetE1EEEvT1_
	.globl	_ZN7rocprim17ROCPRIM_400000_NS6detail17trampoline_kernelINS0_14default_configENS1_27scan_by_key_config_selectorIidEEZZNS1_16scan_by_key_implILNS1_25lookback_scan_determinismE0ELb1ES3_N6thrust23THRUST_200600_302600_NS6detail15normal_iteratorINS9_10device_ptrIiEEEENSB_INSC_IdEEEESG_dNS9_4plusIvEENS9_8equal_toIvEEdEE10hipError_tPvRmT2_T3_T4_T5_mT6_T7_P12ihipStream_tbENKUlT_T0_E_clISt17integral_constantIbLb0EES10_IbLb1EEEEDaSW_SX_EUlSW_E_NS1_11comp_targetILNS1_3genE0ELNS1_11target_archE4294967295ELNS1_3gpuE0ELNS1_3repE0EEENS1_30default_config_static_selectorELNS0_4arch9wavefront6targetE1EEEvT1_
	.p2align	8
	.type	_ZN7rocprim17ROCPRIM_400000_NS6detail17trampoline_kernelINS0_14default_configENS1_27scan_by_key_config_selectorIidEEZZNS1_16scan_by_key_implILNS1_25lookback_scan_determinismE0ELb1ES3_N6thrust23THRUST_200600_302600_NS6detail15normal_iteratorINS9_10device_ptrIiEEEENSB_INSC_IdEEEESG_dNS9_4plusIvEENS9_8equal_toIvEEdEE10hipError_tPvRmT2_T3_T4_T5_mT6_T7_P12ihipStream_tbENKUlT_T0_E_clISt17integral_constantIbLb0EES10_IbLb1EEEEDaSW_SX_EUlSW_E_NS1_11comp_targetILNS1_3genE0ELNS1_11target_archE4294967295ELNS1_3gpuE0ELNS1_3repE0EEENS1_30default_config_static_selectorELNS0_4arch9wavefront6targetE1EEEvT1_,@function
_ZN7rocprim17ROCPRIM_400000_NS6detail17trampoline_kernelINS0_14default_configENS1_27scan_by_key_config_selectorIidEEZZNS1_16scan_by_key_implILNS1_25lookback_scan_determinismE0ELb1ES3_N6thrust23THRUST_200600_302600_NS6detail15normal_iteratorINS9_10device_ptrIiEEEENSB_INSC_IdEEEESG_dNS9_4plusIvEENS9_8equal_toIvEEdEE10hipError_tPvRmT2_T3_T4_T5_mT6_T7_P12ihipStream_tbENKUlT_T0_E_clISt17integral_constantIbLb0EES10_IbLb1EEEEDaSW_SX_EUlSW_E_NS1_11comp_targetILNS1_3genE0ELNS1_11target_archE4294967295ELNS1_3gpuE0ELNS1_3repE0EEENS1_30default_config_static_selectorELNS0_4arch9wavefront6targetE1EEEvT1_: ; @_ZN7rocprim17ROCPRIM_400000_NS6detail17trampoline_kernelINS0_14default_configENS1_27scan_by_key_config_selectorIidEEZZNS1_16scan_by_key_implILNS1_25lookback_scan_determinismE0ELb1ES3_N6thrust23THRUST_200600_302600_NS6detail15normal_iteratorINS9_10device_ptrIiEEEENSB_INSC_IdEEEESG_dNS9_4plusIvEENS9_8equal_toIvEEdEE10hipError_tPvRmT2_T3_T4_T5_mT6_T7_P12ihipStream_tbENKUlT_T0_E_clISt17integral_constantIbLb0EES10_IbLb1EEEEDaSW_SX_EUlSW_E_NS1_11comp_targetILNS1_3genE0ELNS1_11target_archE4294967295ELNS1_3gpuE0ELNS1_3repE0EEENS1_30default_config_static_selectorELNS0_4arch9wavefront6targetE1EEEvT1_
; %bb.0:
	.section	.rodata,"a",@progbits
	.p2align	6, 0x0
	.amdhsa_kernel _ZN7rocprim17ROCPRIM_400000_NS6detail17trampoline_kernelINS0_14default_configENS1_27scan_by_key_config_selectorIidEEZZNS1_16scan_by_key_implILNS1_25lookback_scan_determinismE0ELb1ES3_N6thrust23THRUST_200600_302600_NS6detail15normal_iteratorINS9_10device_ptrIiEEEENSB_INSC_IdEEEESG_dNS9_4plusIvEENS9_8equal_toIvEEdEE10hipError_tPvRmT2_T3_T4_T5_mT6_T7_P12ihipStream_tbENKUlT_T0_E_clISt17integral_constantIbLb0EES10_IbLb1EEEEDaSW_SX_EUlSW_E_NS1_11comp_targetILNS1_3genE0ELNS1_11target_archE4294967295ELNS1_3gpuE0ELNS1_3repE0EEENS1_30default_config_static_selectorELNS0_4arch9wavefront6targetE1EEEvT1_
		.amdhsa_group_segment_fixed_size 0
		.amdhsa_private_segment_fixed_size 0
		.amdhsa_kernarg_size 136
		.amdhsa_user_sgpr_count 6
		.amdhsa_user_sgpr_private_segment_buffer 1
		.amdhsa_user_sgpr_dispatch_ptr 0
		.amdhsa_user_sgpr_queue_ptr 0
		.amdhsa_user_sgpr_kernarg_segment_ptr 1
		.amdhsa_user_sgpr_dispatch_id 0
		.amdhsa_user_sgpr_flat_scratch_init 0
		.amdhsa_user_sgpr_kernarg_preload_length 0
		.amdhsa_user_sgpr_kernarg_preload_offset 0
		.amdhsa_user_sgpr_private_segment_size 0
		.amdhsa_uses_dynamic_stack 0
		.amdhsa_system_sgpr_private_segment_wavefront_offset 0
		.amdhsa_system_sgpr_workgroup_id_x 1
		.amdhsa_system_sgpr_workgroup_id_y 0
		.amdhsa_system_sgpr_workgroup_id_z 0
		.amdhsa_system_sgpr_workgroup_info 0
		.amdhsa_system_vgpr_workitem_id 0
		.amdhsa_next_free_vgpr 1
		.amdhsa_next_free_sgpr 0
		.amdhsa_accum_offset 4
		.amdhsa_reserve_vcc 0
		.amdhsa_reserve_flat_scratch 0
		.amdhsa_float_round_mode_32 0
		.amdhsa_float_round_mode_16_64 0
		.amdhsa_float_denorm_mode_32 3
		.amdhsa_float_denorm_mode_16_64 3
		.amdhsa_dx10_clamp 1
		.amdhsa_ieee_mode 1
		.amdhsa_fp16_overflow 0
		.amdhsa_tg_split 0
		.amdhsa_exception_fp_ieee_invalid_op 0
		.amdhsa_exception_fp_denorm_src 0
		.amdhsa_exception_fp_ieee_div_zero 0
		.amdhsa_exception_fp_ieee_overflow 0
		.amdhsa_exception_fp_ieee_underflow 0
		.amdhsa_exception_fp_ieee_inexact 0
		.amdhsa_exception_int_div_zero 0
	.end_amdhsa_kernel
	.section	.text._ZN7rocprim17ROCPRIM_400000_NS6detail17trampoline_kernelINS0_14default_configENS1_27scan_by_key_config_selectorIidEEZZNS1_16scan_by_key_implILNS1_25lookback_scan_determinismE0ELb1ES3_N6thrust23THRUST_200600_302600_NS6detail15normal_iteratorINS9_10device_ptrIiEEEENSB_INSC_IdEEEESG_dNS9_4plusIvEENS9_8equal_toIvEEdEE10hipError_tPvRmT2_T3_T4_T5_mT6_T7_P12ihipStream_tbENKUlT_T0_E_clISt17integral_constantIbLb0EES10_IbLb1EEEEDaSW_SX_EUlSW_E_NS1_11comp_targetILNS1_3genE0ELNS1_11target_archE4294967295ELNS1_3gpuE0ELNS1_3repE0EEENS1_30default_config_static_selectorELNS0_4arch9wavefront6targetE1EEEvT1_,"axG",@progbits,_ZN7rocprim17ROCPRIM_400000_NS6detail17trampoline_kernelINS0_14default_configENS1_27scan_by_key_config_selectorIidEEZZNS1_16scan_by_key_implILNS1_25lookback_scan_determinismE0ELb1ES3_N6thrust23THRUST_200600_302600_NS6detail15normal_iteratorINS9_10device_ptrIiEEEENSB_INSC_IdEEEESG_dNS9_4plusIvEENS9_8equal_toIvEEdEE10hipError_tPvRmT2_T3_T4_T5_mT6_T7_P12ihipStream_tbENKUlT_T0_E_clISt17integral_constantIbLb0EES10_IbLb1EEEEDaSW_SX_EUlSW_E_NS1_11comp_targetILNS1_3genE0ELNS1_11target_archE4294967295ELNS1_3gpuE0ELNS1_3repE0EEENS1_30default_config_static_selectorELNS0_4arch9wavefront6targetE1EEEvT1_,comdat
.Lfunc_end1418:
	.size	_ZN7rocprim17ROCPRIM_400000_NS6detail17trampoline_kernelINS0_14default_configENS1_27scan_by_key_config_selectorIidEEZZNS1_16scan_by_key_implILNS1_25lookback_scan_determinismE0ELb1ES3_N6thrust23THRUST_200600_302600_NS6detail15normal_iteratorINS9_10device_ptrIiEEEENSB_INSC_IdEEEESG_dNS9_4plusIvEENS9_8equal_toIvEEdEE10hipError_tPvRmT2_T3_T4_T5_mT6_T7_P12ihipStream_tbENKUlT_T0_E_clISt17integral_constantIbLb0EES10_IbLb1EEEEDaSW_SX_EUlSW_E_NS1_11comp_targetILNS1_3genE0ELNS1_11target_archE4294967295ELNS1_3gpuE0ELNS1_3repE0EEENS1_30default_config_static_selectorELNS0_4arch9wavefront6targetE1EEEvT1_, .Lfunc_end1418-_ZN7rocprim17ROCPRIM_400000_NS6detail17trampoline_kernelINS0_14default_configENS1_27scan_by_key_config_selectorIidEEZZNS1_16scan_by_key_implILNS1_25lookback_scan_determinismE0ELb1ES3_N6thrust23THRUST_200600_302600_NS6detail15normal_iteratorINS9_10device_ptrIiEEEENSB_INSC_IdEEEESG_dNS9_4plusIvEENS9_8equal_toIvEEdEE10hipError_tPvRmT2_T3_T4_T5_mT6_T7_P12ihipStream_tbENKUlT_T0_E_clISt17integral_constantIbLb0EES10_IbLb1EEEEDaSW_SX_EUlSW_E_NS1_11comp_targetILNS1_3genE0ELNS1_11target_archE4294967295ELNS1_3gpuE0ELNS1_3repE0EEENS1_30default_config_static_selectorELNS0_4arch9wavefront6targetE1EEEvT1_
                                        ; -- End function
	.section	.AMDGPU.csdata,"",@progbits
; Kernel info:
; codeLenInByte = 0
; NumSgprs: 4
; NumVgprs: 0
; NumAgprs: 0
; TotalNumVgprs: 0
; ScratchSize: 0
; MemoryBound: 0
; FloatMode: 240
; IeeeMode: 1
; LDSByteSize: 0 bytes/workgroup (compile time only)
; SGPRBlocks: 0
; VGPRBlocks: 0
; NumSGPRsForWavesPerEU: 4
; NumVGPRsForWavesPerEU: 1
; AccumOffset: 4
; Occupancy: 8
; WaveLimiterHint : 0
; COMPUTE_PGM_RSRC2:SCRATCH_EN: 0
; COMPUTE_PGM_RSRC2:USER_SGPR: 6
; COMPUTE_PGM_RSRC2:TRAP_HANDLER: 0
; COMPUTE_PGM_RSRC2:TGID_X_EN: 1
; COMPUTE_PGM_RSRC2:TGID_Y_EN: 0
; COMPUTE_PGM_RSRC2:TGID_Z_EN: 0
; COMPUTE_PGM_RSRC2:TIDIG_COMP_CNT: 0
; COMPUTE_PGM_RSRC3_GFX90A:ACCUM_OFFSET: 0
; COMPUTE_PGM_RSRC3_GFX90A:TG_SPLIT: 0
	.section	.text._ZN7rocprim17ROCPRIM_400000_NS6detail17trampoline_kernelINS0_14default_configENS1_27scan_by_key_config_selectorIidEEZZNS1_16scan_by_key_implILNS1_25lookback_scan_determinismE0ELb1ES3_N6thrust23THRUST_200600_302600_NS6detail15normal_iteratorINS9_10device_ptrIiEEEENSB_INSC_IdEEEESG_dNS9_4plusIvEENS9_8equal_toIvEEdEE10hipError_tPvRmT2_T3_T4_T5_mT6_T7_P12ihipStream_tbENKUlT_T0_E_clISt17integral_constantIbLb0EES10_IbLb1EEEEDaSW_SX_EUlSW_E_NS1_11comp_targetILNS1_3genE10ELNS1_11target_archE1201ELNS1_3gpuE5ELNS1_3repE0EEENS1_30default_config_static_selectorELNS0_4arch9wavefront6targetE1EEEvT1_,"axG",@progbits,_ZN7rocprim17ROCPRIM_400000_NS6detail17trampoline_kernelINS0_14default_configENS1_27scan_by_key_config_selectorIidEEZZNS1_16scan_by_key_implILNS1_25lookback_scan_determinismE0ELb1ES3_N6thrust23THRUST_200600_302600_NS6detail15normal_iteratorINS9_10device_ptrIiEEEENSB_INSC_IdEEEESG_dNS9_4plusIvEENS9_8equal_toIvEEdEE10hipError_tPvRmT2_T3_T4_T5_mT6_T7_P12ihipStream_tbENKUlT_T0_E_clISt17integral_constantIbLb0EES10_IbLb1EEEEDaSW_SX_EUlSW_E_NS1_11comp_targetILNS1_3genE10ELNS1_11target_archE1201ELNS1_3gpuE5ELNS1_3repE0EEENS1_30default_config_static_selectorELNS0_4arch9wavefront6targetE1EEEvT1_,comdat
	.protected	_ZN7rocprim17ROCPRIM_400000_NS6detail17trampoline_kernelINS0_14default_configENS1_27scan_by_key_config_selectorIidEEZZNS1_16scan_by_key_implILNS1_25lookback_scan_determinismE0ELb1ES3_N6thrust23THRUST_200600_302600_NS6detail15normal_iteratorINS9_10device_ptrIiEEEENSB_INSC_IdEEEESG_dNS9_4plusIvEENS9_8equal_toIvEEdEE10hipError_tPvRmT2_T3_T4_T5_mT6_T7_P12ihipStream_tbENKUlT_T0_E_clISt17integral_constantIbLb0EES10_IbLb1EEEEDaSW_SX_EUlSW_E_NS1_11comp_targetILNS1_3genE10ELNS1_11target_archE1201ELNS1_3gpuE5ELNS1_3repE0EEENS1_30default_config_static_selectorELNS0_4arch9wavefront6targetE1EEEvT1_ ; -- Begin function _ZN7rocprim17ROCPRIM_400000_NS6detail17trampoline_kernelINS0_14default_configENS1_27scan_by_key_config_selectorIidEEZZNS1_16scan_by_key_implILNS1_25lookback_scan_determinismE0ELb1ES3_N6thrust23THRUST_200600_302600_NS6detail15normal_iteratorINS9_10device_ptrIiEEEENSB_INSC_IdEEEESG_dNS9_4plusIvEENS9_8equal_toIvEEdEE10hipError_tPvRmT2_T3_T4_T5_mT6_T7_P12ihipStream_tbENKUlT_T0_E_clISt17integral_constantIbLb0EES10_IbLb1EEEEDaSW_SX_EUlSW_E_NS1_11comp_targetILNS1_3genE10ELNS1_11target_archE1201ELNS1_3gpuE5ELNS1_3repE0EEENS1_30default_config_static_selectorELNS0_4arch9wavefront6targetE1EEEvT1_
	.globl	_ZN7rocprim17ROCPRIM_400000_NS6detail17trampoline_kernelINS0_14default_configENS1_27scan_by_key_config_selectorIidEEZZNS1_16scan_by_key_implILNS1_25lookback_scan_determinismE0ELb1ES3_N6thrust23THRUST_200600_302600_NS6detail15normal_iteratorINS9_10device_ptrIiEEEENSB_INSC_IdEEEESG_dNS9_4plusIvEENS9_8equal_toIvEEdEE10hipError_tPvRmT2_T3_T4_T5_mT6_T7_P12ihipStream_tbENKUlT_T0_E_clISt17integral_constantIbLb0EES10_IbLb1EEEEDaSW_SX_EUlSW_E_NS1_11comp_targetILNS1_3genE10ELNS1_11target_archE1201ELNS1_3gpuE5ELNS1_3repE0EEENS1_30default_config_static_selectorELNS0_4arch9wavefront6targetE1EEEvT1_
	.p2align	8
	.type	_ZN7rocprim17ROCPRIM_400000_NS6detail17trampoline_kernelINS0_14default_configENS1_27scan_by_key_config_selectorIidEEZZNS1_16scan_by_key_implILNS1_25lookback_scan_determinismE0ELb1ES3_N6thrust23THRUST_200600_302600_NS6detail15normal_iteratorINS9_10device_ptrIiEEEENSB_INSC_IdEEEESG_dNS9_4plusIvEENS9_8equal_toIvEEdEE10hipError_tPvRmT2_T3_T4_T5_mT6_T7_P12ihipStream_tbENKUlT_T0_E_clISt17integral_constantIbLb0EES10_IbLb1EEEEDaSW_SX_EUlSW_E_NS1_11comp_targetILNS1_3genE10ELNS1_11target_archE1201ELNS1_3gpuE5ELNS1_3repE0EEENS1_30default_config_static_selectorELNS0_4arch9wavefront6targetE1EEEvT1_,@function
_ZN7rocprim17ROCPRIM_400000_NS6detail17trampoline_kernelINS0_14default_configENS1_27scan_by_key_config_selectorIidEEZZNS1_16scan_by_key_implILNS1_25lookback_scan_determinismE0ELb1ES3_N6thrust23THRUST_200600_302600_NS6detail15normal_iteratorINS9_10device_ptrIiEEEENSB_INSC_IdEEEESG_dNS9_4plusIvEENS9_8equal_toIvEEdEE10hipError_tPvRmT2_T3_T4_T5_mT6_T7_P12ihipStream_tbENKUlT_T0_E_clISt17integral_constantIbLb0EES10_IbLb1EEEEDaSW_SX_EUlSW_E_NS1_11comp_targetILNS1_3genE10ELNS1_11target_archE1201ELNS1_3gpuE5ELNS1_3repE0EEENS1_30default_config_static_selectorELNS0_4arch9wavefront6targetE1EEEvT1_: ; @_ZN7rocprim17ROCPRIM_400000_NS6detail17trampoline_kernelINS0_14default_configENS1_27scan_by_key_config_selectorIidEEZZNS1_16scan_by_key_implILNS1_25lookback_scan_determinismE0ELb1ES3_N6thrust23THRUST_200600_302600_NS6detail15normal_iteratorINS9_10device_ptrIiEEEENSB_INSC_IdEEEESG_dNS9_4plusIvEENS9_8equal_toIvEEdEE10hipError_tPvRmT2_T3_T4_T5_mT6_T7_P12ihipStream_tbENKUlT_T0_E_clISt17integral_constantIbLb0EES10_IbLb1EEEEDaSW_SX_EUlSW_E_NS1_11comp_targetILNS1_3genE10ELNS1_11target_archE1201ELNS1_3gpuE5ELNS1_3repE0EEENS1_30default_config_static_selectorELNS0_4arch9wavefront6targetE1EEEvT1_
; %bb.0:
	.section	.rodata,"a",@progbits
	.p2align	6, 0x0
	.amdhsa_kernel _ZN7rocprim17ROCPRIM_400000_NS6detail17trampoline_kernelINS0_14default_configENS1_27scan_by_key_config_selectorIidEEZZNS1_16scan_by_key_implILNS1_25lookback_scan_determinismE0ELb1ES3_N6thrust23THRUST_200600_302600_NS6detail15normal_iteratorINS9_10device_ptrIiEEEENSB_INSC_IdEEEESG_dNS9_4plusIvEENS9_8equal_toIvEEdEE10hipError_tPvRmT2_T3_T4_T5_mT6_T7_P12ihipStream_tbENKUlT_T0_E_clISt17integral_constantIbLb0EES10_IbLb1EEEEDaSW_SX_EUlSW_E_NS1_11comp_targetILNS1_3genE10ELNS1_11target_archE1201ELNS1_3gpuE5ELNS1_3repE0EEENS1_30default_config_static_selectorELNS0_4arch9wavefront6targetE1EEEvT1_
		.amdhsa_group_segment_fixed_size 0
		.amdhsa_private_segment_fixed_size 0
		.amdhsa_kernarg_size 136
		.amdhsa_user_sgpr_count 6
		.amdhsa_user_sgpr_private_segment_buffer 1
		.amdhsa_user_sgpr_dispatch_ptr 0
		.amdhsa_user_sgpr_queue_ptr 0
		.amdhsa_user_sgpr_kernarg_segment_ptr 1
		.amdhsa_user_sgpr_dispatch_id 0
		.amdhsa_user_sgpr_flat_scratch_init 0
		.amdhsa_user_sgpr_kernarg_preload_length 0
		.amdhsa_user_sgpr_kernarg_preload_offset 0
		.amdhsa_user_sgpr_private_segment_size 0
		.amdhsa_uses_dynamic_stack 0
		.amdhsa_system_sgpr_private_segment_wavefront_offset 0
		.amdhsa_system_sgpr_workgroup_id_x 1
		.amdhsa_system_sgpr_workgroup_id_y 0
		.amdhsa_system_sgpr_workgroup_id_z 0
		.amdhsa_system_sgpr_workgroup_info 0
		.amdhsa_system_vgpr_workitem_id 0
		.amdhsa_next_free_vgpr 1
		.amdhsa_next_free_sgpr 0
		.amdhsa_accum_offset 4
		.amdhsa_reserve_vcc 0
		.amdhsa_reserve_flat_scratch 0
		.amdhsa_float_round_mode_32 0
		.amdhsa_float_round_mode_16_64 0
		.amdhsa_float_denorm_mode_32 3
		.amdhsa_float_denorm_mode_16_64 3
		.amdhsa_dx10_clamp 1
		.amdhsa_ieee_mode 1
		.amdhsa_fp16_overflow 0
		.amdhsa_tg_split 0
		.amdhsa_exception_fp_ieee_invalid_op 0
		.amdhsa_exception_fp_denorm_src 0
		.amdhsa_exception_fp_ieee_div_zero 0
		.amdhsa_exception_fp_ieee_overflow 0
		.amdhsa_exception_fp_ieee_underflow 0
		.amdhsa_exception_fp_ieee_inexact 0
		.amdhsa_exception_int_div_zero 0
	.end_amdhsa_kernel
	.section	.text._ZN7rocprim17ROCPRIM_400000_NS6detail17trampoline_kernelINS0_14default_configENS1_27scan_by_key_config_selectorIidEEZZNS1_16scan_by_key_implILNS1_25lookback_scan_determinismE0ELb1ES3_N6thrust23THRUST_200600_302600_NS6detail15normal_iteratorINS9_10device_ptrIiEEEENSB_INSC_IdEEEESG_dNS9_4plusIvEENS9_8equal_toIvEEdEE10hipError_tPvRmT2_T3_T4_T5_mT6_T7_P12ihipStream_tbENKUlT_T0_E_clISt17integral_constantIbLb0EES10_IbLb1EEEEDaSW_SX_EUlSW_E_NS1_11comp_targetILNS1_3genE10ELNS1_11target_archE1201ELNS1_3gpuE5ELNS1_3repE0EEENS1_30default_config_static_selectorELNS0_4arch9wavefront6targetE1EEEvT1_,"axG",@progbits,_ZN7rocprim17ROCPRIM_400000_NS6detail17trampoline_kernelINS0_14default_configENS1_27scan_by_key_config_selectorIidEEZZNS1_16scan_by_key_implILNS1_25lookback_scan_determinismE0ELb1ES3_N6thrust23THRUST_200600_302600_NS6detail15normal_iteratorINS9_10device_ptrIiEEEENSB_INSC_IdEEEESG_dNS9_4plusIvEENS9_8equal_toIvEEdEE10hipError_tPvRmT2_T3_T4_T5_mT6_T7_P12ihipStream_tbENKUlT_T0_E_clISt17integral_constantIbLb0EES10_IbLb1EEEEDaSW_SX_EUlSW_E_NS1_11comp_targetILNS1_3genE10ELNS1_11target_archE1201ELNS1_3gpuE5ELNS1_3repE0EEENS1_30default_config_static_selectorELNS0_4arch9wavefront6targetE1EEEvT1_,comdat
.Lfunc_end1419:
	.size	_ZN7rocprim17ROCPRIM_400000_NS6detail17trampoline_kernelINS0_14default_configENS1_27scan_by_key_config_selectorIidEEZZNS1_16scan_by_key_implILNS1_25lookback_scan_determinismE0ELb1ES3_N6thrust23THRUST_200600_302600_NS6detail15normal_iteratorINS9_10device_ptrIiEEEENSB_INSC_IdEEEESG_dNS9_4plusIvEENS9_8equal_toIvEEdEE10hipError_tPvRmT2_T3_T4_T5_mT6_T7_P12ihipStream_tbENKUlT_T0_E_clISt17integral_constantIbLb0EES10_IbLb1EEEEDaSW_SX_EUlSW_E_NS1_11comp_targetILNS1_3genE10ELNS1_11target_archE1201ELNS1_3gpuE5ELNS1_3repE0EEENS1_30default_config_static_selectorELNS0_4arch9wavefront6targetE1EEEvT1_, .Lfunc_end1419-_ZN7rocprim17ROCPRIM_400000_NS6detail17trampoline_kernelINS0_14default_configENS1_27scan_by_key_config_selectorIidEEZZNS1_16scan_by_key_implILNS1_25lookback_scan_determinismE0ELb1ES3_N6thrust23THRUST_200600_302600_NS6detail15normal_iteratorINS9_10device_ptrIiEEEENSB_INSC_IdEEEESG_dNS9_4plusIvEENS9_8equal_toIvEEdEE10hipError_tPvRmT2_T3_T4_T5_mT6_T7_P12ihipStream_tbENKUlT_T0_E_clISt17integral_constantIbLb0EES10_IbLb1EEEEDaSW_SX_EUlSW_E_NS1_11comp_targetILNS1_3genE10ELNS1_11target_archE1201ELNS1_3gpuE5ELNS1_3repE0EEENS1_30default_config_static_selectorELNS0_4arch9wavefront6targetE1EEEvT1_
                                        ; -- End function
	.section	.AMDGPU.csdata,"",@progbits
; Kernel info:
; codeLenInByte = 0
; NumSgprs: 4
; NumVgprs: 0
; NumAgprs: 0
; TotalNumVgprs: 0
; ScratchSize: 0
; MemoryBound: 0
; FloatMode: 240
; IeeeMode: 1
; LDSByteSize: 0 bytes/workgroup (compile time only)
; SGPRBlocks: 0
; VGPRBlocks: 0
; NumSGPRsForWavesPerEU: 4
; NumVGPRsForWavesPerEU: 1
; AccumOffset: 4
; Occupancy: 8
; WaveLimiterHint : 0
; COMPUTE_PGM_RSRC2:SCRATCH_EN: 0
; COMPUTE_PGM_RSRC2:USER_SGPR: 6
; COMPUTE_PGM_RSRC2:TRAP_HANDLER: 0
; COMPUTE_PGM_RSRC2:TGID_X_EN: 1
; COMPUTE_PGM_RSRC2:TGID_Y_EN: 0
; COMPUTE_PGM_RSRC2:TGID_Z_EN: 0
; COMPUTE_PGM_RSRC2:TIDIG_COMP_CNT: 0
; COMPUTE_PGM_RSRC3_GFX90A:ACCUM_OFFSET: 0
; COMPUTE_PGM_RSRC3_GFX90A:TG_SPLIT: 0
	.section	.text._ZN7rocprim17ROCPRIM_400000_NS6detail17trampoline_kernelINS0_14default_configENS1_27scan_by_key_config_selectorIidEEZZNS1_16scan_by_key_implILNS1_25lookback_scan_determinismE0ELb1ES3_N6thrust23THRUST_200600_302600_NS6detail15normal_iteratorINS9_10device_ptrIiEEEENSB_INSC_IdEEEESG_dNS9_4plusIvEENS9_8equal_toIvEEdEE10hipError_tPvRmT2_T3_T4_T5_mT6_T7_P12ihipStream_tbENKUlT_T0_E_clISt17integral_constantIbLb0EES10_IbLb1EEEEDaSW_SX_EUlSW_E_NS1_11comp_targetILNS1_3genE5ELNS1_11target_archE942ELNS1_3gpuE9ELNS1_3repE0EEENS1_30default_config_static_selectorELNS0_4arch9wavefront6targetE1EEEvT1_,"axG",@progbits,_ZN7rocprim17ROCPRIM_400000_NS6detail17trampoline_kernelINS0_14default_configENS1_27scan_by_key_config_selectorIidEEZZNS1_16scan_by_key_implILNS1_25lookback_scan_determinismE0ELb1ES3_N6thrust23THRUST_200600_302600_NS6detail15normal_iteratorINS9_10device_ptrIiEEEENSB_INSC_IdEEEESG_dNS9_4plusIvEENS9_8equal_toIvEEdEE10hipError_tPvRmT2_T3_T4_T5_mT6_T7_P12ihipStream_tbENKUlT_T0_E_clISt17integral_constantIbLb0EES10_IbLb1EEEEDaSW_SX_EUlSW_E_NS1_11comp_targetILNS1_3genE5ELNS1_11target_archE942ELNS1_3gpuE9ELNS1_3repE0EEENS1_30default_config_static_selectorELNS0_4arch9wavefront6targetE1EEEvT1_,comdat
	.protected	_ZN7rocprim17ROCPRIM_400000_NS6detail17trampoline_kernelINS0_14default_configENS1_27scan_by_key_config_selectorIidEEZZNS1_16scan_by_key_implILNS1_25lookback_scan_determinismE0ELb1ES3_N6thrust23THRUST_200600_302600_NS6detail15normal_iteratorINS9_10device_ptrIiEEEENSB_INSC_IdEEEESG_dNS9_4plusIvEENS9_8equal_toIvEEdEE10hipError_tPvRmT2_T3_T4_T5_mT6_T7_P12ihipStream_tbENKUlT_T0_E_clISt17integral_constantIbLb0EES10_IbLb1EEEEDaSW_SX_EUlSW_E_NS1_11comp_targetILNS1_3genE5ELNS1_11target_archE942ELNS1_3gpuE9ELNS1_3repE0EEENS1_30default_config_static_selectorELNS0_4arch9wavefront6targetE1EEEvT1_ ; -- Begin function _ZN7rocprim17ROCPRIM_400000_NS6detail17trampoline_kernelINS0_14default_configENS1_27scan_by_key_config_selectorIidEEZZNS1_16scan_by_key_implILNS1_25lookback_scan_determinismE0ELb1ES3_N6thrust23THRUST_200600_302600_NS6detail15normal_iteratorINS9_10device_ptrIiEEEENSB_INSC_IdEEEESG_dNS9_4plusIvEENS9_8equal_toIvEEdEE10hipError_tPvRmT2_T3_T4_T5_mT6_T7_P12ihipStream_tbENKUlT_T0_E_clISt17integral_constantIbLb0EES10_IbLb1EEEEDaSW_SX_EUlSW_E_NS1_11comp_targetILNS1_3genE5ELNS1_11target_archE942ELNS1_3gpuE9ELNS1_3repE0EEENS1_30default_config_static_selectorELNS0_4arch9wavefront6targetE1EEEvT1_
	.globl	_ZN7rocprim17ROCPRIM_400000_NS6detail17trampoline_kernelINS0_14default_configENS1_27scan_by_key_config_selectorIidEEZZNS1_16scan_by_key_implILNS1_25lookback_scan_determinismE0ELb1ES3_N6thrust23THRUST_200600_302600_NS6detail15normal_iteratorINS9_10device_ptrIiEEEENSB_INSC_IdEEEESG_dNS9_4plusIvEENS9_8equal_toIvEEdEE10hipError_tPvRmT2_T3_T4_T5_mT6_T7_P12ihipStream_tbENKUlT_T0_E_clISt17integral_constantIbLb0EES10_IbLb1EEEEDaSW_SX_EUlSW_E_NS1_11comp_targetILNS1_3genE5ELNS1_11target_archE942ELNS1_3gpuE9ELNS1_3repE0EEENS1_30default_config_static_selectorELNS0_4arch9wavefront6targetE1EEEvT1_
	.p2align	8
	.type	_ZN7rocprim17ROCPRIM_400000_NS6detail17trampoline_kernelINS0_14default_configENS1_27scan_by_key_config_selectorIidEEZZNS1_16scan_by_key_implILNS1_25lookback_scan_determinismE0ELb1ES3_N6thrust23THRUST_200600_302600_NS6detail15normal_iteratorINS9_10device_ptrIiEEEENSB_INSC_IdEEEESG_dNS9_4plusIvEENS9_8equal_toIvEEdEE10hipError_tPvRmT2_T3_T4_T5_mT6_T7_P12ihipStream_tbENKUlT_T0_E_clISt17integral_constantIbLb0EES10_IbLb1EEEEDaSW_SX_EUlSW_E_NS1_11comp_targetILNS1_3genE5ELNS1_11target_archE942ELNS1_3gpuE9ELNS1_3repE0EEENS1_30default_config_static_selectorELNS0_4arch9wavefront6targetE1EEEvT1_,@function
_ZN7rocprim17ROCPRIM_400000_NS6detail17trampoline_kernelINS0_14default_configENS1_27scan_by_key_config_selectorIidEEZZNS1_16scan_by_key_implILNS1_25lookback_scan_determinismE0ELb1ES3_N6thrust23THRUST_200600_302600_NS6detail15normal_iteratorINS9_10device_ptrIiEEEENSB_INSC_IdEEEESG_dNS9_4plusIvEENS9_8equal_toIvEEdEE10hipError_tPvRmT2_T3_T4_T5_mT6_T7_P12ihipStream_tbENKUlT_T0_E_clISt17integral_constantIbLb0EES10_IbLb1EEEEDaSW_SX_EUlSW_E_NS1_11comp_targetILNS1_3genE5ELNS1_11target_archE942ELNS1_3gpuE9ELNS1_3repE0EEENS1_30default_config_static_selectorELNS0_4arch9wavefront6targetE1EEEvT1_: ; @_ZN7rocprim17ROCPRIM_400000_NS6detail17trampoline_kernelINS0_14default_configENS1_27scan_by_key_config_selectorIidEEZZNS1_16scan_by_key_implILNS1_25lookback_scan_determinismE0ELb1ES3_N6thrust23THRUST_200600_302600_NS6detail15normal_iteratorINS9_10device_ptrIiEEEENSB_INSC_IdEEEESG_dNS9_4plusIvEENS9_8equal_toIvEEdEE10hipError_tPvRmT2_T3_T4_T5_mT6_T7_P12ihipStream_tbENKUlT_T0_E_clISt17integral_constantIbLb0EES10_IbLb1EEEEDaSW_SX_EUlSW_E_NS1_11comp_targetILNS1_3genE5ELNS1_11target_archE942ELNS1_3gpuE9ELNS1_3repE0EEENS1_30default_config_static_selectorELNS0_4arch9wavefront6targetE1EEEvT1_
; %bb.0:
	.section	.rodata,"a",@progbits
	.p2align	6, 0x0
	.amdhsa_kernel _ZN7rocprim17ROCPRIM_400000_NS6detail17trampoline_kernelINS0_14default_configENS1_27scan_by_key_config_selectorIidEEZZNS1_16scan_by_key_implILNS1_25lookback_scan_determinismE0ELb1ES3_N6thrust23THRUST_200600_302600_NS6detail15normal_iteratorINS9_10device_ptrIiEEEENSB_INSC_IdEEEESG_dNS9_4plusIvEENS9_8equal_toIvEEdEE10hipError_tPvRmT2_T3_T4_T5_mT6_T7_P12ihipStream_tbENKUlT_T0_E_clISt17integral_constantIbLb0EES10_IbLb1EEEEDaSW_SX_EUlSW_E_NS1_11comp_targetILNS1_3genE5ELNS1_11target_archE942ELNS1_3gpuE9ELNS1_3repE0EEENS1_30default_config_static_selectorELNS0_4arch9wavefront6targetE1EEEvT1_
		.amdhsa_group_segment_fixed_size 0
		.amdhsa_private_segment_fixed_size 0
		.amdhsa_kernarg_size 136
		.amdhsa_user_sgpr_count 6
		.amdhsa_user_sgpr_private_segment_buffer 1
		.amdhsa_user_sgpr_dispatch_ptr 0
		.amdhsa_user_sgpr_queue_ptr 0
		.amdhsa_user_sgpr_kernarg_segment_ptr 1
		.amdhsa_user_sgpr_dispatch_id 0
		.amdhsa_user_sgpr_flat_scratch_init 0
		.amdhsa_user_sgpr_kernarg_preload_length 0
		.amdhsa_user_sgpr_kernarg_preload_offset 0
		.amdhsa_user_sgpr_private_segment_size 0
		.amdhsa_uses_dynamic_stack 0
		.amdhsa_system_sgpr_private_segment_wavefront_offset 0
		.amdhsa_system_sgpr_workgroup_id_x 1
		.amdhsa_system_sgpr_workgroup_id_y 0
		.amdhsa_system_sgpr_workgroup_id_z 0
		.amdhsa_system_sgpr_workgroup_info 0
		.amdhsa_system_vgpr_workitem_id 0
		.amdhsa_next_free_vgpr 1
		.amdhsa_next_free_sgpr 0
		.amdhsa_accum_offset 4
		.amdhsa_reserve_vcc 0
		.amdhsa_reserve_flat_scratch 0
		.amdhsa_float_round_mode_32 0
		.amdhsa_float_round_mode_16_64 0
		.amdhsa_float_denorm_mode_32 3
		.amdhsa_float_denorm_mode_16_64 3
		.amdhsa_dx10_clamp 1
		.amdhsa_ieee_mode 1
		.amdhsa_fp16_overflow 0
		.amdhsa_tg_split 0
		.amdhsa_exception_fp_ieee_invalid_op 0
		.amdhsa_exception_fp_denorm_src 0
		.amdhsa_exception_fp_ieee_div_zero 0
		.amdhsa_exception_fp_ieee_overflow 0
		.amdhsa_exception_fp_ieee_underflow 0
		.amdhsa_exception_fp_ieee_inexact 0
		.amdhsa_exception_int_div_zero 0
	.end_amdhsa_kernel
	.section	.text._ZN7rocprim17ROCPRIM_400000_NS6detail17trampoline_kernelINS0_14default_configENS1_27scan_by_key_config_selectorIidEEZZNS1_16scan_by_key_implILNS1_25lookback_scan_determinismE0ELb1ES3_N6thrust23THRUST_200600_302600_NS6detail15normal_iteratorINS9_10device_ptrIiEEEENSB_INSC_IdEEEESG_dNS9_4plusIvEENS9_8equal_toIvEEdEE10hipError_tPvRmT2_T3_T4_T5_mT6_T7_P12ihipStream_tbENKUlT_T0_E_clISt17integral_constantIbLb0EES10_IbLb1EEEEDaSW_SX_EUlSW_E_NS1_11comp_targetILNS1_3genE5ELNS1_11target_archE942ELNS1_3gpuE9ELNS1_3repE0EEENS1_30default_config_static_selectorELNS0_4arch9wavefront6targetE1EEEvT1_,"axG",@progbits,_ZN7rocprim17ROCPRIM_400000_NS6detail17trampoline_kernelINS0_14default_configENS1_27scan_by_key_config_selectorIidEEZZNS1_16scan_by_key_implILNS1_25lookback_scan_determinismE0ELb1ES3_N6thrust23THRUST_200600_302600_NS6detail15normal_iteratorINS9_10device_ptrIiEEEENSB_INSC_IdEEEESG_dNS9_4plusIvEENS9_8equal_toIvEEdEE10hipError_tPvRmT2_T3_T4_T5_mT6_T7_P12ihipStream_tbENKUlT_T0_E_clISt17integral_constantIbLb0EES10_IbLb1EEEEDaSW_SX_EUlSW_E_NS1_11comp_targetILNS1_3genE5ELNS1_11target_archE942ELNS1_3gpuE9ELNS1_3repE0EEENS1_30default_config_static_selectorELNS0_4arch9wavefront6targetE1EEEvT1_,comdat
.Lfunc_end1420:
	.size	_ZN7rocprim17ROCPRIM_400000_NS6detail17trampoline_kernelINS0_14default_configENS1_27scan_by_key_config_selectorIidEEZZNS1_16scan_by_key_implILNS1_25lookback_scan_determinismE0ELb1ES3_N6thrust23THRUST_200600_302600_NS6detail15normal_iteratorINS9_10device_ptrIiEEEENSB_INSC_IdEEEESG_dNS9_4plusIvEENS9_8equal_toIvEEdEE10hipError_tPvRmT2_T3_T4_T5_mT6_T7_P12ihipStream_tbENKUlT_T0_E_clISt17integral_constantIbLb0EES10_IbLb1EEEEDaSW_SX_EUlSW_E_NS1_11comp_targetILNS1_3genE5ELNS1_11target_archE942ELNS1_3gpuE9ELNS1_3repE0EEENS1_30default_config_static_selectorELNS0_4arch9wavefront6targetE1EEEvT1_, .Lfunc_end1420-_ZN7rocprim17ROCPRIM_400000_NS6detail17trampoline_kernelINS0_14default_configENS1_27scan_by_key_config_selectorIidEEZZNS1_16scan_by_key_implILNS1_25lookback_scan_determinismE0ELb1ES3_N6thrust23THRUST_200600_302600_NS6detail15normal_iteratorINS9_10device_ptrIiEEEENSB_INSC_IdEEEESG_dNS9_4plusIvEENS9_8equal_toIvEEdEE10hipError_tPvRmT2_T3_T4_T5_mT6_T7_P12ihipStream_tbENKUlT_T0_E_clISt17integral_constantIbLb0EES10_IbLb1EEEEDaSW_SX_EUlSW_E_NS1_11comp_targetILNS1_3genE5ELNS1_11target_archE942ELNS1_3gpuE9ELNS1_3repE0EEENS1_30default_config_static_selectorELNS0_4arch9wavefront6targetE1EEEvT1_
                                        ; -- End function
	.section	.AMDGPU.csdata,"",@progbits
; Kernel info:
; codeLenInByte = 0
; NumSgprs: 4
; NumVgprs: 0
; NumAgprs: 0
; TotalNumVgprs: 0
; ScratchSize: 0
; MemoryBound: 0
; FloatMode: 240
; IeeeMode: 1
; LDSByteSize: 0 bytes/workgroup (compile time only)
; SGPRBlocks: 0
; VGPRBlocks: 0
; NumSGPRsForWavesPerEU: 4
; NumVGPRsForWavesPerEU: 1
; AccumOffset: 4
; Occupancy: 8
; WaveLimiterHint : 0
; COMPUTE_PGM_RSRC2:SCRATCH_EN: 0
; COMPUTE_PGM_RSRC2:USER_SGPR: 6
; COMPUTE_PGM_RSRC2:TRAP_HANDLER: 0
; COMPUTE_PGM_RSRC2:TGID_X_EN: 1
; COMPUTE_PGM_RSRC2:TGID_Y_EN: 0
; COMPUTE_PGM_RSRC2:TGID_Z_EN: 0
; COMPUTE_PGM_RSRC2:TIDIG_COMP_CNT: 0
; COMPUTE_PGM_RSRC3_GFX90A:ACCUM_OFFSET: 0
; COMPUTE_PGM_RSRC3_GFX90A:TG_SPLIT: 0
	.section	.text._ZN7rocprim17ROCPRIM_400000_NS6detail17trampoline_kernelINS0_14default_configENS1_27scan_by_key_config_selectorIidEEZZNS1_16scan_by_key_implILNS1_25lookback_scan_determinismE0ELb1ES3_N6thrust23THRUST_200600_302600_NS6detail15normal_iteratorINS9_10device_ptrIiEEEENSB_INSC_IdEEEESG_dNS9_4plusIvEENS9_8equal_toIvEEdEE10hipError_tPvRmT2_T3_T4_T5_mT6_T7_P12ihipStream_tbENKUlT_T0_E_clISt17integral_constantIbLb0EES10_IbLb1EEEEDaSW_SX_EUlSW_E_NS1_11comp_targetILNS1_3genE4ELNS1_11target_archE910ELNS1_3gpuE8ELNS1_3repE0EEENS1_30default_config_static_selectorELNS0_4arch9wavefront6targetE1EEEvT1_,"axG",@progbits,_ZN7rocprim17ROCPRIM_400000_NS6detail17trampoline_kernelINS0_14default_configENS1_27scan_by_key_config_selectorIidEEZZNS1_16scan_by_key_implILNS1_25lookback_scan_determinismE0ELb1ES3_N6thrust23THRUST_200600_302600_NS6detail15normal_iteratorINS9_10device_ptrIiEEEENSB_INSC_IdEEEESG_dNS9_4plusIvEENS9_8equal_toIvEEdEE10hipError_tPvRmT2_T3_T4_T5_mT6_T7_P12ihipStream_tbENKUlT_T0_E_clISt17integral_constantIbLb0EES10_IbLb1EEEEDaSW_SX_EUlSW_E_NS1_11comp_targetILNS1_3genE4ELNS1_11target_archE910ELNS1_3gpuE8ELNS1_3repE0EEENS1_30default_config_static_selectorELNS0_4arch9wavefront6targetE1EEEvT1_,comdat
	.protected	_ZN7rocprim17ROCPRIM_400000_NS6detail17trampoline_kernelINS0_14default_configENS1_27scan_by_key_config_selectorIidEEZZNS1_16scan_by_key_implILNS1_25lookback_scan_determinismE0ELb1ES3_N6thrust23THRUST_200600_302600_NS6detail15normal_iteratorINS9_10device_ptrIiEEEENSB_INSC_IdEEEESG_dNS9_4plusIvEENS9_8equal_toIvEEdEE10hipError_tPvRmT2_T3_T4_T5_mT6_T7_P12ihipStream_tbENKUlT_T0_E_clISt17integral_constantIbLb0EES10_IbLb1EEEEDaSW_SX_EUlSW_E_NS1_11comp_targetILNS1_3genE4ELNS1_11target_archE910ELNS1_3gpuE8ELNS1_3repE0EEENS1_30default_config_static_selectorELNS0_4arch9wavefront6targetE1EEEvT1_ ; -- Begin function _ZN7rocprim17ROCPRIM_400000_NS6detail17trampoline_kernelINS0_14default_configENS1_27scan_by_key_config_selectorIidEEZZNS1_16scan_by_key_implILNS1_25lookback_scan_determinismE0ELb1ES3_N6thrust23THRUST_200600_302600_NS6detail15normal_iteratorINS9_10device_ptrIiEEEENSB_INSC_IdEEEESG_dNS9_4plusIvEENS9_8equal_toIvEEdEE10hipError_tPvRmT2_T3_T4_T5_mT6_T7_P12ihipStream_tbENKUlT_T0_E_clISt17integral_constantIbLb0EES10_IbLb1EEEEDaSW_SX_EUlSW_E_NS1_11comp_targetILNS1_3genE4ELNS1_11target_archE910ELNS1_3gpuE8ELNS1_3repE0EEENS1_30default_config_static_selectorELNS0_4arch9wavefront6targetE1EEEvT1_
	.globl	_ZN7rocprim17ROCPRIM_400000_NS6detail17trampoline_kernelINS0_14default_configENS1_27scan_by_key_config_selectorIidEEZZNS1_16scan_by_key_implILNS1_25lookback_scan_determinismE0ELb1ES3_N6thrust23THRUST_200600_302600_NS6detail15normal_iteratorINS9_10device_ptrIiEEEENSB_INSC_IdEEEESG_dNS9_4plusIvEENS9_8equal_toIvEEdEE10hipError_tPvRmT2_T3_T4_T5_mT6_T7_P12ihipStream_tbENKUlT_T0_E_clISt17integral_constantIbLb0EES10_IbLb1EEEEDaSW_SX_EUlSW_E_NS1_11comp_targetILNS1_3genE4ELNS1_11target_archE910ELNS1_3gpuE8ELNS1_3repE0EEENS1_30default_config_static_selectorELNS0_4arch9wavefront6targetE1EEEvT1_
	.p2align	8
	.type	_ZN7rocprim17ROCPRIM_400000_NS6detail17trampoline_kernelINS0_14default_configENS1_27scan_by_key_config_selectorIidEEZZNS1_16scan_by_key_implILNS1_25lookback_scan_determinismE0ELb1ES3_N6thrust23THRUST_200600_302600_NS6detail15normal_iteratorINS9_10device_ptrIiEEEENSB_INSC_IdEEEESG_dNS9_4plusIvEENS9_8equal_toIvEEdEE10hipError_tPvRmT2_T3_T4_T5_mT6_T7_P12ihipStream_tbENKUlT_T0_E_clISt17integral_constantIbLb0EES10_IbLb1EEEEDaSW_SX_EUlSW_E_NS1_11comp_targetILNS1_3genE4ELNS1_11target_archE910ELNS1_3gpuE8ELNS1_3repE0EEENS1_30default_config_static_selectorELNS0_4arch9wavefront6targetE1EEEvT1_,@function
_ZN7rocprim17ROCPRIM_400000_NS6detail17trampoline_kernelINS0_14default_configENS1_27scan_by_key_config_selectorIidEEZZNS1_16scan_by_key_implILNS1_25lookback_scan_determinismE0ELb1ES3_N6thrust23THRUST_200600_302600_NS6detail15normal_iteratorINS9_10device_ptrIiEEEENSB_INSC_IdEEEESG_dNS9_4plusIvEENS9_8equal_toIvEEdEE10hipError_tPvRmT2_T3_T4_T5_mT6_T7_P12ihipStream_tbENKUlT_T0_E_clISt17integral_constantIbLb0EES10_IbLb1EEEEDaSW_SX_EUlSW_E_NS1_11comp_targetILNS1_3genE4ELNS1_11target_archE910ELNS1_3gpuE8ELNS1_3repE0EEENS1_30default_config_static_selectorELNS0_4arch9wavefront6targetE1EEEvT1_: ; @_ZN7rocprim17ROCPRIM_400000_NS6detail17trampoline_kernelINS0_14default_configENS1_27scan_by_key_config_selectorIidEEZZNS1_16scan_by_key_implILNS1_25lookback_scan_determinismE0ELb1ES3_N6thrust23THRUST_200600_302600_NS6detail15normal_iteratorINS9_10device_ptrIiEEEENSB_INSC_IdEEEESG_dNS9_4plusIvEENS9_8equal_toIvEEdEE10hipError_tPvRmT2_T3_T4_T5_mT6_T7_P12ihipStream_tbENKUlT_T0_E_clISt17integral_constantIbLb0EES10_IbLb1EEEEDaSW_SX_EUlSW_E_NS1_11comp_targetILNS1_3genE4ELNS1_11target_archE910ELNS1_3gpuE8ELNS1_3repE0EEENS1_30default_config_static_selectorELNS0_4arch9wavefront6targetE1EEEvT1_
; %bb.0:
	s_load_dwordx8 s[56:63], s[4:5], 0x0
	s_load_dwordx2 s[68:69], s[4:5], 0x20
	s_load_dwordx8 s[48:55], s[4:5], 0x30
	s_load_dwordx2 s[70:71], s[4:5], 0x50
	v_cmp_eq_u32_e64 s[2:3], 0, v0
	s_and_saveexec_b64 s[0:1], s[2:3]
	s_cbranch_execz .LBB1421_4
; %bb.1:
	s_mov_b64 s[8:9], exec
	v_mbcnt_lo_u32_b32 v1, s8, 0
	v_mbcnt_hi_u32_b32 v1, s9, v1
	v_cmp_eq_u32_e32 vcc, 0, v1
                                        ; implicit-def: $vgpr2
	s_and_saveexec_b64 s[6:7], vcc
	s_cbranch_execz .LBB1421_3
; %bb.2:
	s_load_dwordx2 s[10:11], s[4:5], 0x80
	s_bcnt1_i32_b64 s8, s[8:9]
	v_mov_b32_e32 v2, 0
	v_mov_b32_e32 v3, s8
	s_waitcnt lgkmcnt(0)
	global_atomic_add v2, v2, v3, s[10:11] glc
.LBB1421_3:
	s_or_b64 exec, exec, s[6:7]
	s_waitcnt vmcnt(0)
	v_readfirstlane_b32 s6, v2
	v_add_u32_e32 v1, s6, v1
	v_mov_b32_e32 v2, 0
	ds_write_b32 v2, v1
.LBB1421_4:
	s_or_b64 exec, exec, s[0:1]
	s_load_dword s0, s[4:5], 0x58
	s_load_dwordx4 s[64:67], s[4:5], 0x60
	v_mov_b32_e32 v3, 0
	s_waitcnt lgkmcnt(0)
	s_lshl_b64 s[4:5], s[58:59], 2
	s_waitcnt lgkmcnt(0)
	; wave barrier
	ds_read_b32 v1, v3
	s_add_u32 s1, s56, s4
	s_addc_u32 s4, s57, s5
	s_lshl_b64 s[56:57], s[58:59], 3
	s_add_u32 s5, s60, s56
	s_mul_i32 s7, s71, s0
	s_mul_hi_u32 s8, s70, s0
	s_addc_u32 s6, s61, s57
	s_add_i32 s7, s8, s7
	s_movk_i32 s8, 0x540
	s_waitcnt lgkmcnt(0)
	v_mul_lo_u32 v2, v1, s8
	v_lshlrev_b64 v[4:5], 2, v[2:3]
	v_mov_b32_e32 v7, s4
	v_add_co_u32_e32 v6, vcc, s1, v4
	v_addc_co_u32_e32 v7, vcc, v7, v5, vcc
	v_lshlrev_b64 v[42:43], 3, v[2:3]
	v_mov_b32_e32 v2, s6
	v_add_co_u32_e32 v86, vcc, s5, v42
	s_mul_i32 s0, s70, s0
	v_addc_co_u32_e32 v87, vcc, v2, v43, vcc
	v_mov_b32_e32 v3, s7
	v_add_co_u32_e32 v2, vcc, s0, v1
	s_add_u32 s6, s64, -1
	v_addc_co_u32_e32 v3, vcc, 0, v3, vcc
	s_addc_u32 s7, s65, -1
	v_cmp_le_u64_e64 s[0:1], s[6:7], v[2:3]
	v_readfirstlane_b32 s55, v1
	s_mov_b64 s[4:5], -1
	s_and_b64 vcc, exec, s[0:1]
	s_mul_i32 s33, s6, 0xfffffac0
	s_waitcnt lgkmcnt(0)
	; wave barrier
	s_waitcnt lgkmcnt(0)
	s_waitcnt lgkmcnt(0)
	; wave barrier
	s_cbranch_vccz .LBB1421_69
; %bb.5:
	flat_load_dword v2, v[6:7]
	s_add_i32 s64, s33, s54
	v_cmp_gt_u32_e32 vcc, s64, v0
	s_waitcnt vmcnt(0) lgkmcnt(0)
	v_mov_b32_e32 v3, v2
	s_and_saveexec_b64 s[6:7], vcc
	s_cbranch_execz .LBB1421_7
; %bb.6:
	v_lshlrev_b32_e32 v1, 2, v0
	v_add_co_u32_e64 v4, s[4:5], v6, v1
	v_addc_co_u32_e64 v5, s[4:5], 0, v7, s[4:5]
	flat_load_dword v3, v[4:5]
.LBB1421_7:
	s_or_b64 exec, exec, s[6:7]
	v_or_b32_e32 v1, 64, v0
	v_cmp_gt_u32_e64 s[4:5], s64, v1
	v_mov_b32_e32 v4, v2
	s_and_saveexec_b64 s[8:9], s[4:5]
	s_cbranch_execz .LBB1421_9
; %bb.8:
	v_lshlrev_b32_e32 v1, 2, v0
	v_add_co_u32_e64 v4, s[6:7], v6, v1
	v_addc_co_u32_e64 v5, s[6:7], 0, v7, s[6:7]
	flat_load_dword v4, v[4:5] offset:256
.LBB1421_9:
	s_or_b64 exec, exec, s[8:9]
	v_or_b32_e32 v1, 0x80, v0
	v_cmp_gt_u32_e64 s[6:7], s64, v1
	v_mov_b32_e32 v5, v2
	s_and_saveexec_b64 s[10:11], s[6:7]
	s_cbranch_execz .LBB1421_11
; %bb.10:
	v_lshlrev_b32_e32 v1, 2, v0
	v_add_co_u32_e64 v8, s[8:9], v6, v1
	v_addc_co_u32_e64 v9, s[8:9], 0, v7, s[8:9]
	flat_load_dword v5, v[8:9] offset:512
.LBB1421_11:
	;; [unrolled: 12-line block ×15, first 2 shown]
	s_or_b64 exec, exec, s[38:39]
	v_or_b32_e32 v60, 0x400, v0
	v_cmp_gt_u32_e64 s[36:37], s64, v60
	v_mov_b32_e32 v21, v2
	s_and_saveexec_b64 s[40:41], s[36:37]
	s_cbranch_execz .LBB1421_39
; %bb.38:
	v_lshlrev_b32_e32 v21, 2, v60
	v_add_co_u32_e64 v22, s[38:39], v6, v21
	v_addc_co_u32_e64 v23, s[38:39], 0, v7, s[38:39]
	flat_load_dword v21, v[22:23]
.LBB1421_39:
	s_or_b64 exec, exec, s[40:41]
	v_or_b32_e32 v62, 0x440, v0
	v_cmp_gt_u32_e64 s[38:39], s64, v62
	v_mov_b32_e32 v22, v2
	s_and_saveexec_b64 s[42:43], s[38:39]
	s_cbranch_execz .LBB1421_41
; %bb.40:
	v_lshlrev_b32_e32 v22, 2, v62
	v_add_co_u32_e64 v22, s[40:41], v6, v22
	v_addc_co_u32_e64 v23, s[40:41], 0, v7, s[40:41]
	flat_load_dword v22, v[22:23]
.LBB1421_41:
	;; [unrolled: 12-line block ×4, first 2 shown]
	s_or_b64 exec, exec, s[46:47]
	v_or_b32_e32 v68, 0x500, v0
	v_cmp_gt_u32_e64 s[44:45], s64, v68
	s_and_saveexec_b64 s[58:59], s[44:45]
	s_cbranch_execz .LBB1421_47
; %bb.46:
	v_lshlrev_b32_e32 v2, 2, v68
	v_add_co_u32_e64 v26, s[46:47], v6, v2
	v_addc_co_u32_e64 v27, s[46:47], 0, v7, s[46:47]
	flat_load_dword v2, v[26:27]
.LBB1421_47:
	s_or_b64 exec, exec, s[58:59]
	v_lshlrev_b32_e32 v28, 2, v0
	s_waitcnt vmcnt(0) lgkmcnt(0)
	ds_write2st64_b32 v28, v3, v4 offset1:1
	ds_write2st64_b32 v28, v5, v8 offset0:2 offset1:3
	ds_write2st64_b32 v28, v9, v10 offset0:4 offset1:5
	;; [unrolled: 1-line block ×9, first 2 shown]
	ds_write_b32 v28, v2 offset:5120
	s_waitcnt lgkmcnt(0)
	; wave barrier
	s_waitcnt lgkmcnt(0)
	flat_load_dword v84, v[6:7]
	s_movk_i32 s46, 0x50
	v_mad_u32_u24 v2, v0, s46, v28
	s_movk_i32 s46, 0xffb0
	v_mad_i32_i24 v69, v0, s46, v2
	v_cmp_ne_u32_e64 s[46:47], 63, v0
	ds_read_b32 v88, v2
	ds_read2_b32 v[26:27], v2 offset0:1 offset1:2
	ds_read2_b32 v[24:25], v2 offset0:3 offset1:4
	;; [unrolled: 1-line block ×10, first 2 shown]
	s_waitcnt lgkmcnt(0)
	ds_write_b32 v69, v88 offset:5632
	s_waitcnt lgkmcnt(0)
	; wave barrier
	s_waitcnt lgkmcnt(0)
	s_and_saveexec_b64 s[58:59], s[46:47]
	s_cbranch_execz .LBB1421_49
; %bb.48:
	s_waitcnt vmcnt(0)
	ds_read_b32 v84, v28 offset:5636
.LBB1421_49:
	s_or_b64 exec, exec, s[58:59]
	s_waitcnt lgkmcnt(0)
	; wave barrier
	s_waitcnt lgkmcnt(0)
                                        ; implicit-def: $vgpr2_vgpr3
	s_and_saveexec_b64 s[46:47], vcc
	s_cbranch_execz .LBB1421_70
; %bb.50:
	v_lshlrev_b32_e32 v2, 3, v0
	v_add_co_u32_e32 v2, vcc, v86, v2
	v_addc_co_u32_e32 v3, vcc, 0, v87, vcc
	flat_load_dwordx2 v[2:3], v[2:3]
	s_or_b64 exec, exec, s[46:47]
                                        ; implicit-def: $vgpr4_vgpr5
	s_and_saveexec_b64 s[46:47], s[4:5]
	s_cbranch_execnz .LBB1421_71
.LBB1421_51:
	s_or_b64 exec, exec, s[46:47]
                                        ; implicit-def: $vgpr28_vgpr29
	s_and_saveexec_b64 s[4:5], s[6:7]
	s_cbranch_execz .LBB1421_72
.LBB1421_52:
	v_lshlrev_b32_e32 v28, 3, v0
	v_add_co_u32_e32 v28, vcc, v86, v28
	v_addc_co_u32_e32 v29, vcc, 0, v87, vcc
	flat_load_dwordx2 v[28:29], v[28:29] offset:1024
	s_or_b64 exec, exec, s[4:5]
                                        ; implicit-def: $vgpr30_vgpr31
	s_and_saveexec_b64 s[4:5], s[8:9]
	s_cbranch_execnz .LBB1421_73
.LBB1421_53:
	s_or_b64 exec, exec, s[4:5]
                                        ; implicit-def: $vgpr32_vgpr33
	s_and_saveexec_b64 s[4:5], s[10:11]
	s_cbranch_execz .LBB1421_74
.LBB1421_54:
	v_lshlrev_b32_e32 v32, 3, v0
	v_add_co_u32_e32 v32, vcc, v86, v32
	v_addc_co_u32_e32 v33, vcc, 0, v87, vcc
	flat_load_dwordx2 v[32:33], v[32:33] offset:2048
	s_or_b64 exec, exec, s[4:5]
                                        ; implicit-def: $vgpr34_vgpr35
	s_and_saveexec_b64 s[4:5], s[12:13]
	s_cbranch_execnz .LBB1421_75
.LBB1421_55:
	s_or_b64 exec, exec, s[4:5]
                                        ; implicit-def: $vgpr36_vgpr37
	s_and_saveexec_b64 s[4:5], s[14:15]
	s_cbranch_execz .LBB1421_76
.LBB1421_56:
	v_lshlrev_b32_e32 v36, 3, v0
	v_add_co_u32_e32 v36, vcc, v86, v36
	v_addc_co_u32_e32 v37, vcc, 0, v87, vcc
	flat_load_dwordx2 v[36:37], v[36:37] offset:3072
	s_or_b64 exec, exec, s[4:5]
                                        ; implicit-def: $vgpr38_vgpr39
	s_and_saveexec_b64 s[4:5], s[16:17]
	s_cbranch_execnz .LBB1421_77
.LBB1421_57:
	s_or_b64 exec, exec, s[4:5]
                                        ; implicit-def: $vgpr40_vgpr41
	s_and_saveexec_b64 s[4:5], s[18:19]
	s_cbranch_execz .LBB1421_78
.LBB1421_58:
	v_lshlrev_b32_e32 v1, 3, v1
	v_add_co_u32_e32 v40, vcc, v86, v1
	v_addc_co_u32_e32 v41, vcc, 0, v87, vcc
	flat_load_dwordx2 v[40:41], v[40:41]
	s_or_b64 exec, exec, s[4:5]
                                        ; implicit-def: $vgpr44_vgpr45
	s_and_saveexec_b64 s[4:5], s[20:21]
	s_cbranch_execnz .LBB1421_79
.LBB1421_59:
	s_or_b64 exec, exec, s[4:5]
                                        ; implicit-def: $vgpr46_vgpr47
	s_and_saveexec_b64 s[4:5], s[22:23]
	s_cbranch_execz .LBB1421_80
.LBB1421_60:
	v_lshlrev_b32_e32 v1, 3, v48
	v_add_co_u32_e32 v46, vcc, v86, v1
	v_addc_co_u32_e32 v47, vcc, 0, v87, vcc
	flat_load_dwordx2 v[46:47], v[46:47]
	s_or_b64 exec, exec, s[4:5]
                                        ; implicit-def: $vgpr48_vgpr49
	s_and_saveexec_b64 s[4:5], s[24:25]
	s_cbranch_execnz .LBB1421_81
.LBB1421_61:
	s_or_b64 exec, exec, s[4:5]
                                        ; implicit-def: $vgpr50_vgpr51
	s_and_saveexec_b64 s[4:5], s[26:27]
	s_cbranch_execz .LBB1421_82
.LBB1421_62:
	v_lshlrev_b32_e32 v1, 3, v52
	v_add_co_u32_e32 v50, vcc, v86, v1
	v_addc_co_u32_e32 v51, vcc, 0, v87, vcc
	flat_load_dwordx2 v[50:51], v[50:51]
	s_or_b64 exec, exec, s[4:5]
                                        ; implicit-def: $vgpr52_vgpr53
	s_and_saveexec_b64 s[4:5], s[28:29]
	s_cbranch_execnz .LBB1421_83
.LBB1421_63:
	s_or_b64 exec, exec, s[4:5]
                                        ; implicit-def: $vgpr54_vgpr55
	s_and_saveexec_b64 s[4:5], s[30:31]
	s_cbranch_execz .LBB1421_84
.LBB1421_64:
	v_lshlrev_b32_e32 v1, 3, v56
	v_add_co_u32_e32 v54, vcc, v86, v1
	v_addc_co_u32_e32 v55, vcc, 0, v87, vcc
	flat_load_dwordx2 v[54:55], v[54:55]
	s_or_b64 exec, exec, s[4:5]
                                        ; implicit-def: $vgpr56_vgpr57
	s_and_saveexec_b64 s[4:5], s[34:35]
	s_cbranch_execnz .LBB1421_85
.LBB1421_65:
	s_or_b64 exec, exec, s[4:5]
                                        ; implicit-def: $vgpr58_vgpr59
	s_and_saveexec_b64 s[4:5], s[36:37]
	s_cbranch_execz .LBB1421_86
.LBB1421_66:
	v_lshlrev_b32_e32 v1, 3, v60
	v_add_co_u32_e32 v58, vcc, v86, v1
	v_addc_co_u32_e32 v59, vcc, 0, v87, vcc
	flat_load_dwordx2 v[58:59], v[58:59]
	s_or_b64 exec, exec, s[4:5]
                                        ; implicit-def: $vgpr60_vgpr61
	s_and_saveexec_b64 s[4:5], s[38:39]
	s_cbranch_execnz .LBB1421_87
.LBB1421_67:
	s_or_b64 exec, exec, s[4:5]
                                        ; implicit-def: $vgpr62_vgpr63
	s_and_saveexec_b64 s[4:5], s[40:41]
	s_cbranch_execz .LBB1421_88
.LBB1421_68:
	v_lshlrev_b32_e32 v1, 3, v64
	v_add_co_u32_e32 v62, vcc, v86, v1
	v_addc_co_u32_e32 v63, vcc, 0, v87, vcc
	flat_load_dwordx2 v[62:63], v[62:63]
	s_or_b64 exec, exec, s[4:5]
                                        ; implicit-def: $vgpr64_vgpr65
	s_and_saveexec_b64 s[4:5], s[42:43]
	s_cbranch_execz .LBB1421_90
	s_branch .LBB1421_89
.LBB1421_69:
	s_mov_b64 s[10:11], 0
                                        ; implicit-def: $sgpr8_sgpr9
                                        ; implicit-def: $vgpr2_vgpr3
                                        ; implicit-def: $vgpr44_vgpr45
                                        ; implicit-def: $vgpr112
                                        ; implicit-def: $vgpr50_vgpr51
                                        ; implicit-def: $vgpr128
                                        ; implicit-def: $vgpr82_vgpr83
                                        ; implicit-def: $vgpr127
                                        ; implicit-def: $vgpr80_vgpr81
                                        ; implicit-def: $vgpr126
                                        ; implicit-def: $vgpr78_vgpr79
                                        ; implicit-def: $vgpr125
                                        ; implicit-def: $vgpr76_vgpr77
                                        ; implicit-def: $vgpr124
                                        ; implicit-def: $vgpr74_vgpr75
                                        ; implicit-def: $vgpr123
                                        ; implicit-def: $vgpr72_vgpr73
                                        ; implicit-def: $vgpr122
                                        ; implicit-def: $vgpr70_vgpr71
                                        ; implicit-def: $vgpr121
                                        ; implicit-def: $vgpr68_vgpr69
                                        ; implicit-def: $vgpr120
                                        ; implicit-def: $vgpr66_vgpr67
                                        ; implicit-def: $vgpr119
                                        ; implicit-def: $vgpr64_vgpr65
                                        ; implicit-def: $vgpr118
                                        ; implicit-def: $vgpr62_vgpr63
                                        ; implicit-def: $vgpr117
                                        ; implicit-def: $vgpr60_vgpr61
                                        ; implicit-def: $vgpr116
                                        ; implicit-def: $vgpr58_vgpr59
                                        ; implicit-def: $vgpr115
                                        ; implicit-def: $vgpr56_vgpr57
                                        ; implicit-def: $vgpr114
                                        ; implicit-def: $vgpr54_vgpr55
                                        ; implicit-def: $vgpr113
                                        ; implicit-def: $vgpr52_vgpr53
                                        ; implicit-def: $vgpr111
                                        ; implicit-def: $vgpr48_vgpr49
                                        ; implicit-def: $vgpr110
                                        ; implicit-def: $vgpr46_vgpr47
                                        ; implicit-def: $vgpr1
                                        ; implicit-def: $sgpr72
                                        ; implicit-def: $sgpr6_sgpr7
	s_and_b64 vcc, exec, s[4:5]
	s_cbranch_vccz .LBB1421_140
	s_branch .LBB1421_135
.LBB1421_70:
	s_or_b64 exec, exec, s[46:47]
                                        ; implicit-def: $vgpr4_vgpr5
	s_and_saveexec_b64 s[46:47], s[4:5]
	s_cbranch_execz .LBB1421_51
.LBB1421_71:
	v_lshlrev_b32_e32 v4, 3, v0
	v_add_co_u32_e32 v4, vcc, v86, v4
	v_addc_co_u32_e32 v5, vcc, 0, v87, vcc
	flat_load_dwordx2 v[4:5], v[4:5] offset:512
	s_or_b64 exec, exec, s[46:47]
                                        ; implicit-def: $vgpr28_vgpr29
	s_and_saveexec_b64 s[4:5], s[6:7]
	s_cbranch_execnz .LBB1421_52
.LBB1421_72:
	s_or_b64 exec, exec, s[4:5]
                                        ; implicit-def: $vgpr30_vgpr31
	s_and_saveexec_b64 s[4:5], s[8:9]
	s_cbranch_execz .LBB1421_53
.LBB1421_73:
	v_lshlrev_b32_e32 v30, 3, v0
	v_add_co_u32_e32 v30, vcc, v86, v30
	v_addc_co_u32_e32 v31, vcc, 0, v87, vcc
	flat_load_dwordx2 v[30:31], v[30:31] offset:1536
	s_or_b64 exec, exec, s[4:5]
                                        ; implicit-def: $vgpr32_vgpr33
	s_and_saveexec_b64 s[4:5], s[10:11]
	s_cbranch_execnz .LBB1421_54
.LBB1421_74:
	s_or_b64 exec, exec, s[4:5]
                                        ; implicit-def: $vgpr34_vgpr35
	s_and_saveexec_b64 s[4:5], s[12:13]
	s_cbranch_execz .LBB1421_55
.LBB1421_75:
	v_lshlrev_b32_e32 v34, 3, v0
	v_add_co_u32_e32 v34, vcc, v86, v34
	v_addc_co_u32_e32 v35, vcc, 0, v87, vcc
	flat_load_dwordx2 v[34:35], v[34:35] offset:2560
	s_or_b64 exec, exec, s[4:5]
                                        ; implicit-def: $vgpr36_vgpr37
	s_and_saveexec_b64 s[4:5], s[14:15]
	s_cbranch_execnz .LBB1421_56
.LBB1421_76:
	s_or_b64 exec, exec, s[4:5]
                                        ; implicit-def: $vgpr38_vgpr39
	s_and_saveexec_b64 s[4:5], s[16:17]
	s_cbranch_execz .LBB1421_57
.LBB1421_77:
	v_lshlrev_b32_e32 v38, 3, v0
	v_add_co_u32_e32 v38, vcc, v86, v38
	v_addc_co_u32_e32 v39, vcc, 0, v87, vcc
	flat_load_dwordx2 v[38:39], v[38:39] offset:3584
	s_or_b64 exec, exec, s[4:5]
                                        ; implicit-def: $vgpr40_vgpr41
	s_and_saveexec_b64 s[4:5], s[18:19]
	s_cbranch_execnz .LBB1421_58
.LBB1421_78:
	s_or_b64 exec, exec, s[4:5]
                                        ; implicit-def: $vgpr44_vgpr45
	s_and_saveexec_b64 s[4:5], s[20:21]
	s_cbranch_execz .LBB1421_59
.LBB1421_79:
	v_lshlrev_b32_e32 v1, 3, v46
	v_add_co_u32_e32 v44, vcc, v86, v1
	v_addc_co_u32_e32 v45, vcc, 0, v87, vcc
	flat_load_dwordx2 v[44:45], v[44:45]
	s_or_b64 exec, exec, s[4:5]
                                        ; implicit-def: $vgpr46_vgpr47
	s_and_saveexec_b64 s[4:5], s[22:23]
	s_cbranch_execnz .LBB1421_60
.LBB1421_80:
	s_or_b64 exec, exec, s[4:5]
                                        ; implicit-def: $vgpr48_vgpr49
	s_and_saveexec_b64 s[4:5], s[24:25]
	s_cbranch_execz .LBB1421_61
.LBB1421_81:
	v_lshlrev_b32_e32 v1, 3, v50
	v_add_co_u32_e32 v48, vcc, v86, v1
	v_addc_co_u32_e32 v49, vcc, 0, v87, vcc
	flat_load_dwordx2 v[48:49], v[48:49]
	s_or_b64 exec, exec, s[4:5]
                                        ; implicit-def: $vgpr50_vgpr51
	s_and_saveexec_b64 s[4:5], s[26:27]
	s_cbranch_execnz .LBB1421_62
.LBB1421_82:
	s_or_b64 exec, exec, s[4:5]
                                        ; implicit-def: $vgpr52_vgpr53
	s_and_saveexec_b64 s[4:5], s[28:29]
	s_cbranch_execz .LBB1421_63
.LBB1421_83:
	v_lshlrev_b32_e32 v1, 3, v54
	v_add_co_u32_e32 v52, vcc, v86, v1
	v_addc_co_u32_e32 v53, vcc, 0, v87, vcc
	flat_load_dwordx2 v[52:53], v[52:53]
	s_or_b64 exec, exec, s[4:5]
                                        ; implicit-def: $vgpr54_vgpr55
	s_and_saveexec_b64 s[4:5], s[30:31]
	s_cbranch_execnz .LBB1421_64
.LBB1421_84:
	s_or_b64 exec, exec, s[4:5]
                                        ; implicit-def: $vgpr56_vgpr57
	s_and_saveexec_b64 s[4:5], s[34:35]
	s_cbranch_execz .LBB1421_65
.LBB1421_85:
	v_lshlrev_b32_e32 v1, 3, v58
	v_add_co_u32_e32 v56, vcc, v86, v1
	v_addc_co_u32_e32 v57, vcc, 0, v87, vcc
	flat_load_dwordx2 v[56:57], v[56:57]
	s_or_b64 exec, exec, s[4:5]
                                        ; implicit-def: $vgpr58_vgpr59
	s_and_saveexec_b64 s[4:5], s[36:37]
	s_cbranch_execnz .LBB1421_66
.LBB1421_86:
	s_or_b64 exec, exec, s[4:5]
                                        ; implicit-def: $vgpr60_vgpr61
	s_and_saveexec_b64 s[4:5], s[38:39]
	s_cbranch_execz .LBB1421_67
.LBB1421_87:
	v_lshlrev_b32_e32 v1, 3, v62
	v_add_co_u32_e32 v60, vcc, v86, v1
	v_addc_co_u32_e32 v61, vcc, 0, v87, vcc
	flat_load_dwordx2 v[60:61], v[60:61]
	s_or_b64 exec, exec, s[4:5]
                                        ; implicit-def: $vgpr62_vgpr63
	s_and_saveexec_b64 s[4:5], s[40:41]
	s_cbranch_execnz .LBB1421_68
.LBB1421_88:
	s_or_b64 exec, exec, s[4:5]
                                        ; implicit-def: $vgpr64_vgpr65
	s_and_saveexec_b64 s[4:5], s[42:43]
	s_cbranch_execz .LBB1421_90
.LBB1421_89:
	v_lshlrev_b32_e32 v1, 3, v66
	v_add_co_u32_e32 v64, vcc, v86, v1
	v_addc_co_u32_e32 v65, vcc, 0, v87, vcc
	flat_load_dwordx2 v[64:65], v[64:65]
.LBB1421_90:
	s_or_b64 exec, exec, s[4:5]
	v_mul_u32_u24_e32 v85, 21, v0
                                        ; implicit-def: $vgpr66_vgpr67
	s_and_saveexec_b64 s[4:5], s[44:45]
	s_cbranch_execz .LBB1421_92
; %bb.91:
	v_lshlrev_b32_e32 v1, 3, v68
	v_add_co_u32_e32 v66, vcc, v86, v1
	v_addc_co_u32_e32 v67, vcc, 0, v87, vcc
	flat_load_dwordx2 v[66:67], v[66:67]
.LBB1421_92:
	s_or_b64 exec, exec, s[4:5]
	v_lshl_add_u32 v89, v0, 2, v69
	s_waitcnt vmcnt(0) lgkmcnt(0)
	ds_write2st64_b64 v89, v[2:3], v[4:5] offset1:1
	ds_write2st64_b64 v89, v[28:29], v[30:31] offset0:2 offset1:3
	ds_write2st64_b64 v89, v[32:33], v[34:35] offset0:4 offset1:5
	;; [unrolled: 1-line block ×9, first 2 shown]
	ds_write_b64 v89, v[66:67] offset:10240
	v_pk_mov_b32 v[44:45], 0, 0
	v_cmp_gt_u32_e32 vcc, s64, v85
	s_mov_b64 s[10:11], 0
	s_mov_b32 s72, 0
	s_mov_b64 s[4:5], 0
	v_mov_b32_e32 v112, 0
	v_pk_mov_b32 v[50:51], v[44:45], v[44:45] op_sel:[0,1]
	v_mov_b32_e32 v128, 0
	v_pk_mov_b32 v[82:83], v[44:45], v[44:45] op_sel:[0,1]
	;; [unrolled: 2-line block ×19, first 2 shown]
	v_mov_b32_e32 v1, 0
	s_waitcnt lgkmcnt(0)
	; wave barrier
	s_waitcnt lgkmcnt(0)
                                        ; implicit-def: $sgpr8_sgpr9
                                        ; implicit-def: $vgpr2_vgpr3
	s_and_saveexec_b64 s[6:7], vcc
	s_cbranch_execz .LBB1421_134
; %bb.93:
	s_movk_i32 s8, 0xa0
	v_mad_u32_u24 v1, v0, s8, v89
	ds_read_b64 v[2:3], v1
	v_cmp_ne_u32_e32 vcc, v88, v26
	v_mov_b32_e32 v5, s69
	v_add_u32_e32 v4, 1, v85
	v_pk_mov_b32 v[50:51], 0, 0
	s_waitcnt lgkmcnt(0)
	v_cndmask_b32_e32 v45, v3, v5, vcc
	v_mov_b32_e32 v3, s68
	v_cndmask_b32_e64 v1, 0, 1, vcc
	v_cndmask_b32_e32 v44, v2, v3, vcc
	v_cmp_gt_u32_e32 vcc, s64, v4
	s_mov_b64 s[12:13], 0
	v_mov_b32_e32 v112, 0
	v_mov_b32_e32 v128, 0
	v_pk_mov_b32 v[82:83], v[50:51], v[50:51] op_sel:[0,1]
	v_mov_b32_e32 v127, 0
	v_pk_mov_b32 v[80:81], v[50:51], v[50:51] op_sel:[0,1]
	;; [unrolled: 2-line block ×18, first 2 shown]
                                        ; implicit-def: $sgpr14_sgpr15
                                        ; implicit-def: $vgpr2_vgpr3
	s_and_saveexec_b64 s[8:9], vcc
	s_cbranch_execz .LBB1421_133
; %bb.94:
	v_mul_u32_u24_e32 v2, 0xa0, v0
	v_add_u32_e32 v28, v89, v2
	ds_read2_b64 v[2:5], v28 offset0:1 offset1:2
	v_cmp_ne_u32_e32 vcc, v26, v27
	v_mov_b32_e32 v26, s69
	v_add_u32_e32 v29, 2, v85
	v_pk_mov_b32 v[50:51], 0, 0
	s_waitcnt lgkmcnt(0)
	v_cndmask_b32_e32 v47, v3, v26, vcc
	v_mov_b32_e32 v3, s68
	v_cndmask_b32_e64 v110, 0, 1, vcc
	v_cndmask_b32_e32 v46, v2, v3, vcc
	v_cmp_gt_u32_e32 vcc, s64, v29
	s_mov_b64 s[14:15], 0
	v_mov_b32_e32 v112, 0
	v_mov_b32_e32 v128, 0
	v_pk_mov_b32 v[82:83], v[50:51], v[50:51] op_sel:[0,1]
	v_mov_b32_e32 v127, 0
	v_pk_mov_b32 v[80:81], v[50:51], v[50:51] op_sel:[0,1]
	;; [unrolled: 2-line block ×17, first 2 shown]
                                        ; implicit-def: $sgpr16_sgpr17
                                        ; implicit-def: $vgpr2_vgpr3
	s_and_saveexec_b64 s[10:11], vcc
	s_cbranch_execz .LBB1421_132
; %bb.95:
	v_cmp_ne_u32_e32 vcc, v27, v24
	v_mov_b32_e32 v3, s69
	v_add_u32_e32 v2, 3, v85
	v_cndmask_b32_e32 v49, v5, v3, vcc
	v_mov_b32_e32 v3, s68
	v_pk_mov_b32 v[50:51], 0, 0
	v_cndmask_b32_e64 v111, 0, 1, vcc
	v_cndmask_b32_e32 v48, v4, v3, vcc
	v_cmp_gt_u32_e32 vcc, s64, v2
	s_mov_b64 s[16:17], 0
	v_mov_b32_e32 v112, 0
	v_mov_b32_e32 v128, 0
	v_pk_mov_b32 v[82:83], v[50:51], v[50:51] op_sel:[0,1]
	v_mov_b32_e32 v127, 0
	v_pk_mov_b32 v[80:81], v[50:51], v[50:51] op_sel:[0,1]
	;; [unrolled: 2-line block ×16, first 2 shown]
                                        ; implicit-def: $sgpr18_sgpr19
                                        ; implicit-def: $vgpr2_vgpr3
	s_and_saveexec_b64 s[12:13], vcc
	s_cbranch_execz .LBB1421_131
; %bb.96:
	ds_read2_b64 v[2:5], v28 offset0:3 offset1:4
	v_cmp_ne_u32_e32 vcc, v24, v25
	v_mov_b32_e32 v24, s69
	v_add_u32_e32 v26, 4, v85
	v_pk_mov_b32 v[50:51], 0, 0
	s_waitcnt lgkmcnt(0)
	v_cndmask_b32_e32 v53, v3, v24, vcc
	v_mov_b32_e32 v3, s68
	v_cndmask_b32_e64 v113, 0, 1, vcc
	v_cndmask_b32_e32 v52, v2, v3, vcc
	v_cmp_gt_u32_e32 vcc, s64, v26
	s_mov_b64 s[18:19], 0
	v_mov_b32_e32 v112, 0
	v_mov_b32_e32 v128, 0
	v_pk_mov_b32 v[82:83], v[50:51], v[50:51] op_sel:[0,1]
	v_mov_b32_e32 v127, 0
	v_pk_mov_b32 v[80:81], v[50:51], v[50:51] op_sel:[0,1]
	;; [unrolled: 2-line block ×15, first 2 shown]
                                        ; implicit-def: $sgpr20_sgpr21
                                        ; implicit-def: $vgpr2_vgpr3
	s_and_saveexec_b64 s[14:15], vcc
	s_cbranch_execz .LBB1421_130
; %bb.97:
	v_cmp_ne_u32_e32 vcc, v25, v22
	v_mov_b32_e32 v3, s69
	v_add_u32_e32 v2, 5, v85
	v_cndmask_b32_e32 v55, v5, v3, vcc
	v_mov_b32_e32 v3, s68
	v_pk_mov_b32 v[50:51], 0, 0
	v_cndmask_b32_e64 v114, 0, 1, vcc
	v_cndmask_b32_e32 v54, v4, v3, vcc
	v_cmp_gt_u32_e32 vcc, s64, v2
	s_mov_b64 s[20:21], 0
	v_mov_b32_e32 v112, 0
	v_mov_b32_e32 v128, 0
	v_pk_mov_b32 v[82:83], v[50:51], v[50:51] op_sel:[0,1]
	v_mov_b32_e32 v127, 0
	v_pk_mov_b32 v[80:81], v[50:51], v[50:51] op_sel:[0,1]
	;; [unrolled: 2-line block ×14, first 2 shown]
                                        ; implicit-def: $sgpr22_sgpr23
                                        ; implicit-def: $vgpr2_vgpr3
	s_and_saveexec_b64 s[16:17], vcc
	s_cbranch_execz .LBB1421_129
; %bb.98:
	ds_read2_b64 v[2:5], v28 offset0:5 offset1:6
	v_cmp_ne_u32_e32 vcc, v22, v23
	v_mov_b32_e32 v22, s69
	v_add_u32_e32 v24, 6, v85
	v_pk_mov_b32 v[50:51], 0, 0
	s_waitcnt lgkmcnt(0)
	v_cndmask_b32_e32 v57, v3, v22, vcc
	v_mov_b32_e32 v3, s68
	v_cndmask_b32_e64 v115, 0, 1, vcc
	v_cndmask_b32_e32 v56, v2, v3, vcc
	v_cmp_gt_u32_e32 vcc, s64, v24
	s_mov_b64 s[22:23], 0
	v_mov_b32_e32 v112, 0
	v_mov_b32_e32 v128, 0
	v_pk_mov_b32 v[82:83], v[50:51], v[50:51] op_sel:[0,1]
	v_mov_b32_e32 v127, 0
	v_pk_mov_b32 v[80:81], v[50:51], v[50:51] op_sel:[0,1]
	;; [unrolled: 2-line block ×13, first 2 shown]
                                        ; implicit-def: $sgpr24_sgpr25
                                        ; implicit-def: $vgpr2_vgpr3
	s_and_saveexec_b64 s[18:19], vcc
	s_cbranch_execz .LBB1421_128
; %bb.99:
	v_cmp_ne_u32_e32 vcc, v23, v20
	v_mov_b32_e32 v3, s69
	v_add_u32_e32 v2, 7, v85
	v_cndmask_b32_e32 v59, v5, v3, vcc
	v_mov_b32_e32 v3, s68
	v_pk_mov_b32 v[50:51], 0, 0
	v_cndmask_b32_e64 v116, 0, 1, vcc
	v_cndmask_b32_e32 v58, v4, v3, vcc
	v_cmp_gt_u32_e32 vcc, s64, v2
	s_mov_b64 s[24:25], 0
	v_mov_b32_e32 v112, 0
	v_mov_b32_e32 v128, 0
	v_pk_mov_b32 v[82:83], v[50:51], v[50:51] op_sel:[0,1]
	v_mov_b32_e32 v127, 0
	v_pk_mov_b32 v[80:81], v[50:51], v[50:51] op_sel:[0,1]
	;; [unrolled: 2-line block ×12, first 2 shown]
                                        ; implicit-def: $sgpr26_sgpr27
                                        ; implicit-def: $vgpr2_vgpr3
	s_and_saveexec_b64 s[20:21], vcc
	s_cbranch_execz .LBB1421_127
; %bb.100:
	ds_read2_b64 v[2:5], v28 offset0:7 offset1:8
	v_cmp_ne_u32_e32 vcc, v20, v21
	v_mov_b32_e32 v20, s69
	v_add_u32_e32 v22, 8, v85
	v_pk_mov_b32 v[50:51], 0, 0
	s_waitcnt lgkmcnt(0)
	v_cndmask_b32_e32 v61, v3, v20, vcc
	v_mov_b32_e32 v3, s68
	v_cndmask_b32_e64 v117, 0, 1, vcc
	v_cndmask_b32_e32 v60, v2, v3, vcc
	v_cmp_gt_u32_e32 vcc, s64, v22
	s_mov_b64 s[26:27], 0
	v_mov_b32_e32 v112, 0
	v_mov_b32_e32 v128, 0
	v_pk_mov_b32 v[82:83], v[50:51], v[50:51] op_sel:[0,1]
	v_mov_b32_e32 v127, 0
	v_pk_mov_b32 v[80:81], v[50:51], v[50:51] op_sel:[0,1]
	;; [unrolled: 2-line block ×11, first 2 shown]
                                        ; implicit-def: $sgpr28_sgpr29
                                        ; implicit-def: $vgpr2_vgpr3
	s_and_saveexec_b64 s[22:23], vcc
	s_cbranch_execz .LBB1421_126
; %bb.101:
	v_cmp_ne_u32_e32 vcc, v21, v18
	v_mov_b32_e32 v3, s69
	v_add_u32_e32 v2, 9, v85
	v_cndmask_b32_e32 v63, v5, v3, vcc
	v_mov_b32_e32 v3, s68
	v_pk_mov_b32 v[50:51], 0, 0
	v_cndmask_b32_e64 v118, 0, 1, vcc
	v_cndmask_b32_e32 v62, v4, v3, vcc
	v_cmp_gt_u32_e32 vcc, s64, v2
	s_mov_b64 s[28:29], 0
	v_mov_b32_e32 v112, 0
	v_mov_b32_e32 v128, 0
	v_pk_mov_b32 v[82:83], v[50:51], v[50:51] op_sel:[0,1]
	v_mov_b32_e32 v127, 0
	v_pk_mov_b32 v[80:81], v[50:51], v[50:51] op_sel:[0,1]
	;; [unrolled: 2-line block ×10, first 2 shown]
                                        ; implicit-def: $sgpr30_sgpr31
                                        ; implicit-def: $vgpr2_vgpr3
	s_and_saveexec_b64 s[24:25], vcc
	s_cbranch_execz .LBB1421_125
; %bb.102:
	ds_read2_b64 v[2:5], v28 offset0:9 offset1:10
	v_cmp_ne_u32_e32 vcc, v18, v19
	v_mov_b32_e32 v18, s69
	v_add_u32_e32 v20, 10, v85
	v_pk_mov_b32 v[50:51], 0, 0
	s_waitcnt lgkmcnt(0)
	v_cndmask_b32_e32 v65, v3, v18, vcc
	v_mov_b32_e32 v3, s68
	v_cndmask_b32_e64 v119, 0, 1, vcc
	v_cndmask_b32_e32 v64, v2, v3, vcc
	v_cmp_gt_u32_e32 vcc, s64, v20
	s_mov_b64 s[30:31], 0
	v_mov_b32_e32 v112, 0
	v_mov_b32_e32 v128, 0
	v_pk_mov_b32 v[82:83], v[50:51], v[50:51] op_sel:[0,1]
	v_mov_b32_e32 v127, 0
	v_pk_mov_b32 v[80:81], v[50:51], v[50:51] op_sel:[0,1]
	v_mov_b32_e32 v126, 0
	v_pk_mov_b32 v[78:79], v[50:51], v[50:51] op_sel:[0,1]
	v_mov_b32_e32 v125, 0
	v_pk_mov_b32 v[76:77], v[50:51], v[50:51] op_sel:[0,1]
	v_mov_b32_e32 v124, 0
	v_pk_mov_b32 v[74:75], v[50:51], v[50:51] op_sel:[0,1]
	v_mov_b32_e32 v123, 0
	v_pk_mov_b32 v[72:73], v[50:51], v[50:51] op_sel:[0,1]
	v_mov_b32_e32 v122, 0
	v_pk_mov_b32 v[70:71], v[50:51], v[50:51] op_sel:[0,1]
	v_mov_b32_e32 v121, 0
	v_pk_mov_b32 v[68:69], v[50:51], v[50:51] op_sel:[0,1]
	v_mov_b32_e32 v120, 0
	v_pk_mov_b32 v[66:67], v[50:51], v[50:51] op_sel:[0,1]
                                        ; implicit-def: $sgpr34_sgpr35
                                        ; implicit-def: $vgpr2_vgpr3
	s_and_saveexec_b64 s[26:27], vcc
	s_cbranch_execz .LBB1421_124
; %bb.103:
	v_cmp_ne_u32_e32 vcc, v19, v16
	v_mov_b32_e32 v3, s69
	v_add_u32_e32 v2, 11, v85
	v_cndmask_b32_e32 v67, v5, v3, vcc
	v_mov_b32_e32 v3, s68
	v_pk_mov_b32 v[50:51], 0, 0
	v_cndmask_b32_e64 v120, 0, 1, vcc
	v_cndmask_b32_e32 v66, v4, v3, vcc
	v_cmp_gt_u32_e32 vcc, s64, v2
	s_mov_b64 s[34:35], 0
	v_mov_b32_e32 v112, 0
	v_mov_b32_e32 v128, 0
	v_pk_mov_b32 v[82:83], v[50:51], v[50:51] op_sel:[0,1]
	v_mov_b32_e32 v127, 0
	v_pk_mov_b32 v[80:81], v[50:51], v[50:51] op_sel:[0,1]
	v_mov_b32_e32 v126, 0
	v_pk_mov_b32 v[78:79], v[50:51], v[50:51] op_sel:[0,1]
	v_mov_b32_e32 v125, 0
	v_pk_mov_b32 v[76:77], v[50:51], v[50:51] op_sel:[0,1]
	v_mov_b32_e32 v124, 0
	v_pk_mov_b32 v[74:75], v[50:51], v[50:51] op_sel:[0,1]
	v_mov_b32_e32 v123, 0
	v_pk_mov_b32 v[72:73], v[50:51], v[50:51] op_sel:[0,1]
	v_mov_b32_e32 v122, 0
	v_pk_mov_b32 v[70:71], v[50:51], v[50:51] op_sel:[0,1]
	v_mov_b32_e32 v121, 0
	v_pk_mov_b32 v[68:69], v[50:51], v[50:51] op_sel:[0,1]
                                        ; implicit-def: $sgpr36_sgpr37
                                        ; implicit-def: $vgpr2_vgpr3
	s_and_saveexec_b64 s[28:29], vcc
	s_cbranch_execz .LBB1421_123
; %bb.104:
	ds_read2_b64 v[2:5], v28 offset0:11 offset1:12
	v_cmp_ne_u32_e32 vcc, v16, v17
	v_mov_b32_e32 v16, s69
	v_add_u32_e32 v18, 12, v85
	v_pk_mov_b32 v[50:51], 0, 0
	s_waitcnt lgkmcnt(0)
	v_cndmask_b32_e32 v69, v3, v16, vcc
	v_mov_b32_e32 v3, s68
	v_cndmask_b32_e64 v121, 0, 1, vcc
	v_cndmask_b32_e32 v68, v2, v3, vcc
	v_cmp_gt_u32_e32 vcc, s64, v18
	s_mov_b64 s[36:37], 0
	v_mov_b32_e32 v112, 0
	v_mov_b32_e32 v128, 0
	v_pk_mov_b32 v[82:83], v[50:51], v[50:51] op_sel:[0,1]
	v_mov_b32_e32 v127, 0
	v_pk_mov_b32 v[80:81], v[50:51], v[50:51] op_sel:[0,1]
	;; [unrolled: 2-line block ×7, first 2 shown]
                                        ; implicit-def: $sgpr38_sgpr39
                                        ; implicit-def: $vgpr2_vgpr3
	s_and_saveexec_b64 s[30:31], vcc
	s_cbranch_execz .LBB1421_122
; %bb.105:
	v_cmp_ne_u32_e32 vcc, v17, v14
	v_mov_b32_e32 v3, s69
	v_add_u32_e32 v2, 13, v85
	v_cndmask_b32_e32 v71, v5, v3, vcc
	v_mov_b32_e32 v3, s68
	v_pk_mov_b32 v[50:51], 0, 0
	v_cndmask_b32_e64 v122, 0, 1, vcc
	v_cndmask_b32_e32 v70, v4, v3, vcc
	v_cmp_gt_u32_e32 vcc, s64, v2
	s_mov_b64 s[38:39], 0
	v_mov_b32_e32 v112, 0
	v_mov_b32_e32 v128, 0
	v_pk_mov_b32 v[82:83], v[50:51], v[50:51] op_sel:[0,1]
	v_mov_b32_e32 v127, 0
	v_pk_mov_b32 v[80:81], v[50:51], v[50:51] op_sel:[0,1]
	;; [unrolled: 2-line block ×6, first 2 shown]
                                        ; implicit-def: $sgpr40_sgpr41
                                        ; implicit-def: $vgpr2_vgpr3
	s_and_saveexec_b64 s[34:35], vcc
	s_cbranch_execz .LBB1421_121
; %bb.106:
	ds_read2_b64 v[2:5], v28 offset0:13 offset1:14
	v_cmp_ne_u32_e32 vcc, v14, v15
	v_mov_b32_e32 v14, s69
	v_add_u32_e32 v16, 14, v85
	v_pk_mov_b32 v[50:51], 0, 0
	s_waitcnt lgkmcnt(0)
	v_cndmask_b32_e32 v73, v3, v14, vcc
	v_mov_b32_e32 v3, s68
	v_cndmask_b32_e64 v123, 0, 1, vcc
	v_cndmask_b32_e32 v72, v2, v3, vcc
	v_cmp_gt_u32_e32 vcc, s64, v16
	s_mov_b64 s[40:41], 0
	v_mov_b32_e32 v112, 0
	v_mov_b32_e32 v128, 0
	v_pk_mov_b32 v[82:83], v[50:51], v[50:51] op_sel:[0,1]
	v_mov_b32_e32 v127, 0
	v_pk_mov_b32 v[80:81], v[50:51], v[50:51] op_sel:[0,1]
	;; [unrolled: 2-line block ×5, first 2 shown]
                                        ; implicit-def: $sgpr42_sgpr43
                                        ; implicit-def: $vgpr2_vgpr3
	s_and_saveexec_b64 s[36:37], vcc
	s_cbranch_execz .LBB1421_120
; %bb.107:
	v_cmp_ne_u32_e32 vcc, v15, v12
	v_mov_b32_e32 v3, s69
	v_add_u32_e32 v2, 15, v85
	v_cndmask_b32_e32 v75, v5, v3, vcc
	v_mov_b32_e32 v3, s68
	v_pk_mov_b32 v[50:51], 0, 0
	v_cndmask_b32_e64 v124, 0, 1, vcc
	v_cndmask_b32_e32 v74, v4, v3, vcc
	v_cmp_gt_u32_e32 vcc, s64, v2
	s_mov_b64 s[42:43], 0
	v_mov_b32_e32 v112, 0
	v_mov_b32_e32 v128, 0
	v_pk_mov_b32 v[82:83], v[50:51], v[50:51] op_sel:[0,1]
	v_mov_b32_e32 v127, 0
	v_pk_mov_b32 v[80:81], v[50:51], v[50:51] op_sel:[0,1]
	;; [unrolled: 2-line block ×4, first 2 shown]
                                        ; implicit-def: $sgpr44_sgpr45
                                        ; implicit-def: $vgpr2_vgpr3
	s_and_saveexec_b64 s[38:39], vcc
	s_cbranch_execz .LBB1421_119
; %bb.108:
	ds_read2_b64 v[2:5], v28 offset0:15 offset1:16
	v_cmp_ne_u32_e32 vcc, v12, v13
	v_mov_b32_e32 v12, s69
	v_add_u32_e32 v14, 16, v85
	v_pk_mov_b32 v[50:51], 0, 0
	s_waitcnt lgkmcnt(0)
	v_cndmask_b32_e32 v77, v3, v12, vcc
	v_mov_b32_e32 v3, s68
	v_cndmask_b32_e64 v125, 0, 1, vcc
	v_cndmask_b32_e32 v76, v2, v3, vcc
	v_cmp_gt_u32_e32 vcc, s64, v14
	s_mov_b64 s[44:45], 0
	v_mov_b32_e32 v112, 0
	v_mov_b32_e32 v128, 0
	v_pk_mov_b32 v[82:83], v[50:51], v[50:51] op_sel:[0,1]
	v_mov_b32_e32 v127, 0
	v_pk_mov_b32 v[80:81], v[50:51], v[50:51] op_sel:[0,1]
	;; [unrolled: 2-line block ×3, first 2 shown]
                                        ; implicit-def: $sgpr46_sgpr47
                                        ; implicit-def: $vgpr2_vgpr3
	s_and_saveexec_b64 s[40:41], vcc
	s_cbranch_execz .LBB1421_118
; %bb.109:
	v_cmp_ne_u32_e32 vcc, v13, v10
	v_mov_b32_e32 v3, s69
	v_add_u32_e32 v2, 17, v85
	v_cndmask_b32_e32 v79, v5, v3, vcc
	v_mov_b32_e32 v3, s68
	v_pk_mov_b32 v[50:51], 0, 0
	v_cndmask_b32_e64 v126, 0, 1, vcc
	v_cndmask_b32_e32 v78, v4, v3, vcc
	v_cmp_gt_u32_e32 vcc, s64, v2
	s_mov_b64 s[46:47], 0
	v_mov_b32_e32 v112, 0
	v_mov_b32_e32 v128, 0
	v_pk_mov_b32 v[82:83], v[50:51], v[50:51] op_sel:[0,1]
	v_mov_b32_e32 v127, 0
	v_pk_mov_b32 v[80:81], v[50:51], v[50:51] op_sel:[0,1]
                                        ; implicit-def: $sgpr58_sgpr59
                                        ; implicit-def: $vgpr2_vgpr3
	s_and_saveexec_b64 s[42:43], vcc
	s_cbranch_execz .LBB1421_117
; %bb.110:
	ds_read2_b64 v[2:5], v28 offset0:17 offset1:18
	v_cmp_ne_u32_e32 vcc, v10, v11
	v_mov_b32_e32 v10, s69
	v_add_u32_e32 v12, 18, v85
	v_pk_mov_b32 v[50:51], 0, 0
	s_waitcnt lgkmcnt(0)
	v_cndmask_b32_e32 v81, v3, v10, vcc
	v_mov_b32_e32 v3, s68
	v_cndmask_b32_e64 v127, 0, 1, vcc
	v_cndmask_b32_e32 v80, v2, v3, vcc
	v_cmp_gt_u32_e32 vcc, s64, v12
	s_mov_b64 s[58:59], 0
	v_mov_b32_e32 v112, 0
	v_mov_b32_e32 v128, 0
	v_pk_mov_b32 v[82:83], v[50:51], v[50:51] op_sel:[0,1]
                                        ; implicit-def: $sgpr60_sgpr61
                                        ; implicit-def: $vgpr2_vgpr3
	s_and_saveexec_b64 s[44:45], vcc
	s_cbranch_execz .LBB1421_116
; %bb.111:
	v_cmp_ne_u32_e32 vcc, v11, v8
	v_mov_b32_e32 v3, s69
	v_add_u32_e32 v2, 19, v85
	v_cndmask_b32_e32 v83, v5, v3, vcc
	v_mov_b32_e32 v3, s68
	v_cndmask_b32_e64 v128, 0, 1, vcc
	v_cndmask_b32_e32 v82, v4, v3, vcc
	v_cmp_gt_u32_e32 vcc, s64, v2
	v_mov_b32_e32 v112, 0
	v_pk_mov_b32 v[50:51], 0, 0
                                        ; implicit-def: $sgpr60_sgpr61
                                        ; implicit-def: $vgpr2_vgpr3
	s_and_saveexec_b64 s[46:47], vcc
	s_cbranch_execz .LBB1421_115
; %bb.112:
	ds_read2_b64 v[2:5], v28 offset0:19 offset1:20
	v_cmp_ne_u32_e32 vcc, v8, v9
	v_mov_b32_e32 v8, s69
	v_add_u32_e32 v10, 20, v85
	v_cndmask_b32_e64 v112, 0, 1, vcc
	s_waitcnt lgkmcnt(0)
	v_cndmask_b32_e32 v51, v3, v8, vcc
	v_mov_b32_e32 v3, s68
	v_cndmask_b32_e32 v50, v2, v3, vcc
	v_cmp_gt_u32_e32 vcc, s64, v10
                                        ; implicit-def: $sgpr60_sgpr61
                                        ; implicit-def: $vgpr2_vgpr3
	s_and_saveexec_b64 s[64:65], vcc
	s_xor_b64 s[64:65], exec, s[64:65]
; %bb.113:
	v_mov_b32_e32 v2, s69
	v_cmp_ne_u32_e32 vcc, v9, v84
	v_cndmask_b32_e32 v3, v5, v2, vcc
	v_mov_b32_e32 v2, s68
	s_mov_b64 s[58:59], exec
	v_cndmask_b32_e32 v2, v4, v2, vcc
	s_and_b64 s[60:61], vcc, exec
; %bb.114:
	s_or_b64 exec, exec, s[64:65]
	s_and_b64 s[60:61], s[60:61], exec
	s_and_b64 s[58:59], s[58:59], exec
.LBB1421_115:
	s_or_b64 exec, exec, s[46:47]
	s_and_b64 s[60:61], s[60:61], exec
	s_and_b64 s[46:47], s[58:59], exec
.LBB1421_116:
	s_or_b64 exec, exec, s[44:45]
	s_and_b64 s[58:59], s[60:61], exec
	s_and_b64 s[44:45], s[46:47], exec
.LBB1421_117:
	s_or_b64 exec, exec, s[42:43]
	s_and_b64 s[46:47], s[58:59], exec
	s_and_b64 s[42:43], s[44:45], exec
.LBB1421_118:
	s_or_b64 exec, exec, s[40:41]
	s_and_b64 s[44:45], s[46:47], exec
	s_and_b64 s[40:41], s[42:43], exec
.LBB1421_119:
	s_or_b64 exec, exec, s[38:39]
	s_and_b64 s[42:43], s[44:45], exec
	s_and_b64 s[38:39], s[40:41], exec
.LBB1421_120:
	s_or_b64 exec, exec, s[36:37]
	s_and_b64 s[40:41], s[42:43], exec
	s_and_b64 s[36:37], s[38:39], exec
.LBB1421_121:
	s_or_b64 exec, exec, s[34:35]
	s_and_b64 s[38:39], s[40:41], exec
	s_and_b64 s[34:35], s[36:37], exec
.LBB1421_122:
	s_or_b64 exec, exec, s[30:31]
	s_and_b64 s[36:37], s[38:39], exec
	s_and_b64 s[30:31], s[34:35], exec
.LBB1421_123:
	s_or_b64 exec, exec, s[28:29]
	s_and_b64 s[34:35], s[36:37], exec
	s_and_b64 s[28:29], s[30:31], exec
.LBB1421_124:
	s_or_b64 exec, exec, s[26:27]
	s_and_b64 s[30:31], s[34:35], exec
	s_and_b64 s[26:27], s[28:29], exec
.LBB1421_125:
	s_or_b64 exec, exec, s[24:25]
	s_and_b64 s[28:29], s[30:31], exec
	s_and_b64 s[24:25], s[26:27], exec
.LBB1421_126:
	s_or_b64 exec, exec, s[22:23]
	s_and_b64 s[26:27], s[28:29], exec
	s_and_b64 s[22:23], s[24:25], exec
.LBB1421_127:
	s_or_b64 exec, exec, s[20:21]
	s_and_b64 s[24:25], s[26:27], exec
	s_and_b64 s[20:21], s[22:23], exec
.LBB1421_128:
	s_or_b64 exec, exec, s[18:19]
	s_and_b64 s[22:23], s[24:25], exec
	s_and_b64 s[18:19], s[20:21], exec
.LBB1421_129:
	s_or_b64 exec, exec, s[16:17]
	s_and_b64 s[20:21], s[22:23], exec
	s_and_b64 s[16:17], s[18:19], exec
.LBB1421_130:
	s_or_b64 exec, exec, s[14:15]
	s_and_b64 s[18:19], s[20:21], exec
	s_and_b64 s[14:15], s[16:17], exec
.LBB1421_131:
	s_or_b64 exec, exec, s[12:13]
	s_and_b64 s[16:17], s[18:19], exec
	s_and_b64 s[12:13], s[14:15], exec
.LBB1421_132:
	s_or_b64 exec, exec, s[10:11]
	s_and_b64 s[14:15], s[16:17], exec
	s_and_b64 s[10:11], s[12:13], exec
.LBB1421_133:
	s_or_b64 exec, exec, s[8:9]
	s_and_b64 s[8:9], s[14:15], exec
	s_and_b64 s[10:11], s[10:11], exec
.LBB1421_134:
	s_or_b64 exec, exec, s[6:7]
	s_mov_b64 s[6:7], 0
	s_and_b64 vcc, exec, s[4:5]
	s_cbranch_vccz .LBB1421_140
.LBB1421_135:
	v_lshlrev_b32_e32 v2, 2, v0
	v_add_co_u32_e32 v4, vcc, v6, v2
	v_addc_co_u32_e32 v5, vcc, 0, v7, vcc
	s_movk_i32 s6, 0x1000
	flat_load_dword v1, v[4:5]
	flat_load_dword v3, v[4:5] offset:256
	flat_load_dword v8, v[4:5] offset:512
	flat_load_dword v9, v[4:5] offset:768
	flat_load_dword v10, v[4:5] offset:1024
	flat_load_dword v11, v[4:5] offset:1280
	flat_load_dword v12, v[4:5] offset:1536
	flat_load_dword v13, v[4:5] offset:1792
	flat_load_dword v14, v[4:5] offset:2048
	flat_load_dword v15, v[4:5] offset:2304
	flat_load_dword v16, v[4:5] offset:2560
	flat_load_dword v17, v[4:5] offset:2816
	flat_load_dword v18, v[4:5] offset:3072
	flat_load_dword v19, v[4:5] offset:3328
	flat_load_dword v20, v[4:5] offset:3584
	flat_load_dword v21, v[4:5] offset:3840
	v_add_co_u32_e32 v4, vcc, s6, v4
	v_addc_co_u32_e32 v5, vcc, 0, v5, vcc
	flat_load_dword v22, v[4:5]
	flat_load_dword v23, v[4:5] offset:256
	flat_load_dword v24, v[4:5] offset:512
	;; [unrolled: 1-line block ×4, first 2 shown]
	v_add_co_u32_e32 v4, vcc, 0x1000, v6
	v_addc_co_u32_e32 v5, vcc, 0, v7, vcc
	s_movk_i32 s4, 0x50
	v_cmp_ne_u32_e32 vcc, 63, v0
	s_waitcnt vmcnt(0) lgkmcnt(0)
	ds_write2st64_b32 v2, v1, v3 offset1:1
	ds_write2st64_b32 v2, v8, v9 offset0:2 offset1:3
	ds_write2st64_b32 v2, v10, v11 offset0:4 offset1:5
	;; [unrolled: 1-line block ×9, first 2 shown]
	ds_write_b32 v2, v26 offset:5120
	s_waitcnt lgkmcnt(0)
	; wave barrier
	s_waitcnt lgkmcnt(0)
	flat_load_dword v88, v[4:5] offset:1280
	v_mad_u32_u24 v3, v0, s4, v2
	s_movk_i32 s4, 0xffb0
	ds_read_b32 v1, v3
	ds_read2_b32 v[62:63], v3 offset0:1 offset1:2
	ds_read2_b32 v[60:61], v3 offset0:3 offset1:4
	;; [unrolled: 1-line block ×10, first 2 shown]
	v_mad_i32_i24 v3, v0, s4, v3
	s_waitcnt lgkmcnt(0)
	ds_write_b32 v3, v1 offset:5632
	s_waitcnt lgkmcnt(0)
	; wave barrier
	s_waitcnt lgkmcnt(0)
	s_and_saveexec_b64 s[4:5], vcc
	s_cbranch_execz .LBB1421_137
; %bb.136:
	s_waitcnt vmcnt(0)
	ds_read_b32 v88, v2 offset:5636
.LBB1421_137:
	s_or_b64 exec, exec, s[4:5]
	v_lshlrev_b32_e32 v2, 3, v0
	v_add_co_u32_e32 v4, vcc, v86, v2
	v_addc_co_u32_e32 v5, vcc, 0, v87, vcc
	v_add_co_u32_e32 v22, vcc, s6, v4
	v_addc_co_u32_e32 v23, vcc, 0, v5, vcc
	s_movk_i32 s4, 0x2000
	s_waitcnt lgkmcnt(0)
	; wave barrier
	s_waitcnt lgkmcnt(0)
	flat_load_dwordx2 v[6:7], v[4:5]
	flat_load_dwordx2 v[8:9], v[4:5] offset:512
	flat_load_dwordx2 v[10:11], v[4:5] offset:1024
	;; [unrolled: 1-line block ×7, first 2 shown]
	v_add_co_u32_e32 v4, vcc, s4, v4
	v_addc_co_u32_e32 v5, vcc, 0, v5, vcc
	flat_load_dwordx2 v[24:25], v[22:23]
	flat_load_dwordx2 v[26:27], v[22:23] offset:512
	flat_load_dwordx2 v[28:29], v[22:23] offset:1024
	;; [unrolled: 1-line block ×7, first 2 shown]
	s_nop 0
	flat_load_dwordx2 v[22:23], v[4:5]
	flat_load_dwordx2 v[40:41], v[4:5] offset:512
	flat_load_dwordx2 v[44:45], v[4:5] offset:1024
	;; [unrolled: 1-line block ×4, first 2 shown]
	v_lshl_add_u32 v64, v0, 2, v3
	s_movk_i32 s4, 0xa0
	v_mad_u32_u24 v2, v0, s4, v64
	v_cmp_ne_u32_e32 vcc, v1, v62
	v_cmp_eq_u32_e64 s[4:5], v1, v62
	s_waitcnt vmcnt(0) lgkmcnt(0)
	ds_write2st64_b64 v64, v[6:7], v[8:9] offset1:1
	ds_write2st64_b64 v64, v[10:11], v[12:13] offset0:2 offset1:3
	ds_write2st64_b64 v64, v[14:15], v[16:17] offset0:4 offset1:5
	;; [unrolled: 1-line block ×9, first 2 shown]
	ds_write_b64 v64, v[68:69] offset:10240
	s_waitcnt lgkmcnt(0)
	; wave barrier
	s_waitcnt lgkmcnt(0)
	ds_read2_b64 v[38:41], v2 offset0:1 offset1:2
	ds_read2_b64 v[34:37], v2 offset0:3 offset1:4
	;; [unrolled: 1-line block ×10, first 2 shown]
	v_pk_mov_b32 v[44:45], s[68:69], s[68:69] op_sel:[0,1]
	s_and_saveexec_b64 s[6:7], s[4:5]
	s_cbranch_execz .LBB1421_139
; %bb.138:
	v_mul_u32_u24_e32 v1, 0xa0, v0
	v_add_u32_e32 v1, v64, v1
	ds_read_b64 v[44:45], v1
.LBB1421_139:
	s_or_b64 exec, exec, s[6:7]
	v_cndmask_b32_e64 v1, 0, 1, vcc
	v_cmp_ne_u32_e32 vcc, v62, v63
	v_cmp_ne_u32_e64 s[38:39], v47, v84
	v_cmp_ne_u32_e64 s[40:41], v84, v85
	v_mov_b32_e32 v84, s69
	v_cmp_ne_u32_e64 s[8:9], v61, v58
	v_cmp_ne_u32_e64 s[36:37], v46, v47
	s_waitcnt lgkmcnt(9)
	v_cndmask_b32_e32 v47, v39, v84, vcc
	v_mov_b32_e32 v39, s68
	v_cmp_ne_u32_e64 s[4:5], v63, v60
	v_cmp_ne_u32_e64 s[6:7], v60, v61
	v_cndmask_b32_e64 v114, 0, 1, s[8:9]
	v_cmp_ne_u32_e64 s[10:11], v58, v59
	v_cmp_ne_u32_e64 s[12:13], v59, v56
	v_cmp_ne_u32_e64 s[14:15], v56, v57
	v_cmp_ne_u32_e64 s[16:17], v57, v54
	v_cmp_ne_u32_e64 s[18:19], v54, v55
	v_cmp_ne_u32_e64 s[20:21], v55, v52
	v_cmp_ne_u32_e64 s[22:23], v52, v53
	v_cmp_ne_u32_e64 s[24:25], v53, v50
	v_cmp_ne_u32_e64 s[26:27], v50, v51
	v_cmp_ne_u32_e64 s[28:29], v51, v48
	v_cmp_ne_u32_e64 s[30:31], v48, v49
	v_cmp_ne_u32_e64 s[34:35], v49, v46
	s_waitcnt lgkmcnt(8)
	v_cndmask_b32_e64 v55, v37, v84, s[8:9]
	v_cndmask_b32_e64 v54, v36, v39, s[8:9]
	v_cmp_ne_u32_e64 s[8:9], v85, v88
	v_cndmask_b32_e64 v110, 0, 1, vcc
	v_cndmask_b32_e64 v111, 0, 1, s[4:5]
	v_cndmask_b32_e64 v113, 0, 1, s[6:7]
	;; [unrolled: 1-line block ×17, first 2 shown]
	v_cndmask_b32_e32 v46, v38, v39, vcc
	v_cndmask_b32_e64 v49, v41, v84, s[4:5]
	v_cndmask_b32_e64 v48, v40, v39, s[4:5]
	v_cndmask_b32_e64 v53, v35, v84, s[6:7]
	v_cndmask_b32_e64 v52, v34, v39, s[6:7]
	s_waitcnt lgkmcnt(7)
	v_cndmask_b32_e64 v57, v31, v84, s[10:11]
	v_cndmask_b32_e64 v56, v30, v39, s[10:11]
	v_cndmask_b32_e64 v59, v33, v84, s[12:13]
	v_cndmask_b32_e64 v58, v32, v39, s[12:13]
	s_waitcnt lgkmcnt(6)
	v_cndmask_b32_e64 v61, v27, v84, s[14:15]
	v_cndmask_b32_e64 v60, v26, v39, s[14:15]
	v_cndmask_b32_e64 v63, v29, v84, s[16:17]
	v_cndmask_b32_e64 v62, v28, v39, s[16:17]
	s_waitcnt lgkmcnt(5)
	v_cndmask_b32_e64 v65, v23, v84, s[18:19]
	v_cndmask_b32_e64 v64, v22, v39, s[18:19]
	v_cndmask_b32_e64 v67, v25, v84, s[20:21]
	v_cndmask_b32_e64 v66, v24, v39, s[20:21]
	s_waitcnt lgkmcnt(4)
	v_cndmask_b32_e64 v69, v19, v84, s[22:23]
	v_cndmask_b32_e64 v68, v18, v39, s[22:23]
	v_cndmask_b32_e64 v71, v21, v84, s[24:25]
	v_cndmask_b32_e64 v70, v20, v39, s[24:25]
	s_waitcnt lgkmcnt(3)
	v_cndmask_b32_e64 v73, v15, v84, s[26:27]
	v_cndmask_b32_e64 v72, v14, v39, s[26:27]
	v_cndmask_b32_e64 v75, v17, v84, s[28:29]
	v_cndmask_b32_e64 v74, v16, v39, s[28:29]
	s_waitcnt lgkmcnt(2)
	v_cndmask_b32_e64 v77, v11, v84, s[30:31]
	v_cndmask_b32_e64 v76, v10, v39, s[30:31]
	v_cndmask_b32_e64 v79, v13, v84, s[34:35]
	v_cndmask_b32_e64 v78, v12, v39, s[34:35]
	s_waitcnt lgkmcnt(1)
	v_cndmask_b32_e64 v81, v7, v84, s[36:37]
	v_cndmask_b32_e64 v80, v6, v39, s[36:37]
	v_cndmask_b32_e64 v83, v9, v84, s[38:39]
	v_cndmask_b32_e64 v82, v8, v39, s[38:39]
	s_waitcnt lgkmcnt(0)
	v_cndmask_b32_e64 v51, v3, v84, s[40:41]
	v_cndmask_b32_e64 v50, v2, v39, s[40:41]
	;; [unrolled: 1-line block ×4, first 2 shown]
	s_mov_b64 s[10:11], -1
                                        ; implicit-def: $sgpr72
                                        ; implicit-def: $sgpr6_sgpr7
.LBB1421_140:
	v_pk_mov_b32 v[84:85], s[6:7], s[6:7] op_sel:[0,1]
	v_mov_b32_e32 v129, s72
	s_and_saveexec_b64 s[4:5], s[10:11]
; %bb.141:
	v_cndmask_b32_e64 v129, 0, 1, s[8:9]
	v_pk_mov_b32 v[84:85], v[2:3], v[2:3] op_sel:[0,1]
; %bb.142:
	s_or_b64 exec, exec, s[4:5]
	v_or_b32_e32 v2, v129, v112
	s_cmp_lg_u32 s55, 0
	v_add_f64 v[86:87], v[46:47], v[44:45]
	v_or_b32_e32 v131, v2, v128
	v_mbcnt_lo_u32_b32 v130, -1, 0
	s_waitcnt lgkmcnt(0)
	; wave barrier
	s_waitcnt lgkmcnt(0)
	s_cbranch_scc0 .LBB1421_201
; %bb.143:
	v_mov_b32_e32 v4, 0
	v_cmp_eq_u16_sdwa s[4:5], v110, v4 src0_sel:BYTE_0 src1_sel:DWORD
	v_cndmask_b32_e64 v3, v47, v87, s[4:5]
	v_cndmask_b32_e64 v2, v46, v86, s[4:5]
	v_add_f64 v[2:3], v[48:49], v[2:3]
	v_cmp_eq_u16_sdwa s[6:7], v111, v4 src0_sel:BYTE_0 src1_sel:DWORD
	v_cndmask_b32_e64 v3, v49, v3, s[6:7]
	v_cndmask_b32_e64 v2, v48, v2, s[6:7]
	v_add_f64 v[2:3], v[52:53], v[2:3]
	;; [unrolled: 4-line block ×10, first 2 shown]
	v_cmp_eq_u16_sdwa s[24:25], v121, v4 src0_sel:BYTE_0 src1_sel:DWORD
	v_cndmask_b32_e64 v3, v69, v3, s[24:25]
	v_cndmask_b32_e64 v2, v68, v2, s[24:25]
	v_cmp_eq_u16_sdwa s[26:27], v122, v4 src0_sel:BYTE_0 src1_sel:DWORD
	v_cmp_eq_u16_sdwa s[28:29], v123, v4 src0_sel:BYTE_0 src1_sel:DWORD
	;; [unrolled: 1-line block ×8, first 2 shown]
	v_cmp_eq_u16_sdwa vcc, v129, v4 src0_sel:BYTE_0 src1_sel:DWORD
	v_or_b32_e32 v4, v131, v127
	v_add_f64 v[2:3], v[70:71], v[2:3]
	v_or_b32_e32 v4, v4, v126
	v_cndmask_b32_e64 v3, v71, v3, s[26:27]
	v_cndmask_b32_e64 v2, v70, v2, s[26:27]
	v_or_b32_e32 v4, v4, v125
	v_add_f64 v[2:3], v[72:73], v[2:3]
	v_or_b32_e32 v4, v4, v124
	v_cndmask_b32_e64 v3, v73, v3, s[28:29]
	v_cndmask_b32_e64 v2, v72, v2, s[28:29]
	;; [unrolled: 5-line block ×8, first 2 shown]
	v_or_b32_e32 v4, v4, v110
	v_add_f64 v[2:3], v[84:85], v[2:3]
	v_or_b32_e32 v4, v4, v1
	v_mbcnt_hi_u32_b32 v7, -1, v130
	v_cndmask_b32_e32 v3, v85, v3, vcc
	v_cndmask_b32_e32 v2, v84, v2, vcc
	v_and_b32_e32 v6, 1, v4
	v_and_b32_e32 v8, 15, v7
	v_cmp_eq_u32_e32 vcc, 1, v6
	v_mov_b32_dpp v4, v2 row_shr:1 row_mask:0xf bank_mask:0xf
	v_mov_b32_dpp v5, v3 row_shr:1 row_mask:0xf bank_mask:0xf
	;; [unrolled: 1-line block ×3, first 2 shown]
	v_cmp_ne_u32_e64 s[44:45], 0, v8
	v_mov_b32_e32 v9, v6
	s_and_saveexec_b64 s[46:47], s[44:45]
; %bb.144:
	v_add_f64 v[4:5], v[2:3], v[4:5]
	v_cndmask_b32_e32 v2, v4, v2, vcc
	v_and_b32_e32 v4, 1, v10
	v_or_b32_e32 v6, v4, v6
	v_cndmask_b32_e32 v3, v5, v3, vcc
	v_and_b32_e32 v9, 0xffff, v6
; %bb.145:
	s_or_b64 exec, exec, s[46:47]
	v_mov_b32_dpp v4, v2 row_shr:2 row_mask:0xf bank_mask:0xf
	v_mov_b32_dpp v5, v3 row_shr:2 row_mask:0xf bank_mask:0xf
	v_mov_b32_dpp v10, v9 row_shr:2 row_mask:0xf bank_mask:0xf
	v_cmp_lt_u32_e32 vcc, 1, v8
	s_and_saveexec_b64 s[46:47], vcc
; %bb.146:
	v_add_f64 v[4:5], v[2:3], v[4:5]
	v_cmp_eq_u16_e32 vcc, 0, v6
	v_cndmask_b32_e32 v2, v2, v4, vcc
	v_and_b32_e32 v4, 1, v6
	v_cndmask_b32_e32 v3, v3, v5, vcc
	v_cmp_eq_u32_e32 vcc, 1, v4
	v_and_b32_e32 v4, 1, v10
	v_cmp_eq_u32_e64 s[44:45], 1, v4
	s_or_b64 s[44:45], vcc, s[44:45]
	v_cndmask_b32_e64 v6, 0, 1, s[44:45]
	v_cndmask_b32_e64 v9, 0, 1, s[44:45]
; %bb.147:
	s_or_b64 exec, exec, s[46:47]
	v_mov_b32_dpp v4, v2 row_shr:4 row_mask:0xf bank_mask:0xf
	v_mov_b32_dpp v5, v3 row_shr:4 row_mask:0xf bank_mask:0xf
	v_mov_b32_dpp v10, v9 row_shr:4 row_mask:0xf bank_mask:0xf
	v_cmp_lt_u32_e32 vcc, 3, v8
	s_and_saveexec_b64 s[46:47], vcc
; %bb.148:
	v_add_f64 v[4:5], v[2:3], v[4:5]
	v_cmp_eq_u16_e32 vcc, 0, v6
	v_cndmask_b32_e32 v2, v2, v4, vcc
	v_and_b32_e32 v4, 1, v6
	v_cndmask_b32_e32 v3, v3, v5, vcc
	v_cmp_eq_u32_e32 vcc, 1, v4
	v_and_b32_e32 v4, 1, v10
	v_cmp_eq_u32_e64 s[44:45], 1, v4
	s_or_b64 s[44:45], vcc, s[44:45]
	v_cndmask_b32_e64 v6, 0, 1, s[44:45]
	v_cndmask_b32_e64 v9, 0, 1, s[44:45]
; %bb.149:
	s_or_b64 exec, exec, s[46:47]
	v_mov_b32_dpp v4, v2 row_shr:8 row_mask:0xf bank_mask:0xf
	v_mov_b32_dpp v5, v3 row_shr:8 row_mask:0xf bank_mask:0xf
	v_mov_b32_dpp v10, v9 row_shr:8 row_mask:0xf bank_mask:0xf
	v_cmp_lt_u32_e32 vcc, 7, v8
	s_and_saveexec_b64 s[46:47], vcc
; %bb.150:
	v_add_f64 v[4:5], v[2:3], v[4:5]
	v_cmp_eq_u16_e32 vcc, 0, v6
	v_cndmask_b32_e32 v2, v2, v4, vcc
	v_and_b32_e32 v4, 1, v6
	v_cndmask_b32_e32 v3, v3, v5, vcc
	v_cmp_eq_u32_e32 vcc, 1, v4
	v_and_b32_e32 v4, 1, v10
	v_cmp_eq_u32_e64 s[44:45], 1, v4
	s_or_b64 s[44:45], vcc, s[44:45]
	v_cndmask_b32_e64 v6, 0, 1, s[44:45]
	v_cndmask_b32_e64 v9, 0, 1, s[44:45]
; %bb.151:
	s_or_b64 exec, exec, s[46:47]
	v_and_b32_e32 v10, 16, v7
	v_mov_b32_dpp v4, v2 row_bcast:15 row_mask:0xf bank_mask:0xf
	v_mov_b32_dpp v5, v3 row_bcast:15 row_mask:0xf bank_mask:0xf
	;; [unrolled: 1-line block ×3, first 2 shown]
	v_cmp_ne_u32_e32 vcc, 0, v10
	s_and_saveexec_b64 s[46:47], vcc
; %bb.152:
	v_add_f64 v[4:5], v[2:3], v[4:5]
	v_cmp_eq_u16_e32 vcc, 0, v6
	v_cndmask_b32_e32 v2, v2, v4, vcc
	v_and_b32_e32 v4, 1, v6
	v_cndmask_b32_e32 v3, v3, v5, vcc
	v_cmp_eq_u32_e32 vcc, 1, v4
	v_and_b32_e32 v4, 1, v8
	v_cmp_eq_u32_e64 s[44:45], 1, v4
	s_or_b64 s[44:45], vcc, s[44:45]
	v_cndmask_b32_e64 v6, 0, 1, s[44:45]
	v_cndmask_b32_e64 v9, 0, 1, s[44:45]
; %bb.153:
	s_or_b64 exec, exec, s[46:47]
	v_mov_b32_dpp v4, v2 row_bcast:31 row_mask:0xf bank_mask:0xf
	v_mov_b32_dpp v5, v3 row_bcast:31 row_mask:0xf bank_mask:0xf
	;; [unrolled: 1-line block ×3, first 2 shown]
	v_cmp_lt_u32_e32 vcc, 31, v7
	s_and_saveexec_b64 s[46:47], vcc
; %bb.154:
	v_add_f64 v[4:5], v[2:3], v[4:5]
	v_cmp_eq_u16_e32 vcc, 0, v6
	v_cndmask_b32_e32 v2, v2, v4, vcc
	v_and_b32_e32 v4, 1, v6
	v_cndmask_b32_e32 v3, v3, v5, vcc
	v_cmp_eq_u32_e32 vcc, 1, v4
	v_and_b32_e32 v4, 1, v8
	v_cmp_eq_u32_e64 s[44:45], 1, v4
	s_or_b64 s[44:45], vcc, s[44:45]
	v_cndmask_b32_e64 v6, 0, 1, s[44:45]
; %bb.155:
	s_or_b64 exec, exec, s[46:47]
	v_cmp_eq_u32_e32 vcc, 63, v0
	s_and_saveexec_b64 s[44:45], vcc
	s_cbranch_execz .LBB1421_157
; %bb.156:
	v_mov_b32_e32 v4, 0
	ds_write_b64 v4, v[2:3]
	ds_write_b8 v4, v6 offset:8
.LBB1421_157:
	s_or_b64 exec, exec, s[44:45]
	v_add_u32_e32 v4, -1, v7
	v_and_b32_e32 v5, 64, v7
	v_cmp_lt_i32_e32 vcc, v4, v5
	v_cndmask_b32_e32 v4, v4, v7, vcc
	v_lshlrev_b32_e32 v4, 2, v4
	v_and_b32_e32 v5, 0xffff, v6
	ds_bpermute_b32 v2, v4, v2
	ds_bpermute_b32 v3, v4, v3
	;; [unrolled: 1-line block ×3, first 2 shown]
	v_cmp_gt_u32_e32 vcc, 64, v0
	s_waitcnt lgkmcnt(0)
	; wave barrier
	s_waitcnt lgkmcnt(0)
	s_and_saveexec_b64 s[58:59], vcc
	s_cbranch_execz .LBB1421_200
; %bb.158:
	v_mov_b32_e32 v9, 0
	ds_read_b64 v[4:5], v9
	ds_read_u8 v17, v9 offset:8
	s_mov_b32 s61, 0
	v_cmp_eq_u32_e64 s[44:45], 0, v7
	s_and_saveexec_b64 s[46:47], s[44:45]
	s_cbranch_execz .LBB1421_160
; %bb.159:
	s_add_i32 s60, s55, 64
	s_lshl_b64 s[64:65], s[60:61], 4
	s_add_u32 s64, s48, s64
	s_addc_u32 s65, s49, s65
	v_mov_b32_e32 v6, s60
	v_mov_b32_e32 v8, 1
	s_waitcnt lgkmcnt(1)
	global_store_dwordx2 v9, v[4:5], s[64:65]
	s_waitcnt lgkmcnt(0)
	global_store_byte v9, v17, s[64:65] offset:8
	s_waitcnt vmcnt(0)
	buffer_wbinvl1_vol
	global_store_byte v6, v8, s[52:53]
.LBB1421_160:
	s_or_b64 exec, exec, s[46:47]
	v_xad_u32 v6, v7, -1, s55
	v_add_u32_e32 v8, 64, v6
	global_load_ubyte v18, v8, s[52:53] glc
	s_waitcnt vmcnt(0)
	v_cmp_eq_u16_e32 vcc, 0, v18
	s_and_saveexec_b64 s[46:47], vcc
	s_cbranch_execz .LBB1421_164
; %bb.161:
	v_mov_b32_e32 v11, s53
	v_add_co_u32_e32 v10, vcc, s52, v8
	v_addc_co_u32_e32 v11, vcc, 0, v11, vcc
	s_mov_b64 s[60:61], 0
.LBB1421_162:                           ; =>This Inner Loop Header: Depth=1
	global_load_ubyte v18, v[10:11], off glc
	s_waitcnt vmcnt(0)
	v_cmp_ne_u16_e32 vcc, 0, v18
	s_or_b64 s[60:61], vcc, s[60:61]
	s_andn2_b64 exec, exec, s[60:61]
	s_cbranch_execnz .LBB1421_162
; %bb.163:
	s_or_b64 exec, exec, s[60:61]
.LBB1421_164:
	s_or_b64 exec, exec, s[46:47]
	v_mov_b32_e32 v10, s51
	v_mov_b32_e32 v11, s49
	v_cmp_eq_u16_e32 vcc, 1, v18
	v_cndmask_b32_e32 v10, v10, v11, vcc
	v_mov_b32_e32 v11, s50
	v_mov_b32_e32 v12, s48
	v_cndmask_b32_e32 v11, v11, v12, vcc
	v_lshlrev_b64 v[8:9], 4, v[8:9]
	v_add_co_u32_e32 v8, vcc, v11, v8
	v_addc_co_u32_e32 v9, vcc, v10, v9, vcc
	s_waitcnt lgkmcnt(0)
	buffer_wbinvl1_vol
	global_load_dwordx2 v[12:13], v[8:9], off
	global_load_ubyte v14, v[8:9], off offset:8
	v_cmp_eq_u16_e32 vcc, 2, v18
	v_lshlrev_b64 v[8:9], v7, -1
	v_and_b32_e32 v19, 63, v7
	v_and_b32_e32 v10, vcc_hi, v9
	v_and_b32_e32 v15, vcc_lo, v8
	v_cmp_ne_u32_e32 vcc, 63, v19
	v_addc_co_u32_e32 v11, vcc, 0, v7, vcc
	v_or_b32_e32 v10, 0x80000000, v10
	v_lshlrev_b32_e32 v20, 2, v11
	v_ffbl_b32_e32 v22, v10
	v_add_u32_e32 v22, 32, v22
	v_ffbl_b32_e32 v15, v15
	v_min_u32_e32 v15, v15, v22
	v_cmp_lt_u32_e32 vcc, v19, v15
	s_waitcnt vmcnt(1)
	ds_bpermute_b32 v10, v20, v12
	s_waitcnt vmcnt(0)
	v_and_b32_e32 v30, 1, v14
	ds_bpermute_b32 v11, v20, v13
	ds_bpermute_b32 v21, v20, v30
	s_and_saveexec_b64 s[46:47], vcc
	s_cbranch_execz .LBB1421_166
; %bb.165:
	v_mov_b32_e32 v22, 0
	s_waitcnt lgkmcnt(1)
	v_add_f64 v[10:11], v[12:13], v[10:11]
	v_cmp_eq_u16_sdwa vcc, v14, v22 src0_sel:BYTE_0 src1_sel:DWORD
	v_cndmask_b32_e32 v12, v12, v10, vcc
	s_waitcnt lgkmcnt(0)
	v_and_b32_e32 v10, 1, v21
	v_or_b32_e32 v14, v10, v14
	v_cndmask_b32_e32 v13, v13, v11, vcc
	v_and_b32_e32 v30, 0xff, v14
.LBB1421_166:
	s_or_b64 exec, exec, s[46:47]
	v_cmp_gt_u32_e32 vcc, 62, v19
	s_waitcnt lgkmcnt(2)
	v_cndmask_b32_e64 v10, 0, 1, vcc
	v_lshlrev_b32_e32 v10, 1, v10
	s_waitcnt lgkmcnt(0)
	v_add_lshl_u32 v21, v10, v7, 2
	ds_bpermute_b32 v10, v21, v12
	ds_bpermute_b32 v11, v21, v13
	ds_bpermute_b32 v23, v21, v30
	v_add_u32_e32 v22, 2, v19
	v_cmp_le_u32_e32 vcc, v22, v15
	s_and_saveexec_b64 s[60:61], vcc
	s_cbranch_execz .LBB1421_168
; %bb.167:
	v_mov_b32_e32 v24, 0
	s_waitcnt lgkmcnt(1)
	v_add_f64 v[10:11], v[12:13], v[10:11]
	v_cmp_eq_u16_sdwa vcc, v14, v24 src0_sel:BYTE_0 src1_sel:DWORD
	v_cndmask_b32_e32 v12, v12, v10, vcc
	v_and_b32_e32 v10, 1, v14
	v_cndmask_b32_e32 v13, v13, v11, vcc
	v_cmp_eq_u32_e32 vcc, 1, v10
	s_waitcnt lgkmcnt(0)
	v_and_b32_e32 v10, 1, v23
	v_cmp_eq_u32_e64 s[46:47], 1, v10
	s_or_b64 s[46:47], vcc, s[46:47]
	v_cndmask_b32_e64 v14, 0, 1, s[46:47]
	v_cndmask_b32_e64 v30, 0, 1, s[46:47]
.LBB1421_168:
	s_or_b64 exec, exec, s[60:61]
	v_cmp_gt_u32_e32 vcc, 60, v19
	s_waitcnt lgkmcnt(2)
	v_cndmask_b32_e64 v10, 0, 1, vcc
	v_lshlrev_b32_e32 v10, 2, v10
	s_waitcnt lgkmcnt(0)
	v_add_lshl_u32 v23, v10, v7, 2
	ds_bpermute_b32 v10, v23, v12
	ds_bpermute_b32 v11, v23, v13
	ds_bpermute_b32 v25, v23, v30
	v_add_u32_e32 v24, 4, v19
	v_cmp_le_u32_e32 vcc, v24, v15
	s_and_saveexec_b64 s[60:61], vcc
	s_cbranch_execz .LBB1421_170
; %bb.169:
	v_mov_b32_e32 v26, 0
	s_waitcnt lgkmcnt(1)
	v_add_f64 v[10:11], v[12:13], v[10:11]
	v_cmp_eq_u16_sdwa vcc, v14, v26 src0_sel:BYTE_0 src1_sel:DWORD
	v_cndmask_b32_e32 v12, v12, v10, vcc
	v_and_b32_e32 v10, 1, v14
	v_cndmask_b32_e32 v13, v13, v11, vcc
	v_cmp_eq_u32_e32 vcc, 1, v10
	s_waitcnt lgkmcnt(0)
	v_and_b32_e32 v10, 1, v25
	v_cmp_eq_u32_e64 s[46:47], 1, v10
	s_or_b64 s[46:47], vcc, s[46:47]
	v_cndmask_b32_e64 v14, 0, 1, s[46:47]
	v_cndmask_b32_e64 v30, 0, 1, s[46:47]
.LBB1421_170:
	;; [unrolled: 30-line block ×4, first 2 shown]
	s_or_b64 exec, exec, s[60:61]
	v_cmp_gt_u32_e32 vcc, 32, v19
	s_waitcnt lgkmcnt(2)
	v_cndmask_b32_e64 v10, 0, 1, vcc
	v_lshlrev_b32_e32 v10, 5, v10
	s_waitcnt lgkmcnt(0)
	v_add_lshl_u32 v29, v10, v7, 2
	ds_bpermute_b32 v10, v29, v12
	ds_bpermute_b32 v11, v29, v13
	;; [unrolled: 1-line block ×3, first 2 shown]
	v_add_u32_e32 v31, 32, v19
	v_cmp_le_u32_e32 vcc, v31, v15
	s_and_saveexec_b64 s[60:61], vcc
	s_cbranch_execz .LBB1421_176
; %bb.175:
	v_mov_b32_e32 v15, 0
	s_waitcnt lgkmcnt(1)
	v_add_f64 v[10:11], v[12:13], v[10:11]
	v_cmp_eq_u16_sdwa vcc, v14, v15 src0_sel:BYTE_0 src1_sel:DWORD
	v_cndmask_b32_e32 v12, v12, v10, vcc
	v_and_b32_e32 v10, 1, v14
	s_waitcnt lgkmcnt(0)
	v_and_b32_e32 v7, 1, v7
	v_cndmask_b32_e32 v13, v13, v11, vcc
	v_cmp_eq_u32_e32 vcc, 1, v10
	v_cmp_eq_u32_e64 s[46:47], 1, v7
	s_or_b64 s[46:47], vcc, s[46:47]
	v_cndmask_b32_e64 v14, 0, 1, s[46:47]
.LBB1421_176:
	s_or_b64 exec, exec, s[60:61]
	s_waitcnt lgkmcnt(0)
	v_mov_b32_e32 v7, 0
	v_mov_b32_e32 v32, 2
	s_branch .LBB1421_178
.LBB1421_177:                           ;   in Loop: Header=BB1421_178 Depth=1
	s_or_b64 exec, exec, s[64:65]
	v_add_f64 v[12:13], v[10:11], v[12:13]
	v_cmp_eq_u16_sdwa vcc, v30, v7 src0_sel:BYTE_0 src1_sel:DWORD
	s_waitcnt lgkmcnt(2)
	v_and_b32_e32 v14, 1, v30
	v_cndmask_b32_e32 v13, v11, v13, vcc
	v_cndmask_b32_e32 v12, v10, v12, vcc
	v_cmp_eq_u32_e32 vcc, 1, v14
	s_or_b64 s[46:47], vcc, s[60:61]
	v_subrev_u32_e32 v6, 64, v6
	v_cndmask_b32_e64 v14, 0, 1, s[46:47]
.LBB1421_178:                           ; =>This Loop Header: Depth=1
                                        ;     Child Loop BB1421_181 Depth 2
	v_cmp_ne_u16_sdwa s[46:47], v18, v32 src0_sel:BYTE_0 src1_sel:DWORD
	v_cndmask_b32_e64 v10, 0, 1, s[46:47]
	;;#ASMSTART
	;;#ASMEND
	v_cmp_ne_u32_e32 vcc, 0, v10
	v_mov_b32_e32 v30, v14
	s_cmp_lg_u64 vcc, exec
	v_pk_mov_b32 v[10:11], v[12:13], v[12:13] op_sel:[0,1]
	s_cbranch_scc1 .LBB1421_195
; %bb.179:                              ;   in Loop: Header=BB1421_178 Depth=1
	global_load_ubyte v18, v6, s[52:53] glc
	s_waitcnt vmcnt(0)
	v_cmp_eq_u16_e32 vcc, 0, v18
	s_and_saveexec_b64 s[46:47], vcc
	s_cbranch_execz .LBB1421_183
; %bb.180:                              ;   in Loop: Header=BB1421_178 Depth=1
	v_mov_b32_e32 v13, s53
	v_add_co_u32_e32 v12, vcc, s52, v6
	v_addc_co_u32_e32 v13, vcc, 0, v13, vcc
	s_mov_b64 s[60:61], 0
.LBB1421_181:                           ;   Parent Loop BB1421_178 Depth=1
                                        ; =>  This Inner Loop Header: Depth=2
	global_load_ubyte v18, v[12:13], off glc
	s_waitcnt vmcnt(0)
	v_cmp_ne_u16_e32 vcc, 0, v18
	s_or_b64 s[60:61], vcc, s[60:61]
	s_andn2_b64 exec, exec, s[60:61]
	s_cbranch_execnz .LBB1421_181
; %bb.182:                              ;   in Loop: Header=BB1421_178 Depth=1
	s_or_b64 exec, exec, s[60:61]
.LBB1421_183:                           ;   in Loop: Header=BB1421_178 Depth=1
	s_or_b64 exec, exec, s[46:47]
	v_mov_b32_e32 v12, s51
	v_mov_b32_e32 v13, s49
	v_cmp_eq_u16_e32 vcc, 1, v18
	s_waitcnt lgkmcnt(1)
	v_cndmask_b32_e32 v15, v12, v13, vcc
	v_mov_b32_e32 v12, s50
	v_mov_b32_e32 v13, s48
	v_cndmask_b32_e32 v14, v12, v13, vcc
	v_lshlrev_b64 v[12:13], 4, v[6:7]
	v_add_co_u32_e32 v14, vcc, v14, v12
	v_addc_co_u32_e32 v15, vcc, v15, v13, vcc
	buffer_wbinvl1_vol
	global_load_dwordx2 v[12:13], v[14:15], off
	global_load_ubyte v33, v[14:15], off offset:8
	v_cmp_eq_u16_e32 vcc, 2, v18
	v_and_b32_e32 v14, vcc_hi, v9
	v_or_b32_e32 v14, 0x80000000, v14
	v_ffbl_b32_e32 v37, v14
	v_and_b32_e32 v34, vcc_lo, v8
	v_add_u32_e32 v37, 32, v37
	v_ffbl_b32_e32 v34, v34
	v_min_u32_e32 v34, v34, v37
	v_cmp_lt_u32_e32 vcc, v19, v34
	s_waitcnt vmcnt(1)
	ds_bpermute_b32 v14, v20, v12
	s_waitcnt vmcnt(0) lgkmcnt(1)
	v_and_b32_e32 v35, 1, v33
	ds_bpermute_b32 v15, v20, v13
	ds_bpermute_b32 v36, v20, v35
	s_and_saveexec_b64 s[46:47], vcc
	s_cbranch_execz .LBB1421_185
; %bb.184:                              ;   in Loop: Header=BB1421_178 Depth=1
	s_waitcnt lgkmcnt(1)
	v_add_f64 v[14:15], v[12:13], v[14:15]
	v_cmp_eq_u16_sdwa vcc, v33, v7 src0_sel:BYTE_0 src1_sel:DWORD
	v_cndmask_b32_e32 v12, v12, v14, vcc
	s_waitcnt lgkmcnt(0)
	v_and_b32_e32 v14, 1, v36
	v_or_b32_e32 v33, v14, v33
	v_cndmask_b32_e32 v13, v13, v15, vcc
	v_and_b32_e32 v35, 0xff, v33
.LBB1421_185:                           ;   in Loop: Header=BB1421_178 Depth=1
	s_or_b64 exec, exec, s[46:47]
	s_waitcnt lgkmcnt(2)
	ds_bpermute_b32 v14, v21, v12
	s_waitcnt lgkmcnt(2)
	ds_bpermute_b32 v15, v21, v13
	;; [unrolled: 2-line block ×3, first 2 shown]
	v_and_b32_e32 v37, 1, v33
	v_cmp_le_u32_e32 vcc, v22, v34
	v_cmp_eq_u32_e64 s[60:61], 1, v37
	s_and_saveexec_b64 s[46:47], vcc
	s_cbranch_execz .LBB1421_187
; %bb.186:                              ;   in Loop: Header=BB1421_178 Depth=1
	s_waitcnt lgkmcnt(1)
	v_add_f64 v[14:15], v[12:13], v[14:15]
	v_cmp_eq_u16_sdwa vcc, v33, v7 src0_sel:BYTE_0 src1_sel:DWORD
	v_cndmask_b32_e32 v12, v12, v14, vcc
	s_waitcnt lgkmcnt(0)
	v_and_b32_e32 v14, 1, v36
	v_cndmask_b32_e32 v13, v13, v15, vcc
	v_cmp_eq_u32_e32 vcc, 1, v14
	s_or_b64 s[64:65], s[60:61], vcc
	v_cndmask_b32_e64 v33, 0, 1, s[64:65]
	v_cndmask_b32_e64 v35, 0, 1, s[64:65]
	s_andn2_b64 s[60:61], s[60:61], exec
	s_and_b64 s[64:65], s[64:65], exec
	s_or_b64 s[60:61], s[60:61], s[64:65]
.LBB1421_187:                           ;   in Loop: Header=BB1421_178 Depth=1
	s_or_b64 exec, exec, s[46:47]
	s_waitcnt lgkmcnt(2)
	ds_bpermute_b32 v14, v23, v12
	s_waitcnt lgkmcnt(2)
	ds_bpermute_b32 v15, v23, v13
	s_waitcnt lgkmcnt(2)
	ds_bpermute_b32 v36, v23, v35
	v_cmp_le_u32_e32 vcc, v24, v34
	s_and_saveexec_b64 s[64:65], vcc
	s_cbranch_execz .LBB1421_189
; %bb.188:                              ;   in Loop: Header=BB1421_178 Depth=1
	s_waitcnt lgkmcnt(1)
	v_add_f64 v[14:15], v[12:13], v[14:15]
	v_cmp_eq_u16_sdwa vcc, v33, v7 src0_sel:BYTE_0 src1_sel:DWORD
	v_cndmask_b32_e32 v12, v12, v14, vcc
	v_and_b32_e32 v14, 1, v33
	v_cndmask_b32_e32 v13, v13, v15, vcc
	v_cmp_eq_u32_e32 vcc, 1, v14
	s_waitcnt lgkmcnt(0)
	v_and_b32_e32 v14, 1, v36
	v_cmp_eq_u32_e64 s[46:47], 1, v14
	s_or_b64 s[46:47], vcc, s[46:47]
	v_cndmask_b32_e64 v33, 0, 1, s[46:47]
	v_cndmask_b32_e64 v35, 0, 1, s[46:47]
	s_andn2_b64 s[60:61], s[60:61], exec
	s_and_b64 s[46:47], s[46:47], exec
	s_or_b64 s[60:61], s[60:61], s[46:47]
.LBB1421_189:                           ;   in Loop: Header=BB1421_178 Depth=1
	s_or_b64 exec, exec, s[64:65]
	s_waitcnt lgkmcnt(2)
	ds_bpermute_b32 v14, v25, v12
	s_waitcnt lgkmcnt(2)
	ds_bpermute_b32 v15, v25, v13
	s_waitcnt lgkmcnt(2)
	ds_bpermute_b32 v36, v25, v35
	v_cmp_le_u32_e32 vcc, v26, v34
	s_and_saveexec_b64 s[64:65], vcc
	s_cbranch_execz .LBB1421_191
; %bb.190:                              ;   in Loop: Header=BB1421_178 Depth=1
	s_waitcnt lgkmcnt(1)
	v_add_f64 v[14:15], v[12:13], v[14:15]
	v_cmp_eq_u16_sdwa vcc, v33, v7 src0_sel:BYTE_0 src1_sel:DWORD
	v_cndmask_b32_e32 v12, v12, v14, vcc
	v_and_b32_e32 v14, 1, v33
	v_cndmask_b32_e32 v13, v13, v15, vcc
	v_cmp_eq_u32_e32 vcc, 1, v14
	s_waitcnt lgkmcnt(0)
	v_and_b32_e32 v14, 1, v36
	v_cmp_eq_u32_e64 s[46:47], 1, v14
	s_or_b64 s[46:47], vcc, s[46:47]
	v_cndmask_b32_e64 v33, 0, 1, s[46:47]
	v_cndmask_b32_e64 v35, 0, 1, s[46:47]
	s_andn2_b64 s[60:61], s[60:61], exec
	s_and_b64 s[46:47], s[46:47], exec
	s_or_b64 s[60:61], s[60:61], s[46:47]
.LBB1421_191:                           ;   in Loop: Header=BB1421_178 Depth=1
	;; [unrolled: 28-line block ×3, first 2 shown]
	s_or_b64 exec, exec, s[64:65]
	s_waitcnt lgkmcnt(2)
	ds_bpermute_b32 v14, v29, v12
	s_waitcnt lgkmcnt(2)
	ds_bpermute_b32 v15, v29, v13
	ds_bpermute_b32 v35, v29, v35
	v_cmp_le_u32_e32 vcc, v31, v34
	s_and_saveexec_b64 s[64:65], vcc
	s_cbranch_execz .LBB1421_177
; %bb.194:                              ;   in Loop: Header=BB1421_178 Depth=1
	s_waitcnt lgkmcnt(1)
	v_add_f64 v[14:15], v[12:13], v[14:15]
	v_cmp_eq_u16_sdwa vcc, v33, v7 src0_sel:BYTE_0 src1_sel:DWORD
	v_cndmask_b32_e32 v12, v12, v14, vcc
	v_and_b32_e32 v14, 1, v33
	v_cndmask_b32_e32 v13, v13, v15, vcc
	v_cmp_eq_u32_e32 vcc, 1, v14
	s_waitcnt lgkmcnt(0)
	v_and_b32_e32 v14, 1, v35
	v_cmp_eq_u32_e64 s[46:47], 1, v14
	s_or_b64 s[46:47], vcc, s[46:47]
	s_andn2_b64 s[60:61], s[60:61], exec
	s_and_b64 s[46:47], s[46:47], exec
	s_or_b64 s[60:61], s[60:61], s[46:47]
	s_branch .LBB1421_177
.LBB1421_195:                           ;   in Loop: Header=BB1421_178 Depth=1
                                        ; implicit-def: $vgpr14
                                        ; implicit-def: $vgpr12_vgpr13
                                        ; implicit-def: $vgpr18
	s_cbranch_execz .LBB1421_178
; %bb.196:
	s_and_saveexec_b64 s[46:47], s[44:45]
	s_cbranch_execz .LBB1421_198
; %bb.197:
	s_mov_b32 s45, 0
	s_add_i32 s44, s55, 64
	v_mov_b32_e32 v8, 0
	s_lshl_b64 s[48:49], s[44:45], 4
	v_add_f64 v[6:7], v[4:5], v[10:11]
	v_cmp_eq_u16_sdwa vcc, v17, v8 src0_sel:BYTE_0 src1_sel:DWORD
	s_add_u32 s48, s50, s48
	v_cndmask_b32_e32 v5, v5, v7, vcc
	v_cndmask_b32_e32 v4, v4, v6, vcc
	v_or_b32_e32 v6, v17, v30
	s_addc_u32 s49, s51, s49
	v_and_b32_e32 v6, 1, v6
	global_store_dwordx2 v8, v[4:5], s[48:49]
	global_store_byte v8, v6, s[48:49] offset:8
	v_mov_b32_e32 v4, s44
	v_mov_b32_e32 v5, 2
	s_waitcnt vmcnt(0) lgkmcnt(0)
	buffer_wbinvl1_vol
	global_store_byte v4, v5, s[52:53]
.LBB1421_198:
	s_or_b64 exec, exec, s[46:47]
	s_and_b64 exec, exec, s[2:3]
	s_cbranch_execz .LBB1421_200
; %bb.199:
	v_mov_b32_e32 v4, 0
	ds_write_b64 v4, v[10:11]
	ds_write_b8 v4, v30 offset:8
.LBB1421_200:
	s_or_b64 exec, exec, s[58:59]
	v_mov_b32_e32 v8, 0
	s_waitcnt lgkmcnt(0)
	; wave barrier
	s_waitcnt lgkmcnt(0)
	ds_read_b64 v[4:5], v8
	v_cmp_eq_u32_sdwa vcc, v16, v8 src0_sel:BYTE_0 src1_sel:DWORD
	s_waitcnt lgkmcnt(0)
	v_add_f64 v[6:7], v[4:5], v[2:3]
	v_cndmask_b32_e32 v2, v2, v6, vcc
	v_cndmask_b32_e32 v3, v3, v7, vcc
	v_cndmask_b32_e64 v89, v3, v5, s[2:3]
	v_cndmask_b32_e64 v88, v2, v4, s[2:3]
	v_add_f64 v[2:3], v[44:45], v[88:89]
	v_cmp_eq_u16_sdwa vcc, v1, v8 src0_sel:BYTE_0 src1_sel:DWORD
	v_cndmask_b32_e32 v5, v45, v3, vcc
	v_cndmask_b32_e32 v4, v44, v2, vcc
	v_add_f64 v[2:3], v[46:47], v[4:5]
	v_cndmask_b32_e64 v7, v47, v3, s[4:5]
	v_cndmask_b32_e64 v6, v46, v2, s[4:5]
	v_add_f64 v[2:3], v[48:49], v[6:7]
	v_cndmask_b32_e64 v91, v49, v3, s[6:7]
	v_cndmask_b32_e64 v90, v48, v2, s[6:7]
	;; [unrolled: 3-line block ×19, first 2 shown]
	s_branch .LBB1421_221
.LBB1421_201:
                                        ; implicit-def: $vgpr88_vgpr89
                                        ; implicit-def: $vgpr108_vgpr109
                                        ; implicit-def: $vgpr106_vgpr107
                                        ; implicit-def: $vgpr104_vgpr105
                                        ; implicit-def: $vgpr102_vgpr103
                                        ; implicit-def: $vgpr100_vgpr101
                                        ; implicit-def: $vgpr98_vgpr99
                                        ; implicit-def: $vgpr96_vgpr97
                                        ; implicit-def: $vgpr94_vgpr95
                                        ; implicit-def: $vgpr92_vgpr93
                                        ; implicit-def: $vgpr90_vgpr91
                                        ; implicit-def: $vgpr38_vgpr39_vgpr40_vgpr41
                                        ; implicit-def: $vgpr34_vgpr35_vgpr36_vgpr37
                                        ; implicit-def: $vgpr30_vgpr31_vgpr32_vgpr33
                                        ; implicit-def: $vgpr26_vgpr27_vgpr28_vgpr29
                                        ; implicit-def: $vgpr22_vgpr23_vgpr24_vgpr25
                                        ; implicit-def: $vgpr18_vgpr19_vgpr20_vgpr21
                                        ; implicit-def: $vgpr14_vgpr15_vgpr16_vgpr17
                                        ; implicit-def: $vgpr10_vgpr11_vgpr12_vgpr13
                                        ; implicit-def: $vgpr6_vgpr7_vgpr8_vgpr9
                                        ; implicit-def: $vgpr2_vgpr3_vgpr4_vgpr5
	s_cbranch_execz .LBB1421_221
; %bb.202:
	s_cmp_lg_u64 s[70:71], 0
	s_cselect_b32 s5, s67, 0
	s_cselect_b32 s4, s66, 0
	s_cmp_eq_u64 s[4:5], 0
	v_pk_mov_b32 v[2:3], s[68:69], s[68:69] op_sel:[0,1]
	s_cbranch_scc1 .LBB1421_204
; %bb.203:
	v_mov_b32_e32 v2, 0
	global_load_dwordx2 v[2:3], v2, s[4:5]
.LBB1421_204:
	v_mov_b32_e32 v6, 0
	v_cmp_eq_u16_sdwa vcc, v110, v6 src0_sel:BYTE_0 src1_sel:DWORD
	v_cndmask_b32_e32 v5, v47, v87, vcc
	v_cndmask_b32_e32 v4, v46, v86, vcc
	v_add_f64 v[4:5], v[48:49], v[4:5]
	v_cmp_eq_u16_sdwa s[4:5], v111, v6 src0_sel:BYTE_0 src1_sel:DWORD
	v_cndmask_b32_e64 v5, v49, v5, s[4:5]
	v_cndmask_b32_e64 v4, v48, v4, s[4:5]
	v_add_f64 v[4:5], v[52:53], v[4:5]
	v_cmp_eq_u16_sdwa s[6:7], v113, v6 src0_sel:BYTE_0 src1_sel:DWORD
	v_cndmask_b32_e64 v5, v53, v5, s[6:7]
	v_cndmask_b32_e64 v4, v52, v4, s[6:7]
	v_add_f64 v[4:5], v[54:55], v[4:5]
	v_cmp_eq_u16_sdwa s[8:9], v114, v6 src0_sel:BYTE_0 src1_sel:DWORD
	v_cndmask_b32_e64 v5, v55, v5, s[8:9]
	v_cndmask_b32_e64 v4, v54, v4, s[8:9]
	v_add_f64 v[4:5], v[56:57], v[4:5]
	v_cmp_eq_u16_sdwa s[10:11], v115, v6 src0_sel:BYTE_0 src1_sel:DWORD
	v_cndmask_b32_e64 v5, v57, v5, s[10:11]
	v_cndmask_b32_e64 v4, v56, v4, s[10:11]
	v_add_f64 v[4:5], v[58:59], v[4:5]
	v_cmp_eq_u16_sdwa s[12:13], v116, v6 src0_sel:BYTE_0 src1_sel:DWORD
	v_cndmask_b32_e64 v5, v59, v5, s[12:13]
	v_cndmask_b32_e64 v4, v58, v4, s[12:13]
	v_add_f64 v[4:5], v[60:61], v[4:5]
	v_cmp_eq_u16_sdwa s[14:15], v117, v6 src0_sel:BYTE_0 src1_sel:DWORD
	v_cndmask_b32_e64 v5, v61, v5, s[14:15]
	v_cndmask_b32_e64 v4, v60, v4, s[14:15]
	v_add_f64 v[4:5], v[62:63], v[4:5]
	v_cmp_eq_u16_sdwa s[16:17], v118, v6 src0_sel:BYTE_0 src1_sel:DWORD
	v_cndmask_b32_e64 v5, v63, v5, s[16:17]
	v_cndmask_b32_e64 v4, v62, v4, s[16:17]
	v_add_f64 v[4:5], v[64:65], v[4:5]
	v_cmp_eq_u16_sdwa s[18:19], v119, v6 src0_sel:BYTE_0 src1_sel:DWORD
	v_cndmask_b32_e64 v5, v65, v5, s[18:19]
	v_cndmask_b32_e64 v4, v64, v4, s[18:19]
	v_add_f64 v[4:5], v[66:67], v[4:5]
	v_cmp_eq_u16_sdwa s[20:21], v120, v6 src0_sel:BYTE_0 src1_sel:DWORD
	v_cndmask_b32_e64 v5, v67, v5, s[20:21]
	v_cndmask_b32_e64 v4, v66, v4, s[20:21]
	v_add_f64 v[4:5], v[68:69], v[4:5]
	v_cmp_eq_u16_sdwa s[22:23], v121, v6 src0_sel:BYTE_0 src1_sel:DWORD
	v_cndmask_b32_e64 v5, v69, v5, s[22:23]
	v_cndmask_b32_e64 v4, v68, v4, s[22:23]
	v_cmp_eq_u16_sdwa s[24:25], v122, v6 src0_sel:BYTE_0 src1_sel:DWORD
	v_cmp_eq_u16_sdwa s[26:27], v123, v6 src0_sel:BYTE_0 src1_sel:DWORD
	;; [unrolled: 1-line block ×9, first 2 shown]
	v_or_b32_e32 v6, v131, v127
	v_add_f64 v[4:5], v[70:71], v[4:5]
	v_or_b32_e32 v6, v6, v126
	v_cndmask_b32_e64 v5, v71, v5, s[24:25]
	v_cndmask_b32_e64 v4, v70, v4, s[24:25]
	v_or_b32_e32 v6, v6, v125
	v_add_f64 v[4:5], v[72:73], v[4:5]
	v_or_b32_e32 v6, v6, v124
	v_cndmask_b32_e64 v5, v73, v5, s[26:27]
	v_cndmask_b32_e64 v4, v72, v4, s[26:27]
	;; [unrolled: 5-line block ×8, first 2 shown]
	v_or_b32_e32 v6, v6, v110
	v_add_f64 v[4:5], v[84:85], v[4:5]
	v_or_b32_e32 v6, v6, v1
	v_mbcnt_hi_u32_b32 v8, -1, v130
	v_cndmask_b32_e64 v5, v85, v5, s[42:43]
	v_cndmask_b32_e64 v4, v84, v4, s[42:43]
	v_and_b32_e32 v9, 1, v6
	v_and_b32_e32 v10, 15, v8
	v_cmp_eq_u32_e64 s[42:43], 1, v9
	v_mov_b32_dpp v6, v4 row_shr:1 row_mask:0xf bank_mask:0xf
	v_mov_b32_dpp v7, v5 row_shr:1 row_mask:0xf bank_mask:0xf
	;; [unrolled: 1-line block ×3, first 2 shown]
	v_cmp_ne_u32_e64 s[44:45], 0, v10
	v_mov_b32_e32 v11, v9
	s_and_saveexec_b64 s[46:47], s[44:45]
; %bb.205:
	v_add_f64 v[6:7], v[4:5], v[6:7]
	v_cndmask_b32_e64 v4, v6, v4, s[42:43]
	v_and_b32_e32 v6, 1, v12
	v_or_b32_e32 v9, v6, v9
	v_cndmask_b32_e64 v5, v7, v5, s[42:43]
	v_and_b32_e32 v11, 0xffff, v9
; %bb.206:
	s_or_b64 exec, exec, s[46:47]
	v_mov_b32_dpp v6, v4 row_shr:2 row_mask:0xf bank_mask:0xf
	v_mov_b32_dpp v7, v5 row_shr:2 row_mask:0xf bank_mask:0xf
	v_mov_b32_dpp v12, v11 row_shr:2 row_mask:0xf bank_mask:0xf
	v_cmp_lt_u32_e64 s[42:43], 1, v10
	s_and_saveexec_b64 s[46:47], s[42:43]
; %bb.207:
	v_add_f64 v[6:7], v[4:5], v[6:7]
	v_cmp_eq_u16_e64 s[42:43], 0, v9
	v_cndmask_b32_e64 v4, v4, v6, s[42:43]
	v_and_b32_e32 v6, 1, v9
	v_cndmask_b32_e64 v5, v5, v7, s[42:43]
	v_cmp_eq_u32_e64 s[42:43], 1, v6
	v_and_b32_e32 v6, 1, v12
	v_cmp_eq_u32_e64 s[44:45], 1, v6
	s_or_b64 s[42:43], s[42:43], s[44:45]
	v_cndmask_b32_e64 v9, 0, 1, s[42:43]
	v_cndmask_b32_e64 v11, 0, 1, s[42:43]
; %bb.208:
	s_or_b64 exec, exec, s[46:47]
	v_mov_b32_dpp v6, v4 row_shr:4 row_mask:0xf bank_mask:0xf
	v_mov_b32_dpp v7, v5 row_shr:4 row_mask:0xf bank_mask:0xf
	v_mov_b32_dpp v12, v11 row_shr:4 row_mask:0xf bank_mask:0xf
	v_cmp_lt_u32_e64 s[42:43], 3, v10
	s_and_saveexec_b64 s[46:47], s[42:43]
; %bb.209:
	v_add_f64 v[6:7], v[4:5], v[6:7]
	v_cmp_eq_u16_e64 s[42:43], 0, v9
	v_cndmask_b32_e64 v4, v4, v6, s[42:43]
	v_and_b32_e32 v6, 1, v9
	v_cndmask_b32_e64 v5, v5, v7, s[42:43]
	v_cmp_eq_u32_e64 s[42:43], 1, v6
	v_and_b32_e32 v6, 1, v12
	v_cmp_eq_u32_e64 s[44:45], 1, v6
	s_or_b64 s[42:43], s[42:43], s[44:45]
	v_cndmask_b32_e64 v9, 0, 1, s[42:43]
	v_cndmask_b32_e64 v11, 0, 1, s[42:43]
	;; [unrolled: 19-line block ×3, first 2 shown]
; %bb.212:
	s_or_b64 exec, exec, s[46:47]
	v_and_b32_e32 v12, 16, v8
	v_mov_b32_dpp v6, v4 row_bcast:15 row_mask:0xf bank_mask:0xf
	v_mov_b32_dpp v7, v5 row_bcast:15 row_mask:0xf bank_mask:0xf
	;; [unrolled: 1-line block ×3, first 2 shown]
	v_cmp_ne_u32_e64 s[42:43], 0, v12
	s_and_saveexec_b64 s[46:47], s[42:43]
; %bb.213:
	v_add_f64 v[6:7], v[4:5], v[6:7]
	v_cmp_eq_u16_e64 s[42:43], 0, v9
	v_cndmask_b32_e64 v4, v4, v6, s[42:43]
	v_and_b32_e32 v6, 1, v9
	v_cndmask_b32_e64 v5, v5, v7, s[42:43]
	v_cmp_eq_u32_e64 s[42:43], 1, v6
	v_and_b32_e32 v6, 1, v10
	v_cmp_eq_u32_e64 s[44:45], 1, v6
	s_or_b64 s[42:43], s[42:43], s[44:45]
	v_cndmask_b32_e64 v9, 0, 1, s[42:43]
	v_cndmask_b32_e64 v11, 0, 1, s[42:43]
; %bb.214:
	s_or_b64 exec, exec, s[46:47]
	v_mov_b32_dpp v6, v4 row_bcast:31 row_mask:0xf bank_mask:0xf
	v_mov_b32_dpp v7, v5 row_bcast:31 row_mask:0xf bank_mask:0xf
	v_mov_b32_dpp v10, v11 row_bcast:31 row_mask:0xf bank_mask:0xf
	v_cmp_lt_u32_e64 s[42:43], 31, v8
	s_and_saveexec_b64 s[46:47], s[42:43]
; %bb.215:
	v_add_f64 v[6:7], v[4:5], v[6:7]
	v_cmp_eq_u16_e64 s[42:43], 0, v9
	v_cndmask_b32_e64 v4, v4, v6, s[42:43]
	v_and_b32_e32 v6, 1, v9
	v_cndmask_b32_e64 v5, v5, v7, s[42:43]
	v_cmp_eq_u32_e64 s[42:43], 1, v6
	v_and_b32_e32 v6, 1, v10
	v_cmp_eq_u32_e64 s[44:45], 1, v6
	s_or_b64 s[42:43], s[42:43], s[44:45]
	v_cndmask_b32_e64 v9, 0, 1, s[42:43]
; %bb.216:
	s_or_b64 exec, exec, s[46:47]
	v_cmp_eq_u32_e64 s[42:43], 63, v0
	s_and_saveexec_b64 s[44:45], s[42:43]
	s_cbranch_execz .LBB1421_218
; %bb.217:
	v_mov_b32_e32 v6, 0
	ds_write_b64 v6, v[4:5]
	ds_write_b8 v6, v9 offset:8
.LBB1421_218:
	s_or_b64 exec, exec, s[44:45]
	s_waitcnt vmcnt(0)
	v_add_f64 v[6:7], v[2:3], v[4:5]
	v_cmp_eq_u16_e64 s[42:43], 0, v9
	v_cndmask_b32_e64 v5, v5, v7, s[42:43]
	v_cndmask_b32_e64 v4, v4, v6, s[42:43]
	v_add_u32_e32 v6, -1, v8
	v_and_b32_e32 v7, 64, v8
	v_cmp_lt_i32_e64 s[42:43], v6, v7
	v_cndmask_b32_e64 v6, v6, v8, s[42:43]
	v_lshlrev_b32_e32 v6, 2, v6
	ds_bpermute_b32 v5, v6, v5
	ds_bpermute_b32 v4, v6, v4
	v_cmp_eq_u32_e64 s[42:43], 0, v8
	s_or_b64 s[42:43], s[2:3], s[42:43]
	v_mov_b32_e32 v8, 0
	s_waitcnt lgkmcnt(1)
	v_cndmask_b32_e64 v89, v5, v3, s[42:43]
	s_waitcnt lgkmcnt(0)
	v_cndmask_b32_e64 v88, v4, v2, s[42:43]
	v_add_f64 v[4:5], v[44:45], v[88:89]
	v_cmp_eq_u16_sdwa s[42:43], v1, v8 src0_sel:BYTE_0 src1_sel:DWORD
	v_cndmask_b32_e64 v5, v45, v5, s[42:43]
	v_cndmask_b32_e64 v4, v44, v4, s[42:43]
	v_add_f64 v[6:7], v[46:47], v[4:5]
	v_cndmask_b32_e32 v7, v47, v7, vcc
	v_cndmask_b32_e32 v6, v46, v6, vcc
	v_add_f64 v[10:11], v[48:49], v[6:7]
	v_cndmask_b32_e64 v91, v49, v11, s[4:5]
	v_cndmask_b32_e64 v90, v48, v10, s[4:5]
	v_add_f64 v[10:11], v[52:53], v[90:91]
	v_cndmask_b32_e64 v11, v53, v11, s[6:7]
	v_cndmask_b32_e64 v10, v52, v10, s[6:7]
	;; [unrolled: 3-line block ×18, first 2 shown]
	s_waitcnt lgkmcnt(0)
	; wave barrier
	s_and_saveexec_b64 s[4:5], s[2:3]
	s_cbranch_execz .LBB1421_220
; %bb.219:
	ds_read_b64 v[12:13], v8
	ds_read_u8 v1, v8 offset:8
	v_pk_mov_b32 v[88:89], v[2:3], v[2:3] op_sel:[0,1]
	s_waitcnt lgkmcnt(1)
	v_add_f64 v[16:17], v[2:3], v[12:13]
	s_waitcnt lgkmcnt(0)
	v_cmp_eq_u16_e32 vcc, 0, v1
	global_store_byte v8, v1, s[50:51] offset:1032
	v_cndmask_b32_e32 v13, v13, v17, vcc
	v_cndmask_b32_e32 v12, v12, v16, vcc
	v_mov_b32_e32 v1, 2
	global_store_dwordx2 v8, v[12:13], s[50:51] offset:1024
	s_waitcnt vmcnt(0)
	buffer_wbinvl1_vol
	global_store_byte v8, v1, s[52:53] offset:64
.LBB1421_220:
	s_or_b64 exec, exec, s[4:5]
.LBB1421_221:
	s_add_u32 s2, s62, s56
	s_addc_u32 s3, s63, s57
	v_mov_b32_e32 v1, s3
	v_add_co_u32_e32 v8, vcc, s2, v42
	v_addc_co_u32_e32 v9, vcc, v1, v43, vcc
	s_and_b64 vcc, exec, s[0:1]
	v_lshlrev_b32_e32 v12, 3, v0
	s_cbranch_vccz .LBB1421_263
; %bb.222:
	s_movk_i32 s0, 0xa8
	v_mul_i32_i24_e32 v16, 0xffffff60, v0
	v_mul_u32_u24_e32 v13, 0xa8, v0
	v_mad_u32_u24 v2, v0, s0, v16
	s_waitcnt lgkmcnt(0)
	; wave barrier
	ds_write2_b64 v13, v[88:89], v[4:5] offset1:1
	ds_write2_b64 v13, v[6:7], v[90:91] offset0:2 offset1:3
	ds_write2_b64 v13, v[10:11], v[92:93] offset0:4 offset1:5
	;; [unrolled: 1-line block ×9, first 2 shown]
	ds_write_b64 v13, v[108:109] offset:160
	s_waitcnt lgkmcnt(0)
	; wave barrier
	s_waitcnt lgkmcnt(0)
	ds_read2st64_b64 v[76:79], v2 offset0:1 offset1:2
	ds_read2st64_b64 v[72:75], v2 offset0:3 offset1:4
	ds_read2st64_b64 v[68:71], v2 offset0:5 offset1:6
	ds_read2st64_b64 v[64:67], v2 offset0:7 offset1:8
	ds_read2st64_b64 v[60:63], v2 offset0:9 offset1:10
	ds_read2st64_b64 v[56:59], v2 offset0:11 offset1:12
	ds_read2st64_b64 v[52:55], v2 offset0:13 offset1:14
	ds_read2st64_b64 v[48:51], v2 offset0:15 offset1:16
	ds_read2st64_b64 v[44:47], v2 offset0:17 offset1:18
	ds_read2st64_b64 v[40:43], v2 offset0:19 offset1:20
	v_add_co_u32_e32 v2, vcc, v8, v12
	s_add_i32 s33, s33, s54
	v_addc_co_u32_e32 v3, vcc, 0, v9, vcc
	v_mov_b32_e32 v1, 0
	v_cmp_gt_u32_e32 vcc, s33, v0
	s_and_saveexec_b64 s[0:1], vcc
	s_cbranch_execz .LBB1421_224
; %bb.223:
	v_add_u32_e32 v13, v13, v16
	ds_read_b64 v[16:17], v13
	s_waitcnt lgkmcnt(0)
	flat_store_dwordx2 v[2:3], v[16:17]
.LBB1421_224:
	s_or_b64 exec, exec, s[0:1]
	v_or_b32_e32 v13, 64, v0
	v_cmp_gt_u32_e32 vcc, s33, v13
	s_and_saveexec_b64 s[0:1], vcc
	s_cbranch_execz .LBB1421_226
; %bb.225:
	s_waitcnt lgkmcnt(0)
	flat_store_dwordx2 v[2:3], v[76:77] offset:512
.LBB1421_226:
	s_or_b64 exec, exec, s[0:1]
	v_or_b32_e32 v13, 0x80, v0
	v_cmp_gt_u32_e32 vcc, s33, v13
	s_and_saveexec_b64 s[0:1], vcc
	s_cbranch_execz .LBB1421_228
; %bb.227:
	s_waitcnt lgkmcnt(0)
	flat_store_dwordx2 v[2:3], v[78:79] offset:1024
.LBB1421_228:
	;; [unrolled: 9-line block ×7, first 2 shown]
	s_or_b64 exec, exec, s[0:1]
	v_or_b32_e32 v13, 0x200, v0
	v_cmp_gt_u32_e32 vcc, s33, v13
	s_and_saveexec_b64 s[0:1], vcc
	s_cbranch_execz .LBB1421_240
; %bb.239:
	v_add_co_u32_e32 v16, vcc, 0x1000, v2
	v_addc_co_u32_e32 v17, vcc, 0, v3, vcc
	s_waitcnt lgkmcnt(0)
	flat_store_dwordx2 v[16:17], v[66:67]
.LBB1421_240:
	s_or_b64 exec, exec, s[0:1]
	v_or_b32_e32 v13, 0x240, v0
	v_cmp_gt_u32_e32 vcc, s33, v13
	s_and_saveexec_b64 s[0:1], vcc
	s_cbranch_execz .LBB1421_242
; %bb.241:
	v_add_co_u32_e32 v16, vcc, 0x1000, v2
	v_addc_co_u32_e32 v17, vcc, 0, v3, vcc
	s_waitcnt lgkmcnt(0)
	flat_store_dwordx2 v[16:17], v[60:61] offset:512
.LBB1421_242:
	s_or_b64 exec, exec, s[0:1]
	v_or_b32_e32 v13, 0x280, v0
	v_cmp_gt_u32_e32 vcc, s33, v13
	s_and_saveexec_b64 s[0:1], vcc
	s_cbranch_execz .LBB1421_244
; %bb.243:
	v_add_co_u32_e32 v16, vcc, 0x1000, v2
	v_addc_co_u32_e32 v17, vcc, 0, v3, vcc
	s_waitcnt lgkmcnt(0)
	flat_store_dwordx2 v[16:17], v[62:63] offset:1024
.LBB1421_244:
	;; [unrolled: 11-line block ×7, first 2 shown]
	s_or_b64 exec, exec, s[0:1]
	v_or_b32_e32 v13, 0x400, v0
	v_cmp_gt_u32_e32 vcc, s33, v13
	s_and_saveexec_b64 s[0:1], vcc
	s_cbranch_execz .LBB1421_256
; %bb.255:
	v_add_co_u32_e32 v16, vcc, 0x2000, v2
	v_addc_co_u32_e32 v17, vcc, 0, v3, vcc
	s_waitcnt lgkmcnt(0)
	flat_store_dwordx2 v[16:17], v[50:51]
.LBB1421_256:
	s_or_b64 exec, exec, s[0:1]
	v_or_b32_e32 v13, 0x440, v0
	v_cmp_gt_u32_e32 vcc, s33, v13
	s_and_saveexec_b64 s[0:1], vcc
	s_cbranch_execz .LBB1421_258
; %bb.257:
	v_add_co_u32_e32 v16, vcc, 0x2000, v2
	v_addc_co_u32_e32 v17, vcc, 0, v3, vcc
	s_waitcnt lgkmcnt(0)
	flat_store_dwordx2 v[16:17], v[44:45] offset:512
.LBB1421_258:
	s_or_b64 exec, exec, s[0:1]
	v_or_b32_e32 v13, 0x480, v0
	v_cmp_gt_u32_e32 vcc, s33, v13
	s_and_saveexec_b64 s[0:1], vcc
	s_cbranch_execz .LBB1421_260
; %bb.259:
	v_add_co_u32_e32 v16, vcc, 0x2000, v2
	v_addc_co_u32_e32 v17, vcc, 0, v3, vcc
	s_waitcnt lgkmcnt(0)
	flat_store_dwordx2 v[16:17], v[46:47] offset:1024
.LBB1421_260:
	;; [unrolled: 11-line block ×3, first 2 shown]
	s_or_b64 exec, exec, s[0:1]
	v_or_b32_e32 v2, 0x500, v0
	v_cmp_gt_u32_e64 s[0:1], s33, v2
	s_branch .LBB1421_265
.LBB1421_263:
	s_mov_b64 s[0:1], 0
                                        ; implicit-def: $vgpr42_vgpr43
	s_cbranch_execz .LBB1421_265
; %bb.264:
	s_movk_i32 s2, 0xa8
	v_mul_u32_u24_e32 v1, 0xa8, v0
	v_mul_i32_i24_e32 v2, 0xffffff60, v0
	s_waitcnt lgkmcnt(0)
	; wave barrier
	s_waitcnt lgkmcnt(0)
	ds_write2_b64 v1, v[88:89], v[4:5] offset1:1
	ds_write2_b64 v1, v[6:7], v[90:91] offset0:2 offset1:3
	ds_write2_b64 v1, v[10:11], v[92:93] offset0:4 offset1:5
	;; [unrolled: 1-line block ×9, first 2 shown]
	ds_write_b64 v1, v[108:109] offset:160
	v_mad_u32_u24 v6, v0, s2, v2
	s_waitcnt lgkmcnt(0)
	; wave barrier
	s_waitcnt lgkmcnt(0)
	ds_read2st64_b64 v[2:5], v6 offset1:1
	ds_read2st64_b64 v[14:17], v6 offset0:2 offset1:3
	ds_read2st64_b64 v[18:21], v6 offset0:4 offset1:5
	ds_read2st64_b64 v[22:25], v6 offset0:6 offset1:7
	ds_read2st64_b64 v[26:29], v6 offset0:8 offset1:9
	ds_read2st64_b64 v[30:33], v6 offset0:10 offset1:11
	ds_read2st64_b64 v[34:37], v6 offset0:12 offset1:13
	ds_read2st64_b64 v[38:41], v6 offset0:14 offset1:15
	ds_read2st64_b64 v[44:47], v6 offset0:16 offset1:17
	ds_read2st64_b64 v[48:51], v6 offset0:18 offset1:19
	ds_read_b64 v[42:43], v6 offset:10240
	v_add_co_u32_e32 v6, vcc, v8, v12
	v_addc_co_u32_e32 v7, vcc, 0, v9, vcc
	s_movk_i32 s2, 0x1000
	s_waitcnt lgkmcnt(0)
	flat_store_dwordx2 v[6:7], v[2:3]
	flat_store_dwordx2 v[6:7], v[4:5] offset:512
	flat_store_dwordx2 v[6:7], v[14:15] offset:1024
	;; [unrolled: 1-line block ×7, first 2 shown]
	v_add_co_u32_e32 v2, vcc, s2, v6
	v_addc_co_u32_e32 v3, vcc, 0, v7, vcc
	flat_store_dwordx2 v[2:3], v[26:27]
	flat_store_dwordx2 v[2:3], v[28:29] offset:512
	flat_store_dwordx2 v[2:3], v[30:31] offset:1024
	;; [unrolled: 1-line block ×7, first 2 shown]
	v_add_co_u32_e32 v2, vcc, 0x2000, v6
	v_mov_b32_e32 v1, 0
	v_addc_co_u32_e32 v3, vcc, 0, v7, vcc
	s_or_b64 s[0:1], s[0:1], exec
	flat_store_dwordx2 v[2:3], v[44:45]
	flat_store_dwordx2 v[2:3], v[46:47] offset:512
	flat_store_dwordx2 v[2:3], v[48:49] offset:1024
	;; [unrolled: 1-line block ×3, first 2 shown]
.LBB1421_265:
	s_and_saveexec_b64 s[2:3], s[0:1]
	s_cbranch_execz .LBB1421_267
; %bb.266:
	v_lshlrev_b64 v[0:1], 3, v[0:1]
	v_add_co_u32_e32 v0, vcc, v8, v0
	v_addc_co_u32_e32 v1, vcc, v9, v1, vcc
	v_add_co_u32_e32 v0, vcc, 0x2000, v0
	v_addc_co_u32_e32 v1, vcc, 0, v1, vcc
	s_waitcnt lgkmcnt(0)
	flat_store_dwordx2 v[0:1], v[42:43] offset:2048
	s_endpgm
.LBB1421_267:
	s_endpgm
	.section	.rodata,"a",@progbits
	.p2align	6, 0x0
	.amdhsa_kernel _ZN7rocprim17ROCPRIM_400000_NS6detail17trampoline_kernelINS0_14default_configENS1_27scan_by_key_config_selectorIidEEZZNS1_16scan_by_key_implILNS1_25lookback_scan_determinismE0ELb1ES3_N6thrust23THRUST_200600_302600_NS6detail15normal_iteratorINS9_10device_ptrIiEEEENSB_INSC_IdEEEESG_dNS9_4plusIvEENS9_8equal_toIvEEdEE10hipError_tPvRmT2_T3_T4_T5_mT6_T7_P12ihipStream_tbENKUlT_T0_E_clISt17integral_constantIbLb0EES10_IbLb1EEEEDaSW_SX_EUlSW_E_NS1_11comp_targetILNS1_3genE4ELNS1_11target_archE910ELNS1_3gpuE8ELNS1_3repE0EEENS1_30default_config_static_selectorELNS0_4arch9wavefront6targetE1EEEvT1_
		.amdhsa_group_segment_fixed_size 10752
		.amdhsa_private_segment_fixed_size 0
		.amdhsa_kernarg_size 136
		.amdhsa_user_sgpr_count 6
		.amdhsa_user_sgpr_private_segment_buffer 1
		.amdhsa_user_sgpr_dispatch_ptr 0
		.amdhsa_user_sgpr_queue_ptr 0
		.amdhsa_user_sgpr_kernarg_segment_ptr 1
		.amdhsa_user_sgpr_dispatch_id 0
		.amdhsa_user_sgpr_flat_scratch_init 0
		.amdhsa_user_sgpr_kernarg_preload_length 0
		.amdhsa_user_sgpr_kernarg_preload_offset 0
		.amdhsa_user_sgpr_private_segment_size 0
		.amdhsa_uses_dynamic_stack 0
		.amdhsa_system_sgpr_private_segment_wavefront_offset 0
		.amdhsa_system_sgpr_workgroup_id_x 1
		.amdhsa_system_sgpr_workgroup_id_y 0
		.amdhsa_system_sgpr_workgroup_id_z 0
		.amdhsa_system_sgpr_workgroup_info 0
		.amdhsa_system_vgpr_workitem_id 0
		.amdhsa_next_free_vgpr 132
		.amdhsa_next_free_sgpr 73
		.amdhsa_accum_offset 132
		.amdhsa_reserve_vcc 1
		.amdhsa_reserve_flat_scratch 0
		.amdhsa_float_round_mode_32 0
		.amdhsa_float_round_mode_16_64 0
		.amdhsa_float_denorm_mode_32 3
		.amdhsa_float_denorm_mode_16_64 3
		.amdhsa_dx10_clamp 1
		.amdhsa_ieee_mode 1
		.amdhsa_fp16_overflow 0
		.amdhsa_tg_split 0
		.amdhsa_exception_fp_ieee_invalid_op 0
		.amdhsa_exception_fp_denorm_src 0
		.amdhsa_exception_fp_ieee_div_zero 0
		.amdhsa_exception_fp_ieee_overflow 0
		.amdhsa_exception_fp_ieee_underflow 0
		.amdhsa_exception_fp_ieee_inexact 0
		.amdhsa_exception_int_div_zero 0
	.end_amdhsa_kernel
	.section	.text._ZN7rocprim17ROCPRIM_400000_NS6detail17trampoline_kernelINS0_14default_configENS1_27scan_by_key_config_selectorIidEEZZNS1_16scan_by_key_implILNS1_25lookback_scan_determinismE0ELb1ES3_N6thrust23THRUST_200600_302600_NS6detail15normal_iteratorINS9_10device_ptrIiEEEENSB_INSC_IdEEEESG_dNS9_4plusIvEENS9_8equal_toIvEEdEE10hipError_tPvRmT2_T3_T4_T5_mT6_T7_P12ihipStream_tbENKUlT_T0_E_clISt17integral_constantIbLb0EES10_IbLb1EEEEDaSW_SX_EUlSW_E_NS1_11comp_targetILNS1_3genE4ELNS1_11target_archE910ELNS1_3gpuE8ELNS1_3repE0EEENS1_30default_config_static_selectorELNS0_4arch9wavefront6targetE1EEEvT1_,"axG",@progbits,_ZN7rocprim17ROCPRIM_400000_NS6detail17trampoline_kernelINS0_14default_configENS1_27scan_by_key_config_selectorIidEEZZNS1_16scan_by_key_implILNS1_25lookback_scan_determinismE0ELb1ES3_N6thrust23THRUST_200600_302600_NS6detail15normal_iteratorINS9_10device_ptrIiEEEENSB_INSC_IdEEEESG_dNS9_4plusIvEENS9_8equal_toIvEEdEE10hipError_tPvRmT2_T3_T4_T5_mT6_T7_P12ihipStream_tbENKUlT_T0_E_clISt17integral_constantIbLb0EES10_IbLb1EEEEDaSW_SX_EUlSW_E_NS1_11comp_targetILNS1_3genE4ELNS1_11target_archE910ELNS1_3gpuE8ELNS1_3repE0EEENS1_30default_config_static_selectorELNS0_4arch9wavefront6targetE1EEEvT1_,comdat
.Lfunc_end1421:
	.size	_ZN7rocprim17ROCPRIM_400000_NS6detail17trampoline_kernelINS0_14default_configENS1_27scan_by_key_config_selectorIidEEZZNS1_16scan_by_key_implILNS1_25lookback_scan_determinismE0ELb1ES3_N6thrust23THRUST_200600_302600_NS6detail15normal_iteratorINS9_10device_ptrIiEEEENSB_INSC_IdEEEESG_dNS9_4plusIvEENS9_8equal_toIvEEdEE10hipError_tPvRmT2_T3_T4_T5_mT6_T7_P12ihipStream_tbENKUlT_T0_E_clISt17integral_constantIbLb0EES10_IbLb1EEEEDaSW_SX_EUlSW_E_NS1_11comp_targetILNS1_3genE4ELNS1_11target_archE910ELNS1_3gpuE8ELNS1_3repE0EEENS1_30default_config_static_selectorELNS0_4arch9wavefront6targetE1EEEvT1_, .Lfunc_end1421-_ZN7rocprim17ROCPRIM_400000_NS6detail17trampoline_kernelINS0_14default_configENS1_27scan_by_key_config_selectorIidEEZZNS1_16scan_by_key_implILNS1_25lookback_scan_determinismE0ELb1ES3_N6thrust23THRUST_200600_302600_NS6detail15normal_iteratorINS9_10device_ptrIiEEEENSB_INSC_IdEEEESG_dNS9_4plusIvEENS9_8equal_toIvEEdEE10hipError_tPvRmT2_T3_T4_T5_mT6_T7_P12ihipStream_tbENKUlT_T0_E_clISt17integral_constantIbLb0EES10_IbLb1EEEEDaSW_SX_EUlSW_E_NS1_11comp_targetILNS1_3genE4ELNS1_11target_archE910ELNS1_3gpuE8ELNS1_3repE0EEENS1_30default_config_static_selectorELNS0_4arch9wavefront6targetE1EEEvT1_
                                        ; -- End function
	.section	.AMDGPU.csdata,"",@progbits
; Kernel info:
; codeLenInByte = 16664
; NumSgprs: 77
; NumVgprs: 132
; NumAgprs: 0
; TotalNumVgprs: 132
; ScratchSize: 0
; MemoryBound: 0
; FloatMode: 240
; IeeeMode: 1
; LDSByteSize: 10752 bytes/workgroup (compile time only)
; SGPRBlocks: 9
; VGPRBlocks: 16
; NumSGPRsForWavesPerEU: 77
; NumVGPRsForWavesPerEU: 132
; AccumOffset: 132
; Occupancy: 2
; WaveLimiterHint : 1
; COMPUTE_PGM_RSRC2:SCRATCH_EN: 0
; COMPUTE_PGM_RSRC2:USER_SGPR: 6
; COMPUTE_PGM_RSRC2:TRAP_HANDLER: 0
; COMPUTE_PGM_RSRC2:TGID_X_EN: 1
; COMPUTE_PGM_RSRC2:TGID_Y_EN: 0
; COMPUTE_PGM_RSRC2:TGID_Z_EN: 0
; COMPUTE_PGM_RSRC2:TIDIG_COMP_CNT: 0
; COMPUTE_PGM_RSRC3_GFX90A:ACCUM_OFFSET: 32
; COMPUTE_PGM_RSRC3_GFX90A:TG_SPLIT: 0
	.section	.text._ZN7rocprim17ROCPRIM_400000_NS6detail17trampoline_kernelINS0_14default_configENS1_27scan_by_key_config_selectorIidEEZZNS1_16scan_by_key_implILNS1_25lookback_scan_determinismE0ELb1ES3_N6thrust23THRUST_200600_302600_NS6detail15normal_iteratorINS9_10device_ptrIiEEEENSB_INSC_IdEEEESG_dNS9_4plusIvEENS9_8equal_toIvEEdEE10hipError_tPvRmT2_T3_T4_T5_mT6_T7_P12ihipStream_tbENKUlT_T0_E_clISt17integral_constantIbLb0EES10_IbLb1EEEEDaSW_SX_EUlSW_E_NS1_11comp_targetILNS1_3genE3ELNS1_11target_archE908ELNS1_3gpuE7ELNS1_3repE0EEENS1_30default_config_static_selectorELNS0_4arch9wavefront6targetE1EEEvT1_,"axG",@progbits,_ZN7rocprim17ROCPRIM_400000_NS6detail17trampoline_kernelINS0_14default_configENS1_27scan_by_key_config_selectorIidEEZZNS1_16scan_by_key_implILNS1_25lookback_scan_determinismE0ELb1ES3_N6thrust23THRUST_200600_302600_NS6detail15normal_iteratorINS9_10device_ptrIiEEEENSB_INSC_IdEEEESG_dNS9_4plusIvEENS9_8equal_toIvEEdEE10hipError_tPvRmT2_T3_T4_T5_mT6_T7_P12ihipStream_tbENKUlT_T0_E_clISt17integral_constantIbLb0EES10_IbLb1EEEEDaSW_SX_EUlSW_E_NS1_11comp_targetILNS1_3genE3ELNS1_11target_archE908ELNS1_3gpuE7ELNS1_3repE0EEENS1_30default_config_static_selectorELNS0_4arch9wavefront6targetE1EEEvT1_,comdat
	.protected	_ZN7rocprim17ROCPRIM_400000_NS6detail17trampoline_kernelINS0_14default_configENS1_27scan_by_key_config_selectorIidEEZZNS1_16scan_by_key_implILNS1_25lookback_scan_determinismE0ELb1ES3_N6thrust23THRUST_200600_302600_NS6detail15normal_iteratorINS9_10device_ptrIiEEEENSB_INSC_IdEEEESG_dNS9_4plusIvEENS9_8equal_toIvEEdEE10hipError_tPvRmT2_T3_T4_T5_mT6_T7_P12ihipStream_tbENKUlT_T0_E_clISt17integral_constantIbLb0EES10_IbLb1EEEEDaSW_SX_EUlSW_E_NS1_11comp_targetILNS1_3genE3ELNS1_11target_archE908ELNS1_3gpuE7ELNS1_3repE0EEENS1_30default_config_static_selectorELNS0_4arch9wavefront6targetE1EEEvT1_ ; -- Begin function _ZN7rocprim17ROCPRIM_400000_NS6detail17trampoline_kernelINS0_14default_configENS1_27scan_by_key_config_selectorIidEEZZNS1_16scan_by_key_implILNS1_25lookback_scan_determinismE0ELb1ES3_N6thrust23THRUST_200600_302600_NS6detail15normal_iteratorINS9_10device_ptrIiEEEENSB_INSC_IdEEEESG_dNS9_4plusIvEENS9_8equal_toIvEEdEE10hipError_tPvRmT2_T3_T4_T5_mT6_T7_P12ihipStream_tbENKUlT_T0_E_clISt17integral_constantIbLb0EES10_IbLb1EEEEDaSW_SX_EUlSW_E_NS1_11comp_targetILNS1_3genE3ELNS1_11target_archE908ELNS1_3gpuE7ELNS1_3repE0EEENS1_30default_config_static_selectorELNS0_4arch9wavefront6targetE1EEEvT1_
	.globl	_ZN7rocprim17ROCPRIM_400000_NS6detail17trampoline_kernelINS0_14default_configENS1_27scan_by_key_config_selectorIidEEZZNS1_16scan_by_key_implILNS1_25lookback_scan_determinismE0ELb1ES3_N6thrust23THRUST_200600_302600_NS6detail15normal_iteratorINS9_10device_ptrIiEEEENSB_INSC_IdEEEESG_dNS9_4plusIvEENS9_8equal_toIvEEdEE10hipError_tPvRmT2_T3_T4_T5_mT6_T7_P12ihipStream_tbENKUlT_T0_E_clISt17integral_constantIbLb0EES10_IbLb1EEEEDaSW_SX_EUlSW_E_NS1_11comp_targetILNS1_3genE3ELNS1_11target_archE908ELNS1_3gpuE7ELNS1_3repE0EEENS1_30default_config_static_selectorELNS0_4arch9wavefront6targetE1EEEvT1_
	.p2align	8
	.type	_ZN7rocprim17ROCPRIM_400000_NS6detail17trampoline_kernelINS0_14default_configENS1_27scan_by_key_config_selectorIidEEZZNS1_16scan_by_key_implILNS1_25lookback_scan_determinismE0ELb1ES3_N6thrust23THRUST_200600_302600_NS6detail15normal_iteratorINS9_10device_ptrIiEEEENSB_INSC_IdEEEESG_dNS9_4plusIvEENS9_8equal_toIvEEdEE10hipError_tPvRmT2_T3_T4_T5_mT6_T7_P12ihipStream_tbENKUlT_T0_E_clISt17integral_constantIbLb0EES10_IbLb1EEEEDaSW_SX_EUlSW_E_NS1_11comp_targetILNS1_3genE3ELNS1_11target_archE908ELNS1_3gpuE7ELNS1_3repE0EEENS1_30default_config_static_selectorELNS0_4arch9wavefront6targetE1EEEvT1_,@function
_ZN7rocprim17ROCPRIM_400000_NS6detail17trampoline_kernelINS0_14default_configENS1_27scan_by_key_config_selectorIidEEZZNS1_16scan_by_key_implILNS1_25lookback_scan_determinismE0ELb1ES3_N6thrust23THRUST_200600_302600_NS6detail15normal_iteratorINS9_10device_ptrIiEEEENSB_INSC_IdEEEESG_dNS9_4plusIvEENS9_8equal_toIvEEdEE10hipError_tPvRmT2_T3_T4_T5_mT6_T7_P12ihipStream_tbENKUlT_T0_E_clISt17integral_constantIbLb0EES10_IbLb1EEEEDaSW_SX_EUlSW_E_NS1_11comp_targetILNS1_3genE3ELNS1_11target_archE908ELNS1_3gpuE7ELNS1_3repE0EEENS1_30default_config_static_selectorELNS0_4arch9wavefront6targetE1EEEvT1_: ; @_ZN7rocprim17ROCPRIM_400000_NS6detail17trampoline_kernelINS0_14default_configENS1_27scan_by_key_config_selectorIidEEZZNS1_16scan_by_key_implILNS1_25lookback_scan_determinismE0ELb1ES3_N6thrust23THRUST_200600_302600_NS6detail15normal_iteratorINS9_10device_ptrIiEEEENSB_INSC_IdEEEESG_dNS9_4plusIvEENS9_8equal_toIvEEdEE10hipError_tPvRmT2_T3_T4_T5_mT6_T7_P12ihipStream_tbENKUlT_T0_E_clISt17integral_constantIbLb0EES10_IbLb1EEEEDaSW_SX_EUlSW_E_NS1_11comp_targetILNS1_3genE3ELNS1_11target_archE908ELNS1_3gpuE7ELNS1_3repE0EEENS1_30default_config_static_selectorELNS0_4arch9wavefront6targetE1EEEvT1_
; %bb.0:
	.section	.rodata,"a",@progbits
	.p2align	6, 0x0
	.amdhsa_kernel _ZN7rocprim17ROCPRIM_400000_NS6detail17trampoline_kernelINS0_14default_configENS1_27scan_by_key_config_selectorIidEEZZNS1_16scan_by_key_implILNS1_25lookback_scan_determinismE0ELb1ES3_N6thrust23THRUST_200600_302600_NS6detail15normal_iteratorINS9_10device_ptrIiEEEENSB_INSC_IdEEEESG_dNS9_4plusIvEENS9_8equal_toIvEEdEE10hipError_tPvRmT2_T3_T4_T5_mT6_T7_P12ihipStream_tbENKUlT_T0_E_clISt17integral_constantIbLb0EES10_IbLb1EEEEDaSW_SX_EUlSW_E_NS1_11comp_targetILNS1_3genE3ELNS1_11target_archE908ELNS1_3gpuE7ELNS1_3repE0EEENS1_30default_config_static_selectorELNS0_4arch9wavefront6targetE1EEEvT1_
		.amdhsa_group_segment_fixed_size 0
		.amdhsa_private_segment_fixed_size 0
		.amdhsa_kernarg_size 136
		.amdhsa_user_sgpr_count 6
		.amdhsa_user_sgpr_private_segment_buffer 1
		.amdhsa_user_sgpr_dispatch_ptr 0
		.amdhsa_user_sgpr_queue_ptr 0
		.amdhsa_user_sgpr_kernarg_segment_ptr 1
		.amdhsa_user_sgpr_dispatch_id 0
		.amdhsa_user_sgpr_flat_scratch_init 0
		.amdhsa_user_sgpr_kernarg_preload_length 0
		.amdhsa_user_sgpr_kernarg_preload_offset 0
		.amdhsa_user_sgpr_private_segment_size 0
		.amdhsa_uses_dynamic_stack 0
		.amdhsa_system_sgpr_private_segment_wavefront_offset 0
		.amdhsa_system_sgpr_workgroup_id_x 1
		.amdhsa_system_sgpr_workgroup_id_y 0
		.amdhsa_system_sgpr_workgroup_id_z 0
		.amdhsa_system_sgpr_workgroup_info 0
		.amdhsa_system_vgpr_workitem_id 0
		.amdhsa_next_free_vgpr 1
		.amdhsa_next_free_sgpr 0
		.amdhsa_accum_offset 4
		.amdhsa_reserve_vcc 0
		.amdhsa_reserve_flat_scratch 0
		.amdhsa_float_round_mode_32 0
		.amdhsa_float_round_mode_16_64 0
		.amdhsa_float_denorm_mode_32 3
		.amdhsa_float_denorm_mode_16_64 3
		.amdhsa_dx10_clamp 1
		.amdhsa_ieee_mode 1
		.amdhsa_fp16_overflow 0
		.amdhsa_tg_split 0
		.amdhsa_exception_fp_ieee_invalid_op 0
		.amdhsa_exception_fp_denorm_src 0
		.amdhsa_exception_fp_ieee_div_zero 0
		.amdhsa_exception_fp_ieee_overflow 0
		.amdhsa_exception_fp_ieee_underflow 0
		.amdhsa_exception_fp_ieee_inexact 0
		.amdhsa_exception_int_div_zero 0
	.end_amdhsa_kernel
	.section	.text._ZN7rocprim17ROCPRIM_400000_NS6detail17trampoline_kernelINS0_14default_configENS1_27scan_by_key_config_selectorIidEEZZNS1_16scan_by_key_implILNS1_25lookback_scan_determinismE0ELb1ES3_N6thrust23THRUST_200600_302600_NS6detail15normal_iteratorINS9_10device_ptrIiEEEENSB_INSC_IdEEEESG_dNS9_4plusIvEENS9_8equal_toIvEEdEE10hipError_tPvRmT2_T3_T4_T5_mT6_T7_P12ihipStream_tbENKUlT_T0_E_clISt17integral_constantIbLb0EES10_IbLb1EEEEDaSW_SX_EUlSW_E_NS1_11comp_targetILNS1_3genE3ELNS1_11target_archE908ELNS1_3gpuE7ELNS1_3repE0EEENS1_30default_config_static_selectorELNS0_4arch9wavefront6targetE1EEEvT1_,"axG",@progbits,_ZN7rocprim17ROCPRIM_400000_NS6detail17trampoline_kernelINS0_14default_configENS1_27scan_by_key_config_selectorIidEEZZNS1_16scan_by_key_implILNS1_25lookback_scan_determinismE0ELb1ES3_N6thrust23THRUST_200600_302600_NS6detail15normal_iteratorINS9_10device_ptrIiEEEENSB_INSC_IdEEEESG_dNS9_4plusIvEENS9_8equal_toIvEEdEE10hipError_tPvRmT2_T3_T4_T5_mT6_T7_P12ihipStream_tbENKUlT_T0_E_clISt17integral_constantIbLb0EES10_IbLb1EEEEDaSW_SX_EUlSW_E_NS1_11comp_targetILNS1_3genE3ELNS1_11target_archE908ELNS1_3gpuE7ELNS1_3repE0EEENS1_30default_config_static_selectorELNS0_4arch9wavefront6targetE1EEEvT1_,comdat
.Lfunc_end1422:
	.size	_ZN7rocprim17ROCPRIM_400000_NS6detail17trampoline_kernelINS0_14default_configENS1_27scan_by_key_config_selectorIidEEZZNS1_16scan_by_key_implILNS1_25lookback_scan_determinismE0ELb1ES3_N6thrust23THRUST_200600_302600_NS6detail15normal_iteratorINS9_10device_ptrIiEEEENSB_INSC_IdEEEESG_dNS9_4plusIvEENS9_8equal_toIvEEdEE10hipError_tPvRmT2_T3_T4_T5_mT6_T7_P12ihipStream_tbENKUlT_T0_E_clISt17integral_constantIbLb0EES10_IbLb1EEEEDaSW_SX_EUlSW_E_NS1_11comp_targetILNS1_3genE3ELNS1_11target_archE908ELNS1_3gpuE7ELNS1_3repE0EEENS1_30default_config_static_selectorELNS0_4arch9wavefront6targetE1EEEvT1_, .Lfunc_end1422-_ZN7rocprim17ROCPRIM_400000_NS6detail17trampoline_kernelINS0_14default_configENS1_27scan_by_key_config_selectorIidEEZZNS1_16scan_by_key_implILNS1_25lookback_scan_determinismE0ELb1ES3_N6thrust23THRUST_200600_302600_NS6detail15normal_iteratorINS9_10device_ptrIiEEEENSB_INSC_IdEEEESG_dNS9_4plusIvEENS9_8equal_toIvEEdEE10hipError_tPvRmT2_T3_T4_T5_mT6_T7_P12ihipStream_tbENKUlT_T0_E_clISt17integral_constantIbLb0EES10_IbLb1EEEEDaSW_SX_EUlSW_E_NS1_11comp_targetILNS1_3genE3ELNS1_11target_archE908ELNS1_3gpuE7ELNS1_3repE0EEENS1_30default_config_static_selectorELNS0_4arch9wavefront6targetE1EEEvT1_
                                        ; -- End function
	.section	.AMDGPU.csdata,"",@progbits
; Kernel info:
; codeLenInByte = 0
; NumSgprs: 4
; NumVgprs: 0
; NumAgprs: 0
; TotalNumVgprs: 0
; ScratchSize: 0
; MemoryBound: 0
; FloatMode: 240
; IeeeMode: 1
; LDSByteSize: 0 bytes/workgroup (compile time only)
; SGPRBlocks: 0
; VGPRBlocks: 0
; NumSGPRsForWavesPerEU: 4
; NumVGPRsForWavesPerEU: 1
; AccumOffset: 4
; Occupancy: 8
; WaveLimiterHint : 0
; COMPUTE_PGM_RSRC2:SCRATCH_EN: 0
; COMPUTE_PGM_RSRC2:USER_SGPR: 6
; COMPUTE_PGM_RSRC2:TRAP_HANDLER: 0
; COMPUTE_PGM_RSRC2:TGID_X_EN: 1
; COMPUTE_PGM_RSRC2:TGID_Y_EN: 0
; COMPUTE_PGM_RSRC2:TGID_Z_EN: 0
; COMPUTE_PGM_RSRC2:TIDIG_COMP_CNT: 0
; COMPUTE_PGM_RSRC3_GFX90A:ACCUM_OFFSET: 0
; COMPUTE_PGM_RSRC3_GFX90A:TG_SPLIT: 0
	.section	.text._ZN7rocprim17ROCPRIM_400000_NS6detail17trampoline_kernelINS0_14default_configENS1_27scan_by_key_config_selectorIidEEZZNS1_16scan_by_key_implILNS1_25lookback_scan_determinismE0ELb1ES3_N6thrust23THRUST_200600_302600_NS6detail15normal_iteratorINS9_10device_ptrIiEEEENSB_INSC_IdEEEESG_dNS9_4plusIvEENS9_8equal_toIvEEdEE10hipError_tPvRmT2_T3_T4_T5_mT6_T7_P12ihipStream_tbENKUlT_T0_E_clISt17integral_constantIbLb0EES10_IbLb1EEEEDaSW_SX_EUlSW_E_NS1_11comp_targetILNS1_3genE2ELNS1_11target_archE906ELNS1_3gpuE6ELNS1_3repE0EEENS1_30default_config_static_selectorELNS0_4arch9wavefront6targetE1EEEvT1_,"axG",@progbits,_ZN7rocprim17ROCPRIM_400000_NS6detail17trampoline_kernelINS0_14default_configENS1_27scan_by_key_config_selectorIidEEZZNS1_16scan_by_key_implILNS1_25lookback_scan_determinismE0ELb1ES3_N6thrust23THRUST_200600_302600_NS6detail15normal_iteratorINS9_10device_ptrIiEEEENSB_INSC_IdEEEESG_dNS9_4plusIvEENS9_8equal_toIvEEdEE10hipError_tPvRmT2_T3_T4_T5_mT6_T7_P12ihipStream_tbENKUlT_T0_E_clISt17integral_constantIbLb0EES10_IbLb1EEEEDaSW_SX_EUlSW_E_NS1_11comp_targetILNS1_3genE2ELNS1_11target_archE906ELNS1_3gpuE6ELNS1_3repE0EEENS1_30default_config_static_selectorELNS0_4arch9wavefront6targetE1EEEvT1_,comdat
	.protected	_ZN7rocprim17ROCPRIM_400000_NS6detail17trampoline_kernelINS0_14default_configENS1_27scan_by_key_config_selectorIidEEZZNS1_16scan_by_key_implILNS1_25lookback_scan_determinismE0ELb1ES3_N6thrust23THRUST_200600_302600_NS6detail15normal_iteratorINS9_10device_ptrIiEEEENSB_INSC_IdEEEESG_dNS9_4plusIvEENS9_8equal_toIvEEdEE10hipError_tPvRmT2_T3_T4_T5_mT6_T7_P12ihipStream_tbENKUlT_T0_E_clISt17integral_constantIbLb0EES10_IbLb1EEEEDaSW_SX_EUlSW_E_NS1_11comp_targetILNS1_3genE2ELNS1_11target_archE906ELNS1_3gpuE6ELNS1_3repE0EEENS1_30default_config_static_selectorELNS0_4arch9wavefront6targetE1EEEvT1_ ; -- Begin function _ZN7rocprim17ROCPRIM_400000_NS6detail17trampoline_kernelINS0_14default_configENS1_27scan_by_key_config_selectorIidEEZZNS1_16scan_by_key_implILNS1_25lookback_scan_determinismE0ELb1ES3_N6thrust23THRUST_200600_302600_NS6detail15normal_iteratorINS9_10device_ptrIiEEEENSB_INSC_IdEEEESG_dNS9_4plusIvEENS9_8equal_toIvEEdEE10hipError_tPvRmT2_T3_T4_T5_mT6_T7_P12ihipStream_tbENKUlT_T0_E_clISt17integral_constantIbLb0EES10_IbLb1EEEEDaSW_SX_EUlSW_E_NS1_11comp_targetILNS1_3genE2ELNS1_11target_archE906ELNS1_3gpuE6ELNS1_3repE0EEENS1_30default_config_static_selectorELNS0_4arch9wavefront6targetE1EEEvT1_
	.globl	_ZN7rocprim17ROCPRIM_400000_NS6detail17trampoline_kernelINS0_14default_configENS1_27scan_by_key_config_selectorIidEEZZNS1_16scan_by_key_implILNS1_25lookback_scan_determinismE0ELb1ES3_N6thrust23THRUST_200600_302600_NS6detail15normal_iteratorINS9_10device_ptrIiEEEENSB_INSC_IdEEEESG_dNS9_4plusIvEENS9_8equal_toIvEEdEE10hipError_tPvRmT2_T3_T4_T5_mT6_T7_P12ihipStream_tbENKUlT_T0_E_clISt17integral_constantIbLb0EES10_IbLb1EEEEDaSW_SX_EUlSW_E_NS1_11comp_targetILNS1_3genE2ELNS1_11target_archE906ELNS1_3gpuE6ELNS1_3repE0EEENS1_30default_config_static_selectorELNS0_4arch9wavefront6targetE1EEEvT1_
	.p2align	8
	.type	_ZN7rocprim17ROCPRIM_400000_NS6detail17trampoline_kernelINS0_14default_configENS1_27scan_by_key_config_selectorIidEEZZNS1_16scan_by_key_implILNS1_25lookback_scan_determinismE0ELb1ES3_N6thrust23THRUST_200600_302600_NS6detail15normal_iteratorINS9_10device_ptrIiEEEENSB_INSC_IdEEEESG_dNS9_4plusIvEENS9_8equal_toIvEEdEE10hipError_tPvRmT2_T3_T4_T5_mT6_T7_P12ihipStream_tbENKUlT_T0_E_clISt17integral_constantIbLb0EES10_IbLb1EEEEDaSW_SX_EUlSW_E_NS1_11comp_targetILNS1_3genE2ELNS1_11target_archE906ELNS1_3gpuE6ELNS1_3repE0EEENS1_30default_config_static_selectorELNS0_4arch9wavefront6targetE1EEEvT1_,@function
_ZN7rocprim17ROCPRIM_400000_NS6detail17trampoline_kernelINS0_14default_configENS1_27scan_by_key_config_selectorIidEEZZNS1_16scan_by_key_implILNS1_25lookback_scan_determinismE0ELb1ES3_N6thrust23THRUST_200600_302600_NS6detail15normal_iteratorINS9_10device_ptrIiEEEENSB_INSC_IdEEEESG_dNS9_4plusIvEENS9_8equal_toIvEEdEE10hipError_tPvRmT2_T3_T4_T5_mT6_T7_P12ihipStream_tbENKUlT_T0_E_clISt17integral_constantIbLb0EES10_IbLb1EEEEDaSW_SX_EUlSW_E_NS1_11comp_targetILNS1_3genE2ELNS1_11target_archE906ELNS1_3gpuE6ELNS1_3repE0EEENS1_30default_config_static_selectorELNS0_4arch9wavefront6targetE1EEEvT1_: ; @_ZN7rocprim17ROCPRIM_400000_NS6detail17trampoline_kernelINS0_14default_configENS1_27scan_by_key_config_selectorIidEEZZNS1_16scan_by_key_implILNS1_25lookback_scan_determinismE0ELb1ES3_N6thrust23THRUST_200600_302600_NS6detail15normal_iteratorINS9_10device_ptrIiEEEENSB_INSC_IdEEEESG_dNS9_4plusIvEENS9_8equal_toIvEEdEE10hipError_tPvRmT2_T3_T4_T5_mT6_T7_P12ihipStream_tbENKUlT_T0_E_clISt17integral_constantIbLb0EES10_IbLb1EEEEDaSW_SX_EUlSW_E_NS1_11comp_targetILNS1_3genE2ELNS1_11target_archE906ELNS1_3gpuE6ELNS1_3repE0EEENS1_30default_config_static_selectorELNS0_4arch9wavefront6targetE1EEEvT1_
; %bb.0:
	.section	.rodata,"a",@progbits
	.p2align	6, 0x0
	.amdhsa_kernel _ZN7rocprim17ROCPRIM_400000_NS6detail17trampoline_kernelINS0_14default_configENS1_27scan_by_key_config_selectorIidEEZZNS1_16scan_by_key_implILNS1_25lookback_scan_determinismE0ELb1ES3_N6thrust23THRUST_200600_302600_NS6detail15normal_iteratorINS9_10device_ptrIiEEEENSB_INSC_IdEEEESG_dNS9_4plusIvEENS9_8equal_toIvEEdEE10hipError_tPvRmT2_T3_T4_T5_mT6_T7_P12ihipStream_tbENKUlT_T0_E_clISt17integral_constantIbLb0EES10_IbLb1EEEEDaSW_SX_EUlSW_E_NS1_11comp_targetILNS1_3genE2ELNS1_11target_archE906ELNS1_3gpuE6ELNS1_3repE0EEENS1_30default_config_static_selectorELNS0_4arch9wavefront6targetE1EEEvT1_
		.amdhsa_group_segment_fixed_size 0
		.amdhsa_private_segment_fixed_size 0
		.amdhsa_kernarg_size 136
		.amdhsa_user_sgpr_count 6
		.amdhsa_user_sgpr_private_segment_buffer 1
		.amdhsa_user_sgpr_dispatch_ptr 0
		.amdhsa_user_sgpr_queue_ptr 0
		.amdhsa_user_sgpr_kernarg_segment_ptr 1
		.amdhsa_user_sgpr_dispatch_id 0
		.amdhsa_user_sgpr_flat_scratch_init 0
		.amdhsa_user_sgpr_kernarg_preload_length 0
		.amdhsa_user_sgpr_kernarg_preload_offset 0
		.amdhsa_user_sgpr_private_segment_size 0
		.amdhsa_uses_dynamic_stack 0
		.amdhsa_system_sgpr_private_segment_wavefront_offset 0
		.amdhsa_system_sgpr_workgroup_id_x 1
		.amdhsa_system_sgpr_workgroup_id_y 0
		.amdhsa_system_sgpr_workgroup_id_z 0
		.amdhsa_system_sgpr_workgroup_info 0
		.amdhsa_system_vgpr_workitem_id 0
		.amdhsa_next_free_vgpr 1
		.amdhsa_next_free_sgpr 0
		.amdhsa_accum_offset 4
		.amdhsa_reserve_vcc 0
		.amdhsa_reserve_flat_scratch 0
		.amdhsa_float_round_mode_32 0
		.amdhsa_float_round_mode_16_64 0
		.amdhsa_float_denorm_mode_32 3
		.amdhsa_float_denorm_mode_16_64 3
		.amdhsa_dx10_clamp 1
		.amdhsa_ieee_mode 1
		.amdhsa_fp16_overflow 0
		.amdhsa_tg_split 0
		.amdhsa_exception_fp_ieee_invalid_op 0
		.amdhsa_exception_fp_denorm_src 0
		.amdhsa_exception_fp_ieee_div_zero 0
		.amdhsa_exception_fp_ieee_overflow 0
		.amdhsa_exception_fp_ieee_underflow 0
		.amdhsa_exception_fp_ieee_inexact 0
		.amdhsa_exception_int_div_zero 0
	.end_amdhsa_kernel
	.section	.text._ZN7rocprim17ROCPRIM_400000_NS6detail17trampoline_kernelINS0_14default_configENS1_27scan_by_key_config_selectorIidEEZZNS1_16scan_by_key_implILNS1_25lookback_scan_determinismE0ELb1ES3_N6thrust23THRUST_200600_302600_NS6detail15normal_iteratorINS9_10device_ptrIiEEEENSB_INSC_IdEEEESG_dNS9_4plusIvEENS9_8equal_toIvEEdEE10hipError_tPvRmT2_T3_T4_T5_mT6_T7_P12ihipStream_tbENKUlT_T0_E_clISt17integral_constantIbLb0EES10_IbLb1EEEEDaSW_SX_EUlSW_E_NS1_11comp_targetILNS1_3genE2ELNS1_11target_archE906ELNS1_3gpuE6ELNS1_3repE0EEENS1_30default_config_static_selectorELNS0_4arch9wavefront6targetE1EEEvT1_,"axG",@progbits,_ZN7rocprim17ROCPRIM_400000_NS6detail17trampoline_kernelINS0_14default_configENS1_27scan_by_key_config_selectorIidEEZZNS1_16scan_by_key_implILNS1_25lookback_scan_determinismE0ELb1ES3_N6thrust23THRUST_200600_302600_NS6detail15normal_iteratorINS9_10device_ptrIiEEEENSB_INSC_IdEEEESG_dNS9_4plusIvEENS9_8equal_toIvEEdEE10hipError_tPvRmT2_T3_T4_T5_mT6_T7_P12ihipStream_tbENKUlT_T0_E_clISt17integral_constantIbLb0EES10_IbLb1EEEEDaSW_SX_EUlSW_E_NS1_11comp_targetILNS1_3genE2ELNS1_11target_archE906ELNS1_3gpuE6ELNS1_3repE0EEENS1_30default_config_static_selectorELNS0_4arch9wavefront6targetE1EEEvT1_,comdat
.Lfunc_end1423:
	.size	_ZN7rocprim17ROCPRIM_400000_NS6detail17trampoline_kernelINS0_14default_configENS1_27scan_by_key_config_selectorIidEEZZNS1_16scan_by_key_implILNS1_25lookback_scan_determinismE0ELb1ES3_N6thrust23THRUST_200600_302600_NS6detail15normal_iteratorINS9_10device_ptrIiEEEENSB_INSC_IdEEEESG_dNS9_4plusIvEENS9_8equal_toIvEEdEE10hipError_tPvRmT2_T3_T4_T5_mT6_T7_P12ihipStream_tbENKUlT_T0_E_clISt17integral_constantIbLb0EES10_IbLb1EEEEDaSW_SX_EUlSW_E_NS1_11comp_targetILNS1_3genE2ELNS1_11target_archE906ELNS1_3gpuE6ELNS1_3repE0EEENS1_30default_config_static_selectorELNS0_4arch9wavefront6targetE1EEEvT1_, .Lfunc_end1423-_ZN7rocprim17ROCPRIM_400000_NS6detail17trampoline_kernelINS0_14default_configENS1_27scan_by_key_config_selectorIidEEZZNS1_16scan_by_key_implILNS1_25lookback_scan_determinismE0ELb1ES3_N6thrust23THRUST_200600_302600_NS6detail15normal_iteratorINS9_10device_ptrIiEEEENSB_INSC_IdEEEESG_dNS9_4plusIvEENS9_8equal_toIvEEdEE10hipError_tPvRmT2_T3_T4_T5_mT6_T7_P12ihipStream_tbENKUlT_T0_E_clISt17integral_constantIbLb0EES10_IbLb1EEEEDaSW_SX_EUlSW_E_NS1_11comp_targetILNS1_3genE2ELNS1_11target_archE906ELNS1_3gpuE6ELNS1_3repE0EEENS1_30default_config_static_selectorELNS0_4arch9wavefront6targetE1EEEvT1_
                                        ; -- End function
	.section	.AMDGPU.csdata,"",@progbits
; Kernel info:
; codeLenInByte = 0
; NumSgprs: 4
; NumVgprs: 0
; NumAgprs: 0
; TotalNumVgprs: 0
; ScratchSize: 0
; MemoryBound: 0
; FloatMode: 240
; IeeeMode: 1
; LDSByteSize: 0 bytes/workgroup (compile time only)
; SGPRBlocks: 0
; VGPRBlocks: 0
; NumSGPRsForWavesPerEU: 4
; NumVGPRsForWavesPerEU: 1
; AccumOffset: 4
; Occupancy: 8
; WaveLimiterHint : 0
; COMPUTE_PGM_RSRC2:SCRATCH_EN: 0
; COMPUTE_PGM_RSRC2:USER_SGPR: 6
; COMPUTE_PGM_RSRC2:TRAP_HANDLER: 0
; COMPUTE_PGM_RSRC2:TGID_X_EN: 1
; COMPUTE_PGM_RSRC2:TGID_Y_EN: 0
; COMPUTE_PGM_RSRC2:TGID_Z_EN: 0
; COMPUTE_PGM_RSRC2:TIDIG_COMP_CNT: 0
; COMPUTE_PGM_RSRC3_GFX90A:ACCUM_OFFSET: 0
; COMPUTE_PGM_RSRC3_GFX90A:TG_SPLIT: 0
	.section	.text._ZN7rocprim17ROCPRIM_400000_NS6detail17trampoline_kernelINS0_14default_configENS1_27scan_by_key_config_selectorIidEEZZNS1_16scan_by_key_implILNS1_25lookback_scan_determinismE0ELb1ES3_N6thrust23THRUST_200600_302600_NS6detail15normal_iteratorINS9_10device_ptrIiEEEENSB_INSC_IdEEEESG_dNS9_4plusIvEENS9_8equal_toIvEEdEE10hipError_tPvRmT2_T3_T4_T5_mT6_T7_P12ihipStream_tbENKUlT_T0_E_clISt17integral_constantIbLb0EES10_IbLb1EEEEDaSW_SX_EUlSW_E_NS1_11comp_targetILNS1_3genE10ELNS1_11target_archE1200ELNS1_3gpuE4ELNS1_3repE0EEENS1_30default_config_static_selectorELNS0_4arch9wavefront6targetE1EEEvT1_,"axG",@progbits,_ZN7rocprim17ROCPRIM_400000_NS6detail17trampoline_kernelINS0_14default_configENS1_27scan_by_key_config_selectorIidEEZZNS1_16scan_by_key_implILNS1_25lookback_scan_determinismE0ELb1ES3_N6thrust23THRUST_200600_302600_NS6detail15normal_iteratorINS9_10device_ptrIiEEEENSB_INSC_IdEEEESG_dNS9_4plusIvEENS9_8equal_toIvEEdEE10hipError_tPvRmT2_T3_T4_T5_mT6_T7_P12ihipStream_tbENKUlT_T0_E_clISt17integral_constantIbLb0EES10_IbLb1EEEEDaSW_SX_EUlSW_E_NS1_11comp_targetILNS1_3genE10ELNS1_11target_archE1200ELNS1_3gpuE4ELNS1_3repE0EEENS1_30default_config_static_selectorELNS0_4arch9wavefront6targetE1EEEvT1_,comdat
	.protected	_ZN7rocprim17ROCPRIM_400000_NS6detail17trampoline_kernelINS0_14default_configENS1_27scan_by_key_config_selectorIidEEZZNS1_16scan_by_key_implILNS1_25lookback_scan_determinismE0ELb1ES3_N6thrust23THRUST_200600_302600_NS6detail15normal_iteratorINS9_10device_ptrIiEEEENSB_INSC_IdEEEESG_dNS9_4plusIvEENS9_8equal_toIvEEdEE10hipError_tPvRmT2_T3_T4_T5_mT6_T7_P12ihipStream_tbENKUlT_T0_E_clISt17integral_constantIbLb0EES10_IbLb1EEEEDaSW_SX_EUlSW_E_NS1_11comp_targetILNS1_3genE10ELNS1_11target_archE1200ELNS1_3gpuE4ELNS1_3repE0EEENS1_30default_config_static_selectorELNS0_4arch9wavefront6targetE1EEEvT1_ ; -- Begin function _ZN7rocprim17ROCPRIM_400000_NS6detail17trampoline_kernelINS0_14default_configENS1_27scan_by_key_config_selectorIidEEZZNS1_16scan_by_key_implILNS1_25lookback_scan_determinismE0ELb1ES3_N6thrust23THRUST_200600_302600_NS6detail15normal_iteratorINS9_10device_ptrIiEEEENSB_INSC_IdEEEESG_dNS9_4plusIvEENS9_8equal_toIvEEdEE10hipError_tPvRmT2_T3_T4_T5_mT6_T7_P12ihipStream_tbENKUlT_T0_E_clISt17integral_constantIbLb0EES10_IbLb1EEEEDaSW_SX_EUlSW_E_NS1_11comp_targetILNS1_3genE10ELNS1_11target_archE1200ELNS1_3gpuE4ELNS1_3repE0EEENS1_30default_config_static_selectorELNS0_4arch9wavefront6targetE1EEEvT1_
	.globl	_ZN7rocprim17ROCPRIM_400000_NS6detail17trampoline_kernelINS0_14default_configENS1_27scan_by_key_config_selectorIidEEZZNS1_16scan_by_key_implILNS1_25lookback_scan_determinismE0ELb1ES3_N6thrust23THRUST_200600_302600_NS6detail15normal_iteratorINS9_10device_ptrIiEEEENSB_INSC_IdEEEESG_dNS9_4plusIvEENS9_8equal_toIvEEdEE10hipError_tPvRmT2_T3_T4_T5_mT6_T7_P12ihipStream_tbENKUlT_T0_E_clISt17integral_constantIbLb0EES10_IbLb1EEEEDaSW_SX_EUlSW_E_NS1_11comp_targetILNS1_3genE10ELNS1_11target_archE1200ELNS1_3gpuE4ELNS1_3repE0EEENS1_30default_config_static_selectorELNS0_4arch9wavefront6targetE1EEEvT1_
	.p2align	8
	.type	_ZN7rocprim17ROCPRIM_400000_NS6detail17trampoline_kernelINS0_14default_configENS1_27scan_by_key_config_selectorIidEEZZNS1_16scan_by_key_implILNS1_25lookback_scan_determinismE0ELb1ES3_N6thrust23THRUST_200600_302600_NS6detail15normal_iteratorINS9_10device_ptrIiEEEENSB_INSC_IdEEEESG_dNS9_4plusIvEENS9_8equal_toIvEEdEE10hipError_tPvRmT2_T3_T4_T5_mT6_T7_P12ihipStream_tbENKUlT_T0_E_clISt17integral_constantIbLb0EES10_IbLb1EEEEDaSW_SX_EUlSW_E_NS1_11comp_targetILNS1_3genE10ELNS1_11target_archE1200ELNS1_3gpuE4ELNS1_3repE0EEENS1_30default_config_static_selectorELNS0_4arch9wavefront6targetE1EEEvT1_,@function
_ZN7rocprim17ROCPRIM_400000_NS6detail17trampoline_kernelINS0_14default_configENS1_27scan_by_key_config_selectorIidEEZZNS1_16scan_by_key_implILNS1_25lookback_scan_determinismE0ELb1ES3_N6thrust23THRUST_200600_302600_NS6detail15normal_iteratorINS9_10device_ptrIiEEEENSB_INSC_IdEEEESG_dNS9_4plusIvEENS9_8equal_toIvEEdEE10hipError_tPvRmT2_T3_T4_T5_mT6_T7_P12ihipStream_tbENKUlT_T0_E_clISt17integral_constantIbLb0EES10_IbLb1EEEEDaSW_SX_EUlSW_E_NS1_11comp_targetILNS1_3genE10ELNS1_11target_archE1200ELNS1_3gpuE4ELNS1_3repE0EEENS1_30default_config_static_selectorELNS0_4arch9wavefront6targetE1EEEvT1_: ; @_ZN7rocprim17ROCPRIM_400000_NS6detail17trampoline_kernelINS0_14default_configENS1_27scan_by_key_config_selectorIidEEZZNS1_16scan_by_key_implILNS1_25lookback_scan_determinismE0ELb1ES3_N6thrust23THRUST_200600_302600_NS6detail15normal_iteratorINS9_10device_ptrIiEEEENSB_INSC_IdEEEESG_dNS9_4plusIvEENS9_8equal_toIvEEdEE10hipError_tPvRmT2_T3_T4_T5_mT6_T7_P12ihipStream_tbENKUlT_T0_E_clISt17integral_constantIbLb0EES10_IbLb1EEEEDaSW_SX_EUlSW_E_NS1_11comp_targetILNS1_3genE10ELNS1_11target_archE1200ELNS1_3gpuE4ELNS1_3repE0EEENS1_30default_config_static_selectorELNS0_4arch9wavefront6targetE1EEEvT1_
; %bb.0:
	.section	.rodata,"a",@progbits
	.p2align	6, 0x0
	.amdhsa_kernel _ZN7rocprim17ROCPRIM_400000_NS6detail17trampoline_kernelINS0_14default_configENS1_27scan_by_key_config_selectorIidEEZZNS1_16scan_by_key_implILNS1_25lookback_scan_determinismE0ELb1ES3_N6thrust23THRUST_200600_302600_NS6detail15normal_iteratorINS9_10device_ptrIiEEEENSB_INSC_IdEEEESG_dNS9_4plusIvEENS9_8equal_toIvEEdEE10hipError_tPvRmT2_T3_T4_T5_mT6_T7_P12ihipStream_tbENKUlT_T0_E_clISt17integral_constantIbLb0EES10_IbLb1EEEEDaSW_SX_EUlSW_E_NS1_11comp_targetILNS1_3genE10ELNS1_11target_archE1200ELNS1_3gpuE4ELNS1_3repE0EEENS1_30default_config_static_selectorELNS0_4arch9wavefront6targetE1EEEvT1_
		.amdhsa_group_segment_fixed_size 0
		.amdhsa_private_segment_fixed_size 0
		.amdhsa_kernarg_size 136
		.amdhsa_user_sgpr_count 6
		.amdhsa_user_sgpr_private_segment_buffer 1
		.amdhsa_user_sgpr_dispatch_ptr 0
		.amdhsa_user_sgpr_queue_ptr 0
		.amdhsa_user_sgpr_kernarg_segment_ptr 1
		.amdhsa_user_sgpr_dispatch_id 0
		.amdhsa_user_sgpr_flat_scratch_init 0
		.amdhsa_user_sgpr_kernarg_preload_length 0
		.amdhsa_user_sgpr_kernarg_preload_offset 0
		.amdhsa_user_sgpr_private_segment_size 0
		.amdhsa_uses_dynamic_stack 0
		.amdhsa_system_sgpr_private_segment_wavefront_offset 0
		.amdhsa_system_sgpr_workgroup_id_x 1
		.amdhsa_system_sgpr_workgroup_id_y 0
		.amdhsa_system_sgpr_workgroup_id_z 0
		.amdhsa_system_sgpr_workgroup_info 0
		.amdhsa_system_vgpr_workitem_id 0
		.amdhsa_next_free_vgpr 1
		.amdhsa_next_free_sgpr 0
		.amdhsa_accum_offset 4
		.amdhsa_reserve_vcc 0
		.amdhsa_reserve_flat_scratch 0
		.amdhsa_float_round_mode_32 0
		.amdhsa_float_round_mode_16_64 0
		.amdhsa_float_denorm_mode_32 3
		.amdhsa_float_denorm_mode_16_64 3
		.amdhsa_dx10_clamp 1
		.amdhsa_ieee_mode 1
		.amdhsa_fp16_overflow 0
		.amdhsa_tg_split 0
		.amdhsa_exception_fp_ieee_invalid_op 0
		.amdhsa_exception_fp_denorm_src 0
		.amdhsa_exception_fp_ieee_div_zero 0
		.amdhsa_exception_fp_ieee_overflow 0
		.amdhsa_exception_fp_ieee_underflow 0
		.amdhsa_exception_fp_ieee_inexact 0
		.amdhsa_exception_int_div_zero 0
	.end_amdhsa_kernel
	.section	.text._ZN7rocprim17ROCPRIM_400000_NS6detail17trampoline_kernelINS0_14default_configENS1_27scan_by_key_config_selectorIidEEZZNS1_16scan_by_key_implILNS1_25lookback_scan_determinismE0ELb1ES3_N6thrust23THRUST_200600_302600_NS6detail15normal_iteratorINS9_10device_ptrIiEEEENSB_INSC_IdEEEESG_dNS9_4plusIvEENS9_8equal_toIvEEdEE10hipError_tPvRmT2_T3_T4_T5_mT6_T7_P12ihipStream_tbENKUlT_T0_E_clISt17integral_constantIbLb0EES10_IbLb1EEEEDaSW_SX_EUlSW_E_NS1_11comp_targetILNS1_3genE10ELNS1_11target_archE1200ELNS1_3gpuE4ELNS1_3repE0EEENS1_30default_config_static_selectorELNS0_4arch9wavefront6targetE1EEEvT1_,"axG",@progbits,_ZN7rocprim17ROCPRIM_400000_NS6detail17trampoline_kernelINS0_14default_configENS1_27scan_by_key_config_selectorIidEEZZNS1_16scan_by_key_implILNS1_25lookback_scan_determinismE0ELb1ES3_N6thrust23THRUST_200600_302600_NS6detail15normal_iteratorINS9_10device_ptrIiEEEENSB_INSC_IdEEEESG_dNS9_4plusIvEENS9_8equal_toIvEEdEE10hipError_tPvRmT2_T3_T4_T5_mT6_T7_P12ihipStream_tbENKUlT_T0_E_clISt17integral_constantIbLb0EES10_IbLb1EEEEDaSW_SX_EUlSW_E_NS1_11comp_targetILNS1_3genE10ELNS1_11target_archE1200ELNS1_3gpuE4ELNS1_3repE0EEENS1_30default_config_static_selectorELNS0_4arch9wavefront6targetE1EEEvT1_,comdat
.Lfunc_end1424:
	.size	_ZN7rocprim17ROCPRIM_400000_NS6detail17trampoline_kernelINS0_14default_configENS1_27scan_by_key_config_selectorIidEEZZNS1_16scan_by_key_implILNS1_25lookback_scan_determinismE0ELb1ES3_N6thrust23THRUST_200600_302600_NS6detail15normal_iteratorINS9_10device_ptrIiEEEENSB_INSC_IdEEEESG_dNS9_4plusIvEENS9_8equal_toIvEEdEE10hipError_tPvRmT2_T3_T4_T5_mT6_T7_P12ihipStream_tbENKUlT_T0_E_clISt17integral_constantIbLb0EES10_IbLb1EEEEDaSW_SX_EUlSW_E_NS1_11comp_targetILNS1_3genE10ELNS1_11target_archE1200ELNS1_3gpuE4ELNS1_3repE0EEENS1_30default_config_static_selectorELNS0_4arch9wavefront6targetE1EEEvT1_, .Lfunc_end1424-_ZN7rocprim17ROCPRIM_400000_NS6detail17trampoline_kernelINS0_14default_configENS1_27scan_by_key_config_selectorIidEEZZNS1_16scan_by_key_implILNS1_25lookback_scan_determinismE0ELb1ES3_N6thrust23THRUST_200600_302600_NS6detail15normal_iteratorINS9_10device_ptrIiEEEENSB_INSC_IdEEEESG_dNS9_4plusIvEENS9_8equal_toIvEEdEE10hipError_tPvRmT2_T3_T4_T5_mT6_T7_P12ihipStream_tbENKUlT_T0_E_clISt17integral_constantIbLb0EES10_IbLb1EEEEDaSW_SX_EUlSW_E_NS1_11comp_targetILNS1_3genE10ELNS1_11target_archE1200ELNS1_3gpuE4ELNS1_3repE0EEENS1_30default_config_static_selectorELNS0_4arch9wavefront6targetE1EEEvT1_
                                        ; -- End function
	.section	.AMDGPU.csdata,"",@progbits
; Kernel info:
; codeLenInByte = 0
; NumSgprs: 4
; NumVgprs: 0
; NumAgprs: 0
; TotalNumVgprs: 0
; ScratchSize: 0
; MemoryBound: 0
; FloatMode: 240
; IeeeMode: 1
; LDSByteSize: 0 bytes/workgroup (compile time only)
; SGPRBlocks: 0
; VGPRBlocks: 0
; NumSGPRsForWavesPerEU: 4
; NumVGPRsForWavesPerEU: 1
; AccumOffset: 4
; Occupancy: 8
; WaveLimiterHint : 0
; COMPUTE_PGM_RSRC2:SCRATCH_EN: 0
; COMPUTE_PGM_RSRC2:USER_SGPR: 6
; COMPUTE_PGM_RSRC2:TRAP_HANDLER: 0
; COMPUTE_PGM_RSRC2:TGID_X_EN: 1
; COMPUTE_PGM_RSRC2:TGID_Y_EN: 0
; COMPUTE_PGM_RSRC2:TGID_Z_EN: 0
; COMPUTE_PGM_RSRC2:TIDIG_COMP_CNT: 0
; COMPUTE_PGM_RSRC3_GFX90A:ACCUM_OFFSET: 0
; COMPUTE_PGM_RSRC3_GFX90A:TG_SPLIT: 0
	.section	.text._ZN7rocprim17ROCPRIM_400000_NS6detail17trampoline_kernelINS0_14default_configENS1_27scan_by_key_config_selectorIidEEZZNS1_16scan_by_key_implILNS1_25lookback_scan_determinismE0ELb1ES3_N6thrust23THRUST_200600_302600_NS6detail15normal_iteratorINS9_10device_ptrIiEEEENSB_INSC_IdEEEESG_dNS9_4plusIvEENS9_8equal_toIvEEdEE10hipError_tPvRmT2_T3_T4_T5_mT6_T7_P12ihipStream_tbENKUlT_T0_E_clISt17integral_constantIbLb0EES10_IbLb1EEEEDaSW_SX_EUlSW_E_NS1_11comp_targetILNS1_3genE9ELNS1_11target_archE1100ELNS1_3gpuE3ELNS1_3repE0EEENS1_30default_config_static_selectorELNS0_4arch9wavefront6targetE1EEEvT1_,"axG",@progbits,_ZN7rocprim17ROCPRIM_400000_NS6detail17trampoline_kernelINS0_14default_configENS1_27scan_by_key_config_selectorIidEEZZNS1_16scan_by_key_implILNS1_25lookback_scan_determinismE0ELb1ES3_N6thrust23THRUST_200600_302600_NS6detail15normal_iteratorINS9_10device_ptrIiEEEENSB_INSC_IdEEEESG_dNS9_4plusIvEENS9_8equal_toIvEEdEE10hipError_tPvRmT2_T3_T4_T5_mT6_T7_P12ihipStream_tbENKUlT_T0_E_clISt17integral_constantIbLb0EES10_IbLb1EEEEDaSW_SX_EUlSW_E_NS1_11comp_targetILNS1_3genE9ELNS1_11target_archE1100ELNS1_3gpuE3ELNS1_3repE0EEENS1_30default_config_static_selectorELNS0_4arch9wavefront6targetE1EEEvT1_,comdat
	.protected	_ZN7rocprim17ROCPRIM_400000_NS6detail17trampoline_kernelINS0_14default_configENS1_27scan_by_key_config_selectorIidEEZZNS1_16scan_by_key_implILNS1_25lookback_scan_determinismE0ELb1ES3_N6thrust23THRUST_200600_302600_NS6detail15normal_iteratorINS9_10device_ptrIiEEEENSB_INSC_IdEEEESG_dNS9_4plusIvEENS9_8equal_toIvEEdEE10hipError_tPvRmT2_T3_T4_T5_mT6_T7_P12ihipStream_tbENKUlT_T0_E_clISt17integral_constantIbLb0EES10_IbLb1EEEEDaSW_SX_EUlSW_E_NS1_11comp_targetILNS1_3genE9ELNS1_11target_archE1100ELNS1_3gpuE3ELNS1_3repE0EEENS1_30default_config_static_selectorELNS0_4arch9wavefront6targetE1EEEvT1_ ; -- Begin function _ZN7rocprim17ROCPRIM_400000_NS6detail17trampoline_kernelINS0_14default_configENS1_27scan_by_key_config_selectorIidEEZZNS1_16scan_by_key_implILNS1_25lookback_scan_determinismE0ELb1ES3_N6thrust23THRUST_200600_302600_NS6detail15normal_iteratorINS9_10device_ptrIiEEEENSB_INSC_IdEEEESG_dNS9_4plusIvEENS9_8equal_toIvEEdEE10hipError_tPvRmT2_T3_T4_T5_mT6_T7_P12ihipStream_tbENKUlT_T0_E_clISt17integral_constantIbLb0EES10_IbLb1EEEEDaSW_SX_EUlSW_E_NS1_11comp_targetILNS1_3genE9ELNS1_11target_archE1100ELNS1_3gpuE3ELNS1_3repE0EEENS1_30default_config_static_selectorELNS0_4arch9wavefront6targetE1EEEvT1_
	.globl	_ZN7rocprim17ROCPRIM_400000_NS6detail17trampoline_kernelINS0_14default_configENS1_27scan_by_key_config_selectorIidEEZZNS1_16scan_by_key_implILNS1_25lookback_scan_determinismE0ELb1ES3_N6thrust23THRUST_200600_302600_NS6detail15normal_iteratorINS9_10device_ptrIiEEEENSB_INSC_IdEEEESG_dNS9_4plusIvEENS9_8equal_toIvEEdEE10hipError_tPvRmT2_T3_T4_T5_mT6_T7_P12ihipStream_tbENKUlT_T0_E_clISt17integral_constantIbLb0EES10_IbLb1EEEEDaSW_SX_EUlSW_E_NS1_11comp_targetILNS1_3genE9ELNS1_11target_archE1100ELNS1_3gpuE3ELNS1_3repE0EEENS1_30default_config_static_selectorELNS0_4arch9wavefront6targetE1EEEvT1_
	.p2align	8
	.type	_ZN7rocprim17ROCPRIM_400000_NS6detail17trampoline_kernelINS0_14default_configENS1_27scan_by_key_config_selectorIidEEZZNS1_16scan_by_key_implILNS1_25lookback_scan_determinismE0ELb1ES3_N6thrust23THRUST_200600_302600_NS6detail15normal_iteratorINS9_10device_ptrIiEEEENSB_INSC_IdEEEESG_dNS9_4plusIvEENS9_8equal_toIvEEdEE10hipError_tPvRmT2_T3_T4_T5_mT6_T7_P12ihipStream_tbENKUlT_T0_E_clISt17integral_constantIbLb0EES10_IbLb1EEEEDaSW_SX_EUlSW_E_NS1_11comp_targetILNS1_3genE9ELNS1_11target_archE1100ELNS1_3gpuE3ELNS1_3repE0EEENS1_30default_config_static_selectorELNS0_4arch9wavefront6targetE1EEEvT1_,@function
_ZN7rocprim17ROCPRIM_400000_NS6detail17trampoline_kernelINS0_14default_configENS1_27scan_by_key_config_selectorIidEEZZNS1_16scan_by_key_implILNS1_25lookback_scan_determinismE0ELb1ES3_N6thrust23THRUST_200600_302600_NS6detail15normal_iteratorINS9_10device_ptrIiEEEENSB_INSC_IdEEEESG_dNS9_4plusIvEENS9_8equal_toIvEEdEE10hipError_tPvRmT2_T3_T4_T5_mT6_T7_P12ihipStream_tbENKUlT_T0_E_clISt17integral_constantIbLb0EES10_IbLb1EEEEDaSW_SX_EUlSW_E_NS1_11comp_targetILNS1_3genE9ELNS1_11target_archE1100ELNS1_3gpuE3ELNS1_3repE0EEENS1_30default_config_static_selectorELNS0_4arch9wavefront6targetE1EEEvT1_: ; @_ZN7rocprim17ROCPRIM_400000_NS6detail17trampoline_kernelINS0_14default_configENS1_27scan_by_key_config_selectorIidEEZZNS1_16scan_by_key_implILNS1_25lookback_scan_determinismE0ELb1ES3_N6thrust23THRUST_200600_302600_NS6detail15normal_iteratorINS9_10device_ptrIiEEEENSB_INSC_IdEEEESG_dNS9_4plusIvEENS9_8equal_toIvEEdEE10hipError_tPvRmT2_T3_T4_T5_mT6_T7_P12ihipStream_tbENKUlT_T0_E_clISt17integral_constantIbLb0EES10_IbLb1EEEEDaSW_SX_EUlSW_E_NS1_11comp_targetILNS1_3genE9ELNS1_11target_archE1100ELNS1_3gpuE3ELNS1_3repE0EEENS1_30default_config_static_selectorELNS0_4arch9wavefront6targetE1EEEvT1_
; %bb.0:
	.section	.rodata,"a",@progbits
	.p2align	6, 0x0
	.amdhsa_kernel _ZN7rocprim17ROCPRIM_400000_NS6detail17trampoline_kernelINS0_14default_configENS1_27scan_by_key_config_selectorIidEEZZNS1_16scan_by_key_implILNS1_25lookback_scan_determinismE0ELb1ES3_N6thrust23THRUST_200600_302600_NS6detail15normal_iteratorINS9_10device_ptrIiEEEENSB_INSC_IdEEEESG_dNS9_4plusIvEENS9_8equal_toIvEEdEE10hipError_tPvRmT2_T3_T4_T5_mT6_T7_P12ihipStream_tbENKUlT_T0_E_clISt17integral_constantIbLb0EES10_IbLb1EEEEDaSW_SX_EUlSW_E_NS1_11comp_targetILNS1_3genE9ELNS1_11target_archE1100ELNS1_3gpuE3ELNS1_3repE0EEENS1_30default_config_static_selectorELNS0_4arch9wavefront6targetE1EEEvT1_
		.amdhsa_group_segment_fixed_size 0
		.amdhsa_private_segment_fixed_size 0
		.amdhsa_kernarg_size 136
		.amdhsa_user_sgpr_count 6
		.amdhsa_user_sgpr_private_segment_buffer 1
		.amdhsa_user_sgpr_dispatch_ptr 0
		.amdhsa_user_sgpr_queue_ptr 0
		.amdhsa_user_sgpr_kernarg_segment_ptr 1
		.amdhsa_user_sgpr_dispatch_id 0
		.amdhsa_user_sgpr_flat_scratch_init 0
		.amdhsa_user_sgpr_kernarg_preload_length 0
		.amdhsa_user_sgpr_kernarg_preload_offset 0
		.amdhsa_user_sgpr_private_segment_size 0
		.amdhsa_uses_dynamic_stack 0
		.amdhsa_system_sgpr_private_segment_wavefront_offset 0
		.amdhsa_system_sgpr_workgroup_id_x 1
		.amdhsa_system_sgpr_workgroup_id_y 0
		.amdhsa_system_sgpr_workgroup_id_z 0
		.amdhsa_system_sgpr_workgroup_info 0
		.amdhsa_system_vgpr_workitem_id 0
		.amdhsa_next_free_vgpr 1
		.amdhsa_next_free_sgpr 0
		.amdhsa_accum_offset 4
		.amdhsa_reserve_vcc 0
		.amdhsa_reserve_flat_scratch 0
		.amdhsa_float_round_mode_32 0
		.amdhsa_float_round_mode_16_64 0
		.amdhsa_float_denorm_mode_32 3
		.amdhsa_float_denorm_mode_16_64 3
		.amdhsa_dx10_clamp 1
		.amdhsa_ieee_mode 1
		.amdhsa_fp16_overflow 0
		.amdhsa_tg_split 0
		.amdhsa_exception_fp_ieee_invalid_op 0
		.amdhsa_exception_fp_denorm_src 0
		.amdhsa_exception_fp_ieee_div_zero 0
		.amdhsa_exception_fp_ieee_overflow 0
		.amdhsa_exception_fp_ieee_underflow 0
		.amdhsa_exception_fp_ieee_inexact 0
		.amdhsa_exception_int_div_zero 0
	.end_amdhsa_kernel
	.section	.text._ZN7rocprim17ROCPRIM_400000_NS6detail17trampoline_kernelINS0_14default_configENS1_27scan_by_key_config_selectorIidEEZZNS1_16scan_by_key_implILNS1_25lookback_scan_determinismE0ELb1ES3_N6thrust23THRUST_200600_302600_NS6detail15normal_iteratorINS9_10device_ptrIiEEEENSB_INSC_IdEEEESG_dNS9_4plusIvEENS9_8equal_toIvEEdEE10hipError_tPvRmT2_T3_T4_T5_mT6_T7_P12ihipStream_tbENKUlT_T0_E_clISt17integral_constantIbLb0EES10_IbLb1EEEEDaSW_SX_EUlSW_E_NS1_11comp_targetILNS1_3genE9ELNS1_11target_archE1100ELNS1_3gpuE3ELNS1_3repE0EEENS1_30default_config_static_selectorELNS0_4arch9wavefront6targetE1EEEvT1_,"axG",@progbits,_ZN7rocprim17ROCPRIM_400000_NS6detail17trampoline_kernelINS0_14default_configENS1_27scan_by_key_config_selectorIidEEZZNS1_16scan_by_key_implILNS1_25lookback_scan_determinismE0ELb1ES3_N6thrust23THRUST_200600_302600_NS6detail15normal_iteratorINS9_10device_ptrIiEEEENSB_INSC_IdEEEESG_dNS9_4plusIvEENS9_8equal_toIvEEdEE10hipError_tPvRmT2_T3_T4_T5_mT6_T7_P12ihipStream_tbENKUlT_T0_E_clISt17integral_constantIbLb0EES10_IbLb1EEEEDaSW_SX_EUlSW_E_NS1_11comp_targetILNS1_3genE9ELNS1_11target_archE1100ELNS1_3gpuE3ELNS1_3repE0EEENS1_30default_config_static_selectorELNS0_4arch9wavefront6targetE1EEEvT1_,comdat
.Lfunc_end1425:
	.size	_ZN7rocprim17ROCPRIM_400000_NS6detail17trampoline_kernelINS0_14default_configENS1_27scan_by_key_config_selectorIidEEZZNS1_16scan_by_key_implILNS1_25lookback_scan_determinismE0ELb1ES3_N6thrust23THRUST_200600_302600_NS6detail15normal_iteratorINS9_10device_ptrIiEEEENSB_INSC_IdEEEESG_dNS9_4plusIvEENS9_8equal_toIvEEdEE10hipError_tPvRmT2_T3_T4_T5_mT6_T7_P12ihipStream_tbENKUlT_T0_E_clISt17integral_constantIbLb0EES10_IbLb1EEEEDaSW_SX_EUlSW_E_NS1_11comp_targetILNS1_3genE9ELNS1_11target_archE1100ELNS1_3gpuE3ELNS1_3repE0EEENS1_30default_config_static_selectorELNS0_4arch9wavefront6targetE1EEEvT1_, .Lfunc_end1425-_ZN7rocprim17ROCPRIM_400000_NS6detail17trampoline_kernelINS0_14default_configENS1_27scan_by_key_config_selectorIidEEZZNS1_16scan_by_key_implILNS1_25lookback_scan_determinismE0ELb1ES3_N6thrust23THRUST_200600_302600_NS6detail15normal_iteratorINS9_10device_ptrIiEEEENSB_INSC_IdEEEESG_dNS9_4plusIvEENS9_8equal_toIvEEdEE10hipError_tPvRmT2_T3_T4_T5_mT6_T7_P12ihipStream_tbENKUlT_T0_E_clISt17integral_constantIbLb0EES10_IbLb1EEEEDaSW_SX_EUlSW_E_NS1_11comp_targetILNS1_3genE9ELNS1_11target_archE1100ELNS1_3gpuE3ELNS1_3repE0EEENS1_30default_config_static_selectorELNS0_4arch9wavefront6targetE1EEEvT1_
                                        ; -- End function
	.section	.AMDGPU.csdata,"",@progbits
; Kernel info:
; codeLenInByte = 0
; NumSgprs: 4
; NumVgprs: 0
; NumAgprs: 0
; TotalNumVgprs: 0
; ScratchSize: 0
; MemoryBound: 0
; FloatMode: 240
; IeeeMode: 1
; LDSByteSize: 0 bytes/workgroup (compile time only)
; SGPRBlocks: 0
; VGPRBlocks: 0
; NumSGPRsForWavesPerEU: 4
; NumVGPRsForWavesPerEU: 1
; AccumOffset: 4
; Occupancy: 8
; WaveLimiterHint : 0
; COMPUTE_PGM_RSRC2:SCRATCH_EN: 0
; COMPUTE_PGM_RSRC2:USER_SGPR: 6
; COMPUTE_PGM_RSRC2:TRAP_HANDLER: 0
; COMPUTE_PGM_RSRC2:TGID_X_EN: 1
; COMPUTE_PGM_RSRC2:TGID_Y_EN: 0
; COMPUTE_PGM_RSRC2:TGID_Z_EN: 0
; COMPUTE_PGM_RSRC2:TIDIG_COMP_CNT: 0
; COMPUTE_PGM_RSRC3_GFX90A:ACCUM_OFFSET: 0
; COMPUTE_PGM_RSRC3_GFX90A:TG_SPLIT: 0
	.section	.text._ZN7rocprim17ROCPRIM_400000_NS6detail17trampoline_kernelINS0_14default_configENS1_27scan_by_key_config_selectorIidEEZZNS1_16scan_by_key_implILNS1_25lookback_scan_determinismE0ELb1ES3_N6thrust23THRUST_200600_302600_NS6detail15normal_iteratorINS9_10device_ptrIiEEEENSB_INSC_IdEEEESG_dNS9_4plusIvEENS9_8equal_toIvEEdEE10hipError_tPvRmT2_T3_T4_T5_mT6_T7_P12ihipStream_tbENKUlT_T0_E_clISt17integral_constantIbLb0EES10_IbLb1EEEEDaSW_SX_EUlSW_E_NS1_11comp_targetILNS1_3genE8ELNS1_11target_archE1030ELNS1_3gpuE2ELNS1_3repE0EEENS1_30default_config_static_selectorELNS0_4arch9wavefront6targetE1EEEvT1_,"axG",@progbits,_ZN7rocprim17ROCPRIM_400000_NS6detail17trampoline_kernelINS0_14default_configENS1_27scan_by_key_config_selectorIidEEZZNS1_16scan_by_key_implILNS1_25lookback_scan_determinismE0ELb1ES3_N6thrust23THRUST_200600_302600_NS6detail15normal_iteratorINS9_10device_ptrIiEEEENSB_INSC_IdEEEESG_dNS9_4plusIvEENS9_8equal_toIvEEdEE10hipError_tPvRmT2_T3_T4_T5_mT6_T7_P12ihipStream_tbENKUlT_T0_E_clISt17integral_constantIbLb0EES10_IbLb1EEEEDaSW_SX_EUlSW_E_NS1_11comp_targetILNS1_3genE8ELNS1_11target_archE1030ELNS1_3gpuE2ELNS1_3repE0EEENS1_30default_config_static_selectorELNS0_4arch9wavefront6targetE1EEEvT1_,comdat
	.protected	_ZN7rocprim17ROCPRIM_400000_NS6detail17trampoline_kernelINS0_14default_configENS1_27scan_by_key_config_selectorIidEEZZNS1_16scan_by_key_implILNS1_25lookback_scan_determinismE0ELb1ES3_N6thrust23THRUST_200600_302600_NS6detail15normal_iteratorINS9_10device_ptrIiEEEENSB_INSC_IdEEEESG_dNS9_4plusIvEENS9_8equal_toIvEEdEE10hipError_tPvRmT2_T3_T4_T5_mT6_T7_P12ihipStream_tbENKUlT_T0_E_clISt17integral_constantIbLb0EES10_IbLb1EEEEDaSW_SX_EUlSW_E_NS1_11comp_targetILNS1_3genE8ELNS1_11target_archE1030ELNS1_3gpuE2ELNS1_3repE0EEENS1_30default_config_static_selectorELNS0_4arch9wavefront6targetE1EEEvT1_ ; -- Begin function _ZN7rocprim17ROCPRIM_400000_NS6detail17trampoline_kernelINS0_14default_configENS1_27scan_by_key_config_selectorIidEEZZNS1_16scan_by_key_implILNS1_25lookback_scan_determinismE0ELb1ES3_N6thrust23THRUST_200600_302600_NS6detail15normal_iteratorINS9_10device_ptrIiEEEENSB_INSC_IdEEEESG_dNS9_4plusIvEENS9_8equal_toIvEEdEE10hipError_tPvRmT2_T3_T4_T5_mT6_T7_P12ihipStream_tbENKUlT_T0_E_clISt17integral_constantIbLb0EES10_IbLb1EEEEDaSW_SX_EUlSW_E_NS1_11comp_targetILNS1_3genE8ELNS1_11target_archE1030ELNS1_3gpuE2ELNS1_3repE0EEENS1_30default_config_static_selectorELNS0_4arch9wavefront6targetE1EEEvT1_
	.globl	_ZN7rocprim17ROCPRIM_400000_NS6detail17trampoline_kernelINS0_14default_configENS1_27scan_by_key_config_selectorIidEEZZNS1_16scan_by_key_implILNS1_25lookback_scan_determinismE0ELb1ES3_N6thrust23THRUST_200600_302600_NS6detail15normal_iteratorINS9_10device_ptrIiEEEENSB_INSC_IdEEEESG_dNS9_4plusIvEENS9_8equal_toIvEEdEE10hipError_tPvRmT2_T3_T4_T5_mT6_T7_P12ihipStream_tbENKUlT_T0_E_clISt17integral_constantIbLb0EES10_IbLb1EEEEDaSW_SX_EUlSW_E_NS1_11comp_targetILNS1_3genE8ELNS1_11target_archE1030ELNS1_3gpuE2ELNS1_3repE0EEENS1_30default_config_static_selectorELNS0_4arch9wavefront6targetE1EEEvT1_
	.p2align	8
	.type	_ZN7rocprim17ROCPRIM_400000_NS6detail17trampoline_kernelINS0_14default_configENS1_27scan_by_key_config_selectorIidEEZZNS1_16scan_by_key_implILNS1_25lookback_scan_determinismE0ELb1ES3_N6thrust23THRUST_200600_302600_NS6detail15normal_iteratorINS9_10device_ptrIiEEEENSB_INSC_IdEEEESG_dNS9_4plusIvEENS9_8equal_toIvEEdEE10hipError_tPvRmT2_T3_T4_T5_mT6_T7_P12ihipStream_tbENKUlT_T0_E_clISt17integral_constantIbLb0EES10_IbLb1EEEEDaSW_SX_EUlSW_E_NS1_11comp_targetILNS1_3genE8ELNS1_11target_archE1030ELNS1_3gpuE2ELNS1_3repE0EEENS1_30default_config_static_selectorELNS0_4arch9wavefront6targetE1EEEvT1_,@function
_ZN7rocprim17ROCPRIM_400000_NS6detail17trampoline_kernelINS0_14default_configENS1_27scan_by_key_config_selectorIidEEZZNS1_16scan_by_key_implILNS1_25lookback_scan_determinismE0ELb1ES3_N6thrust23THRUST_200600_302600_NS6detail15normal_iteratorINS9_10device_ptrIiEEEENSB_INSC_IdEEEESG_dNS9_4plusIvEENS9_8equal_toIvEEdEE10hipError_tPvRmT2_T3_T4_T5_mT6_T7_P12ihipStream_tbENKUlT_T0_E_clISt17integral_constantIbLb0EES10_IbLb1EEEEDaSW_SX_EUlSW_E_NS1_11comp_targetILNS1_3genE8ELNS1_11target_archE1030ELNS1_3gpuE2ELNS1_3repE0EEENS1_30default_config_static_selectorELNS0_4arch9wavefront6targetE1EEEvT1_: ; @_ZN7rocprim17ROCPRIM_400000_NS6detail17trampoline_kernelINS0_14default_configENS1_27scan_by_key_config_selectorIidEEZZNS1_16scan_by_key_implILNS1_25lookback_scan_determinismE0ELb1ES3_N6thrust23THRUST_200600_302600_NS6detail15normal_iteratorINS9_10device_ptrIiEEEENSB_INSC_IdEEEESG_dNS9_4plusIvEENS9_8equal_toIvEEdEE10hipError_tPvRmT2_T3_T4_T5_mT6_T7_P12ihipStream_tbENKUlT_T0_E_clISt17integral_constantIbLb0EES10_IbLb1EEEEDaSW_SX_EUlSW_E_NS1_11comp_targetILNS1_3genE8ELNS1_11target_archE1030ELNS1_3gpuE2ELNS1_3repE0EEENS1_30default_config_static_selectorELNS0_4arch9wavefront6targetE1EEEvT1_
; %bb.0:
	.section	.rodata,"a",@progbits
	.p2align	6, 0x0
	.amdhsa_kernel _ZN7rocprim17ROCPRIM_400000_NS6detail17trampoline_kernelINS0_14default_configENS1_27scan_by_key_config_selectorIidEEZZNS1_16scan_by_key_implILNS1_25lookback_scan_determinismE0ELb1ES3_N6thrust23THRUST_200600_302600_NS6detail15normal_iteratorINS9_10device_ptrIiEEEENSB_INSC_IdEEEESG_dNS9_4plusIvEENS9_8equal_toIvEEdEE10hipError_tPvRmT2_T3_T4_T5_mT6_T7_P12ihipStream_tbENKUlT_T0_E_clISt17integral_constantIbLb0EES10_IbLb1EEEEDaSW_SX_EUlSW_E_NS1_11comp_targetILNS1_3genE8ELNS1_11target_archE1030ELNS1_3gpuE2ELNS1_3repE0EEENS1_30default_config_static_selectorELNS0_4arch9wavefront6targetE1EEEvT1_
		.amdhsa_group_segment_fixed_size 0
		.amdhsa_private_segment_fixed_size 0
		.amdhsa_kernarg_size 136
		.amdhsa_user_sgpr_count 6
		.amdhsa_user_sgpr_private_segment_buffer 1
		.amdhsa_user_sgpr_dispatch_ptr 0
		.amdhsa_user_sgpr_queue_ptr 0
		.amdhsa_user_sgpr_kernarg_segment_ptr 1
		.amdhsa_user_sgpr_dispatch_id 0
		.amdhsa_user_sgpr_flat_scratch_init 0
		.amdhsa_user_sgpr_kernarg_preload_length 0
		.amdhsa_user_sgpr_kernarg_preload_offset 0
		.amdhsa_user_sgpr_private_segment_size 0
		.amdhsa_uses_dynamic_stack 0
		.amdhsa_system_sgpr_private_segment_wavefront_offset 0
		.amdhsa_system_sgpr_workgroup_id_x 1
		.amdhsa_system_sgpr_workgroup_id_y 0
		.amdhsa_system_sgpr_workgroup_id_z 0
		.amdhsa_system_sgpr_workgroup_info 0
		.amdhsa_system_vgpr_workitem_id 0
		.amdhsa_next_free_vgpr 1
		.amdhsa_next_free_sgpr 0
		.amdhsa_accum_offset 4
		.amdhsa_reserve_vcc 0
		.amdhsa_reserve_flat_scratch 0
		.amdhsa_float_round_mode_32 0
		.amdhsa_float_round_mode_16_64 0
		.amdhsa_float_denorm_mode_32 3
		.amdhsa_float_denorm_mode_16_64 3
		.amdhsa_dx10_clamp 1
		.amdhsa_ieee_mode 1
		.amdhsa_fp16_overflow 0
		.amdhsa_tg_split 0
		.amdhsa_exception_fp_ieee_invalid_op 0
		.amdhsa_exception_fp_denorm_src 0
		.amdhsa_exception_fp_ieee_div_zero 0
		.amdhsa_exception_fp_ieee_overflow 0
		.amdhsa_exception_fp_ieee_underflow 0
		.amdhsa_exception_fp_ieee_inexact 0
		.amdhsa_exception_int_div_zero 0
	.end_amdhsa_kernel
	.section	.text._ZN7rocprim17ROCPRIM_400000_NS6detail17trampoline_kernelINS0_14default_configENS1_27scan_by_key_config_selectorIidEEZZNS1_16scan_by_key_implILNS1_25lookback_scan_determinismE0ELb1ES3_N6thrust23THRUST_200600_302600_NS6detail15normal_iteratorINS9_10device_ptrIiEEEENSB_INSC_IdEEEESG_dNS9_4plusIvEENS9_8equal_toIvEEdEE10hipError_tPvRmT2_T3_T4_T5_mT6_T7_P12ihipStream_tbENKUlT_T0_E_clISt17integral_constantIbLb0EES10_IbLb1EEEEDaSW_SX_EUlSW_E_NS1_11comp_targetILNS1_3genE8ELNS1_11target_archE1030ELNS1_3gpuE2ELNS1_3repE0EEENS1_30default_config_static_selectorELNS0_4arch9wavefront6targetE1EEEvT1_,"axG",@progbits,_ZN7rocprim17ROCPRIM_400000_NS6detail17trampoline_kernelINS0_14default_configENS1_27scan_by_key_config_selectorIidEEZZNS1_16scan_by_key_implILNS1_25lookback_scan_determinismE0ELb1ES3_N6thrust23THRUST_200600_302600_NS6detail15normal_iteratorINS9_10device_ptrIiEEEENSB_INSC_IdEEEESG_dNS9_4plusIvEENS9_8equal_toIvEEdEE10hipError_tPvRmT2_T3_T4_T5_mT6_T7_P12ihipStream_tbENKUlT_T0_E_clISt17integral_constantIbLb0EES10_IbLb1EEEEDaSW_SX_EUlSW_E_NS1_11comp_targetILNS1_3genE8ELNS1_11target_archE1030ELNS1_3gpuE2ELNS1_3repE0EEENS1_30default_config_static_selectorELNS0_4arch9wavefront6targetE1EEEvT1_,comdat
.Lfunc_end1426:
	.size	_ZN7rocprim17ROCPRIM_400000_NS6detail17trampoline_kernelINS0_14default_configENS1_27scan_by_key_config_selectorIidEEZZNS1_16scan_by_key_implILNS1_25lookback_scan_determinismE0ELb1ES3_N6thrust23THRUST_200600_302600_NS6detail15normal_iteratorINS9_10device_ptrIiEEEENSB_INSC_IdEEEESG_dNS9_4plusIvEENS9_8equal_toIvEEdEE10hipError_tPvRmT2_T3_T4_T5_mT6_T7_P12ihipStream_tbENKUlT_T0_E_clISt17integral_constantIbLb0EES10_IbLb1EEEEDaSW_SX_EUlSW_E_NS1_11comp_targetILNS1_3genE8ELNS1_11target_archE1030ELNS1_3gpuE2ELNS1_3repE0EEENS1_30default_config_static_selectorELNS0_4arch9wavefront6targetE1EEEvT1_, .Lfunc_end1426-_ZN7rocprim17ROCPRIM_400000_NS6detail17trampoline_kernelINS0_14default_configENS1_27scan_by_key_config_selectorIidEEZZNS1_16scan_by_key_implILNS1_25lookback_scan_determinismE0ELb1ES3_N6thrust23THRUST_200600_302600_NS6detail15normal_iteratorINS9_10device_ptrIiEEEENSB_INSC_IdEEEESG_dNS9_4plusIvEENS9_8equal_toIvEEdEE10hipError_tPvRmT2_T3_T4_T5_mT6_T7_P12ihipStream_tbENKUlT_T0_E_clISt17integral_constantIbLb0EES10_IbLb1EEEEDaSW_SX_EUlSW_E_NS1_11comp_targetILNS1_3genE8ELNS1_11target_archE1030ELNS1_3gpuE2ELNS1_3repE0EEENS1_30default_config_static_selectorELNS0_4arch9wavefront6targetE1EEEvT1_
                                        ; -- End function
	.section	.AMDGPU.csdata,"",@progbits
; Kernel info:
; codeLenInByte = 0
; NumSgprs: 4
; NumVgprs: 0
; NumAgprs: 0
; TotalNumVgprs: 0
; ScratchSize: 0
; MemoryBound: 0
; FloatMode: 240
; IeeeMode: 1
; LDSByteSize: 0 bytes/workgroup (compile time only)
; SGPRBlocks: 0
; VGPRBlocks: 0
; NumSGPRsForWavesPerEU: 4
; NumVGPRsForWavesPerEU: 1
; AccumOffset: 4
; Occupancy: 8
; WaveLimiterHint : 0
; COMPUTE_PGM_RSRC2:SCRATCH_EN: 0
; COMPUTE_PGM_RSRC2:USER_SGPR: 6
; COMPUTE_PGM_RSRC2:TRAP_HANDLER: 0
; COMPUTE_PGM_RSRC2:TGID_X_EN: 1
; COMPUTE_PGM_RSRC2:TGID_Y_EN: 0
; COMPUTE_PGM_RSRC2:TGID_Z_EN: 0
; COMPUTE_PGM_RSRC2:TIDIG_COMP_CNT: 0
; COMPUTE_PGM_RSRC3_GFX90A:ACCUM_OFFSET: 0
; COMPUTE_PGM_RSRC3_GFX90A:TG_SPLIT: 0
	.section	.text._ZN7rocprim17ROCPRIM_400000_NS6detail17trampoline_kernelINS0_14default_configENS1_27scan_by_key_config_selectorIifEEZZNS1_16scan_by_key_implILNS1_25lookback_scan_determinismE0ELb1ES3_N6thrust23THRUST_200600_302600_NS6detail15normal_iteratorINS9_10device_ptrIiEEEENSB_INSC_IfEEEESG_fNS9_4plusIvEENS9_8equal_toIvEEfEE10hipError_tPvRmT2_T3_T4_T5_mT6_T7_P12ihipStream_tbENKUlT_T0_E_clISt17integral_constantIbLb0EES11_EEDaSW_SX_EUlSW_E_NS1_11comp_targetILNS1_3genE0ELNS1_11target_archE4294967295ELNS1_3gpuE0ELNS1_3repE0EEENS1_30default_config_static_selectorELNS0_4arch9wavefront6targetE1EEEvT1_,"axG",@progbits,_ZN7rocprim17ROCPRIM_400000_NS6detail17trampoline_kernelINS0_14default_configENS1_27scan_by_key_config_selectorIifEEZZNS1_16scan_by_key_implILNS1_25lookback_scan_determinismE0ELb1ES3_N6thrust23THRUST_200600_302600_NS6detail15normal_iteratorINS9_10device_ptrIiEEEENSB_INSC_IfEEEESG_fNS9_4plusIvEENS9_8equal_toIvEEfEE10hipError_tPvRmT2_T3_T4_T5_mT6_T7_P12ihipStream_tbENKUlT_T0_E_clISt17integral_constantIbLb0EES11_EEDaSW_SX_EUlSW_E_NS1_11comp_targetILNS1_3genE0ELNS1_11target_archE4294967295ELNS1_3gpuE0ELNS1_3repE0EEENS1_30default_config_static_selectorELNS0_4arch9wavefront6targetE1EEEvT1_,comdat
	.protected	_ZN7rocprim17ROCPRIM_400000_NS6detail17trampoline_kernelINS0_14default_configENS1_27scan_by_key_config_selectorIifEEZZNS1_16scan_by_key_implILNS1_25lookback_scan_determinismE0ELb1ES3_N6thrust23THRUST_200600_302600_NS6detail15normal_iteratorINS9_10device_ptrIiEEEENSB_INSC_IfEEEESG_fNS9_4plusIvEENS9_8equal_toIvEEfEE10hipError_tPvRmT2_T3_T4_T5_mT6_T7_P12ihipStream_tbENKUlT_T0_E_clISt17integral_constantIbLb0EES11_EEDaSW_SX_EUlSW_E_NS1_11comp_targetILNS1_3genE0ELNS1_11target_archE4294967295ELNS1_3gpuE0ELNS1_3repE0EEENS1_30default_config_static_selectorELNS0_4arch9wavefront6targetE1EEEvT1_ ; -- Begin function _ZN7rocprim17ROCPRIM_400000_NS6detail17trampoline_kernelINS0_14default_configENS1_27scan_by_key_config_selectorIifEEZZNS1_16scan_by_key_implILNS1_25lookback_scan_determinismE0ELb1ES3_N6thrust23THRUST_200600_302600_NS6detail15normal_iteratorINS9_10device_ptrIiEEEENSB_INSC_IfEEEESG_fNS9_4plusIvEENS9_8equal_toIvEEfEE10hipError_tPvRmT2_T3_T4_T5_mT6_T7_P12ihipStream_tbENKUlT_T0_E_clISt17integral_constantIbLb0EES11_EEDaSW_SX_EUlSW_E_NS1_11comp_targetILNS1_3genE0ELNS1_11target_archE4294967295ELNS1_3gpuE0ELNS1_3repE0EEENS1_30default_config_static_selectorELNS0_4arch9wavefront6targetE1EEEvT1_
	.globl	_ZN7rocprim17ROCPRIM_400000_NS6detail17trampoline_kernelINS0_14default_configENS1_27scan_by_key_config_selectorIifEEZZNS1_16scan_by_key_implILNS1_25lookback_scan_determinismE0ELb1ES3_N6thrust23THRUST_200600_302600_NS6detail15normal_iteratorINS9_10device_ptrIiEEEENSB_INSC_IfEEEESG_fNS9_4plusIvEENS9_8equal_toIvEEfEE10hipError_tPvRmT2_T3_T4_T5_mT6_T7_P12ihipStream_tbENKUlT_T0_E_clISt17integral_constantIbLb0EES11_EEDaSW_SX_EUlSW_E_NS1_11comp_targetILNS1_3genE0ELNS1_11target_archE4294967295ELNS1_3gpuE0ELNS1_3repE0EEENS1_30default_config_static_selectorELNS0_4arch9wavefront6targetE1EEEvT1_
	.p2align	8
	.type	_ZN7rocprim17ROCPRIM_400000_NS6detail17trampoline_kernelINS0_14default_configENS1_27scan_by_key_config_selectorIifEEZZNS1_16scan_by_key_implILNS1_25lookback_scan_determinismE0ELb1ES3_N6thrust23THRUST_200600_302600_NS6detail15normal_iteratorINS9_10device_ptrIiEEEENSB_INSC_IfEEEESG_fNS9_4plusIvEENS9_8equal_toIvEEfEE10hipError_tPvRmT2_T3_T4_T5_mT6_T7_P12ihipStream_tbENKUlT_T0_E_clISt17integral_constantIbLb0EES11_EEDaSW_SX_EUlSW_E_NS1_11comp_targetILNS1_3genE0ELNS1_11target_archE4294967295ELNS1_3gpuE0ELNS1_3repE0EEENS1_30default_config_static_selectorELNS0_4arch9wavefront6targetE1EEEvT1_,@function
_ZN7rocprim17ROCPRIM_400000_NS6detail17trampoline_kernelINS0_14default_configENS1_27scan_by_key_config_selectorIifEEZZNS1_16scan_by_key_implILNS1_25lookback_scan_determinismE0ELb1ES3_N6thrust23THRUST_200600_302600_NS6detail15normal_iteratorINS9_10device_ptrIiEEEENSB_INSC_IfEEEESG_fNS9_4plusIvEENS9_8equal_toIvEEfEE10hipError_tPvRmT2_T3_T4_T5_mT6_T7_P12ihipStream_tbENKUlT_T0_E_clISt17integral_constantIbLb0EES11_EEDaSW_SX_EUlSW_E_NS1_11comp_targetILNS1_3genE0ELNS1_11target_archE4294967295ELNS1_3gpuE0ELNS1_3repE0EEENS1_30default_config_static_selectorELNS0_4arch9wavefront6targetE1EEEvT1_: ; @_ZN7rocprim17ROCPRIM_400000_NS6detail17trampoline_kernelINS0_14default_configENS1_27scan_by_key_config_selectorIifEEZZNS1_16scan_by_key_implILNS1_25lookback_scan_determinismE0ELb1ES3_N6thrust23THRUST_200600_302600_NS6detail15normal_iteratorINS9_10device_ptrIiEEEENSB_INSC_IfEEEESG_fNS9_4plusIvEENS9_8equal_toIvEEfEE10hipError_tPvRmT2_T3_T4_T5_mT6_T7_P12ihipStream_tbENKUlT_T0_E_clISt17integral_constantIbLb0EES11_EEDaSW_SX_EUlSW_E_NS1_11comp_targetILNS1_3genE0ELNS1_11target_archE4294967295ELNS1_3gpuE0ELNS1_3repE0EEENS1_30default_config_static_selectorELNS0_4arch9wavefront6targetE1EEEvT1_
; %bb.0:
	.section	.rodata,"a",@progbits
	.p2align	6, 0x0
	.amdhsa_kernel _ZN7rocprim17ROCPRIM_400000_NS6detail17trampoline_kernelINS0_14default_configENS1_27scan_by_key_config_selectorIifEEZZNS1_16scan_by_key_implILNS1_25lookback_scan_determinismE0ELb1ES3_N6thrust23THRUST_200600_302600_NS6detail15normal_iteratorINS9_10device_ptrIiEEEENSB_INSC_IfEEEESG_fNS9_4plusIvEENS9_8equal_toIvEEfEE10hipError_tPvRmT2_T3_T4_T5_mT6_T7_P12ihipStream_tbENKUlT_T0_E_clISt17integral_constantIbLb0EES11_EEDaSW_SX_EUlSW_E_NS1_11comp_targetILNS1_3genE0ELNS1_11target_archE4294967295ELNS1_3gpuE0ELNS1_3repE0EEENS1_30default_config_static_selectorELNS0_4arch9wavefront6targetE1EEEvT1_
		.amdhsa_group_segment_fixed_size 0
		.amdhsa_private_segment_fixed_size 0
		.amdhsa_kernarg_size 112
		.amdhsa_user_sgpr_count 6
		.amdhsa_user_sgpr_private_segment_buffer 1
		.amdhsa_user_sgpr_dispatch_ptr 0
		.amdhsa_user_sgpr_queue_ptr 0
		.amdhsa_user_sgpr_kernarg_segment_ptr 1
		.amdhsa_user_sgpr_dispatch_id 0
		.amdhsa_user_sgpr_flat_scratch_init 0
		.amdhsa_user_sgpr_kernarg_preload_length 0
		.amdhsa_user_sgpr_kernarg_preload_offset 0
		.amdhsa_user_sgpr_private_segment_size 0
		.amdhsa_uses_dynamic_stack 0
		.amdhsa_system_sgpr_private_segment_wavefront_offset 0
		.amdhsa_system_sgpr_workgroup_id_x 1
		.amdhsa_system_sgpr_workgroup_id_y 0
		.amdhsa_system_sgpr_workgroup_id_z 0
		.amdhsa_system_sgpr_workgroup_info 0
		.amdhsa_system_vgpr_workitem_id 0
		.amdhsa_next_free_vgpr 1
		.amdhsa_next_free_sgpr 0
		.amdhsa_accum_offset 4
		.amdhsa_reserve_vcc 0
		.amdhsa_reserve_flat_scratch 0
		.amdhsa_float_round_mode_32 0
		.amdhsa_float_round_mode_16_64 0
		.amdhsa_float_denorm_mode_32 3
		.amdhsa_float_denorm_mode_16_64 3
		.amdhsa_dx10_clamp 1
		.amdhsa_ieee_mode 1
		.amdhsa_fp16_overflow 0
		.amdhsa_tg_split 0
		.amdhsa_exception_fp_ieee_invalid_op 0
		.amdhsa_exception_fp_denorm_src 0
		.amdhsa_exception_fp_ieee_div_zero 0
		.amdhsa_exception_fp_ieee_overflow 0
		.amdhsa_exception_fp_ieee_underflow 0
		.amdhsa_exception_fp_ieee_inexact 0
		.amdhsa_exception_int_div_zero 0
	.end_amdhsa_kernel
	.section	.text._ZN7rocprim17ROCPRIM_400000_NS6detail17trampoline_kernelINS0_14default_configENS1_27scan_by_key_config_selectorIifEEZZNS1_16scan_by_key_implILNS1_25lookback_scan_determinismE0ELb1ES3_N6thrust23THRUST_200600_302600_NS6detail15normal_iteratorINS9_10device_ptrIiEEEENSB_INSC_IfEEEESG_fNS9_4plusIvEENS9_8equal_toIvEEfEE10hipError_tPvRmT2_T3_T4_T5_mT6_T7_P12ihipStream_tbENKUlT_T0_E_clISt17integral_constantIbLb0EES11_EEDaSW_SX_EUlSW_E_NS1_11comp_targetILNS1_3genE0ELNS1_11target_archE4294967295ELNS1_3gpuE0ELNS1_3repE0EEENS1_30default_config_static_selectorELNS0_4arch9wavefront6targetE1EEEvT1_,"axG",@progbits,_ZN7rocprim17ROCPRIM_400000_NS6detail17trampoline_kernelINS0_14default_configENS1_27scan_by_key_config_selectorIifEEZZNS1_16scan_by_key_implILNS1_25lookback_scan_determinismE0ELb1ES3_N6thrust23THRUST_200600_302600_NS6detail15normal_iteratorINS9_10device_ptrIiEEEENSB_INSC_IfEEEESG_fNS9_4plusIvEENS9_8equal_toIvEEfEE10hipError_tPvRmT2_T3_T4_T5_mT6_T7_P12ihipStream_tbENKUlT_T0_E_clISt17integral_constantIbLb0EES11_EEDaSW_SX_EUlSW_E_NS1_11comp_targetILNS1_3genE0ELNS1_11target_archE4294967295ELNS1_3gpuE0ELNS1_3repE0EEENS1_30default_config_static_selectorELNS0_4arch9wavefront6targetE1EEEvT1_,comdat
.Lfunc_end1427:
	.size	_ZN7rocprim17ROCPRIM_400000_NS6detail17trampoline_kernelINS0_14default_configENS1_27scan_by_key_config_selectorIifEEZZNS1_16scan_by_key_implILNS1_25lookback_scan_determinismE0ELb1ES3_N6thrust23THRUST_200600_302600_NS6detail15normal_iteratorINS9_10device_ptrIiEEEENSB_INSC_IfEEEESG_fNS9_4plusIvEENS9_8equal_toIvEEfEE10hipError_tPvRmT2_T3_T4_T5_mT6_T7_P12ihipStream_tbENKUlT_T0_E_clISt17integral_constantIbLb0EES11_EEDaSW_SX_EUlSW_E_NS1_11comp_targetILNS1_3genE0ELNS1_11target_archE4294967295ELNS1_3gpuE0ELNS1_3repE0EEENS1_30default_config_static_selectorELNS0_4arch9wavefront6targetE1EEEvT1_, .Lfunc_end1427-_ZN7rocprim17ROCPRIM_400000_NS6detail17trampoline_kernelINS0_14default_configENS1_27scan_by_key_config_selectorIifEEZZNS1_16scan_by_key_implILNS1_25lookback_scan_determinismE0ELb1ES3_N6thrust23THRUST_200600_302600_NS6detail15normal_iteratorINS9_10device_ptrIiEEEENSB_INSC_IfEEEESG_fNS9_4plusIvEENS9_8equal_toIvEEfEE10hipError_tPvRmT2_T3_T4_T5_mT6_T7_P12ihipStream_tbENKUlT_T0_E_clISt17integral_constantIbLb0EES11_EEDaSW_SX_EUlSW_E_NS1_11comp_targetILNS1_3genE0ELNS1_11target_archE4294967295ELNS1_3gpuE0ELNS1_3repE0EEENS1_30default_config_static_selectorELNS0_4arch9wavefront6targetE1EEEvT1_
                                        ; -- End function
	.section	.AMDGPU.csdata,"",@progbits
; Kernel info:
; codeLenInByte = 0
; NumSgprs: 4
; NumVgprs: 0
; NumAgprs: 0
; TotalNumVgprs: 0
; ScratchSize: 0
; MemoryBound: 0
; FloatMode: 240
; IeeeMode: 1
; LDSByteSize: 0 bytes/workgroup (compile time only)
; SGPRBlocks: 0
; VGPRBlocks: 0
; NumSGPRsForWavesPerEU: 4
; NumVGPRsForWavesPerEU: 1
; AccumOffset: 4
; Occupancy: 8
; WaveLimiterHint : 0
; COMPUTE_PGM_RSRC2:SCRATCH_EN: 0
; COMPUTE_PGM_RSRC2:USER_SGPR: 6
; COMPUTE_PGM_RSRC2:TRAP_HANDLER: 0
; COMPUTE_PGM_RSRC2:TGID_X_EN: 1
; COMPUTE_PGM_RSRC2:TGID_Y_EN: 0
; COMPUTE_PGM_RSRC2:TGID_Z_EN: 0
; COMPUTE_PGM_RSRC2:TIDIG_COMP_CNT: 0
; COMPUTE_PGM_RSRC3_GFX90A:ACCUM_OFFSET: 0
; COMPUTE_PGM_RSRC3_GFX90A:TG_SPLIT: 0
	.section	.text._ZN7rocprim17ROCPRIM_400000_NS6detail17trampoline_kernelINS0_14default_configENS1_27scan_by_key_config_selectorIifEEZZNS1_16scan_by_key_implILNS1_25lookback_scan_determinismE0ELb1ES3_N6thrust23THRUST_200600_302600_NS6detail15normal_iteratorINS9_10device_ptrIiEEEENSB_INSC_IfEEEESG_fNS9_4plusIvEENS9_8equal_toIvEEfEE10hipError_tPvRmT2_T3_T4_T5_mT6_T7_P12ihipStream_tbENKUlT_T0_E_clISt17integral_constantIbLb0EES11_EEDaSW_SX_EUlSW_E_NS1_11comp_targetILNS1_3genE10ELNS1_11target_archE1201ELNS1_3gpuE5ELNS1_3repE0EEENS1_30default_config_static_selectorELNS0_4arch9wavefront6targetE1EEEvT1_,"axG",@progbits,_ZN7rocprim17ROCPRIM_400000_NS6detail17trampoline_kernelINS0_14default_configENS1_27scan_by_key_config_selectorIifEEZZNS1_16scan_by_key_implILNS1_25lookback_scan_determinismE0ELb1ES3_N6thrust23THRUST_200600_302600_NS6detail15normal_iteratorINS9_10device_ptrIiEEEENSB_INSC_IfEEEESG_fNS9_4plusIvEENS9_8equal_toIvEEfEE10hipError_tPvRmT2_T3_T4_T5_mT6_T7_P12ihipStream_tbENKUlT_T0_E_clISt17integral_constantIbLb0EES11_EEDaSW_SX_EUlSW_E_NS1_11comp_targetILNS1_3genE10ELNS1_11target_archE1201ELNS1_3gpuE5ELNS1_3repE0EEENS1_30default_config_static_selectorELNS0_4arch9wavefront6targetE1EEEvT1_,comdat
	.protected	_ZN7rocprim17ROCPRIM_400000_NS6detail17trampoline_kernelINS0_14default_configENS1_27scan_by_key_config_selectorIifEEZZNS1_16scan_by_key_implILNS1_25lookback_scan_determinismE0ELb1ES3_N6thrust23THRUST_200600_302600_NS6detail15normal_iteratorINS9_10device_ptrIiEEEENSB_INSC_IfEEEESG_fNS9_4plusIvEENS9_8equal_toIvEEfEE10hipError_tPvRmT2_T3_T4_T5_mT6_T7_P12ihipStream_tbENKUlT_T0_E_clISt17integral_constantIbLb0EES11_EEDaSW_SX_EUlSW_E_NS1_11comp_targetILNS1_3genE10ELNS1_11target_archE1201ELNS1_3gpuE5ELNS1_3repE0EEENS1_30default_config_static_selectorELNS0_4arch9wavefront6targetE1EEEvT1_ ; -- Begin function _ZN7rocprim17ROCPRIM_400000_NS6detail17trampoline_kernelINS0_14default_configENS1_27scan_by_key_config_selectorIifEEZZNS1_16scan_by_key_implILNS1_25lookback_scan_determinismE0ELb1ES3_N6thrust23THRUST_200600_302600_NS6detail15normal_iteratorINS9_10device_ptrIiEEEENSB_INSC_IfEEEESG_fNS9_4plusIvEENS9_8equal_toIvEEfEE10hipError_tPvRmT2_T3_T4_T5_mT6_T7_P12ihipStream_tbENKUlT_T0_E_clISt17integral_constantIbLb0EES11_EEDaSW_SX_EUlSW_E_NS1_11comp_targetILNS1_3genE10ELNS1_11target_archE1201ELNS1_3gpuE5ELNS1_3repE0EEENS1_30default_config_static_selectorELNS0_4arch9wavefront6targetE1EEEvT1_
	.globl	_ZN7rocprim17ROCPRIM_400000_NS6detail17trampoline_kernelINS0_14default_configENS1_27scan_by_key_config_selectorIifEEZZNS1_16scan_by_key_implILNS1_25lookback_scan_determinismE0ELb1ES3_N6thrust23THRUST_200600_302600_NS6detail15normal_iteratorINS9_10device_ptrIiEEEENSB_INSC_IfEEEESG_fNS9_4plusIvEENS9_8equal_toIvEEfEE10hipError_tPvRmT2_T3_T4_T5_mT6_T7_P12ihipStream_tbENKUlT_T0_E_clISt17integral_constantIbLb0EES11_EEDaSW_SX_EUlSW_E_NS1_11comp_targetILNS1_3genE10ELNS1_11target_archE1201ELNS1_3gpuE5ELNS1_3repE0EEENS1_30default_config_static_selectorELNS0_4arch9wavefront6targetE1EEEvT1_
	.p2align	8
	.type	_ZN7rocprim17ROCPRIM_400000_NS6detail17trampoline_kernelINS0_14default_configENS1_27scan_by_key_config_selectorIifEEZZNS1_16scan_by_key_implILNS1_25lookback_scan_determinismE0ELb1ES3_N6thrust23THRUST_200600_302600_NS6detail15normal_iteratorINS9_10device_ptrIiEEEENSB_INSC_IfEEEESG_fNS9_4plusIvEENS9_8equal_toIvEEfEE10hipError_tPvRmT2_T3_T4_T5_mT6_T7_P12ihipStream_tbENKUlT_T0_E_clISt17integral_constantIbLb0EES11_EEDaSW_SX_EUlSW_E_NS1_11comp_targetILNS1_3genE10ELNS1_11target_archE1201ELNS1_3gpuE5ELNS1_3repE0EEENS1_30default_config_static_selectorELNS0_4arch9wavefront6targetE1EEEvT1_,@function
_ZN7rocprim17ROCPRIM_400000_NS6detail17trampoline_kernelINS0_14default_configENS1_27scan_by_key_config_selectorIifEEZZNS1_16scan_by_key_implILNS1_25lookback_scan_determinismE0ELb1ES3_N6thrust23THRUST_200600_302600_NS6detail15normal_iteratorINS9_10device_ptrIiEEEENSB_INSC_IfEEEESG_fNS9_4plusIvEENS9_8equal_toIvEEfEE10hipError_tPvRmT2_T3_T4_T5_mT6_T7_P12ihipStream_tbENKUlT_T0_E_clISt17integral_constantIbLb0EES11_EEDaSW_SX_EUlSW_E_NS1_11comp_targetILNS1_3genE10ELNS1_11target_archE1201ELNS1_3gpuE5ELNS1_3repE0EEENS1_30default_config_static_selectorELNS0_4arch9wavefront6targetE1EEEvT1_: ; @_ZN7rocprim17ROCPRIM_400000_NS6detail17trampoline_kernelINS0_14default_configENS1_27scan_by_key_config_selectorIifEEZZNS1_16scan_by_key_implILNS1_25lookback_scan_determinismE0ELb1ES3_N6thrust23THRUST_200600_302600_NS6detail15normal_iteratorINS9_10device_ptrIiEEEENSB_INSC_IfEEEESG_fNS9_4plusIvEENS9_8equal_toIvEEfEE10hipError_tPvRmT2_T3_T4_T5_mT6_T7_P12ihipStream_tbENKUlT_T0_E_clISt17integral_constantIbLb0EES11_EEDaSW_SX_EUlSW_E_NS1_11comp_targetILNS1_3genE10ELNS1_11target_archE1201ELNS1_3gpuE5ELNS1_3repE0EEENS1_30default_config_static_selectorELNS0_4arch9wavefront6targetE1EEEvT1_
; %bb.0:
	.section	.rodata,"a",@progbits
	.p2align	6, 0x0
	.amdhsa_kernel _ZN7rocprim17ROCPRIM_400000_NS6detail17trampoline_kernelINS0_14default_configENS1_27scan_by_key_config_selectorIifEEZZNS1_16scan_by_key_implILNS1_25lookback_scan_determinismE0ELb1ES3_N6thrust23THRUST_200600_302600_NS6detail15normal_iteratorINS9_10device_ptrIiEEEENSB_INSC_IfEEEESG_fNS9_4plusIvEENS9_8equal_toIvEEfEE10hipError_tPvRmT2_T3_T4_T5_mT6_T7_P12ihipStream_tbENKUlT_T0_E_clISt17integral_constantIbLb0EES11_EEDaSW_SX_EUlSW_E_NS1_11comp_targetILNS1_3genE10ELNS1_11target_archE1201ELNS1_3gpuE5ELNS1_3repE0EEENS1_30default_config_static_selectorELNS0_4arch9wavefront6targetE1EEEvT1_
		.amdhsa_group_segment_fixed_size 0
		.amdhsa_private_segment_fixed_size 0
		.amdhsa_kernarg_size 112
		.amdhsa_user_sgpr_count 6
		.amdhsa_user_sgpr_private_segment_buffer 1
		.amdhsa_user_sgpr_dispatch_ptr 0
		.amdhsa_user_sgpr_queue_ptr 0
		.amdhsa_user_sgpr_kernarg_segment_ptr 1
		.amdhsa_user_sgpr_dispatch_id 0
		.amdhsa_user_sgpr_flat_scratch_init 0
		.amdhsa_user_sgpr_kernarg_preload_length 0
		.amdhsa_user_sgpr_kernarg_preload_offset 0
		.amdhsa_user_sgpr_private_segment_size 0
		.amdhsa_uses_dynamic_stack 0
		.amdhsa_system_sgpr_private_segment_wavefront_offset 0
		.amdhsa_system_sgpr_workgroup_id_x 1
		.amdhsa_system_sgpr_workgroup_id_y 0
		.amdhsa_system_sgpr_workgroup_id_z 0
		.amdhsa_system_sgpr_workgroup_info 0
		.amdhsa_system_vgpr_workitem_id 0
		.amdhsa_next_free_vgpr 1
		.amdhsa_next_free_sgpr 0
		.amdhsa_accum_offset 4
		.amdhsa_reserve_vcc 0
		.amdhsa_reserve_flat_scratch 0
		.amdhsa_float_round_mode_32 0
		.amdhsa_float_round_mode_16_64 0
		.amdhsa_float_denorm_mode_32 3
		.amdhsa_float_denorm_mode_16_64 3
		.amdhsa_dx10_clamp 1
		.amdhsa_ieee_mode 1
		.amdhsa_fp16_overflow 0
		.amdhsa_tg_split 0
		.amdhsa_exception_fp_ieee_invalid_op 0
		.amdhsa_exception_fp_denorm_src 0
		.amdhsa_exception_fp_ieee_div_zero 0
		.amdhsa_exception_fp_ieee_overflow 0
		.amdhsa_exception_fp_ieee_underflow 0
		.amdhsa_exception_fp_ieee_inexact 0
		.amdhsa_exception_int_div_zero 0
	.end_amdhsa_kernel
	.section	.text._ZN7rocprim17ROCPRIM_400000_NS6detail17trampoline_kernelINS0_14default_configENS1_27scan_by_key_config_selectorIifEEZZNS1_16scan_by_key_implILNS1_25lookback_scan_determinismE0ELb1ES3_N6thrust23THRUST_200600_302600_NS6detail15normal_iteratorINS9_10device_ptrIiEEEENSB_INSC_IfEEEESG_fNS9_4plusIvEENS9_8equal_toIvEEfEE10hipError_tPvRmT2_T3_T4_T5_mT6_T7_P12ihipStream_tbENKUlT_T0_E_clISt17integral_constantIbLb0EES11_EEDaSW_SX_EUlSW_E_NS1_11comp_targetILNS1_3genE10ELNS1_11target_archE1201ELNS1_3gpuE5ELNS1_3repE0EEENS1_30default_config_static_selectorELNS0_4arch9wavefront6targetE1EEEvT1_,"axG",@progbits,_ZN7rocprim17ROCPRIM_400000_NS6detail17trampoline_kernelINS0_14default_configENS1_27scan_by_key_config_selectorIifEEZZNS1_16scan_by_key_implILNS1_25lookback_scan_determinismE0ELb1ES3_N6thrust23THRUST_200600_302600_NS6detail15normal_iteratorINS9_10device_ptrIiEEEENSB_INSC_IfEEEESG_fNS9_4plusIvEENS9_8equal_toIvEEfEE10hipError_tPvRmT2_T3_T4_T5_mT6_T7_P12ihipStream_tbENKUlT_T0_E_clISt17integral_constantIbLb0EES11_EEDaSW_SX_EUlSW_E_NS1_11comp_targetILNS1_3genE10ELNS1_11target_archE1201ELNS1_3gpuE5ELNS1_3repE0EEENS1_30default_config_static_selectorELNS0_4arch9wavefront6targetE1EEEvT1_,comdat
.Lfunc_end1428:
	.size	_ZN7rocprim17ROCPRIM_400000_NS6detail17trampoline_kernelINS0_14default_configENS1_27scan_by_key_config_selectorIifEEZZNS1_16scan_by_key_implILNS1_25lookback_scan_determinismE0ELb1ES3_N6thrust23THRUST_200600_302600_NS6detail15normal_iteratorINS9_10device_ptrIiEEEENSB_INSC_IfEEEESG_fNS9_4plusIvEENS9_8equal_toIvEEfEE10hipError_tPvRmT2_T3_T4_T5_mT6_T7_P12ihipStream_tbENKUlT_T0_E_clISt17integral_constantIbLb0EES11_EEDaSW_SX_EUlSW_E_NS1_11comp_targetILNS1_3genE10ELNS1_11target_archE1201ELNS1_3gpuE5ELNS1_3repE0EEENS1_30default_config_static_selectorELNS0_4arch9wavefront6targetE1EEEvT1_, .Lfunc_end1428-_ZN7rocprim17ROCPRIM_400000_NS6detail17trampoline_kernelINS0_14default_configENS1_27scan_by_key_config_selectorIifEEZZNS1_16scan_by_key_implILNS1_25lookback_scan_determinismE0ELb1ES3_N6thrust23THRUST_200600_302600_NS6detail15normal_iteratorINS9_10device_ptrIiEEEENSB_INSC_IfEEEESG_fNS9_4plusIvEENS9_8equal_toIvEEfEE10hipError_tPvRmT2_T3_T4_T5_mT6_T7_P12ihipStream_tbENKUlT_T0_E_clISt17integral_constantIbLb0EES11_EEDaSW_SX_EUlSW_E_NS1_11comp_targetILNS1_3genE10ELNS1_11target_archE1201ELNS1_3gpuE5ELNS1_3repE0EEENS1_30default_config_static_selectorELNS0_4arch9wavefront6targetE1EEEvT1_
                                        ; -- End function
	.section	.AMDGPU.csdata,"",@progbits
; Kernel info:
; codeLenInByte = 0
; NumSgprs: 4
; NumVgprs: 0
; NumAgprs: 0
; TotalNumVgprs: 0
; ScratchSize: 0
; MemoryBound: 0
; FloatMode: 240
; IeeeMode: 1
; LDSByteSize: 0 bytes/workgroup (compile time only)
; SGPRBlocks: 0
; VGPRBlocks: 0
; NumSGPRsForWavesPerEU: 4
; NumVGPRsForWavesPerEU: 1
; AccumOffset: 4
; Occupancy: 8
; WaveLimiterHint : 0
; COMPUTE_PGM_RSRC2:SCRATCH_EN: 0
; COMPUTE_PGM_RSRC2:USER_SGPR: 6
; COMPUTE_PGM_RSRC2:TRAP_HANDLER: 0
; COMPUTE_PGM_RSRC2:TGID_X_EN: 1
; COMPUTE_PGM_RSRC2:TGID_Y_EN: 0
; COMPUTE_PGM_RSRC2:TGID_Z_EN: 0
; COMPUTE_PGM_RSRC2:TIDIG_COMP_CNT: 0
; COMPUTE_PGM_RSRC3_GFX90A:ACCUM_OFFSET: 0
; COMPUTE_PGM_RSRC3_GFX90A:TG_SPLIT: 0
	.section	.text._ZN7rocprim17ROCPRIM_400000_NS6detail17trampoline_kernelINS0_14default_configENS1_27scan_by_key_config_selectorIifEEZZNS1_16scan_by_key_implILNS1_25lookback_scan_determinismE0ELb1ES3_N6thrust23THRUST_200600_302600_NS6detail15normal_iteratorINS9_10device_ptrIiEEEENSB_INSC_IfEEEESG_fNS9_4plusIvEENS9_8equal_toIvEEfEE10hipError_tPvRmT2_T3_T4_T5_mT6_T7_P12ihipStream_tbENKUlT_T0_E_clISt17integral_constantIbLb0EES11_EEDaSW_SX_EUlSW_E_NS1_11comp_targetILNS1_3genE5ELNS1_11target_archE942ELNS1_3gpuE9ELNS1_3repE0EEENS1_30default_config_static_selectorELNS0_4arch9wavefront6targetE1EEEvT1_,"axG",@progbits,_ZN7rocprim17ROCPRIM_400000_NS6detail17trampoline_kernelINS0_14default_configENS1_27scan_by_key_config_selectorIifEEZZNS1_16scan_by_key_implILNS1_25lookback_scan_determinismE0ELb1ES3_N6thrust23THRUST_200600_302600_NS6detail15normal_iteratorINS9_10device_ptrIiEEEENSB_INSC_IfEEEESG_fNS9_4plusIvEENS9_8equal_toIvEEfEE10hipError_tPvRmT2_T3_T4_T5_mT6_T7_P12ihipStream_tbENKUlT_T0_E_clISt17integral_constantIbLb0EES11_EEDaSW_SX_EUlSW_E_NS1_11comp_targetILNS1_3genE5ELNS1_11target_archE942ELNS1_3gpuE9ELNS1_3repE0EEENS1_30default_config_static_selectorELNS0_4arch9wavefront6targetE1EEEvT1_,comdat
	.protected	_ZN7rocprim17ROCPRIM_400000_NS6detail17trampoline_kernelINS0_14default_configENS1_27scan_by_key_config_selectorIifEEZZNS1_16scan_by_key_implILNS1_25lookback_scan_determinismE0ELb1ES3_N6thrust23THRUST_200600_302600_NS6detail15normal_iteratorINS9_10device_ptrIiEEEENSB_INSC_IfEEEESG_fNS9_4plusIvEENS9_8equal_toIvEEfEE10hipError_tPvRmT2_T3_T4_T5_mT6_T7_P12ihipStream_tbENKUlT_T0_E_clISt17integral_constantIbLb0EES11_EEDaSW_SX_EUlSW_E_NS1_11comp_targetILNS1_3genE5ELNS1_11target_archE942ELNS1_3gpuE9ELNS1_3repE0EEENS1_30default_config_static_selectorELNS0_4arch9wavefront6targetE1EEEvT1_ ; -- Begin function _ZN7rocprim17ROCPRIM_400000_NS6detail17trampoline_kernelINS0_14default_configENS1_27scan_by_key_config_selectorIifEEZZNS1_16scan_by_key_implILNS1_25lookback_scan_determinismE0ELb1ES3_N6thrust23THRUST_200600_302600_NS6detail15normal_iteratorINS9_10device_ptrIiEEEENSB_INSC_IfEEEESG_fNS9_4plusIvEENS9_8equal_toIvEEfEE10hipError_tPvRmT2_T3_T4_T5_mT6_T7_P12ihipStream_tbENKUlT_T0_E_clISt17integral_constantIbLb0EES11_EEDaSW_SX_EUlSW_E_NS1_11comp_targetILNS1_3genE5ELNS1_11target_archE942ELNS1_3gpuE9ELNS1_3repE0EEENS1_30default_config_static_selectorELNS0_4arch9wavefront6targetE1EEEvT1_
	.globl	_ZN7rocprim17ROCPRIM_400000_NS6detail17trampoline_kernelINS0_14default_configENS1_27scan_by_key_config_selectorIifEEZZNS1_16scan_by_key_implILNS1_25lookback_scan_determinismE0ELb1ES3_N6thrust23THRUST_200600_302600_NS6detail15normal_iteratorINS9_10device_ptrIiEEEENSB_INSC_IfEEEESG_fNS9_4plusIvEENS9_8equal_toIvEEfEE10hipError_tPvRmT2_T3_T4_T5_mT6_T7_P12ihipStream_tbENKUlT_T0_E_clISt17integral_constantIbLb0EES11_EEDaSW_SX_EUlSW_E_NS1_11comp_targetILNS1_3genE5ELNS1_11target_archE942ELNS1_3gpuE9ELNS1_3repE0EEENS1_30default_config_static_selectorELNS0_4arch9wavefront6targetE1EEEvT1_
	.p2align	8
	.type	_ZN7rocprim17ROCPRIM_400000_NS6detail17trampoline_kernelINS0_14default_configENS1_27scan_by_key_config_selectorIifEEZZNS1_16scan_by_key_implILNS1_25lookback_scan_determinismE0ELb1ES3_N6thrust23THRUST_200600_302600_NS6detail15normal_iteratorINS9_10device_ptrIiEEEENSB_INSC_IfEEEESG_fNS9_4plusIvEENS9_8equal_toIvEEfEE10hipError_tPvRmT2_T3_T4_T5_mT6_T7_P12ihipStream_tbENKUlT_T0_E_clISt17integral_constantIbLb0EES11_EEDaSW_SX_EUlSW_E_NS1_11comp_targetILNS1_3genE5ELNS1_11target_archE942ELNS1_3gpuE9ELNS1_3repE0EEENS1_30default_config_static_selectorELNS0_4arch9wavefront6targetE1EEEvT1_,@function
_ZN7rocprim17ROCPRIM_400000_NS6detail17trampoline_kernelINS0_14default_configENS1_27scan_by_key_config_selectorIifEEZZNS1_16scan_by_key_implILNS1_25lookback_scan_determinismE0ELb1ES3_N6thrust23THRUST_200600_302600_NS6detail15normal_iteratorINS9_10device_ptrIiEEEENSB_INSC_IfEEEESG_fNS9_4plusIvEENS9_8equal_toIvEEfEE10hipError_tPvRmT2_T3_T4_T5_mT6_T7_P12ihipStream_tbENKUlT_T0_E_clISt17integral_constantIbLb0EES11_EEDaSW_SX_EUlSW_E_NS1_11comp_targetILNS1_3genE5ELNS1_11target_archE942ELNS1_3gpuE9ELNS1_3repE0EEENS1_30default_config_static_selectorELNS0_4arch9wavefront6targetE1EEEvT1_: ; @_ZN7rocprim17ROCPRIM_400000_NS6detail17trampoline_kernelINS0_14default_configENS1_27scan_by_key_config_selectorIifEEZZNS1_16scan_by_key_implILNS1_25lookback_scan_determinismE0ELb1ES3_N6thrust23THRUST_200600_302600_NS6detail15normal_iteratorINS9_10device_ptrIiEEEENSB_INSC_IfEEEESG_fNS9_4plusIvEENS9_8equal_toIvEEfEE10hipError_tPvRmT2_T3_T4_T5_mT6_T7_P12ihipStream_tbENKUlT_T0_E_clISt17integral_constantIbLb0EES11_EEDaSW_SX_EUlSW_E_NS1_11comp_targetILNS1_3genE5ELNS1_11target_archE942ELNS1_3gpuE9ELNS1_3repE0EEENS1_30default_config_static_selectorELNS0_4arch9wavefront6targetE1EEEvT1_
; %bb.0:
	.section	.rodata,"a",@progbits
	.p2align	6, 0x0
	.amdhsa_kernel _ZN7rocprim17ROCPRIM_400000_NS6detail17trampoline_kernelINS0_14default_configENS1_27scan_by_key_config_selectorIifEEZZNS1_16scan_by_key_implILNS1_25lookback_scan_determinismE0ELb1ES3_N6thrust23THRUST_200600_302600_NS6detail15normal_iteratorINS9_10device_ptrIiEEEENSB_INSC_IfEEEESG_fNS9_4plusIvEENS9_8equal_toIvEEfEE10hipError_tPvRmT2_T3_T4_T5_mT6_T7_P12ihipStream_tbENKUlT_T0_E_clISt17integral_constantIbLb0EES11_EEDaSW_SX_EUlSW_E_NS1_11comp_targetILNS1_3genE5ELNS1_11target_archE942ELNS1_3gpuE9ELNS1_3repE0EEENS1_30default_config_static_selectorELNS0_4arch9wavefront6targetE1EEEvT1_
		.amdhsa_group_segment_fixed_size 0
		.amdhsa_private_segment_fixed_size 0
		.amdhsa_kernarg_size 112
		.amdhsa_user_sgpr_count 6
		.amdhsa_user_sgpr_private_segment_buffer 1
		.amdhsa_user_sgpr_dispatch_ptr 0
		.amdhsa_user_sgpr_queue_ptr 0
		.amdhsa_user_sgpr_kernarg_segment_ptr 1
		.amdhsa_user_sgpr_dispatch_id 0
		.amdhsa_user_sgpr_flat_scratch_init 0
		.amdhsa_user_sgpr_kernarg_preload_length 0
		.amdhsa_user_sgpr_kernarg_preload_offset 0
		.amdhsa_user_sgpr_private_segment_size 0
		.amdhsa_uses_dynamic_stack 0
		.amdhsa_system_sgpr_private_segment_wavefront_offset 0
		.amdhsa_system_sgpr_workgroup_id_x 1
		.amdhsa_system_sgpr_workgroup_id_y 0
		.amdhsa_system_sgpr_workgroup_id_z 0
		.amdhsa_system_sgpr_workgroup_info 0
		.amdhsa_system_vgpr_workitem_id 0
		.amdhsa_next_free_vgpr 1
		.amdhsa_next_free_sgpr 0
		.amdhsa_accum_offset 4
		.amdhsa_reserve_vcc 0
		.amdhsa_reserve_flat_scratch 0
		.amdhsa_float_round_mode_32 0
		.amdhsa_float_round_mode_16_64 0
		.amdhsa_float_denorm_mode_32 3
		.amdhsa_float_denorm_mode_16_64 3
		.amdhsa_dx10_clamp 1
		.amdhsa_ieee_mode 1
		.amdhsa_fp16_overflow 0
		.amdhsa_tg_split 0
		.amdhsa_exception_fp_ieee_invalid_op 0
		.amdhsa_exception_fp_denorm_src 0
		.amdhsa_exception_fp_ieee_div_zero 0
		.amdhsa_exception_fp_ieee_overflow 0
		.amdhsa_exception_fp_ieee_underflow 0
		.amdhsa_exception_fp_ieee_inexact 0
		.amdhsa_exception_int_div_zero 0
	.end_amdhsa_kernel
	.section	.text._ZN7rocprim17ROCPRIM_400000_NS6detail17trampoline_kernelINS0_14default_configENS1_27scan_by_key_config_selectorIifEEZZNS1_16scan_by_key_implILNS1_25lookback_scan_determinismE0ELb1ES3_N6thrust23THRUST_200600_302600_NS6detail15normal_iteratorINS9_10device_ptrIiEEEENSB_INSC_IfEEEESG_fNS9_4plusIvEENS9_8equal_toIvEEfEE10hipError_tPvRmT2_T3_T4_T5_mT6_T7_P12ihipStream_tbENKUlT_T0_E_clISt17integral_constantIbLb0EES11_EEDaSW_SX_EUlSW_E_NS1_11comp_targetILNS1_3genE5ELNS1_11target_archE942ELNS1_3gpuE9ELNS1_3repE0EEENS1_30default_config_static_selectorELNS0_4arch9wavefront6targetE1EEEvT1_,"axG",@progbits,_ZN7rocprim17ROCPRIM_400000_NS6detail17trampoline_kernelINS0_14default_configENS1_27scan_by_key_config_selectorIifEEZZNS1_16scan_by_key_implILNS1_25lookback_scan_determinismE0ELb1ES3_N6thrust23THRUST_200600_302600_NS6detail15normal_iteratorINS9_10device_ptrIiEEEENSB_INSC_IfEEEESG_fNS9_4plusIvEENS9_8equal_toIvEEfEE10hipError_tPvRmT2_T3_T4_T5_mT6_T7_P12ihipStream_tbENKUlT_T0_E_clISt17integral_constantIbLb0EES11_EEDaSW_SX_EUlSW_E_NS1_11comp_targetILNS1_3genE5ELNS1_11target_archE942ELNS1_3gpuE9ELNS1_3repE0EEENS1_30default_config_static_selectorELNS0_4arch9wavefront6targetE1EEEvT1_,comdat
.Lfunc_end1429:
	.size	_ZN7rocprim17ROCPRIM_400000_NS6detail17trampoline_kernelINS0_14default_configENS1_27scan_by_key_config_selectorIifEEZZNS1_16scan_by_key_implILNS1_25lookback_scan_determinismE0ELb1ES3_N6thrust23THRUST_200600_302600_NS6detail15normal_iteratorINS9_10device_ptrIiEEEENSB_INSC_IfEEEESG_fNS9_4plusIvEENS9_8equal_toIvEEfEE10hipError_tPvRmT2_T3_T4_T5_mT6_T7_P12ihipStream_tbENKUlT_T0_E_clISt17integral_constantIbLb0EES11_EEDaSW_SX_EUlSW_E_NS1_11comp_targetILNS1_3genE5ELNS1_11target_archE942ELNS1_3gpuE9ELNS1_3repE0EEENS1_30default_config_static_selectorELNS0_4arch9wavefront6targetE1EEEvT1_, .Lfunc_end1429-_ZN7rocprim17ROCPRIM_400000_NS6detail17trampoline_kernelINS0_14default_configENS1_27scan_by_key_config_selectorIifEEZZNS1_16scan_by_key_implILNS1_25lookback_scan_determinismE0ELb1ES3_N6thrust23THRUST_200600_302600_NS6detail15normal_iteratorINS9_10device_ptrIiEEEENSB_INSC_IfEEEESG_fNS9_4plusIvEENS9_8equal_toIvEEfEE10hipError_tPvRmT2_T3_T4_T5_mT6_T7_P12ihipStream_tbENKUlT_T0_E_clISt17integral_constantIbLb0EES11_EEDaSW_SX_EUlSW_E_NS1_11comp_targetILNS1_3genE5ELNS1_11target_archE942ELNS1_3gpuE9ELNS1_3repE0EEENS1_30default_config_static_selectorELNS0_4arch9wavefront6targetE1EEEvT1_
                                        ; -- End function
	.section	.AMDGPU.csdata,"",@progbits
; Kernel info:
; codeLenInByte = 0
; NumSgprs: 4
; NumVgprs: 0
; NumAgprs: 0
; TotalNumVgprs: 0
; ScratchSize: 0
; MemoryBound: 0
; FloatMode: 240
; IeeeMode: 1
; LDSByteSize: 0 bytes/workgroup (compile time only)
; SGPRBlocks: 0
; VGPRBlocks: 0
; NumSGPRsForWavesPerEU: 4
; NumVGPRsForWavesPerEU: 1
; AccumOffset: 4
; Occupancy: 8
; WaveLimiterHint : 0
; COMPUTE_PGM_RSRC2:SCRATCH_EN: 0
; COMPUTE_PGM_RSRC2:USER_SGPR: 6
; COMPUTE_PGM_RSRC2:TRAP_HANDLER: 0
; COMPUTE_PGM_RSRC2:TGID_X_EN: 1
; COMPUTE_PGM_RSRC2:TGID_Y_EN: 0
; COMPUTE_PGM_RSRC2:TGID_Z_EN: 0
; COMPUTE_PGM_RSRC2:TIDIG_COMP_CNT: 0
; COMPUTE_PGM_RSRC3_GFX90A:ACCUM_OFFSET: 0
; COMPUTE_PGM_RSRC3_GFX90A:TG_SPLIT: 0
	.section	.text._ZN7rocprim17ROCPRIM_400000_NS6detail17trampoline_kernelINS0_14default_configENS1_27scan_by_key_config_selectorIifEEZZNS1_16scan_by_key_implILNS1_25lookback_scan_determinismE0ELb1ES3_N6thrust23THRUST_200600_302600_NS6detail15normal_iteratorINS9_10device_ptrIiEEEENSB_INSC_IfEEEESG_fNS9_4plusIvEENS9_8equal_toIvEEfEE10hipError_tPvRmT2_T3_T4_T5_mT6_T7_P12ihipStream_tbENKUlT_T0_E_clISt17integral_constantIbLb0EES11_EEDaSW_SX_EUlSW_E_NS1_11comp_targetILNS1_3genE4ELNS1_11target_archE910ELNS1_3gpuE8ELNS1_3repE0EEENS1_30default_config_static_selectorELNS0_4arch9wavefront6targetE1EEEvT1_,"axG",@progbits,_ZN7rocprim17ROCPRIM_400000_NS6detail17trampoline_kernelINS0_14default_configENS1_27scan_by_key_config_selectorIifEEZZNS1_16scan_by_key_implILNS1_25lookback_scan_determinismE0ELb1ES3_N6thrust23THRUST_200600_302600_NS6detail15normal_iteratorINS9_10device_ptrIiEEEENSB_INSC_IfEEEESG_fNS9_4plusIvEENS9_8equal_toIvEEfEE10hipError_tPvRmT2_T3_T4_T5_mT6_T7_P12ihipStream_tbENKUlT_T0_E_clISt17integral_constantIbLb0EES11_EEDaSW_SX_EUlSW_E_NS1_11comp_targetILNS1_3genE4ELNS1_11target_archE910ELNS1_3gpuE8ELNS1_3repE0EEENS1_30default_config_static_selectorELNS0_4arch9wavefront6targetE1EEEvT1_,comdat
	.protected	_ZN7rocprim17ROCPRIM_400000_NS6detail17trampoline_kernelINS0_14default_configENS1_27scan_by_key_config_selectorIifEEZZNS1_16scan_by_key_implILNS1_25lookback_scan_determinismE0ELb1ES3_N6thrust23THRUST_200600_302600_NS6detail15normal_iteratorINS9_10device_ptrIiEEEENSB_INSC_IfEEEESG_fNS9_4plusIvEENS9_8equal_toIvEEfEE10hipError_tPvRmT2_T3_T4_T5_mT6_T7_P12ihipStream_tbENKUlT_T0_E_clISt17integral_constantIbLb0EES11_EEDaSW_SX_EUlSW_E_NS1_11comp_targetILNS1_3genE4ELNS1_11target_archE910ELNS1_3gpuE8ELNS1_3repE0EEENS1_30default_config_static_selectorELNS0_4arch9wavefront6targetE1EEEvT1_ ; -- Begin function _ZN7rocprim17ROCPRIM_400000_NS6detail17trampoline_kernelINS0_14default_configENS1_27scan_by_key_config_selectorIifEEZZNS1_16scan_by_key_implILNS1_25lookback_scan_determinismE0ELb1ES3_N6thrust23THRUST_200600_302600_NS6detail15normal_iteratorINS9_10device_ptrIiEEEENSB_INSC_IfEEEESG_fNS9_4plusIvEENS9_8equal_toIvEEfEE10hipError_tPvRmT2_T3_T4_T5_mT6_T7_P12ihipStream_tbENKUlT_T0_E_clISt17integral_constantIbLb0EES11_EEDaSW_SX_EUlSW_E_NS1_11comp_targetILNS1_3genE4ELNS1_11target_archE910ELNS1_3gpuE8ELNS1_3repE0EEENS1_30default_config_static_selectorELNS0_4arch9wavefront6targetE1EEEvT1_
	.globl	_ZN7rocprim17ROCPRIM_400000_NS6detail17trampoline_kernelINS0_14default_configENS1_27scan_by_key_config_selectorIifEEZZNS1_16scan_by_key_implILNS1_25lookback_scan_determinismE0ELb1ES3_N6thrust23THRUST_200600_302600_NS6detail15normal_iteratorINS9_10device_ptrIiEEEENSB_INSC_IfEEEESG_fNS9_4plusIvEENS9_8equal_toIvEEfEE10hipError_tPvRmT2_T3_T4_T5_mT6_T7_P12ihipStream_tbENKUlT_T0_E_clISt17integral_constantIbLb0EES11_EEDaSW_SX_EUlSW_E_NS1_11comp_targetILNS1_3genE4ELNS1_11target_archE910ELNS1_3gpuE8ELNS1_3repE0EEENS1_30default_config_static_selectorELNS0_4arch9wavefront6targetE1EEEvT1_
	.p2align	8
	.type	_ZN7rocprim17ROCPRIM_400000_NS6detail17trampoline_kernelINS0_14default_configENS1_27scan_by_key_config_selectorIifEEZZNS1_16scan_by_key_implILNS1_25lookback_scan_determinismE0ELb1ES3_N6thrust23THRUST_200600_302600_NS6detail15normal_iteratorINS9_10device_ptrIiEEEENSB_INSC_IfEEEESG_fNS9_4plusIvEENS9_8equal_toIvEEfEE10hipError_tPvRmT2_T3_T4_T5_mT6_T7_P12ihipStream_tbENKUlT_T0_E_clISt17integral_constantIbLb0EES11_EEDaSW_SX_EUlSW_E_NS1_11comp_targetILNS1_3genE4ELNS1_11target_archE910ELNS1_3gpuE8ELNS1_3repE0EEENS1_30default_config_static_selectorELNS0_4arch9wavefront6targetE1EEEvT1_,@function
_ZN7rocprim17ROCPRIM_400000_NS6detail17trampoline_kernelINS0_14default_configENS1_27scan_by_key_config_selectorIifEEZZNS1_16scan_by_key_implILNS1_25lookback_scan_determinismE0ELb1ES3_N6thrust23THRUST_200600_302600_NS6detail15normal_iteratorINS9_10device_ptrIiEEEENSB_INSC_IfEEEESG_fNS9_4plusIvEENS9_8equal_toIvEEfEE10hipError_tPvRmT2_T3_T4_T5_mT6_T7_P12ihipStream_tbENKUlT_T0_E_clISt17integral_constantIbLb0EES11_EEDaSW_SX_EUlSW_E_NS1_11comp_targetILNS1_3genE4ELNS1_11target_archE910ELNS1_3gpuE8ELNS1_3repE0EEENS1_30default_config_static_selectorELNS0_4arch9wavefront6targetE1EEEvT1_: ; @_ZN7rocprim17ROCPRIM_400000_NS6detail17trampoline_kernelINS0_14default_configENS1_27scan_by_key_config_selectorIifEEZZNS1_16scan_by_key_implILNS1_25lookback_scan_determinismE0ELb1ES3_N6thrust23THRUST_200600_302600_NS6detail15normal_iteratorINS9_10device_ptrIiEEEENSB_INSC_IfEEEESG_fNS9_4plusIvEENS9_8equal_toIvEEfEE10hipError_tPvRmT2_T3_T4_T5_mT6_T7_P12ihipStream_tbENKUlT_T0_E_clISt17integral_constantIbLb0EES11_EEDaSW_SX_EUlSW_E_NS1_11comp_targetILNS1_3genE4ELNS1_11target_archE910ELNS1_3gpuE8ELNS1_3repE0EEENS1_30default_config_static_selectorELNS0_4arch9wavefront6targetE1EEEvT1_
; %bb.0:
	s_load_dwordx8 s[36:43], s[4:5], 0x0
	s_load_dword s7, s[4:5], 0x20
	s_load_dwordx4 s[44:47], s[4:5], 0x28
	s_load_dwordx2 s[52:53], s[4:5], 0x38
	s_load_dword s0, s[4:5], 0x40
	s_load_dwordx4 s[48:51], s[4:5], 0x48
	s_waitcnt lgkmcnt(0)
	s_lshl_b64 s[34:35], s[38:39], 2
	s_add_u32 s2, s36, s34
	s_addc_u32 s3, s37, s35
	s_add_u32 s4, s40, s34
	s_mul_i32 s1, s53, s0
	s_mul_hi_u32 s8, s52, s0
	s_addc_u32 s5, s41, s35
	s_add_i32 s8, s8, s1
	s_mul_i32 s9, s52, s0
	s_mul_i32 s0, s6, 0xe00
	s_mov_b32 s1, 0
	s_lshl_b64 s[36:37], s[0:1], 2
	s_add_u32 s38, s2, s36
	s_addc_u32 s39, s3, s37
	s_add_u32 s47, s4, s36
	s_addc_u32 s56, s5, s37
	;; [unrolled: 2-line block ×3, first 2 shown]
	s_add_u32 s4, s48, -1
	s_addc_u32 s5, s49, -1
	v_pk_mov_b32 v[2:3], s[4:5], s[4:5] op_sel:[0,1]
	v_cmp_ge_u64_e64 s[0:1], s[0:1], v[2:3]
	s_mov_b64 s[2:3], -1
	s_and_b64 vcc, exec, s[0:1]
	s_mul_i32 s33, s4, 0xfffff200
	s_barrier
	s_cbranch_vccz .LBB1430_76
; %bb.1:
	v_pk_mov_b32 v[2:3], s[38:39], s[38:39] op_sel:[0,1]
	flat_load_dword v2, v[2:3]
	s_add_i32 s58, s33, s46
	v_cmp_gt_u32_e32 vcc, s58, v0
	s_waitcnt vmcnt(0) lgkmcnt(0)
	v_mov_b32_e32 v3, v2
	s_and_saveexec_b64 s[4:5], vcc
	s_cbranch_execz .LBB1430_3
; %bb.2:
	v_lshlrev_b32_e32 v1, 2, v0
	v_mov_b32_e32 v3, s39
	v_add_co_u32_e64 v4, s[2:3], s38, v1
	v_addc_co_u32_e64 v5, s[2:3], 0, v3, s[2:3]
	flat_load_dword v3, v[4:5]
.LBB1430_3:
	s_or_b64 exec, exec, s[4:5]
	v_or_b32_e32 v1, 0x100, v0
	v_cmp_gt_u32_e64 s[2:3], s58, v1
	v_mov_b32_e32 v4, v2
	s_and_saveexec_b64 s[8:9], s[2:3]
	s_cbranch_execz .LBB1430_5
; %bb.4:
	v_lshlrev_b32_e32 v1, 2, v0
	v_mov_b32_e32 v5, s39
	v_add_co_u32_e64 v4, s[4:5], s38, v1
	v_addc_co_u32_e64 v5, s[4:5], 0, v5, s[4:5]
	flat_load_dword v4, v[4:5] offset:1024
.LBB1430_5:
	s_or_b64 exec, exec, s[8:9]
	v_or_b32_e32 v1, 0x200, v0
	v_cmp_gt_u32_e64 s[4:5], s58, v1
	v_mov_b32_e32 v5, v2
	s_and_saveexec_b64 s[10:11], s[4:5]
	s_cbranch_execz .LBB1430_7
; %bb.6:
	v_lshlrev_b32_e32 v1, 2, v0
	v_mov_b32_e32 v5, s39
	v_add_co_u32_e64 v6, s[8:9], s38, v1
	v_addc_co_u32_e64 v7, s[8:9], 0, v5, s[8:9]
	flat_load_dword v5, v[6:7] offset:2048
.LBB1430_7:
	;; [unrolled: 13-line block ×3, first 2 shown]
	s_or_b64 exec, exec, s[10:11]
	v_or_b32_e32 v1, 0x400, v0
	v_cmp_gt_u32_e64 s[8:9], s58, v1
	v_lshlrev_b32_e32 v1, 2, v1
	v_mov_b32_e32 v7, v2
	s_and_saveexec_b64 s[12:13], s[8:9]
	s_cbranch_execz .LBB1430_11
; %bb.10:
	v_mov_b32_e32 v7, s39
	v_add_co_u32_e64 v8, s[10:11], s38, v1
	v_addc_co_u32_e64 v9, s[10:11], 0, v7, s[10:11]
	flat_load_dword v7, v[8:9]
.LBB1430_11:
	s_or_b64 exec, exec, s[12:13]
	v_or_b32_e32 v8, 0x500, v0
	v_cmp_gt_u32_e64 s[10:11], s58, v8
	v_lshlrev_b32_e32 v16, 2, v8
	v_mov_b32_e32 v8, v2
	s_and_saveexec_b64 s[14:15], s[10:11]
	s_cbranch_execz .LBB1430_13
; %bb.12:
	v_mov_b32_e32 v9, s39
	v_add_co_u32_e64 v8, s[12:13], s38, v16
	v_addc_co_u32_e64 v9, s[12:13], 0, v9, s[12:13]
	flat_load_dword v8, v[8:9]
.LBB1430_13:
	;; [unrolled: 13-line block ×9, first 2 shown]
	s_or_b64 exec, exec, s[30:31]
	v_or_b32_e32 v18, 0xd00, v0
	v_cmp_gt_u32_e64 s[26:27], s58, v18
	v_lshlrev_b32_e32 v26, 2, v18
	s_and_saveexec_b64 s[40:41], s[26:27]
	s_cbranch_execz .LBB1430_29
; %bb.28:
	v_mov_b32_e32 v2, s39
	v_add_co_u32_e64 v18, s[30:31], s38, v26
	v_addc_co_u32_e64 v19, s[30:31], 0, v2, s[30:31]
	flat_load_dword v2, v[18:19]
.LBB1430_29:
	s_or_b64 exec, exec, s[40:41]
	v_lshlrev_b32_e32 v27, 2, v0
	s_waitcnt vmcnt(0) lgkmcnt(0)
	ds_write2st64_b32 v27, v3, v4 offset1:4
	ds_write2st64_b32 v27, v5, v6 offset0:8 offset1:12
	ds_write2st64_b32 v27, v7, v8 offset0:16 offset1:20
	;; [unrolled: 1-line block ×6, first 2 shown]
	v_pk_mov_b32 v[2:3], s[38:39], s[38:39] op_sel:[0,1]
	s_waitcnt lgkmcnt(0)
	s_barrier
	flat_load_dword v18, v[2:3]
	v_mad_u32_u24 v19, v0, 52, v27
	s_movk_i32 s30, 0xffcc
	ds_read2_b64 v[10:13], v19 offset1:1
	ds_read2_b64 v[6:9], v19 offset0:2 offset1:3
	ds_read2_b64 v[2:5], v19 offset0:4 offset1:5
	ds_read_b64 v[14:15], v19 offset:48
	v_mad_i32_i24 v28, v0, s30, v19
	s_movk_i32 s30, 0xff
	v_cmp_ne_u32_e64 s[30:31], s30, v0
	s_waitcnt lgkmcnt(0)
	ds_write_b32 v28, v10 offset:15360
	s_waitcnt lgkmcnt(0)
	s_barrier
	s_and_saveexec_b64 s[40:41], s[30:31]
	s_cbranch_execz .LBB1430_31
; %bb.30:
	s_waitcnt vmcnt(0)
	ds_read_b32 v18, v27 offset:15364
.LBB1430_31:
	s_or_b64 exec, exec, s[40:41]
	s_waitcnt lgkmcnt(0)
	s_barrier
	s_waitcnt lgkmcnt(0)
                                        ; implicit-def: $vgpr28
	s_and_saveexec_b64 s[30:31], vcc
	s_cbranch_execz .LBB1430_147
; %bb.32:
	v_mov_b32_e32 v29, s56
	v_add_co_u32_e32 v28, vcc, s47, v27
	v_addc_co_u32_e32 v29, vcc, 0, v29, vcc
	flat_load_dword v28, v[28:29]
	s_or_b64 exec, exec, s[30:31]
                                        ; implicit-def: $vgpr29
	s_and_saveexec_b64 s[30:31], s[2:3]
	s_cbranch_execnz .LBB1430_148
.LBB1430_33:
	s_or_b64 exec, exec, s[30:31]
                                        ; implicit-def: $vgpr30
	s_and_saveexec_b64 s[2:3], s[4:5]
	s_cbranch_execz .LBB1430_149
.LBB1430_34:
	v_mov_b32_e32 v31, s56
	v_add_co_u32_e32 v30, vcc, s47, v27
	v_addc_co_u32_e32 v31, vcc, 0, v31, vcc
	flat_load_dword v30, v[30:31] offset:2048
	s_or_b64 exec, exec, s[2:3]
                                        ; implicit-def: $vgpr31
	s_and_saveexec_b64 s[2:3], s[28:29]
	s_cbranch_execnz .LBB1430_150
.LBB1430_35:
	s_or_b64 exec, exec, s[2:3]
                                        ; implicit-def: $vgpr32
	s_and_saveexec_b64 s[2:3], s[8:9]
	s_cbranch_execz .LBB1430_151
.LBB1430_36:
	v_mov_b32_e32 v33, s56
	v_add_co_u32_e32 v32, vcc, s47, v1
	v_addc_co_u32_e32 v33, vcc, 0, v33, vcc
	flat_load_dword v32, v[32:33]
	s_or_b64 exec, exec, s[2:3]
                                        ; implicit-def: $vgpr1
	s_and_saveexec_b64 s[2:3], s[10:11]
	s_cbranch_execnz .LBB1430_152
.LBB1430_37:
	s_or_b64 exec, exec, s[2:3]
                                        ; implicit-def: $vgpr16
	s_and_saveexec_b64 s[2:3], s[12:13]
	s_cbranch_execz .LBB1430_153
.LBB1430_38:
	v_mov_b32_e32 v33, s56
	v_add_co_u32_e32 v16, vcc, s47, v17
	v_addc_co_u32_e32 v17, vcc, 0, v33, vcc
	flat_load_dword v16, v[16:17]
	s_or_b64 exec, exec, s[2:3]
                                        ; implicit-def: $vgpr17
	s_and_saveexec_b64 s[2:3], s[14:15]
	s_cbranch_execnz .LBB1430_154
.LBB1430_39:
	s_or_b64 exec, exec, s[2:3]
                                        ; implicit-def: $vgpr33
	s_and_saveexec_b64 s[2:3], s[16:17]
	s_cbranch_execz .LBB1430_155
.LBB1430_40:
	v_mov_b32_e32 v33, s56
	v_add_co_u32_e32 v20, vcc, s47, v21
	v_addc_co_u32_e32 v21, vcc, 0, v33, vcc
	flat_load_dword v33, v[20:21]
	s_or_b64 exec, exec, s[2:3]
                                        ; implicit-def: $vgpr21
	s_and_saveexec_b64 s[2:3], s[18:19]
	s_cbranch_execnz .LBB1430_156
.LBB1430_41:
	s_or_b64 exec, exec, s[2:3]
                                        ; implicit-def: $vgpr22
	s_and_saveexec_b64 s[2:3], s[20:21]
	s_cbranch_execz .LBB1430_157
.LBB1430_42:
	v_mov_b32_e32 v20, s56
	v_add_co_u32_e32 v22, vcc, s47, v23
	v_addc_co_u32_e32 v23, vcc, 0, v20, vcc
	flat_load_dword v22, v[22:23]
	s_or_b64 exec, exec, s[2:3]
                                        ; implicit-def: $vgpr23
	s_and_saveexec_b64 s[2:3], s[22:23]
	s_cbranch_execnz .LBB1430_158
.LBB1430_43:
	s_or_b64 exec, exec, s[2:3]
                                        ; implicit-def: $vgpr24
	s_and_saveexec_b64 s[2:3], s[24:25]
	s_cbranch_execz .LBB1430_45
.LBB1430_44:
	v_mov_b32_e32 v20, s56
	v_add_co_u32_e32 v24, vcc, s47, v25
	v_addc_co_u32_e32 v25, vcc, 0, v20, vcc
	flat_load_dword v24, v[24:25]
.LBB1430_45:
	s_or_b64 exec, exec, s[2:3]
	v_mul_u32_u24_e32 v20, 14, v0
                                        ; implicit-def: $vgpr25
	s_and_saveexec_b64 s[2:3], s[26:27]
	s_cbranch_execz .LBB1430_47
; %bb.46:
	v_mov_b32_e32 v25, s56
	v_add_co_u32_e32 v34, vcc, s47, v26
	v_addc_co_u32_e32 v35, vcc, 0, v25, vcc
	flat_load_dword v25, v[34:35]
.LBB1430_47:
	s_or_b64 exec, exec, s[2:3]
	s_waitcnt vmcnt(0) lgkmcnt(0)
	ds_write2st64_b32 v27, v28, v29 offset1:4
	ds_write2st64_b32 v27, v30, v31 offset0:8 offset1:12
	ds_write2st64_b32 v27, v32, v1 offset0:16 offset1:20
	;; [unrolled: 1-line block ×6, first 2 shown]
	v_cmp_gt_u32_e32 vcc, s58, v20
	s_mov_b64 s[2:3], 0
	s_mov_b32 s57, 0
	v_mov_b32_e32 v1, 0
	v_mov_b32_e32 v24, 0
	s_mov_b64 s[10:11], 0
	v_mov_b32_e32 v39, 0
	v_mov_b32_e32 v28, 0
	;; [unrolled: 1-line block ×24, first 2 shown]
	s_waitcnt lgkmcnt(0)
	s_barrier
	s_waitcnt lgkmcnt(0)
                                        ; implicit-def: $sgpr8_sgpr9
                                        ; implicit-def: $vgpr16
	s_and_saveexec_b64 s[4:5], vcc
	s_cbranch_execz .LBB1430_75
; %bb.48:
	ds_read_b32 v16, v19
	v_or_b32_e32 v17, 1, v20
	v_cmp_ne_u32_e32 vcc, v10, v11
	v_mov_b32_e32 v10, s7
	v_cndmask_b32_e64 v1, 0, 1, vcc
	s_waitcnt lgkmcnt(0)
	v_cndmask_b32_e32 v28, v16, v10, vcc
	v_cmp_gt_u32_e32 vcc, s58, v17
	v_mov_b32_e32 v24, 0
	v_mov_b32_e32 v39, 0
	v_mov_b32_e32 v38, 0
	v_mov_b32_e32 v48, 0
	v_mov_b32_e32 v32, 0
	v_mov_b32_e32 v37, 0
	v_mov_b32_e32 v47, 0
	v_mov_b32_e32 v26, 0
	v_mov_b32_e32 v36, 0
	v_mov_b32_e32 v46, 0
	v_mov_b32_e32 v35, 0
	v_mov_b32_e32 v34, 0
	v_mov_b32_e32 v45, 0
	v_mov_b32_e32 v27, 0
	v_mov_b32_e32 v33, 0
	v_mov_b32_e32 v44, 0
	v_mov_b32_e32 v40, 0
	v_mov_b32_e32 v31, 0
	v_mov_b32_e32 v43, 0
	v_mov_b32_e32 v29, 0
	v_mov_b32_e32 v30, 0
	v_mov_b32_e32 v42, 0
	v_mov_b32_e32 v41, 0
	v_mov_b32_e32 v25, 0
                                        ; implicit-def: $sgpr12_sgpr13
                                        ; implicit-def: $vgpr16
	s_and_saveexec_b64 s[8:9], vcc
	s_cbranch_execz .LBB1430_74
; %bb.49:
	ds_read2_b32 v[16:17], v19 offset0:1 offset1:2
	v_add_u32_e32 v10, 2, v20
	v_cmp_ne_u32_e32 vcc, v11, v12
	v_mov_b32_e32 v11, s7
	v_cndmask_b32_e64 v32, 0, 1, vcc
	s_waitcnt lgkmcnt(0)
	v_cndmask_b32_e32 v26, v16, v11, vcc
	v_cmp_gt_u32_e32 vcc, s58, v10
	s_mov_b64 s[14:15], 0
	v_mov_b32_e32 v24, 0
	v_mov_b32_e32 v39, 0
	;; [unrolled: 1-line block ×22, first 2 shown]
                                        ; implicit-def: $sgpr12_sgpr13
                                        ; implicit-def: $vgpr16
	s_and_saveexec_b64 s[10:11], vcc
	s_cbranch_execz .LBB1430_73
; %bb.50:
	v_add_u32_e32 v10, 3, v20
	v_cmp_ne_u32_e32 vcc, v12, v13
	v_mov_b32_e32 v11, s7
	v_cndmask_b32_e64 v35, 0, 1, vcc
	v_cndmask_b32_e32 v27, v17, v11, vcc
	v_cmp_gt_u32_e32 vcc, s58, v10
	v_mov_b32_e32 v24, 0
	v_mov_b32_e32 v39, 0
	;; [unrolled: 1-line block ×20, first 2 shown]
                                        ; implicit-def: $sgpr16_sgpr17
                                        ; implicit-def: $vgpr16
	s_and_saveexec_b64 s[12:13], vcc
	s_cbranch_execz .LBB1430_72
; %bb.51:
	ds_read2_b32 v[10:11], v19 offset0:3 offset1:4
	v_add_u32_e32 v12, 4, v20
	v_cmp_ne_u32_e32 vcc, v13, v6
	v_mov_b32_e32 v13, s7
	v_cndmask_b32_e64 v40, 0, 1, vcc
	s_waitcnt lgkmcnt(0)
	v_cndmask_b32_e32 v29, v10, v13, vcc
	v_cmp_gt_u32_e32 vcc, s58, v12
	s_mov_b64 s[18:19], 0
	v_mov_b32_e32 v24, 0
	v_mov_b32_e32 v39, 0
	;; [unrolled: 1-line block ×18, first 2 shown]
                                        ; implicit-def: $sgpr16_sgpr17
                                        ; implicit-def: $vgpr16
	s_and_saveexec_b64 s[14:15], vcc
	s_cbranch_execz .LBB1430_71
; %bb.52:
	v_add_u32_e32 v10, 5, v20
	v_cmp_ne_u32_e32 vcc, v6, v7
	v_mov_b32_e32 v6, s7
	v_cndmask_b32_e64 v41, 0, 1, vcc
	v_cndmask_b32_e32 v25, v11, v6, vcc
	v_cmp_gt_u32_e32 vcc, s58, v10
	v_mov_b32_e32 v24, 0
	v_mov_b32_e32 v39, 0
	v_mov_b32_e32 v38, 0
	v_mov_b32_e32 v48, 0
	v_mov_b32_e32 v37, 0
	v_mov_b32_e32 v47, 0
	v_mov_b32_e32 v36, 0
	v_mov_b32_e32 v46, 0
	v_mov_b32_e32 v34, 0
	v_mov_b32_e32 v45, 0
	v_mov_b32_e32 v33, 0
	v_mov_b32_e32 v44, 0
	v_mov_b32_e32 v31, 0
	v_mov_b32_e32 v43, 0
	v_mov_b32_e32 v30, 0
	v_mov_b32_e32 v42, 0
                                        ; implicit-def: $sgpr20_sgpr21
                                        ; implicit-def: $vgpr16
	s_and_saveexec_b64 s[16:17], vcc
	s_cbranch_execz .LBB1430_70
; %bb.53:
	ds_read2_b32 v[10:11], v19 offset0:5 offset1:6
	v_add_u32_e32 v6, 6, v20
	v_cmp_ne_u32_e32 vcc, v7, v8
	v_mov_b32_e32 v7, s7
	v_cndmask_b32_e64 v42, 0, 1, vcc
	s_waitcnt lgkmcnt(0)
	v_cndmask_b32_e32 v30, v10, v7, vcc
	v_cmp_gt_u32_e32 vcc, s58, v6
	s_mov_b64 s[22:23], 0
	v_mov_b32_e32 v24, 0
	v_mov_b32_e32 v39, 0
	;; [unrolled: 1-line block ×14, first 2 shown]
                                        ; implicit-def: $sgpr20_sgpr21
                                        ; implicit-def: $vgpr16
	s_and_saveexec_b64 s[18:19], vcc
	s_cbranch_execz .LBB1430_69
; %bb.54:
	v_add_u32_e32 v6, 7, v20
	v_cmp_ne_u32_e32 vcc, v8, v9
	v_mov_b32_e32 v7, s7
	v_cndmask_b32_e64 v43, 0, 1, vcc
	v_cndmask_b32_e32 v31, v11, v7, vcc
	v_cmp_gt_u32_e32 vcc, s58, v6
	v_mov_b32_e32 v24, 0
	v_mov_b32_e32 v39, 0
	;; [unrolled: 1-line block ×12, first 2 shown]
                                        ; implicit-def: $sgpr24_sgpr25
                                        ; implicit-def: $vgpr16
	s_and_saveexec_b64 s[20:21], vcc
	s_cbranch_execz .LBB1430_68
; %bb.55:
	ds_read2_b32 v[6:7], v19 offset0:7 offset1:8
	v_add_u32_e32 v8, 8, v20
	v_cmp_ne_u32_e32 vcc, v9, v2
	v_mov_b32_e32 v9, s7
	v_cndmask_b32_e64 v44, 0, 1, vcc
	s_waitcnt lgkmcnt(0)
	v_cndmask_b32_e32 v33, v6, v9, vcc
	v_cmp_gt_u32_e32 vcc, s58, v8
	s_mov_b64 s[26:27], 0
	v_mov_b32_e32 v24, 0
	v_mov_b32_e32 v39, 0
	;; [unrolled: 1-line block ×10, first 2 shown]
                                        ; implicit-def: $sgpr24_sgpr25
                                        ; implicit-def: $vgpr16
	s_and_saveexec_b64 s[22:23], vcc
	s_cbranch_execz .LBB1430_67
; %bb.56:
	v_add_u32_e32 v6, 9, v20
	v_cmp_ne_u32_e32 vcc, v2, v3
	v_mov_b32_e32 v2, s7
	v_cndmask_b32_e64 v45, 0, 1, vcc
	v_cndmask_b32_e32 v34, v7, v2, vcc
	v_cmp_gt_u32_e32 vcc, s58, v6
	v_mov_b32_e32 v24, 0
	v_mov_b32_e32 v39, 0
	;; [unrolled: 1-line block ×8, first 2 shown]
                                        ; implicit-def: $sgpr28_sgpr29
                                        ; implicit-def: $vgpr16
	s_and_saveexec_b64 s[24:25], vcc
	s_cbranch_execz .LBB1430_66
; %bb.57:
	ds_read2_b32 v[6:7], v19 offset0:9 offset1:10
	v_add_u32_e32 v2, 10, v20
	v_cmp_ne_u32_e32 vcc, v3, v4
	v_mov_b32_e32 v3, s7
	v_cndmask_b32_e64 v46, 0, 1, vcc
	s_waitcnt lgkmcnt(0)
	v_cndmask_b32_e32 v36, v6, v3, vcc
	v_cmp_gt_u32_e32 vcc, s58, v2
	s_mov_b64 s[30:31], 0
	v_mov_b32_e32 v24, 0
	v_mov_b32_e32 v39, 0
	;; [unrolled: 1-line block ×6, first 2 shown]
                                        ; implicit-def: $sgpr28_sgpr29
                                        ; implicit-def: $vgpr16
	s_and_saveexec_b64 s[26:27], vcc
	s_cbranch_execz .LBB1430_65
; %bb.58:
	v_add_u32_e32 v2, 11, v20
	v_cmp_ne_u32_e32 vcc, v4, v5
	v_mov_b32_e32 v3, s7
	v_cndmask_b32_e64 v47, 0, 1, vcc
	v_cndmask_b32_e32 v37, v7, v3, vcc
	v_cmp_gt_u32_e32 vcc, s58, v2
	v_mov_b32_e32 v24, 0
	v_mov_b32_e32 v39, 0
	;; [unrolled: 1-line block ×4, first 2 shown]
                                        ; implicit-def: $sgpr40_sgpr41
                                        ; implicit-def: $vgpr16
	s_and_saveexec_b64 s[28:29], vcc
	s_cbranch_execz .LBB1430_64
; %bb.59:
	ds_read2_b32 v[2:3], v19 offset0:11 offset1:12
	v_add_u32_e32 v4, 12, v20
	v_cmp_ne_u32_e32 vcc, v5, v14
	v_mov_b32_e32 v5, s7
	v_cndmask_b32_e64 v48, 0, 1, vcc
	s_waitcnt lgkmcnt(0)
	v_cndmask_b32_e32 v38, v2, v5, vcc
	v_cmp_gt_u32_e32 vcc, s58, v4
	s_mov_b64 s[48:49], 0
	v_mov_b32_e32 v24, 0
	v_mov_b32_e32 v39, 0
                                        ; implicit-def: $sgpr54_sgpr55
                                        ; implicit-def: $vgpr16
	s_and_saveexec_b64 s[30:31], vcc
	s_cbranch_execz .LBB1430_63
; %bb.60:
	v_add_u32_e32 v2, 13, v20
	v_cmp_ne_u32_e32 vcc, v14, v15
	v_mov_b32_e32 v4, s7
	v_cndmask_b32_e64 v39, 0, 1, vcc
	v_cndmask_b32_e32 v24, v3, v4, vcc
	v_cmp_gt_u32_e32 vcc, s58, v2
	s_mov_b64 s[40:41], 0
                                        ; implicit-def: $sgpr48_sgpr49
                                        ; implicit-def: $vgpr16
	s_and_saveexec_b64 s[54:55], vcc
	s_xor_b64 s[54:55], exec, s[54:55]
	s_cbranch_execz .LBB1430_62
; %bb.61:
	ds_read_b32 v2, v19 offset:52
	v_mov_b32_e32 v3, s7
	v_cmp_ne_u32_e32 vcc, v15, v18
	s_mov_b64 s[40:41], exec
	s_and_b64 s[48:49], vcc, exec
	s_waitcnt lgkmcnt(0)
	v_cndmask_b32_e32 v16, v2, v3, vcc
.LBB1430_62:
	s_or_b64 exec, exec, s[54:55]
	s_and_b64 s[54:55], s[48:49], exec
	s_and_b64 s[48:49], s[40:41], exec
.LBB1430_63:
	s_or_b64 exec, exec, s[30:31]
	s_and_b64 s[40:41], s[54:55], exec
	s_and_b64 s[30:31], s[48:49], exec
.LBB1430_64:
	s_or_b64 exec, exec, s[28:29]
	s_and_b64 s[28:29], s[40:41], exec
	s_and_b64 s[30:31], s[30:31], exec
.LBB1430_65:
	s_or_b64 exec, exec, s[26:27]
	s_and_b64 s[28:29], s[28:29], exec
	s_and_b64 s[26:27], s[30:31], exec
.LBB1430_66:
	s_or_b64 exec, exec, s[24:25]
	s_and_b64 s[24:25], s[28:29], exec
	s_and_b64 s[26:27], s[26:27], exec
.LBB1430_67:
	s_or_b64 exec, exec, s[22:23]
	s_and_b64 s[24:25], s[24:25], exec
	s_and_b64 s[22:23], s[26:27], exec
.LBB1430_68:
	s_or_b64 exec, exec, s[20:21]
	s_and_b64 s[20:21], s[24:25], exec
	s_and_b64 s[22:23], s[22:23], exec
.LBB1430_69:
	s_or_b64 exec, exec, s[18:19]
	s_and_b64 s[20:21], s[20:21], exec
	s_and_b64 s[18:19], s[22:23], exec
.LBB1430_70:
	s_or_b64 exec, exec, s[16:17]
	s_and_b64 s[16:17], s[20:21], exec
	s_and_b64 s[18:19], s[18:19], exec
.LBB1430_71:
	s_or_b64 exec, exec, s[14:15]
	s_and_b64 s[16:17], s[16:17], exec
	s_and_b64 s[14:15], s[18:19], exec
.LBB1430_72:
	s_or_b64 exec, exec, s[12:13]
	s_and_b64 s[12:13], s[16:17], exec
	s_and_b64 s[14:15], s[14:15], exec
.LBB1430_73:
	s_or_b64 exec, exec, s[10:11]
	s_and_b64 s[12:13], s[12:13], exec
	s_and_b64 s[10:11], s[14:15], exec
.LBB1430_74:
	s_or_b64 exec, exec, s[8:9]
	s_and_b64 s[8:9], s[12:13], exec
	s_and_b64 s[10:11], s[10:11], exec
.LBB1430_75:
	s_or_b64 exec, exec, s[4:5]
	s_mov_b32 s4, 0
	s_and_b64 vcc, exec, s[2:3]
	v_lshlrev_b32_e32 v49, 2, v0
	s_cbranch_vccnz .LBB1430_77
	s_branch .LBB1430_82
.LBB1430_76:
	s_mov_b64 s[10:11], 0
                                        ; implicit-def: $sgpr8_sgpr9
                                        ; implicit-def: $vgpr16
                                        ; implicit-def: $vgpr1
                                        ; implicit-def: $vgpr24
                                        ; implicit-def: $vgpr39
                                        ; implicit-def: $vgpr28
                                        ; implicit-def: $vgpr38
                                        ; implicit-def: $vgpr48
                                        ; implicit-def: $vgpr32
                                        ; implicit-def: $vgpr37
                                        ; implicit-def: $vgpr47
                                        ; implicit-def: $vgpr26
                                        ; implicit-def: $vgpr36
                                        ; implicit-def: $vgpr46
                                        ; implicit-def: $vgpr35
                                        ; implicit-def: $vgpr34
                                        ; implicit-def: $vgpr45
                                        ; implicit-def: $vgpr27
                                        ; implicit-def: $vgpr33
                                        ; implicit-def: $vgpr44
                                        ; implicit-def: $vgpr40
                                        ; implicit-def: $vgpr31
                                        ; implicit-def: $vgpr43
                                        ; implicit-def: $vgpr29
                                        ; implicit-def: $vgpr30
                                        ; implicit-def: $vgpr42
                                        ; implicit-def: $vgpr41
                                        ; implicit-def: $vgpr25
                                        ; implicit-def: $sgpr4
                                        ; implicit-def: $sgpr57
	s_and_b64 vcc, exec, s[2:3]
	v_lshlrev_b32_e32 v49, 2, v0
	s_cbranch_vccz .LBB1430_82
.LBB1430_77:
	v_mov_b32_e32 v1, s39
	v_add_co_u32_e32 v2, vcc, s38, v49
	v_addc_co_u32_e32 v3, vcc, 0, v1, vcc
	v_add_co_u32_e32 v4, vcc, 0x1000, v2
	v_addc_co_u32_e32 v5, vcc, 0, v3, vcc
	flat_load_dword v1, v[2:3]
	flat_load_dword v6, v[2:3] offset:1024
	flat_load_dword v7, v[2:3] offset:2048
	;; [unrolled: 1-line block ×3, first 2 shown]
	flat_load_dword v9, v[4:5]
	flat_load_dword v10, v[4:5] offset:1024
	flat_load_dword v11, v[4:5] offset:2048
	;; [unrolled: 1-line block ×3, first 2 shown]
	v_add_co_u32_e32 v4, vcc, 0x2000, v2
	v_addc_co_u32_e32 v5, vcc, 0, v3, vcc
	v_add_co_u32_e32 v2, vcc, 0x3000, v2
	v_addc_co_u32_e32 v3, vcc, 0, v3, vcc
	flat_load_dword v13, v[4:5]
	flat_load_dword v14, v[4:5] offset:1024
	flat_load_dword v15, v[4:5] offset:2048
	;; [unrolled: 1-line block ×3, first 2 shown]
	flat_load_dword v17, v[2:3]
	flat_load_dword v18, v[2:3] offset:1024
	v_mov_b32_e32 v2, s38
	v_mov_b32_e32 v3, s39
	v_add_co_u32_e32 v2, vcc, 0x3000, v2
	v_addc_co_u32_e32 v3, vcc, 0, v3, vcc
	s_movk_i32 s2, 0xffcc
	s_movk_i32 s8, 0x1000
	;; [unrolled: 1-line block ×4, first 2 shown]
	s_waitcnt vmcnt(0) lgkmcnt(0)
	ds_write2st64_b32 v49, v1, v6 offset1:4
	ds_write2st64_b32 v49, v7, v8 offset0:8 offset1:12
	ds_write2st64_b32 v49, v9, v10 offset0:16 offset1:20
	;; [unrolled: 1-line block ×6, first 2 shown]
	s_waitcnt lgkmcnt(0)
	s_barrier
	flat_load_dword v50, v[2:3] offset:2048
	v_mad_u32_u24 v1, v0, 52, v49
	ds_read2_b64 v[10:13], v1 offset1:1
	ds_read2_b64 v[6:9], v1 offset0:2 offset1:3
	ds_read2_b64 v[2:5], v1 offset0:4 offset1:5
	ds_read_b64 v[14:15], v1 offset:48
	v_mad_i32_i24 v16, v0, s2, v1
	s_movk_i32 s2, 0xff
	v_cmp_ne_u32_e32 vcc, s2, v0
	s_waitcnt lgkmcnt(0)
	ds_write_b32 v16, v10 offset:15360
	s_waitcnt lgkmcnt(0)
	s_barrier
	s_and_saveexec_b64 s[2:3], vcc
	s_cbranch_execz .LBB1430_79
; %bb.78:
	s_waitcnt vmcnt(0)
	ds_read_b32 v50, v49 offset:15364
.LBB1430_79:
	s_or_b64 exec, exec, s[2:3]
	v_mov_b32_e32 v17, s56
	v_add_co_u32_e32 v16, vcc, s47, v49
	v_addc_co_u32_e32 v17, vcc, 0, v17, vcc
	v_add_co_u32_e32 v18, vcc, s8, v16
	v_addc_co_u32_e32 v19, vcc, 0, v17, vcc
	s_waitcnt lgkmcnt(0)
	s_barrier
	flat_load_dword v20, v[16:17]
	flat_load_dword v21, v[16:17] offset:1024
	flat_load_dword v22, v[16:17] offset:2048
	;; [unrolled: 1-line block ×3, first 2 shown]
	flat_load_dword v24, v[18:19]
	flat_load_dword v25, v[18:19] offset:1024
	flat_load_dword v26, v[18:19] offset:2048
	flat_load_dword v27, v[18:19] offset:3072
	v_add_co_u32_e32 v18, vcc, s5, v16
	v_addc_co_u32_e32 v19, vcc, 0, v17, vcc
	v_add_co_u32_e32 v16, vcc, s4, v16
	v_addc_co_u32_e32 v17, vcc, 0, v17, vcc
	flat_load_dword v28, v[18:19]
	flat_load_dword v29, v[18:19] offset:1024
	flat_load_dword v30, v[18:19] offset:2048
	;; [unrolled: 1-line block ×3, first 2 shown]
	flat_load_dword v32, v[16:17]
	flat_load_dword v33, v[16:17] offset:1024
	v_cmp_ne_u32_e32 vcc, v10, v11
	v_cmp_eq_u32_e64 s[2:3], v10, v11
	s_waitcnt vmcnt(0) lgkmcnt(0)
	ds_write2st64_b32 v49, v20, v21 offset1:4
	ds_write2st64_b32 v49, v22, v23 offset0:8 offset1:12
	ds_write2st64_b32 v49, v24, v25 offset0:16 offset1:20
	;; [unrolled: 1-line block ×6, first 2 shown]
	s_waitcnt lgkmcnt(0)
	s_barrier
	ds_read2_b32 v[26:27], v1 offset0:1 offset1:2
	ds_read2_b32 v[24:25], v1 offset0:3 offset1:4
	ds_read2_b32 v[22:23], v1 offset0:5 offset1:6
	ds_read2_b32 v[20:21], v1 offset0:7 offset1:8
	ds_read2_b32 v[18:19], v1 offset0:9 offset1:10
	ds_read2_b32 v[16:17], v1 offset0:11 offset1:12
	ds_read_b32 v51, v1 offset:52
	v_mov_b32_e32 v28, s7
	s_and_saveexec_b64 s[4:5], s[2:3]
	s_cbranch_execz .LBB1430_81
; %bb.80:
	ds_read_b32 v28, v1
.LBB1430_81:
	s_or_b64 exec, exec, s[4:5]
	v_cmp_ne_u32_e64 s[8:9], v6, v7
	v_cmp_ne_u32_e64 s[14:15], v9, v2
	;; [unrolled: 1-line block ×3, first 2 shown]
	v_mov_b32_e32 v2, s7
	v_cndmask_b32_e64 v1, 0, 1, vcc
	v_cmp_ne_u32_e32 vcc, v11, v12
	v_cmp_ne_u32_e64 s[2:3], v12, v13
	v_cmp_ne_u32_e64 s[4:5], v13, v6
	v_cndmask_b32_e64 v41, 0, 1, s[8:9]
	v_cmp_ne_u32_e64 s[10:11], v7, v8
	v_cmp_ne_u32_e64 s[12:13], v8, v9
	;; [unrolled: 1-line block ×6, first 2 shown]
	s_waitcnt lgkmcnt(5)
	v_cndmask_b32_e64 v25, v25, v2, s[8:9]
	v_cmp_ne_u32_e64 s[8:9], v15, v50
	v_cndmask_b32_e64 v32, 0, 1, vcc
	v_cndmask_b32_e64 v35, 0, 1, s[2:3]
	v_cndmask_b32_e64 v40, 0, 1, s[4:5]
	;; [unrolled: 1-line block ×10, first 2 shown]
	v_cndmask_b32_e32 v26, v26, v2, vcc
	v_cndmask_b32_e64 v27, v27, v2, s[2:3]
	v_cndmask_b32_e64 v29, v24, v2, s[4:5]
	s_waitcnt lgkmcnt(4)
	v_cndmask_b32_e64 v30, v22, v2, s[10:11]
	v_cndmask_b32_e64 v31, v23, v2, s[12:13]
	s_waitcnt lgkmcnt(3)
	;; [unrolled: 3-line block ×5, first 2 shown]
	v_cndmask_b32_e64 v16, v51, v2, s[8:9]
	s_mov_b64 s[10:11], -1
                                        ; implicit-def: $sgpr4
                                        ; implicit-def: $sgpr57
.LBB1430_82:
	v_mov_b32_e32 v14, s57
	v_mov_b32_e32 v15, s4
	s_and_saveexec_b64 s[2:3], s[10:11]
; %bb.83:
	v_cndmask_b32_e64 v14, 0, 1, s[8:9]
	v_mov_b32_e32 v15, v16
; %bb.84:
	s_or_b64 exec, exec, s[2:3]
	v_or_b32_e32 v2, v14, v39
	s_cmp_lg_u32 s6, 0
	v_add_f32_e32 v52, v26, v28
	v_or_b32_e32 v51, v2, v48
	v_mbcnt_lo_u32_b32 v50, -1, 0
	s_barrier
	s_cbranch_scc0 .LBB1430_159
; %bb.85:
	v_mov_b32_e32 v2, 0
	v_cmp_eq_u16_sdwa s[2:3], v32, v2 src0_sel:BYTE_0 src1_sel:DWORD
	v_cndmask_b32_e64 v3, v26, v52, s[2:3]
	v_add_f32_e32 v3, v27, v3
	v_cmp_eq_u16_sdwa s[4:5], v35, v2 src0_sel:BYTE_0 src1_sel:DWORD
	v_cndmask_b32_e64 v3, v27, v3, s[4:5]
	v_add_f32_e32 v3, v29, v3
	;; [unrolled: 3-line block ×7, first 2 shown]
	v_cmp_eq_u16_sdwa s[16:17], v45, v2 src0_sel:BYTE_0 src1_sel:DWORD
	v_cmp_eq_u16_sdwa s[18:19], v46, v2 src0_sel:BYTE_0 src1_sel:DWORD
	;; [unrolled: 1-line block ×5, first 2 shown]
	v_cmp_eq_u16_sdwa vcc, v14, v2 src0_sel:BYTE_0 src1_sel:DWORD
	v_or_b32_e32 v2, v51, v47
	v_cndmask_b32_e64 v3, v34, v3, s[16:17]
	v_or_b32_e32 v2, v2, v46
	v_add_f32_e32 v3, v36, v3
	v_or_b32_e32 v2, v2, v45
	v_cndmask_b32_e64 v3, v36, v3, s[18:19]
	v_or_b32_e32 v2, v2, v44
	v_add_f32_e32 v3, v37, v3
	;; [unrolled: 4-line block ×5, first 2 shown]
	v_and_b32_e32 v2, 1, v2
	v_and_b32_e32 v5, 0xff, v1
	v_cndmask_b32_e32 v4, v15, v3, vcc
	v_cmp_eq_u32_e32 vcc, 1, v2
	v_mbcnt_hi_u32_b32 v11, -1, v50
	v_cndmask_b32_e64 v5, v5, 1, vcc
	v_and_b32_e32 v2, 15, v11
	v_mov_b32_dpp v6, v4 row_shr:1 row_mask:0xf bank_mask:0xf
	v_mov_b32_dpp v3, v5 row_shr:1 row_mask:0xf bank_mask:0xf
	v_cmp_ne_u32_e32 vcc, 0, v2
	s_and_saveexec_b64 s[26:27], vcc
; %bb.86:
	v_add_f32_e32 v6, v4, v6
	v_cmp_eq_u32_e32 vcc, 0, v5
	v_and_b32_e32 v5, 1, v5
	v_cndmask_b32_e32 v4, v4, v6, vcc
	v_and_b32_e32 v3, 1, v3
	v_cmp_eq_u32_e32 vcc, 1, v5
	v_cndmask_b32_e64 v5, v3, 1, vcc
; %bb.87:
	s_or_b64 exec, exec, s[26:27]
	v_mov_b32_dpp v6, v4 row_shr:2 row_mask:0xf bank_mask:0xf
	v_mov_b32_dpp v3, v5 row_shr:2 row_mask:0xf bank_mask:0xf
	v_cmp_lt_u32_e32 vcc, 1, v2
	s_and_saveexec_b64 s[26:27], vcc
; %bb.88:
	v_add_f32_e32 v6, v4, v6
	v_cmp_eq_u32_e32 vcc, 0, v5
	v_and_b32_e32 v5, 1, v5
	v_cndmask_b32_e32 v4, v4, v6, vcc
	v_and_b32_e32 v3, 1, v3
	v_cmp_eq_u32_e32 vcc, 1, v5
	v_cndmask_b32_e64 v5, v3, 1, vcc
; %bb.89:
	s_or_b64 exec, exec, s[26:27]
	v_mov_b32_dpp v6, v4 row_shr:4 row_mask:0xf bank_mask:0xf
	v_mov_b32_dpp v3, v5 row_shr:4 row_mask:0xf bank_mask:0xf
	v_cmp_lt_u32_e32 vcc, 3, v2
	;; [unrolled: 14-line block ×3, first 2 shown]
	s_and_saveexec_b64 s[26:27], vcc
; %bb.92:
	v_add_f32_e32 v2, v4, v6
	v_cmp_eq_u32_e32 vcc, 0, v5
	v_cndmask_b32_e32 v4, v4, v2, vcc
	v_and_b32_e32 v2, 1, v5
	v_and_b32_e32 v3, 1, v3
	v_cmp_eq_u32_e32 vcc, 1, v2
	v_cndmask_b32_e64 v5, v3, 1, vcc
; %bb.93:
	s_or_b64 exec, exec, s[26:27]
	v_and_b32_e32 v6, 16, v11
	v_mov_b32_dpp v3, v4 row_bcast:15 row_mask:0xf bank_mask:0xf
	v_mov_b32_dpp v2, v5 row_bcast:15 row_mask:0xf bank_mask:0xf
	v_cmp_ne_u32_e32 vcc, 0, v6
	s_and_saveexec_b64 s[26:27], vcc
; %bb.94:
	v_add_f32_e32 v3, v4, v3
	v_cmp_eq_u32_e32 vcc, 0, v5
	v_cndmask_b32_e32 v4, v4, v3, vcc
	v_and_b32_e32 v3, 1, v5
	v_and_b32_e32 v2, 1, v2
	v_cmp_eq_u32_e32 vcc, 1, v3
	v_cndmask_b32_e64 v5, v2, 1, vcc
; %bb.95:
	s_or_b64 exec, exec, s[26:27]
	v_mov_b32_dpp v3, v4 row_bcast:31 row_mask:0xf bank_mask:0xf
	v_mov_b32_dpp v2, v5 row_bcast:31 row_mask:0xf bank_mask:0xf
	v_cmp_lt_u32_e32 vcc, 31, v11
	s_and_saveexec_b64 s[26:27], vcc
; %bb.96:
	v_add_f32_e32 v3, v4, v3
	v_cmp_eq_u32_e32 vcc, 0, v5
	v_cndmask_b32_e32 v4, v4, v3, vcc
	v_and_b32_e32 v3, 1, v5
	v_and_b32_e32 v2, 1, v2
	v_cmp_eq_u32_e32 vcc, 1, v3
	v_cndmask_b32_e64 v5, v2, 1, vcc
; %bb.97:
	s_or_b64 exec, exec, s[26:27]
	v_or_b32_e32 v2, 63, v0
	v_lshrrev_b32_e32 v6, 6, v0
	v_cmp_eq_u32_e32 vcc, v2, v0
	s_and_saveexec_b64 s[26:27], vcc
	s_cbranch_execz .LBB1430_99
; %bb.98:
	v_lshlrev_b32_e32 v2, 3, v6
	ds_write_b32 v2, v4
	ds_write_b8 v2, v5 offset:4
.LBB1430_99:
	s_or_b64 exec, exec, s[26:27]
	v_cmp_gt_u32_e32 vcc, 4, v0
	s_waitcnt lgkmcnt(0)
	s_barrier
	s_and_saveexec_b64 s[26:27], vcc
	s_cbranch_execz .LBB1430_103
; %bb.100:
	v_lshlrev_b32_e32 v7, 3, v0
	ds_read_b64 v[2:3], v7
	v_and_b32_e32 v8, 3, v11
	v_cmp_ne_u32_e32 vcc, 0, v8
	s_waitcnt lgkmcnt(0)
	v_mov_b32_dpp v12, v2 row_shr:1 row_mask:0xf bank_mask:0xf
	v_mov_b32_dpp v10, v3 row_shr:1 row_mask:0xf bank_mask:0xf
	v_mov_b32_e32 v9, v3
	s_and_saveexec_b64 s[30:31], vcc
; %bb.101:
	v_mov_b32_e32 v9, 0
	v_add_f32_e32 v12, v2, v12
	v_cmp_eq_u16_sdwa vcc, v3, v9 src0_sel:BYTE_0 src1_sel:DWORD
	v_and_b32_e32 v9, 1, v3
	v_cndmask_b32_e32 v2, v2, v12, vcc
	v_and_b32_e32 v10, 1, v10
	v_cmp_eq_u32_e32 vcc, 1, v9
	v_cndmask_b32_e64 v9, v10, 1, vcc
	s_movk_i32 s38, 0xff00
	v_and_or_b32 v3, v3, s38, v9
; %bb.102:
	s_or_b64 exec, exec, s[30:31]
	v_mov_b32_e32 v13, 0
	v_mov_b32_dpp v12, v3 row_shr:2 row_mask:0xf bank_mask:0xf
	v_cmp_eq_u16_sdwa s[30:31], v9, v13 src0_sel:BYTE_0 src1_sel:DWORD
	v_and_b32_e32 v9, 1, v9
	v_and_b32_e32 v12, 1, v12
	v_cmp_eq_u32_e32 vcc, 1, v9
	v_mov_b32_dpp v10, v2 row_shr:2 row_mask:0xf bank_mask:0xf
	v_cndmask_b32_e64 v9, v12, 1, vcc
	v_cmp_lt_u32_e32 vcc, 1, v8
	v_add_f32_e32 v10, v2, v10
	v_cndmask_b32_e32 v3, v3, v9, vcc
	s_and_b64 vcc, vcc, s[30:31]
	v_cndmask_b32_e32 v2, v2, v10, vcc
	ds_write_b32 v7, v2
	ds_write_b8 v7, v3 offset:4
.LBB1430_103:
	s_or_b64 exec, exec, s[26:27]
	v_cmp_gt_u32_e32 vcc, 64, v0
	v_cmp_lt_u32_e64 s[26:27], 63, v0
	v_mov_b32_e32 v16, 0
	v_mov_b32_e32 v17, 0
	s_waitcnt lgkmcnt(0)
	s_barrier
	s_and_saveexec_b64 s[30:31], s[26:27]
	s_cbranch_execz .LBB1430_105
; %bb.104:
	v_lshl_add_u32 v2, v6, 3, -8
	ds_read_b32 v16, v2
	ds_read_u8 v17, v2 offset:4
	v_and_b32_e32 v2, 1, v5
	v_cmp_eq_u32_e64 s[26:27], 0, v5
	s_waitcnt lgkmcnt(1)
	v_add_f32_e32 v3, v4, v16
	s_waitcnt lgkmcnt(0)
	v_and_b32_e32 v6, 1, v17
	v_cndmask_b32_e64 v4, v4, v3, s[26:27]
	v_cmp_eq_u32_e64 s[26:27], 1, v2
	v_cndmask_b32_e64 v5, v6, 1, s[26:27]
.LBB1430_105:
	s_or_b64 exec, exec, s[30:31]
	v_add_u32_e32 v2, -1, v11
	v_and_b32_e32 v3, 64, v11
	v_cmp_lt_i32_e64 s[26:27], v2, v3
	v_cndmask_b32_e64 v2, v2, v11, s[26:27]
	v_lshlrev_b32_e32 v2, 2, v2
	ds_bpermute_b32 v18, v2, v4
	ds_bpermute_b32 v19, v2, v5
	v_cmp_eq_u32_e64 s[26:27], 0, v11
	s_and_saveexec_b64 s[30:31], vcc
	s_cbranch_execz .LBB1430_146
; %bb.106:
	v_mov_b32_e32 v5, 0
	ds_read_b64 v[2:3], v5 offset:24
	s_waitcnt lgkmcnt(0)
	v_readfirstlane_b32 s47, v3
	s_and_saveexec_b64 s[38:39], s[26:27]
	s_cbranch_execz .LBB1430_108
; %bb.107:
	s_add_i32 s40, s6, 64
	s_mov_b32 s41, 0
	s_lshl_b64 s[48:49], s[40:41], 4
	s_add_u32 s48, s44, s48
	s_addc_u32 s49, s45, s49
	s_and_b32 s55, s47, 0xff000000
	s_mov_b32 s54, s41
	s_and_b32 s57, s47, 0xff0000
	s_mov_b32 s56, s41
	s_or_b64 s[54:55], s[56:57], s[54:55]
	s_and_b32 s57, s47, 0xff00
	s_or_b64 s[54:55], s[54:55], s[56:57]
	s_and_b32 s57, s47, 0xff
	s_or_b64 s[40:41], s[54:55], s[56:57]
	v_mov_b32_e32 v3, s41
	v_mov_b32_e32 v4, 1
	v_pk_mov_b32 v[6:7], s[48:49], s[48:49] op_sel:[0,1]
	;;#ASMSTART
	global_store_dwordx4 v[6:7], v[2:5] off	
s_waitcnt vmcnt(0)
	;;#ASMEND
.LBB1430_108:
	s_or_b64 exec, exec, s[38:39]
	v_xad_u32 v10, v11, -1, s6
	v_add_u32_e32 v4, 64, v10
	v_lshlrev_b64 v[6:7], 4, v[4:5]
	v_mov_b32_e32 v3, s45
	v_add_co_u32_e32 v12, vcc, s44, v6
	v_addc_co_u32_e32 v13, vcc, v3, v7, vcc
	;;#ASMSTART
	global_load_dwordx4 v[6:9], v[12:13] off glc	
s_waitcnt vmcnt(0)
	;;#ASMEND
	v_cmp_eq_u16_sdwa s[40:41], v8, v5 src0_sel:BYTE_0 src1_sel:DWORD
	s_and_saveexec_b64 s[38:39], s[40:41]
	s_cbranch_execz .LBB1430_112
; %bb.109:
	s_mov_b64 s[40:41], 0
	v_mov_b32_e32 v3, 0
.LBB1430_110:                           ; =>This Inner Loop Header: Depth=1
	;;#ASMSTART
	global_load_dwordx4 v[6:9], v[12:13] off glc	
s_waitcnt vmcnt(0)
	;;#ASMEND
	v_cmp_ne_u16_sdwa s[48:49], v8, v3 src0_sel:BYTE_0 src1_sel:DWORD
	s_or_b64 s[40:41], s[48:49], s[40:41]
	s_andn2_b64 exec, exec, s[40:41]
	s_cbranch_execnz .LBB1430_110
; %bb.111:
	s_or_b64 exec, exec, s[40:41]
.LBB1430_112:
	s_or_b64 exec, exec, s[38:39]
	v_mov_b32_e32 v3, 2
	v_cmp_eq_u16_sdwa s[38:39], v8, v3 src0_sel:BYTE_0 src1_sel:DWORD
	v_lshlrev_b64 v[4:5], v11, -1
	v_and_b32_e32 v3, s39, v5
	v_or_b32_e32 v3, 0x80000000, v3
	v_ffbl_b32_e32 v22, v3
	v_and_b32_e32 v3, 63, v11
	v_cmp_ne_u32_e32 vcc, 63, v3
	v_addc_co_u32_e32 v13, vcc, 0, v11, vcc
	v_and_b32_e32 v12, 0xff, v7
	v_lshlrev_b32_e32 v20, 2, v13
	ds_bpermute_b32 v21, v20, v6
	ds_bpermute_b32 v13, v20, v12
	v_and_b32_e32 v9, s38, v4
	v_add_u32_e32 v22, 32, v22
	v_ffbl_b32_e32 v9, v9
	v_min_u32_e32 v9, v9, v22
	v_cmp_lt_u32_e32 vcc, v3, v9
	s_and_saveexec_b64 s[38:39], vcc
	s_cbranch_execz .LBB1430_114
; %bb.113:
	v_mov_b32_e32 v12, 0
	s_waitcnt lgkmcnt(1)
	v_add_f32_e32 v21, v6, v21
	v_cmp_eq_u16_sdwa vcc, v7, v12 src0_sel:BYTE_0 src1_sel:DWORD
	v_and_b32_e32 v7, 1, v7
	v_cndmask_b32_e32 v6, v6, v21, vcc
	s_waitcnt lgkmcnt(0)
	v_and_b32_e32 v12, 1, v13
	v_cmp_eq_u32_e32 vcc, 1, v7
	v_cndmask_b32_e64 v7, v12, 1, vcc
	v_and_b32_e32 v12, 0xffff, v7
.LBB1430_114:
	s_or_b64 exec, exec, s[38:39]
	v_cmp_gt_u32_e32 vcc, 62, v3
	s_waitcnt lgkmcnt(0)
	v_cndmask_b32_e64 v13, 0, 1, vcc
	v_lshlrev_b32_e32 v13, 1, v13
	v_add_lshl_u32 v21, v13, v11, 2
	ds_bpermute_b32 v23, v21, v6
	ds_bpermute_b32 v13, v21, v12
	v_add_u32_e32 v22, 2, v3
	v_cmp_le_u32_e32 vcc, v22, v9
	s_and_saveexec_b64 s[38:39], vcc
	s_cbranch_execz .LBB1430_116
; %bb.115:
	v_mov_b32_e32 v12, 0
	s_waitcnt lgkmcnt(1)
	v_add_f32_e32 v23, v6, v23
	v_cmp_eq_u16_sdwa vcc, v7, v12 src0_sel:BYTE_0 src1_sel:DWORD
	v_and_b32_e32 v7, 1, v7
	v_cndmask_b32_e32 v6, v6, v23, vcc
	s_waitcnt lgkmcnt(0)
	v_and_b32_e32 v12, 1, v13
	v_cmp_eq_u32_e32 vcc, 1, v7
	v_cndmask_b32_e64 v7, v12, 1, vcc
	v_and_b32_e32 v12, 0xffff, v7
.LBB1430_116:
	s_or_b64 exec, exec, s[38:39]
	v_cmp_gt_u32_e32 vcc, 60, v3
	s_waitcnt lgkmcnt(0)
	v_cndmask_b32_e64 v13, 0, 1, vcc
	v_lshlrev_b32_e32 v13, 2, v13
	v_add_lshl_u32 v23, v13, v11, 2
	ds_bpermute_b32 v54, v23, v6
	ds_bpermute_b32 v13, v23, v12
	v_add_u32_e32 v53, 4, v3
	v_cmp_le_u32_e32 vcc, v53, v9
	;; [unrolled: 25-line block ×5, first 2 shown]
	s_and_saveexec_b64 s[38:39], vcc
	s_cbranch_execz .LBB1430_124
; %bb.123:
	v_mov_b32_e32 v9, 0
	s_waitcnt lgkmcnt(1)
	v_add_f32_e32 v12, v6, v13
	v_cmp_eq_u16_sdwa vcc, v7, v9 src0_sel:BYTE_0 src1_sel:DWORD
	v_and_b32_e32 v7, 1, v7
	v_cndmask_b32_e32 v6, v6, v12, vcc
	s_waitcnt lgkmcnt(0)
	v_and_b32_e32 v9, 1, v11
	v_cmp_eq_u32_e32 vcc, 1, v7
	v_cndmask_b32_e64 v7, v9, 1, vcc
.LBB1430_124:
	s_or_b64 exec, exec, s[38:39]
	s_waitcnt lgkmcnt(0)
	v_mov_b32_e32 v11, 0
	v_mov_b32_e32 v62, 2
	s_branch .LBB1430_126
.LBB1430_125:                           ;   in Loop: Header=BB1430_126 Depth=1
	s_or_b64 exec, exec, s[38:39]
	s_waitcnt lgkmcnt(0)
	ds_bpermute_b32 v13, v59, v6
	ds_bpermute_b32 v12, v59, v12
	v_and_b32_e32 v63, 1, v7
	v_cmp_eq_u16_sdwa vcc, v7, v11 src0_sel:BYTE_0 src1_sel:DWORD
	v_subrev_u32_e32 v10, 64, v10
	s_waitcnt lgkmcnt(1)
	v_add_f32_e32 v13, v6, v13
	v_cndmask_b32_e32 v13, v6, v13, vcc
	v_cmp_eq_u32_e32 vcc, 1, v63
	s_waitcnt lgkmcnt(0)
	v_cndmask_b32_e64 v12, v12, 1, vcc
	v_cmp_gt_u32_e32 vcc, v61, v9
	v_cndmask_b32_e32 v6, v13, v6, vcc
	v_cndmask_b32_e32 v7, v12, v7, vcc
	v_add_f32_e32 v6, v60, v6
	v_cmp_eq_u16_sdwa vcc, v58, v11 src0_sel:BYTE_0 src1_sel:DWORD
	v_and_b32_e32 v9, 1, v58
	v_cndmask_b32_e32 v6, v60, v6, vcc
	v_and_b32_e32 v7, 1, v7
	v_cmp_eq_u32_e32 vcc, 1, v9
	v_cndmask_b32_e64 v7, v7, 1, vcc
.LBB1430_126:                           ; =>This Loop Header: Depth=1
                                        ;     Child Loop BB1430_129 Depth 2
	v_cmp_ne_u16_sdwa s[38:39], v8, v62 src0_sel:BYTE_0 src1_sel:DWORD
	v_mov_b32_e32 v58, v7
	v_cndmask_b32_e64 v7, 0, 1, s[38:39]
	;;#ASMSTART
	;;#ASMEND
	v_cmp_ne_u32_e32 vcc, 0, v7
	s_cmp_lg_u64 vcc, exec
	v_mov_b32_e32 v60, v6
	s_cbranch_scc1 .LBB1430_141
; %bb.127:                              ;   in Loop: Header=BB1430_126 Depth=1
	v_lshlrev_b64 v[6:7], 4, v[10:11]
	v_mov_b32_e32 v8, s45
	v_add_co_u32_e32 v12, vcc, s44, v6
	v_addc_co_u32_e32 v13, vcc, v8, v7, vcc
	;;#ASMSTART
	global_load_dwordx4 v[6:9], v[12:13] off glc	
s_waitcnt vmcnt(0)
	;;#ASMEND
	v_cmp_eq_u16_sdwa s[40:41], v8, v11 src0_sel:BYTE_0 src1_sel:DWORD
	s_and_saveexec_b64 s[38:39], s[40:41]
	s_cbranch_execz .LBB1430_131
; %bb.128:                              ;   in Loop: Header=BB1430_126 Depth=1
	s_mov_b64 s[40:41], 0
.LBB1430_129:                           ;   Parent Loop BB1430_126 Depth=1
                                        ; =>  This Inner Loop Header: Depth=2
	;;#ASMSTART
	global_load_dwordx4 v[6:9], v[12:13] off glc	
s_waitcnt vmcnt(0)
	;;#ASMEND
	v_cmp_ne_u16_sdwa s[48:49], v8, v11 src0_sel:BYTE_0 src1_sel:DWORD
	s_or_b64 s[40:41], s[48:49], s[40:41]
	s_andn2_b64 exec, exec, s[40:41]
	s_cbranch_execnz .LBB1430_129
; %bb.130:                              ;   in Loop: Header=BB1430_126 Depth=1
	s_or_b64 exec, exec, s[40:41]
.LBB1430_131:                           ;   in Loop: Header=BB1430_126 Depth=1
	s_or_b64 exec, exec, s[38:39]
	v_cmp_eq_u16_sdwa s[38:39], v8, v62 src0_sel:BYTE_0 src1_sel:DWORD
	v_and_b32_e32 v9, s39, v5
	v_and_b32_e32 v12, 0xff, v7
	v_or_b32_e32 v9, 0x80000000, v9
	ds_bpermute_b32 v63, v20, v6
	ds_bpermute_b32 v13, v20, v12
	v_and_b32_e32 v64, s38, v4
	v_ffbl_b32_e32 v9, v9
	v_add_u32_e32 v9, 32, v9
	v_ffbl_b32_e32 v64, v64
	v_min_u32_e32 v9, v64, v9
	v_cmp_lt_u32_e32 vcc, v3, v9
	s_and_saveexec_b64 s[38:39], vcc
	s_cbranch_execz .LBB1430_133
; %bb.132:                              ;   in Loop: Header=BB1430_126 Depth=1
	s_waitcnt lgkmcnt(1)
	v_add_f32_e32 v12, v6, v63
	v_cmp_eq_u16_sdwa vcc, v7, v11 src0_sel:BYTE_0 src1_sel:DWORD
	v_and_b32_e32 v7, 1, v7
	v_cndmask_b32_e32 v6, v6, v12, vcc
	s_waitcnt lgkmcnt(0)
	v_and_b32_e32 v12, 1, v13
	v_cmp_eq_u32_e32 vcc, 1, v7
	v_cndmask_b32_e64 v7, v12, 1, vcc
	v_and_b32_e32 v12, 0xffff, v7
.LBB1430_133:                           ;   in Loop: Header=BB1430_126 Depth=1
	s_or_b64 exec, exec, s[38:39]
	s_waitcnt lgkmcnt(1)
	ds_bpermute_b32 v63, v21, v6
	s_waitcnt lgkmcnt(1)
	ds_bpermute_b32 v13, v21, v12
	v_cmp_le_u32_e32 vcc, v22, v9
	s_and_saveexec_b64 s[38:39], vcc
	s_cbranch_execz .LBB1430_135
; %bb.134:                              ;   in Loop: Header=BB1430_126 Depth=1
	s_waitcnt lgkmcnt(1)
	v_add_f32_e32 v12, v6, v63
	v_cmp_eq_u16_sdwa vcc, v7, v11 src0_sel:BYTE_0 src1_sel:DWORD
	v_and_b32_e32 v7, 1, v7
	v_cndmask_b32_e32 v6, v6, v12, vcc
	s_waitcnt lgkmcnt(0)
	v_and_b32_e32 v12, 1, v13
	v_cmp_eq_u32_e32 vcc, 1, v7
	v_cndmask_b32_e64 v7, v12, 1, vcc
	v_and_b32_e32 v12, 0xffff, v7
.LBB1430_135:                           ;   in Loop: Header=BB1430_126 Depth=1
	s_or_b64 exec, exec, s[38:39]
	s_waitcnt lgkmcnt(1)
	ds_bpermute_b32 v63, v23, v6
	s_waitcnt lgkmcnt(1)
	ds_bpermute_b32 v13, v23, v12
	v_cmp_le_u32_e32 vcc, v53, v9
	;; [unrolled: 20-line block ×4, first 2 shown]
	s_and_saveexec_b64 s[38:39], vcc
	s_cbranch_execz .LBB1430_125
; %bb.140:                              ;   in Loop: Header=BB1430_126 Depth=1
	s_waitcnt lgkmcnt(1)
	v_add_f32_e32 v12, v6, v63
	v_cmp_eq_u16_sdwa vcc, v7, v11 src0_sel:BYTE_0 src1_sel:DWORD
	v_and_b32_e32 v7, 1, v7
	v_cndmask_b32_e32 v6, v6, v12, vcc
	s_waitcnt lgkmcnt(0)
	v_and_b32_e32 v12, 1, v13
	v_cmp_eq_u32_e32 vcc, 1, v7
	v_cndmask_b32_e64 v7, v12, 1, vcc
	v_and_b32_e32 v12, 0xffff, v7
	s_branch .LBB1430_125
.LBB1430_141:                           ;   in Loop: Header=BB1430_126 Depth=1
                                        ; implicit-def: $vgpr7
	s_cbranch_execz .LBB1430_126
; %bb.142:
	s_and_saveexec_b64 s[38:39], s[26:27]
	s_cbranch_execz .LBB1430_144
; %bb.143:
	s_and_b32 s40, s47, 0xff
	s_cmp_eq_u32 s40, 0
	s_cselect_b64 vcc, -1, 0
	s_bitcmp1_b32 s47, 0
	s_mov_b32 s41, 0
	s_cselect_b64 s[48:49], -1, 0
	s_add_i32 s40, s6, 64
	s_lshl_b64 s[40:41], s[40:41], 4
	v_add_f32_e32 v3, v60, v2
	s_add_u32 s40, s44, s40
	v_cndmask_b32_e32 v2, v2, v3, vcc
	v_and_b32_e32 v3, 1, v58
	s_addc_u32 s41, s45, s41
	v_cndmask_b32_e64 v3, v3, 1, s[48:49]
	v_mov_b32_e32 v4, 2
	v_mov_b32_e32 v5, 0
	v_pk_mov_b32 v[6:7], s[40:41], s[40:41] op_sel:[0,1]
	;;#ASMSTART
	global_store_dwordx4 v[6:7], v[2:5] off	
s_waitcnt vmcnt(0)
	;;#ASMEND
.LBB1430_144:
	s_or_b64 exec, exec, s[38:39]
	v_cmp_eq_u32_e32 vcc, 0, v0
	s_and_b64 exec, exec, vcc
	s_cbranch_execz .LBB1430_146
; %bb.145:
	v_mov_b32_e32 v2, 0
	ds_write_b32 v2, v60 offset:24
	ds_write_b8 v2, v58 offset:28
.LBB1430_146:
	s_or_b64 exec, exec, s[30:31]
	v_mov_b32_e32 v3, 0
	s_waitcnt lgkmcnt(0)
	s_barrier
	ds_read_b32 v2, v3 offset:24
	v_cndmask_b32_e64 v4, v19, v17, s[26:27]
	v_cndmask_b32_e64 v5, v18, v16, s[26:27]
	v_cmp_eq_u32_sdwa vcc, v4, v3 src0_sel:BYTE_0 src1_sel:DWORD
	s_waitcnt lgkmcnt(0)
	v_add_f32_e32 v6, v5, v2
	v_cndmask_b32_e32 v4, v5, v6, vcc
	v_cmp_eq_u32_e32 vcc, 0, v0
	v_cndmask_b32_e32 v2, v4, v2, vcc
	v_add_f32_e32 v4, v28, v2
	v_cmp_eq_u16_sdwa vcc, v1, v3 src0_sel:BYTE_0 src1_sel:DWORD
	v_cndmask_b32_e32 v3, v28, v4, vcc
	v_add_f32_e32 v4, v26, v3
	v_cndmask_b32_e64 v16, v26, v4, s[2:3]
	v_add_f32_e32 v4, v27, v16
	v_cndmask_b32_e64 v17, v27, v4, s[4:5]
	;; [unrolled: 2-line block ×12, first 2 shown]
	s_branch .LBB1430_185
.LBB1430_147:
	s_or_b64 exec, exec, s[30:31]
                                        ; implicit-def: $vgpr29
	s_and_saveexec_b64 s[30:31], s[2:3]
	s_cbranch_execz .LBB1430_33
.LBB1430_148:
	v_mov_b32_e32 v29, s56
	v_add_co_u32_e32 v30, vcc, s47, v27
	v_addc_co_u32_e32 v31, vcc, 0, v29, vcc
	flat_load_dword v29, v[30:31] offset:1024
	s_or_b64 exec, exec, s[30:31]
                                        ; implicit-def: $vgpr30
	s_and_saveexec_b64 s[2:3], s[4:5]
	s_cbranch_execnz .LBB1430_34
.LBB1430_149:
	s_or_b64 exec, exec, s[2:3]
                                        ; implicit-def: $vgpr31
	s_and_saveexec_b64 s[2:3], s[28:29]
	s_cbranch_execz .LBB1430_35
.LBB1430_150:
	v_mov_b32_e32 v31, s56
	v_add_co_u32_e32 v32, vcc, s47, v27
	v_addc_co_u32_e32 v33, vcc, 0, v31, vcc
	flat_load_dword v31, v[32:33] offset:3072
	s_or_b64 exec, exec, s[2:3]
                                        ; implicit-def: $vgpr32
	s_and_saveexec_b64 s[2:3], s[8:9]
	s_cbranch_execnz .LBB1430_36
.LBB1430_151:
	s_or_b64 exec, exec, s[2:3]
                                        ; implicit-def: $vgpr1
	s_and_saveexec_b64 s[2:3], s[10:11]
	s_cbranch_execz .LBB1430_37
.LBB1430_152:
	v_mov_b32_e32 v1, s56
	v_add_co_u32_e32 v34, vcc, s47, v16
	v_addc_co_u32_e32 v35, vcc, 0, v1, vcc
	flat_load_dword v1, v[34:35]
	s_or_b64 exec, exec, s[2:3]
                                        ; implicit-def: $vgpr16
	s_and_saveexec_b64 s[2:3], s[12:13]
	s_cbranch_execnz .LBB1430_38
.LBB1430_153:
	s_or_b64 exec, exec, s[2:3]
                                        ; implicit-def: $vgpr17
	s_and_saveexec_b64 s[2:3], s[14:15]
	s_cbranch_execz .LBB1430_39
.LBB1430_154:
	v_mov_b32_e32 v17, s56
	v_add_co_u32_e32 v34, vcc, s47, v20
	v_addc_co_u32_e32 v35, vcc, 0, v17, vcc
	flat_load_dword v17, v[34:35]
	s_or_b64 exec, exec, s[2:3]
                                        ; implicit-def: $vgpr33
	s_and_saveexec_b64 s[2:3], s[16:17]
	s_cbranch_execnz .LBB1430_40
.LBB1430_155:
	s_or_b64 exec, exec, s[2:3]
                                        ; implicit-def: $vgpr21
	s_and_saveexec_b64 s[2:3], s[18:19]
	s_cbranch_execz .LBB1430_41
.LBB1430_156:
	v_mov_b32_e32 v21, s56
	v_add_co_u32_e32 v20, vcc, s47, v22
	v_addc_co_u32_e32 v21, vcc, 0, v21, vcc
	flat_load_dword v21, v[20:21]
	s_or_b64 exec, exec, s[2:3]
                                        ; implicit-def: $vgpr22
	s_and_saveexec_b64 s[2:3], s[20:21]
	s_cbranch_execnz .LBB1430_42
.LBB1430_157:
	s_or_b64 exec, exec, s[2:3]
                                        ; implicit-def: $vgpr23
	s_and_saveexec_b64 s[2:3], s[22:23]
	s_cbranch_execz .LBB1430_43
.LBB1430_158:
	v_mov_b32_e32 v20, s56
	v_add_co_u32_e32 v34, vcc, s47, v24
	v_addc_co_u32_e32 v35, vcc, 0, v20, vcc
	flat_load_dword v23, v[34:35]
	s_or_b64 exec, exec, s[2:3]
                                        ; implicit-def: $vgpr24
	s_and_saveexec_b64 s[2:3], s[24:25]
	s_cbranch_execz .LBB1430_45
	s_branch .LBB1430_44
.LBB1430_159:
                                        ; implicit-def: $vgpr23
                                        ; implicit-def: $vgpr21
                                        ; implicit-def: $vgpr19
                                        ; implicit-def: $vgpr17
                                        ; implicit-def: $vgpr10_vgpr11_vgpr12_vgpr13
                                        ; implicit-def: $vgpr6_vgpr7_vgpr8_vgpr9
                                        ; implicit-def: $vgpr2_vgpr3_vgpr4_vgpr5
	s_cbranch_execz .LBB1430_185
; %bb.160:
	s_cmp_lg_u64 s[52:53], 0
	s_cselect_b32 s3, s51, 0
	s_cselect_b32 s2, s50, 0
	s_cmp_eq_u64 s[2:3], 0
	v_mov_b32_e32 v4, s7
	s_cbranch_scc1 .LBB1430_162
; %bb.161:
	v_mov_b32_e32 v2, 0
	global_load_dword v4, v2, s[2:3]
.LBB1430_162:
	v_mov_b32_e32 v2, 0
	v_cmp_eq_u16_sdwa s[2:3], v32, v2 src0_sel:BYTE_0 src1_sel:DWORD
	v_cndmask_b32_e64 v3, v26, v52, s[2:3]
	v_add_f32_e32 v3, v27, v3
	v_cmp_eq_u16_sdwa s[4:5], v35, v2 src0_sel:BYTE_0 src1_sel:DWORD
	v_cndmask_b32_e64 v3, v27, v3, s[4:5]
	v_add_f32_e32 v3, v29, v3
	;; [unrolled: 3-line block ×7, first 2 shown]
	v_cmp_eq_u16_sdwa s[16:17], v45, v2 src0_sel:BYTE_0 src1_sel:DWORD
	v_cmp_eq_u16_sdwa s[18:19], v46, v2 src0_sel:BYTE_0 src1_sel:DWORD
	;; [unrolled: 1-line block ×4, first 2 shown]
	v_cmp_eq_u16_sdwa vcc, v39, v2 src0_sel:BYTE_0 src1_sel:DWORD
	v_cmp_eq_u16_sdwa s[24:25], v14, v2 src0_sel:BYTE_0 src1_sel:DWORD
	v_or_b32_e32 v2, v51, v47
	v_cndmask_b32_e64 v3, v34, v3, s[16:17]
	v_or_b32_e32 v2, v2, v46
	v_add_f32_e32 v3, v36, v3
	v_or_b32_e32 v2, v2, v45
	v_cndmask_b32_e64 v3, v36, v3, s[18:19]
	v_or_b32_e32 v2, v2, v44
	v_add_f32_e32 v3, v37, v3
	v_or_b32_e32 v2, v2, v43
	v_cndmask_b32_e64 v3, v37, v3, s[20:21]
	v_or_b32_e32 v2, v2, v42
	v_add_f32_e32 v3, v38, v3
	v_or_b32_e32 v2, v2, v41
	v_cndmask_b32_e64 v3, v38, v3, s[22:23]
	v_or_b32_e32 v2, v2, v40
	v_add_f32_e32 v3, v24, v3
	v_or_b32_e32 v2, v2, v35
	v_cndmask_b32_e32 v3, v24, v3, vcc
	v_or_b32_e32 v2, v2, v32
	v_add_f32_e32 v3, v15, v3
	v_and_b32_e32 v2, 1, v2
	v_and_b32_e32 v6, 0xff, v1
	v_cndmask_b32_e64 v5, v15, v3, s[24:25]
	v_cmp_eq_u32_e64 s[24:25], 1, v2
	v_cndmask_b32_e64 v7, v6, 1, s[24:25]
	v_mbcnt_hi_u32_b32 v6, -1, v50
	v_and_b32_e32 v2, 15, v6
	v_mov_b32_dpp v8, v5 row_shr:1 row_mask:0xf bank_mask:0xf
	v_mov_b32_dpp v3, v7 row_shr:1 row_mask:0xf bank_mask:0xf
	v_cmp_ne_u32_e64 s[24:25], 0, v2
	s_and_saveexec_b64 s[26:27], s[24:25]
; %bb.163:
	v_add_f32_e32 v8, v5, v8
	v_cmp_eq_u32_e64 s[24:25], 0, v7
	v_and_b32_e32 v7, 1, v7
	v_cndmask_b32_e64 v5, v5, v8, s[24:25]
	v_and_b32_e32 v3, 1, v3
	v_cmp_eq_u32_e64 s[24:25], 1, v7
	v_cndmask_b32_e64 v7, v3, 1, s[24:25]
; %bb.164:
	s_or_b64 exec, exec, s[26:27]
	v_mov_b32_dpp v8, v5 row_shr:2 row_mask:0xf bank_mask:0xf
	v_mov_b32_dpp v3, v7 row_shr:2 row_mask:0xf bank_mask:0xf
	v_cmp_lt_u32_e64 s[24:25], 1, v2
	s_and_saveexec_b64 s[26:27], s[24:25]
; %bb.165:
	v_add_f32_e32 v8, v5, v8
	v_cmp_eq_u32_e64 s[24:25], 0, v7
	v_and_b32_e32 v7, 1, v7
	v_cndmask_b32_e64 v5, v5, v8, s[24:25]
	v_and_b32_e32 v3, 1, v3
	v_cmp_eq_u32_e64 s[24:25], 1, v7
	v_cndmask_b32_e64 v7, v3, 1, s[24:25]
; %bb.166:
	s_or_b64 exec, exec, s[26:27]
	v_mov_b32_dpp v8, v5 row_shr:4 row_mask:0xf bank_mask:0xf
	v_mov_b32_dpp v3, v7 row_shr:4 row_mask:0xf bank_mask:0xf
	v_cmp_lt_u32_e64 s[24:25], 3, v2
	;; [unrolled: 14-line block ×3, first 2 shown]
	s_and_saveexec_b64 s[26:27], s[24:25]
; %bb.169:
	v_add_f32_e32 v2, v5, v8
	v_cmp_eq_u32_e64 s[24:25], 0, v7
	v_cndmask_b32_e64 v5, v5, v2, s[24:25]
	v_and_b32_e32 v2, 1, v7
	v_and_b32_e32 v3, 1, v3
	v_cmp_eq_u32_e64 s[24:25], 1, v2
	v_cndmask_b32_e64 v7, v3, 1, s[24:25]
; %bb.170:
	s_or_b64 exec, exec, s[26:27]
	v_and_b32_e32 v8, 16, v6
	v_mov_b32_dpp v3, v5 row_bcast:15 row_mask:0xf bank_mask:0xf
	v_mov_b32_dpp v2, v7 row_bcast:15 row_mask:0xf bank_mask:0xf
	v_cmp_ne_u32_e64 s[24:25], 0, v8
	s_and_saveexec_b64 s[26:27], s[24:25]
; %bb.171:
	v_add_f32_e32 v3, v5, v3
	v_cmp_eq_u32_e64 s[24:25], 0, v7
	v_cndmask_b32_e64 v5, v5, v3, s[24:25]
	v_and_b32_e32 v3, 1, v7
	v_and_b32_e32 v2, 1, v2
	v_cmp_eq_u32_e64 s[24:25], 1, v3
	v_cndmask_b32_e64 v7, v2, 1, s[24:25]
; %bb.172:
	s_or_b64 exec, exec, s[26:27]
	v_mov_b32_dpp v3, v5 row_bcast:31 row_mask:0xf bank_mask:0xf
	v_mov_b32_dpp v2, v7 row_bcast:31 row_mask:0xf bank_mask:0xf
	v_cmp_lt_u32_e64 s[24:25], 31, v6
	s_and_saveexec_b64 s[26:27], s[24:25]
; %bb.173:
	v_add_f32_e32 v3, v5, v3
	v_cmp_eq_u32_e64 s[24:25], 0, v7
	v_cndmask_b32_e64 v5, v5, v3, s[24:25]
	v_and_b32_e32 v3, 1, v7
	v_and_b32_e32 v2, 1, v2
	v_cmp_eq_u32_e64 s[24:25], 1, v3
	v_cndmask_b32_e64 v7, v2, 1, s[24:25]
; %bb.174:
	s_or_b64 exec, exec, s[26:27]
	v_or_b32_e32 v2, 63, v0
	v_lshrrev_b32_e32 v8, 6, v0
	v_cmp_eq_u32_e64 s[24:25], v2, v0
	s_and_saveexec_b64 s[26:27], s[24:25]
	s_cbranch_execz .LBB1430_176
; %bb.175:
	v_lshlrev_b32_e32 v2, 3, v8
	ds_write_b32 v2, v5
	ds_write_b8 v2, v7 offset:4
.LBB1430_176:
	s_or_b64 exec, exec, s[26:27]
	v_cmp_gt_u32_e64 s[24:25], 4, v0
	s_waitcnt lgkmcnt(0)
	s_barrier
	s_and_saveexec_b64 s[26:27], s[24:25]
	s_cbranch_execz .LBB1430_180
; %bb.177:
	v_lshlrev_b32_e32 v9, 3, v0
	ds_read_b64 v[2:3], v9
	v_and_b32_e32 v10, 3, v6
	v_cmp_ne_u32_e64 s[24:25], 0, v10
	s_waitcnt lgkmcnt(0)
	v_mov_b32_dpp v13, v2 row_shr:1 row_mask:0xf bank_mask:0xf
	v_mov_b32_dpp v12, v3 row_shr:1 row_mask:0xf bank_mask:0xf
	v_mov_b32_e32 v11, v3
	s_and_saveexec_b64 s[28:29], s[24:25]
; %bb.178:
	v_mov_b32_e32 v11, 0
	v_add_f32_e32 v13, v2, v13
	v_cmp_eq_u16_sdwa s[24:25], v3, v11 src0_sel:BYTE_0 src1_sel:DWORD
	v_and_b32_e32 v11, 1, v3
	v_cndmask_b32_e64 v2, v2, v13, s[24:25]
	v_and_b32_e32 v12, 1, v12
	v_cmp_eq_u32_e64 s[24:25], 1, v11
	v_cndmask_b32_e64 v11, v12, 1, s[24:25]
	s_movk_i32 s24, 0xff00
	v_and_or_b32 v3, v3, s24, v11
; %bb.179:
	s_or_b64 exec, exec, s[28:29]
	v_mov_b32_e32 v14, 0
	v_mov_b32_dpp v13, v3 row_shr:2 row_mask:0xf bank_mask:0xf
	v_cmp_eq_u16_sdwa s[28:29], v11, v14 src0_sel:BYTE_0 src1_sel:DWORD
	v_and_b32_e32 v11, 1, v11
	v_and_b32_e32 v13, 1, v13
	v_cmp_eq_u32_e64 s[24:25], 1, v11
	v_mov_b32_dpp v12, v2 row_shr:2 row_mask:0xf bank_mask:0xf
	v_cndmask_b32_e64 v11, v13, 1, s[24:25]
	v_cmp_lt_u32_e64 s[24:25], 1, v10
	v_add_f32_e32 v12, v2, v12
	v_cndmask_b32_e64 v3, v3, v11, s[24:25]
	s_and_b64 s[24:25], s[24:25], s[28:29]
	v_cndmask_b32_e64 v2, v2, v12, s[24:25]
	ds_write_b32 v9, v2
	ds_write_b8 v9, v3 offset:4
.LBB1430_180:
	s_or_b64 exec, exec, s[26:27]
	v_cmp_lt_u32_e64 s[24:25], 63, v0
	s_waitcnt vmcnt(0)
	v_mov_b32_e32 v2, v4
	s_waitcnt lgkmcnt(0)
	s_barrier
	s_and_saveexec_b64 s[26:27], s[24:25]
	s_cbranch_execz .LBB1430_182
; %bb.181:
	v_lshl_add_u32 v2, v8, 3, -8
	ds_read_b32 v3, v2
	ds_read_u8 v2, v2 offset:4
	s_waitcnt lgkmcnt(1)
	v_add_f32_e32 v8, v4, v3
	s_waitcnt lgkmcnt(0)
	v_cmp_eq_u16_e64 s[24:25], 0, v2
	v_cndmask_b32_e64 v2, v3, v8, s[24:25]
.LBB1430_182:
	s_or_b64 exec, exec, s[26:27]
	v_add_f32_e32 v3, v5, v2
	v_cmp_eq_u32_e64 s[24:25], 0, v7
	v_cndmask_b32_e64 v3, v5, v3, s[24:25]
	v_add_u32_e32 v5, -1, v6
	v_and_b32_e32 v7, 64, v6
	v_cmp_lt_i32_e64 s[24:25], v5, v7
	v_cndmask_b32_e64 v5, v5, v6, s[24:25]
	v_lshlrev_b32_e32 v5, 2, v5
	ds_bpermute_b32 v3, v5, v3
	v_cmp_eq_u32_e64 s[24:25], 0, v6
	v_mov_b32_e32 v15, 0
	v_cmp_eq_u16_sdwa s[26:27], v1, v15 src0_sel:BYTE_0 src1_sel:DWORD
	s_waitcnt lgkmcnt(0)
	v_cndmask_b32_e64 v2, v3, v2, s[24:25]
	v_cmp_eq_u32_e64 s[24:25], 0, v0
	v_cndmask_b32_e64 v3, v2, v4, s[24:25]
	v_add_f32_e32 v3, v28, v3
	v_cndmask_b32_e64 v3, v28, v3, s[26:27]
	v_add_f32_e32 v1, v26, v3
	;; [unrolled: 2-line block ×13, first 2 shown]
	s_and_saveexec_b64 s[4:5], s[24:25]
	s_cbranch_execz .LBB1430_184
; %bb.183:
	ds_read_b32 v2, v15 offset:24
	ds_read_u8 v5, v15 offset:28
	s_add_u32 s6, s44, 0x400
	s_addc_u32 s7, s45, 0
	v_mov_b32_e32 v14, 2
	s_waitcnt lgkmcnt(1)
	v_add_f32_e32 v8, v4, v2
	s_waitcnt lgkmcnt(0)
	v_cmp_eq_u16_e64 s[2:3], 0, v5
	v_cndmask_b32_e64 v12, v2, v8, s[2:3]
	v_and_b32_e32 v13, 0xffff, v5
	v_pk_mov_b32 v[8:9], s[6:7], s[6:7] op_sel:[0,1]
	;;#ASMSTART
	global_store_dwordx4 v[8:9], v[12:15] off	
s_waitcnt vmcnt(0)
	;;#ASMEND
	v_mov_b32_e32 v2, v4
.LBB1430_184:
	s_or_b64 exec, exec, s[4:5]
	v_cndmask_b32_e32 v23, v24, v1, vcc
.LBB1430_185:
	s_add_u32 s2, s42, s34
	s_addc_u32 s3, s43, s35
	s_add_u32 s4, s2, s36
	v_mul_u32_u24_e32 v1, 14, v0
	s_addc_u32 s5, s3, s37
	s_and_b64 vcc, exec, s[0:1]
	v_lshlrev_b32_e32 v4, 2, v1
	s_cbranch_vccz .LBB1430_213
; %bb.186:
	s_movk_i32 s0, 0xffcc
	v_mad_i32_i24 v5, v0, s0, v4
	s_barrier
	ds_write2_b64 v4, v[2:3], v[16:17] offset1:1
	ds_write2_b64 v4, v[6:7], v[18:19] offset0:2 offset1:3
	ds_write2_b64 v4, v[10:11], v[20:21] offset0:4 offset1:5
	ds_write_b64 v4, v[22:23] offset:48
	s_waitcnt lgkmcnt(0)
	s_barrier
	ds_read2st64_b32 v[30:31], v5 offset0:4 offset1:8
	ds_read2st64_b32 v[28:29], v5 offset0:12 offset1:16
	;; [unrolled: 1-line block ×6, first 2 shown]
	ds_read_b32 v5, v5 offset:13312
	v_mov_b32_e32 v13, s5
	v_add_co_u32_e32 v12, vcc, s4, v49
	s_add_i32 s33, s33, s46
	v_addc_co_u32_e32 v13, vcc, 0, v13, vcc
	v_mov_b32_e32 v1, 0
	v_cmp_gt_u32_e32 vcc, s33, v0
	s_and_saveexec_b64 s[0:1], vcc
	s_cbranch_execz .LBB1430_188
; %bb.187:
	v_mul_i32_i24_e32 v32, 0xffffffcc, v0
	v_add_u32_e32 v32, v4, v32
	ds_read_b32 v32, v32
	s_waitcnt lgkmcnt(0)
	flat_store_dword v[12:13], v32
.LBB1430_188:
	s_or_b64 exec, exec, s[0:1]
	v_or_b32_e32 v32, 0x100, v0
	v_cmp_gt_u32_e32 vcc, s33, v32
	s_and_saveexec_b64 s[0:1], vcc
	s_cbranch_execz .LBB1430_190
; %bb.189:
	s_waitcnt lgkmcnt(0)
	flat_store_dword v[12:13], v30 offset:1024
.LBB1430_190:
	s_or_b64 exec, exec, s[0:1]
	s_waitcnt lgkmcnt(0)
	v_or_b32_e32 v30, 0x200, v0
	v_cmp_gt_u32_e32 vcc, s33, v30
	s_and_saveexec_b64 s[0:1], vcc
	s_cbranch_execz .LBB1430_192
; %bb.191:
	flat_store_dword v[12:13], v31 offset:2048
.LBB1430_192:
	s_or_b64 exec, exec, s[0:1]
	v_or_b32_e32 v30, 0x300, v0
	v_cmp_gt_u32_e32 vcc, s33, v30
	s_and_saveexec_b64 s[0:1], vcc
	s_cbranch_execz .LBB1430_194
; %bb.193:
	flat_store_dword v[12:13], v28 offset:3072
.LBB1430_194:
	s_or_b64 exec, exec, s[0:1]
	v_or_b32_e32 v28, 0x400, v0
	v_cmp_gt_u32_e32 vcc, s33, v28
	s_and_saveexec_b64 s[0:1], vcc
	s_cbranch_execz .LBB1430_196
; %bb.195:
	v_add_co_u32_e32 v30, vcc, 0x1000, v12
	v_addc_co_u32_e32 v31, vcc, 0, v13, vcc
	flat_store_dword v[30:31], v29
.LBB1430_196:
	s_or_b64 exec, exec, s[0:1]
	v_or_b32_e32 v28, 0x500, v0
	v_cmp_gt_u32_e32 vcc, s33, v28
	s_and_saveexec_b64 s[0:1], vcc
	s_cbranch_execz .LBB1430_198
; %bb.197:
	v_add_co_u32_e32 v28, vcc, 0x1000, v12
	v_addc_co_u32_e32 v29, vcc, 0, v13, vcc
	flat_store_dword v[28:29], v26 offset:1024
.LBB1430_198:
	s_or_b64 exec, exec, s[0:1]
	v_or_b32_e32 v26, 0x600, v0
	v_cmp_gt_u32_e32 vcc, s33, v26
	s_and_saveexec_b64 s[0:1], vcc
	s_cbranch_execz .LBB1430_200
; %bb.199:
	v_add_co_u32_e32 v28, vcc, 0x1000, v12
	v_addc_co_u32_e32 v29, vcc, 0, v13, vcc
	flat_store_dword v[28:29], v27 offset:2048
.LBB1430_200:
	;; [unrolled: 10-line block ×3, first 2 shown]
	s_or_b64 exec, exec, s[0:1]
	v_or_b32_e32 v24, 0x800, v0
	v_cmp_gt_u32_e32 vcc, s33, v24
	s_and_saveexec_b64 s[0:1], vcc
	s_cbranch_execz .LBB1430_204
; %bb.203:
	v_add_co_u32_e32 v26, vcc, 0x2000, v12
	v_addc_co_u32_e32 v27, vcc, 0, v13, vcc
	flat_store_dword v[26:27], v25
.LBB1430_204:
	s_or_b64 exec, exec, s[0:1]
	v_or_b32_e32 v24, 0x900, v0
	v_cmp_gt_u32_e32 vcc, s33, v24
	s_and_saveexec_b64 s[0:1], vcc
	s_cbranch_execz .LBB1430_206
; %bb.205:
	v_add_co_u32_e32 v24, vcc, 0x2000, v12
	v_addc_co_u32_e32 v25, vcc, 0, v13, vcc
	flat_store_dword v[24:25], v14 offset:1024
.LBB1430_206:
	s_or_b64 exec, exec, s[0:1]
	v_or_b32_e32 v14, 0xa00, v0
	v_cmp_gt_u32_e32 vcc, s33, v14
	s_and_saveexec_b64 s[0:1], vcc
	s_cbranch_execz .LBB1430_208
; %bb.207:
	v_add_co_u32_e32 v24, vcc, 0x2000, v12
	v_addc_co_u32_e32 v25, vcc, 0, v13, vcc
	flat_store_dword v[24:25], v15 offset:2048
.LBB1430_208:
	;; [unrolled: 10-line block ×3, first 2 shown]
	s_or_b64 exec, exec, s[0:1]
	v_or_b32_e32 v8, 0xc00, v0
	v_cmp_gt_u32_e32 vcc, s33, v8
	s_and_saveexec_b64 s[0:1], vcc
	s_cbranch_execz .LBB1430_212
; %bb.211:
	v_add_co_u32_e32 v12, vcc, 0x3000, v12
	v_addc_co_u32_e32 v13, vcc, 0, v13, vcc
	flat_store_dword v[12:13], v9
.LBB1430_212:
	s_or_b64 exec, exec, s[0:1]
	v_or_b32_e32 v8, 0xd00, v0
	v_cmp_gt_u32_e64 s[0:1], s33, v8
	s_branch .LBB1430_215
.LBB1430_213:
	s_mov_b64 s[0:1], 0
                                        ; implicit-def: $vgpr5
	s_cbranch_execz .LBB1430_215
; %bb.214:
	s_movk_i32 s2, 0xffcc
	s_waitcnt lgkmcnt(0)
	s_barrier
	ds_write2_b64 v4, v[2:3], v[16:17] offset1:1
	ds_write2_b64 v4, v[6:7], v[18:19] offset0:2 offset1:3
	ds_write2_b64 v4, v[10:11], v[20:21] offset0:4 offset1:5
	ds_write_b64 v4, v[22:23] offset:48
	v_mad_i32_i24 v4, v0, s2, v4
	v_mov_b32_e32 v17, s5
	v_add_co_u32_e32 v16, vcc, s4, v49
	s_waitcnt lgkmcnt(0)
	s_barrier
	ds_read2st64_b32 v[2:3], v4 offset1:4
	ds_read2st64_b32 v[6:7], v4 offset0:8 offset1:12
	ds_read2st64_b32 v[8:9], v4 offset0:16 offset1:20
	;; [unrolled: 1-line block ×6, first 2 shown]
	v_addc_co_u32_e32 v17, vcc, 0, v17, vcc
	s_movk_i32 s2, 0x1000
	s_waitcnt lgkmcnt(0)
	flat_store_dword v[16:17], v2
	flat_store_dword v[16:17], v3 offset:1024
	flat_store_dword v[16:17], v6 offset:2048
	;; [unrolled: 1-line block ×3, first 2 shown]
	v_add_co_u32_e32 v2, vcc, s2, v16
	v_addc_co_u32_e32 v3, vcc, 0, v17, vcc
	flat_store_dword v[2:3], v8
	flat_store_dword v[2:3], v9 offset:1024
	flat_store_dword v[2:3], v10 offset:2048
	;; [unrolled: 1-line block ×3, first 2 shown]
	v_add_co_u32_e32 v2, vcc, 0x2000, v16
	v_addc_co_u32_e32 v3, vcc, 0, v17, vcc
	flat_store_dword v[2:3], v12
	flat_store_dword v[2:3], v13 offset:1024
	flat_store_dword v[2:3], v14 offset:2048
	;; [unrolled: 1-line block ×3, first 2 shown]
	v_add_co_u32_e32 v2, vcc, 0x3000, v16
	v_mov_b32_e32 v1, 0
	v_addc_co_u32_e32 v3, vcc, 0, v17, vcc
	s_or_b64 s[0:1], s[0:1], exec
	flat_store_dword v[2:3], v4
.LBB1430_215:
	s_and_saveexec_b64 s[2:3], s[0:1]
	s_cbranch_execz .LBB1430_217
; %bb.216:
	v_lshlrev_b64 v[0:1], 2, v[0:1]
	v_mov_b32_e32 v2, s5
	v_add_co_u32_e32 v0, vcc, s4, v0
	v_addc_co_u32_e32 v1, vcc, v2, v1, vcc
	v_add_co_u32_e32 v0, vcc, 0x3000, v0
	v_addc_co_u32_e32 v1, vcc, 0, v1, vcc
	flat_store_dword v[0:1], v5 offset:1024
	s_endpgm
.LBB1430_217:
	s_endpgm
	.section	.rodata,"a",@progbits
	.p2align	6, 0x0
	.amdhsa_kernel _ZN7rocprim17ROCPRIM_400000_NS6detail17trampoline_kernelINS0_14default_configENS1_27scan_by_key_config_selectorIifEEZZNS1_16scan_by_key_implILNS1_25lookback_scan_determinismE0ELb1ES3_N6thrust23THRUST_200600_302600_NS6detail15normal_iteratorINS9_10device_ptrIiEEEENSB_INSC_IfEEEESG_fNS9_4plusIvEENS9_8equal_toIvEEfEE10hipError_tPvRmT2_T3_T4_T5_mT6_T7_P12ihipStream_tbENKUlT_T0_E_clISt17integral_constantIbLb0EES11_EEDaSW_SX_EUlSW_E_NS1_11comp_targetILNS1_3genE4ELNS1_11target_archE910ELNS1_3gpuE8ELNS1_3repE0EEENS1_30default_config_static_selectorELNS0_4arch9wavefront6targetE1EEEvT1_
		.amdhsa_group_segment_fixed_size 16384
		.amdhsa_private_segment_fixed_size 0
		.amdhsa_kernarg_size 112
		.amdhsa_user_sgpr_count 6
		.amdhsa_user_sgpr_private_segment_buffer 1
		.amdhsa_user_sgpr_dispatch_ptr 0
		.amdhsa_user_sgpr_queue_ptr 0
		.amdhsa_user_sgpr_kernarg_segment_ptr 1
		.amdhsa_user_sgpr_dispatch_id 0
		.amdhsa_user_sgpr_flat_scratch_init 0
		.amdhsa_user_sgpr_kernarg_preload_length 0
		.amdhsa_user_sgpr_kernarg_preload_offset 0
		.amdhsa_user_sgpr_private_segment_size 0
		.amdhsa_uses_dynamic_stack 0
		.amdhsa_system_sgpr_private_segment_wavefront_offset 0
		.amdhsa_system_sgpr_workgroup_id_x 1
		.amdhsa_system_sgpr_workgroup_id_y 0
		.amdhsa_system_sgpr_workgroup_id_z 0
		.amdhsa_system_sgpr_workgroup_info 0
		.amdhsa_system_vgpr_workitem_id 0
		.amdhsa_next_free_vgpr 65
		.amdhsa_next_free_sgpr 59
		.amdhsa_accum_offset 68
		.amdhsa_reserve_vcc 1
		.amdhsa_reserve_flat_scratch 0
		.amdhsa_float_round_mode_32 0
		.amdhsa_float_round_mode_16_64 0
		.amdhsa_float_denorm_mode_32 3
		.amdhsa_float_denorm_mode_16_64 3
		.amdhsa_dx10_clamp 1
		.amdhsa_ieee_mode 1
		.amdhsa_fp16_overflow 0
		.amdhsa_tg_split 0
		.amdhsa_exception_fp_ieee_invalid_op 0
		.amdhsa_exception_fp_denorm_src 0
		.amdhsa_exception_fp_ieee_div_zero 0
		.amdhsa_exception_fp_ieee_overflow 0
		.amdhsa_exception_fp_ieee_underflow 0
		.amdhsa_exception_fp_ieee_inexact 0
		.amdhsa_exception_int_div_zero 0
	.end_amdhsa_kernel
	.section	.text._ZN7rocprim17ROCPRIM_400000_NS6detail17trampoline_kernelINS0_14default_configENS1_27scan_by_key_config_selectorIifEEZZNS1_16scan_by_key_implILNS1_25lookback_scan_determinismE0ELb1ES3_N6thrust23THRUST_200600_302600_NS6detail15normal_iteratorINS9_10device_ptrIiEEEENSB_INSC_IfEEEESG_fNS9_4plusIvEENS9_8equal_toIvEEfEE10hipError_tPvRmT2_T3_T4_T5_mT6_T7_P12ihipStream_tbENKUlT_T0_E_clISt17integral_constantIbLb0EES11_EEDaSW_SX_EUlSW_E_NS1_11comp_targetILNS1_3genE4ELNS1_11target_archE910ELNS1_3gpuE8ELNS1_3repE0EEENS1_30default_config_static_selectorELNS0_4arch9wavefront6targetE1EEEvT1_,"axG",@progbits,_ZN7rocprim17ROCPRIM_400000_NS6detail17trampoline_kernelINS0_14default_configENS1_27scan_by_key_config_selectorIifEEZZNS1_16scan_by_key_implILNS1_25lookback_scan_determinismE0ELb1ES3_N6thrust23THRUST_200600_302600_NS6detail15normal_iteratorINS9_10device_ptrIiEEEENSB_INSC_IfEEEESG_fNS9_4plusIvEENS9_8equal_toIvEEfEE10hipError_tPvRmT2_T3_T4_T5_mT6_T7_P12ihipStream_tbENKUlT_T0_E_clISt17integral_constantIbLb0EES11_EEDaSW_SX_EUlSW_E_NS1_11comp_targetILNS1_3genE4ELNS1_11target_archE910ELNS1_3gpuE8ELNS1_3repE0EEENS1_30default_config_static_selectorELNS0_4arch9wavefront6targetE1EEEvT1_,comdat
.Lfunc_end1430:
	.size	_ZN7rocprim17ROCPRIM_400000_NS6detail17trampoline_kernelINS0_14default_configENS1_27scan_by_key_config_selectorIifEEZZNS1_16scan_by_key_implILNS1_25lookback_scan_determinismE0ELb1ES3_N6thrust23THRUST_200600_302600_NS6detail15normal_iteratorINS9_10device_ptrIiEEEENSB_INSC_IfEEEESG_fNS9_4plusIvEENS9_8equal_toIvEEfEE10hipError_tPvRmT2_T3_T4_T5_mT6_T7_P12ihipStream_tbENKUlT_T0_E_clISt17integral_constantIbLb0EES11_EEDaSW_SX_EUlSW_E_NS1_11comp_targetILNS1_3genE4ELNS1_11target_archE910ELNS1_3gpuE8ELNS1_3repE0EEENS1_30default_config_static_selectorELNS0_4arch9wavefront6targetE1EEEvT1_, .Lfunc_end1430-_ZN7rocprim17ROCPRIM_400000_NS6detail17trampoline_kernelINS0_14default_configENS1_27scan_by_key_config_selectorIifEEZZNS1_16scan_by_key_implILNS1_25lookback_scan_determinismE0ELb1ES3_N6thrust23THRUST_200600_302600_NS6detail15normal_iteratorINS9_10device_ptrIiEEEENSB_INSC_IfEEEESG_fNS9_4plusIvEENS9_8equal_toIvEEfEE10hipError_tPvRmT2_T3_T4_T5_mT6_T7_P12ihipStream_tbENKUlT_T0_E_clISt17integral_constantIbLb0EES11_EEDaSW_SX_EUlSW_E_NS1_11comp_targetILNS1_3genE4ELNS1_11target_archE910ELNS1_3gpuE8ELNS1_3repE0EEENS1_30default_config_static_selectorELNS0_4arch9wavefront6targetE1EEEvT1_
                                        ; -- End function
	.section	.AMDGPU.csdata,"",@progbits
; Kernel info:
; codeLenInByte = 10544
; NumSgprs: 63
; NumVgprs: 65
; NumAgprs: 0
; TotalNumVgprs: 65
; ScratchSize: 0
; MemoryBound: 0
; FloatMode: 240
; IeeeMode: 1
; LDSByteSize: 16384 bytes/workgroup (compile time only)
; SGPRBlocks: 7
; VGPRBlocks: 8
; NumSGPRsForWavesPerEU: 63
; NumVGPRsForWavesPerEU: 65
; AccumOffset: 68
; Occupancy: 4
; WaveLimiterHint : 1
; COMPUTE_PGM_RSRC2:SCRATCH_EN: 0
; COMPUTE_PGM_RSRC2:USER_SGPR: 6
; COMPUTE_PGM_RSRC2:TRAP_HANDLER: 0
; COMPUTE_PGM_RSRC2:TGID_X_EN: 1
; COMPUTE_PGM_RSRC2:TGID_Y_EN: 0
; COMPUTE_PGM_RSRC2:TGID_Z_EN: 0
; COMPUTE_PGM_RSRC2:TIDIG_COMP_CNT: 0
; COMPUTE_PGM_RSRC3_GFX90A:ACCUM_OFFSET: 16
; COMPUTE_PGM_RSRC3_GFX90A:TG_SPLIT: 0
	.section	.text._ZN7rocprim17ROCPRIM_400000_NS6detail17trampoline_kernelINS0_14default_configENS1_27scan_by_key_config_selectorIifEEZZNS1_16scan_by_key_implILNS1_25lookback_scan_determinismE0ELb1ES3_N6thrust23THRUST_200600_302600_NS6detail15normal_iteratorINS9_10device_ptrIiEEEENSB_INSC_IfEEEESG_fNS9_4plusIvEENS9_8equal_toIvEEfEE10hipError_tPvRmT2_T3_T4_T5_mT6_T7_P12ihipStream_tbENKUlT_T0_E_clISt17integral_constantIbLb0EES11_EEDaSW_SX_EUlSW_E_NS1_11comp_targetILNS1_3genE3ELNS1_11target_archE908ELNS1_3gpuE7ELNS1_3repE0EEENS1_30default_config_static_selectorELNS0_4arch9wavefront6targetE1EEEvT1_,"axG",@progbits,_ZN7rocprim17ROCPRIM_400000_NS6detail17trampoline_kernelINS0_14default_configENS1_27scan_by_key_config_selectorIifEEZZNS1_16scan_by_key_implILNS1_25lookback_scan_determinismE0ELb1ES3_N6thrust23THRUST_200600_302600_NS6detail15normal_iteratorINS9_10device_ptrIiEEEENSB_INSC_IfEEEESG_fNS9_4plusIvEENS9_8equal_toIvEEfEE10hipError_tPvRmT2_T3_T4_T5_mT6_T7_P12ihipStream_tbENKUlT_T0_E_clISt17integral_constantIbLb0EES11_EEDaSW_SX_EUlSW_E_NS1_11comp_targetILNS1_3genE3ELNS1_11target_archE908ELNS1_3gpuE7ELNS1_3repE0EEENS1_30default_config_static_selectorELNS0_4arch9wavefront6targetE1EEEvT1_,comdat
	.protected	_ZN7rocprim17ROCPRIM_400000_NS6detail17trampoline_kernelINS0_14default_configENS1_27scan_by_key_config_selectorIifEEZZNS1_16scan_by_key_implILNS1_25lookback_scan_determinismE0ELb1ES3_N6thrust23THRUST_200600_302600_NS6detail15normal_iteratorINS9_10device_ptrIiEEEENSB_INSC_IfEEEESG_fNS9_4plusIvEENS9_8equal_toIvEEfEE10hipError_tPvRmT2_T3_T4_T5_mT6_T7_P12ihipStream_tbENKUlT_T0_E_clISt17integral_constantIbLb0EES11_EEDaSW_SX_EUlSW_E_NS1_11comp_targetILNS1_3genE3ELNS1_11target_archE908ELNS1_3gpuE7ELNS1_3repE0EEENS1_30default_config_static_selectorELNS0_4arch9wavefront6targetE1EEEvT1_ ; -- Begin function _ZN7rocprim17ROCPRIM_400000_NS6detail17trampoline_kernelINS0_14default_configENS1_27scan_by_key_config_selectorIifEEZZNS1_16scan_by_key_implILNS1_25lookback_scan_determinismE0ELb1ES3_N6thrust23THRUST_200600_302600_NS6detail15normal_iteratorINS9_10device_ptrIiEEEENSB_INSC_IfEEEESG_fNS9_4plusIvEENS9_8equal_toIvEEfEE10hipError_tPvRmT2_T3_T4_T5_mT6_T7_P12ihipStream_tbENKUlT_T0_E_clISt17integral_constantIbLb0EES11_EEDaSW_SX_EUlSW_E_NS1_11comp_targetILNS1_3genE3ELNS1_11target_archE908ELNS1_3gpuE7ELNS1_3repE0EEENS1_30default_config_static_selectorELNS0_4arch9wavefront6targetE1EEEvT1_
	.globl	_ZN7rocprim17ROCPRIM_400000_NS6detail17trampoline_kernelINS0_14default_configENS1_27scan_by_key_config_selectorIifEEZZNS1_16scan_by_key_implILNS1_25lookback_scan_determinismE0ELb1ES3_N6thrust23THRUST_200600_302600_NS6detail15normal_iteratorINS9_10device_ptrIiEEEENSB_INSC_IfEEEESG_fNS9_4plusIvEENS9_8equal_toIvEEfEE10hipError_tPvRmT2_T3_T4_T5_mT6_T7_P12ihipStream_tbENKUlT_T0_E_clISt17integral_constantIbLb0EES11_EEDaSW_SX_EUlSW_E_NS1_11comp_targetILNS1_3genE3ELNS1_11target_archE908ELNS1_3gpuE7ELNS1_3repE0EEENS1_30default_config_static_selectorELNS0_4arch9wavefront6targetE1EEEvT1_
	.p2align	8
	.type	_ZN7rocprim17ROCPRIM_400000_NS6detail17trampoline_kernelINS0_14default_configENS1_27scan_by_key_config_selectorIifEEZZNS1_16scan_by_key_implILNS1_25lookback_scan_determinismE0ELb1ES3_N6thrust23THRUST_200600_302600_NS6detail15normal_iteratorINS9_10device_ptrIiEEEENSB_INSC_IfEEEESG_fNS9_4plusIvEENS9_8equal_toIvEEfEE10hipError_tPvRmT2_T3_T4_T5_mT6_T7_P12ihipStream_tbENKUlT_T0_E_clISt17integral_constantIbLb0EES11_EEDaSW_SX_EUlSW_E_NS1_11comp_targetILNS1_3genE3ELNS1_11target_archE908ELNS1_3gpuE7ELNS1_3repE0EEENS1_30default_config_static_selectorELNS0_4arch9wavefront6targetE1EEEvT1_,@function
_ZN7rocprim17ROCPRIM_400000_NS6detail17trampoline_kernelINS0_14default_configENS1_27scan_by_key_config_selectorIifEEZZNS1_16scan_by_key_implILNS1_25lookback_scan_determinismE0ELb1ES3_N6thrust23THRUST_200600_302600_NS6detail15normal_iteratorINS9_10device_ptrIiEEEENSB_INSC_IfEEEESG_fNS9_4plusIvEENS9_8equal_toIvEEfEE10hipError_tPvRmT2_T3_T4_T5_mT6_T7_P12ihipStream_tbENKUlT_T0_E_clISt17integral_constantIbLb0EES11_EEDaSW_SX_EUlSW_E_NS1_11comp_targetILNS1_3genE3ELNS1_11target_archE908ELNS1_3gpuE7ELNS1_3repE0EEENS1_30default_config_static_selectorELNS0_4arch9wavefront6targetE1EEEvT1_: ; @_ZN7rocprim17ROCPRIM_400000_NS6detail17trampoline_kernelINS0_14default_configENS1_27scan_by_key_config_selectorIifEEZZNS1_16scan_by_key_implILNS1_25lookback_scan_determinismE0ELb1ES3_N6thrust23THRUST_200600_302600_NS6detail15normal_iteratorINS9_10device_ptrIiEEEENSB_INSC_IfEEEESG_fNS9_4plusIvEENS9_8equal_toIvEEfEE10hipError_tPvRmT2_T3_T4_T5_mT6_T7_P12ihipStream_tbENKUlT_T0_E_clISt17integral_constantIbLb0EES11_EEDaSW_SX_EUlSW_E_NS1_11comp_targetILNS1_3genE3ELNS1_11target_archE908ELNS1_3gpuE7ELNS1_3repE0EEENS1_30default_config_static_selectorELNS0_4arch9wavefront6targetE1EEEvT1_
; %bb.0:
	.section	.rodata,"a",@progbits
	.p2align	6, 0x0
	.amdhsa_kernel _ZN7rocprim17ROCPRIM_400000_NS6detail17trampoline_kernelINS0_14default_configENS1_27scan_by_key_config_selectorIifEEZZNS1_16scan_by_key_implILNS1_25lookback_scan_determinismE0ELb1ES3_N6thrust23THRUST_200600_302600_NS6detail15normal_iteratorINS9_10device_ptrIiEEEENSB_INSC_IfEEEESG_fNS9_4plusIvEENS9_8equal_toIvEEfEE10hipError_tPvRmT2_T3_T4_T5_mT6_T7_P12ihipStream_tbENKUlT_T0_E_clISt17integral_constantIbLb0EES11_EEDaSW_SX_EUlSW_E_NS1_11comp_targetILNS1_3genE3ELNS1_11target_archE908ELNS1_3gpuE7ELNS1_3repE0EEENS1_30default_config_static_selectorELNS0_4arch9wavefront6targetE1EEEvT1_
		.amdhsa_group_segment_fixed_size 0
		.amdhsa_private_segment_fixed_size 0
		.amdhsa_kernarg_size 112
		.amdhsa_user_sgpr_count 6
		.amdhsa_user_sgpr_private_segment_buffer 1
		.amdhsa_user_sgpr_dispatch_ptr 0
		.amdhsa_user_sgpr_queue_ptr 0
		.amdhsa_user_sgpr_kernarg_segment_ptr 1
		.amdhsa_user_sgpr_dispatch_id 0
		.amdhsa_user_sgpr_flat_scratch_init 0
		.amdhsa_user_sgpr_kernarg_preload_length 0
		.amdhsa_user_sgpr_kernarg_preload_offset 0
		.amdhsa_user_sgpr_private_segment_size 0
		.amdhsa_uses_dynamic_stack 0
		.amdhsa_system_sgpr_private_segment_wavefront_offset 0
		.amdhsa_system_sgpr_workgroup_id_x 1
		.amdhsa_system_sgpr_workgroup_id_y 0
		.amdhsa_system_sgpr_workgroup_id_z 0
		.amdhsa_system_sgpr_workgroup_info 0
		.amdhsa_system_vgpr_workitem_id 0
		.amdhsa_next_free_vgpr 1
		.amdhsa_next_free_sgpr 0
		.amdhsa_accum_offset 4
		.amdhsa_reserve_vcc 0
		.amdhsa_reserve_flat_scratch 0
		.amdhsa_float_round_mode_32 0
		.amdhsa_float_round_mode_16_64 0
		.amdhsa_float_denorm_mode_32 3
		.amdhsa_float_denorm_mode_16_64 3
		.amdhsa_dx10_clamp 1
		.amdhsa_ieee_mode 1
		.amdhsa_fp16_overflow 0
		.amdhsa_tg_split 0
		.amdhsa_exception_fp_ieee_invalid_op 0
		.amdhsa_exception_fp_denorm_src 0
		.amdhsa_exception_fp_ieee_div_zero 0
		.amdhsa_exception_fp_ieee_overflow 0
		.amdhsa_exception_fp_ieee_underflow 0
		.amdhsa_exception_fp_ieee_inexact 0
		.amdhsa_exception_int_div_zero 0
	.end_amdhsa_kernel
	.section	.text._ZN7rocprim17ROCPRIM_400000_NS6detail17trampoline_kernelINS0_14default_configENS1_27scan_by_key_config_selectorIifEEZZNS1_16scan_by_key_implILNS1_25lookback_scan_determinismE0ELb1ES3_N6thrust23THRUST_200600_302600_NS6detail15normal_iteratorINS9_10device_ptrIiEEEENSB_INSC_IfEEEESG_fNS9_4plusIvEENS9_8equal_toIvEEfEE10hipError_tPvRmT2_T3_T4_T5_mT6_T7_P12ihipStream_tbENKUlT_T0_E_clISt17integral_constantIbLb0EES11_EEDaSW_SX_EUlSW_E_NS1_11comp_targetILNS1_3genE3ELNS1_11target_archE908ELNS1_3gpuE7ELNS1_3repE0EEENS1_30default_config_static_selectorELNS0_4arch9wavefront6targetE1EEEvT1_,"axG",@progbits,_ZN7rocprim17ROCPRIM_400000_NS6detail17trampoline_kernelINS0_14default_configENS1_27scan_by_key_config_selectorIifEEZZNS1_16scan_by_key_implILNS1_25lookback_scan_determinismE0ELb1ES3_N6thrust23THRUST_200600_302600_NS6detail15normal_iteratorINS9_10device_ptrIiEEEENSB_INSC_IfEEEESG_fNS9_4plusIvEENS9_8equal_toIvEEfEE10hipError_tPvRmT2_T3_T4_T5_mT6_T7_P12ihipStream_tbENKUlT_T0_E_clISt17integral_constantIbLb0EES11_EEDaSW_SX_EUlSW_E_NS1_11comp_targetILNS1_3genE3ELNS1_11target_archE908ELNS1_3gpuE7ELNS1_3repE0EEENS1_30default_config_static_selectorELNS0_4arch9wavefront6targetE1EEEvT1_,comdat
.Lfunc_end1431:
	.size	_ZN7rocprim17ROCPRIM_400000_NS6detail17trampoline_kernelINS0_14default_configENS1_27scan_by_key_config_selectorIifEEZZNS1_16scan_by_key_implILNS1_25lookback_scan_determinismE0ELb1ES3_N6thrust23THRUST_200600_302600_NS6detail15normal_iteratorINS9_10device_ptrIiEEEENSB_INSC_IfEEEESG_fNS9_4plusIvEENS9_8equal_toIvEEfEE10hipError_tPvRmT2_T3_T4_T5_mT6_T7_P12ihipStream_tbENKUlT_T0_E_clISt17integral_constantIbLb0EES11_EEDaSW_SX_EUlSW_E_NS1_11comp_targetILNS1_3genE3ELNS1_11target_archE908ELNS1_3gpuE7ELNS1_3repE0EEENS1_30default_config_static_selectorELNS0_4arch9wavefront6targetE1EEEvT1_, .Lfunc_end1431-_ZN7rocprim17ROCPRIM_400000_NS6detail17trampoline_kernelINS0_14default_configENS1_27scan_by_key_config_selectorIifEEZZNS1_16scan_by_key_implILNS1_25lookback_scan_determinismE0ELb1ES3_N6thrust23THRUST_200600_302600_NS6detail15normal_iteratorINS9_10device_ptrIiEEEENSB_INSC_IfEEEESG_fNS9_4plusIvEENS9_8equal_toIvEEfEE10hipError_tPvRmT2_T3_T4_T5_mT6_T7_P12ihipStream_tbENKUlT_T0_E_clISt17integral_constantIbLb0EES11_EEDaSW_SX_EUlSW_E_NS1_11comp_targetILNS1_3genE3ELNS1_11target_archE908ELNS1_3gpuE7ELNS1_3repE0EEENS1_30default_config_static_selectorELNS0_4arch9wavefront6targetE1EEEvT1_
                                        ; -- End function
	.section	.AMDGPU.csdata,"",@progbits
; Kernel info:
; codeLenInByte = 0
; NumSgprs: 4
; NumVgprs: 0
; NumAgprs: 0
; TotalNumVgprs: 0
; ScratchSize: 0
; MemoryBound: 0
; FloatMode: 240
; IeeeMode: 1
; LDSByteSize: 0 bytes/workgroup (compile time only)
; SGPRBlocks: 0
; VGPRBlocks: 0
; NumSGPRsForWavesPerEU: 4
; NumVGPRsForWavesPerEU: 1
; AccumOffset: 4
; Occupancy: 8
; WaveLimiterHint : 0
; COMPUTE_PGM_RSRC2:SCRATCH_EN: 0
; COMPUTE_PGM_RSRC2:USER_SGPR: 6
; COMPUTE_PGM_RSRC2:TRAP_HANDLER: 0
; COMPUTE_PGM_RSRC2:TGID_X_EN: 1
; COMPUTE_PGM_RSRC2:TGID_Y_EN: 0
; COMPUTE_PGM_RSRC2:TGID_Z_EN: 0
; COMPUTE_PGM_RSRC2:TIDIG_COMP_CNT: 0
; COMPUTE_PGM_RSRC3_GFX90A:ACCUM_OFFSET: 0
; COMPUTE_PGM_RSRC3_GFX90A:TG_SPLIT: 0
	.section	.text._ZN7rocprim17ROCPRIM_400000_NS6detail17trampoline_kernelINS0_14default_configENS1_27scan_by_key_config_selectorIifEEZZNS1_16scan_by_key_implILNS1_25lookback_scan_determinismE0ELb1ES3_N6thrust23THRUST_200600_302600_NS6detail15normal_iteratorINS9_10device_ptrIiEEEENSB_INSC_IfEEEESG_fNS9_4plusIvEENS9_8equal_toIvEEfEE10hipError_tPvRmT2_T3_T4_T5_mT6_T7_P12ihipStream_tbENKUlT_T0_E_clISt17integral_constantIbLb0EES11_EEDaSW_SX_EUlSW_E_NS1_11comp_targetILNS1_3genE2ELNS1_11target_archE906ELNS1_3gpuE6ELNS1_3repE0EEENS1_30default_config_static_selectorELNS0_4arch9wavefront6targetE1EEEvT1_,"axG",@progbits,_ZN7rocprim17ROCPRIM_400000_NS6detail17trampoline_kernelINS0_14default_configENS1_27scan_by_key_config_selectorIifEEZZNS1_16scan_by_key_implILNS1_25lookback_scan_determinismE0ELb1ES3_N6thrust23THRUST_200600_302600_NS6detail15normal_iteratorINS9_10device_ptrIiEEEENSB_INSC_IfEEEESG_fNS9_4plusIvEENS9_8equal_toIvEEfEE10hipError_tPvRmT2_T3_T4_T5_mT6_T7_P12ihipStream_tbENKUlT_T0_E_clISt17integral_constantIbLb0EES11_EEDaSW_SX_EUlSW_E_NS1_11comp_targetILNS1_3genE2ELNS1_11target_archE906ELNS1_3gpuE6ELNS1_3repE0EEENS1_30default_config_static_selectorELNS0_4arch9wavefront6targetE1EEEvT1_,comdat
	.protected	_ZN7rocprim17ROCPRIM_400000_NS6detail17trampoline_kernelINS0_14default_configENS1_27scan_by_key_config_selectorIifEEZZNS1_16scan_by_key_implILNS1_25lookback_scan_determinismE0ELb1ES3_N6thrust23THRUST_200600_302600_NS6detail15normal_iteratorINS9_10device_ptrIiEEEENSB_INSC_IfEEEESG_fNS9_4plusIvEENS9_8equal_toIvEEfEE10hipError_tPvRmT2_T3_T4_T5_mT6_T7_P12ihipStream_tbENKUlT_T0_E_clISt17integral_constantIbLb0EES11_EEDaSW_SX_EUlSW_E_NS1_11comp_targetILNS1_3genE2ELNS1_11target_archE906ELNS1_3gpuE6ELNS1_3repE0EEENS1_30default_config_static_selectorELNS0_4arch9wavefront6targetE1EEEvT1_ ; -- Begin function _ZN7rocprim17ROCPRIM_400000_NS6detail17trampoline_kernelINS0_14default_configENS1_27scan_by_key_config_selectorIifEEZZNS1_16scan_by_key_implILNS1_25lookback_scan_determinismE0ELb1ES3_N6thrust23THRUST_200600_302600_NS6detail15normal_iteratorINS9_10device_ptrIiEEEENSB_INSC_IfEEEESG_fNS9_4plusIvEENS9_8equal_toIvEEfEE10hipError_tPvRmT2_T3_T4_T5_mT6_T7_P12ihipStream_tbENKUlT_T0_E_clISt17integral_constantIbLb0EES11_EEDaSW_SX_EUlSW_E_NS1_11comp_targetILNS1_3genE2ELNS1_11target_archE906ELNS1_3gpuE6ELNS1_3repE0EEENS1_30default_config_static_selectorELNS0_4arch9wavefront6targetE1EEEvT1_
	.globl	_ZN7rocprim17ROCPRIM_400000_NS6detail17trampoline_kernelINS0_14default_configENS1_27scan_by_key_config_selectorIifEEZZNS1_16scan_by_key_implILNS1_25lookback_scan_determinismE0ELb1ES3_N6thrust23THRUST_200600_302600_NS6detail15normal_iteratorINS9_10device_ptrIiEEEENSB_INSC_IfEEEESG_fNS9_4plusIvEENS9_8equal_toIvEEfEE10hipError_tPvRmT2_T3_T4_T5_mT6_T7_P12ihipStream_tbENKUlT_T0_E_clISt17integral_constantIbLb0EES11_EEDaSW_SX_EUlSW_E_NS1_11comp_targetILNS1_3genE2ELNS1_11target_archE906ELNS1_3gpuE6ELNS1_3repE0EEENS1_30default_config_static_selectorELNS0_4arch9wavefront6targetE1EEEvT1_
	.p2align	8
	.type	_ZN7rocprim17ROCPRIM_400000_NS6detail17trampoline_kernelINS0_14default_configENS1_27scan_by_key_config_selectorIifEEZZNS1_16scan_by_key_implILNS1_25lookback_scan_determinismE0ELb1ES3_N6thrust23THRUST_200600_302600_NS6detail15normal_iteratorINS9_10device_ptrIiEEEENSB_INSC_IfEEEESG_fNS9_4plusIvEENS9_8equal_toIvEEfEE10hipError_tPvRmT2_T3_T4_T5_mT6_T7_P12ihipStream_tbENKUlT_T0_E_clISt17integral_constantIbLb0EES11_EEDaSW_SX_EUlSW_E_NS1_11comp_targetILNS1_3genE2ELNS1_11target_archE906ELNS1_3gpuE6ELNS1_3repE0EEENS1_30default_config_static_selectorELNS0_4arch9wavefront6targetE1EEEvT1_,@function
_ZN7rocprim17ROCPRIM_400000_NS6detail17trampoline_kernelINS0_14default_configENS1_27scan_by_key_config_selectorIifEEZZNS1_16scan_by_key_implILNS1_25lookback_scan_determinismE0ELb1ES3_N6thrust23THRUST_200600_302600_NS6detail15normal_iteratorINS9_10device_ptrIiEEEENSB_INSC_IfEEEESG_fNS9_4plusIvEENS9_8equal_toIvEEfEE10hipError_tPvRmT2_T3_T4_T5_mT6_T7_P12ihipStream_tbENKUlT_T0_E_clISt17integral_constantIbLb0EES11_EEDaSW_SX_EUlSW_E_NS1_11comp_targetILNS1_3genE2ELNS1_11target_archE906ELNS1_3gpuE6ELNS1_3repE0EEENS1_30default_config_static_selectorELNS0_4arch9wavefront6targetE1EEEvT1_: ; @_ZN7rocprim17ROCPRIM_400000_NS6detail17trampoline_kernelINS0_14default_configENS1_27scan_by_key_config_selectorIifEEZZNS1_16scan_by_key_implILNS1_25lookback_scan_determinismE0ELb1ES3_N6thrust23THRUST_200600_302600_NS6detail15normal_iteratorINS9_10device_ptrIiEEEENSB_INSC_IfEEEESG_fNS9_4plusIvEENS9_8equal_toIvEEfEE10hipError_tPvRmT2_T3_T4_T5_mT6_T7_P12ihipStream_tbENKUlT_T0_E_clISt17integral_constantIbLb0EES11_EEDaSW_SX_EUlSW_E_NS1_11comp_targetILNS1_3genE2ELNS1_11target_archE906ELNS1_3gpuE6ELNS1_3repE0EEENS1_30default_config_static_selectorELNS0_4arch9wavefront6targetE1EEEvT1_
; %bb.0:
	.section	.rodata,"a",@progbits
	.p2align	6, 0x0
	.amdhsa_kernel _ZN7rocprim17ROCPRIM_400000_NS6detail17trampoline_kernelINS0_14default_configENS1_27scan_by_key_config_selectorIifEEZZNS1_16scan_by_key_implILNS1_25lookback_scan_determinismE0ELb1ES3_N6thrust23THRUST_200600_302600_NS6detail15normal_iteratorINS9_10device_ptrIiEEEENSB_INSC_IfEEEESG_fNS9_4plusIvEENS9_8equal_toIvEEfEE10hipError_tPvRmT2_T3_T4_T5_mT6_T7_P12ihipStream_tbENKUlT_T0_E_clISt17integral_constantIbLb0EES11_EEDaSW_SX_EUlSW_E_NS1_11comp_targetILNS1_3genE2ELNS1_11target_archE906ELNS1_3gpuE6ELNS1_3repE0EEENS1_30default_config_static_selectorELNS0_4arch9wavefront6targetE1EEEvT1_
		.amdhsa_group_segment_fixed_size 0
		.amdhsa_private_segment_fixed_size 0
		.amdhsa_kernarg_size 112
		.amdhsa_user_sgpr_count 6
		.amdhsa_user_sgpr_private_segment_buffer 1
		.amdhsa_user_sgpr_dispatch_ptr 0
		.amdhsa_user_sgpr_queue_ptr 0
		.amdhsa_user_sgpr_kernarg_segment_ptr 1
		.amdhsa_user_sgpr_dispatch_id 0
		.amdhsa_user_sgpr_flat_scratch_init 0
		.amdhsa_user_sgpr_kernarg_preload_length 0
		.amdhsa_user_sgpr_kernarg_preload_offset 0
		.amdhsa_user_sgpr_private_segment_size 0
		.amdhsa_uses_dynamic_stack 0
		.amdhsa_system_sgpr_private_segment_wavefront_offset 0
		.amdhsa_system_sgpr_workgroup_id_x 1
		.amdhsa_system_sgpr_workgroup_id_y 0
		.amdhsa_system_sgpr_workgroup_id_z 0
		.amdhsa_system_sgpr_workgroup_info 0
		.amdhsa_system_vgpr_workitem_id 0
		.amdhsa_next_free_vgpr 1
		.amdhsa_next_free_sgpr 0
		.amdhsa_accum_offset 4
		.amdhsa_reserve_vcc 0
		.amdhsa_reserve_flat_scratch 0
		.amdhsa_float_round_mode_32 0
		.amdhsa_float_round_mode_16_64 0
		.amdhsa_float_denorm_mode_32 3
		.amdhsa_float_denorm_mode_16_64 3
		.amdhsa_dx10_clamp 1
		.amdhsa_ieee_mode 1
		.amdhsa_fp16_overflow 0
		.amdhsa_tg_split 0
		.amdhsa_exception_fp_ieee_invalid_op 0
		.amdhsa_exception_fp_denorm_src 0
		.amdhsa_exception_fp_ieee_div_zero 0
		.amdhsa_exception_fp_ieee_overflow 0
		.amdhsa_exception_fp_ieee_underflow 0
		.amdhsa_exception_fp_ieee_inexact 0
		.amdhsa_exception_int_div_zero 0
	.end_amdhsa_kernel
	.section	.text._ZN7rocprim17ROCPRIM_400000_NS6detail17trampoline_kernelINS0_14default_configENS1_27scan_by_key_config_selectorIifEEZZNS1_16scan_by_key_implILNS1_25lookback_scan_determinismE0ELb1ES3_N6thrust23THRUST_200600_302600_NS6detail15normal_iteratorINS9_10device_ptrIiEEEENSB_INSC_IfEEEESG_fNS9_4plusIvEENS9_8equal_toIvEEfEE10hipError_tPvRmT2_T3_T4_T5_mT6_T7_P12ihipStream_tbENKUlT_T0_E_clISt17integral_constantIbLb0EES11_EEDaSW_SX_EUlSW_E_NS1_11comp_targetILNS1_3genE2ELNS1_11target_archE906ELNS1_3gpuE6ELNS1_3repE0EEENS1_30default_config_static_selectorELNS0_4arch9wavefront6targetE1EEEvT1_,"axG",@progbits,_ZN7rocprim17ROCPRIM_400000_NS6detail17trampoline_kernelINS0_14default_configENS1_27scan_by_key_config_selectorIifEEZZNS1_16scan_by_key_implILNS1_25lookback_scan_determinismE0ELb1ES3_N6thrust23THRUST_200600_302600_NS6detail15normal_iteratorINS9_10device_ptrIiEEEENSB_INSC_IfEEEESG_fNS9_4plusIvEENS9_8equal_toIvEEfEE10hipError_tPvRmT2_T3_T4_T5_mT6_T7_P12ihipStream_tbENKUlT_T0_E_clISt17integral_constantIbLb0EES11_EEDaSW_SX_EUlSW_E_NS1_11comp_targetILNS1_3genE2ELNS1_11target_archE906ELNS1_3gpuE6ELNS1_3repE0EEENS1_30default_config_static_selectorELNS0_4arch9wavefront6targetE1EEEvT1_,comdat
.Lfunc_end1432:
	.size	_ZN7rocprim17ROCPRIM_400000_NS6detail17trampoline_kernelINS0_14default_configENS1_27scan_by_key_config_selectorIifEEZZNS1_16scan_by_key_implILNS1_25lookback_scan_determinismE0ELb1ES3_N6thrust23THRUST_200600_302600_NS6detail15normal_iteratorINS9_10device_ptrIiEEEENSB_INSC_IfEEEESG_fNS9_4plusIvEENS9_8equal_toIvEEfEE10hipError_tPvRmT2_T3_T4_T5_mT6_T7_P12ihipStream_tbENKUlT_T0_E_clISt17integral_constantIbLb0EES11_EEDaSW_SX_EUlSW_E_NS1_11comp_targetILNS1_3genE2ELNS1_11target_archE906ELNS1_3gpuE6ELNS1_3repE0EEENS1_30default_config_static_selectorELNS0_4arch9wavefront6targetE1EEEvT1_, .Lfunc_end1432-_ZN7rocprim17ROCPRIM_400000_NS6detail17trampoline_kernelINS0_14default_configENS1_27scan_by_key_config_selectorIifEEZZNS1_16scan_by_key_implILNS1_25lookback_scan_determinismE0ELb1ES3_N6thrust23THRUST_200600_302600_NS6detail15normal_iteratorINS9_10device_ptrIiEEEENSB_INSC_IfEEEESG_fNS9_4plusIvEENS9_8equal_toIvEEfEE10hipError_tPvRmT2_T3_T4_T5_mT6_T7_P12ihipStream_tbENKUlT_T0_E_clISt17integral_constantIbLb0EES11_EEDaSW_SX_EUlSW_E_NS1_11comp_targetILNS1_3genE2ELNS1_11target_archE906ELNS1_3gpuE6ELNS1_3repE0EEENS1_30default_config_static_selectorELNS0_4arch9wavefront6targetE1EEEvT1_
                                        ; -- End function
	.section	.AMDGPU.csdata,"",@progbits
; Kernel info:
; codeLenInByte = 0
; NumSgprs: 4
; NumVgprs: 0
; NumAgprs: 0
; TotalNumVgprs: 0
; ScratchSize: 0
; MemoryBound: 0
; FloatMode: 240
; IeeeMode: 1
; LDSByteSize: 0 bytes/workgroup (compile time only)
; SGPRBlocks: 0
; VGPRBlocks: 0
; NumSGPRsForWavesPerEU: 4
; NumVGPRsForWavesPerEU: 1
; AccumOffset: 4
; Occupancy: 8
; WaveLimiterHint : 0
; COMPUTE_PGM_RSRC2:SCRATCH_EN: 0
; COMPUTE_PGM_RSRC2:USER_SGPR: 6
; COMPUTE_PGM_RSRC2:TRAP_HANDLER: 0
; COMPUTE_PGM_RSRC2:TGID_X_EN: 1
; COMPUTE_PGM_RSRC2:TGID_Y_EN: 0
; COMPUTE_PGM_RSRC2:TGID_Z_EN: 0
; COMPUTE_PGM_RSRC2:TIDIG_COMP_CNT: 0
; COMPUTE_PGM_RSRC3_GFX90A:ACCUM_OFFSET: 0
; COMPUTE_PGM_RSRC3_GFX90A:TG_SPLIT: 0
	.section	.text._ZN7rocprim17ROCPRIM_400000_NS6detail17trampoline_kernelINS0_14default_configENS1_27scan_by_key_config_selectorIifEEZZNS1_16scan_by_key_implILNS1_25lookback_scan_determinismE0ELb1ES3_N6thrust23THRUST_200600_302600_NS6detail15normal_iteratorINS9_10device_ptrIiEEEENSB_INSC_IfEEEESG_fNS9_4plusIvEENS9_8equal_toIvEEfEE10hipError_tPvRmT2_T3_T4_T5_mT6_T7_P12ihipStream_tbENKUlT_T0_E_clISt17integral_constantIbLb0EES11_EEDaSW_SX_EUlSW_E_NS1_11comp_targetILNS1_3genE10ELNS1_11target_archE1200ELNS1_3gpuE4ELNS1_3repE0EEENS1_30default_config_static_selectorELNS0_4arch9wavefront6targetE1EEEvT1_,"axG",@progbits,_ZN7rocprim17ROCPRIM_400000_NS6detail17trampoline_kernelINS0_14default_configENS1_27scan_by_key_config_selectorIifEEZZNS1_16scan_by_key_implILNS1_25lookback_scan_determinismE0ELb1ES3_N6thrust23THRUST_200600_302600_NS6detail15normal_iteratorINS9_10device_ptrIiEEEENSB_INSC_IfEEEESG_fNS9_4plusIvEENS9_8equal_toIvEEfEE10hipError_tPvRmT2_T3_T4_T5_mT6_T7_P12ihipStream_tbENKUlT_T0_E_clISt17integral_constantIbLb0EES11_EEDaSW_SX_EUlSW_E_NS1_11comp_targetILNS1_3genE10ELNS1_11target_archE1200ELNS1_3gpuE4ELNS1_3repE0EEENS1_30default_config_static_selectorELNS0_4arch9wavefront6targetE1EEEvT1_,comdat
	.protected	_ZN7rocprim17ROCPRIM_400000_NS6detail17trampoline_kernelINS0_14default_configENS1_27scan_by_key_config_selectorIifEEZZNS1_16scan_by_key_implILNS1_25lookback_scan_determinismE0ELb1ES3_N6thrust23THRUST_200600_302600_NS6detail15normal_iteratorINS9_10device_ptrIiEEEENSB_INSC_IfEEEESG_fNS9_4plusIvEENS9_8equal_toIvEEfEE10hipError_tPvRmT2_T3_T4_T5_mT6_T7_P12ihipStream_tbENKUlT_T0_E_clISt17integral_constantIbLb0EES11_EEDaSW_SX_EUlSW_E_NS1_11comp_targetILNS1_3genE10ELNS1_11target_archE1200ELNS1_3gpuE4ELNS1_3repE0EEENS1_30default_config_static_selectorELNS0_4arch9wavefront6targetE1EEEvT1_ ; -- Begin function _ZN7rocprim17ROCPRIM_400000_NS6detail17trampoline_kernelINS0_14default_configENS1_27scan_by_key_config_selectorIifEEZZNS1_16scan_by_key_implILNS1_25lookback_scan_determinismE0ELb1ES3_N6thrust23THRUST_200600_302600_NS6detail15normal_iteratorINS9_10device_ptrIiEEEENSB_INSC_IfEEEESG_fNS9_4plusIvEENS9_8equal_toIvEEfEE10hipError_tPvRmT2_T3_T4_T5_mT6_T7_P12ihipStream_tbENKUlT_T0_E_clISt17integral_constantIbLb0EES11_EEDaSW_SX_EUlSW_E_NS1_11comp_targetILNS1_3genE10ELNS1_11target_archE1200ELNS1_3gpuE4ELNS1_3repE0EEENS1_30default_config_static_selectorELNS0_4arch9wavefront6targetE1EEEvT1_
	.globl	_ZN7rocprim17ROCPRIM_400000_NS6detail17trampoline_kernelINS0_14default_configENS1_27scan_by_key_config_selectorIifEEZZNS1_16scan_by_key_implILNS1_25lookback_scan_determinismE0ELb1ES3_N6thrust23THRUST_200600_302600_NS6detail15normal_iteratorINS9_10device_ptrIiEEEENSB_INSC_IfEEEESG_fNS9_4plusIvEENS9_8equal_toIvEEfEE10hipError_tPvRmT2_T3_T4_T5_mT6_T7_P12ihipStream_tbENKUlT_T0_E_clISt17integral_constantIbLb0EES11_EEDaSW_SX_EUlSW_E_NS1_11comp_targetILNS1_3genE10ELNS1_11target_archE1200ELNS1_3gpuE4ELNS1_3repE0EEENS1_30default_config_static_selectorELNS0_4arch9wavefront6targetE1EEEvT1_
	.p2align	8
	.type	_ZN7rocprim17ROCPRIM_400000_NS6detail17trampoline_kernelINS0_14default_configENS1_27scan_by_key_config_selectorIifEEZZNS1_16scan_by_key_implILNS1_25lookback_scan_determinismE0ELb1ES3_N6thrust23THRUST_200600_302600_NS6detail15normal_iteratorINS9_10device_ptrIiEEEENSB_INSC_IfEEEESG_fNS9_4plusIvEENS9_8equal_toIvEEfEE10hipError_tPvRmT2_T3_T4_T5_mT6_T7_P12ihipStream_tbENKUlT_T0_E_clISt17integral_constantIbLb0EES11_EEDaSW_SX_EUlSW_E_NS1_11comp_targetILNS1_3genE10ELNS1_11target_archE1200ELNS1_3gpuE4ELNS1_3repE0EEENS1_30default_config_static_selectorELNS0_4arch9wavefront6targetE1EEEvT1_,@function
_ZN7rocprim17ROCPRIM_400000_NS6detail17trampoline_kernelINS0_14default_configENS1_27scan_by_key_config_selectorIifEEZZNS1_16scan_by_key_implILNS1_25lookback_scan_determinismE0ELb1ES3_N6thrust23THRUST_200600_302600_NS6detail15normal_iteratorINS9_10device_ptrIiEEEENSB_INSC_IfEEEESG_fNS9_4plusIvEENS9_8equal_toIvEEfEE10hipError_tPvRmT2_T3_T4_T5_mT6_T7_P12ihipStream_tbENKUlT_T0_E_clISt17integral_constantIbLb0EES11_EEDaSW_SX_EUlSW_E_NS1_11comp_targetILNS1_3genE10ELNS1_11target_archE1200ELNS1_3gpuE4ELNS1_3repE0EEENS1_30default_config_static_selectorELNS0_4arch9wavefront6targetE1EEEvT1_: ; @_ZN7rocprim17ROCPRIM_400000_NS6detail17trampoline_kernelINS0_14default_configENS1_27scan_by_key_config_selectorIifEEZZNS1_16scan_by_key_implILNS1_25lookback_scan_determinismE0ELb1ES3_N6thrust23THRUST_200600_302600_NS6detail15normal_iteratorINS9_10device_ptrIiEEEENSB_INSC_IfEEEESG_fNS9_4plusIvEENS9_8equal_toIvEEfEE10hipError_tPvRmT2_T3_T4_T5_mT6_T7_P12ihipStream_tbENKUlT_T0_E_clISt17integral_constantIbLb0EES11_EEDaSW_SX_EUlSW_E_NS1_11comp_targetILNS1_3genE10ELNS1_11target_archE1200ELNS1_3gpuE4ELNS1_3repE0EEENS1_30default_config_static_selectorELNS0_4arch9wavefront6targetE1EEEvT1_
; %bb.0:
	.section	.rodata,"a",@progbits
	.p2align	6, 0x0
	.amdhsa_kernel _ZN7rocprim17ROCPRIM_400000_NS6detail17trampoline_kernelINS0_14default_configENS1_27scan_by_key_config_selectorIifEEZZNS1_16scan_by_key_implILNS1_25lookback_scan_determinismE0ELb1ES3_N6thrust23THRUST_200600_302600_NS6detail15normal_iteratorINS9_10device_ptrIiEEEENSB_INSC_IfEEEESG_fNS9_4plusIvEENS9_8equal_toIvEEfEE10hipError_tPvRmT2_T3_T4_T5_mT6_T7_P12ihipStream_tbENKUlT_T0_E_clISt17integral_constantIbLb0EES11_EEDaSW_SX_EUlSW_E_NS1_11comp_targetILNS1_3genE10ELNS1_11target_archE1200ELNS1_3gpuE4ELNS1_3repE0EEENS1_30default_config_static_selectorELNS0_4arch9wavefront6targetE1EEEvT1_
		.amdhsa_group_segment_fixed_size 0
		.amdhsa_private_segment_fixed_size 0
		.amdhsa_kernarg_size 112
		.amdhsa_user_sgpr_count 6
		.amdhsa_user_sgpr_private_segment_buffer 1
		.amdhsa_user_sgpr_dispatch_ptr 0
		.amdhsa_user_sgpr_queue_ptr 0
		.amdhsa_user_sgpr_kernarg_segment_ptr 1
		.amdhsa_user_sgpr_dispatch_id 0
		.amdhsa_user_sgpr_flat_scratch_init 0
		.amdhsa_user_sgpr_kernarg_preload_length 0
		.amdhsa_user_sgpr_kernarg_preload_offset 0
		.amdhsa_user_sgpr_private_segment_size 0
		.amdhsa_uses_dynamic_stack 0
		.amdhsa_system_sgpr_private_segment_wavefront_offset 0
		.amdhsa_system_sgpr_workgroup_id_x 1
		.amdhsa_system_sgpr_workgroup_id_y 0
		.amdhsa_system_sgpr_workgroup_id_z 0
		.amdhsa_system_sgpr_workgroup_info 0
		.amdhsa_system_vgpr_workitem_id 0
		.amdhsa_next_free_vgpr 1
		.amdhsa_next_free_sgpr 0
		.amdhsa_accum_offset 4
		.amdhsa_reserve_vcc 0
		.amdhsa_reserve_flat_scratch 0
		.amdhsa_float_round_mode_32 0
		.amdhsa_float_round_mode_16_64 0
		.amdhsa_float_denorm_mode_32 3
		.amdhsa_float_denorm_mode_16_64 3
		.amdhsa_dx10_clamp 1
		.amdhsa_ieee_mode 1
		.amdhsa_fp16_overflow 0
		.amdhsa_tg_split 0
		.amdhsa_exception_fp_ieee_invalid_op 0
		.amdhsa_exception_fp_denorm_src 0
		.amdhsa_exception_fp_ieee_div_zero 0
		.amdhsa_exception_fp_ieee_overflow 0
		.amdhsa_exception_fp_ieee_underflow 0
		.amdhsa_exception_fp_ieee_inexact 0
		.amdhsa_exception_int_div_zero 0
	.end_amdhsa_kernel
	.section	.text._ZN7rocprim17ROCPRIM_400000_NS6detail17trampoline_kernelINS0_14default_configENS1_27scan_by_key_config_selectorIifEEZZNS1_16scan_by_key_implILNS1_25lookback_scan_determinismE0ELb1ES3_N6thrust23THRUST_200600_302600_NS6detail15normal_iteratorINS9_10device_ptrIiEEEENSB_INSC_IfEEEESG_fNS9_4plusIvEENS9_8equal_toIvEEfEE10hipError_tPvRmT2_T3_T4_T5_mT6_T7_P12ihipStream_tbENKUlT_T0_E_clISt17integral_constantIbLb0EES11_EEDaSW_SX_EUlSW_E_NS1_11comp_targetILNS1_3genE10ELNS1_11target_archE1200ELNS1_3gpuE4ELNS1_3repE0EEENS1_30default_config_static_selectorELNS0_4arch9wavefront6targetE1EEEvT1_,"axG",@progbits,_ZN7rocprim17ROCPRIM_400000_NS6detail17trampoline_kernelINS0_14default_configENS1_27scan_by_key_config_selectorIifEEZZNS1_16scan_by_key_implILNS1_25lookback_scan_determinismE0ELb1ES3_N6thrust23THRUST_200600_302600_NS6detail15normal_iteratorINS9_10device_ptrIiEEEENSB_INSC_IfEEEESG_fNS9_4plusIvEENS9_8equal_toIvEEfEE10hipError_tPvRmT2_T3_T4_T5_mT6_T7_P12ihipStream_tbENKUlT_T0_E_clISt17integral_constantIbLb0EES11_EEDaSW_SX_EUlSW_E_NS1_11comp_targetILNS1_3genE10ELNS1_11target_archE1200ELNS1_3gpuE4ELNS1_3repE0EEENS1_30default_config_static_selectorELNS0_4arch9wavefront6targetE1EEEvT1_,comdat
.Lfunc_end1433:
	.size	_ZN7rocprim17ROCPRIM_400000_NS6detail17trampoline_kernelINS0_14default_configENS1_27scan_by_key_config_selectorIifEEZZNS1_16scan_by_key_implILNS1_25lookback_scan_determinismE0ELb1ES3_N6thrust23THRUST_200600_302600_NS6detail15normal_iteratorINS9_10device_ptrIiEEEENSB_INSC_IfEEEESG_fNS9_4plusIvEENS9_8equal_toIvEEfEE10hipError_tPvRmT2_T3_T4_T5_mT6_T7_P12ihipStream_tbENKUlT_T0_E_clISt17integral_constantIbLb0EES11_EEDaSW_SX_EUlSW_E_NS1_11comp_targetILNS1_3genE10ELNS1_11target_archE1200ELNS1_3gpuE4ELNS1_3repE0EEENS1_30default_config_static_selectorELNS0_4arch9wavefront6targetE1EEEvT1_, .Lfunc_end1433-_ZN7rocprim17ROCPRIM_400000_NS6detail17trampoline_kernelINS0_14default_configENS1_27scan_by_key_config_selectorIifEEZZNS1_16scan_by_key_implILNS1_25lookback_scan_determinismE0ELb1ES3_N6thrust23THRUST_200600_302600_NS6detail15normal_iteratorINS9_10device_ptrIiEEEENSB_INSC_IfEEEESG_fNS9_4plusIvEENS9_8equal_toIvEEfEE10hipError_tPvRmT2_T3_T4_T5_mT6_T7_P12ihipStream_tbENKUlT_T0_E_clISt17integral_constantIbLb0EES11_EEDaSW_SX_EUlSW_E_NS1_11comp_targetILNS1_3genE10ELNS1_11target_archE1200ELNS1_3gpuE4ELNS1_3repE0EEENS1_30default_config_static_selectorELNS0_4arch9wavefront6targetE1EEEvT1_
                                        ; -- End function
	.section	.AMDGPU.csdata,"",@progbits
; Kernel info:
; codeLenInByte = 0
; NumSgprs: 4
; NumVgprs: 0
; NumAgprs: 0
; TotalNumVgprs: 0
; ScratchSize: 0
; MemoryBound: 0
; FloatMode: 240
; IeeeMode: 1
; LDSByteSize: 0 bytes/workgroup (compile time only)
; SGPRBlocks: 0
; VGPRBlocks: 0
; NumSGPRsForWavesPerEU: 4
; NumVGPRsForWavesPerEU: 1
; AccumOffset: 4
; Occupancy: 8
; WaveLimiterHint : 0
; COMPUTE_PGM_RSRC2:SCRATCH_EN: 0
; COMPUTE_PGM_RSRC2:USER_SGPR: 6
; COMPUTE_PGM_RSRC2:TRAP_HANDLER: 0
; COMPUTE_PGM_RSRC2:TGID_X_EN: 1
; COMPUTE_PGM_RSRC2:TGID_Y_EN: 0
; COMPUTE_PGM_RSRC2:TGID_Z_EN: 0
; COMPUTE_PGM_RSRC2:TIDIG_COMP_CNT: 0
; COMPUTE_PGM_RSRC3_GFX90A:ACCUM_OFFSET: 0
; COMPUTE_PGM_RSRC3_GFX90A:TG_SPLIT: 0
	.section	.text._ZN7rocprim17ROCPRIM_400000_NS6detail17trampoline_kernelINS0_14default_configENS1_27scan_by_key_config_selectorIifEEZZNS1_16scan_by_key_implILNS1_25lookback_scan_determinismE0ELb1ES3_N6thrust23THRUST_200600_302600_NS6detail15normal_iteratorINS9_10device_ptrIiEEEENSB_INSC_IfEEEESG_fNS9_4plusIvEENS9_8equal_toIvEEfEE10hipError_tPvRmT2_T3_T4_T5_mT6_T7_P12ihipStream_tbENKUlT_T0_E_clISt17integral_constantIbLb0EES11_EEDaSW_SX_EUlSW_E_NS1_11comp_targetILNS1_3genE9ELNS1_11target_archE1100ELNS1_3gpuE3ELNS1_3repE0EEENS1_30default_config_static_selectorELNS0_4arch9wavefront6targetE1EEEvT1_,"axG",@progbits,_ZN7rocprim17ROCPRIM_400000_NS6detail17trampoline_kernelINS0_14default_configENS1_27scan_by_key_config_selectorIifEEZZNS1_16scan_by_key_implILNS1_25lookback_scan_determinismE0ELb1ES3_N6thrust23THRUST_200600_302600_NS6detail15normal_iteratorINS9_10device_ptrIiEEEENSB_INSC_IfEEEESG_fNS9_4plusIvEENS9_8equal_toIvEEfEE10hipError_tPvRmT2_T3_T4_T5_mT6_T7_P12ihipStream_tbENKUlT_T0_E_clISt17integral_constantIbLb0EES11_EEDaSW_SX_EUlSW_E_NS1_11comp_targetILNS1_3genE9ELNS1_11target_archE1100ELNS1_3gpuE3ELNS1_3repE0EEENS1_30default_config_static_selectorELNS0_4arch9wavefront6targetE1EEEvT1_,comdat
	.protected	_ZN7rocprim17ROCPRIM_400000_NS6detail17trampoline_kernelINS0_14default_configENS1_27scan_by_key_config_selectorIifEEZZNS1_16scan_by_key_implILNS1_25lookback_scan_determinismE0ELb1ES3_N6thrust23THRUST_200600_302600_NS6detail15normal_iteratorINS9_10device_ptrIiEEEENSB_INSC_IfEEEESG_fNS9_4plusIvEENS9_8equal_toIvEEfEE10hipError_tPvRmT2_T3_T4_T5_mT6_T7_P12ihipStream_tbENKUlT_T0_E_clISt17integral_constantIbLb0EES11_EEDaSW_SX_EUlSW_E_NS1_11comp_targetILNS1_3genE9ELNS1_11target_archE1100ELNS1_3gpuE3ELNS1_3repE0EEENS1_30default_config_static_selectorELNS0_4arch9wavefront6targetE1EEEvT1_ ; -- Begin function _ZN7rocprim17ROCPRIM_400000_NS6detail17trampoline_kernelINS0_14default_configENS1_27scan_by_key_config_selectorIifEEZZNS1_16scan_by_key_implILNS1_25lookback_scan_determinismE0ELb1ES3_N6thrust23THRUST_200600_302600_NS6detail15normal_iteratorINS9_10device_ptrIiEEEENSB_INSC_IfEEEESG_fNS9_4plusIvEENS9_8equal_toIvEEfEE10hipError_tPvRmT2_T3_T4_T5_mT6_T7_P12ihipStream_tbENKUlT_T0_E_clISt17integral_constantIbLb0EES11_EEDaSW_SX_EUlSW_E_NS1_11comp_targetILNS1_3genE9ELNS1_11target_archE1100ELNS1_3gpuE3ELNS1_3repE0EEENS1_30default_config_static_selectorELNS0_4arch9wavefront6targetE1EEEvT1_
	.globl	_ZN7rocprim17ROCPRIM_400000_NS6detail17trampoline_kernelINS0_14default_configENS1_27scan_by_key_config_selectorIifEEZZNS1_16scan_by_key_implILNS1_25lookback_scan_determinismE0ELb1ES3_N6thrust23THRUST_200600_302600_NS6detail15normal_iteratorINS9_10device_ptrIiEEEENSB_INSC_IfEEEESG_fNS9_4plusIvEENS9_8equal_toIvEEfEE10hipError_tPvRmT2_T3_T4_T5_mT6_T7_P12ihipStream_tbENKUlT_T0_E_clISt17integral_constantIbLb0EES11_EEDaSW_SX_EUlSW_E_NS1_11comp_targetILNS1_3genE9ELNS1_11target_archE1100ELNS1_3gpuE3ELNS1_3repE0EEENS1_30default_config_static_selectorELNS0_4arch9wavefront6targetE1EEEvT1_
	.p2align	8
	.type	_ZN7rocprim17ROCPRIM_400000_NS6detail17trampoline_kernelINS0_14default_configENS1_27scan_by_key_config_selectorIifEEZZNS1_16scan_by_key_implILNS1_25lookback_scan_determinismE0ELb1ES3_N6thrust23THRUST_200600_302600_NS6detail15normal_iteratorINS9_10device_ptrIiEEEENSB_INSC_IfEEEESG_fNS9_4plusIvEENS9_8equal_toIvEEfEE10hipError_tPvRmT2_T3_T4_T5_mT6_T7_P12ihipStream_tbENKUlT_T0_E_clISt17integral_constantIbLb0EES11_EEDaSW_SX_EUlSW_E_NS1_11comp_targetILNS1_3genE9ELNS1_11target_archE1100ELNS1_3gpuE3ELNS1_3repE0EEENS1_30default_config_static_selectorELNS0_4arch9wavefront6targetE1EEEvT1_,@function
_ZN7rocprim17ROCPRIM_400000_NS6detail17trampoline_kernelINS0_14default_configENS1_27scan_by_key_config_selectorIifEEZZNS1_16scan_by_key_implILNS1_25lookback_scan_determinismE0ELb1ES3_N6thrust23THRUST_200600_302600_NS6detail15normal_iteratorINS9_10device_ptrIiEEEENSB_INSC_IfEEEESG_fNS9_4plusIvEENS9_8equal_toIvEEfEE10hipError_tPvRmT2_T3_T4_T5_mT6_T7_P12ihipStream_tbENKUlT_T0_E_clISt17integral_constantIbLb0EES11_EEDaSW_SX_EUlSW_E_NS1_11comp_targetILNS1_3genE9ELNS1_11target_archE1100ELNS1_3gpuE3ELNS1_3repE0EEENS1_30default_config_static_selectorELNS0_4arch9wavefront6targetE1EEEvT1_: ; @_ZN7rocprim17ROCPRIM_400000_NS6detail17trampoline_kernelINS0_14default_configENS1_27scan_by_key_config_selectorIifEEZZNS1_16scan_by_key_implILNS1_25lookback_scan_determinismE0ELb1ES3_N6thrust23THRUST_200600_302600_NS6detail15normal_iteratorINS9_10device_ptrIiEEEENSB_INSC_IfEEEESG_fNS9_4plusIvEENS9_8equal_toIvEEfEE10hipError_tPvRmT2_T3_T4_T5_mT6_T7_P12ihipStream_tbENKUlT_T0_E_clISt17integral_constantIbLb0EES11_EEDaSW_SX_EUlSW_E_NS1_11comp_targetILNS1_3genE9ELNS1_11target_archE1100ELNS1_3gpuE3ELNS1_3repE0EEENS1_30default_config_static_selectorELNS0_4arch9wavefront6targetE1EEEvT1_
; %bb.0:
	.section	.rodata,"a",@progbits
	.p2align	6, 0x0
	.amdhsa_kernel _ZN7rocprim17ROCPRIM_400000_NS6detail17trampoline_kernelINS0_14default_configENS1_27scan_by_key_config_selectorIifEEZZNS1_16scan_by_key_implILNS1_25lookback_scan_determinismE0ELb1ES3_N6thrust23THRUST_200600_302600_NS6detail15normal_iteratorINS9_10device_ptrIiEEEENSB_INSC_IfEEEESG_fNS9_4plusIvEENS9_8equal_toIvEEfEE10hipError_tPvRmT2_T3_T4_T5_mT6_T7_P12ihipStream_tbENKUlT_T0_E_clISt17integral_constantIbLb0EES11_EEDaSW_SX_EUlSW_E_NS1_11comp_targetILNS1_3genE9ELNS1_11target_archE1100ELNS1_3gpuE3ELNS1_3repE0EEENS1_30default_config_static_selectorELNS0_4arch9wavefront6targetE1EEEvT1_
		.amdhsa_group_segment_fixed_size 0
		.amdhsa_private_segment_fixed_size 0
		.amdhsa_kernarg_size 112
		.amdhsa_user_sgpr_count 6
		.amdhsa_user_sgpr_private_segment_buffer 1
		.amdhsa_user_sgpr_dispatch_ptr 0
		.amdhsa_user_sgpr_queue_ptr 0
		.amdhsa_user_sgpr_kernarg_segment_ptr 1
		.amdhsa_user_sgpr_dispatch_id 0
		.amdhsa_user_sgpr_flat_scratch_init 0
		.amdhsa_user_sgpr_kernarg_preload_length 0
		.amdhsa_user_sgpr_kernarg_preload_offset 0
		.amdhsa_user_sgpr_private_segment_size 0
		.amdhsa_uses_dynamic_stack 0
		.amdhsa_system_sgpr_private_segment_wavefront_offset 0
		.amdhsa_system_sgpr_workgroup_id_x 1
		.amdhsa_system_sgpr_workgroup_id_y 0
		.amdhsa_system_sgpr_workgroup_id_z 0
		.amdhsa_system_sgpr_workgroup_info 0
		.amdhsa_system_vgpr_workitem_id 0
		.amdhsa_next_free_vgpr 1
		.amdhsa_next_free_sgpr 0
		.amdhsa_accum_offset 4
		.amdhsa_reserve_vcc 0
		.amdhsa_reserve_flat_scratch 0
		.amdhsa_float_round_mode_32 0
		.amdhsa_float_round_mode_16_64 0
		.amdhsa_float_denorm_mode_32 3
		.amdhsa_float_denorm_mode_16_64 3
		.amdhsa_dx10_clamp 1
		.amdhsa_ieee_mode 1
		.amdhsa_fp16_overflow 0
		.amdhsa_tg_split 0
		.amdhsa_exception_fp_ieee_invalid_op 0
		.amdhsa_exception_fp_denorm_src 0
		.amdhsa_exception_fp_ieee_div_zero 0
		.amdhsa_exception_fp_ieee_overflow 0
		.amdhsa_exception_fp_ieee_underflow 0
		.amdhsa_exception_fp_ieee_inexact 0
		.amdhsa_exception_int_div_zero 0
	.end_amdhsa_kernel
	.section	.text._ZN7rocprim17ROCPRIM_400000_NS6detail17trampoline_kernelINS0_14default_configENS1_27scan_by_key_config_selectorIifEEZZNS1_16scan_by_key_implILNS1_25lookback_scan_determinismE0ELb1ES3_N6thrust23THRUST_200600_302600_NS6detail15normal_iteratorINS9_10device_ptrIiEEEENSB_INSC_IfEEEESG_fNS9_4plusIvEENS9_8equal_toIvEEfEE10hipError_tPvRmT2_T3_T4_T5_mT6_T7_P12ihipStream_tbENKUlT_T0_E_clISt17integral_constantIbLb0EES11_EEDaSW_SX_EUlSW_E_NS1_11comp_targetILNS1_3genE9ELNS1_11target_archE1100ELNS1_3gpuE3ELNS1_3repE0EEENS1_30default_config_static_selectorELNS0_4arch9wavefront6targetE1EEEvT1_,"axG",@progbits,_ZN7rocprim17ROCPRIM_400000_NS6detail17trampoline_kernelINS0_14default_configENS1_27scan_by_key_config_selectorIifEEZZNS1_16scan_by_key_implILNS1_25lookback_scan_determinismE0ELb1ES3_N6thrust23THRUST_200600_302600_NS6detail15normal_iteratorINS9_10device_ptrIiEEEENSB_INSC_IfEEEESG_fNS9_4plusIvEENS9_8equal_toIvEEfEE10hipError_tPvRmT2_T3_T4_T5_mT6_T7_P12ihipStream_tbENKUlT_T0_E_clISt17integral_constantIbLb0EES11_EEDaSW_SX_EUlSW_E_NS1_11comp_targetILNS1_3genE9ELNS1_11target_archE1100ELNS1_3gpuE3ELNS1_3repE0EEENS1_30default_config_static_selectorELNS0_4arch9wavefront6targetE1EEEvT1_,comdat
.Lfunc_end1434:
	.size	_ZN7rocprim17ROCPRIM_400000_NS6detail17trampoline_kernelINS0_14default_configENS1_27scan_by_key_config_selectorIifEEZZNS1_16scan_by_key_implILNS1_25lookback_scan_determinismE0ELb1ES3_N6thrust23THRUST_200600_302600_NS6detail15normal_iteratorINS9_10device_ptrIiEEEENSB_INSC_IfEEEESG_fNS9_4plusIvEENS9_8equal_toIvEEfEE10hipError_tPvRmT2_T3_T4_T5_mT6_T7_P12ihipStream_tbENKUlT_T0_E_clISt17integral_constantIbLb0EES11_EEDaSW_SX_EUlSW_E_NS1_11comp_targetILNS1_3genE9ELNS1_11target_archE1100ELNS1_3gpuE3ELNS1_3repE0EEENS1_30default_config_static_selectorELNS0_4arch9wavefront6targetE1EEEvT1_, .Lfunc_end1434-_ZN7rocprim17ROCPRIM_400000_NS6detail17trampoline_kernelINS0_14default_configENS1_27scan_by_key_config_selectorIifEEZZNS1_16scan_by_key_implILNS1_25lookback_scan_determinismE0ELb1ES3_N6thrust23THRUST_200600_302600_NS6detail15normal_iteratorINS9_10device_ptrIiEEEENSB_INSC_IfEEEESG_fNS9_4plusIvEENS9_8equal_toIvEEfEE10hipError_tPvRmT2_T3_T4_T5_mT6_T7_P12ihipStream_tbENKUlT_T0_E_clISt17integral_constantIbLb0EES11_EEDaSW_SX_EUlSW_E_NS1_11comp_targetILNS1_3genE9ELNS1_11target_archE1100ELNS1_3gpuE3ELNS1_3repE0EEENS1_30default_config_static_selectorELNS0_4arch9wavefront6targetE1EEEvT1_
                                        ; -- End function
	.section	.AMDGPU.csdata,"",@progbits
; Kernel info:
; codeLenInByte = 0
; NumSgprs: 4
; NumVgprs: 0
; NumAgprs: 0
; TotalNumVgprs: 0
; ScratchSize: 0
; MemoryBound: 0
; FloatMode: 240
; IeeeMode: 1
; LDSByteSize: 0 bytes/workgroup (compile time only)
; SGPRBlocks: 0
; VGPRBlocks: 0
; NumSGPRsForWavesPerEU: 4
; NumVGPRsForWavesPerEU: 1
; AccumOffset: 4
; Occupancy: 8
; WaveLimiterHint : 0
; COMPUTE_PGM_RSRC2:SCRATCH_EN: 0
; COMPUTE_PGM_RSRC2:USER_SGPR: 6
; COMPUTE_PGM_RSRC2:TRAP_HANDLER: 0
; COMPUTE_PGM_RSRC2:TGID_X_EN: 1
; COMPUTE_PGM_RSRC2:TGID_Y_EN: 0
; COMPUTE_PGM_RSRC2:TGID_Z_EN: 0
; COMPUTE_PGM_RSRC2:TIDIG_COMP_CNT: 0
; COMPUTE_PGM_RSRC3_GFX90A:ACCUM_OFFSET: 0
; COMPUTE_PGM_RSRC3_GFX90A:TG_SPLIT: 0
	.section	.text._ZN7rocprim17ROCPRIM_400000_NS6detail17trampoline_kernelINS0_14default_configENS1_27scan_by_key_config_selectorIifEEZZNS1_16scan_by_key_implILNS1_25lookback_scan_determinismE0ELb1ES3_N6thrust23THRUST_200600_302600_NS6detail15normal_iteratorINS9_10device_ptrIiEEEENSB_INSC_IfEEEESG_fNS9_4plusIvEENS9_8equal_toIvEEfEE10hipError_tPvRmT2_T3_T4_T5_mT6_T7_P12ihipStream_tbENKUlT_T0_E_clISt17integral_constantIbLb0EES11_EEDaSW_SX_EUlSW_E_NS1_11comp_targetILNS1_3genE8ELNS1_11target_archE1030ELNS1_3gpuE2ELNS1_3repE0EEENS1_30default_config_static_selectorELNS0_4arch9wavefront6targetE1EEEvT1_,"axG",@progbits,_ZN7rocprim17ROCPRIM_400000_NS6detail17trampoline_kernelINS0_14default_configENS1_27scan_by_key_config_selectorIifEEZZNS1_16scan_by_key_implILNS1_25lookback_scan_determinismE0ELb1ES3_N6thrust23THRUST_200600_302600_NS6detail15normal_iteratorINS9_10device_ptrIiEEEENSB_INSC_IfEEEESG_fNS9_4plusIvEENS9_8equal_toIvEEfEE10hipError_tPvRmT2_T3_T4_T5_mT6_T7_P12ihipStream_tbENKUlT_T0_E_clISt17integral_constantIbLb0EES11_EEDaSW_SX_EUlSW_E_NS1_11comp_targetILNS1_3genE8ELNS1_11target_archE1030ELNS1_3gpuE2ELNS1_3repE0EEENS1_30default_config_static_selectorELNS0_4arch9wavefront6targetE1EEEvT1_,comdat
	.protected	_ZN7rocprim17ROCPRIM_400000_NS6detail17trampoline_kernelINS0_14default_configENS1_27scan_by_key_config_selectorIifEEZZNS1_16scan_by_key_implILNS1_25lookback_scan_determinismE0ELb1ES3_N6thrust23THRUST_200600_302600_NS6detail15normal_iteratorINS9_10device_ptrIiEEEENSB_INSC_IfEEEESG_fNS9_4plusIvEENS9_8equal_toIvEEfEE10hipError_tPvRmT2_T3_T4_T5_mT6_T7_P12ihipStream_tbENKUlT_T0_E_clISt17integral_constantIbLb0EES11_EEDaSW_SX_EUlSW_E_NS1_11comp_targetILNS1_3genE8ELNS1_11target_archE1030ELNS1_3gpuE2ELNS1_3repE0EEENS1_30default_config_static_selectorELNS0_4arch9wavefront6targetE1EEEvT1_ ; -- Begin function _ZN7rocprim17ROCPRIM_400000_NS6detail17trampoline_kernelINS0_14default_configENS1_27scan_by_key_config_selectorIifEEZZNS1_16scan_by_key_implILNS1_25lookback_scan_determinismE0ELb1ES3_N6thrust23THRUST_200600_302600_NS6detail15normal_iteratorINS9_10device_ptrIiEEEENSB_INSC_IfEEEESG_fNS9_4plusIvEENS9_8equal_toIvEEfEE10hipError_tPvRmT2_T3_T4_T5_mT6_T7_P12ihipStream_tbENKUlT_T0_E_clISt17integral_constantIbLb0EES11_EEDaSW_SX_EUlSW_E_NS1_11comp_targetILNS1_3genE8ELNS1_11target_archE1030ELNS1_3gpuE2ELNS1_3repE0EEENS1_30default_config_static_selectorELNS0_4arch9wavefront6targetE1EEEvT1_
	.globl	_ZN7rocprim17ROCPRIM_400000_NS6detail17trampoline_kernelINS0_14default_configENS1_27scan_by_key_config_selectorIifEEZZNS1_16scan_by_key_implILNS1_25lookback_scan_determinismE0ELb1ES3_N6thrust23THRUST_200600_302600_NS6detail15normal_iteratorINS9_10device_ptrIiEEEENSB_INSC_IfEEEESG_fNS9_4plusIvEENS9_8equal_toIvEEfEE10hipError_tPvRmT2_T3_T4_T5_mT6_T7_P12ihipStream_tbENKUlT_T0_E_clISt17integral_constantIbLb0EES11_EEDaSW_SX_EUlSW_E_NS1_11comp_targetILNS1_3genE8ELNS1_11target_archE1030ELNS1_3gpuE2ELNS1_3repE0EEENS1_30default_config_static_selectorELNS0_4arch9wavefront6targetE1EEEvT1_
	.p2align	8
	.type	_ZN7rocprim17ROCPRIM_400000_NS6detail17trampoline_kernelINS0_14default_configENS1_27scan_by_key_config_selectorIifEEZZNS1_16scan_by_key_implILNS1_25lookback_scan_determinismE0ELb1ES3_N6thrust23THRUST_200600_302600_NS6detail15normal_iteratorINS9_10device_ptrIiEEEENSB_INSC_IfEEEESG_fNS9_4plusIvEENS9_8equal_toIvEEfEE10hipError_tPvRmT2_T3_T4_T5_mT6_T7_P12ihipStream_tbENKUlT_T0_E_clISt17integral_constantIbLb0EES11_EEDaSW_SX_EUlSW_E_NS1_11comp_targetILNS1_3genE8ELNS1_11target_archE1030ELNS1_3gpuE2ELNS1_3repE0EEENS1_30default_config_static_selectorELNS0_4arch9wavefront6targetE1EEEvT1_,@function
_ZN7rocprim17ROCPRIM_400000_NS6detail17trampoline_kernelINS0_14default_configENS1_27scan_by_key_config_selectorIifEEZZNS1_16scan_by_key_implILNS1_25lookback_scan_determinismE0ELb1ES3_N6thrust23THRUST_200600_302600_NS6detail15normal_iteratorINS9_10device_ptrIiEEEENSB_INSC_IfEEEESG_fNS9_4plusIvEENS9_8equal_toIvEEfEE10hipError_tPvRmT2_T3_T4_T5_mT6_T7_P12ihipStream_tbENKUlT_T0_E_clISt17integral_constantIbLb0EES11_EEDaSW_SX_EUlSW_E_NS1_11comp_targetILNS1_3genE8ELNS1_11target_archE1030ELNS1_3gpuE2ELNS1_3repE0EEENS1_30default_config_static_selectorELNS0_4arch9wavefront6targetE1EEEvT1_: ; @_ZN7rocprim17ROCPRIM_400000_NS6detail17trampoline_kernelINS0_14default_configENS1_27scan_by_key_config_selectorIifEEZZNS1_16scan_by_key_implILNS1_25lookback_scan_determinismE0ELb1ES3_N6thrust23THRUST_200600_302600_NS6detail15normal_iteratorINS9_10device_ptrIiEEEENSB_INSC_IfEEEESG_fNS9_4plusIvEENS9_8equal_toIvEEfEE10hipError_tPvRmT2_T3_T4_T5_mT6_T7_P12ihipStream_tbENKUlT_T0_E_clISt17integral_constantIbLb0EES11_EEDaSW_SX_EUlSW_E_NS1_11comp_targetILNS1_3genE8ELNS1_11target_archE1030ELNS1_3gpuE2ELNS1_3repE0EEENS1_30default_config_static_selectorELNS0_4arch9wavefront6targetE1EEEvT1_
; %bb.0:
	.section	.rodata,"a",@progbits
	.p2align	6, 0x0
	.amdhsa_kernel _ZN7rocprim17ROCPRIM_400000_NS6detail17trampoline_kernelINS0_14default_configENS1_27scan_by_key_config_selectorIifEEZZNS1_16scan_by_key_implILNS1_25lookback_scan_determinismE0ELb1ES3_N6thrust23THRUST_200600_302600_NS6detail15normal_iteratorINS9_10device_ptrIiEEEENSB_INSC_IfEEEESG_fNS9_4plusIvEENS9_8equal_toIvEEfEE10hipError_tPvRmT2_T3_T4_T5_mT6_T7_P12ihipStream_tbENKUlT_T0_E_clISt17integral_constantIbLb0EES11_EEDaSW_SX_EUlSW_E_NS1_11comp_targetILNS1_3genE8ELNS1_11target_archE1030ELNS1_3gpuE2ELNS1_3repE0EEENS1_30default_config_static_selectorELNS0_4arch9wavefront6targetE1EEEvT1_
		.amdhsa_group_segment_fixed_size 0
		.amdhsa_private_segment_fixed_size 0
		.amdhsa_kernarg_size 112
		.amdhsa_user_sgpr_count 6
		.amdhsa_user_sgpr_private_segment_buffer 1
		.amdhsa_user_sgpr_dispatch_ptr 0
		.amdhsa_user_sgpr_queue_ptr 0
		.amdhsa_user_sgpr_kernarg_segment_ptr 1
		.amdhsa_user_sgpr_dispatch_id 0
		.amdhsa_user_sgpr_flat_scratch_init 0
		.amdhsa_user_sgpr_kernarg_preload_length 0
		.amdhsa_user_sgpr_kernarg_preload_offset 0
		.amdhsa_user_sgpr_private_segment_size 0
		.amdhsa_uses_dynamic_stack 0
		.amdhsa_system_sgpr_private_segment_wavefront_offset 0
		.amdhsa_system_sgpr_workgroup_id_x 1
		.amdhsa_system_sgpr_workgroup_id_y 0
		.amdhsa_system_sgpr_workgroup_id_z 0
		.amdhsa_system_sgpr_workgroup_info 0
		.amdhsa_system_vgpr_workitem_id 0
		.amdhsa_next_free_vgpr 1
		.amdhsa_next_free_sgpr 0
		.amdhsa_accum_offset 4
		.amdhsa_reserve_vcc 0
		.amdhsa_reserve_flat_scratch 0
		.amdhsa_float_round_mode_32 0
		.amdhsa_float_round_mode_16_64 0
		.amdhsa_float_denorm_mode_32 3
		.amdhsa_float_denorm_mode_16_64 3
		.amdhsa_dx10_clamp 1
		.amdhsa_ieee_mode 1
		.amdhsa_fp16_overflow 0
		.amdhsa_tg_split 0
		.amdhsa_exception_fp_ieee_invalid_op 0
		.amdhsa_exception_fp_denorm_src 0
		.amdhsa_exception_fp_ieee_div_zero 0
		.amdhsa_exception_fp_ieee_overflow 0
		.amdhsa_exception_fp_ieee_underflow 0
		.amdhsa_exception_fp_ieee_inexact 0
		.amdhsa_exception_int_div_zero 0
	.end_amdhsa_kernel
	.section	.text._ZN7rocprim17ROCPRIM_400000_NS6detail17trampoline_kernelINS0_14default_configENS1_27scan_by_key_config_selectorIifEEZZNS1_16scan_by_key_implILNS1_25lookback_scan_determinismE0ELb1ES3_N6thrust23THRUST_200600_302600_NS6detail15normal_iteratorINS9_10device_ptrIiEEEENSB_INSC_IfEEEESG_fNS9_4plusIvEENS9_8equal_toIvEEfEE10hipError_tPvRmT2_T3_T4_T5_mT6_T7_P12ihipStream_tbENKUlT_T0_E_clISt17integral_constantIbLb0EES11_EEDaSW_SX_EUlSW_E_NS1_11comp_targetILNS1_3genE8ELNS1_11target_archE1030ELNS1_3gpuE2ELNS1_3repE0EEENS1_30default_config_static_selectorELNS0_4arch9wavefront6targetE1EEEvT1_,"axG",@progbits,_ZN7rocprim17ROCPRIM_400000_NS6detail17trampoline_kernelINS0_14default_configENS1_27scan_by_key_config_selectorIifEEZZNS1_16scan_by_key_implILNS1_25lookback_scan_determinismE0ELb1ES3_N6thrust23THRUST_200600_302600_NS6detail15normal_iteratorINS9_10device_ptrIiEEEENSB_INSC_IfEEEESG_fNS9_4plusIvEENS9_8equal_toIvEEfEE10hipError_tPvRmT2_T3_T4_T5_mT6_T7_P12ihipStream_tbENKUlT_T0_E_clISt17integral_constantIbLb0EES11_EEDaSW_SX_EUlSW_E_NS1_11comp_targetILNS1_3genE8ELNS1_11target_archE1030ELNS1_3gpuE2ELNS1_3repE0EEENS1_30default_config_static_selectorELNS0_4arch9wavefront6targetE1EEEvT1_,comdat
.Lfunc_end1435:
	.size	_ZN7rocprim17ROCPRIM_400000_NS6detail17trampoline_kernelINS0_14default_configENS1_27scan_by_key_config_selectorIifEEZZNS1_16scan_by_key_implILNS1_25lookback_scan_determinismE0ELb1ES3_N6thrust23THRUST_200600_302600_NS6detail15normal_iteratorINS9_10device_ptrIiEEEENSB_INSC_IfEEEESG_fNS9_4plusIvEENS9_8equal_toIvEEfEE10hipError_tPvRmT2_T3_T4_T5_mT6_T7_P12ihipStream_tbENKUlT_T0_E_clISt17integral_constantIbLb0EES11_EEDaSW_SX_EUlSW_E_NS1_11comp_targetILNS1_3genE8ELNS1_11target_archE1030ELNS1_3gpuE2ELNS1_3repE0EEENS1_30default_config_static_selectorELNS0_4arch9wavefront6targetE1EEEvT1_, .Lfunc_end1435-_ZN7rocprim17ROCPRIM_400000_NS6detail17trampoline_kernelINS0_14default_configENS1_27scan_by_key_config_selectorIifEEZZNS1_16scan_by_key_implILNS1_25lookback_scan_determinismE0ELb1ES3_N6thrust23THRUST_200600_302600_NS6detail15normal_iteratorINS9_10device_ptrIiEEEENSB_INSC_IfEEEESG_fNS9_4plusIvEENS9_8equal_toIvEEfEE10hipError_tPvRmT2_T3_T4_T5_mT6_T7_P12ihipStream_tbENKUlT_T0_E_clISt17integral_constantIbLb0EES11_EEDaSW_SX_EUlSW_E_NS1_11comp_targetILNS1_3genE8ELNS1_11target_archE1030ELNS1_3gpuE2ELNS1_3repE0EEENS1_30default_config_static_selectorELNS0_4arch9wavefront6targetE1EEEvT1_
                                        ; -- End function
	.section	.AMDGPU.csdata,"",@progbits
; Kernel info:
; codeLenInByte = 0
; NumSgprs: 4
; NumVgprs: 0
; NumAgprs: 0
; TotalNumVgprs: 0
; ScratchSize: 0
; MemoryBound: 0
; FloatMode: 240
; IeeeMode: 1
; LDSByteSize: 0 bytes/workgroup (compile time only)
; SGPRBlocks: 0
; VGPRBlocks: 0
; NumSGPRsForWavesPerEU: 4
; NumVGPRsForWavesPerEU: 1
; AccumOffset: 4
; Occupancy: 8
; WaveLimiterHint : 0
; COMPUTE_PGM_RSRC2:SCRATCH_EN: 0
; COMPUTE_PGM_RSRC2:USER_SGPR: 6
; COMPUTE_PGM_RSRC2:TRAP_HANDLER: 0
; COMPUTE_PGM_RSRC2:TGID_X_EN: 1
; COMPUTE_PGM_RSRC2:TGID_Y_EN: 0
; COMPUTE_PGM_RSRC2:TGID_Z_EN: 0
; COMPUTE_PGM_RSRC2:TIDIG_COMP_CNT: 0
; COMPUTE_PGM_RSRC3_GFX90A:ACCUM_OFFSET: 0
; COMPUTE_PGM_RSRC3_GFX90A:TG_SPLIT: 0
	.section	.text._ZN7rocprim17ROCPRIM_400000_NS6detail17trampoline_kernelINS0_14default_configENS1_27scan_by_key_config_selectorIifEEZZNS1_16scan_by_key_implILNS1_25lookback_scan_determinismE0ELb1ES3_N6thrust23THRUST_200600_302600_NS6detail15normal_iteratorINS9_10device_ptrIiEEEENSB_INSC_IfEEEESG_fNS9_4plusIvEENS9_8equal_toIvEEfEE10hipError_tPvRmT2_T3_T4_T5_mT6_T7_P12ihipStream_tbENKUlT_T0_E_clISt17integral_constantIbLb1EES11_EEDaSW_SX_EUlSW_E_NS1_11comp_targetILNS1_3genE0ELNS1_11target_archE4294967295ELNS1_3gpuE0ELNS1_3repE0EEENS1_30default_config_static_selectorELNS0_4arch9wavefront6targetE1EEEvT1_,"axG",@progbits,_ZN7rocprim17ROCPRIM_400000_NS6detail17trampoline_kernelINS0_14default_configENS1_27scan_by_key_config_selectorIifEEZZNS1_16scan_by_key_implILNS1_25lookback_scan_determinismE0ELb1ES3_N6thrust23THRUST_200600_302600_NS6detail15normal_iteratorINS9_10device_ptrIiEEEENSB_INSC_IfEEEESG_fNS9_4plusIvEENS9_8equal_toIvEEfEE10hipError_tPvRmT2_T3_T4_T5_mT6_T7_P12ihipStream_tbENKUlT_T0_E_clISt17integral_constantIbLb1EES11_EEDaSW_SX_EUlSW_E_NS1_11comp_targetILNS1_3genE0ELNS1_11target_archE4294967295ELNS1_3gpuE0ELNS1_3repE0EEENS1_30default_config_static_selectorELNS0_4arch9wavefront6targetE1EEEvT1_,comdat
	.protected	_ZN7rocprim17ROCPRIM_400000_NS6detail17trampoline_kernelINS0_14default_configENS1_27scan_by_key_config_selectorIifEEZZNS1_16scan_by_key_implILNS1_25lookback_scan_determinismE0ELb1ES3_N6thrust23THRUST_200600_302600_NS6detail15normal_iteratorINS9_10device_ptrIiEEEENSB_INSC_IfEEEESG_fNS9_4plusIvEENS9_8equal_toIvEEfEE10hipError_tPvRmT2_T3_T4_T5_mT6_T7_P12ihipStream_tbENKUlT_T0_E_clISt17integral_constantIbLb1EES11_EEDaSW_SX_EUlSW_E_NS1_11comp_targetILNS1_3genE0ELNS1_11target_archE4294967295ELNS1_3gpuE0ELNS1_3repE0EEENS1_30default_config_static_selectorELNS0_4arch9wavefront6targetE1EEEvT1_ ; -- Begin function _ZN7rocprim17ROCPRIM_400000_NS6detail17trampoline_kernelINS0_14default_configENS1_27scan_by_key_config_selectorIifEEZZNS1_16scan_by_key_implILNS1_25lookback_scan_determinismE0ELb1ES3_N6thrust23THRUST_200600_302600_NS6detail15normal_iteratorINS9_10device_ptrIiEEEENSB_INSC_IfEEEESG_fNS9_4plusIvEENS9_8equal_toIvEEfEE10hipError_tPvRmT2_T3_T4_T5_mT6_T7_P12ihipStream_tbENKUlT_T0_E_clISt17integral_constantIbLb1EES11_EEDaSW_SX_EUlSW_E_NS1_11comp_targetILNS1_3genE0ELNS1_11target_archE4294967295ELNS1_3gpuE0ELNS1_3repE0EEENS1_30default_config_static_selectorELNS0_4arch9wavefront6targetE1EEEvT1_
	.globl	_ZN7rocprim17ROCPRIM_400000_NS6detail17trampoline_kernelINS0_14default_configENS1_27scan_by_key_config_selectorIifEEZZNS1_16scan_by_key_implILNS1_25lookback_scan_determinismE0ELb1ES3_N6thrust23THRUST_200600_302600_NS6detail15normal_iteratorINS9_10device_ptrIiEEEENSB_INSC_IfEEEESG_fNS9_4plusIvEENS9_8equal_toIvEEfEE10hipError_tPvRmT2_T3_T4_T5_mT6_T7_P12ihipStream_tbENKUlT_T0_E_clISt17integral_constantIbLb1EES11_EEDaSW_SX_EUlSW_E_NS1_11comp_targetILNS1_3genE0ELNS1_11target_archE4294967295ELNS1_3gpuE0ELNS1_3repE0EEENS1_30default_config_static_selectorELNS0_4arch9wavefront6targetE1EEEvT1_
	.p2align	8
	.type	_ZN7rocprim17ROCPRIM_400000_NS6detail17trampoline_kernelINS0_14default_configENS1_27scan_by_key_config_selectorIifEEZZNS1_16scan_by_key_implILNS1_25lookback_scan_determinismE0ELb1ES3_N6thrust23THRUST_200600_302600_NS6detail15normal_iteratorINS9_10device_ptrIiEEEENSB_INSC_IfEEEESG_fNS9_4plusIvEENS9_8equal_toIvEEfEE10hipError_tPvRmT2_T3_T4_T5_mT6_T7_P12ihipStream_tbENKUlT_T0_E_clISt17integral_constantIbLb1EES11_EEDaSW_SX_EUlSW_E_NS1_11comp_targetILNS1_3genE0ELNS1_11target_archE4294967295ELNS1_3gpuE0ELNS1_3repE0EEENS1_30default_config_static_selectorELNS0_4arch9wavefront6targetE1EEEvT1_,@function
_ZN7rocprim17ROCPRIM_400000_NS6detail17trampoline_kernelINS0_14default_configENS1_27scan_by_key_config_selectorIifEEZZNS1_16scan_by_key_implILNS1_25lookback_scan_determinismE0ELb1ES3_N6thrust23THRUST_200600_302600_NS6detail15normal_iteratorINS9_10device_ptrIiEEEENSB_INSC_IfEEEESG_fNS9_4plusIvEENS9_8equal_toIvEEfEE10hipError_tPvRmT2_T3_T4_T5_mT6_T7_P12ihipStream_tbENKUlT_T0_E_clISt17integral_constantIbLb1EES11_EEDaSW_SX_EUlSW_E_NS1_11comp_targetILNS1_3genE0ELNS1_11target_archE4294967295ELNS1_3gpuE0ELNS1_3repE0EEENS1_30default_config_static_selectorELNS0_4arch9wavefront6targetE1EEEvT1_: ; @_ZN7rocprim17ROCPRIM_400000_NS6detail17trampoline_kernelINS0_14default_configENS1_27scan_by_key_config_selectorIifEEZZNS1_16scan_by_key_implILNS1_25lookback_scan_determinismE0ELb1ES3_N6thrust23THRUST_200600_302600_NS6detail15normal_iteratorINS9_10device_ptrIiEEEENSB_INSC_IfEEEESG_fNS9_4plusIvEENS9_8equal_toIvEEfEE10hipError_tPvRmT2_T3_T4_T5_mT6_T7_P12ihipStream_tbENKUlT_T0_E_clISt17integral_constantIbLb1EES11_EEDaSW_SX_EUlSW_E_NS1_11comp_targetILNS1_3genE0ELNS1_11target_archE4294967295ELNS1_3gpuE0ELNS1_3repE0EEENS1_30default_config_static_selectorELNS0_4arch9wavefront6targetE1EEEvT1_
; %bb.0:
	.section	.rodata,"a",@progbits
	.p2align	6, 0x0
	.amdhsa_kernel _ZN7rocprim17ROCPRIM_400000_NS6detail17trampoline_kernelINS0_14default_configENS1_27scan_by_key_config_selectorIifEEZZNS1_16scan_by_key_implILNS1_25lookback_scan_determinismE0ELb1ES3_N6thrust23THRUST_200600_302600_NS6detail15normal_iteratorINS9_10device_ptrIiEEEENSB_INSC_IfEEEESG_fNS9_4plusIvEENS9_8equal_toIvEEfEE10hipError_tPvRmT2_T3_T4_T5_mT6_T7_P12ihipStream_tbENKUlT_T0_E_clISt17integral_constantIbLb1EES11_EEDaSW_SX_EUlSW_E_NS1_11comp_targetILNS1_3genE0ELNS1_11target_archE4294967295ELNS1_3gpuE0ELNS1_3repE0EEENS1_30default_config_static_selectorELNS0_4arch9wavefront6targetE1EEEvT1_
		.amdhsa_group_segment_fixed_size 0
		.amdhsa_private_segment_fixed_size 0
		.amdhsa_kernarg_size 112
		.amdhsa_user_sgpr_count 6
		.amdhsa_user_sgpr_private_segment_buffer 1
		.amdhsa_user_sgpr_dispatch_ptr 0
		.amdhsa_user_sgpr_queue_ptr 0
		.amdhsa_user_sgpr_kernarg_segment_ptr 1
		.amdhsa_user_sgpr_dispatch_id 0
		.amdhsa_user_sgpr_flat_scratch_init 0
		.amdhsa_user_sgpr_kernarg_preload_length 0
		.amdhsa_user_sgpr_kernarg_preload_offset 0
		.amdhsa_user_sgpr_private_segment_size 0
		.amdhsa_uses_dynamic_stack 0
		.amdhsa_system_sgpr_private_segment_wavefront_offset 0
		.amdhsa_system_sgpr_workgroup_id_x 1
		.amdhsa_system_sgpr_workgroup_id_y 0
		.amdhsa_system_sgpr_workgroup_id_z 0
		.amdhsa_system_sgpr_workgroup_info 0
		.amdhsa_system_vgpr_workitem_id 0
		.amdhsa_next_free_vgpr 1
		.amdhsa_next_free_sgpr 0
		.amdhsa_accum_offset 4
		.amdhsa_reserve_vcc 0
		.amdhsa_reserve_flat_scratch 0
		.amdhsa_float_round_mode_32 0
		.amdhsa_float_round_mode_16_64 0
		.amdhsa_float_denorm_mode_32 3
		.amdhsa_float_denorm_mode_16_64 3
		.amdhsa_dx10_clamp 1
		.amdhsa_ieee_mode 1
		.amdhsa_fp16_overflow 0
		.amdhsa_tg_split 0
		.amdhsa_exception_fp_ieee_invalid_op 0
		.amdhsa_exception_fp_denorm_src 0
		.amdhsa_exception_fp_ieee_div_zero 0
		.amdhsa_exception_fp_ieee_overflow 0
		.amdhsa_exception_fp_ieee_underflow 0
		.amdhsa_exception_fp_ieee_inexact 0
		.amdhsa_exception_int_div_zero 0
	.end_amdhsa_kernel
	.section	.text._ZN7rocprim17ROCPRIM_400000_NS6detail17trampoline_kernelINS0_14default_configENS1_27scan_by_key_config_selectorIifEEZZNS1_16scan_by_key_implILNS1_25lookback_scan_determinismE0ELb1ES3_N6thrust23THRUST_200600_302600_NS6detail15normal_iteratorINS9_10device_ptrIiEEEENSB_INSC_IfEEEESG_fNS9_4plusIvEENS9_8equal_toIvEEfEE10hipError_tPvRmT2_T3_T4_T5_mT6_T7_P12ihipStream_tbENKUlT_T0_E_clISt17integral_constantIbLb1EES11_EEDaSW_SX_EUlSW_E_NS1_11comp_targetILNS1_3genE0ELNS1_11target_archE4294967295ELNS1_3gpuE0ELNS1_3repE0EEENS1_30default_config_static_selectorELNS0_4arch9wavefront6targetE1EEEvT1_,"axG",@progbits,_ZN7rocprim17ROCPRIM_400000_NS6detail17trampoline_kernelINS0_14default_configENS1_27scan_by_key_config_selectorIifEEZZNS1_16scan_by_key_implILNS1_25lookback_scan_determinismE0ELb1ES3_N6thrust23THRUST_200600_302600_NS6detail15normal_iteratorINS9_10device_ptrIiEEEENSB_INSC_IfEEEESG_fNS9_4plusIvEENS9_8equal_toIvEEfEE10hipError_tPvRmT2_T3_T4_T5_mT6_T7_P12ihipStream_tbENKUlT_T0_E_clISt17integral_constantIbLb1EES11_EEDaSW_SX_EUlSW_E_NS1_11comp_targetILNS1_3genE0ELNS1_11target_archE4294967295ELNS1_3gpuE0ELNS1_3repE0EEENS1_30default_config_static_selectorELNS0_4arch9wavefront6targetE1EEEvT1_,comdat
.Lfunc_end1436:
	.size	_ZN7rocprim17ROCPRIM_400000_NS6detail17trampoline_kernelINS0_14default_configENS1_27scan_by_key_config_selectorIifEEZZNS1_16scan_by_key_implILNS1_25lookback_scan_determinismE0ELb1ES3_N6thrust23THRUST_200600_302600_NS6detail15normal_iteratorINS9_10device_ptrIiEEEENSB_INSC_IfEEEESG_fNS9_4plusIvEENS9_8equal_toIvEEfEE10hipError_tPvRmT2_T3_T4_T5_mT6_T7_P12ihipStream_tbENKUlT_T0_E_clISt17integral_constantIbLb1EES11_EEDaSW_SX_EUlSW_E_NS1_11comp_targetILNS1_3genE0ELNS1_11target_archE4294967295ELNS1_3gpuE0ELNS1_3repE0EEENS1_30default_config_static_selectorELNS0_4arch9wavefront6targetE1EEEvT1_, .Lfunc_end1436-_ZN7rocprim17ROCPRIM_400000_NS6detail17trampoline_kernelINS0_14default_configENS1_27scan_by_key_config_selectorIifEEZZNS1_16scan_by_key_implILNS1_25lookback_scan_determinismE0ELb1ES3_N6thrust23THRUST_200600_302600_NS6detail15normal_iteratorINS9_10device_ptrIiEEEENSB_INSC_IfEEEESG_fNS9_4plusIvEENS9_8equal_toIvEEfEE10hipError_tPvRmT2_T3_T4_T5_mT6_T7_P12ihipStream_tbENKUlT_T0_E_clISt17integral_constantIbLb1EES11_EEDaSW_SX_EUlSW_E_NS1_11comp_targetILNS1_3genE0ELNS1_11target_archE4294967295ELNS1_3gpuE0ELNS1_3repE0EEENS1_30default_config_static_selectorELNS0_4arch9wavefront6targetE1EEEvT1_
                                        ; -- End function
	.section	.AMDGPU.csdata,"",@progbits
; Kernel info:
; codeLenInByte = 0
; NumSgprs: 4
; NumVgprs: 0
; NumAgprs: 0
; TotalNumVgprs: 0
; ScratchSize: 0
; MemoryBound: 0
; FloatMode: 240
; IeeeMode: 1
; LDSByteSize: 0 bytes/workgroup (compile time only)
; SGPRBlocks: 0
; VGPRBlocks: 0
; NumSGPRsForWavesPerEU: 4
; NumVGPRsForWavesPerEU: 1
; AccumOffset: 4
; Occupancy: 8
; WaveLimiterHint : 0
; COMPUTE_PGM_RSRC2:SCRATCH_EN: 0
; COMPUTE_PGM_RSRC2:USER_SGPR: 6
; COMPUTE_PGM_RSRC2:TRAP_HANDLER: 0
; COMPUTE_PGM_RSRC2:TGID_X_EN: 1
; COMPUTE_PGM_RSRC2:TGID_Y_EN: 0
; COMPUTE_PGM_RSRC2:TGID_Z_EN: 0
; COMPUTE_PGM_RSRC2:TIDIG_COMP_CNT: 0
; COMPUTE_PGM_RSRC3_GFX90A:ACCUM_OFFSET: 0
; COMPUTE_PGM_RSRC3_GFX90A:TG_SPLIT: 0
	.section	.text._ZN7rocprim17ROCPRIM_400000_NS6detail17trampoline_kernelINS0_14default_configENS1_27scan_by_key_config_selectorIifEEZZNS1_16scan_by_key_implILNS1_25lookback_scan_determinismE0ELb1ES3_N6thrust23THRUST_200600_302600_NS6detail15normal_iteratorINS9_10device_ptrIiEEEENSB_INSC_IfEEEESG_fNS9_4plusIvEENS9_8equal_toIvEEfEE10hipError_tPvRmT2_T3_T4_T5_mT6_T7_P12ihipStream_tbENKUlT_T0_E_clISt17integral_constantIbLb1EES11_EEDaSW_SX_EUlSW_E_NS1_11comp_targetILNS1_3genE10ELNS1_11target_archE1201ELNS1_3gpuE5ELNS1_3repE0EEENS1_30default_config_static_selectorELNS0_4arch9wavefront6targetE1EEEvT1_,"axG",@progbits,_ZN7rocprim17ROCPRIM_400000_NS6detail17trampoline_kernelINS0_14default_configENS1_27scan_by_key_config_selectorIifEEZZNS1_16scan_by_key_implILNS1_25lookback_scan_determinismE0ELb1ES3_N6thrust23THRUST_200600_302600_NS6detail15normal_iteratorINS9_10device_ptrIiEEEENSB_INSC_IfEEEESG_fNS9_4plusIvEENS9_8equal_toIvEEfEE10hipError_tPvRmT2_T3_T4_T5_mT6_T7_P12ihipStream_tbENKUlT_T0_E_clISt17integral_constantIbLb1EES11_EEDaSW_SX_EUlSW_E_NS1_11comp_targetILNS1_3genE10ELNS1_11target_archE1201ELNS1_3gpuE5ELNS1_3repE0EEENS1_30default_config_static_selectorELNS0_4arch9wavefront6targetE1EEEvT1_,comdat
	.protected	_ZN7rocprim17ROCPRIM_400000_NS6detail17trampoline_kernelINS0_14default_configENS1_27scan_by_key_config_selectorIifEEZZNS1_16scan_by_key_implILNS1_25lookback_scan_determinismE0ELb1ES3_N6thrust23THRUST_200600_302600_NS6detail15normal_iteratorINS9_10device_ptrIiEEEENSB_INSC_IfEEEESG_fNS9_4plusIvEENS9_8equal_toIvEEfEE10hipError_tPvRmT2_T3_T4_T5_mT6_T7_P12ihipStream_tbENKUlT_T0_E_clISt17integral_constantIbLb1EES11_EEDaSW_SX_EUlSW_E_NS1_11comp_targetILNS1_3genE10ELNS1_11target_archE1201ELNS1_3gpuE5ELNS1_3repE0EEENS1_30default_config_static_selectorELNS0_4arch9wavefront6targetE1EEEvT1_ ; -- Begin function _ZN7rocprim17ROCPRIM_400000_NS6detail17trampoline_kernelINS0_14default_configENS1_27scan_by_key_config_selectorIifEEZZNS1_16scan_by_key_implILNS1_25lookback_scan_determinismE0ELb1ES3_N6thrust23THRUST_200600_302600_NS6detail15normal_iteratorINS9_10device_ptrIiEEEENSB_INSC_IfEEEESG_fNS9_4plusIvEENS9_8equal_toIvEEfEE10hipError_tPvRmT2_T3_T4_T5_mT6_T7_P12ihipStream_tbENKUlT_T0_E_clISt17integral_constantIbLb1EES11_EEDaSW_SX_EUlSW_E_NS1_11comp_targetILNS1_3genE10ELNS1_11target_archE1201ELNS1_3gpuE5ELNS1_3repE0EEENS1_30default_config_static_selectorELNS0_4arch9wavefront6targetE1EEEvT1_
	.globl	_ZN7rocprim17ROCPRIM_400000_NS6detail17trampoline_kernelINS0_14default_configENS1_27scan_by_key_config_selectorIifEEZZNS1_16scan_by_key_implILNS1_25lookback_scan_determinismE0ELb1ES3_N6thrust23THRUST_200600_302600_NS6detail15normal_iteratorINS9_10device_ptrIiEEEENSB_INSC_IfEEEESG_fNS9_4plusIvEENS9_8equal_toIvEEfEE10hipError_tPvRmT2_T3_T4_T5_mT6_T7_P12ihipStream_tbENKUlT_T0_E_clISt17integral_constantIbLb1EES11_EEDaSW_SX_EUlSW_E_NS1_11comp_targetILNS1_3genE10ELNS1_11target_archE1201ELNS1_3gpuE5ELNS1_3repE0EEENS1_30default_config_static_selectorELNS0_4arch9wavefront6targetE1EEEvT1_
	.p2align	8
	.type	_ZN7rocprim17ROCPRIM_400000_NS6detail17trampoline_kernelINS0_14default_configENS1_27scan_by_key_config_selectorIifEEZZNS1_16scan_by_key_implILNS1_25lookback_scan_determinismE0ELb1ES3_N6thrust23THRUST_200600_302600_NS6detail15normal_iteratorINS9_10device_ptrIiEEEENSB_INSC_IfEEEESG_fNS9_4plusIvEENS9_8equal_toIvEEfEE10hipError_tPvRmT2_T3_T4_T5_mT6_T7_P12ihipStream_tbENKUlT_T0_E_clISt17integral_constantIbLb1EES11_EEDaSW_SX_EUlSW_E_NS1_11comp_targetILNS1_3genE10ELNS1_11target_archE1201ELNS1_3gpuE5ELNS1_3repE0EEENS1_30default_config_static_selectorELNS0_4arch9wavefront6targetE1EEEvT1_,@function
_ZN7rocprim17ROCPRIM_400000_NS6detail17trampoline_kernelINS0_14default_configENS1_27scan_by_key_config_selectorIifEEZZNS1_16scan_by_key_implILNS1_25lookback_scan_determinismE0ELb1ES3_N6thrust23THRUST_200600_302600_NS6detail15normal_iteratorINS9_10device_ptrIiEEEENSB_INSC_IfEEEESG_fNS9_4plusIvEENS9_8equal_toIvEEfEE10hipError_tPvRmT2_T3_T4_T5_mT6_T7_P12ihipStream_tbENKUlT_T0_E_clISt17integral_constantIbLb1EES11_EEDaSW_SX_EUlSW_E_NS1_11comp_targetILNS1_3genE10ELNS1_11target_archE1201ELNS1_3gpuE5ELNS1_3repE0EEENS1_30default_config_static_selectorELNS0_4arch9wavefront6targetE1EEEvT1_: ; @_ZN7rocprim17ROCPRIM_400000_NS6detail17trampoline_kernelINS0_14default_configENS1_27scan_by_key_config_selectorIifEEZZNS1_16scan_by_key_implILNS1_25lookback_scan_determinismE0ELb1ES3_N6thrust23THRUST_200600_302600_NS6detail15normal_iteratorINS9_10device_ptrIiEEEENSB_INSC_IfEEEESG_fNS9_4plusIvEENS9_8equal_toIvEEfEE10hipError_tPvRmT2_T3_T4_T5_mT6_T7_P12ihipStream_tbENKUlT_T0_E_clISt17integral_constantIbLb1EES11_EEDaSW_SX_EUlSW_E_NS1_11comp_targetILNS1_3genE10ELNS1_11target_archE1201ELNS1_3gpuE5ELNS1_3repE0EEENS1_30default_config_static_selectorELNS0_4arch9wavefront6targetE1EEEvT1_
; %bb.0:
	.section	.rodata,"a",@progbits
	.p2align	6, 0x0
	.amdhsa_kernel _ZN7rocprim17ROCPRIM_400000_NS6detail17trampoline_kernelINS0_14default_configENS1_27scan_by_key_config_selectorIifEEZZNS1_16scan_by_key_implILNS1_25lookback_scan_determinismE0ELb1ES3_N6thrust23THRUST_200600_302600_NS6detail15normal_iteratorINS9_10device_ptrIiEEEENSB_INSC_IfEEEESG_fNS9_4plusIvEENS9_8equal_toIvEEfEE10hipError_tPvRmT2_T3_T4_T5_mT6_T7_P12ihipStream_tbENKUlT_T0_E_clISt17integral_constantIbLb1EES11_EEDaSW_SX_EUlSW_E_NS1_11comp_targetILNS1_3genE10ELNS1_11target_archE1201ELNS1_3gpuE5ELNS1_3repE0EEENS1_30default_config_static_selectorELNS0_4arch9wavefront6targetE1EEEvT1_
		.amdhsa_group_segment_fixed_size 0
		.amdhsa_private_segment_fixed_size 0
		.amdhsa_kernarg_size 112
		.amdhsa_user_sgpr_count 6
		.amdhsa_user_sgpr_private_segment_buffer 1
		.amdhsa_user_sgpr_dispatch_ptr 0
		.amdhsa_user_sgpr_queue_ptr 0
		.amdhsa_user_sgpr_kernarg_segment_ptr 1
		.amdhsa_user_sgpr_dispatch_id 0
		.amdhsa_user_sgpr_flat_scratch_init 0
		.amdhsa_user_sgpr_kernarg_preload_length 0
		.amdhsa_user_sgpr_kernarg_preload_offset 0
		.amdhsa_user_sgpr_private_segment_size 0
		.amdhsa_uses_dynamic_stack 0
		.amdhsa_system_sgpr_private_segment_wavefront_offset 0
		.amdhsa_system_sgpr_workgroup_id_x 1
		.amdhsa_system_sgpr_workgroup_id_y 0
		.amdhsa_system_sgpr_workgroup_id_z 0
		.amdhsa_system_sgpr_workgroup_info 0
		.amdhsa_system_vgpr_workitem_id 0
		.amdhsa_next_free_vgpr 1
		.amdhsa_next_free_sgpr 0
		.amdhsa_accum_offset 4
		.amdhsa_reserve_vcc 0
		.amdhsa_reserve_flat_scratch 0
		.amdhsa_float_round_mode_32 0
		.amdhsa_float_round_mode_16_64 0
		.amdhsa_float_denorm_mode_32 3
		.amdhsa_float_denorm_mode_16_64 3
		.amdhsa_dx10_clamp 1
		.amdhsa_ieee_mode 1
		.amdhsa_fp16_overflow 0
		.amdhsa_tg_split 0
		.amdhsa_exception_fp_ieee_invalid_op 0
		.amdhsa_exception_fp_denorm_src 0
		.amdhsa_exception_fp_ieee_div_zero 0
		.amdhsa_exception_fp_ieee_overflow 0
		.amdhsa_exception_fp_ieee_underflow 0
		.amdhsa_exception_fp_ieee_inexact 0
		.amdhsa_exception_int_div_zero 0
	.end_amdhsa_kernel
	.section	.text._ZN7rocprim17ROCPRIM_400000_NS6detail17trampoline_kernelINS0_14default_configENS1_27scan_by_key_config_selectorIifEEZZNS1_16scan_by_key_implILNS1_25lookback_scan_determinismE0ELb1ES3_N6thrust23THRUST_200600_302600_NS6detail15normal_iteratorINS9_10device_ptrIiEEEENSB_INSC_IfEEEESG_fNS9_4plusIvEENS9_8equal_toIvEEfEE10hipError_tPvRmT2_T3_T4_T5_mT6_T7_P12ihipStream_tbENKUlT_T0_E_clISt17integral_constantIbLb1EES11_EEDaSW_SX_EUlSW_E_NS1_11comp_targetILNS1_3genE10ELNS1_11target_archE1201ELNS1_3gpuE5ELNS1_3repE0EEENS1_30default_config_static_selectorELNS0_4arch9wavefront6targetE1EEEvT1_,"axG",@progbits,_ZN7rocprim17ROCPRIM_400000_NS6detail17trampoline_kernelINS0_14default_configENS1_27scan_by_key_config_selectorIifEEZZNS1_16scan_by_key_implILNS1_25lookback_scan_determinismE0ELb1ES3_N6thrust23THRUST_200600_302600_NS6detail15normal_iteratorINS9_10device_ptrIiEEEENSB_INSC_IfEEEESG_fNS9_4plusIvEENS9_8equal_toIvEEfEE10hipError_tPvRmT2_T3_T4_T5_mT6_T7_P12ihipStream_tbENKUlT_T0_E_clISt17integral_constantIbLb1EES11_EEDaSW_SX_EUlSW_E_NS1_11comp_targetILNS1_3genE10ELNS1_11target_archE1201ELNS1_3gpuE5ELNS1_3repE0EEENS1_30default_config_static_selectorELNS0_4arch9wavefront6targetE1EEEvT1_,comdat
.Lfunc_end1437:
	.size	_ZN7rocprim17ROCPRIM_400000_NS6detail17trampoline_kernelINS0_14default_configENS1_27scan_by_key_config_selectorIifEEZZNS1_16scan_by_key_implILNS1_25lookback_scan_determinismE0ELb1ES3_N6thrust23THRUST_200600_302600_NS6detail15normal_iteratorINS9_10device_ptrIiEEEENSB_INSC_IfEEEESG_fNS9_4plusIvEENS9_8equal_toIvEEfEE10hipError_tPvRmT2_T3_T4_T5_mT6_T7_P12ihipStream_tbENKUlT_T0_E_clISt17integral_constantIbLb1EES11_EEDaSW_SX_EUlSW_E_NS1_11comp_targetILNS1_3genE10ELNS1_11target_archE1201ELNS1_3gpuE5ELNS1_3repE0EEENS1_30default_config_static_selectorELNS0_4arch9wavefront6targetE1EEEvT1_, .Lfunc_end1437-_ZN7rocprim17ROCPRIM_400000_NS6detail17trampoline_kernelINS0_14default_configENS1_27scan_by_key_config_selectorIifEEZZNS1_16scan_by_key_implILNS1_25lookback_scan_determinismE0ELb1ES3_N6thrust23THRUST_200600_302600_NS6detail15normal_iteratorINS9_10device_ptrIiEEEENSB_INSC_IfEEEESG_fNS9_4plusIvEENS9_8equal_toIvEEfEE10hipError_tPvRmT2_T3_T4_T5_mT6_T7_P12ihipStream_tbENKUlT_T0_E_clISt17integral_constantIbLb1EES11_EEDaSW_SX_EUlSW_E_NS1_11comp_targetILNS1_3genE10ELNS1_11target_archE1201ELNS1_3gpuE5ELNS1_3repE0EEENS1_30default_config_static_selectorELNS0_4arch9wavefront6targetE1EEEvT1_
                                        ; -- End function
	.section	.AMDGPU.csdata,"",@progbits
; Kernel info:
; codeLenInByte = 0
; NumSgprs: 4
; NumVgprs: 0
; NumAgprs: 0
; TotalNumVgprs: 0
; ScratchSize: 0
; MemoryBound: 0
; FloatMode: 240
; IeeeMode: 1
; LDSByteSize: 0 bytes/workgroup (compile time only)
; SGPRBlocks: 0
; VGPRBlocks: 0
; NumSGPRsForWavesPerEU: 4
; NumVGPRsForWavesPerEU: 1
; AccumOffset: 4
; Occupancy: 8
; WaveLimiterHint : 0
; COMPUTE_PGM_RSRC2:SCRATCH_EN: 0
; COMPUTE_PGM_RSRC2:USER_SGPR: 6
; COMPUTE_PGM_RSRC2:TRAP_HANDLER: 0
; COMPUTE_PGM_RSRC2:TGID_X_EN: 1
; COMPUTE_PGM_RSRC2:TGID_Y_EN: 0
; COMPUTE_PGM_RSRC2:TGID_Z_EN: 0
; COMPUTE_PGM_RSRC2:TIDIG_COMP_CNT: 0
; COMPUTE_PGM_RSRC3_GFX90A:ACCUM_OFFSET: 0
; COMPUTE_PGM_RSRC3_GFX90A:TG_SPLIT: 0
	.section	.text._ZN7rocprim17ROCPRIM_400000_NS6detail17trampoline_kernelINS0_14default_configENS1_27scan_by_key_config_selectorIifEEZZNS1_16scan_by_key_implILNS1_25lookback_scan_determinismE0ELb1ES3_N6thrust23THRUST_200600_302600_NS6detail15normal_iteratorINS9_10device_ptrIiEEEENSB_INSC_IfEEEESG_fNS9_4plusIvEENS9_8equal_toIvEEfEE10hipError_tPvRmT2_T3_T4_T5_mT6_T7_P12ihipStream_tbENKUlT_T0_E_clISt17integral_constantIbLb1EES11_EEDaSW_SX_EUlSW_E_NS1_11comp_targetILNS1_3genE5ELNS1_11target_archE942ELNS1_3gpuE9ELNS1_3repE0EEENS1_30default_config_static_selectorELNS0_4arch9wavefront6targetE1EEEvT1_,"axG",@progbits,_ZN7rocprim17ROCPRIM_400000_NS6detail17trampoline_kernelINS0_14default_configENS1_27scan_by_key_config_selectorIifEEZZNS1_16scan_by_key_implILNS1_25lookback_scan_determinismE0ELb1ES3_N6thrust23THRUST_200600_302600_NS6detail15normal_iteratorINS9_10device_ptrIiEEEENSB_INSC_IfEEEESG_fNS9_4plusIvEENS9_8equal_toIvEEfEE10hipError_tPvRmT2_T3_T4_T5_mT6_T7_P12ihipStream_tbENKUlT_T0_E_clISt17integral_constantIbLb1EES11_EEDaSW_SX_EUlSW_E_NS1_11comp_targetILNS1_3genE5ELNS1_11target_archE942ELNS1_3gpuE9ELNS1_3repE0EEENS1_30default_config_static_selectorELNS0_4arch9wavefront6targetE1EEEvT1_,comdat
	.protected	_ZN7rocprim17ROCPRIM_400000_NS6detail17trampoline_kernelINS0_14default_configENS1_27scan_by_key_config_selectorIifEEZZNS1_16scan_by_key_implILNS1_25lookback_scan_determinismE0ELb1ES3_N6thrust23THRUST_200600_302600_NS6detail15normal_iteratorINS9_10device_ptrIiEEEENSB_INSC_IfEEEESG_fNS9_4plusIvEENS9_8equal_toIvEEfEE10hipError_tPvRmT2_T3_T4_T5_mT6_T7_P12ihipStream_tbENKUlT_T0_E_clISt17integral_constantIbLb1EES11_EEDaSW_SX_EUlSW_E_NS1_11comp_targetILNS1_3genE5ELNS1_11target_archE942ELNS1_3gpuE9ELNS1_3repE0EEENS1_30default_config_static_selectorELNS0_4arch9wavefront6targetE1EEEvT1_ ; -- Begin function _ZN7rocprim17ROCPRIM_400000_NS6detail17trampoline_kernelINS0_14default_configENS1_27scan_by_key_config_selectorIifEEZZNS1_16scan_by_key_implILNS1_25lookback_scan_determinismE0ELb1ES3_N6thrust23THRUST_200600_302600_NS6detail15normal_iteratorINS9_10device_ptrIiEEEENSB_INSC_IfEEEESG_fNS9_4plusIvEENS9_8equal_toIvEEfEE10hipError_tPvRmT2_T3_T4_T5_mT6_T7_P12ihipStream_tbENKUlT_T0_E_clISt17integral_constantIbLb1EES11_EEDaSW_SX_EUlSW_E_NS1_11comp_targetILNS1_3genE5ELNS1_11target_archE942ELNS1_3gpuE9ELNS1_3repE0EEENS1_30default_config_static_selectorELNS0_4arch9wavefront6targetE1EEEvT1_
	.globl	_ZN7rocprim17ROCPRIM_400000_NS6detail17trampoline_kernelINS0_14default_configENS1_27scan_by_key_config_selectorIifEEZZNS1_16scan_by_key_implILNS1_25lookback_scan_determinismE0ELb1ES3_N6thrust23THRUST_200600_302600_NS6detail15normal_iteratorINS9_10device_ptrIiEEEENSB_INSC_IfEEEESG_fNS9_4plusIvEENS9_8equal_toIvEEfEE10hipError_tPvRmT2_T3_T4_T5_mT6_T7_P12ihipStream_tbENKUlT_T0_E_clISt17integral_constantIbLb1EES11_EEDaSW_SX_EUlSW_E_NS1_11comp_targetILNS1_3genE5ELNS1_11target_archE942ELNS1_3gpuE9ELNS1_3repE0EEENS1_30default_config_static_selectorELNS0_4arch9wavefront6targetE1EEEvT1_
	.p2align	8
	.type	_ZN7rocprim17ROCPRIM_400000_NS6detail17trampoline_kernelINS0_14default_configENS1_27scan_by_key_config_selectorIifEEZZNS1_16scan_by_key_implILNS1_25lookback_scan_determinismE0ELb1ES3_N6thrust23THRUST_200600_302600_NS6detail15normal_iteratorINS9_10device_ptrIiEEEENSB_INSC_IfEEEESG_fNS9_4plusIvEENS9_8equal_toIvEEfEE10hipError_tPvRmT2_T3_T4_T5_mT6_T7_P12ihipStream_tbENKUlT_T0_E_clISt17integral_constantIbLb1EES11_EEDaSW_SX_EUlSW_E_NS1_11comp_targetILNS1_3genE5ELNS1_11target_archE942ELNS1_3gpuE9ELNS1_3repE0EEENS1_30default_config_static_selectorELNS0_4arch9wavefront6targetE1EEEvT1_,@function
_ZN7rocprim17ROCPRIM_400000_NS6detail17trampoline_kernelINS0_14default_configENS1_27scan_by_key_config_selectorIifEEZZNS1_16scan_by_key_implILNS1_25lookback_scan_determinismE0ELb1ES3_N6thrust23THRUST_200600_302600_NS6detail15normal_iteratorINS9_10device_ptrIiEEEENSB_INSC_IfEEEESG_fNS9_4plusIvEENS9_8equal_toIvEEfEE10hipError_tPvRmT2_T3_T4_T5_mT6_T7_P12ihipStream_tbENKUlT_T0_E_clISt17integral_constantIbLb1EES11_EEDaSW_SX_EUlSW_E_NS1_11comp_targetILNS1_3genE5ELNS1_11target_archE942ELNS1_3gpuE9ELNS1_3repE0EEENS1_30default_config_static_selectorELNS0_4arch9wavefront6targetE1EEEvT1_: ; @_ZN7rocprim17ROCPRIM_400000_NS6detail17trampoline_kernelINS0_14default_configENS1_27scan_by_key_config_selectorIifEEZZNS1_16scan_by_key_implILNS1_25lookback_scan_determinismE0ELb1ES3_N6thrust23THRUST_200600_302600_NS6detail15normal_iteratorINS9_10device_ptrIiEEEENSB_INSC_IfEEEESG_fNS9_4plusIvEENS9_8equal_toIvEEfEE10hipError_tPvRmT2_T3_T4_T5_mT6_T7_P12ihipStream_tbENKUlT_T0_E_clISt17integral_constantIbLb1EES11_EEDaSW_SX_EUlSW_E_NS1_11comp_targetILNS1_3genE5ELNS1_11target_archE942ELNS1_3gpuE9ELNS1_3repE0EEENS1_30default_config_static_selectorELNS0_4arch9wavefront6targetE1EEEvT1_
; %bb.0:
	.section	.rodata,"a",@progbits
	.p2align	6, 0x0
	.amdhsa_kernel _ZN7rocprim17ROCPRIM_400000_NS6detail17trampoline_kernelINS0_14default_configENS1_27scan_by_key_config_selectorIifEEZZNS1_16scan_by_key_implILNS1_25lookback_scan_determinismE0ELb1ES3_N6thrust23THRUST_200600_302600_NS6detail15normal_iteratorINS9_10device_ptrIiEEEENSB_INSC_IfEEEESG_fNS9_4plusIvEENS9_8equal_toIvEEfEE10hipError_tPvRmT2_T3_T4_T5_mT6_T7_P12ihipStream_tbENKUlT_T0_E_clISt17integral_constantIbLb1EES11_EEDaSW_SX_EUlSW_E_NS1_11comp_targetILNS1_3genE5ELNS1_11target_archE942ELNS1_3gpuE9ELNS1_3repE0EEENS1_30default_config_static_selectorELNS0_4arch9wavefront6targetE1EEEvT1_
		.amdhsa_group_segment_fixed_size 0
		.amdhsa_private_segment_fixed_size 0
		.amdhsa_kernarg_size 112
		.amdhsa_user_sgpr_count 6
		.amdhsa_user_sgpr_private_segment_buffer 1
		.amdhsa_user_sgpr_dispatch_ptr 0
		.amdhsa_user_sgpr_queue_ptr 0
		.amdhsa_user_sgpr_kernarg_segment_ptr 1
		.amdhsa_user_sgpr_dispatch_id 0
		.amdhsa_user_sgpr_flat_scratch_init 0
		.amdhsa_user_sgpr_kernarg_preload_length 0
		.amdhsa_user_sgpr_kernarg_preload_offset 0
		.amdhsa_user_sgpr_private_segment_size 0
		.amdhsa_uses_dynamic_stack 0
		.amdhsa_system_sgpr_private_segment_wavefront_offset 0
		.amdhsa_system_sgpr_workgroup_id_x 1
		.amdhsa_system_sgpr_workgroup_id_y 0
		.amdhsa_system_sgpr_workgroup_id_z 0
		.amdhsa_system_sgpr_workgroup_info 0
		.amdhsa_system_vgpr_workitem_id 0
		.amdhsa_next_free_vgpr 1
		.amdhsa_next_free_sgpr 0
		.amdhsa_accum_offset 4
		.amdhsa_reserve_vcc 0
		.amdhsa_reserve_flat_scratch 0
		.amdhsa_float_round_mode_32 0
		.amdhsa_float_round_mode_16_64 0
		.amdhsa_float_denorm_mode_32 3
		.amdhsa_float_denorm_mode_16_64 3
		.amdhsa_dx10_clamp 1
		.amdhsa_ieee_mode 1
		.amdhsa_fp16_overflow 0
		.amdhsa_tg_split 0
		.amdhsa_exception_fp_ieee_invalid_op 0
		.amdhsa_exception_fp_denorm_src 0
		.amdhsa_exception_fp_ieee_div_zero 0
		.amdhsa_exception_fp_ieee_overflow 0
		.amdhsa_exception_fp_ieee_underflow 0
		.amdhsa_exception_fp_ieee_inexact 0
		.amdhsa_exception_int_div_zero 0
	.end_amdhsa_kernel
	.section	.text._ZN7rocprim17ROCPRIM_400000_NS6detail17trampoline_kernelINS0_14default_configENS1_27scan_by_key_config_selectorIifEEZZNS1_16scan_by_key_implILNS1_25lookback_scan_determinismE0ELb1ES3_N6thrust23THRUST_200600_302600_NS6detail15normal_iteratorINS9_10device_ptrIiEEEENSB_INSC_IfEEEESG_fNS9_4plusIvEENS9_8equal_toIvEEfEE10hipError_tPvRmT2_T3_T4_T5_mT6_T7_P12ihipStream_tbENKUlT_T0_E_clISt17integral_constantIbLb1EES11_EEDaSW_SX_EUlSW_E_NS1_11comp_targetILNS1_3genE5ELNS1_11target_archE942ELNS1_3gpuE9ELNS1_3repE0EEENS1_30default_config_static_selectorELNS0_4arch9wavefront6targetE1EEEvT1_,"axG",@progbits,_ZN7rocprim17ROCPRIM_400000_NS6detail17trampoline_kernelINS0_14default_configENS1_27scan_by_key_config_selectorIifEEZZNS1_16scan_by_key_implILNS1_25lookback_scan_determinismE0ELb1ES3_N6thrust23THRUST_200600_302600_NS6detail15normal_iteratorINS9_10device_ptrIiEEEENSB_INSC_IfEEEESG_fNS9_4plusIvEENS9_8equal_toIvEEfEE10hipError_tPvRmT2_T3_T4_T5_mT6_T7_P12ihipStream_tbENKUlT_T0_E_clISt17integral_constantIbLb1EES11_EEDaSW_SX_EUlSW_E_NS1_11comp_targetILNS1_3genE5ELNS1_11target_archE942ELNS1_3gpuE9ELNS1_3repE0EEENS1_30default_config_static_selectorELNS0_4arch9wavefront6targetE1EEEvT1_,comdat
.Lfunc_end1438:
	.size	_ZN7rocprim17ROCPRIM_400000_NS6detail17trampoline_kernelINS0_14default_configENS1_27scan_by_key_config_selectorIifEEZZNS1_16scan_by_key_implILNS1_25lookback_scan_determinismE0ELb1ES3_N6thrust23THRUST_200600_302600_NS6detail15normal_iteratorINS9_10device_ptrIiEEEENSB_INSC_IfEEEESG_fNS9_4plusIvEENS9_8equal_toIvEEfEE10hipError_tPvRmT2_T3_T4_T5_mT6_T7_P12ihipStream_tbENKUlT_T0_E_clISt17integral_constantIbLb1EES11_EEDaSW_SX_EUlSW_E_NS1_11comp_targetILNS1_3genE5ELNS1_11target_archE942ELNS1_3gpuE9ELNS1_3repE0EEENS1_30default_config_static_selectorELNS0_4arch9wavefront6targetE1EEEvT1_, .Lfunc_end1438-_ZN7rocprim17ROCPRIM_400000_NS6detail17trampoline_kernelINS0_14default_configENS1_27scan_by_key_config_selectorIifEEZZNS1_16scan_by_key_implILNS1_25lookback_scan_determinismE0ELb1ES3_N6thrust23THRUST_200600_302600_NS6detail15normal_iteratorINS9_10device_ptrIiEEEENSB_INSC_IfEEEESG_fNS9_4plusIvEENS9_8equal_toIvEEfEE10hipError_tPvRmT2_T3_T4_T5_mT6_T7_P12ihipStream_tbENKUlT_T0_E_clISt17integral_constantIbLb1EES11_EEDaSW_SX_EUlSW_E_NS1_11comp_targetILNS1_3genE5ELNS1_11target_archE942ELNS1_3gpuE9ELNS1_3repE0EEENS1_30default_config_static_selectorELNS0_4arch9wavefront6targetE1EEEvT1_
                                        ; -- End function
	.section	.AMDGPU.csdata,"",@progbits
; Kernel info:
; codeLenInByte = 0
; NumSgprs: 4
; NumVgprs: 0
; NumAgprs: 0
; TotalNumVgprs: 0
; ScratchSize: 0
; MemoryBound: 0
; FloatMode: 240
; IeeeMode: 1
; LDSByteSize: 0 bytes/workgroup (compile time only)
; SGPRBlocks: 0
; VGPRBlocks: 0
; NumSGPRsForWavesPerEU: 4
; NumVGPRsForWavesPerEU: 1
; AccumOffset: 4
; Occupancy: 8
; WaveLimiterHint : 0
; COMPUTE_PGM_RSRC2:SCRATCH_EN: 0
; COMPUTE_PGM_RSRC2:USER_SGPR: 6
; COMPUTE_PGM_RSRC2:TRAP_HANDLER: 0
; COMPUTE_PGM_RSRC2:TGID_X_EN: 1
; COMPUTE_PGM_RSRC2:TGID_Y_EN: 0
; COMPUTE_PGM_RSRC2:TGID_Z_EN: 0
; COMPUTE_PGM_RSRC2:TIDIG_COMP_CNT: 0
; COMPUTE_PGM_RSRC3_GFX90A:ACCUM_OFFSET: 0
; COMPUTE_PGM_RSRC3_GFX90A:TG_SPLIT: 0
	.section	.text._ZN7rocprim17ROCPRIM_400000_NS6detail17trampoline_kernelINS0_14default_configENS1_27scan_by_key_config_selectorIifEEZZNS1_16scan_by_key_implILNS1_25lookback_scan_determinismE0ELb1ES3_N6thrust23THRUST_200600_302600_NS6detail15normal_iteratorINS9_10device_ptrIiEEEENSB_INSC_IfEEEESG_fNS9_4plusIvEENS9_8equal_toIvEEfEE10hipError_tPvRmT2_T3_T4_T5_mT6_T7_P12ihipStream_tbENKUlT_T0_E_clISt17integral_constantIbLb1EES11_EEDaSW_SX_EUlSW_E_NS1_11comp_targetILNS1_3genE4ELNS1_11target_archE910ELNS1_3gpuE8ELNS1_3repE0EEENS1_30default_config_static_selectorELNS0_4arch9wavefront6targetE1EEEvT1_,"axG",@progbits,_ZN7rocprim17ROCPRIM_400000_NS6detail17trampoline_kernelINS0_14default_configENS1_27scan_by_key_config_selectorIifEEZZNS1_16scan_by_key_implILNS1_25lookback_scan_determinismE0ELb1ES3_N6thrust23THRUST_200600_302600_NS6detail15normal_iteratorINS9_10device_ptrIiEEEENSB_INSC_IfEEEESG_fNS9_4plusIvEENS9_8equal_toIvEEfEE10hipError_tPvRmT2_T3_T4_T5_mT6_T7_P12ihipStream_tbENKUlT_T0_E_clISt17integral_constantIbLb1EES11_EEDaSW_SX_EUlSW_E_NS1_11comp_targetILNS1_3genE4ELNS1_11target_archE910ELNS1_3gpuE8ELNS1_3repE0EEENS1_30default_config_static_selectorELNS0_4arch9wavefront6targetE1EEEvT1_,comdat
	.protected	_ZN7rocprim17ROCPRIM_400000_NS6detail17trampoline_kernelINS0_14default_configENS1_27scan_by_key_config_selectorIifEEZZNS1_16scan_by_key_implILNS1_25lookback_scan_determinismE0ELb1ES3_N6thrust23THRUST_200600_302600_NS6detail15normal_iteratorINS9_10device_ptrIiEEEENSB_INSC_IfEEEESG_fNS9_4plusIvEENS9_8equal_toIvEEfEE10hipError_tPvRmT2_T3_T4_T5_mT6_T7_P12ihipStream_tbENKUlT_T0_E_clISt17integral_constantIbLb1EES11_EEDaSW_SX_EUlSW_E_NS1_11comp_targetILNS1_3genE4ELNS1_11target_archE910ELNS1_3gpuE8ELNS1_3repE0EEENS1_30default_config_static_selectorELNS0_4arch9wavefront6targetE1EEEvT1_ ; -- Begin function _ZN7rocprim17ROCPRIM_400000_NS6detail17trampoline_kernelINS0_14default_configENS1_27scan_by_key_config_selectorIifEEZZNS1_16scan_by_key_implILNS1_25lookback_scan_determinismE0ELb1ES3_N6thrust23THRUST_200600_302600_NS6detail15normal_iteratorINS9_10device_ptrIiEEEENSB_INSC_IfEEEESG_fNS9_4plusIvEENS9_8equal_toIvEEfEE10hipError_tPvRmT2_T3_T4_T5_mT6_T7_P12ihipStream_tbENKUlT_T0_E_clISt17integral_constantIbLb1EES11_EEDaSW_SX_EUlSW_E_NS1_11comp_targetILNS1_3genE4ELNS1_11target_archE910ELNS1_3gpuE8ELNS1_3repE0EEENS1_30default_config_static_selectorELNS0_4arch9wavefront6targetE1EEEvT1_
	.globl	_ZN7rocprim17ROCPRIM_400000_NS6detail17trampoline_kernelINS0_14default_configENS1_27scan_by_key_config_selectorIifEEZZNS1_16scan_by_key_implILNS1_25lookback_scan_determinismE0ELb1ES3_N6thrust23THRUST_200600_302600_NS6detail15normal_iteratorINS9_10device_ptrIiEEEENSB_INSC_IfEEEESG_fNS9_4plusIvEENS9_8equal_toIvEEfEE10hipError_tPvRmT2_T3_T4_T5_mT6_T7_P12ihipStream_tbENKUlT_T0_E_clISt17integral_constantIbLb1EES11_EEDaSW_SX_EUlSW_E_NS1_11comp_targetILNS1_3genE4ELNS1_11target_archE910ELNS1_3gpuE8ELNS1_3repE0EEENS1_30default_config_static_selectorELNS0_4arch9wavefront6targetE1EEEvT1_
	.p2align	8
	.type	_ZN7rocprim17ROCPRIM_400000_NS6detail17trampoline_kernelINS0_14default_configENS1_27scan_by_key_config_selectorIifEEZZNS1_16scan_by_key_implILNS1_25lookback_scan_determinismE0ELb1ES3_N6thrust23THRUST_200600_302600_NS6detail15normal_iteratorINS9_10device_ptrIiEEEENSB_INSC_IfEEEESG_fNS9_4plusIvEENS9_8equal_toIvEEfEE10hipError_tPvRmT2_T3_T4_T5_mT6_T7_P12ihipStream_tbENKUlT_T0_E_clISt17integral_constantIbLb1EES11_EEDaSW_SX_EUlSW_E_NS1_11comp_targetILNS1_3genE4ELNS1_11target_archE910ELNS1_3gpuE8ELNS1_3repE0EEENS1_30default_config_static_selectorELNS0_4arch9wavefront6targetE1EEEvT1_,@function
_ZN7rocprim17ROCPRIM_400000_NS6detail17trampoline_kernelINS0_14default_configENS1_27scan_by_key_config_selectorIifEEZZNS1_16scan_by_key_implILNS1_25lookback_scan_determinismE0ELb1ES3_N6thrust23THRUST_200600_302600_NS6detail15normal_iteratorINS9_10device_ptrIiEEEENSB_INSC_IfEEEESG_fNS9_4plusIvEENS9_8equal_toIvEEfEE10hipError_tPvRmT2_T3_T4_T5_mT6_T7_P12ihipStream_tbENKUlT_T0_E_clISt17integral_constantIbLb1EES11_EEDaSW_SX_EUlSW_E_NS1_11comp_targetILNS1_3genE4ELNS1_11target_archE910ELNS1_3gpuE8ELNS1_3repE0EEENS1_30default_config_static_selectorELNS0_4arch9wavefront6targetE1EEEvT1_: ; @_ZN7rocprim17ROCPRIM_400000_NS6detail17trampoline_kernelINS0_14default_configENS1_27scan_by_key_config_selectorIifEEZZNS1_16scan_by_key_implILNS1_25lookback_scan_determinismE0ELb1ES3_N6thrust23THRUST_200600_302600_NS6detail15normal_iteratorINS9_10device_ptrIiEEEENSB_INSC_IfEEEESG_fNS9_4plusIvEENS9_8equal_toIvEEfEE10hipError_tPvRmT2_T3_T4_T5_mT6_T7_P12ihipStream_tbENKUlT_T0_E_clISt17integral_constantIbLb1EES11_EEDaSW_SX_EUlSW_E_NS1_11comp_targetILNS1_3genE4ELNS1_11target_archE910ELNS1_3gpuE8ELNS1_3repE0EEENS1_30default_config_static_selectorELNS0_4arch9wavefront6targetE1EEEvT1_
; %bb.0:
	s_load_dword s54, s[4:5], 0x20
	s_load_dwordx4 s[44:47], s[4:5], 0x28
	s_load_dwordx2 s[52:53], s[4:5], 0x38
	v_cmp_eq_u32_e64 s[0:1], 0, v0
	s_and_saveexec_b64 s[2:3], s[0:1]
	s_cbranch_execz .LBB1439_4
; %bb.1:
	s_mov_b64 s[8:9], exec
	v_mbcnt_lo_u32_b32 v1, s8, 0
	v_mbcnt_hi_u32_b32 v1, s9, v1
	v_cmp_eq_u32_e32 vcc, 0, v1
                                        ; implicit-def: $vgpr2
	s_and_saveexec_b64 s[6:7], vcc
	s_cbranch_execz .LBB1439_3
; %bb.2:
	s_load_dwordx2 s[10:11], s[4:5], 0x68
	s_bcnt1_i32_b64 s8, s[8:9]
	v_mov_b32_e32 v2, 0
	v_mov_b32_e32 v3, s8
	s_waitcnt lgkmcnt(0)
	global_atomic_add v2, v2, v3, s[10:11] glc
.LBB1439_3:
	s_or_b64 exec, exec, s[6:7]
	s_waitcnt vmcnt(0)
	v_readfirstlane_b32 s6, v2
	v_add_u32_e32 v1, s6, v1
	v_mov_b32_e32 v2, 0
	ds_write_b32 v2, v1
.LBB1439_4:
	s_or_b64 exec, exec, s[2:3]
	s_load_dwordx8 s[36:43], s[4:5], 0x0
	s_load_dword s2, s[4:5], 0x40
	s_load_dwordx4 s[48:51], s[4:5], 0x48
	v_mov_b32_e32 v3, 0
	s_waitcnt lgkmcnt(0)
	s_lshl_b64 s[34:35], s[38:39], 2
	s_barrier
	ds_read_b32 v1, v3
	s_add_u32 s3, s36, s34
	s_addc_u32 s4, s37, s35
	s_add_u32 s5, s40, s34
	s_mul_i32 s7, s53, s2
	s_mul_hi_u32 s8, s52, s2
	s_addc_u32 s6, s41, s35
	s_add_i32 s7, s8, s7
	s_movk_i32 s8, 0xe00
	s_waitcnt lgkmcnt(0)
	v_mul_lo_u32 v2, v1, s8
	v_lshlrev_b64 v[16:17], 2, v[2:3]
	v_mov_b32_e32 v2, s4
	v_add_co_u32_e32 v14, vcc, s3, v16
	v_addc_co_u32_e32 v15, vcc, v2, v17, vcc
	v_mov_b32_e32 v2, s6
	v_add_co_u32_e32 v22, vcc, s5, v16
	s_mul_i32 s2, s52, s2
	v_addc_co_u32_e32 v23, vcc, v2, v17, vcc
	v_mov_b32_e32 v3, s7
	v_add_co_u32_e32 v2, vcc, s2, v1
	s_add_u32 s6, s48, -1
	v_addc_co_u32_e32 v3, vcc, 0, v3, vcc
	s_addc_u32 s7, s49, -1
	v_cmp_le_u64_e64 s[2:3], s[6:7], v[2:3]
	v_readfirstlane_b32 s47, v1
	s_mov_b64 s[4:5], -1
	s_and_b64 vcc, exec, s[2:3]
	s_mul_i32 s33, s6, 0xfffff200
	s_barrier
	s_barrier
	s_cbranch_vccz .LBB1439_80
; %bb.5:
	flat_load_dword v2, v[14:15]
	s_add_i32 s49, s33, s46
	v_cmp_gt_u32_e32 vcc, s49, v0
	s_waitcnt vmcnt(0) lgkmcnt(0)
	v_mov_b32_e32 v3, v2
	s_and_saveexec_b64 s[6:7], vcc
	s_cbranch_execz .LBB1439_7
; %bb.6:
	v_lshlrev_b32_e32 v1, 2, v0
	v_add_co_u32_e64 v4, s[4:5], v14, v1
	v_addc_co_u32_e64 v5, s[4:5], 0, v15, s[4:5]
	flat_load_dword v3, v[4:5]
.LBB1439_7:
	s_or_b64 exec, exec, s[6:7]
	v_or_b32_e32 v1, 0x100, v0
	v_cmp_gt_u32_e64 s[4:5], s49, v1
	v_mov_b32_e32 v4, v2
	s_and_saveexec_b64 s[8:9], s[4:5]
	s_cbranch_execz .LBB1439_9
; %bb.8:
	v_lshlrev_b32_e32 v1, 2, v0
	v_add_co_u32_e64 v4, s[6:7], v14, v1
	v_addc_co_u32_e64 v5, s[6:7], 0, v15, s[6:7]
	flat_load_dword v4, v[4:5] offset:1024
.LBB1439_9:
	s_or_b64 exec, exec, s[8:9]
	v_or_b32_e32 v1, 0x200, v0
	v_cmp_gt_u32_e64 s[6:7], s49, v1
	v_mov_b32_e32 v5, v2
	s_and_saveexec_b64 s[10:11], s[6:7]
	s_cbranch_execz .LBB1439_11
; %bb.10:
	v_lshlrev_b32_e32 v1, 2, v0
	v_add_co_u32_e64 v6, s[8:9], v14, v1
	v_addc_co_u32_e64 v7, s[8:9], 0, v15, s[8:9]
	flat_load_dword v5, v[6:7] offset:2048
.LBB1439_11:
	;; [unrolled: 12-line block ×3, first 2 shown]
	s_or_b64 exec, exec, s[12:13]
	v_or_b32_e32 v1, 0x400, v0
	v_cmp_gt_u32_e64 s[10:11], s49, v1
	v_mov_b32_e32 v7, v2
	s_and_saveexec_b64 s[14:15], s[10:11]
	s_cbranch_execz .LBB1439_15
; %bb.14:
	v_lshlrev_b32_e32 v7, 2, v1
	v_add_co_u32_e64 v8, s[12:13], v14, v7
	v_addc_co_u32_e64 v9, s[12:13], 0, v15, s[12:13]
	flat_load_dword v7, v[8:9]
.LBB1439_15:
	s_or_b64 exec, exec, s[14:15]
	v_or_b32_e32 v20, 0x500, v0
	v_cmp_gt_u32_e64 s[12:13], s49, v20
	v_mov_b32_e32 v8, v2
	s_and_saveexec_b64 s[16:17], s[12:13]
	s_cbranch_execz .LBB1439_17
; %bb.16:
	v_lshlrev_b32_e32 v8, 2, v20
	v_add_co_u32_e64 v8, s[14:15], v14, v8
	v_addc_co_u32_e64 v9, s[14:15], 0, v15, s[14:15]
	flat_load_dword v8, v[8:9]
.LBB1439_17:
	;; [unrolled: 12-line block ×9, first 2 shown]
	s_or_b64 exec, exec, s[30:31]
	v_or_b32_e32 v32, 0xd00, v0
	v_cmp_gt_u32_e64 s[28:29], s49, v32
	s_and_saveexec_b64 s[36:37], s[28:29]
	s_cbranch_execz .LBB1439_33
; %bb.32:
	v_lshlrev_b32_e32 v2, 2, v32
	v_add_co_u32_e64 v24, s[30:31], v14, v2
	v_addc_co_u32_e64 v25, s[30:31], 0, v15, s[30:31]
	flat_load_dword v2, v[24:25]
.LBB1439_33:
	s_or_b64 exec, exec, s[36:37]
	v_lshlrev_b32_e32 v33, 2, v0
	s_waitcnt vmcnt(0) lgkmcnt(0)
	ds_write2st64_b32 v33, v3, v4 offset1:4
	ds_write2st64_b32 v33, v5, v6 offset0:8 offset1:12
	ds_write2st64_b32 v33, v7, v8 offset0:16 offset1:20
	;; [unrolled: 1-line block ×6, first 2 shown]
	s_waitcnt lgkmcnt(0)
	s_barrier
	flat_load_dword v24, v[14:15]
	v_mad_u32_u24 v25, v0, 52, v33
	s_movk_i32 s30, 0xffcc
	ds_read2_b64 v[10:13], v25 offset1:1
	ds_read2_b64 v[6:9], v25 offset0:2 offset1:3
	ds_read2_b64 v[2:5], v25 offset0:4 offset1:5
	ds_read_b64 v[18:19], v25 offset:48
	v_mad_i32_i24 v34, v0, s30, v25
	s_movk_i32 s30, 0xff
	v_cmp_ne_u32_e64 s[30:31], s30, v0
	s_waitcnt lgkmcnt(0)
	ds_write_b32 v34, v10 offset:15360
	s_waitcnt lgkmcnt(0)
	s_barrier
	s_and_saveexec_b64 s[36:37], s[30:31]
	s_cbranch_execz .LBB1439_35
; %bb.34:
	s_waitcnt vmcnt(0)
	ds_read_b32 v24, v33 offset:15364
.LBB1439_35:
	s_or_b64 exec, exec, s[36:37]
	s_waitcnt lgkmcnt(0)
	s_barrier
	s_waitcnt lgkmcnt(0)
                                        ; implicit-def: $vgpr34
	s_and_saveexec_b64 s[30:31], vcc
	s_cbranch_execz .LBB1439_155
; %bb.36:
	v_add_co_u32_e32 v34, vcc, v22, v33
	v_addc_co_u32_e32 v35, vcc, 0, v23, vcc
	flat_load_dword v34, v[34:35]
	s_or_b64 exec, exec, s[30:31]
                                        ; implicit-def: $vgpr35
	s_and_saveexec_b64 s[30:31], s[4:5]
	s_cbranch_execnz .LBB1439_156
.LBB1439_37:
	s_or_b64 exec, exec, s[30:31]
                                        ; implicit-def: $vgpr36
	s_and_saveexec_b64 s[4:5], s[6:7]
	s_cbranch_execz .LBB1439_157
.LBB1439_38:
	v_add_co_u32_e32 v36, vcc, v22, v33
	v_addc_co_u32_e32 v37, vcc, 0, v23, vcc
	flat_load_dword v36, v[36:37] offset:2048
	s_or_b64 exec, exec, s[4:5]
                                        ; implicit-def: $vgpr37
	s_and_saveexec_b64 s[4:5], s[8:9]
	s_cbranch_execnz .LBB1439_158
.LBB1439_39:
	s_or_b64 exec, exec, s[4:5]
                                        ; implicit-def: $vgpr38
	s_and_saveexec_b64 s[4:5], s[10:11]
	s_cbranch_execz .LBB1439_159
.LBB1439_40:
	v_lshlrev_b32_e32 v1, 2, v1
	v_add_co_u32_e32 v38, vcc, v22, v1
	v_addc_co_u32_e32 v39, vcc, 0, v23, vcc
	flat_load_dword v38, v[38:39]
	s_or_b64 exec, exec, s[4:5]
                                        ; implicit-def: $vgpr1
	s_and_saveexec_b64 s[4:5], s[12:13]
	s_cbranch_execnz .LBB1439_160
.LBB1439_41:
	s_or_b64 exec, exec, s[4:5]
                                        ; implicit-def: $vgpr20
	s_and_saveexec_b64 s[4:5], s[14:15]
	s_cbranch_execz .LBB1439_161
.LBB1439_42:
	v_lshlrev_b32_e32 v20, 2, v21
	v_add_co_u32_e32 v20, vcc, v22, v20
	v_addc_co_u32_e32 v21, vcc, 0, v23, vcc
	flat_load_dword v20, v[20:21]
	s_or_b64 exec, exec, s[4:5]
                                        ; implicit-def: $vgpr21
	s_and_saveexec_b64 s[4:5], s[16:17]
	s_cbranch_execnz .LBB1439_162
.LBB1439_43:
	s_or_b64 exec, exec, s[4:5]
                                        ; implicit-def: $vgpr26
	s_and_saveexec_b64 s[4:5], s[18:19]
	s_cbranch_execz .LBB1439_163
.LBB1439_44:
	v_lshlrev_b32_e32 v26, 2, v27
	v_add_co_u32_e32 v26, vcc, v22, v26
	v_addc_co_u32_e32 v27, vcc, 0, v23, vcc
	flat_load_dword v26, v[26:27]
	s_or_b64 exec, exec, s[4:5]
                                        ; implicit-def: $vgpr27
	s_and_saveexec_b64 s[4:5], s[20:21]
	s_cbranch_execnz .LBB1439_164
.LBB1439_45:
	s_or_b64 exec, exec, s[4:5]
                                        ; implicit-def: $vgpr28
	s_and_saveexec_b64 s[4:5], s[22:23]
	s_cbranch_execz .LBB1439_165
.LBB1439_46:
	v_lshlrev_b32_e32 v28, 2, v29
	v_add_co_u32_e32 v28, vcc, v22, v28
	v_addc_co_u32_e32 v29, vcc, 0, v23, vcc
	flat_load_dword v28, v[28:29]
	s_or_b64 exec, exec, s[4:5]
                                        ; implicit-def: $vgpr29
	s_and_saveexec_b64 s[4:5], s[24:25]
	s_cbranch_execnz .LBB1439_166
.LBB1439_47:
	s_or_b64 exec, exec, s[4:5]
                                        ; implicit-def: $vgpr30
	s_and_saveexec_b64 s[4:5], s[26:27]
	s_cbranch_execz .LBB1439_49
.LBB1439_48:
	v_lshlrev_b32_e32 v30, 2, v31
	v_add_co_u32_e32 v30, vcc, v22, v30
	v_addc_co_u32_e32 v31, vcc, 0, v23, vcc
	flat_load_dword v30, v[30:31]
.LBB1439_49:
	s_or_b64 exec, exec, s[4:5]
	v_mul_u32_u24_e32 v51, 14, v0
                                        ; implicit-def: $vgpr31
	s_and_saveexec_b64 s[4:5], s[28:29]
	s_cbranch_execz .LBB1439_51
; %bb.50:
	v_lshlrev_b32_e32 v31, 2, v32
	v_add_co_u32_e32 v40, vcc, v22, v31
	v_addc_co_u32_e32 v41, vcc, 0, v23, vcc
	flat_load_dword v31, v[40:41]
.LBB1439_51:
	s_or_b64 exec, exec, s[4:5]
	s_waitcnt vmcnt(0) lgkmcnt(0)
	ds_write2st64_b32 v33, v34, v35 offset1:4
	ds_write2st64_b32 v33, v36, v37 offset0:8 offset1:12
	ds_write2st64_b32 v33, v38, v1 offset0:16 offset1:20
	;; [unrolled: 1-line block ×6, first 2 shown]
	v_cmp_gt_u32_e32 vcc, s49, v51
	s_mov_b64 s[4:5], 0
	s_mov_b32 s48, 0
	v_mov_b32_e32 v1, 0
	v_mov_b32_e32 v26, 0
	s_mov_b64 s[10:11], 0
	v_mov_b32_e32 v40, 0
	v_mov_b32_e32 v30, 0
	;; [unrolled: 1-line block ×24, first 2 shown]
	s_waitcnt lgkmcnt(0)
	s_barrier
	s_waitcnt lgkmcnt(0)
                                        ; implicit-def: $sgpr8_sgpr9
                                        ; implicit-def: $vgpr20
	s_and_saveexec_b64 s[6:7], vcc
	s_cbranch_execz .LBB1439_79
; %bb.52:
	ds_read_b32 v20, v25
	v_or_b32_e32 v21, 1, v51
	v_cmp_ne_u32_e32 vcc, v10, v11
	v_mov_b32_e32 v10, s54
	v_cndmask_b32_e64 v1, 0, 1, vcc
	s_waitcnt lgkmcnt(0)
	v_cndmask_b32_e32 v30, v20, v10, vcc
	v_cmp_gt_u32_e32 vcc, s49, v21
	v_mov_b32_e32 v26, 0
	v_mov_b32_e32 v40, 0
	;; [unrolled: 1-line block ×24, first 2 shown]
                                        ; implicit-def: $sgpr12_sgpr13
                                        ; implicit-def: $vgpr20
	s_and_saveexec_b64 s[8:9], vcc
	s_cbranch_execz .LBB1439_78
; %bb.53:
	ds_read2_b32 v[20:21], v25 offset0:1 offset1:2
	v_add_u32_e32 v10, 2, v51
	v_cmp_ne_u32_e32 vcc, v11, v12
	v_mov_b32_e32 v11, s54
	v_cndmask_b32_e64 v34, 0, 1, vcc
	s_waitcnt lgkmcnt(0)
	v_cndmask_b32_e32 v28, v20, v11, vcc
	v_cmp_gt_u32_e32 vcc, s49, v10
	s_mov_b64 s[14:15], 0
	v_mov_b32_e32 v26, 0
	v_mov_b32_e32 v40, 0
	;; [unrolled: 1-line block ×22, first 2 shown]
                                        ; implicit-def: $sgpr12_sgpr13
                                        ; implicit-def: $vgpr20
	s_and_saveexec_b64 s[10:11], vcc
	s_cbranch_execz .LBB1439_77
; %bb.54:
	v_add_u32_e32 v10, 3, v51
	v_cmp_ne_u32_e32 vcc, v12, v13
	v_mov_b32_e32 v11, s54
	v_cndmask_b32_e64 v37, 0, 1, vcc
	v_cndmask_b32_e32 v29, v21, v11, vcc
	v_cmp_gt_u32_e32 vcc, s49, v10
	v_mov_b32_e32 v26, 0
	v_mov_b32_e32 v40, 0
	;; [unrolled: 1-line block ×20, first 2 shown]
                                        ; implicit-def: $sgpr16_sgpr17
                                        ; implicit-def: $vgpr20
	s_and_saveexec_b64 s[12:13], vcc
	s_cbranch_execz .LBB1439_76
; %bb.55:
	ds_read2_b32 v[10:11], v25 offset0:3 offset1:4
	v_add_u32_e32 v12, 4, v51
	v_cmp_ne_u32_e32 vcc, v13, v6
	v_mov_b32_e32 v13, s54
	v_cndmask_b32_e64 v42, 0, 1, vcc
	s_waitcnt lgkmcnt(0)
	v_cndmask_b32_e32 v31, v10, v13, vcc
	v_cmp_gt_u32_e32 vcc, s49, v12
	s_mov_b64 s[18:19], 0
	v_mov_b32_e32 v26, 0
	v_mov_b32_e32 v40, 0
	;; [unrolled: 1-line block ×18, first 2 shown]
                                        ; implicit-def: $sgpr16_sgpr17
                                        ; implicit-def: $vgpr20
	s_and_saveexec_b64 s[14:15], vcc
	s_cbranch_execz .LBB1439_75
; %bb.56:
	v_add_u32_e32 v10, 5, v51
	v_cmp_ne_u32_e32 vcc, v6, v7
	v_mov_b32_e32 v6, s54
	v_cndmask_b32_e64 v43, 0, 1, vcc
	v_cndmask_b32_e32 v27, v11, v6, vcc
	v_cmp_gt_u32_e32 vcc, s49, v10
	v_mov_b32_e32 v26, 0
	v_mov_b32_e32 v40, 0
	;; [unrolled: 1-line block ×16, first 2 shown]
                                        ; implicit-def: $sgpr20_sgpr21
                                        ; implicit-def: $vgpr20
	s_and_saveexec_b64 s[16:17], vcc
	s_cbranch_execz .LBB1439_74
; %bb.57:
	ds_read2_b32 v[10:11], v25 offset0:5 offset1:6
	v_add_u32_e32 v6, 6, v51
	v_cmp_ne_u32_e32 vcc, v7, v8
	v_mov_b32_e32 v7, s54
	v_cndmask_b32_e64 v44, 0, 1, vcc
	s_waitcnt lgkmcnt(0)
	v_cndmask_b32_e32 v32, v10, v7, vcc
	v_cmp_gt_u32_e32 vcc, s49, v6
	s_mov_b64 s[22:23], 0
	v_mov_b32_e32 v26, 0
	v_mov_b32_e32 v40, 0
	;; [unrolled: 1-line block ×14, first 2 shown]
                                        ; implicit-def: $sgpr20_sgpr21
                                        ; implicit-def: $vgpr20
	s_and_saveexec_b64 s[18:19], vcc
	s_cbranch_execz .LBB1439_73
; %bb.58:
	v_add_u32_e32 v6, 7, v51
	v_cmp_ne_u32_e32 vcc, v8, v9
	v_mov_b32_e32 v7, s54
	v_cndmask_b32_e64 v45, 0, 1, vcc
	v_cndmask_b32_e32 v33, v11, v7, vcc
	v_cmp_gt_u32_e32 vcc, s49, v6
	v_mov_b32_e32 v26, 0
	v_mov_b32_e32 v40, 0
	;; [unrolled: 1-line block ×12, first 2 shown]
                                        ; implicit-def: $sgpr24_sgpr25
                                        ; implicit-def: $vgpr20
	s_and_saveexec_b64 s[20:21], vcc
	s_cbranch_execz .LBB1439_72
; %bb.59:
	ds_read2_b32 v[6:7], v25 offset0:7 offset1:8
	v_add_u32_e32 v8, 8, v51
	v_cmp_ne_u32_e32 vcc, v9, v2
	v_mov_b32_e32 v9, s54
	v_cndmask_b32_e64 v46, 0, 1, vcc
	s_waitcnt lgkmcnt(0)
	v_cndmask_b32_e32 v35, v6, v9, vcc
	v_cmp_gt_u32_e32 vcc, s49, v8
	s_mov_b64 s[26:27], 0
	v_mov_b32_e32 v26, 0
	v_mov_b32_e32 v40, 0
	;; [unrolled: 1-line block ×10, first 2 shown]
                                        ; implicit-def: $sgpr24_sgpr25
                                        ; implicit-def: $vgpr20
	s_and_saveexec_b64 s[22:23], vcc
	s_cbranch_execz .LBB1439_71
; %bb.60:
	v_add_u32_e32 v6, 9, v51
	v_cmp_ne_u32_e32 vcc, v2, v3
	v_mov_b32_e32 v2, s54
	v_cndmask_b32_e64 v47, 0, 1, vcc
	v_cndmask_b32_e32 v36, v7, v2, vcc
	v_cmp_gt_u32_e32 vcc, s49, v6
	v_mov_b32_e32 v26, 0
	v_mov_b32_e32 v40, 0
	;; [unrolled: 1-line block ×8, first 2 shown]
                                        ; implicit-def: $sgpr28_sgpr29
                                        ; implicit-def: $vgpr20
	s_and_saveexec_b64 s[24:25], vcc
	s_cbranch_execz .LBB1439_70
; %bb.61:
	ds_read2_b32 v[6:7], v25 offset0:9 offset1:10
	v_add_u32_e32 v2, 10, v51
	v_cmp_ne_u32_e32 vcc, v3, v4
	v_mov_b32_e32 v3, s54
	v_cndmask_b32_e64 v48, 0, 1, vcc
	s_waitcnt lgkmcnt(0)
	v_cndmask_b32_e32 v38, v6, v3, vcc
	v_cmp_gt_u32_e32 vcc, s49, v2
	s_mov_b64 s[30:31], 0
	v_mov_b32_e32 v26, 0
	v_mov_b32_e32 v40, 0
	;; [unrolled: 1-line block ×6, first 2 shown]
                                        ; implicit-def: $sgpr28_sgpr29
                                        ; implicit-def: $vgpr20
	s_and_saveexec_b64 s[26:27], vcc
	s_cbranch_execz .LBB1439_69
; %bb.62:
	v_add_u32_e32 v2, 11, v51
	v_cmp_ne_u32_e32 vcc, v4, v5
	v_mov_b32_e32 v3, s54
	v_cndmask_b32_e64 v49, 0, 1, vcc
	v_cndmask_b32_e32 v39, v7, v3, vcc
	v_cmp_gt_u32_e32 vcc, s49, v2
	v_mov_b32_e32 v26, 0
	v_mov_b32_e32 v40, 0
	;; [unrolled: 1-line block ×4, first 2 shown]
                                        ; implicit-def: $sgpr36_sgpr37
                                        ; implicit-def: $vgpr20
	s_and_saveexec_b64 s[28:29], vcc
	s_cbranch_execz .LBB1439_68
; %bb.63:
	ds_read2_b32 v[2:3], v25 offset0:11 offset1:12
	v_add_u32_e32 v4, 12, v51
	v_cmp_ne_u32_e32 vcc, v5, v18
	v_mov_b32_e32 v5, s54
	v_cndmask_b32_e64 v50, 0, 1, vcc
	s_waitcnt lgkmcnt(0)
	v_cndmask_b32_e32 v41, v2, v5, vcc
	v_cmp_gt_u32_e32 vcc, s49, v4
	s_mov_b64 s[38:39], 0
	v_mov_b32_e32 v26, 0
	v_mov_b32_e32 v40, 0
                                        ; implicit-def: $sgpr40_sgpr41
                                        ; implicit-def: $vgpr20
	s_and_saveexec_b64 s[30:31], vcc
	s_cbranch_execz .LBB1439_67
; %bb.64:
	v_add_u32_e32 v2, 13, v51
	v_cmp_ne_u32_e32 vcc, v18, v19
	v_mov_b32_e32 v4, s54
	v_cndmask_b32_e64 v40, 0, 1, vcc
	v_cndmask_b32_e32 v26, v3, v4, vcc
	v_cmp_gt_u32_e32 vcc, s49, v2
	s_mov_b64 s[36:37], 0
                                        ; implicit-def: $sgpr38_sgpr39
                                        ; implicit-def: $vgpr20
	s_and_saveexec_b64 s[40:41], vcc
	s_xor_b64 s[40:41], exec, s[40:41]
	s_cbranch_execz .LBB1439_66
; %bb.65:
	ds_read_b32 v2, v25 offset:52
	v_mov_b32_e32 v3, s54
	v_cmp_ne_u32_e32 vcc, v19, v24
	s_mov_b64 s[36:37], exec
	s_and_b64 s[38:39], vcc, exec
	s_waitcnt lgkmcnt(0)
	v_cndmask_b32_e32 v20, v2, v3, vcc
.LBB1439_66:
	s_or_b64 exec, exec, s[40:41]
	s_and_b64 s[40:41], s[38:39], exec
	s_and_b64 s[38:39], s[36:37], exec
.LBB1439_67:
	s_or_b64 exec, exec, s[30:31]
	s_and_b64 s[36:37], s[40:41], exec
	s_and_b64 s[30:31], s[38:39], exec
.LBB1439_68:
	s_or_b64 exec, exec, s[28:29]
	s_and_b64 s[28:29], s[36:37], exec
	s_and_b64 s[30:31], s[30:31], exec
.LBB1439_69:
	s_or_b64 exec, exec, s[26:27]
	s_and_b64 s[28:29], s[28:29], exec
	s_and_b64 s[26:27], s[30:31], exec
.LBB1439_70:
	s_or_b64 exec, exec, s[24:25]
	s_and_b64 s[24:25], s[28:29], exec
	s_and_b64 s[26:27], s[26:27], exec
.LBB1439_71:
	s_or_b64 exec, exec, s[22:23]
	s_and_b64 s[24:25], s[24:25], exec
	s_and_b64 s[22:23], s[26:27], exec
.LBB1439_72:
	s_or_b64 exec, exec, s[20:21]
	s_and_b64 s[20:21], s[24:25], exec
	s_and_b64 s[22:23], s[22:23], exec
.LBB1439_73:
	s_or_b64 exec, exec, s[18:19]
	s_and_b64 s[20:21], s[20:21], exec
	s_and_b64 s[18:19], s[22:23], exec
.LBB1439_74:
	s_or_b64 exec, exec, s[16:17]
	s_and_b64 s[16:17], s[20:21], exec
	s_and_b64 s[18:19], s[18:19], exec
.LBB1439_75:
	s_or_b64 exec, exec, s[14:15]
	s_and_b64 s[16:17], s[16:17], exec
	s_and_b64 s[14:15], s[18:19], exec
.LBB1439_76:
	s_or_b64 exec, exec, s[12:13]
	s_and_b64 s[12:13], s[16:17], exec
	s_and_b64 s[14:15], s[14:15], exec
.LBB1439_77:
	s_or_b64 exec, exec, s[10:11]
	s_and_b64 s[12:13], s[12:13], exec
	s_and_b64 s[10:11], s[14:15], exec
.LBB1439_78:
	s_or_b64 exec, exec, s[8:9]
	s_and_b64 s[8:9], s[12:13], exec
	s_and_b64 s[10:11], s[10:11], exec
.LBB1439_79:
	s_or_b64 exec, exec, s[6:7]
	s_mov_b32 s6, 0
	s_and_b64 vcc, exec, s[4:5]
	v_lshlrev_b32_e32 v51, 2, v0
	s_cbranch_vccnz .LBB1439_81
	s_branch .LBB1439_86
.LBB1439_80:
	s_mov_b64 s[10:11], 0
                                        ; implicit-def: $sgpr8_sgpr9
                                        ; implicit-def: $vgpr20
                                        ; implicit-def: $vgpr1
                                        ; implicit-def: $vgpr26
                                        ; implicit-def: $vgpr40
                                        ; implicit-def: $vgpr30
                                        ; implicit-def: $vgpr41
                                        ; implicit-def: $vgpr50
                                        ; implicit-def: $vgpr34
                                        ; implicit-def: $vgpr39
                                        ; implicit-def: $vgpr49
                                        ; implicit-def: $vgpr28
                                        ; implicit-def: $vgpr38
                                        ; implicit-def: $vgpr48
                                        ; implicit-def: $vgpr37
                                        ; implicit-def: $vgpr36
                                        ; implicit-def: $vgpr47
                                        ; implicit-def: $vgpr29
                                        ; implicit-def: $vgpr35
                                        ; implicit-def: $vgpr46
                                        ; implicit-def: $vgpr42
                                        ; implicit-def: $vgpr33
                                        ; implicit-def: $vgpr45
                                        ; implicit-def: $vgpr31
                                        ; implicit-def: $vgpr32
                                        ; implicit-def: $vgpr44
                                        ; implicit-def: $vgpr43
                                        ; implicit-def: $vgpr27
                                        ; implicit-def: $sgpr6
                                        ; implicit-def: $sgpr48
	s_and_b64 vcc, exec, s[4:5]
	v_lshlrev_b32_e32 v51, 2, v0
	s_cbranch_vccz .LBB1439_86
.LBB1439_81:
	v_add_co_u32_e32 v2, vcc, v14, v51
	v_addc_co_u32_e32 v3, vcc, 0, v15, vcc
	v_add_co_u32_e32 v4, vcc, 0x1000, v2
	v_addc_co_u32_e32 v5, vcc, 0, v3, vcc
	flat_load_dword v1, v[2:3]
	flat_load_dword v6, v[2:3] offset:1024
	flat_load_dword v7, v[2:3] offset:2048
	;; [unrolled: 1-line block ×3, first 2 shown]
	flat_load_dword v9, v[4:5]
	flat_load_dword v10, v[4:5] offset:1024
	flat_load_dword v11, v[4:5] offset:2048
	;; [unrolled: 1-line block ×3, first 2 shown]
	v_add_co_u32_e32 v4, vcc, 0x2000, v2
	v_addc_co_u32_e32 v5, vcc, 0, v3, vcc
	v_add_co_u32_e32 v2, vcc, 0x3000, v2
	v_addc_co_u32_e32 v3, vcc, 0, v3, vcc
	flat_load_dword v13, v[4:5]
	flat_load_dword v18, v[4:5] offset:1024
	flat_load_dword v19, v[4:5] offset:2048
	;; [unrolled: 1-line block ×3, first 2 shown]
	flat_load_dword v21, v[2:3]
	flat_load_dword v24, v[2:3] offset:1024
	v_add_co_u32_e32 v2, vcc, 0x3000, v14
	v_addc_co_u32_e32 v3, vcc, 0, v15, vcc
	s_movk_i32 s4, 0xffcc
	s_movk_i32 s8, 0x1000
	;; [unrolled: 1-line block ×4, first 2 shown]
	s_waitcnt vmcnt(0) lgkmcnt(0)
	ds_write2st64_b32 v51, v1, v6 offset1:4
	ds_write2st64_b32 v51, v7, v8 offset0:8 offset1:12
	ds_write2st64_b32 v51, v9, v10 offset0:16 offset1:20
	;; [unrolled: 1-line block ×6, first 2 shown]
	s_waitcnt lgkmcnt(0)
	s_barrier
	flat_load_dword v52, v[2:3] offset:2048
	v_mad_u32_u24 v1, v0, 52, v51
	ds_read2_b64 v[10:13], v1 offset1:1
	ds_read2_b64 v[6:9], v1 offset0:2 offset1:3
	ds_read2_b64 v[2:5], v1 offset0:4 offset1:5
	ds_read_b64 v[14:15], v1 offset:48
	v_mad_i32_i24 v18, v0, s4, v1
	s_movk_i32 s4, 0xff
	v_cmp_ne_u32_e32 vcc, s4, v0
	s_waitcnt lgkmcnt(0)
	ds_write_b32 v18, v10 offset:15360
	s_waitcnt lgkmcnt(0)
	s_barrier
	s_and_saveexec_b64 s[4:5], vcc
	s_cbranch_execz .LBB1439_83
; %bb.82:
	s_waitcnt vmcnt(0)
	ds_read_b32 v52, v51 offset:15364
.LBB1439_83:
	s_or_b64 exec, exec, s[4:5]
	v_add_co_u32_e32 v18, vcc, v22, v51
	v_addc_co_u32_e32 v19, vcc, 0, v23, vcc
	v_add_co_u32_e32 v20, vcc, s8, v18
	v_addc_co_u32_e32 v21, vcc, 0, v19, vcc
	s_waitcnt lgkmcnt(0)
	s_barrier
	flat_load_dword v22, v[18:19]
	flat_load_dword v23, v[18:19] offset:1024
	flat_load_dword v24, v[18:19] offset:2048
	;; [unrolled: 1-line block ×3, first 2 shown]
	flat_load_dword v26, v[20:21]
	flat_load_dword v27, v[20:21] offset:1024
	flat_load_dword v28, v[20:21] offset:2048
	;; [unrolled: 1-line block ×3, first 2 shown]
	v_add_co_u32_e32 v20, vcc, s7, v18
	v_addc_co_u32_e32 v21, vcc, 0, v19, vcc
	v_add_co_u32_e32 v18, vcc, s6, v18
	v_addc_co_u32_e32 v19, vcc, 0, v19, vcc
	flat_load_dword v30, v[20:21]
	flat_load_dword v31, v[20:21] offset:1024
	flat_load_dword v32, v[20:21] offset:2048
	;; [unrolled: 1-line block ×3, first 2 shown]
	flat_load_dword v34, v[18:19]
	flat_load_dword v35, v[18:19] offset:1024
	v_cmp_ne_u32_e32 vcc, v10, v11
	v_cmp_eq_u32_e64 s[4:5], v10, v11
	s_waitcnt vmcnt(0) lgkmcnt(0)
	ds_write2st64_b32 v51, v22, v23 offset1:4
	ds_write2st64_b32 v51, v24, v25 offset0:8 offset1:12
	ds_write2st64_b32 v51, v26, v27 offset0:16 offset1:20
	;; [unrolled: 1-line block ×6, first 2 shown]
	s_waitcnt lgkmcnt(0)
	s_barrier
	ds_read2_b32 v[28:29], v1 offset0:1 offset1:2
	ds_read2_b32 v[26:27], v1 offset0:3 offset1:4
	;; [unrolled: 1-line block ×6, first 2 shown]
	ds_read_b32 v53, v1 offset:52
	v_mov_b32_e32 v30, s54
	s_and_saveexec_b64 s[6:7], s[4:5]
	s_cbranch_execz .LBB1439_85
; %bb.84:
	ds_read_b32 v30, v1
.LBB1439_85:
	s_or_b64 exec, exec, s[6:7]
	v_cmp_ne_u32_e64 s[8:9], v6, v7
	v_cmp_ne_u32_e64 s[14:15], v9, v2
	;; [unrolled: 1-line block ×3, first 2 shown]
	v_mov_b32_e32 v2, s54
	v_cndmask_b32_e64 v1, 0, 1, vcc
	v_cmp_ne_u32_e32 vcc, v11, v12
	v_cmp_ne_u32_e64 s[4:5], v12, v13
	v_cmp_ne_u32_e64 s[6:7], v13, v6
	v_cndmask_b32_e64 v43, 0, 1, s[8:9]
	v_cmp_ne_u32_e64 s[10:11], v7, v8
	v_cmp_ne_u32_e64 s[12:13], v8, v9
	;; [unrolled: 1-line block ×6, first 2 shown]
	s_waitcnt lgkmcnt(5)
	v_cndmask_b32_e64 v27, v27, v2, s[8:9]
	v_cmp_ne_u32_e64 s[8:9], v15, v52
	v_cndmask_b32_e64 v34, 0, 1, vcc
	v_cndmask_b32_e64 v37, 0, 1, s[4:5]
	v_cndmask_b32_e64 v42, 0, 1, s[6:7]
	;; [unrolled: 1-line block ×10, first 2 shown]
	v_cndmask_b32_e32 v28, v28, v2, vcc
	v_cndmask_b32_e64 v29, v29, v2, s[4:5]
	v_cndmask_b32_e64 v31, v26, v2, s[6:7]
	s_waitcnt lgkmcnt(4)
	v_cndmask_b32_e64 v32, v24, v2, s[10:11]
	v_cndmask_b32_e64 v33, v25, v2, s[12:13]
	s_waitcnt lgkmcnt(3)
	;; [unrolled: 3-line block ×5, first 2 shown]
	v_cndmask_b32_e64 v20, v53, v2, s[8:9]
	s_mov_b64 s[10:11], -1
                                        ; implicit-def: $sgpr6
                                        ; implicit-def: $sgpr48
.LBB1439_86:
	v_mov_b32_e32 v14, s48
	v_mov_b32_e32 v15, s6
	s_and_saveexec_b64 s[4:5], s[10:11]
; %bb.87:
	v_cndmask_b32_e64 v14, 0, 1, s[8:9]
	v_mov_b32_e32 v15, v20
; %bb.88:
	s_or_b64 exec, exec, s[4:5]
	v_or_b32_e32 v2, v14, v40
	s_cmp_lg_u32 s47, 0
	v_add_f32_e32 v54, v28, v30
	v_or_b32_e32 v53, v2, v50
	v_mbcnt_lo_u32_b32 v52, -1, 0
	s_barrier
	s_cbranch_scc0 .LBB1439_167
; %bb.89:
	v_mov_b32_e32 v2, 0
	v_cmp_eq_u16_sdwa s[4:5], v34, v2 src0_sel:BYTE_0 src1_sel:DWORD
	v_cndmask_b32_e64 v3, v28, v54, s[4:5]
	v_add_f32_e32 v3, v29, v3
	v_cmp_eq_u16_sdwa s[6:7], v37, v2 src0_sel:BYTE_0 src1_sel:DWORD
	v_cndmask_b32_e64 v3, v29, v3, s[6:7]
	v_add_f32_e32 v3, v31, v3
	;; [unrolled: 3-line block ×7, first 2 shown]
	v_cmp_eq_u16_sdwa s[18:19], v47, v2 src0_sel:BYTE_0 src1_sel:DWORD
	v_cmp_eq_u16_sdwa s[20:21], v48, v2 src0_sel:BYTE_0 src1_sel:DWORD
	v_cmp_eq_u16_sdwa s[22:23], v49, v2 src0_sel:BYTE_0 src1_sel:DWORD
	v_cmp_eq_u16_sdwa s[24:25], v50, v2 src0_sel:BYTE_0 src1_sel:DWORD
	v_cmp_eq_u16_sdwa s[26:27], v40, v2 src0_sel:BYTE_0 src1_sel:DWORD
	v_cmp_eq_u16_sdwa vcc, v14, v2 src0_sel:BYTE_0 src1_sel:DWORD
	v_or_b32_e32 v2, v53, v49
	v_cndmask_b32_e64 v3, v36, v3, s[18:19]
	v_or_b32_e32 v2, v2, v48
	v_add_f32_e32 v3, v38, v3
	v_or_b32_e32 v2, v2, v47
	v_cndmask_b32_e64 v3, v38, v3, s[20:21]
	v_or_b32_e32 v2, v2, v46
	v_add_f32_e32 v3, v39, v3
	v_or_b32_e32 v2, v2, v45
	v_cndmask_b32_e64 v3, v39, v3, s[22:23]
	v_or_b32_e32 v2, v2, v44
	v_add_f32_e32 v3, v41, v3
	v_or_b32_e32 v2, v2, v43
	v_cndmask_b32_e64 v3, v41, v3, s[24:25]
	v_or_b32_e32 v2, v2, v42
	v_add_f32_e32 v3, v26, v3
	v_or_b32_e32 v2, v2, v37
	v_cndmask_b32_e64 v3, v26, v3, s[26:27]
	v_or_b32_e32 v2, v2, v34
	v_add_f32_e32 v3, v15, v3
	v_and_b32_e32 v2, 1, v2
	v_and_b32_e32 v5, 0xff, v1
	v_cndmask_b32_e32 v4, v15, v3, vcc
	v_cmp_eq_u32_e32 vcc, 1, v2
	v_mbcnt_hi_u32_b32 v11, -1, v52
	v_cndmask_b32_e64 v5, v5, 1, vcc
	v_and_b32_e32 v2, 15, v11
	v_mov_b32_dpp v6, v4 row_shr:1 row_mask:0xf bank_mask:0xf
	v_mov_b32_dpp v3, v5 row_shr:1 row_mask:0xf bank_mask:0xf
	v_cmp_ne_u32_e32 vcc, 0, v2
	s_and_saveexec_b64 s[28:29], vcc
; %bb.90:
	v_add_f32_e32 v6, v4, v6
	v_cmp_eq_u32_e32 vcc, 0, v5
	v_and_b32_e32 v5, 1, v5
	v_cndmask_b32_e32 v4, v4, v6, vcc
	v_and_b32_e32 v3, 1, v3
	v_cmp_eq_u32_e32 vcc, 1, v5
	v_cndmask_b32_e64 v5, v3, 1, vcc
; %bb.91:
	s_or_b64 exec, exec, s[28:29]
	v_mov_b32_dpp v6, v4 row_shr:2 row_mask:0xf bank_mask:0xf
	v_mov_b32_dpp v3, v5 row_shr:2 row_mask:0xf bank_mask:0xf
	v_cmp_lt_u32_e32 vcc, 1, v2
	s_and_saveexec_b64 s[28:29], vcc
; %bb.92:
	v_add_f32_e32 v6, v4, v6
	v_cmp_eq_u32_e32 vcc, 0, v5
	v_and_b32_e32 v5, 1, v5
	v_cndmask_b32_e32 v4, v4, v6, vcc
	v_and_b32_e32 v3, 1, v3
	v_cmp_eq_u32_e32 vcc, 1, v5
	v_cndmask_b32_e64 v5, v3, 1, vcc
; %bb.93:
	s_or_b64 exec, exec, s[28:29]
	v_mov_b32_dpp v6, v4 row_shr:4 row_mask:0xf bank_mask:0xf
	v_mov_b32_dpp v3, v5 row_shr:4 row_mask:0xf bank_mask:0xf
	v_cmp_lt_u32_e32 vcc, 3, v2
	;; [unrolled: 14-line block ×3, first 2 shown]
	s_and_saveexec_b64 s[28:29], vcc
; %bb.96:
	v_add_f32_e32 v2, v4, v6
	v_cmp_eq_u32_e32 vcc, 0, v5
	v_cndmask_b32_e32 v4, v4, v2, vcc
	v_and_b32_e32 v2, 1, v5
	v_and_b32_e32 v3, 1, v3
	v_cmp_eq_u32_e32 vcc, 1, v2
	v_cndmask_b32_e64 v5, v3, 1, vcc
; %bb.97:
	s_or_b64 exec, exec, s[28:29]
	v_and_b32_e32 v6, 16, v11
	v_mov_b32_dpp v3, v4 row_bcast:15 row_mask:0xf bank_mask:0xf
	v_mov_b32_dpp v2, v5 row_bcast:15 row_mask:0xf bank_mask:0xf
	v_cmp_ne_u32_e32 vcc, 0, v6
	s_and_saveexec_b64 s[28:29], vcc
; %bb.98:
	v_add_f32_e32 v3, v4, v3
	v_cmp_eq_u32_e32 vcc, 0, v5
	v_cndmask_b32_e32 v4, v4, v3, vcc
	v_and_b32_e32 v3, 1, v5
	v_and_b32_e32 v2, 1, v2
	v_cmp_eq_u32_e32 vcc, 1, v3
	v_cndmask_b32_e64 v5, v2, 1, vcc
; %bb.99:
	s_or_b64 exec, exec, s[28:29]
	v_mov_b32_dpp v3, v4 row_bcast:31 row_mask:0xf bank_mask:0xf
	v_mov_b32_dpp v2, v5 row_bcast:31 row_mask:0xf bank_mask:0xf
	v_cmp_lt_u32_e32 vcc, 31, v11
	s_and_saveexec_b64 s[28:29], vcc
; %bb.100:
	v_add_f32_e32 v3, v4, v3
	v_cmp_eq_u32_e32 vcc, 0, v5
	v_cndmask_b32_e32 v4, v4, v3, vcc
	v_and_b32_e32 v3, 1, v5
	v_and_b32_e32 v2, 1, v2
	v_cmp_eq_u32_e32 vcc, 1, v3
	v_cndmask_b32_e64 v5, v2, 1, vcc
; %bb.101:
	s_or_b64 exec, exec, s[28:29]
	v_or_b32_e32 v2, 63, v0
	v_lshrrev_b32_e32 v6, 6, v0
	v_cmp_eq_u32_e32 vcc, v2, v0
	s_and_saveexec_b64 s[28:29], vcc
	s_cbranch_execz .LBB1439_103
; %bb.102:
	v_lshlrev_b32_e32 v2, 3, v6
	ds_write_b32 v2, v4
	ds_write_b8 v2, v5 offset:4
.LBB1439_103:
	s_or_b64 exec, exec, s[28:29]
	v_cmp_gt_u32_e32 vcc, 4, v0
	s_waitcnt lgkmcnt(0)
	s_barrier
	s_and_saveexec_b64 s[28:29], vcc
	s_cbranch_execz .LBB1439_107
; %bb.104:
	v_lshlrev_b32_e32 v7, 3, v0
	ds_read_b64 v[2:3], v7
	v_and_b32_e32 v8, 3, v11
	v_cmp_ne_u32_e32 vcc, 0, v8
	s_waitcnt lgkmcnt(0)
	v_mov_b32_dpp v12, v2 row_shr:1 row_mask:0xf bank_mask:0xf
	v_mov_b32_dpp v10, v3 row_shr:1 row_mask:0xf bank_mask:0xf
	v_mov_b32_e32 v9, v3
	s_and_saveexec_b64 s[30:31], vcc
; %bb.105:
	v_mov_b32_e32 v9, 0
	v_add_f32_e32 v12, v2, v12
	v_cmp_eq_u16_sdwa vcc, v3, v9 src0_sel:BYTE_0 src1_sel:DWORD
	v_and_b32_e32 v9, 1, v3
	v_cndmask_b32_e32 v2, v2, v12, vcc
	v_and_b32_e32 v10, 1, v10
	v_cmp_eq_u32_e32 vcc, 1, v9
	v_cndmask_b32_e64 v9, v10, 1, vcc
	s_movk_i32 s36, 0xff00
	v_and_or_b32 v3, v3, s36, v9
; %bb.106:
	s_or_b64 exec, exec, s[30:31]
	v_mov_b32_e32 v13, 0
	v_mov_b32_dpp v12, v3 row_shr:2 row_mask:0xf bank_mask:0xf
	v_cmp_eq_u16_sdwa s[30:31], v9, v13 src0_sel:BYTE_0 src1_sel:DWORD
	v_and_b32_e32 v9, 1, v9
	v_and_b32_e32 v12, 1, v12
	v_cmp_eq_u32_e32 vcc, 1, v9
	v_mov_b32_dpp v10, v2 row_shr:2 row_mask:0xf bank_mask:0xf
	v_cndmask_b32_e64 v9, v12, 1, vcc
	v_cmp_lt_u32_e32 vcc, 1, v8
	v_add_f32_e32 v10, v2, v10
	v_cndmask_b32_e32 v3, v3, v9, vcc
	s_and_b64 vcc, vcc, s[30:31]
	v_cndmask_b32_e32 v2, v2, v10, vcc
	ds_write_b32 v7, v2
	ds_write_b8 v7, v3 offset:4
.LBB1439_107:
	s_or_b64 exec, exec, s[28:29]
	v_cmp_gt_u32_e32 vcc, 64, v0
	v_cmp_lt_u32_e64 s[28:29], 63, v0
	v_mov_b32_e32 v18, 0
	v_mov_b32_e32 v19, 0
	s_waitcnt lgkmcnt(0)
	s_barrier
	s_and_saveexec_b64 s[30:31], s[28:29]
	s_cbranch_execz .LBB1439_109
; %bb.108:
	v_lshl_add_u32 v2, v6, 3, -8
	ds_read_b32 v18, v2
	ds_read_u8 v19, v2 offset:4
	v_and_b32_e32 v2, 1, v5
	v_cmp_eq_u32_e64 s[28:29], 0, v5
	s_waitcnt lgkmcnt(1)
	v_add_f32_e32 v3, v4, v18
	s_waitcnt lgkmcnt(0)
	v_and_b32_e32 v6, 1, v19
	v_cndmask_b32_e64 v4, v4, v3, s[28:29]
	v_cmp_eq_u32_e64 s[28:29], 1, v2
	v_cndmask_b32_e64 v5, v6, 1, s[28:29]
.LBB1439_109:
	s_or_b64 exec, exec, s[30:31]
	v_add_u32_e32 v2, -1, v11
	v_and_b32_e32 v3, 64, v11
	v_cmp_lt_i32_e64 s[28:29], v2, v3
	v_cndmask_b32_e64 v2, v2, v11, s[28:29]
	v_lshlrev_b32_e32 v2, 2, v2
	ds_bpermute_b32 v20, v2, v4
	ds_bpermute_b32 v21, v2, v5
	v_cmp_eq_u32_e64 s[28:29], 0, v11
	s_and_saveexec_b64 s[30:31], vcc
	s_cbranch_execz .LBB1439_154
; %bb.110:
	v_mov_b32_e32 v5, 0
	ds_read_b64 v[2:3], v5 offset:24
	s_waitcnt lgkmcnt(0)
	v_readfirstlane_b32 s40, v3
	s_and_saveexec_b64 s[36:37], s[28:29]
	s_cbranch_execz .LBB1439_112
; %bb.111:
	s_add_i32 s38, s47, 64
	s_mov_b32 s39, 0
	s_lshl_b64 s[48:49], s[38:39], 4
	s_add_u32 s48, s44, s48
	s_addc_u32 s49, s45, s49
	s_and_b32 s57, s40, 0xff000000
	s_mov_b32 s56, s39
	s_and_b32 s59, s40, 0xff0000
	s_mov_b32 s58, s39
	s_or_b64 s[56:57], s[58:59], s[56:57]
	s_and_b32 s59, s40, 0xff00
	s_or_b64 s[56:57], s[56:57], s[58:59]
	s_and_b32 s59, s40, 0xff
	s_or_b64 s[38:39], s[56:57], s[58:59]
	v_mov_b32_e32 v3, s39
	v_mov_b32_e32 v4, 1
	v_pk_mov_b32 v[6:7], s[48:49], s[48:49] op_sel:[0,1]
	;;#ASMSTART
	global_store_dwordx4 v[6:7], v[2:5] off	
s_waitcnt vmcnt(0)
	;;#ASMEND
.LBB1439_112:
	s_or_b64 exec, exec, s[36:37]
	v_xad_u32 v10, v11, -1, s47
	v_add_u32_e32 v4, 64, v10
	v_lshlrev_b64 v[6:7], 4, v[4:5]
	v_mov_b32_e32 v3, s45
	v_add_co_u32_e32 v12, vcc, s44, v6
	v_addc_co_u32_e32 v13, vcc, v3, v7, vcc
	;;#ASMSTART
	global_load_dwordx4 v[6:9], v[12:13] off glc	
s_waitcnt vmcnt(0)
	;;#ASMEND
	v_cmp_eq_u16_sdwa s[38:39], v8, v5 src0_sel:BYTE_0 src1_sel:DWORD
	s_and_saveexec_b64 s[36:37], s[38:39]
	s_cbranch_execz .LBB1439_118
; %bb.113:
	s_mov_b32 s41, 1
	s_mov_b64 s[38:39], 0
	v_mov_b32_e32 v3, 0
.LBB1439_114:                           ; =>This Loop Header: Depth=1
                                        ;     Child Loop BB1439_115 Depth 2
	s_max_u32 s48, s41, 1
.LBB1439_115:                           ;   Parent Loop BB1439_114 Depth=1
                                        ; =>  This Inner Loop Header: Depth=2
	s_add_i32 s48, s48, -1
	s_cmp_eq_u32 s48, 0
	s_sleep 1
	s_cbranch_scc0 .LBB1439_115
; %bb.116:                              ;   in Loop: Header=BB1439_114 Depth=1
	s_cmp_lt_u32 s41, 32
	s_cselect_b64 s[48:49], -1, 0
	s_cmp_lg_u64 s[48:49], 0
	s_addc_u32 s41, s41, 0
	;;#ASMSTART
	global_load_dwordx4 v[6:9], v[12:13] off glc	
s_waitcnt vmcnt(0)
	;;#ASMEND
	v_cmp_ne_u16_sdwa s[48:49], v8, v3 src0_sel:BYTE_0 src1_sel:DWORD
	s_or_b64 s[38:39], s[48:49], s[38:39]
	s_andn2_b64 exec, exec, s[38:39]
	s_cbranch_execnz .LBB1439_114
; %bb.117:
	s_or_b64 exec, exec, s[38:39]
.LBB1439_118:
	s_or_b64 exec, exec, s[36:37]
	v_mov_b32_e32 v3, 2
	v_cmp_eq_u16_sdwa s[36:37], v8, v3 src0_sel:BYTE_0 src1_sel:DWORD
	v_lshlrev_b64 v[4:5], v11, -1
	v_and_b32_e32 v3, s37, v5
	v_or_b32_e32 v3, 0x80000000, v3
	v_ffbl_b32_e32 v24, v3
	v_and_b32_e32 v3, 63, v11
	v_cmp_ne_u32_e32 vcc, 63, v3
	v_addc_co_u32_e32 v13, vcc, 0, v11, vcc
	v_and_b32_e32 v12, 0xff, v7
	v_lshlrev_b32_e32 v22, 2, v13
	ds_bpermute_b32 v23, v22, v6
	ds_bpermute_b32 v13, v22, v12
	v_and_b32_e32 v9, s36, v4
	v_add_u32_e32 v24, 32, v24
	v_ffbl_b32_e32 v9, v9
	v_min_u32_e32 v9, v9, v24
	v_cmp_lt_u32_e32 vcc, v3, v9
	s_and_saveexec_b64 s[36:37], vcc
	s_cbranch_execz .LBB1439_120
; %bb.119:
	v_mov_b32_e32 v12, 0
	s_waitcnt lgkmcnt(1)
	v_add_f32_e32 v23, v6, v23
	v_cmp_eq_u16_sdwa vcc, v7, v12 src0_sel:BYTE_0 src1_sel:DWORD
	v_and_b32_e32 v7, 1, v7
	v_cndmask_b32_e32 v6, v6, v23, vcc
	s_waitcnt lgkmcnt(0)
	v_and_b32_e32 v12, 1, v13
	v_cmp_eq_u32_e32 vcc, 1, v7
	v_cndmask_b32_e64 v7, v12, 1, vcc
	v_and_b32_e32 v12, 0xffff, v7
.LBB1439_120:
	s_or_b64 exec, exec, s[36:37]
	v_cmp_gt_u32_e32 vcc, 62, v3
	s_waitcnt lgkmcnt(0)
	v_cndmask_b32_e64 v13, 0, 1, vcc
	v_lshlrev_b32_e32 v13, 1, v13
	v_add_lshl_u32 v23, v13, v11, 2
	ds_bpermute_b32 v25, v23, v6
	ds_bpermute_b32 v13, v23, v12
	v_add_u32_e32 v24, 2, v3
	v_cmp_le_u32_e32 vcc, v24, v9
	s_and_saveexec_b64 s[36:37], vcc
	s_cbranch_execz .LBB1439_122
; %bb.121:
	v_mov_b32_e32 v12, 0
	s_waitcnt lgkmcnt(1)
	v_add_f32_e32 v25, v6, v25
	v_cmp_eq_u16_sdwa vcc, v7, v12 src0_sel:BYTE_0 src1_sel:DWORD
	v_and_b32_e32 v7, 1, v7
	v_cndmask_b32_e32 v6, v6, v25, vcc
	s_waitcnt lgkmcnt(0)
	v_and_b32_e32 v12, 1, v13
	v_cmp_eq_u32_e32 vcc, 1, v7
	v_cndmask_b32_e64 v7, v12, 1, vcc
	v_and_b32_e32 v12, 0xffff, v7
.LBB1439_122:
	s_or_b64 exec, exec, s[36:37]
	v_cmp_gt_u32_e32 vcc, 60, v3
	s_waitcnt lgkmcnt(0)
	v_cndmask_b32_e64 v13, 0, 1, vcc
	v_lshlrev_b32_e32 v13, 2, v13
	v_add_lshl_u32 v25, v13, v11, 2
	ds_bpermute_b32 v56, v25, v6
	ds_bpermute_b32 v13, v25, v12
	v_add_u32_e32 v55, 4, v3
	v_cmp_le_u32_e32 vcc, v55, v9
	;; [unrolled: 25-line block ×5, first 2 shown]
	s_and_saveexec_b64 s[36:37], vcc
	s_cbranch_execz .LBB1439_130
; %bb.129:
	v_mov_b32_e32 v9, 0
	s_waitcnt lgkmcnt(1)
	v_add_f32_e32 v12, v6, v13
	v_cmp_eq_u16_sdwa vcc, v7, v9 src0_sel:BYTE_0 src1_sel:DWORD
	v_and_b32_e32 v7, 1, v7
	v_cndmask_b32_e32 v6, v6, v12, vcc
	s_waitcnt lgkmcnt(0)
	v_and_b32_e32 v9, 1, v11
	v_cmp_eq_u32_e32 vcc, 1, v7
	v_cndmask_b32_e64 v7, v9, 1, vcc
.LBB1439_130:
	s_or_b64 exec, exec, s[36:37]
	s_waitcnt lgkmcnt(0)
	v_mov_b32_e32 v11, 0
	v_mov_b32_e32 v64, 2
	s_branch .LBB1439_132
.LBB1439_131:                           ;   in Loop: Header=BB1439_132 Depth=1
	s_or_b64 exec, exec, s[36:37]
	s_waitcnt lgkmcnt(0)
	ds_bpermute_b32 v13, v61, v6
	ds_bpermute_b32 v12, v61, v12
	v_and_b32_e32 v65, 1, v7
	v_cmp_eq_u16_sdwa vcc, v7, v11 src0_sel:BYTE_0 src1_sel:DWORD
	v_subrev_u32_e32 v10, 64, v10
	s_waitcnt lgkmcnt(1)
	v_add_f32_e32 v13, v6, v13
	v_cndmask_b32_e32 v13, v6, v13, vcc
	v_cmp_eq_u32_e32 vcc, 1, v65
	s_waitcnt lgkmcnt(0)
	v_cndmask_b32_e64 v12, v12, 1, vcc
	v_cmp_gt_u32_e32 vcc, v63, v9
	v_cndmask_b32_e32 v6, v13, v6, vcc
	v_cndmask_b32_e32 v7, v12, v7, vcc
	v_add_f32_e32 v6, v62, v6
	v_cmp_eq_u16_sdwa vcc, v60, v11 src0_sel:BYTE_0 src1_sel:DWORD
	v_and_b32_e32 v9, 1, v60
	v_cndmask_b32_e32 v6, v62, v6, vcc
	v_and_b32_e32 v7, 1, v7
	v_cmp_eq_u32_e32 vcc, 1, v9
	v_cndmask_b32_e64 v7, v7, 1, vcc
.LBB1439_132:                           ; =>This Loop Header: Depth=1
                                        ;     Child Loop BB1439_135 Depth 2
                                        ;       Child Loop BB1439_136 Depth 3
	v_cmp_ne_u16_sdwa s[36:37], v8, v64 src0_sel:BYTE_0 src1_sel:DWORD
	v_mov_b32_e32 v60, v7
	v_cndmask_b32_e64 v7, 0, 1, s[36:37]
	;;#ASMSTART
	;;#ASMEND
	v_cmp_ne_u32_e32 vcc, 0, v7
	s_cmp_lg_u64 vcc, exec
	v_mov_b32_e32 v62, v6
	s_cbranch_scc1 .LBB1439_149
; %bb.133:                              ;   in Loop: Header=BB1439_132 Depth=1
	v_lshlrev_b64 v[6:7], 4, v[10:11]
	v_mov_b32_e32 v8, s45
	v_add_co_u32_e32 v12, vcc, s44, v6
	v_addc_co_u32_e32 v13, vcc, v8, v7, vcc
	;;#ASMSTART
	global_load_dwordx4 v[6:9], v[12:13] off glc	
s_waitcnt vmcnt(0)
	;;#ASMEND
	v_cmp_eq_u16_sdwa s[38:39], v8, v11 src0_sel:BYTE_0 src1_sel:DWORD
	s_and_saveexec_b64 s[36:37], s[38:39]
	s_cbranch_execz .LBB1439_139
; %bb.134:                              ;   in Loop: Header=BB1439_132 Depth=1
	s_mov_b32 s41, 1
	s_mov_b64 s[38:39], 0
.LBB1439_135:                           ;   Parent Loop BB1439_132 Depth=1
                                        ; =>  This Loop Header: Depth=2
                                        ;       Child Loop BB1439_136 Depth 3
	s_max_u32 s48, s41, 1
.LBB1439_136:                           ;   Parent Loop BB1439_132 Depth=1
                                        ;     Parent Loop BB1439_135 Depth=2
                                        ; =>    This Inner Loop Header: Depth=3
	s_add_i32 s48, s48, -1
	s_cmp_eq_u32 s48, 0
	s_sleep 1
	s_cbranch_scc0 .LBB1439_136
; %bb.137:                              ;   in Loop: Header=BB1439_135 Depth=2
	s_cmp_lt_u32 s41, 32
	s_cselect_b64 s[48:49], -1, 0
	s_cmp_lg_u64 s[48:49], 0
	s_addc_u32 s41, s41, 0
	;;#ASMSTART
	global_load_dwordx4 v[6:9], v[12:13] off glc	
s_waitcnt vmcnt(0)
	;;#ASMEND
	v_cmp_ne_u16_sdwa s[48:49], v8, v11 src0_sel:BYTE_0 src1_sel:DWORD
	s_or_b64 s[38:39], s[48:49], s[38:39]
	s_andn2_b64 exec, exec, s[38:39]
	s_cbranch_execnz .LBB1439_135
; %bb.138:                              ;   in Loop: Header=BB1439_132 Depth=1
	s_or_b64 exec, exec, s[38:39]
.LBB1439_139:                           ;   in Loop: Header=BB1439_132 Depth=1
	s_or_b64 exec, exec, s[36:37]
	v_cmp_eq_u16_sdwa s[36:37], v8, v64 src0_sel:BYTE_0 src1_sel:DWORD
	v_and_b32_e32 v9, s37, v5
	v_and_b32_e32 v12, 0xff, v7
	v_or_b32_e32 v9, 0x80000000, v9
	ds_bpermute_b32 v65, v22, v6
	ds_bpermute_b32 v13, v22, v12
	v_and_b32_e32 v66, s36, v4
	v_ffbl_b32_e32 v9, v9
	v_add_u32_e32 v9, 32, v9
	v_ffbl_b32_e32 v66, v66
	v_min_u32_e32 v9, v66, v9
	v_cmp_lt_u32_e32 vcc, v3, v9
	s_and_saveexec_b64 s[36:37], vcc
	s_cbranch_execz .LBB1439_141
; %bb.140:                              ;   in Loop: Header=BB1439_132 Depth=1
	s_waitcnt lgkmcnt(1)
	v_add_f32_e32 v12, v6, v65
	v_cmp_eq_u16_sdwa vcc, v7, v11 src0_sel:BYTE_0 src1_sel:DWORD
	v_and_b32_e32 v7, 1, v7
	v_cndmask_b32_e32 v6, v6, v12, vcc
	s_waitcnt lgkmcnt(0)
	v_and_b32_e32 v12, 1, v13
	v_cmp_eq_u32_e32 vcc, 1, v7
	v_cndmask_b32_e64 v7, v12, 1, vcc
	v_and_b32_e32 v12, 0xffff, v7
.LBB1439_141:                           ;   in Loop: Header=BB1439_132 Depth=1
	s_or_b64 exec, exec, s[36:37]
	s_waitcnt lgkmcnt(1)
	ds_bpermute_b32 v65, v23, v6
	s_waitcnt lgkmcnt(1)
	ds_bpermute_b32 v13, v23, v12
	v_cmp_le_u32_e32 vcc, v24, v9
	s_and_saveexec_b64 s[36:37], vcc
	s_cbranch_execz .LBB1439_143
; %bb.142:                              ;   in Loop: Header=BB1439_132 Depth=1
	s_waitcnt lgkmcnt(1)
	v_add_f32_e32 v12, v6, v65
	v_cmp_eq_u16_sdwa vcc, v7, v11 src0_sel:BYTE_0 src1_sel:DWORD
	v_and_b32_e32 v7, 1, v7
	v_cndmask_b32_e32 v6, v6, v12, vcc
	s_waitcnt lgkmcnt(0)
	v_and_b32_e32 v12, 1, v13
	v_cmp_eq_u32_e32 vcc, 1, v7
	v_cndmask_b32_e64 v7, v12, 1, vcc
	v_and_b32_e32 v12, 0xffff, v7
.LBB1439_143:                           ;   in Loop: Header=BB1439_132 Depth=1
	s_or_b64 exec, exec, s[36:37]
	s_waitcnt lgkmcnt(1)
	ds_bpermute_b32 v65, v25, v6
	s_waitcnt lgkmcnt(1)
	ds_bpermute_b32 v13, v25, v12
	v_cmp_le_u32_e32 vcc, v55, v9
	;; [unrolled: 20-line block ×4, first 2 shown]
	s_and_saveexec_b64 s[36:37], vcc
	s_cbranch_execz .LBB1439_131
; %bb.148:                              ;   in Loop: Header=BB1439_132 Depth=1
	s_waitcnt lgkmcnt(1)
	v_add_f32_e32 v12, v6, v65
	v_cmp_eq_u16_sdwa vcc, v7, v11 src0_sel:BYTE_0 src1_sel:DWORD
	v_and_b32_e32 v7, 1, v7
	v_cndmask_b32_e32 v6, v6, v12, vcc
	s_waitcnt lgkmcnt(0)
	v_and_b32_e32 v12, 1, v13
	v_cmp_eq_u32_e32 vcc, 1, v7
	v_cndmask_b32_e64 v7, v12, 1, vcc
	v_and_b32_e32 v12, 0xffff, v7
	s_branch .LBB1439_131
.LBB1439_149:                           ;   in Loop: Header=BB1439_132 Depth=1
                                        ; implicit-def: $vgpr7
	s_cbranch_execz .LBB1439_132
; %bb.150:
	s_and_saveexec_b64 s[36:37], s[28:29]
	s_cbranch_execz .LBB1439_152
; %bb.151:
	s_and_b32 s38, s40, 0xff
	s_cmp_eq_u32 s38, 0
	s_cselect_b64 vcc, -1, 0
	s_bitcmp1_b32 s40, 0
	s_mov_b32 s39, 0
	s_cselect_b64 s[40:41], -1, 0
	s_add_i32 s38, s47, 64
	s_lshl_b64 s[38:39], s[38:39], 4
	v_add_f32_e32 v3, v62, v2
	s_add_u32 s38, s44, s38
	v_cndmask_b32_e32 v2, v2, v3, vcc
	v_and_b32_e32 v3, 1, v60
	s_addc_u32 s39, s45, s39
	v_cndmask_b32_e64 v3, v3, 1, s[40:41]
	v_mov_b32_e32 v4, 2
	v_mov_b32_e32 v5, 0
	v_pk_mov_b32 v[6:7], s[38:39], s[38:39] op_sel:[0,1]
	;;#ASMSTART
	global_store_dwordx4 v[6:7], v[2:5] off	
s_waitcnt vmcnt(0)
	;;#ASMEND
.LBB1439_152:
	s_or_b64 exec, exec, s[36:37]
	s_and_b64 exec, exec, s[0:1]
	s_cbranch_execz .LBB1439_154
; %bb.153:
	v_mov_b32_e32 v2, 0
	ds_write_b32 v2, v62 offset:24
	ds_write_b8 v2, v60 offset:28
.LBB1439_154:
	s_or_b64 exec, exec, s[30:31]
	v_mov_b32_e32 v3, 0
	s_waitcnt lgkmcnt(0)
	s_barrier
	ds_read_b32 v2, v3 offset:24
	v_cndmask_b32_e64 v4, v21, v19, s[28:29]
	v_cndmask_b32_e64 v5, v20, v18, s[28:29]
	v_cmp_eq_u32_sdwa vcc, v4, v3 src0_sel:BYTE_0 src1_sel:DWORD
	s_waitcnt lgkmcnt(0)
	v_add_f32_e32 v6, v5, v2
	v_cndmask_b32_e32 v4, v5, v6, vcc
	v_cndmask_b32_e64 v2, v4, v2, s[0:1]
	v_add_f32_e32 v4, v30, v2
	v_cmp_eq_u16_sdwa vcc, v1, v3 src0_sel:BYTE_0 src1_sel:DWORD
	v_cndmask_b32_e32 v3, v30, v4, vcc
	v_add_f32_e32 v4, v28, v3
	v_cndmask_b32_e64 v18, v28, v4, s[4:5]
	v_add_f32_e32 v4, v29, v18
	v_cndmask_b32_e64 v19, v29, v4, s[6:7]
	v_add_f32_e32 v4, v31, v19
	v_cndmask_b32_e64 v6, v31, v4, s[8:9]
	v_add_f32_e32 v4, v27, v6
	v_cndmask_b32_e64 v7, v27, v4, s[10:11]
	v_add_f32_e32 v4, v32, v7
	v_cndmask_b32_e64 v20, v32, v4, s[12:13]
	v_add_f32_e32 v4, v33, v20
	v_cndmask_b32_e64 v21, v33, v4, s[14:15]
	v_add_f32_e32 v4, v35, v21
	v_cndmask_b32_e64 v10, v35, v4, s[16:17]
	v_add_f32_e32 v4, v36, v10
	v_cndmask_b32_e64 v11, v36, v4, s[18:19]
	v_add_f32_e32 v4, v38, v11
	v_cndmask_b32_e64 v22, v38, v4, s[20:21]
	v_add_f32_e32 v4, v39, v22
	v_cndmask_b32_e64 v23, v39, v4, s[22:23]
	v_add_f32_e32 v4, v41, v23
	v_cndmask_b32_e64 v24, v41, v4, s[24:25]
	v_add_f32_e32 v4, v26, v24
	v_cndmask_b32_e64 v25, v26, v4, s[26:27]
	s_branch .LBB1439_193
.LBB1439_155:
	s_or_b64 exec, exec, s[30:31]
                                        ; implicit-def: $vgpr35
	s_and_saveexec_b64 s[30:31], s[4:5]
	s_cbranch_execz .LBB1439_37
.LBB1439_156:
	v_add_co_u32_e32 v36, vcc, v22, v33
	v_addc_co_u32_e32 v37, vcc, 0, v23, vcc
	flat_load_dword v35, v[36:37] offset:1024
	s_or_b64 exec, exec, s[30:31]
                                        ; implicit-def: $vgpr36
	s_and_saveexec_b64 s[4:5], s[6:7]
	s_cbranch_execnz .LBB1439_38
.LBB1439_157:
	s_or_b64 exec, exec, s[4:5]
                                        ; implicit-def: $vgpr37
	s_and_saveexec_b64 s[4:5], s[8:9]
	s_cbranch_execz .LBB1439_39
.LBB1439_158:
	v_add_co_u32_e32 v38, vcc, v22, v33
	v_addc_co_u32_e32 v39, vcc, 0, v23, vcc
	flat_load_dword v37, v[38:39] offset:3072
	s_or_b64 exec, exec, s[4:5]
                                        ; implicit-def: $vgpr38
	s_and_saveexec_b64 s[4:5], s[10:11]
	s_cbranch_execnz .LBB1439_40
.LBB1439_159:
	s_or_b64 exec, exec, s[4:5]
                                        ; implicit-def: $vgpr1
	s_and_saveexec_b64 s[4:5], s[12:13]
	s_cbranch_execz .LBB1439_41
.LBB1439_160:
	v_lshlrev_b32_e32 v1, 2, v20
	v_add_co_u32_e32 v40, vcc, v22, v1
	v_addc_co_u32_e32 v41, vcc, 0, v23, vcc
	flat_load_dword v1, v[40:41]
	s_or_b64 exec, exec, s[4:5]
                                        ; implicit-def: $vgpr20
	s_and_saveexec_b64 s[4:5], s[14:15]
	s_cbranch_execnz .LBB1439_42
.LBB1439_161:
	s_or_b64 exec, exec, s[4:5]
                                        ; implicit-def: $vgpr21
	s_and_saveexec_b64 s[4:5], s[16:17]
	s_cbranch_execz .LBB1439_43
.LBB1439_162:
	v_lshlrev_b32_e32 v21, 2, v26
	v_add_co_u32_e32 v40, vcc, v22, v21
	v_addc_co_u32_e32 v41, vcc, 0, v23, vcc
	flat_load_dword v21, v[40:41]
	s_or_b64 exec, exec, s[4:5]
                                        ; implicit-def: $vgpr26
	s_and_saveexec_b64 s[4:5], s[18:19]
	s_cbranch_execnz .LBB1439_44
.LBB1439_163:
	s_or_b64 exec, exec, s[4:5]
                                        ; implicit-def: $vgpr27
	s_and_saveexec_b64 s[4:5], s[20:21]
	s_cbranch_execz .LBB1439_45
.LBB1439_164:
	v_lshlrev_b32_e32 v27, 2, v28
	v_add_co_u32_e32 v40, vcc, v22, v27
	v_addc_co_u32_e32 v41, vcc, 0, v23, vcc
	flat_load_dword v27, v[40:41]
	s_or_b64 exec, exec, s[4:5]
                                        ; implicit-def: $vgpr28
	s_and_saveexec_b64 s[4:5], s[22:23]
	s_cbranch_execnz .LBB1439_46
.LBB1439_165:
	s_or_b64 exec, exec, s[4:5]
                                        ; implicit-def: $vgpr29
	s_and_saveexec_b64 s[4:5], s[24:25]
	s_cbranch_execz .LBB1439_47
.LBB1439_166:
	v_lshlrev_b32_e32 v29, 2, v30
	v_add_co_u32_e32 v40, vcc, v22, v29
	v_addc_co_u32_e32 v41, vcc, 0, v23, vcc
	flat_load_dword v29, v[40:41]
	s_or_b64 exec, exec, s[4:5]
                                        ; implicit-def: $vgpr30
	s_and_saveexec_b64 s[4:5], s[26:27]
	s_cbranch_execz .LBB1439_49
	s_branch .LBB1439_48
.LBB1439_167:
                                        ; implicit-def: $vgpr25
                                        ; implicit-def: $vgpr23
                                        ; implicit-def: $vgpr21
                                        ; implicit-def: $vgpr19
                                        ; implicit-def: $vgpr10_vgpr11_vgpr12_vgpr13
                                        ; implicit-def: $vgpr6_vgpr7_vgpr8_vgpr9
                                        ; implicit-def: $vgpr2_vgpr3_vgpr4_vgpr5
	s_cbranch_execz .LBB1439_193
; %bb.168:
	s_cmp_lg_u64 s[52:53], 0
	s_cselect_b32 s5, s51, 0
	s_cselect_b32 s4, s50, 0
	s_cmp_eq_u64 s[4:5], 0
	v_mov_b32_e32 v4, s54
	s_cbranch_scc1 .LBB1439_170
; %bb.169:
	v_mov_b32_e32 v2, 0
	global_load_dword v4, v2, s[4:5]
.LBB1439_170:
	v_mov_b32_e32 v2, 0
	v_cmp_eq_u16_sdwa s[4:5], v34, v2 src0_sel:BYTE_0 src1_sel:DWORD
	v_cndmask_b32_e64 v3, v28, v54, s[4:5]
	v_add_f32_e32 v3, v29, v3
	v_cmp_eq_u16_sdwa s[6:7], v37, v2 src0_sel:BYTE_0 src1_sel:DWORD
	v_cndmask_b32_e64 v3, v29, v3, s[6:7]
	v_add_f32_e32 v3, v31, v3
	;; [unrolled: 3-line block ×7, first 2 shown]
	v_cmp_eq_u16_sdwa s[18:19], v47, v2 src0_sel:BYTE_0 src1_sel:DWORD
	v_cmp_eq_u16_sdwa s[20:21], v48, v2 src0_sel:BYTE_0 src1_sel:DWORD
	;; [unrolled: 1-line block ×4, first 2 shown]
	v_cmp_eq_u16_sdwa vcc, v40, v2 src0_sel:BYTE_0 src1_sel:DWORD
	v_cmp_eq_u16_sdwa s[26:27], v14, v2 src0_sel:BYTE_0 src1_sel:DWORD
	v_or_b32_e32 v2, v53, v49
	v_cndmask_b32_e64 v3, v36, v3, s[18:19]
	v_or_b32_e32 v2, v2, v48
	v_add_f32_e32 v3, v38, v3
	v_or_b32_e32 v2, v2, v47
	v_cndmask_b32_e64 v3, v38, v3, s[20:21]
	v_or_b32_e32 v2, v2, v46
	v_add_f32_e32 v3, v39, v3
	;; [unrolled: 4-line block ×4, first 2 shown]
	v_or_b32_e32 v2, v2, v37
	v_cndmask_b32_e32 v3, v26, v3, vcc
	v_or_b32_e32 v2, v2, v34
	v_add_f32_e32 v3, v15, v3
	v_and_b32_e32 v2, 1, v2
	v_and_b32_e32 v6, 0xff, v1
	v_cndmask_b32_e64 v5, v15, v3, s[26:27]
	v_cmp_eq_u32_e64 s[26:27], 1, v2
	v_cndmask_b32_e64 v7, v6, 1, s[26:27]
	v_mbcnt_hi_u32_b32 v6, -1, v52
	v_and_b32_e32 v2, 15, v6
	v_mov_b32_dpp v8, v5 row_shr:1 row_mask:0xf bank_mask:0xf
	v_mov_b32_dpp v3, v7 row_shr:1 row_mask:0xf bank_mask:0xf
	v_cmp_ne_u32_e64 s[26:27], 0, v2
	s_and_saveexec_b64 s[28:29], s[26:27]
; %bb.171:
	v_add_f32_e32 v8, v5, v8
	v_cmp_eq_u32_e64 s[26:27], 0, v7
	v_and_b32_e32 v7, 1, v7
	v_cndmask_b32_e64 v5, v5, v8, s[26:27]
	v_and_b32_e32 v3, 1, v3
	v_cmp_eq_u32_e64 s[26:27], 1, v7
	v_cndmask_b32_e64 v7, v3, 1, s[26:27]
; %bb.172:
	s_or_b64 exec, exec, s[28:29]
	v_mov_b32_dpp v8, v5 row_shr:2 row_mask:0xf bank_mask:0xf
	v_mov_b32_dpp v3, v7 row_shr:2 row_mask:0xf bank_mask:0xf
	v_cmp_lt_u32_e64 s[26:27], 1, v2
	s_and_saveexec_b64 s[28:29], s[26:27]
; %bb.173:
	v_add_f32_e32 v8, v5, v8
	v_cmp_eq_u32_e64 s[26:27], 0, v7
	v_and_b32_e32 v7, 1, v7
	v_cndmask_b32_e64 v5, v5, v8, s[26:27]
	v_and_b32_e32 v3, 1, v3
	v_cmp_eq_u32_e64 s[26:27], 1, v7
	v_cndmask_b32_e64 v7, v3, 1, s[26:27]
; %bb.174:
	s_or_b64 exec, exec, s[28:29]
	v_mov_b32_dpp v8, v5 row_shr:4 row_mask:0xf bank_mask:0xf
	v_mov_b32_dpp v3, v7 row_shr:4 row_mask:0xf bank_mask:0xf
	v_cmp_lt_u32_e64 s[26:27], 3, v2
	s_and_saveexec_b64 s[28:29], s[26:27]
; %bb.175:
	v_add_f32_e32 v8, v5, v8
	v_cmp_eq_u32_e64 s[26:27], 0, v7
	v_and_b32_e32 v7, 1, v7
	v_cndmask_b32_e64 v5, v5, v8, s[26:27]
	v_and_b32_e32 v3, 1, v3
	v_cmp_eq_u32_e64 s[26:27], 1, v7
	v_cndmask_b32_e64 v7, v3, 1, s[26:27]
; %bb.176:
	s_or_b64 exec, exec, s[28:29]
	v_mov_b32_dpp v8, v5 row_shr:8 row_mask:0xf bank_mask:0xf
	v_mov_b32_dpp v3, v7 row_shr:8 row_mask:0xf bank_mask:0xf
	v_cmp_lt_u32_e64 s[26:27], 7, v2
	s_and_saveexec_b64 s[28:29], s[26:27]
; %bb.177:
	v_add_f32_e32 v2, v5, v8
	v_cmp_eq_u32_e64 s[26:27], 0, v7
	v_cndmask_b32_e64 v5, v5, v2, s[26:27]
	v_and_b32_e32 v2, 1, v7
	v_and_b32_e32 v3, 1, v3
	v_cmp_eq_u32_e64 s[26:27], 1, v2
	v_cndmask_b32_e64 v7, v3, 1, s[26:27]
; %bb.178:
	s_or_b64 exec, exec, s[28:29]
	v_and_b32_e32 v8, 16, v6
	v_mov_b32_dpp v3, v5 row_bcast:15 row_mask:0xf bank_mask:0xf
	v_mov_b32_dpp v2, v7 row_bcast:15 row_mask:0xf bank_mask:0xf
	v_cmp_ne_u32_e64 s[26:27], 0, v8
	s_and_saveexec_b64 s[28:29], s[26:27]
; %bb.179:
	v_add_f32_e32 v3, v5, v3
	v_cmp_eq_u32_e64 s[26:27], 0, v7
	v_cndmask_b32_e64 v5, v5, v3, s[26:27]
	v_and_b32_e32 v3, 1, v7
	v_and_b32_e32 v2, 1, v2
	v_cmp_eq_u32_e64 s[26:27], 1, v3
	v_cndmask_b32_e64 v7, v2, 1, s[26:27]
; %bb.180:
	s_or_b64 exec, exec, s[28:29]
	v_mov_b32_dpp v3, v5 row_bcast:31 row_mask:0xf bank_mask:0xf
	v_mov_b32_dpp v2, v7 row_bcast:31 row_mask:0xf bank_mask:0xf
	v_cmp_lt_u32_e64 s[26:27], 31, v6
	s_and_saveexec_b64 s[28:29], s[26:27]
; %bb.181:
	v_add_f32_e32 v3, v5, v3
	v_cmp_eq_u32_e64 s[26:27], 0, v7
	v_cndmask_b32_e64 v5, v5, v3, s[26:27]
	v_and_b32_e32 v3, 1, v7
	v_and_b32_e32 v2, 1, v2
	v_cmp_eq_u32_e64 s[26:27], 1, v3
	v_cndmask_b32_e64 v7, v2, 1, s[26:27]
; %bb.182:
	s_or_b64 exec, exec, s[28:29]
	v_or_b32_e32 v2, 63, v0
	v_lshrrev_b32_e32 v8, 6, v0
	v_cmp_eq_u32_e64 s[26:27], v2, v0
	s_and_saveexec_b64 s[28:29], s[26:27]
	s_cbranch_execz .LBB1439_184
; %bb.183:
	v_lshlrev_b32_e32 v2, 3, v8
	ds_write_b32 v2, v5
	ds_write_b8 v2, v7 offset:4
.LBB1439_184:
	s_or_b64 exec, exec, s[28:29]
	v_cmp_gt_u32_e64 s[26:27], 4, v0
	s_waitcnt lgkmcnt(0)
	s_barrier
	s_and_saveexec_b64 s[28:29], s[26:27]
	s_cbranch_execz .LBB1439_188
; %bb.185:
	v_lshlrev_b32_e32 v9, 3, v0
	ds_read_b64 v[2:3], v9
	v_and_b32_e32 v10, 3, v6
	v_cmp_ne_u32_e64 s[26:27], 0, v10
	s_waitcnt lgkmcnt(0)
	v_mov_b32_dpp v13, v2 row_shr:1 row_mask:0xf bank_mask:0xf
	v_mov_b32_dpp v12, v3 row_shr:1 row_mask:0xf bank_mask:0xf
	v_mov_b32_e32 v11, v3
	s_and_saveexec_b64 s[30:31], s[26:27]
; %bb.186:
	v_mov_b32_e32 v11, 0
	v_add_f32_e32 v13, v2, v13
	v_cmp_eq_u16_sdwa s[26:27], v3, v11 src0_sel:BYTE_0 src1_sel:DWORD
	v_and_b32_e32 v11, 1, v3
	v_cndmask_b32_e64 v2, v2, v13, s[26:27]
	v_and_b32_e32 v12, 1, v12
	v_cmp_eq_u32_e64 s[26:27], 1, v11
	v_cndmask_b32_e64 v11, v12, 1, s[26:27]
	s_movk_i32 s26, 0xff00
	v_and_or_b32 v3, v3, s26, v11
; %bb.187:
	s_or_b64 exec, exec, s[30:31]
	v_mov_b32_e32 v14, 0
	v_mov_b32_dpp v13, v3 row_shr:2 row_mask:0xf bank_mask:0xf
	v_cmp_eq_u16_sdwa s[30:31], v11, v14 src0_sel:BYTE_0 src1_sel:DWORD
	v_and_b32_e32 v11, 1, v11
	v_and_b32_e32 v13, 1, v13
	v_cmp_eq_u32_e64 s[26:27], 1, v11
	v_mov_b32_dpp v12, v2 row_shr:2 row_mask:0xf bank_mask:0xf
	v_cndmask_b32_e64 v11, v13, 1, s[26:27]
	v_cmp_lt_u32_e64 s[26:27], 1, v10
	v_add_f32_e32 v12, v2, v12
	v_cndmask_b32_e64 v3, v3, v11, s[26:27]
	s_and_b64 s[26:27], s[26:27], s[30:31]
	v_cndmask_b32_e64 v2, v2, v12, s[26:27]
	ds_write_b32 v9, v2
	ds_write_b8 v9, v3 offset:4
.LBB1439_188:
	s_or_b64 exec, exec, s[28:29]
	v_cmp_lt_u32_e64 s[26:27], 63, v0
	s_waitcnt vmcnt(0)
	v_mov_b32_e32 v2, v4
	s_waitcnt lgkmcnt(0)
	s_barrier
	s_and_saveexec_b64 s[28:29], s[26:27]
	s_cbranch_execz .LBB1439_190
; %bb.189:
	v_lshl_add_u32 v2, v8, 3, -8
	ds_read_b32 v3, v2
	ds_read_u8 v2, v2 offset:4
	s_waitcnt lgkmcnt(1)
	v_add_f32_e32 v8, v4, v3
	s_waitcnt lgkmcnt(0)
	v_cmp_eq_u16_e64 s[26:27], 0, v2
	v_cndmask_b32_e64 v2, v3, v8, s[26:27]
.LBB1439_190:
	s_or_b64 exec, exec, s[28:29]
	v_add_f32_e32 v3, v5, v2
	v_cmp_eq_u32_e64 s[26:27], 0, v7
	v_cndmask_b32_e64 v3, v5, v3, s[26:27]
	v_add_u32_e32 v5, -1, v6
	v_and_b32_e32 v7, 64, v6
	v_cmp_lt_i32_e64 s[26:27], v5, v7
	v_cndmask_b32_e64 v5, v5, v6, s[26:27]
	v_lshlrev_b32_e32 v5, 2, v5
	ds_bpermute_b32 v3, v5, v3
	v_cmp_eq_u32_e64 s[26:27], 0, v6
	v_mov_b32_e32 v15, 0
	s_waitcnt lgkmcnt(0)
	v_cndmask_b32_e64 v2, v3, v2, s[26:27]
	v_cndmask_b32_e64 v3, v2, v4, s[0:1]
	v_add_f32_e32 v3, v30, v3
	v_cmp_eq_u16_sdwa s[26:27], v1, v15 src0_sel:BYTE_0 src1_sel:DWORD
	v_cndmask_b32_e64 v3, v30, v3, s[26:27]
	v_add_f32_e32 v1, v28, v3
	v_cndmask_b32_e64 v18, v28, v1, s[4:5]
	v_add_f32_e32 v1, v29, v18
	;; [unrolled: 2-line block ×12, first 2 shown]
	s_and_saveexec_b64 s[4:5], s[0:1]
	s_cbranch_execz .LBB1439_192
; %bb.191:
	ds_read_b32 v2, v15 offset:24
	ds_read_u8 v5, v15 offset:28
	s_add_u32 s6, s44, 0x400
	s_addc_u32 s7, s45, 0
	v_mov_b32_e32 v14, 2
	s_waitcnt lgkmcnt(1)
	v_add_f32_e32 v8, v4, v2
	s_waitcnt lgkmcnt(0)
	v_cmp_eq_u16_e64 s[0:1], 0, v5
	v_cndmask_b32_e64 v12, v2, v8, s[0:1]
	v_and_b32_e32 v13, 0xffff, v5
	v_pk_mov_b32 v[8:9], s[6:7], s[6:7] op_sel:[0,1]
	;;#ASMSTART
	global_store_dwordx4 v[8:9], v[12:15] off	
s_waitcnt vmcnt(0)
	;;#ASMEND
	v_mov_b32_e32 v2, v4
.LBB1439_192:
	s_or_b64 exec, exec, s[4:5]
	v_cndmask_b32_e32 v25, v26, v1, vcc
.LBB1439_193:
	s_add_u32 s0, s42, s34
	s_addc_u32 s1, s43, s35
	v_mov_b32_e32 v1, s1
	v_add_co_u32_e32 v32, vcc, s0, v16
	v_addc_co_u32_e32 v33, vcc, v1, v17, vcc
	v_mul_u32_u24_e32 v1, 14, v0
	s_and_b64 vcc, exec, s[2:3]
	v_lshlrev_b32_e32 v4, 2, v1
	s_cbranch_vccz .LBB1439_221
; %bb.194:
	s_movk_i32 s0, 0xffcc
	v_mad_i32_i24 v5, v0, s0, v4
	s_barrier
	ds_write2_b64 v4, v[2:3], v[18:19] offset1:1
	ds_write2_b64 v4, v[6:7], v[20:21] offset0:2 offset1:3
	ds_write2_b64 v4, v[10:11], v[22:23] offset0:4 offset1:5
	ds_write_b64 v4, v[24:25] offset:48
	s_waitcnt lgkmcnt(0)
	s_barrier
	ds_read2st64_b32 v[30:31], v5 offset0:4 offset1:8
	ds_read2st64_b32 v[28:29], v5 offset0:12 offset1:16
	ds_read2st64_b32 v[26:27], v5 offset0:20 offset1:24
	ds_read2st64_b32 v[16:17], v5 offset0:28 offset1:32
	ds_read2st64_b32 v[14:15], v5 offset0:36 offset1:40
	ds_read2st64_b32 v[8:9], v5 offset0:44 offset1:48
	ds_read_b32 v5, v5 offset:13312
	v_add_co_u32_e32 v12, vcc, v32, v51
	s_add_i32 s33, s33, s46
	v_addc_co_u32_e32 v13, vcc, 0, v33, vcc
	v_mov_b32_e32 v1, 0
	v_cmp_gt_u32_e32 vcc, s33, v0
	s_and_saveexec_b64 s[0:1], vcc
	s_cbranch_execz .LBB1439_196
; %bb.195:
	v_mul_i32_i24_e32 v34, 0xffffffcc, v0
	v_add_u32_e32 v34, v4, v34
	ds_read_b32 v34, v34
	s_waitcnt lgkmcnt(0)
	flat_store_dword v[12:13], v34
.LBB1439_196:
	s_or_b64 exec, exec, s[0:1]
	v_or_b32_e32 v34, 0x100, v0
	v_cmp_gt_u32_e32 vcc, s33, v34
	s_and_saveexec_b64 s[0:1], vcc
	s_cbranch_execz .LBB1439_198
; %bb.197:
	s_waitcnt lgkmcnt(0)
	flat_store_dword v[12:13], v30 offset:1024
.LBB1439_198:
	s_or_b64 exec, exec, s[0:1]
	s_waitcnt lgkmcnt(0)
	v_or_b32_e32 v30, 0x200, v0
	v_cmp_gt_u32_e32 vcc, s33, v30
	s_and_saveexec_b64 s[0:1], vcc
	s_cbranch_execz .LBB1439_200
; %bb.199:
	flat_store_dword v[12:13], v31 offset:2048
.LBB1439_200:
	s_or_b64 exec, exec, s[0:1]
	v_or_b32_e32 v30, 0x300, v0
	v_cmp_gt_u32_e32 vcc, s33, v30
	s_and_saveexec_b64 s[0:1], vcc
	s_cbranch_execz .LBB1439_202
; %bb.201:
	flat_store_dword v[12:13], v28 offset:3072
.LBB1439_202:
	s_or_b64 exec, exec, s[0:1]
	v_or_b32_e32 v28, 0x400, v0
	v_cmp_gt_u32_e32 vcc, s33, v28
	s_and_saveexec_b64 s[0:1], vcc
	s_cbranch_execz .LBB1439_204
; %bb.203:
	v_add_co_u32_e32 v30, vcc, 0x1000, v12
	v_addc_co_u32_e32 v31, vcc, 0, v13, vcc
	flat_store_dword v[30:31], v29
.LBB1439_204:
	s_or_b64 exec, exec, s[0:1]
	v_or_b32_e32 v28, 0x500, v0
	v_cmp_gt_u32_e32 vcc, s33, v28
	s_and_saveexec_b64 s[0:1], vcc
	s_cbranch_execz .LBB1439_206
; %bb.205:
	v_add_co_u32_e32 v28, vcc, 0x1000, v12
	v_addc_co_u32_e32 v29, vcc, 0, v13, vcc
	flat_store_dword v[28:29], v26 offset:1024
.LBB1439_206:
	s_or_b64 exec, exec, s[0:1]
	v_or_b32_e32 v26, 0x600, v0
	v_cmp_gt_u32_e32 vcc, s33, v26
	s_and_saveexec_b64 s[0:1], vcc
	s_cbranch_execz .LBB1439_208
; %bb.207:
	v_add_co_u32_e32 v28, vcc, 0x1000, v12
	v_addc_co_u32_e32 v29, vcc, 0, v13, vcc
	flat_store_dword v[28:29], v27 offset:2048
.LBB1439_208:
	s_or_b64 exec, exec, s[0:1]
	v_or_b32_e32 v26, 0x700, v0
	v_cmp_gt_u32_e32 vcc, s33, v26
	s_and_saveexec_b64 s[0:1], vcc
	s_cbranch_execz .LBB1439_210
; %bb.209:
	v_add_co_u32_e32 v26, vcc, 0x1000, v12
	v_addc_co_u32_e32 v27, vcc, 0, v13, vcc
	flat_store_dword v[26:27], v16 offset:3072
.LBB1439_210:
	s_or_b64 exec, exec, s[0:1]
	v_or_b32_e32 v16, 0x800, v0
	v_cmp_gt_u32_e32 vcc, s33, v16
	s_and_saveexec_b64 s[0:1], vcc
	s_cbranch_execz .LBB1439_212
; %bb.211:
	v_add_co_u32_e32 v26, vcc, 0x2000, v12
	v_addc_co_u32_e32 v27, vcc, 0, v13, vcc
	flat_store_dword v[26:27], v17
.LBB1439_212:
	s_or_b64 exec, exec, s[0:1]
	v_or_b32_e32 v16, 0x900, v0
	v_cmp_gt_u32_e32 vcc, s33, v16
	s_and_saveexec_b64 s[0:1], vcc
	s_cbranch_execz .LBB1439_214
; %bb.213:
	v_add_co_u32_e32 v16, vcc, 0x2000, v12
	v_addc_co_u32_e32 v17, vcc, 0, v13, vcc
	flat_store_dword v[16:17], v14 offset:1024
.LBB1439_214:
	s_or_b64 exec, exec, s[0:1]
	v_or_b32_e32 v14, 0xa00, v0
	v_cmp_gt_u32_e32 vcc, s33, v14
	s_and_saveexec_b64 s[0:1], vcc
	s_cbranch_execz .LBB1439_216
; %bb.215:
	v_add_co_u32_e32 v16, vcc, 0x2000, v12
	v_addc_co_u32_e32 v17, vcc, 0, v13, vcc
	flat_store_dword v[16:17], v15 offset:2048
.LBB1439_216:
	;; [unrolled: 10-line block ×3, first 2 shown]
	s_or_b64 exec, exec, s[0:1]
	v_or_b32_e32 v8, 0xc00, v0
	v_cmp_gt_u32_e32 vcc, s33, v8
	s_and_saveexec_b64 s[0:1], vcc
	s_cbranch_execz .LBB1439_220
; %bb.219:
	v_add_co_u32_e32 v12, vcc, 0x3000, v12
	v_addc_co_u32_e32 v13, vcc, 0, v13, vcc
	flat_store_dword v[12:13], v9
.LBB1439_220:
	s_or_b64 exec, exec, s[0:1]
	v_or_b32_e32 v8, 0xd00, v0
	v_cmp_gt_u32_e64 s[0:1], s33, v8
	s_branch .LBB1439_223
.LBB1439_221:
	s_mov_b64 s[0:1], 0
                                        ; implicit-def: $vgpr5
	s_cbranch_execz .LBB1439_223
; %bb.222:
	s_movk_i32 s2, 0xffcc
	s_waitcnt lgkmcnt(0)
	s_barrier
	ds_write2_b64 v4, v[2:3], v[18:19] offset1:1
	ds_write2_b64 v4, v[6:7], v[20:21] offset0:2 offset1:3
	ds_write2_b64 v4, v[10:11], v[22:23] offset0:4 offset1:5
	ds_write_b64 v4, v[24:25] offset:48
	v_mad_i32_i24 v4, v0, s2, v4
	v_add_co_u32_e32 v16, vcc, v32, v51
	s_waitcnt lgkmcnt(0)
	s_barrier
	ds_read2st64_b32 v[2:3], v4 offset1:4
	ds_read2st64_b32 v[6:7], v4 offset0:8 offset1:12
	ds_read2st64_b32 v[8:9], v4 offset0:16 offset1:20
	;; [unrolled: 1-line block ×6, first 2 shown]
	v_addc_co_u32_e32 v17, vcc, 0, v33, vcc
	s_movk_i32 s2, 0x1000
	s_waitcnt lgkmcnt(0)
	flat_store_dword v[16:17], v2
	flat_store_dword v[16:17], v3 offset:1024
	flat_store_dword v[16:17], v6 offset:2048
	;; [unrolled: 1-line block ×3, first 2 shown]
	v_add_co_u32_e32 v2, vcc, s2, v16
	v_addc_co_u32_e32 v3, vcc, 0, v17, vcc
	flat_store_dword v[2:3], v8
	flat_store_dword v[2:3], v9 offset:1024
	flat_store_dword v[2:3], v10 offset:2048
	;; [unrolled: 1-line block ×3, first 2 shown]
	v_add_co_u32_e32 v2, vcc, 0x2000, v16
	v_addc_co_u32_e32 v3, vcc, 0, v17, vcc
	flat_store_dword v[2:3], v12
	flat_store_dword v[2:3], v13 offset:1024
	flat_store_dword v[2:3], v14 offset:2048
	flat_store_dword v[2:3], v15 offset:3072
	v_add_co_u32_e32 v2, vcc, 0x3000, v16
	v_mov_b32_e32 v1, 0
	v_addc_co_u32_e32 v3, vcc, 0, v17, vcc
	s_or_b64 s[0:1], s[0:1], exec
	flat_store_dword v[2:3], v4
.LBB1439_223:
	s_and_saveexec_b64 s[2:3], s[0:1]
	s_cbranch_execz .LBB1439_225
; %bb.224:
	v_lshlrev_b64 v[0:1], 2, v[0:1]
	v_add_co_u32_e32 v0, vcc, v32, v0
	v_addc_co_u32_e32 v1, vcc, v33, v1, vcc
	v_add_co_u32_e32 v0, vcc, 0x3000, v0
	v_addc_co_u32_e32 v1, vcc, 0, v1, vcc
	flat_store_dword v[0:1], v5 offset:1024
	s_endpgm
.LBB1439_225:
	s_endpgm
	.section	.rodata,"a",@progbits
	.p2align	6, 0x0
	.amdhsa_kernel _ZN7rocprim17ROCPRIM_400000_NS6detail17trampoline_kernelINS0_14default_configENS1_27scan_by_key_config_selectorIifEEZZNS1_16scan_by_key_implILNS1_25lookback_scan_determinismE0ELb1ES3_N6thrust23THRUST_200600_302600_NS6detail15normal_iteratorINS9_10device_ptrIiEEEENSB_INSC_IfEEEESG_fNS9_4plusIvEENS9_8equal_toIvEEfEE10hipError_tPvRmT2_T3_T4_T5_mT6_T7_P12ihipStream_tbENKUlT_T0_E_clISt17integral_constantIbLb1EES11_EEDaSW_SX_EUlSW_E_NS1_11comp_targetILNS1_3genE4ELNS1_11target_archE910ELNS1_3gpuE8ELNS1_3repE0EEENS1_30default_config_static_selectorELNS0_4arch9wavefront6targetE1EEEvT1_
		.amdhsa_group_segment_fixed_size 16384
		.amdhsa_private_segment_fixed_size 0
		.amdhsa_kernarg_size 112
		.amdhsa_user_sgpr_count 6
		.amdhsa_user_sgpr_private_segment_buffer 1
		.amdhsa_user_sgpr_dispatch_ptr 0
		.amdhsa_user_sgpr_queue_ptr 0
		.amdhsa_user_sgpr_kernarg_segment_ptr 1
		.amdhsa_user_sgpr_dispatch_id 0
		.amdhsa_user_sgpr_flat_scratch_init 0
		.amdhsa_user_sgpr_kernarg_preload_length 0
		.amdhsa_user_sgpr_kernarg_preload_offset 0
		.amdhsa_user_sgpr_private_segment_size 0
		.amdhsa_uses_dynamic_stack 0
		.amdhsa_system_sgpr_private_segment_wavefront_offset 0
		.amdhsa_system_sgpr_workgroup_id_x 1
		.amdhsa_system_sgpr_workgroup_id_y 0
		.amdhsa_system_sgpr_workgroup_id_z 0
		.amdhsa_system_sgpr_workgroup_info 0
		.amdhsa_system_vgpr_workitem_id 0
		.amdhsa_next_free_vgpr 67
		.amdhsa_next_free_sgpr 60
		.amdhsa_accum_offset 68
		.amdhsa_reserve_vcc 1
		.amdhsa_reserve_flat_scratch 0
		.amdhsa_float_round_mode_32 0
		.amdhsa_float_round_mode_16_64 0
		.amdhsa_float_denorm_mode_32 3
		.amdhsa_float_denorm_mode_16_64 3
		.amdhsa_dx10_clamp 1
		.amdhsa_ieee_mode 1
		.amdhsa_fp16_overflow 0
		.amdhsa_tg_split 0
		.amdhsa_exception_fp_ieee_invalid_op 0
		.amdhsa_exception_fp_denorm_src 0
		.amdhsa_exception_fp_ieee_div_zero 0
		.amdhsa_exception_fp_ieee_overflow 0
		.amdhsa_exception_fp_ieee_underflow 0
		.amdhsa_exception_fp_ieee_inexact 0
		.amdhsa_exception_int_div_zero 0
	.end_amdhsa_kernel
	.section	.text._ZN7rocprim17ROCPRIM_400000_NS6detail17trampoline_kernelINS0_14default_configENS1_27scan_by_key_config_selectorIifEEZZNS1_16scan_by_key_implILNS1_25lookback_scan_determinismE0ELb1ES3_N6thrust23THRUST_200600_302600_NS6detail15normal_iteratorINS9_10device_ptrIiEEEENSB_INSC_IfEEEESG_fNS9_4plusIvEENS9_8equal_toIvEEfEE10hipError_tPvRmT2_T3_T4_T5_mT6_T7_P12ihipStream_tbENKUlT_T0_E_clISt17integral_constantIbLb1EES11_EEDaSW_SX_EUlSW_E_NS1_11comp_targetILNS1_3genE4ELNS1_11target_archE910ELNS1_3gpuE8ELNS1_3repE0EEENS1_30default_config_static_selectorELNS0_4arch9wavefront6targetE1EEEvT1_,"axG",@progbits,_ZN7rocprim17ROCPRIM_400000_NS6detail17trampoline_kernelINS0_14default_configENS1_27scan_by_key_config_selectorIifEEZZNS1_16scan_by_key_implILNS1_25lookback_scan_determinismE0ELb1ES3_N6thrust23THRUST_200600_302600_NS6detail15normal_iteratorINS9_10device_ptrIiEEEENSB_INSC_IfEEEESG_fNS9_4plusIvEENS9_8equal_toIvEEfEE10hipError_tPvRmT2_T3_T4_T5_mT6_T7_P12ihipStream_tbENKUlT_T0_E_clISt17integral_constantIbLb1EES11_EEDaSW_SX_EUlSW_E_NS1_11comp_targetILNS1_3genE4ELNS1_11target_archE910ELNS1_3gpuE8ELNS1_3repE0EEENS1_30default_config_static_selectorELNS0_4arch9wavefront6targetE1EEEvT1_,comdat
.Lfunc_end1439:
	.size	_ZN7rocprim17ROCPRIM_400000_NS6detail17trampoline_kernelINS0_14default_configENS1_27scan_by_key_config_selectorIifEEZZNS1_16scan_by_key_implILNS1_25lookback_scan_determinismE0ELb1ES3_N6thrust23THRUST_200600_302600_NS6detail15normal_iteratorINS9_10device_ptrIiEEEENSB_INSC_IfEEEESG_fNS9_4plusIvEENS9_8equal_toIvEEfEE10hipError_tPvRmT2_T3_T4_T5_mT6_T7_P12ihipStream_tbENKUlT_T0_E_clISt17integral_constantIbLb1EES11_EEDaSW_SX_EUlSW_E_NS1_11comp_targetILNS1_3genE4ELNS1_11target_archE910ELNS1_3gpuE8ELNS1_3repE0EEENS1_30default_config_static_selectorELNS0_4arch9wavefront6targetE1EEEvT1_, .Lfunc_end1439-_ZN7rocprim17ROCPRIM_400000_NS6detail17trampoline_kernelINS0_14default_configENS1_27scan_by_key_config_selectorIifEEZZNS1_16scan_by_key_implILNS1_25lookback_scan_determinismE0ELb1ES3_N6thrust23THRUST_200600_302600_NS6detail15normal_iteratorINS9_10device_ptrIiEEEENSB_INSC_IfEEEESG_fNS9_4plusIvEENS9_8equal_toIvEEfEE10hipError_tPvRmT2_T3_T4_T5_mT6_T7_P12ihipStream_tbENKUlT_T0_E_clISt17integral_constantIbLb1EES11_EEDaSW_SX_EUlSW_E_NS1_11comp_targetILNS1_3genE4ELNS1_11target_archE910ELNS1_3gpuE8ELNS1_3repE0EEENS1_30default_config_static_selectorELNS0_4arch9wavefront6targetE1EEEvT1_
                                        ; -- End function
	.section	.AMDGPU.csdata,"",@progbits
; Kernel info:
; codeLenInByte = 10648
; NumSgprs: 64
; NumVgprs: 67
; NumAgprs: 0
; TotalNumVgprs: 67
; ScratchSize: 0
; MemoryBound: 0
; FloatMode: 240
; IeeeMode: 1
; LDSByteSize: 16384 bytes/workgroup (compile time only)
; SGPRBlocks: 7
; VGPRBlocks: 8
; NumSGPRsForWavesPerEU: 64
; NumVGPRsForWavesPerEU: 67
; AccumOffset: 68
; Occupancy: 4
; WaveLimiterHint : 1
; COMPUTE_PGM_RSRC2:SCRATCH_EN: 0
; COMPUTE_PGM_RSRC2:USER_SGPR: 6
; COMPUTE_PGM_RSRC2:TRAP_HANDLER: 0
; COMPUTE_PGM_RSRC2:TGID_X_EN: 1
; COMPUTE_PGM_RSRC2:TGID_Y_EN: 0
; COMPUTE_PGM_RSRC2:TGID_Z_EN: 0
; COMPUTE_PGM_RSRC2:TIDIG_COMP_CNT: 0
; COMPUTE_PGM_RSRC3_GFX90A:ACCUM_OFFSET: 16
; COMPUTE_PGM_RSRC3_GFX90A:TG_SPLIT: 0
	.section	.text._ZN7rocprim17ROCPRIM_400000_NS6detail17trampoline_kernelINS0_14default_configENS1_27scan_by_key_config_selectorIifEEZZNS1_16scan_by_key_implILNS1_25lookback_scan_determinismE0ELb1ES3_N6thrust23THRUST_200600_302600_NS6detail15normal_iteratorINS9_10device_ptrIiEEEENSB_INSC_IfEEEESG_fNS9_4plusIvEENS9_8equal_toIvEEfEE10hipError_tPvRmT2_T3_T4_T5_mT6_T7_P12ihipStream_tbENKUlT_T0_E_clISt17integral_constantIbLb1EES11_EEDaSW_SX_EUlSW_E_NS1_11comp_targetILNS1_3genE3ELNS1_11target_archE908ELNS1_3gpuE7ELNS1_3repE0EEENS1_30default_config_static_selectorELNS0_4arch9wavefront6targetE1EEEvT1_,"axG",@progbits,_ZN7rocprim17ROCPRIM_400000_NS6detail17trampoline_kernelINS0_14default_configENS1_27scan_by_key_config_selectorIifEEZZNS1_16scan_by_key_implILNS1_25lookback_scan_determinismE0ELb1ES3_N6thrust23THRUST_200600_302600_NS6detail15normal_iteratorINS9_10device_ptrIiEEEENSB_INSC_IfEEEESG_fNS9_4plusIvEENS9_8equal_toIvEEfEE10hipError_tPvRmT2_T3_T4_T5_mT6_T7_P12ihipStream_tbENKUlT_T0_E_clISt17integral_constantIbLb1EES11_EEDaSW_SX_EUlSW_E_NS1_11comp_targetILNS1_3genE3ELNS1_11target_archE908ELNS1_3gpuE7ELNS1_3repE0EEENS1_30default_config_static_selectorELNS0_4arch9wavefront6targetE1EEEvT1_,comdat
	.protected	_ZN7rocprim17ROCPRIM_400000_NS6detail17trampoline_kernelINS0_14default_configENS1_27scan_by_key_config_selectorIifEEZZNS1_16scan_by_key_implILNS1_25lookback_scan_determinismE0ELb1ES3_N6thrust23THRUST_200600_302600_NS6detail15normal_iteratorINS9_10device_ptrIiEEEENSB_INSC_IfEEEESG_fNS9_4plusIvEENS9_8equal_toIvEEfEE10hipError_tPvRmT2_T3_T4_T5_mT6_T7_P12ihipStream_tbENKUlT_T0_E_clISt17integral_constantIbLb1EES11_EEDaSW_SX_EUlSW_E_NS1_11comp_targetILNS1_3genE3ELNS1_11target_archE908ELNS1_3gpuE7ELNS1_3repE0EEENS1_30default_config_static_selectorELNS0_4arch9wavefront6targetE1EEEvT1_ ; -- Begin function _ZN7rocprim17ROCPRIM_400000_NS6detail17trampoline_kernelINS0_14default_configENS1_27scan_by_key_config_selectorIifEEZZNS1_16scan_by_key_implILNS1_25lookback_scan_determinismE0ELb1ES3_N6thrust23THRUST_200600_302600_NS6detail15normal_iteratorINS9_10device_ptrIiEEEENSB_INSC_IfEEEESG_fNS9_4plusIvEENS9_8equal_toIvEEfEE10hipError_tPvRmT2_T3_T4_T5_mT6_T7_P12ihipStream_tbENKUlT_T0_E_clISt17integral_constantIbLb1EES11_EEDaSW_SX_EUlSW_E_NS1_11comp_targetILNS1_3genE3ELNS1_11target_archE908ELNS1_3gpuE7ELNS1_3repE0EEENS1_30default_config_static_selectorELNS0_4arch9wavefront6targetE1EEEvT1_
	.globl	_ZN7rocprim17ROCPRIM_400000_NS6detail17trampoline_kernelINS0_14default_configENS1_27scan_by_key_config_selectorIifEEZZNS1_16scan_by_key_implILNS1_25lookback_scan_determinismE0ELb1ES3_N6thrust23THRUST_200600_302600_NS6detail15normal_iteratorINS9_10device_ptrIiEEEENSB_INSC_IfEEEESG_fNS9_4plusIvEENS9_8equal_toIvEEfEE10hipError_tPvRmT2_T3_T4_T5_mT6_T7_P12ihipStream_tbENKUlT_T0_E_clISt17integral_constantIbLb1EES11_EEDaSW_SX_EUlSW_E_NS1_11comp_targetILNS1_3genE3ELNS1_11target_archE908ELNS1_3gpuE7ELNS1_3repE0EEENS1_30default_config_static_selectorELNS0_4arch9wavefront6targetE1EEEvT1_
	.p2align	8
	.type	_ZN7rocprim17ROCPRIM_400000_NS6detail17trampoline_kernelINS0_14default_configENS1_27scan_by_key_config_selectorIifEEZZNS1_16scan_by_key_implILNS1_25lookback_scan_determinismE0ELb1ES3_N6thrust23THRUST_200600_302600_NS6detail15normal_iteratorINS9_10device_ptrIiEEEENSB_INSC_IfEEEESG_fNS9_4plusIvEENS9_8equal_toIvEEfEE10hipError_tPvRmT2_T3_T4_T5_mT6_T7_P12ihipStream_tbENKUlT_T0_E_clISt17integral_constantIbLb1EES11_EEDaSW_SX_EUlSW_E_NS1_11comp_targetILNS1_3genE3ELNS1_11target_archE908ELNS1_3gpuE7ELNS1_3repE0EEENS1_30default_config_static_selectorELNS0_4arch9wavefront6targetE1EEEvT1_,@function
_ZN7rocprim17ROCPRIM_400000_NS6detail17trampoline_kernelINS0_14default_configENS1_27scan_by_key_config_selectorIifEEZZNS1_16scan_by_key_implILNS1_25lookback_scan_determinismE0ELb1ES3_N6thrust23THRUST_200600_302600_NS6detail15normal_iteratorINS9_10device_ptrIiEEEENSB_INSC_IfEEEESG_fNS9_4plusIvEENS9_8equal_toIvEEfEE10hipError_tPvRmT2_T3_T4_T5_mT6_T7_P12ihipStream_tbENKUlT_T0_E_clISt17integral_constantIbLb1EES11_EEDaSW_SX_EUlSW_E_NS1_11comp_targetILNS1_3genE3ELNS1_11target_archE908ELNS1_3gpuE7ELNS1_3repE0EEENS1_30default_config_static_selectorELNS0_4arch9wavefront6targetE1EEEvT1_: ; @_ZN7rocprim17ROCPRIM_400000_NS6detail17trampoline_kernelINS0_14default_configENS1_27scan_by_key_config_selectorIifEEZZNS1_16scan_by_key_implILNS1_25lookback_scan_determinismE0ELb1ES3_N6thrust23THRUST_200600_302600_NS6detail15normal_iteratorINS9_10device_ptrIiEEEENSB_INSC_IfEEEESG_fNS9_4plusIvEENS9_8equal_toIvEEfEE10hipError_tPvRmT2_T3_T4_T5_mT6_T7_P12ihipStream_tbENKUlT_T0_E_clISt17integral_constantIbLb1EES11_EEDaSW_SX_EUlSW_E_NS1_11comp_targetILNS1_3genE3ELNS1_11target_archE908ELNS1_3gpuE7ELNS1_3repE0EEENS1_30default_config_static_selectorELNS0_4arch9wavefront6targetE1EEEvT1_
; %bb.0:
	.section	.rodata,"a",@progbits
	.p2align	6, 0x0
	.amdhsa_kernel _ZN7rocprim17ROCPRIM_400000_NS6detail17trampoline_kernelINS0_14default_configENS1_27scan_by_key_config_selectorIifEEZZNS1_16scan_by_key_implILNS1_25lookback_scan_determinismE0ELb1ES3_N6thrust23THRUST_200600_302600_NS6detail15normal_iteratorINS9_10device_ptrIiEEEENSB_INSC_IfEEEESG_fNS9_4plusIvEENS9_8equal_toIvEEfEE10hipError_tPvRmT2_T3_T4_T5_mT6_T7_P12ihipStream_tbENKUlT_T0_E_clISt17integral_constantIbLb1EES11_EEDaSW_SX_EUlSW_E_NS1_11comp_targetILNS1_3genE3ELNS1_11target_archE908ELNS1_3gpuE7ELNS1_3repE0EEENS1_30default_config_static_selectorELNS0_4arch9wavefront6targetE1EEEvT1_
		.amdhsa_group_segment_fixed_size 0
		.amdhsa_private_segment_fixed_size 0
		.amdhsa_kernarg_size 112
		.amdhsa_user_sgpr_count 6
		.amdhsa_user_sgpr_private_segment_buffer 1
		.amdhsa_user_sgpr_dispatch_ptr 0
		.amdhsa_user_sgpr_queue_ptr 0
		.amdhsa_user_sgpr_kernarg_segment_ptr 1
		.amdhsa_user_sgpr_dispatch_id 0
		.amdhsa_user_sgpr_flat_scratch_init 0
		.amdhsa_user_sgpr_kernarg_preload_length 0
		.amdhsa_user_sgpr_kernarg_preload_offset 0
		.amdhsa_user_sgpr_private_segment_size 0
		.amdhsa_uses_dynamic_stack 0
		.amdhsa_system_sgpr_private_segment_wavefront_offset 0
		.amdhsa_system_sgpr_workgroup_id_x 1
		.amdhsa_system_sgpr_workgroup_id_y 0
		.amdhsa_system_sgpr_workgroup_id_z 0
		.amdhsa_system_sgpr_workgroup_info 0
		.amdhsa_system_vgpr_workitem_id 0
		.amdhsa_next_free_vgpr 1
		.amdhsa_next_free_sgpr 0
		.amdhsa_accum_offset 4
		.amdhsa_reserve_vcc 0
		.amdhsa_reserve_flat_scratch 0
		.amdhsa_float_round_mode_32 0
		.amdhsa_float_round_mode_16_64 0
		.amdhsa_float_denorm_mode_32 3
		.amdhsa_float_denorm_mode_16_64 3
		.amdhsa_dx10_clamp 1
		.amdhsa_ieee_mode 1
		.amdhsa_fp16_overflow 0
		.amdhsa_tg_split 0
		.amdhsa_exception_fp_ieee_invalid_op 0
		.amdhsa_exception_fp_denorm_src 0
		.amdhsa_exception_fp_ieee_div_zero 0
		.amdhsa_exception_fp_ieee_overflow 0
		.amdhsa_exception_fp_ieee_underflow 0
		.amdhsa_exception_fp_ieee_inexact 0
		.amdhsa_exception_int_div_zero 0
	.end_amdhsa_kernel
	.section	.text._ZN7rocprim17ROCPRIM_400000_NS6detail17trampoline_kernelINS0_14default_configENS1_27scan_by_key_config_selectorIifEEZZNS1_16scan_by_key_implILNS1_25lookback_scan_determinismE0ELb1ES3_N6thrust23THRUST_200600_302600_NS6detail15normal_iteratorINS9_10device_ptrIiEEEENSB_INSC_IfEEEESG_fNS9_4plusIvEENS9_8equal_toIvEEfEE10hipError_tPvRmT2_T3_T4_T5_mT6_T7_P12ihipStream_tbENKUlT_T0_E_clISt17integral_constantIbLb1EES11_EEDaSW_SX_EUlSW_E_NS1_11comp_targetILNS1_3genE3ELNS1_11target_archE908ELNS1_3gpuE7ELNS1_3repE0EEENS1_30default_config_static_selectorELNS0_4arch9wavefront6targetE1EEEvT1_,"axG",@progbits,_ZN7rocprim17ROCPRIM_400000_NS6detail17trampoline_kernelINS0_14default_configENS1_27scan_by_key_config_selectorIifEEZZNS1_16scan_by_key_implILNS1_25lookback_scan_determinismE0ELb1ES3_N6thrust23THRUST_200600_302600_NS6detail15normal_iteratorINS9_10device_ptrIiEEEENSB_INSC_IfEEEESG_fNS9_4plusIvEENS9_8equal_toIvEEfEE10hipError_tPvRmT2_T3_T4_T5_mT6_T7_P12ihipStream_tbENKUlT_T0_E_clISt17integral_constantIbLb1EES11_EEDaSW_SX_EUlSW_E_NS1_11comp_targetILNS1_3genE3ELNS1_11target_archE908ELNS1_3gpuE7ELNS1_3repE0EEENS1_30default_config_static_selectorELNS0_4arch9wavefront6targetE1EEEvT1_,comdat
.Lfunc_end1440:
	.size	_ZN7rocprim17ROCPRIM_400000_NS6detail17trampoline_kernelINS0_14default_configENS1_27scan_by_key_config_selectorIifEEZZNS1_16scan_by_key_implILNS1_25lookback_scan_determinismE0ELb1ES3_N6thrust23THRUST_200600_302600_NS6detail15normal_iteratorINS9_10device_ptrIiEEEENSB_INSC_IfEEEESG_fNS9_4plusIvEENS9_8equal_toIvEEfEE10hipError_tPvRmT2_T3_T4_T5_mT6_T7_P12ihipStream_tbENKUlT_T0_E_clISt17integral_constantIbLb1EES11_EEDaSW_SX_EUlSW_E_NS1_11comp_targetILNS1_3genE3ELNS1_11target_archE908ELNS1_3gpuE7ELNS1_3repE0EEENS1_30default_config_static_selectorELNS0_4arch9wavefront6targetE1EEEvT1_, .Lfunc_end1440-_ZN7rocprim17ROCPRIM_400000_NS6detail17trampoline_kernelINS0_14default_configENS1_27scan_by_key_config_selectorIifEEZZNS1_16scan_by_key_implILNS1_25lookback_scan_determinismE0ELb1ES3_N6thrust23THRUST_200600_302600_NS6detail15normal_iteratorINS9_10device_ptrIiEEEENSB_INSC_IfEEEESG_fNS9_4plusIvEENS9_8equal_toIvEEfEE10hipError_tPvRmT2_T3_T4_T5_mT6_T7_P12ihipStream_tbENKUlT_T0_E_clISt17integral_constantIbLb1EES11_EEDaSW_SX_EUlSW_E_NS1_11comp_targetILNS1_3genE3ELNS1_11target_archE908ELNS1_3gpuE7ELNS1_3repE0EEENS1_30default_config_static_selectorELNS0_4arch9wavefront6targetE1EEEvT1_
                                        ; -- End function
	.section	.AMDGPU.csdata,"",@progbits
; Kernel info:
; codeLenInByte = 0
; NumSgprs: 4
; NumVgprs: 0
; NumAgprs: 0
; TotalNumVgprs: 0
; ScratchSize: 0
; MemoryBound: 0
; FloatMode: 240
; IeeeMode: 1
; LDSByteSize: 0 bytes/workgroup (compile time only)
; SGPRBlocks: 0
; VGPRBlocks: 0
; NumSGPRsForWavesPerEU: 4
; NumVGPRsForWavesPerEU: 1
; AccumOffset: 4
; Occupancy: 8
; WaveLimiterHint : 0
; COMPUTE_PGM_RSRC2:SCRATCH_EN: 0
; COMPUTE_PGM_RSRC2:USER_SGPR: 6
; COMPUTE_PGM_RSRC2:TRAP_HANDLER: 0
; COMPUTE_PGM_RSRC2:TGID_X_EN: 1
; COMPUTE_PGM_RSRC2:TGID_Y_EN: 0
; COMPUTE_PGM_RSRC2:TGID_Z_EN: 0
; COMPUTE_PGM_RSRC2:TIDIG_COMP_CNT: 0
; COMPUTE_PGM_RSRC3_GFX90A:ACCUM_OFFSET: 0
; COMPUTE_PGM_RSRC3_GFX90A:TG_SPLIT: 0
	.section	.text._ZN7rocprim17ROCPRIM_400000_NS6detail17trampoline_kernelINS0_14default_configENS1_27scan_by_key_config_selectorIifEEZZNS1_16scan_by_key_implILNS1_25lookback_scan_determinismE0ELb1ES3_N6thrust23THRUST_200600_302600_NS6detail15normal_iteratorINS9_10device_ptrIiEEEENSB_INSC_IfEEEESG_fNS9_4plusIvEENS9_8equal_toIvEEfEE10hipError_tPvRmT2_T3_T4_T5_mT6_T7_P12ihipStream_tbENKUlT_T0_E_clISt17integral_constantIbLb1EES11_EEDaSW_SX_EUlSW_E_NS1_11comp_targetILNS1_3genE2ELNS1_11target_archE906ELNS1_3gpuE6ELNS1_3repE0EEENS1_30default_config_static_selectorELNS0_4arch9wavefront6targetE1EEEvT1_,"axG",@progbits,_ZN7rocprim17ROCPRIM_400000_NS6detail17trampoline_kernelINS0_14default_configENS1_27scan_by_key_config_selectorIifEEZZNS1_16scan_by_key_implILNS1_25lookback_scan_determinismE0ELb1ES3_N6thrust23THRUST_200600_302600_NS6detail15normal_iteratorINS9_10device_ptrIiEEEENSB_INSC_IfEEEESG_fNS9_4plusIvEENS9_8equal_toIvEEfEE10hipError_tPvRmT2_T3_T4_T5_mT6_T7_P12ihipStream_tbENKUlT_T0_E_clISt17integral_constantIbLb1EES11_EEDaSW_SX_EUlSW_E_NS1_11comp_targetILNS1_3genE2ELNS1_11target_archE906ELNS1_3gpuE6ELNS1_3repE0EEENS1_30default_config_static_selectorELNS0_4arch9wavefront6targetE1EEEvT1_,comdat
	.protected	_ZN7rocprim17ROCPRIM_400000_NS6detail17trampoline_kernelINS0_14default_configENS1_27scan_by_key_config_selectorIifEEZZNS1_16scan_by_key_implILNS1_25lookback_scan_determinismE0ELb1ES3_N6thrust23THRUST_200600_302600_NS6detail15normal_iteratorINS9_10device_ptrIiEEEENSB_INSC_IfEEEESG_fNS9_4plusIvEENS9_8equal_toIvEEfEE10hipError_tPvRmT2_T3_T4_T5_mT6_T7_P12ihipStream_tbENKUlT_T0_E_clISt17integral_constantIbLb1EES11_EEDaSW_SX_EUlSW_E_NS1_11comp_targetILNS1_3genE2ELNS1_11target_archE906ELNS1_3gpuE6ELNS1_3repE0EEENS1_30default_config_static_selectorELNS0_4arch9wavefront6targetE1EEEvT1_ ; -- Begin function _ZN7rocprim17ROCPRIM_400000_NS6detail17trampoline_kernelINS0_14default_configENS1_27scan_by_key_config_selectorIifEEZZNS1_16scan_by_key_implILNS1_25lookback_scan_determinismE0ELb1ES3_N6thrust23THRUST_200600_302600_NS6detail15normal_iteratorINS9_10device_ptrIiEEEENSB_INSC_IfEEEESG_fNS9_4plusIvEENS9_8equal_toIvEEfEE10hipError_tPvRmT2_T3_T4_T5_mT6_T7_P12ihipStream_tbENKUlT_T0_E_clISt17integral_constantIbLb1EES11_EEDaSW_SX_EUlSW_E_NS1_11comp_targetILNS1_3genE2ELNS1_11target_archE906ELNS1_3gpuE6ELNS1_3repE0EEENS1_30default_config_static_selectorELNS0_4arch9wavefront6targetE1EEEvT1_
	.globl	_ZN7rocprim17ROCPRIM_400000_NS6detail17trampoline_kernelINS0_14default_configENS1_27scan_by_key_config_selectorIifEEZZNS1_16scan_by_key_implILNS1_25lookback_scan_determinismE0ELb1ES3_N6thrust23THRUST_200600_302600_NS6detail15normal_iteratorINS9_10device_ptrIiEEEENSB_INSC_IfEEEESG_fNS9_4plusIvEENS9_8equal_toIvEEfEE10hipError_tPvRmT2_T3_T4_T5_mT6_T7_P12ihipStream_tbENKUlT_T0_E_clISt17integral_constantIbLb1EES11_EEDaSW_SX_EUlSW_E_NS1_11comp_targetILNS1_3genE2ELNS1_11target_archE906ELNS1_3gpuE6ELNS1_3repE0EEENS1_30default_config_static_selectorELNS0_4arch9wavefront6targetE1EEEvT1_
	.p2align	8
	.type	_ZN7rocprim17ROCPRIM_400000_NS6detail17trampoline_kernelINS0_14default_configENS1_27scan_by_key_config_selectorIifEEZZNS1_16scan_by_key_implILNS1_25lookback_scan_determinismE0ELb1ES3_N6thrust23THRUST_200600_302600_NS6detail15normal_iteratorINS9_10device_ptrIiEEEENSB_INSC_IfEEEESG_fNS9_4plusIvEENS9_8equal_toIvEEfEE10hipError_tPvRmT2_T3_T4_T5_mT6_T7_P12ihipStream_tbENKUlT_T0_E_clISt17integral_constantIbLb1EES11_EEDaSW_SX_EUlSW_E_NS1_11comp_targetILNS1_3genE2ELNS1_11target_archE906ELNS1_3gpuE6ELNS1_3repE0EEENS1_30default_config_static_selectorELNS0_4arch9wavefront6targetE1EEEvT1_,@function
_ZN7rocprim17ROCPRIM_400000_NS6detail17trampoline_kernelINS0_14default_configENS1_27scan_by_key_config_selectorIifEEZZNS1_16scan_by_key_implILNS1_25lookback_scan_determinismE0ELb1ES3_N6thrust23THRUST_200600_302600_NS6detail15normal_iteratorINS9_10device_ptrIiEEEENSB_INSC_IfEEEESG_fNS9_4plusIvEENS9_8equal_toIvEEfEE10hipError_tPvRmT2_T3_T4_T5_mT6_T7_P12ihipStream_tbENKUlT_T0_E_clISt17integral_constantIbLb1EES11_EEDaSW_SX_EUlSW_E_NS1_11comp_targetILNS1_3genE2ELNS1_11target_archE906ELNS1_3gpuE6ELNS1_3repE0EEENS1_30default_config_static_selectorELNS0_4arch9wavefront6targetE1EEEvT1_: ; @_ZN7rocprim17ROCPRIM_400000_NS6detail17trampoline_kernelINS0_14default_configENS1_27scan_by_key_config_selectorIifEEZZNS1_16scan_by_key_implILNS1_25lookback_scan_determinismE0ELb1ES3_N6thrust23THRUST_200600_302600_NS6detail15normal_iteratorINS9_10device_ptrIiEEEENSB_INSC_IfEEEESG_fNS9_4plusIvEENS9_8equal_toIvEEfEE10hipError_tPvRmT2_T3_T4_T5_mT6_T7_P12ihipStream_tbENKUlT_T0_E_clISt17integral_constantIbLb1EES11_EEDaSW_SX_EUlSW_E_NS1_11comp_targetILNS1_3genE2ELNS1_11target_archE906ELNS1_3gpuE6ELNS1_3repE0EEENS1_30default_config_static_selectorELNS0_4arch9wavefront6targetE1EEEvT1_
; %bb.0:
	.section	.rodata,"a",@progbits
	.p2align	6, 0x0
	.amdhsa_kernel _ZN7rocprim17ROCPRIM_400000_NS6detail17trampoline_kernelINS0_14default_configENS1_27scan_by_key_config_selectorIifEEZZNS1_16scan_by_key_implILNS1_25lookback_scan_determinismE0ELb1ES3_N6thrust23THRUST_200600_302600_NS6detail15normal_iteratorINS9_10device_ptrIiEEEENSB_INSC_IfEEEESG_fNS9_4plusIvEENS9_8equal_toIvEEfEE10hipError_tPvRmT2_T3_T4_T5_mT6_T7_P12ihipStream_tbENKUlT_T0_E_clISt17integral_constantIbLb1EES11_EEDaSW_SX_EUlSW_E_NS1_11comp_targetILNS1_3genE2ELNS1_11target_archE906ELNS1_3gpuE6ELNS1_3repE0EEENS1_30default_config_static_selectorELNS0_4arch9wavefront6targetE1EEEvT1_
		.amdhsa_group_segment_fixed_size 0
		.amdhsa_private_segment_fixed_size 0
		.amdhsa_kernarg_size 112
		.amdhsa_user_sgpr_count 6
		.amdhsa_user_sgpr_private_segment_buffer 1
		.amdhsa_user_sgpr_dispatch_ptr 0
		.amdhsa_user_sgpr_queue_ptr 0
		.amdhsa_user_sgpr_kernarg_segment_ptr 1
		.amdhsa_user_sgpr_dispatch_id 0
		.amdhsa_user_sgpr_flat_scratch_init 0
		.amdhsa_user_sgpr_kernarg_preload_length 0
		.amdhsa_user_sgpr_kernarg_preload_offset 0
		.amdhsa_user_sgpr_private_segment_size 0
		.amdhsa_uses_dynamic_stack 0
		.amdhsa_system_sgpr_private_segment_wavefront_offset 0
		.amdhsa_system_sgpr_workgroup_id_x 1
		.amdhsa_system_sgpr_workgroup_id_y 0
		.amdhsa_system_sgpr_workgroup_id_z 0
		.amdhsa_system_sgpr_workgroup_info 0
		.amdhsa_system_vgpr_workitem_id 0
		.amdhsa_next_free_vgpr 1
		.amdhsa_next_free_sgpr 0
		.amdhsa_accum_offset 4
		.amdhsa_reserve_vcc 0
		.amdhsa_reserve_flat_scratch 0
		.amdhsa_float_round_mode_32 0
		.amdhsa_float_round_mode_16_64 0
		.amdhsa_float_denorm_mode_32 3
		.amdhsa_float_denorm_mode_16_64 3
		.amdhsa_dx10_clamp 1
		.amdhsa_ieee_mode 1
		.amdhsa_fp16_overflow 0
		.amdhsa_tg_split 0
		.amdhsa_exception_fp_ieee_invalid_op 0
		.amdhsa_exception_fp_denorm_src 0
		.amdhsa_exception_fp_ieee_div_zero 0
		.amdhsa_exception_fp_ieee_overflow 0
		.amdhsa_exception_fp_ieee_underflow 0
		.amdhsa_exception_fp_ieee_inexact 0
		.amdhsa_exception_int_div_zero 0
	.end_amdhsa_kernel
	.section	.text._ZN7rocprim17ROCPRIM_400000_NS6detail17trampoline_kernelINS0_14default_configENS1_27scan_by_key_config_selectorIifEEZZNS1_16scan_by_key_implILNS1_25lookback_scan_determinismE0ELb1ES3_N6thrust23THRUST_200600_302600_NS6detail15normal_iteratorINS9_10device_ptrIiEEEENSB_INSC_IfEEEESG_fNS9_4plusIvEENS9_8equal_toIvEEfEE10hipError_tPvRmT2_T3_T4_T5_mT6_T7_P12ihipStream_tbENKUlT_T0_E_clISt17integral_constantIbLb1EES11_EEDaSW_SX_EUlSW_E_NS1_11comp_targetILNS1_3genE2ELNS1_11target_archE906ELNS1_3gpuE6ELNS1_3repE0EEENS1_30default_config_static_selectorELNS0_4arch9wavefront6targetE1EEEvT1_,"axG",@progbits,_ZN7rocprim17ROCPRIM_400000_NS6detail17trampoline_kernelINS0_14default_configENS1_27scan_by_key_config_selectorIifEEZZNS1_16scan_by_key_implILNS1_25lookback_scan_determinismE0ELb1ES3_N6thrust23THRUST_200600_302600_NS6detail15normal_iteratorINS9_10device_ptrIiEEEENSB_INSC_IfEEEESG_fNS9_4plusIvEENS9_8equal_toIvEEfEE10hipError_tPvRmT2_T3_T4_T5_mT6_T7_P12ihipStream_tbENKUlT_T0_E_clISt17integral_constantIbLb1EES11_EEDaSW_SX_EUlSW_E_NS1_11comp_targetILNS1_3genE2ELNS1_11target_archE906ELNS1_3gpuE6ELNS1_3repE0EEENS1_30default_config_static_selectorELNS0_4arch9wavefront6targetE1EEEvT1_,comdat
.Lfunc_end1441:
	.size	_ZN7rocprim17ROCPRIM_400000_NS6detail17trampoline_kernelINS0_14default_configENS1_27scan_by_key_config_selectorIifEEZZNS1_16scan_by_key_implILNS1_25lookback_scan_determinismE0ELb1ES3_N6thrust23THRUST_200600_302600_NS6detail15normal_iteratorINS9_10device_ptrIiEEEENSB_INSC_IfEEEESG_fNS9_4plusIvEENS9_8equal_toIvEEfEE10hipError_tPvRmT2_T3_T4_T5_mT6_T7_P12ihipStream_tbENKUlT_T0_E_clISt17integral_constantIbLb1EES11_EEDaSW_SX_EUlSW_E_NS1_11comp_targetILNS1_3genE2ELNS1_11target_archE906ELNS1_3gpuE6ELNS1_3repE0EEENS1_30default_config_static_selectorELNS0_4arch9wavefront6targetE1EEEvT1_, .Lfunc_end1441-_ZN7rocprim17ROCPRIM_400000_NS6detail17trampoline_kernelINS0_14default_configENS1_27scan_by_key_config_selectorIifEEZZNS1_16scan_by_key_implILNS1_25lookback_scan_determinismE0ELb1ES3_N6thrust23THRUST_200600_302600_NS6detail15normal_iteratorINS9_10device_ptrIiEEEENSB_INSC_IfEEEESG_fNS9_4plusIvEENS9_8equal_toIvEEfEE10hipError_tPvRmT2_T3_T4_T5_mT6_T7_P12ihipStream_tbENKUlT_T0_E_clISt17integral_constantIbLb1EES11_EEDaSW_SX_EUlSW_E_NS1_11comp_targetILNS1_3genE2ELNS1_11target_archE906ELNS1_3gpuE6ELNS1_3repE0EEENS1_30default_config_static_selectorELNS0_4arch9wavefront6targetE1EEEvT1_
                                        ; -- End function
	.section	.AMDGPU.csdata,"",@progbits
; Kernel info:
; codeLenInByte = 0
; NumSgprs: 4
; NumVgprs: 0
; NumAgprs: 0
; TotalNumVgprs: 0
; ScratchSize: 0
; MemoryBound: 0
; FloatMode: 240
; IeeeMode: 1
; LDSByteSize: 0 bytes/workgroup (compile time only)
; SGPRBlocks: 0
; VGPRBlocks: 0
; NumSGPRsForWavesPerEU: 4
; NumVGPRsForWavesPerEU: 1
; AccumOffset: 4
; Occupancy: 8
; WaveLimiterHint : 0
; COMPUTE_PGM_RSRC2:SCRATCH_EN: 0
; COMPUTE_PGM_RSRC2:USER_SGPR: 6
; COMPUTE_PGM_RSRC2:TRAP_HANDLER: 0
; COMPUTE_PGM_RSRC2:TGID_X_EN: 1
; COMPUTE_PGM_RSRC2:TGID_Y_EN: 0
; COMPUTE_PGM_RSRC2:TGID_Z_EN: 0
; COMPUTE_PGM_RSRC2:TIDIG_COMP_CNT: 0
; COMPUTE_PGM_RSRC3_GFX90A:ACCUM_OFFSET: 0
; COMPUTE_PGM_RSRC3_GFX90A:TG_SPLIT: 0
	.section	.text._ZN7rocprim17ROCPRIM_400000_NS6detail17trampoline_kernelINS0_14default_configENS1_27scan_by_key_config_selectorIifEEZZNS1_16scan_by_key_implILNS1_25lookback_scan_determinismE0ELb1ES3_N6thrust23THRUST_200600_302600_NS6detail15normal_iteratorINS9_10device_ptrIiEEEENSB_INSC_IfEEEESG_fNS9_4plusIvEENS9_8equal_toIvEEfEE10hipError_tPvRmT2_T3_T4_T5_mT6_T7_P12ihipStream_tbENKUlT_T0_E_clISt17integral_constantIbLb1EES11_EEDaSW_SX_EUlSW_E_NS1_11comp_targetILNS1_3genE10ELNS1_11target_archE1200ELNS1_3gpuE4ELNS1_3repE0EEENS1_30default_config_static_selectorELNS0_4arch9wavefront6targetE1EEEvT1_,"axG",@progbits,_ZN7rocprim17ROCPRIM_400000_NS6detail17trampoline_kernelINS0_14default_configENS1_27scan_by_key_config_selectorIifEEZZNS1_16scan_by_key_implILNS1_25lookback_scan_determinismE0ELb1ES3_N6thrust23THRUST_200600_302600_NS6detail15normal_iteratorINS9_10device_ptrIiEEEENSB_INSC_IfEEEESG_fNS9_4plusIvEENS9_8equal_toIvEEfEE10hipError_tPvRmT2_T3_T4_T5_mT6_T7_P12ihipStream_tbENKUlT_T0_E_clISt17integral_constantIbLb1EES11_EEDaSW_SX_EUlSW_E_NS1_11comp_targetILNS1_3genE10ELNS1_11target_archE1200ELNS1_3gpuE4ELNS1_3repE0EEENS1_30default_config_static_selectorELNS0_4arch9wavefront6targetE1EEEvT1_,comdat
	.protected	_ZN7rocprim17ROCPRIM_400000_NS6detail17trampoline_kernelINS0_14default_configENS1_27scan_by_key_config_selectorIifEEZZNS1_16scan_by_key_implILNS1_25lookback_scan_determinismE0ELb1ES3_N6thrust23THRUST_200600_302600_NS6detail15normal_iteratorINS9_10device_ptrIiEEEENSB_INSC_IfEEEESG_fNS9_4plusIvEENS9_8equal_toIvEEfEE10hipError_tPvRmT2_T3_T4_T5_mT6_T7_P12ihipStream_tbENKUlT_T0_E_clISt17integral_constantIbLb1EES11_EEDaSW_SX_EUlSW_E_NS1_11comp_targetILNS1_3genE10ELNS1_11target_archE1200ELNS1_3gpuE4ELNS1_3repE0EEENS1_30default_config_static_selectorELNS0_4arch9wavefront6targetE1EEEvT1_ ; -- Begin function _ZN7rocprim17ROCPRIM_400000_NS6detail17trampoline_kernelINS0_14default_configENS1_27scan_by_key_config_selectorIifEEZZNS1_16scan_by_key_implILNS1_25lookback_scan_determinismE0ELb1ES3_N6thrust23THRUST_200600_302600_NS6detail15normal_iteratorINS9_10device_ptrIiEEEENSB_INSC_IfEEEESG_fNS9_4plusIvEENS9_8equal_toIvEEfEE10hipError_tPvRmT2_T3_T4_T5_mT6_T7_P12ihipStream_tbENKUlT_T0_E_clISt17integral_constantIbLb1EES11_EEDaSW_SX_EUlSW_E_NS1_11comp_targetILNS1_3genE10ELNS1_11target_archE1200ELNS1_3gpuE4ELNS1_3repE0EEENS1_30default_config_static_selectorELNS0_4arch9wavefront6targetE1EEEvT1_
	.globl	_ZN7rocprim17ROCPRIM_400000_NS6detail17trampoline_kernelINS0_14default_configENS1_27scan_by_key_config_selectorIifEEZZNS1_16scan_by_key_implILNS1_25lookback_scan_determinismE0ELb1ES3_N6thrust23THRUST_200600_302600_NS6detail15normal_iteratorINS9_10device_ptrIiEEEENSB_INSC_IfEEEESG_fNS9_4plusIvEENS9_8equal_toIvEEfEE10hipError_tPvRmT2_T3_T4_T5_mT6_T7_P12ihipStream_tbENKUlT_T0_E_clISt17integral_constantIbLb1EES11_EEDaSW_SX_EUlSW_E_NS1_11comp_targetILNS1_3genE10ELNS1_11target_archE1200ELNS1_3gpuE4ELNS1_3repE0EEENS1_30default_config_static_selectorELNS0_4arch9wavefront6targetE1EEEvT1_
	.p2align	8
	.type	_ZN7rocprim17ROCPRIM_400000_NS6detail17trampoline_kernelINS0_14default_configENS1_27scan_by_key_config_selectorIifEEZZNS1_16scan_by_key_implILNS1_25lookback_scan_determinismE0ELb1ES3_N6thrust23THRUST_200600_302600_NS6detail15normal_iteratorINS9_10device_ptrIiEEEENSB_INSC_IfEEEESG_fNS9_4plusIvEENS9_8equal_toIvEEfEE10hipError_tPvRmT2_T3_T4_T5_mT6_T7_P12ihipStream_tbENKUlT_T0_E_clISt17integral_constantIbLb1EES11_EEDaSW_SX_EUlSW_E_NS1_11comp_targetILNS1_3genE10ELNS1_11target_archE1200ELNS1_3gpuE4ELNS1_3repE0EEENS1_30default_config_static_selectorELNS0_4arch9wavefront6targetE1EEEvT1_,@function
_ZN7rocprim17ROCPRIM_400000_NS6detail17trampoline_kernelINS0_14default_configENS1_27scan_by_key_config_selectorIifEEZZNS1_16scan_by_key_implILNS1_25lookback_scan_determinismE0ELb1ES3_N6thrust23THRUST_200600_302600_NS6detail15normal_iteratorINS9_10device_ptrIiEEEENSB_INSC_IfEEEESG_fNS9_4plusIvEENS9_8equal_toIvEEfEE10hipError_tPvRmT2_T3_T4_T5_mT6_T7_P12ihipStream_tbENKUlT_T0_E_clISt17integral_constantIbLb1EES11_EEDaSW_SX_EUlSW_E_NS1_11comp_targetILNS1_3genE10ELNS1_11target_archE1200ELNS1_3gpuE4ELNS1_3repE0EEENS1_30default_config_static_selectorELNS0_4arch9wavefront6targetE1EEEvT1_: ; @_ZN7rocprim17ROCPRIM_400000_NS6detail17trampoline_kernelINS0_14default_configENS1_27scan_by_key_config_selectorIifEEZZNS1_16scan_by_key_implILNS1_25lookback_scan_determinismE0ELb1ES3_N6thrust23THRUST_200600_302600_NS6detail15normal_iteratorINS9_10device_ptrIiEEEENSB_INSC_IfEEEESG_fNS9_4plusIvEENS9_8equal_toIvEEfEE10hipError_tPvRmT2_T3_T4_T5_mT6_T7_P12ihipStream_tbENKUlT_T0_E_clISt17integral_constantIbLb1EES11_EEDaSW_SX_EUlSW_E_NS1_11comp_targetILNS1_3genE10ELNS1_11target_archE1200ELNS1_3gpuE4ELNS1_3repE0EEENS1_30default_config_static_selectorELNS0_4arch9wavefront6targetE1EEEvT1_
; %bb.0:
	.section	.rodata,"a",@progbits
	.p2align	6, 0x0
	.amdhsa_kernel _ZN7rocprim17ROCPRIM_400000_NS6detail17trampoline_kernelINS0_14default_configENS1_27scan_by_key_config_selectorIifEEZZNS1_16scan_by_key_implILNS1_25lookback_scan_determinismE0ELb1ES3_N6thrust23THRUST_200600_302600_NS6detail15normal_iteratorINS9_10device_ptrIiEEEENSB_INSC_IfEEEESG_fNS9_4plusIvEENS9_8equal_toIvEEfEE10hipError_tPvRmT2_T3_T4_T5_mT6_T7_P12ihipStream_tbENKUlT_T0_E_clISt17integral_constantIbLb1EES11_EEDaSW_SX_EUlSW_E_NS1_11comp_targetILNS1_3genE10ELNS1_11target_archE1200ELNS1_3gpuE4ELNS1_3repE0EEENS1_30default_config_static_selectorELNS0_4arch9wavefront6targetE1EEEvT1_
		.amdhsa_group_segment_fixed_size 0
		.amdhsa_private_segment_fixed_size 0
		.amdhsa_kernarg_size 112
		.amdhsa_user_sgpr_count 6
		.amdhsa_user_sgpr_private_segment_buffer 1
		.amdhsa_user_sgpr_dispatch_ptr 0
		.amdhsa_user_sgpr_queue_ptr 0
		.amdhsa_user_sgpr_kernarg_segment_ptr 1
		.amdhsa_user_sgpr_dispatch_id 0
		.amdhsa_user_sgpr_flat_scratch_init 0
		.amdhsa_user_sgpr_kernarg_preload_length 0
		.amdhsa_user_sgpr_kernarg_preload_offset 0
		.amdhsa_user_sgpr_private_segment_size 0
		.amdhsa_uses_dynamic_stack 0
		.amdhsa_system_sgpr_private_segment_wavefront_offset 0
		.amdhsa_system_sgpr_workgroup_id_x 1
		.amdhsa_system_sgpr_workgroup_id_y 0
		.amdhsa_system_sgpr_workgroup_id_z 0
		.amdhsa_system_sgpr_workgroup_info 0
		.amdhsa_system_vgpr_workitem_id 0
		.amdhsa_next_free_vgpr 1
		.amdhsa_next_free_sgpr 0
		.amdhsa_accum_offset 4
		.amdhsa_reserve_vcc 0
		.amdhsa_reserve_flat_scratch 0
		.amdhsa_float_round_mode_32 0
		.amdhsa_float_round_mode_16_64 0
		.amdhsa_float_denorm_mode_32 3
		.amdhsa_float_denorm_mode_16_64 3
		.amdhsa_dx10_clamp 1
		.amdhsa_ieee_mode 1
		.amdhsa_fp16_overflow 0
		.amdhsa_tg_split 0
		.amdhsa_exception_fp_ieee_invalid_op 0
		.amdhsa_exception_fp_denorm_src 0
		.amdhsa_exception_fp_ieee_div_zero 0
		.amdhsa_exception_fp_ieee_overflow 0
		.amdhsa_exception_fp_ieee_underflow 0
		.amdhsa_exception_fp_ieee_inexact 0
		.amdhsa_exception_int_div_zero 0
	.end_amdhsa_kernel
	.section	.text._ZN7rocprim17ROCPRIM_400000_NS6detail17trampoline_kernelINS0_14default_configENS1_27scan_by_key_config_selectorIifEEZZNS1_16scan_by_key_implILNS1_25lookback_scan_determinismE0ELb1ES3_N6thrust23THRUST_200600_302600_NS6detail15normal_iteratorINS9_10device_ptrIiEEEENSB_INSC_IfEEEESG_fNS9_4plusIvEENS9_8equal_toIvEEfEE10hipError_tPvRmT2_T3_T4_T5_mT6_T7_P12ihipStream_tbENKUlT_T0_E_clISt17integral_constantIbLb1EES11_EEDaSW_SX_EUlSW_E_NS1_11comp_targetILNS1_3genE10ELNS1_11target_archE1200ELNS1_3gpuE4ELNS1_3repE0EEENS1_30default_config_static_selectorELNS0_4arch9wavefront6targetE1EEEvT1_,"axG",@progbits,_ZN7rocprim17ROCPRIM_400000_NS6detail17trampoline_kernelINS0_14default_configENS1_27scan_by_key_config_selectorIifEEZZNS1_16scan_by_key_implILNS1_25lookback_scan_determinismE0ELb1ES3_N6thrust23THRUST_200600_302600_NS6detail15normal_iteratorINS9_10device_ptrIiEEEENSB_INSC_IfEEEESG_fNS9_4plusIvEENS9_8equal_toIvEEfEE10hipError_tPvRmT2_T3_T4_T5_mT6_T7_P12ihipStream_tbENKUlT_T0_E_clISt17integral_constantIbLb1EES11_EEDaSW_SX_EUlSW_E_NS1_11comp_targetILNS1_3genE10ELNS1_11target_archE1200ELNS1_3gpuE4ELNS1_3repE0EEENS1_30default_config_static_selectorELNS0_4arch9wavefront6targetE1EEEvT1_,comdat
.Lfunc_end1442:
	.size	_ZN7rocprim17ROCPRIM_400000_NS6detail17trampoline_kernelINS0_14default_configENS1_27scan_by_key_config_selectorIifEEZZNS1_16scan_by_key_implILNS1_25lookback_scan_determinismE0ELb1ES3_N6thrust23THRUST_200600_302600_NS6detail15normal_iteratorINS9_10device_ptrIiEEEENSB_INSC_IfEEEESG_fNS9_4plusIvEENS9_8equal_toIvEEfEE10hipError_tPvRmT2_T3_T4_T5_mT6_T7_P12ihipStream_tbENKUlT_T0_E_clISt17integral_constantIbLb1EES11_EEDaSW_SX_EUlSW_E_NS1_11comp_targetILNS1_3genE10ELNS1_11target_archE1200ELNS1_3gpuE4ELNS1_3repE0EEENS1_30default_config_static_selectorELNS0_4arch9wavefront6targetE1EEEvT1_, .Lfunc_end1442-_ZN7rocprim17ROCPRIM_400000_NS6detail17trampoline_kernelINS0_14default_configENS1_27scan_by_key_config_selectorIifEEZZNS1_16scan_by_key_implILNS1_25lookback_scan_determinismE0ELb1ES3_N6thrust23THRUST_200600_302600_NS6detail15normal_iteratorINS9_10device_ptrIiEEEENSB_INSC_IfEEEESG_fNS9_4plusIvEENS9_8equal_toIvEEfEE10hipError_tPvRmT2_T3_T4_T5_mT6_T7_P12ihipStream_tbENKUlT_T0_E_clISt17integral_constantIbLb1EES11_EEDaSW_SX_EUlSW_E_NS1_11comp_targetILNS1_3genE10ELNS1_11target_archE1200ELNS1_3gpuE4ELNS1_3repE0EEENS1_30default_config_static_selectorELNS0_4arch9wavefront6targetE1EEEvT1_
                                        ; -- End function
	.section	.AMDGPU.csdata,"",@progbits
; Kernel info:
; codeLenInByte = 0
; NumSgprs: 4
; NumVgprs: 0
; NumAgprs: 0
; TotalNumVgprs: 0
; ScratchSize: 0
; MemoryBound: 0
; FloatMode: 240
; IeeeMode: 1
; LDSByteSize: 0 bytes/workgroup (compile time only)
; SGPRBlocks: 0
; VGPRBlocks: 0
; NumSGPRsForWavesPerEU: 4
; NumVGPRsForWavesPerEU: 1
; AccumOffset: 4
; Occupancy: 8
; WaveLimiterHint : 0
; COMPUTE_PGM_RSRC2:SCRATCH_EN: 0
; COMPUTE_PGM_RSRC2:USER_SGPR: 6
; COMPUTE_PGM_RSRC2:TRAP_HANDLER: 0
; COMPUTE_PGM_RSRC2:TGID_X_EN: 1
; COMPUTE_PGM_RSRC2:TGID_Y_EN: 0
; COMPUTE_PGM_RSRC2:TGID_Z_EN: 0
; COMPUTE_PGM_RSRC2:TIDIG_COMP_CNT: 0
; COMPUTE_PGM_RSRC3_GFX90A:ACCUM_OFFSET: 0
; COMPUTE_PGM_RSRC3_GFX90A:TG_SPLIT: 0
	.section	.text._ZN7rocprim17ROCPRIM_400000_NS6detail17trampoline_kernelINS0_14default_configENS1_27scan_by_key_config_selectorIifEEZZNS1_16scan_by_key_implILNS1_25lookback_scan_determinismE0ELb1ES3_N6thrust23THRUST_200600_302600_NS6detail15normal_iteratorINS9_10device_ptrIiEEEENSB_INSC_IfEEEESG_fNS9_4plusIvEENS9_8equal_toIvEEfEE10hipError_tPvRmT2_T3_T4_T5_mT6_T7_P12ihipStream_tbENKUlT_T0_E_clISt17integral_constantIbLb1EES11_EEDaSW_SX_EUlSW_E_NS1_11comp_targetILNS1_3genE9ELNS1_11target_archE1100ELNS1_3gpuE3ELNS1_3repE0EEENS1_30default_config_static_selectorELNS0_4arch9wavefront6targetE1EEEvT1_,"axG",@progbits,_ZN7rocprim17ROCPRIM_400000_NS6detail17trampoline_kernelINS0_14default_configENS1_27scan_by_key_config_selectorIifEEZZNS1_16scan_by_key_implILNS1_25lookback_scan_determinismE0ELb1ES3_N6thrust23THRUST_200600_302600_NS6detail15normal_iteratorINS9_10device_ptrIiEEEENSB_INSC_IfEEEESG_fNS9_4plusIvEENS9_8equal_toIvEEfEE10hipError_tPvRmT2_T3_T4_T5_mT6_T7_P12ihipStream_tbENKUlT_T0_E_clISt17integral_constantIbLb1EES11_EEDaSW_SX_EUlSW_E_NS1_11comp_targetILNS1_3genE9ELNS1_11target_archE1100ELNS1_3gpuE3ELNS1_3repE0EEENS1_30default_config_static_selectorELNS0_4arch9wavefront6targetE1EEEvT1_,comdat
	.protected	_ZN7rocprim17ROCPRIM_400000_NS6detail17trampoline_kernelINS0_14default_configENS1_27scan_by_key_config_selectorIifEEZZNS1_16scan_by_key_implILNS1_25lookback_scan_determinismE0ELb1ES3_N6thrust23THRUST_200600_302600_NS6detail15normal_iteratorINS9_10device_ptrIiEEEENSB_INSC_IfEEEESG_fNS9_4plusIvEENS9_8equal_toIvEEfEE10hipError_tPvRmT2_T3_T4_T5_mT6_T7_P12ihipStream_tbENKUlT_T0_E_clISt17integral_constantIbLb1EES11_EEDaSW_SX_EUlSW_E_NS1_11comp_targetILNS1_3genE9ELNS1_11target_archE1100ELNS1_3gpuE3ELNS1_3repE0EEENS1_30default_config_static_selectorELNS0_4arch9wavefront6targetE1EEEvT1_ ; -- Begin function _ZN7rocprim17ROCPRIM_400000_NS6detail17trampoline_kernelINS0_14default_configENS1_27scan_by_key_config_selectorIifEEZZNS1_16scan_by_key_implILNS1_25lookback_scan_determinismE0ELb1ES3_N6thrust23THRUST_200600_302600_NS6detail15normal_iteratorINS9_10device_ptrIiEEEENSB_INSC_IfEEEESG_fNS9_4plusIvEENS9_8equal_toIvEEfEE10hipError_tPvRmT2_T3_T4_T5_mT6_T7_P12ihipStream_tbENKUlT_T0_E_clISt17integral_constantIbLb1EES11_EEDaSW_SX_EUlSW_E_NS1_11comp_targetILNS1_3genE9ELNS1_11target_archE1100ELNS1_3gpuE3ELNS1_3repE0EEENS1_30default_config_static_selectorELNS0_4arch9wavefront6targetE1EEEvT1_
	.globl	_ZN7rocprim17ROCPRIM_400000_NS6detail17trampoline_kernelINS0_14default_configENS1_27scan_by_key_config_selectorIifEEZZNS1_16scan_by_key_implILNS1_25lookback_scan_determinismE0ELb1ES3_N6thrust23THRUST_200600_302600_NS6detail15normal_iteratorINS9_10device_ptrIiEEEENSB_INSC_IfEEEESG_fNS9_4plusIvEENS9_8equal_toIvEEfEE10hipError_tPvRmT2_T3_T4_T5_mT6_T7_P12ihipStream_tbENKUlT_T0_E_clISt17integral_constantIbLb1EES11_EEDaSW_SX_EUlSW_E_NS1_11comp_targetILNS1_3genE9ELNS1_11target_archE1100ELNS1_3gpuE3ELNS1_3repE0EEENS1_30default_config_static_selectorELNS0_4arch9wavefront6targetE1EEEvT1_
	.p2align	8
	.type	_ZN7rocprim17ROCPRIM_400000_NS6detail17trampoline_kernelINS0_14default_configENS1_27scan_by_key_config_selectorIifEEZZNS1_16scan_by_key_implILNS1_25lookback_scan_determinismE0ELb1ES3_N6thrust23THRUST_200600_302600_NS6detail15normal_iteratorINS9_10device_ptrIiEEEENSB_INSC_IfEEEESG_fNS9_4plusIvEENS9_8equal_toIvEEfEE10hipError_tPvRmT2_T3_T4_T5_mT6_T7_P12ihipStream_tbENKUlT_T0_E_clISt17integral_constantIbLb1EES11_EEDaSW_SX_EUlSW_E_NS1_11comp_targetILNS1_3genE9ELNS1_11target_archE1100ELNS1_3gpuE3ELNS1_3repE0EEENS1_30default_config_static_selectorELNS0_4arch9wavefront6targetE1EEEvT1_,@function
_ZN7rocprim17ROCPRIM_400000_NS6detail17trampoline_kernelINS0_14default_configENS1_27scan_by_key_config_selectorIifEEZZNS1_16scan_by_key_implILNS1_25lookback_scan_determinismE0ELb1ES3_N6thrust23THRUST_200600_302600_NS6detail15normal_iteratorINS9_10device_ptrIiEEEENSB_INSC_IfEEEESG_fNS9_4plusIvEENS9_8equal_toIvEEfEE10hipError_tPvRmT2_T3_T4_T5_mT6_T7_P12ihipStream_tbENKUlT_T0_E_clISt17integral_constantIbLb1EES11_EEDaSW_SX_EUlSW_E_NS1_11comp_targetILNS1_3genE9ELNS1_11target_archE1100ELNS1_3gpuE3ELNS1_3repE0EEENS1_30default_config_static_selectorELNS0_4arch9wavefront6targetE1EEEvT1_: ; @_ZN7rocprim17ROCPRIM_400000_NS6detail17trampoline_kernelINS0_14default_configENS1_27scan_by_key_config_selectorIifEEZZNS1_16scan_by_key_implILNS1_25lookback_scan_determinismE0ELb1ES3_N6thrust23THRUST_200600_302600_NS6detail15normal_iteratorINS9_10device_ptrIiEEEENSB_INSC_IfEEEESG_fNS9_4plusIvEENS9_8equal_toIvEEfEE10hipError_tPvRmT2_T3_T4_T5_mT6_T7_P12ihipStream_tbENKUlT_T0_E_clISt17integral_constantIbLb1EES11_EEDaSW_SX_EUlSW_E_NS1_11comp_targetILNS1_3genE9ELNS1_11target_archE1100ELNS1_3gpuE3ELNS1_3repE0EEENS1_30default_config_static_selectorELNS0_4arch9wavefront6targetE1EEEvT1_
; %bb.0:
	.section	.rodata,"a",@progbits
	.p2align	6, 0x0
	.amdhsa_kernel _ZN7rocprim17ROCPRIM_400000_NS6detail17trampoline_kernelINS0_14default_configENS1_27scan_by_key_config_selectorIifEEZZNS1_16scan_by_key_implILNS1_25lookback_scan_determinismE0ELb1ES3_N6thrust23THRUST_200600_302600_NS6detail15normal_iteratorINS9_10device_ptrIiEEEENSB_INSC_IfEEEESG_fNS9_4plusIvEENS9_8equal_toIvEEfEE10hipError_tPvRmT2_T3_T4_T5_mT6_T7_P12ihipStream_tbENKUlT_T0_E_clISt17integral_constantIbLb1EES11_EEDaSW_SX_EUlSW_E_NS1_11comp_targetILNS1_3genE9ELNS1_11target_archE1100ELNS1_3gpuE3ELNS1_3repE0EEENS1_30default_config_static_selectorELNS0_4arch9wavefront6targetE1EEEvT1_
		.amdhsa_group_segment_fixed_size 0
		.amdhsa_private_segment_fixed_size 0
		.amdhsa_kernarg_size 112
		.amdhsa_user_sgpr_count 6
		.amdhsa_user_sgpr_private_segment_buffer 1
		.amdhsa_user_sgpr_dispatch_ptr 0
		.amdhsa_user_sgpr_queue_ptr 0
		.amdhsa_user_sgpr_kernarg_segment_ptr 1
		.amdhsa_user_sgpr_dispatch_id 0
		.amdhsa_user_sgpr_flat_scratch_init 0
		.amdhsa_user_sgpr_kernarg_preload_length 0
		.amdhsa_user_sgpr_kernarg_preload_offset 0
		.amdhsa_user_sgpr_private_segment_size 0
		.amdhsa_uses_dynamic_stack 0
		.amdhsa_system_sgpr_private_segment_wavefront_offset 0
		.amdhsa_system_sgpr_workgroup_id_x 1
		.amdhsa_system_sgpr_workgroup_id_y 0
		.amdhsa_system_sgpr_workgroup_id_z 0
		.amdhsa_system_sgpr_workgroup_info 0
		.amdhsa_system_vgpr_workitem_id 0
		.amdhsa_next_free_vgpr 1
		.amdhsa_next_free_sgpr 0
		.amdhsa_accum_offset 4
		.amdhsa_reserve_vcc 0
		.amdhsa_reserve_flat_scratch 0
		.amdhsa_float_round_mode_32 0
		.amdhsa_float_round_mode_16_64 0
		.amdhsa_float_denorm_mode_32 3
		.amdhsa_float_denorm_mode_16_64 3
		.amdhsa_dx10_clamp 1
		.amdhsa_ieee_mode 1
		.amdhsa_fp16_overflow 0
		.amdhsa_tg_split 0
		.amdhsa_exception_fp_ieee_invalid_op 0
		.amdhsa_exception_fp_denorm_src 0
		.amdhsa_exception_fp_ieee_div_zero 0
		.amdhsa_exception_fp_ieee_overflow 0
		.amdhsa_exception_fp_ieee_underflow 0
		.amdhsa_exception_fp_ieee_inexact 0
		.amdhsa_exception_int_div_zero 0
	.end_amdhsa_kernel
	.section	.text._ZN7rocprim17ROCPRIM_400000_NS6detail17trampoline_kernelINS0_14default_configENS1_27scan_by_key_config_selectorIifEEZZNS1_16scan_by_key_implILNS1_25lookback_scan_determinismE0ELb1ES3_N6thrust23THRUST_200600_302600_NS6detail15normal_iteratorINS9_10device_ptrIiEEEENSB_INSC_IfEEEESG_fNS9_4plusIvEENS9_8equal_toIvEEfEE10hipError_tPvRmT2_T3_T4_T5_mT6_T7_P12ihipStream_tbENKUlT_T0_E_clISt17integral_constantIbLb1EES11_EEDaSW_SX_EUlSW_E_NS1_11comp_targetILNS1_3genE9ELNS1_11target_archE1100ELNS1_3gpuE3ELNS1_3repE0EEENS1_30default_config_static_selectorELNS0_4arch9wavefront6targetE1EEEvT1_,"axG",@progbits,_ZN7rocprim17ROCPRIM_400000_NS6detail17trampoline_kernelINS0_14default_configENS1_27scan_by_key_config_selectorIifEEZZNS1_16scan_by_key_implILNS1_25lookback_scan_determinismE0ELb1ES3_N6thrust23THRUST_200600_302600_NS6detail15normal_iteratorINS9_10device_ptrIiEEEENSB_INSC_IfEEEESG_fNS9_4plusIvEENS9_8equal_toIvEEfEE10hipError_tPvRmT2_T3_T4_T5_mT6_T7_P12ihipStream_tbENKUlT_T0_E_clISt17integral_constantIbLb1EES11_EEDaSW_SX_EUlSW_E_NS1_11comp_targetILNS1_3genE9ELNS1_11target_archE1100ELNS1_3gpuE3ELNS1_3repE0EEENS1_30default_config_static_selectorELNS0_4arch9wavefront6targetE1EEEvT1_,comdat
.Lfunc_end1443:
	.size	_ZN7rocprim17ROCPRIM_400000_NS6detail17trampoline_kernelINS0_14default_configENS1_27scan_by_key_config_selectorIifEEZZNS1_16scan_by_key_implILNS1_25lookback_scan_determinismE0ELb1ES3_N6thrust23THRUST_200600_302600_NS6detail15normal_iteratorINS9_10device_ptrIiEEEENSB_INSC_IfEEEESG_fNS9_4plusIvEENS9_8equal_toIvEEfEE10hipError_tPvRmT2_T3_T4_T5_mT6_T7_P12ihipStream_tbENKUlT_T0_E_clISt17integral_constantIbLb1EES11_EEDaSW_SX_EUlSW_E_NS1_11comp_targetILNS1_3genE9ELNS1_11target_archE1100ELNS1_3gpuE3ELNS1_3repE0EEENS1_30default_config_static_selectorELNS0_4arch9wavefront6targetE1EEEvT1_, .Lfunc_end1443-_ZN7rocprim17ROCPRIM_400000_NS6detail17trampoline_kernelINS0_14default_configENS1_27scan_by_key_config_selectorIifEEZZNS1_16scan_by_key_implILNS1_25lookback_scan_determinismE0ELb1ES3_N6thrust23THRUST_200600_302600_NS6detail15normal_iteratorINS9_10device_ptrIiEEEENSB_INSC_IfEEEESG_fNS9_4plusIvEENS9_8equal_toIvEEfEE10hipError_tPvRmT2_T3_T4_T5_mT6_T7_P12ihipStream_tbENKUlT_T0_E_clISt17integral_constantIbLb1EES11_EEDaSW_SX_EUlSW_E_NS1_11comp_targetILNS1_3genE9ELNS1_11target_archE1100ELNS1_3gpuE3ELNS1_3repE0EEENS1_30default_config_static_selectorELNS0_4arch9wavefront6targetE1EEEvT1_
                                        ; -- End function
	.section	.AMDGPU.csdata,"",@progbits
; Kernel info:
; codeLenInByte = 0
; NumSgprs: 4
; NumVgprs: 0
; NumAgprs: 0
; TotalNumVgprs: 0
; ScratchSize: 0
; MemoryBound: 0
; FloatMode: 240
; IeeeMode: 1
; LDSByteSize: 0 bytes/workgroup (compile time only)
; SGPRBlocks: 0
; VGPRBlocks: 0
; NumSGPRsForWavesPerEU: 4
; NumVGPRsForWavesPerEU: 1
; AccumOffset: 4
; Occupancy: 8
; WaveLimiterHint : 0
; COMPUTE_PGM_RSRC2:SCRATCH_EN: 0
; COMPUTE_PGM_RSRC2:USER_SGPR: 6
; COMPUTE_PGM_RSRC2:TRAP_HANDLER: 0
; COMPUTE_PGM_RSRC2:TGID_X_EN: 1
; COMPUTE_PGM_RSRC2:TGID_Y_EN: 0
; COMPUTE_PGM_RSRC2:TGID_Z_EN: 0
; COMPUTE_PGM_RSRC2:TIDIG_COMP_CNT: 0
; COMPUTE_PGM_RSRC3_GFX90A:ACCUM_OFFSET: 0
; COMPUTE_PGM_RSRC3_GFX90A:TG_SPLIT: 0
	.section	.text._ZN7rocprim17ROCPRIM_400000_NS6detail17trampoline_kernelINS0_14default_configENS1_27scan_by_key_config_selectorIifEEZZNS1_16scan_by_key_implILNS1_25lookback_scan_determinismE0ELb1ES3_N6thrust23THRUST_200600_302600_NS6detail15normal_iteratorINS9_10device_ptrIiEEEENSB_INSC_IfEEEESG_fNS9_4plusIvEENS9_8equal_toIvEEfEE10hipError_tPvRmT2_T3_T4_T5_mT6_T7_P12ihipStream_tbENKUlT_T0_E_clISt17integral_constantIbLb1EES11_EEDaSW_SX_EUlSW_E_NS1_11comp_targetILNS1_3genE8ELNS1_11target_archE1030ELNS1_3gpuE2ELNS1_3repE0EEENS1_30default_config_static_selectorELNS0_4arch9wavefront6targetE1EEEvT1_,"axG",@progbits,_ZN7rocprim17ROCPRIM_400000_NS6detail17trampoline_kernelINS0_14default_configENS1_27scan_by_key_config_selectorIifEEZZNS1_16scan_by_key_implILNS1_25lookback_scan_determinismE0ELb1ES3_N6thrust23THRUST_200600_302600_NS6detail15normal_iteratorINS9_10device_ptrIiEEEENSB_INSC_IfEEEESG_fNS9_4plusIvEENS9_8equal_toIvEEfEE10hipError_tPvRmT2_T3_T4_T5_mT6_T7_P12ihipStream_tbENKUlT_T0_E_clISt17integral_constantIbLb1EES11_EEDaSW_SX_EUlSW_E_NS1_11comp_targetILNS1_3genE8ELNS1_11target_archE1030ELNS1_3gpuE2ELNS1_3repE0EEENS1_30default_config_static_selectorELNS0_4arch9wavefront6targetE1EEEvT1_,comdat
	.protected	_ZN7rocprim17ROCPRIM_400000_NS6detail17trampoline_kernelINS0_14default_configENS1_27scan_by_key_config_selectorIifEEZZNS1_16scan_by_key_implILNS1_25lookback_scan_determinismE0ELb1ES3_N6thrust23THRUST_200600_302600_NS6detail15normal_iteratorINS9_10device_ptrIiEEEENSB_INSC_IfEEEESG_fNS9_4plusIvEENS9_8equal_toIvEEfEE10hipError_tPvRmT2_T3_T4_T5_mT6_T7_P12ihipStream_tbENKUlT_T0_E_clISt17integral_constantIbLb1EES11_EEDaSW_SX_EUlSW_E_NS1_11comp_targetILNS1_3genE8ELNS1_11target_archE1030ELNS1_3gpuE2ELNS1_3repE0EEENS1_30default_config_static_selectorELNS0_4arch9wavefront6targetE1EEEvT1_ ; -- Begin function _ZN7rocprim17ROCPRIM_400000_NS6detail17trampoline_kernelINS0_14default_configENS1_27scan_by_key_config_selectorIifEEZZNS1_16scan_by_key_implILNS1_25lookback_scan_determinismE0ELb1ES3_N6thrust23THRUST_200600_302600_NS6detail15normal_iteratorINS9_10device_ptrIiEEEENSB_INSC_IfEEEESG_fNS9_4plusIvEENS9_8equal_toIvEEfEE10hipError_tPvRmT2_T3_T4_T5_mT6_T7_P12ihipStream_tbENKUlT_T0_E_clISt17integral_constantIbLb1EES11_EEDaSW_SX_EUlSW_E_NS1_11comp_targetILNS1_3genE8ELNS1_11target_archE1030ELNS1_3gpuE2ELNS1_3repE0EEENS1_30default_config_static_selectorELNS0_4arch9wavefront6targetE1EEEvT1_
	.globl	_ZN7rocprim17ROCPRIM_400000_NS6detail17trampoline_kernelINS0_14default_configENS1_27scan_by_key_config_selectorIifEEZZNS1_16scan_by_key_implILNS1_25lookback_scan_determinismE0ELb1ES3_N6thrust23THRUST_200600_302600_NS6detail15normal_iteratorINS9_10device_ptrIiEEEENSB_INSC_IfEEEESG_fNS9_4plusIvEENS9_8equal_toIvEEfEE10hipError_tPvRmT2_T3_T4_T5_mT6_T7_P12ihipStream_tbENKUlT_T0_E_clISt17integral_constantIbLb1EES11_EEDaSW_SX_EUlSW_E_NS1_11comp_targetILNS1_3genE8ELNS1_11target_archE1030ELNS1_3gpuE2ELNS1_3repE0EEENS1_30default_config_static_selectorELNS0_4arch9wavefront6targetE1EEEvT1_
	.p2align	8
	.type	_ZN7rocprim17ROCPRIM_400000_NS6detail17trampoline_kernelINS0_14default_configENS1_27scan_by_key_config_selectorIifEEZZNS1_16scan_by_key_implILNS1_25lookback_scan_determinismE0ELb1ES3_N6thrust23THRUST_200600_302600_NS6detail15normal_iteratorINS9_10device_ptrIiEEEENSB_INSC_IfEEEESG_fNS9_4plusIvEENS9_8equal_toIvEEfEE10hipError_tPvRmT2_T3_T4_T5_mT6_T7_P12ihipStream_tbENKUlT_T0_E_clISt17integral_constantIbLb1EES11_EEDaSW_SX_EUlSW_E_NS1_11comp_targetILNS1_3genE8ELNS1_11target_archE1030ELNS1_3gpuE2ELNS1_3repE0EEENS1_30default_config_static_selectorELNS0_4arch9wavefront6targetE1EEEvT1_,@function
_ZN7rocprim17ROCPRIM_400000_NS6detail17trampoline_kernelINS0_14default_configENS1_27scan_by_key_config_selectorIifEEZZNS1_16scan_by_key_implILNS1_25lookback_scan_determinismE0ELb1ES3_N6thrust23THRUST_200600_302600_NS6detail15normal_iteratorINS9_10device_ptrIiEEEENSB_INSC_IfEEEESG_fNS9_4plusIvEENS9_8equal_toIvEEfEE10hipError_tPvRmT2_T3_T4_T5_mT6_T7_P12ihipStream_tbENKUlT_T0_E_clISt17integral_constantIbLb1EES11_EEDaSW_SX_EUlSW_E_NS1_11comp_targetILNS1_3genE8ELNS1_11target_archE1030ELNS1_3gpuE2ELNS1_3repE0EEENS1_30default_config_static_selectorELNS0_4arch9wavefront6targetE1EEEvT1_: ; @_ZN7rocprim17ROCPRIM_400000_NS6detail17trampoline_kernelINS0_14default_configENS1_27scan_by_key_config_selectorIifEEZZNS1_16scan_by_key_implILNS1_25lookback_scan_determinismE0ELb1ES3_N6thrust23THRUST_200600_302600_NS6detail15normal_iteratorINS9_10device_ptrIiEEEENSB_INSC_IfEEEESG_fNS9_4plusIvEENS9_8equal_toIvEEfEE10hipError_tPvRmT2_T3_T4_T5_mT6_T7_P12ihipStream_tbENKUlT_T0_E_clISt17integral_constantIbLb1EES11_EEDaSW_SX_EUlSW_E_NS1_11comp_targetILNS1_3genE8ELNS1_11target_archE1030ELNS1_3gpuE2ELNS1_3repE0EEENS1_30default_config_static_selectorELNS0_4arch9wavefront6targetE1EEEvT1_
; %bb.0:
	.section	.rodata,"a",@progbits
	.p2align	6, 0x0
	.amdhsa_kernel _ZN7rocprim17ROCPRIM_400000_NS6detail17trampoline_kernelINS0_14default_configENS1_27scan_by_key_config_selectorIifEEZZNS1_16scan_by_key_implILNS1_25lookback_scan_determinismE0ELb1ES3_N6thrust23THRUST_200600_302600_NS6detail15normal_iteratorINS9_10device_ptrIiEEEENSB_INSC_IfEEEESG_fNS9_4plusIvEENS9_8equal_toIvEEfEE10hipError_tPvRmT2_T3_T4_T5_mT6_T7_P12ihipStream_tbENKUlT_T0_E_clISt17integral_constantIbLb1EES11_EEDaSW_SX_EUlSW_E_NS1_11comp_targetILNS1_3genE8ELNS1_11target_archE1030ELNS1_3gpuE2ELNS1_3repE0EEENS1_30default_config_static_selectorELNS0_4arch9wavefront6targetE1EEEvT1_
		.amdhsa_group_segment_fixed_size 0
		.amdhsa_private_segment_fixed_size 0
		.amdhsa_kernarg_size 112
		.amdhsa_user_sgpr_count 6
		.amdhsa_user_sgpr_private_segment_buffer 1
		.amdhsa_user_sgpr_dispatch_ptr 0
		.amdhsa_user_sgpr_queue_ptr 0
		.amdhsa_user_sgpr_kernarg_segment_ptr 1
		.amdhsa_user_sgpr_dispatch_id 0
		.amdhsa_user_sgpr_flat_scratch_init 0
		.amdhsa_user_sgpr_kernarg_preload_length 0
		.amdhsa_user_sgpr_kernarg_preload_offset 0
		.amdhsa_user_sgpr_private_segment_size 0
		.amdhsa_uses_dynamic_stack 0
		.amdhsa_system_sgpr_private_segment_wavefront_offset 0
		.amdhsa_system_sgpr_workgroup_id_x 1
		.amdhsa_system_sgpr_workgroup_id_y 0
		.amdhsa_system_sgpr_workgroup_id_z 0
		.amdhsa_system_sgpr_workgroup_info 0
		.amdhsa_system_vgpr_workitem_id 0
		.amdhsa_next_free_vgpr 1
		.amdhsa_next_free_sgpr 0
		.amdhsa_accum_offset 4
		.amdhsa_reserve_vcc 0
		.amdhsa_reserve_flat_scratch 0
		.amdhsa_float_round_mode_32 0
		.amdhsa_float_round_mode_16_64 0
		.amdhsa_float_denorm_mode_32 3
		.amdhsa_float_denorm_mode_16_64 3
		.amdhsa_dx10_clamp 1
		.amdhsa_ieee_mode 1
		.amdhsa_fp16_overflow 0
		.amdhsa_tg_split 0
		.amdhsa_exception_fp_ieee_invalid_op 0
		.amdhsa_exception_fp_denorm_src 0
		.amdhsa_exception_fp_ieee_div_zero 0
		.amdhsa_exception_fp_ieee_overflow 0
		.amdhsa_exception_fp_ieee_underflow 0
		.amdhsa_exception_fp_ieee_inexact 0
		.amdhsa_exception_int_div_zero 0
	.end_amdhsa_kernel
	.section	.text._ZN7rocprim17ROCPRIM_400000_NS6detail17trampoline_kernelINS0_14default_configENS1_27scan_by_key_config_selectorIifEEZZNS1_16scan_by_key_implILNS1_25lookback_scan_determinismE0ELb1ES3_N6thrust23THRUST_200600_302600_NS6detail15normal_iteratorINS9_10device_ptrIiEEEENSB_INSC_IfEEEESG_fNS9_4plusIvEENS9_8equal_toIvEEfEE10hipError_tPvRmT2_T3_T4_T5_mT6_T7_P12ihipStream_tbENKUlT_T0_E_clISt17integral_constantIbLb1EES11_EEDaSW_SX_EUlSW_E_NS1_11comp_targetILNS1_3genE8ELNS1_11target_archE1030ELNS1_3gpuE2ELNS1_3repE0EEENS1_30default_config_static_selectorELNS0_4arch9wavefront6targetE1EEEvT1_,"axG",@progbits,_ZN7rocprim17ROCPRIM_400000_NS6detail17trampoline_kernelINS0_14default_configENS1_27scan_by_key_config_selectorIifEEZZNS1_16scan_by_key_implILNS1_25lookback_scan_determinismE0ELb1ES3_N6thrust23THRUST_200600_302600_NS6detail15normal_iteratorINS9_10device_ptrIiEEEENSB_INSC_IfEEEESG_fNS9_4plusIvEENS9_8equal_toIvEEfEE10hipError_tPvRmT2_T3_T4_T5_mT6_T7_P12ihipStream_tbENKUlT_T0_E_clISt17integral_constantIbLb1EES11_EEDaSW_SX_EUlSW_E_NS1_11comp_targetILNS1_3genE8ELNS1_11target_archE1030ELNS1_3gpuE2ELNS1_3repE0EEENS1_30default_config_static_selectorELNS0_4arch9wavefront6targetE1EEEvT1_,comdat
.Lfunc_end1444:
	.size	_ZN7rocprim17ROCPRIM_400000_NS6detail17trampoline_kernelINS0_14default_configENS1_27scan_by_key_config_selectorIifEEZZNS1_16scan_by_key_implILNS1_25lookback_scan_determinismE0ELb1ES3_N6thrust23THRUST_200600_302600_NS6detail15normal_iteratorINS9_10device_ptrIiEEEENSB_INSC_IfEEEESG_fNS9_4plusIvEENS9_8equal_toIvEEfEE10hipError_tPvRmT2_T3_T4_T5_mT6_T7_P12ihipStream_tbENKUlT_T0_E_clISt17integral_constantIbLb1EES11_EEDaSW_SX_EUlSW_E_NS1_11comp_targetILNS1_3genE8ELNS1_11target_archE1030ELNS1_3gpuE2ELNS1_3repE0EEENS1_30default_config_static_selectorELNS0_4arch9wavefront6targetE1EEEvT1_, .Lfunc_end1444-_ZN7rocprim17ROCPRIM_400000_NS6detail17trampoline_kernelINS0_14default_configENS1_27scan_by_key_config_selectorIifEEZZNS1_16scan_by_key_implILNS1_25lookback_scan_determinismE0ELb1ES3_N6thrust23THRUST_200600_302600_NS6detail15normal_iteratorINS9_10device_ptrIiEEEENSB_INSC_IfEEEESG_fNS9_4plusIvEENS9_8equal_toIvEEfEE10hipError_tPvRmT2_T3_T4_T5_mT6_T7_P12ihipStream_tbENKUlT_T0_E_clISt17integral_constantIbLb1EES11_EEDaSW_SX_EUlSW_E_NS1_11comp_targetILNS1_3genE8ELNS1_11target_archE1030ELNS1_3gpuE2ELNS1_3repE0EEENS1_30default_config_static_selectorELNS0_4arch9wavefront6targetE1EEEvT1_
                                        ; -- End function
	.section	.AMDGPU.csdata,"",@progbits
; Kernel info:
; codeLenInByte = 0
; NumSgprs: 4
; NumVgprs: 0
; NumAgprs: 0
; TotalNumVgprs: 0
; ScratchSize: 0
; MemoryBound: 0
; FloatMode: 240
; IeeeMode: 1
; LDSByteSize: 0 bytes/workgroup (compile time only)
; SGPRBlocks: 0
; VGPRBlocks: 0
; NumSGPRsForWavesPerEU: 4
; NumVGPRsForWavesPerEU: 1
; AccumOffset: 4
; Occupancy: 8
; WaveLimiterHint : 0
; COMPUTE_PGM_RSRC2:SCRATCH_EN: 0
; COMPUTE_PGM_RSRC2:USER_SGPR: 6
; COMPUTE_PGM_RSRC2:TRAP_HANDLER: 0
; COMPUTE_PGM_RSRC2:TGID_X_EN: 1
; COMPUTE_PGM_RSRC2:TGID_Y_EN: 0
; COMPUTE_PGM_RSRC2:TGID_Z_EN: 0
; COMPUTE_PGM_RSRC2:TIDIG_COMP_CNT: 0
; COMPUTE_PGM_RSRC3_GFX90A:ACCUM_OFFSET: 0
; COMPUTE_PGM_RSRC3_GFX90A:TG_SPLIT: 0
	.section	.text._ZN7rocprim17ROCPRIM_400000_NS6detail17trampoline_kernelINS0_14default_configENS1_27scan_by_key_config_selectorIifEEZZNS1_16scan_by_key_implILNS1_25lookback_scan_determinismE0ELb1ES3_N6thrust23THRUST_200600_302600_NS6detail15normal_iteratorINS9_10device_ptrIiEEEENSB_INSC_IfEEEESG_fNS9_4plusIvEENS9_8equal_toIvEEfEE10hipError_tPvRmT2_T3_T4_T5_mT6_T7_P12ihipStream_tbENKUlT_T0_E_clISt17integral_constantIbLb1EES10_IbLb0EEEEDaSW_SX_EUlSW_E_NS1_11comp_targetILNS1_3genE0ELNS1_11target_archE4294967295ELNS1_3gpuE0ELNS1_3repE0EEENS1_30default_config_static_selectorELNS0_4arch9wavefront6targetE1EEEvT1_,"axG",@progbits,_ZN7rocprim17ROCPRIM_400000_NS6detail17trampoline_kernelINS0_14default_configENS1_27scan_by_key_config_selectorIifEEZZNS1_16scan_by_key_implILNS1_25lookback_scan_determinismE0ELb1ES3_N6thrust23THRUST_200600_302600_NS6detail15normal_iteratorINS9_10device_ptrIiEEEENSB_INSC_IfEEEESG_fNS9_4plusIvEENS9_8equal_toIvEEfEE10hipError_tPvRmT2_T3_T4_T5_mT6_T7_P12ihipStream_tbENKUlT_T0_E_clISt17integral_constantIbLb1EES10_IbLb0EEEEDaSW_SX_EUlSW_E_NS1_11comp_targetILNS1_3genE0ELNS1_11target_archE4294967295ELNS1_3gpuE0ELNS1_3repE0EEENS1_30default_config_static_selectorELNS0_4arch9wavefront6targetE1EEEvT1_,comdat
	.protected	_ZN7rocprim17ROCPRIM_400000_NS6detail17trampoline_kernelINS0_14default_configENS1_27scan_by_key_config_selectorIifEEZZNS1_16scan_by_key_implILNS1_25lookback_scan_determinismE0ELb1ES3_N6thrust23THRUST_200600_302600_NS6detail15normal_iteratorINS9_10device_ptrIiEEEENSB_INSC_IfEEEESG_fNS9_4plusIvEENS9_8equal_toIvEEfEE10hipError_tPvRmT2_T3_T4_T5_mT6_T7_P12ihipStream_tbENKUlT_T0_E_clISt17integral_constantIbLb1EES10_IbLb0EEEEDaSW_SX_EUlSW_E_NS1_11comp_targetILNS1_3genE0ELNS1_11target_archE4294967295ELNS1_3gpuE0ELNS1_3repE0EEENS1_30default_config_static_selectorELNS0_4arch9wavefront6targetE1EEEvT1_ ; -- Begin function _ZN7rocprim17ROCPRIM_400000_NS6detail17trampoline_kernelINS0_14default_configENS1_27scan_by_key_config_selectorIifEEZZNS1_16scan_by_key_implILNS1_25lookback_scan_determinismE0ELb1ES3_N6thrust23THRUST_200600_302600_NS6detail15normal_iteratorINS9_10device_ptrIiEEEENSB_INSC_IfEEEESG_fNS9_4plusIvEENS9_8equal_toIvEEfEE10hipError_tPvRmT2_T3_T4_T5_mT6_T7_P12ihipStream_tbENKUlT_T0_E_clISt17integral_constantIbLb1EES10_IbLb0EEEEDaSW_SX_EUlSW_E_NS1_11comp_targetILNS1_3genE0ELNS1_11target_archE4294967295ELNS1_3gpuE0ELNS1_3repE0EEENS1_30default_config_static_selectorELNS0_4arch9wavefront6targetE1EEEvT1_
	.globl	_ZN7rocprim17ROCPRIM_400000_NS6detail17trampoline_kernelINS0_14default_configENS1_27scan_by_key_config_selectorIifEEZZNS1_16scan_by_key_implILNS1_25lookback_scan_determinismE0ELb1ES3_N6thrust23THRUST_200600_302600_NS6detail15normal_iteratorINS9_10device_ptrIiEEEENSB_INSC_IfEEEESG_fNS9_4plusIvEENS9_8equal_toIvEEfEE10hipError_tPvRmT2_T3_T4_T5_mT6_T7_P12ihipStream_tbENKUlT_T0_E_clISt17integral_constantIbLb1EES10_IbLb0EEEEDaSW_SX_EUlSW_E_NS1_11comp_targetILNS1_3genE0ELNS1_11target_archE4294967295ELNS1_3gpuE0ELNS1_3repE0EEENS1_30default_config_static_selectorELNS0_4arch9wavefront6targetE1EEEvT1_
	.p2align	8
	.type	_ZN7rocprim17ROCPRIM_400000_NS6detail17trampoline_kernelINS0_14default_configENS1_27scan_by_key_config_selectorIifEEZZNS1_16scan_by_key_implILNS1_25lookback_scan_determinismE0ELb1ES3_N6thrust23THRUST_200600_302600_NS6detail15normal_iteratorINS9_10device_ptrIiEEEENSB_INSC_IfEEEESG_fNS9_4plusIvEENS9_8equal_toIvEEfEE10hipError_tPvRmT2_T3_T4_T5_mT6_T7_P12ihipStream_tbENKUlT_T0_E_clISt17integral_constantIbLb1EES10_IbLb0EEEEDaSW_SX_EUlSW_E_NS1_11comp_targetILNS1_3genE0ELNS1_11target_archE4294967295ELNS1_3gpuE0ELNS1_3repE0EEENS1_30default_config_static_selectorELNS0_4arch9wavefront6targetE1EEEvT1_,@function
_ZN7rocprim17ROCPRIM_400000_NS6detail17trampoline_kernelINS0_14default_configENS1_27scan_by_key_config_selectorIifEEZZNS1_16scan_by_key_implILNS1_25lookback_scan_determinismE0ELb1ES3_N6thrust23THRUST_200600_302600_NS6detail15normal_iteratorINS9_10device_ptrIiEEEENSB_INSC_IfEEEESG_fNS9_4plusIvEENS9_8equal_toIvEEfEE10hipError_tPvRmT2_T3_T4_T5_mT6_T7_P12ihipStream_tbENKUlT_T0_E_clISt17integral_constantIbLb1EES10_IbLb0EEEEDaSW_SX_EUlSW_E_NS1_11comp_targetILNS1_3genE0ELNS1_11target_archE4294967295ELNS1_3gpuE0ELNS1_3repE0EEENS1_30default_config_static_selectorELNS0_4arch9wavefront6targetE1EEEvT1_: ; @_ZN7rocprim17ROCPRIM_400000_NS6detail17trampoline_kernelINS0_14default_configENS1_27scan_by_key_config_selectorIifEEZZNS1_16scan_by_key_implILNS1_25lookback_scan_determinismE0ELb1ES3_N6thrust23THRUST_200600_302600_NS6detail15normal_iteratorINS9_10device_ptrIiEEEENSB_INSC_IfEEEESG_fNS9_4plusIvEENS9_8equal_toIvEEfEE10hipError_tPvRmT2_T3_T4_T5_mT6_T7_P12ihipStream_tbENKUlT_T0_E_clISt17integral_constantIbLb1EES10_IbLb0EEEEDaSW_SX_EUlSW_E_NS1_11comp_targetILNS1_3genE0ELNS1_11target_archE4294967295ELNS1_3gpuE0ELNS1_3repE0EEENS1_30default_config_static_selectorELNS0_4arch9wavefront6targetE1EEEvT1_
; %bb.0:
	.section	.rodata,"a",@progbits
	.p2align	6, 0x0
	.amdhsa_kernel _ZN7rocprim17ROCPRIM_400000_NS6detail17trampoline_kernelINS0_14default_configENS1_27scan_by_key_config_selectorIifEEZZNS1_16scan_by_key_implILNS1_25lookback_scan_determinismE0ELb1ES3_N6thrust23THRUST_200600_302600_NS6detail15normal_iteratorINS9_10device_ptrIiEEEENSB_INSC_IfEEEESG_fNS9_4plusIvEENS9_8equal_toIvEEfEE10hipError_tPvRmT2_T3_T4_T5_mT6_T7_P12ihipStream_tbENKUlT_T0_E_clISt17integral_constantIbLb1EES10_IbLb0EEEEDaSW_SX_EUlSW_E_NS1_11comp_targetILNS1_3genE0ELNS1_11target_archE4294967295ELNS1_3gpuE0ELNS1_3repE0EEENS1_30default_config_static_selectorELNS0_4arch9wavefront6targetE1EEEvT1_
		.amdhsa_group_segment_fixed_size 0
		.amdhsa_private_segment_fixed_size 0
		.amdhsa_kernarg_size 112
		.amdhsa_user_sgpr_count 6
		.amdhsa_user_sgpr_private_segment_buffer 1
		.amdhsa_user_sgpr_dispatch_ptr 0
		.amdhsa_user_sgpr_queue_ptr 0
		.amdhsa_user_sgpr_kernarg_segment_ptr 1
		.amdhsa_user_sgpr_dispatch_id 0
		.amdhsa_user_sgpr_flat_scratch_init 0
		.amdhsa_user_sgpr_kernarg_preload_length 0
		.amdhsa_user_sgpr_kernarg_preload_offset 0
		.amdhsa_user_sgpr_private_segment_size 0
		.amdhsa_uses_dynamic_stack 0
		.amdhsa_system_sgpr_private_segment_wavefront_offset 0
		.amdhsa_system_sgpr_workgroup_id_x 1
		.amdhsa_system_sgpr_workgroup_id_y 0
		.amdhsa_system_sgpr_workgroup_id_z 0
		.amdhsa_system_sgpr_workgroup_info 0
		.amdhsa_system_vgpr_workitem_id 0
		.amdhsa_next_free_vgpr 1
		.amdhsa_next_free_sgpr 0
		.amdhsa_accum_offset 4
		.amdhsa_reserve_vcc 0
		.amdhsa_reserve_flat_scratch 0
		.amdhsa_float_round_mode_32 0
		.amdhsa_float_round_mode_16_64 0
		.amdhsa_float_denorm_mode_32 3
		.amdhsa_float_denorm_mode_16_64 3
		.amdhsa_dx10_clamp 1
		.amdhsa_ieee_mode 1
		.amdhsa_fp16_overflow 0
		.amdhsa_tg_split 0
		.amdhsa_exception_fp_ieee_invalid_op 0
		.amdhsa_exception_fp_denorm_src 0
		.amdhsa_exception_fp_ieee_div_zero 0
		.amdhsa_exception_fp_ieee_overflow 0
		.amdhsa_exception_fp_ieee_underflow 0
		.amdhsa_exception_fp_ieee_inexact 0
		.amdhsa_exception_int_div_zero 0
	.end_amdhsa_kernel
	.section	.text._ZN7rocprim17ROCPRIM_400000_NS6detail17trampoline_kernelINS0_14default_configENS1_27scan_by_key_config_selectorIifEEZZNS1_16scan_by_key_implILNS1_25lookback_scan_determinismE0ELb1ES3_N6thrust23THRUST_200600_302600_NS6detail15normal_iteratorINS9_10device_ptrIiEEEENSB_INSC_IfEEEESG_fNS9_4plusIvEENS9_8equal_toIvEEfEE10hipError_tPvRmT2_T3_T4_T5_mT6_T7_P12ihipStream_tbENKUlT_T0_E_clISt17integral_constantIbLb1EES10_IbLb0EEEEDaSW_SX_EUlSW_E_NS1_11comp_targetILNS1_3genE0ELNS1_11target_archE4294967295ELNS1_3gpuE0ELNS1_3repE0EEENS1_30default_config_static_selectorELNS0_4arch9wavefront6targetE1EEEvT1_,"axG",@progbits,_ZN7rocprim17ROCPRIM_400000_NS6detail17trampoline_kernelINS0_14default_configENS1_27scan_by_key_config_selectorIifEEZZNS1_16scan_by_key_implILNS1_25lookback_scan_determinismE0ELb1ES3_N6thrust23THRUST_200600_302600_NS6detail15normal_iteratorINS9_10device_ptrIiEEEENSB_INSC_IfEEEESG_fNS9_4plusIvEENS9_8equal_toIvEEfEE10hipError_tPvRmT2_T3_T4_T5_mT6_T7_P12ihipStream_tbENKUlT_T0_E_clISt17integral_constantIbLb1EES10_IbLb0EEEEDaSW_SX_EUlSW_E_NS1_11comp_targetILNS1_3genE0ELNS1_11target_archE4294967295ELNS1_3gpuE0ELNS1_3repE0EEENS1_30default_config_static_selectorELNS0_4arch9wavefront6targetE1EEEvT1_,comdat
.Lfunc_end1445:
	.size	_ZN7rocprim17ROCPRIM_400000_NS6detail17trampoline_kernelINS0_14default_configENS1_27scan_by_key_config_selectorIifEEZZNS1_16scan_by_key_implILNS1_25lookback_scan_determinismE0ELb1ES3_N6thrust23THRUST_200600_302600_NS6detail15normal_iteratorINS9_10device_ptrIiEEEENSB_INSC_IfEEEESG_fNS9_4plusIvEENS9_8equal_toIvEEfEE10hipError_tPvRmT2_T3_T4_T5_mT6_T7_P12ihipStream_tbENKUlT_T0_E_clISt17integral_constantIbLb1EES10_IbLb0EEEEDaSW_SX_EUlSW_E_NS1_11comp_targetILNS1_3genE0ELNS1_11target_archE4294967295ELNS1_3gpuE0ELNS1_3repE0EEENS1_30default_config_static_selectorELNS0_4arch9wavefront6targetE1EEEvT1_, .Lfunc_end1445-_ZN7rocprim17ROCPRIM_400000_NS6detail17trampoline_kernelINS0_14default_configENS1_27scan_by_key_config_selectorIifEEZZNS1_16scan_by_key_implILNS1_25lookback_scan_determinismE0ELb1ES3_N6thrust23THRUST_200600_302600_NS6detail15normal_iteratorINS9_10device_ptrIiEEEENSB_INSC_IfEEEESG_fNS9_4plusIvEENS9_8equal_toIvEEfEE10hipError_tPvRmT2_T3_T4_T5_mT6_T7_P12ihipStream_tbENKUlT_T0_E_clISt17integral_constantIbLb1EES10_IbLb0EEEEDaSW_SX_EUlSW_E_NS1_11comp_targetILNS1_3genE0ELNS1_11target_archE4294967295ELNS1_3gpuE0ELNS1_3repE0EEENS1_30default_config_static_selectorELNS0_4arch9wavefront6targetE1EEEvT1_
                                        ; -- End function
	.section	.AMDGPU.csdata,"",@progbits
; Kernel info:
; codeLenInByte = 0
; NumSgprs: 4
; NumVgprs: 0
; NumAgprs: 0
; TotalNumVgprs: 0
; ScratchSize: 0
; MemoryBound: 0
; FloatMode: 240
; IeeeMode: 1
; LDSByteSize: 0 bytes/workgroup (compile time only)
; SGPRBlocks: 0
; VGPRBlocks: 0
; NumSGPRsForWavesPerEU: 4
; NumVGPRsForWavesPerEU: 1
; AccumOffset: 4
; Occupancy: 8
; WaveLimiterHint : 0
; COMPUTE_PGM_RSRC2:SCRATCH_EN: 0
; COMPUTE_PGM_RSRC2:USER_SGPR: 6
; COMPUTE_PGM_RSRC2:TRAP_HANDLER: 0
; COMPUTE_PGM_RSRC2:TGID_X_EN: 1
; COMPUTE_PGM_RSRC2:TGID_Y_EN: 0
; COMPUTE_PGM_RSRC2:TGID_Z_EN: 0
; COMPUTE_PGM_RSRC2:TIDIG_COMP_CNT: 0
; COMPUTE_PGM_RSRC3_GFX90A:ACCUM_OFFSET: 0
; COMPUTE_PGM_RSRC3_GFX90A:TG_SPLIT: 0
	.section	.text._ZN7rocprim17ROCPRIM_400000_NS6detail17trampoline_kernelINS0_14default_configENS1_27scan_by_key_config_selectorIifEEZZNS1_16scan_by_key_implILNS1_25lookback_scan_determinismE0ELb1ES3_N6thrust23THRUST_200600_302600_NS6detail15normal_iteratorINS9_10device_ptrIiEEEENSB_INSC_IfEEEESG_fNS9_4plusIvEENS9_8equal_toIvEEfEE10hipError_tPvRmT2_T3_T4_T5_mT6_T7_P12ihipStream_tbENKUlT_T0_E_clISt17integral_constantIbLb1EES10_IbLb0EEEEDaSW_SX_EUlSW_E_NS1_11comp_targetILNS1_3genE10ELNS1_11target_archE1201ELNS1_3gpuE5ELNS1_3repE0EEENS1_30default_config_static_selectorELNS0_4arch9wavefront6targetE1EEEvT1_,"axG",@progbits,_ZN7rocprim17ROCPRIM_400000_NS6detail17trampoline_kernelINS0_14default_configENS1_27scan_by_key_config_selectorIifEEZZNS1_16scan_by_key_implILNS1_25lookback_scan_determinismE0ELb1ES3_N6thrust23THRUST_200600_302600_NS6detail15normal_iteratorINS9_10device_ptrIiEEEENSB_INSC_IfEEEESG_fNS9_4plusIvEENS9_8equal_toIvEEfEE10hipError_tPvRmT2_T3_T4_T5_mT6_T7_P12ihipStream_tbENKUlT_T0_E_clISt17integral_constantIbLb1EES10_IbLb0EEEEDaSW_SX_EUlSW_E_NS1_11comp_targetILNS1_3genE10ELNS1_11target_archE1201ELNS1_3gpuE5ELNS1_3repE0EEENS1_30default_config_static_selectorELNS0_4arch9wavefront6targetE1EEEvT1_,comdat
	.protected	_ZN7rocprim17ROCPRIM_400000_NS6detail17trampoline_kernelINS0_14default_configENS1_27scan_by_key_config_selectorIifEEZZNS1_16scan_by_key_implILNS1_25lookback_scan_determinismE0ELb1ES3_N6thrust23THRUST_200600_302600_NS6detail15normal_iteratorINS9_10device_ptrIiEEEENSB_INSC_IfEEEESG_fNS9_4plusIvEENS9_8equal_toIvEEfEE10hipError_tPvRmT2_T3_T4_T5_mT6_T7_P12ihipStream_tbENKUlT_T0_E_clISt17integral_constantIbLb1EES10_IbLb0EEEEDaSW_SX_EUlSW_E_NS1_11comp_targetILNS1_3genE10ELNS1_11target_archE1201ELNS1_3gpuE5ELNS1_3repE0EEENS1_30default_config_static_selectorELNS0_4arch9wavefront6targetE1EEEvT1_ ; -- Begin function _ZN7rocprim17ROCPRIM_400000_NS6detail17trampoline_kernelINS0_14default_configENS1_27scan_by_key_config_selectorIifEEZZNS1_16scan_by_key_implILNS1_25lookback_scan_determinismE0ELb1ES3_N6thrust23THRUST_200600_302600_NS6detail15normal_iteratorINS9_10device_ptrIiEEEENSB_INSC_IfEEEESG_fNS9_4plusIvEENS9_8equal_toIvEEfEE10hipError_tPvRmT2_T3_T4_T5_mT6_T7_P12ihipStream_tbENKUlT_T0_E_clISt17integral_constantIbLb1EES10_IbLb0EEEEDaSW_SX_EUlSW_E_NS1_11comp_targetILNS1_3genE10ELNS1_11target_archE1201ELNS1_3gpuE5ELNS1_3repE0EEENS1_30default_config_static_selectorELNS0_4arch9wavefront6targetE1EEEvT1_
	.globl	_ZN7rocprim17ROCPRIM_400000_NS6detail17trampoline_kernelINS0_14default_configENS1_27scan_by_key_config_selectorIifEEZZNS1_16scan_by_key_implILNS1_25lookback_scan_determinismE0ELb1ES3_N6thrust23THRUST_200600_302600_NS6detail15normal_iteratorINS9_10device_ptrIiEEEENSB_INSC_IfEEEESG_fNS9_4plusIvEENS9_8equal_toIvEEfEE10hipError_tPvRmT2_T3_T4_T5_mT6_T7_P12ihipStream_tbENKUlT_T0_E_clISt17integral_constantIbLb1EES10_IbLb0EEEEDaSW_SX_EUlSW_E_NS1_11comp_targetILNS1_3genE10ELNS1_11target_archE1201ELNS1_3gpuE5ELNS1_3repE0EEENS1_30default_config_static_selectorELNS0_4arch9wavefront6targetE1EEEvT1_
	.p2align	8
	.type	_ZN7rocprim17ROCPRIM_400000_NS6detail17trampoline_kernelINS0_14default_configENS1_27scan_by_key_config_selectorIifEEZZNS1_16scan_by_key_implILNS1_25lookback_scan_determinismE0ELb1ES3_N6thrust23THRUST_200600_302600_NS6detail15normal_iteratorINS9_10device_ptrIiEEEENSB_INSC_IfEEEESG_fNS9_4plusIvEENS9_8equal_toIvEEfEE10hipError_tPvRmT2_T3_T4_T5_mT6_T7_P12ihipStream_tbENKUlT_T0_E_clISt17integral_constantIbLb1EES10_IbLb0EEEEDaSW_SX_EUlSW_E_NS1_11comp_targetILNS1_3genE10ELNS1_11target_archE1201ELNS1_3gpuE5ELNS1_3repE0EEENS1_30default_config_static_selectorELNS0_4arch9wavefront6targetE1EEEvT1_,@function
_ZN7rocprim17ROCPRIM_400000_NS6detail17trampoline_kernelINS0_14default_configENS1_27scan_by_key_config_selectorIifEEZZNS1_16scan_by_key_implILNS1_25lookback_scan_determinismE0ELb1ES3_N6thrust23THRUST_200600_302600_NS6detail15normal_iteratorINS9_10device_ptrIiEEEENSB_INSC_IfEEEESG_fNS9_4plusIvEENS9_8equal_toIvEEfEE10hipError_tPvRmT2_T3_T4_T5_mT6_T7_P12ihipStream_tbENKUlT_T0_E_clISt17integral_constantIbLb1EES10_IbLb0EEEEDaSW_SX_EUlSW_E_NS1_11comp_targetILNS1_3genE10ELNS1_11target_archE1201ELNS1_3gpuE5ELNS1_3repE0EEENS1_30default_config_static_selectorELNS0_4arch9wavefront6targetE1EEEvT1_: ; @_ZN7rocprim17ROCPRIM_400000_NS6detail17trampoline_kernelINS0_14default_configENS1_27scan_by_key_config_selectorIifEEZZNS1_16scan_by_key_implILNS1_25lookback_scan_determinismE0ELb1ES3_N6thrust23THRUST_200600_302600_NS6detail15normal_iteratorINS9_10device_ptrIiEEEENSB_INSC_IfEEEESG_fNS9_4plusIvEENS9_8equal_toIvEEfEE10hipError_tPvRmT2_T3_T4_T5_mT6_T7_P12ihipStream_tbENKUlT_T0_E_clISt17integral_constantIbLb1EES10_IbLb0EEEEDaSW_SX_EUlSW_E_NS1_11comp_targetILNS1_3genE10ELNS1_11target_archE1201ELNS1_3gpuE5ELNS1_3repE0EEENS1_30default_config_static_selectorELNS0_4arch9wavefront6targetE1EEEvT1_
; %bb.0:
	.section	.rodata,"a",@progbits
	.p2align	6, 0x0
	.amdhsa_kernel _ZN7rocprim17ROCPRIM_400000_NS6detail17trampoline_kernelINS0_14default_configENS1_27scan_by_key_config_selectorIifEEZZNS1_16scan_by_key_implILNS1_25lookback_scan_determinismE0ELb1ES3_N6thrust23THRUST_200600_302600_NS6detail15normal_iteratorINS9_10device_ptrIiEEEENSB_INSC_IfEEEESG_fNS9_4plusIvEENS9_8equal_toIvEEfEE10hipError_tPvRmT2_T3_T4_T5_mT6_T7_P12ihipStream_tbENKUlT_T0_E_clISt17integral_constantIbLb1EES10_IbLb0EEEEDaSW_SX_EUlSW_E_NS1_11comp_targetILNS1_3genE10ELNS1_11target_archE1201ELNS1_3gpuE5ELNS1_3repE0EEENS1_30default_config_static_selectorELNS0_4arch9wavefront6targetE1EEEvT1_
		.amdhsa_group_segment_fixed_size 0
		.amdhsa_private_segment_fixed_size 0
		.amdhsa_kernarg_size 112
		.amdhsa_user_sgpr_count 6
		.amdhsa_user_sgpr_private_segment_buffer 1
		.amdhsa_user_sgpr_dispatch_ptr 0
		.amdhsa_user_sgpr_queue_ptr 0
		.amdhsa_user_sgpr_kernarg_segment_ptr 1
		.amdhsa_user_sgpr_dispatch_id 0
		.amdhsa_user_sgpr_flat_scratch_init 0
		.amdhsa_user_sgpr_kernarg_preload_length 0
		.amdhsa_user_sgpr_kernarg_preload_offset 0
		.amdhsa_user_sgpr_private_segment_size 0
		.amdhsa_uses_dynamic_stack 0
		.amdhsa_system_sgpr_private_segment_wavefront_offset 0
		.amdhsa_system_sgpr_workgroup_id_x 1
		.amdhsa_system_sgpr_workgroup_id_y 0
		.amdhsa_system_sgpr_workgroup_id_z 0
		.amdhsa_system_sgpr_workgroup_info 0
		.amdhsa_system_vgpr_workitem_id 0
		.amdhsa_next_free_vgpr 1
		.amdhsa_next_free_sgpr 0
		.amdhsa_accum_offset 4
		.amdhsa_reserve_vcc 0
		.amdhsa_reserve_flat_scratch 0
		.amdhsa_float_round_mode_32 0
		.amdhsa_float_round_mode_16_64 0
		.amdhsa_float_denorm_mode_32 3
		.amdhsa_float_denorm_mode_16_64 3
		.amdhsa_dx10_clamp 1
		.amdhsa_ieee_mode 1
		.amdhsa_fp16_overflow 0
		.amdhsa_tg_split 0
		.amdhsa_exception_fp_ieee_invalid_op 0
		.amdhsa_exception_fp_denorm_src 0
		.amdhsa_exception_fp_ieee_div_zero 0
		.amdhsa_exception_fp_ieee_overflow 0
		.amdhsa_exception_fp_ieee_underflow 0
		.amdhsa_exception_fp_ieee_inexact 0
		.amdhsa_exception_int_div_zero 0
	.end_amdhsa_kernel
	.section	.text._ZN7rocprim17ROCPRIM_400000_NS6detail17trampoline_kernelINS0_14default_configENS1_27scan_by_key_config_selectorIifEEZZNS1_16scan_by_key_implILNS1_25lookback_scan_determinismE0ELb1ES3_N6thrust23THRUST_200600_302600_NS6detail15normal_iteratorINS9_10device_ptrIiEEEENSB_INSC_IfEEEESG_fNS9_4plusIvEENS9_8equal_toIvEEfEE10hipError_tPvRmT2_T3_T4_T5_mT6_T7_P12ihipStream_tbENKUlT_T0_E_clISt17integral_constantIbLb1EES10_IbLb0EEEEDaSW_SX_EUlSW_E_NS1_11comp_targetILNS1_3genE10ELNS1_11target_archE1201ELNS1_3gpuE5ELNS1_3repE0EEENS1_30default_config_static_selectorELNS0_4arch9wavefront6targetE1EEEvT1_,"axG",@progbits,_ZN7rocprim17ROCPRIM_400000_NS6detail17trampoline_kernelINS0_14default_configENS1_27scan_by_key_config_selectorIifEEZZNS1_16scan_by_key_implILNS1_25lookback_scan_determinismE0ELb1ES3_N6thrust23THRUST_200600_302600_NS6detail15normal_iteratorINS9_10device_ptrIiEEEENSB_INSC_IfEEEESG_fNS9_4plusIvEENS9_8equal_toIvEEfEE10hipError_tPvRmT2_T3_T4_T5_mT6_T7_P12ihipStream_tbENKUlT_T0_E_clISt17integral_constantIbLb1EES10_IbLb0EEEEDaSW_SX_EUlSW_E_NS1_11comp_targetILNS1_3genE10ELNS1_11target_archE1201ELNS1_3gpuE5ELNS1_3repE0EEENS1_30default_config_static_selectorELNS0_4arch9wavefront6targetE1EEEvT1_,comdat
.Lfunc_end1446:
	.size	_ZN7rocprim17ROCPRIM_400000_NS6detail17trampoline_kernelINS0_14default_configENS1_27scan_by_key_config_selectorIifEEZZNS1_16scan_by_key_implILNS1_25lookback_scan_determinismE0ELb1ES3_N6thrust23THRUST_200600_302600_NS6detail15normal_iteratorINS9_10device_ptrIiEEEENSB_INSC_IfEEEESG_fNS9_4plusIvEENS9_8equal_toIvEEfEE10hipError_tPvRmT2_T3_T4_T5_mT6_T7_P12ihipStream_tbENKUlT_T0_E_clISt17integral_constantIbLb1EES10_IbLb0EEEEDaSW_SX_EUlSW_E_NS1_11comp_targetILNS1_3genE10ELNS1_11target_archE1201ELNS1_3gpuE5ELNS1_3repE0EEENS1_30default_config_static_selectorELNS0_4arch9wavefront6targetE1EEEvT1_, .Lfunc_end1446-_ZN7rocprim17ROCPRIM_400000_NS6detail17trampoline_kernelINS0_14default_configENS1_27scan_by_key_config_selectorIifEEZZNS1_16scan_by_key_implILNS1_25lookback_scan_determinismE0ELb1ES3_N6thrust23THRUST_200600_302600_NS6detail15normal_iteratorINS9_10device_ptrIiEEEENSB_INSC_IfEEEESG_fNS9_4plusIvEENS9_8equal_toIvEEfEE10hipError_tPvRmT2_T3_T4_T5_mT6_T7_P12ihipStream_tbENKUlT_T0_E_clISt17integral_constantIbLb1EES10_IbLb0EEEEDaSW_SX_EUlSW_E_NS1_11comp_targetILNS1_3genE10ELNS1_11target_archE1201ELNS1_3gpuE5ELNS1_3repE0EEENS1_30default_config_static_selectorELNS0_4arch9wavefront6targetE1EEEvT1_
                                        ; -- End function
	.section	.AMDGPU.csdata,"",@progbits
; Kernel info:
; codeLenInByte = 0
; NumSgprs: 4
; NumVgprs: 0
; NumAgprs: 0
; TotalNumVgprs: 0
; ScratchSize: 0
; MemoryBound: 0
; FloatMode: 240
; IeeeMode: 1
; LDSByteSize: 0 bytes/workgroup (compile time only)
; SGPRBlocks: 0
; VGPRBlocks: 0
; NumSGPRsForWavesPerEU: 4
; NumVGPRsForWavesPerEU: 1
; AccumOffset: 4
; Occupancy: 8
; WaveLimiterHint : 0
; COMPUTE_PGM_RSRC2:SCRATCH_EN: 0
; COMPUTE_PGM_RSRC2:USER_SGPR: 6
; COMPUTE_PGM_RSRC2:TRAP_HANDLER: 0
; COMPUTE_PGM_RSRC2:TGID_X_EN: 1
; COMPUTE_PGM_RSRC2:TGID_Y_EN: 0
; COMPUTE_PGM_RSRC2:TGID_Z_EN: 0
; COMPUTE_PGM_RSRC2:TIDIG_COMP_CNT: 0
; COMPUTE_PGM_RSRC3_GFX90A:ACCUM_OFFSET: 0
; COMPUTE_PGM_RSRC3_GFX90A:TG_SPLIT: 0
	.section	.text._ZN7rocprim17ROCPRIM_400000_NS6detail17trampoline_kernelINS0_14default_configENS1_27scan_by_key_config_selectorIifEEZZNS1_16scan_by_key_implILNS1_25lookback_scan_determinismE0ELb1ES3_N6thrust23THRUST_200600_302600_NS6detail15normal_iteratorINS9_10device_ptrIiEEEENSB_INSC_IfEEEESG_fNS9_4plusIvEENS9_8equal_toIvEEfEE10hipError_tPvRmT2_T3_T4_T5_mT6_T7_P12ihipStream_tbENKUlT_T0_E_clISt17integral_constantIbLb1EES10_IbLb0EEEEDaSW_SX_EUlSW_E_NS1_11comp_targetILNS1_3genE5ELNS1_11target_archE942ELNS1_3gpuE9ELNS1_3repE0EEENS1_30default_config_static_selectorELNS0_4arch9wavefront6targetE1EEEvT1_,"axG",@progbits,_ZN7rocprim17ROCPRIM_400000_NS6detail17trampoline_kernelINS0_14default_configENS1_27scan_by_key_config_selectorIifEEZZNS1_16scan_by_key_implILNS1_25lookback_scan_determinismE0ELb1ES3_N6thrust23THRUST_200600_302600_NS6detail15normal_iteratorINS9_10device_ptrIiEEEENSB_INSC_IfEEEESG_fNS9_4plusIvEENS9_8equal_toIvEEfEE10hipError_tPvRmT2_T3_T4_T5_mT6_T7_P12ihipStream_tbENKUlT_T0_E_clISt17integral_constantIbLb1EES10_IbLb0EEEEDaSW_SX_EUlSW_E_NS1_11comp_targetILNS1_3genE5ELNS1_11target_archE942ELNS1_3gpuE9ELNS1_3repE0EEENS1_30default_config_static_selectorELNS0_4arch9wavefront6targetE1EEEvT1_,comdat
	.protected	_ZN7rocprim17ROCPRIM_400000_NS6detail17trampoline_kernelINS0_14default_configENS1_27scan_by_key_config_selectorIifEEZZNS1_16scan_by_key_implILNS1_25lookback_scan_determinismE0ELb1ES3_N6thrust23THRUST_200600_302600_NS6detail15normal_iteratorINS9_10device_ptrIiEEEENSB_INSC_IfEEEESG_fNS9_4plusIvEENS9_8equal_toIvEEfEE10hipError_tPvRmT2_T3_T4_T5_mT6_T7_P12ihipStream_tbENKUlT_T0_E_clISt17integral_constantIbLb1EES10_IbLb0EEEEDaSW_SX_EUlSW_E_NS1_11comp_targetILNS1_3genE5ELNS1_11target_archE942ELNS1_3gpuE9ELNS1_3repE0EEENS1_30default_config_static_selectorELNS0_4arch9wavefront6targetE1EEEvT1_ ; -- Begin function _ZN7rocprim17ROCPRIM_400000_NS6detail17trampoline_kernelINS0_14default_configENS1_27scan_by_key_config_selectorIifEEZZNS1_16scan_by_key_implILNS1_25lookback_scan_determinismE0ELb1ES3_N6thrust23THRUST_200600_302600_NS6detail15normal_iteratorINS9_10device_ptrIiEEEENSB_INSC_IfEEEESG_fNS9_4plusIvEENS9_8equal_toIvEEfEE10hipError_tPvRmT2_T3_T4_T5_mT6_T7_P12ihipStream_tbENKUlT_T0_E_clISt17integral_constantIbLb1EES10_IbLb0EEEEDaSW_SX_EUlSW_E_NS1_11comp_targetILNS1_3genE5ELNS1_11target_archE942ELNS1_3gpuE9ELNS1_3repE0EEENS1_30default_config_static_selectorELNS0_4arch9wavefront6targetE1EEEvT1_
	.globl	_ZN7rocprim17ROCPRIM_400000_NS6detail17trampoline_kernelINS0_14default_configENS1_27scan_by_key_config_selectorIifEEZZNS1_16scan_by_key_implILNS1_25lookback_scan_determinismE0ELb1ES3_N6thrust23THRUST_200600_302600_NS6detail15normal_iteratorINS9_10device_ptrIiEEEENSB_INSC_IfEEEESG_fNS9_4plusIvEENS9_8equal_toIvEEfEE10hipError_tPvRmT2_T3_T4_T5_mT6_T7_P12ihipStream_tbENKUlT_T0_E_clISt17integral_constantIbLb1EES10_IbLb0EEEEDaSW_SX_EUlSW_E_NS1_11comp_targetILNS1_3genE5ELNS1_11target_archE942ELNS1_3gpuE9ELNS1_3repE0EEENS1_30default_config_static_selectorELNS0_4arch9wavefront6targetE1EEEvT1_
	.p2align	8
	.type	_ZN7rocprim17ROCPRIM_400000_NS6detail17trampoline_kernelINS0_14default_configENS1_27scan_by_key_config_selectorIifEEZZNS1_16scan_by_key_implILNS1_25lookback_scan_determinismE0ELb1ES3_N6thrust23THRUST_200600_302600_NS6detail15normal_iteratorINS9_10device_ptrIiEEEENSB_INSC_IfEEEESG_fNS9_4plusIvEENS9_8equal_toIvEEfEE10hipError_tPvRmT2_T3_T4_T5_mT6_T7_P12ihipStream_tbENKUlT_T0_E_clISt17integral_constantIbLb1EES10_IbLb0EEEEDaSW_SX_EUlSW_E_NS1_11comp_targetILNS1_3genE5ELNS1_11target_archE942ELNS1_3gpuE9ELNS1_3repE0EEENS1_30default_config_static_selectorELNS0_4arch9wavefront6targetE1EEEvT1_,@function
_ZN7rocprim17ROCPRIM_400000_NS6detail17trampoline_kernelINS0_14default_configENS1_27scan_by_key_config_selectorIifEEZZNS1_16scan_by_key_implILNS1_25lookback_scan_determinismE0ELb1ES3_N6thrust23THRUST_200600_302600_NS6detail15normal_iteratorINS9_10device_ptrIiEEEENSB_INSC_IfEEEESG_fNS9_4plusIvEENS9_8equal_toIvEEfEE10hipError_tPvRmT2_T3_T4_T5_mT6_T7_P12ihipStream_tbENKUlT_T0_E_clISt17integral_constantIbLb1EES10_IbLb0EEEEDaSW_SX_EUlSW_E_NS1_11comp_targetILNS1_3genE5ELNS1_11target_archE942ELNS1_3gpuE9ELNS1_3repE0EEENS1_30default_config_static_selectorELNS0_4arch9wavefront6targetE1EEEvT1_: ; @_ZN7rocprim17ROCPRIM_400000_NS6detail17trampoline_kernelINS0_14default_configENS1_27scan_by_key_config_selectorIifEEZZNS1_16scan_by_key_implILNS1_25lookback_scan_determinismE0ELb1ES3_N6thrust23THRUST_200600_302600_NS6detail15normal_iteratorINS9_10device_ptrIiEEEENSB_INSC_IfEEEESG_fNS9_4plusIvEENS9_8equal_toIvEEfEE10hipError_tPvRmT2_T3_T4_T5_mT6_T7_P12ihipStream_tbENKUlT_T0_E_clISt17integral_constantIbLb1EES10_IbLb0EEEEDaSW_SX_EUlSW_E_NS1_11comp_targetILNS1_3genE5ELNS1_11target_archE942ELNS1_3gpuE9ELNS1_3repE0EEENS1_30default_config_static_selectorELNS0_4arch9wavefront6targetE1EEEvT1_
; %bb.0:
	.section	.rodata,"a",@progbits
	.p2align	6, 0x0
	.amdhsa_kernel _ZN7rocprim17ROCPRIM_400000_NS6detail17trampoline_kernelINS0_14default_configENS1_27scan_by_key_config_selectorIifEEZZNS1_16scan_by_key_implILNS1_25lookback_scan_determinismE0ELb1ES3_N6thrust23THRUST_200600_302600_NS6detail15normal_iteratorINS9_10device_ptrIiEEEENSB_INSC_IfEEEESG_fNS9_4plusIvEENS9_8equal_toIvEEfEE10hipError_tPvRmT2_T3_T4_T5_mT6_T7_P12ihipStream_tbENKUlT_T0_E_clISt17integral_constantIbLb1EES10_IbLb0EEEEDaSW_SX_EUlSW_E_NS1_11comp_targetILNS1_3genE5ELNS1_11target_archE942ELNS1_3gpuE9ELNS1_3repE0EEENS1_30default_config_static_selectorELNS0_4arch9wavefront6targetE1EEEvT1_
		.amdhsa_group_segment_fixed_size 0
		.amdhsa_private_segment_fixed_size 0
		.amdhsa_kernarg_size 112
		.amdhsa_user_sgpr_count 6
		.amdhsa_user_sgpr_private_segment_buffer 1
		.amdhsa_user_sgpr_dispatch_ptr 0
		.amdhsa_user_sgpr_queue_ptr 0
		.amdhsa_user_sgpr_kernarg_segment_ptr 1
		.amdhsa_user_sgpr_dispatch_id 0
		.amdhsa_user_sgpr_flat_scratch_init 0
		.amdhsa_user_sgpr_kernarg_preload_length 0
		.amdhsa_user_sgpr_kernarg_preload_offset 0
		.amdhsa_user_sgpr_private_segment_size 0
		.amdhsa_uses_dynamic_stack 0
		.amdhsa_system_sgpr_private_segment_wavefront_offset 0
		.amdhsa_system_sgpr_workgroup_id_x 1
		.amdhsa_system_sgpr_workgroup_id_y 0
		.amdhsa_system_sgpr_workgroup_id_z 0
		.amdhsa_system_sgpr_workgroup_info 0
		.amdhsa_system_vgpr_workitem_id 0
		.amdhsa_next_free_vgpr 1
		.amdhsa_next_free_sgpr 0
		.amdhsa_accum_offset 4
		.amdhsa_reserve_vcc 0
		.amdhsa_reserve_flat_scratch 0
		.amdhsa_float_round_mode_32 0
		.amdhsa_float_round_mode_16_64 0
		.amdhsa_float_denorm_mode_32 3
		.amdhsa_float_denorm_mode_16_64 3
		.amdhsa_dx10_clamp 1
		.amdhsa_ieee_mode 1
		.amdhsa_fp16_overflow 0
		.amdhsa_tg_split 0
		.amdhsa_exception_fp_ieee_invalid_op 0
		.amdhsa_exception_fp_denorm_src 0
		.amdhsa_exception_fp_ieee_div_zero 0
		.amdhsa_exception_fp_ieee_overflow 0
		.amdhsa_exception_fp_ieee_underflow 0
		.amdhsa_exception_fp_ieee_inexact 0
		.amdhsa_exception_int_div_zero 0
	.end_amdhsa_kernel
	.section	.text._ZN7rocprim17ROCPRIM_400000_NS6detail17trampoline_kernelINS0_14default_configENS1_27scan_by_key_config_selectorIifEEZZNS1_16scan_by_key_implILNS1_25lookback_scan_determinismE0ELb1ES3_N6thrust23THRUST_200600_302600_NS6detail15normal_iteratorINS9_10device_ptrIiEEEENSB_INSC_IfEEEESG_fNS9_4plusIvEENS9_8equal_toIvEEfEE10hipError_tPvRmT2_T3_T4_T5_mT6_T7_P12ihipStream_tbENKUlT_T0_E_clISt17integral_constantIbLb1EES10_IbLb0EEEEDaSW_SX_EUlSW_E_NS1_11comp_targetILNS1_3genE5ELNS1_11target_archE942ELNS1_3gpuE9ELNS1_3repE0EEENS1_30default_config_static_selectorELNS0_4arch9wavefront6targetE1EEEvT1_,"axG",@progbits,_ZN7rocprim17ROCPRIM_400000_NS6detail17trampoline_kernelINS0_14default_configENS1_27scan_by_key_config_selectorIifEEZZNS1_16scan_by_key_implILNS1_25lookback_scan_determinismE0ELb1ES3_N6thrust23THRUST_200600_302600_NS6detail15normal_iteratorINS9_10device_ptrIiEEEENSB_INSC_IfEEEESG_fNS9_4plusIvEENS9_8equal_toIvEEfEE10hipError_tPvRmT2_T3_T4_T5_mT6_T7_P12ihipStream_tbENKUlT_T0_E_clISt17integral_constantIbLb1EES10_IbLb0EEEEDaSW_SX_EUlSW_E_NS1_11comp_targetILNS1_3genE5ELNS1_11target_archE942ELNS1_3gpuE9ELNS1_3repE0EEENS1_30default_config_static_selectorELNS0_4arch9wavefront6targetE1EEEvT1_,comdat
.Lfunc_end1447:
	.size	_ZN7rocprim17ROCPRIM_400000_NS6detail17trampoline_kernelINS0_14default_configENS1_27scan_by_key_config_selectorIifEEZZNS1_16scan_by_key_implILNS1_25lookback_scan_determinismE0ELb1ES3_N6thrust23THRUST_200600_302600_NS6detail15normal_iteratorINS9_10device_ptrIiEEEENSB_INSC_IfEEEESG_fNS9_4plusIvEENS9_8equal_toIvEEfEE10hipError_tPvRmT2_T3_T4_T5_mT6_T7_P12ihipStream_tbENKUlT_T0_E_clISt17integral_constantIbLb1EES10_IbLb0EEEEDaSW_SX_EUlSW_E_NS1_11comp_targetILNS1_3genE5ELNS1_11target_archE942ELNS1_3gpuE9ELNS1_3repE0EEENS1_30default_config_static_selectorELNS0_4arch9wavefront6targetE1EEEvT1_, .Lfunc_end1447-_ZN7rocprim17ROCPRIM_400000_NS6detail17trampoline_kernelINS0_14default_configENS1_27scan_by_key_config_selectorIifEEZZNS1_16scan_by_key_implILNS1_25lookback_scan_determinismE0ELb1ES3_N6thrust23THRUST_200600_302600_NS6detail15normal_iteratorINS9_10device_ptrIiEEEENSB_INSC_IfEEEESG_fNS9_4plusIvEENS9_8equal_toIvEEfEE10hipError_tPvRmT2_T3_T4_T5_mT6_T7_P12ihipStream_tbENKUlT_T0_E_clISt17integral_constantIbLb1EES10_IbLb0EEEEDaSW_SX_EUlSW_E_NS1_11comp_targetILNS1_3genE5ELNS1_11target_archE942ELNS1_3gpuE9ELNS1_3repE0EEENS1_30default_config_static_selectorELNS0_4arch9wavefront6targetE1EEEvT1_
                                        ; -- End function
	.section	.AMDGPU.csdata,"",@progbits
; Kernel info:
; codeLenInByte = 0
; NumSgprs: 4
; NumVgprs: 0
; NumAgprs: 0
; TotalNumVgprs: 0
; ScratchSize: 0
; MemoryBound: 0
; FloatMode: 240
; IeeeMode: 1
; LDSByteSize: 0 bytes/workgroup (compile time only)
; SGPRBlocks: 0
; VGPRBlocks: 0
; NumSGPRsForWavesPerEU: 4
; NumVGPRsForWavesPerEU: 1
; AccumOffset: 4
; Occupancy: 8
; WaveLimiterHint : 0
; COMPUTE_PGM_RSRC2:SCRATCH_EN: 0
; COMPUTE_PGM_RSRC2:USER_SGPR: 6
; COMPUTE_PGM_RSRC2:TRAP_HANDLER: 0
; COMPUTE_PGM_RSRC2:TGID_X_EN: 1
; COMPUTE_PGM_RSRC2:TGID_Y_EN: 0
; COMPUTE_PGM_RSRC2:TGID_Z_EN: 0
; COMPUTE_PGM_RSRC2:TIDIG_COMP_CNT: 0
; COMPUTE_PGM_RSRC3_GFX90A:ACCUM_OFFSET: 0
; COMPUTE_PGM_RSRC3_GFX90A:TG_SPLIT: 0
	.section	.text._ZN7rocprim17ROCPRIM_400000_NS6detail17trampoline_kernelINS0_14default_configENS1_27scan_by_key_config_selectorIifEEZZNS1_16scan_by_key_implILNS1_25lookback_scan_determinismE0ELb1ES3_N6thrust23THRUST_200600_302600_NS6detail15normal_iteratorINS9_10device_ptrIiEEEENSB_INSC_IfEEEESG_fNS9_4plusIvEENS9_8equal_toIvEEfEE10hipError_tPvRmT2_T3_T4_T5_mT6_T7_P12ihipStream_tbENKUlT_T0_E_clISt17integral_constantIbLb1EES10_IbLb0EEEEDaSW_SX_EUlSW_E_NS1_11comp_targetILNS1_3genE4ELNS1_11target_archE910ELNS1_3gpuE8ELNS1_3repE0EEENS1_30default_config_static_selectorELNS0_4arch9wavefront6targetE1EEEvT1_,"axG",@progbits,_ZN7rocprim17ROCPRIM_400000_NS6detail17trampoline_kernelINS0_14default_configENS1_27scan_by_key_config_selectorIifEEZZNS1_16scan_by_key_implILNS1_25lookback_scan_determinismE0ELb1ES3_N6thrust23THRUST_200600_302600_NS6detail15normal_iteratorINS9_10device_ptrIiEEEENSB_INSC_IfEEEESG_fNS9_4plusIvEENS9_8equal_toIvEEfEE10hipError_tPvRmT2_T3_T4_T5_mT6_T7_P12ihipStream_tbENKUlT_T0_E_clISt17integral_constantIbLb1EES10_IbLb0EEEEDaSW_SX_EUlSW_E_NS1_11comp_targetILNS1_3genE4ELNS1_11target_archE910ELNS1_3gpuE8ELNS1_3repE0EEENS1_30default_config_static_selectorELNS0_4arch9wavefront6targetE1EEEvT1_,comdat
	.protected	_ZN7rocprim17ROCPRIM_400000_NS6detail17trampoline_kernelINS0_14default_configENS1_27scan_by_key_config_selectorIifEEZZNS1_16scan_by_key_implILNS1_25lookback_scan_determinismE0ELb1ES3_N6thrust23THRUST_200600_302600_NS6detail15normal_iteratorINS9_10device_ptrIiEEEENSB_INSC_IfEEEESG_fNS9_4plusIvEENS9_8equal_toIvEEfEE10hipError_tPvRmT2_T3_T4_T5_mT6_T7_P12ihipStream_tbENKUlT_T0_E_clISt17integral_constantIbLb1EES10_IbLb0EEEEDaSW_SX_EUlSW_E_NS1_11comp_targetILNS1_3genE4ELNS1_11target_archE910ELNS1_3gpuE8ELNS1_3repE0EEENS1_30default_config_static_selectorELNS0_4arch9wavefront6targetE1EEEvT1_ ; -- Begin function _ZN7rocprim17ROCPRIM_400000_NS6detail17trampoline_kernelINS0_14default_configENS1_27scan_by_key_config_selectorIifEEZZNS1_16scan_by_key_implILNS1_25lookback_scan_determinismE0ELb1ES3_N6thrust23THRUST_200600_302600_NS6detail15normal_iteratorINS9_10device_ptrIiEEEENSB_INSC_IfEEEESG_fNS9_4plusIvEENS9_8equal_toIvEEfEE10hipError_tPvRmT2_T3_T4_T5_mT6_T7_P12ihipStream_tbENKUlT_T0_E_clISt17integral_constantIbLb1EES10_IbLb0EEEEDaSW_SX_EUlSW_E_NS1_11comp_targetILNS1_3genE4ELNS1_11target_archE910ELNS1_3gpuE8ELNS1_3repE0EEENS1_30default_config_static_selectorELNS0_4arch9wavefront6targetE1EEEvT1_
	.globl	_ZN7rocprim17ROCPRIM_400000_NS6detail17trampoline_kernelINS0_14default_configENS1_27scan_by_key_config_selectorIifEEZZNS1_16scan_by_key_implILNS1_25lookback_scan_determinismE0ELb1ES3_N6thrust23THRUST_200600_302600_NS6detail15normal_iteratorINS9_10device_ptrIiEEEENSB_INSC_IfEEEESG_fNS9_4plusIvEENS9_8equal_toIvEEfEE10hipError_tPvRmT2_T3_T4_T5_mT6_T7_P12ihipStream_tbENKUlT_T0_E_clISt17integral_constantIbLb1EES10_IbLb0EEEEDaSW_SX_EUlSW_E_NS1_11comp_targetILNS1_3genE4ELNS1_11target_archE910ELNS1_3gpuE8ELNS1_3repE0EEENS1_30default_config_static_selectorELNS0_4arch9wavefront6targetE1EEEvT1_
	.p2align	8
	.type	_ZN7rocprim17ROCPRIM_400000_NS6detail17trampoline_kernelINS0_14default_configENS1_27scan_by_key_config_selectorIifEEZZNS1_16scan_by_key_implILNS1_25lookback_scan_determinismE0ELb1ES3_N6thrust23THRUST_200600_302600_NS6detail15normal_iteratorINS9_10device_ptrIiEEEENSB_INSC_IfEEEESG_fNS9_4plusIvEENS9_8equal_toIvEEfEE10hipError_tPvRmT2_T3_T4_T5_mT6_T7_P12ihipStream_tbENKUlT_T0_E_clISt17integral_constantIbLb1EES10_IbLb0EEEEDaSW_SX_EUlSW_E_NS1_11comp_targetILNS1_3genE4ELNS1_11target_archE910ELNS1_3gpuE8ELNS1_3repE0EEENS1_30default_config_static_selectorELNS0_4arch9wavefront6targetE1EEEvT1_,@function
_ZN7rocprim17ROCPRIM_400000_NS6detail17trampoline_kernelINS0_14default_configENS1_27scan_by_key_config_selectorIifEEZZNS1_16scan_by_key_implILNS1_25lookback_scan_determinismE0ELb1ES3_N6thrust23THRUST_200600_302600_NS6detail15normal_iteratorINS9_10device_ptrIiEEEENSB_INSC_IfEEEESG_fNS9_4plusIvEENS9_8equal_toIvEEfEE10hipError_tPvRmT2_T3_T4_T5_mT6_T7_P12ihipStream_tbENKUlT_T0_E_clISt17integral_constantIbLb1EES10_IbLb0EEEEDaSW_SX_EUlSW_E_NS1_11comp_targetILNS1_3genE4ELNS1_11target_archE910ELNS1_3gpuE8ELNS1_3repE0EEENS1_30default_config_static_selectorELNS0_4arch9wavefront6targetE1EEEvT1_: ; @_ZN7rocprim17ROCPRIM_400000_NS6detail17trampoline_kernelINS0_14default_configENS1_27scan_by_key_config_selectorIifEEZZNS1_16scan_by_key_implILNS1_25lookback_scan_determinismE0ELb1ES3_N6thrust23THRUST_200600_302600_NS6detail15normal_iteratorINS9_10device_ptrIiEEEENSB_INSC_IfEEEESG_fNS9_4plusIvEENS9_8equal_toIvEEfEE10hipError_tPvRmT2_T3_T4_T5_mT6_T7_P12ihipStream_tbENKUlT_T0_E_clISt17integral_constantIbLb1EES10_IbLb0EEEEDaSW_SX_EUlSW_E_NS1_11comp_targetILNS1_3genE4ELNS1_11target_archE910ELNS1_3gpuE8ELNS1_3repE0EEENS1_30default_config_static_selectorELNS0_4arch9wavefront6targetE1EEEvT1_
; %bb.0:
	s_load_dwordx8 s[36:43], s[4:5], 0x0
	s_load_dword s7, s[4:5], 0x20
	s_load_dwordx4 s[44:47], s[4:5], 0x28
	s_load_dwordx2 s[52:53], s[4:5], 0x38
	s_load_dword s0, s[4:5], 0x40
	s_load_dwordx4 s[48:51], s[4:5], 0x48
	s_waitcnt lgkmcnt(0)
	s_lshl_b64 s[34:35], s[38:39], 2
	s_add_u32 s2, s36, s34
	s_addc_u32 s3, s37, s35
	s_add_u32 s4, s40, s34
	s_mul_i32 s1, s53, s0
	s_mul_hi_u32 s8, s52, s0
	s_addc_u32 s5, s41, s35
	s_add_i32 s8, s8, s1
	s_mul_i32 s9, s52, s0
	s_mul_i32 s0, s6, 0xe00
	s_mov_b32 s1, 0
	s_lshl_b64 s[36:37], s[0:1], 2
	s_add_u32 s38, s2, s36
	s_addc_u32 s39, s3, s37
	s_add_u32 s47, s4, s36
	s_addc_u32 s56, s5, s37
	;; [unrolled: 2-line block ×3, first 2 shown]
	s_add_u32 s4, s48, -1
	s_addc_u32 s5, s49, -1
	v_pk_mov_b32 v[2:3], s[4:5], s[4:5] op_sel:[0,1]
	v_cmp_ge_u64_e64 s[0:1], s[0:1], v[2:3]
	s_mov_b64 s[2:3], -1
	s_and_b64 vcc, exec, s[0:1]
	s_mul_i32 s33, s4, 0xfffff200
	s_barrier
	s_cbranch_vccz .LBB1448_76
; %bb.1:
	v_pk_mov_b32 v[2:3], s[38:39], s[38:39] op_sel:[0,1]
	flat_load_dword v2, v[2:3]
	s_add_i32 s58, s33, s46
	v_cmp_gt_u32_e32 vcc, s58, v0
	s_waitcnt vmcnt(0) lgkmcnt(0)
	v_mov_b32_e32 v3, v2
	s_and_saveexec_b64 s[4:5], vcc
	s_cbranch_execz .LBB1448_3
; %bb.2:
	v_lshlrev_b32_e32 v1, 2, v0
	v_mov_b32_e32 v3, s39
	v_add_co_u32_e64 v4, s[2:3], s38, v1
	v_addc_co_u32_e64 v5, s[2:3], 0, v3, s[2:3]
	flat_load_dword v3, v[4:5]
.LBB1448_3:
	s_or_b64 exec, exec, s[4:5]
	v_or_b32_e32 v1, 0x100, v0
	v_cmp_gt_u32_e64 s[2:3], s58, v1
	v_mov_b32_e32 v4, v2
	s_and_saveexec_b64 s[8:9], s[2:3]
	s_cbranch_execz .LBB1448_5
; %bb.4:
	v_lshlrev_b32_e32 v1, 2, v0
	v_mov_b32_e32 v5, s39
	v_add_co_u32_e64 v4, s[4:5], s38, v1
	v_addc_co_u32_e64 v5, s[4:5], 0, v5, s[4:5]
	flat_load_dword v4, v[4:5] offset:1024
.LBB1448_5:
	s_or_b64 exec, exec, s[8:9]
	v_or_b32_e32 v1, 0x200, v0
	v_cmp_gt_u32_e64 s[4:5], s58, v1
	v_mov_b32_e32 v5, v2
	s_and_saveexec_b64 s[10:11], s[4:5]
	s_cbranch_execz .LBB1448_7
; %bb.6:
	v_lshlrev_b32_e32 v1, 2, v0
	v_mov_b32_e32 v5, s39
	v_add_co_u32_e64 v6, s[8:9], s38, v1
	v_addc_co_u32_e64 v7, s[8:9], 0, v5, s[8:9]
	flat_load_dword v5, v[6:7] offset:2048
.LBB1448_7:
	;; [unrolled: 13-line block ×3, first 2 shown]
	s_or_b64 exec, exec, s[10:11]
	v_or_b32_e32 v1, 0x400, v0
	v_cmp_gt_u32_e64 s[8:9], s58, v1
	v_mov_b32_e32 v7, v2
	s_and_saveexec_b64 s[12:13], s[8:9]
	s_cbranch_execz .LBB1448_11
; %bb.10:
	v_lshlrev_b32_e32 v7, 2, v1
	v_mov_b32_e32 v9, s39
	v_add_co_u32_e64 v8, s[10:11], s38, v7
	v_addc_co_u32_e64 v9, s[10:11], 0, v9, s[10:11]
	flat_load_dword v7, v[8:9]
.LBB1448_11:
	s_or_b64 exec, exec, s[12:13]
	v_or_b32_e32 v16, 0x500, v0
	v_cmp_gt_u32_e64 s[10:11], s58, v16
	v_mov_b32_e32 v8, v2
	s_and_saveexec_b64 s[14:15], s[10:11]
	s_cbranch_execz .LBB1448_13
; %bb.12:
	v_lshlrev_b32_e32 v8, 2, v16
	v_mov_b32_e32 v9, s39
	v_add_co_u32_e64 v8, s[12:13], s38, v8
	v_addc_co_u32_e64 v9, s[12:13], 0, v9, s[12:13]
	flat_load_dword v8, v[8:9]
.LBB1448_13:
	;; [unrolled: 13-line block ×9, first 2 shown]
	s_or_b64 exec, exec, s[30:31]
	v_or_b32_e32 v26, 0xd00, v0
	v_cmp_gt_u32_e64 s[26:27], s58, v26
	s_and_saveexec_b64 s[40:41], s[26:27]
	s_cbranch_execz .LBB1448_29
; %bb.28:
	v_lshlrev_b32_e32 v2, 2, v26
	v_mov_b32_e32 v19, s39
	v_add_co_u32_e64 v18, s[30:31], s38, v2
	v_addc_co_u32_e64 v19, s[30:31], 0, v19, s[30:31]
	flat_load_dword v2, v[18:19]
.LBB1448_29:
	s_or_b64 exec, exec, s[40:41]
	v_lshlrev_b32_e32 v27, 2, v0
	s_waitcnt vmcnt(0) lgkmcnt(0)
	ds_write2st64_b32 v27, v3, v4 offset1:4
	ds_write2st64_b32 v27, v5, v6 offset0:8 offset1:12
	ds_write2st64_b32 v27, v7, v8 offset0:16 offset1:20
	;; [unrolled: 1-line block ×6, first 2 shown]
	v_pk_mov_b32 v[2:3], s[38:39], s[38:39] op_sel:[0,1]
	s_waitcnt lgkmcnt(0)
	s_barrier
	flat_load_dword v18, v[2:3]
	v_mad_u32_u24 v19, v0, 52, v27
	s_movk_i32 s30, 0xffcc
	ds_read2_b64 v[10:13], v19 offset1:1
	ds_read2_b64 v[6:9], v19 offset0:2 offset1:3
	ds_read2_b64 v[2:5], v19 offset0:4 offset1:5
	ds_read_b64 v[14:15], v19 offset:48
	v_mad_i32_i24 v28, v0, s30, v19
	s_movk_i32 s30, 0xff
	v_cmp_ne_u32_e64 s[30:31], s30, v0
	s_waitcnt lgkmcnt(0)
	ds_write_b32 v28, v10 offset:15360
	s_waitcnt lgkmcnt(0)
	s_barrier
	s_and_saveexec_b64 s[40:41], s[30:31]
	s_cbranch_execz .LBB1448_31
; %bb.30:
	s_waitcnt vmcnt(0)
	ds_read_b32 v18, v27 offset:15364
.LBB1448_31:
	s_or_b64 exec, exec, s[40:41]
	s_waitcnt lgkmcnt(0)
	s_barrier
	s_waitcnt lgkmcnt(0)
                                        ; implicit-def: $vgpr28
	s_and_saveexec_b64 s[30:31], vcc
	s_cbranch_execz .LBB1448_151
; %bb.32:
	v_mov_b32_e32 v29, s56
	v_add_co_u32_e32 v28, vcc, s47, v27
	v_addc_co_u32_e32 v29, vcc, 0, v29, vcc
	flat_load_dword v28, v[28:29]
	s_or_b64 exec, exec, s[30:31]
                                        ; implicit-def: $vgpr29
	s_and_saveexec_b64 s[30:31], s[2:3]
	s_cbranch_execnz .LBB1448_152
.LBB1448_33:
	s_or_b64 exec, exec, s[30:31]
                                        ; implicit-def: $vgpr30
	s_and_saveexec_b64 s[2:3], s[4:5]
	s_cbranch_execz .LBB1448_153
.LBB1448_34:
	v_mov_b32_e32 v31, s56
	v_add_co_u32_e32 v30, vcc, s47, v27
	v_addc_co_u32_e32 v31, vcc, 0, v31, vcc
	flat_load_dword v30, v[30:31] offset:2048
	s_or_b64 exec, exec, s[2:3]
                                        ; implicit-def: $vgpr31
	s_and_saveexec_b64 s[2:3], s[28:29]
	s_cbranch_execnz .LBB1448_154
.LBB1448_35:
	s_or_b64 exec, exec, s[2:3]
                                        ; implicit-def: $vgpr32
	s_and_saveexec_b64 s[2:3], s[8:9]
	s_cbranch_execz .LBB1448_155
.LBB1448_36:
	v_lshlrev_b32_e32 v1, 2, v1
	v_mov_b32_e32 v33, s56
	v_add_co_u32_e32 v32, vcc, s47, v1
	v_addc_co_u32_e32 v33, vcc, 0, v33, vcc
	flat_load_dword v32, v[32:33]
	s_or_b64 exec, exec, s[2:3]
                                        ; implicit-def: $vgpr1
	s_and_saveexec_b64 s[2:3], s[10:11]
	s_cbranch_execnz .LBB1448_156
.LBB1448_37:
	s_or_b64 exec, exec, s[2:3]
                                        ; implicit-def: $vgpr16
	s_and_saveexec_b64 s[2:3], s[12:13]
	s_cbranch_execz .LBB1448_157
.LBB1448_38:
	v_lshlrev_b32_e32 v16, 2, v17
	v_mov_b32_e32 v17, s56
	v_add_co_u32_e32 v16, vcc, s47, v16
	v_addc_co_u32_e32 v17, vcc, 0, v17, vcc
	flat_load_dword v16, v[16:17]
	s_or_b64 exec, exec, s[2:3]
                                        ; implicit-def: $vgpr17
	s_and_saveexec_b64 s[2:3], s[14:15]
	s_cbranch_execnz .LBB1448_158
.LBB1448_39:
	s_or_b64 exec, exec, s[2:3]
                                        ; implicit-def: $vgpr33
	s_and_saveexec_b64 s[2:3], s[16:17]
	s_cbranch_execz .LBB1448_159
.LBB1448_40:
	v_lshlrev_b32_e32 v20, 2, v21
	v_mov_b32_e32 v21, s56
	v_add_co_u32_e32 v20, vcc, s47, v20
	v_addc_co_u32_e32 v21, vcc, 0, v21, vcc
	flat_load_dword v33, v[20:21]
	s_or_b64 exec, exec, s[2:3]
                                        ; implicit-def: $vgpr21
	s_and_saveexec_b64 s[2:3], s[18:19]
	s_cbranch_execnz .LBB1448_160
.LBB1448_41:
	s_or_b64 exec, exec, s[2:3]
                                        ; implicit-def: $vgpr22
	s_and_saveexec_b64 s[2:3], s[20:21]
	s_cbranch_execz .LBB1448_161
.LBB1448_42:
	v_lshlrev_b32_e32 v20, 2, v23
	v_mov_b32_e32 v23, s56
	v_add_co_u32_e32 v22, vcc, s47, v20
	v_addc_co_u32_e32 v23, vcc, 0, v23, vcc
	flat_load_dword v22, v[22:23]
	s_or_b64 exec, exec, s[2:3]
                                        ; implicit-def: $vgpr23
	s_and_saveexec_b64 s[2:3], s[22:23]
	s_cbranch_execnz .LBB1448_162
.LBB1448_43:
	s_or_b64 exec, exec, s[2:3]
                                        ; implicit-def: $vgpr24
	s_and_saveexec_b64 s[2:3], s[24:25]
	s_cbranch_execz .LBB1448_45
.LBB1448_44:
	v_lshlrev_b32_e32 v20, 2, v25
	v_mov_b32_e32 v25, s56
	v_add_co_u32_e32 v24, vcc, s47, v20
	v_addc_co_u32_e32 v25, vcc, 0, v25, vcc
	flat_load_dword v24, v[24:25]
.LBB1448_45:
	s_or_b64 exec, exec, s[2:3]
	v_mul_u32_u24_e32 v20, 14, v0
                                        ; implicit-def: $vgpr25
	s_and_saveexec_b64 s[2:3], s[26:27]
	s_cbranch_execz .LBB1448_47
; %bb.46:
	v_lshlrev_b32_e32 v25, 2, v26
	v_mov_b32_e32 v26, s56
	v_add_co_u32_e32 v34, vcc, s47, v25
	v_addc_co_u32_e32 v35, vcc, 0, v26, vcc
	flat_load_dword v25, v[34:35]
.LBB1448_47:
	s_or_b64 exec, exec, s[2:3]
	s_waitcnt vmcnt(0) lgkmcnt(0)
	ds_write2st64_b32 v27, v28, v29 offset1:4
	ds_write2st64_b32 v27, v30, v31 offset0:8 offset1:12
	ds_write2st64_b32 v27, v32, v1 offset0:16 offset1:20
	;; [unrolled: 1-line block ×6, first 2 shown]
	v_cmp_gt_u32_e32 vcc, s58, v20
	s_mov_b64 s[2:3], 0
	s_mov_b32 s57, 0
	v_mov_b32_e32 v1, 0
	v_mov_b32_e32 v24, 0
	s_mov_b64 s[10:11], 0
	v_mov_b32_e32 v39, 0
	v_mov_b32_e32 v28, 0
	;; [unrolled: 1-line block ×24, first 2 shown]
	s_waitcnt lgkmcnt(0)
	s_barrier
	s_waitcnt lgkmcnt(0)
                                        ; implicit-def: $sgpr8_sgpr9
                                        ; implicit-def: $vgpr16
	s_and_saveexec_b64 s[4:5], vcc
	s_cbranch_execz .LBB1448_75
; %bb.48:
	ds_read_b32 v16, v19
	v_or_b32_e32 v17, 1, v20
	v_cmp_ne_u32_e32 vcc, v10, v11
	v_mov_b32_e32 v10, s7
	v_cndmask_b32_e64 v1, 0, 1, vcc
	s_waitcnt lgkmcnt(0)
	v_cndmask_b32_e32 v28, v16, v10, vcc
	v_cmp_gt_u32_e32 vcc, s58, v17
	v_mov_b32_e32 v24, 0
	v_mov_b32_e32 v39, 0
	;; [unrolled: 1-line block ×24, first 2 shown]
                                        ; implicit-def: $sgpr12_sgpr13
                                        ; implicit-def: $vgpr16
	s_and_saveexec_b64 s[8:9], vcc
	s_cbranch_execz .LBB1448_74
; %bb.49:
	ds_read2_b32 v[16:17], v19 offset0:1 offset1:2
	v_add_u32_e32 v10, 2, v20
	v_cmp_ne_u32_e32 vcc, v11, v12
	v_mov_b32_e32 v11, s7
	v_cndmask_b32_e64 v32, 0, 1, vcc
	s_waitcnt lgkmcnt(0)
	v_cndmask_b32_e32 v26, v16, v11, vcc
	v_cmp_gt_u32_e32 vcc, s58, v10
	s_mov_b64 s[14:15], 0
	v_mov_b32_e32 v24, 0
	v_mov_b32_e32 v39, 0
	;; [unrolled: 1-line block ×22, first 2 shown]
                                        ; implicit-def: $sgpr12_sgpr13
                                        ; implicit-def: $vgpr16
	s_and_saveexec_b64 s[10:11], vcc
	s_cbranch_execz .LBB1448_73
; %bb.50:
	v_add_u32_e32 v10, 3, v20
	v_cmp_ne_u32_e32 vcc, v12, v13
	v_mov_b32_e32 v11, s7
	v_cndmask_b32_e64 v35, 0, 1, vcc
	v_cndmask_b32_e32 v27, v17, v11, vcc
	v_cmp_gt_u32_e32 vcc, s58, v10
	v_mov_b32_e32 v24, 0
	v_mov_b32_e32 v39, 0
	v_mov_b32_e32 v38, 0
	v_mov_b32_e32 v48, 0
	v_mov_b32_e32 v37, 0
	v_mov_b32_e32 v47, 0
	v_mov_b32_e32 v36, 0
	v_mov_b32_e32 v46, 0
	v_mov_b32_e32 v34, 0
	v_mov_b32_e32 v45, 0
	v_mov_b32_e32 v33, 0
	v_mov_b32_e32 v44, 0
	v_mov_b32_e32 v40, 0
	v_mov_b32_e32 v31, 0
	v_mov_b32_e32 v43, 0
	v_mov_b32_e32 v29, 0
	v_mov_b32_e32 v30, 0
	v_mov_b32_e32 v42, 0
	v_mov_b32_e32 v41, 0
	v_mov_b32_e32 v25, 0
                                        ; implicit-def: $sgpr16_sgpr17
                                        ; implicit-def: $vgpr16
	s_and_saveexec_b64 s[12:13], vcc
	s_cbranch_execz .LBB1448_72
; %bb.51:
	ds_read2_b32 v[10:11], v19 offset0:3 offset1:4
	v_add_u32_e32 v12, 4, v20
	v_cmp_ne_u32_e32 vcc, v13, v6
	v_mov_b32_e32 v13, s7
	v_cndmask_b32_e64 v40, 0, 1, vcc
	s_waitcnt lgkmcnt(0)
	v_cndmask_b32_e32 v29, v10, v13, vcc
	v_cmp_gt_u32_e32 vcc, s58, v12
	s_mov_b64 s[18:19], 0
	v_mov_b32_e32 v24, 0
	v_mov_b32_e32 v39, 0
	;; [unrolled: 1-line block ×18, first 2 shown]
                                        ; implicit-def: $sgpr16_sgpr17
                                        ; implicit-def: $vgpr16
	s_and_saveexec_b64 s[14:15], vcc
	s_cbranch_execz .LBB1448_71
; %bb.52:
	v_add_u32_e32 v10, 5, v20
	v_cmp_ne_u32_e32 vcc, v6, v7
	v_mov_b32_e32 v6, s7
	v_cndmask_b32_e64 v41, 0, 1, vcc
	v_cndmask_b32_e32 v25, v11, v6, vcc
	v_cmp_gt_u32_e32 vcc, s58, v10
	v_mov_b32_e32 v24, 0
	v_mov_b32_e32 v39, 0
	;; [unrolled: 1-line block ×16, first 2 shown]
                                        ; implicit-def: $sgpr20_sgpr21
                                        ; implicit-def: $vgpr16
	s_and_saveexec_b64 s[16:17], vcc
	s_cbranch_execz .LBB1448_70
; %bb.53:
	ds_read2_b32 v[10:11], v19 offset0:5 offset1:6
	v_add_u32_e32 v6, 6, v20
	v_cmp_ne_u32_e32 vcc, v7, v8
	v_mov_b32_e32 v7, s7
	v_cndmask_b32_e64 v42, 0, 1, vcc
	s_waitcnt lgkmcnt(0)
	v_cndmask_b32_e32 v30, v10, v7, vcc
	v_cmp_gt_u32_e32 vcc, s58, v6
	s_mov_b64 s[22:23], 0
	v_mov_b32_e32 v24, 0
	v_mov_b32_e32 v39, 0
	;; [unrolled: 1-line block ×14, first 2 shown]
                                        ; implicit-def: $sgpr20_sgpr21
                                        ; implicit-def: $vgpr16
	s_and_saveexec_b64 s[18:19], vcc
	s_cbranch_execz .LBB1448_69
; %bb.54:
	v_add_u32_e32 v6, 7, v20
	v_cmp_ne_u32_e32 vcc, v8, v9
	v_mov_b32_e32 v7, s7
	v_cndmask_b32_e64 v43, 0, 1, vcc
	v_cndmask_b32_e32 v31, v11, v7, vcc
	v_cmp_gt_u32_e32 vcc, s58, v6
	v_mov_b32_e32 v24, 0
	v_mov_b32_e32 v39, 0
	;; [unrolled: 1-line block ×12, first 2 shown]
                                        ; implicit-def: $sgpr24_sgpr25
                                        ; implicit-def: $vgpr16
	s_and_saveexec_b64 s[20:21], vcc
	s_cbranch_execz .LBB1448_68
; %bb.55:
	ds_read2_b32 v[6:7], v19 offset0:7 offset1:8
	v_add_u32_e32 v8, 8, v20
	v_cmp_ne_u32_e32 vcc, v9, v2
	v_mov_b32_e32 v9, s7
	v_cndmask_b32_e64 v44, 0, 1, vcc
	s_waitcnt lgkmcnt(0)
	v_cndmask_b32_e32 v33, v6, v9, vcc
	v_cmp_gt_u32_e32 vcc, s58, v8
	s_mov_b64 s[26:27], 0
	v_mov_b32_e32 v24, 0
	v_mov_b32_e32 v39, 0
	;; [unrolled: 1-line block ×10, first 2 shown]
                                        ; implicit-def: $sgpr24_sgpr25
                                        ; implicit-def: $vgpr16
	s_and_saveexec_b64 s[22:23], vcc
	s_cbranch_execz .LBB1448_67
; %bb.56:
	v_add_u32_e32 v6, 9, v20
	v_cmp_ne_u32_e32 vcc, v2, v3
	v_mov_b32_e32 v2, s7
	v_cndmask_b32_e64 v45, 0, 1, vcc
	v_cndmask_b32_e32 v34, v7, v2, vcc
	v_cmp_gt_u32_e32 vcc, s58, v6
	v_mov_b32_e32 v24, 0
	v_mov_b32_e32 v39, 0
	;; [unrolled: 1-line block ×8, first 2 shown]
                                        ; implicit-def: $sgpr28_sgpr29
                                        ; implicit-def: $vgpr16
	s_and_saveexec_b64 s[24:25], vcc
	s_cbranch_execz .LBB1448_66
; %bb.57:
	ds_read2_b32 v[6:7], v19 offset0:9 offset1:10
	v_add_u32_e32 v2, 10, v20
	v_cmp_ne_u32_e32 vcc, v3, v4
	v_mov_b32_e32 v3, s7
	v_cndmask_b32_e64 v46, 0, 1, vcc
	s_waitcnt lgkmcnt(0)
	v_cndmask_b32_e32 v36, v6, v3, vcc
	v_cmp_gt_u32_e32 vcc, s58, v2
	s_mov_b64 s[30:31], 0
	v_mov_b32_e32 v24, 0
	v_mov_b32_e32 v39, 0
	;; [unrolled: 1-line block ×6, first 2 shown]
                                        ; implicit-def: $sgpr28_sgpr29
                                        ; implicit-def: $vgpr16
	s_and_saveexec_b64 s[26:27], vcc
	s_cbranch_execz .LBB1448_65
; %bb.58:
	v_add_u32_e32 v2, 11, v20
	v_cmp_ne_u32_e32 vcc, v4, v5
	v_mov_b32_e32 v3, s7
	v_cndmask_b32_e64 v47, 0, 1, vcc
	v_cndmask_b32_e32 v37, v7, v3, vcc
	v_cmp_gt_u32_e32 vcc, s58, v2
	v_mov_b32_e32 v24, 0
	v_mov_b32_e32 v39, 0
	;; [unrolled: 1-line block ×4, first 2 shown]
                                        ; implicit-def: $sgpr40_sgpr41
                                        ; implicit-def: $vgpr16
	s_and_saveexec_b64 s[28:29], vcc
	s_cbranch_execz .LBB1448_64
; %bb.59:
	ds_read2_b32 v[2:3], v19 offset0:11 offset1:12
	v_add_u32_e32 v4, 12, v20
	v_cmp_ne_u32_e32 vcc, v5, v14
	v_mov_b32_e32 v5, s7
	v_cndmask_b32_e64 v48, 0, 1, vcc
	s_waitcnt lgkmcnt(0)
	v_cndmask_b32_e32 v38, v2, v5, vcc
	v_cmp_gt_u32_e32 vcc, s58, v4
	s_mov_b64 s[48:49], 0
	v_mov_b32_e32 v24, 0
	v_mov_b32_e32 v39, 0
                                        ; implicit-def: $sgpr54_sgpr55
                                        ; implicit-def: $vgpr16
	s_and_saveexec_b64 s[30:31], vcc
	s_cbranch_execz .LBB1448_63
; %bb.60:
	v_add_u32_e32 v2, 13, v20
	v_cmp_ne_u32_e32 vcc, v14, v15
	v_mov_b32_e32 v4, s7
	v_cndmask_b32_e64 v39, 0, 1, vcc
	v_cndmask_b32_e32 v24, v3, v4, vcc
	v_cmp_gt_u32_e32 vcc, s58, v2
	s_mov_b64 s[40:41], 0
                                        ; implicit-def: $sgpr48_sgpr49
                                        ; implicit-def: $vgpr16
	s_and_saveexec_b64 s[54:55], vcc
	s_xor_b64 s[54:55], exec, s[54:55]
	s_cbranch_execz .LBB1448_62
; %bb.61:
	ds_read_b32 v2, v19 offset:52
	v_mov_b32_e32 v3, s7
	v_cmp_ne_u32_e32 vcc, v15, v18
	s_mov_b64 s[40:41], exec
	s_and_b64 s[48:49], vcc, exec
	s_waitcnt lgkmcnt(0)
	v_cndmask_b32_e32 v16, v2, v3, vcc
.LBB1448_62:
	s_or_b64 exec, exec, s[54:55]
	s_and_b64 s[54:55], s[48:49], exec
	s_and_b64 s[48:49], s[40:41], exec
.LBB1448_63:
	s_or_b64 exec, exec, s[30:31]
	s_and_b64 s[40:41], s[54:55], exec
	s_and_b64 s[30:31], s[48:49], exec
.LBB1448_64:
	s_or_b64 exec, exec, s[28:29]
	s_and_b64 s[28:29], s[40:41], exec
	s_and_b64 s[30:31], s[30:31], exec
.LBB1448_65:
	s_or_b64 exec, exec, s[26:27]
	s_and_b64 s[28:29], s[28:29], exec
	s_and_b64 s[26:27], s[30:31], exec
.LBB1448_66:
	s_or_b64 exec, exec, s[24:25]
	s_and_b64 s[24:25], s[28:29], exec
	s_and_b64 s[26:27], s[26:27], exec
.LBB1448_67:
	s_or_b64 exec, exec, s[22:23]
	s_and_b64 s[24:25], s[24:25], exec
	s_and_b64 s[22:23], s[26:27], exec
.LBB1448_68:
	s_or_b64 exec, exec, s[20:21]
	s_and_b64 s[20:21], s[24:25], exec
	s_and_b64 s[22:23], s[22:23], exec
.LBB1448_69:
	s_or_b64 exec, exec, s[18:19]
	s_and_b64 s[20:21], s[20:21], exec
	s_and_b64 s[18:19], s[22:23], exec
.LBB1448_70:
	s_or_b64 exec, exec, s[16:17]
	s_and_b64 s[16:17], s[20:21], exec
	s_and_b64 s[18:19], s[18:19], exec
.LBB1448_71:
	s_or_b64 exec, exec, s[14:15]
	s_and_b64 s[16:17], s[16:17], exec
	s_and_b64 s[14:15], s[18:19], exec
.LBB1448_72:
	s_or_b64 exec, exec, s[12:13]
	s_and_b64 s[12:13], s[16:17], exec
	s_and_b64 s[14:15], s[14:15], exec
.LBB1448_73:
	s_or_b64 exec, exec, s[10:11]
	s_and_b64 s[12:13], s[12:13], exec
	s_and_b64 s[10:11], s[14:15], exec
.LBB1448_74:
	s_or_b64 exec, exec, s[8:9]
	s_and_b64 s[8:9], s[12:13], exec
	s_and_b64 s[10:11], s[10:11], exec
.LBB1448_75:
	s_or_b64 exec, exec, s[4:5]
	s_mov_b32 s4, 0
	s_and_b64 vcc, exec, s[2:3]
	v_lshlrev_b32_e32 v49, 2, v0
	s_cbranch_vccnz .LBB1448_77
	s_branch .LBB1448_82
.LBB1448_76:
	s_mov_b64 s[10:11], 0
                                        ; implicit-def: $sgpr8_sgpr9
                                        ; implicit-def: $vgpr16
                                        ; implicit-def: $vgpr1
                                        ; implicit-def: $vgpr24
                                        ; implicit-def: $vgpr39
                                        ; implicit-def: $vgpr28
                                        ; implicit-def: $vgpr38
                                        ; implicit-def: $vgpr48
                                        ; implicit-def: $vgpr32
                                        ; implicit-def: $vgpr37
                                        ; implicit-def: $vgpr47
                                        ; implicit-def: $vgpr26
                                        ; implicit-def: $vgpr36
                                        ; implicit-def: $vgpr46
                                        ; implicit-def: $vgpr35
                                        ; implicit-def: $vgpr34
                                        ; implicit-def: $vgpr45
                                        ; implicit-def: $vgpr27
                                        ; implicit-def: $vgpr33
                                        ; implicit-def: $vgpr44
                                        ; implicit-def: $vgpr40
                                        ; implicit-def: $vgpr31
                                        ; implicit-def: $vgpr43
                                        ; implicit-def: $vgpr29
                                        ; implicit-def: $vgpr30
                                        ; implicit-def: $vgpr42
                                        ; implicit-def: $vgpr41
                                        ; implicit-def: $vgpr25
                                        ; implicit-def: $sgpr4
                                        ; implicit-def: $sgpr57
	s_and_b64 vcc, exec, s[2:3]
	v_lshlrev_b32_e32 v49, 2, v0
	s_cbranch_vccz .LBB1448_82
.LBB1448_77:
	v_mov_b32_e32 v1, s39
	v_add_co_u32_e32 v2, vcc, s38, v49
	v_addc_co_u32_e32 v3, vcc, 0, v1, vcc
	v_add_co_u32_e32 v4, vcc, 0x1000, v2
	v_addc_co_u32_e32 v5, vcc, 0, v3, vcc
	flat_load_dword v1, v[2:3]
	flat_load_dword v6, v[2:3] offset:1024
	flat_load_dword v7, v[2:3] offset:2048
	;; [unrolled: 1-line block ×3, first 2 shown]
	flat_load_dword v9, v[4:5]
	flat_load_dword v10, v[4:5] offset:1024
	flat_load_dword v11, v[4:5] offset:2048
	;; [unrolled: 1-line block ×3, first 2 shown]
	v_add_co_u32_e32 v4, vcc, 0x2000, v2
	v_addc_co_u32_e32 v5, vcc, 0, v3, vcc
	v_add_co_u32_e32 v2, vcc, 0x3000, v2
	v_addc_co_u32_e32 v3, vcc, 0, v3, vcc
	flat_load_dword v13, v[4:5]
	flat_load_dword v14, v[4:5] offset:1024
	flat_load_dword v15, v[4:5] offset:2048
	;; [unrolled: 1-line block ×3, first 2 shown]
	flat_load_dword v17, v[2:3]
	flat_load_dword v18, v[2:3] offset:1024
	v_mov_b32_e32 v2, s38
	v_mov_b32_e32 v3, s39
	v_add_co_u32_e32 v2, vcc, 0x3000, v2
	v_addc_co_u32_e32 v3, vcc, 0, v3, vcc
	s_movk_i32 s2, 0xffcc
	s_movk_i32 s8, 0x1000
	;; [unrolled: 1-line block ×4, first 2 shown]
	s_waitcnt vmcnt(0) lgkmcnt(0)
	ds_write2st64_b32 v49, v1, v6 offset1:4
	ds_write2st64_b32 v49, v7, v8 offset0:8 offset1:12
	ds_write2st64_b32 v49, v9, v10 offset0:16 offset1:20
	;; [unrolled: 1-line block ×6, first 2 shown]
	s_waitcnt lgkmcnt(0)
	s_barrier
	flat_load_dword v50, v[2:3] offset:2048
	v_mad_u32_u24 v1, v0, 52, v49
	ds_read2_b64 v[10:13], v1 offset1:1
	ds_read2_b64 v[6:9], v1 offset0:2 offset1:3
	ds_read2_b64 v[2:5], v1 offset0:4 offset1:5
	ds_read_b64 v[14:15], v1 offset:48
	v_mad_i32_i24 v16, v0, s2, v1
	s_movk_i32 s2, 0xff
	v_cmp_ne_u32_e32 vcc, s2, v0
	s_waitcnt lgkmcnt(0)
	ds_write_b32 v16, v10 offset:15360
	s_waitcnt lgkmcnt(0)
	s_barrier
	s_and_saveexec_b64 s[2:3], vcc
	s_cbranch_execz .LBB1448_79
; %bb.78:
	s_waitcnt vmcnt(0)
	ds_read_b32 v50, v49 offset:15364
.LBB1448_79:
	s_or_b64 exec, exec, s[2:3]
	v_mov_b32_e32 v17, s56
	v_add_co_u32_e32 v16, vcc, s47, v49
	v_addc_co_u32_e32 v17, vcc, 0, v17, vcc
	v_add_co_u32_e32 v18, vcc, s8, v16
	v_addc_co_u32_e32 v19, vcc, 0, v17, vcc
	s_waitcnt lgkmcnt(0)
	s_barrier
	flat_load_dword v20, v[16:17]
	flat_load_dword v21, v[16:17] offset:1024
	flat_load_dword v22, v[16:17] offset:2048
	;; [unrolled: 1-line block ×3, first 2 shown]
	flat_load_dword v24, v[18:19]
	flat_load_dword v25, v[18:19] offset:1024
	flat_load_dword v26, v[18:19] offset:2048
	;; [unrolled: 1-line block ×3, first 2 shown]
	v_add_co_u32_e32 v18, vcc, s5, v16
	v_addc_co_u32_e32 v19, vcc, 0, v17, vcc
	v_add_co_u32_e32 v16, vcc, s4, v16
	v_addc_co_u32_e32 v17, vcc, 0, v17, vcc
	flat_load_dword v28, v[18:19]
	flat_load_dword v29, v[18:19] offset:1024
	flat_load_dword v30, v[18:19] offset:2048
	flat_load_dword v31, v[18:19] offset:3072
	flat_load_dword v32, v[16:17]
	flat_load_dword v33, v[16:17] offset:1024
	v_cmp_ne_u32_e32 vcc, v10, v11
	v_cmp_eq_u32_e64 s[2:3], v10, v11
	s_waitcnt vmcnt(0) lgkmcnt(0)
	ds_write2st64_b32 v49, v20, v21 offset1:4
	ds_write2st64_b32 v49, v22, v23 offset0:8 offset1:12
	ds_write2st64_b32 v49, v24, v25 offset0:16 offset1:20
	;; [unrolled: 1-line block ×6, first 2 shown]
	s_waitcnt lgkmcnt(0)
	s_barrier
	ds_read2_b32 v[26:27], v1 offset0:1 offset1:2
	ds_read2_b32 v[24:25], v1 offset0:3 offset1:4
	;; [unrolled: 1-line block ×6, first 2 shown]
	ds_read_b32 v51, v1 offset:52
	v_mov_b32_e32 v28, s7
	s_and_saveexec_b64 s[4:5], s[2:3]
	s_cbranch_execz .LBB1448_81
; %bb.80:
	ds_read_b32 v28, v1
.LBB1448_81:
	s_or_b64 exec, exec, s[4:5]
	v_cmp_ne_u32_e64 s[8:9], v6, v7
	v_cmp_ne_u32_e64 s[14:15], v9, v2
	;; [unrolled: 1-line block ×3, first 2 shown]
	v_mov_b32_e32 v2, s7
	v_cndmask_b32_e64 v1, 0, 1, vcc
	v_cmp_ne_u32_e32 vcc, v11, v12
	v_cmp_ne_u32_e64 s[2:3], v12, v13
	v_cmp_ne_u32_e64 s[4:5], v13, v6
	v_cndmask_b32_e64 v41, 0, 1, s[8:9]
	v_cmp_ne_u32_e64 s[10:11], v7, v8
	v_cmp_ne_u32_e64 s[12:13], v8, v9
	;; [unrolled: 1-line block ×6, first 2 shown]
	s_waitcnt lgkmcnt(5)
	v_cndmask_b32_e64 v25, v25, v2, s[8:9]
	v_cmp_ne_u32_e64 s[8:9], v15, v50
	v_cndmask_b32_e64 v32, 0, 1, vcc
	v_cndmask_b32_e64 v35, 0, 1, s[2:3]
	v_cndmask_b32_e64 v40, 0, 1, s[4:5]
	;; [unrolled: 1-line block ×10, first 2 shown]
	v_cndmask_b32_e32 v26, v26, v2, vcc
	v_cndmask_b32_e64 v27, v27, v2, s[2:3]
	v_cndmask_b32_e64 v29, v24, v2, s[4:5]
	s_waitcnt lgkmcnt(4)
	v_cndmask_b32_e64 v30, v22, v2, s[10:11]
	v_cndmask_b32_e64 v31, v23, v2, s[12:13]
	s_waitcnt lgkmcnt(3)
	;; [unrolled: 3-line block ×5, first 2 shown]
	v_cndmask_b32_e64 v16, v51, v2, s[8:9]
	s_mov_b64 s[10:11], -1
                                        ; implicit-def: $sgpr4
                                        ; implicit-def: $sgpr57
.LBB1448_82:
	v_mov_b32_e32 v14, s57
	v_mov_b32_e32 v15, s4
	s_and_saveexec_b64 s[2:3], s[10:11]
; %bb.83:
	v_cndmask_b32_e64 v14, 0, 1, s[8:9]
	v_mov_b32_e32 v15, v16
; %bb.84:
	s_or_b64 exec, exec, s[2:3]
	v_or_b32_e32 v2, v14, v39
	s_cmp_lg_u32 s6, 0
	v_add_f32_e32 v52, v26, v28
	v_or_b32_e32 v51, v2, v48
	v_mbcnt_lo_u32_b32 v50, -1, 0
	s_barrier
	s_cbranch_scc0 .LBB1448_163
; %bb.85:
	v_mov_b32_e32 v2, 0
	v_cmp_eq_u16_sdwa s[2:3], v32, v2 src0_sel:BYTE_0 src1_sel:DWORD
	v_cndmask_b32_e64 v3, v26, v52, s[2:3]
	v_add_f32_e32 v3, v27, v3
	v_cmp_eq_u16_sdwa s[4:5], v35, v2 src0_sel:BYTE_0 src1_sel:DWORD
	v_cndmask_b32_e64 v3, v27, v3, s[4:5]
	v_add_f32_e32 v3, v29, v3
	;; [unrolled: 3-line block ×7, first 2 shown]
	v_cmp_eq_u16_sdwa s[16:17], v45, v2 src0_sel:BYTE_0 src1_sel:DWORD
	v_cmp_eq_u16_sdwa s[18:19], v46, v2 src0_sel:BYTE_0 src1_sel:DWORD
	;; [unrolled: 1-line block ×5, first 2 shown]
	v_cmp_eq_u16_sdwa vcc, v14, v2 src0_sel:BYTE_0 src1_sel:DWORD
	v_or_b32_e32 v2, v51, v47
	v_cndmask_b32_e64 v3, v34, v3, s[16:17]
	v_or_b32_e32 v2, v2, v46
	v_add_f32_e32 v3, v36, v3
	v_or_b32_e32 v2, v2, v45
	v_cndmask_b32_e64 v3, v36, v3, s[18:19]
	v_or_b32_e32 v2, v2, v44
	v_add_f32_e32 v3, v37, v3
	;; [unrolled: 4-line block ×5, first 2 shown]
	v_and_b32_e32 v2, 1, v2
	v_and_b32_e32 v5, 0xff, v1
	v_cndmask_b32_e32 v4, v15, v3, vcc
	v_cmp_eq_u32_e32 vcc, 1, v2
	v_mbcnt_hi_u32_b32 v11, -1, v50
	v_cndmask_b32_e64 v5, v5, 1, vcc
	v_and_b32_e32 v2, 15, v11
	v_mov_b32_dpp v6, v4 row_shr:1 row_mask:0xf bank_mask:0xf
	v_mov_b32_dpp v3, v5 row_shr:1 row_mask:0xf bank_mask:0xf
	v_cmp_ne_u32_e32 vcc, 0, v2
	s_and_saveexec_b64 s[26:27], vcc
; %bb.86:
	v_add_f32_e32 v6, v4, v6
	v_cmp_eq_u32_e32 vcc, 0, v5
	v_and_b32_e32 v5, 1, v5
	v_cndmask_b32_e32 v4, v4, v6, vcc
	v_and_b32_e32 v3, 1, v3
	v_cmp_eq_u32_e32 vcc, 1, v5
	v_cndmask_b32_e64 v5, v3, 1, vcc
; %bb.87:
	s_or_b64 exec, exec, s[26:27]
	v_mov_b32_dpp v6, v4 row_shr:2 row_mask:0xf bank_mask:0xf
	v_mov_b32_dpp v3, v5 row_shr:2 row_mask:0xf bank_mask:0xf
	v_cmp_lt_u32_e32 vcc, 1, v2
	s_and_saveexec_b64 s[26:27], vcc
; %bb.88:
	v_add_f32_e32 v6, v4, v6
	v_cmp_eq_u32_e32 vcc, 0, v5
	v_and_b32_e32 v5, 1, v5
	v_cndmask_b32_e32 v4, v4, v6, vcc
	v_and_b32_e32 v3, 1, v3
	v_cmp_eq_u32_e32 vcc, 1, v5
	v_cndmask_b32_e64 v5, v3, 1, vcc
; %bb.89:
	s_or_b64 exec, exec, s[26:27]
	v_mov_b32_dpp v6, v4 row_shr:4 row_mask:0xf bank_mask:0xf
	v_mov_b32_dpp v3, v5 row_shr:4 row_mask:0xf bank_mask:0xf
	v_cmp_lt_u32_e32 vcc, 3, v2
	s_and_saveexec_b64 s[26:27], vcc
; %bb.90:
	v_add_f32_e32 v6, v4, v6
	v_cmp_eq_u32_e32 vcc, 0, v5
	v_and_b32_e32 v5, 1, v5
	v_cndmask_b32_e32 v4, v4, v6, vcc
	v_and_b32_e32 v3, 1, v3
	v_cmp_eq_u32_e32 vcc, 1, v5
	v_cndmask_b32_e64 v5, v3, 1, vcc
; %bb.91:
	s_or_b64 exec, exec, s[26:27]
	v_mov_b32_dpp v6, v4 row_shr:8 row_mask:0xf bank_mask:0xf
	v_mov_b32_dpp v3, v5 row_shr:8 row_mask:0xf bank_mask:0xf
	v_cmp_lt_u32_e32 vcc, 7, v2
	s_and_saveexec_b64 s[26:27], vcc
; %bb.92:
	v_add_f32_e32 v2, v4, v6
	v_cmp_eq_u32_e32 vcc, 0, v5
	v_cndmask_b32_e32 v4, v4, v2, vcc
	v_and_b32_e32 v2, 1, v5
	v_and_b32_e32 v3, 1, v3
	v_cmp_eq_u32_e32 vcc, 1, v2
	v_cndmask_b32_e64 v5, v3, 1, vcc
; %bb.93:
	s_or_b64 exec, exec, s[26:27]
	v_and_b32_e32 v6, 16, v11
	v_mov_b32_dpp v3, v4 row_bcast:15 row_mask:0xf bank_mask:0xf
	v_mov_b32_dpp v2, v5 row_bcast:15 row_mask:0xf bank_mask:0xf
	v_cmp_ne_u32_e32 vcc, 0, v6
	s_and_saveexec_b64 s[26:27], vcc
; %bb.94:
	v_add_f32_e32 v3, v4, v3
	v_cmp_eq_u32_e32 vcc, 0, v5
	v_cndmask_b32_e32 v4, v4, v3, vcc
	v_and_b32_e32 v3, 1, v5
	v_and_b32_e32 v2, 1, v2
	v_cmp_eq_u32_e32 vcc, 1, v3
	v_cndmask_b32_e64 v5, v2, 1, vcc
; %bb.95:
	s_or_b64 exec, exec, s[26:27]
	v_mov_b32_dpp v3, v4 row_bcast:31 row_mask:0xf bank_mask:0xf
	v_mov_b32_dpp v2, v5 row_bcast:31 row_mask:0xf bank_mask:0xf
	v_cmp_lt_u32_e32 vcc, 31, v11
	s_and_saveexec_b64 s[26:27], vcc
; %bb.96:
	v_add_f32_e32 v3, v4, v3
	v_cmp_eq_u32_e32 vcc, 0, v5
	v_cndmask_b32_e32 v4, v4, v3, vcc
	v_and_b32_e32 v3, 1, v5
	v_and_b32_e32 v2, 1, v2
	v_cmp_eq_u32_e32 vcc, 1, v3
	v_cndmask_b32_e64 v5, v2, 1, vcc
; %bb.97:
	s_or_b64 exec, exec, s[26:27]
	v_or_b32_e32 v2, 63, v0
	v_lshrrev_b32_e32 v6, 6, v0
	v_cmp_eq_u32_e32 vcc, v2, v0
	s_and_saveexec_b64 s[26:27], vcc
	s_cbranch_execz .LBB1448_99
; %bb.98:
	v_lshlrev_b32_e32 v2, 3, v6
	ds_write_b32 v2, v4
	ds_write_b8 v2, v5 offset:4
.LBB1448_99:
	s_or_b64 exec, exec, s[26:27]
	v_cmp_gt_u32_e32 vcc, 4, v0
	s_waitcnt lgkmcnt(0)
	s_barrier
	s_and_saveexec_b64 s[26:27], vcc
	s_cbranch_execz .LBB1448_103
; %bb.100:
	v_lshlrev_b32_e32 v7, 3, v0
	ds_read_b64 v[2:3], v7
	v_and_b32_e32 v8, 3, v11
	v_cmp_ne_u32_e32 vcc, 0, v8
	s_waitcnt lgkmcnt(0)
	v_mov_b32_dpp v12, v2 row_shr:1 row_mask:0xf bank_mask:0xf
	v_mov_b32_dpp v10, v3 row_shr:1 row_mask:0xf bank_mask:0xf
	v_mov_b32_e32 v9, v3
	s_and_saveexec_b64 s[30:31], vcc
; %bb.101:
	v_mov_b32_e32 v9, 0
	v_add_f32_e32 v12, v2, v12
	v_cmp_eq_u16_sdwa vcc, v3, v9 src0_sel:BYTE_0 src1_sel:DWORD
	v_and_b32_e32 v9, 1, v3
	v_cndmask_b32_e32 v2, v2, v12, vcc
	v_and_b32_e32 v10, 1, v10
	v_cmp_eq_u32_e32 vcc, 1, v9
	v_cndmask_b32_e64 v9, v10, 1, vcc
	s_movk_i32 s38, 0xff00
	v_and_or_b32 v3, v3, s38, v9
; %bb.102:
	s_or_b64 exec, exec, s[30:31]
	v_mov_b32_e32 v13, 0
	v_mov_b32_dpp v12, v3 row_shr:2 row_mask:0xf bank_mask:0xf
	v_cmp_eq_u16_sdwa s[30:31], v9, v13 src0_sel:BYTE_0 src1_sel:DWORD
	v_and_b32_e32 v9, 1, v9
	v_and_b32_e32 v12, 1, v12
	v_cmp_eq_u32_e32 vcc, 1, v9
	v_mov_b32_dpp v10, v2 row_shr:2 row_mask:0xf bank_mask:0xf
	v_cndmask_b32_e64 v9, v12, 1, vcc
	v_cmp_lt_u32_e32 vcc, 1, v8
	v_add_f32_e32 v10, v2, v10
	v_cndmask_b32_e32 v3, v3, v9, vcc
	s_and_b64 vcc, vcc, s[30:31]
	v_cndmask_b32_e32 v2, v2, v10, vcc
	ds_write_b32 v7, v2
	ds_write_b8 v7, v3 offset:4
.LBB1448_103:
	s_or_b64 exec, exec, s[26:27]
	v_cmp_gt_u32_e32 vcc, 64, v0
	v_cmp_lt_u32_e64 s[26:27], 63, v0
	v_mov_b32_e32 v16, 0
	v_mov_b32_e32 v17, 0
	s_waitcnt lgkmcnt(0)
	s_barrier
	s_and_saveexec_b64 s[30:31], s[26:27]
	s_cbranch_execz .LBB1448_105
; %bb.104:
	v_lshl_add_u32 v2, v6, 3, -8
	ds_read_b32 v16, v2
	ds_read_u8 v17, v2 offset:4
	v_and_b32_e32 v2, 1, v5
	v_cmp_eq_u32_e64 s[26:27], 0, v5
	s_waitcnt lgkmcnt(1)
	v_add_f32_e32 v3, v4, v16
	s_waitcnt lgkmcnt(0)
	v_and_b32_e32 v6, 1, v17
	v_cndmask_b32_e64 v4, v4, v3, s[26:27]
	v_cmp_eq_u32_e64 s[26:27], 1, v2
	v_cndmask_b32_e64 v5, v6, 1, s[26:27]
.LBB1448_105:
	s_or_b64 exec, exec, s[30:31]
	v_add_u32_e32 v2, -1, v11
	v_and_b32_e32 v3, 64, v11
	v_cmp_lt_i32_e64 s[26:27], v2, v3
	v_cndmask_b32_e64 v2, v2, v11, s[26:27]
	v_lshlrev_b32_e32 v2, 2, v2
	ds_bpermute_b32 v18, v2, v4
	ds_bpermute_b32 v19, v2, v5
	v_cmp_eq_u32_e64 s[26:27], 0, v11
	s_and_saveexec_b64 s[30:31], vcc
	s_cbranch_execz .LBB1448_150
; %bb.106:
	v_mov_b32_e32 v5, 0
	ds_read_b64 v[2:3], v5 offset:24
	s_waitcnt lgkmcnt(0)
	v_readfirstlane_b32 s47, v3
	s_and_saveexec_b64 s[38:39], s[26:27]
	s_cbranch_execz .LBB1448_108
; %bb.107:
	s_add_i32 s40, s6, 64
	s_mov_b32 s41, 0
	s_lshl_b64 s[48:49], s[40:41], 4
	s_add_u32 s48, s44, s48
	s_addc_u32 s49, s45, s49
	s_and_b32 s55, s47, 0xff000000
	s_mov_b32 s54, s41
	s_and_b32 s57, s47, 0xff0000
	s_mov_b32 s56, s41
	s_or_b64 s[54:55], s[56:57], s[54:55]
	s_and_b32 s57, s47, 0xff00
	s_or_b64 s[54:55], s[54:55], s[56:57]
	s_and_b32 s57, s47, 0xff
	s_or_b64 s[40:41], s[54:55], s[56:57]
	v_mov_b32_e32 v3, s41
	v_mov_b32_e32 v4, 1
	v_pk_mov_b32 v[6:7], s[48:49], s[48:49] op_sel:[0,1]
	;;#ASMSTART
	global_store_dwordx4 v[6:7], v[2:5] off	
s_waitcnt vmcnt(0)
	;;#ASMEND
.LBB1448_108:
	s_or_b64 exec, exec, s[38:39]
	v_xad_u32 v10, v11, -1, s6
	v_add_u32_e32 v4, 64, v10
	v_lshlrev_b64 v[6:7], 4, v[4:5]
	v_mov_b32_e32 v3, s45
	v_add_co_u32_e32 v12, vcc, s44, v6
	v_addc_co_u32_e32 v13, vcc, v3, v7, vcc
	;;#ASMSTART
	global_load_dwordx4 v[6:9], v[12:13] off glc	
s_waitcnt vmcnt(0)
	;;#ASMEND
	v_cmp_eq_u16_sdwa s[40:41], v8, v5 src0_sel:BYTE_0 src1_sel:DWORD
	s_and_saveexec_b64 s[38:39], s[40:41]
	s_cbranch_execz .LBB1448_114
; %bb.109:
	s_mov_b32 s48, 1
	s_mov_b64 s[40:41], 0
	v_mov_b32_e32 v3, 0
.LBB1448_110:                           ; =>This Loop Header: Depth=1
                                        ;     Child Loop BB1448_111 Depth 2
	s_max_u32 s49, s48, 1
.LBB1448_111:                           ;   Parent Loop BB1448_110 Depth=1
                                        ; =>  This Inner Loop Header: Depth=2
	s_add_i32 s49, s49, -1
	s_cmp_eq_u32 s49, 0
	s_sleep 1
	s_cbranch_scc0 .LBB1448_111
; %bb.112:                              ;   in Loop: Header=BB1448_110 Depth=1
	s_cmp_lt_u32 s48, 32
	s_cselect_b64 s[54:55], -1, 0
	s_cmp_lg_u64 s[54:55], 0
	s_addc_u32 s48, s48, 0
	;;#ASMSTART
	global_load_dwordx4 v[6:9], v[12:13] off glc	
s_waitcnt vmcnt(0)
	;;#ASMEND
	v_cmp_ne_u16_sdwa s[54:55], v8, v3 src0_sel:BYTE_0 src1_sel:DWORD
	s_or_b64 s[40:41], s[54:55], s[40:41]
	s_andn2_b64 exec, exec, s[40:41]
	s_cbranch_execnz .LBB1448_110
; %bb.113:
	s_or_b64 exec, exec, s[40:41]
.LBB1448_114:
	s_or_b64 exec, exec, s[38:39]
	v_mov_b32_e32 v3, 2
	v_cmp_eq_u16_sdwa s[38:39], v8, v3 src0_sel:BYTE_0 src1_sel:DWORD
	v_lshlrev_b64 v[4:5], v11, -1
	v_and_b32_e32 v3, s39, v5
	v_or_b32_e32 v3, 0x80000000, v3
	v_ffbl_b32_e32 v22, v3
	v_and_b32_e32 v3, 63, v11
	v_cmp_ne_u32_e32 vcc, 63, v3
	v_addc_co_u32_e32 v13, vcc, 0, v11, vcc
	v_and_b32_e32 v12, 0xff, v7
	v_lshlrev_b32_e32 v20, 2, v13
	ds_bpermute_b32 v21, v20, v6
	ds_bpermute_b32 v13, v20, v12
	v_and_b32_e32 v9, s38, v4
	v_add_u32_e32 v22, 32, v22
	v_ffbl_b32_e32 v9, v9
	v_min_u32_e32 v9, v9, v22
	v_cmp_lt_u32_e32 vcc, v3, v9
	s_and_saveexec_b64 s[38:39], vcc
	s_cbranch_execz .LBB1448_116
; %bb.115:
	v_mov_b32_e32 v12, 0
	s_waitcnt lgkmcnt(1)
	v_add_f32_e32 v21, v6, v21
	v_cmp_eq_u16_sdwa vcc, v7, v12 src0_sel:BYTE_0 src1_sel:DWORD
	v_and_b32_e32 v7, 1, v7
	v_cndmask_b32_e32 v6, v6, v21, vcc
	s_waitcnt lgkmcnt(0)
	v_and_b32_e32 v12, 1, v13
	v_cmp_eq_u32_e32 vcc, 1, v7
	v_cndmask_b32_e64 v7, v12, 1, vcc
	v_and_b32_e32 v12, 0xffff, v7
.LBB1448_116:
	s_or_b64 exec, exec, s[38:39]
	v_cmp_gt_u32_e32 vcc, 62, v3
	s_waitcnt lgkmcnt(0)
	v_cndmask_b32_e64 v13, 0, 1, vcc
	v_lshlrev_b32_e32 v13, 1, v13
	v_add_lshl_u32 v21, v13, v11, 2
	ds_bpermute_b32 v23, v21, v6
	ds_bpermute_b32 v13, v21, v12
	v_add_u32_e32 v22, 2, v3
	v_cmp_le_u32_e32 vcc, v22, v9
	s_and_saveexec_b64 s[38:39], vcc
	s_cbranch_execz .LBB1448_118
; %bb.117:
	v_mov_b32_e32 v12, 0
	s_waitcnt lgkmcnt(1)
	v_add_f32_e32 v23, v6, v23
	v_cmp_eq_u16_sdwa vcc, v7, v12 src0_sel:BYTE_0 src1_sel:DWORD
	v_and_b32_e32 v7, 1, v7
	v_cndmask_b32_e32 v6, v6, v23, vcc
	s_waitcnt lgkmcnt(0)
	v_and_b32_e32 v12, 1, v13
	v_cmp_eq_u32_e32 vcc, 1, v7
	v_cndmask_b32_e64 v7, v12, 1, vcc
	v_and_b32_e32 v12, 0xffff, v7
.LBB1448_118:
	s_or_b64 exec, exec, s[38:39]
	v_cmp_gt_u32_e32 vcc, 60, v3
	s_waitcnt lgkmcnt(0)
	v_cndmask_b32_e64 v13, 0, 1, vcc
	v_lshlrev_b32_e32 v13, 2, v13
	v_add_lshl_u32 v23, v13, v11, 2
	ds_bpermute_b32 v54, v23, v6
	ds_bpermute_b32 v13, v23, v12
	v_add_u32_e32 v53, 4, v3
	v_cmp_le_u32_e32 vcc, v53, v9
	;; [unrolled: 25-line block ×5, first 2 shown]
	s_and_saveexec_b64 s[38:39], vcc
	s_cbranch_execz .LBB1448_126
; %bb.125:
	v_mov_b32_e32 v9, 0
	s_waitcnt lgkmcnt(1)
	v_add_f32_e32 v12, v6, v13
	v_cmp_eq_u16_sdwa vcc, v7, v9 src0_sel:BYTE_0 src1_sel:DWORD
	v_and_b32_e32 v7, 1, v7
	v_cndmask_b32_e32 v6, v6, v12, vcc
	s_waitcnt lgkmcnt(0)
	v_and_b32_e32 v9, 1, v11
	v_cmp_eq_u32_e32 vcc, 1, v7
	v_cndmask_b32_e64 v7, v9, 1, vcc
.LBB1448_126:
	s_or_b64 exec, exec, s[38:39]
	s_waitcnt lgkmcnt(0)
	v_mov_b32_e32 v11, 0
	v_mov_b32_e32 v62, 2
	s_branch .LBB1448_128
.LBB1448_127:                           ;   in Loop: Header=BB1448_128 Depth=1
	s_or_b64 exec, exec, s[38:39]
	s_waitcnt lgkmcnt(0)
	ds_bpermute_b32 v13, v59, v6
	ds_bpermute_b32 v12, v59, v12
	v_and_b32_e32 v63, 1, v7
	v_cmp_eq_u16_sdwa vcc, v7, v11 src0_sel:BYTE_0 src1_sel:DWORD
	v_subrev_u32_e32 v10, 64, v10
	s_waitcnt lgkmcnt(1)
	v_add_f32_e32 v13, v6, v13
	v_cndmask_b32_e32 v13, v6, v13, vcc
	v_cmp_eq_u32_e32 vcc, 1, v63
	s_waitcnt lgkmcnt(0)
	v_cndmask_b32_e64 v12, v12, 1, vcc
	v_cmp_gt_u32_e32 vcc, v61, v9
	v_cndmask_b32_e32 v6, v13, v6, vcc
	v_cndmask_b32_e32 v7, v12, v7, vcc
	v_add_f32_e32 v6, v60, v6
	v_cmp_eq_u16_sdwa vcc, v58, v11 src0_sel:BYTE_0 src1_sel:DWORD
	v_and_b32_e32 v9, 1, v58
	v_cndmask_b32_e32 v6, v60, v6, vcc
	v_and_b32_e32 v7, 1, v7
	v_cmp_eq_u32_e32 vcc, 1, v9
	v_cndmask_b32_e64 v7, v7, 1, vcc
.LBB1448_128:                           ; =>This Loop Header: Depth=1
                                        ;     Child Loop BB1448_131 Depth 2
                                        ;       Child Loop BB1448_132 Depth 3
	v_cmp_ne_u16_sdwa s[38:39], v8, v62 src0_sel:BYTE_0 src1_sel:DWORD
	v_mov_b32_e32 v58, v7
	v_cndmask_b32_e64 v7, 0, 1, s[38:39]
	;;#ASMSTART
	;;#ASMEND
	v_cmp_ne_u32_e32 vcc, 0, v7
	s_cmp_lg_u64 vcc, exec
	v_mov_b32_e32 v60, v6
	s_cbranch_scc1 .LBB1448_145
; %bb.129:                              ;   in Loop: Header=BB1448_128 Depth=1
	v_lshlrev_b64 v[6:7], 4, v[10:11]
	v_mov_b32_e32 v8, s45
	v_add_co_u32_e32 v12, vcc, s44, v6
	v_addc_co_u32_e32 v13, vcc, v8, v7, vcc
	;;#ASMSTART
	global_load_dwordx4 v[6:9], v[12:13] off glc	
s_waitcnt vmcnt(0)
	;;#ASMEND
	v_cmp_eq_u16_sdwa s[40:41], v8, v11 src0_sel:BYTE_0 src1_sel:DWORD
	s_and_saveexec_b64 s[38:39], s[40:41]
	s_cbranch_execz .LBB1448_135
; %bb.130:                              ;   in Loop: Header=BB1448_128 Depth=1
	s_mov_b32 s48, 1
	s_mov_b64 s[40:41], 0
.LBB1448_131:                           ;   Parent Loop BB1448_128 Depth=1
                                        ; =>  This Loop Header: Depth=2
                                        ;       Child Loop BB1448_132 Depth 3
	s_max_u32 s49, s48, 1
.LBB1448_132:                           ;   Parent Loop BB1448_128 Depth=1
                                        ;     Parent Loop BB1448_131 Depth=2
                                        ; =>    This Inner Loop Header: Depth=3
	s_add_i32 s49, s49, -1
	s_cmp_eq_u32 s49, 0
	s_sleep 1
	s_cbranch_scc0 .LBB1448_132
; %bb.133:                              ;   in Loop: Header=BB1448_131 Depth=2
	s_cmp_lt_u32 s48, 32
	s_cselect_b64 s[54:55], -1, 0
	s_cmp_lg_u64 s[54:55], 0
	s_addc_u32 s48, s48, 0
	;;#ASMSTART
	global_load_dwordx4 v[6:9], v[12:13] off glc	
s_waitcnt vmcnt(0)
	;;#ASMEND
	v_cmp_ne_u16_sdwa s[54:55], v8, v11 src0_sel:BYTE_0 src1_sel:DWORD
	s_or_b64 s[40:41], s[54:55], s[40:41]
	s_andn2_b64 exec, exec, s[40:41]
	s_cbranch_execnz .LBB1448_131
; %bb.134:                              ;   in Loop: Header=BB1448_128 Depth=1
	s_or_b64 exec, exec, s[40:41]
.LBB1448_135:                           ;   in Loop: Header=BB1448_128 Depth=1
	s_or_b64 exec, exec, s[38:39]
	v_cmp_eq_u16_sdwa s[38:39], v8, v62 src0_sel:BYTE_0 src1_sel:DWORD
	v_and_b32_e32 v9, s39, v5
	v_and_b32_e32 v12, 0xff, v7
	v_or_b32_e32 v9, 0x80000000, v9
	ds_bpermute_b32 v63, v20, v6
	ds_bpermute_b32 v13, v20, v12
	v_and_b32_e32 v64, s38, v4
	v_ffbl_b32_e32 v9, v9
	v_add_u32_e32 v9, 32, v9
	v_ffbl_b32_e32 v64, v64
	v_min_u32_e32 v9, v64, v9
	v_cmp_lt_u32_e32 vcc, v3, v9
	s_and_saveexec_b64 s[38:39], vcc
	s_cbranch_execz .LBB1448_137
; %bb.136:                              ;   in Loop: Header=BB1448_128 Depth=1
	s_waitcnt lgkmcnt(1)
	v_add_f32_e32 v12, v6, v63
	v_cmp_eq_u16_sdwa vcc, v7, v11 src0_sel:BYTE_0 src1_sel:DWORD
	v_and_b32_e32 v7, 1, v7
	v_cndmask_b32_e32 v6, v6, v12, vcc
	s_waitcnt lgkmcnt(0)
	v_and_b32_e32 v12, 1, v13
	v_cmp_eq_u32_e32 vcc, 1, v7
	v_cndmask_b32_e64 v7, v12, 1, vcc
	v_and_b32_e32 v12, 0xffff, v7
.LBB1448_137:                           ;   in Loop: Header=BB1448_128 Depth=1
	s_or_b64 exec, exec, s[38:39]
	s_waitcnt lgkmcnt(1)
	ds_bpermute_b32 v63, v21, v6
	s_waitcnt lgkmcnt(1)
	ds_bpermute_b32 v13, v21, v12
	v_cmp_le_u32_e32 vcc, v22, v9
	s_and_saveexec_b64 s[38:39], vcc
	s_cbranch_execz .LBB1448_139
; %bb.138:                              ;   in Loop: Header=BB1448_128 Depth=1
	s_waitcnt lgkmcnt(1)
	v_add_f32_e32 v12, v6, v63
	v_cmp_eq_u16_sdwa vcc, v7, v11 src0_sel:BYTE_0 src1_sel:DWORD
	v_and_b32_e32 v7, 1, v7
	v_cndmask_b32_e32 v6, v6, v12, vcc
	s_waitcnt lgkmcnt(0)
	v_and_b32_e32 v12, 1, v13
	v_cmp_eq_u32_e32 vcc, 1, v7
	v_cndmask_b32_e64 v7, v12, 1, vcc
	v_and_b32_e32 v12, 0xffff, v7
.LBB1448_139:                           ;   in Loop: Header=BB1448_128 Depth=1
	s_or_b64 exec, exec, s[38:39]
	s_waitcnt lgkmcnt(1)
	ds_bpermute_b32 v63, v23, v6
	s_waitcnt lgkmcnt(1)
	ds_bpermute_b32 v13, v23, v12
	v_cmp_le_u32_e32 vcc, v53, v9
	;; [unrolled: 20-line block ×4, first 2 shown]
	s_and_saveexec_b64 s[38:39], vcc
	s_cbranch_execz .LBB1448_127
; %bb.144:                              ;   in Loop: Header=BB1448_128 Depth=1
	s_waitcnt lgkmcnt(1)
	v_add_f32_e32 v12, v6, v63
	v_cmp_eq_u16_sdwa vcc, v7, v11 src0_sel:BYTE_0 src1_sel:DWORD
	v_and_b32_e32 v7, 1, v7
	v_cndmask_b32_e32 v6, v6, v12, vcc
	s_waitcnt lgkmcnt(0)
	v_and_b32_e32 v12, 1, v13
	v_cmp_eq_u32_e32 vcc, 1, v7
	v_cndmask_b32_e64 v7, v12, 1, vcc
	v_and_b32_e32 v12, 0xffff, v7
	s_branch .LBB1448_127
.LBB1448_145:                           ;   in Loop: Header=BB1448_128 Depth=1
                                        ; implicit-def: $vgpr7
	s_cbranch_execz .LBB1448_128
; %bb.146:
	s_and_saveexec_b64 s[38:39], s[26:27]
	s_cbranch_execz .LBB1448_148
; %bb.147:
	s_and_b32 s40, s47, 0xff
	s_cmp_eq_u32 s40, 0
	s_cselect_b64 vcc, -1, 0
	s_bitcmp1_b32 s47, 0
	s_mov_b32 s41, 0
	s_cselect_b64 s[48:49], -1, 0
	s_add_i32 s40, s6, 64
	s_lshl_b64 s[40:41], s[40:41], 4
	v_add_f32_e32 v3, v60, v2
	s_add_u32 s40, s44, s40
	v_cndmask_b32_e32 v2, v2, v3, vcc
	v_and_b32_e32 v3, 1, v58
	s_addc_u32 s41, s45, s41
	v_cndmask_b32_e64 v3, v3, 1, s[48:49]
	v_mov_b32_e32 v4, 2
	v_mov_b32_e32 v5, 0
	v_pk_mov_b32 v[6:7], s[40:41], s[40:41] op_sel:[0,1]
	;;#ASMSTART
	global_store_dwordx4 v[6:7], v[2:5] off	
s_waitcnt vmcnt(0)
	;;#ASMEND
.LBB1448_148:
	s_or_b64 exec, exec, s[38:39]
	v_cmp_eq_u32_e32 vcc, 0, v0
	s_and_b64 exec, exec, vcc
	s_cbranch_execz .LBB1448_150
; %bb.149:
	v_mov_b32_e32 v2, 0
	ds_write_b32 v2, v60 offset:24
	ds_write_b8 v2, v58 offset:28
.LBB1448_150:
	s_or_b64 exec, exec, s[30:31]
	v_mov_b32_e32 v3, 0
	s_waitcnt lgkmcnt(0)
	s_barrier
	ds_read_b32 v2, v3 offset:24
	v_cndmask_b32_e64 v4, v19, v17, s[26:27]
	v_cndmask_b32_e64 v5, v18, v16, s[26:27]
	v_cmp_eq_u32_sdwa vcc, v4, v3 src0_sel:BYTE_0 src1_sel:DWORD
	s_waitcnt lgkmcnt(0)
	v_add_f32_e32 v6, v5, v2
	v_cndmask_b32_e32 v4, v5, v6, vcc
	v_cmp_eq_u32_e32 vcc, 0, v0
	v_cndmask_b32_e32 v2, v4, v2, vcc
	v_add_f32_e32 v4, v28, v2
	v_cmp_eq_u16_sdwa vcc, v1, v3 src0_sel:BYTE_0 src1_sel:DWORD
	v_cndmask_b32_e32 v3, v28, v4, vcc
	v_add_f32_e32 v4, v26, v3
	v_cndmask_b32_e64 v16, v26, v4, s[2:3]
	v_add_f32_e32 v4, v27, v16
	v_cndmask_b32_e64 v17, v27, v4, s[4:5]
	;; [unrolled: 2-line block ×12, first 2 shown]
	s_branch .LBB1448_189
.LBB1448_151:
	s_or_b64 exec, exec, s[30:31]
                                        ; implicit-def: $vgpr29
	s_and_saveexec_b64 s[30:31], s[2:3]
	s_cbranch_execz .LBB1448_33
.LBB1448_152:
	v_mov_b32_e32 v29, s56
	v_add_co_u32_e32 v30, vcc, s47, v27
	v_addc_co_u32_e32 v31, vcc, 0, v29, vcc
	flat_load_dword v29, v[30:31] offset:1024
	s_or_b64 exec, exec, s[30:31]
                                        ; implicit-def: $vgpr30
	s_and_saveexec_b64 s[2:3], s[4:5]
	s_cbranch_execnz .LBB1448_34
.LBB1448_153:
	s_or_b64 exec, exec, s[2:3]
                                        ; implicit-def: $vgpr31
	s_and_saveexec_b64 s[2:3], s[28:29]
	s_cbranch_execz .LBB1448_35
.LBB1448_154:
	v_mov_b32_e32 v31, s56
	v_add_co_u32_e32 v32, vcc, s47, v27
	v_addc_co_u32_e32 v33, vcc, 0, v31, vcc
	flat_load_dword v31, v[32:33] offset:3072
	s_or_b64 exec, exec, s[2:3]
                                        ; implicit-def: $vgpr32
	s_and_saveexec_b64 s[2:3], s[8:9]
	s_cbranch_execnz .LBB1448_36
.LBB1448_155:
	s_or_b64 exec, exec, s[2:3]
                                        ; implicit-def: $vgpr1
	s_and_saveexec_b64 s[2:3], s[10:11]
	s_cbranch_execz .LBB1448_37
.LBB1448_156:
	v_lshlrev_b32_e32 v1, 2, v16
	v_mov_b32_e32 v16, s56
	v_add_co_u32_e32 v34, vcc, s47, v1
	v_addc_co_u32_e32 v35, vcc, 0, v16, vcc
	flat_load_dword v1, v[34:35]
	s_or_b64 exec, exec, s[2:3]
                                        ; implicit-def: $vgpr16
	s_and_saveexec_b64 s[2:3], s[12:13]
	s_cbranch_execnz .LBB1448_38
.LBB1448_157:
	s_or_b64 exec, exec, s[2:3]
                                        ; implicit-def: $vgpr17
	s_and_saveexec_b64 s[2:3], s[14:15]
	s_cbranch_execz .LBB1448_39
.LBB1448_158:
	v_lshlrev_b32_e32 v17, 2, v20
	v_mov_b32_e32 v20, s56
	v_add_co_u32_e32 v34, vcc, s47, v17
	v_addc_co_u32_e32 v35, vcc, 0, v20, vcc
	flat_load_dword v17, v[34:35]
	s_or_b64 exec, exec, s[2:3]
                                        ; implicit-def: $vgpr33
	s_and_saveexec_b64 s[2:3], s[16:17]
	s_cbranch_execnz .LBB1448_40
.LBB1448_159:
	s_or_b64 exec, exec, s[2:3]
                                        ; implicit-def: $vgpr21
	s_and_saveexec_b64 s[2:3], s[18:19]
	s_cbranch_execz .LBB1448_41
.LBB1448_160:
	v_lshlrev_b32_e32 v20, 2, v22
	v_mov_b32_e32 v21, s56
	v_add_co_u32_e32 v20, vcc, s47, v20
	v_addc_co_u32_e32 v21, vcc, 0, v21, vcc
	flat_load_dword v21, v[20:21]
	s_or_b64 exec, exec, s[2:3]
                                        ; implicit-def: $vgpr22
	s_and_saveexec_b64 s[2:3], s[20:21]
	s_cbranch_execnz .LBB1448_42
.LBB1448_161:
	s_or_b64 exec, exec, s[2:3]
                                        ; implicit-def: $vgpr23
	s_and_saveexec_b64 s[2:3], s[22:23]
	s_cbranch_execz .LBB1448_43
.LBB1448_162:
	v_lshlrev_b32_e32 v20, 2, v24
	v_mov_b32_e32 v23, s56
	v_add_co_u32_e32 v34, vcc, s47, v20
	v_addc_co_u32_e32 v35, vcc, 0, v23, vcc
	flat_load_dword v23, v[34:35]
	s_or_b64 exec, exec, s[2:3]
                                        ; implicit-def: $vgpr24
	s_and_saveexec_b64 s[2:3], s[24:25]
	s_cbranch_execz .LBB1448_45
	s_branch .LBB1448_44
.LBB1448_163:
                                        ; implicit-def: $vgpr23
                                        ; implicit-def: $vgpr21
                                        ; implicit-def: $vgpr19
                                        ; implicit-def: $vgpr17
                                        ; implicit-def: $vgpr10_vgpr11_vgpr12_vgpr13
                                        ; implicit-def: $vgpr6_vgpr7_vgpr8_vgpr9
                                        ; implicit-def: $vgpr2_vgpr3_vgpr4_vgpr5
	s_cbranch_execz .LBB1448_189
; %bb.164:
	s_cmp_lg_u64 s[52:53], 0
	s_cselect_b32 s3, s51, 0
	s_cselect_b32 s2, s50, 0
	s_cmp_eq_u64 s[2:3], 0
	v_mov_b32_e32 v4, s7
	s_cbranch_scc1 .LBB1448_166
; %bb.165:
	v_mov_b32_e32 v2, 0
	global_load_dword v4, v2, s[2:3]
.LBB1448_166:
	v_mov_b32_e32 v2, 0
	v_cmp_eq_u16_sdwa s[2:3], v32, v2 src0_sel:BYTE_0 src1_sel:DWORD
	v_cndmask_b32_e64 v3, v26, v52, s[2:3]
	v_add_f32_e32 v3, v27, v3
	v_cmp_eq_u16_sdwa s[4:5], v35, v2 src0_sel:BYTE_0 src1_sel:DWORD
	v_cndmask_b32_e64 v3, v27, v3, s[4:5]
	v_add_f32_e32 v3, v29, v3
	;; [unrolled: 3-line block ×7, first 2 shown]
	v_cmp_eq_u16_sdwa s[16:17], v45, v2 src0_sel:BYTE_0 src1_sel:DWORD
	v_cmp_eq_u16_sdwa s[18:19], v46, v2 src0_sel:BYTE_0 src1_sel:DWORD
	;; [unrolled: 1-line block ×4, first 2 shown]
	v_cmp_eq_u16_sdwa vcc, v39, v2 src0_sel:BYTE_0 src1_sel:DWORD
	v_cmp_eq_u16_sdwa s[24:25], v14, v2 src0_sel:BYTE_0 src1_sel:DWORD
	v_or_b32_e32 v2, v51, v47
	v_cndmask_b32_e64 v3, v34, v3, s[16:17]
	v_or_b32_e32 v2, v2, v46
	v_add_f32_e32 v3, v36, v3
	v_or_b32_e32 v2, v2, v45
	v_cndmask_b32_e64 v3, v36, v3, s[18:19]
	v_or_b32_e32 v2, v2, v44
	v_add_f32_e32 v3, v37, v3
	;; [unrolled: 4-line block ×4, first 2 shown]
	v_or_b32_e32 v2, v2, v35
	v_cndmask_b32_e32 v3, v24, v3, vcc
	v_or_b32_e32 v2, v2, v32
	v_add_f32_e32 v3, v15, v3
	v_and_b32_e32 v2, 1, v2
	v_and_b32_e32 v6, 0xff, v1
	v_cndmask_b32_e64 v5, v15, v3, s[24:25]
	v_cmp_eq_u32_e64 s[24:25], 1, v2
	v_cndmask_b32_e64 v7, v6, 1, s[24:25]
	v_mbcnt_hi_u32_b32 v6, -1, v50
	v_and_b32_e32 v2, 15, v6
	v_mov_b32_dpp v8, v5 row_shr:1 row_mask:0xf bank_mask:0xf
	v_mov_b32_dpp v3, v7 row_shr:1 row_mask:0xf bank_mask:0xf
	v_cmp_ne_u32_e64 s[24:25], 0, v2
	s_and_saveexec_b64 s[26:27], s[24:25]
; %bb.167:
	v_add_f32_e32 v8, v5, v8
	v_cmp_eq_u32_e64 s[24:25], 0, v7
	v_and_b32_e32 v7, 1, v7
	v_cndmask_b32_e64 v5, v5, v8, s[24:25]
	v_and_b32_e32 v3, 1, v3
	v_cmp_eq_u32_e64 s[24:25], 1, v7
	v_cndmask_b32_e64 v7, v3, 1, s[24:25]
; %bb.168:
	s_or_b64 exec, exec, s[26:27]
	v_mov_b32_dpp v8, v5 row_shr:2 row_mask:0xf bank_mask:0xf
	v_mov_b32_dpp v3, v7 row_shr:2 row_mask:0xf bank_mask:0xf
	v_cmp_lt_u32_e64 s[24:25], 1, v2
	s_and_saveexec_b64 s[26:27], s[24:25]
; %bb.169:
	v_add_f32_e32 v8, v5, v8
	v_cmp_eq_u32_e64 s[24:25], 0, v7
	v_and_b32_e32 v7, 1, v7
	v_cndmask_b32_e64 v5, v5, v8, s[24:25]
	v_and_b32_e32 v3, 1, v3
	v_cmp_eq_u32_e64 s[24:25], 1, v7
	v_cndmask_b32_e64 v7, v3, 1, s[24:25]
; %bb.170:
	s_or_b64 exec, exec, s[26:27]
	v_mov_b32_dpp v8, v5 row_shr:4 row_mask:0xf bank_mask:0xf
	v_mov_b32_dpp v3, v7 row_shr:4 row_mask:0xf bank_mask:0xf
	v_cmp_lt_u32_e64 s[24:25], 3, v2
	;; [unrolled: 14-line block ×3, first 2 shown]
	s_and_saveexec_b64 s[26:27], s[24:25]
; %bb.173:
	v_add_f32_e32 v2, v5, v8
	v_cmp_eq_u32_e64 s[24:25], 0, v7
	v_cndmask_b32_e64 v5, v5, v2, s[24:25]
	v_and_b32_e32 v2, 1, v7
	v_and_b32_e32 v3, 1, v3
	v_cmp_eq_u32_e64 s[24:25], 1, v2
	v_cndmask_b32_e64 v7, v3, 1, s[24:25]
; %bb.174:
	s_or_b64 exec, exec, s[26:27]
	v_and_b32_e32 v8, 16, v6
	v_mov_b32_dpp v3, v5 row_bcast:15 row_mask:0xf bank_mask:0xf
	v_mov_b32_dpp v2, v7 row_bcast:15 row_mask:0xf bank_mask:0xf
	v_cmp_ne_u32_e64 s[24:25], 0, v8
	s_and_saveexec_b64 s[26:27], s[24:25]
; %bb.175:
	v_add_f32_e32 v3, v5, v3
	v_cmp_eq_u32_e64 s[24:25], 0, v7
	v_cndmask_b32_e64 v5, v5, v3, s[24:25]
	v_and_b32_e32 v3, 1, v7
	v_and_b32_e32 v2, 1, v2
	v_cmp_eq_u32_e64 s[24:25], 1, v3
	v_cndmask_b32_e64 v7, v2, 1, s[24:25]
; %bb.176:
	s_or_b64 exec, exec, s[26:27]
	v_mov_b32_dpp v3, v5 row_bcast:31 row_mask:0xf bank_mask:0xf
	v_mov_b32_dpp v2, v7 row_bcast:31 row_mask:0xf bank_mask:0xf
	v_cmp_lt_u32_e64 s[24:25], 31, v6
	s_and_saveexec_b64 s[26:27], s[24:25]
; %bb.177:
	v_add_f32_e32 v3, v5, v3
	v_cmp_eq_u32_e64 s[24:25], 0, v7
	v_cndmask_b32_e64 v5, v5, v3, s[24:25]
	v_and_b32_e32 v3, 1, v7
	v_and_b32_e32 v2, 1, v2
	v_cmp_eq_u32_e64 s[24:25], 1, v3
	v_cndmask_b32_e64 v7, v2, 1, s[24:25]
; %bb.178:
	s_or_b64 exec, exec, s[26:27]
	v_or_b32_e32 v2, 63, v0
	v_lshrrev_b32_e32 v8, 6, v0
	v_cmp_eq_u32_e64 s[24:25], v2, v0
	s_and_saveexec_b64 s[26:27], s[24:25]
	s_cbranch_execz .LBB1448_180
; %bb.179:
	v_lshlrev_b32_e32 v2, 3, v8
	ds_write_b32 v2, v5
	ds_write_b8 v2, v7 offset:4
.LBB1448_180:
	s_or_b64 exec, exec, s[26:27]
	v_cmp_gt_u32_e64 s[24:25], 4, v0
	s_waitcnt lgkmcnt(0)
	s_barrier
	s_and_saveexec_b64 s[26:27], s[24:25]
	s_cbranch_execz .LBB1448_184
; %bb.181:
	v_lshlrev_b32_e32 v9, 3, v0
	ds_read_b64 v[2:3], v9
	v_and_b32_e32 v10, 3, v6
	v_cmp_ne_u32_e64 s[24:25], 0, v10
	s_waitcnt lgkmcnt(0)
	v_mov_b32_dpp v13, v2 row_shr:1 row_mask:0xf bank_mask:0xf
	v_mov_b32_dpp v12, v3 row_shr:1 row_mask:0xf bank_mask:0xf
	v_mov_b32_e32 v11, v3
	s_and_saveexec_b64 s[28:29], s[24:25]
; %bb.182:
	v_mov_b32_e32 v11, 0
	v_add_f32_e32 v13, v2, v13
	v_cmp_eq_u16_sdwa s[24:25], v3, v11 src0_sel:BYTE_0 src1_sel:DWORD
	v_and_b32_e32 v11, 1, v3
	v_cndmask_b32_e64 v2, v2, v13, s[24:25]
	v_and_b32_e32 v12, 1, v12
	v_cmp_eq_u32_e64 s[24:25], 1, v11
	v_cndmask_b32_e64 v11, v12, 1, s[24:25]
	s_movk_i32 s24, 0xff00
	v_and_or_b32 v3, v3, s24, v11
; %bb.183:
	s_or_b64 exec, exec, s[28:29]
	v_mov_b32_e32 v14, 0
	v_mov_b32_dpp v13, v3 row_shr:2 row_mask:0xf bank_mask:0xf
	v_cmp_eq_u16_sdwa s[28:29], v11, v14 src0_sel:BYTE_0 src1_sel:DWORD
	v_and_b32_e32 v11, 1, v11
	v_and_b32_e32 v13, 1, v13
	v_cmp_eq_u32_e64 s[24:25], 1, v11
	v_mov_b32_dpp v12, v2 row_shr:2 row_mask:0xf bank_mask:0xf
	v_cndmask_b32_e64 v11, v13, 1, s[24:25]
	v_cmp_lt_u32_e64 s[24:25], 1, v10
	v_add_f32_e32 v12, v2, v12
	v_cndmask_b32_e64 v3, v3, v11, s[24:25]
	s_and_b64 s[24:25], s[24:25], s[28:29]
	v_cndmask_b32_e64 v2, v2, v12, s[24:25]
	ds_write_b32 v9, v2
	ds_write_b8 v9, v3 offset:4
.LBB1448_184:
	s_or_b64 exec, exec, s[26:27]
	v_cmp_lt_u32_e64 s[24:25], 63, v0
	s_waitcnt vmcnt(0)
	v_mov_b32_e32 v2, v4
	s_waitcnt lgkmcnt(0)
	s_barrier
	s_and_saveexec_b64 s[26:27], s[24:25]
	s_cbranch_execz .LBB1448_186
; %bb.185:
	v_lshl_add_u32 v2, v8, 3, -8
	ds_read_b32 v3, v2
	ds_read_u8 v2, v2 offset:4
	s_waitcnt lgkmcnt(1)
	v_add_f32_e32 v8, v4, v3
	s_waitcnt lgkmcnt(0)
	v_cmp_eq_u16_e64 s[24:25], 0, v2
	v_cndmask_b32_e64 v2, v3, v8, s[24:25]
.LBB1448_186:
	s_or_b64 exec, exec, s[26:27]
	v_add_f32_e32 v3, v5, v2
	v_cmp_eq_u32_e64 s[24:25], 0, v7
	v_cndmask_b32_e64 v3, v5, v3, s[24:25]
	v_add_u32_e32 v5, -1, v6
	v_and_b32_e32 v7, 64, v6
	v_cmp_lt_i32_e64 s[24:25], v5, v7
	v_cndmask_b32_e64 v5, v5, v6, s[24:25]
	v_lshlrev_b32_e32 v5, 2, v5
	ds_bpermute_b32 v3, v5, v3
	v_cmp_eq_u32_e64 s[24:25], 0, v6
	v_mov_b32_e32 v15, 0
	v_cmp_eq_u16_sdwa s[26:27], v1, v15 src0_sel:BYTE_0 src1_sel:DWORD
	s_waitcnt lgkmcnt(0)
	v_cndmask_b32_e64 v2, v3, v2, s[24:25]
	v_cmp_eq_u32_e64 s[24:25], 0, v0
	v_cndmask_b32_e64 v3, v2, v4, s[24:25]
	v_add_f32_e32 v3, v28, v3
	v_cndmask_b32_e64 v3, v28, v3, s[26:27]
	v_add_f32_e32 v1, v26, v3
	;; [unrolled: 2-line block ×13, first 2 shown]
	s_and_saveexec_b64 s[4:5], s[24:25]
	s_cbranch_execz .LBB1448_188
; %bb.187:
	ds_read_b32 v2, v15 offset:24
	ds_read_u8 v5, v15 offset:28
	s_add_u32 s6, s44, 0x400
	s_addc_u32 s7, s45, 0
	v_mov_b32_e32 v14, 2
	s_waitcnt lgkmcnt(1)
	v_add_f32_e32 v8, v4, v2
	s_waitcnt lgkmcnt(0)
	v_cmp_eq_u16_e64 s[2:3], 0, v5
	v_cndmask_b32_e64 v12, v2, v8, s[2:3]
	v_and_b32_e32 v13, 0xffff, v5
	v_pk_mov_b32 v[8:9], s[6:7], s[6:7] op_sel:[0,1]
	;;#ASMSTART
	global_store_dwordx4 v[8:9], v[12:15] off	
s_waitcnt vmcnt(0)
	;;#ASMEND
	v_mov_b32_e32 v2, v4
.LBB1448_188:
	s_or_b64 exec, exec, s[4:5]
	v_cndmask_b32_e32 v23, v24, v1, vcc
.LBB1448_189:
	s_add_u32 s2, s42, s34
	s_addc_u32 s3, s43, s35
	s_add_u32 s4, s2, s36
	v_mul_u32_u24_e32 v1, 14, v0
	s_addc_u32 s5, s3, s37
	s_and_b64 vcc, exec, s[0:1]
	v_lshlrev_b32_e32 v4, 2, v1
	s_cbranch_vccz .LBB1448_217
; %bb.190:
	s_movk_i32 s0, 0xffcc
	v_mad_i32_i24 v5, v0, s0, v4
	s_barrier
	ds_write2_b64 v4, v[2:3], v[16:17] offset1:1
	ds_write2_b64 v4, v[6:7], v[18:19] offset0:2 offset1:3
	ds_write2_b64 v4, v[10:11], v[20:21] offset0:4 offset1:5
	ds_write_b64 v4, v[22:23] offset:48
	s_waitcnt lgkmcnt(0)
	s_barrier
	ds_read2st64_b32 v[30:31], v5 offset0:4 offset1:8
	ds_read2st64_b32 v[28:29], v5 offset0:12 offset1:16
	;; [unrolled: 1-line block ×6, first 2 shown]
	ds_read_b32 v5, v5 offset:13312
	v_mov_b32_e32 v13, s5
	v_add_co_u32_e32 v12, vcc, s4, v49
	s_add_i32 s33, s33, s46
	v_addc_co_u32_e32 v13, vcc, 0, v13, vcc
	v_mov_b32_e32 v1, 0
	v_cmp_gt_u32_e32 vcc, s33, v0
	s_and_saveexec_b64 s[0:1], vcc
	s_cbranch_execz .LBB1448_192
; %bb.191:
	v_mul_i32_i24_e32 v32, 0xffffffcc, v0
	v_add_u32_e32 v32, v4, v32
	ds_read_b32 v32, v32
	s_waitcnt lgkmcnt(0)
	flat_store_dword v[12:13], v32
.LBB1448_192:
	s_or_b64 exec, exec, s[0:1]
	v_or_b32_e32 v32, 0x100, v0
	v_cmp_gt_u32_e32 vcc, s33, v32
	s_and_saveexec_b64 s[0:1], vcc
	s_cbranch_execz .LBB1448_194
; %bb.193:
	s_waitcnt lgkmcnt(0)
	flat_store_dword v[12:13], v30 offset:1024
.LBB1448_194:
	s_or_b64 exec, exec, s[0:1]
	s_waitcnt lgkmcnt(0)
	v_or_b32_e32 v30, 0x200, v0
	v_cmp_gt_u32_e32 vcc, s33, v30
	s_and_saveexec_b64 s[0:1], vcc
	s_cbranch_execz .LBB1448_196
; %bb.195:
	flat_store_dword v[12:13], v31 offset:2048
.LBB1448_196:
	s_or_b64 exec, exec, s[0:1]
	v_or_b32_e32 v30, 0x300, v0
	v_cmp_gt_u32_e32 vcc, s33, v30
	s_and_saveexec_b64 s[0:1], vcc
	s_cbranch_execz .LBB1448_198
; %bb.197:
	flat_store_dword v[12:13], v28 offset:3072
.LBB1448_198:
	s_or_b64 exec, exec, s[0:1]
	v_or_b32_e32 v28, 0x400, v0
	v_cmp_gt_u32_e32 vcc, s33, v28
	s_and_saveexec_b64 s[0:1], vcc
	s_cbranch_execz .LBB1448_200
; %bb.199:
	v_add_co_u32_e32 v30, vcc, 0x1000, v12
	v_addc_co_u32_e32 v31, vcc, 0, v13, vcc
	flat_store_dword v[30:31], v29
.LBB1448_200:
	s_or_b64 exec, exec, s[0:1]
	v_or_b32_e32 v28, 0x500, v0
	v_cmp_gt_u32_e32 vcc, s33, v28
	s_and_saveexec_b64 s[0:1], vcc
	s_cbranch_execz .LBB1448_202
; %bb.201:
	v_add_co_u32_e32 v28, vcc, 0x1000, v12
	v_addc_co_u32_e32 v29, vcc, 0, v13, vcc
	flat_store_dword v[28:29], v26 offset:1024
.LBB1448_202:
	s_or_b64 exec, exec, s[0:1]
	v_or_b32_e32 v26, 0x600, v0
	v_cmp_gt_u32_e32 vcc, s33, v26
	s_and_saveexec_b64 s[0:1], vcc
	s_cbranch_execz .LBB1448_204
; %bb.203:
	v_add_co_u32_e32 v28, vcc, 0x1000, v12
	v_addc_co_u32_e32 v29, vcc, 0, v13, vcc
	flat_store_dword v[28:29], v27 offset:2048
.LBB1448_204:
	;; [unrolled: 10-line block ×3, first 2 shown]
	s_or_b64 exec, exec, s[0:1]
	v_or_b32_e32 v24, 0x800, v0
	v_cmp_gt_u32_e32 vcc, s33, v24
	s_and_saveexec_b64 s[0:1], vcc
	s_cbranch_execz .LBB1448_208
; %bb.207:
	v_add_co_u32_e32 v26, vcc, 0x2000, v12
	v_addc_co_u32_e32 v27, vcc, 0, v13, vcc
	flat_store_dword v[26:27], v25
.LBB1448_208:
	s_or_b64 exec, exec, s[0:1]
	v_or_b32_e32 v24, 0x900, v0
	v_cmp_gt_u32_e32 vcc, s33, v24
	s_and_saveexec_b64 s[0:1], vcc
	s_cbranch_execz .LBB1448_210
; %bb.209:
	v_add_co_u32_e32 v24, vcc, 0x2000, v12
	v_addc_co_u32_e32 v25, vcc, 0, v13, vcc
	flat_store_dword v[24:25], v14 offset:1024
.LBB1448_210:
	s_or_b64 exec, exec, s[0:1]
	v_or_b32_e32 v14, 0xa00, v0
	v_cmp_gt_u32_e32 vcc, s33, v14
	s_and_saveexec_b64 s[0:1], vcc
	s_cbranch_execz .LBB1448_212
; %bb.211:
	v_add_co_u32_e32 v24, vcc, 0x2000, v12
	v_addc_co_u32_e32 v25, vcc, 0, v13, vcc
	flat_store_dword v[24:25], v15 offset:2048
.LBB1448_212:
	;; [unrolled: 10-line block ×3, first 2 shown]
	s_or_b64 exec, exec, s[0:1]
	v_or_b32_e32 v8, 0xc00, v0
	v_cmp_gt_u32_e32 vcc, s33, v8
	s_and_saveexec_b64 s[0:1], vcc
	s_cbranch_execz .LBB1448_216
; %bb.215:
	v_add_co_u32_e32 v12, vcc, 0x3000, v12
	v_addc_co_u32_e32 v13, vcc, 0, v13, vcc
	flat_store_dword v[12:13], v9
.LBB1448_216:
	s_or_b64 exec, exec, s[0:1]
	v_or_b32_e32 v8, 0xd00, v0
	v_cmp_gt_u32_e64 s[0:1], s33, v8
	s_branch .LBB1448_219
.LBB1448_217:
	s_mov_b64 s[0:1], 0
                                        ; implicit-def: $vgpr5
	s_cbranch_execz .LBB1448_219
; %bb.218:
	s_movk_i32 s2, 0xffcc
	s_waitcnt lgkmcnt(0)
	s_barrier
	ds_write2_b64 v4, v[2:3], v[16:17] offset1:1
	ds_write2_b64 v4, v[6:7], v[18:19] offset0:2 offset1:3
	ds_write2_b64 v4, v[10:11], v[20:21] offset0:4 offset1:5
	ds_write_b64 v4, v[22:23] offset:48
	v_mad_i32_i24 v4, v0, s2, v4
	v_mov_b32_e32 v17, s5
	v_add_co_u32_e32 v16, vcc, s4, v49
	s_waitcnt lgkmcnt(0)
	s_barrier
	ds_read2st64_b32 v[2:3], v4 offset1:4
	ds_read2st64_b32 v[6:7], v4 offset0:8 offset1:12
	ds_read2st64_b32 v[8:9], v4 offset0:16 offset1:20
	;; [unrolled: 1-line block ×6, first 2 shown]
	v_addc_co_u32_e32 v17, vcc, 0, v17, vcc
	s_movk_i32 s2, 0x1000
	s_waitcnt lgkmcnt(0)
	flat_store_dword v[16:17], v2
	flat_store_dword v[16:17], v3 offset:1024
	flat_store_dword v[16:17], v6 offset:2048
	;; [unrolled: 1-line block ×3, first 2 shown]
	v_add_co_u32_e32 v2, vcc, s2, v16
	v_addc_co_u32_e32 v3, vcc, 0, v17, vcc
	flat_store_dword v[2:3], v8
	flat_store_dword v[2:3], v9 offset:1024
	flat_store_dword v[2:3], v10 offset:2048
	;; [unrolled: 1-line block ×3, first 2 shown]
	v_add_co_u32_e32 v2, vcc, 0x2000, v16
	v_addc_co_u32_e32 v3, vcc, 0, v17, vcc
	flat_store_dword v[2:3], v12
	flat_store_dword v[2:3], v13 offset:1024
	flat_store_dword v[2:3], v14 offset:2048
	;; [unrolled: 1-line block ×3, first 2 shown]
	v_add_co_u32_e32 v2, vcc, 0x3000, v16
	v_mov_b32_e32 v1, 0
	v_addc_co_u32_e32 v3, vcc, 0, v17, vcc
	s_or_b64 s[0:1], s[0:1], exec
	flat_store_dword v[2:3], v4
.LBB1448_219:
	s_and_saveexec_b64 s[2:3], s[0:1]
	s_cbranch_execz .LBB1448_221
; %bb.220:
	v_lshlrev_b64 v[0:1], 2, v[0:1]
	v_mov_b32_e32 v2, s5
	v_add_co_u32_e32 v0, vcc, s4, v0
	v_addc_co_u32_e32 v1, vcc, v2, v1, vcc
	v_add_co_u32_e32 v0, vcc, 0x3000, v0
	v_addc_co_u32_e32 v1, vcc, 0, v1, vcc
	flat_store_dword v[0:1], v5 offset:1024
	s_endpgm
.LBB1448_221:
	s_endpgm
	.section	.rodata,"a",@progbits
	.p2align	6, 0x0
	.amdhsa_kernel _ZN7rocprim17ROCPRIM_400000_NS6detail17trampoline_kernelINS0_14default_configENS1_27scan_by_key_config_selectorIifEEZZNS1_16scan_by_key_implILNS1_25lookback_scan_determinismE0ELb1ES3_N6thrust23THRUST_200600_302600_NS6detail15normal_iteratorINS9_10device_ptrIiEEEENSB_INSC_IfEEEESG_fNS9_4plusIvEENS9_8equal_toIvEEfEE10hipError_tPvRmT2_T3_T4_T5_mT6_T7_P12ihipStream_tbENKUlT_T0_E_clISt17integral_constantIbLb1EES10_IbLb0EEEEDaSW_SX_EUlSW_E_NS1_11comp_targetILNS1_3genE4ELNS1_11target_archE910ELNS1_3gpuE8ELNS1_3repE0EEENS1_30default_config_static_selectorELNS0_4arch9wavefront6targetE1EEEvT1_
		.amdhsa_group_segment_fixed_size 16384
		.amdhsa_private_segment_fixed_size 0
		.amdhsa_kernarg_size 112
		.amdhsa_user_sgpr_count 6
		.amdhsa_user_sgpr_private_segment_buffer 1
		.amdhsa_user_sgpr_dispatch_ptr 0
		.amdhsa_user_sgpr_queue_ptr 0
		.amdhsa_user_sgpr_kernarg_segment_ptr 1
		.amdhsa_user_sgpr_dispatch_id 0
		.amdhsa_user_sgpr_flat_scratch_init 0
		.amdhsa_user_sgpr_kernarg_preload_length 0
		.amdhsa_user_sgpr_kernarg_preload_offset 0
		.amdhsa_user_sgpr_private_segment_size 0
		.amdhsa_uses_dynamic_stack 0
		.amdhsa_system_sgpr_private_segment_wavefront_offset 0
		.amdhsa_system_sgpr_workgroup_id_x 1
		.amdhsa_system_sgpr_workgroup_id_y 0
		.amdhsa_system_sgpr_workgroup_id_z 0
		.amdhsa_system_sgpr_workgroup_info 0
		.amdhsa_system_vgpr_workitem_id 0
		.amdhsa_next_free_vgpr 65
		.amdhsa_next_free_sgpr 59
		.amdhsa_accum_offset 68
		.amdhsa_reserve_vcc 1
		.amdhsa_reserve_flat_scratch 0
		.amdhsa_float_round_mode_32 0
		.amdhsa_float_round_mode_16_64 0
		.amdhsa_float_denorm_mode_32 3
		.amdhsa_float_denorm_mode_16_64 3
		.amdhsa_dx10_clamp 1
		.amdhsa_ieee_mode 1
		.amdhsa_fp16_overflow 0
		.amdhsa_tg_split 0
		.amdhsa_exception_fp_ieee_invalid_op 0
		.amdhsa_exception_fp_denorm_src 0
		.amdhsa_exception_fp_ieee_div_zero 0
		.amdhsa_exception_fp_ieee_overflow 0
		.amdhsa_exception_fp_ieee_underflow 0
		.amdhsa_exception_fp_ieee_inexact 0
		.amdhsa_exception_int_div_zero 0
	.end_amdhsa_kernel
	.section	.text._ZN7rocprim17ROCPRIM_400000_NS6detail17trampoline_kernelINS0_14default_configENS1_27scan_by_key_config_selectorIifEEZZNS1_16scan_by_key_implILNS1_25lookback_scan_determinismE0ELb1ES3_N6thrust23THRUST_200600_302600_NS6detail15normal_iteratorINS9_10device_ptrIiEEEENSB_INSC_IfEEEESG_fNS9_4plusIvEENS9_8equal_toIvEEfEE10hipError_tPvRmT2_T3_T4_T5_mT6_T7_P12ihipStream_tbENKUlT_T0_E_clISt17integral_constantIbLb1EES10_IbLb0EEEEDaSW_SX_EUlSW_E_NS1_11comp_targetILNS1_3genE4ELNS1_11target_archE910ELNS1_3gpuE8ELNS1_3repE0EEENS1_30default_config_static_selectorELNS0_4arch9wavefront6targetE1EEEvT1_,"axG",@progbits,_ZN7rocprim17ROCPRIM_400000_NS6detail17trampoline_kernelINS0_14default_configENS1_27scan_by_key_config_selectorIifEEZZNS1_16scan_by_key_implILNS1_25lookback_scan_determinismE0ELb1ES3_N6thrust23THRUST_200600_302600_NS6detail15normal_iteratorINS9_10device_ptrIiEEEENSB_INSC_IfEEEESG_fNS9_4plusIvEENS9_8equal_toIvEEfEE10hipError_tPvRmT2_T3_T4_T5_mT6_T7_P12ihipStream_tbENKUlT_T0_E_clISt17integral_constantIbLb1EES10_IbLb0EEEEDaSW_SX_EUlSW_E_NS1_11comp_targetILNS1_3genE4ELNS1_11target_archE910ELNS1_3gpuE8ELNS1_3repE0EEENS1_30default_config_static_selectorELNS0_4arch9wavefront6targetE1EEEvT1_,comdat
.Lfunc_end1448:
	.size	_ZN7rocprim17ROCPRIM_400000_NS6detail17trampoline_kernelINS0_14default_configENS1_27scan_by_key_config_selectorIifEEZZNS1_16scan_by_key_implILNS1_25lookback_scan_determinismE0ELb1ES3_N6thrust23THRUST_200600_302600_NS6detail15normal_iteratorINS9_10device_ptrIiEEEENSB_INSC_IfEEEESG_fNS9_4plusIvEENS9_8equal_toIvEEfEE10hipError_tPvRmT2_T3_T4_T5_mT6_T7_P12ihipStream_tbENKUlT_T0_E_clISt17integral_constantIbLb1EES10_IbLb0EEEEDaSW_SX_EUlSW_E_NS1_11comp_targetILNS1_3genE4ELNS1_11target_archE910ELNS1_3gpuE8ELNS1_3repE0EEENS1_30default_config_static_selectorELNS0_4arch9wavefront6targetE1EEEvT1_, .Lfunc_end1448-_ZN7rocprim17ROCPRIM_400000_NS6detail17trampoline_kernelINS0_14default_configENS1_27scan_by_key_config_selectorIifEEZZNS1_16scan_by_key_implILNS1_25lookback_scan_determinismE0ELb1ES3_N6thrust23THRUST_200600_302600_NS6detail15normal_iteratorINS9_10device_ptrIiEEEENSB_INSC_IfEEEESG_fNS9_4plusIvEENS9_8equal_toIvEEfEE10hipError_tPvRmT2_T3_T4_T5_mT6_T7_P12ihipStream_tbENKUlT_T0_E_clISt17integral_constantIbLb1EES10_IbLb0EEEEDaSW_SX_EUlSW_E_NS1_11comp_targetILNS1_3genE4ELNS1_11target_archE910ELNS1_3gpuE8ELNS1_3repE0EEENS1_30default_config_static_selectorELNS0_4arch9wavefront6targetE1EEEvT1_
                                        ; -- End function
	.section	.AMDGPU.csdata,"",@progbits
; Kernel info:
; codeLenInByte = 10664
; NumSgprs: 63
; NumVgprs: 65
; NumAgprs: 0
; TotalNumVgprs: 65
; ScratchSize: 0
; MemoryBound: 0
; FloatMode: 240
; IeeeMode: 1
; LDSByteSize: 16384 bytes/workgroup (compile time only)
; SGPRBlocks: 7
; VGPRBlocks: 8
; NumSGPRsForWavesPerEU: 63
; NumVGPRsForWavesPerEU: 65
; AccumOffset: 68
; Occupancy: 4
; WaveLimiterHint : 1
; COMPUTE_PGM_RSRC2:SCRATCH_EN: 0
; COMPUTE_PGM_RSRC2:USER_SGPR: 6
; COMPUTE_PGM_RSRC2:TRAP_HANDLER: 0
; COMPUTE_PGM_RSRC2:TGID_X_EN: 1
; COMPUTE_PGM_RSRC2:TGID_Y_EN: 0
; COMPUTE_PGM_RSRC2:TGID_Z_EN: 0
; COMPUTE_PGM_RSRC2:TIDIG_COMP_CNT: 0
; COMPUTE_PGM_RSRC3_GFX90A:ACCUM_OFFSET: 16
; COMPUTE_PGM_RSRC3_GFX90A:TG_SPLIT: 0
	.section	.text._ZN7rocprim17ROCPRIM_400000_NS6detail17trampoline_kernelINS0_14default_configENS1_27scan_by_key_config_selectorIifEEZZNS1_16scan_by_key_implILNS1_25lookback_scan_determinismE0ELb1ES3_N6thrust23THRUST_200600_302600_NS6detail15normal_iteratorINS9_10device_ptrIiEEEENSB_INSC_IfEEEESG_fNS9_4plusIvEENS9_8equal_toIvEEfEE10hipError_tPvRmT2_T3_T4_T5_mT6_T7_P12ihipStream_tbENKUlT_T0_E_clISt17integral_constantIbLb1EES10_IbLb0EEEEDaSW_SX_EUlSW_E_NS1_11comp_targetILNS1_3genE3ELNS1_11target_archE908ELNS1_3gpuE7ELNS1_3repE0EEENS1_30default_config_static_selectorELNS0_4arch9wavefront6targetE1EEEvT1_,"axG",@progbits,_ZN7rocprim17ROCPRIM_400000_NS6detail17trampoline_kernelINS0_14default_configENS1_27scan_by_key_config_selectorIifEEZZNS1_16scan_by_key_implILNS1_25lookback_scan_determinismE0ELb1ES3_N6thrust23THRUST_200600_302600_NS6detail15normal_iteratorINS9_10device_ptrIiEEEENSB_INSC_IfEEEESG_fNS9_4plusIvEENS9_8equal_toIvEEfEE10hipError_tPvRmT2_T3_T4_T5_mT6_T7_P12ihipStream_tbENKUlT_T0_E_clISt17integral_constantIbLb1EES10_IbLb0EEEEDaSW_SX_EUlSW_E_NS1_11comp_targetILNS1_3genE3ELNS1_11target_archE908ELNS1_3gpuE7ELNS1_3repE0EEENS1_30default_config_static_selectorELNS0_4arch9wavefront6targetE1EEEvT1_,comdat
	.protected	_ZN7rocprim17ROCPRIM_400000_NS6detail17trampoline_kernelINS0_14default_configENS1_27scan_by_key_config_selectorIifEEZZNS1_16scan_by_key_implILNS1_25lookback_scan_determinismE0ELb1ES3_N6thrust23THRUST_200600_302600_NS6detail15normal_iteratorINS9_10device_ptrIiEEEENSB_INSC_IfEEEESG_fNS9_4plusIvEENS9_8equal_toIvEEfEE10hipError_tPvRmT2_T3_T4_T5_mT6_T7_P12ihipStream_tbENKUlT_T0_E_clISt17integral_constantIbLb1EES10_IbLb0EEEEDaSW_SX_EUlSW_E_NS1_11comp_targetILNS1_3genE3ELNS1_11target_archE908ELNS1_3gpuE7ELNS1_3repE0EEENS1_30default_config_static_selectorELNS0_4arch9wavefront6targetE1EEEvT1_ ; -- Begin function _ZN7rocprim17ROCPRIM_400000_NS6detail17trampoline_kernelINS0_14default_configENS1_27scan_by_key_config_selectorIifEEZZNS1_16scan_by_key_implILNS1_25lookback_scan_determinismE0ELb1ES3_N6thrust23THRUST_200600_302600_NS6detail15normal_iteratorINS9_10device_ptrIiEEEENSB_INSC_IfEEEESG_fNS9_4plusIvEENS9_8equal_toIvEEfEE10hipError_tPvRmT2_T3_T4_T5_mT6_T7_P12ihipStream_tbENKUlT_T0_E_clISt17integral_constantIbLb1EES10_IbLb0EEEEDaSW_SX_EUlSW_E_NS1_11comp_targetILNS1_3genE3ELNS1_11target_archE908ELNS1_3gpuE7ELNS1_3repE0EEENS1_30default_config_static_selectorELNS0_4arch9wavefront6targetE1EEEvT1_
	.globl	_ZN7rocprim17ROCPRIM_400000_NS6detail17trampoline_kernelINS0_14default_configENS1_27scan_by_key_config_selectorIifEEZZNS1_16scan_by_key_implILNS1_25lookback_scan_determinismE0ELb1ES3_N6thrust23THRUST_200600_302600_NS6detail15normal_iteratorINS9_10device_ptrIiEEEENSB_INSC_IfEEEESG_fNS9_4plusIvEENS9_8equal_toIvEEfEE10hipError_tPvRmT2_T3_T4_T5_mT6_T7_P12ihipStream_tbENKUlT_T0_E_clISt17integral_constantIbLb1EES10_IbLb0EEEEDaSW_SX_EUlSW_E_NS1_11comp_targetILNS1_3genE3ELNS1_11target_archE908ELNS1_3gpuE7ELNS1_3repE0EEENS1_30default_config_static_selectorELNS0_4arch9wavefront6targetE1EEEvT1_
	.p2align	8
	.type	_ZN7rocprim17ROCPRIM_400000_NS6detail17trampoline_kernelINS0_14default_configENS1_27scan_by_key_config_selectorIifEEZZNS1_16scan_by_key_implILNS1_25lookback_scan_determinismE0ELb1ES3_N6thrust23THRUST_200600_302600_NS6detail15normal_iteratorINS9_10device_ptrIiEEEENSB_INSC_IfEEEESG_fNS9_4plusIvEENS9_8equal_toIvEEfEE10hipError_tPvRmT2_T3_T4_T5_mT6_T7_P12ihipStream_tbENKUlT_T0_E_clISt17integral_constantIbLb1EES10_IbLb0EEEEDaSW_SX_EUlSW_E_NS1_11comp_targetILNS1_3genE3ELNS1_11target_archE908ELNS1_3gpuE7ELNS1_3repE0EEENS1_30default_config_static_selectorELNS0_4arch9wavefront6targetE1EEEvT1_,@function
_ZN7rocprim17ROCPRIM_400000_NS6detail17trampoline_kernelINS0_14default_configENS1_27scan_by_key_config_selectorIifEEZZNS1_16scan_by_key_implILNS1_25lookback_scan_determinismE0ELb1ES3_N6thrust23THRUST_200600_302600_NS6detail15normal_iteratorINS9_10device_ptrIiEEEENSB_INSC_IfEEEESG_fNS9_4plusIvEENS9_8equal_toIvEEfEE10hipError_tPvRmT2_T3_T4_T5_mT6_T7_P12ihipStream_tbENKUlT_T0_E_clISt17integral_constantIbLb1EES10_IbLb0EEEEDaSW_SX_EUlSW_E_NS1_11comp_targetILNS1_3genE3ELNS1_11target_archE908ELNS1_3gpuE7ELNS1_3repE0EEENS1_30default_config_static_selectorELNS0_4arch9wavefront6targetE1EEEvT1_: ; @_ZN7rocprim17ROCPRIM_400000_NS6detail17trampoline_kernelINS0_14default_configENS1_27scan_by_key_config_selectorIifEEZZNS1_16scan_by_key_implILNS1_25lookback_scan_determinismE0ELb1ES3_N6thrust23THRUST_200600_302600_NS6detail15normal_iteratorINS9_10device_ptrIiEEEENSB_INSC_IfEEEESG_fNS9_4plusIvEENS9_8equal_toIvEEfEE10hipError_tPvRmT2_T3_T4_T5_mT6_T7_P12ihipStream_tbENKUlT_T0_E_clISt17integral_constantIbLb1EES10_IbLb0EEEEDaSW_SX_EUlSW_E_NS1_11comp_targetILNS1_3genE3ELNS1_11target_archE908ELNS1_3gpuE7ELNS1_3repE0EEENS1_30default_config_static_selectorELNS0_4arch9wavefront6targetE1EEEvT1_
; %bb.0:
	.section	.rodata,"a",@progbits
	.p2align	6, 0x0
	.amdhsa_kernel _ZN7rocprim17ROCPRIM_400000_NS6detail17trampoline_kernelINS0_14default_configENS1_27scan_by_key_config_selectorIifEEZZNS1_16scan_by_key_implILNS1_25lookback_scan_determinismE0ELb1ES3_N6thrust23THRUST_200600_302600_NS6detail15normal_iteratorINS9_10device_ptrIiEEEENSB_INSC_IfEEEESG_fNS9_4plusIvEENS9_8equal_toIvEEfEE10hipError_tPvRmT2_T3_T4_T5_mT6_T7_P12ihipStream_tbENKUlT_T0_E_clISt17integral_constantIbLb1EES10_IbLb0EEEEDaSW_SX_EUlSW_E_NS1_11comp_targetILNS1_3genE3ELNS1_11target_archE908ELNS1_3gpuE7ELNS1_3repE0EEENS1_30default_config_static_selectorELNS0_4arch9wavefront6targetE1EEEvT1_
		.amdhsa_group_segment_fixed_size 0
		.amdhsa_private_segment_fixed_size 0
		.amdhsa_kernarg_size 112
		.amdhsa_user_sgpr_count 6
		.amdhsa_user_sgpr_private_segment_buffer 1
		.amdhsa_user_sgpr_dispatch_ptr 0
		.amdhsa_user_sgpr_queue_ptr 0
		.amdhsa_user_sgpr_kernarg_segment_ptr 1
		.amdhsa_user_sgpr_dispatch_id 0
		.amdhsa_user_sgpr_flat_scratch_init 0
		.amdhsa_user_sgpr_kernarg_preload_length 0
		.amdhsa_user_sgpr_kernarg_preload_offset 0
		.amdhsa_user_sgpr_private_segment_size 0
		.amdhsa_uses_dynamic_stack 0
		.amdhsa_system_sgpr_private_segment_wavefront_offset 0
		.amdhsa_system_sgpr_workgroup_id_x 1
		.amdhsa_system_sgpr_workgroup_id_y 0
		.amdhsa_system_sgpr_workgroup_id_z 0
		.amdhsa_system_sgpr_workgroup_info 0
		.amdhsa_system_vgpr_workitem_id 0
		.amdhsa_next_free_vgpr 1
		.amdhsa_next_free_sgpr 0
		.amdhsa_accum_offset 4
		.amdhsa_reserve_vcc 0
		.amdhsa_reserve_flat_scratch 0
		.amdhsa_float_round_mode_32 0
		.amdhsa_float_round_mode_16_64 0
		.amdhsa_float_denorm_mode_32 3
		.amdhsa_float_denorm_mode_16_64 3
		.amdhsa_dx10_clamp 1
		.amdhsa_ieee_mode 1
		.amdhsa_fp16_overflow 0
		.amdhsa_tg_split 0
		.amdhsa_exception_fp_ieee_invalid_op 0
		.amdhsa_exception_fp_denorm_src 0
		.amdhsa_exception_fp_ieee_div_zero 0
		.amdhsa_exception_fp_ieee_overflow 0
		.amdhsa_exception_fp_ieee_underflow 0
		.amdhsa_exception_fp_ieee_inexact 0
		.amdhsa_exception_int_div_zero 0
	.end_amdhsa_kernel
	.section	.text._ZN7rocprim17ROCPRIM_400000_NS6detail17trampoline_kernelINS0_14default_configENS1_27scan_by_key_config_selectorIifEEZZNS1_16scan_by_key_implILNS1_25lookback_scan_determinismE0ELb1ES3_N6thrust23THRUST_200600_302600_NS6detail15normal_iteratorINS9_10device_ptrIiEEEENSB_INSC_IfEEEESG_fNS9_4plusIvEENS9_8equal_toIvEEfEE10hipError_tPvRmT2_T3_T4_T5_mT6_T7_P12ihipStream_tbENKUlT_T0_E_clISt17integral_constantIbLb1EES10_IbLb0EEEEDaSW_SX_EUlSW_E_NS1_11comp_targetILNS1_3genE3ELNS1_11target_archE908ELNS1_3gpuE7ELNS1_3repE0EEENS1_30default_config_static_selectorELNS0_4arch9wavefront6targetE1EEEvT1_,"axG",@progbits,_ZN7rocprim17ROCPRIM_400000_NS6detail17trampoline_kernelINS0_14default_configENS1_27scan_by_key_config_selectorIifEEZZNS1_16scan_by_key_implILNS1_25lookback_scan_determinismE0ELb1ES3_N6thrust23THRUST_200600_302600_NS6detail15normal_iteratorINS9_10device_ptrIiEEEENSB_INSC_IfEEEESG_fNS9_4plusIvEENS9_8equal_toIvEEfEE10hipError_tPvRmT2_T3_T4_T5_mT6_T7_P12ihipStream_tbENKUlT_T0_E_clISt17integral_constantIbLb1EES10_IbLb0EEEEDaSW_SX_EUlSW_E_NS1_11comp_targetILNS1_3genE3ELNS1_11target_archE908ELNS1_3gpuE7ELNS1_3repE0EEENS1_30default_config_static_selectorELNS0_4arch9wavefront6targetE1EEEvT1_,comdat
.Lfunc_end1449:
	.size	_ZN7rocprim17ROCPRIM_400000_NS6detail17trampoline_kernelINS0_14default_configENS1_27scan_by_key_config_selectorIifEEZZNS1_16scan_by_key_implILNS1_25lookback_scan_determinismE0ELb1ES3_N6thrust23THRUST_200600_302600_NS6detail15normal_iteratorINS9_10device_ptrIiEEEENSB_INSC_IfEEEESG_fNS9_4plusIvEENS9_8equal_toIvEEfEE10hipError_tPvRmT2_T3_T4_T5_mT6_T7_P12ihipStream_tbENKUlT_T0_E_clISt17integral_constantIbLb1EES10_IbLb0EEEEDaSW_SX_EUlSW_E_NS1_11comp_targetILNS1_3genE3ELNS1_11target_archE908ELNS1_3gpuE7ELNS1_3repE0EEENS1_30default_config_static_selectorELNS0_4arch9wavefront6targetE1EEEvT1_, .Lfunc_end1449-_ZN7rocprim17ROCPRIM_400000_NS6detail17trampoline_kernelINS0_14default_configENS1_27scan_by_key_config_selectorIifEEZZNS1_16scan_by_key_implILNS1_25lookback_scan_determinismE0ELb1ES3_N6thrust23THRUST_200600_302600_NS6detail15normal_iteratorINS9_10device_ptrIiEEEENSB_INSC_IfEEEESG_fNS9_4plusIvEENS9_8equal_toIvEEfEE10hipError_tPvRmT2_T3_T4_T5_mT6_T7_P12ihipStream_tbENKUlT_T0_E_clISt17integral_constantIbLb1EES10_IbLb0EEEEDaSW_SX_EUlSW_E_NS1_11comp_targetILNS1_3genE3ELNS1_11target_archE908ELNS1_3gpuE7ELNS1_3repE0EEENS1_30default_config_static_selectorELNS0_4arch9wavefront6targetE1EEEvT1_
                                        ; -- End function
	.section	.AMDGPU.csdata,"",@progbits
; Kernel info:
; codeLenInByte = 0
; NumSgprs: 4
; NumVgprs: 0
; NumAgprs: 0
; TotalNumVgprs: 0
; ScratchSize: 0
; MemoryBound: 0
; FloatMode: 240
; IeeeMode: 1
; LDSByteSize: 0 bytes/workgroup (compile time only)
; SGPRBlocks: 0
; VGPRBlocks: 0
; NumSGPRsForWavesPerEU: 4
; NumVGPRsForWavesPerEU: 1
; AccumOffset: 4
; Occupancy: 8
; WaveLimiterHint : 0
; COMPUTE_PGM_RSRC2:SCRATCH_EN: 0
; COMPUTE_PGM_RSRC2:USER_SGPR: 6
; COMPUTE_PGM_RSRC2:TRAP_HANDLER: 0
; COMPUTE_PGM_RSRC2:TGID_X_EN: 1
; COMPUTE_PGM_RSRC2:TGID_Y_EN: 0
; COMPUTE_PGM_RSRC2:TGID_Z_EN: 0
; COMPUTE_PGM_RSRC2:TIDIG_COMP_CNT: 0
; COMPUTE_PGM_RSRC3_GFX90A:ACCUM_OFFSET: 0
; COMPUTE_PGM_RSRC3_GFX90A:TG_SPLIT: 0
	.section	.text._ZN7rocprim17ROCPRIM_400000_NS6detail17trampoline_kernelINS0_14default_configENS1_27scan_by_key_config_selectorIifEEZZNS1_16scan_by_key_implILNS1_25lookback_scan_determinismE0ELb1ES3_N6thrust23THRUST_200600_302600_NS6detail15normal_iteratorINS9_10device_ptrIiEEEENSB_INSC_IfEEEESG_fNS9_4plusIvEENS9_8equal_toIvEEfEE10hipError_tPvRmT2_T3_T4_T5_mT6_T7_P12ihipStream_tbENKUlT_T0_E_clISt17integral_constantIbLb1EES10_IbLb0EEEEDaSW_SX_EUlSW_E_NS1_11comp_targetILNS1_3genE2ELNS1_11target_archE906ELNS1_3gpuE6ELNS1_3repE0EEENS1_30default_config_static_selectorELNS0_4arch9wavefront6targetE1EEEvT1_,"axG",@progbits,_ZN7rocprim17ROCPRIM_400000_NS6detail17trampoline_kernelINS0_14default_configENS1_27scan_by_key_config_selectorIifEEZZNS1_16scan_by_key_implILNS1_25lookback_scan_determinismE0ELb1ES3_N6thrust23THRUST_200600_302600_NS6detail15normal_iteratorINS9_10device_ptrIiEEEENSB_INSC_IfEEEESG_fNS9_4plusIvEENS9_8equal_toIvEEfEE10hipError_tPvRmT2_T3_T4_T5_mT6_T7_P12ihipStream_tbENKUlT_T0_E_clISt17integral_constantIbLb1EES10_IbLb0EEEEDaSW_SX_EUlSW_E_NS1_11comp_targetILNS1_3genE2ELNS1_11target_archE906ELNS1_3gpuE6ELNS1_3repE0EEENS1_30default_config_static_selectorELNS0_4arch9wavefront6targetE1EEEvT1_,comdat
	.protected	_ZN7rocprim17ROCPRIM_400000_NS6detail17trampoline_kernelINS0_14default_configENS1_27scan_by_key_config_selectorIifEEZZNS1_16scan_by_key_implILNS1_25lookback_scan_determinismE0ELb1ES3_N6thrust23THRUST_200600_302600_NS6detail15normal_iteratorINS9_10device_ptrIiEEEENSB_INSC_IfEEEESG_fNS9_4plusIvEENS9_8equal_toIvEEfEE10hipError_tPvRmT2_T3_T4_T5_mT6_T7_P12ihipStream_tbENKUlT_T0_E_clISt17integral_constantIbLb1EES10_IbLb0EEEEDaSW_SX_EUlSW_E_NS1_11comp_targetILNS1_3genE2ELNS1_11target_archE906ELNS1_3gpuE6ELNS1_3repE0EEENS1_30default_config_static_selectorELNS0_4arch9wavefront6targetE1EEEvT1_ ; -- Begin function _ZN7rocprim17ROCPRIM_400000_NS6detail17trampoline_kernelINS0_14default_configENS1_27scan_by_key_config_selectorIifEEZZNS1_16scan_by_key_implILNS1_25lookback_scan_determinismE0ELb1ES3_N6thrust23THRUST_200600_302600_NS6detail15normal_iteratorINS9_10device_ptrIiEEEENSB_INSC_IfEEEESG_fNS9_4plusIvEENS9_8equal_toIvEEfEE10hipError_tPvRmT2_T3_T4_T5_mT6_T7_P12ihipStream_tbENKUlT_T0_E_clISt17integral_constantIbLb1EES10_IbLb0EEEEDaSW_SX_EUlSW_E_NS1_11comp_targetILNS1_3genE2ELNS1_11target_archE906ELNS1_3gpuE6ELNS1_3repE0EEENS1_30default_config_static_selectorELNS0_4arch9wavefront6targetE1EEEvT1_
	.globl	_ZN7rocprim17ROCPRIM_400000_NS6detail17trampoline_kernelINS0_14default_configENS1_27scan_by_key_config_selectorIifEEZZNS1_16scan_by_key_implILNS1_25lookback_scan_determinismE0ELb1ES3_N6thrust23THRUST_200600_302600_NS6detail15normal_iteratorINS9_10device_ptrIiEEEENSB_INSC_IfEEEESG_fNS9_4plusIvEENS9_8equal_toIvEEfEE10hipError_tPvRmT2_T3_T4_T5_mT6_T7_P12ihipStream_tbENKUlT_T0_E_clISt17integral_constantIbLb1EES10_IbLb0EEEEDaSW_SX_EUlSW_E_NS1_11comp_targetILNS1_3genE2ELNS1_11target_archE906ELNS1_3gpuE6ELNS1_3repE0EEENS1_30default_config_static_selectorELNS0_4arch9wavefront6targetE1EEEvT1_
	.p2align	8
	.type	_ZN7rocprim17ROCPRIM_400000_NS6detail17trampoline_kernelINS0_14default_configENS1_27scan_by_key_config_selectorIifEEZZNS1_16scan_by_key_implILNS1_25lookback_scan_determinismE0ELb1ES3_N6thrust23THRUST_200600_302600_NS6detail15normal_iteratorINS9_10device_ptrIiEEEENSB_INSC_IfEEEESG_fNS9_4plusIvEENS9_8equal_toIvEEfEE10hipError_tPvRmT2_T3_T4_T5_mT6_T7_P12ihipStream_tbENKUlT_T0_E_clISt17integral_constantIbLb1EES10_IbLb0EEEEDaSW_SX_EUlSW_E_NS1_11comp_targetILNS1_3genE2ELNS1_11target_archE906ELNS1_3gpuE6ELNS1_3repE0EEENS1_30default_config_static_selectorELNS0_4arch9wavefront6targetE1EEEvT1_,@function
_ZN7rocprim17ROCPRIM_400000_NS6detail17trampoline_kernelINS0_14default_configENS1_27scan_by_key_config_selectorIifEEZZNS1_16scan_by_key_implILNS1_25lookback_scan_determinismE0ELb1ES3_N6thrust23THRUST_200600_302600_NS6detail15normal_iteratorINS9_10device_ptrIiEEEENSB_INSC_IfEEEESG_fNS9_4plusIvEENS9_8equal_toIvEEfEE10hipError_tPvRmT2_T3_T4_T5_mT6_T7_P12ihipStream_tbENKUlT_T0_E_clISt17integral_constantIbLb1EES10_IbLb0EEEEDaSW_SX_EUlSW_E_NS1_11comp_targetILNS1_3genE2ELNS1_11target_archE906ELNS1_3gpuE6ELNS1_3repE0EEENS1_30default_config_static_selectorELNS0_4arch9wavefront6targetE1EEEvT1_: ; @_ZN7rocprim17ROCPRIM_400000_NS6detail17trampoline_kernelINS0_14default_configENS1_27scan_by_key_config_selectorIifEEZZNS1_16scan_by_key_implILNS1_25lookback_scan_determinismE0ELb1ES3_N6thrust23THRUST_200600_302600_NS6detail15normal_iteratorINS9_10device_ptrIiEEEENSB_INSC_IfEEEESG_fNS9_4plusIvEENS9_8equal_toIvEEfEE10hipError_tPvRmT2_T3_T4_T5_mT6_T7_P12ihipStream_tbENKUlT_T0_E_clISt17integral_constantIbLb1EES10_IbLb0EEEEDaSW_SX_EUlSW_E_NS1_11comp_targetILNS1_3genE2ELNS1_11target_archE906ELNS1_3gpuE6ELNS1_3repE0EEENS1_30default_config_static_selectorELNS0_4arch9wavefront6targetE1EEEvT1_
; %bb.0:
	.section	.rodata,"a",@progbits
	.p2align	6, 0x0
	.amdhsa_kernel _ZN7rocprim17ROCPRIM_400000_NS6detail17trampoline_kernelINS0_14default_configENS1_27scan_by_key_config_selectorIifEEZZNS1_16scan_by_key_implILNS1_25lookback_scan_determinismE0ELb1ES3_N6thrust23THRUST_200600_302600_NS6detail15normal_iteratorINS9_10device_ptrIiEEEENSB_INSC_IfEEEESG_fNS9_4plusIvEENS9_8equal_toIvEEfEE10hipError_tPvRmT2_T3_T4_T5_mT6_T7_P12ihipStream_tbENKUlT_T0_E_clISt17integral_constantIbLb1EES10_IbLb0EEEEDaSW_SX_EUlSW_E_NS1_11comp_targetILNS1_3genE2ELNS1_11target_archE906ELNS1_3gpuE6ELNS1_3repE0EEENS1_30default_config_static_selectorELNS0_4arch9wavefront6targetE1EEEvT1_
		.amdhsa_group_segment_fixed_size 0
		.amdhsa_private_segment_fixed_size 0
		.amdhsa_kernarg_size 112
		.amdhsa_user_sgpr_count 6
		.amdhsa_user_sgpr_private_segment_buffer 1
		.amdhsa_user_sgpr_dispatch_ptr 0
		.amdhsa_user_sgpr_queue_ptr 0
		.amdhsa_user_sgpr_kernarg_segment_ptr 1
		.amdhsa_user_sgpr_dispatch_id 0
		.amdhsa_user_sgpr_flat_scratch_init 0
		.amdhsa_user_sgpr_kernarg_preload_length 0
		.amdhsa_user_sgpr_kernarg_preload_offset 0
		.amdhsa_user_sgpr_private_segment_size 0
		.amdhsa_uses_dynamic_stack 0
		.amdhsa_system_sgpr_private_segment_wavefront_offset 0
		.amdhsa_system_sgpr_workgroup_id_x 1
		.amdhsa_system_sgpr_workgroup_id_y 0
		.amdhsa_system_sgpr_workgroup_id_z 0
		.amdhsa_system_sgpr_workgroup_info 0
		.amdhsa_system_vgpr_workitem_id 0
		.amdhsa_next_free_vgpr 1
		.amdhsa_next_free_sgpr 0
		.amdhsa_accum_offset 4
		.amdhsa_reserve_vcc 0
		.amdhsa_reserve_flat_scratch 0
		.amdhsa_float_round_mode_32 0
		.amdhsa_float_round_mode_16_64 0
		.amdhsa_float_denorm_mode_32 3
		.amdhsa_float_denorm_mode_16_64 3
		.amdhsa_dx10_clamp 1
		.amdhsa_ieee_mode 1
		.amdhsa_fp16_overflow 0
		.amdhsa_tg_split 0
		.amdhsa_exception_fp_ieee_invalid_op 0
		.amdhsa_exception_fp_denorm_src 0
		.amdhsa_exception_fp_ieee_div_zero 0
		.amdhsa_exception_fp_ieee_overflow 0
		.amdhsa_exception_fp_ieee_underflow 0
		.amdhsa_exception_fp_ieee_inexact 0
		.amdhsa_exception_int_div_zero 0
	.end_amdhsa_kernel
	.section	.text._ZN7rocprim17ROCPRIM_400000_NS6detail17trampoline_kernelINS0_14default_configENS1_27scan_by_key_config_selectorIifEEZZNS1_16scan_by_key_implILNS1_25lookback_scan_determinismE0ELb1ES3_N6thrust23THRUST_200600_302600_NS6detail15normal_iteratorINS9_10device_ptrIiEEEENSB_INSC_IfEEEESG_fNS9_4plusIvEENS9_8equal_toIvEEfEE10hipError_tPvRmT2_T3_T4_T5_mT6_T7_P12ihipStream_tbENKUlT_T0_E_clISt17integral_constantIbLb1EES10_IbLb0EEEEDaSW_SX_EUlSW_E_NS1_11comp_targetILNS1_3genE2ELNS1_11target_archE906ELNS1_3gpuE6ELNS1_3repE0EEENS1_30default_config_static_selectorELNS0_4arch9wavefront6targetE1EEEvT1_,"axG",@progbits,_ZN7rocprim17ROCPRIM_400000_NS6detail17trampoline_kernelINS0_14default_configENS1_27scan_by_key_config_selectorIifEEZZNS1_16scan_by_key_implILNS1_25lookback_scan_determinismE0ELb1ES3_N6thrust23THRUST_200600_302600_NS6detail15normal_iteratorINS9_10device_ptrIiEEEENSB_INSC_IfEEEESG_fNS9_4plusIvEENS9_8equal_toIvEEfEE10hipError_tPvRmT2_T3_T4_T5_mT6_T7_P12ihipStream_tbENKUlT_T0_E_clISt17integral_constantIbLb1EES10_IbLb0EEEEDaSW_SX_EUlSW_E_NS1_11comp_targetILNS1_3genE2ELNS1_11target_archE906ELNS1_3gpuE6ELNS1_3repE0EEENS1_30default_config_static_selectorELNS0_4arch9wavefront6targetE1EEEvT1_,comdat
.Lfunc_end1450:
	.size	_ZN7rocprim17ROCPRIM_400000_NS6detail17trampoline_kernelINS0_14default_configENS1_27scan_by_key_config_selectorIifEEZZNS1_16scan_by_key_implILNS1_25lookback_scan_determinismE0ELb1ES3_N6thrust23THRUST_200600_302600_NS6detail15normal_iteratorINS9_10device_ptrIiEEEENSB_INSC_IfEEEESG_fNS9_4plusIvEENS9_8equal_toIvEEfEE10hipError_tPvRmT2_T3_T4_T5_mT6_T7_P12ihipStream_tbENKUlT_T0_E_clISt17integral_constantIbLb1EES10_IbLb0EEEEDaSW_SX_EUlSW_E_NS1_11comp_targetILNS1_3genE2ELNS1_11target_archE906ELNS1_3gpuE6ELNS1_3repE0EEENS1_30default_config_static_selectorELNS0_4arch9wavefront6targetE1EEEvT1_, .Lfunc_end1450-_ZN7rocprim17ROCPRIM_400000_NS6detail17trampoline_kernelINS0_14default_configENS1_27scan_by_key_config_selectorIifEEZZNS1_16scan_by_key_implILNS1_25lookback_scan_determinismE0ELb1ES3_N6thrust23THRUST_200600_302600_NS6detail15normal_iteratorINS9_10device_ptrIiEEEENSB_INSC_IfEEEESG_fNS9_4plusIvEENS9_8equal_toIvEEfEE10hipError_tPvRmT2_T3_T4_T5_mT6_T7_P12ihipStream_tbENKUlT_T0_E_clISt17integral_constantIbLb1EES10_IbLb0EEEEDaSW_SX_EUlSW_E_NS1_11comp_targetILNS1_3genE2ELNS1_11target_archE906ELNS1_3gpuE6ELNS1_3repE0EEENS1_30default_config_static_selectorELNS0_4arch9wavefront6targetE1EEEvT1_
                                        ; -- End function
	.section	.AMDGPU.csdata,"",@progbits
; Kernel info:
; codeLenInByte = 0
; NumSgprs: 4
; NumVgprs: 0
; NumAgprs: 0
; TotalNumVgprs: 0
; ScratchSize: 0
; MemoryBound: 0
; FloatMode: 240
; IeeeMode: 1
; LDSByteSize: 0 bytes/workgroup (compile time only)
; SGPRBlocks: 0
; VGPRBlocks: 0
; NumSGPRsForWavesPerEU: 4
; NumVGPRsForWavesPerEU: 1
; AccumOffset: 4
; Occupancy: 8
; WaveLimiterHint : 0
; COMPUTE_PGM_RSRC2:SCRATCH_EN: 0
; COMPUTE_PGM_RSRC2:USER_SGPR: 6
; COMPUTE_PGM_RSRC2:TRAP_HANDLER: 0
; COMPUTE_PGM_RSRC2:TGID_X_EN: 1
; COMPUTE_PGM_RSRC2:TGID_Y_EN: 0
; COMPUTE_PGM_RSRC2:TGID_Z_EN: 0
; COMPUTE_PGM_RSRC2:TIDIG_COMP_CNT: 0
; COMPUTE_PGM_RSRC3_GFX90A:ACCUM_OFFSET: 0
; COMPUTE_PGM_RSRC3_GFX90A:TG_SPLIT: 0
	.section	.text._ZN7rocprim17ROCPRIM_400000_NS6detail17trampoline_kernelINS0_14default_configENS1_27scan_by_key_config_selectorIifEEZZNS1_16scan_by_key_implILNS1_25lookback_scan_determinismE0ELb1ES3_N6thrust23THRUST_200600_302600_NS6detail15normal_iteratorINS9_10device_ptrIiEEEENSB_INSC_IfEEEESG_fNS9_4plusIvEENS9_8equal_toIvEEfEE10hipError_tPvRmT2_T3_T4_T5_mT6_T7_P12ihipStream_tbENKUlT_T0_E_clISt17integral_constantIbLb1EES10_IbLb0EEEEDaSW_SX_EUlSW_E_NS1_11comp_targetILNS1_3genE10ELNS1_11target_archE1200ELNS1_3gpuE4ELNS1_3repE0EEENS1_30default_config_static_selectorELNS0_4arch9wavefront6targetE1EEEvT1_,"axG",@progbits,_ZN7rocprim17ROCPRIM_400000_NS6detail17trampoline_kernelINS0_14default_configENS1_27scan_by_key_config_selectorIifEEZZNS1_16scan_by_key_implILNS1_25lookback_scan_determinismE0ELb1ES3_N6thrust23THRUST_200600_302600_NS6detail15normal_iteratorINS9_10device_ptrIiEEEENSB_INSC_IfEEEESG_fNS9_4plusIvEENS9_8equal_toIvEEfEE10hipError_tPvRmT2_T3_T4_T5_mT6_T7_P12ihipStream_tbENKUlT_T0_E_clISt17integral_constantIbLb1EES10_IbLb0EEEEDaSW_SX_EUlSW_E_NS1_11comp_targetILNS1_3genE10ELNS1_11target_archE1200ELNS1_3gpuE4ELNS1_3repE0EEENS1_30default_config_static_selectorELNS0_4arch9wavefront6targetE1EEEvT1_,comdat
	.protected	_ZN7rocprim17ROCPRIM_400000_NS6detail17trampoline_kernelINS0_14default_configENS1_27scan_by_key_config_selectorIifEEZZNS1_16scan_by_key_implILNS1_25lookback_scan_determinismE0ELb1ES3_N6thrust23THRUST_200600_302600_NS6detail15normal_iteratorINS9_10device_ptrIiEEEENSB_INSC_IfEEEESG_fNS9_4plusIvEENS9_8equal_toIvEEfEE10hipError_tPvRmT2_T3_T4_T5_mT6_T7_P12ihipStream_tbENKUlT_T0_E_clISt17integral_constantIbLb1EES10_IbLb0EEEEDaSW_SX_EUlSW_E_NS1_11comp_targetILNS1_3genE10ELNS1_11target_archE1200ELNS1_3gpuE4ELNS1_3repE0EEENS1_30default_config_static_selectorELNS0_4arch9wavefront6targetE1EEEvT1_ ; -- Begin function _ZN7rocprim17ROCPRIM_400000_NS6detail17trampoline_kernelINS0_14default_configENS1_27scan_by_key_config_selectorIifEEZZNS1_16scan_by_key_implILNS1_25lookback_scan_determinismE0ELb1ES3_N6thrust23THRUST_200600_302600_NS6detail15normal_iteratorINS9_10device_ptrIiEEEENSB_INSC_IfEEEESG_fNS9_4plusIvEENS9_8equal_toIvEEfEE10hipError_tPvRmT2_T3_T4_T5_mT6_T7_P12ihipStream_tbENKUlT_T0_E_clISt17integral_constantIbLb1EES10_IbLb0EEEEDaSW_SX_EUlSW_E_NS1_11comp_targetILNS1_3genE10ELNS1_11target_archE1200ELNS1_3gpuE4ELNS1_3repE0EEENS1_30default_config_static_selectorELNS0_4arch9wavefront6targetE1EEEvT1_
	.globl	_ZN7rocprim17ROCPRIM_400000_NS6detail17trampoline_kernelINS0_14default_configENS1_27scan_by_key_config_selectorIifEEZZNS1_16scan_by_key_implILNS1_25lookback_scan_determinismE0ELb1ES3_N6thrust23THRUST_200600_302600_NS6detail15normal_iteratorINS9_10device_ptrIiEEEENSB_INSC_IfEEEESG_fNS9_4plusIvEENS9_8equal_toIvEEfEE10hipError_tPvRmT2_T3_T4_T5_mT6_T7_P12ihipStream_tbENKUlT_T0_E_clISt17integral_constantIbLb1EES10_IbLb0EEEEDaSW_SX_EUlSW_E_NS1_11comp_targetILNS1_3genE10ELNS1_11target_archE1200ELNS1_3gpuE4ELNS1_3repE0EEENS1_30default_config_static_selectorELNS0_4arch9wavefront6targetE1EEEvT1_
	.p2align	8
	.type	_ZN7rocprim17ROCPRIM_400000_NS6detail17trampoline_kernelINS0_14default_configENS1_27scan_by_key_config_selectorIifEEZZNS1_16scan_by_key_implILNS1_25lookback_scan_determinismE0ELb1ES3_N6thrust23THRUST_200600_302600_NS6detail15normal_iteratorINS9_10device_ptrIiEEEENSB_INSC_IfEEEESG_fNS9_4plusIvEENS9_8equal_toIvEEfEE10hipError_tPvRmT2_T3_T4_T5_mT6_T7_P12ihipStream_tbENKUlT_T0_E_clISt17integral_constantIbLb1EES10_IbLb0EEEEDaSW_SX_EUlSW_E_NS1_11comp_targetILNS1_3genE10ELNS1_11target_archE1200ELNS1_3gpuE4ELNS1_3repE0EEENS1_30default_config_static_selectorELNS0_4arch9wavefront6targetE1EEEvT1_,@function
_ZN7rocprim17ROCPRIM_400000_NS6detail17trampoline_kernelINS0_14default_configENS1_27scan_by_key_config_selectorIifEEZZNS1_16scan_by_key_implILNS1_25lookback_scan_determinismE0ELb1ES3_N6thrust23THRUST_200600_302600_NS6detail15normal_iteratorINS9_10device_ptrIiEEEENSB_INSC_IfEEEESG_fNS9_4plusIvEENS9_8equal_toIvEEfEE10hipError_tPvRmT2_T3_T4_T5_mT6_T7_P12ihipStream_tbENKUlT_T0_E_clISt17integral_constantIbLb1EES10_IbLb0EEEEDaSW_SX_EUlSW_E_NS1_11comp_targetILNS1_3genE10ELNS1_11target_archE1200ELNS1_3gpuE4ELNS1_3repE0EEENS1_30default_config_static_selectorELNS0_4arch9wavefront6targetE1EEEvT1_: ; @_ZN7rocprim17ROCPRIM_400000_NS6detail17trampoline_kernelINS0_14default_configENS1_27scan_by_key_config_selectorIifEEZZNS1_16scan_by_key_implILNS1_25lookback_scan_determinismE0ELb1ES3_N6thrust23THRUST_200600_302600_NS6detail15normal_iteratorINS9_10device_ptrIiEEEENSB_INSC_IfEEEESG_fNS9_4plusIvEENS9_8equal_toIvEEfEE10hipError_tPvRmT2_T3_T4_T5_mT6_T7_P12ihipStream_tbENKUlT_T0_E_clISt17integral_constantIbLb1EES10_IbLb0EEEEDaSW_SX_EUlSW_E_NS1_11comp_targetILNS1_3genE10ELNS1_11target_archE1200ELNS1_3gpuE4ELNS1_3repE0EEENS1_30default_config_static_selectorELNS0_4arch9wavefront6targetE1EEEvT1_
; %bb.0:
	.section	.rodata,"a",@progbits
	.p2align	6, 0x0
	.amdhsa_kernel _ZN7rocprim17ROCPRIM_400000_NS6detail17trampoline_kernelINS0_14default_configENS1_27scan_by_key_config_selectorIifEEZZNS1_16scan_by_key_implILNS1_25lookback_scan_determinismE0ELb1ES3_N6thrust23THRUST_200600_302600_NS6detail15normal_iteratorINS9_10device_ptrIiEEEENSB_INSC_IfEEEESG_fNS9_4plusIvEENS9_8equal_toIvEEfEE10hipError_tPvRmT2_T3_T4_T5_mT6_T7_P12ihipStream_tbENKUlT_T0_E_clISt17integral_constantIbLb1EES10_IbLb0EEEEDaSW_SX_EUlSW_E_NS1_11comp_targetILNS1_3genE10ELNS1_11target_archE1200ELNS1_3gpuE4ELNS1_3repE0EEENS1_30default_config_static_selectorELNS0_4arch9wavefront6targetE1EEEvT1_
		.amdhsa_group_segment_fixed_size 0
		.amdhsa_private_segment_fixed_size 0
		.amdhsa_kernarg_size 112
		.amdhsa_user_sgpr_count 6
		.amdhsa_user_sgpr_private_segment_buffer 1
		.amdhsa_user_sgpr_dispatch_ptr 0
		.amdhsa_user_sgpr_queue_ptr 0
		.amdhsa_user_sgpr_kernarg_segment_ptr 1
		.amdhsa_user_sgpr_dispatch_id 0
		.amdhsa_user_sgpr_flat_scratch_init 0
		.amdhsa_user_sgpr_kernarg_preload_length 0
		.amdhsa_user_sgpr_kernarg_preload_offset 0
		.amdhsa_user_sgpr_private_segment_size 0
		.amdhsa_uses_dynamic_stack 0
		.amdhsa_system_sgpr_private_segment_wavefront_offset 0
		.amdhsa_system_sgpr_workgroup_id_x 1
		.amdhsa_system_sgpr_workgroup_id_y 0
		.amdhsa_system_sgpr_workgroup_id_z 0
		.amdhsa_system_sgpr_workgroup_info 0
		.amdhsa_system_vgpr_workitem_id 0
		.amdhsa_next_free_vgpr 1
		.amdhsa_next_free_sgpr 0
		.amdhsa_accum_offset 4
		.amdhsa_reserve_vcc 0
		.amdhsa_reserve_flat_scratch 0
		.amdhsa_float_round_mode_32 0
		.amdhsa_float_round_mode_16_64 0
		.amdhsa_float_denorm_mode_32 3
		.amdhsa_float_denorm_mode_16_64 3
		.amdhsa_dx10_clamp 1
		.amdhsa_ieee_mode 1
		.amdhsa_fp16_overflow 0
		.amdhsa_tg_split 0
		.amdhsa_exception_fp_ieee_invalid_op 0
		.amdhsa_exception_fp_denorm_src 0
		.amdhsa_exception_fp_ieee_div_zero 0
		.amdhsa_exception_fp_ieee_overflow 0
		.amdhsa_exception_fp_ieee_underflow 0
		.amdhsa_exception_fp_ieee_inexact 0
		.amdhsa_exception_int_div_zero 0
	.end_amdhsa_kernel
	.section	.text._ZN7rocprim17ROCPRIM_400000_NS6detail17trampoline_kernelINS0_14default_configENS1_27scan_by_key_config_selectorIifEEZZNS1_16scan_by_key_implILNS1_25lookback_scan_determinismE0ELb1ES3_N6thrust23THRUST_200600_302600_NS6detail15normal_iteratorINS9_10device_ptrIiEEEENSB_INSC_IfEEEESG_fNS9_4plusIvEENS9_8equal_toIvEEfEE10hipError_tPvRmT2_T3_T4_T5_mT6_T7_P12ihipStream_tbENKUlT_T0_E_clISt17integral_constantIbLb1EES10_IbLb0EEEEDaSW_SX_EUlSW_E_NS1_11comp_targetILNS1_3genE10ELNS1_11target_archE1200ELNS1_3gpuE4ELNS1_3repE0EEENS1_30default_config_static_selectorELNS0_4arch9wavefront6targetE1EEEvT1_,"axG",@progbits,_ZN7rocprim17ROCPRIM_400000_NS6detail17trampoline_kernelINS0_14default_configENS1_27scan_by_key_config_selectorIifEEZZNS1_16scan_by_key_implILNS1_25lookback_scan_determinismE0ELb1ES3_N6thrust23THRUST_200600_302600_NS6detail15normal_iteratorINS9_10device_ptrIiEEEENSB_INSC_IfEEEESG_fNS9_4plusIvEENS9_8equal_toIvEEfEE10hipError_tPvRmT2_T3_T4_T5_mT6_T7_P12ihipStream_tbENKUlT_T0_E_clISt17integral_constantIbLb1EES10_IbLb0EEEEDaSW_SX_EUlSW_E_NS1_11comp_targetILNS1_3genE10ELNS1_11target_archE1200ELNS1_3gpuE4ELNS1_3repE0EEENS1_30default_config_static_selectorELNS0_4arch9wavefront6targetE1EEEvT1_,comdat
.Lfunc_end1451:
	.size	_ZN7rocprim17ROCPRIM_400000_NS6detail17trampoline_kernelINS0_14default_configENS1_27scan_by_key_config_selectorIifEEZZNS1_16scan_by_key_implILNS1_25lookback_scan_determinismE0ELb1ES3_N6thrust23THRUST_200600_302600_NS6detail15normal_iteratorINS9_10device_ptrIiEEEENSB_INSC_IfEEEESG_fNS9_4plusIvEENS9_8equal_toIvEEfEE10hipError_tPvRmT2_T3_T4_T5_mT6_T7_P12ihipStream_tbENKUlT_T0_E_clISt17integral_constantIbLb1EES10_IbLb0EEEEDaSW_SX_EUlSW_E_NS1_11comp_targetILNS1_3genE10ELNS1_11target_archE1200ELNS1_3gpuE4ELNS1_3repE0EEENS1_30default_config_static_selectorELNS0_4arch9wavefront6targetE1EEEvT1_, .Lfunc_end1451-_ZN7rocprim17ROCPRIM_400000_NS6detail17trampoline_kernelINS0_14default_configENS1_27scan_by_key_config_selectorIifEEZZNS1_16scan_by_key_implILNS1_25lookback_scan_determinismE0ELb1ES3_N6thrust23THRUST_200600_302600_NS6detail15normal_iteratorINS9_10device_ptrIiEEEENSB_INSC_IfEEEESG_fNS9_4plusIvEENS9_8equal_toIvEEfEE10hipError_tPvRmT2_T3_T4_T5_mT6_T7_P12ihipStream_tbENKUlT_T0_E_clISt17integral_constantIbLb1EES10_IbLb0EEEEDaSW_SX_EUlSW_E_NS1_11comp_targetILNS1_3genE10ELNS1_11target_archE1200ELNS1_3gpuE4ELNS1_3repE0EEENS1_30default_config_static_selectorELNS0_4arch9wavefront6targetE1EEEvT1_
                                        ; -- End function
	.section	.AMDGPU.csdata,"",@progbits
; Kernel info:
; codeLenInByte = 0
; NumSgprs: 4
; NumVgprs: 0
; NumAgprs: 0
; TotalNumVgprs: 0
; ScratchSize: 0
; MemoryBound: 0
; FloatMode: 240
; IeeeMode: 1
; LDSByteSize: 0 bytes/workgroup (compile time only)
; SGPRBlocks: 0
; VGPRBlocks: 0
; NumSGPRsForWavesPerEU: 4
; NumVGPRsForWavesPerEU: 1
; AccumOffset: 4
; Occupancy: 8
; WaveLimiterHint : 0
; COMPUTE_PGM_RSRC2:SCRATCH_EN: 0
; COMPUTE_PGM_RSRC2:USER_SGPR: 6
; COMPUTE_PGM_RSRC2:TRAP_HANDLER: 0
; COMPUTE_PGM_RSRC2:TGID_X_EN: 1
; COMPUTE_PGM_RSRC2:TGID_Y_EN: 0
; COMPUTE_PGM_RSRC2:TGID_Z_EN: 0
; COMPUTE_PGM_RSRC2:TIDIG_COMP_CNT: 0
; COMPUTE_PGM_RSRC3_GFX90A:ACCUM_OFFSET: 0
; COMPUTE_PGM_RSRC3_GFX90A:TG_SPLIT: 0
	.section	.text._ZN7rocprim17ROCPRIM_400000_NS6detail17trampoline_kernelINS0_14default_configENS1_27scan_by_key_config_selectorIifEEZZNS1_16scan_by_key_implILNS1_25lookback_scan_determinismE0ELb1ES3_N6thrust23THRUST_200600_302600_NS6detail15normal_iteratorINS9_10device_ptrIiEEEENSB_INSC_IfEEEESG_fNS9_4plusIvEENS9_8equal_toIvEEfEE10hipError_tPvRmT2_T3_T4_T5_mT6_T7_P12ihipStream_tbENKUlT_T0_E_clISt17integral_constantIbLb1EES10_IbLb0EEEEDaSW_SX_EUlSW_E_NS1_11comp_targetILNS1_3genE9ELNS1_11target_archE1100ELNS1_3gpuE3ELNS1_3repE0EEENS1_30default_config_static_selectorELNS0_4arch9wavefront6targetE1EEEvT1_,"axG",@progbits,_ZN7rocprim17ROCPRIM_400000_NS6detail17trampoline_kernelINS0_14default_configENS1_27scan_by_key_config_selectorIifEEZZNS1_16scan_by_key_implILNS1_25lookback_scan_determinismE0ELb1ES3_N6thrust23THRUST_200600_302600_NS6detail15normal_iteratorINS9_10device_ptrIiEEEENSB_INSC_IfEEEESG_fNS9_4plusIvEENS9_8equal_toIvEEfEE10hipError_tPvRmT2_T3_T4_T5_mT6_T7_P12ihipStream_tbENKUlT_T0_E_clISt17integral_constantIbLb1EES10_IbLb0EEEEDaSW_SX_EUlSW_E_NS1_11comp_targetILNS1_3genE9ELNS1_11target_archE1100ELNS1_3gpuE3ELNS1_3repE0EEENS1_30default_config_static_selectorELNS0_4arch9wavefront6targetE1EEEvT1_,comdat
	.protected	_ZN7rocprim17ROCPRIM_400000_NS6detail17trampoline_kernelINS0_14default_configENS1_27scan_by_key_config_selectorIifEEZZNS1_16scan_by_key_implILNS1_25lookback_scan_determinismE0ELb1ES3_N6thrust23THRUST_200600_302600_NS6detail15normal_iteratorINS9_10device_ptrIiEEEENSB_INSC_IfEEEESG_fNS9_4plusIvEENS9_8equal_toIvEEfEE10hipError_tPvRmT2_T3_T4_T5_mT6_T7_P12ihipStream_tbENKUlT_T0_E_clISt17integral_constantIbLb1EES10_IbLb0EEEEDaSW_SX_EUlSW_E_NS1_11comp_targetILNS1_3genE9ELNS1_11target_archE1100ELNS1_3gpuE3ELNS1_3repE0EEENS1_30default_config_static_selectorELNS0_4arch9wavefront6targetE1EEEvT1_ ; -- Begin function _ZN7rocprim17ROCPRIM_400000_NS6detail17trampoline_kernelINS0_14default_configENS1_27scan_by_key_config_selectorIifEEZZNS1_16scan_by_key_implILNS1_25lookback_scan_determinismE0ELb1ES3_N6thrust23THRUST_200600_302600_NS6detail15normal_iteratorINS9_10device_ptrIiEEEENSB_INSC_IfEEEESG_fNS9_4plusIvEENS9_8equal_toIvEEfEE10hipError_tPvRmT2_T3_T4_T5_mT6_T7_P12ihipStream_tbENKUlT_T0_E_clISt17integral_constantIbLb1EES10_IbLb0EEEEDaSW_SX_EUlSW_E_NS1_11comp_targetILNS1_3genE9ELNS1_11target_archE1100ELNS1_3gpuE3ELNS1_3repE0EEENS1_30default_config_static_selectorELNS0_4arch9wavefront6targetE1EEEvT1_
	.globl	_ZN7rocprim17ROCPRIM_400000_NS6detail17trampoline_kernelINS0_14default_configENS1_27scan_by_key_config_selectorIifEEZZNS1_16scan_by_key_implILNS1_25lookback_scan_determinismE0ELb1ES3_N6thrust23THRUST_200600_302600_NS6detail15normal_iteratorINS9_10device_ptrIiEEEENSB_INSC_IfEEEESG_fNS9_4plusIvEENS9_8equal_toIvEEfEE10hipError_tPvRmT2_T3_T4_T5_mT6_T7_P12ihipStream_tbENKUlT_T0_E_clISt17integral_constantIbLb1EES10_IbLb0EEEEDaSW_SX_EUlSW_E_NS1_11comp_targetILNS1_3genE9ELNS1_11target_archE1100ELNS1_3gpuE3ELNS1_3repE0EEENS1_30default_config_static_selectorELNS0_4arch9wavefront6targetE1EEEvT1_
	.p2align	8
	.type	_ZN7rocprim17ROCPRIM_400000_NS6detail17trampoline_kernelINS0_14default_configENS1_27scan_by_key_config_selectorIifEEZZNS1_16scan_by_key_implILNS1_25lookback_scan_determinismE0ELb1ES3_N6thrust23THRUST_200600_302600_NS6detail15normal_iteratorINS9_10device_ptrIiEEEENSB_INSC_IfEEEESG_fNS9_4plusIvEENS9_8equal_toIvEEfEE10hipError_tPvRmT2_T3_T4_T5_mT6_T7_P12ihipStream_tbENKUlT_T0_E_clISt17integral_constantIbLb1EES10_IbLb0EEEEDaSW_SX_EUlSW_E_NS1_11comp_targetILNS1_3genE9ELNS1_11target_archE1100ELNS1_3gpuE3ELNS1_3repE0EEENS1_30default_config_static_selectorELNS0_4arch9wavefront6targetE1EEEvT1_,@function
_ZN7rocprim17ROCPRIM_400000_NS6detail17trampoline_kernelINS0_14default_configENS1_27scan_by_key_config_selectorIifEEZZNS1_16scan_by_key_implILNS1_25lookback_scan_determinismE0ELb1ES3_N6thrust23THRUST_200600_302600_NS6detail15normal_iteratorINS9_10device_ptrIiEEEENSB_INSC_IfEEEESG_fNS9_4plusIvEENS9_8equal_toIvEEfEE10hipError_tPvRmT2_T3_T4_T5_mT6_T7_P12ihipStream_tbENKUlT_T0_E_clISt17integral_constantIbLb1EES10_IbLb0EEEEDaSW_SX_EUlSW_E_NS1_11comp_targetILNS1_3genE9ELNS1_11target_archE1100ELNS1_3gpuE3ELNS1_3repE0EEENS1_30default_config_static_selectorELNS0_4arch9wavefront6targetE1EEEvT1_: ; @_ZN7rocprim17ROCPRIM_400000_NS6detail17trampoline_kernelINS0_14default_configENS1_27scan_by_key_config_selectorIifEEZZNS1_16scan_by_key_implILNS1_25lookback_scan_determinismE0ELb1ES3_N6thrust23THRUST_200600_302600_NS6detail15normal_iteratorINS9_10device_ptrIiEEEENSB_INSC_IfEEEESG_fNS9_4plusIvEENS9_8equal_toIvEEfEE10hipError_tPvRmT2_T3_T4_T5_mT6_T7_P12ihipStream_tbENKUlT_T0_E_clISt17integral_constantIbLb1EES10_IbLb0EEEEDaSW_SX_EUlSW_E_NS1_11comp_targetILNS1_3genE9ELNS1_11target_archE1100ELNS1_3gpuE3ELNS1_3repE0EEENS1_30default_config_static_selectorELNS0_4arch9wavefront6targetE1EEEvT1_
; %bb.0:
	.section	.rodata,"a",@progbits
	.p2align	6, 0x0
	.amdhsa_kernel _ZN7rocprim17ROCPRIM_400000_NS6detail17trampoline_kernelINS0_14default_configENS1_27scan_by_key_config_selectorIifEEZZNS1_16scan_by_key_implILNS1_25lookback_scan_determinismE0ELb1ES3_N6thrust23THRUST_200600_302600_NS6detail15normal_iteratorINS9_10device_ptrIiEEEENSB_INSC_IfEEEESG_fNS9_4plusIvEENS9_8equal_toIvEEfEE10hipError_tPvRmT2_T3_T4_T5_mT6_T7_P12ihipStream_tbENKUlT_T0_E_clISt17integral_constantIbLb1EES10_IbLb0EEEEDaSW_SX_EUlSW_E_NS1_11comp_targetILNS1_3genE9ELNS1_11target_archE1100ELNS1_3gpuE3ELNS1_3repE0EEENS1_30default_config_static_selectorELNS0_4arch9wavefront6targetE1EEEvT1_
		.amdhsa_group_segment_fixed_size 0
		.amdhsa_private_segment_fixed_size 0
		.amdhsa_kernarg_size 112
		.amdhsa_user_sgpr_count 6
		.amdhsa_user_sgpr_private_segment_buffer 1
		.amdhsa_user_sgpr_dispatch_ptr 0
		.amdhsa_user_sgpr_queue_ptr 0
		.amdhsa_user_sgpr_kernarg_segment_ptr 1
		.amdhsa_user_sgpr_dispatch_id 0
		.amdhsa_user_sgpr_flat_scratch_init 0
		.amdhsa_user_sgpr_kernarg_preload_length 0
		.amdhsa_user_sgpr_kernarg_preload_offset 0
		.amdhsa_user_sgpr_private_segment_size 0
		.amdhsa_uses_dynamic_stack 0
		.amdhsa_system_sgpr_private_segment_wavefront_offset 0
		.amdhsa_system_sgpr_workgroup_id_x 1
		.amdhsa_system_sgpr_workgroup_id_y 0
		.amdhsa_system_sgpr_workgroup_id_z 0
		.amdhsa_system_sgpr_workgroup_info 0
		.amdhsa_system_vgpr_workitem_id 0
		.amdhsa_next_free_vgpr 1
		.amdhsa_next_free_sgpr 0
		.amdhsa_accum_offset 4
		.amdhsa_reserve_vcc 0
		.amdhsa_reserve_flat_scratch 0
		.amdhsa_float_round_mode_32 0
		.amdhsa_float_round_mode_16_64 0
		.amdhsa_float_denorm_mode_32 3
		.amdhsa_float_denorm_mode_16_64 3
		.amdhsa_dx10_clamp 1
		.amdhsa_ieee_mode 1
		.amdhsa_fp16_overflow 0
		.amdhsa_tg_split 0
		.amdhsa_exception_fp_ieee_invalid_op 0
		.amdhsa_exception_fp_denorm_src 0
		.amdhsa_exception_fp_ieee_div_zero 0
		.amdhsa_exception_fp_ieee_overflow 0
		.amdhsa_exception_fp_ieee_underflow 0
		.amdhsa_exception_fp_ieee_inexact 0
		.amdhsa_exception_int_div_zero 0
	.end_amdhsa_kernel
	.section	.text._ZN7rocprim17ROCPRIM_400000_NS6detail17trampoline_kernelINS0_14default_configENS1_27scan_by_key_config_selectorIifEEZZNS1_16scan_by_key_implILNS1_25lookback_scan_determinismE0ELb1ES3_N6thrust23THRUST_200600_302600_NS6detail15normal_iteratorINS9_10device_ptrIiEEEENSB_INSC_IfEEEESG_fNS9_4plusIvEENS9_8equal_toIvEEfEE10hipError_tPvRmT2_T3_T4_T5_mT6_T7_P12ihipStream_tbENKUlT_T0_E_clISt17integral_constantIbLb1EES10_IbLb0EEEEDaSW_SX_EUlSW_E_NS1_11comp_targetILNS1_3genE9ELNS1_11target_archE1100ELNS1_3gpuE3ELNS1_3repE0EEENS1_30default_config_static_selectorELNS0_4arch9wavefront6targetE1EEEvT1_,"axG",@progbits,_ZN7rocprim17ROCPRIM_400000_NS6detail17trampoline_kernelINS0_14default_configENS1_27scan_by_key_config_selectorIifEEZZNS1_16scan_by_key_implILNS1_25lookback_scan_determinismE0ELb1ES3_N6thrust23THRUST_200600_302600_NS6detail15normal_iteratorINS9_10device_ptrIiEEEENSB_INSC_IfEEEESG_fNS9_4plusIvEENS9_8equal_toIvEEfEE10hipError_tPvRmT2_T3_T4_T5_mT6_T7_P12ihipStream_tbENKUlT_T0_E_clISt17integral_constantIbLb1EES10_IbLb0EEEEDaSW_SX_EUlSW_E_NS1_11comp_targetILNS1_3genE9ELNS1_11target_archE1100ELNS1_3gpuE3ELNS1_3repE0EEENS1_30default_config_static_selectorELNS0_4arch9wavefront6targetE1EEEvT1_,comdat
.Lfunc_end1452:
	.size	_ZN7rocprim17ROCPRIM_400000_NS6detail17trampoline_kernelINS0_14default_configENS1_27scan_by_key_config_selectorIifEEZZNS1_16scan_by_key_implILNS1_25lookback_scan_determinismE0ELb1ES3_N6thrust23THRUST_200600_302600_NS6detail15normal_iteratorINS9_10device_ptrIiEEEENSB_INSC_IfEEEESG_fNS9_4plusIvEENS9_8equal_toIvEEfEE10hipError_tPvRmT2_T3_T4_T5_mT6_T7_P12ihipStream_tbENKUlT_T0_E_clISt17integral_constantIbLb1EES10_IbLb0EEEEDaSW_SX_EUlSW_E_NS1_11comp_targetILNS1_3genE9ELNS1_11target_archE1100ELNS1_3gpuE3ELNS1_3repE0EEENS1_30default_config_static_selectorELNS0_4arch9wavefront6targetE1EEEvT1_, .Lfunc_end1452-_ZN7rocprim17ROCPRIM_400000_NS6detail17trampoline_kernelINS0_14default_configENS1_27scan_by_key_config_selectorIifEEZZNS1_16scan_by_key_implILNS1_25lookback_scan_determinismE0ELb1ES3_N6thrust23THRUST_200600_302600_NS6detail15normal_iteratorINS9_10device_ptrIiEEEENSB_INSC_IfEEEESG_fNS9_4plusIvEENS9_8equal_toIvEEfEE10hipError_tPvRmT2_T3_T4_T5_mT6_T7_P12ihipStream_tbENKUlT_T0_E_clISt17integral_constantIbLb1EES10_IbLb0EEEEDaSW_SX_EUlSW_E_NS1_11comp_targetILNS1_3genE9ELNS1_11target_archE1100ELNS1_3gpuE3ELNS1_3repE0EEENS1_30default_config_static_selectorELNS0_4arch9wavefront6targetE1EEEvT1_
                                        ; -- End function
	.section	.AMDGPU.csdata,"",@progbits
; Kernel info:
; codeLenInByte = 0
; NumSgprs: 4
; NumVgprs: 0
; NumAgprs: 0
; TotalNumVgprs: 0
; ScratchSize: 0
; MemoryBound: 0
; FloatMode: 240
; IeeeMode: 1
; LDSByteSize: 0 bytes/workgroup (compile time only)
; SGPRBlocks: 0
; VGPRBlocks: 0
; NumSGPRsForWavesPerEU: 4
; NumVGPRsForWavesPerEU: 1
; AccumOffset: 4
; Occupancy: 8
; WaveLimiterHint : 0
; COMPUTE_PGM_RSRC2:SCRATCH_EN: 0
; COMPUTE_PGM_RSRC2:USER_SGPR: 6
; COMPUTE_PGM_RSRC2:TRAP_HANDLER: 0
; COMPUTE_PGM_RSRC2:TGID_X_EN: 1
; COMPUTE_PGM_RSRC2:TGID_Y_EN: 0
; COMPUTE_PGM_RSRC2:TGID_Z_EN: 0
; COMPUTE_PGM_RSRC2:TIDIG_COMP_CNT: 0
; COMPUTE_PGM_RSRC3_GFX90A:ACCUM_OFFSET: 0
; COMPUTE_PGM_RSRC3_GFX90A:TG_SPLIT: 0
	.section	.text._ZN7rocprim17ROCPRIM_400000_NS6detail17trampoline_kernelINS0_14default_configENS1_27scan_by_key_config_selectorIifEEZZNS1_16scan_by_key_implILNS1_25lookback_scan_determinismE0ELb1ES3_N6thrust23THRUST_200600_302600_NS6detail15normal_iteratorINS9_10device_ptrIiEEEENSB_INSC_IfEEEESG_fNS9_4plusIvEENS9_8equal_toIvEEfEE10hipError_tPvRmT2_T3_T4_T5_mT6_T7_P12ihipStream_tbENKUlT_T0_E_clISt17integral_constantIbLb1EES10_IbLb0EEEEDaSW_SX_EUlSW_E_NS1_11comp_targetILNS1_3genE8ELNS1_11target_archE1030ELNS1_3gpuE2ELNS1_3repE0EEENS1_30default_config_static_selectorELNS0_4arch9wavefront6targetE1EEEvT1_,"axG",@progbits,_ZN7rocprim17ROCPRIM_400000_NS6detail17trampoline_kernelINS0_14default_configENS1_27scan_by_key_config_selectorIifEEZZNS1_16scan_by_key_implILNS1_25lookback_scan_determinismE0ELb1ES3_N6thrust23THRUST_200600_302600_NS6detail15normal_iteratorINS9_10device_ptrIiEEEENSB_INSC_IfEEEESG_fNS9_4plusIvEENS9_8equal_toIvEEfEE10hipError_tPvRmT2_T3_T4_T5_mT6_T7_P12ihipStream_tbENKUlT_T0_E_clISt17integral_constantIbLb1EES10_IbLb0EEEEDaSW_SX_EUlSW_E_NS1_11comp_targetILNS1_3genE8ELNS1_11target_archE1030ELNS1_3gpuE2ELNS1_3repE0EEENS1_30default_config_static_selectorELNS0_4arch9wavefront6targetE1EEEvT1_,comdat
	.protected	_ZN7rocprim17ROCPRIM_400000_NS6detail17trampoline_kernelINS0_14default_configENS1_27scan_by_key_config_selectorIifEEZZNS1_16scan_by_key_implILNS1_25lookback_scan_determinismE0ELb1ES3_N6thrust23THRUST_200600_302600_NS6detail15normal_iteratorINS9_10device_ptrIiEEEENSB_INSC_IfEEEESG_fNS9_4plusIvEENS9_8equal_toIvEEfEE10hipError_tPvRmT2_T3_T4_T5_mT6_T7_P12ihipStream_tbENKUlT_T0_E_clISt17integral_constantIbLb1EES10_IbLb0EEEEDaSW_SX_EUlSW_E_NS1_11comp_targetILNS1_3genE8ELNS1_11target_archE1030ELNS1_3gpuE2ELNS1_3repE0EEENS1_30default_config_static_selectorELNS0_4arch9wavefront6targetE1EEEvT1_ ; -- Begin function _ZN7rocprim17ROCPRIM_400000_NS6detail17trampoline_kernelINS0_14default_configENS1_27scan_by_key_config_selectorIifEEZZNS1_16scan_by_key_implILNS1_25lookback_scan_determinismE0ELb1ES3_N6thrust23THRUST_200600_302600_NS6detail15normal_iteratorINS9_10device_ptrIiEEEENSB_INSC_IfEEEESG_fNS9_4plusIvEENS9_8equal_toIvEEfEE10hipError_tPvRmT2_T3_T4_T5_mT6_T7_P12ihipStream_tbENKUlT_T0_E_clISt17integral_constantIbLb1EES10_IbLb0EEEEDaSW_SX_EUlSW_E_NS1_11comp_targetILNS1_3genE8ELNS1_11target_archE1030ELNS1_3gpuE2ELNS1_3repE0EEENS1_30default_config_static_selectorELNS0_4arch9wavefront6targetE1EEEvT1_
	.globl	_ZN7rocprim17ROCPRIM_400000_NS6detail17trampoline_kernelINS0_14default_configENS1_27scan_by_key_config_selectorIifEEZZNS1_16scan_by_key_implILNS1_25lookback_scan_determinismE0ELb1ES3_N6thrust23THRUST_200600_302600_NS6detail15normal_iteratorINS9_10device_ptrIiEEEENSB_INSC_IfEEEESG_fNS9_4plusIvEENS9_8equal_toIvEEfEE10hipError_tPvRmT2_T3_T4_T5_mT6_T7_P12ihipStream_tbENKUlT_T0_E_clISt17integral_constantIbLb1EES10_IbLb0EEEEDaSW_SX_EUlSW_E_NS1_11comp_targetILNS1_3genE8ELNS1_11target_archE1030ELNS1_3gpuE2ELNS1_3repE0EEENS1_30default_config_static_selectorELNS0_4arch9wavefront6targetE1EEEvT1_
	.p2align	8
	.type	_ZN7rocprim17ROCPRIM_400000_NS6detail17trampoline_kernelINS0_14default_configENS1_27scan_by_key_config_selectorIifEEZZNS1_16scan_by_key_implILNS1_25lookback_scan_determinismE0ELb1ES3_N6thrust23THRUST_200600_302600_NS6detail15normal_iteratorINS9_10device_ptrIiEEEENSB_INSC_IfEEEESG_fNS9_4plusIvEENS9_8equal_toIvEEfEE10hipError_tPvRmT2_T3_T4_T5_mT6_T7_P12ihipStream_tbENKUlT_T0_E_clISt17integral_constantIbLb1EES10_IbLb0EEEEDaSW_SX_EUlSW_E_NS1_11comp_targetILNS1_3genE8ELNS1_11target_archE1030ELNS1_3gpuE2ELNS1_3repE0EEENS1_30default_config_static_selectorELNS0_4arch9wavefront6targetE1EEEvT1_,@function
_ZN7rocprim17ROCPRIM_400000_NS6detail17trampoline_kernelINS0_14default_configENS1_27scan_by_key_config_selectorIifEEZZNS1_16scan_by_key_implILNS1_25lookback_scan_determinismE0ELb1ES3_N6thrust23THRUST_200600_302600_NS6detail15normal_iteratorINS9_10device_ptrIiEEEENSB_INSC_IfEEEESG_fNS9_4plusIvEENS9_8equal_toIvEEfEE10hipError_tPvRmT2_T3_T4_T5_mT6_T7_P12ihipStream_tbENKUlT_T0_E_clISt17integral_constantIbLb1EES10_IbLb0EEEEDaSW_SX_EUlSW_E_NS1_11comp_targetILNS1_3genE8ELNS1_11target_archE1030ELNS1_3gpuE2ELNS1_3repE0EEENS1_30default_config_static_selectorELNS0_4arch9wavefront6targetE1EEEvT1_: ; @_ZN7rocprim17ROCPRIM_400000_NS6detail17trampoline_kernelINS0_14default_configENS1_27scan_by_key_config_selectorIifEEZZNS1_16scan_by_key_implILNS1_25lookback_scan_determinismE0ELb1ES3_N6thrust23THRUST_200600_302600_NS6detail15normal_iteratorINS9_10device_ptrIiEEEENSB_INSC_IfEEEESG_fNS9_4plusIvEENS9_8equal_toIvEEfEE10hipError_tPvRmT2_T3_T4_T5_mT6_T7_P12ihipStream_tbENKUlT_T0_E_clISt17integral_constantIbLb1EES10_IbLb0EEEEDaSW_SX_EUlSW_E_NS1_11comp_targetILNS1_3genE8ELNS1_11target_archE1030ELNS1_3gpuE2ELNS1_3repE0EEENS1_30default_config_static_selectorELNS0_4arch9wavefront6targetE1EEEvT1_
; %bb.0:
	.section	.rodata,"a",@progbits
	.p2align	6, 0x0
	.amdhsa_kernel _ZN7rocprim17ROCPRIM_400000_NS6detail17trampoline_kernelINS0_14default_configENS1_27scan_by_key_config_selectorIifEEZZNS1_16scan_by_key_implILNS1_25lookback_scan_determinismE0ELb1ES3_N6thrust23THRUST_200600_302600_NS6detail15normal_iteratorINS9_10device_ptrIiEEEENSB_INSC_IfEEEESG_fNS9_4plusIvEENS9_8equal_toIvEEfEE10hipError_tPvRmT2_T3_T4_T5_mT6_T7_P12ihipStream_tbENKUlT_T0_E_clISt17integral_constantIbLb1EES10_IbLb0EEEEDaSW_SX_EUlSW_E_NS1_11comp_targetILNS1_3genE8ELNS1_11target_archE1030ELNS1_3gpuE2ELNS1_3repE0EEENS1_30default_config_static_selectorELNS0_4arch9wavefront6targetE1EEEvT1_
		.amdhsa_group_segment_fixed_size 0
		.amdhsa_private_segment_fixed_size 0
		.amdhsa_kernarg_size 112
		.amdhsa_user_sgpr_count 6
		.amdhsa_user_sgpr_private_segment_buffer 1
		.amdhsa_user_sgpr_dispatch_ptr 0
		.amdhsa_user_sgpr_queue_ptr 0
		.amdhsa_user_sgpr_kernarg_segment_ptr 1
		.amdhsa_user_sgpr_dispatch_id 0
		.amdhsa_user_sgpr_flat_scratch_init 0
		.amdhsa_user_sgpr_kernarg_preload_length 0
		.amdhsa_user_sgpr_kernarg_preload_offset 0
		.amdhsa_user_sgpr_private_segment_size 0
		.amdhsa_uses_dynamic_stack 0
		.amdhsa_system_sgpr_private_segment_wavefront_offset 0
		.amdhsa_system_sgpr_workgroup_id_x 1
		.amdhsa_system_sgpr_workgroup_id_y 0
		.amdhsa_system_sgpr_workgroup_id_z 0
		.amdhsa_system_sgpr_workgroup_info 0
		.amdhsa_system_vgpr_workitem_id 0
		.amdhsa_next_free_vgpr 1
		.amdhsa_next_free_sgpr 0
		.amdhsa_accum_offset 4
		.amdhsa_reserve_vcc 0
		.amdhsa_reserve_flat_scratch 0
		.amdhsa_float_round_mode_32 0
		.amdhsa_float_round_mode_16_64 0
		.amdhsa_float_denorm_mode_32 3
		.amdhsa_float_denorm_mode_16_64 3
		.amdhsa_dx10_clamp 1
		.amdhsa_ieee_mode 1
		.amdhsa_fp16_overflow 0
		.amdhsa_tg_split 0
		.amdhsa_exception_fp_ieee_invalid_op 0
		.amdhsa_exception_fp_denorm_src 0
		.amdhsa_exception_fp_ieee_div_zero 0
		.amdhsa_exception_fp_ieee_overflow 0
		.amdhsa_exception_fp_ieee_underflow 0
		.amdhsa_exception_fp_ieee_inexact 0
		.amdhsa_exception_int_div_zero 0
	.end_amdhsa_kernel
	.section	.text._ZN7rocprim17ROCPRIM_400000_NS6detail17trampoline_kernelINS0_14default_configENS1_27scan_by_key_config_selectorIifEEZZNS1_16scan_by_key_implILNS1_25lookback_scan_determinismE0ELb1ES3_N6thrust23THRUST_200600_302600_NS6detail15normal_iteratorINS9_10device_ptrIiEEEENSB_INSC_IfEEEESG_fNS9_4plusIvEENS9_8equal_toIvEEfEE10hipError_tPvRmT2_T3_T4_T5_mT6_T7_P12ihipStream_tbENKUlT_T0_E_clISt17integral_constantIbLb1EES10_IbLb0EEEEDaSW_SX_EUlSW_E_NS1_11comp_targetILNS1_3genE8ELNS1_11target_archE1030ELNS1_3gpuE2ELNS1_3repE0EEENS1_30default_config_static_selectorELNS0_4arch9wavefront6targetE1EEEvT1_,"axG",@progbits,_ZN7rocprim17ROCPRIM_400000_NS6detail17trampoline_kernelINS0_14default_configENS1_27scan_by_key_config_selectorIifEEZZNS1_16scan_by_key_implILNS1_25lookback_scan_determinismE0ELb1ES3_N6thrust23THRUST_200600_302600_NS6detail15normal_iteratorINS9_10device_ptrIiEEEENSB_INSC_IfEEEESG_fNS9_4plusIvEENS9_8equal_toIvEEfEE10hipError_tPvRmT2_T3_T4_T5_mT6_T7_P12ihipStream_tbENKUlT_T0_E_clISt17integral_constantIbLb1EES10_IbLb0EEEEDaSW_SX_EUlSW_E_NS1_11comp_targetILNS1_3genE8ELNS1_11target_archE1030ELNS1_3gpuE2ELNS1_3repE0EEENS1_30default_config_static_selectorELNS0_4arch9wavefront6targetE1EEEvT1_,comdat
.Lfunc_end1453:
	.size	_ZN7rocprim17ROCPRIM_400000_NS6detail17trampoline_kernelINS0_14default_configENS1_27scan_by_key_config_selectorIifEEZZNS1_16scan_by_key_implILNS1_25lookback_scan_determinismE0ELb1ES3_N6thrust23THRUST_200600_302600_NS6detail15normal_iteratorINS9_10device_ptrIiEEEENSB_INSC_IfEEEESG_fNS9_4plusIvEENS9_8equal_toIvEEfEE10hipError_tPvRmT2_T3_T4_T5_mT6_T7_P12ihipStream_tbENKUlT_T0_E_clISt17integral_constantIbLb1EES10_IbLb0EEEEDaSW_SX_EUlSW_E_NS1_11comp_targetILNS1_3genE8ELNS1_11target_archE1030ELNS1_3gpuE2ELNS1_3repE0EEENS1_30default_config_static_selectorELNS0_4arch9wavefront6targetE1EEEvT1_, .Lfunc_end1453-_ZN7rocprim17ROCPRIM_400000_NS6detail17trampoline_kernelINS0_14default_configENS1_27scan_by_key_config_selectorIifEEZZNS1_16scan_by_key_implILNS1_25lookback_scan_determinismE0ELb1ES3_N6thrust23THRUST_200600_302600_NS6detail15normal_iteratorINS9_10device_ptrIiEEEENSB_INSC_IfEEEESG_fNS9_4plusIvEENS9_8equal_toIvEEfEE10hipError_tPvRmT2_T3_T4_T5_mT6_T7_P12ihipStream_tbENKUlT_T0_E_clISt17integral_constantIbLb1EES10_IbLb0EEEEDaSW_SX_EUlSW_E_NS1_11comp_targetILNS1_3genE8ELNS1_11target_archE1030ELNS1_3gpuE2ELNS1_3repE0EEENS1_30default_config_static_selectorELNS0_4arch9wavefront6targetE1EEEvT1_
                                        ; -- End function
	.section	.AMDGPU.csdata,"",@progbits
; Kernel info:
; codeLenInByte = 0
; NumSgprs: 4
; NumVgprs: 0
; NumAgprs: 0
; TotalNumVgprs: 0
; ScratchSize: 0
; MemoryBound: 0
; FloatMode: 240
; IeeeMode: 1
; LDSByteSize: 0 bytes/workgroup (compile time only)
; SGPRBlocks: 0
; VGPRBlocks: 0
; NumSGPRsForWavesPerEU: 4
; NumVGPRsForWavesPerEU: 1
; AccumOffset: 4
; Occupancy: 8
; WaveLimiterHint : 0
; COMPUTE_PGM_RSRC2:SCRATCH_EN: 0
; COMPUTE_PGM_RSRC2:USER_SGPR: 6
; COMPUTE_PGM_RSRC2:TRAP_HANDLER: 0
; COMPUTE_PGM_RSRC2:TGID_X_EN: 1
; COMPUTE_PGM_RSRC2:TGID_Y_EN: 0
; COMPUTE_PGM_RSRC2:TGID_Z_EN: 0
; COMPUTE_PGM_RSRC2:TIDIG_COMP_CNT: 0
; COMPUTE_PGM_RSRC3_GFX90A:ACCUM_OFFSET: 0
; COMPUTE_PGM_RSRC3_GFX90A:TG_SPLIT: 0
	.section	.text._ZN7rocprim17ROCPRIM_400000_NS6detail17trampoline_kernelINS0_14default_configENS1_27scan_by_key_config_selectorIifEEZZNS1_16scan_by_key_implILNS1_25lookback_scan_determinismE0ELb1ES3_N6thrust23THRUST_200600_302600_NS6detail15normal_iteratorINS9_10device_ptrIiEEEENSB_INSC_IfEEEESG_fNS9_4plusIvEENS9_8equal_toIvEEfEE10hipError_tPvRmT2_T3_T4_T5_mT6_T7_P12ihipStream_tbENKUlT_T0_E_clISt17integral_constantIbLb0EES10_IbLb1EEEEDaSW_SX_EUlSW_E_NS1_11comp_targetILNS1_3genE0ELNS1_11target_archE4294967295ELNS1_3gpuE0ELNS1_3repE0EEENS1_30default_config_static_selectorELNS0_4arch9wavefront6targetE1EEEvT1_,"axG",@progbits,_ZN7rocprim17ROCPRIM_400000_NS6detail17trampoline_kernelINS0_14default_configENS1_27scan_by_key_config_selectorIifEEZZNS1_16scan_by_key_implILNS1_25lookback_scan_determinismE0ELb1ES3_N6thrust23THRUST_200600_302600_NS6detail15normal_iteratorINS9_10device_ptrIiEEEENSB_INSC_IfEEEESG_fNS9_4plusIvEENS9_8equal_toIvEEfEE10hipError_tPvRmT2_T3_T4_T5_mT6_T7_P12ihipStream_tbENKUlT_T0_E_clISt17integral_constantIbLb0EES10_IbLb1EEEEDaSW_SX_EUlSW_E_NS1_11comp_targetILNS1_3genE0ELNS1_11target_archE4294967295ELNS1_3gpuE0ELNS1_3repE0EEENS1_30default_config_static_selectorELNS0_4arch9wavefront6targetE1EEEvT1_,comdat
	.protected	_ZN7rocprim17ROCPRIM_400000_NS6detail17trampoline_kernelINS0_14default_configENS1_27scan_by_key_config_selectorIifEEZZNS1_16scan_by_key_implILNS1_25lookback_scan_determinismE0ELb1ES3_N6thrust23THRUST_200600_302600_NS6detail15normal_iteratorINS9_10device_ptrIiEEEENSB_INSC_IfEEEESG_fNS9_4plusIvEENS9_8equal_toIvEEfEE10hipError_tPvRmT2_T3_T4_T5_mT6_T7_P12ihipStream_tbENKUlT_T0_E_clISt17integral_constantIbLb0EES10_IbLb1EEEEDaSW_SX_EUlSW_E_NS1_11comp_targetILNS1_3genE0ELNS1_11target_archE4294967295ELNS1_3gpuE0ELNS1_3repE0EEENS1_30default_config_static_selectorELNS0_4arch9wavefront6targetE1EEEvT1_ ; -- Begin function _ZN7rocprim17ROCPRIM_400000_NS6detail17trampoline_kernelINS0_14default_configENS1_27scan_by_key_config_selectorIifEEZZNS1_16scan_by_key_implILNS1_25lookback_scan_determinismE0ELb1ES3_N6thrust23THRUST_200600_302600_NS6detail15normal_iteratorINS9_10device_ptrIiEEEENSB_INSC_IfEEEESG_fNS9_4plusIvEENS9_8equal_toIvEEfEE10hipError_tPvRmT2_T3_T4_T5_mT6_T7_P12ihipStream_tbENKUlT_T0_E_clISt17integral_constantIbLb0EES10_IbLb1EEEEDaSW_SX_EUlSW_E_NS1_11comp_targetILNS1_3genE0ELNS1_11target_archE4294967295ELNS1_3gpuE0ELNS1_3repE0EEENS1_30default_config_static_selectorELNS0_4arch9wavefront6targetE1EEEvT1_
	.globl	_ZN7rocprim17ROCPRIM_400000_NS6detail17trampoline_kernelINS0_14default_configENS1_27scan_by_key_config_selectorIifEEZZNS1_16scan_by_key_implILNS1_25lookback_scan_determinismE0ELb1ES3_N6thrust23THRUST_200600_302600_NS6detail15normal_iteratorINS9_10device_ptrIiEEEENSB_INSC_IfEEEESG_fNS9_4plusIvEENS9_8equal_toIvEEfEE10hipError_tPvRmT2_T3_T4_T5_mT6_T7_P12ihipStream_tbENKUlT_T0_E_clISt17integral_constantIbLb0EES10_IbLb1EEEEDaSW_SX_EUlSW_E_NS1_11comp_targetILNS1_3genE0ELNS1_11target_archE4294967295ELNS1_3gpuE0ELNS1_3repE0EEENS1_30default_config_static_selectorELNS0_4arch9wavefront6targetE1EEEvT1_
	.p2align	8
	.type	_ZN7rocprim17ROCPRIM_400000_NS6detail17trampoline_kernelINS0_14default_configENS1_27scan_by_key_config_selectorIifEEZZNS1_16scan_by_key_implILNS1_25lookback_scan_determinismE0ELb1ES3_N6thrust23THRUST_200600_302600_NS6detail15normal_iteratorINS9_10device_ptrIiEEEENSB_INSC_IfEEEESG_fNS9_4plusIvEENS9_8equal_toIvEEfEE10hipError_tPvRmT2_T3_T4_T5_mT6_T7_P12ihipStream_tbENKUlT_T0_E_clISt17integral_constantIbLb0EES10_IbLb1EEEEDaSW_SX_EUlSW_E_NS1_11comp_targetILNS1_3genE0ELNS1_11target_archE4294967295ELNS1_3gpuE0ELNS1_3repE0EEENS1_30default_config_static_selectorELNS0_4arch9wavefront6targetE1EEEvT1_,@function
_ZN7rocprim17ROCPRIM_400000_NS6detail17trampoline_kernelINS0_14default_configENS1_27scan_by_key_config_selectorIifEEZZNS1_16scan_by_key_implILNS1_25lookback_scan_determinismE0ELb1ES3_N6thrust23THRUST_200600_302600_NS6detail15normal_iteratorINS9_10device_ptrIiEEEENSB_INSC_IfEEEESG_fNS9_4plusIvEENS9_8equal_toIvEEfEE10hipError_tPvRmT2_T3_T4_T5_mT6_T7_P12ihipStream_tbENKUlT_T0_E_clISt17integral_constantIbLb0EES10_IbLb1EEEEDaSW_SX_EUlSW_E_NS1_11comp_targetILNS1_3genE0ELNS1_11target_archE4294967295ELNS1_3gpuE0ELNS1_3repE0EEENS1_30default_config_static_selectorELNS0_4arch9wavefront6targetE1EEEvT1_: ; @_ZN7rocprim17ROCPRIM_400000_NS6detail17trampoline_kernelINS0_14default_configENS1_27scan_by_key_config_selectorIifEEZZNS1_16scan_by_key_implILNS1_25lookback_scan_determinismE0ELb1ES3_N6thrust23THRUST_200600_302600_NS6detail15normal_iteratorINS9_10device_ptrIiEEEENSB_INSC_IfEEEESG_fNS9_4plusIvEENS9_8equal_toIvEEfEE10hipError_tPvRmT2_T3_T4_T5_mT6_T7_P12ihipStream_tbENKUlT_T0_E_clISt17integral_constantIbLb0EES10_IbLb1EEEEDaSW_SX_EUlSW_E_NS1_11comp_targetILNS1_3genE0ELNS1_11target_archE4294967295ELNS1_3gpuE0ELNS1_3repE0EEENS1_30default_config_static_selectorELNS0_4arch9wavefront6targetE1EEEvT1_
; %bb.0:
	.section	.rodata,"a",@progbits
	.p2align	6, 0x0
	.amdhsa_kernel _ZN7rocprim17ROCPRIM_400000_NS6detail17trampoline_kernelINS0_14default_configENS1_27scan_by_key_config_selectorIifEEZZNS1_16scan_by_key_implILNS1_25lookback_scan_determinismE0ELb1ES3_N6thrust23THRUST_200600_302600_NS6detail15normal_iteratorINS9_10device_ptrIiEEEENSB_INSC_IfEEEESG_fNS9_4plusIvEENS9_8equal_toIvEEfEE10hipError_tPvRmT2_T3_T4_T5_mT6_T7_P12ihipStream_tbENKUlT_T0_E_clISt17integral_constantIbLb0EES10_IbLb1EEEEDaSW_SX_EUlSW_E_NS1_11comp_targetILNS1_3genE0ELNS1_11target_archE4294967295ELNS1_3gpuE0ELNS1_3repE0EEENS1_30default_config_static_selectorELNS0_4arch9wavefront6targetE1EEEvT1_
		.amdhsa_group_segment_fixed_size 0
		.amdhsa_private_segment_fixed_size 0
		.amdhsa_kernarg_size 112
		.amdhsa_user_sgpr_count 6
		.amdhsa_user_sgpr_private_segment_buffer 1
		.amdhsa_user_sgpr_dispatch_ptr 0
		.amdhsa_user_sgpr_queue_ptr 0
		.amdhsa_user_sgpr_kernarg_segment_ptr 1
		.amdhsa_user_sgpr_dispatch_id 0
		.amdhsa_user_sgpr_flat_scratch_init 0
		.amdhsa_user_sgpr_kernarg_preload_length 0
		.amdhsa_user_sgpr_kernarg_preload_offset 0
		.amdhsa_user_sgpr_private_segment_size 0
		.amdhsa_uses_dynamic_stack 0
		.amdhsa_system_sgpr_private_segment_wavefront_offset 0
		.amdhsa_system_sgpr_workgroup_id_x 1
		.amdhsa_system_sgpr_workgroup_id_y 0
		.amdhsa_system_sgpr_workgroup_id_z 0
		.amdhsa_system_sgpr_workgroup_info 0
		.amdhsa_system_vgpr_workitem_id 0
		.amdhsa_next_free_vgpr 1
		.amdhsa_next_free_sgpr 0
		.amdhsa_accum_offset 4
		.amdhsa_reserve_vcc 0
		.amdhsa_reserve_flat_scratch 0
		.amdhsa_float_round_mode_32 0
		.amdhsa_float_round_mode_16_64 0
		.amdhsa_float_denorm_mode_32 3
		.amdhsa_float_denorm_mode_16_64 3
		.amdhsa_dx10_clamp 1
		.amdhsa_ieee_mode 1
		.amdhsa_fp16_overflow 0
		.amdhsa_tg_split 0
		.amdhsa_exception_fp_ieee_invalid_op 0
		.amdhsa_exception_fp_denorm_src 0
		.amdhsa_exception_fp_ieee_div_zero 0
		.amdhsa_exception_fp_ieee_overflow 0
		.amdhsa_exception_fp_ieee_underflow 0
		.amdhsa_exception_fp_ieee_inexact 0
		.amdhsa_exception_int_div_zero 0
	.end_amdhsa_kernel
	.section	.text._ZN7rocprim17ROCPRIM_400000_NS6detail17trampoline_kernelINS0_14default_configENS1_27scan_by_key_config_selectorIifEEZZNS1_16scan_by_key_implILNS1_25lookback_scan_determinismE0ELb1ES3_N6thrust23THRUST_200600_302600_NS6detail15normal_iteratorINS9_10device_ptrIiEEEENSB_INSC_IfEEEESG_fNS9_4plusIvEENS9_8equal_toIvEEfEE10hipError_tPvRmT2_T3_T4_T5_mT6_T7_P12ihipStream_tbENKUlT_T0_E_clISt17integral_constantIbLb0EES10_IbLb1EEEEDaSW_SX_EUlSW_E_NS1_11comp_targetILNS1_3genE0ELNS1_11target_archE4294967295ELNS1_3gpuE0ELNS1_3repE0EEENS1_30default_config_static_selectorELNS0_4arch9wavefront6targetE1EEEvT1_,"axG",@progbits,_ZN7rocprim17ROCPRIM_400000_NS6detail17trampoline_kernelINS0_14default_configENS1_27scan_by_key_config_selectorIifEEZZNS1_16scan_by_key_implILNS1_25lookback_scan_determinismE0ELb1ES3_N6thrust23THRUST_200600_302600_NS6detail15normal_iteratorINS9_10device_ptrIiEEEENSB_INSC_IfEEEESG_fNS9_4plusIvEENS9_8equal_toIvEEfEE10hipError_tPvRmT2_T3_T4_T5_mT6_T7_P12ihipStream_tbENKUlT_T0_E_clISt17integral_constantIbLb0EES10_IbLb1EEEEDaSW_SX_EUlSW_E_NS1_11comp_targetILNS1_3genE0ELNS1_11target_archE4294967295ELNS1_3gpuE0ELNS1_3repE0EEENS1_30default_config_static_selectorELNS0_4arch9wavefront6targetE1EEEvT1_,comdat
.Lfunc_end1454:
	.size	_ZN7rocprim17ROCPRIM_400000_NS6detail17trampoline_kernelINS0_14default_configENS1_27scan_by_key_config_selectorIifEEZZNS1_16scan_by_key_implILNS1_25lookback_scan_determinismE0ELb1ES3_N6thrust23THRUST_200600_302600_NS6detail15normal_iteratorINS9_10device_ptrIiEEEENSB_INSC_IfEEEESG_fNS9_4plusIvEENS9_8equal_toIvEEfEE10hipError_tPvRmT2_T3_T4_T5_mT6_T7_P12ihipStream_tbENKUlT_T0_E_clISt17integral_constantIbLb0EES10_IbLb1EEEEDaSW_SX_EUlSW_E_NS1_11comp_targetILNS1_3genE0ELNS1_11target_archE4294967295ELNS1_3gpuE0ELNS1_3repE0EEENS1_30default_config_static_selectorELNS0_4arch9wavefront6targetE1EEEvT1_, .Lfunc_end1454-_ZN7rocprim17ROCPRIM_400000_NS6detail17trampoline_kernelINS0_14default_configENS1_27scan_by_key_config_selectorIifEEZZNS1_16scan_by_key_implILNS1_25lookback_scan_determinismE0ELb1ES3_N6thrust23THRUST_200600_302600_NS6detail15normal_iteratorINS9_10device_ptrIiEEEENSB_INSC_IfEEEESG_fNS9_4plusIvEENS9_8equal_toIvEEfEE10hipError_tPvRmT2_T3_T4_T5_mT6_T7_P12ihipStream_tbENKUlT_T0_E_clISt17integral_constantIbLb0EES10_IbLb1EEEEDaSW_SX_EUlSW_E_NS1_11comp_targetILNS1_3genE0ELNS1_11target_archE4294967295ELNS1_3gpuE0ELNS1_3repE0EEENS1_30default_config_static_selectorELNS0_4arch9wavefront6targetE1EEEvT1_
                                        ; -- End function
	.section	.AMDGPU.csdata,"",@progbits
; Kernel info:
; codeLenInByte = 0
; NumSgprs: 4
; NumVgprs: 0
; NumAgprs: 0
; TotalNumVgprs: 0
; ScratchSize: 0
; MemoryBound: 0
; FloatMode: 240
; IeeeMode: 1
; LDSByteSize: 0 bytes/workgroup (compile time only)
; SGPRBlocks: 0
; VGPRBlocks: 0
; NumSGPRsForWavesPerEU: 4
; NumVGPRsForWavesPerEU: 1
; AccumOffset: 4
; Occupancy: 8
; WaveLimiterHint : 0
; COMPUTE_PGM_RSRC2:SCRATCH_EN: 0
; COMPUTE_PGM_RSRC2:USER_SGPR: 6
; COMPUTE_PGM_RSRC2:TRAP_HANDLER: 0
; COMPUTE_PGM_RSRC2:TGID_X_EN: 1
; COMPUTE_PGM_RSRC2:TGID_Y_EN: 0
; COMPUTE_PGM_RSRC2:TGID_Z_EN: 0
; COMPUTE_PGM_RSRC2:TIDIG_COMP_CNT: 0
; COMPUTE_PGM_RSRC3_GFX90A:ACCUM_OFFSET: 0
; COMPUTE_PGM_RSRC3_GFX90A:TG_SPLIT: 0
	.section	.text._ZN7rocprim17ROCPRIM_400000_NS6detail17trampoline_kernelINS0_14default_configENS1_27scan_by_key_config_selectorIifEEZZNS1_16scan_by_key_implILNS1_25lookback_scan_determinismE0ELb1ES3_N6thrust23THRUST_200600_302600_NS6detail15normal_iteratorINS9_10device_ptrIiEEEENSB_INSC_IfEEEESG_fNS9_4plusIvEENS9_8equal_toIvEEfEE10hipError_tPvRmT2_T3_T4_T5_mT6_T7_P12ihipStream_tbENKUlT_T0_E_clISt17integral_constantIbLb0EES10_IbLb1EEEEDaSW_SX_EUlSW_E_NS1_11comp_targetILNS1_3genE10ELNS1_11target_archE1201ELNS1_3gpuE5ELNS1_3repE0EEENS1_30default_config_static_selectorELNS0_4arch9wavefront6targetE1EEEvT1_,"axG",@progbits,_ZN7rocprim17ROCPRIM_400000_NS6detail17trampoline_kernelINS0_14default_configENS1_27scan_by_key_config_selectorIifEEZZNS1_16scan_by_key_implILNS1_25lookback_scan_determinismE0ELb1ES3_N6thrust23THRUST_200600_302600_NS6detail15normal_iteratorINS9_10device_ptrIiEEEENSB_INSC_IfEEEESG_fNS9_4plusIvEENS9_8equal_toIvEEfEE10hipError_tPvRmT2_T3_T4_T5_mT6_T7_P12ihipStream_tbENKUlT_T0_E_clISt17integral_constantIbLb0EES10_IbLb1EEEEDaSW_SX_EUlSW_E_NS1_11comp_targetILNS1_3genE10ELNS1_11target_archE1201ELNS1_3gpuE5ELNS1_3repE0EEENS1_30default_config_static_selectorELNS0_4arch9wavefront6targetE1EEEvT1_,comdat
	.protected	_ZN7rocprim17ROCPRIM_400000_NS6detail17trampoline_kernelINS0_14default_configENS1_27scan_by_key_config_selectorIifEEZZNS1_16scan_by_key_implILNS1_25lookback_scan_determinismE0ELb1ES3_N6thrust23THRUST_200600_302600_NS6detail15normal_iteratorINS9_10device_ptrIiEEEENSB_INSC_IfEEEESG_fNS9_4plusIvEENS9_8equal_toIvEEfEE10hipError_tPvRmT2_T3_T4_T5_mT6_T7_P12ihipStream_tbENKUlT_T0_E_clISt17integral_constantIbLb0EES10_IbLb1EEEEDaSW_SX_EUlSW_E_NS1_11comp_targetILNS1_3genE10ELNS1_11target_archE1201ELNS1_3gpuE5ELNS1_3repE0EEENS1_30default_config_static_selectorELNS0_4arch9wavefront6targetE1EEEvT1_ ; -- Begin function _ZN7rocprim17ROCPRIM_400000_NS6detail17trampoline_kernelINS0_14default_configENS1_27scan_by_key_config_selectorIifEEZZNS1_16scan_by_key_implILNS1_25lookback_scan_determinismE0ELb1ES3_N6thrust23THRUST_200600_302600_NS6detail15normal_iteratorINS9_10device_ptrIiEEEENSB_INSC_IfEEEESG_fNS9_4plusIvEENS9_8equal_toIvEEfEE10hipError_tPvRmT2_T3_T4_T5_mT6_T7_P12ihipStream_tbENKUlT_T0_E_clISt17integral_constantIbLb0EES10_IbLb1EEEEDaSW_SX_EUlSW_E_NS1_11comp_targetILNS1_3genE10ELNS1_11target_archE1201ELNS1_3gpuE5ELNS1_3repE0EEENS1_30default_config_static_selectorELNS0_4arch9wavefront6targetE1EEEvT1_
	.globl	_ZN7rocprim17ROCPRIM_400000_NS6detail17trampoline_kernelINS0_14default_configENS1_27scan_by_key_config_selectorIifEEZZNS1_16scan_by_key_implILNS1_25lookback_scan_determinismE0ELb1ES3_N6thrust23THRUST_200600_302600_NS6detail15normal_iteratorINS9_10device_ptrIiEEEENSB_INSC_IfEEEESG_fNS9_4plusIvEENS9_8equal_toIvEEfEE10hipError_tPvRmT2_T3_T4_T5_mT6_T7_P12ihipStream_tbENKUlT_T0_E_clISt17integral_constantIbLb0EES10_IbLb1EEEEDaSW_SX_EUlSW_E_NS1_11comp_targetILNS1_3genE10ELNS1_11target_archE1201ELNS1_3gpuE5ELNS1_3repE0EEENS1_30default_config_static_selectorELNS0_4arch9wavefront6targetE1EEEvT1_
	.p2align	8
	.type	_ZN7rocprim17ROCPRIM_400000_NS6detail17trampoline_kernelINS0_14default_configENS1_27scan_by_key_config_selectorIifEEZZNS1_16scan_by_key_implILNS1_25lookback_scan_determinismE0ELb1ES3_N6thrust23THRUST_200600_302600_NS6detail15normal_iteratorINS9_10device_ptrIiEEEENSB_INSC_IfEEEESG_fNS9_4plusIvEENS9_8equal_toIvEEfEE10hipError_tPvRmT2_T3_T4_T5_mT6_T7_P12ihipStream_tbENKUlT_T0_E_clISt17integral_constantIbLb0EES10_IbLb1EEEEDaSW_SX_EUlSW_E_NS1_11comp_targetILNS1_3genE10ELNS1_11target_archE1201ELNS1_3gpuE5ELNS1_3repE0EEENS1_30default_config_static_selectorELNS0_4arch9wavefront6targetE1EEEvT1_,@function
_ZN7rocprim17ROCPRIM_400000_NS6detail17trampoline_kernelINS0_14default_configENS1_27scan_by_key_config_selectorIifEEZZNS1_16scan_by_key_implILNS1_25lookback_scan_determinismE0ELb1ES3_N6thrust23THRUST_200600_302600_NS6detail15normal_iteratorINS9_10device_ptrIiEEEENSB_INSC_IfEEEESG_fNS9_4plusIvEENS9_8equal_toIvEEfEE10hipError_tPvRmT2_T3_T4_T5_mT6_T7_P12ihipStream_tbENKUlT_T0_E_clISt17integral_constantIbLb0EES10_IbLb1EEEEDaSW_SX_EUlSW_E_NS1_11comp_targetILNS1_3genE10ELNS1_11target_archE1201ELNS1_3gpuE5ELNS1_3repE0EEENS1_30default_config_static_selectorELNS0_4arch9wavefront6targetE1EEEvT1_: ; @_ZN7rocprim17ROCPRIM_400000_NS6detail17trampoline_kernelINS0_14default_configENS1_27scan_by_key_config_selectorIifEEZZNS1_16scan_by_key_implILNS1_25lookback_scan_determinismE0ELb1ES3_N6thrust23THRUST_200600_302600_NS6detail15normal_iteratorINS9_10device_ptrIiEEEENSB_INSC_IfEEEESG_fNS9_4plusIvEENS9_8equal_toIvEEfEE10hipError_tPvRmT2_T3_T4_T5_mT6_T7_P12ihipStream_tbENKUlT_T0_E_clISt17integral_constantIbLb0EES10_IbLb1EEEEDaSW_SX_EUlSW_E_NS1_11comp_targetILNS1_3genE10ELNS1_11target_archE1201ELNS1_3gpuE5ELNS1_3repE0EEENS1_30default_config_static_selectorELNS0_4arch9wavefront6targetE1EEEvT1_
; %bb.0:
	.section	.rodata,"a",@progbits
	.p2align	6, 0x0
	.amdhsa_kernel _ZN7rocprim17ROCPRIM_400000_NS6detail17trampoline_kernelINS0_14default_configENS1_27scan_by_key_config_selectorIifEEZZNS1_16scan_by_key_implILNS1_25lookback_scan_determinismE0ELb1ES3_N6thrust23THRUST_200600_302600_NS6detail15normal_iteratorINS9_10device_ptrIiEEEENSB_INSC_IfEEEESG_fNS9_4plusIvEENS9_8equal_toIvEEfEE10hipError_tPvRmT2_T3_T4_T5_mT6_T7_P12ihipStream_tbENKUlT_T0_E_clISt17integral_constantIbLb0EES10_IbLb1EEEEDaSW_SX_EUlSW_E_NS1_11comp_targetILNS1_3genE10ELNS1_11target_archE1201ELNS1_3gpuE5ELNS1_3repE0EEENS1_30default_config_static_selectorELNS0_4arch9wavefront6targetE1EEEvT1_
		.amdhsa_group_segment_fixed_size 0
		.amdhsa_private_segment_fixed_size 0
		.amdhsa_kernarg_size 112
		.amdhsa_user_sgpr_count 6
		.amdhsa_user_sgpr_private_segment_buffer 1
		.amdhsa_user_sgpr_dispatch_ptr 0
		.amdhsa_user_sgpr_queue_ptr 0
		.amdhsa_user_sgpr_kernarg_segment_ptr 1
		.amdhsa_user_sgpr_dispatch_id 0
		.amdhsa_user_sgpr_flat_scratch_init 0
		.amdhsa_user_sgpr_kernarg_preload_length 0
		.amdhsa_user_sgpr_kernarg_preload_offset 0
		.amdhsa_user_sgpr_private_segment_size 0
		.amdhsa_uses_dynamic_stack 0
		.amdhsa_system_sgpr_private_segment_wavefront_offset 0
		.amdhsa_system_sgpr_workgroup_id_x 1
		.amdhsa_system_sgpr_workgroup_id_y 0
		.amdhsa_system_sgpr_workgroup_id_z 0
		.amdhsa_system_sgpr_workgroup_info 0
		.amdhsa_system_vgpr_workitem_id 0
		.amdhsa_next_free_vgpr 1
		.amdhsa_next_free_sgpr 0
		.amdhsa_accum_offset 4
		.amdhsa_reserve_vcc 0
		.amdhsa_reserve_flat_scratch 0
		.amdhsa_float_round_mode_32 0
		.amdhsa_float_round_mode_16_64 0
		.amdhsa_float_denorm_mode_32 3
		.amdhsa_float_denorm_mode_16_64 3
		.amdhsa_dx10_clamp 1
		.amdhsa_ieee_mode 1
		.amdhsa_fp16_overflow 0
		.amdhsa_tg_split 0
		.amdhsa_exception_fp_ieee_invalid_op 0
		.amdhsa_exception_fp_denorm_src 0
		.amdhsa_exception_fp_ieee_div_zero 0
		.amdhsa_exception_fp_ieee_overflow 0
		.amdhsa_exception_fp_ieee_underflow 0
		.amdhsa_exception_fp_ieee_inexact 0
		.amdhsa_exception_int_div_zero 0
	.end_amdhsa_kernel
	.section	.text._ZN7rocprim17ROCPRIM_400000_NS6detail17trampoline_kernelINS0_14default_configENS1_27scan_by_key_config_selectorIifEEZZNS1_16scan_by_key_implILNS1_25lookback_scan_determinismE0ELb1ES3_N6thrust23THRUST_200600_302600_NS6detail15normal_iteratorINS9_10device_ptrIiEEEENSB_INSC_IfEEEESG_fNS9_4plusIvEENS9_8equal_toIvEEfEE10hipError_tPvRmT2_T3_T4_T5_mT6_T7_P12ihipStream_tbENKUlT_T0_E_clISt17integral_constantIbLb0EES10_IbLb1EEEEDaSW_SX_EUlSW_E_NS1_11comp_targetILNS1_3genE10ELNS1_11target_archE1201ELNS1_3gpuE5ELNS1_3repE0EEENS1_30default_config_static_selectorELNS0_4arch9wavefront6targetE1EEEvT1_,"axG",@progbits,_ZN7rocprim17ROCPRIM_400000_NS6detail17trampoline_kernelINS0_14default_configENS1_27scan_by_key_config_selectorIifEEZZNS1_16scan_by_key_implILNS1_25lookback_scan_determinismE0ELb1ES3_N6thrust23THRUST_200600_302600_NS6detail15normal_iteratorINS9_10device_ptrIiEEEENSB_INSC_IfEEEESG_fNS9_4plusIvEENS9_8equal_toIvEEfEE10hipError_tPvRmT2_T3_T4_T5_mT6_T7_P12ihipStream_tbENKUlT_T0_E_clISt17integral_constantIbLb0EES10_IbLb1EEEEDaSW_SX_EUlSW_E_NS1_11comp_targetILNS1_3genE10ELNS1_11target_archE1201ELNS1_3gpuE5ELNS1_3repE0EEENS1_30default_config_static_selectorELNS0_4arch9wavefront6targetE1EEEvT1_,comdat
.Lfunc_end1455:
	.size	_ZN7rocprim17ROCPRIM_400000_NS6detail17trampoline_kernelINS0_14default_configENS1_27scan_by_key_config_selectorIifEEZZNS1_16scan_by_key_implILNS1_25lookback_scan_determinismE0ELb1ES3_N6thrust23THRUST_200600_302600_NS6detail15normal_iteratorINS9_10device_ptrIiEEEENSB_INSC_IfEEEESG_fNS9_4plusIvEENS9_8equal_toIvEEfEE10hipError_tPvRmT2_T3_T4_T5_mT6_T7_P12ihipStream_tbENKUlT_T0_E_clISt17integral_constantIbLb0EES10_IbLb1EEEEDaSW_SX_EUlSW_E_NS1_11comp_targetILNS1_3genE10ELNS1_11target_archE1201ELNS1_3gpuE5ELNS1_3repE0EEENS1_30default_config_static_selectorELNS0_4arch9wavefront6targetE1EEEvT1_, .Lfunc_end1455-_ZN7rocprim17ROCPRIM_400000_NS6detail17trampoline_kernelINS0_14default_configENS1_27scan_by_key_config_selectorIifEEZZNS1_16scan_by_key_implILNS1_25lookback_scan_determinismE0ELb1ES3_N6thrust23THRUST_200600_302600_NS6detail15normal_iteratorINS9_10device_ptrIiEEEENSB_INSC_IfEEEESG_fNS9_4plusIvEENS9_8equal_toIvEEfEE10hipError_tPvRmT2_T3_T4_T5_mT6_T7_P12ihipStream_tbENKUlT_T0_E_clISt17integral_constantIbLb0EES10_IbLb1EEEEDaSW_SX_EUlSW_E_NS1_11comp_targetILNS1_3genE10ELNS1_11target_archE1201ELNS1_3gpuE5ELNS1_3repE0EEENS1_30default_config_static_selectorELNS0_4arch9wavefront6targetE1EEEvT1_
                                        ; -- End function
	.section	.AMDGPU.csdata,"",@progbits
; Kernel info:
; codeLenInByte = 0
; NumSgprs: 4
; NumVgprs: 0
; NumAgprs: 0
; TotalNumVgprs: 0
; ScratchSize: 0
; MemoryBound: 0
; FloatMode: 240
; IeeeMode: 1
; LDSByteSize: 0 bytes/workgroup (compile time only)
; SGPRBlocks: 0
; VGPRBlocks: 0
; NumSGPRsForWavesPerEU: 4
; NumVGPRsForWavesPerEU: 1
; AccumOffset: 4
; Occupancy: 8
; WaveLimiterHint : 0
; COMPUTE_PGM_RSRC2:SCRATCH_EN: 0
; COMPUTE_PGM_RSRC2:USER_SGPR: 6
; COMPUTE_PGM_RSRC2:TRAP_HANDLER: 0
; COMPUTE_PGM_RSRC2:TGID_X_EN: 1
; COMPUTE_PGM_RSRC2:TGID_Y_EN: 0
; COMPUTE_PGM_RSRC2:TGID_Z_EN: 0
; COMPUTE_PGM_RSRC2:TIDIG_COMP_CNT: 0
; COMPUTE_PGM_RSRC3_GFX90A:ACCUM_OFFSET: 0
; COMPUTE_PGM_RSRC3_GFX90A:TG_SPLIT: 0
	.section	.text._ZN7rocprim17ROCPRIM_400000_NS6detail17trampoline_kernelINS0_14default_configENS1_27scan_by_key_config_selectorIifEEZZNS1_16scan_by_key_implILNS1_25lookback_scan_determinismE0ELb1ES3_N6thrust23THRUST_200600_302600_NS6detail15normal_iteratorINS9_10device_ptrIiEEEENSB_INSC_IfEEEESG_fNS9_4plusIvEENS9_8equal_toIvEEfEE10hipError_tPvRmT2_T3_T4_T5_mT6_T7_P12ihipStream_tbENKUlT_T0_E_clISt17integral_constantIbLb0EES10_IbLb1EEEEDaSW_SX_EUlSW_E_NS1_11comp_targetILNS1_3genE5ELNS1_11target_archE942ELNS1_3gpuE9ELNS1_3repE0EEENS1_30default_config_static_selectorELNS0_4arch9wavefront6targetE1EEEvT1_,"axG",@progbits,_ZN7rocprim17ROCPRIM_400000_NS6detail17trampoline_kernelINS0_14default_configENS1_27scan_by_key_config_selectorIifEEZZNS1_16scan_by_key_implILNS1_25lookback_scan_determinismE0ELb1ES3_N6thrust23THRUST_200600_302600_NS6detail15normal_iteratorINS9_10device_ptrIiEEEENSB_INSC_IfEEEESG_fNS9_4plusIvEENS9_8equal_toIvEEfEE10hipError_tPvRmT2_T3_T4_T5_mT6_T7_P12ihipStream_tbENKUlT_T0_E_clISt17integral_constantIbLb0EES10_IbLb1EEEEDaSW_SX_EUlSW_E_NS1_11comp_targetILNS1_3genE5ELNS1_11target_archE942ELNS1_3gpuE9ELNS1_3repE0EEENS1_30default_config_static_selectorELNS0_4arch9wavefront6targetE1EEEvT1_,comdat
	.protected	_ZN7rocprim17ROCPRIM_400000_NS6detail17trampoline_kernelINS0_14default_configENS1_27scan_by_key_config_selectorIifEEZZNS1_16scan_by_key_implILNS1_25lookback_scan_determinismE0ELb1ES3_N6thrust23THRUST_200600_302600_NS6detail15normal_iteratorINS9_10device_ptrIiEEEENSB_INSC_IfEEEESG_fNS9_4plusIvEENS9_8equal_toIvEEfEE10hipError_tPvRmT2_T3_T4_T5_mT6_T7_P12ihipStream_tbENKUlT_T0_E_clISt17integral_constantIbLb0EES10_IbLb1EEEEDaSW_SX_EUlSW_E_NS1_11comp_targetILNS1_3genE5ELNS1_11target_archE942ELNS1_3gpuE9ELNS1_3repE0EEENS1_30default_config_static_selectorELNS0_4arch9wavefront6targetE1EEEvT1_ ; -- Begin function _ZN7rocprim17ROCPRIM_400000_NS6detail17trampoline_kernelINS0_14default_configENS1_27scan_by_key_config_selectorIifEEZZNS1_16scan_by_key_implILNS1_25lookback_scan_determinismE0ELb1ES3_N6thrust23THRUST_200600_302600_NS6detail15normal_iteratorINS9_10device_ptrIiEEEENSB_INSC_IfEEEESG_fNS9_4plusIvEENS9_8equal_toIvEEfEE10hipError_tPvRmT2_T3_T4_T5_mT6_T7_P12ihipStream_tbENKUlT_T0_E_clISt17integral_constantIbLb0EES10_IbLb1EEEEDaSW_SX_EUlSW_E_NS1_11comp_targetILNS1_3genE5ELNS1_11target_archE942ELNS1_3gpuE9ELNS1_3repE0EEENS1_30default_config_static_selectorELNS0_4arch9wavefront6targetE1EEEvT1_
	.globl	_ZN7rocprim17ROCPRIM_400000_NS6detail17trampoline_kernelINS0_14default_configENS1_27scan_by_key_config_selectorIifEEZZNS1_16scan_by_key_implILNS1_25lookback_scan_determinismE0ELb1ES3_N6thrust23THRUST_200600_302600_NS6detail15normal_iteratorINS9_10device_ptrIiEEEENSB_INSC_IfEEEESG_fNS9_4plusIvEENS9_8equal_toIvEEfEE10hipError_tPvRmT2_T3_T4_T5_mT6_T7_P12ihipStream_tbENKUlT_T0_E_clISt17integral_constantIbLb0EES10_IbLb1EEEEDaSW_SX_EUlSW_E_NS1_11comp_targetILNS1_3genE5ELNS1_11target_archE942ELNS1_3gpuE9ELNS1_3repE0EEENS1_30default_config_static_selectorELNS0_4arch9wavefront6targetE1EEEvT1_
	.p2align	8
	.type	_ZN7rocprim17ROCPRIM_400000_NS6detail17trampoline_kernelINS0_14default_configENS1_27scan_by_key_config_selectorIifEEZZNS1_16scan_by_key_implILNS1_25lookback_scan_determinismE0ELb1ES3_N6thrust23THRUST_200600_302600_NS6detail15normal_iteratorINS9_10device_ptrIiEEEENSB_INSC_IfEEEESG_fNS9_4plusIvEENS9_8equal_toIvEEfEE10hipError_tPvRmT2_T3_T4_T5_mT6_T7_P12ihipStream_tbENKUlT_T0_E_clISt17integral_constantIbLb0EES10_IbLb1EEEEDaSW_SX_EUlSW_E_NS1_11comp_targetILNS1_3genE5ELNS1_11target_archE942ELNS1_3gpuE9ELNS1_3repE0EEENS1_30default_config_static_selectorELNS0_4arch9wavefront6targetE1EEEvT1_,@function
_ZN7rocprim17ROCPRIM_400000_NS6detail17trampoline_kernelINS0_14default_configENS1_27scan_by_key_config_selectorIifEEZZNS1_16scan_by_key_implILNS1_25lookback_scan_determinismE0ELb1ES3_N6thrust23THRUST_200600_302600_NS6detail15normal_iteratorINS9_10device_ptrIiEEEENSB_INSC_IfEEEESG_fNS9_4plusIvEENS9_8equal_toIvEEfEE10hipError_tPvRmT2_T3_T4_T5_mT6_T7_P12ihipStream_tbENKUlT_T0_E_clISt17integral_constantIbLb0EES10_IbLb1EEEEDaSW_SX_EUlSW_E_NS1_11comp_targetILNS1_3genE5ELNS1_11target_archE942ELNS1_3gpuE9ELNS1_3repE0EEENS1_30default_config_static_selectorELNS0_4arch9wavefront6targetE1EEEvT1_: ; @_ZN7rocprim17ROCPRIM_400000_NS6detail17trampoline_kernelINS0_14default_configENS1_27scan_by_key_config_selectorIifEEZZNS1_16scan_by_key_implILNS1_25lookback_scan_determinismE0ELb1ES3_N6thrust23THRUST_200600_302600_NS6detail15normal_iteratorINS9_10device_ptrIiEEEENSB_INSC_IfEEEESG_fNS9_4plusIvEENS9_8equal_toIvEEfEE10hipError_tPvRmT2_T3_T4_T5_mT6_T7_P12ihipStream_tbENKUlT_T0_E_clISt17integral_constantIbLb0EES10_IbLb1EEEEDaSW_SX_EUlSW_E_NS1_11comp_targetILNS1_3genE5ELNS1_11target_archE942ELNS1_3gpuE9ELNS1_3repE0EEENS1_30default_config_static_selectorELNS0_4arch9wavefront6targetE1EEEvT1_
; %bb.0:
	.section	.rodata,"a",@progbits
	.p2align	6, 0x0
	.amdhsa_kernel _ZN7rocprim17ROCPRIM_400000_NS6detail17trampoline_kernelINS0_14default_configENS1_27scan_by_key_config_selectorIifEEZZNS1_16scan_by_key_implILNS1_25lookback_scan_determinismE0ELb1ES3_N6thrust23THRUST_200600_302600_NS6detail15normal_iteratorINS9_10device_ptrIiEEEENSB_INSC_IfEEEESG_fNS9_4plusIvEENS9_8equal_toIvEEfEE10hipError_tPvRmT2_T3_T4_T5_mT6_T7_P12ihipStream_tbENKUlT_T0_E_clISt17integral_constantIbLb0EES10_IbLb1EEEEDaSW_SX_EUlSW_E_NS1_11comp_targetILNS1_3genE5ELNS1_11target_archE942ELNS1_3gpuE9ELNS1_3repE0EEENS1_30default_config_static_selectorELNS0_4arch9wavefront6targetE1EEEvT1_
		.amdhsa_group_segment_fixed_size 0
		.amdhsa_private_segment_fixed_size 0
		.amdhsa_kernarg_size 112
		.amdhsa_user_sgpr_count 6
		.amdhsa_user_sgpr_private_segment_buffer 1
		.amdhsa_user_sgpr_dispatch_ptr 0
		.amdhsa_user_sgpr_queue_ptr 0
		.amdhsa_user_sgpr_kernarg_segment_ptr 1
		.amdhsa_user_sgpr_dispatch_id 0
		.amdhsa_user_sgpr_flat_scratch_init 0
		.amdhsa_user_sgpr_kernarg_preload_length 0
		.amdhsa_user_sgpr_kernarg_preload_offset 0
		.amdhsa_user_sgpr_private_segment_size 0
		.amdhsa_uses_dynamic_stack 0
		.amdhsa_system_sgpr_private_segment_wavefront_offset 0
		.amdhsa_system_sgpr_workgroup_id_x 1
		.amdhsa_system_sgpr_workgroup_id_y 0
		.amdhsa_system_sgpr_workgroup_id_z 0
		.amdhsa_system_sgpr_workgroup_info 0
		.amdhsa_system_vgpr_workitem_id 0
		.amdhsa_next_free_vgpr 1
		.amdhsa_next_free_sgpr 0
		.amdhsa_accum_offset 4
		.amdhsa_reserve_vcc 0
		.amdhsa_reserve_flat_scratch 0
		.amdhsa_float_round_mode_32 0
		.amdhsa_float_round_mode_16_64 0
		.amdhsa_float_denorm_mode_32 3
		.amdhsa_float_denorm_mode_16_64 3
		.amdhsa_dx10_clamp 1
		.amdhsa_ieee_mode 1
		.amdhsa_fp16_overflow 0
		.amdhsa_tg_split 0
		.amdhsa_exception_fp_ieee_invalid_op 0
		.amdhsa_exception_fp_denorm_src 0
		.amdhsa_exception_fp_ieee_div_zero 0
		.amdhsa_exception_fp_ieee_overflow 0
		.amdhsa_exception_fp_ieee_underflow 0
		.amdhsa_exception_fp_ieee_inexact 0
		.amdhsa_exception_int_div_zero 0
	.end_amdhsa_kernel
	.section	.text._ZN7rocprim17ROCPRIM_400000_NS6detail17trampoline_kernelINS0_14default_configENS1_27scan_by_key_config_selectorIifEEZZNS1_16scan_by_key_implILNS1_25lookback_scan_determinismE0ELb1ES3_N6thrust23THRUST_200600_302600_NS6detail15normal_iteratorINS9_10device_ptrIiEEEENSB_INSC_IfEEEESG_fNS9_4plusIvEENS9_8equal_toIvEEfEE10hipError_tPvRmT2_T3_T4_T5_mT6_T7_P12ihipStream_tbENKUlT_T0_E_clISt17integral_constantIbLb0EES10_IbLb1EEEEDaSW_SX_EUlSW_E_NS1_11comp_targetILNS1_3genE5ELNS1_11target_archE942ELNS1_3gpuE9ELNS1_3repE0EEENS1_30default_config_static_selectorELNS0_4arch9wavefront6targetE1EEEvT1_,"axG",@progbits,_ZN7rocprim17ROCPRIM_400000_NS6detail17trampoline_kernelINS0_14default_configENS1_27scan_by_key_config_selectorIifEEZZNS1_16scan_by_key_implILNS1_25lookback_scan_determinismE0ELb1ES3_N6thrust23THRUST_200600_302600_NS6detail15normal_iteratorINS9_10device_ptrIiEEEENSB_INSC_IfEEEESG_fNS9_4plusIvEENS9_8equal_toIvEEfEE10hipError_tPvRmT2_T3_T4_T5_mT6_T7_P12ihipStream_tbENKUlT_T0_E_clISt17integral_constantIbLb0EES10_IbLb1EEEEDaSW_SX_EUlSW_E_NS1_11comp_targetILNS1_3genE5ELNS1_11target_archE942ELNS1_3gpuE9ELNS1_3repE0EEENS1_30default_config_static_selectorELNS0_4arch9wavefront6targetE1EEEvT1_,comdat
.Lfunc_end1456:
	.size	_ZN7rocprim17ROCPRIM_400000_NS6detail17trampoline_kernelINS0_14default_configENS1_27scan_by_key_config_selectorIifEEZZNS1_16scan_by_key_implILNS1_25lookback_scan_determinismE0ELb1ES3_N6thrust23THRUST_200600_302600_NS6detail15normal_iteratorINS9_10device_ptrIiEEEENSB_INSC_IfEEEESG_fNS9_4plusIvEENS9_8equal_toIvEEfEE10hipError_tPvRmT2_T3_T4_T5_mT6_T7_P12ihipStream_tbENKUlT_T0_E_clISt17integral_constantIbLb0EES10_IbLb1EEEEDaSW_SX_EUlSW_E_NS1_11comp_targetILNS1_3genE5ELNS1_11target_archE942ELNS1_3gpuE9ELNS1_3repE0EEENS1_30default_config_static_selectorELNS0_4arch9wavefront6targetE1EEEvT1_, .Lfunc_end1456-_ZN7rocprim17ROCPRIM_400000_NS6detail17trampoline_kernelINS0_14default_configENS1_27scan_by_key_config_selectorIifEEZZNS1_16scan_by_key_implILNS1_25lookback_scan_determinismE0ELb1ES3_N6thrust23THRUST_200600_302600_NS6detail15normal_iteratorINS9_10device_ptrIiEEEENSB_INSC_IfEEEESG_fNS9_4plusIvEENS9_8equal_toIvEEfEE10hipError_tPvRmT2_T3_T4_T5_mT6_T7_P12ihipStream_tbENKUlT_T0_E_clISt17integral_constantIbLb0EES10_IbLb1EEEEDaSW_SX_EUlSW_E_NS1_11comp_targetILNS1_3genE5ELNS1_11target_archE942ELNS1_3gpuE9ELNS1_3repE0EEENS1_30default_config_static_selectorELNS0_4arch9wavefront6targetE1EEEvT1_
                                        ; -- End function
	.section	.AMDGPU.csdata,"",@progbits
; Kernel info:
; codeLenInByte = 0
; NumSgprs: 4
; NumVgprs: 0
; NumAgprs: 0
; TotalNumVgprs: 0
; ScratchSize: 0
; MemoryBound: 0
; FloatMode: 240
; IeeeMode: 1
; LDSByteSize: 0 bytes/workgroup (compile time only)
; SGPRBlocks: 0
; VGPRBlocks: 0
; NumSGPRsForWavesPerEU: 4
; NumVGPRsForWavesPerEU: 1
; AccumOffset: 4
; Occupancy: 8
; WaveLimiterHint : 0
; COMPUTE_PGM_RSRC2:SCRATCH_EN: 0
; COMPUTE_PGM_RSRC2:USER_SGPR: 6
; COMPUTE_PGM_RSRC2:TRAP_HANDLER: 0
; COMPUTE_PGM_RSRC2:TGID_X_EN: 1
; COMPUTE_PGM_RSRC2:TGID_Y_EN: 0
; COMPUTE_PGM_RSRC2:TGID_Z_EN: 0
; COMPUTE_PGM_RSRC2:TIDIG_COMP_CNT: 0
; COMPUTE_PGM_RSRC3_GFX90A:ACCUM_OFFSET: 0
; COMPUTE_PGM_RSRC3_GFX90A:TG_SPLIT: 0
	.section	.text._ZN7rocprim17ROCPRIM_400000_NS6detail17trampoline_kernelINS0_14default_configENS1_27scan_by_key_config_selectorIifEEZZNS1_16scan_by_key_implILNS1_25lookback_scan_determinismE0ELb1ES3_N6thrust23THRUST_200600_302600_NS6detail15normal_iteratorINS9_10device_ptrIiEEEENSB_INSC_IfEEEESG_fNS9_4plusIvEENS9_8equal_toIvEEfEE10hipError_tPvRmT2_T3_T4_T5_mT6_T7_P12ihipStream_tbENKUlT_T0_E_clISt17integral_constantIbLb0EES10_IbLb1EEEEDaSW_SX_EUlSW_E_NS1_11comp_targetILNS1_3genE4ELNS1_11target_archE910ELNS1_3gpuE8ELNS1_3repE0EEENS1_30default_config_static_selectorELNS0_4arch9wavefront6targetE1EEEvT1_,"axG",@progbits,_ZN7rocprim17ROCPRIM_400000_NS6detail17trampoline_kernelINS0_14default_configENS1_27scan_by_key_config_selectorIifEEZZNS1_16scan_by_key_implILNS1_25lookback_scan_determinismE0ELb1ES3_N6thrust23THRUST_200600_302600_NS6detail15normal_iteratorINS9_10device_ptrIiEEEENSB_INSC_IfEEEESG_fNS9_4plusIvEENS9_8equal_toIvEEfEE10hipError_tPvRmT2_T3_T4_T5_mT6_T7_P12ihipStream_tbENKUlT_T0_E_clISt17integral_constantIbLb0EES10_IbLb1EEEEDaSW_SX_EUlSW_E_NS1_11comp_targetILNS1_3genE4ELNS1_11target_archE910ELNS1_3gpuE8ELNS1_3repE0EEENS1_30default_config_static_selectorELNS0_4arch9wavefront6targetE1EEEvT1_,comdat
	.protected	_ZN7rocprim17ROCPRIM_400000_NS6detail17trampoline_kernelINS0_14default_configENS1_27scan_by_key_config_selectorIifEEZZNS1_16scan_by_key_implILNS1_25lookback_scan_determinismE0ELb1ES3_N6thrust23THRUST_200600_302600_NS6detail15normal_iteratorINS9_10device_ptrIiEEEENSB_INSC_IfEEEESG_fNS9_4plusIvEENS9_8equal_toIvEEfEE10hipError_tPvRmT2_T3_T4_T5_mT6_T7_P12ihipStream_tbENKUlT_T0_E_clISt17integral_constantIbLb0EES10_IbLb1EEEEDaSW_SX_EUlSW_E_NS1_11comp_targetILNS1_3genE4ELNS1_11target_archE910ELNS1_3gpuE8ELNS1_3repE0EEENS1_30default_config_static_selectorELNS0_4arch9wavefront6targetE1EEEvT1_ ; -- Begin function _ZN7rocprim17ROCPRIM_400000_NS6detail17trampoline_kernelINS0_14default_configENS1_27scan_by_key_config_selectorIifEEZZNS1_16scan_by_key_implILNS1_25lookback_scan_determinismE0ELb1ES3_N6thrust23THRUST_200600_302600_NS6detail15normal_iteratorINS9_10device_ptrIiEEEENSB_INSC_IfEEEESG_fNS9_4plusIvEENS9_8equal_toIvEEfEE10hipError_tPvRmT2_T3_T4_T5_mT6_T7_P12ihipStream_tbENKUlT_T0_E_clISt17integral_constantIbLb0EES10_IbLb1EEEEDaSW_SX_EUlSW_E_NS1_11comp_targetILNS1_3genE4ELNS1_11target_archE910ELNS1_3gpuE8ELNS1_3repE0EEENS1_30default_config_static_selectorELNS0_4arch9wavefront6targetE1EEEvT1_
	.globl	_ZN7rocprim17ROCPRIM_400000_NS6detail17trampoline_kernelINS0_14default_configENS1_27scan_by_key_config_selectorIifEEZZNS1_16scan_by_key_implILNS1_25lookback_scan_determinismE0ELb1ES3_N6thrust23THRUST_200600_302600_NS6detail15normal_iteratorINS9_10device_ptrIiEEEENSB_INSC_IfEEEESG_fNS9_4plusIvEENS9_8equal_toIvEEfEE10hipError_tPvRmT2_T3_T4_T5_mT6_T7_P12ihipStream_tbENKUlT_T0_E_clISt17integral_constantIbLb0EES10_IbLb1EEEEDaSW_SX_EUlSW_E_NS1_11comp_targetILNS1_3genE4ELNS1_11target_archE910ELNS1_3gpuE8ELNS1_3repE0EEENS1_30default_config_static_selectorELNS0_4arch9wavefront6targetE1EEEvT1_
	.p2align	8
	.type	_ZN7rocprim17ROCPRIM_400000_NS6detail17trampoline_kernelINS0_14default_configENS1_27scan_by_key_config_selectorIifEEZZNS1_16scan_by_key_implILNS1_25lookback_scan_determinismE0ELb1ES3_N6thrust23THRUST_200600_302600_NS6detail15normal_iteratorINS9_10device_ptrIiEEEENSB_INSC_IfEEEESG_fNS9_4plusIvEENS9_8equal_toIvEEfEE10hipError_tPvRmT2_T3_T4_T5_mT6_T7_P12ihipStream_tbENKUlT_T0_E_clISt17integral_constantIbLb0EES10_IbLb1EEEEDaSW_SX_EUlSW_E_NS1_11comp_targetILNS1_3genE4ELNS1_11target_archE910ELNS1_3gpuE8ELNS1_3repE0EEENS1_30default_config_static_selectorELNS0_4arch9wavefront6targetE1EEEvT1_,@function
_ZN7rocprim17ROCPRIM_400000_NS6detail17trampoline_kernelINS0_14default_configENS1_27scan_by_key_config_selectorIifEEZZNS1_16scan_by_key_implILNS1_25lookback_scan_determinismE0ELb1ES3_N6thrust23THRUST_200600_302600_NS6detail15normal_iteratorINS9_10device_ptrIiEEEENSB_INSC_IfEEEESG_fNS9_4plusIvEENS9_8equal_toIvEEfEE10hipError_tPvRmT2_T3_T4_T5_mT6_T7_P12ihipStream_tbENKUlT_T0_E_clISt17integral_constantIbLb0EES10_IbLb1EEEEDaSW_SX_EUlSW_E_NS1_11comp_targetILNS1_3genE4ELNS1_11target_archE910ELNS1_3gpuE8ELNS1_3repE0EEENS1_30default_config_static_selectorELNS0_4arch9wavefront6targetE1EEEvT1_: ; @_ZN7rocprim17ROCPRIM_400000_NS6detail17trampoline_kernelINS0_14default_configENS1_27scan_by_key_config_selectorIifEEZZNS1_16scan_by_key_implILNS1_25lookback_scan_determinismE0ELb1ES3_N6thrust23THRUST_200600_302600_NS6detail15normal_iteratorINS9_10device_ptrIiEEEENSB_INSC_IfEEEESG_fNS9_4plusIvEENS9_8equal_toIvEEfEE10hipError_tPvRmT2_T3_T4_T5_mT6_T7_P12ihipStream_tbENKUlT_T0_E_clISt17integral_constantIbLb0EES10_IbLb1EEEEDaSW_SX_EUlSW_E_NS1_11comp_targetILNS1_3genE4ELNS1_11target_archE910ELNS1_3gpuE8ELNS1_3repE0EEENS1_30default_config_static_selectorELNS0_4arch9wavefront6targetE1EEEvT1_
; %bb.0:
	s_load_dword s54, s[4:5], 0x20
	s_load_dwordx4 s[44:47], s[4:5], 0x28
	s_load_dwordx2 s[52:53], s[4:5], 0x38
	v_cmp_eq_u32_e64 s[0:1], 0, v0
	s_and_saveexec_b64 s[2:3], s[0:1]
	s_cbranch_execz .LBB1457_4
; %bb.1:
	s_mov_b64 s[8:9], exec
	v_mbcnt_lo_u32_b32 v1, s8, 0
	v_mbcnt_hi_u32_b32 v1, s9, v1
	v_cmp_eq_u32_e32 vcc, 0, v1
                                        ; implicit-def: $vgpr2
	s_and_saveexec_b64 s[6:7], vcc
	s_cbranch_execz .LBB1457_3
; %bb.2:
	s_load_dwordx2 s[10:11], s[4:5], 0x68
	s_bcnt1_i32_b64 s8, s[8:9]
	v_mov_b32_e32 v2, 0
	v_mov_b32_e32 v3, s8
	s_waitcnt lgkmcnt(0)
	global_atomic_add v2, v2, v3, s[10:11] glc
.LBB1457_3:
	s_or_b64 exec, exec, s[6:7]
	s_waitcnt vmcnt(0)
	v_readfirstlane_b32 s6, v2
	v_add_u32_e32 v1, s6, v1
	v_mov_b32_e32 v2, 0
	ds_write_b32 v2, v1
.LBB1457_4:
	s_or_b64 exec, exec, s[2:3]
	s_load_dwordx8 s[36:43], s[4:5], 0x0
	s_load_dword s2, s[4:5], 0x40
	s_load_dwordx4 s[48:51], s[4:5], 0x48
	v_mov_b32_e32 v3, 0
	s_waitcnt lgkmcnt(0)
	s_lshl_b64 s[34:35], s[38:39], 2
	s_barrier
	ds_read_b32 v1, v3
	s_add_u32 s3, s36, s34
	s_addc_u32 s4, s37, s35
	s_add_u32 s5, s40, s34
	s_mul_i32 s7, s53, s2
	s_mul_hi_u32 s8, s52, s2
	s_addc_u32 s6, s41, s35
	s_add_i32 s7, s8, s7
	s_movk_i32 s8, 0xe00
	s_waitcnt lgkmcnt(0)
	v_mul_lo_u32 v2, v1, s8
	v_lshlrev_b64 v[16:17], 2, v[2:3]
	v_mov_b32_e32 v2, s4
	v_add_co_u32_e32 v14, vcc, s3, v16
	v_addc_co_u32_e32 v15, vcc, v2, v17, vcc
	v_mov_b32_e32 v2, s6
	v_add_co_u32_e32 v22, vcc, s5, v16
	s_mul_i32 s2, s52, s2
	v_addc_co_u32_e32 v23, vcc, v2, v17, vcc
	v_mov_b32_e32 v3, s7
	v_add_co_u32_e32 v2, vcc, s2, v1
	s_add_u32 s6, s48, -1
	v_addc_co_u32_e32 v3, vcc, 0, v3, vcc
	s_addc_u32 s7, s49, -1
	v_cmp_le_u64_e64 s[2:3], s[6:7], v[2:3]
	v_readfirstlane_b32 s47, v1
	s_mov_b64 s[4:5], -1
	s_and_b64 vcc, exec, s[2:3]
	s_mul_i32 s33, s6, 0xfffff200
	s_barrier
	s_barrier
	s_cbranch_vccz .LBB1457_80
; %bb.5:
	flat_load_dword v2, v[14:15]
	s_add_i32 s49, s33, s46
	v_cmp_gt_u32_e32 vcc, s49, v0
	s_waitcnt vmcnt(0) lgkmcnt(0)
	v_mov_b32_e32 v3, v2
	s_and_saveexec_b64 s[6:7], vcc
	s_cbranch_execz .LBB1457_7
; %bb.6:
	v_lshlrev_b32_e32 v1, 2, v0
	v_add_co_u32_e64 v4, s[4:5], v14, v1
	v_addc_co_u32_e64 v5, s[4:5], 0, v15, s[4:5]
	flat_load_dword v3, v[4:5]
.LBB1457_7:
	s_or_b64 exec, exec, s[6:7]
	v_or_b32_e32 v1, 0x100, v0
	v_cmp_gt_u32_e64 s[4:5], s49, v1
	v_mov_b32_e32 v4, v2
	s_and_saveexec_b64 s[8:9], s[4:5]
	s_cbranch_execz .LBB1457_9
; %bb.8:
	v_lshlrev_b32_e32 v1, 2, v0
	v_add_co_u32_e64 v4, s[6:7], v14, v1
	v_addc_co_u32_e64 v5, s[6:7], 0, v15, s[6:7]
	flat_load_dword v4, v[4:5] offset:1024
.LBB1457_9:
	s_or_b64 exec, exec, s[8:9]
	v_or_b32_e32 v1, 0x200, v0
	v_cmp_gt_u32_e64 s[6:7], s49, v1
	v_mov_b32_e32 v5, v2
	s_and_saveexec_b64 s[10:11], s[6:7]
	s_cbranch_execz .LBB1457_11
; %bb.10:
	v_lshlrev_b32_e32 v1, 2, v0
	v_add_co_u32_e64 v6, s[8:9], v14, v1
	v_addc_co_u32_e64 v7, s[8:9], 0, v15, s[8:9]
	flat_load_dword v5, v[6:7] offset:2048
.LBB1457_11:
	;; [unrolled: 12-line block ×3, first 2 shown]
	s_or_b64 exec, exec, s[12:13]
	v_or_b32_e32 v1, 0x400, v0
	v_cmp_gt_u32_e64 s[10:11], s49, v1
	v_lshlrev_b32_e32 v1, 2, v1
	v_mov_b32_e32 v7, v2
	s_and_saveexec_b64 s[14:15], s[10:11]
	s_cbranch_execz .LBB1457_15
; %bb.14:
	v_add_co_u32_e64 v8, s[12:13], v14, v1
	v_addc_co_u32_e64 v9, s[12:13], 0, v15, s[12:13]
	flat_load_dword v7, v[8:9]
.LBB1457_15:
	s_or_b64 exec, exec, s[14:15]
	v_or_b32_e32 v8, 0x500, v0
	v_cmp_gt_u32_e64 s[12:13], s49, v8
	v_lshlrev_b32_e32 v20, 2, v8
	v_mov_b32_e32 v8, v2
	s_and_saveexec_b64 s[16:17], s[12:13]
	s_cbranch_execz .LBB1457_17
; %bb.16:
	v_add_co_u32_e64 v8, s[14:15], v14, v20
	v_addc_co_u32_e64 v9, s[14:15], 0, v15, s[14:15]
	flat_load_dword v8, v[8:9]
.LBB1457_17:
	;; [unrolled: 12-line block ×9, first 2 shown]
	s_or_b64 exec, exec, s[30:31]
	v_or_b32_e32 v24, 0xd00, v0
	v_cmp_gt_u32_e64 s[28:29], s49, v24
	v_lshlrev_b32_e32 v32, 2, v24
	s_and_saveexec_b64 s[36:37], s[28:29]
	s_cbranch_execz .LBB1457_33
; %bb.32:
	v_add_co_u32_e64 v24, s[30:31], v14, v32
	v_addc_co_u32_e64 v25, s[30:31], 0, v15, s[30:31]
	flat_load_dword v2, v[24:25]
.LBB1457_33:
	s_or_b64 exec, exec, s[36:37]
	v_lshlrev_b32_e32 v33, 2, v0
	s_waitcnt vmcnt(0) lgkmcnt(0)
	ds_write2st64_b32 v33, v3, v4 offset1:4
	ds_write2st64_b32 v33, v5, v6 offset0:8 offset1:12
	ds_write2st64_b32 v33, v7, v8 offset0:16 offset1:20
	;; [unrolled: 1-line block ×6, first 2 shown]
	s_waitcnt lgkmcnt(0)
	s_barrier
	flat_load_dword v24, v[14:15]
	v_mad_u32_u24 v25, v0, 52, v33
	s_movk_i32 s30, 0xffcc
	ds_read2_b64 v[10:13], v25 offset1:1
	ds_read2_b64 v[6:9], v25 offset0:2 offset1:3
	ds_read2_b64 v[2:5], v25 offset0:4 offset1:5
	ds_read_b64 v[18:19], v25 offset:48
	v_mad_i32_i24 v34, v0, s30, v25
	s_movk_i32 s30, 0xff
	v_cmp_ne_u32_e64 s[30:31], s30, v0
	s_waitcnt lgkmcnt(0)
	ds_write_b32 v34, v10 offset:15360
	s_waitcnt lgkmcnt(0)
	s_barrier
	s_and_saveexec_b64 s[36:37], s[30:31]
	s_cbranch_execz .LBB1457_35
; %bb.34:
	s_waitcnt vmcnt(0)
	ds_read_b32 v24, v33 offset:15364
.LBB1457_35:
	s_or_b64 exec, exec, s[36:37]
	s_waitcnt lgkmcnt(0)
	s_barrier
	s_waitcnt lgkmcnt(0)
                                        ; implicit-def: $vgpr34
	s_and_saveexec_b64 s[30:31], vcc
	s_cbranch_execz .LBB1457_151
; %bb.36:
	v_add_co_u32_e32 v34, vcc, v22, v33
	v_addc_co_u32_e32 v35, vcc, 0, v23, vcc
	flat_load_dword v34, v[34:35]
	s_or_b64 exec, exec, s[30:31]
                                        ; implicit-def: $vgpr35
	s_and_saveexec_b64 s[30:31], s[4:5]
	s_cbranch_execnz .LBB1457_152
.LBB1457_37:
	s_or_b64 exec, exec, s[30:31]
                                        ; implicit-def: $vgpr36
	s_and_saveexec_b64 s[4:5], s[6:7]
	s_cbranch_execz .LBB1457_153
.LBB1457_38:
	v_add_co_u32_e32 v36, vcc, v22, v33
	v_addc_co_u32_e32 v37, vcc, 0, v23, vcc
	flat_load_dword v36, v[36:37] offset:2048
	s_or_b64 exec, exec, s[4:5]
                                        ; implicit-def: $vgpr37
	s_and_saveexec_b64 s[4:5], s[8:9]
	s_cbranch_execnz .LBB1457_154
.LBB1457_39:
	s_or_b64 exec, exec, s[4:5]
                                        ; implicit-def: $vgpr38
	s_and_saveexec_b64 s[4:5], s[10:11]
	s_cbranch_execz .LBB1457_155
.LBB1457_40:
	v_add_co_u32_e32 v38, vcc, v22, v1
	v_addc_co_u32_e32 v39, vcc, 0, v23, vcc
	flat_load_dword v38, v[38:39]
	s_or_b64 exec, exec, s[4:5]
                                        ; implicit-def: $vgpr1
	s_and_saveexec_b64 s[4:5], s[12:13]
	s_cbranch_execnz .LBB1457_156
.LBB1457_41:
	s_or_b64 exec, exec, s[4:5]
                                        ; implicit-def: $vgpr20
	s_and_saveexec_b64 s[4:5], s[14:15]
	s_cbranch_execz .LBB1457_157
.LBB1457_42:
	v_add_co_u32_e32 v20, vcc, v22, v21
	v_addc_co_u32_e32 v21, vcc, 0, v23, vcc
	flat_load_dword v20, v[20:21]
	s_or_b64 exec, exec, s[4:5]
                                        ; implicit-def: $vgpr21
	s_and_saveexec_b64 s[4:5], s[16:17]
	s_cbranch_execnz .LBB1457_158
.LBB1457_43:
	s_or_b64 exec, exec, s[4:5]
                                        ; implicit-def: $vgpr26
	s_and_saveexec_b64 s[4:5], s[18:19]
	s_cbranch_execz .LBB1457_159
.LBB1457_44:
	v_add_co_u32_e32 v26, vcc, v22, v27
	v_addc_co_u32_e32 v27, vcc, 0, v23, vcc
	flat_load_dword v26, v[26:27]
	s_or_b64 exec, exec, s[4:5]
                                        ; implicit-def: $vgpr27
	s_and_saveexec_b64 s[4:5], s[20:21]
	s_cbranch_execnz .LBB1457_160
.LBB1457_45:
	s_or_b64 exec, exec, s[4:5]
                                        ; implicit-def: $vgpr28
	s_and_saveexec_b64 s[4:5], s[22:23]
	s_cbranch_execz .LBB1457_161
.LBB1457_46:
	v_add_co_u32_e32 v28, vcc, v22, v29
	v_addc_co_u32_e32 v29, vcc, 0, v23, vcc
	flat_load_dword v28, v[28:29]
	s_or_b64 exec, exec, s[4:5]
                                        ; implicit-def: $vgpr29
	s_and_saveexec_b64 s[4:5], s[24:25]
	s_cbranch_execnz .LBB1457_162
.LBB1457_47:
	s_or_b64 exec, exec, s[4:5]
                                        ; implicit-def: $vgpr30
	s_and_saveexec_b64 s[4:5], s[26:27]
	s_cbranch_execz .LBB1457_49
.LBB1457_48:
	v_add_co_u32_e32 v30, vcc, v22, v31
	v_addc_co_u32_e32 v31, vcc, 0, v23, vcc
	flat_load_dword v30, v[30:31]
.LBB1457_49:
	s_or_b64 exec, exec, s[4:5]
	v_mul_u32_u24_e32 v51, 14, v0
                                        ; implicit-def: $vgpr31
	s_and_saveexec_b64 s[4:5], s[28:29]
	s_cbranch_execz .LBB1457_51
; %bb.50:
	v_add_co_u32_e32 v40, vcc, v22, v32
	v_addc_co_u32_e32 v41, vcc, 0, v23, vcc
	flat_load_dword v31, v[40:41]
.LBB1457_51:
	s_or_b64 exec, exec, s[4:5]
	s_waitcnt vmcnt(0) lgkmcnt(0)
	ds_write2st64_b32 v33, v34, v35 offset1:4
	ds_write2st64_b32 v33, v36, v37 offset0:8 offset1:12
	ds_write2st64_b32 v33, v38, v1 offset0:16 offset1:20
	;; [unrolled: 1-line block ×6, first 2 shown]
	v_cmp_gt_u32_e32 vcc, s49, v51
	s_mov_b64 s[4:5], 0
	s_mov_b32 s48, 0
	v_mov_b32_e32 v1, 0
	v_mov_b32_e32 v26, 0
	s_mov_b64 s[10:11], 0
	v_mov_b32_e32 v40, 0
	v_mov_b32_e32 v30, 0
	;; [unrolled: 1-line block ×24, first 2 shown]
	s_waitcnt lgkmcnt(0)
	s_barrier
	s_waitcnt lgkmcnt(0)
                                        ; implicit-def: $sgpr8_sgpr9
                                        ; implicit-def: $vgpr20
	s_and_saveexec_b64 s[6:7], vcc
	s_cbranch_execz .LBB1457_79
; %bb.52:
	ds_read_b32 v20, v25
	v_or_b32_e32 v21, 1, v51
	v_cmp_ne_u32_e32 vcc, v10, v11
	v_mov_b32_e32 v10, s54
	v_cndmask_b32_e64 v1, 0, 1, vcc
	s_waitcnt lgkmcnt(0)
	v_cndmask_b32_e32 v30, v20, v10, vcc
	v_cmp_gt_u32_e32 vcc, s49, v21
	v_mov_b32_e32 v26, 0
	v_mov_b32_e32 v40, 0
	;; [unrolled: 1-line block ×24, first 2 shown]
                                        ; implicit-def: $sgpr12_sgpr13
                                        ; implicit-def: $vgpr20
	s_and_saveexec_b64 s[8:9], vcc
	s_cbranch_execz .LBB1457_78
; %bb.53:
	ds_read2_b32 v[20:21], v25 offset0:1 offset1:2
	v_add_u32_e32 v10, 2, v51
	v_cmp_ne_u32_e32 vcc, v11, v12
	v_mov_b32_e32 v11, s54
	v_cndmask_b32_e64 v34, 0, 1, vcc
	s_waitcnt lgkmcnt(0)
	v_cndmask_b32_e32 v28, v20, v11, vcc
	v_cmp_gt_u32_e32 vcc, s49, v10
	s_mov_b64 s[14:15], 0
	v_mov_b32_e32 v26, 0
	v_mov_b32_e32 v40, 0
	;; [unrolled: 1-line block ×22, first 2 shown]
                                        ; implicit-def: $sgpr12_sgpr13
                                        ; implicit-def: $vgpr20
	s_and_saveexec_b64 s[10:11], vcc
	s_cbranch_execz .LBB1457_77
; %bb.54:
	v_add_u32_e32 v10, 3, v51
	v_cmp_ne_u32_e32 vcc, v12, v13
	v_mov_b32_e32 v11, s54
	v_cndmask_b32_e64 v37, 0, 1, vcc
	v_cndmask_b32_e32 v29, v21, v11, vcc
	v_cmp_gt_u32_e32 vcc, s49, v10
	v_mov_b32_e32 v26, 0
	v_mov_b32_e32 v40, 0
	;; [unrolled: 1-line block ×20, first 2 shown]
                                        ; implicit-def: $sgpr16_sgpr17
                                        ; implicit-def: $vgpr20
	s_and_saveexec_b64 s[12:13], vcc
	s_cbranch_execz .LBB1457_76
; %bb.55:
	ds_read2_b32 v[10:11], v25 offset0:3 offset1:4
	v_add_u32_e32 v12, 4, v51
	v_cmp_ne_u32_e32 vcc, v13, v6
	v_mov_b32_e32 v13, s54
	v_cndmask_b32_e64 v42, 0, 1, vcc
	s_waitcnt lgkmcnt(0)
	v_cndmask_b32_e32 v31, v10, v13, vcc
	v_cmp_gt_u32_e32 vcc, s49, v12
	s_mov_b64 s[18:19], 0
	v_mov_b32_e32 v26, 0
	v_mov_b32_e32 v40, 0
	;; [unrolled: 1-line block ×18, first 2 shown]
                                        ; implicit-def: $sgpr16_sgpr17
                                        ; implicit-def: $vgpr20
	s_and_saveexec_b64 s[14:15], vcc
	s_cbranch_execz .LBB1457_75
; %bb.56:
	v_add_u32_e32 v10, 5, v51
	v_cmp_ne_u32_e32 vcc, v6, v7
	v_mov_b32_e32 v6, s54
	v_cndmask_b32_e64 v43, 0, 1, vcc
	v_cndmask_b32_e32 v27, v11, v6, vcc
	v_cmp_gt_u32_e32 vcc, s49, v10
	v_mov_b32_e32 v26, 0
	v_mov_b32_e32 v40, 0
	;; [unrolled: 1-line block ×16, first 2 shown]
                                        ; implicit-def: $sgpr20_sgpr21
                                        ; implicit-def: $vgpr20
	s_and_saveexec_b64 s[16:17], vcc
	s_cbranch_execz .LBB1457_74
; %bb.57:
	ds_read2_b32 v[10:11], v25 offset0:5 offset1:6
	v_add_u32_e32 v6, 6, v51
	v_cmp_ne_u32_e32 vcc, v7, v8
	v_mov_b32_e32 v7, s54
	v_cndmask_b32_e64 v44, 0, 1, vcc
	s_waitcnt lgkmcnt(0)
	v_cndmask_b32_e32 v32, v10, v7, vcc
	v_cmp_gt_u32_e32 vcc, s49, v6
	s_mov_b64 s[22:23], 0
	v_mov_b32_e32 v26, 0
	v_mov_b32_e32 v40, 0
	;; [unrolled: 1-line block ×14, first 2 shown]
                                        ; implicit-def: $sgpr20_sgpr21
                                        ; implicit-def: $vgpr20
	s_and_saveexec_b64 s[18:19], vcc
	s_cbranch_execz .LBB1457_73
; %bb.58:
	v_add_u32_e32 v6, 7, v51
	v_cmp_ne_u32_e32 vcc, v8, v9
	v_mov_b32_e32 v7, s54
	v_cndmask_b32_e64 v45, 0, 1, vcc
	v_cndmask_b32_e32 v33, v11, v7, vcc
	v_cmp_gt_u32_e32 vcc, s49, v6
	v_mov_b32_e32 v26, 0
	v_mov_b32_e32 v40, 0
	;; [unrolled: 1-line block ×12, first 2 shown]
                                        ; implicit-def: $sgpr24_sgpr25
                                        ; implicit-def: $vgpr20
	s_and_saveexec_b64 s[20:21], vcc
	s_cbranch_execz .LBB1457_72
; %bb.59:
	ds_read2_b32 v[6:7], v25 offset0:7 offset1:8
	v_add_u32_e32 v8, 8, v51
	v_cmp_ne_u32_e32 vcc, v9, v2
	v_mov_b32_e32 v9, s54
	v_cndmask_b32_e64 v46, 0, 1, vcc
	s_waitcnt lgkmcnt(0)
	v_cndmask_b32_e32 v35, v6, v9, vcc
	v_cmp_gt_u32_e32 vcc, s49, v8
	s_mov_b64 s[26:27], 0
	v_mov_b32_e32 v26, 0
	v_mov_b32_e32 v40, 0
	;; [unrolled: 1-line block ×10, first 2 shown]
                                        ; implicit-def: $sgpr24_sgpr25
                                        ; implicit-def: $vgpr20
	s_and_saveexec_b64 s[22:23], vcc
	s_cbranch_execz .LBB1457_71
; %bb.60:
	v_add_u32_e32 v6, 9, v51
	v_cmp_ne_u32_e32 vcc, v2, v3
	v_mov_b32_e32 v2, s54
	v_cndmask_b32_e64 v47, 0, 1, vcc
	v_cndmask_b32_e32 v36, v7, v2, vcc
	v_cmp_gt_u32_e32 vcc, s49, v6
	v_mov_b32_e32 v26, 0
	v_mov_b32_e32 v40, 0
	;; [unrolled: 1-line block ×8, first 2 shown]
                                        ; implicit-def: $sgpr28_sgpr29
                                        ; implicit-def: $vgpr20
	s_and_saveexec_b64 s[24:25], vcc
	s_cbranch_execz .LBB1457_70
; %bb.61:
	ds_read2_b32 v[6:7], v25 offset0:9 offset1:10
	v_add_u32_e32 v2, 10, v51
	v_cmp_ne_u32_e32 vcc, v3, v4
	v_mov_b32_e32 v3, s54
	v_cndmask_b32_e64 v48, 0, 1, vcc
	s_waitcnt lgkmcnt(0)
	v_cndmask_b32_e32 v38, v6, v3, vcc
	v_cmp_gt_u32_e32 vcc, s49, v2
	s_mov_b64 s[30:31], 0
	v_mov_b32_e32 v26, 0
	v_mov_b32_e32 v40, 0
	;; [unrolled: 1-line block ×6, first 2 shown]
                                        ; implicit-def: $sgpr28_sgpr29
                                        ; implicit-def: $vgpr20
	s_and_saveexec_b64 s[26:27], vcc
	s_cbranch_execz .LBB1457_69
; %bb.62:
	v_add_u32_e32 v2, 11, v51
	v_cmp_ne_u32_e32 vcc, v4, v5
	v_mov_b32_e32 v3, s54
	v_cndmask_b32_e64 v49, 0, 1, vcc
	v_cndmask_b32_e32 v39, v7, v3, vcc
	v_cmp_gt_u32_e32 vcc, s49, v2
	v_mov_b32_e32 v26, 0
	v_mov_b32_e32 v40, 0
	;; [unrolled: 1-line block ×4, first 2 shown]
                                        ; implicit-def: $sgpr36_sgpr37
                                        ; implicit-def: $vgpr20
	s_and_saveexec_b64 s[28:29], vcc
	s_cbranch_execz .LBB1457_68
; %bb.63:
	ds_read2_b32 v[2:3], v25 offset0:11 offset1:12
	v_add_u32_e32 v4, 12, v51
	v_cmp_ne_u32_e32 vcc, v5, v18
	v_mov_b32_e32 v5, s54
	v_cndmask_b32_e64 v50, 0, 1, vcc
	s_waitcnt lgkmcnt(0)
	v_cndmask_b32_e32 v41, v2, v5, vcc
	v_cmp_gt_u32_e32 vcc, s49, v4
	s_mov_b64 s[38:39], 0
	v_mov_b32_e32 v26, 0
	v_mov_b32_e32 v40, 0
                                        ; implicit-def: $sgpr40_sgpr41
                                        ; implicit-def: $vgpr20
	s_and_saveexec_b64 s[30:31], vcc
	s_cbranch_execz .LBB1457_67
; %bb.64:
	v_add_u32_e32 v2, 13, v51
	v_cmp_ne_u32_e32 vcc, v18, v19
	v_mov_b32_e32 v4, s54
	v_cndmask_b32_e64 v40, 0, 1, vcc
	v_cndmask_b32_e32 v26, v3, v4, vcc
	v_cmp_gt_u32_e32 vcc, s49, v2
	s_mov_b64 s[36:37], 0
                                        ; implicit-def: $sgpr38_sgpr39
                                        ; implicit-def: $vgpr20
	s_and_saveexec_b64 s[40:41], vcc
	s_xor_b64 s[40:41], exec, s[40:41]
	s_cbranch_execz .LBB1457_66
; %bb.65:
	ds_read_b32 v2, v25 offset:52
	v_mov_b32_e32 v3, s54
	v_cmp_ne_u32_e32 vcc, v19, v24
	s_mov_b64 s[36:37], exec
	s_and_b64 s[38:39], vcc, exec
	s_waitcnt lgkmcnt(0)
	v_cndmask_b32_e32 v20, v2, v3, vcc
.LBB1457_66:
	s_or_b64 exec, exec, s[40:41]
	s_and_b64 s[40:41], s[38:39], exec
	s_and_b64 s[38:39], s[36:37], exec
.LBB1457_67:
	s_or_b64 exec, exec, s[30:31]
	s_and_b64 s[36:37], s[40:41], exec
	s_and_b64 s[30:31], s[38:39], exec
.LBB1457_68:
	s_or_b64 exec, exec, s[28:29]
	s_and_b64 s[28:29], s[36:37], exec
	s_and_b64 s[30:31], s[30:31], exec
.LBB1457_69:
	s_or_b64 exec, exec, s[26:27]
	s_and_b64 s[28:29], s[28:29], exec
	s_and_b64 s[26:27], s[30:31], exec
.LBB1457_70:
	s_or_b64 exec, exec, s[24:25]
	s_and_b64 s[24:25], s[28:29], exec
	s_and_b64 s[26:27], s[26:27], exec
.LBB1457_71:
	s_or_b64 exec, exec, s[22:23]
	s_and_b64 s[24:25], s[24:25], exec
	s_and_b64 s[22:23], s[26:27], exec
.LBB1457_72:
	s_or_b64 exec, exec, s[20:21]
	s_and_b64 s[20:21], s[24:25], exec
	s_and_b64 s[22:23], s[22:23], exec
.LBB1457_73:
	s_or_b64 exec, exec, s[18:19]
	s_and_b64 s[20:21], s[20:21], exec
	s_and_b64 s[18:19], s[22:23], exec
.LBB1457_74:
	s_or_b64 exec, exec, s[16:17]
	s_and_b64 s[16:17], s[20:21], exec
	s_and_b64 s[18:19], s[18:19], exec
.LBB1457_75:
	s_or_b64 exec, exec, s[14:15]
	s_and_b64 s[16:17], s[16:17], exec
	s_and_b64 s[14:15], s[18:19], exec
.LBB1457_76:
	s_or_b64 exec, exec, s[12:13]
	s_and_b64 s[12:13], s[16:17], exec
	s_and_b64 s[14:15], s[14:15], exec
.LBB1457_77:
	s_or_b64 exec, exec, s[10:11]
	s_and_b64 s[12:13], s[12:13], exec
	s_and_b64 s[10:11], s[14:15], exec
.LBB1457_78:
	s_or_b64 exec, exec, s[8:9]
	s_and_b64 s[8:9], s[12:13], exec
	s_and_b64 s[10:11], s[10:11], exec
.LBB1457_79:
	s_or_b64 exec, exec, s[6:7]
	s_mov_b32 s6, 0
	s_and_b64 vcc, exec, s[4:5]
	v_lshlrev_b32_e32 v51, 2, v0
	s_cbranch_vccnz .LBB1457_81
	s_branch .LBB1457_86
.LBB1457_80:
	s_mov_b64 s[10:11], 0
                                        ; implicit-def: $sgpr8_sgpr9
                                        ; implicit-def: $vgpr20
                                        ; implicit-def: $vgpr1
                                        ; implicit-def: $vgpr26
                                        ; implicit-def: $vgpr40
                                        ; implicit-def: $vgpr30
                                        ; implicit-def: $vgpr41
                                        ; implicit-def: $vgpr50
                                        ; implicit-def: $vgpr34
                                        ; implicit-def: $vgpr39
                                        ; implicit-def: $vgpr49
                                        ; implicit-def: $vgpr28
                                        ; implicit-def: $vgpr38
                                        ; implicit-def: $vgpr48
                                        ; implicit-def: $vgpr37
                                        ; implicit-def: $vgpr36
                                        ; implicit-def: $vgpr47
                                        ; implicit-def: $vgpr29
                                        ; implicit-def: $vgpr35
                                        ; implicit-def: $vgpr46
                                        ; implicit-def: $vgpr42
                                        ; implicit-def: $vgpr33
                                        ; implicit-def: $vgpr45
                                        ; implicit-def: $vgpr31
                                        ; implicit-def: $vgpr32
                                        ; implicit-def: $vgpr44
                                        ; implicit-def: $vgpr43
                                        ; implicit-def: $vgpr27
                                        ; implicit-def: $sgpr6
                                        ; implicit-def: $sgpr48
	s_and_b64 vcc, exec, s[4:5]
	v_lshlrev_b32_e32 v51, 2, v0
	s_cbranch_vccz .LBB1457_86
.LBB1457_81:
	v_add_co_u32_e32 v2, vcc, v14, v51
	v_addc_co_u32_e32 v3, vcc, 0, v15, vcc
	v_add_co_u32_e32 v4, vcc, 0x1000, v2
	v_addc_co_u32_e32 v5, vcc, 0, v3, vcc
	flat_load_dword v1, v[2:3]
	flat_load_dword v6, v[2:3] offset:1024
	flat_load_dword v7, v[2:3] offset:2048
	flat_load_dword v8, v[2:3] offset:3072
	flat_load_dword v9, v[4:5]
	flat_load_dword v10, v[4:5] offset:1024
	flat_load_dword v11, v[4:5] offset:2048
	;; [unrolled: 1-line block ×3, first 2 shown]
	v_add_co_u32_e32 v4, vcc, 0x2000, v2
	v_addc_co_u32_e32 v5, vcc, 0, v3, vcc
	v_add_co_u32_e32 v2, vcc, 0x3000, v2
	v_addc_co_u32_e32 v3, vcc, 0, v3, vcc
	flat_load_dword v13, v[4:5]
	flat_load_dword v18, v[4:5] offset:1024
	flat_load_dword v19, v[4:5] offset:2048
	;; [unrolled: 1-line block ×3, first 2 shown]
	flat_load_dword v21, v[2:3]
	flat_load_dword v24, v[2:3] offset:1024
	v_add_co_u32_e32 v2, vcc, 0x3000, v14
	v_addc_co_u32_e32 v3, vcc, 0, v15, vcc
	s_movk_i32 s4, 0xffcc
	s_movk_i32 s8, 0x1000
	;; [unrolled: 1-line block ×4, first 2 shown]
	s_waitcnt vmcnt(0) lgkmcnt(0)
	ds_write2st64_b32 v51, v1, v6 offset1:4
	ds_write2st64_b32 v51, v7, v8 offset0:8 offset1:12
	ds_write2st64_b32 v51, v9, v10 offset0:16 offset1:20
	ds_write2st64_b32 v51, v11, v12 offset0:24 offset1:28
	ds_write2st64_b32 v51, v13, v18 offset0:32 offset1:36
	ds_write2st64_b32 v51, v19, v20 offset0:40 offset1:44
	ds_write2st64_b32 v51, v21, v24 offset0:48 offset1:52
	s_waitcnt lgkmcnt(0)
	s_barrier
	flat_load_dword v52, v[2:3] offset:2048
	v_mad_u32_u24 v1, v0, 52, v51
	ds_read2_b64 v[10:13], v1 offset1:1
	ds_read2_b64 v[6:9], v1 offset0:2 offset1:3
	ds_read2_b64 v[2:5], v1 offset0:4 offset1:5
	ds_read_b64 v[14:15], v1 offset:48
	v_mad_i32_i24 v18, v0, s4, v1
	s_movk_i32 s4, 0xff
	v_cmp_ne_u32_e32 vcc, s4, v0
	s_waitcnt lgkmcnt(0)
	ds_write_b32 v18, v10 offset:15360
	s_waitcnt lgkmcnt(0)
	s_barrier
	s_and_saveexec_b64 s[4:5], vcc
	s_cbranch_execz .LBB1457_83
; %bb.82:
	s_waitcnt vmcnt(0)
	ds_read_b32 v52, v51 offset:15364
.LBB1457_83:
	s_or_b64 exec, exec, s[4:5]
	v_add_co_u32_e32 v18, vcc, v22, v51
	v_addc_co_u32_e32 v19, vcc, 0, v23, vcc
	v_add_co_u32_e32 v20, vcc, s8, v18
	v_addc_co_u32_e32 v21, vcc, 0, v19, vcc
	s_waitcnt lgkmcnt(0)
	s_barrier
	flat_load_dword v22, v[18:19]
	flat_load_dword v23, v[18:19] offset:1024
	flat_load_dword v24, v[18:19] offset:2048
	;; [unrolled: 1-line block ×3, first 2 shown]
	flat_load_dword v26, v[20:21]
	flat_load_dword v27, v[20:21] offset:1024
	flat_load_dword v28, v[20:21] offset:2048
	;; [unrolled: 1-line block ×3, first 2 shown]
	v_add_co_u32_e32 v20, vcc, s7, v18
	v_addc_co_u32_e32 v21, vcc, 0, v19, vcc
	v_add_co_u32_e32 v18, vcc, s6, v18
	v_addc_co_u32_e32 v19, vcc, 0, v19, vcc
	flat_load_dword v30, v[20:21]
	flat_load_dword v31, v[20:21] offset:1024
	flat_load_dword v32, v[20:21] offset:2048
	;; [unrolled: 1-line block ×3, first 2 shown]
	flat_load_dword v34, v[18:19]
	flat_load_dword v35, v[18:19] offset:1024
	v_cmp_ne_u32_e32 vcc, v10, v11
	v_cmp_eq_u32_e64 s[4:5], v10, v11
	s_waitcnt vmcnt(0) lgkmcnt(0)
	ds_write2st64_b32 v51, v22, v23 offset1:4
	ds_write2st64_b32 v51, v24, v25 offset0:8 offset1:12
	ds_write2st64_b32 v51, v26, v27 offset0:16 offset1:20
	;; [unrolled: 1-line block ×6, first 2 shown]
	s_waitcnt lgkmcnt(0)
	s_barrier
	ds_read2_b32 v[28:29], v1 offset0:1 offset1:2
	ds_read2_b32 v[26:27], v1 offset0:3 offset1:4
	;; [unrolled: 1-line block ×6, first 2 shown]
	ds_read_b32 v53, v1 offset:52
	v_mov_b32_e32 v30, s54
	s_and_saveexec_b64 s[6:7], s[4:5]
	s_cbranch_execz .LBB1457_85
; %bb.84:
	ds_read_b32 v30, v1
.LBB1457_85:
	s_or_b64 exec, exec, s[6:7]
	v_cmp_ne_u32_e64 s[8:9], v6, v7
	v_cmp_ne_u32_e64 s[14:15], v9, v2
	;; [unrolled: 1-line block ×3, first 2 shown]
	v_mov_b32_e32 v2, s54
	v_cndmask_b32_e64 v1, 0, 1, vcc
	v_cmp_ne_u32_e32 vcc, v11, v12
	v_cmp_ne_u32_e64 s[4:5], v12, v13
	v_cmp_ne_u32_e64 s[6:7], v13, v6
	v_cndmask_b32_e64 v43, 0, 1, s[8:9]
	v_cmp_ne_u32_e64 s[10:11], v7, v8
	v_cmp_ne_u32_e64 s[12:13], v8, v9
	;; [unrolled: 1-line block ×6, first 2 shown]
	s_waitcnt lgkmcnt(5)
	v_cndmask_b32_e64 v27, v27, v2, s[8:9]
	v_cmp_ne_u32_e64 s[8:9], v15, v52
	v_cndmask_b32_e64 v34, 0, 1, vcc
	v_cndmask_b32_e64 v37, 0, 1, s[4:5]
	v_cndmask_b32_e64 v42, 0, 1, s[6:7]
	;; [unrolled: 1-line block ×10, first 2 shown]
	v_cndmask_b32_e32 v28, v28, v2, vcc
	v_cndmask_b32_e64 v29, v29, v2, s[4:5]
	v_cndmask_b32_e64 v31, v26, v2, s[6:7]
	s_waitcnt lgkmcnt(4)
	v_cndmask_b32_e64 v32, v24, v2, s[10:11]
	v_cndmask_b32_e64 v33, v25, v2, s[12:13]
	s_waitcnt lgkmcnt(3)
	;; [unrolled: 3-line block ×5, first 2 shown]
	v_cndmask_b32_e64 v20, v53, v2, s[8:9]
	s_mov_b64 s[10:11], -1
                                        ; implicit-def: $sgpr6
                                        ; implicit-def: $sgpr48
.LBB1457_86:
	v_mov_b32_e32 v14, s48
	v_mov_b32_e32 v15, s6
	s_and_saveexec_b64 s[4:5], s[10:11]
; %bb.87:
	v_cndmask_b32_e64 v14, 0, 1, s[8:9]
	v_mov_b32_e32 v15, v20
; %bb.88:
	s_or_b64 exec, exec, s[4:5]
	v_or_b32_e32 v2, v14, v40
	s_cmp_lg_u32 s47, 0
	v_add_f32_e32 v54, v28, v30
	v_or_b32_e32 v53, v2, v50
	v_mbcnt_lo_u32_b32 v52, -1, 0
	s_barrier
	s_cbranch_scc0 .LBB1457_163
; %bb.89:
	v_mov_b32_e32 v2, 0
	v_cmp_eq_u16_sdwa s[4:5], v34, v2 src0_sel:BYTE_0 src1_sel:DWORD
	v_cndmask_b32_e64 v3, v28, v54, s[4:5]
	v_add_f32_e32 v3, v29, v3
	v_cmp_eq_u16_sdwa s[6:7], v37, v2 src0_sel:BYTE_0 src1_sel:DWORD
	v_cndmask_b32_e64 v3, v29, v3, s[6:7]
	v_add_f32_e32 v3, v31, v3
	;; [unrolled: 3-line block ×7, first 2 shown]
	v_cmp_eq_u16_sdwa s[18:19], v47, v2 src0_sel:BYTE_0 src1_sel:DWORD
	v_cmp_eq_u16_sdwa s[20:21], v48, v2 src0_sel:BYTE_0 src1_sel:DWORD
	;; [unrolled: 1-line block ×5, first 2 shown]
	v_cmp_eq_u16_sdwa vcc, v14, v2 src0_sel:BYTE_0 src1_sel:DWORD
	v_or_b32_e32 v2, v53, v49
	v_cndmask_b32_e64 v3, v36, v3, s[18:19]
	v_or_b32_e32 v2, v2, v48
	v_add_f32_e32 v3, v38, v3
	v_or_b32_e32 v2, v2, v47
	v_cndmask_b32_e64 v3, v38, v3, s[20:21]
	v_or_b32_e32 v2, v2, v46
	v_add_f32_e32 v3, v39, v3
	;; [unrolled: 4-line block ×5, first 2 shown]
	v_and_b32_e32 v2, 1, v2
	v_and_b32_e32 v5, 0xff, v1
	v_cndmask_b32_e32 v4, v15, v3, vcc
	v_cmp_eq_u32_e32 vcc, 1, v2
	v_mbcnt_hi_u32_b32 v11, -1, v52
	v_cndmask_b32_e64 v5, v5, 1, vcc
	v_and_b32_e32 v2, 15, v11
	v_mov_b32_dpp v6, v4 row_shr:1 row_mask:0xf bank_mask:0xf
	v_mov_b32_dpp v3, v5 row_shr:1 row_mask:0xf bank_mask:0xf
	v_cmp_ne_u32_e32 vcc, 0, v2
	s_and_saveexec_b64 s[28:29], vcc
; %bb.90:
	v_add_f32_e32 v6, v4, v6
	v_cmp_eq_u32_e32 vcc, 0, v5
	v_and_b32_e32 v5, 1, v5
	v_cndmask_b32_e32 v4, v4, v6, vcc
	v_and_b32_e32 v3, 1, v3
	v_cmp_eq_u32_e32 vcc, 1, v5
	v_cndmask_b32_e64 v5, v3, 1, vcc
; %bb.91:
	s_or_b64 exec, exec, s[28:29]
	v_mov_b32_dpp v6, v4 row_shr:2 row_mask:0xf bank_mask:0xf
	v_mov_b32_dpp v3, v5 row_shr:2 row_mask:0xf bank_mask:0xf
	v_cmp_lt_u32_e32 vcc, 1, v2
	s_and_saveexec_b64 s[28:29], vcc
; %bb.92:
	v_add_f32_e32 v6, v4, v6
	v_cmp_eq_u32_e32 vcc, 0, v5
	v_and_b32_e32 v5, 1, v5
	v_cndmask_b32_e32 v4, v4, v6, vcc
	v_and_b32_e32 v3, 1, v3
	v_cmp_eq_u32_e32 vcc, 1, v5
	v_cndmask_b32_e64 v5, v3, 1, vcc
; %bb.93:
	s_or_b64 exec, exec, s[28:29]
	v_mov_b32_dpp v6, v4 row_shr:4 row_mask:0xf bank_mask:0xf
	v_mov_b32_dpp v3, v5 row_shr:4 row_mask:0xf bank_mask:0xf
	v_cmp_lt_u32_e32 vcc, 3, v2
	s_and_saveexec_b64 s[28:29], vcc
; %bb.94:
	v_add_f32_e32 v6, v4, v6
	v_cmp_eq_u32_e32 vcc, 0, v5
	v_and_b32_e32 v5, 1, v5
	v_cndmask_b32_e32 v4, v4, v6, vcc
	v_and_b32_e32 v3, 1, v3
	v_cmp_eq_u32_e32 vcc, 1, v5
	v_cndmask_b32_e64 v5, v3, 1, vcc
; %bb.95:
	s_or_b64 exec, exec, s[28:29]
	v_mov_b32_dpp v6, v4 row_shr:8 row_mask:0xf bank_mask:0xf
	v_mov_b32_dpp v3, v5 row_shr:8 row_mask:0xf bank_mask:0xf
	v_cmp_lt_u32_e32 vcc, 7, v2
	s_and_saveexec_b64 s[28:29], vcc
; %bb.96:
	v_add_f32_e32 v2, v4, v6
	v_cmp_eq_u32_e32 vcc, 0, v5
	v_cndmask_b32_e32 v4, v4, v2, vcc
	v_and_b32_e32 v2, 1, v5
	v_and_b32_e32 v3, 1, v3
	v_cmp_eq_u32_e32 vcc, 1, v2
	v_cndmask_b32_e64 v5, v3, 1, vcc
; %bb.97:
	s_or_b64 exec, exec, s[28:29]
	v_and_b32_e32 v6, 16, v11
	v_mov_b32_dpp v3, v4 row_bcast:15 row_mask:0xf bank_mask:0xf
	v_mov_b32_dpp v2, v5 row_bcast:15 row_mask:0xf bank_mask:0xf
	v_cmp_ne_u32_e32 vcc, 0, v6
	s_and_saveexec_b64 s[28:29], vcc
; %bb.98:
	v_add_f32_e32 v3, v4, v3
	v_cmp_eq_u32_e32 vcc, 0, v5
	v_cndmask_b32_e32 v4, v4, v3, vcc
	v_and_b32_e32 v3, 1, v5
	v_and_b32_e32 v2, 1, v2
	v_cmp_eq_u32_e32 vcc, 1, v3
	v_cndmask_b32_e64 v5, v2, 1, vcc
; %bb.99:
	s_or_b64 exec, exec, s[28:29]
	v_mov_b32_dpp v3, v4 row_bcast:31 row_mask:0xf bank_mask:0xf
	v_mov_b32_dpp v2, v5 row_bcast:31 row_mask:0xf bank_mask:0xf
	v_cmp_lt_u32_e32 vcc, 31, v11
	s_and_saveexec_b64 s[28:29], vcc
; %bb.100:
	v_add_f32_e32 v3, v4, v3
	v_cmp_eq_u32_e32 vcc, 0, v5
	v_cndmask_b32_e32 v4, v4, v3, vcc
	v_and_b32_e32 v3, 1, v5
	v_and_b32_e32 v2, 1, v2
	v_cmp_eq_u32_e32 vcc, 1, v3
	v_cndmask_b32_e64 v5, v2, 1, vcc
; %bb.101:
	s_or_b64 exec, exec, s[28:29]
	v_or_b32_e32 v2, 63, v0
	v_lshrrev_b32_e32 v6, 6, v0
	v_cmp_eq_u32_e32 vcc, v2, v0
	s_and_saveexec_b64 s[28:29], vcc
	s_cbranch_execz .LBB1457_103
; %bb.102:
	v_lshlrev_b32_e32 v2, 3, v6
	ds_write_b32 v2, v4
	ds_write_b8 v2, v5 offset:4
.LBB1457_103:
	s_or_b64 exec, exec, s[28:29]
	v_cmp_gt_u32_e32 vcc, 4, v0
	s_waitcnt lgkmcnt(0)
	s_barrier
	s_and_saveexec_b64 s[28:29], vcc
	s_cbranch_execz .LBB1457_107
; %bb.104:
	v_lshlrev_b32_e32 v7, 3, v0
	ds_read_b64 v[2:3], v7
	v_and_b32_e32 v8, 3, v11
	v_cmp_ne_u32_e32 vcc, 0, v8
	s_waitcnt lgkmcnt(0)
	v_mov_b32_dpp v12, v2 row_shr:1 row_mask:0xf bank_mask:0xf
	v_mov_b32_dpp v10, v3 row_shr:1 row_mask:0xf bank_mask:0xf
	v_mov_b32_e32 v9, v3
	s_and_saveexec_b64 s[30:31], vcc
; %bb.105:
	v_mov_b32_e32 v9, 0
	v_add_f32_e32 v12, v2, v12
	v_cmp_eq_u16_sdwa vcc, v3, v9 src0_sel:BYTE_0 src1_sel:DWORD
	v_and_b32_e32 v9, 1, v3
	v_cndmask_b32_e32 v2, v2, v12, vcc
	v_and_b32_e32 v10, 1, v10
	v_cmp_eq_u32_e32 vcc, 1, v9
	v_cndmask_b32_e64 v9, v10, 1, vcc
	s_movk_i32 s36, 0xff00
	v_and_or_b32 v3, v3, s36, v9
; %bb.106:
	s_or_b64 exec, exec, s[30:31]
	v_mov_b32_e32 v13, 0
	v_mov_b32_dpp v12, v3 row_shr:2 row_mask:0xf bank_mask:0xf
	v_cmp_eq_u16_sdwa s[30:31], v9, v13 src0_sel:BYTE_0 src1_sel:DWORD
	v_and_b32_e32 v9, 1, v9
	v_and_b32_e32 v12, 1, v12
	v_cmp_eq_u32_e32 vcc, 1, v9
	v_mov_b32_dpp v10, v2 row_shr:2 row_mask:0xf bank_mask:0xf
	v_cndmask_b32_e64 v9, v12, 1, vcc
	v_cmp_lt_u32_e32 vcc, 1, v8
	v_add_f32_e32 v10, v2, v10
	v_cndmask_b32_e32 v3, v3, v9, vcc
	s_and_b64 vcc, vcc, s[30:31]
	v_cndmask_b32_e32 v2, v2, v10, vcc
	ds_write_b32 v7, v2
	ds_write_b8 v7, v3 offset:4
.LBB1457_107:
	s_or_b64 exec, exec, s[28:29]
	v_cmp_gt_u32_e32 vcc, 64, v0
	v_cmp_lt_u32_e64 s[28:29], 63, v0
	v_mov_b32_e32 v18, 0
	v_mov_b32_e32 v19, 0
	s_waitcnt lgkmcnt(0)
	s_barrier
	s_and_saveexec_b64 s[30:31], s[28:29]
	s_cbranch_execz .LBB1457_109
; %bb.108:
	v_lshl_add_u32 v2, v6, 3, -8
	ds_read_b32 v18, v2
	ds_read_u8 v19, v2 offset:4
	v_and_b32_e32 v2, 1, v5
	v_cmp_eq_u32_e64 s[28:29], 0, v5
	s_waitcnt lgkmcnt(1)
	v_add_f32_e32 v3, v4, v18
	s_waitcnt lgkmcnt(0)
	v_and_b32_e32 v6, 1, v19
	v_cndmask_b32_e64 v4, v4, v3, s[28:29]
	v_cmp_eq_u32_e64 s[28:29], 1, v2
	v_cndmask_b32_e64 v5, v6, 1, s[28:29]
.LBB1457_109:
	s_or_b64 exec, exec, s[30:31]
	v_add_u32_e32 v2, -1, v11
	v_and_b32_e32 v3, 64, v11
	v_cmp_lt_i32_e64 s[28:29], v2, v3
	v_cndmask_b32_e64 v2, v2, v11, s[28:29]
	v_lshlrev_b32_e32 v2, 2, v2
	ds_bpermute_b32 v20, v2, v4
	ds_bpermute_b32 v21, v2, v5
	v_cmp_eq_u32_e64 s[28:29], 0, v11
	s_and_saveexec_b64 s[30:31], vcc
	s_cbranch_execz .LBB1457_150
; %bb.110:
	v_mov_b32_e32 v5, 0
	ds_read_b64 v[2:3], v5 offset:24
	s_waitcnt lgkmcnt(0)
	v_readfirstlane_b32 s40, v3
	s_and_saveexec_b64 s[36:37], s[28:29]
	s_cbranch_execz .LBB1457_112
; %bb.111:
	s_add_i32 s38, s47, 64
	s_mov_b32 s39, 0
	s_lshl_b64 s[48:49], s[38:39], 4
	s_add_u32 s48, s44, s48
	s_addc_u32 s49, s45, s49
	s_and_b32 s57, s40, 0xff000000
	s_mov_b32 s56, s39
	s_and_b32 s59, s40, 0xff0000
	s_mov_b32 s58, s39
	s_or_b64 s[56:57], s[58:59], s[56:57]
	s_and_b32 s59, s40, 0xff00
	s_or_b64 s[56:57], s[56:57], s[58:59]
	s_and_b32 s59, s40, 0xff
	s_or_b64 s[38:39], s[56:57], s[58:59]
	v_mov_b32_e32 v3, s39
	v_mov_b32_e32 v4, 1
	v_pk_mov_b32 v[6:7], s[48:49], s[48:49] op_sel:[0,1]
	;;#ASMSTART
	global_store_dwordx4 v[6:7], v[2:5] off	
s_waitcnt vmcnt(0)
	;;#ASMEND
.LBB1457_112:
	s_or_b64 exec, exec, s[36:37]
	v_xad_u32 v10, v11, -1, s47
	v_add_u32_e32 v4, 64, v10
	v_lshlrev_b64 v[6:7], 4, v[4:5]
	v_mov_b32_e32 v3, s45
	v_add_co_u32_e32 v12, vcc, s44, v6
	v_addc_co_u32_e32 v13, vcc, v3, v7, vcc
	;;#ASMSTART
	global_load_dwordx4 v[6:9], v[12:13] off glc	
s_waitcnt vmcnt(0)
	;;#ASMEND
	v_cmp_eq_u16_sdwa s[38:39], v8, v5 src0_sel:BYTE_0 src1_sel:DWORD
	s_and_saveexec_b64 s[36:37], s[38:39]
	s_cbranch_execz .LBB1457_116
; %bb.113:
	s_mov_b64 s[38:39], 0
	v_mov_b32_e32 v3, 0
.LBB1457_114:                           ; =>This Inner Loop Header: Depth=1
	;;#ASMSTART
	global_load_dwordx4 v[6:9], v[12:13] off glc	
s_waitcnt vmcnt(0)
	;;#ASMEND
	v_cmp_ne_u16_sdwa s[48:49], v8, v3 src0_sel:BYTE_0 src1_sel:DWORD
	s_or_b64 s[38:39], s[48:49], s[38:39]
	s_andn2_b64 exec, exec, s[38:39]
	s_cbranch_execnz .LBB1457_114
; %bb.115:
	s_or_b64 exec, exec, s[38:39]
.LBB1457_116:
	s_or_b64 exec, exec, s[36:37]
	v_mov_b32_e32 v3, 2
	v_cmp_eq_u16_sdwa s[36:37], v8, v3 src0_sel:BYTE_0 src1_sel:DWORD
	v_lshlrev_b64 v[4:5], v11, -1
	v_and_b32_e32 v3, s37, v5
	v_or_b32_e32 v3, 0x80000000, v3
	v_ffbl_b32_e32 v24, v3
	v_and_b32_e32 v3, 63, v11
	v_cmp_ne_u32_e32 vcc, 63, v3
	v_addc_co_u32_e32 v13, vcc, 0, v11, vcc
	v_and_b32_e32 v12, 0xff, v7
	v_lshlrev_b32_e32 v22, 2, v13
	ds_bpermute_b32 v23, v22, v6
	ds_bpermute_b32 v13, v22, v12
	v_and_b32_e32 v9, s36, v4
	v_add_u32_e32 v24, 32, v24
	v_ffbl_b32_e32 v9, v9
	v_min_u32_e32 v9, v9, v24
	v_cmp_lt_u32_e32 vcc, v3, v9
	s_and_saveexec_b64 s[36:37], vcc
	s_cbranch_execz .LBB1457_118
; %bb.117:
	v_mov_b32_e32 v12, 0
	s_waitcnt lgkmcnt(1)
	v_add_f32_e32 v23, v6, v23
	v_cmp_eq_u16_sdwa vcc, v7, v12 src0_sel:BYTE_0 src1_sel:DWORD
	v_and_b32_e32 v7, 1, v7
	v_cndmask_b32_e32 v6, v6, v23, vcc
	s_waitcnt lgkmcnt(0)
	v_and_b32_e32 v12, 1, v13
	v_cmp_eq_u32_e32 vcc, 1, v7
	v_cndmask_b32_e64 v7, v12, 1, vcc
	v_and_b32_e32 v12, 0xffff, v7
.LBB1457_118:
	s_or_b64 exec, exec, s[36:37]
	v_cmp_gt_u32_e32 vcc, 62, v3
	s_waitcnt lgkmcnt(0)
	v_cndmask_b32_e64 v13, 0, 1, vcc
	v_lshlrev_b32_e32 v13, 1, v13
	v_add_lshl_u32 v23, v13, v11, 2
	ds_bpermute_b32 v25, v23, v6
	ds_bpermute_b32 v13, v23, v12
	v_add_u32_e32 v24, 2, v3
	v_cmp_le_u32_e32 vcc, v24, v9
	s_and_saveexec_b64 s[36:37], vcc
	s_cbranch_execz .LBB1457_120
; %bb.119:
	v_mov_b32_e32 v12, 0
	s_waitcnt lgkmcnt(1)
	v_add_f32_e32 v25, v6, v25
	v_cmp_eq_u16_sdwa vcc, v7, v12 src0_sel:BYTE_0 src1_sel:DWORD
	v_and_b32_e32 v7, 1, v7
	v_cndmask_b32_e32 v6, v6, v25, vcc
	s_waitcnt lgkmcnt(0)
	v_and_b32_e32 v12, 1, v13
	v_cmp_eq_u32_e32 vcc, 1, v7
	v_cndmask_b32_e64 v7, v12, 1, vcc
	v_and_b32_e32 v12, 0xffff, v7
.LBB1457_120:
	s_or_b64 exec, exec, s[36:37]
	v_cmp_gt_u32_e32 vcc, 60, v3
	s_waitcnt lgkmcnt(0)
	v_cndmask_b32_e64 v13, 0, 1, vcc
	v_lshlrev_b32_e32 v13, 2, v13
	v_add_lshl_u32 v25, v13, v11, 2
	ds_bpermute_b32 v56, v25, v6
	ds_bpermute_b32 v13, v25, v12
	v_add_u32_e32 v55, 4, v3
	v_cmp_le_u32_e32 vcc, v55, v9
	;; [unrolled: 25-line block ×5, first 2 shown]
	s_and_saveexec_b64 s[36:37], vcc
	s_cbranch_execz .LBB1457_128
; %bb.127:
	v_mov_b32_e32 v9, 0
	s_waitcnt lgkmcnt(1)
	v_add_f32_e32 v12, v6, v13
	v_cmp_eq_u16_sdwa vcc, v7, v9 src0_sel:BYTE_0 src1_sel:DWORD
	v_and_b32_e32 v7, 1, v7
	v_cndmask_b32_e32 v6, v6, v12, vcc
	s_waitcnt lgkmcnt(0)
	v_and_b32_e32 v9, 1, v11
	v_cmp_eq_u32_e32 vcc, 1, v7
	v_cndmask_b32_e64 v7, v9, 1, vcc
.LBB1457_128:
	s_or_b64 exec, exec, s[36:37]
	s_waitcnt lgkmcnt(0)
	v_mov_b32_e32 v11, 0
	v_mov_b32_e32 v64, 2
	s_branch .LBB1457_130
.LBB1457_129:                           ;   in Loop: Header=BB1457_130 Depth=1
	s_or_b64 exec, exec, s[36:37]
	s_waitcnt lgkmcnt(0)
	ds_bpermute_b32 v13, v61, v6
	ds_bpermute_b32 v12, v61, v12
	v_and_b32_e32 v65, 1, v7
	v_cmp_eq_u16_sdwa vcc, v7, v11 src0_sel:BYTE_0 src1_sel:DWORD
	v_subrev_u32_e32 v10, 64, v10
	s_waitcnt lgkmcnt(1)
	v_add_f32_e32 v13, v6, v13
	v_cndmask_b32_e32 v13, v6, v13, vcc
	v_cmp_eq_u32_e32 vcc, 1, v65
	s_waitcnt lgkmcnt(0)
	v_cndmask_b32_e64 v12, v12, 1, vcc
	v_cmp_gt_u32_e32 vcc, v63, v9
	v_cndmask_b32_e32 v6, v13, v6, vcc
	v_cndmask_b32_e32 v7, v12, v7, vcc
	v_add_f32_e32 v6, v62, v6
	v_cmp_eq_u16_sdwa vcc, v60, v11 src0_sel:BYTE_0 src1_sel:DWORD
	v_and_b32_e32 v9, 1, v60
	v_cndmask_b32_e32 v6, v62, v6, vcc
	v_and_b32_e32 v7, 1, v7
	v_cmp_eq_u32_e32 vcc, 1, v9
	v_cndmask_b32_e64 v7, v7, 1, vcc
.LBB1457_130:                           ; =>This Loop Header: Depth=1
                                        ;     Child Loop BB1457_133 Depth 2
	v_cmp_ne_u16_sdwa s[36:37], v8, v64 src0_sel:BYTE_0 src1_sel:DWORD
	v_mov_b32_e32 v60, v7
	v_cndmask_b32_e64 v7, 0, 1, s[36:37]
	;;#ASMSTART
	;;#ASMEND
	v_cmp_ne_u32_e32 vcc, 0, v7
	s_cmp_lg_u64 vcc, exec
	v_mov_b32_e32 v62, v6
	s_cbranch_scc1 .LBB1457_145
; %bb.131:                              ;   in Loop: Header=BB1457_130 Depth=1
	v_lshlrev_b64 v[6:7], 4, v[10:11]
	v_mov_b32_e32 v8, s45
	v_add_co_u32_e32 v12, vcc, s44, v6
	v_addc_co_u32_e32 v13, vcc, v8, v7, vcc
	;;#ASMSTART
	global_load_dwordx4 v[6:9], v[12:13] off glc	
s_waitcnt vmcnt(0)
	;;#ASMEND
	v_cmp_eq_u16_sdwa s[38:39], v8, v11 src0_sel:BYTE_0 src1_sel:DWORD
	s_and_saveexec_b64 s[36:37], s[38:39]
	s_cbranch_execz .LBB1457_135
; %bb.132:                              ;   in Loop: Header=BB1457_130 Depth=1
	s_mov_b64 s[38:39], 0
.LBB1457_133:                           ;   Parent Loop BB1457_130 Depth=1
                                        ; =>  This Inner Loop Header: Depth=2
	;;#ASMSTART
	global_load_dwordx4 v[6:9], v[12:13] off glc	
s_waitcnt vmcnt(0)
	;;#ASMEND
	v_cmp_ne_u16_sdwa s[48:49], v8, v11 src0_sel:BYTE_0 src1_sel:DWORD
	s_or_b64 s[38:39], s[48:49], s[38:39]
	s_andn2_b64 exec, exec, s[38:39]
	s_cbranch_execnz .LBB1457_133
; %bb.134:                              ;   in Loop: Header=BB1457_130 Depth=1
	s_or_b64 exec, exec, s[38:39]
.LBB1457_135:                           ;   in Loop: Header=BB1457_130 Depth=1
	s_or_b64 exec, exec, s[36:37]
	v_cmp_eq_u16_sdwa s[36:37], v8, v64 src0_sel:BYTE_0 src1_sel:DWORD
	v_and_b32_e32 v9, s37, v5
	v_and_b32_e32 v12, 0xff, v7
	v_or_b32_e32 v9, 0x80000000, v9
	ds_bpermute_b32 v65, v22, v6
	ds_bpermute_b32 v13, v22, v12
	v_and_b32_e32 v66, s36, v4
	v_ffbl_b32_e32 v9, v9
	v_add_u32_e32 v9, 32, v9
	v_ffbl_b32_e32 v66, v66
	v_min_u32_e32 v9, v66, v9
	v_cmp_lt_u32_e32 vcc, v3, v9
	s_and_saveexec_b64 s[36:37], vcc
	s_cbranch_execz .LBB1457_137
; %bb.136:                              ;   in Loop: Header=BB1457_130 Depth=1
	s_waitcnt lgkmcnt(1)
	v_add_f32_e32 v12, v6, v65
	v_cmp_eq_u16_sdwa vcc, v7, v11 src0_sel:BYTE_0 src1_sel:DWORD
	v_and_b32_e32 v7, 1, v7
	v_cndmask_b32_e32 v6, v6, v12, vcc
	s_waitcnt lgkmcnt(0)
	v_and_b32_e32 v12, 1, v13
	v_cmp_eq_u32_e32 vcc, 1, v7
	v_cndmask_b32_e64 v7, v12, 1, vcc
	v_and_b32_e32 v12, 0xffff, v7
.LBB1457_137:                           ;   in Loop: Header=BB1457_130 Depth=1
	s_or_b64 exec, exec, s[36:37]
	s_waitcnt lgkmcnt(1)
	ds_bpermute_b32 v65, v23, v6
	s_waitcnt lgkmcnt(1)
	ds_bpermute_b32 v13, v23, v12
	v_cmp_le_u32_e32 vcc, v24, v9
	s_and_saveexec_b64 s[36:37], vcc
	s_cbranch_execz .LBB1457_139
; %bb.138:                              ;   in Loop: Header=BB1457_130 Depth=1
	s_waitcnt lgkmcnt(1)
	v_add_f32_e32 v12, v6, v65
	v_cmp_eq_u16_sdwa vcc, v7, v11 src0_sel:BYTE_0 src1_sel:DWORD
	v_and_b32_e32 v7, 1, v7
	v_cndmask_b32_e32 v6, v6, v12, vcc
	s_waitcnt lgkmcnt(0)
	v_and_b32_e32 v12, 1, v13
	v_cmp_eq_u32_e32 vcc, 1, v7
	v_cndmask_b32_e64 v7, v12, 1, vcc
	v_and_b32_e32 v12, 0xffff, v7
.LBB1457_139:                           ;   in Loop: Header=BB1457_130 Depth=1
	s_or_b64 exec, exec, s[36:37]
	s_waitcnt lgkmcnt(1)
	ds_bpermute_b32 v65, v25, v6
	s_waitcnt lgkmcnt(1)
	ds_bpermute_b32 v13, v25, v12
	v_cmp_le_u32_e32 vcc, v55, v9
	;; [unrolled: 20-line block ×4, first 2 shown]
	s_and_saveexec_b64 s[36:37], vcc
	s_cbranch_execz .LBB1457_129
; %bb.144:                              ;   in Loop: Header=BB1457_130 Depth=1
	s_waitcnt lgkmcnt(1)
	v_add_f32_e32 v12, v6, v65
	v_cmp_eq_u16_sdwa vcc, v7, v11 src0_sel:BYTE_0 src1_sel:DWORD
	v_and_b32_e32 v7, 1, v7
	v_cndmask_b32_e32 v6, v6, v12, vcc
	s_waitcnt lgkmcnt(0)
	v_and_b32_e32 v12, 1, v13
	v_cmp_eq_u32_e32 vcc, 1, v7
	v_cndmask_b32_e64 v7, v12, 1, vcc
	v_and_b32_e32 v12, 0xffff, v7
	s_branch .LBB1457_129
.LBB1457_145:                           ;   in Loop: Header=BB1457_130 Depth=1
                                        ; implicit-def: $vgpr7
	s_cbranch_execz .LBB1457_130
; %bb.146:
	s_and_saveexec_b64 s[36:37], s[28:29]
	s_cbranch_execz .LBB1457_148
; %bb.147:
	s_and_b32 s38, s40, 0xff
	s_cmp_eq_u32 s38, 0
	s_cselect_b64 vcc, -1, 0
	s_bitcmp1_b32 s40, 0
	s_mov_b32 s39, 0
	s_cselect_b64 s[40:41], -1, 0
	s_add_i32 s38, s47, 64
	s_lshl_b64 s[38:39], s[38:39], 4
	v_add_f32_e32 v3, v62, v2
	s_add_u32 s38, s44, s38
	v_cndmask_b32_e32 v2, v2, v3, vcc
	v_and_b32_e32 v3, 1, v60
	s_addc_u32 s39, s45, s39
	v_cndmask_b32_e64 v3, v3, 1, s[40:41]
	v_mov_b32_e32 v4, 2
	v_mov_b32_e32 v5, 0
	v_pk_mov_b32 v[6:7], s[38:39], s[38:39] op_sel:[0,1]
	;;#ASMSTART
	global_store_dwordx4 v[6:7], v[2:5] off	
s_waitcnt vmcnt(0)
	;;#ASMEND
.LBB1457_148:
	s_or_b64 exec, exec, s[36:37]
	s_and_b64 exec, exec, s[0:1]
	s_cbranch_execz .LBB1457_150
; %bb.149:
	v_mov_b32_e32 v2, 0
	ds_write_b32 v2, v62 offset:24
	ds_write_b8 v2, v60 offset:28
.LBB1457_150:
	s_or_b64 exec, exec, s[30:31]
	v_mov_b32_e32 v3, 0
	s_waitcnt lgkmcnt(0)
	s_barrier
	ds_read_b32 v2, v3 offset:24
	v_cndmask_b32_e64 v4, v21, v19, s[28:29]
	v_cndmask_b32_e64 v5, v20, v18, s[28:29]
	v_cmp_eq_u32_sdwa vcc, v4, v3 src0_sel:BYTE_0 src1_sel:DWORD
	s_waitcnt lgkmcnt(0)
	v_add_f32_e32 v6, v5, v2
	v_cndmask_b32_e32 v4, v5, v6, vcc
	v_cndmask_b32_e64 v2, v4, v2, s[0:1]
	v_add_f32_e32 v4, v30, v2
	v_cmp_eq_u16_sdwa vcc, v1, v3 src0_sel:BYTE_0 src1_sel:DWORD
	v_cndmask_b32_e32 v3, v30, v4, vcc
	v_add_f32_e32 v4, v28, v3
	v_cndmask_b32_e64 v18, v28, v4, s[4:5]
	v_add_f32_e32 v4, v29, v18
	v_cndmask_b32_e64 v19, v29, v4, s[6:7]
	;; [unrolled: 2-line block ×12, first 2 shown]
	s_branch .LBB1457_189
.LBB1457_151:
	s_or_b64 exec, exec, s[30:31]
                                        ; implicit-def: $vgpr35
	s_and_saveexec_b64 s[30:31], s[4:5]
	s_cbranch_execz .LBB1457_37
.LBB1457_152:
	v_add_co_u32_e32 v36, vcc, v22, v33
	v_addc_co_u32_e32 v37, vcc, 0, v23, vcc
	flat_load_dword v35, v[36:37] offset:1024
	s_or_b64 exec, exec, s[30:31]
                                        ; implicit-def: $vgpr36
	s_and_saveexec_b64 s[4:5], s[6:7]
	s_cbranch_execnz .LBB1457_38
.LBB1457_153:
	s_or_b64 exec, exec, s[4:5]
                                        ; implicit-def: $vgpr37
	s_and_saveexec_b64 s[4:5], s[8:9]
	s_cbranch_execz .LBB1457_39
.LBB1457_154:
	v_add_co_u32_e32 v38, vcc, v22, v33
	v_addc_co_u32_e32 v39, vcc, 0, v23, vcc
	flat_load_dword v37, v[38:39] offset:3072
	s_or_b64 exec, exec, s[4:5]
                                        ; implicit-def: $vgpr38
	s_and_saveexec_b64 s[4:5], s[10:11]
	s_cbranch_execnz .LBB1457_40
.LBB1457_155:
	s_or_b64 exec, exec, s[4:5]
                                        ; implicit-def: $vgpr1
	s_and_saveexec_b64 s[4:5], s[12:13]
	s_cbranch_execz .LBB1457_41
.LBB1457_156:
	v_add_co_u32_e32 v40, vcc, v22, v20
	v_addc_co_u32_e32 v41, vcc, 0, v23, vcc
	flat_load_dword v1, v[40:41]
	s_or_b64 exec, exec, s[4:5]
                                        ; implicit-def: $vgpr20
	s_and_saveexec_b64 s[4:5], s[14:15]
	s_cbranch_execnz .LBB1457_42
.LBB1457_157:
	s_or_b64 exec, exec, s[4:5]
                                        ; implicit-def: $vgpr21
	s_and_saveexec_b64 s[4:5], s[16:17]
	s_cbranch_execz .LBB1457_43
.LBB1457_158:
	v_add_co_u32_e32 v40, vcc, v22, v26
	v_addc_co_u32_e32 v41, vcc, 0, v23, vcc
	flat_load_dword v21, v[40:41]
	s_or_b64 exec, exec, s[4:5]
                                        ; implicit-def: $vgpr26
	s_and_saveexec_b64 s[4:5], s[18:19]
	s_cbranch_execnz .LBB1457_44
.LBB1457_159:
	s_or_b64 exec, exec, s[4:5]
                                        ; implicit-def: $vgpr27
	s_and_saveexec_b64 s[4:5], s[20:21]
	s_cbranch_execz .LBB1457_45
.LBB1457_160:
	v_add_co_u32_e32 v40, vcc, v22, v28
	v_addc_co_u32_e32 v41, vcc, 0, v23, vcc
	flat_load_dword v27, v[40:41]
	s_or_b64 exec, exec, s[4:5]
                                        ; implicit-def: $vgpr28
	s_and_saveexec_b64 s[4:5], s[22:23]
	s_cbranch_execnz .LBB1457_46
.LBB1457_161:
	s_or_b64 exec, exec, s[4:5]
                                        ; implicit-def: $vgpr29
	s_and_saveexec_b64 s[4:5], s[24:25]
	s_cbranch_execz .LBB1457_47
.LBB1457_162:
	v_add_co_u32_e32 v40, vcc, v22, v30
	v_addc_co_u32_e32 v41, vcc, 0, v23, vcc
	flat_load_dword v29, v[40:41]
	s_or_b64 exec, exec, s[4:5]
                                        ; implicit-def: $vgpr30
	s_and_saveexec_b64 s[4:5], s[26:27]
	s_cbranch_execz .LBB1457_49
	s_branch .LBB1457_48
.LBB1457_163:
                                        ; implicit-def: $vgpr25
                                        ; implicit-def: $vgpr23
                                        ; implicit-def: $vgpr21
                                        ; implicit-def: $vgpr19
                                        ; implicit-def: $vgpr10_vgpr11_vgpr12_vgpr13
                                        ; implicit-def: $vgpr6_vgpr7_vgpr8_vgpr9
                                        ; implicit-def: $vgpr2_vgpr3_vgpr4_vgpr5
	s_cbranch_execz .LBB1457_189
; %bb.164:
	s_cmp_lg_u64 s[52:53], 0
	s_cselect_b32 s5, s51, 0
	s_cselect_b32 s4, s50, 0
	s_cmp_eq_u64 s[4:5], 0
	v_mov_b32_e32 v4, s54
	s_cbranch_scc1 .LBB1457_166
; %bb.165:
	v_mov_b32_e32 v2, 0
	global_load_dword v4, v2, s[4:5]
.LBB1457_166:
	v_mov_b32_e32 v2, 0
	v_cmp_eq_u16_sdwa s[4:5], v34, v2 src0_sel:BYTE_0 src1_sel:DWORD
	v_cndmask_b32_e64 v3, v28, v54, s[4:5]
	v_add_f32_e32 v3, v29, v3
	v_cmp_eq_u16_sdwa s[6:7], v37, v2 src0_sel:BYTE_0 src1_sel:DWORD
	v_cndmask_b32_e64 v3, v29, v3, s[6:7]
	v_add_f32_e32 v3, v31, v3
	;; [unrolled: 3-line block ×7, first 2 shown]
	v_cmp_eq_u16_sdwa s[18:19], v47, v2 src0_sel:BYTE_0 src1_sel:DWORD
	v_cmp_eq_u16_sdwa s[20:21], v48, v2 src0_sel:BYTE_0 src1_sel:DWORD
	v_cmp_eq_u16_sdwa s[22:23], v49, v2 src0_sel:BYTE_0 src1_sel:DWORD
	v_cmp_eq_u16_sdwa s[24:25], v50, v2 src0_sel:BYTE_0 src1_sel:DWORD
	v_cmp_eq_u16_sdwa vcc, v40, v2 src0_sel:BYTE_0 src1_sel:DWORD
	v_cmp_eq_u16_sdwa s[26:27], v14, v2 src0_sel:BYTE_0 src1_sel:DWORD
	v_or_b32_e32 v2, v53, v49
	v_cndmask_b32_e64 v3, v36, v3, s[18:19]
	v_or_b32_e32 v2, v2, v48
	v_add_f32_e32 v3, v38, v3
	v_or_b32_e32 v2, v2, v47
	v_cndmask_b32_e64 v3, v38, v3, s[20:21]
	v_or_b32_e32 v2, v2, v46
	v_add_f32_e32 v3, v39, v3
	;; [unrolled: 4-line block ×4, first 2 shown]
	v_or_b32_e32 v2, v2, v37
	v_cndmask_b32_e32 v3, v26, v3, vcc
	v_or_b32_e32 v2, v2, v34
	v_add_f32_e32 v3, v15, v3
	v_and_b32_e32 v2, 1, v2
	v_and_b32_e32 v6, 0xff, v1
	v_cndmask_b32_e64 v5, v15, v3, s[26:27]
	v_cmp_eq_u32_e64 s[26:27], 1, v2
	v_cndmask_b32_e64 v7, v6, 1, s[26:27]
	v_mbcnt_hi_u32_b32 v6, -1, v52
	v_and_b32_e32 v2, 15, v6
	v_mov_b32_dpp v8, v5 row_shr:1 row_mask:0xf bank_mask:0xf
	v_mov_b32_dpp v3, v7 row_shr:1 row_mask:0xf bank_mask:0xf
	v_cmp_ne_u32_e64 s[26:27], 0, v2
	s_and_saveexec_b64 s[28:29], s[26:27]
; %bb.167:
	v_add_f32_e32 v8, v5, v8
	v_cmp_eq_u32_e64 s[26:27], 0, v7
	v_and_b32_e32 v7, 1, v7
	v_cndmask_b32_e64 v5, v5, v8, s[26:27]
	v_and_b32_e32 v3, 1, v3
	v_cmp_eq_u32_e64 s[26:27], 1, v7
	v_cndmask_b32_e64 v7, v3, 1, s[26:27]
; %bb.168:
	s_or_b64 exec, exec, s[28:29]
	v_mov_b32_dpp v8, v5 row_shr:2 row_mask:0xf bank_mask:0xf
	v_mov_b32_dpp v3, v7 row_shr:2 row_mask:0xf bank_mask:0xf
	v_cmp_lt_u32_e64 s[26:27], 1, v2
	s_and_saveexec_b64 s[28:29], s[26:27]
; %bb.169:
	v_add_f32_e32 v8, v5, v8
	v_cmp_eq_u32_e64 s[26:27], 0, v7
	v_and_b32_e32 v7, 1, v7
	v_cndmask_b32_e64 v5, v5, v8, s[26:27]
	v_and_b32_e32 v3, 1, v3
	v_cmp_eq_u32_e64 s[26:27], 1, v7
	v_cndmask_b32_e64 v7, v3, 1, s[26:27]
; %bb.170:
	s_or_b64 exec, exec, s[28:29]
	v_mov_b32_dpp v8, v5 row_shr:4 row_mask:0xf bank_mask:0xf
	v_mov_b32_dpp v3, v7 row_shr:4 row_mask:0xf bank_mask:0xf
	v_cmp_lt_u32_e64 s[26:27], 3, v2
	;; [unrolled: 14-line block ×3, first 2 shown]
	s_and_saveexec_b64 s[28:29], s[26:27]
; %bb.173:
	v_add_f32_e32 v2, v5, v8
	v_cmp_eq_u32_e64 s[26:27], 0, v7
	v_cndmask_b32_e64 v5, v5, v2, s[26:27]
	v_and_b32_e32 v2, 1, v7
	v_and_b32_e32 v3, 1, v3
	v_cmp_eq_u32_e64 s[26:27], 1, v2
	v_cndmask_b32_e64 v7, v3, 1, s[26:27]
; %bb.174:
	s_or_b64 exec, exec, s[28:29]
	v_and_b32_e32 v8, 16, v6
	v_mov_b32_dpp v3, v5 row_bcast:15 row_mask:0xf bank_mask:0xf
	v_mov_b32_dpp v2, v7 row_bcast:15 row_mask:0xf bank_mask:0xf
	v_cmp_ne_u32_e64 s[26:27], 0, v8
	s_and_saveexec_b64 s[28:29], s[26:27]
; %bb.175:
	v_add_f32_e32 v3, v5, v3
	v_cmp_eq_u32_e64 s[26:27], 0, v7
	v_cndmask_b32_e64 v5, v5, v3, s[26:27]
	v_and_b32_e32 v3, 1, v7
	v_and_b32_e32 v2, 1, v2
	v_cmp_eq_u32_e64 s[26:27], 1, v3
	v_cndmask_b32_e64 v7, v2, 1, s[26:27]
; %bb.176:
	s_or_b64 exec, exec, s[28:29]
	v_mov_b32_dpp v3, v5 row_bcast:31 row_mask:0xf bank_mask:0xf
	v_mov_b32_dpp v2, v7 row_bcast:31 row_mask:0xf bank_mask:0xf
	v_cmp_lt_u32_e64 s[26:27], 31, v6
	s_and_saveexec_b64 s[28:29], s[26:27]
; %bb.177:
	v_add_f32_e32 v3, v5, v3
	v_cmp_eq_u32_e64 s[26:27], 0, v7
	v_cndmask_b32_e64 v5, v5, v3, s[26:27]
	v_and_b32_e32 v3, 1, v7
	v_and_b32_e32 v2, 1, v2
	v_cmp_eq_u32_e64 s[26:27], 1, v3
	v_cndmask_b32_e64 v7, v2, 1, s[26:27]
; %bb.178:
	s_or_b64 exec, exec, s[28:29]
	v_or_b32_e32 v2, 63, v0
	v_lshrrev_b32_e32 v8, 6, v0
	v_cmp_eq_u32_e64 s[26:27], v2, v0
	s_and_saveexec_b64 s[28:29], s[26:27]
	s_cbranch_execz .LBB1457_180
; %bb.179:
	v_lshlrev_b32_e32 v2, 3, v8
	ds_write_b32 v2, v5
	ds_write_b8 v2, v7 offset:4
.LBB1457_180:
	s_or_b64 exec, exec, s[28:29]
	v_cmp_gt_u32_e64 s[26:27], 4, v0
	s_waitcnt lgkmcnt(0)
	s_barrier
	s_and_saveexec_b64 s[28:29], s[26:27]
	s_cbranch_execz .LBB1457_184
; %bb.181:
	v_lshlrev_b32_e32 v9, 3, v0
	ds_read_b64 v[2:3], v9
	v_and_b32_e32 v10, 3, v6
	v_cmp_ne_u32_e64 s[26:27], 0, v10
	s_waitcnt lgkmcnt(0)
	v_mov_b32_dpp v13, v2 row_shr:1 row_mask:0xf bank_mask:0xf
	v_mov_b32_dpp v12, v3 row_shr:1 row_mask:0xf bank_mask:0xf
	v_mov_b32_e32 v11, v3
	s_and_saveexec_b64 s[30:31], s[26:27]
; %bb.182:
	v_mov_b32_e32 v11, 0
	v_add_f32_e32 v13, v2, v13
	v_cmp_eq_u16_sdwa s[26:27], v3, v11 src0_sel:BYTE_0 src1_sel:DWORD
	v_and_b32_e32 v11, 1, v3
	v_cndmask_b32_e64 v2, v2, v13, s[26:27]
	v_and_b32_e32 v12, 1, v12
	v_cmp_eq_u32_e64 s[26:27], 1, v11
	v_cndmask_b32_e64 v11, v12, 1, s[26:27]
	s_movk_i32 s26, 0xff00
	v_and_or_b32 v3, v3, s26, v11
; %bb.183:
	s_or_b64 exec, exec, s[30:31]
	v_mov_b32_e32 v14, 0
	v_mov_b32_dpp v13, v3 row_shr:2 row_mask:0xf bank_mask:0xf
	v_cmp_eq_u16_sdwa s[30:31], v11, v14 src0_sel:BYTE_0 src1_sel:DWORD
	v_and_b32_e32 v11, 1, v11
	v_and_b32_e32 v13, 1, v13
	v_cmp_eq_u32_e64 s[26:27], 1, v11
	v_mov_b32_dpp v12, v2 row_shr:2 row_mask:0xf bank_mask:0xf
	v_cndmask_b32_e64 v11, v13, 1, s[26:27]
	v_cmp_lt_u32_e64 s[26:27], 1, v10
	v_add_f32_e32 v12, v2, v12
	v_cndmask_b32_e64 v3, v3, v11, s[26:27]
	s_and_b64 s[26:27], s[26:27], s[30:31]
	v_cndmask_b32_e64 v2, v2, v12, s[26:27]
	ds_write_b32 v9, v2
	ds_write_b8 v9, v3 offset:4
.LBB1457_184:
	s_or_b64 exec, exec, s[28:29]
	v_cmp_lt_u32_e64 s[26:27], 63, v0
	s_waitcnt vmcnt(0)
	v_mov_b32_e32 v2, v4
	s_waitcnt lgkmcnt(0)
	s_barrier
	s_and_saveexec_b64 s[28:29], s[26:27]
	s_cbranch_execz .LBB1457_186
; %bb.185:
	v_lshl_add_u32 v2, v8, 3, -8
	ds_read_b32 v3, v2
	ds_read_u8 v2, v2 offset:4
	s_waitcnt lgkmcnt(1)
	v_add_f32_e32 v8, v4, v3
	s_waitcnt lgkmcnt(0)
	v_cmp_eq_u16_e64 s[26:27], 0, v2
	v_cndmask_b32_e64 v2, v3, v8, s[26:27]
.LBB1457_186:
	s_or_b64 exec, exec, s[28:29]
	v_add_f32_e32 v3, v5, v2
	v_cmp_eq_u32_e64 s[26:27], 0, v7
	v_cndmask_b32_e64 v3, v5, v3, s[26:27]
	v_add_u32_e32 v5, -1, v6
	v_and_b32_e32 v7, 64, v6
	v_cmp_lt_i32_e64 s[26:27], v5, v7
	v_cndmask_b32_e64 v5, v5, v6, s[26:27]
	v_lshlrev_b32_e32 v5, 2, v5
	ds_bpermute_b32 v3, v5, v3
	v_cmp_eq_u32_e64 s[26:27], 0, v6
	v_mov_b32_e32 v15, 0
	s_waitcnt lgkmcnt(0)
	v_cndmask_b32_e64 v2, v3, v2, s[26:27]
	v_cndmask_b32_e64 v3, v2, v4, s[0:1]
	v_add_f32_e32 v3, v30, v3
	v_cmp_eq_u16_sdwa s[26:27], v1, v15 src0_sel:BYTE_0 src1_sel:DWORD
	v_cndmask_b32_e64 v3, v30, v3, s[26:27]
	v_add_f32_e32 v1, v28, v3
	v_cndmask_b32_e64 v18, v28, v1, s[4:5]
	v_add_f32_e32 v1, v29, v18
	;; [unrolled: 2-line block ×12, first 2 shown]
	s_and_saveexec_b64 s[4:5], s[0:1]
	s_cbranch_execz .LBB1457_188
; %bb.187:
	ds_read_b32 v2, v15 offset:24
	ds_read_u8 v5, v15 offset:28
	s_add_u32 s6, s44, 0x400
	s_addc_u32 s7, s45, 0
	v_mov_b32_e32 v14, 2
	s_waitcnt lgkmcnt(1)
	v_add_f32_e32 v8, v4, v2
	s_waitcnt lgkmcnt(0)
	v_cmp_eq_u16_e64 s[0:1], 0, v5
	v_cndmask_b32_e64 v12, v2, v8, s[0:1]
	v_and_b32_e32 v13, 0xffff, v5
	v_pk_mov_b32 v[8:9], s[6:7], s[6:7] op_sel:[0,1]
	;;#ASMSTART
	global_store_dwordx4 v[8:9], v[12:15] off	
s_waitcnt vmcnt(0)
	;;#ASMEND
	v_mov_b32_e32 v2, v4
.LBB1457_188:
	s_or_b64 exec, exec, s[4:5]
	v_cndmask_b32_e32 v25, v26, v1, vcc
.LBB1457_189:
	s_add_u32 s0, s42, s34
	s_addc_u32 s1, s43, s35
	v_mov_b32_e32 v1, s1
	v_add_co_u32_e32 v32, vcc, s0, v16
	v_addc_co_u32_e32 v33, vcc, v1, v17, vcc
	v_mul_u32_u24_e32 v1, 14, v0
	s_and_b64 vcc, exec, s[2:3]
	v_lshlrev_b32_e32 v4, 2, v1
	s_cbranch_vccz .LBB1457_217
; %bb.190:
	s_movk_i32 s0, 0xffcc
	v_mad_i32_i24 v5, v0, s0, v4
	s_barrier
	ds_write2_b64 v4, v[2:3], v[18:19] offset1:1
	ds_write2_b64 v4, v[6:7], v[20:21] offset0:2 offset1:3
	ds_write2_b64 v4, v[10:11], v[22:23] offset0:4 offset1:5
	ds_write_b64 v4, v[24:25] offset:48
	s_waitcnt lgkmcnt(0)
	s_barrier
	ds_read2st64_b32 v[30:31], v5 offset0:4 offset1:8
	ds_read2st64_b32 v[28:29], v5 offset0:12 offset1:16
	ds_read2st64_b32 v[26:27], v5 offset0:20 offset1:24
	ds_read2st64_b32 v[16:17], v5 offset0:28 offset1:32
	ds_read2st64_b32 v[14:15], v5 offset0:36 offset1:40
	ds_read2st64_b32 v[8:9], v5 offset0:44 offset1:48
	ds_read_b32 v5, v5 offset:13312
	v_add_co_u32_e32 v12, vcc, v32, v51
	s_add_i32 s33, s33, s46
	v_addc_co_u32_e32 v13, vcc, 0, v33, vcc
	v_mov_b32_e32 v1, 0
	v_cmp_gt_u32_e32 vcc, s33, v0
	s_and_saveexec_b64 s[0:1], vcc
	s_cbranch_execz .LBB1457_192
; %bb.191:
	v_mul_i32_i24_e32 v34, 0xffffffcc, v0
	v_add_u32_e32 v34, v4, v34
	ds_read_b32 v34, v34
	s_waitcnt lgkmcnt(0)
	flat_store_dword v[12:13], v34
.LBB1457_192:
	s_or_b64 exec, exec, s[0:1]
	v_or_b32_e32 v34, 0x100, v0
	v_cmp_gt_u32_e32 vcc, s33, v34
	s_and_saveexec_b64 s[0:1], vcc
	s_cbranch_execz .LBB1457_194
; %bb.193:
	s_waitcnt lgkmcnt(0)
	flat_store_dword v[12:13], v30 offset:1024
.LBB1457_194:
	s_or_b64 exec, exec, s[0:1]
	s_waitcnt lgkmcnt(0)
	v_or_b32_e32 v30, 0x200, v0
	v_cmp_gt_u32_e32 vcc, s33, v30
	s_and_saveexec_b64 s[0:1], vcc
	s_cbranch_execz .LBB1457_196
; %bb.195:
	flat_store_dword v[12:13], v31 offset:2048
.LBB1457_196:
	s_or_b64 exec, exec, s[0:1]
	v_or_b32_e32 v30, 0x300, v0
	v_cmp_gt_u32_e32 vcc, s33, v30
	s_and_saveexec_b64 s[0:1], vcc
	s_cbranch_execz .LBB1457_198
; %bb.197:
	flat_store_dword v[12:13], v28 offset:3072
.LBB1457_198:
	s_or_b64 exec, exec, s[0:1]
	v_or_b32_e32 v28, 0x400, v0
	v_cmp_gt_u32_e32 vcc, s33, v28
	s_and_saveexec_b64 s[0:1], vcc
	s_cbranch_execz .LBB1457_200
; %bb.199:
	v_add_co_u32_e32 v30, vcc, 0x1000, v12
	v_addc_co_u32_e32 v31, vcc, 0, v13, vcc
	flat_store_dword v[30:31], v29
.LBB1457_200:
	s_or_b64 exec, exec, s[0:1]
	v_or_b32_e32 v28, 0x500, v0
	v_cmp_gt_u32_e32 vcc, s33, v28
	s_and_saveexec_b64 s[0:1], vcc
	s_cbranch_execz .LBB1457_202
; %bb.201:
	v_add_co_u32_e32 v28, vcc, 0x1000, v12
	v_addc_co_u32_e32 v29, vcc, 0, v13, vcc
	flat_store_dword v[28:29], v26 offset:1024
.LBB1457_202:
	s_or_b64 exec, exec, s[0:1]
	v_or_b32_e32 v26, 0x600, v0
	v_cmp_gt_u32_e32 vcc, s33, v26
	s_and_saveexec_b64 s[0:1], vcc
	s_cbranch_execz .LBB1457_204
; %bb.203:
	v_add_co_u32_e32 v28, vcc, 0x1000, v12
	v_addc_co_u32_e32 v29, vcc, 0, v13, vcc
	flat_store_dword v[28:29], v27 offset:2048
.LBB1457_204:
	;; [unrolled: 10-line block ×3, first 2 shown]
	s_or_b64 exec, exec, s[0:1]
	v_or_b32_e32 v16, 0x800, v0
	v_cmp_gt_u32_e32 vcc, s33, v16
	s_and_saveexec_b64 s[0:1], vcc
	s_cbranch_execz .LBB1457_208
; %bb.207:
	v_add_co_u32_e32 v26, vcc, 0x2000, v12
	v_addc_co_u32_e32 v27, vcc, 0, v13, vcc
	flat_store_dword v[26:27], v17
.LBB1457_208:
	s_or_b64 exec, exec, s[0:1]
	v_or_b32_e32 v16, 0x900, v0
	v_cmp_gt_u32_e32 vcc, s33, v16
	s_and_saveexec_b64 s[0:1], vcc
	s_cbranch_execz .LBB1457_210
; %bb.209:
	v_add_co_u32_e32 v16, vcc, 0x2000, v12
	v_addc_co_u32_e32 v17, vcc, 0, v13, vcc
	flat_store_dword v[16:17], v14 offset:1024
.LBB1457_210:
	s_or_b64 exec, exec, s[0:1]
	v_or_b32_e32 v14, 0xa00, v0
	v_cmp_gt_u32_e32 vcc, s33, v14
	s_and_saveexec_b64 s[0:1], vcc
	s_cbranch_execz .LBB1457_212
; %bb.211:
	v_add_co_u32_e32 v16, vcc, 0x2000, v12
	v_addc_co_u32_e32 v17, vcc, 0, v13, vcc
	flat_store_dword v[16:17], v15 offset:2048
.LBB1457_212:
	;; [unrolled: 10-line block ×3, first 2 shown]
	s_or_b64 exec, exec, s[0:1]
	v_or_b32_e32 v8, 0xc00, v0
	v_cmp_gt_u32_e32 vcc, s33, v8
	s_and_saveexec_b64 s[0:1], vcc
	s_cbranch_execz .LBB1457_216
; %bb.215:
	v_add_co_u32_e32 v12, vcc, 0x3000, v12
	v_addc_co_u32_e32 v13, vcc, 0, v13, vcc
	flat_store_dword v[12:13], v9
.LBB1457_216:
	s_or_b64 exec, exec, s[0:1]
	v_or_b32_e32 v8, 0xd00, v0
	v_cmp_gt_u32_e64 s[0:1], s33, v8
	s_branch .LBB1457_219
.LBB1457_217:
	s_mov_b64 s[0:1], 0
                                        ; implicit-def: $vgpr5
	s_cbranch_execz .LBB1457_219
; %bb.218:
	s_movk_i32 s2, 0xffcc
	s_waitcnt lgkmcnt(0)
	s_barrier
	ds_write2_b64 v4, v[2:3], v[18:19] offset1:1
	ds_write2_b64 v4, v[6:7], v[20:21] offset0:2 offset1:3
	ds_write2_b64 v4, v[10:11], v[22:23] offset0:4 offset1:5
	ds_write_b64 v4, v[24:25] offset:48
	v_mad_i32_i24 v4, v0, s2, v4
	v_add_co_u32_e32 v16, vcc, v32, v51
	s_waitcnt lgkmcnt(0)
	s_barrier
	ds_read2st64_b32 v[2:3], v4 offset1:4
	ds_read2st64_b32 v[6:7], v4 offset0:8 offset1:12
	ds_read2st64_b32 v[8:9], v4 offset0:16 offset1:20
	;; [unrolled: 1-line block ×6, first 2 shown]
	v_addc_co_u32_e32 v17, vcc, 0, v33, vcc
	s_movk_i32 s2, 0x1000
	s_waitcnt lgkmcnt(0)
	flat_store_dword v[16:17], v2
	flat_store_dword v[16:17], v3 offset:1024
	flat_store_dword v[16:17], v6 offset:2048
	;; [unrolled: 1-line block ×3, first 2 shown]
	v_add_co_u32_e32 v2, vcc, s2, v16
	v_addc_co_u32_e32 v3, vcc, 0, v17, vcc
	flat_store_dword v[2:3], v8
	flat_store_dword v[2:3], v9 offset:1024
	flat_store_dword v[2:3], v10 offset:2048
	;; [unrolled: 1-line block ×3, first 2 shown]
	v_add_co_u32_e32 v2, vcc, 0x2000, v16
	v_addc_co_u32_e32 v3, vcc, 0, v17, vcc
	flat_store_dword v[2:3], v12
	flat_store_dword v[2:3], v13 offset:1024
	flat_store_dword v[2:3], v14 offset:2048
	;; [unrolled: 1-line block ×3, first 2 shown]
	v_add_co_u32_e32 v2, vcc, 0x3000, v16
	v_mov_b32_e32 v1, 0
	v_addc_co_u32_e32 v3, vcc, 0, v17, vcc
	s_or_b64 s[0:1], s[0:1], exec
	flat_store_dword v[2:3], v4
.LBB1457_219:
	s_and_saveexec_b64 s[2:3], s[0:1]
	s_cbranch_execz .LBB1457_221
; %bb.220:
	v_lshlrev_b64 v[0:1], 2, v[0:1]
	v_add_co_u32_e32 v0, vcc, v32, v0
	v_addc_co_u32_e32 v1, vcc, v33, v1, vcc
	v_add_co_u32_e32 v0, vcc, 0x3000, v0
	v_addc_co_u32_e32 v1, vcc, 0, v1, vcc
	flat_store_dword v[0:1], v5 offset:1024
	s_endpgm
.LBB1457_221:
	s_endpgm
	.section	.rodata,"a",@progbits
	.p2align	6, 0x0
	.amdhsa_kernel _ZN7rocprim17ROCPRIM_400000_NS6detail17trampoline_kernelINS0_14default_configENS1_27scan_by_key_config_selectorIifEEZZNS1_16scan_by_key_implILNS1_25lookback_scan_determinismE0ELb1ES3_N6thrust23THRUST_200600_302600_NS6detail15normal_iteratorINS9_10device_ptrIiEEEENSB_INSC_IfEEEESG_fNS9_4plusIvEENS9_8equal_toIvEEfEE10hipError_tPvRmT2_T3_T4_T5_mT6_T7_P12ihipStream_tbENKUlT_T0_E_clISt17integral_constantIbLb0EES10_IbLb1EEEEDaSW_SX_EUlSW_E_NS1_11comp_targetILNS1_3genE4ELNS1_11target_archE910ELNS1_3gpuE8ELNS1_3repE0EEENS1_30default_config_static_selectorELNS0_4arch9wavefront6targetE1EEEvT1_
		.amdhsa_group_segment_fixed_size 16384
		.amdhsa_private_segment_fixed_size 0
		.amdhsa_kernarg_size 112
		.amdhsa_user_sgpr_count 6
		.amdhsa_user_sgpr_private_segment_buffer 1
		.amdhsa_user_sgpr_dispatch_ptr 0
		.amdhsa_user_sgpr_queue_ptr 0
		.amdhsa_user_sgpr_kernarg_segment_ptr 1
		.amdhsa_user_sgpr_dispatch_id 0
		.amdhsa_user_sgpr_flat_scratch_init 0
		.amdhsa_user_sgpr_kernarg_preload_length 0
		.amdhsa_user_sgpr_kernarg_preload_offset 0
		.amdhsa_user_sgpr_private_segment_size 0
		.amdhsa_uses_dynamic_stack 0
		.amdhsa_system_sgpr_private_segment_wavefront_offset 0
		.amdhsa_system_sgpr_workgroup_id_x 1
		.amdhsa_system_sgpr_workgroup_id_y 0
		.amdhsa_system_sgpr_workgroup_id_z 0
		.amdhsa_system_sgpr_workgroup_info 0
		.amdhsa_system_vgpr_workitem_id 0
		.amdhsa_next_free_vgpr 67
		.amdhsa_next_free_sgpr 60
		.amdhsa_accum_offset 68
		.amdhsa_reserve_vcc 1
		.amdhsa_reserve_flat_scratch 0
		.amdhsa_float_round_mode_32 0
		.amdhsa_float_round_mode_16_64 0
		.amdhsa_float_denorm_mode_32 3
		.amdhsa_float_denorm_mode_16_64 3
		.amdhsa_dx10_clamp 1
		.amdhsa_ieee_mode 1
		.amdhsa_fp16_overflow 0
		.amdhsa_tg_split 0
		.amdhsa_exception_fp_ieee_invalid_op 0
		.amdhsa_exception_fp_denorm_src 0
		.amdhsa_exception_fp_ieee_div_zero 0
		.amdhsa_exception_fp_ieee_overflow 0
		.amdhsa_exception_fp_ieee_underflow 0
		.amdhsa_exception_fp_ieee_inexact 0
		.amdhsa_exception_int_div_zero 0
	.end_amdhsa_kernel
	.section	.text._ZN7rocprim17ROCPRIM_400000_NS6detail17trampoline_kernelINS0_14default_configENS1_27scan_by_key_config_selectorIifEEZZNS1_16scan_by_key_implILNS1_25lookback_scan_determinismE0ELb1ES3_N6thrust23THRUST_200600_302600_NS6detail15normal_iteratorINS9_10device_ptrIiEEEENSB_INSC_IfEEEESG_fNS9_4plusIvEENS9_8equal_toIvEEfEE10hipError_tPvRmT2_T3_T4_T5_mT6_T7_P12ihipStream_tbENKUlT_T0_E_clISt17integral_constantIbLb0EES10_IbLb1EEEEDaSW_SX_EUlSW_E_NS1_11comp_targetILNS1_3genE4ELNS1_11target_archE910ELNS1_3gpuE8ELNS1_3repE0EEENS1_30default_config_static_selectorELNS0_4arch9wavefront6targetE1EEEvT1_,"axG",@progbits,_ZN7rocprim17ROCPRIM_400000_NS6detail17trampoline_kernelINS0_14default_configENS1_27scan_by_key_config_selectorIifEEZZNS1_16scan_by_key_implILNS1_25lookback_scan_determinismE0ELb1ES3_N6thrust23THRUST_200600_302600_NS6detail15normal_iteratorINS9_10device_ptrIiEEEENSB_INSC_IfEEEESG_fNS9_4plusIvEENS9_8equal_toIvEEfEE10hipError_tPvRmT2_T3_T4_T5_mT6_T7_P12ihipStream_tbENKUlT_T0_E_clISt17integral_constantIbLb0EES10_IbLb1EEEEDaSW_SX_EUlSW_E_NS1_11comp_targetILNS1_3genE4ELNS1_11target_archE910ELNS1_3gpuE8ELNS1_3repE0EEENS1_30default_config_static_selectorELNS0_4arch9wavefront6targetE1EEEvT1_,comdat
.Lfunc_end1457:
	.size	_ZN7rocprim17ROCPRIM_400000_NS6detail17trampoline_kernelINS0_14default_configENS1_27scan_by_key_config_selectorIifEEZZNS1_16scan_by_key_implILNS1_25lookback_scan_determinismE0ELb1ES3_N6thrust23THRUST_200600_302600_NS6detail15normal_iteratorINS9_10device_ptrIiEEEENSB_INSC_IfEEEESG_fNS9_4plusIvEENS9_8equal_toIvEEfEE10hipError_tPvRmT2_T3_T4_T5_mT6_T7_P12ihipStream_tbENKUlT_T0_E_clISt17integral_constantIbLb0EES10_IbLb1EEEEDaSW_SX_EUlSW_E_NS1_11comp_targetILNS1_3genE4ELNS1_11target_archE910ELNS1_3gpuE8ELNS1_3repE0EEENS1_30default_config_static_selectorELNS0_4arch9wavefront6targetE1EEEvT1_, .Lfunc_end1457-_ZN7rocprim17ROCPRIM_400000_NS6detail17trampoline_kernelINS0_14default_configENS1_27scan_by_key_config_selectorIifEEZZNS1_16scan_by_key_implILNS1_25lookback_scan_determinismE0ELb1ES3_N6thrust23THRUST_200600_302600_NS6detail15normal_iteratorINS9_10device_ptrIiEEEENSB_INSC_IfEEEESG_fNS9_4plusIvEENS9_8equal_toIvEEfEE10hipError_tPvRmT2_T3_T4_T5_mT6_T7_P12ihipStream_tbENKUlT_T0_E_clISt17integral_constantIbLb0EES10_IbLb1EEEEDaSW_SX_EUlSW_E_NS1_11comp_targetILNS1_3genE4ELNS1_11target_archE910ELNS1_3gpuE8ELNS1_3repE0EEENS1_30default_config_static_selectorELNS0_4arch9wavefront6targetE1EEEvT1_
                                        ; -- End function
	.section	.AMDGPU.csdata,"",@progbits
; Kernel info:
; codeLenInByte = 10528
; NumSgprs: 64
; NumVgprs: 67
; NumAgprs: 0
; TotalNumVgprs: 67
; ScratchSize: 0
; MemoryBound: 0
; FloatMode: 240
; IeeeMode: 1
; LDSByteSize: 16384 bytes/workgroup (compile time only)
; SGPRBlocks: 7
; VGPRBlocks: 8
; NumSGPRsForWavesPerEU: 64
; NumVGPRsForWavesPerEU: 67
; AccumOffset: 68
; Occupancy: 4
; WaveLimiterHint : 1
; COMPUTE_PGM_RSRC2:SCRATCH_EN: 0
; COMPUTE_PGM_RSRC2:USER_SGPR: 6
; COMPUTE_PGM_RSRC2:TRAP_HANDLER: 0
; COMPUTE_PGM_RSRC2:TGID_X_EN: 1
; COMPUTE_PGM_RSRC2:TGID_Y_EN: 0
; COMPUTE_PGM_RSRC2:TGID_Z_EN: 0
; COMPUTE_PGM_RSRC2:TIDIG_COMP_CNT: 0
; COMPUTE_PGM_RSRC3_GFX90A:ACCUM_OFFSET: 16
; COMPUTE_PGM_RSRC3_GFX90A:TG_SPLIT: 0
	.section	.text._ZN7rocprim17ROCPRIM_400000_NS6detail17trampoline_kernelINS0_14default_configENS1_27scan_by_key_config_selectorIifEEZZNS1_16scan_by_key_implILNS1_25lookback_scan_determinismE0ELb1ES3_N6thrust23THRUST_200600_302600_NS6detail15normal_iteratorINS9_10device_ptrIiEEEENSB_INSC_IfEEEESG_fNS9_4plusIvEENS9_8equal_toIvEEfEE10hipError_tPvRmT2_T3_T4_T5_mT6_T7_P12ihipStream_tbENKUlT_T0_E_clISt17integral_constantIbLb0EES10_IbLb1EEEEDaSW_SX_EUlSW_E_NS1_11comp_targetILNS1_3genE3ELNS1_11target_archE908ELNS1_3gpuE7ELNS1_3repE0EEENS1_30default_config_static_selectorELNS0_4arch9wavefront6targetE1EEEvT1_,"axG",@progbits,_ZN7rocprim17ROCPRIM_400000_NS6detail17trampoline_kernelINS0_14default_configENS1_27scan_by_key_config_selectorIifEEZZNS1_16scan_by_key_implILNS1_25lookback_scan_determinismE0ELb1ES3_N6thrust23THRUST_200600_302600_NS6detail15normal_iteratorINS9_10device_ptrIiEEEENSB_INSC_IfEEEESG_fNS9_4plusIvEENS9_8equal_toIvEEfEE10hipError_tPvRmT2_T3_T4_T5_mT6_T7_P12ihipStream_tbENKUlT_T0_E_clISt17integral_constantIbLb0EES10_IbLb1EEEEDaSW_SX_EUlSW_E_NS1_11comp_targetILNS1_3genE3ELNS1_11target_archE908ELNS1_3gpuE7ELNS1_3repE0EEENS1_30default_config_static_selectorELNS0_4arch9wavefront6targetE1EEEvT1_,comdat
	.protected	_ZN7rocprim17ROCPRIM_400000_NS6detail17trampoline_kernelINS0_14default_configENS1_27scan_by_key_config_selectorIifEEZZNS1_16scan_by_key_implILNS1_25lookback_scan_determinismE0ELb1ES3_N6thrust23THRUST_200600_302600_NS6detail15normal_iteratorINS9_10device_ptrIiEEEENSB_INSC_IfEEEESG_fNS9_4plusIvEENS9_8equal_toIvEEfEE10hipError_tPvRmT2_T3_T4_T5_mT6_T7_P12ihipStream_tbENKUlT_T0_E_clISt17integral_constantIbLb0EES10_IbLb1EEEEDaSW_SX_EUlSW_E_NS1_11comp_targetILNS1_3genE3ELNS1_11target_archE908ELNS1_3gpuE7ELNS1_3repE0EEENS1_30default_config_static_selectorELNS0_4arch9wavefront6targetE1EEEvT1_ ; -- Begin function _ZN7rocprim17ROCPRIM_400000_NS6detail17trampoline_kernelINS0_14default_configENS1_27scan_by_key_config_selectorIifEEZZNS1_16scan_by_key_implILNS1_25lookback_scan_determinismE0ELb1ES3_N6thrust23THRUST_200600_302600_NS6detail15normal_iteratorINS9_10device_ptrIiEEEENSB_INSC_IfEEEESG_fNS9_4plusIvEENS9_8equal_toIvEEfEE10hipError_tPvRmT2_T3_T4_T5_mT6_T7_P12ihipStream_tbENKUlT_T0_E_clISt17integral_constantIbLb0EES10_IbLb1EEEEDaSW_SX_EUlSW_E_NS1_11comp_targetILNS1_3genE3ELNS1_11target_archE908ELNS1_3gpuE7ELNS1_3repE0EEENS1_30default_config_static_selectorELNS0_4arch9wavefront6targetE1EEEvT1_
	.globl	_ZN7rocprim17ROCPRIM_400000_NS6detail17trampoline_kernelINS0_14default_configENS1_27scan_by_key_config_selectorIifEEZZNS1_16scan_by_key_implILNS1_25lookback_scan_determinismE0ELb1ES3_N6thrust23THRUST_200600_302600_NS6detail15normal_iteratorINS9_10device_ptrIiEEEENSB_INSC_IfEEEESG_fNS9_4plusIvEENS9_8equal_toIvEEfEE10hipError_tPvRmT2_T3_T4_T5_mT6_T7_P12ihipStream_tbENKUlT_T0_E_clISt17integral_constantIbLb0EES10_IbLb1EEEEDaSW_SX_EUlSW_E_NS1_11comp_targetILNS1_3genE3ELNS1_11target_archE908ELNS1_3gpuE7ELNS1_3repE0EEENS1_30default_config_static_selectorELNS0_4arch9wavefront6targetE1EEEvT1_
	.p2align	8
	.type	_ZN7rocprim17ROCPRIM_400000_NS6detail17trampoline_kernelINS0_14default_configENS1_27scan_by_key_config_selectorIifEEZZNS1_16scan_by_key_implILNS1_25lookback_scan_determinismE0ELb1ES3_N6thrust23THRUST_200600_302600_NS6detail15normal_iteratorINS9_10device_ptrIiEEEENSB_INSC_IfEEEESG_fNS9_4plusIvEENS9_8equal_toIvEEfEE10hipError_tPvRmT2_T3_T4_T5_mT6_T7_P12ihipStream_tbENKUlT_T0_E_clISt17integral_constantIbLb0EES10_IbLb1EEEEDaSW_SX_EUlSW_E_NS1_11comp_targetILNS1_3genE3ELNS1_11target_archE908ELNS1_3gpuE7ELNS1_3repE0EEENS1_30default_config_static_selectorELNS0_4arch9wavefront6targetE1EEEvT1_,@function
_ZN7rocprim17ROCPRIM_400000_NS6detail17trampoline_kernelINS0_14default_configENS1_27scan_by_key_config_selectorIifEEZZNS1_16scan_by_key_implILNS1_25lookback_scan_determinismE0ELb1ES3_N6thrust23THRUST_200600_302600_NS6detail15normal_iteratorINS9_10device_ptrIiEEEENSB_INSC_IfEEEESG_fNS9_4plusIvEENS9_8equal_toIvEEfEE10hipError_tPvRmT2_T3_T4_T5_mT6_T7_P12ihipStream_tbENKUlT_T0_E_clISt17integral_constantIbLb0EES10_IbLb1EEEEDaSW_SX_EUlSW_E_NS1_11comp_targetILNS1_3genE3ELNS1_11target_archE908ELNS1_3gpuE7ELNS1_3repE0EEENS1_30default_config_static_selectorELNS0_4arch9wavefront6targetE1EEEvT1_: ; @_ZN7rocprim17ROCPRIM_400000_NS6detail17trampoline_kernelINS0_14default_configENS1_27scan_by_key_config_selectorIifEEZZNS1_16scan_by_key_implILNS1_25lookback_scan_determinismE0ELb1ES3_N6thrust23THRUST_200600_302600_NS6detail15normal_iteratorINS9_10device_ptrIiEEEENSB_INSC_IfEEEESG_fNS9_4plusIvEENS9_8equal_toIvEEfEE10hipError_tPvRmT2_T3_T4_T5_mT6_T7_P12ihipStream_tbENKUlT_T0_E_clISt17integral_constantIbLb0EES10_IbLb1EEEEDaSW_SX_EUlSW_E_NS1_11comp_targetILNS1_3genE3ELNS1_11target_archE908ELNS1_3gpuE7ELNS1_3repE0EEENS1_30default_config_static_selectorELNS0_4arch9wavefront6targetE1EEEvT1_
; %bb.0:
	.section	.rodata,"a",@progbits
	.p2align	6, 0x0
	.amdhsa_kernel _ZN7rocprim17ROCPRIM_400000_NS6detail17trampoline_kernelINS0_14default_configENS1_27scan_by_key_config_selectorIifEEZZNS1_16scan_by_key_implILNS1_25lookback_scan_determinismE0ELb1ES3_N6thrust23THRUST_200600_302600_NS6detail15normal_iteratorINS9_10device_ptrIiEEEENSB_INSC_IfEEEESG_fNS9_4plusIvEENS9_8equal_toIvEEfEE10hipError_tPvRmT2_T3_T4_T5_mT6_T7_P12ihipStream_tbENKUlT_T0_E_clISt17integral_constantIbLb0EES10_IbLb1EEEEDaSW_SX_EUlSW_E_NS1_11comp_targetILNS1_3genE3ELNS1_11target_archE908ELNS1_3gpuE7ELNS1_3repE0EEENS1_30default_config_static_selectorELNS0_4arch9wavefront6targetE1EEEvT1_
		.amdhsa_group_segment_fixed_size 0
		.amdhsa_private_segment_fixed_size 0
		.amdhsa_kernarg_size 112
		.amdhsa_user_sgpr_count 6
		.amdhsa_user_sgpr_private_segment_buffer 1
		.amdhsa_user_sgpr_dispatch_ptr 0
		.amdhsa_user_sgpr_queue_ptr 0
		.amdhsa_user_sgpr_kernarg_segment_ptr 1
		.amdhsa_user_sgpr_dispatch_id 0
		.amdhsa_user_sgpr_flat_scratch_init 0
		.amdhsa_user_sgpr_kernarg_preload_length 0
		.amdhsa_user_sgpr_kernarg_preload_offset 0
		.amdhsa_user_sgpr_private_segment_size 0
		.amdhsa_uses_dynamic_stack 0
		.amdhsa_system_sgpr_private_segment_wavefront_offset 0
		.amdhsa_system_sgpr_workgroup_id_x 1
		.amdhsa_system_sgpr_workgroup_id_y 0
		.amdhsa_system_sgpr_workgroup_id_z 0
		.amdhsa_system_sgpr_workgroup_info 0
		.amdhsa_system_vgpr_workitem_id 0
		.amdhsa_next_free_vgpr 1
		.amdhsa_next_free_sgpr 0
		.amdhsa_accum_offset 4
		.amdhsa_reserve_vcc 0
		.amdhsa_reserve_flat_scratch 0
		.amdhsa_float_round_mode_32 0
		.amdhsa_float_round_mode_16_64 0
		.amdhsa_float_denorm_mode_32 3
		.amdhsa_float_denorm_mode_16_64 3
		.amdhsa_dx10_clamp 1
		.amdhsa_ieee_mode 1
		.amdhsa_fp16_overflow 0
		.amdhsa_tg_split 0
		.amdhsa_exception_fp_ieee_invalid_op 0
		.amdhsa_exception_fp_denorm_src 0
		.amdhsa_exception_fp_ieee_div_zero 0
		.amdhsa_exception_fp_ieee_overflow 0
		.amdhsa_exception_fp_ieee_underflow 0
		.amdhsa_exception_fp_ieee_inexact 0
		.amdhsa_exception_int_div_zero 0
	.end_amdhsa_kernel
	.section	.text._ZN7rocprim17ROCPRIM_400000_NS6detail17trampoline_kernelINS0_14default_configENS1_27scan_by_key_config_selectorIifEEZZNS1_16scan_by_key_implILNS1_25lookback_scan_determinismE0ELb1ES3_N6thrust23THRUST_200600_302600_NS6detail15normal_iteratorINS9_10device_ptrIiEEEENSB_INSC_IfEEEESG_fNS9_4plusIvEENS9_8equal_toIvEEfEE10hipError_tPvRmT2_T3_T4_T5_mT6_T7_P12ihipStream_tbENKUlT_T0_E_clISt17integral_constantIbLb0EES10_IbLb1EEEEDaSW_SX_EUlSW_E_NS1_11comp_targetILNS1_3genE3ELNS1_11target_archE908ELNS1_3gpuE7ELNS1_3repE0EEENS1_30default_config_static_selectorELNS0_4arch9wavefront6targetE1EEEvT1_,"axG",@progbits,_ZN7rocprim17ROCPRIM_400000_NS6detail17trampoline_kernelINS0_14default_configENS1_27scan_by_key_config_selectorIifEEZZNS1_16scan_by_key_implILNS1_25lookback_scan_determinismE0ELb1ES3_N6thrust23THRUST_200600_302600_NS6detail15normal_iteratorINS9_10device_ptrIiEEEENSB_INSC_IfEEEESG_fNS9_4plusIvEENS9_8equal_toIvEEfEE10hipError_tPvRmT2_T3_T4_T5_mT6_T7_P12ihipStream_tbENKUlT_T0_E_clISt17integral_constantIbLb0EES10_IbLb1EEEEDaSW_SX_EUlSW_E_NS1_11comp_targetILNS1_3genE3ELNS1_11target_archE908ELNS1_3gpuE7ELNS1_3repE0EEENS1_30default_config_static_selectorELNS0_4arch9wavefront6targetE1EEEvT1_,comdat
.Lfunc_end1458:
	.size	_ZN7rocprim17ROCPRIM_400000_NS6detail17trampoline_kernelINS0_14default_configENS1_27scan_by_key_config_selectorIifEEZZNS1_16scan_by_key_implILNS1_25lookback_scan_determinismE0ELb1ES3_N6thrust23THRUST_200600_302600_NS6detail15normal_iteratorINS9_10device_ptrIiEEEENSB_INSC_IfEEEESG_fNS9_4plusIvEENS9_8equal_toIvEEfEE10hipError_tPvRmT2_T3_T4_T5_mT6_T7_P12ihipStream_tbENKUlT_T0_E_clISt17integral_constantIbLb0EES10_IbLb1EEEEDaSW_SX_EUlSW_E_NS1_11comp_targetILNS1_3genE3ELNS1_11target_archE908ELNS1_3gpuE7ELNS1_3repE0EEENS1_30default_config_static_selectorELNS0_4arch9wavefront6targetE1EEEvT1_, .Lfunc_end1458-_ZN7rocprim17ROCPRIM_400000_NS6detail17trampoline_kernelINS0_14default_configENS1_27scan_by_key_config_selectorIifEEZZNS1_16scan_by_key_implILNS1_25lookback_scan_determinismE0ELb1ES3_N6thrust23THRUST_200600_302600_NS6detail15normal_iteratorINS9_10device_ptrIiEEEENSB_INSC_IfEEEESG_fNS9_4plusIvEENS9_8equal_toIvEEfEE10hipError_tPvRmT2_T3_T4_T5_mT6_T7_P12ihipStream_tbENKUlT_T0_E_clISt17integral_constantIbLb0EES10_IbLb1EEEEDaSW_SX_EUlSW_E_NS1_11comp_targetILNS1_3genE3ELNS1_11target_archE908ELNS1_3gpuE7ELNS1_3repE0EEENS1_30default_config_static_selectorELNS0_4arch9wavefront6targetE1EEEvT1_
                                        ; -- End function
	.section	.AMDGPU.csdata,"",@progbits
; Kernel info:
; codeLenInByte = 0
; NumSgprs: 4
; NumVgprs: 0
; NumAgprs: 0
; TotalNumVgprs: 0
; ScratchSize: 0
; MemoryBound: 0
; FloatMode: 240
; IeeeMode: 1
; LDSByteSize: 0 bytes/workgroup (compile time only)
; SGPRBlocks: 0
; VGPRBlocks: 0
; NumSGPRsForWavesPerEU: 4
; NumVGPRsForWavesPerEU: 1
; AccumOffset: 4
; Occupancy: 8
; WaveLimiterHint : 0
; COMPUTE_PGM_RSRC2:SCRATCH_EN: 0
; COMPUTE_PGM_RSRC2:USER_SGPR: 6
; COMPUTE_PGM_RSRC2:TRAP_HANDLER: 0
; COMPUTE_PGM_RSRC2:TGID_X_EN: 1
; COMPUTE_PGM_RSRC2:TGID_Y_EN: 0
; COMPUTE_PGM_RSRC2:TGID_Z_EN: 0
; COMPUTE_PGM_RSRC2:TIDIG_COMP_CNT: 0
; COMPUTE_PGM_RSRC3_GFX90A:ACCUM_OFFSET: 0
; COMPUTE_PGM_RSRC3_GFX90A:TG_SPLIT: 0
	.section	.text._ZN7rocprim17ROCPRIM_400000_NS6detail17trampoline_kernelINS0_14default_configENS1_27scan_by_key_config_selectorIifEEZZNS1_16scan_by_key_implILNS1_25lookback_scan_determinismE0ELb1ES3_N6thrust23THRUST_200600_302600_NS6detail15normal_iteratorINS9_10device_ptrIiEEEENSB_INSC_IfEEEESG_fNS9_4plusIvEENS9_8equal_toIvEEfEE10hipError_tPvRmT2_T3_T4_T5_mT6_T7_P12ihipStream_tbENKUlT_T0_E_clISt17integral_constantIbLb0EES10_IbLb1EEEEDaSW_SX_EUlSW_E_NS1_11comp_targetILNS1_3genE2ELNS1_11target_archE906ELNS1_3gpuE6ELNS1_3repE0EEENS1_30default_config_static_selectorELNS0_4arch9wavefront6targetE1EEEvT1_,"axG",@progbits,_ZN7rocprim17ROCPRIM_400000_NS6detail17trampoline_kernelINS0_14default_configENS1_27scan_by_key_config_selectorIifEEZZNS1_16scan_by_key_implILNS1_25lookback_scan_determinismE0ELb1ES3_N6thrust23THRUST_200600_302600_NS6detail15normal_iteratorINS9_10device_ptrIiEEEENSB_INSC_IfEEEESG_fNS9_4plusIvEENS9_8equal_toIvEEfEE10hipError_tPvRmT2_T3_T4_T5_mT6_T7_P12ihipStream_tbENKUlT_T0_E_clISt17integral_constantIbLb0EES10_IbLb1EEEEDaSW_SX_EUlSW_E_NS1_11comp_targetILNS1_3genE2ELNS1_11target_archE906ELNS1_3gpuE6ELNS1_3repE0EEENS1_30default_config_static_selectorELNS0_4arch9wavefront6targetE1EEEvT1_,comdat
	.protected	_ZN7rocprim17ROCPRIM_400000_NS6detail17trampoline_kernelINS0_14default_configENS1_27scan_by_key_config_selectorIifEEZZNS1_16scan_by_key_implILNS1_25lookback_scan_determinismE0ELb1ES3_N6thrust23THRUST_200600_302600_NS6detail15normal_iteratorINS9_10device_ptrIiEEEENSB_INSC_IfEEEESG_fNS9_4plusIvEENS9_8equal_toIvEEfEE10hipError_tPvRmT2_T3_T4_T5_mT6_T7_P12ihipStream_tbENKUlT_T0_E_clISt17integral_constantIbLb0EES10_IbLb1EEEEDaSW_SX_EUlSW_E_NS1_11comp_targetILNS1_3genE2ELNS1_11target_archE906ELNS1_3gpuE6ELNS1_3repE0EEENS1_30default_config_static_selectorELNS0_4arch9wavefront6targetE1EEEvT1_ ; -- Begin function _ZN7rocprim17ROCPRIM_400000_NS6detail17trampoline_kernelINS0_14default_configENS1_27scan_by_key_config_selectorIifEEZZNS1_16scan_by_key_implILNS1_25lookback_scan_determinismE0ELb1ES3_N6thrust23THRUST_200600_302600_NS6detail15normal_iteratorINS9_10device_ptrIiEEEENSB_INSC_IfEEEESG_fNS9_4plusIvEENS9_8equal_toIvEEfEE10hipError_tPvRmT2_T3_T4_T5_mT6_T7_P12ihipStream_tbENKUlT_T0_E_clISt17integral_constantIbLb0EES10_IbLb1EEEEDaSW_SX_EUlSW_E_NS1_11comp_targetILNS1_3genE2ELNS1_11target_archE906ELNS1_3gpuE6ELNS1_3repE0EEENS1_30default_config_static_selectorELNS0_4arch9wavefront6targetE1EEEvT1_
	.globl	_ZN7rocprim17ROCPRIM_400000_NS6detail17trampoline_kernelINS0_14default_configENS1_27scan_by_key_config_selectorIifEEZZNS1_16scan_by_key_implILNS1_25lookback_scan_determinismE0ELb1ES3_N6thrust23THRUST_200600_302600_NS6detail15normal_iteratorINS9_10device_ptrIiEEEENSB_INSC_IfEEEESG_fNS9_4plusIvEENS9_8equal_toIvEEfEE10hipError_tPvRmT2_T3_T4_T5_mT6_T7_P12ihipStream_tbENKUlT_T0_E_clISt17integral_constantIbLb0EES10_IbLb1EEEEDaSW_SX_EUlSW_E_NS1_11comp_targetILNS1_3genE2ELNS1_11target_archE906ELNS1_3gpuE6ELNS1_3repE0EEENS1_30default_config_static_selectorELNS0_4arch9wavefront6targetE1EEEvT1_
	.p2align	8
	.type	_ZN7rocprim17ROCPRIM_400000_NS6detail17trampoline_kernelINS0_14default_configENS1_27scan_by_key_config_selectorIifEEZZNS1_16scan_by_key_implILNS1_25lookback_scan_determinismE0ELb1ES3_N6thrust23THRUST_200600_302600_NS6detail15normal_iteratorINS9_10device_ptrIiEEEENSB_INSC_IfEEEESG_fNS9_4plusIvEENS9_8equal_toIvEEfEE10hipError_tPvRmT2_T3_T4_T5_mT6_T7_P12ihipStream_tbENKUlT_T0_E_clISt17integral_constantIbLb0EES10_IbLb1EEEEDaSW_SX_EUlSW_E_NS1_11comp_targetILNS1_3genE2ELNS1_11target_archE906ELNS1_3gpuE6ELNS1_3repE0EEENS1_30default_config_static_selectorELNS0_4arch9wavefront6targetE1EEEvT1_,@function
_ZN7rocprim17ROCPRIM_400000_NS6detail17trampoline_kernelINS0_14default_configENS1_27scan_by_key_config_selectorIifEEZZNS1_16scan_by_key_implILNS1_25lookback_scan_determinismE0ELb1ES3_N6thrust23THRUST_200600_302600_NS6detail15normal_iteratorINS9_10device_ptrIiEEEENSB_INSC_IfEEEESG_fNS9_4plusIvEENS9_8equal_toIvEEfEE10hipError_tPvRmT2_T3_T4_T5_mT6_T7_P12ihipStream_tbENKUlT_T0_E_clISt17integral_constantIbLb0EES10_IbLb1EEEEDaSW_SX_EUlSW_E_NS1_11comp_targetILNS1_3genE2ELNS1_11target_archE906ELNS1_3gpuE6ELNS1_3repE0EEENS1_30default_config_static_selectorELNS0_4arch9wavefront6targetE1EEEvT1_: ; @_ZN7rocprim17ROCPRIM_400000_NS6detail17trampoline_kernelINS0_14default_configENS1_27scan_by_key_config_selectorIifEEZZNS1_16scan_by_key_implILNS1_25lookback_scan_determinismE0ELb1ES3_N6thrust23THRUST_200600_302600_NS6detail15normal_iteratorINS9_10device_ptrIiEEEENSB_INSC_IfEEEESG_fNS9_4plusIvEENS9_8equal_toIvEEfEE10hipError_tPvRmT2_T3_T4_T5_mT6_T7_P12ihipStream_tbENKUlT_T0_E_clISt17integral_constantIbLb0EES10_IbLb1EEEEDaSW_SX_EUlSW_E_NS1_11comp_targetILNS1_3genE2ELNS1_11target_archE906ELNS1_3gpuE6ELNS1_3repE0EEENS1_30default_config_static_selectorELNS0_4arch9wavefront6targetE1EEEvT1_
; %bb.0:
	.section	.rodata,"a",@progbits
	.p2align	6, 0x0
	.amdhsa_kernel _ZN7rocprim17ROCPRIM_400000_NS6detail17trampoline_kernelINS0_14default_configENS1_27scan_by_key_config_selectorIifEEZZNS1_16scan_by_key_implILNS1_25lookback_scan_determinismE0ELb1ES3_N6thrust23THRUST_200600_302600_NS6detail15normal_iteratorINS9_10device_ptrIiEEEENSB_INSC_IfEEEESG_fNS9_4plusIvEENS9_8equal_toIvEEfEE10hipError_tPvRmT2_T3_T4_T5_mT6_T7_P12ihipStream_tbENKUlT_T0_E_clISt17integral_constantIbLb0EES10_IbLb1EEEEDaSW_SX_EUlSW_E_NS1_11comp_targetILNS1_3genE2ELNS1_11target_archE906ELNS1_3gpuE6ELNS1_3repE0EEENS1_30default_config_static_selectorELNS0_4arch9wavefront6targetE1EEEvT1_
		.amdhsa_group_segment_fixed_size 0
		.amdhsa_private_segment_fixed_size 0
		.amdhsa_kernarg_size 112
		.amdhsa_user_sgpr_count 6
		.amdhsa_user_sgpr_private_segment_buffer 1
		.amdhsa_user_sgpr_dispatch_ptr 0
		.amdhsa_user_sgpr_queue_ptr 0
		.amdhsa_user_sgpr_kernarg_segment_ptr 1
		.amdhsa_user_sgpr_dispatch_id 0
		.amdhsa_user_sgpr_flat_scratch_init 0
		.amdhsa_user_sgpr_kernarg_preload_length 0
		.amdhsa_user_sgpr_kernarg_preload_offset 0
		.amdhsa_user_sgpr_private_segment_size 0
		.amdhsa_uses_dynamic_stack 0
		.amdhsa_system_sgpr_private_segment_wavefront_offset 0
		.amdhsa_system_sgpr_workgroup_id_x 1
		.amdhsa_system_sgpr_workgroup_id_y 0
		.amdhsa_system_sgpr_workgroup_id_z 0
		.amdhsa_system_sgpr_workgroup_info 0
		.amdhsa_system_vgpr_workitem_id 0
		.amdhsa_next_free_vgpr 1
		.amdhsa_next_free_sgpr 0
		.amdhsa_accum_offset 4
		.amdhsa_reserve_vcc 0
		.amdhsa_reserve_flat_scratch 0
		.amdhsa_float_round_mode_32 0
		.amdhsa_float_round_mode_16_64 0
		.amdhsa_float_denorm_mode_32 3
		.amdhsa_float_denorm_mode_16_64 3
		.amdhsa_dx10_clamp 1
		.amdhsa_ieee_mode 1
		.amdhsa_fp16_overflow 0
		.amdhsa_tg_split 0
		.amdhsa_exception_fp_ieee_invalid_op 0
		.amdhsa_exception_fp_denorm_src 0
		.amdhsa_exception_fp_ieee_div_zero 0
		.amdhsa_exception_fp_ieee_overflow 0
		.amdhsa_exception_fp_ieee_underflow 0
		.amdhsa_exception_fp_ieee_inexact 0
		.amdhsa_exception_int_div_zero 0
	.end_amdhsa_kernel
	.section	.text._ZN7rocprim17ROCPRIM_400000_NS6detail17trampoline_kernelINS0_14default_configENS1_27scan_by_key_config_selectorIifEEZZNS1_16scan_by_key_implILNS1_25lookback_scan_determinismE0ELb1ES3_N6thrust23THRUST_200600_302600_NS6detail15normal_iteratorINS9_10device_ptrIiEEEENSB_INSC_IfEEEESG_fNS9_4plusIvEENS9_8equal_toIvEEfEE10hipError_tPvRmT2_T3_T4_T5_mT6_T7_P12ihipStream_tbENKUlT_T0_E_clISt17integral_constantIbLb0EES10_IbLb1EEEEDaSW_SX_EUlSW_E_NS1_11comp_targetILNS1_3genE2ELNS1_11target_archE906ELNS1_3gpuE6ELNS1_3repE0EEENS1_30default_config_static_selectorELNS0_4arch9wavefront6targetE1EEEvT1_,"axG",@progbits,_ZN7rocprim17ROCPRIM_400000_NS6detail17trampoline_kernelINS0_14default_configENS1_27scan_by_key_config_selectorIifEEZZNS1_16scan_by_key_implILNS1_25lookback_scan_determinismE0ELb1ES3_N6thrust23THRUST_200600_302600_NS6detail15normal_iteratorINS9_10device_ptrIiEEEENSB_INSC_IfEEEESG_fNS9_4plusIvEENS9_8equal_toIvEEfEE10hipError_tPvRmT2_T3_T4_T5_mT6_T7_P12ihipStream_tbENKUlT_T0_E_clISt17integral_constantIbLb0EES10_IbLb1EEEEDaSW_SX_EUlSW_E_NS1_11comp_targetILNS1_3genE2ELNS1_11target_archE906ELNS1_3gpuE6ELNS1_3repE0EEENS1_30default_config_static_selectorELNS0_4arch9wavefront6targetE1EEEvT1_,comdat
.Lfunc_end1459:
	.size	_ZN7rocprim17ROCPRIM_400000_NS6detail17trampoline_kernelINS0_14default_configENS1_27scan_by_key_config_selectorIifEEZZNS1_16scan_by_key_implILNS1_25lookback_scan_determinismE0ELb1ES3_N6thrust23THRUST_200600_302600_NS6detail15normal_iteratorINS9_10device_ptrIiEEEENSB_INSC_IfEEEESG_fNS9_4plusIvEENS9_8equal_toIvEEfEE10hipError_tPvRmT2_T3_T4_T5_mT6_T7_P12ihipStream_tbENKUlT_T0_E_clISt17integral_constantIbLb0EES10_IbLb1EEEEDaSW_SX_EUlSW_E_NS1_11comp_targetILNS1_3genE2ELNS1_11target_archE906ELNS1_3gpuE6ELNS1_3repE0EEENS1_30default_config_static_selectorELNS0_4arch9wavefront6targetE1EEEvT1_, .Lfunc_end1459-_ZN7rocprim17ROCPRIM_400000_NS6detail17trampoline_kernelINS0_14default_configENS1_27scan_by_key_config_selectorIifEEZZNS1_16scan_by_key_implILNS1_25lookback_scan_determinismE0ELb1ES3_N6thrust23THRUST_200600_302600_NS6detail15normal_iteratorINS9_10device_ptrIiEEEENSB_INSC_IfEEEESG_fNS9_4plusIvEENS9_8equal_toIvEEfEE10hipError_tPvRmT2_T3_T4_T5_mT6_T7_P12ihipStream_tbENKUlT_T0_E_clISt17integral_constantIbLb0EES10_IbLb1EEEEDaSW_SX_EUlSW_E_NS1_11comp_targetILNS1_3genE2ELNS1_11target_archE906ELNS1_3gpuE6ELNS1_3repE0EEENS1_30default_config_static_selectorELNS0_4arch9wavefront6targetE1EEEvT1_
                                        ; -- End function
	.section	.AMDGPU.csdata,"",@progbits
; Kernel info:
; codeLenInByte = 0
; NumSgprs: 4
; NumVgprs: 0
; NumAgprs: 0
; TotalNumVgprs: 0
; ScratchSize: 0
; MemoryBound: 0
; FloatMode: 240
; IeeeMode: 1
; LDSByteSize: 0 bytes/workgroup (compile time only)
; SGPRBlocks: 0
; VGPRBlocks: 0
; NumSGPRsForWavesPerEU: 4
; NumVGPRsForWavesPerEU: 1
; AccumOffset: 4
; Occupancy: 8
; WaveLimiterHint : 0
; COMPUTE_PGM_RSRC2:SCRATCH_EN: 0
; COMPUTE_PGM_RSRC2:USER_SGPR: 6
; COMPUTE_PGM_RSRC2:TRAP_HANDLER: 0
; COMPUTE_PGM_RSRC2:TGID_X_EN: 1
; COMPUTE_PGM_RSRC2:TGID_Y_EN: 0
; COMPUTE_PGM_RSRC2:TGID_Z_EN: 0
; COMPUTE_PGM_RSRC2:TIDIG_COMP_CNT: 0
; COMPUTE_PGM_RSRC3_GFX90A:ACCUM_OFFSET: 0
; COMPUTE_PGM_RSRC3_GFX90A:TG_SPLIT: 0
	.section	.text._ZN7rocprim17ROCPRIM_400000_NS6detail17trampoline_kernelINS0_14default_configENS1_27scan_by_key_config_selectorIifEEZZNS1_16scan_by_key_implILNS1_25lookback_scan_determinismE0ELb1ES3_N6thrust23THRUST_200600_302600_NS6detail15normal_iteratorINS9_10device_ptrIiEEEENSB_INSC_IfEEEESG_fNS9_4plusIvEENS9_8equal_toIvEEfEE10hipError_tPvRmT2_T3_T4_T5_mT6_T7_P12ihipStream_tbENKUlT_T0_E_clISt17integral_constantIbLb0EES10_IbLb1EEEEDaSW_SX_EUlSW_E_NS1_11comp_targetILNS1_3genE10ELNS1_11target_archE1200ELNS1_3gpuE4ELNS1_3repE0EEENS1_30default_config_static_selectorELNS0_4arch9wavefront6targetE1EEEvT1_,"axG",@progbits,_ZN7rocprim17ROCPRIM_400000_NS6detail17trampoline_kernelINS0_14default_configENS1_27scan_by_key_config_selectorIifEEZZNS1_16scan_by_key_implILNS1_25lookback_scan_determinismE0ELb1ES3_N6thrust23THRUST_200600_302600_NS6detail15normal_iteratorINS9_10device_ptrIiEEEENSB_INSC_IfEEEESG_fNS9_4plusIvEENS9_8equal_toIvEEfEE10hipError_tPvRmT2_T3_T4_T5_mT6_T7_P12ihipStream_tbENKUlT_T0_E_clISt17integral_constantIbLb0EES10_IbLb1EEEEDaSW_SX_EUlSW_E_NS1_11comp_targetILNS1_3genE10ELNS1_11target_archE1200ELNS1_3gpuE4ELNS1_3repE0EEENS1_30default_config_static_selectorELNS0_4arch9wavefront6targetE1EEEvT1_,comdat
	.protected	_ZN7rocprim17ROCPRIM_400000_NS6detail17trampoline_kernelINS0_14default_configENS1_27scan_by_key_config_selectorIifEEZZNS1_16scan_by_key_implILNS1_25lookback_scan_determinismE0ELb1ES3_N6thrust23THRUST_200600_302600_NS6detail15normal_iteratorINS9_10device_ptrIiEEEENSB_INSC_IfEEEESG_fNS9_4plusIvEENS9_8equal_toIvEEfEE10hipError_tPvRmT2_T3_T4_T5_mT6_T7_P12ihipStream_tbENKUlT_T0_E_clISt17integral_constantIbLb0EES10_IbLb1EEEEDaSW_SX_EUlSW_E_NS1_11comp_targetILNS1_3genE10ELNS1_11target_archE1200ELNS1_3gpuE4ELNS1_3repE0EEENS1_30default_config_static_selectorELNS0_4arch9wavefront6targetE1EEEvT1_ ; -- Begin function _ZN7rocprim17ROCPRIM_400000_NS6detail17trampoline_kernelINS0_14default_configENS1_27scan_by_key_config_selectorIifEEZZNS1_16scan_by_key_implILNS1_25lookback_scan_determinismE0ELb1ES3_N6thrust23THRUST_200600_302600_NS6detail15normal_iteratorINS9_10device_ptrIiEEEENSB_INSC_IfEEEESG_fNS9_4plusIvEENS9_8equal_toIvEEfEE10hipError_tPvRmT2_T3_T4_T5_mT6_T7_P12ihipStream_tbENKUlT_T0_E_clISt17integral_constantIbLb0EES10_IbLb1EEEEDaSW_SX_EUlSW_E_NS1_11comp_targetILNS1_3genE10ELNS1_11target_archE1200ELNS1_3gpuE4ELNS1_3repE0EEENS1_30default_config_static_selectorELNS0_4arch9wavefront6targetE1EEEvT1_
	.globl	_ZN7rocprim17ROCPRIM_400000_NS6detail17trampoline_kernelINS0_14default_configENS1_27scan_by_key_config_selectorIifEEZZNS1_16scan_by_key_implILNS1_25lookback_scan_determinismE0ELb1ES3_N6thrust23THRUST_200600_302600_NS6detail15normal_iteratorINS9_10device_ptrIiEEEENSB_INSC_IfEEEESG_fNS9_4plusIvEENS9_8equal_toIvEEfEE10hipError_tPvRmT2_T3_T4_T5_mT6_T7_P12ihipStream_tbENKUlT_T0_E_clISt17integral_constantIbLb0EES10_IbLb1EEEEDaSW_SX_EUlSW_E_NS1_11comp_targetILNS1_3genE10ELNS1_11target_archE1200ELNS1_3gpuE4ELNS1_3repE0EEENS1_30default_config_static_selectorELNS0_4arch9wavefront6targetE1EEEvT1_
	.p2align	8
	.type	_ZN7rocprim17ROCPRIM_400000_NS6detail17trampoline_kernelINS0_14default_configENS1_27scan_by_key_config_selectorIifEEZZNS1_16scan_by_key_implILNS1_25lookback_scan_determinismE0ELb1ES3_N6thrust23THRUST_200600_302600_NS6detail15normal_iteratorINS9_10device_ptrIiEEEENSB_INSC_IfEEEESG_fNS9_4plusIvEENS9_8equal_toIvEEfEE10hipError_tPvRmT2_T3_T4_T5_mT6_T7_P12ihipStream_tbENKUlT_T0_E_clISt17integral_constantIbLb0EES10_IbLb1EEEEDaSW_SX_EUlSW_E_NS1_11comp_targetILNS1_3genE10ELNS1_11target_archE1200ELNS1_3gpuE4ELNS1_3repE0EEENS1_30default_config_static_selectorELNS0_4arch9wavefront6targetE1EEEvT1_,@function
_ZN7rocprim17ROCPRIM_400000_NS6detail17trampoline_kernelINS0_14default_configENS1_27scan_by_key_config_selectorIifEEZZNS1_16scan_by_key_implILNS1_25lookback_scan_determinismE0ELb1ES3_N6thrust23THRUST_200600_302600_NS6detail15normal_iteratorINS9_10device_ptrIiEEEENSB_INSC_IfEEEESG_fNS9_4plusIvEENS9_8equal_toIvEEfEE10hipError_tPvRmT2_T3_T4_T5_mT6_T7_P12ihipStream_tbENKUlT_T0_E_clISt17integral_constantIbLb0EES10_IbLb1EEEEDaSW_SX_EUlSW_E_NS1_11comp_targetILNS1_3genE10ELNS1_11target_archE1200ELNS1_3gpuE4ELNS1_3repE0EEENS1_30default_config_static_selectorELNS0_4arch9wavefront6targetE1EEEvT1_: ; @_ZN7rocprim17ROCPRIM_400000_NS6detail17trampoline_kernelINS0_14default_configENS1_27scan_by_key_config_selectorIifEEZZNS1_16scan_by_key_implILNS1_25lookback_scan_determinismE0ELb1ES3_N6thrust23THRUST_200600_302600_NS6detail15normal_iteratorINS9_10device_ptrIiEEEENSB_INSC_IfEEEESG_fNS9_4plusIvEENS9_8equal_toIvEEfEE10hipError_tPvRmT2_T3_T4_T5_mT6_T7_P12ihipStream_tbENKUlT_T0_E_clISt17integral_constantIbLb0EES10_IbLb1EEEEDaSW_SX_EUlSW_E_NS1_11comp_targetILNS1_3genE10ELNS1_11target_archE1200ELNS1_3gpuE4ELNS1_3repE0EEENS1_30default_config_static_selectorELNS0_4arch9wavefront6targetE1EEEvT1_
; %bb.0:
	.section	.rodata,"a",@progbits
	.p2align	6, 0x0
	.amdhsa_kernel _ZN7rocprim17ROCPRIM_400000_NS6detail17trampoline_kernelINS0_14default_configENS1_27scan_by_key_config_selectorIifEEZZNS1_16scan_by_key_implILNS1_25lookback_scan_determinismE0ELb1ES3_N6thrust23THRUST_200600_302600_NS6detail15normal_iteratorINS9_10device_ptrIiEEEENSB_INSC_IfEEEESG_fNS9_4plusIvEENS9_8equal_toIvEEfEE10hipError_tPvRmT2_T3_T4_T5_mT6_T7_P12ihipStream_tbENKUlT_T0_E_clISt17integral_constantIbLb0EES10_IbLb1EEEEDaSW_SX_EUlSW_E_NS1_11comp_targetILNS1_3genE10ELNS1_11target_archE1200ELNS1_3gpuE4ELNS1_3repE0EEENS1_30default_config_static_selectorELNS0_4arch9wavefront6targetE1EEEvT1_
		.amdhsa_group_segment_fixed_size 0
		.amdhsa_private_segment_fixed_size 0
		.amdhsa_kernarg_size 112
		.amdhsa_user_sgpr_count 6
		.amdhsa_user_sgpr_private_segment_buffer 1
		.amdhsa_user_sgpr_dispatch_ptr 0
		.amdhsa_user_sgpr_queue_ptr 0
		.amdhsa_user_sgpr_kernarg_segment_ptr 1
		.amdhsa_user_sgpr_dispatch_id 0
		.amdhsa_user_sgpr_flat_scratch_init 0
		.amdhsa_user_sgpr_kernarg_preload_length 0
		.amdhsa_user_sgpr_kernarg_preload_offset 0
		.amdhsa_user_sgpr_private_segment_size 0
		.amdhsa_uses_dynamic_stack 0
		.amdhsa_system_sgpr_private_segment_wavefront_offset 0
		.amdhsa_system_sgpr_workgroup_id_x 1
		.amdhsa_system_sgpr_workgroup_id_y 0
		.amdhsa_system_sgpr_workgroup_id_z 0
		.amdhsa_system_sgpr_workgroup_info 0
		.amdhsa_system_vgpr_workitem_id 0
		.amdhsa_next_free_vgpr 1
		.amdhsa_next_free_sgpr 0
		.amdhsa_accum_offset 4
		.amdhsa_reserve_vcc 0
		.amdhsa_reserve_flat_scratch 0
		.amdhsa_float_round_mode_32 0
		.amdhsa_float_round_mode_16_64 0
		.amdhsa_float_denorm_mode_32 3
		.amdhsa_float_denorm_mode_16_64 3
		.amdhsa_dx10_clamp 1
		.amdhsa_ieee_mode 1
		.amdhsa_fp16_overflow 0
		.amdhsa_tg_split 0
		.amdhsa_exception_fp_ieee_invalid_op 0
		.amdhsa_exception_fp_denorm_src 0
		.amdhsa_exception_fp_ieee_div_zero 0
		.amdhsa_exception_fp_ieee_overflow 0
		.amdhsa_exception_fp_ieee_underflow 0
		.amdhsa_exception_fp_ieee_inexact 0
		.amdhsa_exception_int_div_zero 0
	.end_amdhsa_kernel
	.section	.text._ZN7rocprim17ROCPRIM_400000_NS6detail17trampoline_kernelINS0_14default_configENS1_27scan_by_key_config_selectorIifEEZZNS1_16scan_by_key_implILNS1_25lookback_scan_determinismE0ELb1ES3_N6thrust23THRUST_200600_302600_NS6detail15normal_iteratorINS9_10device_ptrIiEEEENSB_INSC_IfEEEESG_fNS9_4plusIvEENS9_8equal_toIvEEfEE10hipError_tPvRmT2_T3_T4_T5_mT6_T7_P12ihipStream_tbENKUlT_T0_E_clISt17integral_constantIbLb0EES10_IbLb1EEEEDaSW_SX_EUlSW_E_NS1_11comp_targetILNS1_3genE10ELNS1_11target_archE1200ELNS1_3gpuE4ELNS1_3repE0EEENS1_30default_config_static_selectorELNS0_4arch9wavefront6targetE1EEEvT1_,"axG",@progbits,_ZN7rocprim17ROCPRIM_400000_NS6detail17trampoline_kernelINS0_14default_configENS1_27scan_by_key_config_selectorIifEEZZNS1_16scan_by_key_implILNS1_25lookback_scan_determinismE0ELb1ES3_N6thrust23THRUST_200600_302600_NS6detail15normal_iteratorINS9_10device_ptrIiEEEENSB_INSC_IfEEEESG_fNS9_4plusIvEENS9_8equal_toIvEEfEE10hipError_tPvRmT2_T3_T4_T5_mT6_T7_P12ihipStream_tbENKUlT_T0_E_clISt17integral_constantIbLb0EES10_IbLb1EEEEDaSW_SX_EUlSW_E_NS1_11comp_targetILNS1_3genE10ELNS1_11target_archE1200ELNS1_3gpuE4ELNS1_3repE0EEENS1_30default_config_static_selectorELNS0_4arch9wavefront6targetE1EEEvT1_,comdat
.Lfunc_end1460:
	.size	_ZN7rocprim17ROCPRIM_400000_NS6detail17trampoline_kernelINS0_14default_configENS1_27scan_by_key_config_selectorIifEEZZNS1_16scan_by_key_implILNS1_25lookback_scan_determinismE0ELb1ES3_N6thrust23THRUST_200600_302600_NS6detail15normal_iteratorINS9_10device_ptrIiEEEENSB_INSC_IfEEEESG_fNS9_4plusIvEENS9_8equal_toIvEEfEE10hipError_tPvRmT2_T3_T4_T5_mT6_T7_P12ihipStream_tbENKUlT_T0_E_clISt17integral_constantIbLb0EES10_IbLb1EEEEDaSW_SX_EUlSW_E_NS1_11comp_targetILNS1_3genE10ELNS1_11target_archE1200ELNS1_3gpuE4ELNS1_3repE0EEENS1_30default_config_static_selectorELNS0_4arch9wavefront6targetE1EEEvT1_, .Lfunc_end1460-_ZN7rocprim17ROCPRIM_400000_NS6detail17trampoline_kernelINS0_14default_configENS1_27scan_by_key_config_selectorIifEEZZNS1_16scan_by_key_implILNS1_25lookback_scan_determinismE0ELb1ES3_N6thrust23THRUST_200600_302600_NS6detail15normal_iteratorINS9_10device_ptrIiEEEENSB_INSC_IfEEEESG_fNS9_4plusIvEENS9_8equal_toIvEEfEE10hipError_tPvRmT2_T3_T4_T5_mT6_T7_P12ihipStream_tbENKUlT_T0_E_clISt17integral_constantIbLb0EES10_IbLb1EEEEDaSW_SX_EUlSW_E_NS1_11comp_targetILNS1_3genE10ELNS1_11target_archE1200ELNS1_3gpuE4ELNS1_3repE0EEENS1_30default_config_static_selectorELNS0_4arch9wavefront6targetE1EEEvT1_
                                        ; -- End function
	.section	.AMDGPU.csdata,"",@progbits
; Kernel info:
; codeLenInByte = 0
; NumSgprs: 4
; NumVgprs: 0
; NumAgprs: 0
; TotalNumVgprs: 0
; ScratchSize: 0
; MemoryBound: 0
; FloatMode: 240
; IeeeMode: 1
; LDSByteSize: 0 bytes/workgroup (compile time only)
; SGPRBlocks: 0
; VGPRBlocks: 0
; NumSGPRsForWavesPerEU: 4
; NumVGPRsForWavesPerEU: 1
; AccumOffset: 4
; Occupancy: 8
; WaveLimiterHint : 0
; COMPUTE_PGM_RSRC2:SCRATCH_EN: 0
; COMPUTE_PGM_RSRC2:USER_SGPR: 6
; COMPUTE_PGM_RSRC2:TRAP_HANDLER: 0
; COMPUTE_PGM_RSRC2:TGID_X_EN: 1
; COMPUTE_PGM_RSRC2:TGID_Y_EN: 0
; COMPUTE_PGM_RSRC2:TGID_Z_EN: 0
; COMPUTE_PGM_RSRC2:TIDIG_COMP_CNT: 0
; COMPUTE_PGM_RSRC3_GFX90A:ACCUM_OFFSET: 0
; COMPUTE_PGM_RSRC3_GFX90A:TG_SPLIT: 0
	.section	.text._ZN7rocprim17ROCPRIM_400000_NS6detail17trampoline_kernelINS0_14default_configENS1_27scan_by_key_config_selectorIifEEZZNS1_16scan_by_key_implILNS1_25lookback_scan_determinismE0ELb1ES3_N6thrust23THRUST_200600_302600_NS6detail15normal_iteratorINS9_10device_ptrIiEEEENSB_INSC_IfEEEESG_fNS9_4plusIvEENS9_8equal_toIvEEfEE10hipError_tPvRmT2_T3_T4_T5_mT6_T7_P12ihipStream_tbENKUlT_T0_E_clISt17integral_constantIbLb0EES10_IbLb1EEEEDaSW_SX_EUlSW_E_NS1_11comp_targetILNS1_3genE9ELNS1_11target_archE1100ELNS1_3gpuE3ELNS1_3repE0EEENS1_30default_config_static_selectorELNS0_4arch9wavefront6targetE1EEEvT1_,"axG",@progbits,_ZN7rocprim17ROCPRIM_400000_NS6detail17trampoline_kernelINS0_14default_configENS1_27scan_by_key_config_selectorIifEEZZNS1_16scan_by_key_implILNS1_25lookback_scan_determinismE0ELb1ES3_N6thrust23THRUST_200600_302600_NS6detail15normal_iteratorINS9_10device_ptrIiEEEENSB_INSC_IfEEEESG_fNS9_4plusIvEENS9_8equal_toIvEEfEE10hipError_tPvRmT2_T3_T4_T5_mT6_T7_P12ihipStream_tbENKUlT_T0_E_clISt17integral_constantIbLb0EES10_IbLb1EEEEDaSW_SX_EUlSW_E_NS1_11comp_targetILNS1_3genE9ELNS1_11target_archE1100ELNS1_3gpuE3ELNS1_3repE0EEENS1_30default_config_static_selectorELNS0_4arch9wavefront6targetE1EEEvT1_,comdat
	.protected	_ZN7rocprim17ROCPRIM_400000_NS6detail17trampoline_kernelINS0_14default_configENS1_27scan_by_key_config_selectorIifEEZZNS1_16scan_by_key_implILNS1_25lookback_scan_determinismE0ELb1ES3_N6thrust23THRUST_200600_302600_NS6detail15normal_iteratorINS9_10device_ptrIiEEEENSB_INSC_IfEEEESG_fNS9_4plusIvEENS9_8equal_toIvEEfEE10hipError_tPvRmT2_T3_T4_T5_mT6_T7_P12ihipStream_tbENKUlT_T0_E_clISt17integral_constantIbLb0EES10_IbLb1EEEEDaSW_SX_EUlSW_E_NS1_11comp_targetILNS1_3genE9ELNS1_11target_archE1100ELNS1_3gpuE3ELNS1_3repE0EEENS1_30default_config_static_selectorELNS0_4arch9wavefront6targetE1EEEvT1_ ; -- Begin function _ZN7rocprim17ROCPRIM_400000_NS6detail17trampoline_kernelINS0_14default_configENS1_27scan_by_key_config_selectorIifEEZZNS1_16scan_by_key_implILNS1_25lookback_scan_determinismE0ELb1ES3_N6thrust23THRUST_200600_302600_NS6detail15normal_iteratorINS9_10device_ptrIiEEEENSB_INSC_IfEEEESG_fNS9_4plusIvEENS9_8equal_toIvEEfEE10hipError_tPvRmT2_T3_T4_T5_mT6_T7_P12ihipStream_tbENKUlT_T0_E_clISt17integral_constantIbLb0EES10_IbLb1EEEEDaSW_SX_EUlSW_E_NS1_11comp_targetILNS1_3genE9ELNS1_11target_archE1100ELNS1_3gpuE3ELNS1_3repE0EEENS1_30default_config_static_selectorELNS0_4arch9wavefront6targetE1EEEvT1_
	.globl	_ZN7rocprim17ROCPRIM_400000_NS6detail17trampoline_kernelINS0_14default_configENS1_27scan_by_key_config_selectorIifEEZZNS1_16scan_by_key_implILNS1_25lookback_scan_determinismE0ELb1ES3_N6thrust23THRUST_200600_302600_NS6detail15normal_iteratorINS9_10device_ptrIiEEEENSB_INSC_IfEEEESG_fNS9_4plusIvEENS9_8equal_toIvEEfEE10hipError_tPvRmT2_T3_T4_T5_mT6_T7_P12ihipStream_tbENKUlT_T0_E_clISt17integral_constantIbLb0EES10_IbLb1EEEEDaSW_SX_EUlSW_E_NS1_11comp_targetILNS1_3genE9ELNS1_11target_archE1100ELNS1_3gpuE3ELNS1_3repE0EEENS1_30default_config_static_selectorELNS0_4arch9wavefront6targetE1EEEvT1_
	.p2align	8
	.type	_ZN7rocprim17ROCPRIM_400000_NS6detail17trampoline_kernelINS0_14default_configENS1_27scan_by_key_config_selectorIifEEZZNS1_16scan_by_key_implILNS1_25lookback_scan_determinismE0ELb1ES3_N6thrust23THRUST_200600_302600_NS6detail15normal_iteratorINS9_10device_ptrIiEEEENSB_INSC_IfEEEESG_fNS9_4plusIvEENS9_8equal_toIvEEfEE10hipError_tPvRmT2_T3_T4_T5_mT6_T7_P12ihipStream_tbENKUlT_T0_E_clISt17integral_constantIbLb0EES10_IbLb1EEEEDaSW_SX_EUlSW_E_NS1_11comp_targetILNS1_3genE9ELNS1_11target_archE1100ELNS1_3gpuE3ELNS1_3repE0EEENS1_30default_config_static_selectorELNS0_4arch9wavefront6targetE1EEEvT1_,@function
_ZN7rocprim17ROCPRIM_400000_NS6detail17trampoline_kernelINS0_14default_configENS1_27scan_by_key_config_selectorIifEEZZNS1_16scan_by_key_implILNS1_25lookback_scan_determinismE0ELb1ES3_N6thrust23THRUST_200600_302600_NS6detail15normal_iteratorINS9_10device_ptrIiEEEENSB_INSC_IfEEEESG_fNS9_4plusIvEENS9_8equal_toIvEEfEE10hipError_tPvRmT2_T3_T4_T5_mT6_T7_P12ihipStream_tbENKUlT_T0_E_clISt17integral_constantIbLb0EES10_IbLb1EEEEDaSW_SX_EUlSW_E_NS1_11comp_targetILNS1_3genE9ELNS1_11target_archE1100ELNS1_3gpuE3ELNS1_3repE0EEENS1_30default_config_static_selectorELNS0_4arch9wavefront6targetE1EEEvT1_: ; @_ZN7rocprim17ROCPRIM_400000_NS6detail17trampoline_kernelINS0_14default_configENS1_27scan_by_key_config_selectorIifEEZZNS1_16scan_by_key_implILNS1_25lookback_scan_determinismE0ELb1ES3_N6thrust23THRUST_200600_302600_NS6detail15normal_iteratorINS9_10device_ptrIiEEEENSB_INSC_IfEEEESG_fNS9_4plusIvEENS9_8equal_toIvEEfEE10hipError_tPvRmT2_T3_T4_T5_mT6_T7_P12ihipStream_tbENKUlT_T0_E_clISt17integral_constantIbLb0EES10_IbLb1EEEEDaSW_SX_EUlSW_E_NS1_11comp_targetILNS1_3genE9ELNS1_11target_archE1100ELNS1_3gpuE3ELNS1_3repE0EEENS1_30default_config_static_selectorELNS0_4arch9wavefront6targetE1EEEvT1_
; %bb.0:
	.section	.rodata,"a",@progbits
	.p2align	6, 0x0
	.amdhsa_kernel _ZN7rocprim17ROCPRIM_400000_NS6detail17trampoline_kernelINS0_14default_configENS1_27scan_by_key_config_selectorIifEEZZNS1_16scan_by_key_implILNS1_25lookback_scan_determinismE0ELb1ES3_N6thrust23THRUST_200600_302600_NS6detail15normal_iteratorINS9_10device_ptrIiEEEENSB_INSC_IfEEEESG_fNS9_4plusIvEENS9_8equal_toIvEEfEE10hipError_tPvRmT2_T3_T4_T5_mT6_T7_P12ihipStream_tbENKUlT_T0_E_clISt17integral_constantIbLb0EES10_IbLb1EEEEDaSW_SX_EUlSW_E_NS1_11comp_targetILNS1_3genE9ELNS1_11target_archE1100ELNS1_3gpuE3ELNS1_3repE0EEENS1_30default_config_static_selectorELNS0_4arch9wavefront6targetE1EEEvT1_
		.amdhsa_group_segment_fixed_size 0
		.amdhsa_private_segment_fixed_size 0
		.amdhsa_kernarg_size 112
		.amdhsa_user_sgpr_count 6
		.amdhsa_user_sgpr_private_segment_buffer 1
		.amdhsa_user_sgpr_dispatch_ptr 0
		.amdhsa_user_sgpr_queue_ptr 0
		.amdhsa_user_sgpr_kernarg_segment_ptr 1
		.amdhsa_user_sgpr_dispatch_id 0
		.amdhsa_user_sgpr_flat_scratch_init 0
		.amdhsa_user_sgpr_kernarg_preload_length 0
		.amdhsa_user_sgpr_kernarg_preload_offset 0
		.amdhsa_user_sgpr_private_segment_size 0
		.amdhsa_uses_dynamic_stack 0
		.amdhsa_system_sgpr_private_segment_wavefront_offset 0
		.amdhsa_system_sgpr_workgroup_id_x 1
		.amdhsa_system_sgpr_workgroup_id_y 0
		.amdhsa_system_sgpr_workgroup_id_z 0
		.amdhsa_system_sgpr_workgroup_info 0
		.amdhsa_system_vgpr_workitem_id 0
		.amdhsa_next_free_vgpr 1
		.amdhsa_next_free_sgpr 0
		.amdhsa_accum_offset 4
		.amdhsa_reserve_vcc 0
		.amdhsa_reserve_flat_scratch 0
		.amdhsa_float_round_mode_32 0
		.amdhsa_float_round_mode_16_64 0
		.amdhsa_float_denorm_mode_32 3
		.amdhsa_float_denorm_mode_16_64 3
		.amdhsa_dx10_clamp 1
		.amdhsa_ieee_mode 1
		.amdhsa_fp16_overflow 0
		.amdhsa_tg_split 0
		.amdhsa_exception_fp_ieee_invalid_op 0
		.amdhsa_exception_fp_denorm_src 0
		.amdhsa_exception_fp_ieee_div_zero 0
		.amdhsa_exception_fp_ieee_overflow 0
		.amdhsa_exception_fp_ieee_underflow 0
		.amdhsa_exception_fp_ieee_inexact 0
		.amdhsa_exception_int_div_zero 0
	.end_amdhsa_kernel
	.section	.text._ZN7rocprim17ROCPRIM_400000_NS6detail17trampoline_kernelINS0_14default_configENS1_27scan_by_key_config_selectorIifEEZZNS1_16scan_by_key_implILNS1_25lookback_scan_determinismE0ELb1ES3_N6thrust23THRUST_200600_302600_NS6detail15normal_iteratorINS9_10device_ptrIiEEEENSB_INSC_IfEEEESG_fNS9_4plusIvEENS9_8equal_toIvEEfEE10hipError_tPvRmT2_T3_T4_T5_mT6_T7_P12ihipStream_tbENKUlT_T0_E_clISt17integral_constantIbLb0EES10_IbLb1EEEEDaSW_SX_EUlSW_E_NS1_11comp_targetILNS1_3genE9ELNS1_11target_archE1100ELNS1_3gpuE3ELNS1_3repE0EEENS1_30default_config_static_selectorELNS0_4arch9wavefront6targetE1EEEvT1_,"axG",@progbits,_ZN7rocprim17ROCPRIM_400000_NS6detail17trampoline_kernelINS0_14default_configENS1_27scan_by_key_config_selectorIifEEZZNS1_16scan_by_key_implILNS1_25lookback_scan_determinismE0ELb1ES3_N6thrust23THRUST_200600_302600_NS6detail15normal_iteratorINS9_10device_ptrIiEEEENSB_INSC_IfEEEESG_fNS9_4plusIvEENS9_8equal_toIvEEfEE10hipError_tPvRmT2_T3_T4_T5_mT6_T7_P12ihipStream_tbENKUlT_T0_E_clISt17integral_constantIbLb0EES10_IbLb1EEEEDaSW_SX_EUlSW_E_NS1_11comp_targetILNS1_3genE9ELNS1_11target_archE1100ELNS1_3gpuE3ELNS1_3repE0EEENS1_30default_config_static_selectorELNS0_4arch9wavefront6targetE1EEEvT1_,comdat
.Lfunc_end1461:
	.size	_ZN7rocprim17ROCPRIM_400000_NS6detail17trampoline_kernelINS0_14default_configENS1_27scan_by_key_config_selectorIifEEZZNS1_16scan_by_key_implILNS1_25lookback_scan_determinismE0ELb1ES3_N6thrust23THRUST_200600_302600_NS6detail15normal_iteratorINS9_10device_ptrIiEEEENSB_INSC_IfEEEESG_fNS9_4plusIvEENS9_8equal_toIvEEfEE10hipError_tPvRmT2_T3_T4_T5_mT6_T7_P12ihipStream_tbENKUlT_T0_E_clISt17integral_constantIbLb0EES10_IbLb1EEEEDaSW_SX_EUlSW_E_NS1_11comp_targetILNS1_3genE9ELNS1_11target_archE1100ELNS1_3gpuE3ELNS1_3repE0EEENS1_30default_config_static_selectorELNS0_4arch9wavefront6targetE1EEEvT1_, .Lfunc_end1461-_ZN7rocprim17ROCPRIM_400000_NS6detail17trampoline_kernelINS0_14default_configENS1_27scan_by_key_config_selectorIifEEZZNS1_16scan_by_key_implILNS1_25lookback_scan_determinismE0ELb1ES3_N6thrust23THRUST_200600_302600_NS6detail15normal_iteratorINS9_10device_ptrIiEEEENSB_INSC_IfEEEESG_fNS9_4plusIvEENS9_8equal_toIvEEfEE10hipError_tPvRmT2_T3_T4_T5_mT6_T7_P12ihipStream_tbENKUlT_T0_E_clISt17integral_constantIbLb0EES10_IbLb1EEEEDaSW_SX_EUlSW_E_NS1_11comp_targetILNS1_3genE9ELNS1_11target_archE1100ELNS1_3gpuE3ELNS1_3repE0EEENS1_30default_config_static_selectorELNS0_4arch9wavefront6targetE1EEEvT1_
                                        ; -- End function
	.section	.AMDGPU.csdata,"",@progbits
; Kernel info:
; codeLenInByte = 0
; NumSgprs: 4
; NumVgprs: 0
; NumAgprs: 0
; TotalNumVgprs: 0
; ScratchSize: 0
; MemoryBound: 0
; FloatMode: 240
; IeeeMode: 1
; LDSByteSize: 0 bytes/workgroup (compile time only)
; SGPRBlocks: 0
; VGPRBlocks: 0
; NumSGPRsForWavesPerEU: 4
; NumVGPRsForWavesPerEU: 1
; AccumOffset: 4
; Occupancy: 8
; WaveLimiterHint : 0
; COMPUTE_PGM_RSRC2:SCRATCH_EN: 0
; COMPUTE_PGM_RSRC2:USER_SGPR: 6
; COMPUTE_PGM_RSRC2:TRAP_HANDLER: 0
; COMPUTE_PGM_RSRC2:TGID_X_EN: 1
; COMPUTE_PGM_RSRC2:TGID_Y_EN: 0
; COMPUTE_PGM_RSRC2:TGID_Z_EN: 0
; COMPUTE_PGM_RSRC2:TIDIG_COMP_CNT: 0
; COMPUTE_PGM_RSRC3_GFX90A:ACCUM_OFFSET: 0
; COMPUTE_PGM_RSRC3_GFX90A:TG_SPLIT: 0
	.section	.text._ZN7rocprim17ROCPRIM_400000_NS6detail17trampoline_kernelINS0_14default_configENS1_27scan_by_key_config_selectorIifEEZZNS1_16scan_by_key_implILNS1_25lookback_scan_determinismE0ELb1ES3_N6thrust23THRUST_200600_302600_NS6detail15normal_iteratorINS9_10device_ptrIiEEEENSB_INSC_IfEEEESG_fNS9_4plusIvEENS9_8equal_toIvEEfEE10hipError_tPvRmT2_T3_T4_T5_mT6_T7_P12ihipStream_tbENKUlT_T0_E_clISt17integral_constantIbLb0EES10_IbLb1EEEEDaSW_SX_EUlSW_E_NS1_11comp_targetILNS1_3genE8ELNS1_11target_archE1030ELNS1_3gpuE2ELNS1_3repE0EEENS1_30default_config_static_selectorELNS0_4arch9wavefront6targetE1EEEvT1_,"axG",@progbits,_ZN7rocprim17ROCPRIM_400000_NS6detail17trampoline_kernelINS0_14default_configENS1_27scan_by_key_config_selectorIifEEZZNS1_16scan_by_key_implILNS1_25lookback_scan_determinismE0ELb1ES3_N6thrust23THRUST_200600_302600_NS6detail15normal_iteratorINS9_10device_ptrIiEEEENSB_INSC_IfEEEESG_fNS9_4plusIvEENS9_8equal_toIvEEfEE10hipError_tPvRmT2_T3_T4_T5_mT6_T7_P12ihipStream_tbENKUlT_T0_E_clISt17integral_constantIbLb0EES10_IbLb1EEEEDaSW_SX_EUlSW_E_NS1_11comp_targetILNS1_3genE8ELNS1_11target_archE1030ELNS1_3gpuE2ELNS1_3repE0EEENS1_30default_config_static_selectorELNS0_4arch9wavefront6targetE1EEEvT1_,comdat
	.protected	_ZN7rocprim17ROCPRIM_400000_NS6detail17trampoline_kernelINS0_14default_configENS1_27scan_by_key_config_selectorIifEEZZNS1_16scan_by_key_implILNS1_25lookback_scan_determinismE0ELb1ES3_N6thrust23THRUST_200600_302600_NS6detail15normal_iteratorINS9_10device_ptrIiEEEENSB_INSC_IfEEEESG_fNS9_4plusIvEENS9_8equal_toIvEEfEE10hipError_tPvRmT2_T3_T4_T5_mT6_T7_P12ihipStream_tbENKUlT_T0_E_clISt17integral_constantIbLb0EES10_IbLb1EEEEDaSW_SX_EUlSW_E_NS1_11comp_targetILNS1_3genE8ELNS1_11target_archE1030ELNS1_3gpuE2ELNS1_3repE0EEENS1_30default_config_static_selectorELNS0_4arch9wavefront6targetE1EEEvT1_ ; -- Begin function _ZN7rocprim17ROCPRIM_400000_NS6detail17trampoline_kernelINS0_14default_configENS1_27scan_by_key_config_selectorIifEEZZNS1_16scan_by_key_implILNS1_25lookback_scan_determinismE0ELb1ES3_N6thrust23THRUST_200600_302600_NS6detail15normal_iteratorINS9_10device_ptrIiEEEENSB_INSC_IfEEEESG_fNS9_4plusIvEENS9_8equal_toIvEEfEE10hipError_tPvRmT2_T3_T4_T5_mT6_T7_P12ihipStream_tbENKUlT_T0_E_clISt17integral_constantIbLb0EES10_IbLb1EEEEDaSW_SX_EUlSW_E_NS1_11comp_targetILNS1_3genE8ELNS1_11target_archE1030ELNS1_3gpuE2ELNS1_3repE0EEENS1_30default_config_static_selectorELNS0_4arch9wavefront6targetE1EEEvT1_
	.globl	_ZN7rocprim17ROCPRIM_400000_NS6detail17trampoline_kernelINS0_14default_configENS1_27scan_by_key_config_selectorIifEEZZNS1_16scan_by_key_implILNS1_25lookback_scan_determinismE0ELb1ES3_N6thrust23THRUST_200600_302600_NS6detail15normal_iteratorINS9_10device_ptrIiEEEENSB_INSC_IfEEEESG_fNS9_4plusIvEENS9_8equal_toIvEEfEE10hipError_tPvRmT2_T3_T4_T5_mT6_T7_P12ihipStream_tbENKUlT_T0_E_clISt17integral_constantIbLb0EES10_IbLb1EEEEDaSW_SX_EUlSW_E_NS1_11comp_targetILNS1_3genE8ELNS1_11target_archE1030ELNS1_3gpuE2ELNS1_3repE0EEENS1_30default_config_static_selectorELNS0_4arch9wavefront6targetE1EEEvT1_
	.p2align	8
	.type	_ZN7rocprim17ROCPRIM_400000_NS6detail17trampoline_kernelINS0_14default_configENS1_27scan_by_key_config_selectorIifEEZZNS1_16scan_by_key_implILNS1_25lookback_scan_determinismE0ELb1ES3_N6thrust23THRUST_200600_302600_NS6detail15normal_iteratorINS9_10device_ptrIiEEEENSB_INSC_IfEEEESG_fNS9_4plusIvEENS9_8equal_toIvEEfEE10hipError_tPvRmT2_T3_T4_T5_mT6_T7_P12ihipStream_tbENKUlT_T0_E_clISt17integral_constantIbLb0EES10_IbLb1EEEEDaSW_SX_EUlSW_E_NS1_11comp_targetILNS1_3genE8ELNS1_11target_archE1030ELNS1_3gpuE2ELNS1_3repE0EEENS1_30default_config_static_selectorELNS0_4arch9wavefront6targetE1EEEvT1_,@function
_ZN7rocprim17ROCPRIM_400000_NS6detail17trampoline_kernelINS0_14default_configENS1_27scan_by_key_config_selectorIifEEZZNS1_16scan_by_key_implILNS1_25lookback_scan_determinismE0ELb1ES3_N6thrust23THRUST_200600_302600_NS6detail15normal_iteratorINS9_10device_ptrIiEEEENSB_INSC_IfEEEESG_fNS9_4plusIvEENS9_8equal_toIvEEfEE10hipError_tPvRmT2_T3_T4_T5_mT6_T7_P12ihipStream_tbENKUlT_T0_E_clISt17integral_constantIbLb0EES10_IbLb1EEEEDaSW_SX_EUlSW_E_NS1_11comp_targetILNS1_3genE8ELNS1_11target_archE1030ELNS1_3gpuE2ELNS1_3repE0EEENS1_30default_config_static_selectorELNS0_4arch9wavefront6targetE1EEEvT1_: ; @_ZN7rocprim17ROCPRIM_400000_NS6detail17trampoline_kernelINS0_14default_configENS1_27scan_by_key_config_selectorIifEEZZNS1_16scan_by_key_implILNS1_25lookback_scan_determinismE0ELb1ES3_N6thrust23THRUST_200600_302600_NS6detail15normal_iteratorINS9_10device_ptrIiEEEENSB_INSC_IfEEEESG_fNS9_4plusIvEENS9_8equal_toIvEEfEE10hipError_tPvRmT2_T3_T4_T5_mT6_T7_P12ihipStream_tbENKUlT_T0_E_clISt17integral_constantIbLb0EES10_IbLb1EEEEDaSW_SX_EUlSW_E_NS1_11comp_targetILNS1_3genE8ELNS1_11target_archE1030ELNS1_3gpuE2ELNS1_3repE0EEENS1_30default_config_static_selectorELNS0_4arch9wavefront6targetE1EEEvT1_
; %bb.0:
	.section	.rodata,"a",@progbits
	.p2align	6, 0x0
	.amdhsa_kernel _ZN7rocprim17ROCPRIM_400000_NS6detail17trampoline_kernelINS0_14default_configENS1_27scan_by_key_config_selectorIifEEZZNS1_16scan_by_key_implILNS1_25lookback_scan_determinismE0ELb1ES3_N6thrust23THRUST_200600_302600_NS6detail15normal_iteratorINS9_10device_ptrIiEEEENSB_INSC_IfEEEESG_fNS9_4plusIvEENS9_8equal_toIvEEfEE10hipError_tPvRmT2_T3_T4_T5_mT6_T7_P12ihipStream_tbENKUlT_T0_E_clISt17integral_constantIbLb0EES10_IbLb1EEEEDaSW_SX_EUlSW_E_NS1_11comp_targetILNS1_3genE8ELNS1_11target_archE1030ELNS1_3gpuE2ELNS1_3repE0EEENS1_30default_config_static_selectorELNS0_4arch9wavefront6targetE1EEEvT1_
		.amdhsa_group_segment_fixed_size 0
		.amdhsa_private_segment_fixed_size 0
		.amdhsa_kernarg_size 112
		.amdhsa_user_sgpr_count 6
		.amdhsa_user_sgpr_private_segment_buffer 1
		.amdhsa_user_sgpr_dispatch_ptr 0
		.amdhsa_user_sgpr_queue_ptr 0
		.amdhsa_user_sgpr_kernarg_segment_ptr 1
		.amdhsa_user_sgpr_dispatch_id 0
		.amdhsa_user_sgpr_flat_scratch_init 0
		.amdhsa_user_sgpr_kernarg_preload_length 0
		.amdhsa_user_sgpr_kernarg_preload_offset 0
		.amdhsa_user_sgpr_private_segment_size 0
		.amdhsa_uses_dynamic_stack 0
		.amdhsa_system_sgpr_private_segment_wavefront_offset 0
		.amdhsa_system_sgpr_workgroup_id_x 1
		.amdhsa_system_sgpr_workgroup_id_y 0
		.amdhsa_system_sgpr_workgroup_id_z 0
		.amdhsa_system_sgpr_workgroup_info 0
		.amdhsa_system_vgpr_workitem_id 0
		.amdhsa_next_free_vgpr 1
		.amdhsa_next_free_sgpr 0
		.amdhsa_accum_offset 4
		.amdhsa_reserve_vcc 0
		.amdhsa_reserve_flat_scratch 0
		.amdhsa_float_round_mode_32 0
		.amdhsa_float_round_mode_16_64 0
		.amdhsa_float_denorm_mode_32 3
		.amdhsa_float_denorm_mode_16_64 3
		.amdhsa_dx10_clamp 1
		.amdhsa_ieee_mode 1
		.amdhsa_fp16_overflow 0
		.amdhsa_tg_split 0
		.amdhsa_exception_fp_ieee_invalid_op 0
		.amdhsa_exception_fp_denorm_src 0
		.amdhsa_exception_fp_ieee_div_zero 0
		.amdhsa_exception_fp_ieee_overflow 0
		.amdhsa_exception_fp_ieee_underflow 0
		.amdhsa_exception_fp_ieee_inexact 0
		.amdhsa_exception_int_div_zero 0
	.end_amdhsa_kernel
	.section	.text._ZN7rocprim17ROCPRIM_400000_NS6detail17trampoline_kernelINS0_14default_configENS1_27scan_by_key_config_selectorIifEEZZNS1_16scan_by_key_implILNS1_25lookback_scan_determinismE0ELb1ES3_N6thrust23THRUST_200600_302600_NS6detail15normal_iteratorINS9_10device_ptrIiEEEENSB_INSC_IfEEEESG_fNS9_4plusIvEENS9_8equal_toIvEEfEE10hipError_tPvRmT2_T3_T4_T5_mT6_T7_P12ihipStream_tbENKUlT_T0_E_clISt17integral_constantIbLb0EES10_IbLb1EEEEDaSW_SX_EUlSW_E_NS1_11comp_targetILNS1_3genE8ELNS1_11target_archE1030ELNS1_3gpuE2ELNS1_3repE0EEENS1_30default_config_static_selectorELNS0_4arch9wavefront6targetE1EEEvT1_,"axG",@progbits,_ZN7rocprim17ROCPRIM_400000_NS6detail17trampoline_kernelINS0_14default_configENS1_27scan_by_key_config_selectorIifEEZZNS1_16scan_by_key_implILNS1_25lookback_scan_determinismE0ELb1ES3_N6thrust23THRUST_200600_302600_NS6detail15normal_iteratorINS9_10device_ptrIiEEEENSB_INSC_IfEEEESG_fNS9_4plusIvEENS9_8equal_toIvEEfEE10hipError_tPvRmT2_T3_T4_T5_mT6_T7_P12ihipStream_tbENKUlT_T0_E_clISt17integral_constantIbLb0EES10_IbLb1EEEEDaSW_SX_EUlSW_E_NS1_11comp_targetILNS1_3genE8ELNS1_11target_archE1030ELNS1_3gpuE2ELNS1_3repE0EEENS1_30default_config_static_selectorELNS0_4arch9wavefront6targetE1EEEvT1_,comdat
.Lfunc_end1462:
	.size	_ZN7rocprim17ROCPRIM_400000_NS6detail17trampoline_kernelINS0_14default_configENS1_27scan_by_key_config_selectorIifEEZZNS1_16scan_by_key_implILNS1_25lookback_scan_determinismE0ELb1ES3_N6thrust23THRUST_200600_302600_NS6detail15normal_iteratorINS9_10device_ptrIiEEEENSB_INSC_IfEEEESG_fNS9_4plusIvEENS9_8equal_toIvEEfEE10hipError_tPvRmT2_T3_T4_T5_mT6_T7_P12ihipStream_tbENKUlT_T0_E_clISt17integral_constantIbLb0EES10_IbLb1EEEEDaSW_SX_EUlSW_E_NS1_11comp_targetILNS1_3genE8ELNS1_11target_archE1030ELNS1_3gpuE2ELNS1_3repE0EEENS1_30default_config_static_selectorELNS0_4arch9wavefront6targetE1EEEvT1_, .Lfunc_end1462-_ZN7rocprim17ROCPRIM_400000_NS6detail17trampoline_kernelINS0_14default_configENS1_27scan_by_key_config_selectorIifEEZZNS1_16scan_by_key_implILNS1_25lookback_scan_determinismE0ELb1ES3_N6thrust23THRUST_200600_302600_NS6detail15normal_iteratorINS9_10device_ptrIiEEEENSB_INSC_IfEEEESG_fNS9_4plusIvEENS9_8equal_toIvEEfEE10hipError_tPvRmT2_T3_T4_T5_mT6_T7_P12ihipStream_tbENKUlT_T0_E_clISt17integral_constantIbLb0EES10_IbLb1EEEEDaSW_SX_EUlSW_E_NS1_11comp_targetILNS1_3genE8ELNS1_11target_archE1030ELNS1_3gpuE2ELNS1_3repE0EEENS1_30default_config_static_selectorELNS0_4arch9wavefront6targetE1EEEvT1_
                                        ; -- End function
	.section	.AMDGPU.csdata,"",@progbits
; Kernel info:
; codeLenInByte = 0
; NumSgprs: 4
; NumVgprs: 0
; NumAgprs: 0
; TotalNumVgprs: 0
; ScratchSize: 0
; MemoryBound: 0
; FloatMode: 240
; IeeeMode: 1
; LDSByteSize: 0 bytes/workgroup (compile time only)
; SGPRBlocks: 0
; VGPRBlocks: 0
; NumSGPRsForWavesPerEU: 4
; NumVGPRsForWavesPerEU: 1
; AccumOffset: 4
; Occupancy: 8
; WaveLimiterHint : 0
; COMPUTE_PGM_RSRC2:SCRATCH_EN: 0
; COMPUTE_PGM_RSRC2:USER_SGPR: 6
; COMPUTE_PGM_RSRC2:TRAP_HANDLER: 0
; COMPUTE_PGM_RSRC2:TGID_X_EN: 1
; COMPUTE_PGM_RSRC2:TGID_Y_EN: 0
; COMPUTE_PGM_RSRC2:TGID_Z_EN: 0
; COMPUTE_PGM_RSRC2:TIDIG_COMP_CNT: 0
; COMPUTE_PGM_RSRC3_GFX90A:ACCUM_OFFSET: 0
; COMPUTE_PGM_RSRC3_GFX90A:TG_SPLIT: 0
	.section	.text._ZN7rocprim17ROCPRIM_400000_NS6detail17trampoline_kernelINS0_14default_configENS1_27scan_by_key_config_selectorIiyEEZZNS1_16scan_by_key_implILNS1_25lookback_scan_determinismE0ELb1ES3_N6thrust23THRUST_200600_302600_NS6detail15normal_iteratorINS9_10device_ptrIiEEEENSB_INSC_IyEEEESG_yNS9_4plusIvEENS9_8equal_toIvEEyEE10hipError_tPvRmT2_T3_T4_T5_mT6_T7_P12ihipStream_tbENKUlT_T0_E_clISt17integral_constantIbLb0EES11_EEDaSW_SX_EUlSW_E_NS1_11comp_targetILNS1_3genE0ELNS1_11target_archE4294967295ELNS1_3gpuE0ELNS1_3repE0EEENS1_30default_config_static_selectorELNS0_4arch9wavefront6targetE1EEEvT1_,"axG",@progbits,_ZN7rocprim17ROCPRIM_400000_NS6detail17trampoline_kernelINS0_14default_configENS1_27scan_by_key_config_selectorIiyEEZZNS1_16scan_by_key_implILNS1_25lookback_scan_determinismE0ELb1ES3_N6thrust23THRUST_200600_302600_NS6detail15normal_iteratorINS9_10device_ptrIiEEEENSB_INSC_IyEEEESG_yNS9_4plusIvEENS9_8equal_toIvEEyEE10hipError_tPvRmT2_T3_T4_T5_mT6_T7_P12ihipStream_tbENKUlT_T0_E_clISt17integral_constantIbLb0EES11_EEDaSW_SX_EUlSW_E_NS1_11comp_targetILNS1_3genE0ELNS1_11target_archE4294967295ELNS1_3gpuE0ELNS1_3repE0EEENS1_30default_config_static_selectorELNS0_4arch9wavefront6targetE1EEEvT1_,comdat
	.protected	_ZN7rocprim17ROCPRIM_400000_NS6detail17trampoline_kernelINS0_14default_configENS1_27scan_by_key_config_selectorIiyEEZZNS1_16scan_by_key_implILNS1_25lookback_scan_determinismE0ELb1ES3_N6thrust23THRUST_200600_302600_NS6detail15normal_iteratorINS9_10device_ptrIiEEEENSB_INSC_IyEEEESG_yNS9_4plusIvEENS9_8equal_toIvEEyEE10hipError_tPvRmT2_T3_T4_T5_mT6_T7_P12ihipStream_tbENKUlT_T0_E_clISt17integral_constantIbLb0EES11_EEDaSW_SX_EUlSW_E_NS1_11comp_targetILNS1_3genE0ELNS1_11target_archE4294967295ELNS1_3gpuE0ELNS1_3repE0EEENS1_30default_config_static_selectorELNS0_4arch9wavefront6targetE1EEEvT1_ ; -- Begin function _ZN7rocprim17ROCPRIM_400000_NS6detail17trampoline_kernelINS0_14default_configENS1_27scan_by_key_config_selectorIiyEEZZNS1_16scan_by_key_implILNS1_25lookback_scan_determinismE0ELb1ES3_N6thrust23THRUST_200600_302600_NS6detail15normal_iteratorINS9_10device_ptrIiEEEENSB_INSC_IyEEEESG_yNS9_4plusIvEENS9_8equal_toIvEEyEE10hipError_tPvRmT2_T3_T4_T5_mT6_T7_P12ihipStream_tbENKUlT_T0_E_clISt17integral_constantIbLb0EES11_EEDaSW_SX_EUlSW_E_NS1_11comp_targetILNS1_3genE0ELNS1_11target_archE4294967295ELNS1_3gpuE0ELNS1_3repE0EEENS1_30default_config_static_selectorELNS0_4arch9wavefront6targetE1EEEvT1_
	.globl	_ZN7rocprim17ROCPRIM_400000_NS6detail17trampoline_kernelINS0_14default_configENS1_27scan_by_key_config_selectorIiyEEZZNS1_16scan_by_key_implILNS1_25lookback_scan_determinismE0ELb1ES3_N6thrust23THRUST_200600_302600_NS6detail15normal_iteratorINS9_10device_ptrIiEEEENSB_INSC_IyEEEESG_yNS9_4plusIvEENS9_8equal_toIvEEyEE10hipError_tPvRmT2_T3_T4_T5_mT6_T7_P12ihipStream_tbENKUlT_T0_E_clISt17integral_constantIbLb0EES11_EEDaSW_SX_EUlSW_E_NS1_11comp_targetILNS1_3genE0ELNS1_11target_archE4294967295ELNS1_3gpuE0ELNS1_3repE0EEENS1_30default_config_static_selectorELNS0_4arch9wavefront6targetE1EEEvT1_
	.p2align	8
	.type	_ZN7rocprim17ROCPRIM_400000_NS6detail17trampoline_kernelINS0_14default_configENS1_27scan_by_key_config_selectorIiyEEZZNS1_16scan_by_key_implILNS1_25lookback_scan_determinismE0ELb1ES3_N6thrust23THRUST_200600_302600_NS6detail15normal_iteratorINS9_10device_ptrIiEEEENSB_INSC_IyEEEESG_yNS9_4plusIvEENS9_8equal_toIvEEyEE10hipError_tPvRmT2_T3_T4_T5_mT6_T7_P12ihipStream_tbENKUlT_T0_E_clISt17integral_constantIbLb0EES11_EEDaSW_SX_EUlSW_E_NS1_11comp_targetILNS1_3genE0ELNS1_11target_archE4294967295ELNS1_3gpuE0ELNS1_3repE0EEENS1_30default_config_static_selectorELNS0_4arch9wavefront6targetE1EEEvT1_,@function
_ZN7rocprim17ROCPRIM_400000_NS6detail17trampoline_kernelINS0_14default_configENS1_27scan_by_key_config_selectorIiyEEZZNS1_16scan_by_key_implILNS1_25lookback_scan_determinismE0ELb1ES3_N6thrust23THRUST_200600_302600_NS6detail15normal_iteratorINS9_10device_ptrIiEEEENSB_INSC_IyEEEESG_yNS9_4plusIvEENS9_8equal_toIvEEyEE10hipError_tPvRmT2_T3_T4_T5_mT6_T7_P12ihipStream_tbENKUlT_T0_E_clISt17integral_constantIbLb0EES11_EEDaSW_SX_EUlSW_E_NS1_11comp_targetILNS1_3genE0ELNS1_11target_archE4294967295ELNS1_3gpuE0ELNS1_3repE0EEENS1_30default_config_static_selectorELNS0_4arch9wavefront6targetE1EEEvT1_: ; @_ZN7rocprim17ROCPRIM_400000_NS6detail17trampoline_kernelINS0_14default_configENS1_27scan_by_key_config_selectorIiyEEZZNS1_16scan_by_key_implILNS1_25lookback_scan_determinismE0ELb1ES3_N6thrust23THRUST_200600_302600_NS6detail15normal_iteratorINS9_10device_ptrIiEEEENSB_INSC_IyEEEESG_yNS9_4plusIvEENS9_8equal_toIvEEyEE10hipError_tPvRmT2_T3_T4_T5_mT6_T7_P12ihipStream_tbENKUlT_T0_E_clISt17integral_constantIbLb0EES11_EEDaSW_SX_EUlSW_E_NS1_11comp_targetILNS1_3genE0ELNS1_11target_archE4294967295ELNS1_3gpuE0ELNS1_3repE0EEENS1_30default_config_static_selectorELNS0_4arch9wavefront6targetE1EEEvT1_
; %bb.0:
	.section	.rodata,"a",@progbits
	.p2align	6, 0x0
	.amdhsa_kernel _ZN7rocprim17ROCPRIM_400000_NS6detail17trampoline_kernelINS0_14default_configENS1_27scan_by_key_config_selectorIiyEEZZNS1_16scan_by_key_implILNS1_25lookback_scan_determinismE0ELb1ES3_N6thrust23THRUST_200600_302600_NS6detail15normal_iteratorINS9_10device_ptrIiEEEENSB_INSC_IyEEEESG_yNS9_4plusIvEENS9_8equal_toIvEEyEE10hipError_tPvRmT2_T3_T4_T5_mT6_T7_P12ihipStream_tbENKUlT_T0_E_clISt17integral_constantIbLb0EES11_EEDaSW_SX_EUlSW_E_NS1_11comp_targetILNS1_3genE0ELNS1_11target_archE4294967295ELNS1_3gpuE0ELNS1_3repE0EEENS1_30default_config_static_selectorELNS0_4arch9wavefront6targetE1EEEvT1_
		.amdhsa_group_segment_fixed_size 0
		.amdhsa_private_segment_fixed_size 0
		.amdhsa_kernarg_size 136
		.amdhsa_user_sgpr_count 6
		.amdhsa_user_sgpr_private_segment_buffer 1
		.amdhsa_user_sgpr_dispatch_ptr 0
		.amdhsa_user_sgpr_queue_ptr 0
		.amdhsa_user_sgpr_kernarg_segment_ptr 1
		.amdhsa_user_sgpr_dispatch_id 0
		.amdhsa_user_sgpr_flat_scratch_init 0
		.amdhsa_user_sgpr_kernarg_preload_length 0
		.amdhsa_user_sgpr_kernarg_preload_offset 0
		.amdhsa_user_sgpr_private_segment_size 0
		.amdhsa_uses_dynamic_stack 0
		.amdhsa_system_sgpr_private_segment_wavefront_offset 0
		.amdhsa_system_sgpr_workgroup_id_x 1
		.amdhsa_system_sgpr_workgroup_id_y 0
		.amdhsa_system_sgpr_workgroup_id_z 0
		.amdhsa_system_sgpr_workgroup_info 0
		.amdhsa_system_vgpr_workitem_id 0
		.amdhsa_next_free_vgpr 1
		.amdhsa_next_free_sgpr 0
		.amdhsa_accum_offset 4
		.amdhsa_reserve_vcc 0
		.amdhsa_reserve_flat_scratch 0
		.amdhsa_float_round_mode_32 0
		.amdhsa_float_round_mode_16_64 0
		.amdhsa_float_denorm_mode_32 3
		.amdhsa_float_denorm_mode_16_64 3
		.amdhsa_dx10_clamp 1
		.amdhsa_ieee_mode 1
		.amdhsa_fp16_overflow 0
		.amdhsa_tg_split 0
		.amdhsa_exception_fp_ieee_invalid_op 0
		.amdhsa_exception_fp_denorm_src 0
		.amdhsa_exception_fp_ieee_div_zero 0
		.amdhsa_exception_fp_ieee_overflow 0
		.amdhsa_exception_fp_ieee_underflow 0
		.amdhsa_exception_fp_ieee_inexact 0
		.amdhsa_exception_int_div_zero 0
	.end_amdhsa_kernel
	.section	.text._ZN7rocprim17ROCPRIM_400000_NS6detail17trampoline_kernelINS0_14default_configENS1_27scan_by_key_config_selectorIiyEEZZNS1_16scan_by_key_implILNS1_25lookback_scan_determinismE0ELb1ES3_N6thrust23THRUST_200600_302600_NS6detail15normal_iteratorINS9_10device_ptrIiEEEENSB_INSC_IyEEEESG_yNS9_4plusIvEENS9_8equal_toIvEEyEE10hipError_tPvRmT2_T3_T4_T5_mT6_T7_P12ihipStream_tbENKUlT_T0_E_clISt17integral_constantIbLb0EES11_EEDaSW_SX_EUlSW_E_NS1_11comp_targetILNS1_3genE0ELNS1_11target_archE4294967295ELNS1_3gpuE0ELNS1_3repE0EEENS1_30default_config_static_selectorELNS0_4arch9wavefront6targetE1EEEvT1_,"axG",@progbits,_ZN7rocprim17ROCPRIM_400000_NS6detail17trampoline_kernelINS0_14default_configENS1_27scan_by_key_config_selectorIiyEEZZNS1_16scan_by_key_implILNS1_25lookback_scan_determinismE0ELb1ES3_N6thrust23THRUST_200600_302600_NS6detail15normal_iteratorINS9_10device_ptrIiEEEENSB_INSC_IyEEEESG_yNS9_4plusIvEENS9_8equal_toIvEEyEE10hipError_tPvRmT2_T3_T4_T5_mT6_T7_P12ihipStream_tbENKUlT_T0_E_clISt17integral_constantIbLb0EES11_EEDaSW_SX_EUlSW_E_NS1_11comp_targetILNS1_3genE0ELNS1_11target_archE4294967295ELNS1_3gpuE0ELNS1_3repE0EEENS1_30default_config_static_selectorELNS0_4arch9wavefront6targetE1EEEvT1_,comdat
.Lfunc_end1463:
	.size	_ZN7rocprim17ROCPRIM_400000_NS6detail17trampoline_kernelINS0_14default_configENS1_27scan_by_key_config_selectorIiyEEZZNS1_16scan_by_key_implILNS1_25lookback_scan_determinismE0ELb1ES3_N6thrust23THRUST_200600_302600_NS6detail15normal_iteratorINS9_10device_ptrIiEEEENSB_INSC_IyEEEESG_yNS9_4plusIvEENS9_8equal_toIvEEyEE10hipError_tPvRmT2_T3_T4_T5_mT6_T7_P12ihipStream_tbENKUlT_T0_E_clISt17integral_constantIbLb0EES11_EEDaSW_SX_EUlSW_E_NS1_11comp_targetILNS1_3genE0ELNS1_11target_archE4294967295ELNS1_3gpuE0ELNS1_3repE0EEENS1_30default_config_static_selectorELNS0_4arch9wavefront6targetE1EEEvT1_, .Lfunc_end1463-_ZN7rocprim17ROCPRIM_400000_NS6detail17trampoline_kernelINS0_14default_configENS1_27scan_by_key_config_selectorIiyEEZZNS1_16scan_by_key_implILNS1_25lookback_scan_determinismE0ELb1ES3_N6thrust23THRUST_200600_302600_NS6detail15normal_iteratorINS9_10device_ptrIiEEEENSB_INSC_IyEEEESG_yNS9_4plusIvEENS9_8equal_toIvEEyEE10hipError_tPvRmT2_T3_T4_T5_mT6_T7_P12ihipStream_tbENKUlT_T0_E_clISt17integral_constantIbLb0EES11_EEDaSW_SX_EUlSW_E_NS1_11comp_targetILNS1_3genE0ELNS1_11target_archE4294967295ELNS1_3gpuE0ELNS1_3repE0EEENS1_30default_config_static_selectorELNS0_4arch9wavefront6targetE1EEEvT1_
                                        ; -- End function
	.section	.AMDGPU.csdata,"",@progbits
; Kernel info:
; codeLenInByte = 0
; NumSgprs: 4
; NumVgprs: 0
; NumAgprs: 0
; TotalNumVgprs: 0
; ScratchSize: 0
; MemoryBound: 0
; FloatMode: 240
; IeeeMode: 1
; LDSByteSize: 0 bytes/workgroup (compile time only)
; SGPRBlocks: 0
; VGPRBlocks: 0
; NumSGPRsForWavesPerEU: 4
; NumVGPRsForWavesPerEU: 1
; AccumOffset: 4
; Occupancy: 8
; WaveLimiterHint : 0
; COMPUTE_PGM_RSRC2:SCRATCH_EN: 0
; COMPUTE_PGM_RSRC2:USER_SGPR: 6
; COMPUTE_PGM_RSRC2:TRAP_HANDLER: 0
; COMPUTE_PGM_RSRC2:TGID_X_EN: 1
; COMPUTE_PGM_RSRC2:TGID_Y_EN: 0
; COMPUTE_PGM_RSRC2:TGID_Z_EN: 0
; COMPUTE_PGM_RSRC2:TIDIG_COMP_CNT: 0
; COMPUTE_PGM_RSRC3_GFX90A:ACCUM_OFFSET: 0
; COMPUTE_PGM_RSRC3_GFX90A:TG_SPLIT: 0
	.section	.text._ZN7rocprim17ROCPRIM_400000_NS6detail17trampoline_kernelINS0_14default_configENS1_27scan_by_key_config_selectorIiyEEZZNS1_16scan_by_key_implILNS1_25lookback_scan_determinismE0ELb1ES3_N6thrust23THRUST_200600_302600_NS6detail15normal_iteratorINS9_10device_ptrIiEEEENSB_INSC_IyEEEESG_yNS9_4plusIvEENS9_8equal_toIvEEyEE10hipError_tPvRmT2_T3_T4_T5_mT6_T7_P12ihipStream_tbENKUlT_T0_E_clISt17integral_constantIbLb0EES11_EEDaSW_SX_EUlSW_E_NS1_11comp_targetILNS1_3genE10ELNS1_11target_archE1201ELNS1_3gpuE5ELNS1_3repE0EEENS1_30default_config_static_selectorELNS0_4arch9wavefront6targetE1EEEvT1_,"axG",@progbits,_ZN7rocprim17ROCPRIM_400000_NS6detail17trampoline_kernelINS0_14default_configENS1_27scan_by_key_config_selectorIiyEEZZNS1_16scan_by_key_implILNS1_25lookback_scan_determinismE0ELb1ES3_N6thrust23THRUST_200600_302600_NS6detail15normal_iteratorINS9_10device_ptrIiEEEENSB_INSC_IyEEEESG_yNS9_4plusIvEENS9_8equal_toIvEEyEE10hipError_tPvRmT2_T3_T4_T5_mT6_T7_P12ihipStream_tbENKUlT_T0_E_clISt17integral_constantIbLb0EES11_EEDaSW_SX_EUlSW_E_NS1_11comp_targetILNS1_3genE10ELNS1_11target_archE1201ELNS1_3gpuE5ELNS1_3repE0EEENS1_30default_config_static_selectorELNS0_4arch9wavefront6targetE1EEEvT1_,comdat
	.protected	_ZN7rocprim17ROCPRIM_400000_NS6detail17trampoline_kernelINS0_14default_configENS1_27scan_by_key_config_selectorIiyEEZZNS1_16scan_by_key_implILNS1_25lookback_scan_determinismE0ELb1ES3_N6thrust23THRUST_200600_302600_NS6detail15normal_iteratorINS9_10device_ptrIiEEEENSB_INSC_IyEEEESG_yNS9_4plusIvEENS9_8equal_toIvEEyEE10hipError_tPvRmT2_T3_T4_T5_mT6_T7_P12ihipStream_tbENKUlT_T0_E_clISt17integral_constantIbLb0EES11_EEDaSW_SX_EUlSW_E_NS1_11comp_targetILNS1_3genE10ELNS1_11target_archE1201ELNS1_3gpuE5ELNS1_3repE0EEENS1_30default_config_static_selectorELNS0_4arch9wavefront6targetE1EEEvT1_ ; -- Begin function _ZN7rocprim17ROCPRIM_400000_NS6detail17trampoline_kernelINS0_14default_configENS1_27scan_by_key_config_selectorIiyEEZZNS1_16scan_by_key_implILNS1_25lookback_scan_determinismE0ELb1ES3_N6thrust23THRUST_200600_302600_NS6detail15normal_iteratorINS9_10device_ptrIiEEEENSB_INSC_IyEEEESG_yNS9_4plusIvEENS9_8equal_toIvEEyEE10hipError_tPvRmT2_T3_T4_T5_mT6_T7_P12ihipStream_tbENKUlT_T0_E_clISt17integral_constantIbLb0EES11_EEDaSW_SX_EUlSW_E_NS1_11comp_targetILNS1_3genE10ELNS1_11target_archE1201ELNS1_3gpuE5ELNS1_3repE0EEENS1_30default_config_static_selectorELNS0_4arch9wavefront6targetE1EEEvT1_
	.globl	_ZN7rocprim17ROCPRIM_400000_NS6detail17trampoline_kernelINS0_14default_configENS1_27scan_by_key_config_selectorIiyEEZZNS1_16scan_by_key_implILNS1_25lookback_scan_determinismE0ELb1ES3_N6thrust23THRUST_200600_302600_NS6detail15normal_iteratorINS9_10device_ptrIiEEEENSB_INSC_IyEEEESG_yNS9_4plusIvEENS9_8equal_toIvEEyEE10hipError_tPvRmT2_T3_T4_T5_mT6_T7_P12ihipStream_tbENKUlT_T0_E_clISt17integral_constantIbLb0EES11_EEDaSW_SX_EUlSW_E_NS1_11comp_targetILNS1_3genE10ELNS1_11target_archE1201ELNS1_3gpuE5ELNS1_3repE0EEENS1_30default_config_static_selectorELNS0_4arch9wavefront6targetE1EEEvT1_
	.p2align	8
	.type	_ZN7rocprim17ROCPRIM_400000_NS6detail17trampoline_kernelINS0_14default_configENS1_27scan_by_key_config_selectorIiyEEZZNS1_16scan_by_key_implILNS1_25lookback_scan_determinismE0ELb1ES3_N6thrust23THRUST_200600_302600_NS6detail15normal_iteratorINS9_10device_ptrIiEEEENSB_INSC_IyEEEESG_yNS9_4plusIvEENS9_8equal_toIvEEyEE10hipError_tPvRmT2_T3_T4_T5_mT6_T7_P12ihipStream_tbENKUlT_T0_E_clISt17integral_constantIbLb0EES11_EEDaSW_SX_EUlSW_E_NS1_11comp_targetILNS1_3genE10ELNS1_11target_archE1201ELNS1_3gpuE5ELNS1_3repE0EEENS1_30default_config_static_selectorELNS0_4arch9wavefront6targetE1EEEvT1_,@function
_ZN7rocprim17ROCPRIM_400000_NS6detail17trampoline_kernelINS0_14default_configENS1_27scan_by_key_config_selectorIiyEEZZNS1_16scan_by_key_implILNS1_25lookback_scan_determinismE0ELb1ES3_N6thrust23THRUST_200600_302600_NS6detail15normal_iteratorINS9_10device_ptrIiEEEENSB_INSC_IyEEEESG_yNS9_4plusIvEENS9_8equal_toIvEEyEE10hipError_tPvRmT2_T3_T4_T5_mT6_T7_P12ihipStream_tbENKUlT_T0_E_clISt17integral_constantIbLb0EES11_EEDaSW_SX_EUlSW_E_NS1_11comp_targetILNS1_3genE10ELNS1_11target_archE1201ELNS1_3gpuE5ELNS1_3repE0EEENS1_30default_config_static_selectorELNS0_4arch9wavefront6targetE1EEEvT1_: ; @_ZN7rocprim17ROCPRIM_400000_NS6detail17trampoline_kernelINS0_14default_configENS1_27scan_by_key_config_selectorIiyEEZZNS1_16scan_by_key_implILNS1_25lookback_scan_determinismE0ELb1ES3_N6thrust23THRUST_200600_302600_NS6detail15normal_iteratorINS9_10device_ptrIiEEEENSB_INSC_IyEEEESG_yNS9_4plusIvEENS9_8equal_toIvEEyEE10hipError_tPvRmT2_T3_T4_T5_mT6_T7_P12ihipStream_tbENKUlT_T0_E_clISt17integral_constantIbLb0EES11_EEDaSW_SX_EUlSW_E_NS1_11comp_targetILNS1_3genE10ELNS1_11target_archE1201ELNS1_3gpuE5ELNS1_3repE0EEENS1_30default_config_static_selectorELNS0_4arch9wavefront6targetE1EEEvT1_
; %bb.0:
	.section	.rodata,"a",@progbits
	.p2align	6, 0x0
	.amdhsa_kernel _ZN7rocprim17ROCPRIM_400000_NS6detail17trampoline_kernelINS0_14default_configENS1_27scan_by_key_config_selectorIiyEEZZNS1_16scan_by_key_implILNS1_25lookback_scan_determinismE0ELb1ES3_N6thrust23THRUST_200600_302600_NS6detail15normal_iteratorINS9_10device_ptrIiEEEENSB_INSC_IyEEEESG_yNS9_4plusIvEENS9_8equal_toIvEEyEE10hipError_tPvRmT2_T3_T4_T5_mT6_T7_P12ihipStream_tbENKUlT_T0_E_clISt17integral_constantIbLb0EES11_EEDaSW_SX_EUlSW_E_NS1_11comp_targetILNS1_3genE10ELNS1_11target_archE1201ELNS1_3gpuE5ELNS1_3repE0EEENS1_30default_config_static_selectorELNS0_4arch9wavefront6targetE1EEEvT1_
		.amdhsa_group_segment_fixed_size 0
		.amdhsa_private_segment_fixed_size 0
		.amdhsa_kernarg_size 136
		.amdhsa_user_sgpr_count 6
		.amdhsa_user_sgpr_private_segment_buffer 1
		.amdhsa_user_sgpr_dispatch_ptr 0
		.amdhsa_user_sgpr_queue_ptr 0
		.amdhsa_user_sgpr_kernarg_segment_ptr 1
		.amdhsa_user_sgpr_dispatch_id 0
		.amdhsa_user_sgpr_flat_scratch_init 0
		.amdhsa_user_sgpr_kernarg_preload_length 0
		.amdhsa_user_sgpr_kernarg_preload_offset 0
		.amdhsa_user_sgpr_private_segment_size 0
		.amdhsa_uses_dynamic_stack 0
		.amdhsa_system_sgpr_private_segment_wavefront_offset 0
		.amdhsa_system_sgpr_workgroup_id_x 1
		.amdhsa_system_sgpr_workgroup_id_y 0
		.amdhsa_system_sgpr_workgroup_id_z 0
		.amdhsa_system_sgpr_workgroup_info 0
		.amdhsa_system_vgpr_workitem_id 0
		.amdhsa_next_free_vgpr 1
		.amdhsa_next_free_sgpr 0
		.amdhsa_accum_offset 4
		.amdhsa_reserve_vcc 0
		.amdhsa_reserve_flat_scratch 0
		.amdhsa_float_round_mode_32 0
		.amdhsa_float_round_mode_16_64 0
		.amdhsa_float_denorm_mode_32 3
		.amdhsa_float_denorm_mode_16_64 3
		.amdhsa_dx10_clamp 1
		.amdhsa_ieee_mode 1
		.amdhsa_fp16_overflow 0
		.amdhsa_tg_split 0
		.amdhsa_exception_fp_ieee_invalid_op 0
		.amdhsa_exception_fp_denorm_src 0
		.amdhsa_exception_fp_ieee_div_zero 0
		.amdhsa_exception_fp_ieee_overflow 0
		.amdhsa_exception_fp_ieee_underflow 0
		.amdhsa_exception_fp_ieee_inexact 0
		.amdhsa_exception_int_div_zero 0
	.end_amdhsa_kernel
	.section	.text._ZN7rocprim17ROCPRIM_400000_NS6detail17trampoline_kernelINS0_14default_configENS1_27scan_by_key_config_selectorIiyEEZZNS1_16scan_by_key_implILNS1_25lookback_scan_determinismE0ELb1ES3_N6thrust23THRUST_200600_302600_NS6detail15normal_iteratorINS9_10device_ptrIiEEEENSB_INSC_IyEEEESG_yNS9_4plusIvEENS9_8equal_toIvEEyEE10hipError_tPvRmT2_T3_T4_T5_mT6_T7_P12ihipStream_tbENKUlT_T0_E_clISt17integral_constantIbLb0EES11_EEDaSW_SX_EUlSW_E_NS1_11comp_targetILNS1_3genE10ELNS1_11target_archE1201ELNS1_3gpuE5ELNS1_3repE0EEENS1_30default_config_static_selectorELNS0_4arch9wavefront6targetE1EEEvT1_,"axG",@progbits,_ZN7rocprim17ROCPRIM_400000_NS6detail17trampoline_kernelINS0_14default_configENS1_27scan_by_key_config_selectorIiyEEZZNS1_16scan_by_key_implILNS1_25lookback_scan_determinismE0ELb1ES3_N6thrust23THRUST_200600_302600_NS6detail15normal_iteratorINS9_10device_ptrIiEEEENSB_INSC_IyEEEESG_yNS9_4plusIvEENS9_8equal_toIvEEyEE10hipError_tPvRmT2_T3_T4_T5_mT6_T7_P12ihipStream_tbENKUlT_T0_E_clISt17integral_constantIbLb0EES11_EEDaSW_SX_EUlSW_E_NS1_11comp_targetILNS1_3genE10ELNS1_11target_archE1201ELNS1_3gpuE5ELNS1_3repE0EEENS1_30default_config_static_selectorELNS0_4arch9wavefront6targetE1EEEvT1_,comdat
.Lfunc_end1464:
	.size	_ZN7rocprim17ROCPRIM_400000_NS6detail17trampoline_kernelINS0_14default_configENS1_27scan_by_key_config_selectorIiyEEZZNS1_16scan_by_key_implILNS1_25lookback_scan_determinismE0ELb1ES3_N6thrust23THRUST_200600_302600_NS6detail15normal_iteratorINS9_10device_ptrIiEEEENSB_INSC_IyEEEESG_yNS9_4plusIvEENS9_8equal_toIvEEyEE10hipError_tPvRmT2_T3_T4_T5_mT6_T7_P12ihipStream_tbENKUlT_T0_E_clISt17integral_constantIbLb0EES11_EEDaSW_SX_EUlSW_E_NS1_11comp_targetILNS1_3genE10ELNS1_11target_archE1201ELNS1_3gpuE5ELNS1_3repE0EEENS1_30default_config_static_selectorELNS0_4arch9wavefront6targetE1EEEvT1_, .Lfunc_end1464-_ZN7rocprim17ROCPRIM_400000_NS6detail17trampoline_kernelINS0_14default_configENS1_27scan_by_key_config_selectorIiyEEZZNS1_16scan_by_key_implILNS1_25lookback_scan_determinismE0ELb1ES3_N6thrust23THRUST_200600_302600_NS6detail15normal_iteratorINS9_10device_ptrIiEEEENSB_INSC_IyEEEESG_yNS9_4plusIvEENS9_8equal_toIvEEyEE10hipError_tPvRmT2_T3_T4_T5_mT6_T7_P12ihipStream_tbENKUlT_T0_E_clISt17integral_constantIbLb0EES11_EEDaSW_SX_EUlSW_E_NS1_11comp_targetILNS1_3genE10ELNS1_11target_archE1201ELNS1_3gpuE5ELNS1_3repE0EEENS1_30default_config_static_selectorELNS0_4arch9wavefront6targetE1EEEvT1_
                                        ; -- End function
	.section	.AMDGPU.csdata,"",@progbits
; Kernel info:
; codeLenInByte = 0
; NumSgprs: 4
; NumVgprs: 0
; NumAgprs: 0
; TotalNumVgprs: 0
; ScratchSize: 0
; MemoryBound: 0
; FloatMode: 240
; IeeeMode: 1
; LDSByteSize: 0 bytes/workgroup (compile time only)
; SGPRBlocks: 0
; VGPRBlocks: 0
; NumSGPRsForWavesPerEU: 4
; NumVGPRsForWavesPerEU: 1
; AccumOffset: 4
; Occupancy: 8
; WaveLimiterHint : 0
; COMPUTE_PGM_RSRC2:SCRATCH_EN: 0
; COMPUTE_PGM_RSRC2:USER_SGPR: 6
; COMPUTE_PGM_RSRC2:TRAP_HANDLER: 0
; COMPUTE_PGM_RSRC2:TGID_X_EN: 1
; COMPUTE_PGM_RSRC2:TGID_Y_EN: 0
; COMPUTE_PGM_RSRC2:TGID_Z_EN: 0
; COMPUTE_PGM_RSRC2:TIDIG_COMP_CNT: 0
; COMPUTE_PGM_RSRC3_GFX90A:ACCUM_OFFSET: 0
; COMPUTE_PGM_RSRC3_GFX90A:TG_SPLIT: 0
	.section	.text._ZN7rocprim17ROCPRIM_400000_NS6detail17trampoline_kernelINS0_14default_configENS1_27scan_by_key_config_selectorIiyEEZZNS1_16scan_by_key_implILNS1_25lookback_scan_determinismE0ELb1ES3_N6thrust23THRUST_200600_302600_NS6detail15normal_iteratorINS9_10device_ptrIiEEEENSB_INSC_IyEEEESG_yNS9_4plusIvEENS9_8equal_toIvEEyEE10hipError_tPvRmT2_T3_T4_T5_mT6_T7_P12ihipStream_tbENKUlT_T0_E_clISt17integral_constantIbLb0EES11_EEDaSW_SX_EUlSW_E_NS1_11comp_targetILNS1_3genE5ELNS1_11target_archE942ELNS1_3gpuE9ELNS1_3repE0EEENS1_30default_config_static_selectorELNS0_4arch9wavefront6targetE1EEEvT1_,"axG",@progbits,_ZN7rocprim17ROCPRIM_400000_NS6detail17trampoline_kernelINS0_14default_configENS1_27scan_by_key_config_selectorIiyEEZZNS1_16scan_by_key_implILNS1_25lookback_scan_determinismE0ELb1ES3_N6thrust23THRUST_200600_302600_NS6detail15normal_iteratorINS9_10device_ptrIiEEEENSB_INSC_IyEEEESG_yNS9_4plusIvEENS9_8equal_toIvEEyEE10hipError_tPvRmT2_T3_T4_T5_mT6_T7_P12ihipStream_tbENKUlT_T0_E_clISt17integral_constantIbLb0EES11_EEDaSW_SX_EUlSW_E_NS1_11comp_targetILNS1_3genE5ELNS1_11target_archE942ELNS1_3gpuE9ELNS1_3repE0EEENS1_30default_config_static_selectorELNS0_4arch9wavefront6targetE1EEEvT1_,comdat
	.protected	_ZN7rocprim17ROCPRIM_400000_NS6detail17trampoline_kernelINS0_14default_configENS1_27scan_by_key_config_selectorIiyEEZZNS1_16scan_by_key_implILNS1_25lookback_scan_determinismE0ELb1ES3_N6thrust23THRUST_200600_302600_NS6detail15normal_iteratorINS9_10device_ptrIiEEEENSB_INSC_IyEEEESG_yNS9_4plusIvEENS9_8equal_toIvEEyEE10hipError_tPvRmT2_T3_T4_T5_mT6_T7_P12ihipStream_tbENKUlT_T0_E_clISt17integral_constantIbLb0EES11_EEDaSW_SX_EUlSW_E_NS1_11comp_targetILNS1_3genE5ELNS1_11target_archE942ELNS1_3gpuE9ELNS1_3repE0EEENS1_30default_config_static_selectorELNS0_4arch9wavefront6targetE1EEEvT1_ ; -- Begin function _ZN7rocprim17ROCPRIM_400000_NS6detail17trampoline_kernelINS0_14default_configENS1_27scan_by_key_config_selectorIiyEEZZNS1_16scan_by_key_implILNS1_25lookback_scan_determinismE0ELb1ES3_N6thrust23THRUST_200600_302600_NS6detail15normal_iteratorINS9_10device_ptrIiEEEENSB_INSC_IyEEEESG_yNS9_4plusIvEENS9_8equal_toIvEEyEE10hipError_tPvRmT2_T3_T4_T5_mT6_T7_P12ihipStream_tbENKUlT_T0_E_clISt17integral_constantIbLb0EES11_EEDaSW_SX_EUlSW_E_NS1_11comp_targetILNS1_3genE5ELNS1_11target_archE942ELNS1_3gpuE9ELNS1_3repE0EEENS1_30default_config_static_selectorELNS0_4arch9wavefront6targetE1EEEvT1_
	.globl	_ZN7rocprim17ROCPRIM_400000_NS6detail17trampoline_kernelINS0_14default_configENS1_27scan_by_key_config_selectorIiyEEZZNS1_16scan_by_key_implILNS1_25lookback_scan_determinismE0ELb1ES3_N6thrust23THRUST_200600_302600_NS6detail15normal_iteratorINS9_10device_ptrIiEEEENSB_INSC_IyEEEESG_yNS9_4plusIvEENS9_8equal_toIvEEyEE10hipError_tPvRmT2_T3_T4_T5_mT6_T7_P12ihipStream_tbENKUlT_T0_E_clISt17integral_constantIbLb0EES11_EEDaSW_SX_EUlSW_E_NS1_11comp_targetILNS1_3genE5ELNS1_11target_archE942ELNS1_3gpuE9ELNS1_3repE0EEENS1_30default_config_static_selectorELNS0_4arch9wavefront6targetE1EEEvT1_
	.p2align	8
	.type	_ZN7rocprim17ROCPRIM_400000_NS6detail17trampoline_kernelINS0_14default_configENS1_27scan_by_key_config_selectorIiyEEZZNS1_16scan_by_key_implILNS1_25lookback_scan_determinismE0ELb1ES3_N6thrust23THRUST_200600_302600_NS6detail15normal_iteratorINS9_10device_ptrIiEEEENSB_INSC_IyEEEESG_yNS9_4plusIvEENS9_8equal_toIvEEyEE10hipError_tPvRmT2_T3_T4_T5_mT6_T7_P12ihipStream_tbENKUlT_T0_E_clISt17integral_constantIbLb0EES11_EEDaSW_SX_EUlSW_E_NS1_11comp_targetILNS1_3genE5ELNS1_11target_archE942ELNS1_3gpuE9ELNS1_3repE0EEENS1_30default_config_static_selectorELNS0_4arch9wavefront6targetE1EEEvT1_,@function
_ZN7rocprim17ROCPRIM_400000_NS6detail17trampoline_kernelINS0_14default_configENS1_27scan_by_key_config_selectorIiyEEZZNS1_16scan_by_key_implILNS1_25lookback_scan_determinismE0ELb1ES3_N6thrust23THRUST_200600_302600_NS6detail15normal_iteratorINS9_10device_ptrIiEEEENSB_INSC_IyEEEESG_yNS9_4plusIvEENS9_8equal_toIvEEyEE10hipError_tPvRmT2_T3_T4_T5_mT6_T7_P12ihipStream_tbENKUlT_T0_E_clISt17integral_constantIbLb0EES11_EEDaSW_SX_EUlSW_E_NS1_11comp_targetILNS1_3genE5ELNS1_11target_archE942ELNS1_3gpuE9ELNS1_3repE0EEENS1_30default_config_static_selectorELNS0_4arch9wavefront6targetE1EEEvT1_: ; @_ZN7rocprim17ROCPRIM_400000_NS6detail17trampoline_kernelINS0_14default_configENS1_27scan_by_key_config_selectorIiyEEZZNS1_16scan_by_key_implILNS1_25lookback_scan_determinismE0ELb1ES3_N6thrust23THRUST_200600_302600_NS6detail15normal_iteratorINS9_10device_ptrIiEEEENSB_INSC_IyEEEESG_yNS9_4plusIvEENS9_8equal_toIvEEyEE10hipError_tPvRmT2_T3_T4_T5_mT6_T7_P12ihipStream_tbENKUlT_T0_E_clISt17integral_constantIbLb0EES11_EEDaSW_SX_EUlSW_E_NS1_11comp_targetILNS1_3genE5ELNS1_11target_archE942ELNS1_3gpuE9ELNS1_3repE0EEENS1_30default_config_static_selectorELNS0_4arch9wavefront6targetE1EEEvT1_
; %bb.0:
	.section	.rodata,"a",@progbits
	.p2align	6, 0x0
	.amdhsa_kernel _ZN7rocprim17ROCPRIM_400000_NS6detail17trampoline_kernelINS0_14default_configENS1_27scan_by_key_config_selectorIiyEEZZNS1_16scan_by_key_implILNS1_25lookback_scan_determinismE0ELb1ES3_N6thrust23THRUST_200600_302600_NS6detail15normal_iteratorINS9_10device_ptrIiEEEENSB_INSC_IyEEEESG_yNS9_4plusIvEENS9_8equal_toIvEEyEE10hipError_tPvRmT2_T3_T4_T5_mT6_T7_P12ihipStream_tbENKUlT_T0_E_clISt17integral_constantIbLb0EES11_EEDaSW_SX_EUlSW_E_NS1_11comp_targetILNS1_3genE5ELNS1_11target_archE942ELNS1_3gpuE9ELNS1_3repE0EEENS1_30default_config_static_selectorELNS0_4arch9wavefront6targetE1EEEvT1_
		.amdhsa_group_segment_fixed_size 0
		.amdhsa_private_segment_fixed_size 0
		.amdhsa_kernarg_size 136
		.amdhsa_user_sgpr_count 6
		.amdhsa_user_sgpr_private_segment_buffer 1
		.amdhsa_user_sgpr_dispatch_ptr 0
		.amdhsa_user_sgpr_queue_ptr 0
		.amdhsa_user_sgpr_kernarg_segment_ptr 1
		.amdhsa_user_sgpr_dispatch_id 0
		.amdhsa_user_sgpr_flat_scratch_init 0
		.amdhsa_user_sgpr_kernarg_preload_length 0
		.amdhsa_user_sgpr_kernarg_preload_offset 0
		.amdhsa_user_sgpr_private_segment_size 0
		.amdhsa_uses_dynamic_stack 0
		.amdhsa_system_sgpr_private_segment_wavefront_offset 0
		.amdhsa_system_sgpr_workgroup_id_x 1
		.amdhsa_system_sgpr_workgroup_id_y 0
		.amdhsa_system_sgpr_workgroup_id_z 0
		.amdhsa_system_sgpr_workgroup_info 0
		.amdhsa_system_vgpr_workitem_id 0
		.amdhsa_next_free_vgpr 1
		.amdhsa_next_free_sgpr 0
		.amdhsa_accum_offset 4
		.amdhsa_reserve_vcc 0
		.amdhsa_reserve_flat_scratch 0
		.amdhsa_float_round_mode_32 0
		.amdhsa_float_round_mode_16_64 0
		.amdhsa_float_denorm_mode_32 3
		.amdhsa_float_denorm_mode_16_64 3
		.amdhsa_dx10_clamp 1
		.amdhsa_ieee_mode 1
		.amdhsa_fp16_overflow 0
		.amdhsa_tg_split 0
		.amdhsa_exception_fp_ieee_invalid_op 0
		.amdhsa_exception_fp_denorm_src 0
		.amdhsa_exception_fp_ieee_div_zero 0
		.amdhsa_exception_fp_ieee_overflow 0
		.amdhsa_exception_fp_ieee_underflow 0
		.amdhsa_exception_fp_ieee_inexact 0
		.amdhsa_exception_int_div_zero 0
	.end_amdhsa_kernel
	.section	.text._ZN7rocprim17ROCPRIM_400000_NS6detail17trampoline_kernelINS0_14default_configENS1_27scan_by_key_config_selectorIiyEEZZNS1_16scan_by_key_implILNS1_25lookback_scan_determinismE0ELb1ES3_N6thrust23THRUST_200600_302600_NS6detail15normal_iteratorINS9_10device_ptrIiEEEENSB_INSC_IyEEEESG_yNS9_4plusIvEENS9_8equal_toIvEEyEE10hipError_tPvRmT2_T3_T4_T5_mT6_T7_P12ihipStream_tbENKUlT_T0_E_clISt17integral_constantIbLb0EES11_EEDaSW_SX_EUlSW_E_NS1_11comp_targetILNS1_3genE5ELNS1_11target_archE942ELNS1_3gpuE9ELNS1_3repE0EEENS1_30default_config_static_selectorELNS0_4arch9wavefront6targetE1EEEvT1_,"axG",@progbits,_ZN7rocprim17ROCPRIM_400000_NS6detail17trampoline_kernelINS0_14default_configENS1_27scan_by_key_config_selectorIiyEEZZNS1_16scan_by_key_implILNS1_25lookback_scan_determinismE0ELb1ES3_N6thrust23THRUST_200600_302600_NS6detail15normal_iteratorINS9_10device_ptrIiEEEENSB_INSC_IyEEEESG_yNS9_4plusIvEENS9_8equal_toIvEEyEE10hipError_tPvRmT2_T3_T4_T5_mT6_T7_P12ihipStream_tbENKUlT_T0_E_clISt17integral_constantIbLb0EES11_EEDaSW_SX_EUlSW_E_NS1_11comp_targetILNS1_3genE5ELNS1_11target_archE942ELNS1_3gpuE9ELNS1_3repE0EEENS1_30default_config_static_selectorELNS0_4arch9wavefront6targetE1EEEvT1_,comdat
.Lfunc_end1465:
	.size	_ZN7rocprim17ROCPRIM_400000_NS6detail17trampoline_kernelINS0_14default_configENS1_27scan_by_key_config_selectorIiyEEZZNS1_16scan_by_key_implILNS1_25lookback_scan_determinismE0ELb1ES3_N6thrust23THRUST_200600_302600_NS6detail15normal_iteratorINS9_10device_ptrIiEEEENSB_INSC_IyEEEESG_yNS9_4plusIvEENS9_8equal_toIvEEyEE10hipError_tPvRmT2_T3_T4_T5_mT6_T7_P12ihipStream_tbENKUlT_T0_E_clISt17integral_constantIbLb0EES11_EEDaSW_SX_EUlSW_E_NS1_11comp_targetILNS1_3genE5ELNS1_11target_archE942ELNS1_3gpuE9ELNS1_3repE0EEENS1_30default_config_static_selectorELNS0_4arch9wavefront6targetE1EEEvT1_, .Lfunc_end1465-_ZN7rocprim17ROCPRIM_400000_NS6detail17trampoline_kernelINS0_14default_configENS1_27scan_by_key_config_selectorIiyEEZZNS1_16scan_by_key_implILNS1_25lookback_scan_determinismE0ELb1ES3_N6thrust23THRUST_200600_302600_NS6detail15normal_iteratorINS9_10device_ptrIiEEEENSB_INSC_IyEEEESG_yNS9_4plusIvEENS9_8equal_toIvEEyEE10hipError_tPvRmT2_T3_T4_T5_mT6_T7_P12ihipStream_tbENKUlT_T0_E_clISt17integral_constantIbLb0EES11_EEDaSW_SX_EUlSW_E_NS1_11comp_targetILNS1_3genE5ELNS1_11target_archE942ELNS1_3gpuE9ELNS1_3repE0EEENS1_30default_config_static_selectorELNS0_4arch9wavefront6targetE1EEEvT1_
                                        ; -- End function
	.section	.AMDGPU.csdata,"",@progbits
; Kernel info:
; codeLenInByte = 0
; NumSgprs: 4
; NumVgprs: 0
; NumAgprs: 0
; TotalNumVgprs: 0
; ScratchSize: 0
; MemoryBound: 0
; FloatMode: 240
; IeeeMode: 1
; LDSByteSize: 0 bytes/workgroup (compile time only)
; SGPRBlocks: 0
; VGPRBlocks: 0
; NumSGPRsForWavesPerEU: 4
; NumVGPRsForWavesPerEU: 1
; AccumOffset: 4
; Occupancy: 8
; WaveLimiterHint : 0
; COMPUTE_PGM_RSRC2:SCRATCH_EN: 0
; COMPUTE_PGM_RSRC2:USER_SGPR: 6
; COMPUTE_PGM_RSRC2:TRAP_HANDLER: 0
; COMPUTE_PGM_RSRC2:TGID_X_EN: 1
; COMPUTE_PGM_RSRC2:TGID_Y_EN: 0
; COMPUTE_PGM_RSRC2:TGID_Z_EN: 0
; COMPUTE_PGM_RSRC2:TIDIG_COMP_CNT: 0
; COMPUTE_PGM_RSRC3_GFX90A:ACCUM_OFFSET: 0
; COMPUTE_PGM_RSRC3_GFX90A:TG_SPLIT: 0
	.section	.text._ZN7rocprim17ROCPRIM_400000_NS6detail17trampoline_kernelINS0_14default_configENS1_27scan_by_key_config_selectorIiyEEZZNS1_16scan_by_key_implILNS1_25lookback_scan_determinismE0ELb1ES3_N6thrust23THRUST_200600_302600_NS6detail15normal_iteratorINS9_10device_ptrIiEEEENSB_INSC_IyEEEESG_yNS9_4plusIvEENS9_8equal_toIvEEyEE10hipError_tPvRmT2_T3_T4_T5_mT6_T7_P12ihipStream_tbENKUlT_T0_E_clISt17integral_constantIbLb0EES11_EEDaSW_SX_EUlSW_E_NS1_11comp_targetILNS1_3genE4ELNS1_11target_archE910ELNS1_3gpuE8ELNS1_3repE0EEENS1_30default_config_static_selectorELNS0_4arch9wavefront6targetE1EEEvT1_,"axG",@progbits,_ZN7rocprim17ROCPRIM_400000_NS6detail17trampoline_kernelINS0_14default_configENS1_27scan_by_key_config_selectorIiyEEZZNS1_16scan_by_key_implILNS1_25lookback_scan_determinismE0ELb1ES3_N6thrust23THRUST_200600_302600_NS6detail15normal_iteratorINS9_10device_ptrIiEEEENSB_INSC_IyEEEESG_yNS9_4plusIvEENS9_8equal_toIvEEyEE10hipError_tPvRmT2_T3_T4_T5_mT6_T7_P12ihipStream_tbENKUlT_T0_E_clISt17integral_constantIbLb0EES11_EEDaSW_SX_EUlSW_E_NS1_11comp_targetILNS1_3genE4ELNS1_11target_archE910ELNS1_3gpuE8ELNS1_3repE0EEENS1_30default_config_static_selectorELNS0_4arch9wavefront6targetE1EEEvT1_,comdat
	.protected	_ZN7rocprim17ROCPRIM_400000_NS6detail17trampoline_kernelINS0_14default_configENS1_27scan_by_key_config_selectorIiyEEZZNS1_16scan_by_key_implILNS1_25lookback_scan_determinismE0ELb1ES3_N6thrust23THRUST_200600_302600_NS6detail15normal_iteratorINS9_10device_ptrIiEEEENSB_INSC_IyEEEESG_yNS9_4plusIvEENS9_8equal_toIvEEyEE10hipError_tPvRmT2_T3_T4_T5_mT6_T7_P12ihipStream_tbENKUlT_T0_E_clISt17integral_constantIbLb0EES11_EEDaSW_SX_EUlSW_E_NS1_11comp_targetILNS1_3genE4ELNS1_11target_archE910ELNS1_3gpuE8ELNS1_3repE0EEENS1_30default_config_static_selectorELNS0_4arch9wavefront6targetE1EEEvT1_ ; -- Begin function _ZN7rocprim17ROCPRIM_400000_NS6detail17trampoline_kernelINS0_14default_configENS1_27scan_by_key_config_selectorIiyEEZZNS1_16scan_by_key_implILNS1_25lookback_scan_determinismE0ELb1ES3_N6thrust23THRUST_200600_302600_NS6detail15normal_iteratorINS9_10device_ptrIiEEEENSB_INSC_IyEEEESG_yNS9_4plusIvEENS9_8equal_toIvEEyEE10hipError_tPvRmT2_T3_T4_T5_mT6_T7_P12ihipStream_tbENKUlT_T0_E_clISt17integral_constantIbLb0EES11_EEDaSW_SX_EUlSW_E_NS1_11comp_targetILNS1_3genE4ELNS1_11target_archE910ELNS1_3gpuE8ELNS1_3repE0EEENS1_30default_config_static_selectorELNS0_4arch9wavefront6targetE1EEEvT1_
	.globl	_ZN7rocprim17ROCPRIM_400000_NS6detail17trampoline_kernelINS0_14default_configENS1_27scan_by_key_config_selectorIiyEEZZNS1_16scan_by_key_implILNS1_25lookback_scan_determinismE0ELb1ES3_N6thrust23THRUST_200600_302600_NS6detail15normal_iteratorINS9_10device_ptrIiEEEENSB_INSC_IyEEEESG_yNS9_4plusIvEENS9_8equal_toIvEEyEE10hipError_tPvRmT2_T3_T4_T5_mT6_T7_P12ihipStream_tbENKUlT_T0_E_clISt17integral_constantIbLb0EES11_EEDaSW_SX_EUlSW_E_NS1_11comp_targetILNS1_3genE4ELNS1_11target_archE910ELNS1_3gpuE8ELNS1_3repE0EEENS1_30default_config_static_selectorELNS0_4arch9wavefront6targetE1EEEvT1_
	.p2align	8
	.type	_ZN7rocprim17ROCPRIM_400000_NS6detail17trampoline_kernelINS0_14default_configENS1_27scan_by_key_config_selectorIiyEEZZNS1_16scan_by_key_implILNS1_25lookback_scan_determinismE0ELb1ES3_N6thrust23THRUST_200600_302600_NS6detail15normal_iteratorINS9_10device_ptrIiEEEENSB_INSC_IyEEEESG_yNS9_4plusIvEENS9_8equal_toIvEEyEE10hipError_tPvRmT2_T3_T4_T5_mT6_T7_P12ihipStream_tbENKUlT_T0_E_clISt17integral_constantIbLb0EES11_EEDaSW_SX_EUlSW_E_NS1_11comp_targetILNS1_3genE4ELNS1_11target_archE910ELNS1_3gpuE8ELNS1_3repE0EEENS1_30default_config_static_selectorELNS0_4arch9wavefront6targetE1EEEvT1_,@function
_ZN7rocprim17ROCPRIM_400000_NS6detail17trampoline_kernelINS0_14default_configENS1_27scan_by_key_config_selectorIiyEEZZNS1_16scan_by_key_implILNS1_25lookback_scan_determinismE0ELb1ES3_N6thrust23THRUST_200600_302600_NS6detail15normal_iteratorINS9_10device_ptrIiEEEENSB_INSC_IyEEEESG_yNS9_4plusIvEENS9_8equal_toIvEEyEE10hipError_tPvRmT2_T3_T4_T5_mT6_T7_P12ihipStream_tbENKUlT_T0_E_clISt17integral_constantIbLb0EES11_EEDaSW_SX_EUlSW_E_NS1_11comp_targetILNS1_3genE4ELNS1_11target_archE910ELNS1_3gpuE8ELNS1_3repE0EEENS1_30default_config_static_selectorELNS0_4arch9wavefront6targetE1EEEvT1_: ; @_ZN7rocprim17ROCPRIM_400000_NS6detail17trampoline_kernelINS0_14default_configENS1_27scan_by_key_config_selectorIiyEEZZNS1_16scan_by_key_implILNS1_25lookback_scan_determinismE0ELb1ES3_N6thrust23THRUST_200600_302600_NS6detail15normal_iteratorINS9_10device_ptrIiEEEENSB_INSC_IyEEEESG_yNS9_4plusIvEENS9_8equal_toIvEEyEE10hipError_tPvRmT2_T3_T4_T5_mT6_T7_P12ihipStream_tbENKUlT_T0_E_clISt17integral_constantIbLb0EES11_EEDaSW_SX_EUlSW_E_NS1_11comp_targetILNS1_3genE4ELNS1_11target_archE910ELNS1_3gpuE8ELNS1_3repE0EEENS1_30default_config_static_selectorELNS0_4arch9wavefront6targetE1EEEvT1_
; %bb.0:
	s_load_dwordx8 s[56:63], s[4:5], 0x0
	s_load_dwordx2 s[68:69], s[4:5], 0x20
	s_load_dwordx8 s[48:55], s[4:5], 0x30
	s_load_dwordx2 s[70:71], s[4:5], 0x50
	s_load_dword s2, s[4:5], 0x58
	s_load_dwordx4 s[64:67], s[4:5], 0x60
	s_waitcnt lgkmcnt(0)
	s_lshl_b64 s[0:1], s[58:59], 2
	s_add_u32 s4, s56, s0
	s_addc_u32 s5, s57, s1
	s_lshl_b64 s[56:57], s[58:59], 3
	s_add_u32 s7, s60, s56
	s_mul_i32 s0, s71, s2
	s_mul_hi_u32 s1, s70, s2
	s_addc_u32 s8, s61, s57
	s_add_i32 s9, s1, s0
	s_mul_i32 s0, s6, 0x540
	s_mov_b32 s1, 0
	s_mul_i32 s10, s70, s2
	s_lshl_b64 s[2:3], s[0:1], 2
	s_add_u32 s60, s4, s2
	s_addc_u32 s61, s5, s3
	s_lshl_b64 s[58:59], s[0:1], 3
	s_add_u32 s7, s7, s58
	s_addc_u32 s55, s8, s59
	s_add_u32 s0, s10, s6
	s_addc_u32 s1, s9, 0
	s_add_u32 s4, s64, -1
	s_addc_u32 s5, s65, -1
	v_pk_mov_b32 v[2:3], s[4:5], s[4:5] op_sel:[0,1]
	v_cmp_ge_u64_e64 s[0:1], s[0:1], v[2:3]
	s_mov_b64 s[2:3], -1
	s_and_b64 vcc, exec, s[0:1]
	s_mul_i32 s33, s4, 0xfffffac0
	s_waitcnt lgkmcnt(0)
	; wave barrier
	s_cbranch_vccz .LBB1466_65
; %bb.1:
	v_pk_mov_b32 v[2:3], s[60:61], s[60:61] op_sel:[0,1]
	flat_load_dword v2, v[2:3]
	s_add_i32 s74, s33, s54
	v_cmp_gt_u32_e32 vcc, s74, v0
	s_waitcnt vmcnt(0) lgkmcnt(0)
	v_mov_b32_e32 v3, v2
	s_and_saveexec_b64 s[4:5], vcc
	s_cbranch_execz .LBB1466_3
; %bb.2:
	v_lshlrev_b32_e32 v1, 2, v0
	v_mov_b32_e32 v3, s61
	v_add_co_u32_e64 v4, s[2:3], s60, v1
	v_addc_co_u32_e64 v5, s[2:3], 0, v3, s[2:3]
	flat_load_dword v3, v[4:5]
.LBB1466_3:
	s_or_b64 exec, exec, s[4:5]
	v_or_b32_e32 v1, 64, v0
	v_cmp_gt_u32_e64 s[2:3], s74, v1
	v_mov_b32_e32 v4, v2
	s_and_saveexec_b64 s[8:9], s[2:3]
	s_cbranch_execz .LBB1466_5
; %bb.4:
	v_lshlrev_b32_e32 v1, 2, v0
	v_mov_b32_e32 v5, s61
	v_add_co_u32_e64 v4, s[4:5], s60, v1
	v_addc_co_u32_e64 v5, s[4:5], 0, v5, s[4:5]
	flat_load_dword v4, v[4:5] offset:256
.LBB1466_5:
	s_or_b64 exec, exec, s[8:9]
	v_or_b32_e32 v1, 0x80, v0
	v_cmp_gt_u32_e64 s[4:5], s74, v1
	v_mov_b32_e32 v5, v2
	s_and_saveexec_b64 s[10:11], s[4:5]
	s_cbranch_execz .LBB1466_7
; %bb.6:
	v_lshlrev_b32_e32 v1, 2, v0
	v_mov_b32_e32 v5, s61
	v_add_co_u32_e64 v6, s[8:9], s60, v1
	v_addc_co_u32_e64 v7, s[8:9], 0, v5, s[8:9]
	flat_load_dword v5, v[6:7] offset:512
.LBB1466_7:
	;; [unrolled: 13-line block ×15, first 2 shown]
	s_or_b64 exec, exec, s[36:37]
	v_or_b32_e32 v56, 0x400, v0
	v_cmp_gt_u32_e64 s[34:35], s74, v56
	v_mov_b32_e32 v19, v2
	s_and_saveexec_b64 s[38:39], s[34:35]
	s_cbranch_execz .LBB1466_35
; %bb.34:
	v_lshlrev_b32_e32 v19, 2, v56
	v_mov_b32_e32 v21, s61
	v_add_co_u32_e64 v20, s[36:37], s60, v19
	v_addc_co_u32_e64 v21, s[36:37], 0, v21, s[36:37]
	flat_load_dword v19, v[20:21]
.LBB1466_35:
	s_or_b64 exec, exec, s[38:39]
	v_or_b32_e32 v58, 0x440, v0
	v_cmp_gt_u32_e64 s[36:37], s74, v58
	v_mov_b32_e32 v20, v2
	s_and_saveexec_b64 s[40:41], s[36:37]
	s_cbranch_execz .LBB1466_37
; %bb.36:
	v_lshlrev_b32_e32 v20, 2, v58
	v_mov_b32_e32 v21, s61
	v_add_co_u32_e64 v20, s[38:39], s60, v20
	v_addc_co_u32_e64 v21, s[38:39], 0, v21, s[38:39]
	flat_load_dword v20, v[20:21]
.LBB1466_37:
	;; [unrolled: 13-line block ×4, first 2 shown]
	s_or_b64 exec, exec, s[46:47]
	v_or_b32_e32 v64, 0x500, v0
	v_cmp_gt_u32_e64 s[42:43], s74, v64
	s_and_saveexec_b64 s[64:65], s[42:43]
	s_cbranch_execz .LBB1466_43
; %bb.42:
	v_lshlrev_b32_e32 v2, 2, v64
	v_mov_b32_e32 v23, s61
	v_add_co_u32_e64 v24, s[46:47], s60, v2
	v_addc_co_u32_e64 v25, s[46:47], 0, v23, s[46:47]
	flat_load_dword v2, v[24:25]
.LBB1466_43:
	s_or_b64 exec, exec, s[64:65]
	v_lshlrev_b32_e32 v26, 2, v0
	s_waitcnt vmcnt(0) lgkmcnt(0)
	ds_write2st64_b32 v26, v3, v4 offset1:1
	ds_write2st64_b32 v26, v5, v6 offset0:2 offset1:3
	ds_write2st64_b32 v26, v7, v8 offset0:4 offset1:5
	;; [unrolled: 1-line block ×9, first 2 shown]
	ds_write_b32 v26, v2 offset:5120
	v_pk_mov_b32 v[2:3], s[60:61], s[60:61] op_sel:[0,1]
	s_waitcnt lgkmcnt(0)
	; wave barrier
	s_waitcnt lgkmcnt(0)
	flat_load_dword v82, v[2:3]
	s_movk_i32 s46, 0x50
	v_mad_u32_u24 v2, v0, s46, v26
	s_movk_i32 s46, 0xffb0
	v_mad_i32_i24 v65, v0, s46, v2
	v_cmp_ne_u32_e64 s[46:47], 63, v0
	ds_read_b32 v84, v2
	ds_read2_b32 v[24:25], v2 offset0:1 offset1:2
	ds_read2_b32 v[22:23], v2 offset0:3 offset1:4
	;; [unrolled: 1-line block ×10, first 2 shown]
	s_waitcnt lgkmcnt(0)
	ds_write_b32 v65, v84 offset:5632
	s_waitcnt lgkmcnt(0)
	; wave barrier
	s_waitcnt lgkmcnt(0)
	s_and_saveexec_b64 s[64:65], s[46:47]
	s_cbranch_execz .LBB1466_45
; %bb.44:
	s_waitcnt vmcnt(0)
	ds_read_b32 v82, v26 offset:5636
.LBB1466_45:
	s_or_b64 exec, exec, s[64:65]
	s_waitcnt lgkmcnt(0)
	; wave barrier
	s_waitcnt lgkmcnt(0)
                                        ; implicit-def: $vgpr2_vgpr3
	s_and_saveexec_b64 s[46:47], vcc
	s_cbranch_execz .LBB1466_66
; %bb.46:
	v_lshlrev_b32_e32 v2, 3, v0
	v_mov_b32_e32 v3, s55
	v_add_co_u32_e32 v2, vcc, s7, v2
	v_addc_co_u32_e32 v3, vcc, 0, v3, vcc
	flat_load_dwordx2 v[2:3], v[2:3]
	s_or_b64 exec, exec, s[46:47]
                                        ; implicit-def: $vgpr4_vgpr5
	s_and_saveexec_b64 s[46:47], s[2:3]
	s_cbranch_execnz .LBB1466_67
.LBB1466_47:
	s_or_b64 exec, exec, s[46:47]
                                        ; implicit-def: $vgpr26_vgpr27
	s_and_saveexec_b64 s[2:3], s[4:5]
	s_cbranch_execz .LBB1466_68
.LBB1466_48:
	v_lshlrev_b32_e32 v26, 3, v0
	v_mov_b32_e32 v27, s55
	v_add_co_u32_e32 v26, vcc, s7, v26
	v_addc_co_u32_e32 v27, vcc, 0, v27, vcc
	flat_load_dwordx2 v[26:27], v[26:27] offset:1024
	s_or_b64 exec, exec, s[2:3]
                                        ; implicit-def: $vgpr28_vgpr29
	s_and_saveexec_b64 s[2:3], s[44:45]
	s_cbranch_execnz .LBB1466_69
.LBB1466_49:
	s_or_b64 exec, exec, s[2:3]
                                        ; implicit-def: $vgpr30_vgpr31
	s_and_saveexec_b64 s[2:3], s[8:9]
	s_cbranch_execz .LBB1466_70
.LBB1466_50:
	v_lshlrev_b32_e32 v30, 3, v0
	v_mov_b32_e32 v31, s55
	v_add_co_u32_e32 v30, vcc, s7, v30
	v_addc_co_u32_e32 v31, vcc, 0, v31, vcc
	flat_load_dwordx2 v[30:31], v[30:31] offset:2048
	s_or_b64 exec, exec, s[2:3]
                                        ; implicit-def: $vgpr32_vgpr33
	s_and_saveexec_b64 s[2:3], s[10:11]
	s_cbranch_execnz .LBB1466_71
.LBB1466_51:
	s_or_b64 exec, exec, s[2:3]
                                        ; implicit-def: $vgpr34_vgpr35
	s_and_saveexec_b64 s[2:3], s[12:13]
	s_cbranch_execz .LBB1466_72
.LBB1466_52:
	v_lshlrev_b32_e32 v34, 3, v0
	v_mov_b32_e32 v35, s55
	v_add_co_u32_e32 v34, vcc, s7, v34
	v_addc_co_u32_e32 v35, vcc, 0, v35, vcc
	flat_load_dwordx2 v[34:35], v[34:35] offset:3072
	s_or_b64 exec, exec, s[2:3]
                                        ; implicit-def: $vgpr36_vgpr37
	s_and_saveexec_b64 s[2:3], s[14:15]
	s_cbranch_execnz .LBB1466_73
.LBB1466_53:
	s_or_b64 exec, exec, s[2:3]
                                        ; implicit-def: $vgpr38_vgpr39
	s_and_saveexec_b64 s[2:3], s[16:17]
	s_cbranch_execz .LBB1466_74
.LBB1466_54:
	v_lshlrev_b32_e32 v1, 3, v1
	v_mov_b32_e32 v39, s55
	v_add_co_u32_e32 v38, vcc, s7, v1
	v_addc_co_u32_e32 v39, vcc, 0, v39, vcc
	flat_load_dwordx2 v[38:39], v[38:39]
	s_or_b64 exec, exec, s[2:3]
                                        ; implicit-def: $vgpr40_vgpr41
	s_and_saveexec_b64 s[2:3], s[18:19]
	s_cbranch_execnz .LBB1466_75
.LBB1466_55:
	s_or_b64 exec, exec, s[2:3]
                                        ; implicit-def: $vgpr42_vgpr43
	s_and_saveexec_b64 s[2:3], s[20:21]
	s_cbranch_execz .LBB1466_76
.LBB1466_56:
	v_lshlrev_b32_e32 v1, 3, v44
	v_mov_b32_e32 v43, s55
	v_add_co_u32_e32 v42, vcc, s7, v1
	v_addc_co_u32_e32 v43, vcc, 0, v43, vcc
	flat_load_dwordx2 v[42:43], v[42:43]
	s_or_b64 exec, exec, s[2:3]
                                        ; implicit-def: $vgpr44_vgpr45
	s_and_saveexec_b64 s[2:3], s[22:23]
	s_cbranch_execnz .LBB1466_77
.LBB1466_57:
	s_or_b64 exec, exec, s[2:3]
                                        ; implicit-def: $vgpr46_vgpr47
	s_and_saveexec_b64 s[2:3], s[24:25]
	s_cbranch_execz .LBB1466_78
.LBB1466_58:
	v_lshlrev_b32_e32 v1, 3, v48
	v_mov_b32_e32 v47, s55
	v_add_co_u32_e32 v46, vcc, s7, v1
	v_addc_co_u32_e32 v47, vcc, 0, v47, vcc
	flat_load_dwordx2 v[46:47], v[46:47]
	s_or_b64 exec, exec, s[2:3]
                                        ; implicit-def: $vgpr48_vgpr49
	s_and_saveexec_b64 s[2:3], s[26:27]
	s_cbranch_execnz .LBB1466_79
.LBB1466_59:
	s_or_b64 exec, exec, s[2:3]
                                        ; implicit-def: $vgpr50_vgpr51
	s_and_saveexec_b64 s[2:3], s[28:29]
	s_cbranch_execz .LBB1466_80
.LBB1466_60:
	v_lshlrev_b32_e32 v1, 3, v52
	v_mov_b32_e32 v51, s55
	v_add_co_u32_e32 v50, vcc, s7, v1
	v_addc_co_u32_e32 v51, vcc, 0, v51, vcc
	flat_load_dwordx2 v[50:51], v[50:51]
	s_or_b64 exec, exec, s[2:3]
                                        ; implicit-def: $vgpr52_vgpr53
	s_and_saveexec_b64 s[2:3], s[30:31]
	s_cbranch_execnz .LBB1466_81
.LBB1466_61:
	s_or_b64 exec, exec, s[2:3]
                                        ; implicit-def: $vgpr54_vgpr55
	s_and_saveexec_b64 s[2:3], s[34:35]
	s_cbranch_execz .LBB1466_82
.LBB1466_62:
	v_lshlrev_b32_e32 v1, 3, v56
	v_mov_b32_e32 v55, s55
	v_add_co_u32_e32 v54, vcc, s7, v1
	v_addc_co_u32_e32 v55, vcc, 0, v55, vcc
	flat_load_dwordx2 v[54:55], v[54:55]
	s_or_b64 exec, exec, s[2:3]
                                        ; implicit-def: $vgpr56_vgpr57
	s_and_saveexec_b64 s[2:3], s[36:37]
	s_cbranch_execnz .LBB1466_83
.LBB1466_63:
	s_or_b64 exec, exec, s[2:3]
                                        ; implicit-def: $vgpr58_vgpr59
	s_and_saveexec_b64 s[2:3], s[38:39]
	s_cbranch_execz .LBB1466_84
.LBB1466_64:
	v_lshlrev_b32_e32 v1, 3, v60
	v_mov_b32_e32 v59, s55
	v_add_co_u32_e32 v58, vcc, s7, v1
	v_addc_co_u32_e32 v59, vcc, 0, v59, vcc
	flat_load_dwordx2 v[58:59], v[58:59]
	s_or_b64 exec, exec, s[2:3]
                                        ; implicit-def: $vgpr60_vgpr61
	s_and_saveexec_b64 s[2:3], s[40:41]
	s_cbranch_execz .LBB1466_86
	s_branch .LBB1466_85
.LBB1466_65:
	s_mov_b64 s[10:11], 0
                                        ; implicit-def: $sgpr8_sgpr9
                                        ; implicit-def: $vgpr2_vgpr3
                                        ; implicit-def: $vgpr42_vgpr43
                                        ; implicit-def: $vgpr108
                                        ; implicit-def: $vgpr44_vgpr45
                                        ; implicit-def: $vgpr124
                                        ; implicit-def: $vgpr80_vgpr81
                                        ; implicit-def: $vgpr123
                                        ; implicit-def: $vgpr78_vgpr79
                                        ; implicit-def: $vgpr122
                                        ; implicit-def: $vgpr76_vgpr77
                                        ; implicit-def: $vgpr121
                                        ; implicit-def: $vgpr74_vgpr75
                                        ; implicit-def: $vgpr120
                                        ; implicit-def: $vgpr72_vgpr73
                                        ; implicit-def: $vgpr119
                                        ; implicit-def: $vgpr70_vgpr71
                                        ; implicit-def: $vgpr118
                                        ; implicit-def: $vgpr68_vgpr69
                                        ; implicit-def: $vgpr117
                                        ; implicit-def: $vgpr66_vgpr67
                                        ; implicit-def: $vgpr116
                                        ; implicit-def: $vgpr64_vgpr65
                                        ; implicit-def: $vgpr115
                                        ; implicit-def: $vgpr62_vgpr63
                                        ; implicit-def: $vgpr114
                                        ; implicit-def: $vgpr60_vgpr61
                                        ; implicit-def: $vgpr113
                                        ; implicit-def: $vgpr58_vgpr59
                                        ; implicit-def: $vgpr112
                                        ; implicit-def: $vgpr56_vgpr57
                                        ; implicit-def: $vgpr111
                                        ; implicit-def: $vgpr54_vgpr55
                                        ; implicit-def: $vgpr110
                                        ; implicit-def: $vgpr52_vgpr53
                                        ; implicit-def: $vgpr109
                                        ; implicit-def: $vgpr50_vgpr51
                                        ; implicit-def: $vgpr107
                                        ; implicit-def: $vgpr48_vgpr49
                                        ; implicit-def: $vgpr106
                                        ; implicit-def: $vgpr46_vgpr47
                                        ; implicit-def: $vgpr1
                                        ; implicit-def: $sgpr76
                                        ; implicit-def: $sgpr4_sgpr5
	s_and_b64 vcc, exec, s[2:3]
	s_cbranch_vccz .LBB1466_136
	s_branch .LBB1466_131
.LBB1466_66:
	s_or_b64 exec, exec, s[46:47]
                                        ; implicit-def: $vgpr4_vgpr5
	s_and_saveexec_b64 s[46:47], s[2:3]
	s_cbranch_execz .LBB1466_47
.LBB1466_67:
	v_lshlrev_b32_e32 v4, 3, v0
	v_mov_b32_e32 v5, s55
	v_add_co_u32_e32 v4, vcc, s7, v4
	v_addc_co_u32_e32 v5, vcc, 0, v5, vcc
	flat_load_dwordx2 v[4:5], v[4:5] offset:512
	s_or_b64 exec, exec, s[46:47]
                                        ; implicit-def: $vgpr26_vgpr27
	s_and_saveexec_b64 s[2:3], s[4:5]
	s_cbranch_execnz .LBB1466_48
.LBB1466_68:
	s_or_b64 exec, exec, s[2:3]
                                        ; implicit-def: $vgpr28_vgpr29
	s_and_saveexec_b64 s[2:3], s[44:45]
	s_cbranch_execz .LBB1466_49
.LBB1466_69:
	v_lshlrev_b32_e32 v28, 3, v0
	v_mov_b32_e32 v29, s55
	v_add_co_u32_e32 v28, vcc, s7, v28
	v_addc_co_u32_e32 v29, vcc, 0, v29, vcc
	flat_load_dwordx2 v[28:29], v[28:29] offset:1536
	s_or_b64 exec, exec, s[2:3]
                                        ; implicit-def: $vgpr30_vgpr31
	s_and_saveexec_b64 s[2:3], s[8:9]
	s_cbranch_execnz .LBB1466_50
.LBB1466_70:
	s_or_b64 exec, exec, s[2:3]
                                        ; implicit-def: $vgpr32_vgpr33
	s_and_saveexec_b64 s[2:3], s[10:11]
	s_cbranch_execz .LBB1466_51
.LBB1466_71:
	v_lshlrev_b32_e32 v32, 3, v0
	v_mov_b32_e32 v33, s55
	v_add_co_u32_e32 v32, vcc, s7, v32
	v_addc_co_u32_e32 v33, vcc, 0, v33, vcc
	flat_load_dwordx2 v[32:33], v[32:33] offset:2560
	s_or_b64 exec, exec, s[2:3]
                                        ; implicit-def: $vgpr34_vgpr35
	s_and_saveexec_b64 s[2:3], s[12:13]
	s_cbranch_execnz .LBB1466_52
.LBB1466_72:
	s_or_b64 exec, exec, s[2:3]
                                        ; implicit-def: $vgpr36_vgpr37
	s_and_saveexec_b64 s[2:3], s[14:15]
	s_cbranch_execz .LBB1466_53
.LBB1466_73:
	v_lshlrev_b32_e32 v36, 3, v0
	v_mov_b32_e32 v37, s55
	v_add_co_u32_e32 v36, vcc, s7, v36
	v_addc_co_u32_e32 v37, vcc, 0, v37, vcc
	flat_load_dwordx2 v[36:37], v[36:37] offset:3584
	s_or_b64 exec, exec, s[2:3]
                                        ; implicit-def: $vgpr38_vgpr39
	s_and_saveexec_b64 s[2:3], s[16:17]
	s_cbranch_execnz .LBB1466_54
.LBB1466_74:
	s_or_b64 exec, exec, s[2:3]
                                        ; implicit-def: $vgpr40_vgpr41
	s_and_saveexec_b64 s[2:3], s[18:19]
	s_cbranch_execz .LBB1466_55
.LBB1466_75:
	v_lshlrev_b32_e32 v1, 3, v42
	v_mov_b32_e32 v41, s55
	v_add_co_u32_e32 v40, vcc, s7, v1
	v_addc_co_u32_e32 v41, vcc, 0, v41, vcc
	flat_load_dwordx2 v[40:41], v[40:41]
	s_or_b64 exec, exec, s[2:3]
                                        ; implicit-def: $vgpr42_vgpr43
	s_and_saveexec_b64 s[2:3], s[20:21]
	s_cbranch_execnz .LBB1466_56
.LBB1466_76:
	s_or_b64 exec, exec, s[2:3]
                                        ; implicit-def: $vgpr44_vgpr45
	s_and_saveexec_b64 s[2:3], s[22:23]
	s_cbranch_execz .LBB1466_57
.LBB1466_77:
	v_lshlrev_b32_e32 v1, 3, v46
	v_mov_b32_e32 v45, s55
	v_add_co_u32_e32 v44, vcc, s7, v1
	v_addc_co_u32_e32 v45, vcc, 0, v45, vcc
	flat_load_dwordx2 v[44:45], v[44:45]
	s_or_b64 exec, exec, s[2:3]
                                        ; implicit-def: $vgpr46_vgpr47
	s_and_saveexec_b64 s[2:3], s[24:25]
	s_cbranch_execnz .LBB1466_58
.LBB1466_78:
	s_or_b64 exec, exec, s[2:3]
                                        ; implicit-def: $vgpr48_vgpr49
	s_and_saveexec_b64 s[2:3], s[26:27]
	s_cbranch_execz .LBB1466_59
.LBB1466_79:
	v_lshlrev_b32_e32 v1, 3, v50
	v_mov_b32_e32 v49, s55
	v_add_co_u32_e32 v48, vcc, s7, v1
	v_addc_co_u32_e32 v49, vcc, 0, v49, vcc
	flat_load_dwordx2 v[48:49], v[48:49]
	s_or_b64 exec, exec, s[2:3]
                                        ; implicit-def: $vgpr50_vgpr51
	s_and_saveexec_b64 s[2:3], s[28:29]
	s_cbranch_execnz .LBB1466_60
.LBB1466_80:
	s_or_b64 exec, exec, s[2:3]
                                        ; implicit-def: $vgpr52_vgpr53
	s_and_saveexec_b64 s[2:3], s[30:31]
	s_cbranch_execz .LBB1466_61
.LBB1466_81:
	v_lshlrev_b32_e32 v1, 3, v54
	v_mov_b32_e32 v53, s55
	v_add_co_u32_e32 v52, vcc, s7, v1
	v_addc_co_u32_e32 v53, vcc, 0, v53, vcc
	flat_load_dwordx2 v[52:53], v[52:53]
	s_or_b64 exec, exec, s[2:3]
                                        ; implicit-def: $vgpr54_vgpr55
	s_and_saveexec_b64 s[2:3], s[34:35]
	s_cbranch_execnz .LBB1466_62
.LBB1466_82:
	s_or_b64 exec, exec, s[2:3]
                                        ; implicit-def: $vgpr56_vgpr57
	s_and_saveexec_b64 s[2:3], s[36:37]
	s_cbranch_execz .LBB1466_63
.LBB1466_83:
	v_lshlrev_b32_e32 v1, 3, v58
	v_mov_b32_e32 v57, s55
	v_add_co_u32_e32 v56, vcc, s7, v1
	v_addc_co_u32_e32 v57, vcc, 0, v57, vcc
	flat_load_dwordx2 v[56:57], v[56:57]
	s_or_b64 exec, exec, s[2:3]
                                        ; implicit-def: $vgpr58_vgpr59
	s_and_saveexec_b64 s[2:3], s[38:39]
	s_cbranch_execnz .LBB1466_64
.LBB1466_84:
	s_or_b64 exec, exec, s[2:3]
                                        ; implicit-def: $vgpr60_vgpr61
	s_and_saveexec_b64 s[2:3], s[40:41]
	s_cbranch_execz .LBB1466_86
.LBB1466_85:
	v_lshlrev_b32_e32 v1, 3, v62
	v_mov_b32_e32 v61, s55
	v_add_co_u32_e32 v60, vcc, s7, v1
	v_addc_co_u32_e32 v61, vcc, 0, v61, vcc
	flat_load_dwordx2 v[60:61], v[60:61]
.LBB1466_86:
	s_or_b64 exec, exec, s[2:3]
	v_mul_u32_u24_e32 v83, 21, v0
                                        ; implicit-def: $vgpr62_vgpr63
	s_and_saveexec_b64 s[2:3], s[42:43]
	s_cbranch_execz .LBB1466_88
; %bb.87:
	v_lshlrev_b32_e32 v1, 3, v64
	v_mov_b32_e32 v63, s55
	v_add_co_u32_e32 v62, vcc, s7, v1
	v_addc_co_u32_e32 v63, vcc, 0, v63, vcc
	flat_load_dwordx2 v[62:63], v[62:63]
.LBB1466_88:
	s_or_b64 exec, exec, s[2:3]
	v_lshl_add_u32 v85, v0, 2, v65
	s_waitcnt vmcnt(0) lgkmcnt(0)
	ds_write2st64_b64 v85, v[2:3], v[4:5] offset1:1
	ds_write2st64_b64 v85, v[26:27], v[28:29] offset0:2 offset1:3
	ds_write2st64_b64 v85, v[30:31], v[32:33] offset0:4 offset1:5
	;; [unrolled: 1-line block ×9, first 2 shown]
	ds_write_b64 v85, v[62:63] offset:10240
	v_pk_mov_b32 v[42:43], 0, 0
	v_cmp_gt_u32_e32 vcc, s74, v83
	s_mov_b64 s[10:11], 0
	s_mov_b32 s76, 0
	s_mov_b64 s[2:3], 0
	v_mov_b32_e32 v108, 0
	v_pk_mov_b32 v[44:45], v[42:43], v[42:43] op_sel:[0,1]
	v_mov_b32_e32 v124, 0
	v_pk_mov_b32 v[80:81], v[42:43], v[42:43] op_sel:[0,1]
	;; [unrolled: 2-line block ×19, first 2 shown]
	v_mov_b32_e32 v1, 0
	s_waitcnt lgkmcnt(0)
	; wave barrier
	s_waitcnt lgkmcnt(0)
                                        ; implicit-def: $sgpr8_sgpr9
                                        ; implicit-def: $vgpr2_vgpr3
	s_and_saveexec_b64 s[4:5], vcc
	s_cbranch_execz .LBB1466_130
; %bb.89:
	s_movk_i32 s8, 0xa0
	v_mad_u32_u24 v1, v0, s8, v85
	ds_read_b64 v[2:3], v1
	v_cmp_ne_u32_e32 vcc, v84, v24
	v_mov_b32_e32 v5, s69
	v_add_u32_e32 v4, 1, v83
	v_pk_mov_b32 v[44:45], 0, 0
	s_waitcnt lgkmcnt(0)
	v_cndmask_b32_e32 v43, v3, v5, vcc
	v_mov_b32_e32 v3, s68
	v_cndmask_b32_e64 v1, 0, 1, vcc
	v_cndmask_b32_e32 v42, v2, v3, vcc
	v_cmp_gt_u32_e32 vcc, s74, v4
	s_mov_b64 s[12:13], 0
	v_mov_b32_e32 v108, 0
	v_mov_b32_e32 v124, 0
	v_pk_mov_b32 v[80:81], v[44:45], v[44:45] op_sel:[0,1]
	v_mov_b32_e32 v123, 0
	v_pk_mov_b32 v[78:79], v[44:45], v[44:45] op_sel:[0,1]
	;; [unrolled: 2-line block ×18, first 2 shown]
                                        ; implicit-def: $sgpr14_sgpr15
                                        ; implicit-def: $vgpr2_vgpr3
	s_and_saveexec_b64 s[8:9], vcc
	s_cbranch_execz .LBB1466_129
; %bb.90:
	v_mul_u32_u24_e32 v2, 0xa0, v0
	v_add_u32_e32 v26, v85, v2
	ds_read2_b64 v[2:5], v26 offset0:1 offset1:2
	v_cmp_ne_u32_e32 vcc, v24, v25
	v_mov_b32_e32 v24, s69
	v_add_u32_e32 v27, 2, v83
	v_pk_mov_b32 v[44:45], 0, 0
	s_waitcnt lgkmcnt(0)
	v_cndmask_b32_e32 v47, v3, v24, vcc
	v_mov_b32_e32 v3, s68
	v_cndmask_b32_e64 v106, 0, 1, vcc
	v_cndmask_b32_e32 v46, v2, v3, vcc
	v_cmp_gt_u32_e32 vcc, s74, v27
	s_mov_b64 s[14:15], 0
	v_mov_b32_e32 v108, 0
	v_mov_b32_e32 v124, 0
	v_pk_mov_b32 v[80:81], v[44:45], v[44:45] op_sel:[0,1]
	v_mov_b32_e32 v123, 0
	v_pk_mov_b32 v[78:79], v[44:45], v[44:45] op_sel:[0,1]
	;; [unrolled: 2-line block ×17, first 2 shown]
                                        ; implicit-def: $sgpr16_sgpr17
                                        ; implicit-def: $vgpr2_vgpr3
	s_and_saveexec_b64 s[10:11], vcc
	s_cbranch_execz .LBB1466_128
; %bb.91:
	v_cmp_ne_u32_e32 vcc, v25, v22
	v_mov_b32_e32 v3, s69
	v_add_u32_e32 v2, 3, v83
	v_cndmask_b32_e32 v49, v5, v3, vcc
	v_mov_b32_e32 v3, s68
	v_pk_mov_b32 v[44:45], 0, 0
	v_cndmask_b32_e64 v107, 0, 1, vcc
	v_cndmask_b32_e32 v48, v4, v3, vcc
	v_cmp_gt_u32_e32 vcc, s74, v2
	s_mov_b64 s[16:17], 0
	v_mov_b32_e32 v108, 0
	v_mov_b32_e32 v124, 0
	v_pk_mov_b32 v[80:81], v[44:45], v[44:45] op_sel:[0,1]
	v_mov_b32_e32 v123, 0
	v_pk_mov_b32 v[78:79], v[44:45], v[44:45] op_sel:[0,1]
	;; [unrolled: 2-line block ×16, first 2 shown]
                                        ; implicit-def: $sgpr18_sgpr19
                                        ; implicit-def: $vgpr2_vgpr3
	s_and_saveexec_b64 s[12:13], vcc
	s_cbranch_execz .LBB1466_127
; %bb.92:
	ds_read2_b64 v[2:5], v26 offset0:3 offset1:4
	v_cmp_ne_u32_e32 vcc, v22, v23
	v_mov_b32_e32 v22, s69
	v_add_u32_e32 v24, 4, v83
	v_pk_mov_b32 v[44:45], 0, 0
	s_waitcnt lgkmcnt(0)
	v_cndmask_b32_e32 v51, v3, v22, vcc
	v_mov_b32_e32 v3, s68
	v_cndmask_b32_e64 v109, 0, 1, vcc
	v_cndmask_b32_e32 v50, v2, v3, vcc
	v_cmp_gt_u32_e32 vcc, s74, v24
	s_mov_b64 s[18:19], 0
	v_mov_b32_e32 v108, 0
	v_mov_b32_e32 v124, 0
	v_pk_mov_b32 v[80:81], v[44:45], v[44:45] op_sel:[0,1]
	v_mov_b32_e32 v123, 0
	v_pk_mov_b32 v[78:79], v[44:45], v[44:45] op_sel:[0,1]
	;; [unrolled: 2-line block ×15, first 2 shown]
                                        ; implicit-def: $sgpr20_sgpr21
                                        ; implicit-def: $vgpr2_vgpr3
	s_and_saveexec_b64 s[14:15], vcc
	s_cbranch_execz .LBB1466_126
; %bb.93:
	v_cmp_ne_u32_e32 vcc, v23, v20
	v_mov_b32_e32 v3, s69
	v_add_u32_e32 v2, 5, v83
	v_cndmask_b32_e32 v53, v5, v3, vcc
	v_mov_b32_e32 v3, s68
	v_pk_mov_b32 v[44:45], 0, 0
	v_cndmask_b32_e64 v110, 0, 1, vcc
	v_cndmask_b32_e32 v52, v4, v3, vcc
	v_cmp_gt_u32_e32 vcc, s74, v2
	s_mov_b64 s[20:21], 0
	v_mov_b32_e32 v108, 0
	v_mov_b32_e32 v124, 0
	v_pk_mov_b32 v[80:81], v[44:45], v[44:45] op_sel:[0,1]
	v_mov_b32_e32 v123, 0
	v_pk_mov_b32 v[78:79], v[44:45], v[44:45] op_sel:[0,1]
	;; [unrolled: 2-line block ×14, first 2 shown]
                                        ; implicit-def: $sgpr22_sgpr23
                                        ; implicit-def: $vgpr2_vgpr3
	s_and_saveexec_b64 s[16:17], vcc
	s_cbranch_execz .LBB1466_125
; %bb.94:
	ds_read2_b64 v[2:5], v26 offset0:5 offset1:6
	v_cmp_ne_u32_e32 vcc, v20, v21
	v_mov_b32_e32 v20, s69
	v_add_u32_e32 v22, 6, v83
	v_pk_mov_b32 v[44:45], 0, 0
	s_waitcnt lgkmcnt(0)
	v_cndmask_b32_e32 v55, v3, v20, vcc
	v_mov_b32_e32 v3, s68
	v_cndmask_b32_e64 v111, 0, 1, vcc
	v_cndmask_b32_e32 v54, v2, v3, vcc
	v_cmp_gt_u32_e32 vcc, s74, v22
	s_mov_b64 s[22:23], 0
	v_mov_b32_e32 v108, 0
	v_mov_b32_e32 v124, 0
	v_pk_mov_b32 v[80:81], v[44:45], v[44:45] op_sel:[0,1]
	v_mov_b32_e32 v123, 0
	v_pk_mov_b32 v[78:79], v[44:45], v[44:45] op_sel:[0,1]
	;; [unrolled: 2-line block ×13, first 2 shown]
                                        ; implicit-def: $sgpr24_sgpr25
                                        ; implicit-def: $vgpr2_vgpr3
	s_and_saveexec_b64 s[18:19], vcc
	s_cbranch_execz .LBB1466_124
; %bb.95:
	v_cmp_ne_u32_e32 vcc, v21, v18
	v_mov_b32_e32 v3, s69
	v_add_u32_e32 v2, 7, v83
	v_cndmask_b32_e32 v57, v5, v3, vcc
	v_mov_b32_e32 v3, s68
	v_pk_mov_b32 v[44:45], 0, 0
	v_cndmask_b32_e64 v112, 0, 1, vcc
	v_cndmask_b32_e32 v56, v4, v3, vcc
	v_cmp_gt_u32_e32 vcc, s74, v2
	s_mov_b64 s[24:25], 0
	v_mov_b32_e32 v108, 0
	v_mov_b32_e32 v124, 0
	v_pk_mov_b32 v[80:81], v[44:45], v[44:45] op_sel:[0,1]
	v_mov_b32_e32 v123, 0
	v_pk_mov_b32 v[78:79], v[44:45], v[44:45] op_sel:[0,1]
	;; [unrolled: 2-line block ×12, first 2 shown]
                                        ; implicit-def: $sgpr26_sgpr27
                                        ; implicit-def: $vgpr2_vgpr3
	s_and_saveexec_b64 s[20:21], vcc
	s_cbranch_execz .LBB1466_123
; %bb.96:
	ds_read2_b64 v[2:5], v26 offset0:7 offset1:8
	v_cmp_ne_u32_e32 vcc, v18, v19
	v_mov_b32_e32 v18, s69
	v_add_u32_e32 v20, 8, v83
	v_pk_mov_b32 v[44:45], 0, 0
	s_waitcnt lgkmcnt(0)
	v_cndmask_b32_e32 v59, v3, v18, vcc
	v_mov_b32_e32 v3, s68
	v_cndmask_b32_e64 v113, 0, 1, vcc
	v_cndmask_b32_e32 v58, v2, v3, vcc
	v_cmp_gt_u32_e32 vcc, s74, v20
	s_mov_b64 s[26:27], 0
	v_mov_b32_e32 v108, 0
	v_mov_b32_e32 v124, 0
	v_pk_mov_b32 v[80:81], v[44:45], v[44:45] op_sel:[0,1]
	v_mov_b32_e32 v123, 0
	v_pk_mov_b32 v[78:79], v[44:45], v[44:45] op_sel:[0,1]
	;; [unrolled: 2-line block ×11, first 2 shown]
                                        ; implicit-def: $sgpr28_sgpr29
                                        ; implicit-def: $vgpr2_vgpr3
	s_and_saveexec_b64 s[22:23], vcc
	s_cbranch_execz .LBB1466_122
; %bb.97:
	v_cmp_ne_u32_e32 vcc, v19, v16
	v_mov_b32_e32 v3, s69
	v_add_u32_e32 v2, 9, v83
	v_cndmask_b32_e32 v61, v5, v3, vcc
	v_mov_b32_e32 v3, s68
	v_pk_mov_b32 v[44:45], 0, 0
	v_cndmask_b32_e64 v114, 0, 1, vcc
	v_cndmask_b32_e32 v60, v4, v3, vcc
	v_cmp_gt_u32_e32 vcc, s74, v2
	s_mov_b64 s[28:29], 0
	v_mov_b32_e32 v108, 0
	v_mov_b32_e32 v124, 0
	v_pk_mov_b32 v[80:81], v[44:45], v[44:45] op_sel:[0,1]
	v_mov_b32_e32 v123, 0
	v_pk_mov_b32 v[78:79], v[44:45], v[44:45] op_sel:[0,1]
	v_mov_b32_e32 v122, 0
	v_pk_mov_b32 v[76:77], v[44:45], v[44:45] op_sel:[0,1]
	v_mov_b32_e32 v121, 0
	v_pk_mov_b32 v[74:75], v[44:45], v[44:45] op_sel:[0,1]
	v_mov_b32_e32 v120, 0
	v_pk_mov_b32 v[72:73], v[44:45], v[44:45] op_sel:[0,1]
	v_mov_b32_e32 v119, 0
	v_pk_mov_b32 v[70:71], v[44:45], v[44:45] op_sel:[0,1]
	v_mov_b32_e32 v118, 0
	v_pk_mov_b32 v[68:69], v[44:45], v[44:45] op_sel:[0,1]
	v_mov_b32_e32 v117, 0
	v_pk_mov_b32 v[66:67], v[44:45], v[44:45] op_sel:[0,1]
	v_mov_b32_e32 v116, 0
	v_pk_mov_b32 v[64:65], v[44:45], v[44:45] op_sel:[0,1]
	v_mov_b32_e32 v115, 0
	v_pk_mov_b32 v[62:63], v[44:45], v[44:45] op_sel:[0,1]
                                        ; implicit-def: $sgpr30_sgpr31
                                        ; implicit-def: $vgpr2_vgpr3
	s_and_saveexec_b64 s[24:25], vcc
	s_cbranch_execz .LBB1466_121
; %bb.98:
	ds_read2_b64 v[2:5], v26 offset0:9 offset1:10
	v_cmp_ne_u32_e32 vcc, v16, v17
	v_mov_b32_e32 v16, s69
	v_add_u32_e32 v18, 10, v83
	v_pk_mov_b32 v[44:45], 0, 0
	s_waitcnt lgkmcnt(0)
	v_cndmask_b32_e32 v63, v3, v16, vcc
	v_mov_b32_e32 v3, s68
	v_cndmask_b32_e64 v115, 0, 1, vcc
	v_cndmask_b32_e32 v62, v2, v3, vcc
	v_cmp_gt_u32_e32 vcc, s74, v18
	s_mov_b64 s[30:31], 0
	v_mov_b32_e32 v108, 0
	v_mov_b32_e32 v124, 0
	v_pk_mov_b32 v[80:81], v[44:45], v[44:45] op_sel:[0,1]
	v_mov_b32_e32 v123, 0
	v_pk_mov_b32 v[78:79], v[44:45], v[44:45] op_sel:[0,1]
	;; [unrolled: 2-line block ×9, first 2 shown]
                                        ; implicit-def: $sgpr34_sgpr35
                                        ; implicit-def: $vgpr2_vgpr3
	s_and_saveexec_b64 s[26:27], vcc
	s_cbranch_execz .LBB1466_120
; %bb.99:
	v_cmp_ne_u32_e32 vcc, v17, v14
	v_mov_b32_e32 v3, s69
	v_add_u32_e32 v2, 11, v83
	v_cndmask_b32_e32 v65, v5, v3, vcc
	v_mov_b32_e32 v3, s68
	v_pk_mov_b32 v[44:45], 0, 0
	v_cndmask_b32_e64 v116, 0, 1, vcc
	v_cndmask_b32_e32 v64, v4, v3, vcc
	v_cmp_gt_u32_e32 vcc, s74, v2
	s_mov_b64 s[34:35], 0
	v_mov_b32_e32 v108, 0
	v_mov_b32_e32 v124, 0
	v_pk_mov_b32 v[80:81], v[44:45], v[44:45] op_sel:[0,1]
	v_mov_b32_e32 v123, 0
	v_pk_mov_b32 v[78:79], v[44:45], v[44:45] op_sel:[0,1]
	;; [unrolled: 2-line block ×8, first 2 shown]
                                        ; implicit-def: $sgpr36_sgpr37
                                        ; implicit-def: $vgpr2_vgpr3
	s_and_saveexec_b64 s[28:29], vcc
	s_cbranch_execz .LBB1466_119
; %bb.100:
	ds_read2_b64 v[2:5], v26 offset0:11 offset1:12
	v_cmp_ne_u32_e32 vcc, v14, v15
	v_mov_b32_e32 v14, s69
	v_add_u32_e32 v16, 12, v83
	v_pk_mov_b32 v[44:45], 0, 0
	s_waitcnt lgkmcnt(0)
	v_cndmask_b32_e32 v67, v3, v14, vcc
	v_mov_b32_e32 v3, s68
	v_cndmask_b32_e64 v117, 0, 1, vcc
	v_cndmask_b32_e32 v66, v2, v3, vcc
	v_cmp_gt_u32_e32 vcc, s74, v16
	s_mov_b64 s[36:37], 0
	v_mov_b32_e32 v108, 0
	v_mov_b32_e32 v124, 0
	v_pk_mov_b32 v[80:81], v[44:45], v[44:45] op_sel:[0,1]
	v_mov_b32_e32 v123, 0
	v_pk_mov_b32 v[78:79], v[44:45], v[44:45] op_sel:[0,1]
	;; [unrolled: 2-line block ×7, first 2 shown]
                                        ; implicit-def: $sgpr38_sgpr39
                                        ; implicit-def: $vgpr2_vgpr3
	s_and_saveexec_b64 s[30:31], vcc
	s_cbranch_execz .LBB1466_118
; %bb.101:
	v_cmp_ne_u32_e32 vcc, v15, v12
	v_mov_b32_e32 v3, s69
	v_add_u32_e32 v2, 13, v83
	v_cndmask_b32_e32 v69, v5, v3, vcc
	v_mov_b32_e32 v3, s68
	v_pk_mov_b32 v[44:45], 0, 0
	v_cndmask_b32_e64 v118, 0, 1, vcc
	v_cndmask_b32_e32 v68, v4, v3, vcc
	v_cmp_gt_u32_e32 vcc, s74, v2
	s_mov_b64 s[38:39], 0
	v_mov_b32_e32 v108, 0
	v_mov_b32_e32 v124, 0
	v_pk_mov_b32 v[80:81], v[44:45], v[44:45] op_sel:[0,1]
	v_mov_b32_e32 v123, 0
	v_pk_mov_b32 v[78:79], v[44:45], v[44:45] op_sel:[0,1]
	;; [unrolled: 2-line block ×6, first 2 shown]
                                        ; implicit-def: $sgpr40_sgpr41
                                        ; implicit-def: $vgpr2_vgpr3
	s_and_saveexec_b64 s[34:35], vcc
	s_cbranch_execz .LBB1466_117
; %bb.102:
	ds_read2_b64 v[2:5], v26 offset0:13 offset1:14
	v_cmp_ne_u32_e32 vcc, v12, v13
	v_mov_b32_e32 v12, s69
	v_add_u32_e32 v14, 14, v83
	v_pk_mov_b32 v[44:45], 0, 0
	s_waitcnt lgkmcnt(0)
	v_cndmask_b32_e32 v71, v3, v12, vcc
	v_mov_b32_e32 v3, s68
	v_cndmask_b32_e64 v119, 0, 1, vcc
	v_cndmask_b32_e32 v70, v2, v3, vcc
	v_cmp_gt_u32_e32 vcc, s74, v14
	s_mov_b64 s[40:41], 0
	v_mov_b32_e32 v108, 0
	v_mov_b32_e32 v124, 0
	v_pk_mov_b32 v[80:81], v[44:45], v[44:45] op_sel:[0,1]
	v_mov_b32_e32 v123, 0
	v_pk_mov_b32 v[78:79], v[44:45], v[44:45] op_sel:[0,1]
	;; [unrolled: 2-line block ×5, first 2 shown]
                                        ; implicit-def: $sgpr42_sgpr43
                                        ; implicit-def: $vgpr2_vgpr3
	s_and_saveexec_b64 s[36:37], vcc
	s_cbranch_execz .LBB1466_116
; %bb.103:
	v_cmp_ne_u32_e32 vcc, v13, v10
	v_mov_b32_e32 v3, s69
	v_add_u32_e32 v2, 15, v83
	v_cndmask_b32_e32 v73, v5, v3, vcc
	v_mov_b32_e32 v3, s68
	v_pk_mov_b32 v[44:45], 0, 0
	v_cndmask_b32_e64 v120, 0, 1, vcc
	v_cndmask_b32_e32 v72, v4, v3, vcc
	v_cmp_gt_u32_e32 vcc, s74, v2
	s_mov_b64 s[42:43], 0
	v_mov_b32_e32 v108, 0
	v_mov_b32_e32 v124, 0
	v_pk_mov_b32 v[80:81], v[44:45], v[44:45] op_sel:[0,1]
	v_mov_b32_e32 v123, 0
	v_pk_mov_b32 v[78:79], v[44:45], v[44:45] op_sel:[0,1]
	;; [unrolled: 2-line block ×4, first 2 shown]
                                        ; implicit-def: $sgpr44_sgpr45
                                        ; implicit-def: $vgpr2_vgpr3
	s_and_saveexec_b64 s[38:39], vcc
	s_cbranch_execz .LBB1466_115
; %bb.104:
	ds_read2_b64 v[2:5], v26 offset0:15 offset1:16
	v_cmp_ne_u32_e32 vcc, v10, v11
	v_mov_b32_e32 v10, s69
	v_add_u32_e32 v12, 16, v83
	v_pk_mov_b32 v[44:45], 0, 0
	s_waitcnt lgkmcnt(0)
	v_cndmask_b32_e32 v75, v3, v10, vcc
	v_mov_b32_e32 v3, s68
	v_cndmask_b32_e64 v121, 0, 1, vcc
	v_cndmask_b32_e32 v74, v2, v3, vcc
	v_cmp_gt_u32_e32 vcc, s74, v12
	s_mov_b64 s[44:45], 0
	v_mov_b32_e32 v108, 0
	v_mov_b32_e32 v124, 0
	v_pk_mov_b32 v[80:81], v[44:45], v[44:45] op_sel:[0,1]
	v_mov_b32_e32 v123, 0
	v_pk_mov_b32 v[78:79], v[44:45], v[44:45] op_sel:[0,1]
	;; [unrolled: 2-line block ×3, first 2 shown]
                                        ; implicit-def: $sgpr46_sgpr47
                                        ; implicit-def: $vgpr2_vgpr3
	s_and_saveexec_b64 s[40:41], vcc
	s_cbranch_execz .LBB1466_114
; %bb.105:
	v_cmp_ne_u32_e32 vcc, v11, v8
	v_mov_b32_e32 v3, s69
	v_add_u32_e32 v2, 17, v83
	v_cndmask_b32_e32 v77, v5, v3, vcc
	v_mov_b32_e32 v3, s68
	v_pk_mov_b32 v[44:45], 0, 0
	v_cndmask_b32_e64 v122, 0, 1, vcc
	v_cndmask_b32_e32 v76, v4, v3, vcc
	v_cmp_gt_u32_e32 vcc, s74, v2
	s_mov_b64 s[46:47], 0
	v_mov_b32_e32 v108, 0
	v_mov_b32_e32 v124, 0
	v_pk_mov_b32 v[80:81], v[44:45], v[44:45] op_sel:[0,1]
	v_mov_b32_e32 v123, 0
	v_pk_mov_b32 v[78:79], v[44:45], v[44:45] op_sel:[0,1]
                                        ; implicit-def: $sgpr64_sgpr65
                                        ; implicit-def: $vgpr2_vgpr3
	s_and_saveexec_b64 s[42:43], vcc
	s_cbranch_execz .LBB1466_113
; %bb.106:
	ds_read2_b64 v[2:5], v26 offset0:17 offset1:18
	v_cmp_ne_u32_e32 vcc, v8, v9
	v_mov_b32_e32 v8, s69
	v_add_u32_e32 v10, 18, v83
	v_pk_mov_b32 v[44:45], 0, 0
	s_waitcnt lgkmcnt(0)
	v_cndmask_b32_e32 v79, v3, v8, vcc
	v_mov_b32_e32 v3, s68
	v_cndmask_b32_e64 v123, 0, 1, vcc
	v_cndmask_b32_e32 v78, v2, v3, vcc
	v_cmp_gt_u32_e32 vcc, s74, v10
	s_mov_b64 s[64:65], 0
	v_mov_b32_e32 v108, 0
	v_mov_b32_e32 v124, 0
	v_pk_mov_b32 v[80:81], v[44:45], v[44:45] op_sel:[0,1]
                                        ; implicit-def: $sgpr72_sgpr73
                                        ; implicit-def: $vgpr2_vgpr3
	s_and_saveexec_b64 s[44:45], vcc
	s_cbranch_execz .LBB1466_112
; %bb.107:
	v_cmp_ne_u32_e32 vcc, v9, v6
	v_mov_b32_e32 v3, s69
	v_add_u32_e32 v2, 19, v83
	v_cndmask_b32_e32 v81, v5, v3, vcc
	v_mov_b32_e32 v3, s68
	v_cndmask_b32_e64 v124, 0, 1, vcc
	v_cndmask_b32_e32 v80, v4, v3, vcc
	v_cmp_gt_u32_e32 vcc, s74, v2
	v_mov_b32_e32 v108, 0
	v_pk_mov_b32 v[44:45], 0, 0
                                        ; implicit-def: $sgpr72_sgpr73
                                        ; implicit-def: $vgpr2_vgpr3
	s_and_saveexec_b64 s[46:47], vcc
	s_cbranch_execz .LBB1466_111
; %bb.108:
	ds_read2_b64 v[2:5], v26 offset0:19 offset1:20
	v_cmp_ne_u32_e32 vcc, v6, v7
	v_mov_b32_e32 v6, s69
	v_add_u32_e32 v8, 20, v83
	v_cndmask_b32_e64 v108, 0, 1, vcc
	s_waitcnt lgkmcnt(0)
	v_cndmask_b32_e32 v45, v3, v6, vcc
	v_mov_b32_e32 v3, s68
	v_cndmask_b32_e32 v44, v2, v3, vcc
	v_cmp_gt_u32_e32 vcc, s74, v8
                                        ; implicit-def: $sgpr72_sgpr73
                                        ; implicit-def: $vgpr2_vgpr3
	s_and_saveexec_b64 s[74:75], vcc
	s_xor_b64 s[74:75], exec, s[74:75]
; %bb.109:
	v_mov_b32_e32 v2, s69
	v_cmp_ne_u32_e32 vcc, v7, v82
	v_cndmask_b32_e32 v3, v5, v2, vcc
	v_mov_b32_e32 v2, s68
	s_mov_b64 s[64:65], exec
	v_cndmask_b32_e32 v2, v4, v2, vcc
	s_and_b64 s[72:73], vcc, exec
; %bb.110:
	s_or_b64 exec, exec, s[74:75]
	s_and_b64 s[72:73], s[72:73], exec
	s_and_b64 s[64:65], s[64:65], exec
.LBB1466_111:
	s_or_b64 exec, exec, s[46:47]
	s_and_b64 s[72:73], s[72:73], exec
	s_and_b64 s[46:47], s[64:65], exec
.LBB1466_112:
	s_or_b64 exec, exec, s[44:45]
	s_and_b64 s[64:65], s[72:73], exec
	s_and_b64 s[44:45], s[46:47], exec
.LBB1466_113:
	s_or_b64 exec, exec, s[42:43]
	s_and_b64 s[46:47], s[64:65], exec
	s_and_b64 s[42:43], s[44:45], exec
.LBB1466_114:
	s_or_b64 exec, exec, s[40:41]
	s_and_b64 s[44:45], s[46:47], exec
	s_and_b64 s[40:41], s[42:43], exec
.LBB1466_115:
	s_or_b64 exec, exec, s[38:39]
	s_and_b64 s[42:43], s[44:45], exec
	s_and_b64 s[38:39], s[40:41], exec
.LBB1466_116:
	s_or_b64 exec, exec, s[36:37]
	s_and_b64 s[40:41], s[42:43], exec
	s_and_b64 s[36:37], s[38:39], exec
.LBB1466_117:
	s_or_b64 exec, exec, s[34:35]
	s_and_b64 s[38:39], s[40:41], exec
	s_and_b64 s[34:35], s[36:37], exec
.LBB1466_118:
	s_or_b64 exec, exec, s[30:31]
	s_and_b64 s[36:37], s[38:39], exec
	s_and_b64 s[30:31], s[34:35], exec
.LBB1466_119:
	s_or_b64 exec, exec, s[28:29]
	s_and_b64 s[34:35], s[36:37], exec
	s_and_b64 s[28:29], s[30:31], exec
.LBB1466_120:
	s_or_b64 exec, exec, s[26:27]
	s_and_b64 s[30:31], s[34:35], exec
	s_and_b64 s[26:27], s[28:29], exec
.LBB1466_121:
	s_or_b64 exec, exec, s[24:25]
	s_and_b64 s[28:29], s[30:31], exec
	s_and_b64 s[24:25], s[26:27], exec
.LBB1466_122:
	s_or_b64 exec, exec, s[22:23]
	s_and_b64 s[26:27], s[28:29], exec
	s_and_b64 s[22:23], s[24:25], exec
.LBB1466_123:
	s_or_b64 exec, exec, s[20:21]
	s_and_b64 s[24:25], s[26:27], exec
	s_and_b64 s[20:21], s[22:23], exec
.LBB1466_124:
	s_or_b64 exec, exec, s[18:19]
	s_and_b64 s[22:23], s[24:25], exec
	s_and_b64 s[18:19], s[20:21], exec
.LBB1466_125:
	s_or_b64 exec, exec, s[16:17]
	s_and_b64 s[20:21], s[22:23], exec
	s_and_b64 s[16:17], s[18:19], exec
.LBB1466_126:
	s_or_b64 exec, exec, s[14:15]
	s_and_b64 s[18:19], s[20:21], exec
	s_and_b64 s[14:15], s[16:17], exec
.LBB1466_127:
	s_or_b64 exec, exec, s[12:13]
	s_and_b64 s[16:17], s[18:19], exec
	s_and_b64 s[12:13], s[14:15], exec
.LBB1466_128:
	s_or_b64 exec, exec, s[10:11]
	s_and_b64 s[14:15], s[16:17], exec
	s_and_b64 s[10:11], s[12:13], exec
.LBB1466_129:
	s_or_b64 exec, exec, s[8:9]
	s_and_b64 s[8:9], s[14:15], exec
	s_and_b64 s[10:11], s[10:11], exec
.LBB1466_130:
	s_or_b64 exec, exec, s[4:5]
	s_mov_b64 s[4:5], 0
	s_and_b64 vcc, exec, s[2:3]
	s_cbranch_vccz .LBB1466_136
.LBB1466_131:
	v_lshlrev_b32_e32 v2, 2, v0
	v_mov_b32_e32 v1, s61
	v_add_co_u32_e32 v4, vcc, s60, v2
	v_addc_co_u32_e32 v5, vcc, 0, v1, vcc
	s_movk_i32 s4, 0x1000
	flat_load_dword v1, v[4:5]
	flat_load_dword v3, v[4:5] offset:256
	flat_load_dword v6, v[4:5] offset:512
	;; [unrolled: 1-line block ×15, first 2 shown]
	v_add_co_u32_e32 v4, vcc, s4, v4
	v_addc_co_u32_e32 v5, vcc, 0, v5, vcc
	flat_load_dword v20, v[4:5]
	flat_load_dword v21, v[4:5] offset:256
	flat_load_dword v22, v[4:5] offset:512
	;; [unrolled: 1-line block ×4, first 2 shown]
	v_mov_b32_e32 v4, s60
	v_mov_b32_e32 v5, s61
	v_add_co_u32_e32 v4, vcc, 0x1000, v4
	v_addc_co_u32_e32 v5, vcc, 0, v5, vcc
	s_movk_i32 s2, 0x50
	v_cmp_ne_u32_e32 vcc, 63, v0
	s_waitcnt vmcnt(0) lgkmcnt(0)
	ds_write2st64_b32 v2, v1, v3 offset1:1
	ds_write2st64_b32 v2, v6, v7 offset0:2 offset1:3
	ds_write2st64_b32 v2, v8, v9 offset0:4 offset1:5
	;; [unrolled: 1-line block ×9, first 2 shown]
	ds_write_b32 v2, v24 offset:5120
	s_waitcnt lgkmcnt(0)
	; wave barrier
	s_waitcnt lgkmcnt(0)
	flat_load_dword v84, v[4:5] offset:1280
	v_mad_u32_u24 v3, v0, s2, v2
	s_movk_i32 s2, 0xffb0
	ds_read_b32 v1, v3
	ds_read2_b32 v[60:61], v3 offset0:1 offset1:2
	ds_read2_b32 v[58:59], v3 offset0:3 offset1:4
	;; [unrolled: 1-line block ×10, first 2 shown]
	v_mad_i32_i24 v3, v0, s2, v3
	s_waitcnt lgkmcnt(0)
	ds_write_b32 v3, v1 offset:5632
	s_waitcnt lgkmcnt(0)
	; wave barrier
	s_waitcnt lgkmcnt(0)
	s_and_saveexec_b64 s[2:3], vcc
	s_cbranch_execz .LBB1466_133
; %bb.132:
	s_waitcnt vmcnt(0)
	ds_read_b32 v84, v2 offset:5636
.LBB1466_133:
	s_or_b64 exec, exec, s[2:3]
	v_lshlrev_b32_e32 v2, 3, v0
	v_mov_b32_e32 v5, s55
	v_add_co_u32_e32 v4, vcc, s7, v2
	v_addc_co_u32_e32 v5, vcc, 0, v5, vcc
	v_add_co_u32_e32 v22, vcc, s4, v4
	v_addc_co_u32_e32 v23, vcc, 0, v5, vcc
	s_movk_i32 s2, 0x2000
	s_waitcnt lgkmcnt(0)
	; wave barrier
	s_waitcnt lgkmcnt(0)
	flat_load_dwordx2 v[6:7], v[4:5]
	flat_load_dwordx2 v[8:9], v[4:5] offset:512
	flat_load_dwordx2 v[10:11], v[4:5] offset:1024
	;; [unrolled: 1-line block ×7, first 2 shown]
	v_add_co_u32_e32 v4, vcc, s2, v4
	v_addc_co_u32_e32 v5, vcc, 0, v5, vcc
	flat_load_dwordx2 v[24:25], v[22:23]
	flat_load_dwordx2 v[26:27], v[22:23] offset:512
	flat_load_dwordx2 v[28:29], v[22:23] offset:1024
	;; [unrolled: 1-line block ×7, first 2 shown]
	s_nop 0
	flat_load_dwordx2 v[22:23], v[4:5]
	flat_load_dwordx2 v[40:41], v[4:5] offset:512
	flat_load_dwordx2 v[42:43], v[4:5] offset:1024
	;; [unrolled: 1-line block ×4, first 2 shown]
	v_lshl_add_u32 v62, v0, 2, v3
	s_movk_i32 s2, 0xa0
	v_mad_u32_u24 v2, v0, s2, v62
	v_cmp_ne_u32_e32 vcc, v1, v60
	v_cmp_eq_u32_e64 s[2:3], v1, v60
	s_waitcnt vmcnt(0) lgkmcnt(0)
	ds_write2st64_b64 v62, v[6:7], v[8:9] offset1:1
	ds_write2st64_b64 v62, v[10:11], v[12:13] offset0:2 offset1:3
	ds_write2st64_b64 v62, v[14:15], v[16:17] offset0:4 offset1:5
	;; [unrolled: 1-line block ×9, first 2 shown]
	ds_write_b64 v62, v[66:67] offset:10240
	s_waitcnt lgkmcnt(0)
	; wave barrier
	s_waitcnt lgkmcnt(0)
	ds_read2_b64 v[38:41], v2 offset0:1 offset1:2
	ds_read2_b64 v[34:37], v2 offset0:3 offset1:4
	;; [unrolled: 1-line block ×10, first 2 shown]
	v_pk_mov_b32 v[42:43], s[68:69], s[68:69] op_sel:[0,1]
	s_and_saveexec_b64 s[4:5], s[2:3]
	s_cbranch_execz .LBB1466_135
; %bb.134:
	v_mul_u32_u24_e32 v1, 0xa0, v0
	v_add_u32_e32 v1, v62, v1
	ds_read_b64 v[42:43], v1
.LBB1466_135:
	s_or_b64 exec, exec, s[4:5]
	v_cndmask_b32_e64 v1, 0, 1, vcc
	v_cmp_ne_u32_e32 vcc, v60, v61
	v_cmp_ne_u32_e64 s[38:39], v45, v82
	v_cmp_ne_u32_e64 s[40:41], v82, v83
	v_mov_b32_e32 v82, s69
	v_cmp_ne_u32_e64 s[8:9], v59, v56
	v_cmp_ne_u32_e64 s[30:31], v46, v47
	;; [unrolled: 1-line block ×3, first 2 shown]
	s_waitcnt lgkmcnt(9)
	v_cndmask_b32_e32 v47, v39, v82, vcc
	v_mov_b32_e32 v39, s68
	v_cmp_ne_u32_e64 s[2:3], v61, v58
	v_cmp_ne_u32_e64 s[4:5], v58, v59
	v_cndmask_b32_e64 v110, 0, 1, s[8:9]
	v_cmp_ne_u32_e64 s[10:11], v56, v57
	v_cmp_ne_u32_e64 s[12:13], v57, v54
	;; [unrolled: 1-line block ×11, first 2 shown]
	s_waitcnt lgkmcnt(8)
	v_cndmask_b32_e64 v53, v37, v82, s[8:9]
	v_cndmask_b32_e64 v52, v36, v39, s[8:9]
	v_cmp_ne_u32_e64 s[8:9], v83, v84
	v_cndmask_b32_e64 v106, 0, 1, vcc
	v_cndmask_b32_e64 v107, 0, 1, s[2:3]
	v_cndmask_b32_e64 v109, 0, 1, s[4:5]
	;; [unrolled: 1-line block ×17, first 2 shown]
	v_cndmask_b32_e32 v46, v38, v39, vcc
	v_cndmask_b32_e64 v49, v41, v82, s[2:3]
	v_cndmask_b32_e64 v48, v40, v39, s[2:3]
	v_cndmask_b32_e64 v51, v35, v82, s[4:5]
	v_cndmask_b32_e64 v50, v34, v39, s[4:5]
	s_waitcnt lgkmcnt(7)
	v_cndmask_b32_e64 v55, v31, v82, s[10:11]
	v_cndmask_b32_e64 v54, v30, v39, s[10:11]
	v_cndmask_b32_e64 v57, v33, v82, s[12:13]
	v_cndmask_b32_e64 v56, v32, v39, s[12:13]
	s_waitcnt lgkmcnt(6)
	;; [unrolled: 5-line block ×8, first 2 shown]
	v_cndmask_b32_e64 v45, v3, v82, s[40:41]
	v_cndmask_b32_e64 v44, v2, v39, s[40:41]
	;; [unrolled: 1-line block ×4, first 2 shown]
	s_mov_b64 s[10:11], -1
                                        ; implicit-def: $sgpr76
                                        ; implicit-def: $sgpr4_sgpr5
.LBB1466_136:
	v_pk_mov_b32 v[82:83], s[4:5], s[4:5] op_sel:[0,1]
	v_mov_b32_e32 v125, s76
	s_and_saveexec_b64 s[2:3], s[10:11]
; %bb.137:
	v_cndmask_b32_e64 v125, 0, 1, s[8:9]
	v_pk_mov_b32 v[82:83], v[2:3], v[2:3] op_sel:[0,1]
; %bb.138:
	s_or_b64 exec, exec, s[2:3]
	v_or_b32_e32 v2, v125, v108
	s_cmp_lg_u32 s6, 0
	v_or_b32_e32 v127, v2, v124
	v_mbcnt_lo_u32_b32 v126, -1, 0
	s_waitcnt lgkmcnt(0)
	; wave barrier
	s_waitcnt lgkmcnt(0)
	s_cbranch_scc0 .LBB1466_197
; %bb.139:
	v_mov_b32_e32 v2, 0
	v_cmp_eq_u16_sdwa s[40:41], v106, v2 src0_sel:BYTE_0 src1_sel:DWORD
	v_cndmask_b32_e64 v4, 0, v42, s[40:41]
	v_cndmask_b32_e64 v3, 0, v43, s[40:41]
	v_add_co_u32_e32 v4, vcc, v4, v46
	v_cmp_eq_u16_sdwa s[38:39], v107, v2 src0_sel:BYTE_0 src1_sel:DWORD
	v_addc_co_u32_e32 v3, vcc, v3, v47, vcc
	v_cndmask_b32_e64 v4, 0, v4, s[38:39]
	v_cndmask_b32_e64 v3, 0, v3, s[38:39]
	v_add_co_u32_e32 v4, vcc, v4, v48
	v_cmp_eq_u16_sdwa s[36:37], v109, v2 src0_sel:BYTE_0 src1_sel:DWORD
	v_addc_co_u32_e32 v3, vcc, v3, v49, vcc
	;; [unrolled: 5-line block ×18, first 2 shown]
	v_cndmask_b32_e64 v4, 0, v4, s[2:3]
	v_cndmask_b32_e64 v3, 0, v3, s[2:3]
	v_add_co_u32_e32 v4, vcc, v4, v44
	v_addc_co_u32_e32 v3, vcc, v3, v45, vcc
	v_cmp_eq_u16_sdwa vcc, v125, v2 src0_sel:BYTE_0 src1_sel:DWORD
	v_cndmask_b32_e32 v2, 0, v4, vcc
	v_or_b32_e32 v4, v127, v123
	v_or_b32_e32 v4, v4, v122
	;; [unrolled: 1-line block ×17, first 2 shown]
	v_cndmask_b32_e32 v3, 0, v3, vcc
	v_add_co_u32_e32 v2, vcc, v2, v82
	v_or_b32_e32 v4, v4, v1
	v_mbcnt_hi_u32_b32 v5, -1, v126
	v_addc_co_u32_e32 v3, vcc, v3, v83, vcc
	v_and_b32_e32 v4, 1, v4
	v_and_b32_e32 v7, 15, v5
	v_cmp_eq_u32_e32 vcc, 1, v4
	v_mov_b32_dpp v9, v2 row_shr:1 row_mask:0xf bank_mask:0xf
	v_mov_b32_dpp v10, v3 row_shr:1 row_mask:0xf bank_mask:0xf
	;; [unrolled: 1-line block ×3, first 2 shown]
	v_cmp_ne_u32_e64 s[42:43], 0, v7
	v_mov_b32_e32 v6, v4
	s_and_saveexec_b64 s[46:47], s[42:43]
; %bb.140:
	v_cndmask_b32_e64 v9, v9, 0, vcc
	v_cndmask_b32_e64 v6, v10, 0, vcc
	v_add_co_u32_e32 v2, vcc, v9, v2
	v_addc_co_u32_e32 v3, vcc, v6, v3, vcc
	v_and_b32_e32 v6, 1, v8
	v_or_b32_e32 v4, v6, v4
	v_and_b32_e32 v6, 0xffff, v4
; %bb.141:
	s_or_b64 exec, exec, s[46:47]
	v_mov_b32_dpp v9, v2 row_shr:2 row_mask:0xf bank_mask:0xf
	v_mov_b32_dpp v10, v3 row_shr:2 row_mask:0xf bank_mask:0xf
	v_mov_b32_dpp v8, v6 row_shr:2 row_mask:0xf bank_mask:0xf
	v_cmp_lt_u32_e32 vcc, 1, v7
	s_and_saveexec_b64 s[46:47], vcc
	s_cbranch_execz .LBB1466_143
; %bb.142:
	v_cmp_eq_u16_e32 vcc, 0, v4
	v_cndmask_b32_e32 v9, 0, v9, vcc
	v_cndmask_b32_e32 v6, 0, v10, vcc
	v_add_co_u32_e32 v2, vcc, v9, v2
	v_addc_co_u32_e32 v3, vcc, v6, v3, vcc
	v_and_b32_e32 v4, 1, v4
	v_cmp_eq_u32_e32 vcc, 1, v4
	v_and_b32_e32 v4, 1, v8
	v_cmp_eq_u32_e64 s[42:43], 1, v4
	s_or_b64 s[42:43], vcc, s[42:43]
	v_cndmask_b32_e64 v4, 0, 1, s[42:43]
	v_cndmask_b32_e64 v6, 0, 1, s[42:43]
.LBB1466_143:
	s_or_b64 exec, exec, s[46:47]
	v_mov_b32_dpp v9, v2 row_shr:4 row_mask:0xf bank_mask:0xf
	v_mov_b32_dpp v10, v3 row_shr:4 row_mask:0xf bank_mask:0xf
	v_mov_b32_dpp v8, v6 row_shr:4 row_mask:0xf bank_mask:0xf
	v_cmp_lt_u32_e32 vcc, 3, v7
	s_and_saveexec_b64 s[46:47], vcc
	s_cbranch_execz .LBB1466_145
; %bb.144:
	v_cmp_eq_u16_e32 vcc, 0, v4
	v_cndmask_b32_e32 v9, 0, v9, vcc
	v_cndmask_b32_e32 v6, 0, v10, vcc
	v_add_co_u32_e32 v2, vcc, v9, v2
	v_addc_co_u32_e32 v3, vcc, v6, v3, vcc
	v_and_b32_e32 v4, 1, v4
	v_cmp_eq_u32_e32 vcc, 1, v4
	v_and_b32_e32 v4, 1, v8
	v_cmp_eq_u32_e64 s[42:43], 1, v4
	s_or_b64 s[42:43], vcc, s[42:43]
	v_cndmask_b32_e64 v4, 0, 1, s[42:43]
	v_cndmask_b32_e64 v6, 0, 1, s[42:43]
.LBB1466_145:
	;; [unrolled: 21-line block ×3, first 2 shown]
	s_or_b64 exec, exec, s[46:47]
	v_and_b32_e32 v10, 16, v5
	v_mov_b32_dpp v8, v2 row_bcast:15 row_mask:0xf bank_mask:0xf
	v_mov_b32_dpp v9, v3 row_bcast:15 row_mask:0xf bank_mask:0xf
	v_mov_b32_dpp v7, v6 row_bcast:15 row_mask:0xf bank_mask:0xf
	v_cmp_ne_u32_e32 vcc, 0, v10
	s_and_saveexec_b64 s[46:47], vcc
	s_cbranch_execz .LBB1466_149
; %bb.148:
	v_cmp_eq_u16_e32 vcc, 0, v4
	v_cndmask_b32_e32 v8, 0, v8, vcc
	v_cndmask_b32_e32 v6, 0, v9, vcc
	v_add_co_u32_e32 v2, vcc, v8, v2
	v_addc_co_u32_e32 v3, vcc, v6, v3, vcc
	v_and_b32_e32 v4, 1, v4
	v_cmp_eq_u32_e32 vcc, 1, v4
	v_and_b32_e32 v4, 1, v7
	v_cmp_eq_u32_e64 s[42:43], 1, v4
	s_or_b64 s[42:43], vcc, s[42:43]
	v_cndmask_b32_e64 v4, 0, 1, s[42:43]
	v_cndmask_b32_e64 v6, 0, 1, s[42:43]
.LBB1466_149:
	s_or_b64 exec, exec, s[46:47]
	v_mov_b32_dpp v7, v2 row_bcast:31 row_mask:0xf bank_mask:0xf
	v_mov_b32_dpp v8, v3 row_bcast:31 row_mask:0xf bank_mask:0xf
	;; [unrolled: 1-line block ×3, first 2 shown]
	v_cmp_lt_u32_e32 vcc, 31, v5
	s_and_saveexec_b64 s[46:47], vcc
; %bb.150:
	v_cmp_eq_u16_e32 vcc, 0, v4
	v_cndmask_b32_e32 v7, 0, v7, vcc
	v_cndmask_b32_e32 v8, 0, v8, vcc
	v_add_co_u32_e32 v2, vcc, v7, v2
	v_addc_co_u32_e32 v3, vcc, v8, v3, vcc
	v_and_b32_e32 v4, 1, v4
	v_cmp_eq_u32_e32 vcc, 1, v4
	v_and_b32_e32 v4, 1, v6
	v_cmp_eq_u32_e64 s[42:43], 1, v4
	s_or_b64 s[42:43], vcc, s[42:43]
	v_cndmask_b32_e64 v4, 0, 1, s[42:43]
; %bb.151:
	s_or_b64 exec, exec, s[46:47]
	v_cmp_eq_u32_e32 vcc, 63, v0
	s_and_saveexec_b64 s[42:43], vcc
	s_cbranch_execz .LBB1466_153
; %bb.152:
	v_mov_b32_e32 v6, 0
	ds_write_b64 v6, v[2:3]
	ds_write_b8 v6, v4 offset:8
.LBB1466_153:
	s_or_b64 exec, exec, s[42:43]
	v_add_u32_e32 v6, -1, v5
	v_and_b32_e32 v7, 64, v5
	v_cmp_lt_i32_e32 vcc, v6, v7
	v_cndmask_b32_e32 v6, v6, v5, vcc
	v_lshlrev_b32_e32 v6, 2, v6
	ds_bpermute_b32 v12, v6, v2
	v_and_b32_e32 v2, 0xffff, v4
	ds_bpermute_b32 v13, v6, v3
	ds_bpermute_b32 v14, v6, v2
	v_cmp_gt_u32_e32 vcc, 64, v0
	s_waitcnt lgkmcnt(0)
	; wave barrier
	s_waitcnt lgkmcnt(0)
	s_and_saveexec_b64 s[60:61], vcc
	s_cbranch_execz .LBB1466_196
; %bb.154:
	v_mov_b32_e32 v7, 0
	ds_read_b64 v[2:3], v7
	ds_read_u8 v15, v7 offset:8
	s_mov_b32 s65, 0
	v_cmp_eq_u32_e64 s[42:43], 0, v5
	s_and_saveexec_b64 s[46:47], s[42:43]
	s_cbranch_execz .LBB1466_156
; %bb.155:
	s_add_i32 s64, s6, 64
	s_lshl_b64 s[72:73], s[64:65], 4
	s_add_u32 s72, s48, s72
	s_addc_u32 s73, s49, s73
	v_mov_b32_e32 v4, s64
	v_mov_b32_e32 v6, 1
	s_waitcnt lgkmcnt(1)
	global_store_dwordx2 v7, v[2:3], s[72:73]
	s_waitcnt lgkmcnt(0)
	global_store_byte v7, v15, s[72:73] offset:8
	s_waitcnt vmcnt(0)
	buffer_wbinvl1_vol
	global_store_byte v4, v6, s[52:53]
.LBB1466_156:
	s_or_b64 exec, exec, s[46:47]
	v_xad_u32 v4, v5, -1, s6
	v_add_u32_e32 v6, 64, v4
	global_load_ubyte v16, v6, s[52:53] glc
	s_waitcnt vmcnt(0)
	v_cmp_eq_u16_e32 vcc, 0, v16
	s_and_saveexec_b64 s[46:47], vcc
	s_cbranch_execz .LBB1466_160
; %bb.157:
	v_mov_b32_e32 v9, s53
	v_add_co_u32_e32 v8, vcc, s52, v6
	v_addc_co_u32_e32 v9, vcc, 0, v9, vcc
	s_mov_b64 s[64:65], 0
.LBB1466_158:                           ; =>This Inner Loop Header: Depth=1
	global_load_ubyte v16, v[8:9], off glc
	s_waitcnt vmcnt(0)
	v_cmp_ne_u16_e32 vcc, 0, v16
	s_or_b64 s[64:65], vcc, s[64:65]
	s_andn2_b64 exec, exec, s[64:65]
	s_cbranch_execnz .LBB1466_158
; %bb.159:
	s_or_b64 exec, exec, s[64:65]
.LBB1466_160:
	s_or_b64 exec, exec, s[46:47]
	v_mov_b32_e32 v8, s51
	v_mov_b32_e32 v9, s49
	v_cmp_eq_u16_e32 vcc, 1, v16
	v_cndmask_b32_e32 v8, v8, v9, vcc
	v_mov_b32_e32 v9, s50
	v_mov_b32_e32 v10, s48
	v_cndmask_b32_e32 v9, v9, v10, vcc
	v_lshlrev_b64 v[6:7], 4, v[6:7]
	v_add_co_u32_e32 v6, vcc, v9, v6
	v_addc_co_u32_e32 v7, vcc, v8, v7, vcc
	s_waitcnt lgkmcnt(0)
	buffer_wbinvl1_vol
	global_load_dwordx2 v[10:11], v[6:7], off
	global_load_ubyte v31, v[6:7], off offset:8
	v_cmp_eq_u16_e32 vcc, 2, v16
	v_lshlrev_b64 v[6:7], v5, -1
	v_and_b32_e32 v17, 63, v5
	v_and_b32_e32 v8, vcc_hi, v7
	v_and_b32_e32 v22, vcc_lo, v6
	v_cmp_ne_u32_e32 vcc, 63, v17
	v_addc_co_u32_e32 v9, vcc, 0, v5, vcc
	v_lshlrev_b32_e32 v18, 2, v9
	v_or_b32_e32 v8, 0x80000000, v8
	v_ffbl_b32_e32 v8, v8
	v_add_u32_e32 v8, 32, v8
	v_ffbl_b32_e32 v22, v22
	v_min_u32_e32 v8, v22, v8
	v_cmp_lt_u32_e32 vcc, v17, v8
	s_waitcnt vmcnt(1)
	ds_bpermute_b32 v20, v18, v10
	s_waitcnt vmcnt(0)
	v_and_b32_e32 v9, 1, v31
	ds_bpermute_b32 v21, v18, v11
	ds_bpermute_b32 v19, v18, v9
	s_and_saveexec_b64 s[46:47], vcc
	s_cbranch_execz .LBB1466_162
; %bb.161:
	v_mov_b32_e32 v9, 0
	v_cmp_eq_u16_sdwa vcc, v31, v9 src0_sel:BYTE_0 src1_sel:DWORD
	s_waitcnt lgkmcnt(2)
	v_cndmask_b32_e32 v20, 0, v20, vcc
	s_waitcnt lgkmcnt(1)
	v_cndmask_b32_e32 v9, 0, v21, vcc
	v_add_co_u32_e32 v10, vcc, v20, v10
	v_addc_co_u32_e32 v11, vcc, v9, v11, vcc
	s_waitcnt lgkmcnt(0)
	v_and_b32_e32 v9, 1, v19
	v_or_b32_e32 v31, v9, v31
	v_and_b32_e32 v9, 0xff, v31
.LBB1466_162:
	s_or_b64 exec, exec, s[46:47]
	v_cmp_gt_u32_e32 vcc, 62, v17
	s_waitcnt lgkmcnt(0)
	v_cndmask_b32_e64 v19, 0, 1, vcc
	v_lshlrev_b32_e32 v19, 1, v19
	v_add_lshl_u32 v19, v19, v5, 2
	ds_bpermute_b32 v22, v19, v10
	ds_bpermute_b32 v23, v19, v11
	ds_bpermute_b32 v21, v19, v9
	v_add_u32_e32 v20, 2, v17
	v_cmp_le_u32_e32 vcc, v20, v8
	s_and_saveexec_b64 s[64:65], vcc
	s_cbranch_execz .LBB1466_164
; %bb.163:
	v_mov_b32_e32 v9, 0
	v_cmp_eq_u16_sdwa vcc, v31, v9 src0_sel:BYTE_0 src1_sel:DWORD
	s_waitcnt lgkmcnt(2)
	v_cndmask_b32_e32 v22, 0, v22, vcc
	s_waitcnt lgkmcnt(1)
	v_cndmask_b32_e32 v9, 0, v23, vcc
	v_add_co_u32_e32 v10, vcc, v22, v10
	v_addc_co_u32_e32 v11, vcc, v9, v11, vcc
	v_and_b32_e32 v9, 1, v31
	v_cmp_eq_u32_e32 vcc, 1, v9
	s_waitcnt lgkmcnt(0)
	v_and_b32_e32 v9, 1, v21
	v_cmp_eq_u32_e64 s[46:47], 1, v9
	s_or_b64 s[46:47], vcc, s[46:47]
	v_cndmask_b32_e64 v31, 0, 1, s[46:47]
	v_cndmask_b32_e64 v9, 0, 1, s[46:47]
.LBB1466_164:
	s_or_b64 exec, exec, s[64:65]
	v_cmp_gt_u32_e32 vcc, 60, v17
	s_waitcnt lgkmcnt(0)
	v_cndmask_b32_e64 v21, 0, 1, vcc
	v_lshlrev_b32_e32 v21, 2, v21
	v_add_lshl_u32 v21, v21, v5, 2
	ds_bpermute_b32 v24, v21, v10
	ds_bpermute_b32 v25, v21, v11
	ds_bpermute_b32 v23, v21, v9
	v_add_u32_e32 v22, 4, v17
	v_cmp_le_u32_e32 vcc, v22, v8
	s_and_saveexec_b64 s[64:65], vcc
	s_cbranch_execz .LBB1466_166
; %bb.165:
	v_mov_b32_e32 v9, 0
	v_cmp_eq_u16_sdwa vcc, v31, v9 src0_sel:BYTE_0 src1_sel:DWORD
	s_waitcnt lgkmcnt(2)
	v_cndmask_b32_e32 v24, 0, v24, vcc
	s_waitcnt lgkmcnt(1)
	v_cndmask_b32_e32 v9, 0, v25, vcc
	v_add_co_u32_e32 v10, vcc, v24, v10
	v_addc_co_u32_e32 v11, vcc, v9, v11, vcc
	v_and_b32_e32 v9, 1, v31
	v_cmp_eq_u32_e32 vcc, 1, v9
	s_waitcnt lgkmcnt(0)
	v_and_b32_e32 v9, 1, v23
	v_cmp_eq_u32_e64 s[46:47], 1, v9
	s_or_b64 s[46:47], vcc, s[46:47]
	v_cndmask_b32_e64 v31, 0, 1, s[46:47]
	v_cndmask_b32_e64 v9, 0, 1, s[46:47]
.LBB1466_166:
	;; [unrolled: 31-line block ×4, first 2 shown]
	s_or_b64 exec, exec, s[64:65]
	v_cmp_gt_u32_e32 vcc, 32, v17
	s_waitcnt lgkmcnt(0)
	v_cndmask_b32_e64 v27, 0, 1, vcc
	v_lshlrev_b32_e32 v27, 5, v27
	v_add_lshl_u32 v28, v27, v5, 2
	ds_bpermute_b32 v27, v28, v10
	ds_bpermute_b32 v30, v28, v11
	;; [unrolled: 1-line block ×3, first 2 shown]
	v_add_u32_e32 v29, 32, v17
	v_cmp_le_u32_e32 vcc, v29, v8
	s_and_saveexec_b64 s[64:65], vcc
	s_cbranch_execz .LBB1466_172
; %bb.171:
	v_mov_b32_e32 v8, 0
	v_cmp_eq_u16_sdwa vcc, v31, v8 src0_sel:BYTE_0 src1_sel:DWORD
	s_waitcnt lgkmcnt(2)
	v_cndmask_b32_e32 v9, 0, v27, vcc
	s_waitcnt lgkmcnt(1)
	v_cndmask_b32_e32 v8, 0, v30, vcc
	v_add_co_u32_e32 v10, vcc, v9, v10
	v_addc_co_u32_e32 v11, vcc, v8, v11, vcc
	v_and_b32_e32 v8, 1, v31
	s_waitcnt lgkmcnt(0)
	v_and_b32_e32 v5, 1, v5
	v_cmp_eq_u32_e32 vcc, 1, v8
	v_cmp_eq_u32_e64 s[46:47], 1, v5
	s_or_b64 s[46:47], vcc, s[46:47]
	v_cndmask_b32_e64 v31, 0, 1, s[46:47]
.LBB1466_172:
	s_or_b64 exec, exec, s[64:65]
	s_waitcnt lgkmcnt(0)
	v_mov_b32_e32 v5, 0
	v_mov_b32_e32 v30, 2
	s_branch .LBB1466_174
.LBB1466_173:                           ;   in Loop: Header=BB1466_174 Depth=1
	s_or_b64 exec, exec, s[72:73]
	v_cmp_eq_u16_sdwa vcc, v27, v5 src0_sel:BYTE_0 src1_sel:DWORD
	v_cndmask_b32_e32 v10, 0, v10, vcc
	v_cndmask_b32_e32 v11, 0, v11, vcc
	v_add_co_u32_e32 v10, vcc, v10, v8
	v_addc_co_u32_e32 v11, vcc, v11, v9, vcc
	v_and_b32_e32 v31, 1, v27
	v_cmp_eq_u32_e32 vcc, 1, v31
	s_or_b64 s[46:47], vcc, s[64:65]
	v_subrev_u32_e32 v4, 64, v4
	v_cndmask_b32_e64 v31, 0, 1, s[46:47]
.LBB1466_174:                           ; =>This Loop Header: Depth=1
                                        ;     Child Loop BB1466_177 Depth 2
	v_cmp_ne_u16_sdwa s[46:47], v16, v30 src0_sel:BYTE_0 src1_sel:DWORD
	v_cndmask_b32_e64 v8, 0, 1, s[46:47]
	;;#ASMSTART
	;;#ASMEND
	v_cmp_ne_u32_e32 vcc, 0, v8
	v_mov_b32_e32 v27, v31
	s_cmp_lg_u64 vcc, exec
	v_pk_mov_b32 v[8:9], v[10:11], v[10:11] op_sel:[0,1]
	s_cbranch_scc1 .LBB1466_191
; %bb.175:                              ;   in Loop: Header=BB1466_174 Depth=1
	global_load_ubyte v16, v4, s[52:53] glc
	s_waitcnt vmcnt(0)
	v_cmp_eq_u16_e32 vcc, 0, v16
	s_and_saveexec_b64 s[46:47], vcc
	s_cbranch_execz .LBB1466_179
; %bb.176:                              ;   in Loop: Header=BB1466_174 Depth=1
	v_mov_b32_e32 v11, s53
	v_add_co_u32_e32 v10, vcc, s52, v4
	v_addc_co_u32_e32 v11, vcc, 0, v11, vcc
	s_mov_b64 s[64:65], 0
.LBB1466_177:                           ;   Parent Loop BB1466_174 Depth=1
                                        ; =>  This Inner Loop Header: Depth=2
	global_load_ubyte v16, v[10:11], off glc
	s_waitcnt vmcnt(0)
	v_cmp_ne_u16_e32 vcc, 0, v16
	s_or_b64 s[64:65], vcc, s[64:65]
	s_andn2_b64 exec, exec, s[64:65]
	s_cbranch_execnz .LBB1466_177
; %bb.178:                              ;   in Loop: Header=BB1466_174 Depth=1
	s_or_b64 exec, exec, s[64:65]
.LBB1466_179:                           ;   in Loop: Header=BB1466_174 Depth=1
	s_or_b64 exec, exec, s[46:47]
	v_mov_b32_e32 v10, s51
	v_mov_b32_e32 v11, s49
	v_cmp_eq_u16_e32 vcc, 1, v16
	v_cndmask_b32_e32 v31, v10, v11, vcc
	v_mov_b32_e32 v10, s50
	v_mov_b32_e32 v11, s48
	v_cndmask_b32_e32 v32, v10, v11, vcc
	v_lshlrev_b64 v[10:11], 4, v[4:5]
	v_add_co_u32_e32 v32, vcc, v32, v10
	s_waitcnt lgkmcnt(0)
	v_addc_co_u32_e32 v33, vcc, v31, v11, vcc
	buffer_wbinvl1_vol
	global_load_dwordx2 v[10:11], v[32:33], off
	global_load_ubyte v31, v[32:33], off offset:8
	v_cmp_eq_u16_e32 vcc, 2, v16
	v_and_b32_e32 v32, vcc_hi, v7
	v_or_b32_e32 v32, 0x80000000, v32
	v_and_b32_e32 v37, vcc_lo, v6
	v_ffbl_b32_e32 v32, v32
	v_add_u32_e32 v32, 32, v32
	v_ffbl_b32_e32 v37, v37
	v_min_u32_e32 v32, v37, v32
	v_cmp_lt_u32_e32 vcc, v17, v32
	s_waitcnt vmcnt(1)
	ds_bpermute_b32 v35, v18, v10
	s_waitcnt vmcnt(0)
	v_and_b32_e32 v33, 1, v31
	ds_bpermute_b32 v36, v18, v11
	ds_bpermute_b32 v34, v18, v33
	s_and_saveexec_b64 s[46:47], vcc
	s_cbranch_execz .LBB1466_181
; %bb.180:                              ;   in Loop: Header=BB1466_174 Depth=1
	v_cmp_eq_u16_sdwa vcc, v31, v5 src0_sel:BYTE_0 src1_sel:DWORD
	s_waitcnt lgkmcnt(2)
	v_cndmask_b32_e32 v35, 0, v35, vcc
	s_waitcnt lgkmcnt(1)
	v_cndmask_b32_e32 v33, 0, v36, vcc
	v_add_co_u32_e32 v10, vcc, v35, v10
	v_addc_co_u32_e32 v11, vcc, v33, v11, vcc
	s_waitcnt lgkmcnt(0)
	v_and_b32_e32 v33, 1, v34
	v_or_b32_e32 v31, v33, v31
	v_and_b32_e32 v33, 0xff, v31
.LBB1466_181:                           ;   in Loop: Header=BB1466_174 Depth=1
	s_or_b64 exec, exec, s[46:47]
	s_waitcnt lgkmcnt(2)
	ds_bpermute_b32 v35, v19, v10
	s_waitcnt lgkmcnt(2)
	ds_bpermute_b32 v36, v19, v11
	;; [unrolled: 2-line block ×3, first 2 shown]
	v_and_b32_e32 v37, 1, v31
	v_cmp_le_u32_e32 vcc, v20, v32
	v_cmp_eq_u32_e64 s[64:65], 1, v37
	s_and_saveexec_b64 s[46:47], vcc
	s_cbranch_execz .LBB1466_183
; %bb.182:                              ;   in Loop: Header=BB1466_174 Depth=1
	v_cmp_eq_u16_sdwa vcc, v31, v5 src0_sel:BYTE_0 src1_sel:DWORD
	s_waitcnt lgkmcnt(2)
	v_cndmask_b32_e32 v33, 0, v35, vcc
	s_waitcnt lgkmcnt(1)
	v_cndmask_b32_e32 v31, 0, v36, vcc
	v_add_co_u32_e32 v10, vcc, v33, v10
	v_addc_co_u32_e32 v11, vcc, v31, v11, vcc
	s_waitcnt lgkmcnt(0)
	v_and_b32_e32 v31, 1, v34
	v_cmp_eq_u32_e32 vcc, 1, v31
	s_or_b64 s[72:73], s[64:65], vcc
	v_cndmask_b32_e64 v31, 0, 1, s[72:73]
	v_cndmask_b32_e64 v33, 0, 1, s[72:73]
	s_andn2_b64 s[64:65], s[64:65], exec
	s_and_b64 s[72:73], s[72:73], exec
	s_or_b64 s[64:65], s[64:65], s[72:73]
.LBB1466_183:                           ;   in Loop: Header=BB1466_174 Depth=1
	s_or_b64 exec, exec, s[46:47]
	s_waitcnt lgkmcnt(2)
	ds_bpermute_b32 v35, v21, v10
	s_waitcnt lgkmcnt(2)
	ds_bpermute_b32 v36, v21, v11
	s_waitcnt lgkmcnt(2)
	ds_bpermute_b32 v34, v21, v33
	v_cmp_le_u32_e32 vcc, v22, v32
	s_and_saveexec_b64 s[72:73], vcc
	s_cbranch_execz .LBB1466_185
; %bb.184:                              ;   in Loop: Header=BB1466_174 Depth=1
	v_cmp_eq_u16_sdwa vcc, v31, v5 src0_sel:BYTE_0 src1_sel:DWORD
	s_waitcnt lgkmcnt(2)
	v_cndmask_b32_e32 v35, 0, v35, vcc
	s_waitcnt lgkmcnt(1)
	v_cndmask_b32_e32 v33, 0, v36, vcc
	v_add_co_u32_e32 v10, vcc, v35, v10
	v_addc_co_u32_e32 v11, vcc, v33, v11, vcc
	v_and_b32_e32 v31, 1, v31
	v_cmp_eq_u32_e32 vcc, 1, v31
	s_waitcnt lgkmcnt(0)
	v_and_b32_e32 v31, 1, v34
	v_cmp_eq_u32_e64 s[46:47], 1, v31
	s_or_b64 s[46:47], vcc, s[46:47]
	v_cndmask_b32_e64 v31, 0, 1, s[46:47]
	v_cndmask_b32_e64 v33, 0, 1, s[46:47]
	s_andn2_b64 s[64:65], s[64:65], exec
	s_and_b64 s[46:47], s[46:47], exec
	s_or_b64 s[64:65], s[64:65], s[46:47]
.LBB1466_185:                           ;   in Loop: Header=BB1466_174 Depth=1
	s_or_b64 exec, exec, s[72:73]
	s_waitcnt lgkmcnt(2)
	ds_bpermute_b32 v35, v23, v10
	s_waitcnt lgkmcnt(2)
	ds_bpermute_b32 v36, v23, v11
	s_waitcnt lgkmcnt(2)
	ds_bpermute_b32 v34, v23, v33
	v_cmp_le_u32_e32 vcc, v24, v32
	s_and_saveexec_b64 s[72:73], vcc
	s_cbranch_execz .LBB1466_187
; %bb.186:                              ;   in Loop: Header=BB1466_174 Depth=1
	v_cmp_eq_u16_sdwa vcc, v31, v5 src0_sel:BYTE_0 src1_sel:DWORD
	s_waitcnt lgkmcnt(2)
	v_cndmask_b32_e32 v35, 0, v35, vcc
	s_waitcnt lgkmcnt(1)
	v_cndmask_b32_e32 v33, 0, v36, vcc
	v_add_co_u32_e32 v10, vcc, v35, v10
	v_addc_co_u32_e32 v11, vcc, v33, v11, vcc
	v_and_b32_e32 v31, 1, v31
	v_cmp_eq_u32_e32 vcc, 1, v31
	s_waitcnt lgkmcnt(0)
	v_and_b32_e32 v31, 1, v34
	v_cmp_eq_u32_e64 s[46:47], 1, v31
	s_or_b64 s[46:47], vcc, s[46:47]
	v_cndmask_b32_e64 v31, 0, 1, s[46:47]
	v_cndmask_b32_e64 v33, 0, 1, s[46:47]
	s_andn2_b64 s[64:65], s[64:65], exec
	s_and_b64 s[46:47], s[46:47], exec
	s_or_b64 s[64:65], s[64:65], s[46:47]
.LBB1466_187:                           ;   in Loop: Header=BB1466_174 Depth=1
	;; [unrolled: 30-line block ×3, first 2 shown]
	s_or_b64 exec, exec, s[72:73]
	s_waitcnt lgkmcnt(0)
	ds_bpermute_b32 v34, v28, v10
	ds_bpermute_b32 v35, v28, v11
	;; [unrolled: 1-line block ×3, first 2 shown]
	v_cmp_le_u32_e32 vcc, v29, v32
	s_and_saveexec_b64 s[72:73], vcc
	s_cbranch_execz .LBB1466_173
; %bb.190:                              ;   in Loop: Header=BB1466_174 Depth=1
	v_cmp_eq_u16_sdwa vcc, v31, v5 src0_sel:BYTE_0 src1_sel:DWORD
	s_waitcnt lgkmcnt(2)
	v_cndmask_b32_e32 v34, 0, v34, vcc
	s_waitcnt lgkmcnt(1)
	v_cndmask_b32_e32 v32, 0, v35, vcc
	v_add_co_u32_e32 v10, vcc, v34, v10
	v_addc_co_u32_e32 v11, vcc, v32, v11, vcc
	v_and_b32_e32 v31, 1, v31
	v_cmp_eq_u32_e32 vcc, 1, v31
	s_waitcnt lgkmcnt(0)
	v_and_b32_e32 v31, 1, v33
	v_cmp_eq_u32_e64 s[46:47], 1, v31
	s_or_b64 s[46:47], vcc, s[46:47]
	s_andn2_b64 s[64:65], s[64:65], exec
	s_and_b64 s[46:47], s[46:47], exec
	s_or_b64 s[64:65], s[64:65], s[46:47]
	s_branch .LBB1466_173
.LBB1466_191:                           ;   in Loop: Header=BB1466_174 Depth=1
                                        ; implicit-def: $vgpr31
                                        ; implicit-def: $vgpr10_vgpr11
                                        ; implicit-def: $vgpr16
	s_cbranch_execz .LBB1466_174
; %bb.192:
	s_and_saveexec_b64 s[46:47], s[42:43]
	s_cbranch_execz .LBB1466_194
; %bb.193:
	v_mov_b32_e32 v4, 0
	s_mov_b32 s7, 0
	v_cmp_eq_u16_sdwa vcc, v15, v4 src0_sel:BYTE_0 src1_sel:DWORD
	s_add_i32 s6, s6, 64
	v_cndmask_b32_e32 v6, 0, v8, vcc
	s_lshl_b64 s[42:43], s[6:7], 4
	v_cndmask_b32_e32 v5, 0, v9, vcc
	v_add_co_u32_e32 v2, vcc, v6, v2
	s_add_u32 s42, s50, s42
	v_addc_co_u32_e32 v3, vcc, v5, v3, vcc
	v_or_b32_e32 v5, v15, v27
	s_addc_u32 s43, s51, s43
	v_and_b32_e32 v5, 1, v5
	global_store_dwordx2 v4, v[2:3], s[42:43]
	global_store_byte v4, v5, s[42:43] offset:8
	v_mov_b32_e32 v2, s6
	v_mov_b32_e32 v3, 2
	s_waitcnt vmcnt(0) lgkmcnt(0)
	buffer_wbinvl1_vol
	global_store_byte v2, v3, s[52:53]
.LBB1466_194:
	s_or_b64 exec, exec, s[46:47]
	v_cmp_eq_u32_e32 vcc, 0, v0
	s_and_b64 exec, exec, vcc
	s_cbranch_execz .LBB1466_196
; %bb.195:
	v_mov_b32_e32 v2, 0
	ds_write_b64 v2, v[8:9]
	ds_write_b8 v2, v27 offset:8
.LBB1466_196:
	s_or_b64 exec, exec, s[60:61]
	v_mov_b32_e32 v4, 0
	s_waitcnt lgkmcnt(0)
	; wave barrier
	s_waitcnt lgkmcnt(0)
	ds_read_b64 v[2:3], v4
	v_cmp_eq_u32_sdwa vcc, v14, v4 src0_sel:BYTE_0 src1_sel:DWORD
	s_waitcnt lgkmcnt(0)
	v_cndmask_b32_e32 v6, 0, v2, vcc
	v_cndmask_b32_e32 v5, 0, v3, vcc
	v_add_co_u32_e32 v6, vcc, v12, v6
	v_addc_co_u32_e32 v5, vcc, v13, v5, vcc
	v_cmp_eq_u32_e32 vcc, 0, v0
	v_cndmask_b32_e32 v85, v5, v3, vcc
	v_cndmask_b32_e32 v84, v6, v2, vcc
	v_cmp_eq_u16_sdwa vcc, v1, v4 src0_sel:BYTE_0 src1_sel:DWORD
	v_cndmask_b32_e32 v3, 0, v84, vcc
	v_cndmask_b32_e32 v2, 0, v85, vcc
	v_add_co_u32_e32 v4, vcc, v3, v42
	v_addc_co_u32_e32 v5, vcc, v2, v43, vcc
	v_cndmask_b32_e64 v3, 0, v4, s[40:41]
	v_cndmask_b32_e64 v2, 0, v5, s[40:41]
	v_add_co_u32_e32 v6, vcc, v3, v46
	v_addc_co_u32_e32 v7, vcc, v2, v47, vcc
	v_cndmask_b32_e64 v3, 0, v6, s[38:39]
	v_cndmask_b32_e64 v2, 0, v7, s[38:39]
	;; [unrolled: 4-line block ×19, first 2 shown]
	s_branch .LBB1466_217
.LBB1466_197:
                                        ; implicit-def: $vgpr84_vgpr85
                                        ; implicit-def: $vgpr104_vgpr105
                                        ; implicit-def: $vgpr102_vgpr103
                                        ; implicit-def: $vgpr100_vgpr101
                                        ; implicit-def: $vgpr98_vgpr99
                                        ; implicit-def: $vgpr96_vgpr97
                                        ; implicit-def: $vgpr94_vgpr95
                                        ; implicit-def: $vgpr92_vgpr93
                                        ; implicit-def: $vgpr90_vgpr91
                                        ; implicit-def: $vgpr88_vgpr89
                                        ; implicit-def: $vgpr86_vgpr87
                                        ; implicit-def: $vgpr38_vgpr39_vgpr40_vgpr41
                                        ; implicit-def: $vgpr34_vgpr35_vgpr36_vgpr37
                                        ; implicit-def: $vgpr30_vgpr31_vgpr32_vgpr33
                                        ; implicit-def: $vgpr26_vgpr27_vgpr28_vgpr29
                                        ; implicit-def: $vgpr22_vgpr23_vgpr24_vgpr25
                                        ; implicit-def: $vgpr18_vgpr19_vgpr20_vgpr21
                                        ; implicit-def: $vgpr14_vgpr15_vgpr16_vgpr17
                                        ; implicit-def: $vgpr10_vgpr11_vgpr12_vgpr13
                                        ; implicit-def: $vgpr6_vgpr7_vgpr8_vgpr9
                                        ; implicit-def: $vgpr2_vgpr3_vgpr4_vgpr5
	s_cbranch_execz .LBB1466_217
; %bb.198:
	s_cmp_lg_u64 s[70:71], 0
	s_cselect_b32 s3, s67, 0
	s_cselect_b32 s2, s66, 0
	s_cmp_eq_u64 s[2:3], 0
	v_pk_mov_b32 v[2:3], s[68:69], s[68:69] op_sel:[0,1]
	s_cbranch_scc1 .LBB1466_200
; %bb.199:
	v_mov_b32_e32 v2, 0
	global_load_dwordx2 v[2:3], v2, s[2:3]
.LBB1466_200:
	v_mov_b32_e32 v4, 0
	v_cmp_eq_u16_sdwa s[38:39], v106, v4 src0_sel:BYTE_0 src1_sel:DWORD
	v_cndmask_b32_e64 v6, 0, v42, s[38:39]
	v_cndmask_b32_e64 v5, 0, v43, s[38:39]
	v_add_co_u32_e32 v6, vcc, v6, v46
	v_cmp_eq_u16_sdwa s[36:37], v107, v4 src0_sel:BYTE_0 src1_sel:DWORD
	v_addc_co_u32_e32 v5, vcc, v5, v47, vcc
	v_cndmask_b32_e64 v6, 0, v6, s[36:37]
	v_cndmask_b32_e64 v5, 0, v5, s[36:37]
	v_add_co_u32_e32 v6, vcc, v6, v48
	v_cmp_eq_u16_sdwa s[34:35], v109, v4 src0_sel:BYTE_0 src1_sel:DWORD
	v_addc_co_u32_e32 v5, vcc, v5, v49, vcc
	;; [unrolled: 5-line block ×17, first 2 shown]
	v_cndmask_b32_e64 v6, 0, v6, s[2:3]
	v_cndmask_b32_e64 v5, 0, v5, s[2:3]
	v_add_co_u32_e32 v6, vcc, v6, v80
	v_addc_co_u32_e32 v5, vcc, v5, v81, vcc
	v_cmp_eq_u16_sdwa vcc, v108, v4 src0_sel:BYTE_0 src1_sel:DWORD
	v_cndmask_b32_e32 v6, 0, v6, vcc
	v_cndmask_b32_e32 v5, 0, v5, vcc
	v_add_co_u32_e64 v6, s[40:41], v6, v44
	v_addc_co_u32_e64 v5, s[40:41], v5, v45, s[40:41]
	v_cmp_eq_u16_sdwa s[40:41], v125, v4 src0_sel:BYTE_0 src1_sel:DWORD
	v_cndmask_b32_e64 v4, 0, v6, s[40:41]
	v_or_b32_e32 v6, v127, v123
	v_or_b32_e32 v6, v6, v122
	;; [unrolled: 1-line block ×18, first 2 shown]
	v_cndmask_b32_e64 v5, 0, v5, s[40:41]
	v_add_co_u32_e64 v4, s[40:41], v4, v82
	v_and_b32_e32 v7, 1, v6
	v_mbcnt_hi_u32_b32 v6, -1, v126
	v_addc_co_u32_e64 v5, s[40:41], v5, v83, s[40:41]
	v_and_b32_e32 v9, 15, v6
	v_cmp_eq_u32_e64 s[40:41], 1, v7
	v_mov_b32_dpp v11, v4 row_shr:1 row_mask:0xf bank_mask:0xf
	v_mov_b32_dpp v12, v5 row_shr:1 row_mask:0xf bank_mask:0xf
	;; [unrolled: 1-line block ×3, first 2 shown]
	v_cmp_ne_u32_e64 s[42:43], 0, v9
	v_mov_b32_e32 v8, v7
	s_and_saveexec_b64 s[44:45], s[42:43]
; %bb.201:
	v_cndmask_b32_e64 v11, v11, 0, s[40:41]
	v_cndmask_b32_e64 v8, v12, 0, s[40:41]
	v_add_co_u32_e64 v4, s[40:41], v11, v4
	v_addc_co_u32_e64 v5, s[40:41], v8, v5, s[40:41]
	v_and_b32_e32 v8, 1, v10
	v_or_b32_e32 v7, v8, v7
	v_and_b32_e32 v8, 0xffff, v7
; %bb.202:
	s_or_b64 exec, exec, s[44:45]
	v_mov_b32_dpp v11, v4 row_shr:2 row_mask:0xf bank_mask:0xf
	v_mov_b32_dpp v12, v5 row_shr:2 row_mask:0xf bank_mask:0xf
	v_mov_b32_dpp v10, v8 row_shr:2 row_mask:0xf bank_mask:0xf
	v_cmp_lt_u32_e64 s[40:41], 1, v9
	s_and_saveexec_b64 s[44:45], s[40:41]
	s_cbranch_execz .LBB1466_204
; %bb.203:
	v_cmp_eq_u16_e64 s[40:41], 0, v7
	v_cndmask_b32_e64 v11, 0, v11, s[40:41]
	v_cndmask_b32_e64 v8, 0, v12, s[40:41]
	v_add_co_u32_e64 v4, s[40:41], v11, v4
	v_addc_co_u32_e64 v5, s[40:41], v8, v5, s[40:41]
	v_and_b32_e32 v7, 1, v7
	v_cmp_eq_u32_e64 s[40:41], 1, v7
	v_and_b32_e32 v7, 1, v10
	v_cmp_eq_u32_e64 s[42:43], 1, v7
	s_or_b64 s[40:41], s[40:41], s[42:43]
	v_cndmask_b32_e64 v7, 0, 1, s[40:41]
	v_cndmask_b32_e64 v8, 0, 1, s[40:41]
.LBB1466_204:
	s_or_b64 exec, exec, s[44:45]
	v_mov_b32_dpp v11, v4 row_shr:4 row_mask:0xf bank_mask:0xf
	v_mov_b32_dpp v12, v5 row_shr:4 row_mask:0xf bank_mask:0xf
	v_mov_b32_dpp v10, v8 row_shr:4 row_mask:0xf bank_mask:0xf
	v_cmp_lt_u32_e64 s[40:41], 3, v9
	s_and_saveexec_b64 s[44:45], s[40:41]
	s_cbranch_execz .LBB1466_206
; %bb.205:
	v_cmp_eq_u16_e64 s[40:41], 0, v7
	v_cndmask_b32_e64 v11, 0, v11, s[40:41]
	v_cndmask_b32_e64 v8, 0, v12, s[40:41]
	v_add_co_u32_e64 v4, s[40:41], v11, v4
	v_addc_co_u32_e64 v5, s[40:41], v8, v5, s[40:41]
	v_and_b32_e32 v7, 1, v7
	v_cmp_eq_u32_e64 s[40:41], 1, v7
	v_and_b32_e32 v7, 1, v10
	v_cmp_eq_u32_e64 s[42:43], 1, v7
	s_or_b64 s[40:41], s[40:41], s[42:43]
	v_cndmask_b32_e64 v7, 0, 1, s[40:41]
	v_cndmask_b32_e64 v8, 0, 1, s[40:41]
.LBB1466_206:
	;; [unrolled: 21-line block ×3, first 2 shown]
	s_or_b64 exec, exec, s[44:45]
	v_and_b32_e32 v12, 16, v6
	v_mov_b32_dpp v10, v4 row_bcast:15 row_mask:0xf bank_mask:0xf
	v_mov_b32_dpp v11, v5 row_bcast:15 row_mask:0xf bank_mask:0xf
	;; [unrolled: 1-line block ×3, first 2 shown]
	v_cmp_ne_u32_e64 s[40:41], 0, v12
	s_and_saveexec_b64 s[44:45], s[40:41]
	s_cbranch_execz .LBB1466_210
; %bb.209:
	v_cmp_eq_u16_e64 s[40:41], 0, v7
	v_cndmask_b32_e64 v10, 0, v10, s[40:41]
	v_cndmask_b32_e64 v8, 0, v11, s[40:41]
	v_add_co_u32_e64 v4, s[40:41], v10, v4
	v_addc_co_u32_e64 v5, s[40:41], v8, v5, s[40:41]
	v_and_b32_e32 v7, 1, v7
	v_cmp_eq_u32_e64 s[40:41], 1, v7
	v_and_b32_e32 v7, 1, v9
	v_cmp_eq_u32_e64 s[42:43], 1, v7
	s_or_b64 s[40:41], s[40:41], s[42:43]
	v_cndmask_b32_e64 v7, 0, 1, s[40:41]
	v_cndmask_b32_e64 v8, 0, 1, s[40:41]
.LBB1466_210:
	s_or_b64 exec, exec, s[44:45]
	v_mov_b32_dpp v9, v4 row_bcast:31 row_mask:0xf bank_mask:0xf
	v_mov_b32_dpp v10, v5 row_bcast:31 row_mask:0xf bank_mask:0xf
	;; [unrolled: 1-line block ×3, first 2 shown]
	v_cmp_lt_u32_e64 s[40:41], 31, v6
	s_and_saveexec_b64 s[44:45], s[40:41]
; %bb.211:
	v_cmp_eq_u16_e64 s[40:41], 0, v7
	v_cndmask_b32_e64 v9, 0, v9, s[40:41]
	v_cndmask_b32_e64 v10, 0, v10, s[40:41]
	v_add_co_u32_e64 v4, s[40:41], v9, v4
	v_addc_co_u32_e64 v5, s[40:41], v10, v5, s[40:41]
	v_and_b32_e32 v7, 1, v7
	v_cmp_eq_u32_e64 s[40:41], 1, v7
	v_and_b32_e32 v7, 1, v8
	v_cmp_eq_u32_e64 s[42:43], 1, v7
	s_or_b64 s[40:41], s[40:41], s[42:43]
	v_cndmask_b32_e64 v7, 0, 1, s[40:41]
; %bb.212:
	s_or_b64 exec, exec, s[44:45]
	v_cmp_eq_u32_e64 s[40:41], 63, v0
	s_and_saveexec_b64 s[42:43], s[40:41]
	s_cbranch_execz .LBB1466_214
; %bb.213:
	v_mov_b32_e32 v8, 0
	ds_write_b64 v8, v[4:5]
	ds_write_b8 v8, v7 offset:8
.LBB1466_214:
	s_or_b64 exec, exec, s[42:43]
	v_cmp_eq_u16_e64 s[40:41], 0, v7
	s_waitcnt vmcnt(0)
	v_cndmask_b32_e64 v8, 0, v2, s[40:41]
	v_cndmask_b32_e64 v7, 0, v3, s[40:41]
	v_add_co_u32_e64 v4, s[40:41], v8, v4
	v_addc_co_u32_e64 v5, s[40:41], v7, v5, s[40:41]
	v_add_u32_e32 v7, -1, v6
	v_and_b32_e32 v8, 64, v6
	v_cmp_lt_i32_e64 s[40:41], v7, v8
	v_cndmask_b32_e64 v7, v7, v6, s[40:41]
	v_lshlrev_b32_e32 v7, 2, v7
	ds_bpermute_b32 v5, v7, v5
	ds_bpermute_b32 v4, v7, v4
	v_cmp_eq_u32_e64 s[42:43], 0, v6
	v_cmp_eq_u32_e64 s[40:41], 0, v0
	s_or_b64 s[42:43], s[40:41], s[42:43]
	v_mov_b32_e32 v8, 0
	s_waitcnt lgkmcnt(1)
	v_cndmask_b32_e64 v85, v5, v3, s[42:43]
	s_waitcnt lgkmcnt(0)
	v_cndmask_b32_e64 v84, v4, v2, s[42:43]
	v_cmp_eq_u16_sdwa s[42:43], v1, v8 src0_sel:BYTE_0 src1_sel:DWORD
	v_cndmask_b32_e64 v4, 0, v84, s[42:43]
	v_cndmask_b32_e64 v1, 0, v85, s[42:43]
	v_add_co_u32_e64 v4, s[42:43], v4, v42
	v_addc_co_u32_e64 v5, s[42:43], v1, v43, s[42:43]
	v_cndmask_b32_e64 v6, 0, v4, s[38:39]
	v_cndmask_b32_e64 v1, 0, v5, s[38:39]
	v_add_co_u32_e64 v6, s[38:39], v6, v46
	v_addc_co_u32_e64 v7, s[38:39], v1, v47, s[38:39]
	;; [unrolled: 4-line block ×19, first 2 shown]
	v_cndmask_b32_e32 v105, 0, v103, vcc
	v_cndmask_b32_e32 v104, 0, v102, vcc
	s_waitcnt lgkmcnt(0)
	; wave barrier
	s_and_saveexec_b64 s[2:3], s[40:41]
	s_cbranch_execz .LBB1466_216
; %bb.215:
	ds_read_u8 v1, v8 offset:8
	ds_read_b64 v[12:13], v8
	v_pk_mov_b32 v[84:85], v[2:3], v[2:3] op_sel:[0,1]
	s_waitcnt lgkmcnt(1)
	v_cmp_eq_u16_e32 vcc, 0, v1
	v_cndmask_b32_e32 v16, 0, v2, vcc
	v_cndmask_b32_e32 v9, 0, v3, vcc
	s_waitcnt lgkmcnt(0)
	v_add_co_u32_e32 v12, vcc, v16, v12
	v_addc_co_u32_e32 v13, vcc, v9, v13, vcc
	global_store_dwordx2 v8, v[12:13], s[50:51] offset:1024
	global_store_byte v8, v1, s[50:51] offset:1032
	v_mov_b32_e32 v1, 2
	s_waitcnt vmcnt(0)
	buffer_wbinvl1_vol
	global_store_byte v8, v1, s[52:53] offset:64
.LBB1466_216:
	s_or_b64 exec, exec, s[2:3]
.LBB1466_217:
	s_add_u32 s2, s62, s56
	s_addc_u32 s3, s63, s57
	v_add_co_u32_e32 v2, vcc, v104, v44
	v_addc_co_u32_e32 v3, vcc, v105, v45, vcc
	s_add_u32 s4, s2, s58
	s_addc_u32 s5, s3, s59
	s_and_b64 vcc, exec, s[0:1]
	v_lshlrev_b32_e32 v12, 3, v0
	s_cbranch_vccz .LBB1466_259
; %bb.218:
	s_movk_i32 s0, 0xa8
	v_mul_i32_i24_e32 v16, 0xffffff60, v0
	v_mul_u32_u24_e32 v13, 0xa8, v0
	v_mad_u32_u24 v8, v0, s0, v16
	s_waitcnt lgkmcnt(0)
	; wave barrier
	ds_write2_b64 v13, v[84:85], v[4:5] offset1:1
	ds_write2_b64 v13, v[6:7], v[86:87] offset0:2 offset1:3
	ds_write2_b64 v13, v[10:11], v[88:89] offset0:4 offset1:5
	;; [unrolled: 1-line block ×9, first 2 shown]
	ds_write_b64 v13, v[2:3] offset:160
	s_waitcnt lgkmcnt(0)
	; wave barrier
	s_waitcnt lgkmcnt(0)
	ds_read2st64_b64 v[76:79], v8 offset0:1 offset1:2
	ds_read2st64_b64 v[72:75], v8 offset0:3 offset1:4
	ds_read2st64_b64 v[68:71], v8 offset0:5 offset1:6
	ds_read2st64_b64 v[64:67], v8 offset0:7 offset1:8
	ds_read2st64_b64 v[60:63], v8 offset0:9 offset1:10
	ds_read2st64_b64 v[56:59], v8 offset0:11 offset1:12
	ds_read2st64_b64 v[52:55], v8 offset0:13 offset1:14
	ds_read2st64_b64 v[48:51], v8 offset0:15 offset1:16
	ds_read2st64_b64 v[44:47], v8 offset0:17 offset1:18
	ds_read2st64_b64 v[40:43], v8 offset0:19 offset1:20
	v_mov_b32_e32 v9, s5
	v_add_co_u32_e32 v8, vcc, s4, v12
	s_add_i32 s33, s33, s54
	v_addc_co_u32_e32 v9, vcc, 0, v9, vcc
	v_mov_b32_e32 v1, 0
	v_cmp_gt_u32_e32 vcc, s33, v0
	s_and_saveexec_b64 s[0:1], vcc
	s_cbranch_execz .LBB1466_220
; %bb.219:
	v_add_u32_e32 v13, v13, v16
	ds_read_b64 v[16:17], v13
	s_waitcnt lgkmcnt(0)
	flat_store_dwordx2 v[8:9], v[16:17]
.LBB1466_220:
	s_or_b64 exec, exec, s[0:1]
	v_or_b32_e32 v13, 64, v0
	v_cmp_gt_u32_e32 vcc, s33, v13
	s_and_saveexec_b64 s[0:1], vcc
	s_cbranch_execz .LBB1466_222
; %bb.221:
	s_waitcnt lgkmcnt(0)
	flat_store_dwordx2 v[8:9], v[76:77] offset:512
.LBB1466_222:
	s_or_b64 exec, exec, s[0:1]
	v_or_b32_e32 v13, 0x80, v0
	v_cmp_gt_u32_e32 vcc, s33, v13
	s_and_saveexec_b64 s[0:1], vcc
	s_cbranch_execz .LBB1466_224
; %bb.223:
	s_waitcnt lgkmcnt(0)
	flat_store_dwordx2 v[8:9], v[78:79] offset:1024
.LBB1466_224:
	;; [unrolled: 9-line block ×7, first 2 shown]
	s_or_b64 exec, exec, s[0:1]
	v_or_b32_e32 v13, 0x200, v0
	v_cmp_gt_u32_e32 vcc, s33, v13
	s_and_saveexec_b64 s[0:1], vcc
	s_cbranch_execz .LBB1466_236
; %bb.235:
	v_add_co_u32_e32 v16, vcc, 0x1000, v8
	v_addc_co_u32_e32 v17, vcc, 0, v9, vcc
	s_waitcnt lgkmcnt(0)
	flat_store_dwordx2 v[16:17], v[66:67]
.LBB1466_236:
	s_or_b64 exec, exec, s[0:1]
	v_or_b32_e32 v13, 0x240, v0
	v_cmp_gt_u32_e32 vcc, s33, v13
	s_and_saveexec_b64 s[0:1], vcc
	s_cbranch_execz .LBB1466_238
; %bb.237:
	v_add_co_u32_e32 v16, vcc, 0x1000, v8
	v_addc_co_u32_e32 v17, vcc, 0, v9, vcc
	s_waitcnt lgkmcnt(0)
	flat_store_dwordx2 v[16:17], v[60:61] offset:512
.LBB1466_238:
	s_or_b64 exec, exec, s[0:1]
	v_or_b32_e32 v13, 0x280, v0
	v_cmp_gt_u32_e32 vcc, s33, v13
	s_and_saveexec_b64 s[0:1], vcc
	s_cbranch_execz .LBB1466_240
; %bb.239:
	v_add_co_u32_e32 v16, vcc, 0x1000, v8
	v_addc_co_u32_e32 v17, vcc, 0, v9, vcc
	s_waitcnt lgkmcnt(0)
	flat_store_dwordx2 v[16:17], v[62:63] offset:1024
.LBB1466_240:
	s_or_b64 exec, exec, s[0:1]
	v_or_b32_e32 v13, 0x2c0, v0
	v_cmp_gt_u32_e32 vcc, s33, v13
	s_and_saveexec_b64 s[0:1], vcc
	s_cbranch_execz .LBB1466_242
; %bb.241:
	v_add_co_u32_e32 v16, vcc, 0x1000, v8
	v_addc_co_u32_e32 v17, vcc, 0, v9, vcc
	s_waitcnt lgkmcnt(0)
	flat_store_dwordx2 v[16:17], v[56:57] offset:1536
.LBB1466_242:
	s_or_b64 exec, exec, s[0:1]
	v_or_b32_e32 v13, 0x300, v0
	v_cmp_gt_u32_e32 vcc, s33, v13
	s_and_saveexec_b64 s[0:1], vcc
	s_cbranch_execz .LBB1466_244
; %bb.243:
	v_add_co_u32_e32 v16, vcc, 0x1000, v8
	v_addc_co_u32_e32 v17, vcc, 0, v9, vcc
	s_waitcnt lgkmcnt(0)
	flat_store_dwordx2 v[16:17], v[58:59] offset:2048
.LBB1466_244:
	s_or_b64 exec, exec, s[0:1]
	v_or_b32_e32 v13, 0x340, v0
	v_cmp_gt_u32_e32 vcc, s33, v13
	s_and_saveexec_b64 s[0:1], vcc
	s_cbranch_execz .LBB1466_246
; %bb.245:
	v_add_co_u32_e32 v16, vcc, 0x1000, v8
	v_addc_co_u32_e32 v17, vcc, 0, v9, vcc
	s_waitcnt lgkmcnt(0)
	flat_store_dwordx2 v[16:17], v[52:53] offset:2560
.LBB1466_246:
	s_or_b64 exec, exec, s[0:1]
	v_or_b32_e32 v13, 0x380, v0
	v_cmp_gt_u32_e32 vcc, s33, v13
	s_and_saveexec_b64 s[0:1], vcc
	s_cbranch_execz .LBB1466_248
; %bb.247:
	v_add_co_u32_e32 v16, vcc, 0x1000, v8
	v_addc_co_u32_e32 v17, vcc, 0, v9, vcc
	s_waitcnt lgkmcnt(0)
	flat_store_dwordx2 v[16:17], v[54:55] offset:3072
.LBB1466_248:
	s_or_b64 exec, exec, s[0:1]
	v_or_b32_e32 v13, 0x3c0, v0
	v_cmp_gt_u32_e32 vcc, s33, v13
	s_and_saveexec_b64 s[0:1], vcc
	s_cbranch_execz .LBB1466_250
; %bb.249:
	v_add_co_u32_e32 v16, vcc, 0x1000, v8
	v_addc_co_u32_e32 v17, vcc, 0, v9, vcc
	s_waitcnt lgkmcnt(0)
	flat_store_dwordx2 v[16:17], v[48:49] offset:3584
.LBB1466_250:
	s_or_b64 exec, exec, s[0:1]
	v_or_b32_e32 v13, 0x400, v0
	v_cmp_gt_u32_e32 vcc, s33, v13
	s_and_saveexec_b64 s[0:1], vcc
	s_cbranch_execz .LBB1466_252
; %bb.251:
	v_add_co_u32_e32 v16, vcc, 0x2000, v8
	v_addc_co_u32_e32 v17, vcc, 0, v9, vcc
	s_waitcnt lgkmcnt(0)
	flat_store_dwordx2 v[16:17], v[50:51]
.LBB1466_252:
	s_or_b64 exec, exec, s[0:1]
	v_or_b32_e32 v13, 0x440, v0
	v_cmp_gt_u32_e32 vcc, s33, v13
	s_and_saveexec_b64 s[0:1], vcc
	s_cbranch_execz .LBB1466_254
; %bb.253:
	v_add_co_u32_e32 v16, vcc, 0x2000, v8
	v_addc_co_u32_e32 v17, vcc, 0, v9, vcc
	s_waitcnt lgkmcnt(0)
	flat_store_dwordx2 v[16:17], v[44:45] offset:512
.LBB1466_254:
	s_or_b64 exec, exec, s[0:1]
	v_or_b32_e32 v13, 0x480, v0
	v_cmp_gt_u32_e32 vcc, s33, v13
	s_and_saveexec_b64 s[0:1], vcc
	s_cbranch_execz .LBB1466_256
; %bb.255:
	v_add_co_u32_e32 v16, vcc, 0x2000, v8
	v_addc_co_u32_e32 v17, vcc, 0, v9, vcc
	s_waitcnt lgkmcnt(0)
	flat_store_dwordx2 v[16:17], v[46:47] offset:1024
.LBB1466_256:
	;; [unrolled: 11-line block ×3, first 2 shown]
	s_or_b64 exec, exec, s[0:1]
	v_or_b32_e32 v8, 0x500, v0
	v_cmp_gt_u32_e64 s[0:1], s33, v8
	s_branch .LBB1466_261
.LBB1466_259:
	s_mov_b64 s[0:1], 0
                                        ; implicit-def: $vgpr42_vgpr43
	s_cbranch_execz .LBB1466_261
; %bb.260:
	v_mul_u32_u24_e32 v1, 0xa8, v0
	s_waitcnt lgkmcnt(0)
	; wave barrier
	s_waitcnt lgkmcnt(0)
	s_movk_i32 s2, 0xa8
	ds_write2_b64 v1, v[84:85], v[4:5] offset1:1
	ds_write2_b64 v1, v[6:7], v[86:87] offset0:2 offset1:3
	ds_write2_b64 v1, v[10:11], v[88:89] offset0:4 offset1:5
	ds_write2_b64 v1, v[14:15], v[90:91] offset0:6 offset1:7
	ds_write2_b64 v1, v[18:19], v[92:93] offset0:8 offset1:9
	ds_write2_b64 v1, v[22:23], v[94:95] offset0:10 offset1:11
	ds_write2_b64 v1, v[26:27], v[96:97] offset0:12 offset1:13
	ds_write2_b64 v1, v[30:31], v[98:99] offset0:14 offset1:15
	ds_write2_b64 v1, v[34:35], v[100:101] offset0:16 offset1:17
	ds_write2_b64 v1, v[38:39], v[102:103] offset0:18 offset1:19
	ds_write_b64 v1, v[2:3] offset:160
	v_mul_i32_i24_e32 v2, 0xffffff60, v0
	v_mad_u32_u24 v10, v0, s2, v2
	s_waitcnt lgkmcnt(0)
	; wave barrier
	s_waitcnt lgkmcnt(0)
	ds_read2st64_b64 v[2:5], v10 offset1:1
	ds_read2st64_b64 v[6:9], v10 offset0:2 offset1:3
	ds_read2st64_b64 v[14:17], v10 offset0:4 offset1:5
	;; [unrolled: 1-line block ×9, first 2 shown]
	ds_read_b64 v[42:43], v10 offset:10240
	v_mov_b32_e32 v11, s5
	v_add_co_u32_e32 v10, vcc, s4, v12
	v_addc_co_u32_e32 v11, vcc, 0, v11, vcc
	s_movk_i32 s2, 0x1000
	s_waitcnt lgkmcnt(0)
	flat_store_dwordx2 v[10:11], v[2:3]
	flat_store_dwordx2 v[10:11], v[4:5] offset:512
	flat_store_dwordx2 v[10:11], v[6:7] offset:1024
	;; [unrolled: 1-line block ×7, first 2 shown]
	v_add_co_u32_e32 v2, vcc, s2, v10
	v_addc_co_u32_e32 v3, vcc, 0, v11, vcc
	flat_store_dwordx2 v[2:3], v[22:23]
	flat_store_dwordx2 v[2:3], v[24:25] offset:512
	flat_store_dwordx2 v[2:3], v[26:27] offset:1024
	flat_store_dwordx2 v[2:3], v[28:29] offset:1536
	flat_store_dwordx2 v[2:3], v[30:31] offset:2048
	flat_store_dwordx2 v[2:3], v[32:33] offset:2560
	flat_store_dwordx2 v[2:3], v[34:35] offset:3072
	flat_store_dwordx2 v[2:3], v[36:37] offset:3584
	v_add_co_u32_e32 v2, vcc, 0x2000, v10
	v_mov_b32_e32 v1, 0
	v_addc_co_u32_e32 v3, vcc, 0, v11, vcc
	s_or_b64 s[0:1], s[0:1], exec
	flat_store_dwordx2 v[2:3], v[38:39]
	flat_store_dwordx2 v[2:3], v[40:41] offset:512
	flat_store_dwordx2 v[2:3], v[44:45] offset:1024
	;; [unrolled: 1-line block ×3, first 2 shown]
.LBB1466_261:
	s_and_saveexec_b64 s[2:3], s[0:1]
	s_cbranch_execz .LBB1466_263
; %bb.262:
	v_lshlrev_b64 v[0:1], 3, v[0:1]
	v_mov_b32_e32 v2, s5
	v_add_co_u32_e32 v0, vcc, s4, v0
	v_addc_co_u32_e32 v1, vcc, v2, v1, vcc
	v_add_co_u32_e32 v0, vcc, 0x2000, v0
	v_addc_co_u32_e32 v1, vcc, 0, v1, vcc
	s_waitcnt lgkmcnt(0)
	flat_store_dwordx2 v[0:1], v[42:43] offset:2048
	s_endpgm
.LBB1466_263:
	s_endpgm
	.section	.rodata,"a",@progbits
	.p2align	6, 0x0
	.amdhsa_kernel _ZN7rocprim17ROCPRIM_400000_NS6detail17trampoline_kernelINS0_14default_configENS1_27scan_by_key_config_selectorIiyEEZZNS1_16scan_by_key_implILNS1_25lookback_scan_determinismE0ELb1ES3_N6thrust23THRUST_200600_302600_NS6detail15normal_iteratorINS9_10device_ptrIiEEEENSB_INSC_IyEEEESG_yNS9_4plusIvEENS9_8equal_toIvEEyEE10hipError_tPvRmT2_T3_T4_T5_mT6_T7_P12ihipStream_tbENKUlT_T0_E_clISt17integral_constantIbLb0EES11_EEDaSW_SX_EUlSW_E_NS1_11comp_targetILNS1_3genE4ELNS1_11target_archE910ELNS1_3gpuE8ELNS1_3repE0EEENS1_30default_config_static_selectorELNS0_4arch9wavefront6targetE1EEEvT1_
		.amdhsa_group_segment_fixed_size 10752
		.amdhsa_private_segment_fixed_size 0
		.amdhsa_kernarg_size 136
		.amdhsa_user_sgpr_count 6
		.amdhsa_user_sgpr_private_segment_buffer 1
		.amdhsa_user_sgpr_dispatch_ptr 0
		.amdhsa_user_sgpr_queue_ptr 0
		.amdhsa_user_sgpr_kernarg_segment_ptr 1
		.amdhsa_user_sgpr_dispatch_id 0
		.amdhsa_user_sgpr_flat_scratch_init 0
		.amdhsa_user_sgpr_kernarg_preload_length 0
		.amdhsa_user_sgpr_kernarg_preload_offset 0
		.amdhsa_user_sgpr_private_segment_size 0
		.amdhsa_uses_dynamic_stack 0
		.amdhsa_system_sgpr_private_segment_wavefront_offset 0
		.amdhsa_system_sgpr_workgroup_id_x 1
		.amdhsa_system_sgpr_workgroup_id_y 0
		.amdhsa_system_sgpr_workgroup_id_z 0
		.amdhsa_system_sgpr_workgroup_info 0
		.amdhsa_system_vgpr_workitem_id 0
		.amdhsa_next_free_vgpr 128
		.amdhsa_next_free_sgpr 77
		.amdhsa_accum_offset 128
		.amdhsa_reserve_vcc 1
		.amdhsa_reserve_flat_scratch 0
		.amdhsa_float_round_mode_32 0
		.amdhsa_float_round_mode_16_64 0
		.amdhsa_float_denorm_mode_32 3
		.amdhsa_float_denorm_mode_16_64 3
		.amdhsa_dx10_clamp 1
		.amdhsa_ieee_mode 1
		.amdhsa_fp16_overflow 0
		.amdhsa_tg_split 0
		.amdhsa_exception_fp_ieee_invalid_op 0
		.amdhsa_exception_fp_denorm_src 0
		.amdhsa_exception_fp_ieee_div_zero 0
		.amdhsa_exception_fp_ieee_overflow 0
		.amdhsa_exception_fp_ieee_underflow 0
		.amdhsa_exception_fp_ieee_inexact 0
		.amdhsa_exception_int_div_zero 0
	.end_amdhsa_kernel
	.section	.text._ZN7rocprim17ROCPRIM_400000_NS6detail17trampoline_kernelINS0_14default_configENS1_27scan_by_key_config_selectorIiyEEZZNS1_16scan_by_key_implILNS1_25lookback_scan_determinismE0ELb1ES3_N6thrust23THRUST_200600_302600_NS6detail15normal_iteratorINS9_10device_ptrIiEEEENSB_INSC_IyEEEESG_yNS9_4plusIvEENS9_8equal_toIvEEyEE10hipError_tPvRmT2_T3_T4_T5_mT6_T7_P12ihipStream_tbENKUlT_T0_E_clISt17integral_constantIbLb0EES11_EEDaSW_SX_EUlSW_E_NS1_11comp_targetILNS1_3genE4ELNS1_11target_archE910ELNS1_3gpuE8ELNS1_3repE0EEENS1_30default_config_static_selectorELNS0_4arch9wavefront6targetE1EEEvT1_,"axG",@progbits,_ZN7rocprim17ROCPRIM_400000_NS6detail17trampoline_kernelINS0_14default_configENS1_27scan_by_key_config_selectorIiyEEZZNS1_16scan_by_key_implILNS1_25lookback_scan_determinismE0ELb1ES3_N6thrust23THRUST_200600_302600_NS6detail15normal_iteratorINS9_10device_ptrIiEEEENSB_INSC_IyEEEESG_yNS9_4plusIvEENS9_8equal_toIvEEyEE10hipError_tPvRmT2_T3_T4_T5_mT6_T7_P12ihipStream_tbENKUlT_T0_E_clISt17integral_constantIbLb0EES11_EEDaSW_SX_EUlSW_E_NS1_11comp_targetILNS1_3genE4ELNS1_11target_archE910ELNS1_3gpuE8ELNS1_3repE0EEENS1_30default_config_static_selectorELNS0_4arch9wavefront6targetE1EEEvT1_,comdat
.Lfunc_end1466:
	.size	_ZN7rocprim17ROCPRIM_400000_NS6detail17trampoline_kernelINS0_14default_configENS1_27scan_by_key_config_selectorIiyEEZZNS1_16scan_by_key_implILNS1_25lookback_scan_determinismE0ELb1ES3_N6thrust23THRUST_200600_302600_NS6detail15normal_iteratorINS9_10device_ptrIiEEEENSB_INSC_IyEEEESG_yNS9_4plusIvEENS9_8equal_toIvEEyEE10hipError_tPvRmT2_T3_T4_T5_mT6_T7_P12ihipStream_tbENKUlT_T0_E_clISt17integral_constantIbLb0EES11_EEDaSW_SX_EUlSW_E_NS1_11comp_targetILNS1_3genE4ELNS1_11target_archE910ELNS1_3gpuE8ELNS1_3repE0EEENS1_30default_config_static_selectorELNS0_4arch9wavefront6targetE1EEEvT1_, .Lfunc_end1466-_ZN7rocprim17ROCPRIM_400000_NS6detail17trampoline_kernelINS0_14default_configENS1_27scan_by_key_config_selectorIiyEEZZNS1_16scan_by_key_implILNS1_25lookback_scan_determinismE0ELb1ES3_N6thrust23THRUST_200600_302600_NS6detail15normal_iteratorINS9_10device_ptrIiEEEENSB_INSC_IyEEEESG_yNS9_4plusIvEENS9_8equal_toIvEEyEE10hipError_tPvRmT2_T3_T4_T5_mT6_T7_P12ihipStream_tbENKUlT_T0_E_clISt17integral_constantIbLb0EES11_EEDaSW_SX_EUlSW_E_NS1_11comp_targetILNS1_3genE4ELNS1_11target_archE910ELNS1_3gpuE8ELNS1_3repE0EEENS1_30default_config_static_selectorELNS0_4arch9wavefront6targetE1EEEvT1_
                                        ; -- End function
	.section	.AMDGPU.csdata,"",@progbits
; Kernel info:
; codeLenInByte = 17008
; NumSgprs: 81
; NumVgprs: 128
; NumAgprs: 0
; TotalNumVgprs: 128
; ScratchSize: 0
; MemoryBound: 0
; FloatMode: 240
; IeeeMode: 1
; LDSByteSize: 10752 bytes/workgroup (compile time only)
; SGPRBlocks: 10
; VGPRBlocks: 15
; NumSGPRsForWavesPerEU: 81
; NumVGPRsForWavesPerEU: 128
; AccumOffset: 128
; Occupancy: 2
; WaveLimiterHint : 1
; COMPUTE_PGM_RSRC2:SCRATCH_EN: 0
; COMPUTE_PGM_RSRC2:USER_SGPR: 6
; COMPUTE_PGM_RSRC2:TRAP_HANDLER: 0
; COMPUTE_PGM_RSRC2:TGID_X_EN: 1
; COMPUTE_PGM_RSRC2:TGID_Y_EN: 0
; COMPUTE_PGM_RSRC2:TGID_Z_EN: 0
; COMPUTE_PGM_RSRC2:TIDIG_COMP_CNT: 0
; COMPUTE_PGM_RSRC3_GFX90A:ACCUM_OFFSET: 31
; COMPUTE_PGM_RSRC3_GFX90A:TG_SPLIT: 0
	.section	.text._ZN7rocprim17ROCPRIM_400000_NS6detail17trampoline_kernelINS0_14default_configENS1_27scan_by_key_config_selectorIiyEEZZNS1_16scan_by_key_implILNS1_25lookback_scan_determinismE0ELb1ES3_N6thrust23THRUST_200600_302600_NS6detail15normal_iteratorINS9_10device_ptrIiEEEENSB_INSC_IyEEEESG_yNS9_4plusIvEENS9_8equal_toIvEEyEE10hipError_tPvRmT2_T3_T4_T5_mT6_T7_P12ihipStream_tbENKUlT_T0_E_clISt17integral_constantIbLb0EES11_EEDaSW_SX_EUlSW_E_NS1_11comp_targetILNS1_3genE3ELNS1_11target_archE908ELNS1_3gpuE7ELNS1_3repE0EEENS1_30default_config_static_selectorELNS0_4arch9wavefront6targetE1EEEvT1_,"axG",@progbits,_ZN7rocprim17ROCPRIM_400000_NS6detail17trampoline_kernelINS0_14default_configENS1_27scan_by_key_config_selectorIiyEEZZNS1_16scan_by_key_implILNS1_25lookback_scan_determinismE0ELb1ES3_N6thrust23THRUST_200600_302600_NS6detail15normal_iteratorINS9_10device_ptrIiEEEENSB_INSC_IyEEEESG_yNS9_4plusIvEENS9_8equal_toIvEEyEE10hipError_tPvRmT2_T3_T4_T5_mT6_T7_P12ihipStream_tbENKUlT_T0_E_clISt17integral_constantIbLb0EES11_EEDaSW_SX_EUlSW_E_NS1_11comp_targetILNS1_3genE3ELNS1_11target_archE908ELNS1_3gpuE7ELNS1_3repE0EEENS1_30default_config_static_selectorELNS0_4arch9wavefront6targetE1EEEvT1_,comdat
	.protected	_ZN7rocprim17ROCPRIM_400000_NS6detail17trampoline_kernelINS0_14default_configENS1_27scan_by_key_config_selectorIiyEEZZNS1_16scan_by_key_implILNS1_25lookback_scan_determinismE0ELb1ES3_N6thrust23THRUST_200600_302600_NS6detail15normal_iteratorINS9_10device_ptrIiEEEENSB_INSC_IyEEEESG_yNS9_4plusIvEENS9_8equal_toIvEEyEE10hipError_tPvRmT2_T3_T4_T5_mT6_T7_P12ihipStream_tbENKUlT_T0_E_clISt17integral_constantIbLb0EES11_EEDaSW_SX_EUlSW_E_NS1_11comp_targetILNS1_3genE3ELNS1_11target_archE908ELNS1_3gpuE7ELNS1_3repE0EEENS1_30default_config_static_selectorELNS0_4arch9wavefront6targetE1EEEvT1_ ; -- Begin function _ZN7rocprim17ROCPRIM_400000_NS6detail17trampoline_kernelINS0_14default_configENS1_27scan_by_key_config_selectorIiyEEZZNS1_16scan_by_key_implILNS1_25lookback_scan_determinismE0ELb1ES3_N6thrust23THRUST_200600_302600_NS6detail15normal_iteratorINS9_10device_ptrIiEEEENSB_INSC_IyEEEESG_yNS9_4plusIvEENS9_8equal_toIvEEyEE10hipError_tPvRmT2_T3_T4_T5_mT6_T7_P12ihipStream_tbENKUlT_T0_E_clISt17integral_constantIbLb0EES11_EEDaSW_SX_EUlSW_E_NS1_11comp_targetILNS1_3genE3ELNS1_11target_archE908ELNS1_3gpuE7ELNS1_3repE0EEENS1_30default_config_static_selectorELNS0_4arch9wavefront6targetE1EEEvT1_
	.globl	_ZN7rocprim17ROCPRIM_400000_NS6detail17trampoline_kernelINS0_14default_configENS1_27scan_by_key_config_selectorIiyEEZZNS1_16scan_by_key_implILNS1_25lookback_scan_determinismE0ELb1ES3_N6thrust23THRUST_200600_302600_NS6detail15normal_iteratorINS9_10device_ptrIiEEEENSB_INSC_IyEEEESG_yNS9_4plusIvEENS9_8equal_toIvEEyEE10hipError_tPvRmT2_T3_T4_T5_mT6_T7_P12ihipStream_tbENKUlT_T0_E_clISt17integral_constantIbLb0EES11_EEDaSW_SX_EUlSW_E_NS1_11comp_targetILNS1_3genE3ELNS1_11target_archE908ELNS1_3gpuE7ELNS1_3repE0EEENS1_30default_config_static_selectorELNS0_4arch9wavefront6targetE1EEEvT1_
	.p2align	8
	.type	_ZN7rocprim17ROCPRIM_400000_NS6detail17trampoline_kernelINS0_14default_configENS1_27scan_by_key_config_selectorIiyEEZZNS1_16scan_by_key_implILNS1_25lookback_scan_determinismE0ELb1ES3_N6thrust23THRUST_200600_302600_NS6detail15normal_iteratorINS9_10device_ptrIiEEEENSB_INSC_IyEEEESG_yNS9_4plusIvEENS9_8equal_toIvEEyEE10hipError_tPvRmT2_T3_T4_T5_mT6_T7_P12ihipStream_tbENKUlT_T0_E_clISt17integral_constantIbLb0EES11_EEDaSW_SX_EUlSW_E_NS1_11comp_targetILNS1_3genE3ELNS1_11target_archE908ELNS1_3gpuE7ELNS1_3repE0EEENS1_30default_config_static_selectorELNS0_4arch9wavefront6targetE1EEEvT1_,@function
_ZN7rocprim17ROCPRIM_400000_NS6detail17trampoline_kernelINS0_14default_configENS1_27scan_by_key_config_selectorIiyEEZZNS1_16scan_by_key_implILNS1_25lookback_scan_determinismE0ELb1ES3_N6thrust23THRUST_200600_302600_NS6detail15normal_iteratorINS9_10device_ptrIiEEEENSB_INSC_IyEEEESG_yNS9_4plusIvEENS9_8equal_toIvEEyEE10hipError_tPvRmT2_T3_T4_T5_mT6_T7_P12ihipStream_tbENKUlT_T0_E_clISt17integral_constantIbLb0EES11_EEDaSW_SX_EUlSW_E_NS1_11comp_targetILNS1_3genE3ELNS1_11target_archE908ELNS1_3gpuE7ELNS1_3repE0EEENS1_30default_config_static_selectorELNS0_4arch9wavefront6targetE1EEEvT1_: ; @_ZN7rocprim17ROCPRIM_400000_NS6detail17trampoline_kernelINS0_14default_configENS1_27scan_by_key_config_selectorIiyEEZZNS1_16scan_by_key_implILNS1_25lookback_scan_determinismE0ELb1ES3_N6thrust23THRUST_200600_302600_NS6detail15normal_iteratorINS9_10device_ptrIiEEEENSB_INSC_IyEEEESG_yNS9_4plusIvEENS9_8equal_toIvEEyEE10hipError_tPvRmT2_T3_T4_T5_mT6_T7_P12ihipStream_tbENKUlT_T0_E_clISt17integral_constantIbLb0EES11_EEDaSW_SX_EUlSW_E_NS1_11comp_targetILNS1_3genE3ELNS1_11target_archE908ELNS1_3gpuE7ELNS1_3repE0EEENS1_30default_config_static_selectorELNS0_4arch9wavefront6targetE1EEEvT1_
; %bb.0:
	.section	.rodata,"a",@progbits
	.p2align	6, 0x0
	.amdhsa_kernel _ZN7rocprim17ROCPRIM_400000_NS6detail17trampoline_kernelINS0_14default_configENS1_27scan_by_key_config_selectorIiyEEZZNS1_16scan_by_key_implILNS1_25lookback_scan_determinismE0ELb1ES3_N6thrust23THRUST_200600_302600_NS6detail15normal_iteratorINS9_10device_ptrIiEEEENSB_INSC_IyEEEESG_yNS9_4plusIvEENS9_8equal_toIvEEyEE10hipError_tPvRmT2_T3_T4_T5_mT6_T7_P12ihipStream_tbENKUlT_T0_E_clISt17integral_constantIbLb0EES11_EEDaSW_SX_EUlSW_E_NS1_11comp_targetILNS1_3genE3ELNS1_11target_archE908ELNS1_3gpuE7ELNS1_3repE0EEENS1_30default_config_static_selectorELNS0_4arch9wavefront6targetE1EEEvT1_
		.amdhsa_group_segment_fixed_size 0
		.amdhsa_private_segment_fixed_size 0
		.amdhsa_kernarg_size 136
		.amdhsa_user_sgpr_count 6
		.amdhsa_user_sgpr_private_segment_buffer 1
		.amdhsa_user_sgpr_dispatch_ptr 0
		.amdhsa_user_sgpr_queue_ptr 0
		.amdhsa_user_sgpr_kernarg_segment_ptr 1
		.amdhsa_user_sgpr_dispatch_id 0
		.amdhsa_user_sgpr_flat_scratch_init 0
		.amdhsa_user_sgpr_kernarg_preload_length 0
		.amdhsa_user_sgpr_kernarg_preload_offset 0
		.amdhsa_user_sgpr_private_segment_size 0
		.amdhsa_uses_dynamic_stack 0
		.amdhsa_system_sgpr_private_segment_wavefront_offset 0
		.amdhsa_system_sgpr_workgroup_id_x 1
		.amdhsa_system_sgpr_workgroup_id_y 0
		.amdhsa_system_sgpr_workgroup_id_z 0
		.amdhsa_system_sgpr_workgroup_info 0
		.amdhsa_system_vgpr_workitem_id 0
		.amdhsa_next_free_vgpr 1
		.amdhsa_next_free_sgpr 0
		.amdhsa_accum_offset 4
		.amdhsa_reserve_vcc 0
		.amdhsa_reserve_flat_scratch 0
		.amdhsa_float_round_mode_32 0
		.amdhsa_float_round_mode_16_64 0
		.amdhsa_float_denorm_mode_32 3
		.amdhsa_float_denorm_mode_16_64 3
		.amdhsa_dx10_clamp 1
		.amdhsa_ieee_mode 1
		.amdhsa_fp16_overflow 0
		.amdhsa_tg_split 0
		.amdhsa_exception_fp_ieee_invalid_op 0
		.amdhsa_exception_fp_denorm_src 0
		.amdhsa_exception_fp_ieee_div_zero 0
		.amdhsa_exception_fp_ieee_overflow 0
		.amdhsa_exception_fp_ieee_underflow 0
		.amdhsa_exception_fp_ieee_inexact 0
		.amdhsa_exception_int_div_zero 0
	.end_amdhsa_kernel
	.section	.text._ZN7rocprim17ROCPRIM_400000_NS6detail17trampoline_kernelINS0_14default_configENS1_27scan_by_key_config_selectorIiyEEZZNS1_16scan_by_key_implILNS1_25lookback_scan_determinismE0ELb1ES3_N6thrust23THRUST_200600_302600_NS6detail15normal_iteratorINS9_10device_ptrIiEEEENSB_INSC_IyEEEESG_yNS9_4plusIvEENS9_8equal_toIvEEyEE10hipError_tPvRmT2_T3_T4_T5_mT6_T7_P12ihipStream_tbENKUlT_T0_E_clISt17integral_constantIbLb0EES11_EEDaSW_SX_EUlSW_E_NS1_11comp_targetILNS1_3genE3ELNS1_11target_archE908ELNS1_3gpuE7ELNS1_3repE0EEENS1_30default_config_static_selectorELNS0_4arch9wavefront6targetE1EEEvT1_,"axG",@progbits,_ZN7rocprim17ROCPRIM_400000_NS6detail17trampoline_kernelINS0_14default_configENS1_27scan_by_key_config_selectorIiyEEZZNS1_16scan_by_key_implILNS1_25lookback_scan_determinismE0ELb1ES3_N6thrust23THRUST_200600_302600_NS6detail15normal_iteratorINS9_10device_ptrIiEEEENSB_INSC_IyEEEESG_yNS9_4plusIvEENS9_8equal_toIvEEyEE10hipError_tPvRmT2_T3_T4_T5_mT6_T7_P12ihipStream_tbENKUlT_T0_E_clISt17integral_constantIbLb0EES11_EEDaSW_SX_EUlSW_E_NS1_11comp_targetILNS1_3genE3ELNS1_11target_archE908ELNS1_3gpuE7ELNS1_3repE0EEENS1_30default_config_static_selectorELNS0_4arch9wavefront6targetE1EEEvT1_,comdat
.Lfunc_end1467:
	.size	_ZN7rocprim17ROCPRIM_400000_NS6detail17trampoline_kernelINS0_14default_configENS1_27scan_by_key_config_selectorIiyEEZZNS1_16scan_by_key_implILNS1_25lookback_scan_determinismE0ELb1ES3_N6thrust23THRUST_200600_302600_NS6detail15normal_iteratorINS9_10device_ptrIiEEEENSB_INSC_IyEEEESG_yNS9_4plusIvEENS9_8equal_toIvEEyEE10hipError_tPvRmT2_T3_T4_T5_mT6_T7_P12ihipStream_tbENKUlT_T0_E_clISt17integral_constantIbLb0EES11_EEDaSW_SX_EUlSW_E_NS1_11comp_targetILNS1_3genE3ELNS1_11target_archE908ELNS1_3gpuE7ELNS1_3repE0EEENS1_30default_config_static_selectorELNS0_4arch9wavefront6targetE1EEEvT1_, .Lfunc_end1467-_ZN7rocprim17ROCPRIM_400000_NS6detail17trampoline_kernelINS0_14default_configENS1_27scan_by_key_config_selectorIiyEEZZNS1_16scan_by_key_implILNS1_25lookback_scan_determinismE0ELb1ES3_N6thrust23THRUST_200600_302600_NS6detail15normal_iteratorINS9_10device_ptrIiEEEENSB_INSC_IyEEEESG_yNS9_4plusIvEENS9_8equal_toIvEEyEE10hipError_tPvRmT2_T3_T4_T5_mT6_T7_P12ihipStream_tbENKUlT_T0_E_clISt17integral_constantIbLb0EES11_EEDaSW_SX_EUlSW_E_NS1_11comp_targetILNS1_3genE3ELNS1_11target_archE908ELNS1_3gpuE7ELNS1_3repE0EEENS1_30default_config_static_selectorELNS0_4arch9wavefront6targetE1EEEvT1_
                                        ; -- End function
	.section	.AMDGPU.csdata,"",@progbits
; Kernel info:
; codeLenInByte = 0
; NumSgprs: 4
; NumVgprs: 0
; NumAgprs: 0
; TotalNumVgprs: 0
; ScratchSize: 0
; MemoryBound: 0
; FloatMode: 240
; IeeeMode: 1
; LDSByteSize: 0 bytes/workgroup (compile time only)
; SGPRBlocks: 0
; VGPRBlocks: 0
; NumSGPRsForWavesPerEU: 4
; NumVGPRsForWavesPerEU: 1
; AccumOffset: 4
; Occupancy: 8
; WaveLimiterHint : 0
; COMPUTE_PGM_RSRC2:SCRATCH_EN: 0
; COMPUTE_PGM_RSRC2:USER_SGPR: 6
; COMPUTE_PGM_RSRC2:TRAP_HANDLER: 0
; COMPUTE_PGM_RSRC2:TGID_X_EN: 1
; COMPUTE_PGM_RSRC2:TGID_Y_EN: 0
; COMPUTE_PGM_RSRC2:TGID_Z_EN: 0
; COMPUTE_PGM_RSRC2:TIDIG_COMP_CNT: 0
; COMPUTE_PGM_RSRC3_GFX90A:ACCUM_OFFSET: 0
; COMPUTE_PGM_RSRC3_GFX90A:TG_SPLIT: 0
	.section	.text._ZN7rocprim17ROCPRIM_400000_NS6detail17trampoline_kernelINS0_14default_configENS1_27scan_by_key_config_selectorIiyEEZZNS1_16scan_by_key_implILNS1_25lookback_scan_determinismE0ELb1ES3_N6thrust23THRUST_200600_302600_NS6detail15normal_iteratorINS9_10device_ptrIiEEEENSB_INSC_IyEEEESG_yNS9_4plusIvEENS9_8equal_toIvEEyEE10hipError_tPvRmT2_T3_T4_T5_mT6_T7_P12ihipStream_tbENKUlT_T0_E_clISt17integral_constantIbLb0EES11_EEDaSW_SX_EUlSW_E_NS1_11comp_targetILNS1_3genE2ELNS1_11target_archE906ELNS1_3gpuE6ELNS1_3repE0EEENS1_30default_config_static_selectorELNS0_4arch9wavefront6targetE1EEEvT1_,"axG",@progbits,_ZN7rocprim17ROCPRIM_400000_NS6detail17trampoline_kernelINS0_14default_configENS1_27scan_by_key_config_selectorIiyEEZZNS1_16scan_by_key_implILNS1_25lookback_scan_determinismE0ELb1ES3_N6thrust23THRUST_200600_302600_NS6detail15normal_iteratorINS9_10device_ptrIiEEEENSB_INSC_IyEEEESG_yNS9_4plusIvEENS9_8equal_toIvEEyEE10hipError_tPvRmT2_T3_T4_T5_mT6_T7_P12ihipStream_tbENKUlT_T0_E_clISt17integral_constantIbLb0EES11_EEDaSW_SX_EUlSW_E_NS1_11comp_targetILNS1_3genE2ELNS1_11target_archE906ELNS1_3gpuE6ELNS1_3repE0EEENS1_30default_config_static_selectorELNS0_4arch9wavefront6targetE1EEEvT1_,comdat
	.protected	_ZN7rocprim17ROCPRIM_400000_NS6detail17trampoline_kernelINS0_14default_configENS1_27scan_by_key_config_selectorIiyEEZZNS1_16scan_by_key_implILNS1_25lookback_scan_determinismE0ELb1ES3_N6thrust23THRUST_200600_302600_NS6detail15normal_iteratorINS9_10device_ptrIiEEEENSB_INSC_IyEEEESG_yNS9_4plusIvEENS9_8equal_toIvEEyEE10hipError_tPvRmT2_T3_T4_T5_mT6_T7_P12ihipStream_tbENKUlT_T0_E_clISt17integral_constantIbLb0EES11_EEDaSW_SX_EUlSW_E_NS1_11comp_targetILNS1_3genE2ELNS1_11target_archE906ELNS1_3gpuE6ELNS1_3repE0EEENS1_30default_config_static_selectorELNS0_4arch9wavefront6targetE1EEEvT1_ ; -- Begin function _ZN7rocprim17ROCPRIM_400000_NS6detail17trampoline_kernelINS0_14default_configENS1_27scan_by_key_config_selectorIiyEEZZNS1_16scan_by_key_implILNS1_25lookback_scan_determinismE0ELb1ES3_N6thrust23THRUST_200600_302600_NS6detail15normal_iteratorINS9_10device_ptrIiEEEENSB_INSC_IyEEEESG_yNS9_4plusIvEENS9_8equal_toIvEEyEE10hipError_tPvRmT2_T3_T4_T5_mT6_T7_P12ihipStream_tbENKUlT_T0_E_clISt17integral_constantIbLb0EES11_EEDaSW_SX_EUlSW_E_NS1_11comp_targetILNS1_3genE2ELNS1_11target_archE906ELNS1_3gpuE6ELNS1_3repE0EEENS1_30default_config_static_selectorELNS0_4arch9wavefront6targetE1EEEvT1_
	.globl	_ZN7rocprim17ROCPRIM_400000_NS6detail17trampoline_kernelINS0_14default_configENS1_27scan_by_key_config_selectorIiyEEZZNS1_16scan_by_key_implILNS1_25lookback_scan_determinismE0ELb1ES3_N6thrust23THRUST_200600_302600_NS6detail15normal_iteratorINS9_10device_ptrIiEEEENSB_INSC_IyEEEESG_yNS9_4plusIvEENS9_8equal_toIvEEyEE10hipError_tPvRmT2_T3_T4_T5_mT6_T7_P12ihipStream_tbENKUlT_T0_E_clISt17integral_constantIbLb0EES11_EEDaSW_SX_EUlSW_E_NS1_11comp_targetILNS1_3genE2ELNS1_11target_archE906ELNS1_3gpuE6ELNS1_3repE0EEENS1_30default_config_static_selectorELNS0_4arch9wavefront6targetE1EEEvT1_
	.p2align	8
	.type	_ZN7rocprim17ROCPRIM_400000_NS6detail17trampoline_kernelINS0_14default_configENS1_27scan_by_key_config_selectorIiyEEZZNS1_16scan_by_key_implILNS1_25lookback_scan_determinismE0ELb1ES3_N6thrust23THRUST_200600_302600_NS6detail15normal_iteratorINS9_10device_ptrIiEEEENSB_INSC_IyEEEESG_yNS9_4plusIvEENS9_8equal_toIvEEyEE10hipError_tPvRmT2_T3_T4_T5_mT6_T7_P12ihipStream_tbENKUlT_T0_E_clISt17integral_constantIbLb0EES11_EEDaSW_SX_EUlSW_E_NS1_11comp_targetILNS1_3genE2ELNS1_11target_archE906ELNS1_3gpuE6ELNS1_3repE0EEENS1_30default_config_static_selectorELNS0_4arch9wavefront6targetE1EEEvT1_,@function
_ZN7rocprim17ROCPRIM_400000_NS6detail17trampoline_kernelINS0_14default_configENS1_27scan_by_key_config_selectorIiyEEZZNS1_16scan_by_key_implILNS1_25lookback_scan_determinismE0ELb1ES3_N6thrust23THRUST_200600_302600_NS6detail15normal_iteratorINS9_10device_ptrIiEEEENSB_INSC_IyEEEESG_yNS9_4plusIvEENS9_8equal_toIvEEyEE10hipError_tPvRmT2_T3_T4_T5_mT6_T7_P12ihipStream_tbENKUlT_T0_E_clISt17integral_constantIbLb0EES11_EEDaSW_SX_EUlSW_E_NS1_11comp_targetILNS1_3genE2ELNS1_11target_archE906ELNS1_3gpuE6ELNS1_3repE0EEENS1_30default_config_static_selectorELNS0_4arch9wavefront6targetE1EEEvT1_: ; @_ZN7rocprim17ROCPRIM_400000_NS6detail17trampoline_kernelINS0_14default_configENS1_27scan_by_key_config_selectorIiyEEZZNS1_16scan_by_key_implILNS1_25lookback_scan_determinismE0ELb1ES3_N6thrust23THRUST_200600_302600_NS6detail15normal_iteratorINS9_10device_ptrIiEEEENSB_INSC_IyEEEESG_yNS9_4plusIvEENS9_8equal_toIvEEyEE10hipError_tPvRmT2_T3_T4_T5_mT6_T7_P12ihipStream_tbENKUlT_T0_E_clISt17integral_constantIbLb0EES11_EEDaSW_SX_EUlSW_E_NS1_11comp_targetILNS1_3genE2ELNS1_11target_archE906ELNS1_3gpuE6ELNS1_3repE0EEENS1_30default_config_static_selectorELNS0_4arch9wavefront6targetE1EEEvT1_
; %bb.0:
	.section	.rodata,"a",@progbits
	.p2align	6, 0x0
	.amdhsa_kernel _ZN7rocprim17ROCPRIM_400000_NS6detail17trampoline_kernelINS0_14default_configENS1_27scan_by_key_config_selectorIiyEEZZNS1_16scan_by_key_implILNS1_25lookback_scan_determinismE0ELb1ES3_N6thrust23THRUST_200600_302600_NS6detail15normal_iteratorINS9_10device_ptrIiEEEENSB_INSC_IyEEEESG_yNS9_4plusIvEENS9_8equal_toIvEEyEE10hipError_tPvRmT2_T3_T4_T5_mT6_T7_P12ihipStream_tbENKUlT_T0_E_clISt17integral_constantIbLb0EES11_EEDaSW_SX_EUlSW_E_NS1_11comp_targetILNS1_3genE2ELNS1_11target_archE906ELNS1_3gpuE6ELNS1_3repE0EEENS1_30default_config_static_selectorELNS0_4arch9wavefront6targetE1EEEvT1_
		.amdhsa_group_segment_fixed_size 0
		.amdhsa_private_segment_fixed_size 0
		.amdhsa_kernarg_size 136
		.amdhsa_user_sgpr_count 6
		.amdhsa_user_sgpr_private_segment_buffer 1
		.amdhsa_user_sgpr_dispatch_ptr 0
		.amdhsa_user_sgpr_queue_ptr 0
		.amdhsa_user_sgpr_kernarg_segment_ptr 1
		.amdhsa_user_sgpr_dispatch_id 0
		.amdhsa_user_sgpr_flat_scratch_init 0
		.amdhsa_user_sgpr_kernarg_preload_length 0
		.amdhsa_user_sgpr_kernarg_preload_offset 0
		.amdhsa_user_sgpr_private_segment_size 0
		.amdhsa_uses_dynamic_stack 0
		.amdhsa_system_sgpr_private_segment_wavefront_offset 0
		.amdhsa_system_sgpr_workgroup_id_x 1
		.amdhsa_system_sgpr_workgroup_id_y 0
		.amdhsa_system_sgpr_workgroup_id_z 0
		.amdhsa_system_sgpr_workgroup_info 0
		.amdhsa_system_vgpr_workitem_id 0
		.amdhsa_next_free_vgpr 1
		.amdhsa_next_free_sgpr 0
		.amdhsa_accum_offset 4
		.amdhsa_reserve_vcc 0
		.amdhsa_reserve_flat_scratch 0
		.amdhsa_float_round_mode_32 0
		.amdhsa_float_round_mode_16_64 0
		.amdhsa_float_denorm_mode_32 3
		.amdhsa_float_denorm_mode_16_64 3
		.amdhsa_dx10_clamp 1
		.amdhsa_ieee_mode 1
		.amdhsa_fp16_overflow 0
		.amdhsa_tg_split 0
		.amdhsa_exception_fp_ieee_invalid_op 0
		.amdhsa_exception_fp_denorm_src 0
		.amdhsa_exception_fp_ieee_div_zero 0
		.amdhsa_exception_fp_ieee_overflow 0
		.amdhsa_exception_fp_ieee_underflow 0
		.amdhsa_exception_fp_ieee_inexact 0
		.amdhsa_exception_int_div_zero 0
	.end_amdhsa_kernel
	.section	.text._ZN7rocprim17ROCPRIM_400000_NS6detail17trampoline_kernelINS0_14default_configENS1_27scan_by_key_config_selectorIiyEEZZNS1_16scan_by_key_implILNS1_25lookback_scan_determinismE0ELb1ES3_N6thrust23THRUST_200600_302600_NS6detail15normal_iteratorINS9_10device_ptrIiEEEENSB_INSC_IyEEEESG_yNS9_4plusIvEENS9_8equal_toIvEEyEE10hipError_tPvRmT2_T3_T4_T5_mT6_T7_P12ihipStream_tbENKUlT_T0_E_clISt17integral_constantIbLb0EES11_EEDaSW_SX_EUlSW_E_NS1_11comp_targetILNS1_3genE2ELNS1_11target_archE906ELNS1_3gpuE6ELNS1_3repE0EEENS1_30default_config_static_selectorELNS0_4arch9wavefront6targetE1EEEvT1_,"axG",@progbits,_ZN7rocprim17ROCPRIM_400000_NS6detail17trampoline_kernelINS0_14default_configENS1_27scan_by_key_config_selectorIiyEEZZNS1_16scan_by_key_implILNS1_25lookback_scan_determinismE0ELb1ES3_N6thrust23THRUST_200600_302600_NS6detail15normal_iteratorINS9_10device_ptrIiEEEENSB_INSC_IyEEEESG_yNS9_4plusIvEENS9_8equal_toIvEEyEE10hipError_tPvRmT2_T3_T4_T5_mT6_T7_P12ihipStream_tbENKUlT_T0_E_clISt17integral_constantIbLb0EES11_EEDaSW_SX_EUlSW_E_NS1_11comp_targetILNS1_3genE2ELNS1_11target_archE906ELNS1_3gpuE6ELNS1_3repE0EEENS1_30default_config_static_selectorELNS0_4arch9wavefront6targetE1EEEvT1_,comdat
.Lfunc_end1468:
	.size	_ZN7rocprim17ROCPRIM_400000_NS6detail17trampoline_kernelINS0_14default_configENS1_27scan_by_key_config_selectorIiyEEZZNS1_16scan_by_key_implILNS1_25lookback_scan_determinismE0ELb1ES3_N6thrust23THRUST_200600_302600_NS6detail15normal_iteratorINS9_10device_ptrIiEEEENSB_INSC_IyEEEESG_yNS9_4plusIvEENS9_8equal_toIvEEyEE10hipError_tPvRmT2_T3_T4_T5_mT6_T7_P12ihipStream_tbENKUlT_T0_E_clISt17integral_constantIbLb0EES11_EEDaSW_SX_EUlSW_E_NS1_11comp_targetILNS1_3genE2ELNS1_11target_archE906ELNS1_3gpuE6ELNS1_3repE0EEENS1_30default_config_static_selectorELNS0_4arch9wavefront6targetE1EEEvT1_, .Lfunc_end1468-_ZN7rocprim17ROCPRIM_400000_NS6detail17trampoline_kernelINS0_14default_configENS1_27scan_by_key_config_selectorIiyEEZZNS1_16scan_by_key_implILNS1_25lookback_scan_determinismE0ELb1ES3_N6thrust23THRUST_200600_302600_NS6detail15normal_iteratorINS9_10device_ptrIiEEEENSB_INSC_IyEEEESG_yNS9_4plusIvEENS9_8equal_toIvEEyEE10hipError_tPvRmT2_T3_T4_T5_mT6_T7_P12ihipStream_tbENKUlT_T0_E_clISt17integral_constantIbLb0EES11_EEDaSW_SX_EUlSW_E_NS1_11comp_targetILNS1_3genE2ELNS1_11target_archE906ELNS1_3gpuE6ELNS1_3repE0EEENS1_30default_config_static_selectorELNS0_4arch9wavefront6targetE1EEEvT1_
                                        ; -- End function
	.section	.AMDGPU.csdata,"",@progbits
; Kernel info:
; codeLenInByte = 0
; NumSgprs: 4
; NumVgprs: 0
; NumAgprs: 0
; TotalNumVgprs: 0
; ScratchSize: 0
; MemoryBound: 0
; FloatMode: 240
; IeeeMode: 1
; LDSByteSize: 0 bytes/workgroup (compile time only)
; SGPRBlocks: 0
; VGPRBlocks: 0
; NumSGPRsForWavesPerEU: 4
; NumVGPRsForWavesPerEU: 1
; AccumOffset: 4
; Occupancy: 8
; WaveLimiterHint : 0
; COMPUTE_PGM_RSRC2:SCRATCH_EN: 0
; COMPUTE_PGM_RSRC2:USER_SGPR: 6
; COMPUTE_PGM_RSRC2:TRAP_HANDLER: 0
; COMPUTE_PGM_RSRC2:TGID_X_EN: 1
; COMPUTE_PGM_RSRC2:TGID_Y_EN: 0
; COMPUTE_PGM_RSRC2:TGID_Z_EN: 0
; COMPUTE_PGM_RSRC2:TIDIG_COMP_CNT: 0
; COMPUTE_PGM_RSRC3_GFX90A:ACCUM_OFFSET: 0
; COMPUTE_PGM_RSRC3_GFX90A:TG_SPLIT: 0
	.section	.text._ZN7rocprim17ROCPRIM_400000_NS6detail17trampoline_kernelINS0_14default_configENS1_27scan_by_key_config_selectorIiyEEZZNS1_16scan_by_key_implILNS1_25lookback_scan_determinismE0ELb1ES3_N6thrust23THRUST_200600_302600_NS6detail15normal_iteratorINS9_10device_ptrIiEEEENSB_INSC_IyEEEESG_yNS9_4plusIvEENS9_8equal_toIvEEyEE10hipError_tPvRmT2_T3_T4_T5_mT6_T7_P12ihipStream_tbENKUlT_T0_E_clISt17integral_constantIbLb0EES11_EEDaSW_SX_EUlSW_E_NS1_11comp_targetILNS1_3genE10ELNS1_11target_archE1200ELNS1_3gpuE4ELNS1_3repE0EEENS1_30default_config_static_selectorELNS0_4arch9wavefront6targetE1EEEvT1_,"axG",@progbits,_ZN7rocprim17ROCPRIM_400000_NS6detail17trampoline_kernelINS0_14default_configENS1_27scan_by_key_config_selectorIiyEEZZNS1_16scan_by_key_implILNS1_25lookback_scan_determinismE0ELb1ES3_N6thrust23THRUST_200600_302600_NS6detail15normal_iteratorINS9_10device_ptrIiEEEENSB_INSC_IyEEEESG_yNS9_4plusIvEENS9_8equal_toIvEEyEE10hipError_tPvRmT2_T3_T4_T5_mT6_T7_P12ihipStream_tbENKUlT_T0_E_clISt17integral_constantIbLb0EES11_EEDaSW_SX_EUlSW_E_NS1_11comp_targetILNS1_3genE10ELNS1_11target_archE1200ELNS1_3gpuE4ELNS1_3repE0EEENS1_30default_config_static_selectorELNS0_4arch9wavefront6targetE1EEEvT1_,comdat
	.protected	_ZN7rocprim17ROCPRIM_400000_NS6detail17trampoline_kernelINS0_14default_configENS1_27scan_by_key_config_selectorIiyEEZZNS1_16scan_by_key_implILNS1_25lookback_scan_determinismE0ELb1ES3_N6thrust23THRUST_200600_302600_NS6detail15normal_iteratorINS9_10device_ptrIiEEEENSB_INSC_IyEEEESG_yNS9_4plusIvEENS9_8equal_toIvEEyEE10hipError_tPvRmT2_T3_T4_T5_mT6_T7_P12ihipStream_tbENKUlT_T0_E_clISt17integral_constantIbLb0EES11_EEDaSW_SX_EUlSW_E_NS1_11comp_targetILNS1_3genE10ELNS1_11target_archE1200ELNS1_3gpuE4ELNS1_3repE0EEENS1_30default_config_static_selectorELNS0_4arch9wavefront6targetE1EEEvT1_ ; -- Begin function _ZN7rocprim17ROCPRIM_400000_NS6detail17trampoline_kernelINS0_14default_configENS1_27scan_by_key_config_selectorIiyEEZZNS1_16scan_by_key_implILNS1_25lookback_scan_determinismE0ELb1ES3_N6thrust23THRUST_200600_302600_NS6detail15normal_iteratorINS9_10device_ptrIiEEEENSB_INSC_IyEEEESG_yNS9_4plusIvEENS9_8equal_toIvEEyEE10hipError_tPvRmT2_T3_T4_T5_mT6_T7_P12ihipStream_tbENKUlT_T0_E_clISt17integral_constantIbLb0EES11_EEDaSW_SX_EUlSW_E_NS1_11comp_targetILNS1_3genE10ELNS1_11target_archE1200ELNS1_3gpuE4ELNS1_3repE0EEENS1_30default_config_static_selectorELNS0_4arch9wavefront6targetE1EEEvT1_
	.globl	_ZN7rocprim17ROCPRIM_400000_NS6detail17trampoline_kernelINS0_14default_configENS1_27scan_by_key_config_selectorIiyEEZZNS1_16scan_by_key_implILNS1_25lookback_scan_determinismE0ELb1ES3_N6thrust23THRUST_200600_302600_NS6detail15normal_iteratorINS9_10device_ptrIiEEEENSB_INSC_IyEEEESG_yNS9_4plusIvEENS9_8equal_toIvEEyEE10hipError_tPvRmT2_T3_T4_T5_mT6_T7_P12ihipStream_tbENKUlT_T0_E_clISt17integral_constantIbLb0EES11_EEDaSW_SX_EUlSW_E_NS1_11comp_targetILNS1_3genE10ELNS1_11target_archE1200ELNS1_3gpuE4ELNS1_3repE0EEENS1_30default_config_static_selectorELNS0_4arch9wavefront6targetE1EEEvT1_
	.p2align	8
	.type	_ZN7rocprim17ROCPRIM_400000_NS6detail17trampoline_kernelINS0_14default_configENS1_27scan_by_key_config_selectorIiyEEZZNS1_16scan_by_key_implILNS1_25lookback_scan_determinismE0ELb1ES3_N6thrust23THRUST_200600_302600_NS6detail15normal_iteratorINS9_10device_ptrIiEEEENSB_INSC_IyEEEESG_yNS9_4plusIvEENS9_8equal_toIvEEyEE10hipError_tPvRmT2_T3_T4_T5_mT6_T7_P12ihipStream_tbENKUlT_T0_E_clISt17integral_constantIbLb0EES11_EEDaSW_SX_EUlSW_E_NS1_11comp_targetILNS1_3genE10ELNS1_11target_archE1200ELNS1_3gpuE4ELNS1_3repE0EEENS1_30default_config_static_selectorELNS0_4arch9wavefront6targetE1EEEvT1_,@function
_ZN7rocprim17ROCPRIM_400000_NS6detail17trampoline_kernelINS0_14default_configENS1_27scan_by_key_config_selectorIiyEEZZNS1_16scan_by_key_implILNS1_25lookback_scan_determinismE0ELb1ES3_N6thrust23THRUST_200600_302600_NS6detail15normal_iteratorINS9_10device_ptrIiEEEENSB_INSC_IyEEEESG_yNS9_4plusIvEENS9_8equal_toIvEEyEE10hipError_tPvRmT2_T3_T4_T5_mT6_T7_P12ihipStream_tbENKUlT_T0_E_clISt17integral_constantIbLb0EES11_EEDaSW_SX_EUlSW_E_NS1_11comp_targetILNS1_3genE10ELNS1_11target_archE1200ELNS1_3gpuE4ELNS1_3repE0EEENS1_30default_config_static_selectorELNS0_4arch9wavefront6targetE1EEEvT1_: ; @_ZN7rocprim17ROCPRIM_400000_NS6detail17trampoline_kernelINS0_14default_configENS1_27scan_by_key_config_selectorIiyEEZZNS1_16scan_by_key_implILNS1_25lookback_scan_determinismE0ELb1ES3_N6thrust23THRUST_200600_302600_NS6detail15normal_iteratorINS9_10device_ptrIiEEEENSB_INSC_IyEEEESG_yNS9_4plusIvEENS9_8equal_toIvEEyEE10hipError_tPvRmT2_T3_T4_T5_mT6_T7_P12ihipStream_tbENKUlT_T0_E_clISt17integral_constantIbLb0EES11_EEDaSW_SX_EUlSW_E_NS1_11comp_targetILNS1_3genE10ELNS1_11target_archE1200ELNS1_3gpuE4ELNS1_3repE0EEENS1_30default_config_static_selectorELNS0_4arch9wavefront6targetE1EEEvT1_
; %bb.0:
	.section	.rodata,"a",@progbits
	.p2align	6, 0x0
	.amdhsa_kernel _ZN7rocprim17ROCPRIM_400000_NS6detail17trampoline_kernelINS0_14default_configENS1_27scan_by_key_config_selectorIiyEEZZNS1_16scan_by_key_implILNS1_25lookback_scan_determinismE0ELb1ES3_N6thrust23THRUST_200600_302600_NS6detail15normal_iteratorINS9_10device_ptrIiEEEENSB_INSC_IyEEEESG_yNS9_4plusIvEENS9_8equal_toIvEEyEE10hipError_tPvRmT2_T3_T4_T5_mT6_T7_P12ihipStream_tbENKUlT_T0_E_clISt17integral_constantIbLb0EES11_EEDaSW_SX_EUlSW_E_NS1_11comp_targetILNS1_3genE10ELNS1_11target_archE1200ELNS1_3gpuE4ELNS1_3repE0EEENS1_30default_config_static_selectorELNS0_4arch9wavefront6targetE1EEEvT1_
		.amdhsa_group_segment_fixed_size 0
		.amdhsa_private_segment_fixed_size 0
		.amdhsa_kernarg_size 136
		.amdhsa_user_sgpr_count 6
		.amdhsa_user_sgpr_private_segment_buffer 1
		.amdhsa_user_sgpr_dispatch_ptr 0
		.amdhsa_user_sgpr_queue_ptr 0
		.amdhsa_user_sgpr_kernarg_segment_ptr 1
		.amdhsa_user_sgpr_dispatch_id 0
		.amdhsa_user_sgpr_flat_scratch_init 0
		.amdhsa_user_sgpr_kernarg_preload_length 0
		.amdhsa_user_sgpr_kernarg_preload_offset 0
		.amdhsa_user_sgpr_private_segment_size 0
		.amdhsa_uses_dynamic_stack 0
		.amdhsa_system_sgpr_private_segment_wavefront_offset 0
		.amdhsa_system_sgpr_workgroup_id_x 1
		.amdhsa_system_sgpr_workgroup_id_y 0
		.amdhsa_system_sgpr_workgroup_id_z 0
		.amdhsa_system_sgpr_workgroup_info 0
		.amdhsa_system_vgpr_workitem_id 0
		.amdhsa_next_free_vgpr 1
		.amdhsa_next_free_sgpr 0
		.amdhsa_accum_offset 4
		.amdhsa_reserve_vcc 0
		.amdhsa_reserve_flat_scratch 0
		.amdhsa_float_round_mode_32 0
		.amdhsa_float_round_mode_16_64 0
		.amdhsa_float_denorm_mode_32 3
		.amdhsa_float_denorm_mode_16_64 3
		.amdhsa_dx10_clamp 1
		.amdhsa_ieee_mode 1
		.amdhsa_fp16_overflow 0
		.amdhsa_tg_split 0
		.amdhsa_exception_fp_ieee_invalid_op 0
		.amdhsa_exception_fp_denorm_src 0
		.amdhsa_exception_fp_ieee_div_zero 0
		.amdhsa_exception_fp_ieee_overflow 0
		.amdhsa_exception_fp_ieee_underflow 0
		.amdhsa_exception_fp_ieee_inexact 0
		.amdhsa_exception_int_div_zero 0
	.end_amdhsa_kernel
	.section	.text._ZN7rocprim17ROCPRIM_400000_NS6detail17trampoline_kernelINS0_14default_configENS1_27scan_by_key_config_selectorIiyEEZZNS1_16scan_by_key_implILNS1_25lookback_scan_determinismE0ELb1ES3_N6thrust23THRUST_200600_302600_NS6detail15normal_iteratorINS9_10device_ptrIiEEEENSB_INSC_IyEEEESG_yNS9_4plusIvEENS9_8equal_toIvEEyEE10hipError_tPvRmT2_T3_T4_T5_mT6_T7_P12ihipStream_tbENKUlT_T0_E_clISt17integral_constantIbLb0EES11_EEDaSW_SX_EUlSW_E_NS1_11comp_targetILNS1_3genE10ELNS1_11target_archE1200ELNS1_3gpuE4ELNS1_3repE0EEENS1_30default_config_static_selectorELNS0_4arch9wavefront6targetE1EEEvT1_,"axG",@progbits,_ZN7rocprim17ROCPRIM_400000_NS6detail17trampoline_kernelINS0_14default_configENS1_27scan_by_key_config_selectorIiyEEZZNS1_16scan_by_key_implILNS1_25lookback_scan_determinismE0ELb1ES3_N6thrust23THRUST_200600_302600_NS6detail15normal_iteratorINS9_10device_ptrIiEEEENSB_INSC_IyEEEESG_yNS9_4plusIvEENS9_8equal_toIvEEyEE10hipError_tPvRmT2_T3_T4_T5_mT6_T7_P12ihipStream_tbENKUlT_T0_E_clISt17integral_constantIbLb0EES11_EEDaSW_SX_EUlSW_E_NS1_11comp_targetILNS1_3genE10ELNS1_11target_archE1200ELNS1_3gpuE4ELNS1_3repE0EEENS1_30default_config_static_selectorELNS0_4arch9wavefront6targetE1EEEvT1_,comdat
.Lfunc_end1469:
	.size	_ZN7rocprim17ROCPRIM_400000_NS6detail17trampoline_kernelINS0_14default_configENS1_27scan_by_key_config_selectorIiyEEZZNS1_16scan_by_key_implILNS1_25lookback_scan_determinismE0ELb1ES3_N6thrust23THRUST_200600_302600_NS6detail15normal_iteratorINS9_10device_ptrIiEEEENSB_INSC_IyEEEESG_yNS9_4plusIvEENS9_8equal_toIvEEyEE10hipError_tPvRmT2_T3_T4_T5_mT6_T7_P12ihipStream_tbENKUlT_T0_E_clISt17integral_constantIbLb0EES11_EEDaSW_SX_EUlSW_E_NS1_11comp_targetILNS1_3genE10ELNS1_11target_archE1200ELNS1_3gpuE4ELNS1_3repE0EEENS1_30default_config_static_selectorELNS0_4arch9wavefront6targetE1EEEvT1_, .Lfunc_end1469-_ZN7rocprim17ROCPRIM_400000_NS6detail17trampoline_kernelINS0_14default_configENS1_27scan_by_key_config_selectorIiyEEZZNS1_16scan_by_key_implILNS1_25lookback_scan_determinismE0ELb1ES3_N6thrust23THRUST_200600_302600_NS6detail15normal_iteratorINS9_10device_ptrIiEEEENSB_INSC_IyEEEESG_yNS9_4plusIvEENS9_8equal_toIvEEyEE10hipError_tPvRmT2_T3_T4_T5_mT6_T7_P12ihipStream_tbENKUlT_T0_E_clISt17integral_constantIbLb0EES11_EEDaSW_SX_EUlSW_E_NS1_11comp_targetILNS1_3genE10ELNS1_11target_archE1200ELNS1_3gpuE4ELNS1_3repE0EEENS1_30default_config_static_selectorELNS0_4arch9wavefront6targetE1EEEvT1_
                                        ; -- End function
	.section	.AMDGPU.csdata,"",@progbits
; Kernel info:
; codeLenInByte = 0
; NumSgprs: 4
; NumVgprs: 0
; NumAgprs: 0
; TotalNumVgprs: 0
; ScratchSize: 0
; MemoryBound: 0
; FloatMode: 240
; IeeeMode: 1
; LDSByteSize: 0 bytes/workgroup (compile time only)
; SGPRBlocks: 0
; VGPRBlocks: 0
; NumSGPRsForWavesPerEU: 4
; NumVGPRsForWavesPerEU: 1
; AccumOffset: 4
; Occupancy: 8
; WaveLimiterHint : 0
; COMPUTE_PGM_RSRC2:SCRATCH_EN: 0
; COMPUTE_PGM_RSRC2:USER_SGPR: 6
; COMPUTE_PGM_RSRC2:TRAP_HANDLER: 0
; COMPUTE_PGM_RSRC2:TGID_X_EN: 1
; COMPUTE_PGM_RSRC2:TGID_Y_EN: 0
; COMPUTE_PGM_RSRC2:TGID_Z_EN: 0
; COMPUTE_PGM_RSRC2:TIDIG_COMP_CNT: 0
; COMPUTE_PGM_RSRC3_GFX90A:ACCUM_OFFSET: 0
; COMPUTE_PGM_RSRC3_GFX90A:TG_SPLIT: 0
	.section	.text._ZN7rocprim17ROCPRIM_400000_NS6detail17trampoline_kernelINS0_14default_configENS1_27scan_by_key_config_selectorIiyEEZZNS1_16scan_by_key_implILNS1_25lookback_scan_determinismE0ELb1ES3_N6thrust23THRUST_200600_302600_NS6detail15normal_iteratorINS9_10device_ptrIiEEEENSB_INSC_IyEEEESG_yNS9_4plusIvEENS9_8equal_toIvEEyEE10hipError_tPvRmT2_T3_T4_T5_mT6_T7_P12ihipStream_tbENKUlT_T0_E_clISt17integral_constantIbLb0EES11_EEDaSW_SX_EUlSW_E_NS1_11comp_targetILNS1_3genE9ELNS1_11target_archE1100ELNS1_3gpuE3ELNS1_3repE0EEENS1_30default_config_static_selectorELNS0_4arch9wavefront6targetE1EEEvT1_,"axG",@progbits,_ZN7rocprim17ROCPRIM_400000_NS6detail17trampoline_kernelINS0_14default_configENS1_27scan_by_key_config_selectorIiyEEZZNS1_16scan_by_key_implILNS1_25lookback_scan_determinismE0ELb1ES3_N6thrust23THRUST_200600_302600_NS6detail15normal_iteratorINS9_10device_ptrIiEEEENSB_INSC_IyEEEESG_yNS9_4plusIvEENS9_8equal_toIvEEyEE10hipError_tPvRmT2_T3_T4_T5_mT6_T7_P12ihipStream_tbENKUlT_T0_E_clISt17integral_constantIbLb0EES11_EEDaSW_SX_EUlSW_E_NS1_11comp_targetILNS1_3genE9ELNS1_11target_archE1100ELNS1_3gpuE3ELNS1_3repE0EEENS1_30default_config_static_selectorELNS0_4arch9wavefront6targetE1EEEvT1_,comdat
	.protected	_ZN7rocprim17ROCPRIM_400000_NS6detail17trampoline_kernelINS0_14default_configENS1_27scan_by_key_config_selectorIiyEEZZNS1_16scan_by_key_implILNS1_25lookback_scan_determinismE0ELb1ES3_N6thrust23THRUST_200600_302600_NS6detail15normal_iteratorINS9_10device_ptrIiEEEENSB_INSC_IyEEEESG_yNS9_4plusIvEENS9_8equal_toIvEEyEE10hipError_tPvRmT2_T3_T4_T5_mT6_T7_P12ihipStream_tbENKUlT_T0_E_clISt17integral_constantIbLb0EES11_EEDaSW_SX_EUlSW_E_NS1_11comp_targetILNS1_3genE9ELNS1_11target_archE1100ELNS1_3gpuE3ELNS1_3repE0EEENS1_30default_config_static_selectorELNS0_4arch9wavefront6targetE1EEEvT1_ ; -- Begin function _ZN7rocprim17ROCPRIM_400000_NS6detail17trampoline_kernelINS0_14default_configENS1_27scan_by_key_config_selectorIiyEEZZNS1_16scan_by_key_implILNS1_25lookback_scan_determinismE0ELb1ES3_N6thrust23THRUST_200600_302600_NS6detail15normal_iteratorINS9_10device_ptrIiEEEENSB_INSC_IyEEEESG_yNS9_4plusIvEENS9_8equal_toIvEEyEE10hipError_tPvRmT2_T3_T4_T5_mT6_T7_P12ihipStream_tbENKUlT_T0_E_clISt17integral_constantIbLb0EES11_EEDaSW_SX_EUlSW_E_NS1_11comp_targetILNS1_3genE9ELNS1_11target_archE1100ELNS1_3gpuE3ELNS1_3repE0EEENS1_30default_config_static_selectorELNS0_4arch9wavefront6targetE1EEEvT1_
	.globl	_ZN7rocprim17ROCPRIM_400000_NS6detail17trampoline_kernelINS0_14default_configENS1_27scan_by_key_config_selectorIiyEEZZNS1_16scan_by_key_implILNS1_25lookback_scan_determinismE0ELb1ES3_N6thrust23THRUST_200600_302600_NS6detail15normal_iteratorINS9_10device_ptrIiEEEENSB_INSC_IyEEEESG_yNS9_4plusIvEENS9_8equal_toIvEEyEE10hipError_tPvRmT2_T3_T4_T5_mT6_T7_P12ihipStream_tbENKUlT_T0_E_clISt17integral_constantIbLb0EES11_EEDaSW_SX_EUlSW_E_NS1_11comp_targetILNS1_3genE9ELNS1_11target_archE1100ELNS1_3gpuE3ELNS1_3repE0EEENS1_30default_config_static_selectorELNS0_4arch9wavefront6targetE1EEEvT1_
	.p2align	8
	.type	_ZN7rocprim17ROCPRIM_400000_NS6detail17trampoline_kernelINS0_14default_configENS1_27scan_by_key_config_selectorIiyEEZZNS1_16scan_by_key_implILNS1_25lookback_scan_determinismE0ELb1ES3_N6thrust23THRUST_200600_302600_NS6detail15normal_iteratorINS9_10device_ptrIiEEEENSB_INSC_IyEEEESG_yNS9_4plusIvEENS9_8equal_toIvEEyEE10hipError_tPvRmT2_T3_T4_T5_mT6_T7_P12ihipStream_tbENKUlT_T0_E_clISt17integral_constantIbLb0EES11_EEDaSW_SX_EUlSW_E_NS1_11comp_targetILNS1_3genE9ELNS1_11target_archE1100ELNS1_3gpuE3ELNS1_3repE0EEENS1_30default_config_static_selectorELNS0_4arch9wavefront6targetE1EEEvT1_,@function
_ZN7rocprim17ROCPRIM_400000_NS6detail17trampoline_kernelINS0_14default_configENS1_27scan_by_key_config_selectorIiyEEZZNS1_16scan_by_key_implILNS1_25lookback_scan_determinismE0ELb1ES3_N6thrust23THRUST_200600_302600_NS6detail15normal_iteratorINS9_10device_ptrIiEEEENSB_INSC_IyEEEESG_yNS9_4plusIvEENS9_8equal_toIvEEyEE10hipError_tPvRmT2_T3_T4_T5_mT6_T7_P12ihipStream_tbENKUlT_T0_E_clISt17integral_constantIbLb0EES11_EEDaSW_SX_EUlSW_E_NS1_11comp_targetILNS1_3genE9ELNS1_11target_archE1100ELNS1_3gpuE3ELNS1_3repE0EEENS1_30default_config_static_selectorELNS0_4arch9wavefront6targetE1EEEvT1_: ; @_ZN7rocprim17ROCPRIM_400000_NS6detail17trampoline_kernelINS0_14default_configENS1_27scan_by_key_config_selectorIiyEEZZNS1_16scan_by_key_implILNS1_25lookback_scan_determinismE0ELb1ES3_N6thrust23THRUST_200600_302600_NS6detail15normal_iteratorINS9_10device_ptrIiEEEENSB_INSC_IyEEEESG_yNS9_4plusIvEENS9_8equal_toIvEEyEE10hipError_tPvRmT2_T3_T4_T5_mT6_T7_P12ihipStream_tbENKUlT_T0_E_clISt17integral_constantIbLb0EES11_EEDaSW_SX_EUlSW_E_NS1_11comp_targetILNS1_3genE9ELNS1_11target_archE1100ELNS1_3gpuE3ELNS1_3repE0EEENS1_30default_config_static_selectorELNS0_4arch9wavefront6targetE1EEEvT1_
; %bb.0:
	.section	.rodata,"a",@progbits
	.p2align	6, 0x0
	.amdhsa_kernel _ZN7rocprim17ROCPRIM_400000_NS6detail17trampoline_kernelINS0_14default_configENS1_27scan_by_key_config_selectorIiyEEZZNS1_16scan_by_key_implILNS1_25lookback_scan_determinismE0ELb1ES3_N6thrust23THRUST_200600_302600_NS6detail15normal_iteratorINS9_10device_ptrIiEEEENSB_INSC_IyEEEESG_yNS9_4plusIvEENS9_8equal_toIvEEyEE10hipError_tPvRmT2_T3_T4_T5_mT6_T7_P12ihipStream_tbENKUlT_T0_E_clISt17integral_constantIbLb0EES11_EEDaSW_SX_EUlSW_E_NS1_11comp_targetILNS1_3genE9ELNS1_11target_archE1100ELNS1_3gpuE3ELNS1_3repE0EEENS1_30default_config_static_selectorELNS0_4arch9wavefront6targetE1EEEvT1_
		.amdhsa_group_segment_fixed_size 0
		.amdhsa_private_segment_fixed_size 0
		.amdhsa_kernarg_size 136
		.amdhsa_user_sgpr_count 6
		.amdhsa_user_sgpr_private_segment_buffer 1
		.amdhsa_user_sgpr_dispatch_ptr 0
		.amdhsa_user_sgpr_queue_ptr 0
		.amdhsa_user_sgpr_kernarg_segment_ptr 1
		.amdhsa_user_sgpr_dispatch_id 0
		.amdhsa_user_sgpr_flat_scratch_init 0
		.amdhsa_user_sgpr_kernarg_preload_length 0
		.amdhsa_user_sgpr_kernarg_preload_offset 0
		.amdhsa_user_sgpr_private_segment_size 0
		.amdhsa_uses_dynamic_stack 0
		.amdhsa_system_sgpr_private_segment_wavefront_offset 0
		.amdhsa_system_sgpr_workgroup_id_x 1
		.amdhsa_system_sgpr_workgroup_id_y 0
		.amdhsa_system_sgpr_workgroup_id_z 0
		.amdhsa_system_sgpr_workgroup_info 0
		.amdhsa_system_vgpr_workitem_id 0
		.amdhsa_next_free_vgpr 1
		.amdhsa_next_free_sgpr 0
		.amdhsa_accum_offset 4
		.amdhsa_reserve_vcc 0
		.amdhsa_reserve_flat_scratch 0
		.amdhsa_float_round_mode_32 0
		.amdhsa_float_round_mode_16_64 0
		.amdhsa_float_denorm_mode_32 3
		.amdhsa_float_denorm_mode_16_64 3
		.amdhsa_dx10_clamp 1
		.amdhsa_ieee_mode 1
		.amdhsa_fp16_overflow 0
		.amdhsa_tg_split 0
		.amdhsa_exception_fp_ieee_invalid_op 0
		.amdhsa_exception_fp_denorm_src 0
		.amdhsa_exception_fp_ieee_div_zero 0
		.amdhsa_exception_fp_ieee_overflow 0
		.amdhsa_exception_fp_ieee_underflow 0
		.amdhsa_exception_fp_ieee_inexact 0
		.amdhsa_exception_int_div_zero 0
	.end_amdhsa_kernel
	.section	.text._ZN7rocprim17ROCPRIM_400000_NS6detail17trampoline_kernelINS0_14default_configENS1_27scan_by_key_config_selectorIiyEEZZNS1_16scan_by_key_implILNS1_25lookback_scan_determinismE0ELb1ES3_N6thrust23THRUST_200600_302600_NS6detail15normal_iteratorINS9_10device_ptrIiEEEENSB_INSC_IyEEEESG_yNS9_4plusIvEENS9_8equal_toIvEEyEE10hipError_tPvRmT2_T3_T4_T5_mT6_T7_P12ihipStream_tbENKUlT_T0_E_clISt17integral_constantIbLb0EES11_EEDaSW_SX_EUlSW_E_NS1_11comp_targetILNS1_3genE9ELNS1_11target_archE1100ELNS1_3gpuE3ELNS1_3repE0EEENS1_30default_config_static_selectorELNS0_4arch9wavefront6targetE1EEEvT1_,"axG",@progbits,_ZN7rocprim17ROCPRIM_400000_NS6detail17trampoline_kernelINS0_14default_configENS1_27scan_by_key_config_selectorIiyEEZZNS1_16scan_by_key_implILNS1_25lookback_scan_determinismE0ELb1ES3_N6thrust23THRUST_200600_302600_NS6detail15normal_iteratorINS9_10device_ptrIiEEEENSB_INSC_IyEEEESG_yNS9_4plusIvEENS9_8equal_toIvEEyEE10hipError_tPvRmT2_T3_T4_T5_mT6_T7_P12ihipStream_tbENKUlT_T0_E_clISt17integral_constantIbLb0EES11_EEDaSW_SX_EUlSW_E_NS1_11comp_targetILNS1_3genE9ELNS1_11target_archE1100ELNS1_3gpuE3ELNS1_3repE0EEENS1_30default_config_static_selectorELNS0_4arch9wavefront6targetE1EEEvT1_,comdat
.Lfunc_end1470:
	.size	_ZN7rocprim17ROCPRIM_400000_NS6detail17trampoline_kernelINS0_14default_configENS1_27scan_by_key_config_selectorIiyEEZZNS1_16scan_by_key_implILNS1_25lookback_scan_determinismE0ELb1ES3_N6thrust23THRUST_200600_302600_NS6detail15normal_iteratorINS9_10device_ptrIiEEEENSB_INSC_IyEEEESG_yNS9_4plusIvEENS9_8equal_toIvEEyEE10hipError_tPvRmT2_T3_T4_T5_mT6_T7_P12ihipStream_tbENKUlT_T0_E_clISt17integral_constantIbLb0EES11_EEDaSW_SX_EUlSW_E_NS1_11comp_targetILNS1_3genE9ELNS1_11target_archE1100ELNS1_3gpuE3ELNS1_3repE0EEENS1_30default_config_static_selectorELNS0_4arch9wavefront6targetE1EEEvT1_, .Lfunc_end1470-_ZN7rocprim17ROCPRIM_400000_NS6detail17trampoline_kernelINS0_14default_configENS1_27scan_by_key_config_selectorIiyEEZZNS1_16scan_by_key_implILNS1_25lookback_scan_determinismE0ELb1ES3_N6thrust23THRUST_200600_302600_NS6detail15normal_iteratorINS9_10device_ptrIiEEEENSB_INSC_IyEEEESG_yNS9_4plusIvEENS9_8equal_toIvEEyEE10hipError_tPvRmT2_T3_T4_T5_mT6_T7_P12ihipStream_tbENKUlT_T0_E_clISt17integral_constantIbLb0EES11_EEDaSW_SX_EUlSW_E_NS1_11comp_targetILNS1_3genE9ELNS1_11target_archE1100ELNS1_3gpuE3ELNS1_3repE0EEENS1_30default_config_static_selectorELNS0_4arch9wavefront6targetE1EEEvT1_
                                        ; -- End function
	.section	.AMDGPU.csdata,"",@progbits
; Kernel info:
; codeLenInByte = 0
; NumSgprs: 4
; NumVgprs: 0
; NumAgprs: 0
; TotalNumVgprs: 0
; ScratchSize: 0
; MemoryBound: 0
; FloatMode: 240
; IeeeMode: 1
; LDSByteSize: 0 bytes/workgroup (compile time only)
; SGPRBlocks: 0
; VGPRBlocks: 0
; NumSGPRsForWavesPerEU: 4
; NumVGPRsForWavesPerEU: 1
; AccumOffset: 4
; Occupancy: 8
; WaveLimiterHint : 0
; COMPUTE_PGM_RSRC2:SCRATCH_EN: 0
; COMPUTE_PGM_RSRC2:USER_SGPR: 6
; COMPUTE_PGM_RSRC2:TRAP_HANDLER: 0
; COMPUTE_PGM_RSRC2:TGID_X_EN: 1
; COMPUTE_PGM_RSRC2:TGID_Y_EN: 0
; COMPUTE_PGM_RSRC2:TGID_Z_EN: 0
; COMPUTE_PGM_RSRC2:TIDIG_COMP_CNT: 0
; COMPUTE_PGM_RSRC3_GFX90A:ACCUM_OFFSET: 0
; COMPUTE_PGM_RSRC3_GFX90A:TG_SPLIT: 0
	.section	.text._ZN7rocprim17ROCPRIM_400000_NS6detail17trampoline_kernelINS0_14default_configENS1_27scan_by_key_config_selectorIiyEEZZNS1_16scan_by_key_implILNS1_25lookback_scan_determinismE0ELb1ES3_N6thrust23THRUST_200600_302600_NS6detail15normal_iteratorINS9_10device_ptrIiEEEENSB_INSC_IyEEEESG_yNS9_4plusIvEENS9_8equal_toIvEEyEE10hipError_tPvRmT2_T3_T4_T5_mT6_T7_P12ihipStream_tbENKUlT_T0_E_clISt17integral_constantIbLb0EES11_EEDaSW_SX_EUlSW_E_NS1_11comp_targetILNS1_3genE8ELNS1_11target_archE1030ELNS1_3gpuE2ELNS1_3repE0EEENS1_30default_config_static_selectorELNS0_4arch9wavefront6targetE1EEEvT1_,"axG",@progbits,_ZN7rocprim17ROCPRIM_400000_NS6detail17trampoline_kernelINS0_14default_configENS1_27scan_by_key_config_selectorIiyEEZZNS1_16scan_by_key_implILNS1_25lookback_scan_determinismE0ELb1ES3_N6thrust23THRUST_200600_302600_NS6detail15normal_iteratorINS9_10device_ptrIiEEEENSB_INSC_IyEEEESG_yNS9_4plusIvEENS9_8equal_toIvEEyEE10hipError_tPvRmT2_T3_T4_T5_mT6_T7_P12ihipStream_tbENKUlT_T0_E_clISt17integral_constantIbLb0EES11_EEDaSW_SX_EUlSW_E_NS1_11comp_targetILNS1_3genE8ELNS1_11target_archE1030ELNS1_3gpuE2ELNS1_3repE0EEENS1_30default_config_static_selectorELNS0_4arch9wavefront6targetE1EEEvT1_,comdat
	.protected	_ZN7rocprim17ROCPRIM_400000_NS6detail17trampoline_kernelINS0_14default_configENS1_27scan_by_key_config_selectorIiyEEZZNS1_16scan_by_key_implILNS1_25lookback_scan_determinismE0ELb1ES3_N6thrust23THRUST_200600_302600_NS6detail15normal_iteratorINS9_10device_ptrIiEEEENSB_INSC_IyEEEESG_yNS9_4plusIvEENS9_8equal_toIvEEyEE10hipError_tPvRmT2_T3_T4_T5_mT6_T7_P12ihipStream_tbENKUlT_T0_E_clISt17integral_constantIbLb0EES11_EEDaSW_SX_EUlSW_E_NS1_11comp_targetILNS1_3genE8ELNS1_11target_archE1030ELNS1_3gpuE2ELNS1_3repE0EEENS1_30default_config_static_selectorELNS0_4arch9wavefront6targetE1EEEvT1_ ; -- Begin function _ZN7rocprim17ROCPRIM_400000_NS6detail17trampoline_kernelINS0_14default_configENS1_27scan_by_key_config_selectorIiyEEZZNS1_16scan_by_key_implILNS1_25lookback_scan_determinismE0ELb1ES3_N6thrust23THRUST_200600_302600_NS6detail15normal_iteratorINS9_10device_ptrIiEEEENSB_INSC_IyEEEESG_yNS9_4plusIvEENS9_8equal_toIvEEyEE10hipError_tPvRmT2_T3_T4_T5_mT6_T7_P12ihipStream_tbENKUlT_T0_E_clISt17integral_constantIbLb0EES11_EEDaSW_SX_EUlSW_E_NS1_11comp_targetILNS1_3genE8ELNS1_11target_archE1030ELNS1_3gpuE2ELNS1_3repE0EEENS1_30default_config_static_selectorELNS0_4arch9wavefront6targetE1EEEvT1_
	.globl	_ZN7rocprim17ROCPRIM_400000_NS6detail17trampoline_kernelINS0_14default_configENS1_27scan_by_key_config_selectorIiyEEZZNS1_16scan_by_key_implILNS1_25lookback_scan_determinismE0ELb1ES3_N6thrust23THRUST_200600_302600_NS6detail15normal_iteratorINS9_10device_ptrIiEEEENSB_INSC_IyEEEESG_yNS9_4plusIvEENS9_8equal_toIvEEyEE10hipError_tPvRmT2_T3_T4_T5_mT6_T7_P12ihipStream_tbENKUlT_T0_E_clISt17integral_constantIbLb0EES11_EEDaSW_SX_EUlSW_E_NS1_11comp_targetILNS1_3genE8ELNS1_11target_archE1030ELNS1_3gpuE2ELNS1_3repE0EEENS1_30default_config_static_selectorELNS0_4arch9wavefront6targetE1EEEvT1_
	.p2align	8
	.type	_ZN7rocprim17ROCPRIM_400000_NS6detail17trampoline_kernelINS0_14default_configENS1_27scan_by_key_config_selectorIiyEEZZNS1_16scan_by_key_implILNS1_25lookback_scan_determinismE0ELb1ES3_N6thrust23THRUST_200600_302600_NS6detail15normal_iteratorINS9_10device_ptrIiEEEENSB_INSC_IyEEEESG_yNS9_4plusIvEENS9_8equal_toIvEEyEE10hipError_tPvRmT2_T3_T4_T5_mT6_T7_P12ihipStream_tbENKUlT_T0_E_clISt17integral_constantIbLb0EES11_EEDaSW_SX_EUlSW_E_NS1_11comp_targetILNS1_3genE8ELNS1_11target_archE1030ELNS1_3gpuE2ELNS1_3repE0EEENS1_30default_config_static_selectorELNS0_4arch9wavefront6targetE1EEEvT1_,@function
_ZN7rocprim17ROCPRIM_400000_NS6detail17trampoline_kernelINS0_14default_configENS1_27scan_by_key_config_selectorIiyEEZZNS1_16scan_by_key_implILNS1_25lookback_scan_determinismE0ELb1ES3_N6thrust23THRUST_200600_302600_NS6detail15normal_iteratorINS9_10device_ptrIiEEEENSB_INSC_IyEEEESG_yNS9_4plusIvEENS9_8equal_toIvEEyEE10hipError_tPvRmT2_T3_T4_T5_mT6_T7_P12ihipStream_tbENKUlT_T0_E_clISt17integral_constantIbLb0EES11_EEDaSW_SX_EUlSW_E_NS1_11comp_targetILNS1_3genE8ELNS1_11target_archE1030ELNS1_3gpuE2ELNS1_3repE0EEENS1_30default_config_static_selectorELNS0_4arch9wavefront6targetE1EEEvT1_: ; @_ZN7rocprim17ROCPRIM_400000_NS6detail17trampoline_kernelINS0_14default_configENS1_27scan_by_key_config_selectorIiyEEZZNS1_16scan_by_key_implILNS1_25lookback_scan_determinismE0ELb1ES3_N6thrust23THRUST_200600_302600_NS6detail15normal_iteratorINS9_10device_ptrIiEEEENSB_INSC_IyEEEESG_yNS9_4plusIvEENS9_8equal_toIvEEyEE10hipError_tPvRmT2_T3_T4_T5_mT6_T7_P12ihipStream_tbENKUlT_T0_E_clISt17integral_constantIbLb0EES11_EEDaSW_SX_EUlSW_E_NS1_11comp_targetILNS1_3genE8ELNS1_11target_archE1030ELNS1_3gpuE2ELNS1_3repE0EEENS1_30default_config_static_selectorELNS0_4arch9wavefront6targetE1EEEvT1_
; %bb.0:
	.section	.rodata,"a",@progbits
	.p2align	6, 0x0
	.amdhsa_kernel _ZN7rocprim17ROCPRIM_400000_NS6detail17trampoline_kernelINS0_14default_configENS1_27scan_by_key_config_selectorIiyEEZZNS1_16scan_by_key_implILNS1_25lookback_scan_determinismE0ELb1ES3_N6thrust23THRUST_200600_302600_NS6detail15normal_iteratorINS9_10device_ptrIiEEEENSB_INSC_IyEEEESG_yNS9_4plusIvEENS9_8equal_toIvEEyEE10hipError_tPvRmT2_T3_T4_T5_mT6_T7_P12ihipStream_tbENKUlT_T0_E_clISt17integral_constantIbLb0EES11_EEDaSW_SX_EUlSW_E_NS1_11comp_targetILNS1_3genE8ELNS1_11target_archE1030ELNS1_3gpuE2ELNS1_3repE0EEENS1_30default_config_static_selectorELNS0_4arch9wavefront6targetE1EEEvT1_
		.amdhsa_group_segment_fixed_size 0
		.amdhsa_private_segment_fixed_size 0
		.amdhsa_kernarg_size 136
		.amdhsa_user_sgpr_count 6
		.amdhsa_user_sgpr_private_segment_buffer 1
		.amdhsa_user_sgpr_dispatch_ptr 0
		.amdhsa_user_sgpr_queue_ptr 0
		.amdhsa_user_sgpr_kernarg_segment_ptr 1
		.amdhsa_user_sgpr_dispatch_id 0
		.amdhsa_user_sgpr_flat_scratch_init 0
		.amdhsa_user_sgpr_kernarg_preload_length 0
		.amdhsa_user_sgpr_kernarg_preload_offset 0
		.amdhsa_user_sgpr_private_segment_size 0
		.amdhsa_uses_dynamic_stack 0
		.amdhsa_system_sgpr_private_segment_wavefront_offset 0
		.amdhsa_system_sgpr_workgroup_id_x 1
		.amdhsa_system_sgpr_workgroup_id_y 0
		.amdhsa_system_sgpr_workgroup_id_z 0
		.amdhsa_system_sgpr_workgroup_info 0
		.amdhsa_system_vgpr_workitem_id 0
		.amdhsa_next_free_vgpr 1
		.amdhsa_next_free_sgpr 0
		.amdhsa_accum_offset 4
		.amdhsa_reserve_vcc 0
		.amdhsa_reserve_flat_scratch 0
		.amdhsa_float_round_mode_32 0
		.amdhsa_float_round_mode_16_64 0
		.amdhsa_float_denorm_mode_32 3
		.amdhsa_float_denorm_mode_16_64 3
		.amdhsa_dx10_clamp 1
		.amdhsa_ieee_mode 1
		.amdhsa_fp16_overflow 0
		.amdhsa_tg_split 0
		.amdhsa_exception_fp_ieee_invalid_op 0
		.amdhsa_exception_fp_denorm_src 0
		.amdhsa_exception_fp_ieee_div_zero 0
		.amdhsa_exception_fp_ieee_overflow 0
		.amdhsa_exception_fp_ieee_underflow 0
		.amdhsa_exception_fp_ieee_inexact 0
		.amdhsa_exception_int_div_zero 0
	.end_amdhsa_kernel
	.section	.text._ZN7rocprim17ROCPRIM_400000_NS6detail17trampoline_kernelINS0_14default_configENS1_27scan_by_key_config_selectorIiyEEZZNS1_16scan_by_key_implILNS1_25lookback_scan_determinismE0ELb1ES3_N6thrust23THRUST_200600_302600_NS6detail15normal_iteratorINS9_10device_ptrIiEEEENSB_INSC_IyEEEESG_yNS9_4plusIvEENS9_8equal_toIvEEyEE10hipError_tPvRmT2_T3_T4_T5_mT6_T7_P12ihipStream_tbENKUlT_T0_E_clISt17integral_constantIbLb0EES11_EEDaSW_SX_EUlSW_E_NS1_11comp_targetILNS1_3genE8ELNS1_11target_archE1030ELNS1_3gpuE2ELNS1_3repE0EEENS1_30default_config_static_selectorELNS0_4arch9wavefront6targetE1EEEvT1_,"axG",@progbits,_ZN7rocprim17ROCPRIM_400000_NS6detail17trampoline_kernelINS0_14default_configENS1_27scan_by_key_config_selectorIiyEEZZNS1_16scan_by_key_implILNS1_25lookback_scan_determinismE0ELb1ES3_N6thrust23THRUST_200600_302600_NS6detail15normal_iteratorINS9_10device_ptrIiEEEENSB_INSC_IyEEEESG_yNS9_4plusIvEENS9_8equal_toIvEEyEE10hipError_tPvRmT2_T3_T4_T5_mT6_T7_P12ihipStream_tbENKUlT_T0_E_clISt17integral_constantIbLb0EES11_EEDaSW_SX_EUlSW_E_NS1_11comp_targetILNS1_3genE8ELNS1_11target_archE1030ELNS1_3gpuE2ELNS1_3repE0EEENS1_30default_config_static_selectorELNS0_4arch9wavefront6targetE1EEEvT1_,comdat
.Lfunc_end1471:
	.size	_ZN7rocprim17ROCPRIM_400000_NS6detail17trampoline_kernelINS0_14default_configENS1_27scan_by_key_config_selectorIiyEEZZNS1_16scan_by_key_implILNS1_25lookback_scan_determinismE0ELb1ES3_N6thrust23THRUST_200600_302600_NS6detail15normal_iteratorINS9_10device_ptrIiEEEENSB_INSC_IyEEEESG_yNS9_4plusIvEENS9_8equal_toIvEEyEE10hipError_tPvRmT2_T3_T4_T5_mT6_T7_P12ihipStream_tbENKUlT_T0_E_clISt17integral_constantIbLb0EES11_EEDaSW_SX_EUlSW_E_NS1_11comp_targetILNS1_3genE8ELNS1_11target_archE1030ELNS1_3gpuE2ELNS1_3repE0EEENS1_30default_config_static_selectorELNS0_4arch9wavefront6targetE1EEEvT1_, .Lfunc_end1471-_ZN7rocprim17ROCPRIM_400000_NS6detail17trampoline_kernelINS0_14default_configENS1_27scan_by_key_config_selectorIiyEEZZNS1_16scan_by_key_implILNS1_25lookback_scan_determinismE0ELb1ES3_N6thrust23THRUST_200600_302600_NS6detail15normal_iteratorINS9_10device_ptrIiEEEENSB_INSC_IyEEEESG_yNS9_4plusIvEENS9_8equal_toIvEEyEE10hipError_tPvRmT2_T3_T4_T5_mT6_T7_P12ihipStream_tbENKUlT_T0_E_clISt17integral_constantIbLb0EES11_EEDaSW_SX_EUlSW_E_NS1_11comp_targetILNS1_3genE8ELNS1_11target_archE1030ELNS1_3gpuE2ELNS1_3repE0EEENS1_30default_config_static_selectorELNS0_4arch9wavefront6targetE1EEEvT1_
                                        ; -- End function
	.section	.AMDGPU.csdata,"",@progbits
; Kernel info:
; codeLenInByte = 0
; NumSgprs: 4
; NumVgprs: 0
; NumAgprs: 0
; TotalNumVgprs: 0
; ScratchSize: 0
; MemoryBound: 0
; FloatMode: 240
; IeeeMode: 1
; LDSByteSize: 0 bytes/workgroup (compile time only)
; SGPRBlocks: 0
; VGPRBlocks: 0
; NumSGPRsForWavesPerEU: 4
; NumVGPRsForWavesPerEU: 1
; AccumOffset: 4
; Occupancy: 8
; WaveLimiterHint : 0
; COMPUTE_PGM_RSRC2:SCRATCH_EN: 0
; COMPUTE_PGM_RSRC2:USER_SGPR: 6
; COMPUTE_PGM_RSRC2:TRAP_HANDLER: 0
; COMPUTE_PGM_RSRC2:TGID_X_EN: 1
; COMPUTE_PGM_RSRC2:TGID_Y_EN: 0
; COMPUTE_PGM_RSRC2:TGID_Z_EN: 0
; COMPUTE_PGM_RSRC2:TIDIG_COMP_CNT: 0
; COMPUTE_PGM_RSRC3_GFX90A:ACCUM_OFFSET: 0
; COMPUTE_PGM_RSRC3_GFX90A:TG_SPLIT: 0
	.section	.text._ZN7rocprim17ROCPRIM_400000_NS6detail17trampoline_kernelINS0_14default_configENS1_27scan_by_key_config_selectorIiyEEZZNS1_16scan_by_key_implILNS1_25lookback_scan_determinismE0ELb1ES3_N6thrust23THRUST_200600_302600_NS6detail15normal_iteratorINS9_10device_ptrIiEEEENSB_INSC_IyEEEESG_yNS9_4plusIvEENS9_8equal_toIvEEyEE10hipError_tPvRmT2_T3_T4_T5_mT6_T7_P12ihipStream_tbENKUlT_T0_E_clISt17integral_constantIbLb1EES11_EEDaSW_SX_EUlSW_E_NS1_11comp_targetILNS1_3genE0ELNS1_11target_archE4294967295ELNS1_3gpuE0ELNS1_3repE0EEENS1_30default_config_static_selectorELNS0_4arch9wavefront6targetE1EEEvT1_,"axG",@progbits,_ZN7rocprim17ROCPRIM_400000_NS6detail17trampoline_kernelINS0_14default_configENS1_27scan_by_key_config_selectorIiyEEZZNS1_16scan_by_key_implILNS1_25lookback_scan_determinismE0ELb1ES3_N6thrust23THRUST_200600_302600_NS6detail15normal_iteratorINS9_10device_ptrIiEEEENSB_INSC_IyEEEESG_yNS9_4plusIvEENS9_8equal_toIvEEyEE10hipError_tPvRmT2_T3_T4_T5_mT6_T7_P12ihipStream_tbENKUlT_T0_E_clISt17integral_constantIbLb1EES11_EEDaSW_SX_EUlSW_E_NS1_11comp_targetILNS1_3genE0ELNS1_11target_archE4294967295ELNS1_3gpuE0ELNS1_3repE0EEENS1_30default_config_static_selectorELNS0_4arch9wavefront6targetE1EEEvT1_,comdat
	.protected	_ZN7rocprim17ROCPRIM_400000_NS6detail17trampoline_kernelINS0_14default_configENS1_27scan_by_key_config_selectorIiyEEZZNS1_16scan_by_key_implILNS1_25lookback_scan_determinismE0ELb1ES3_N6thrust23THRUST_200600_302600_NS6detail15normal_iteratorINS9_10device_ptrIiEEEENSB_INSC_IyEEEESG_yNS9_4plusIvEENS9_8equal_toIvEEyEE10hipError_tPvRmT2_T3_T4_T5_mT6_T7_P12ihipStream_tbENKUlT_T0_E_clISt17integral_constantIbLb1EES11_EEDaSW_SX_EUlSW_E_NS1_11comp_targetILNS1_3genE0ELNS1_11target_archE4294967295ELNS1_3gpuE0ELNS1_3repE0EEENS1_30default_config_static_selectorELNS0_4arch9wavefront6targetE1EEEvT1_ ; -- Begin function _ZN7rocprim17ROCPRIM_400000_NS6detail17trampoline_kernelINS0_14default_configENS1_27scan_by_key_config_selectorIiyEEZZNS1_16scan_by_key_implILNS1_25lookback_scan_determinismE0ELb1ES3_N6thrust23THRUST_200600_302600_NS6detail15normal_iteratorINS9_10device_ptrIiEEEENSB_INSC_IyEEEESG_yNS9_4plusIvEENS9_8equal_toIvEEyEE10hipError_tPvRmT2_T3_T4_T5_mT6_T7_P12ihipStream_tbENKUlT_T0_E_clISt17integral_constantIbLb1EES11_EEDaSW_SX_EUlSW_E_NS1_11comp_targetILNS1_3genE0ELNS1_11target_archE4294967295ELNS1_3gpuE0ELNS1_3repE0EEENS1_30default_config_static_selectorELNS0_4arch9wavefront6targetE1EEEvT1_
	.globl	_ZN7rocprim17ROCPRIM_400000_NS6detail17trampoline_kernelINS0_14default_configENS1_27scan_by_key_config_selectorIiyEEZZNS1_16scan_by_key_implILNS1_25lookback_scan_determinismE0ELb1ES3_N6thrust23THRUST_200600_302600_NS6detail15normal_iteratorINS9_10device_ptrIiEEEENSB_INSC_IyEEEESG_yNS9_4plusIvEENS9_8equal_toIvEEyEE10hipError_tPvRmT2_T3_T4_T5_mT6_T7_P12ihipStream_tbENKUlT_T0_E_clISt17integral_constantIbLb1EES11_EEDaSW_SX_EUlSW_E_NS1_11comp_targetILNS1_3genE0ELNS1_11target_archE4294967295ELNS1_3gpuE0ELNS1_3repE0EEENS1_30default_config_static_selectorELNS0_4arch9wavefront6targetE1EEEvT1_
	.p2align	8
	.type	_ZN7rocprim17ROCPRIM_400000_NS6detail17trampoline_kernelINS0_14default_configENS1_27scan_by_key_config_selectorIiyEEZZNS1_16scan_by_key_implILNS1_25lookback_scan_determinismE0ELb1ES3_N6thrust23THRUST_200600_302600_NS6detail15normal_iteratorINS9_10device_ptrIiEEEENSB_INSC_IyEEEESG_yNS9_4plusIvEENS9_8equal_toIvEEyEE10hipError_tPvRmT2_T3_T4_T5_mT6_T7_P12ihipStream_tbENKUlT_T0_E_clISt17integral_constantIbLb1EES11_EEDaSW_SX_EUlSW_E_NS1_11comp_targetILNS1_3genE0ELNS1_11target_archE4294967295ELNS1_3gpuE0ELNS1_3repE0EEENS1_30default_config_static_selectorELNS0_4arch9wavefront6targetE1EEEvT1_,@function
_ZN7rocprim17ROCPRIM_400000_NS6detail17trampoline_kernelINS0_14default_configENS1_27scan_by_key_config_selectorIiyEEZZNS1_16scan_by_key_implILNS1_25lookback_scan_determinismE0ELb1ES3_N6thrust23THRUST_200600_302600_NS6detail15normal_iteratorINS9_10device_ptrIiEEEENSB_INSC_IyEEEESG_yNS9_4plusIvEENS9_8equal_toIvEEyEE10hipError_tPvRmT2_T3_T4_T5_mT6_T7_P12ihipStream_tbENKUlT_T0_E_clISt17integral_constantIbLb1EES11_EEDaSW_SX_EUlSW_E_NS1_11comp_targetILNS1_3genE0ELNS1_11target_archE4294967295ELNS1_3gpuE0ELNS1_3repE0EEENS1_30default_config_static_selectorELNS0_4arch9wavefront6targetE1EEEvT1_: ; @_ZN7rocprim17ROCPRIM_400000_NS6detail17trampoline_kernelINS0_14default_configENS1_27scan_by_key_config_selectorIiyEEZZNS1_16scan_by_key_implILNS1_25lookback_scan_determinismE0ELb1ES3_N6thrust23THRUST_200600_302600_NS6detail15normal_iteratorINS9_10device_ptrIiEEEENSB_INSC_IyEEEESG_yNS9_4plusIvEENS9_8equal_toIvEEyEE10hipError_tPvRmT2_T3_T4_T5_mT6_T7_P12ihipStream_tbENKUlT_T0_E_clISt17integral_constantIbLb1EES11_EEDaSW_SX_EUlSW_E_NS1_11comp_targetILNS1_3genE0ELNS1_11target_archE4294967295ELNS1_3gpuE0ELNS1_3repE0EEENS1_30default_config_static_selectorELNS0_4arch9wavefront6targetE1EEEvT1_
; %bb.0:
	.section	.rodata,"a",@progbits
	.p2align	6, 0x0
	.amdhsa_kernel _ZN7rocprim17ROCPRIM_400000_NS6detail17trampoline_kernelINS0_14default_configENS1_27scan_by_key_config_selectorIiyEEZZNS1_16scan_by_key_implILNS1_25lookback_scan_determinismE0ELb1ES3_N6thrust23THRUST_200600_302600_NS6detail15normal_iteratorINS9_10device_ptrIiEEEENSB_INSC_IyEEEESG_yNS9_4plusIvEENS9_8equal_toIvEEyEE10hipError_tPvRmT2_T3_T4_T5_mT6_T7_P12ihipStream_tbENKUlT_T0_E_clISt17integral_constantIbLb1EES11_EEDaSW_SX_EUlSW_E_NS1_11comp_targetILNS1_3genE0ELNS1_11target_archE4294967295ELNS1_3gpuE0ELNS1_3repE0EEENS1_30default_config_static_selectorELNS0_4arch9wavefront6targetE1EEEvT1_
		.amdhsa_group_segment_fixed_size 0
		.amdhsa_private_segment_fixed_size 0
		.amdhsa_kernarg_size 136
		.amdhsa_user_sgpr_count 6
		.amdhsa_user_sgpr_private_segment_buffer 1
		.amdhsa_user_sgpr_dispatch_ptr 0
		.amdhsa_user_sgpr_queue_ptr 0
		.amdhsa_user_sgpr_kernarg_segment_ptr 1
		.amdhsa_user_sgpr_dispatch_id 0
		.amdhsa_user_sgpr_flat_scratch_init 0
		.amdhsa_user_sgpr_kernarg_preload_length 0
		.amdhsa_user_sgpr_kernarg_preload_offset 0
		.amdhsa_user_sgpr_private_segment_size 0
		.amdhsa_uses_dynamic_stack 0
		.amdhsa_system_sgpr_private_segment_wavefront_offset 0
		.amdhsa_system_sgpr_workgroup_id_x 1
		.amdhsa_system_sgpr_workgroup_id_y 0
		.amdhsa_system_sgpr_workgroup_id_z 0
		.amdhsa_system_sgpr_workgroup_info 0
		.amdhsa_system_vgpr_workitem_id 0
		.amdhsa_next_free_vgpr 1
		.amdhsa_next_free_sgpr 0
		.amdhsa_accum_offset 4
		.amdhsa_reserve_vcc 0
		.amdhsa_reserve_flat_scratch 0
		.amdhsa_float_round_mode_32 0
		.amdhsa_float_round_mode_16_64 0
		.amdhsa_float_denorm_mode_32 3
		.amdhsa_float_denorm_mode_16_64 3
		.amdhsa_dx10_clamp 1
		.amdhsa_ieee_mode 1
		.amdhsa_fp16_overflow 0
		.amdhsa_tg_split 0
		.amdhsa_exception_fp_ieee_invalid_op 0
		.amdhsa_exception_fp_denorm_src 0
		.amdhsa_exception_fp_ieee_div_zero 0
		.amdhsa_exception_fp_ieee_overflow 0
		.amdhsa_exception_fp_ieee_underflow 0
		.amdhsa_exception_fp_ieee_inexact 0
		.amdhsa_exception_int_div_zero 0
	.end_amdhsa_kernel
	.section	.text._ZN7rocprim17ROCPRIM_400000_NS6detail17trampoline_kernelINS0_14default_configENS1_27scan_by_key_config_selectorIiyEEZZNS1_16scan_by_key_implILNS1_25lookback_scan_determinismE0ELb1ES3_N6thrust23THRUST_200600_302600_NS6detail15normal_iteratorINS9_10device_ptrIiEEEENSB_INSC_IyEEEESG_yNS9_4plusIvEENS9_8equal_toIvEEyEE10hipError_tPvRmT2_T3_T4_T5_mT6_T7_P12ihipStream_tbENKUlT_T0_E_clISt17integral_constantIbLb1EES11_EEDaSW_SX_EUlSW_E_NS1_11comp_targetILNS1_3genE0ELNS1_11target_archE4294967295ELNS1_3gpuE0ELNS1_3repE0EEENS1_30default_config_static_selectorELNS0_4arch9wavefront6targetE1EEEvT1_,"axG",@progbits,_ZN7rocprim17ROCPRIM_400000_NS6detail17trampoline_kernelINS0_14default_configENS1_27scan_by_key_config_selectorIiyEEZZNS1_16scan_by_key_implILNS1_25lookback_scan_determinismE0ELb1ES3_N6thrust23THRUST_200600_302600_NS6detail15normal_iteratorINS9_10device_ptrIiEEEENSB_INSC_IyEEEESG_yNS9_4plusIvEENS9_8equal_toIvEEyEE10hipError_tPvRmT2_T3_T4_T5_mT6_T7_P12ihipStream_tbENKUlT_T0_E_clISt17integral_constantIbLb1EES11_EEDaSW_SX_EUlSW_E_NS1_11comp_targetILNS1_3genE0ELNS1_11target_archE4294967295ELNS1_3gpuE0ELNS1_3repE0EEENS1_30default_config_static_selectorELNS0_4arch9wavefront6targetE1EEEvT1_,comdat
.Lfunc_end1472:
	.size	_ZN7rocprim17ROCPRIM_400000_NS6detail17trampoline_kernelINS0_14default_configENS1_27scan_by_key_config_selectorIiyEEZZNS1_16scan_by_key_implILNS1_25lookback_scan_determinismE0ELb1ES3_N6thrust23THRUST_200600_302600_NS6detail15normal_iteratorINS9_10device_ptrIiEEEENSB_INSC_IyEEEESG_yNS9_4plusIvEENS9_8equal_toIvEEyEE10hipError_tPvRmT2_T3_T4_T5_mT6_T7_P12ihipStream_tbENKUlT_T0_E_clISt17integral_constantIbLb1EES11_EEDaSW_SX_EUlSW_E_NS1_11comp_targetILNS1_3genE0ELNS1_11target_archE4294967295ELNS1_3gpuE0ELNS1_3repE0EEENS1_30default_config_static_selectorELNS0_4arch9wavefront6targetE1EEEvT1_, .Lfunc_end1472-_ZN7rocprim17ROCPRIM_400000_NS6detail17trampoline_kernelINS0_14default_configENS1_27scan_by_key_config_selectorIiyEEZZNS1_16scan_by_key_implILNS1_25lookback_scan_determinismE0ELb1ES3_N6thrust23THRUST_200600_302600_NS6detail15normal_iteratorINS9_10device_ptrIiEEEENSB_INSC_IyEEEESG_yNS9_4plusIvEENS9_8equal_toIvEEyEE10hipError_tPvRmT2_T3_T4_T5_mT6_T7_P12ihipStream_tbENKUlT_T0_E_clISt17integral_constantIbLb1EES11_EEDaSW_SX_EUlSW_E_NS1_11comp_targetILNS1_3genE0ELNS1_11target_archE4294967295ELNS1_3gpuE0ELNS1_3repE0EEENS1_30default_config_static_selectorELNS0_4arch9wavefront6targetE1EEEvT1_
                                        ; -- End function
	.section	.AMDGPU.csdata,"",@progbits
; Kernel info:
; codeLenInByte = 0
; NumSgprs: 4
; NumVgprs: 0
; NumAgprs: 0
; TotalNumVgprs: 0
; ScratchSize: 0
; MemoryBound: 0
; FloatMode: 240
; IeeeMode: 1
; LDSByteSize: 0 bytes/workgroup (compile time only)
; SGPRBlocks: 0
; VGPRBlocks: 0
; NumSGPRsForWavesPerEU: 4
; NumVGPRsForWavesPerEU: 1
; AccumOffset: 4
; Occupancy: 8
; WaveLimiterHint : 0
; COMPUTE_PGM_RSRC2:SCRATCH_EN: 0
; COMPUTE_PGM_RSRC2:USER_SGPR: 6
; COMPUTE_PGM_RSRC2:TRAP_HANDLER: 0
; COMPUTE_PGM_RSRC2:TGID_X_EN: 1
; COMPUTE_PGM_RSRC2:TGID_Y_EN: 0
; COMPUTE_PGM_RSRC2:TGID_Z_EN: 0
; COMPUTE_PGM_RSRC2:TIDIG_COMP_CNT: 0
; COMPUTE_PGM_RSRC3_GFX90A:ACCUM_OFFSET: 0
; COMPUTE_PGM_RSRC3_GFX90A:TG_SPLIT: 0
	.section	.text._ZN7rocprim17ROCPRIM_400000_NS6detail17trampoline_kernelINS0_14default_configENS1_27scan_by_key_config_selectorIiyEEZZNS1_16scan_by_key_implILNS1_25lookback_scan_determinismE0ELb1ES3_N6thrust23THRUST_200600_302600_NS6detail15normal_iteratorINS9_10device_ptrIiEEEENSB_INSC_IyEEEESG_yNS9_4plusIvEENS9_8equal_toIvEEyEE10hipError_tPvRmT2_T3_T4_T5_mT6_T7_P12ihipStream_tbENKUlT_T0_E_clISt17integral_constantIbLb1EES11_EEDaSW_SX_EUlSW_E_NS1_11comp_targetILNS1_3genE10ELNS1_11target_archE1201ELNS1_3gpuE5ELNS1_3repE0EEENS1_30default_config_static_selectorELNS0_4arch9wavefront6targetE1EEEvT1_,"axG",@progbits,_ZN7rocprim17ROCPRIM_400000_NS6detail17trampoline_kernelINS0_14default_configENS1_27scan_by_key_config_selectorIiyEEZZNS1_16scan_by_key_implILNS1_25lookback_scan_determinismE0ELb1ES3_N6thrust23THRUST_200600_302600_NS6detail15normal_iteratorINS9_10device_ptrIiEEEENSB_INSC_IyEEEESG_yNS9_4plusIvEENS9_8equal_toIvEEyEE10hipError_tPvRmT2_T3_T4_T5_mT6_T7_P12ihipStream_tbENKUlT_T0_E_clISt17integral_constantIbLb1EES11_EEDaSW_SX_EUlSW_E_NS1_11comp_targetILNS1_3genE10ELNS1_11target_archE1201ELNS1_3gpuE5ELNS1_3repE0EEENS1_30default_config_static_selectorELNS0_4arch9wavefront6targetE1EEEvT1_,comdat
	.protected	_ZN7rocprim17ROCPRIM_400000_NS6detail17trampoline_kernelINS0_14default_configENS1_27scan_by_key_config_selectorIiyEEZZNS1_16scan_by_key_implILNS1_25lookback_scan_determinismE0ELb1ES3_N6thrust23THRUST_200600_302600_NS6detail15normal_iteratorINS9_10device_ptrIiEEEENSB_INSC_IyEEEESG_yNS9_4plusIvEENS9_8equal_toIvEEyEE10hipError_tPvRmT2_T3_T4_T5_mT6_T7_P12ihipStream_tbENKUlT_T0_E_clISt17integral_constantIbLb1EES11_EEDaSW_SX_EUlSW_E_NS1_11comp_targetILNS1_3genE10ELNS1_11target_archE1201ELNS1_3gpuE5ELNS1_3repE0EEENS1_30default_config_static_selectorELNS0_4arch9wavefront6targetE1EEEvT1_ ; -- Begin function _ZN7rocprim17ROCPRIM_400000_NS6detail17trampoline_kernelINS0_14default_configENS1_27scan_by_key_config_selectorIiyEEZZNS1_16scan_by_key_implILNS1_25lookback_scan_determinismE0ELb1ES3_N6thrust23THRUST_200600_302600_NS6detail15normal_iteratorINS9_10device_ptrIiEEEENSB_INSC_IyEEEESG_yNS9_4plusIvEENS9_8equal_toIvEEyEE10hipError_tPvRmT2_T3_T4_T5_mT6_T7_P12ihipStream_tbENKUlT_T0_E_clISt17integral_constantIbLb1EES11_EEDaSW_SX_EUlSW_E_NS1_11comp_targetILNS1_3genE10ELNS1_11target_archE1201ELNS1_3gpuE5ELNS1_3repE0EEENS1_30default_config_static_selectorELNS0_4arch9wavefront6targetE1EEEvT1_
	.globl	_ZN7rocprim17ROCPRIM_400000_NS6detail17trampoline_kernelINS0_14default_configENS1_27scan_by_key_config_selectorIiyEEZZNS1_16scan_by_key_implILNS1_25lookback_scan_determinismE0ELb1ES3_N6thrust23THRUST_200600_302600_NS6detail15normal_iteratorINS9_10device_ptrIiEEEENSB_INSC_IyEEEESG_yNS9_4plusIvEENS9_8equal_toIvEEyEE10hipError_tPvRmT2_T3_T4_T5_mT6_T7_P12ihipStream_tbENKUlT_T0_E_clISt17integral_constantIbLb1EES11_EEDaSW_SX_EUlSW_E_NS1_11comp_targetILNS1_3genE10ELNS1_11target_archE1201ELNS1_3gpuE5ELNS1_3repE0EEENS1_30default_config_static_selectorELNS0_4arch9wavefront6targetE1EEEvT1_
	.p2align	8
	.type	_ZN7rocprim17ROCPRIM_400000_NS6detail17trampoline_kernelINS0_14default_configENS1_27scan_by_key_config_selectorIiyEEZZNS1_16scan_by_key_implILNS1_25lookback_scan_determinismE0ELb1ES3_N6thrust23THRUST_200600_302600_NS6detail15normal_iteratorINS9_10device_ptrIiEEEENSB_INSC_IyEEEESG_yNS9_4plusIvEENS9_8equal_toIvEEyEE10hipError_tPvRmT2_T3_T4_T5_mT6_T7_P12ihipStream_tbENKUlT_T0_E_clISt17integral_constantIbLb1EES11_EEDaSW_SX_EUlSW_E_NS1_11comp_targetILNS1_3genE10ELNS1_11target_archE1201ELNS1_3gpuE5ELNS1_3repE0EEENS1_30default_config_static_selectorELNS0_4arch9wavefront6targetE1EEEvT1_,@function
_ZN7rocprim17ROCPRIM_400000_NS6detail17trampoline_kernelINS0_14default_configENS1_27scan_by_key_config_selectorIiyEEZZNS1_16scan_by_key_implILNS1_25lookback_scan_determinismE0ELb1ES3_N6thrust23THRUST_200600_302600_NS6detail15normal_iteratorINS9_10device_ptrIiEEEENSB_INSC_IyEEEESG_yNS9_4plusIvEENS9_8equal_toIvEEyEE10hipError_tPvRmT2_T3_T4_T5_mT6_T7_P12ihipStream_tbENKUlT_T0_E_clISt17integral_constantIbLb1EES11_EEDaSW_SX_EUlSW_E_NS1_11comp_targetILNS1_3genE10ELNS1_11target_archE1201ELNS1_3gpuE5ELNS1_3repE0EEENS1_30default_config_static_selectorELNS0_4arch9wavefront6targetE1EEEvT1_: ; @_ZN7rocprim17ROCPRIM_400000_NS6detail17trampoline_kernelINS0_14default_configENS1_27scan_by_key_config_selectorIiyEEZZNS1_16scan_by_key_implILNS1_25lookback_scan_determinismE0ELb1ES3_N6thrust23THRUST_200600_302600_NS6detail15normal_iteratorINS9_10device_ptrIiEEEENSB_INSC_IyEEEESG_yNS9_4plusIvEENS9_8equal_toIvEEyEE10hipError_tPvRmT2_T3_T4_T5_mT6_T7_P12ihipStream_tbENKUlT_T0_E_clISt17integral_constantIbLb1EES11_EEDaSW_SX_EUlSW_E_NS1_11comp_targetILNS1_3genE10ELNS1_11target_archE1201ELNS1_3gpuE5ELNS1_3repE0EEENS1_30default_config_static_selectorELNS0_4arch9wavefront6targetE1EEEvT1_
; %bb.0:
	.section	.rodata,"a",@progbits
	.p2align	6, 0x0
	.amdhsa_kernel _ZN7rocprim17ROCPRIM_400000_NS6detail17trampoline_kernelINS0_14default_configENS1_27scan_by_key_config_selectorIiyEEZZNS1_16scan_by_key_implILNS1_25lookback_scan_determinismE0ELb1ES3_N6thrust23THRUST_200600_302600_NS6detail15normal_iteratorINS9_10device_ptrIiEEEENSB_INSC_IyEEEESG_yNS9_4plusIvEENS9_8equal_toIvEEyEE10hipError_tPvRmT2_T3_T4_T5_mT6_T7_P12ihipStream_tbENKUlT_T0_E_clISt17integral_constantIbLb1EES11_EEDaSW_SX_EUlSW_E_NS1_11comp_targetILNS1_3genE10ELNS1_11target_archE1201ELNS1_3gpuE5ELNS1_3repE0EEENS1_30default_config_static_selectorELNS0_4arch9wavefront6targetE1EEEvT1_
		.amdhsa_group_segment_fixed_size 0
		.amdhsa_private_segment_fixed_size 0
		.amdhsa_kernarg_size 136
		.amdhsa_user_sgpr_count 6
		.amdhsa_user_sgpr_private_segment_buffer 1
		.amdhsa_user_sgpr_dispatch_ptr 0
		.amdhsa_user_sgpr_queue_ptr 0
		.amdhsa_user_sgpr_kernarg_segment_ptr 1
		.amdhsa_user_sgpr_dispatch_id 0
		.amdhsa_user_sgpr_flat_scratch_init 0
		.amdhsa_user_sgpr_kernarg_preload_length 0
		.amdhsa_user_sgpr_kernarg_preload_offset 0
		.amdhsa_user_sgpr_private_segment_size 0
		.amdhsa_uses_dynamic_stack 0
		.amdhsa_system_sgpr_private_segment_wavefront_offset 0
		.amdhsa_system_sgpr_workgroup_id_x 1
		.amdhsa_system_sgpr_workgroup_id_y 0
		.amdhsa_system_sgpr_workgroup_id_z 0
		.amdhsa_system_sgpr_workgroup_info 0
		.amdhsa_system_vgpr_workitem_id 0
		.amdhsa_next_free_vgpr 1
		.amdhsa_next_free_sgpr 0
		.amdhsa_accum_offset 4
		.amdhsa_reserve_vcc 0
		.amdhsa_reserve_flat_scratch 0
		.amdhsa_float_round_mode_32 0
		.amdhsa_float_round_mode_16_64 0
		.amdhsa_float_denorm_mode_32 3
		.amdhsa_float_denorm_mode_16_64 3
		.amdhsa_dx10_clamp 1
		.amdhsa_ieee_mode 1
		.amdhsa_fp16_overflow 0
		.amdhsa_tg_split 0
		.amdhsa_exception_fp_ieee_invalid_op 0
		.amdhsa_exception_fp_denorm_src 0
		.amdhsa_exception_fp_ieee_div_zero 0
		.amdhsa_exception_fp_ieee_overflow 0
		.amdhsa_exception_fp_ieee_underflow 0
		.amdhsa_exception_fp_ieee_inexact 0
		.amdhsa_exception_int_div_zero 0
	.end_amdhsa_kernel
	.section	.text._ZN7rocprim17ROCPRIM_400000_NS6detail17trampoline_kernelINS0_14default_configENS1_27scan_by_key_config_selectorIiyEEZZNS1_16scan_by_key_implILNS1_25lookback_scan_determinismE0ELb1ES3_N6thrust23THRUST_200600_302600_NS6detail15normal_iteratorINS9_10device_ptrIiEEEENSB_INSC_IyEEEESG_yNS9_4plusIvEENS9_8equal_toIvEEyEE10hipError_tPvRmT2_T3_T4_T5_mT6_T7_P12ihipStream_tbENKUlT_T0_E_clISt17integral_constantIbLb1EES11_EEDaSW_SX_EUlSW_E_NS1_11comp_targetILNS1_3genE10ELNS1_11target_archE1201ELNS1_3gpuE5ELNS1_3repE0EEENS1_30default_config_static_selectorELNS0_4arch9wavefront6targetE1EEEvT1_,"axG",@progbits,_ZN7rocprim17ROCPRIM_400000_NS6detail17trampoline_kernelINS0_14default_configENS1_27scan_by_key_config_selectorIiyEEZZNS1_16scan_by_key_implILNS1_25lookback_scan_determinismE0ELb1ES3_N6thrust23THRUST_200600_302600_NS6detail15normal_iteratorINS9_10device_ptrIiEEEENSB_INSC_IyEEEESG_yNS9_4plusIvEENS9_8equal_toIvEEyEE10hipError_tPvRmT2_T3_T4_T5_mT6_T7_P12ihipStream_tbENKUlT_T0_E_clISt17integral_constantIbLb1EES11_EEDaSW_SX_EUlSW_E_NS1_11comp_targetILNS1_3genE10ELNS1_11target_archE1201ELNS1_3gpuE5ELNS1_3repE0EEENS1_30default_config_static_selectorELNS0_4arch9wavefront6targetE1EEEvT1_,comdat
.Lfunc_end1473:
	.size	_ZN7rocprim17ROCPRIM_400000_NS6detail17trampoline_kernelINS0_14default_configENS1_27scan_by_key_config_selectorIiyEEZZNS1_16scan_by_key_implILNS1_25lookback_scan_determinismE0ELb1ES3_N6thrust23THRUST_200600_302600_NS6detail15normal_iteratorINS9_10device_ptrIiEEEENSB_INSC_IyEEEESG_yNS9_4plusIvEENS9_8equal_toIvEEyEE10hipError_tPvRmT2_T3_T4_T5_mT6_T7_P12ihipStream_tbENKUlT_T0_E_clISt17integral_constantIbLb1EES11_EEDaSW_SX_EUlSW_E_NS1_11comp_targetILNS1_3genE10ELNS1_11target_archE1201ELNS1_3gpuE5ELNS1_3repE0EEENS1_30default_config_static_selectorELNS0_4arch9wavefront6targetE1EEEvT1_, .Lfunc_end1473-_ZN7rocprim17ROCPRIM_400000_NS6detail17trampoline_kernelINS0_14default_configENS1_27scan_by_key_config_selectorIiyEEZZNS1_16scan_by_key_implILNS1_25lookback_scan_determinismE0ELb1ES3_N6thrust23THRUST_200600_302600_NS6detail15normal_iteratorINS9_10device_ptrIiEEEENSB_INSC_IyEEEESG_yNS9_4plusIvEENS9_8equal_toIvEEyEE10hipError_tPvRmT2_T3_T4_T5_mT6_T7_P12ihipStream_tbENKUlT_T0_E_clISt17integral_constantIbLb1EES11_EEDaSW_SX_EUlSW_E_NS1_11comp_targetILNS1_3genE10ELNS1_11target_archE1201ELNS1_3gpuE5ELNS1_3repE0EEENS1_30default_config_static_selectorELNS0_4arch9wavefront6targetE1EEEvT1_
                                        ; -- End function
	.section	.AMDGPU.csdata,"",@progbits
; Kernel info:
; codeLenInByte = 0
; NumSgprs: 4
; NumVgprs: 0
; NumAgprs: 0
; TotalNumVgprs: 0
; ScratchSize: 0
; MemoryBound: 0
; FloatMode: 240
; IeeeMode: 1
; LDSByteSize: 0 bytes/workgroup (compile time only)
; SGPRBlocks: 0
; VGPRBlocks: 0
; NumSGPRsForWavesPerEU: 4
; NumVGPRsForWavesPerEU: 1
; AccumOffset: 4
; Occupancy: 8
; WaveLimiterHint : 0
; COMPUTE_PGM_RSRC2:SCRATCH_EN: 0
; COMPUTE_PGM_RSRC2:USER_SGPR: 6
; COMPUTE_PGM_RSRC2:TRAP_HANDLER: 0
; COMPUTE_PGM_RSRC2:TGID_X_EN: 1
; COMPUTE_PGM_RSRC2:TGID_Y_EN: 0
; COMPUTE_PGM_RSRC2:TGID_Z_EN: 0
; COMPUTE_PGM_RSRC2:TIDIG_COMP_CNT: 0
; COMPUTE_PGM_RSRC3_GFX90A:ACCUM_OFFSET: 0
; COMPUTE_PGM_RSRC3_GFX90A:TG_SPLIT: 0
	.section	.text._ZN7rocprim17ROCPRIM_400000_NS6detail17trampoline_kernelINS0_14default_configENS1_27scan_by_key_config_selectorIiyEEZZNS1_16scan_by_key_implILNS1_25lookback_scan_determinismE0ELb1ES3_N6thrust23THRUST_200600_302600_NS6detail15normal_iteratorINS9_10device_ptrIiEEEENSB_INSC_IyEEEESG_yNS9_4plusIvEENS9_8equal_toIvEEyEE10hipError_tPvRmT2_T3_T4_T5_mT6_T7_P12ihipStream_tbENKUlT_T0_E_clISt17integral_constantIbLb1EES11_EEDaSW_SX_EUlSW_E_NS1_11comp_targetILNS1_3genE5ELNS1_11target_archE942ELNS1_3gpuE9ELNS1_3repE0EEENS1_30default_config_static_selectorELNS0_4arch9wavefront6targetE1EEEvT1_,"axG",@progbits,_ZN7rocprim17ROCPRIM_400000_NS6detail17trampoline_kernelINS0_14default_configENS1_27scan_by_key_config_selectorIiyEEZZNS1_16scan_by_key_implILNS1_25lookback_scan_determinismE0ELb1ES3_N6thrust23THRUST_200600_302600_NS6detail15normal_iteratorINS9_10device_ptrIiEEEENSB_INSC_IyEEEESG_yNS9_4plusIvEENS9_8equal_toIvEEyEE10hipError_tPvRmT2_T3_T4_T5_mT6_T7_P12ihipStream_tbENKUlT_T0_E_clISt17integral_constantIbLb1EES11_EEDaSW_SX_EUlSW_E_NS1_11comp_targetILNS1_3genE5ELNS1_11target_archE942ELNS1_3gpuE9ELNS1_3repE0EEENS1_30default_config_static_selectorELNS0_4arch9wavefront6targetE1EEEvT1_,comdat
	.protected	_ZN7rocprim17ROCPRIM_400000_NS6detail17trampoline_kernelINS0_14default_configENS1_27scan_by_key_config_selectorIiyEEZZNS1_16scan_by_key_implILNS1_25lookback_scan_determinismE0ELb1ES3_N6thrust23THRUST_200600_302600_NS6detail15normal_iteratorINS9_10device_ptrIiEEEENSB_INSC_IyEEEESG_yNS9_4plusIvEENS9_8equal_toIvEEyEE10hipError_tPvRmT2_T3_T4_T5_mT6_T7_P12ihipStream_tbENKUlT_T0_E_clISt17integral_constantIbLb1EES11_EEDaSW_SX_EUlSW_E_NS1_11comp_targetILNS1_3genE5ELNS1_11target_archE942ELNS1_3gpuE9ELNS1_3repE0EEENS1_30default_config_static_selectorELNS0_4arch9wavefront6targetE1EEEvT1_ ; -- Begin function _ZN7rocprim17ROCPRIM_400000_NS6detail17trampoline_kernelINS0_14default_configENS1_27scan_by_key_config_selectorIiyEEZZNS1_16scan_by_key_implILNS1_25lookback_scan_determinismE0ELb1ES3_N6thrust23THRUST_200600_302600_NS6detail15normal_iteratorINS9_10device_ptrIiEEEENSB_INSC_IyEEEESG_yNS9_4plusIvEENS9_8equal_toIvEEyEE10hipError_tPvRmT2_T3_T4_T5_mT6_T7_P12ihipStream_tbENKUlT_T0_E_clISt17integral_constantIbLb1EES11_EEDaSW_SX_EUlSW_E_NS1_11comp_targetILNS1_3genE5ELNS1_11target_archE942ELNS1_3gpuE9ELNS1_3repE0EEENS1_30default_config_static_selectorELNS0_4arch9wavefront6targetE1EEEvT1_
	.globl	_ZN7rocprim17ROCPRIM_400000_NS6detail17trampoline_kernelINS0_14default_configENS1_27scan_by_key_config_selectorIiyEEZZNS1_16scan_by_key_implILNS1_25lookback_scan_determinismE0ELb1ES3_N6thrust23THRUST_200600_302600_NS6detail15normal_iteratorINS9_10device_ptrIiEEEENSB_INSC_IyEEEESG_yNS9_4plusIvEENS9_8equal_toIvEEyEE10hipError_tPvRmT2_T3_T4_T5_mT6_T7_P12ihipStream_tbENKUlT_T0_E_clISt17integral_constantIbLb1EES11_EEDaSW_SX_EUlSW_E_NS1_11comp_targetILNS1_3genE5ELNS1_11target_archE942ELNS1_3gpuE9ELNS1_3repE0EEENS1_30default_config_static_selectorELNS0_4arch9wavefront6targetE1EEEvT1_
	.p2align	8
	.type	_ZN7rocprim17ROCPRIM_400000_NS6detail17trampoline_kernelINS0_14default_configENS1_27scan_by_key_config_selectorIiyEEZZNS1_16scan_by_key_implILNS1_25lookback_scan_determinismE0ELb1ES3_N6thrust23THRUST_200600_302600_NS6detail15normal_iteratorINS9_10device_ptrIiEEEENSB_INSC_IyEEEESG_yNS9_4plusIvEENS9_8equal_toIvEEyEE10hipError_tPvRmT2_T3_T4_T5_mT6_T7_P12ihipStream_tbENKUlT_T0_E_clISt17integral_constantIbLb1EES11_EEDaSW_SX_EUlSW_E_NS1_11comp_targetILNS1_3genE5ELNS1_11target_archE942ELNS1_3gpuE9ELNS1_3repE0EEENS1_30default_config_static_selectorELNS0_4arch9wavefront6targetE1EEEvT1_,@function
_ZN7rocprim17ROCPRIM_400000_NS6detail17trampoline_kernelINS0_14default_configENS1_27scan_by_key_config_selectorIiyEEZZNS1_16scan_by_key_implILNS1_25lookback_scan_determinismE0ELb1ES3_N6thrust23THRUST_200600_302600_NS6detail15normal_iteratorINS9_10device_ptrIiEEEENSB_INSC_IyEEEESG_yNS9_4plusIvEENS9_8equal_toIvEEyEE10hipError_tPvRmT2_T3_T4_T5_mT6_T7_P12ihipStream_tbENKUlT_T0_E_clISt17integral_constantIbLb1EES11_EEDaSW_SX_EUlSW_E_NS1_11comp_targetILNS1_3genE5ELNS1_11target_archE942ELNS1_3gpuE9ELNS1_3repE0EEENS1_30default_config_static_selectorELNS0_4arch9wavefront6targetE1EEEvT1_: ; @_ZN7rocprim17ROCPRIM_400000_NS6detail17trampoline_kernelINS0_14default_configENS1_27scan_by_key_config_selectorIiyEEZZNS1_16scan_by_key_implILNS1_25lookback_scan_determinismE0ELb1ES3_N6thrust23THRUST_200600_302600_NS6detail15normal_iteratorINS9_10device_ptrIiEEEENSB_INSC_IyEEEESG_yNS9_4plusIvEENS9_8equal_toIvEEyEE10hipError_tPvRmT2_T3_T4_T5_mT6_T7_P12ihipStream_tbENKUlT_T0_E_clISt17integral_constantIbLb1EES11_EEDaSW_SX_EUlSW_E_NS1_11comp_targetILNS1_3genE5ELNS1_11target_archE942ELNS1_3gpuE9ELNS1_3repE0EEENS1_30default_config_static_selectorELNS0_4arch9wavefront6targetE1EEEvT1_
; %bb.0:
	.section	.rodata,"a",@progbits
	.p2align	6, 0x0
	.amdhsa_kernel _ZN7rocprim17ROCPRIM_400000_NS6detail17trampoline_kernelINS0_14default_configENS1_27scan_by_key_config_selectorIiyEEZZNS1_16scan_by_key_implILNS1_25lookback_scan_determinismE0ELb1ES3_N6thrust23THRUST_200600_302600_NS6detail15normal_iteratorINS9_10device_ptrIiEEEENSB_INSC_IyEEEESG_yNS9_4plusIvEENS9_8equal_toIvEEyEE10hipError_tPvRmT2_T3_T4_T5_mT6_T7_P12ihipStream_tbENKUlT_T0_E_clISt17integral_constantIbLb1EES11_EEDaSW_SX_EUlSW_E_NS1_11comp_targetILNS1_3genE5ELNS1_11target_archE942ELNS1_3gpuE9ELNS1_3repE0EEENS1_30default_config_static_selectorELNS0_4arch9wavefront6targetE1EEEvT1_
		.amdhsa_group_segment_fixed_size 0
		.amdhsa_private_segment_fixed_size 0
		.amdhsa_kernarg_size 136
		.amdhsa_user_sgpr_count 6
		.amdhsa_user_sgpr_private_segment_buffer 1
		.amdhsa_user_sgpr_dispatch_ptr 0
		.amdhsa_user_sgpr_queue_ptr 0
		.amdhsa_user_sgpr_kernarg_segment_ptr 1
		.amdhsa_user_sgpr_dispatch_id 0
		.amdhsa_user_sgpr_flat_scratch_init 0
		.amdhsa_user_sgpr_kernarg_preload_length 0
		.amdhsa_user_sgpr_kernarg_preload_offset 0
		.amdhsa_user_sgpr_private_segment_size 0
		.amdhsa_uses_dynamic_stack 0
		.amdhsa_system_sgpr_private_segment_wavefront_offset 0
		.amdhsa_system_sgpr_workgroup_id_x 1
		.amdhsa_system_sgpr_workgroup_id_y 0
		.amdhsa_system_sgpr_workgroup_id_z 0
		.amdhsa_system_sgpr_workgroup_info 0
		.amdhsa_system_vgpr_workitem_id 0
		.amdhsa_next_free_vgpr 1
		.amdhsa_next_free_sgpr 0
		.amdhsa_accum_offset 4
		.amdhsa_reserve_vcc 0
		.amdhsa_reserve_flat_scratch 0
		.amdhsa_float_round_mode_32 0
		.amdhsa_float_round_mode_16_64 0
		.amdhsa_float_denorm_mode_32 3
		.amdhsa_float_denorm_mode_16_64 3
		.amdhsa_dx10_clamp 1
		.amdhsa_ieee_mode 1
		.amdhsa_fp16_overflow 0
		.amdhsa_tg_split 0
		.amdhsa_exception_fp_ieee_invalid_op 0
		.amdhsa_exception_fp_denorm_src 0
		.amdhsa_exception_fp_ieee_div_zero 0
		.amdhsa_exception_fp_ieee_overflow 0
		.amdhsa_exception_fp_ieee_underflow 0
		.amdhsa_exception_fp_ieee_inexact 0
		.amdhsa_exception_int_div_zero 0
	.end_amdhsa_kernel
	.section	.text._ZN7rocprim17ROCPRIM_400000_NS6detail17trampoline_kernelINS0_14default_configENS1_27scan_by_key_config_selectorIiyEEZZNS1_16scan_by_key_implILNS1_25lookback_scan_determinismE0ELb1ES3_N6thrust23THRUST_200600_302600_NS6detail15normal_iteratorINS9_10device_ptrIiEEEENSB_INSC_IyEEEESG_yNS9_4plusIvEENS9_8equal_toIvEEyEE10hipError_tPvRmT2_T3_T4_T5_mT6_T7_P12ihipStream_tbENKUlT_T0_E_clISt17integral_constantIbLb1EES11_EEDaSW_SX_EUlSW_E_NS1_11comp_targetILNS1_3genE5ELNS1_11target_archE942ELNS1_3gpuE9ELNS1_3repE0EEENS1_30default_config_static_selectorELNS0_4arch9wavefront6targetE1EEEvT1_,"axG",@progbits,_ZN7rocprim17ROCPRIM_400000_NS6detail17trampoline_kernelINS0_14default_configENS1_27scan_by_key_config_selectorIiyEEZZNS1_16scan_by_key_implILNS1_25lookback_scan_determinismE0ELb1ES3_N6thrust23THRUST_200600_302600_NS6detail15normal_iteratorINS9_10device_ptrIiEEEENSB_INSC_IyEEEESG_yNS9_4plusIvEENS9_8equal_toIvEEyEE10hipError_tPvRmT2_T3_T4_T5_mT6_T7_P12ihipStream_tbENKUlT_T0_E_clISt17integral_constantIbLb1EES11_EEDaSW_SX_EUlSW_E_NS1_11comp_targetILNS1_3genE5ELNS1_11target_archE942ELNS1_3gpuE9ELNS1_3repE0EEENS1_30default_config_static_selectorELNS0_4arch9wavefront6targetE1EEEvT1_,comdat
.Lfunc_end1474:
	.size	_ZN7rocprim17ROCPRIM_400000_NS6detail17trampoline_kernelINS0_14default_configENS1_27scan_by_key_config_selectorIiyEEZZNS1_16scan_by_key_implILNS1_25lookback_scan_determinismE0ELb1ES3_N6thrust23THRUST_200600_302600_NS6detail15normal_iteratorINS9_10device_ptrIiEEEENSB_INSC_IyEEEESG_yNS9_4plusIvEENS9_8equal_toIvEEyEE10hipError_tPvRmT2_T3_T4_T5_mT6_T7_P12ihipStream_tbENKUlT_T0_E_clISt17integral_constantIbLb1EES11_EEDaSW_SX_EUlSW_E_NS1_11comp_targetILNS1_3genE5ELNS1_11target_archE942ELNS1_3gpuE9ELNS1_3repE0EEENS1_30default_config_static_selectorELNS0_4arch9wavefront6targetE1EEEvT1_, .Lfunc_end1474-_ZN7rocprim17ROCPRIM_400000_NS6detail17trampoline_kernelINS0_14default_configENS1_27scan_by_key_config_selectorIiyEEZZNS1_16scan_by_key_implILNS1_25lookback_scan_determinismE0ELb1ES3_N6thrust23THRUST_200600_302600_NS6detail15normal_iteratorINS9_10device_ptrIiEEEENSB_INSC_IyEEEESG_yNS9_4plusIvEENS9_8equal_toIvEEyEE10hipError_tPvRmT2_T3_T4_T5_mT6_T7_P12ihipStream_tbENKUlT_T0_E_clISt17integral_constantIbLb1EES11_EEDaSW_SX_EUlSW_E_NS1_11comp_targetILNS1_3genE5ELNS1_11target_archE942ELNS1_3gpuE9ELNS1_3repE0EEENS1_30default_config_static_selectorELNS0_4arch9wavefront6targetE1EEEvT1_
                                        ; -- End function
	.section	.AMDGPU.csdata,"",@progbits
; Kernel info:
; codeLenInByte = 0
; NumSgprs: 4
; NumVgprs: 0
; NumAgprs: 0
; TotalNumVgprs: 0
; ScratchSize: 0
; MemoryBound: 0
; FloatMode: 240
; IeeeMode: 1
; LDSByteSize: 0 bytes/workgroup (compile time only)
; SGPRBlocks: 0
; VGPRBlocks: 0
; NumSGPRsForWavesPerEU: 4
; NumVGPRsForWavesPerEU: 1
; AccumOffset: 4
; Occupancy: 8
; WaveLimiterHint : 0
; COMPUTE_PGM_RSRC2:SCRATCH_EN: 0
; COMPUTE_PGM_RSRC2:USER_SGPR: 6
; COMPUTE_PGM_RSRC2:TRAP_HANDLER: 0
; COMPUTE_PGM_RSRC2:TGID_X_EN: 1
; COMPUTE_PGM_RSRC2:TGID_Y_EN: 0
; COMPUTE_PGM_RSRC2:TGID_Z_EN: 0
; COMPUTE_PGM_RSRC2:TIDIG_COMP_CNT: 0
; COMPUTE_PGM_RSRC3_GFX90A:ACCUM_OFFSET: 0
; COMPUTE_PGM_RSRC3_GFX90A:TG_SPLIT: 0
	.section	.text._ZN7rocprim17ROCPRIM_400000_NS6detail17trampoline_kernelINS0_14default_configENS1_27scan_by_key_config_selectorIiyEEZZNS1_16scan_by_key_implILNS1_25lookback_scan_determinismE0ELb1ES3_N6thrust23THRUST_200600_302600_NS6detail15normal_iteratorINS9_10device_ptrIiEEEENSB_INSC_IyEEEESG_yNS9_4plusIvEENS9_8equal_toIvEEyEE10hipError_tPvRmT2_T3_T4_T5_mT6_T7_P12ihipStream_tbENKUlT_T0_E_clISt17integral_constantIbLb1EES11_EEDaSW_SX_EUlSW_E_NS1_11comp_targetILNS1_3genE4ELNS1_11target_archE910ELNS1_3gpuE8ELNS1_3repE0EEENS1_30default_config_static_selectorELNS0_4arch9wavefront6targetE1EEEvT1_,"axG",@progbits,_ZN7rocprim17ROCPRIM_400000_NS6detail17trampoline_kernelINS0_14default_configENS1_27scan_by_key_config_selectorIiyEEZZNS1_16scan_by_key_implILNS1_25lookback_scan_determinismE0ELb1ES3_N6thrust23THRUST_200600_302600_NS6detail15normal_iteratorINS9_10device_ptrIiEEEENSB_INSC_IyEEEESG_yNS9_4plusIvEENS9_8equal_toIvEEyEE10hipError_tPvRmT2_T3_T4_T5_mT6_T7_P12ihipStream_tbENKUlT_T0_E_clISt17integral_constantIbLb1EES11_EEDaSW_SX_EUlSW_E_NS1_11comp_targetILNS1_3genE4ELNS1_11target_archE910ELNS1_3gpuE8ELNS1_3repE0EEENS1_30default_config_static_selectorELNS0_4arch9wavefront6targetE1EEEvT1_,comdat
	.protected	_ZN7rocprim17ROCPRIM_400000_NS6detail17trampoline_kernelINS0_14default_configENS1_27scan_by_key_config_selectorIiyEEZZNS1_16scan_by_key_implILNS1_25lookback_scan_determinismE0ELb1ES3_N6thrust23THRUST_200600_302600_NS6detail15normal_iteratorINS9_10device_ptrIiEEEENSB_INSC_IyEEEESG_yNS9_4plusIvEENS9_8equal_toIvEEyEE10hipError_tPvRmT2_T3_T4_T5_mT6_T7_P12ihipStream_tbENKUlT_T0_E_clISt17integral_constantIbLb1EES11_EEDaSW_SX_EUlSW_E_NS1_11comp_targetILNS1_3genE4ELNS1_11target_archE910ELNS1_3gpuE8ELNS1_3repE0EEENS1_30default_config_static_selectorELNS0_4arch9wavefront6targetE1EEEvT1_ ; -- Begin function _ZN7rocprim17ROCPRIM_400000_NS6detail17trampoline_kernelINS0_14default_configENS1_27scan_by_key_config_selectorIiyEEZZNS1_16scan_by_key_implILNS1_25lookback_scan_determinismE0ELb1ES3_N6thrust23THRUST_200600_302600_NS6detail15normal_iteratorINS9_10device_ptrIiEEEENSB_INSC_IyEEEESG_yNS9_4plusIvEENS9_8equal_toIvEEyEE10hipError_tPvRmT2_T3_T4_T5_mT6_T7_P12ihipStream_tbENKUlT_T0_E_clISt17integral_constantIbLb1EES11_EEDaSW_SX_EUlSW_E_NS1_11comp_targetILNS1_3genE4ELNS1_11target_archE910ELNS1_3gpuE8ELNS1_3repE0EEENS1_30default_config_static_selectorELNS0_4arch9wavefront6targetE1EEEvT1_
	.globl	_ZN7rocprim17ROCPRIM_400000_NS6detail17trampoline_kernelINS0_14default_configENS1_27scan_by_key_config_selectorIiyEEZZNS1_16scan_by_key_implILNS1_25lookback_scan_determinismE0ELb1ES3_N6thrust23THRUST_200600_302600_NS6detail15normal_iteratorINS9_10device_ptrIiEEEENSB_INSC_IyEEEESG_yNS9_4plusIvEENS9_8equal_toIvEEyEE10hipError_tPvRmT2_T3_T4_T5_mT6_T7_P12ihipStream_tbENKUlT_T0_E_clISt17integral_constantIbLb1EES11_EEDaSW_SX_EUlSW_E_NS1_11comp_targetILNS1_3genE4ELNS1_11target_archE910ELNS1_3gpuE8ELNS1_3repE0EEENS1_30default_config_static_selectorELNS0_4arch9wavefront6targetE1EEEvT1_
	.p2align	8
	.type	_ZN7rocprim17ROCPRIM_400000_NS6detail17trampoline_kernelINS0_14default_configENS1_27scan_by_key_config_selectorIiyEEZZNS1_16scan_by_key_implILNS1_25lookback_scan_determinismE0ELb1ES3_N6thrust23THRUST_200600_302600_NS6detail15normal_iteratorINS9_10device_ptrIiEEEENSB_INSC_IyEEEESG_yNS9_4plusIvEENS9_8equal_toIvEEyEE10hipError_tPvRmT2_T3_T4_T5_mT6_T7_P12ihipStream_tbENKUlT_T0_E_clISt17integral_constantIbLb1EES11_EEDaSW_SX_EUlSW_E_NS1_11comp_targetILNS1_3genE4ELNS1_11target_archE910ELNS1_3gpuE8ELNS1_3repE0EEENS1_30default_config_static_selectorELNS0_4arch9wavefront6targetE1EEEvT1_,@function
_ZN7rocprim17ROCPRIM_400000_NS6detail17trampoline_kernelINS0_14default_configENS1_27scan_by_key_config_selectorIiyEEZZNS1_16scan_by_key_implILNS1_25lookback_scan_determinismE0ELb1ES3_N6thrust23THRUST_200600_302600_NS6detail15normal_iteratorINS9_10device_ptrIiEEEENSB_INSC_IyEEEESG_yNS9_4plusIvEENS9_8equal_toIvEEyEE10hipError_tPvRmT2_T3_T4_T5_mT6_T7_P12ihipStream_tbENKUlT_T0_E_clISt17integral_constantIbLb1EES11_EEDaSW_SX_EUlSW_E_NS1_11comp_targetILNS1_3genE4ELNS1_11target_archE910ELNS1_3gpuE8ELNS1_3repE0EEENS1_30default_config_static_selectorELNS0_4arch9wavefront6targetE1EEEvT1_: ; @_ZN7rocprim17ROCPRIM_400000_NS6detail17trampoline_kernelINS0_14default_configENS1_27scan_by_key_config_selectorIiyEEZZNS1_16scan_by_key_implILNS1_25lookback_scan_determinismE0ELb1ES3_N6thrust23THRUST_200600_302600_NS6detail15normal_iteratorINS9_10device_ptrIiEEEENSB_INSC_IyEEEESG_yNS9_4plusIvEENS9_8equal_toIvEEyEE10hipError_tPvRmT2_T3_T4_T5_mT6_T7_P12ihipStream_tbENKUlT_T0_E_clISt17integral_constantIbLb1EES11_EEDaSW_SX_EUlSW_E_NS1_11comp_targetILNS1_3genE4ELNS1_11target_archE910ELNS1_3gpuE8ELNS1_3repE0EEENS1_30default_config_static_selectorELNS0_4arch9wavefront6targetE1EEEvT1_
; %bb.0:
	s_load_dwordx8 s[56:63], s[4:5], 0x0
	s_load_dwordx2 s[68:69], s[4:5], 0x20
	s_load_dwordx8 s[48:55], s[4:5], 0x30
	s_load_dwordx2 s[70:71], s[4:5], 0x50
	v_cmp_eq_u32_e64 s[0:1], 0, v0
	s_and_saveexec_b64 s[2:3], s[0:1]
	s_cbranch_execz .LBB1475_4
; %bb.1:
	s_mov_b64 s[8:9], exec
	v_mbcnt_lo_u32_b32 v1, s8, 0
	v_mbcnt_hi_u32_b32 v1, s9, v1
	v_cmp_eq_u32_e32 vcc, 0, v1
                                        ; implicit-def: $vgpr2
	s_and_saveexec_b64 s[6:7], vcc
	s_cbranch_execz .LBB1475_3
; %bb.2:
	s_load_dwordx2 s[10:11], s[4:5], 0x80
	s_bcnt1_i32_b64 s8, s[8:9]
	v_mov_b32_e32 v2, 0
	v_mov_b32_e32 v3, s8
	s_waitcnt lgkmcnt(0)
	global_atomic_add v2, v2, v3, s[10:11] glc
.LBB1475_3:
	s_or_b64 exec, exec, s[6:7]
	s_waitcnt vmcnt(0)
	v_readfirstlane_b32 s6, v2
	v_add_u32_e32 v1, s6, v1
	v_mov_b32_e32 v2, 0
	ds_write_b32 v2, v1
.LBB1475_4:
	s_or_b64 exec, exec, s[2:3]
	s_load_dword s2, s[4:5], 0x58
	s_load_dwordx4 s[64:67], s[4:5], 0x60
	v_mov_b32_e32 v3, 0
	s_waitcnt lgkmcnt(0)
	s_lshl_b64 s[4:5], s[58:59], 2
	s_waitcnt lgkmcnt(0)
	; wave barrier
	ds_read_b32 v1, v3
	s_add_u32 s3, s56, s4
	s_addc_u32 s4, s57, s5
	s_lshl_b64 s[56:57], s[58:59], 3
	s_add_u32 s5, s60, s56
	s_mul_i32 s7, s71, s2
	s_mul_hi_u32 s8, s70, s2
	s_addc_u32 s6, s61, s57
	s_add_i32 s7, s8, s7
	s_movk_i32 s8, 0x540
	s_waitcnt lgkmcnt(0)
	v_mul_lo_u32 v2, v1, s8
	v_lshlrev_b64 v[4:5], 2, v[2:3]
	v_mov_b32_e32 v7, s4
	v_add_co_u32_e32 v6, vcc, s3, v4
	v_addc_co_u32_e32 v7, vcc, v7, v5, vcc
	v_lshlrev_b64 v[42:43], 3, v[2:3]
	v_mov_b32_e32 v2, s6
	v_add_co_u32_e32 v86, vcc, s5, v42
	s_mul_i32 s2, s70, s2
	v_addc_co_u32_e32 v87, vcc, v2, v43, vcc
	v_mov_b32_e32 v3, s7
	v_add_co_u32_e32 v2, vcc, s2, v1
	s_add_u32 s6, s64, -1
	v_addc_co_u32_e32 v3, vcc, 0, v3, vcc
	s_addc_u32 s7, s65, -1
	v_cmp_le_u64_e64 s[2:3], s[6:7], v[2:3]
	v_readfirstlane_b32 s55, v1
	s_mov_b64 s[4:5], -1
	s_and_b64 vcc, exec, s[2:3]
	s_mul_i32 s33, s6, 0xfffffac0
	s_waitcnt lgkmcnt(0)
	; wave barrier
	s_waitcnt lgkmcnt(0)
	s_waitcnt lgkmcnt(0)
	; wave barrier
	s_cbranch_vccz .LBB1475_69
; %bb.5:
	flat_load_dword v2, v[6:7]
	s_add_i32 s64, s33, s54
	v_cmp_gt_u32_e32 vcc, s64, v0
	s_waitcnt vmcnt(0) lgkmcnt(0)
	v_mov_b32_e32 v3, v2
	s_and_saveexec_b64 s[6:7], vcc
	s_cbranch_execz .LBB1475_7
; %bb.6:
	v_lshlrev_b32_e32 v1, 2, v0
	v_add_co_u32_e64 v4, s[4:5], v6, v1
	v_addc_co_u32_e64 v5, s[4:5], 0, v7, s[4:5]
	flat_load_dword v3, v[4:5]
.LBB1475_7:
	s_or_b64 exec, exec, s[6:7]
	v_or_b32_e32 v1, 64, v0
	v_cmp_gt_u32_e64 s[4:5], s64, v1
	v_mov_b32_e32 v4, v2
	s_and_saveexec_b64 s[8:9], s[4:5]
	s_cbranch_execz .LBB1475_9
; %bb.8:
	v_lshlrev_b32_e32 v1, 2, v0
	v_add_co_u32_e64 v4, s[6:7], v6, v1
	v_addc_co_u32_e64 v5, s[6:7], 0, v7, s[6:7]
	flat_load_dword v4, v[4:5] offset:256
.LBB1475_9:
	s_or_b64 exec, exec, s[8:9]
	v_or_b32_e32 v1, 0x80, v0
	v_cmp_gt_u32_e64 s[6:7], s64, v1
	v_mov_b32_e32 v5, v2
	s_and_saveexec_b64 s[10:11], s[6:7]
	s_cbranch_execz .LBB1475_11
; %bb.10:
	v_lshlrev_b32_e32 v1, 2, v0
	v_add_co_u32_e64 v8, s[8:9], v6, v1
	v_addc_co_u32_e64 v9, s[8:9], 0, v7, s[8:9]
	flat_load_dword v5, v[8:9] offset:512
.LBB1475_11:
	;; [unrolled: 12-line block ×15, first 2 shown]
	s_or_b64 exec, exec, s[38:39]
	v_or_b32_e32 v60, 0x400, v0
	v_cmp_gt_u32_e64 s[36:37], s64, v60
	v_mov_b32_e32 v21, v2
	s_and_saveexec_b64 s[40:41], s[36:37]
	s_cbranch_execz .LBB1475_39
; %bb.38:
	v_lshlrev_b32_e32 v21, 2, v60
	v_add_co_u32_e64 v22, s[38:39], v6, v21
	v_addc_co_u32_e64 v23, s[38:39], 0, v7, s[38:39]
	flat_load_dword v21, v[22:23]
.LBB1475_39:
	s_or_b64 exec, exec, s[40:41]
	v_or_b32_e32 v62, 0x440, v0
	v_cmp_gt_u32_e64 s[38:39], s64, v62
	v_mov_b32_e32 v22, v2
	s_and_saveexec_b64 s[42:43], s[38:39]
	s_cbranch_execz .LBB1475_41
; %bb.40:
	v_lshlrev_b32_e32 v22, 2, v62
	v_add_co_u32_e64 v22, s[40:41], v6, v22
	v_addc_co_u32_e64 v23, s[40:41], 0, v7, s[40:41]
	flat_load_dword v22, v[22:23]
.LBB1475_41:
	;; [unrolled: 12-line block ×4, first 2 shown]
	s_or_b64 exec, exec, s[46:47]
	v_or_b32_e32 v68, 0x500, v0
	v_cmp_gt_u32_e64 s[44:45], s64, v68
	s_and_saveexec_b64 s[58:59], s[44:45]
	s_cbranch_execz .LBB1475_47
; %bb.46:
	v_lshlrev_b32_e32 v2, 2, v68
	v_add_co_u32_e64 v26, s[46:47], v6, v2
	v_addc_co_u32_e64 v27, s[46:47], 0, v7, s[46:47]
	flat_load_dword v2, v[26:27]
.LBB1475_47:
	s_or_b64 exec, exec, s[58:59]
	v_lshlrev_b32_e32 v28, 2, v0
	s_waitcnt vmcnt(0) lgkmcnt(0)
	ds_write2st64_b32 v28, v3, v4 offset1:1
	ds_write2st64_b32 v28, v5, v8 offset0:2 offset1:3
	ds_write2st64_b32 v28, v9, v10 offset0:4 offset1:5
	;; [unrolled: 1-line block ×9, first 2 shown]
	ds_write_b32 v28, v2 offset:5120
	s_waitcnt lgkmcnt(0)
	; wave barrier
	s_waitcnt lgkmcnt(0)
	flat_load_dword v84, v[6:7]
	s_movk_i32 s46, 0x50
	v_mad_u32_u24 v2, v0, s46, v28
	s_movk_i32 s46, 0xffb0
	v_mad_i32_i24 v69, v0, s46, v2
	v_cmp_ne_u32_e64 s[46:47], 63, v0
	ds_read_b32 v88, v2
	ds_read2_b32 v[26:27], v2 offset0:1 offset1:2
	ds_read2_b32 v[24:25], v2 offset0:3 offset1:4
	;; [unrolled: 1-line block ×10, first 2 shown]
	s_waitcnt lgkmcnt(0)
	ds_write_b32 v69, v88 offset:5632
	s_waitcnt lgkmcnt(0)
	; wave barrier
	s_waitcnt lgkmcnt(0)
	s_and_saveexec_b64 s[58:59], s[46:47]
	s_cbranch_execz .LBB1475_49
; %bb.48:
	s_waitcnt vmcnt(0)
	ds_read_b32 v84, v28 offset:5636
.LBB1475_49:
	s_or_b64 exec, exec, s[58:59]
	s_waitcnt lgkmcnt(0)
	; wave barrier
	s_waitcnt lgkmcnt(0)
                                        ; implicit-def: $vgpr2_vgpr3
	s_and_saveexec_b64 s[46:47], vcc
	s_cbranch_execz .LBB1475_70
; %bb.50:
	v_lshlrev_b32_e32 v2, 3, v0
	v_add_co_u32_e32 v2, vcc, v86, v2
	v_addc_co_u32_e32 v3, vcc, 0, v87, vcc
	flat_load_dwordx2 v[2:3], v[2:3]
	s_or_b64 exec, exec, s[46:47]
                                        ; implicit-def: $vgpr4_vgpr5
	s_and_saveexec_b64 s[46:47], s[4:5]
	s_cbranch_execnz .LBB1475_71
.LBB1475_51:
	s_or_b64 exec, exec, s[46:47]
                                        ; implicit-def: $vgpr28_vgpr29
	s_and_saveexec_b64 s[4:5], s[6:7]
	s_cbranch_execz .LBB1475_72
.LBB1475_52:
	v_lshlrev_b32_e32 v28, 3, v0
	v_add_co_u32_e32 v28, vcc, v86, v28
	v_addc_co_u32_e32 v29, vcc, 0, v87, vcc
	flat_load_dwordx2 v[28:29], v[28:29] offset:1024
	s_or_b64 exec, exec, s[4:5]
                                        ; implicit-def: $vgpr30_vgpr31
	s_and_saveexec_b64 s[4:5], s[8:9]
	s_cbranch_execnz .LBB1475_73
.LBB1475_53:
	s_or_b64 exec, exec, s[4:5]
                                        ; implicit-def: $vgpr32_vgpr33
	s_and_saveexec_b64 s[4:5], s[10:11]
	s_cbranch_execz .LBB1475_74
.LBB1475_54:
	v_lshlrev_b32_e32 v32, 3, v0
	v_add_co_u32_e32 v32, vcc, v86, v32
	v_addc_co_u32_e32 v33, vcc, 0, v87, vcc
	flat_load_dwordx2 v[32:33], v[32:33] offset:2048
	s_or_b64 exec, exec, s[4:5]
                                        ; implicit-def: $vgpr34_vgpr35
	s_and_saveexec_b64 s[4:5], s[12:13]
	s_cbranch_execnz .LBB1475_75
.LBB1475_55:
	s_or_b64 exec, exec, s[4:5]
                                        ; implicit-def: $vgpr36_vgpr37
	s_and_saveexec_b64 s[4:5], s[14:15]
	s_cbranch_execz .LBB1475_76
.LBB1475_56:
	v_lshlrev_b32_e32 v36, 3, v0
	v_add_co_u32_e32 v36, vcc, v86, v36
	v_addc_co_u32_e32 v37, vcc, 0, v87, vcc
	flat_load_dwordx2 v[36:37], v[36:37] offset:3072
	s_or_b64 exec, exec, s[4:5]
                                        ; implicit-def: $vgpr38_vgpr39
	s_and_saveexec_b64 s[4:5], s[16:17]
	s_cbranch_execnz .LBB1475_77
.LBB1475_57:
	s_or_b64 exec, exec, s[4:5]
                                        ; implicit-def: $vgpr40_vgpr41
	s_and_saveexec_b64 s[4:5], s[18:19]
	s_cbranch_execz .LBB1475_78
.LBB1475_58:
	v_lshlrev_b32_e32 v1, 3, v1
	v_add_co_u32_e32 v40, vcc, v86, v1
	v_addc_co_u32_e32 v41, vcc, 0, v87, vcc
	flat_load_dwordx2 v[40:41], v[40:41]
	s_or_b64 exec, exec, s[4:5]
                                        ; implicit-def: $vgpr44_vgpr45
	s_and_saveexec_b64 s[4:5], s[20:21]
	s_cbranch_execnz .LBB1475_79
.LBB1475_59:
	s_or_b64 exec, exec, s[4:5]
                                        ; implicit-def: $vgpr46_vgpr47
	s_and_saveexec_b64 s[4:5], s[22:23]
	s_cbranch_execz .LBB1475_80
.LBB1475_60:
	v_lshlrev_b32_e32 v1, 3, v48
	v_add_co_u32_e32 v46, vcc, v86, v1
	v_addc_co_u32_e32 v47, vcc, 0, v87, vcc
	flat_load_dwordx2 v[46:47], v[46:47]
	s_or_b64 exec, exec, s[4:5]
                                        ; implicit-def: $vgpr48_vgpr49
	s_and_saveexec_b64 s[4:5], s[24:25]
	s_cbranch_execnz .LBB1475_81
.LBB1475_61:
	s_or_b64 exec, exec, s[4:5]
                                        ; implicit-def: $vgpr50_vgpr51
	s_and_saveexec_b64 s[4:5], s[26:27]
	s_cbranch_execz .LBB1475_82
.LBB1475_62:
	v_lshlrev_b32_e32 v1, 3, v52
	v_add_co_u32_e32 v50, vcc, v86, v1
	v_addc_co_u32_e32 v51, vcc, 0, v87, vcc
	flat_load_dwordx2 v[50:51], v[50:51]
	s_or_b64 exec, exec, s[4:5]
                                        ; implicit-def: $vgpr52_vgpr53
	s_and_saveexec_b64 s[4:5], s[28:29]
	s_cbranch_execnz .LBB1475_83
.LBB1475_63:
	s_or_b64 exec, exec, s[4:5]
                                        ; implicit-def: $vgpr54_vgpr55
	s_and_saveexec_b64 s[4:5], s[30:31]
	s_cbranch_execz .LBB1475_84
.LBB1475_64:
	v_lshlrev_b32_e32 v1, 3, v56
	v_add_co_u32_e32 v54, vcc, v86, v1
	v_addc_co_u32_e32 v55, vcc, 0, v87, vcc
	flat_load_dwordx2 v[54:55], v[54:55]
	s_or_b64 exec, exec, s[4:5]
                                        ; implicit-def: $vgpr56_vgpr57
	s_and_saveexec_b64 s[4:5], s[34:35]
	s_cbranch_execnz .LBB1475_85
.LBB1475_65:
	s_or_b64 exec, exec, s[4:5]
                                        ; implicit-def: $vgpr58_vgpr59
	s_and_saveexec_b64 s[4:5], s[36:37]
	s_cbranch_execz .LBB1475_86
.LBB1475_66:
	v_lshlrev_b32_e32 v1, 3, v60
	v_add_co_u32_e32 v58, vcc, v86, v1
	v_addc_co_u32_e32 v59, vcc, 0, v87, vcc
	flat_load_dwordx2 v[58:59], v[58:59]
	s_or_b64 exec, exec, s[4:5]
                                        ; implicit-def: $vgpr60_vgpr61
	s_and_saveexec_b64 s[4:5], s[38:39]
	s_cbranch_execnz .LBB1475_87
.LBB1475_67:
	s_or_b64 exec, exec, s[4:5]
                                        ; implicit-def: $vgpr62_vgpr63
	s_and_saveexec_b64 s[4:5], s[40:41]
	s_cbranch_execz .LBB1475_88
.LBB1475_68:
	v_lshlrev_b32_e32 v1, 3, v64
	v_add_co_u32_e32 v62, vcc, v86, v1
	v_addc_co_u32_e32 v63, vcc, 0, v87, vcc
	flat_load_dwordx2 v[62:63], v[62:63]
	s_or_b64 exec, exec, s[4:5]
                                        ; implicit-def: $vgpr64_vgpr65
	s_and_saveexec_b64 s[4:5], s[42:43]
	s_cbranch_execz .LBB1475_90
	s_branch .LBB1475_89
.LBB1475_69:
	s_mov_b64 s[10:11], 0
                                        ; implicit-def: $sgpr8_sgpr9
                                        ; implicit-def: $vgpr2_vgpr3
                                        ; implicit-def: $vgpr44_vgpr45
                                        ; implicit-def: $vgpr110
                                        ; implicit-def: $vgpr46_vgpr47
                                        ; implicit-def: $vgpr126
                                        ; implicit-def: $vgpr82_vgpr83
                                        ; implicit-def: $vgpr125
                                        ; implicit-def: $vgpr80_vgpr81
                                        ; implicit-def: $vgpr124
                                        ; implicit-def: $vgpr78_vgpr79
                                        ; implicit-def: $vgpr123
                                        ; implicit-def: $vgpr76_vgpr77
                                        ; implicit-def: $vgpr122
                                        ; implicit-def: $vgpr74_vgpr75
                                        ; implicit-def: $vgpr121
                                        ; implicit-def: $vgpr72_vgpr73
                                        ; implicit-def: $vgpr120
                                        ; implicit-def: $vgpr70_vgpr71
                                        ; implicit-def: $vgpr119
                                        ; implicit-def: $vgpr68_vgpr69
                                        ; implicit-def: $vgpr118
                                        ; implicit-def: $vgpr66_vgpr67
                                        ; implicit-def: $vgpr117
                                        ; implicit-def: $vgpr64_vgpr65
                                        ; implicit-def: $vgpr116
                                        ; implicit-def: $vgpr62_vgpr63
                                        ; implicit-def: $vgpr115
                                        ; implicit-def: $vgpr60_vgpr61
                                        ; implicit-def: $vgpr114
                                        ; implicit-def: $vgpr58_vgpr59
                                        ; implicit-def: $vgpr113
                                        ; implicit-def: $vgpr56_vgpr57
                                        ; implicit-def: $vgpr112
                                        ; implicit-def: $vgpr54_vgpr55
                                        ; implicit-def: $vgpr111
                                        ; implicit-def: $vgpr52_vgpr53
                                        ; implicit-def: $vgpr109
                                        ; implicit-def: $vgpr50_vgpr51
                                        ; implicit-def: $vgpr108
                                        ; implicit-def: $vgpr48_vgpr49
                                        ; implicit-def: $vgpr1
                                        ; implicit-def: $sgpr72
                                        ; implicit-def: $sgpr6_sgpr7
	s_and_b64 vcc, exec, s[4:5]
	s_cbranch_vccz .LBB1475_140
	s_branch .LBB1475_135
.LBB1475_70:
	s_or_b64 exec, exec, s[46:47]
                                        ; implicit-def: $vgpr4_vgpr5
	s_and_saveexec_b64 s[46:47], s[4:5]
	s_cbranch_execz .LBB1475_51
.LBB1475_71:
	v_lshlrev_b32_e32 v4, 3, v0
	v_add_co_u32_e32 v4, vcc, v86, v4
	v_addc_co_u32_e32 v5, vcc, 0, v87, vcc
	flat_load_dwordx2 v[4:5], v[4:5] offset:512
	s_or_b64 exec, exec, s[46:47]
                                        ; implicit-def: $vgpr28_vgpr29
	s_and_saveexec_b64 s[4:5], s[6:7]
	s_cbranch_execnz .LBB1475_52
.LBB1475_72:
	s_or_b64 exec, exec, s[4:5]
                                        ; implicit-def: $vgpr30_vgpr31
	s_and_saveexec_b64 s[4:5], s[8:9]
	s_cbranch_execz .LBB1475_53
.LBB1475_73:
	v_lshlrev_b32_e32 v30, 3, v0
	v_add_co_u32_e32 v30, vcc, v86, v30
	v_addc_co_u32_e32 v31, vcc, 0, v87, vcc
	flat_load_dwordx2 v[30:31], v[30:31] offset:1536
	s_or_b64 exec, exec, s[4:5]
                                        ; implicit-def: $vgpr32_vgpr33
	s_and_saveexec_b64 s[4:5], s[10:11]
	s_cbranch_execnz .LBB1475_54
.LBB1475_74:
	s_or_b64 exec, exec, s[4:5]
                                        ; implicit-def: $vgpr34_vgpr35
	s_and_saveexec_b64 s[4:5], s[12:13]
	s_cbranch_execz .LBB1475_55
.LBB1475_75:
	v_lshlrev_b32_e32 v34, 3, v0
	v_add_co_u32_e32 v34, vcc, v86, v34
	v_addc_co_u32_e32 v35, vcc, 0, v87, vcc
	flat_load_dwordx2 v[34:35], v[34:35] offset:2560
	s_or_b64 exec, exec, s[4:5]
                                        ; implicit-def: $vgpr36_vgpr37
	s_and_saveexec_b64 s[4:5], s[14:15]
	s_cbranch_execnz .LBB1475_56
.LBB1475_76:
	s_or_b64 exec, exec, s[4:5]
                                        ; implicit-def: $vgpr38_vgpr39
	s_and_saveexec_b64 s[4:5], s[16:17]
	s_cbranch_execz .LBB1475_57
.LBB1475_77:
	v_lshlrev_b32_e32 v38, 3, v0
	v_add_co_u32_e32 v38, vcc, v86, v38
	v_addc_co_u32_e32 v39, vcc, 0, v87, vcc
	flat_load_dwordx2 v[38:39], v[38:39] offset:3584
	s_or_b64 exec, exec, s[4:5]
                                        ; implicit-def: $vgpr40_vgpr41
	s_and_saveexec_b64 s[4:5], s[18:19]
	s_cbranch_execnz .LBB1475_58
.LBB1475_78:
	s_or_b64 exec, exec, s[4:5]
                                        ; implicit-def: $vgpr44_vgpr45
	s_and_saveexec_b64 s[4:5], s[20:21]
	s_cbranch_execz .LBB1475_59
.LBB1475_79:
	v_lshlrev_b32_e32 v1, 3, v46
	v_add_co_u32_e32 v44, vcc, v86, v1
	v_addc_co_u32_e32 v45, vcc, 0, v87, vcc
	flat_load_dwordx2 v[44:45], v[44:45]
	s_or_b64 exec, exec, s[4:5]
                                        ; implicit-def: $vgpr46_vgpr47
	s_and_saveexec_b64 s[4:5], s[22:23]
	s_cbranch_execnz .LBB1475_60
.LBB1475_80:
	s_or_b64 exec, exec, s[4:5]
                                        ; implicit-def: $vgpr48_vgpr49
	s_and_saveexec_b64 s[4:5], s[24:25]
	s_cbranch_execz .LBB1475_61
.LBB1475_81:
	v_lshlrev_b32_e32 v1, 3, v50
	v_add_co_u32_e32 v48, vcc, v86, v1
	v_addc_co_u32_e32 v49, vcc, 0, v87, vcc
	flat_load_dwordx2 v[48:49], v[48:49]
	s_or_b64 exec, exec, s[4:5]
                                        ; implicit-def: $vgpr50_vgpr51
	s_and_saveexec_b64 s[4:5], s[26:27]
	s_cbranch_execnz .LBB1475_62
.LBB1475_82:
	s_or_b64 exec, exec, s[4:5]
                                        ; implicit-def: $vgpr52_vgpr53
	s_and_saveexec_b64 s[4:5], s[28:29]
	s_cbranch_execz .LBB1475_63
.LBB1475_83:
	v_lshlrev_b32_e32 v1, 3, v54
	v_add_co_u32_e32 v52, vcc, v86, v1
	v_addc_co_u32_e32 v53, vcc, 0, v87, vcc
	flat_load_dwordx2 v[52:53], v[52:53]
	s_or_b64 exec, exec, s[4:5]
                                        ; implicit-def: $vgpr54_vgpr55
	s_and_saveexec_b64 s[4:5], s[30:31]
	s_cbranch_execnz .LBB1475_64
.LBB1475_84:
	s_or_b64 exec, exec, s[4:5]
                                        ; implicit-def: $vgpr56_vgpr57
	s_and_saveexec_b64 s[4:5], s[34:35]
	s_cbranch_execz .LBB1475_65
.LBB1475_85:
	v_lshlrev_b32_e32 v1, 3, v58
	v_add_co_u32_e32 v56, vcc, v86, v1
	v_addc_co_u32_e32 v57, vcc, 0, v87, vcc
	flat_load_dwordx2 v[56:57], v[56:57]
	s_or_b64 exec, exec, s[4:5]
                                        ; implicit-def: $vgpr58_vgpr59
	s_and_saveexec_b64 s[4:5], s[36:37]
	s_cbranch_execnz .LBB1475_66
.LBB1475_86:
	s_or_b64 exec, exec, s[4:5]
                                        ; implicit-def: $vgpr60_vgpr61
	s_and_saveexec_b64 s[4:5], s[38:39]
	s_cbranch_execz .LBB1475_67
.LBB1475_87:
	v_lshlrev_b32_e32 v1, 3, v62
	v_add_co_u32_e32 v60, vcc, v86, v1
	v_addc_co_u32_e32 v61, vcc, 0, v87, vcc
	flat_load_dwordx2 v[60:61], v[60:61]
	s_or_b64 exec, exec, s[4:5]
                                        ; implicit-def: $vgpr62_vgpr63
	s_and_saveexec_b64 s[4:5], s[40:41]
	s_cbranch_execnz .LBB1475_68
.LBB1475_88:
	s_or_b64 exec, exec, s[4:5]
                                        ; implicit-def: $vgpr64_vgpr65
	s_and_saveexec_b64 s[4:5], s[42:43]
	s_cbranch_execz .LBB1475_90
.LBB1475_89:
	v_lshlrev_b32_e32 v1, 3, v66
	v_add_co_u32_e32 v64, vcc, v86, v1
	v_addc_co_u32_e32 v65, vcc, 0, v87, vcc
	flat_load_dwordx2 v[64:65], v[64:65]
.LBB1475_90:
	s_or_b64 exec, exec, s[4:5]
	v_mul_u32_u24_e32 v85, 21, v0
                                        ; implicit-def: $vgpr66_vgpr67
	s_and_saveexec_b64 s[4:5], s[44:45]
	s_cbranch_execz .LBB1475_92
; %bb.91:
	v_lshlrev_b32_e32 v1, 3, v68
	v_add_co_u32_e32 v66, vcc, v86, v1
	v_addc_co_u32_e32 v67, vcc, 0, v87, vcc
	flat_load_dwordx2 v[66:67], v[66:67]
.LBB1475_92:
	s_or_b64 exec, exec, s[4:5]
	v_lshl_add_u32 v89, v0, 2, v69
	s_waitcnt vmcnt(0) lgkmcnt(0)
	ds_write2st64_b64 v89, v[2:3], v[4:5] offset1:1
	ds_write2st64_b64 v89, v[28:29], v[30:31] offset0:2 offset1:3
	ds_write2st64_b64 v89, v[32:33], v[34:35] offset0:4 offset1:5
	;; [unrolled: 1-line block ×9, first 2 shown]
	ds_write_b64 v89, v[66:67] offset:10240
	v_pk_mov_b32 v[44:45], 0, 0
	v_cmp_gt_u32_e32 vcc, s64, v85
	s_mov_b64 s[10:11], 0
	s_mov_b32 s72, 0
	s_mov_b64 s[4:5], 0
	v_mov_b32_e32 v110, 0
	v_pk_mov_b32 v[46:47], v[44:45], v[44:45] op_sel:[0,1]
	v_mov_b32_e32 v126, 0
	v_pk_mov_b32 v[82:83], v[44:45], v[44:45] op_sel:[0,1]
	;; [unrolled: 2-line block ×19, first 2 shown]
	v_mov_b32_e32 v1, 0
	s_waitcnt lgkmcnt(0)
	; wave barrier
	s_waitcnt lgkmcnt(0)
                                        ; implicit-def: $sgpr8_sgpr9
                                        ; implicit-def: $vgpr2_vgpr3
	s_and_saveexec_b64 s[6:7], vcc
	s_cbranch_execz .LBB1475_134
; %bb.93:
	s_movk_i32 s8, 0xa0
	v_mad_u32_u24 v1, v0, s8, v89
	ds_read_b64 v[2:3], v1
	v_cmp_ne_u32_e32 vcc, v88, v26
	v_mov_b32_e32 v5, s69
	v_add_u32_e32 v4, 1, v85
	v_pk_mov_b32 v[46:47], 0, 0
	s_waitcnt lgkmcnt(0)
	v_cndmask_b32_e32 v45, v3, v5, vcc
	v_mov_b32_e32 v3, s68
	v_cndmask_b32_e64 v1, 0, 1, vcc
	v_cndmask_b32_e32 v44, v2, v3, vcc
	v_cmp_gt_u32_e32 vcc, s64, v4
	s_mov_b64 s[12:13], 0
	v_mov_b32_e32 v110, 0
	v_mov_b32_e32 v126, 0
	v_pk_mov_b32 v[82:83], v[46:47], v[46:47] op_sel:[0,1]
	v_mov_b32_e32 v125, 0
	v_pk_mov_b32 v[80:81], v[46:47], v[46:47] op_sel:[0,1]
	;; [unrolled: 2-line block ×18, first 2 shown]
                                        ; implicit-def: $sgpr14_sgpr15
                                        ; implicit-def: $vgpr2_vgpr3
	s_and_saveexec_b64 s[8:9], vcc
	s_cbranch_execz .LBB1475_133
; %bb.94:
	v_mul_u32_u24_e32 v2, 0xa0, v0
	v_add_u32_e32 v28, v89, v2
	ds_read2_b64 v[2:5], v28 offset0:1 offset1:2
	v_cmp_ne_u32_e32 vcc, v26, v27
	v_mov_b32_e32 v26, s69
	v_add_u32_e32 v29, 2, v85
	v_pk_mov_b32 v[46:47], 0, 0
	s_waitcnt lgkmcnt(0)
	v_cndmask_b32_e32 v49, v3, v26, vcc
	v_mov_b32_e32 v3, s68
	v_cndmask_b32_e64 v108, 0, 1, vcc
	v_cndmask_b32_e32 v48, v2, v3, vcc
	v_cmp_gt_u32_e32 vcc, s64, v29
	s_mov_b64 s[14:15], 0
	v_mov_b32_e32 v110, 0
	v_mov_b32_e32 v126, 0
	v_pk_mov_b32 v[82:83], v[46:47], v[46:47] op_sel:[0,1]
	v_mov_b32_e32 v125, 0
	v_pk_mov_b32 v[80:81], v[46:47], v[46:47] op_sel:[0,1]
	;; [unrolled: 2-line block ×17, first 2 shown]
                                        ; implicit-def: $sgpr16_sgpr17
                                        ; implicit-def: $vgpr2_vgpr3
	s_and_saveexec_b64 s[10:11], vcc
	s_cbranch_execz .LBB1475_132
; %bb.95:
	v_cmp_ne_u32_e32 vcc, v27, v24
	v_mov_b32_e32 v3, s69
	v_add_u32_e32 v2, 3, v85
	v_cndmask_b32_e32 v51, v5, v3, vcc
	v_mov_b32_e32 v3, s68
	v_pk_mov_b32 v[46:47], 0, 0
	v_cndmask_b32_e64 v109, 0, 1, vcc
	v_cndmask_b32_e32 v50, v4, v3, vcc
	v_cmp_gt_u32_e32 vcc, s64, v2
	s_mov_b64 s[16:17], 0
	v_mov_b32_e32 v110, 0
	v_mov_b32_e32 v126, 0
	v_pk_mov_b32 v[82:83], v[46:47], v[46:47] op_sel:[0,1]
	v_mov_b32_e32 v125, 0
	v_pk_mov_b32 v[80:81], v[46:47], v[46:47] op_sel:[0,1]
	;; [unrolled: 2-line block ×16, first 2 shown]
                                        ; implicit-def: $sgpr18_sgpr19
                                        ; implicit-def: $vgpr2_vgpr3
	s_and_saveexec_b64 s[12:13], vcc
	s_cbranch_execz .LBB1475_131
; %bb.96:
	ds_read2_b64 v[2:5], v28 offset0:3 offset1:4
	v_cmp_ne_u32_e32 vcc, v24, v25
	v_mov_b32_e32 v24, s69
	v_add_u32_e32 v26, 4, v85
	v_pk_mov_b32 v[46:47], 0, 0
	s_waitcnt lgkmcnt(0)
	v_cndmask_b32_e32 v53, v3, v24, vcc
	v_mov_b32_e32 v3, s68
	v_cndmask_b32_e64 v111, 0, 1, vcc
	v_cndmask_b32_e32 v52, v2, v3, vcc
	v_cmp_gt_u32_e32 vcc, s64, v26
	s_mov_b64 s[18:19], 0
	v_mov_b32_e32 v110, 0
	v_mov_b32_e32 v126, 0
	v_pk_mov_b32 v[82:83], v[46:47], v[46:47] op_sel:[0,1]
	v_mov_b32_e32 v125, 0
	v_pk_mov_b32 v[80:81], v[46:47], v[46:47] op_sel:[0,1]
	;; [unrolled: 2-line block ×15, first 2 shown]
                                        ; implicit-def: $sgpr20_sgpr21
                                        ; implicit-def: $vgpr2_vgpr3
	s_and_saveexec_b64 s[14:15], vcc
	s_cbranch_execz .LBB1475_130
; %bb.97:
	v_cmp_ne_u32_e32 vcc, v25, v22
	v_mov_b32_e32 v3, s69
	v_add_u32_e32 v2, 5, v85
	v_cndmask_b32_e32 v55, v5, v3, vcc
	v_mov_b32_e32 v3, s68
	v_pk_mov_b32 v[46:47], 0, 0
	v_cndmask_b32_e64 v112, 0, 1, vcc
	v_cndmask_b32_e32 v54, v4, v3, vcc
	v_cmp_gt_u32_e32 vcc, s64, v2
	s_mov_b64 s[20:21], 0
	v_mov_b32_e32 v110, 0
	v_mov_b32_e32 v126, 0
	v_pk_mov_b32 v[82:83], v[46:47], v[46:47] op_sel:[0,1]
	v_mov_b32_e32 v125, 0
	v_pk_mov_b32 v[80:81], v[46:47], v[46:47] op_sel:[0,1]
	;; [unrolled: 2-line block ×14, first 2 shown]
                                        ; implicit-def: $sgpr22_sgpr23
                                        ; implicit-def: $vgpr2_vgpr3
	s_and_saveexec_b64 s[16:17], vcc
	s_cbranch_execz .LBB1475_129
; %bb.98:
	ds_read2_b64 v[2:5], v28 offset0:5 offset1:6
	v_cmp_ne_u32_e32 vcc, v22, v23
	v_mov_b32_e32 v22, s69
	v_add_u32_e32 v24, 6, v85
	v_pk_mov_b32 v[46:47], 0, 0
	s_waitcnt lgkmcnt(0)
	v_cndmask_b32_e32 v57, v3, v22, vcc
	v_mov_b32_e32 v3, s68
	v_cndmask_b32_e64 v113, 0, 1, vcc
	v_cndmask_b32_e32 v56, v2, v3, vcc
	v_cmp_gt_u32_e32 vcc, s64, v24
	s_mov_b64 s[22:23], 0
	v_mov_b32_e32 v110, 0
	v_mov_b32_e32 v126, 0
	v_pk_mov_b32 v[82:83], v[46:47], v[46:47] op_sel:[0,1]
	v_mov_b32_e32 v125, 0
	v_pk_mov_b32 v[80:81], v[46:47], v[46:47] op_sel:[0,1]
	v_mov_b32_e32 v124, 0
	v_pk_mov_b32 v[78:79], v[46:47], v[46:47] op_sel:[0,1]
	v_mov_b32_e32 v123, 0
	v_pk_mov_b32 v[76:77], v[46:47], v[46:47] op_sel:[0,1]
	v_mov_b32_e32 v122, 0
	v_pk_mov_b32 v[74:75], v[46:47], v[46:47] op_sel:[0,1]
	v_mov_b32_e32 v121, 0
	v_pk_mov_b32 v[72:73], v[46:47], v[46:47] op_sel:[0,1]
	v_mov_b32_e32 v120, 0
	v_pk_mov_b32 v[70:71], v[46:47], v[46:47] op_sel:[0,1]
	v_mov_b32_e32 v119, 0
	v_pk_mov_b32 v[68:69], v[46:47], v[46:47] op_sel:[0,1]
	v_mov_b32_e32 v118, 0
	v_pk_mov_b32 v[66:67], v[46:47], v[46:47] op_sel:[0,1]
	v_mov_b32_e32 v117, 0
	v_pk_mov_b32 v[64:65], v[46:47], v[46:47] op_sel:[0,1]
	v_mov_b32_e32 v116, 0
	v_pk_mov_b32 v[62:63], v[46:47], v[46:47] op_sel:[0,1]
	v_mov_b32_e32 v115, 0
	v_pk_mov_b32 v[60:61], v[46:47], v[46:47] op_sel:[0,1]
	v_mov_b32_e32 v114, 0
	v_pk_mov_b32 v[58:59], v[46:47], v[46:47] op_sel:[0,1]
                                        ; implicit-def: $sgpr24_sgpr25
                                        ; implicit-def: $vgpr2_vgpr3
	s_and_saveexec_b64 s[18:19], vcc
	s_cbranch_execz .LBB1475_128
; %bb.99:
	v_cmp_ne_u32_e32 vcc, v23, v20
	v_mov_b32_e32 v3, s69
	v_add_u32_e32 v2, 7, v85
	v_cndmask_b32_e32 v59, v5, v3, vcc
	v_mov_b32_e32 v3, s68
	v_pk_mov_b32 v[46:47], 0, 0
	v_cndmask_b32_e64 v114, 0, 1, vcc
	v_cndmask_b32_e32 v58, v4, v3, vcc
	v_cmp_gt_u32_e32 vcc, s64, v2
	s_mov_b64 s[24:25], 0
	v_mov_b32_e32 v110, 0
	v_mov_b32_e32 v126, 0
	v_pk_mov_b32 v[82:83], v[46:47], v[46:47] op_sel:[0,1]
	v_mov_b32_e32 v125, 0
	v_pk_mov_b32 v[80:81], v[46:47], v[46:47] op_sel:[0,1]
	;; [unrolled: 2-line block ×12, first 2 shown]
                                        ; implicit-def: $sgpr26_sgpr27
                                        ; implicit-def: $vgpr2_vgpr3
	s_and_saveexec_b64 s[20:21], vcc
	s_cbranch_execz .LBB1475_127
; %bb.100:
	ds_read2_b64 v[2:5], v28 offset0:7 offset1:8
	v_cmp_ne_u32_e32 vcc, v20, v21
	v_mov_b32_e32 v20, s69
	v_add_u32_e32 v22, 8, v85
	v_pk_mov_b32 v[46:47], 0, 0
	s_waitcnt lgkmcnt(0)
	v_cndmask_b32_e32 v61, v3, v20, vcc
	v_mov_b32_e32 v3, s68
	v_cndmask_b32_e64 v115, 0, 1, vcc
	v_cndmask_b32_e32 v60, v2, v3, vcc
	v_cmp_gt_u32_e32 vcc, s64, v22
	s_mov_b64 s[26:27], 0
	v_mov_b32_e32 v110, 0
	v_mov_b32_e32 v126, 0
	v_pk_mov_b32 v[82:83], v[46:47], v[46:47] op_sel:[0,1]
	v_mov_b32_e32 v125, 0
	v_pk_mov_b32 v[80:81], v[46:47], v[46:47] op_sel:[0,1]
	v_mov_b32_e32 v124, 0
	v_pk_mov_b32 v[78:79], v[46:47], v[46:47] op_sel:[0,1]
	v_mov_b32_e32 v123, 0
	v_pk_mov_b32 v[76:77], v[46:47], v[46:47] op_sel:[0,1]
	v_mov_b32_e32 v122, 0
	v_pk_mov_b32 v[74:75], v[46:47], v[46:47] op_sel:[0,1]
	v_mov_b32_e32 v121, 0
	v_pk_mov_b32 v[72:73], v[46:47], v[46:47] op_sel:[0,1]
	v_mov_b32_e32 v120, 0
	v_pk_mov_b32 v[70:71], v[46:47], v[46:47] op_sel:[0,1]
	v_mov_b32_e32 v119, 0
	v_pk_mov_b32 v[68:69], v[46:47], v[46:47] op_sel:[0,1]
	v_mov_b32_e32 v118, 0
	v_pk_mov_b32 v[66:67], v[46:47], v[46:47] op_sel:[0,1]
	v_mov_b32_e32 v117, 0
	v_pk_mov_b32 v[64:65], v[46:47], v[46:47] op_sel:[0,1]
	v_mov_b32_e32 v116, 0
	v_pk_mov_b32 v[62:63], v[46:47], v[46:47] op_sel:[0,1]
                                        ; implicit-def: $sgpr28_sgpr29
                                        ; implicit-def: $vgpr2_vgpr3
	s_and_saveexec_b64 s[22:23], vcc
	s_cbranch_execz .LBB1475_126
; %bb.101:
	v_cmp_ne_u32_e32 vcc, v21, v18
	v_mov_b32_e32 v3, s69
	v_add_u32_e32 v2, 9, v85
	v_cndmask_b32_e32 v63, v5, v3, vcc
	v_mov_b32_e32 v3, s68
	v_pk_mov_b32 v[46:47], 0, 0
	v_cndmask_b32_e64 v116, 0, 1, vcc
	v_cndmask_b32_e32 v62, v4, v3, vcc
	v_cmp_gt_u32_e32 vcc, s64, v2
	s_mov_b64 s[28:29], 0
	v_mov_b32_e32 v110, 0
	v_mov_b32_e32 v126, 0
	v_pk_mov_b32 v[82:83], v[46:47], v[46:47] op_sel:[0,1]
	v_mov_b32_e32 v125, 0
	v_pk_mov_b32 v[80:81], v[46:47], v[46:47] op_sel:[0,1]
	;; [unrolled: 2-line block ×10, first 2 shown]
                                        ; implicit-def: $sgpr30_sgpr31
                                        ; implicit-def: $vgpr2_vgpr3
	s_and_saveexec_b64 s[24:25], vcc
	s_cbranch_execz .LBB1475_125
; %bb.102:
	ds_read2_b64 v[2:5], v28 offset0:9 offset1:10
	v_cmp_ne_u32_e32 vcc, v18, v19
	v_mov_b32_e32 v18, s69
	v_add_u32_e32 v20, 10, v85
	v_pk_mov_b32 v[46:47], 0, 0
	s_waitcnt lgkmcnt(0)
	v_cndmask_b32_e32 v65, v3, v18, vcc
	v_mov_b32_e32 v3, s68
	v_cndmask_b32_e64 v117, 0, 1, vcc
	v_cndmask_b32_e32 v64, v2, v3, vcc
	v_cmp_gt_u32_e32 vcc, s64, v20
	s_mov_b64 s[30:31], 0
	v_mov_b32_e32 v110, 0
	v_mov_b32_e32 v126, 0
	v_pk_mov_b32 v[82:83], v[46:47], v[46:47] op_sel:[0,1]
	v_mov_b32_e32 v125, 0
	v_pk_mov_b32 v[80:81], v[46:47], v[46:47] op_sel:[0,1]
	;; [unrolled: 2-line block ×9, first 2 shown]
                                        ; implicit-def: $sgpr34_sgpr35
                                        ; implicit-def: $vgpr2_vgpr3
	s_and_saveexec_b64 s[26:27], vcc
	s_cbranch_execz .LBB1475_124
; %bb.103:
	v_cmp_ne_u32_e32 vcc, v19, v16
	v_mov_b32_e32 v3, s69
	v_add_u32_e32 v2, 11, v85
	v_cndmask_b32_e32 v67, v5, v3, vcc
	v_mov_b32_e32 v3, s68
	v_pk_mov_b32 v[46:47], 0, 0
	v_cndmask_b32_e64 v118, 0, 1, vcc
	v_cndmask_b32_e32 v66, v4, v3, vcc
	v_cmp_gt_u32_e32 vcc, s64, v2
	s_mov_b64 s[34:35], 0
	v_mov_b32_e32 v110, 0
	v_mov_b32_e32 v126, 0
	v_pk_mov_b32 v[82:83], v[46:47], v[46:47] op_sel:[0,1]
	v_mov_b32_e32 v125, 0
	v_pk_mov_b32 v[80:81], v[46:47], v[46:47] op_sel:[0,1]
	;; [unrolled: 2-line block ×8, first 2 shown]
                                        ; implicit-def: $sgpr36_sgpr37
                                        ; implicit-def: $vgpr2_vgpr3
	s_and_saveexec_b64 s[28:29], vcc
	s_cbranch_execz .LBB1475_123
; %bb.104:
	ds_read2_b64 v[2:5], v28 offset0:11 offset1:12
	v_cmp_ne_u32_e32 vcc, v16, v17
	v_mov_b32_e32 v16, s69
	v_add_u32_e32 v18, 12, v85
	v_pk_mov_b32 v[46:47], 0, 0
	s_waitcnt lgkmcnt(0)
	v_cndmask_b32_e32 v69, v3, v16, vcc
	v_mov_b32_e32 v3, s68
	v_cndmask_b32_e64 v119, 0, 1, vcc
	v_cndmask_b32_e32 v68, v2, v3, vcc
	v_cmp_gt_u32_e32 vcc, s64, v18
	s_mov_b64 s[36:37], 0
	v_mov_b32_e32 v110, 0
	v_mov_b32_e32 v126, 0
	v_pk_mov_b32 v[82:83], v[46:47], v[46:47] op_sel:[0,1]
	v_mov_b32_e32 v125, 0
	v_pk_mov_b32 v[80:81], v[46:47], v[46:47] op_sel:[0,1]
	;; [unrolled: 2-line block ×7, first 2 shown]
                                        ; implicit-def: $sgpr38_sgpr39
                                        ; implicit-def: $vgpr2_vgpr3
	s_and_saveexec_b64 s[30:31], vcc
	s_cbranch_execz .LBB1475_122
; %bb.105:
	v_cmp_ne_u32_e32 vcc, v17, v14
	v_mov_b32_e32 v3, s69
	v_add_u32_e32 v2, 13, v85
	v_cndmask_b32_e32 v71, v5, v3, vcc
	v_mov_b32_e32 v3, s68
	v_pk_mov_b32 v[46:47], 0, 0
	v_cndmask_b32_e64 v120, 0, 1, vcc
	v_cndmask_b32_e32 v70, v4, v3, vcc
	v_cmp_gt_u32_e32 vcc, s64, v2
	s_mov_b64 s[38:39], 0
	v_mov_b32_e32 v110, 0
	v_mov_b32_e32 v126, 0
	v_pk_mov_b32 v[82:83], v[46:47], v[46:47] op_sel:[0,1]
	v_mov_b32_e32 v125, 0
	v_pk_mov_b32 v[80:81], v[46:47], v[46:47] op_sel:[0,1]
	;; [unrolled: 2-line block ×6, first 2 shown]
                                        ; implicit-def: $sgpr40_sgpr41
                                        ; implicit-def: $vgpr2_vgpr3
	s_and_saveexec_b64 s[34:35], vcc
	s_cbranch_execz .LBB1475_121
; %bb.106:
	ds_read2_b64 v[2:5], v28 offset0:13 offset1:14
	v_cmp_ne_u32_e32 vcc, v14, v15
	v_mov_b32_e32 v14, s69
	v_add_u32_e32 v16, 14, v85
	v_pk_mov_b32 v[46:47], 0, 0
	s_waitcnt lgkmcnt(0)
	v_cndmask_b32_e32 v73, v3, v14, vcc
	v_mov_b32_e32 v3, s68
	v_cndmask_b32_e64 v121, 0, 1, vcc
	v_cndmask_b32_e32 v72, v2, v3, vcc
	v_cmp_gt_u32_e32 vcc, s64, v16
	s_mov_b64 s[40:41], 0
	v_mov_b32_e32 v110, 0
	v_mov_b32_e32 v126, 0
	v_pk_mov_b32 v[82:83], v[46:47], v[46:47] op_sel:[0,1]
	v_mov_b32_e32 v125, 0
	v_pk_mov_b32 v[80:81], v[46:47], v[46:47] op_sel:[0,1]
	;; [unrolled: 2-line block ×5, first 2 shown]
                                        ; implicit-def: $sgpr42_sgpr43
                                        ; implicit-def: $vgpr2_vgpr3
	s_and_saveexec_b64 s[36:37], vcc
	s_cbranch_execz .LBB1475_120
; %bb.107:
	v_cmp_ne_u32_e32 vcc, v15, v12
	v_mov_b32_e32 v3, s69
	v_add_u32_e32 v2, 15, v85
	v_cndmask_b32_e32 v75, v5, v3, vcc
	v_mov_b32_e32 v3, s68
	v_pk_mov_b32 v[46:47], 0, 0
	v_cndmask_b32_e64 v122, 0, 1, vcc
	v_cndmask_b32_e32 v74, v4, v3, vcc
	v_cmp_gt_u32_e32 vcc, s64, v2
	s_mov_b64 s[42:43], 0
	v_mov_b32_e32 v110, 0
	v_mov_b32_e32 v126, 0
	v_pk_mov_b32 v[82:83], v[46:47], v[46:47] op_sel:[0,1]
	v_mov_b32_e32 v125, 0
	v_pk_mov_b32 v[80:81], v[46:47], v[46:47] op_sel:[0,1]
	;; [unrolled: 2-line block ×4, first 2 shown]
                                        ; implicit-def: $sgpr44_sgpr45
                                        ; implicit-def: $vgpr2_vgpr3
	s_and_saveexec_b64 s[38:39], vcc
	s_cbranch_execz .LBB1475_119
; %bb.108:
	ds_read2_b64 v[2:5], v28 offset0:15 offset1:16
	v_cmp_ne_u32_e32 vcc, v12, v13
	v_mov_b32_e32 v12, s69
	v_add_u32_e32 v14, 16, v85
	v_pk_mov_b32 v[46:47], 0, 0
	s_waitcnt lgkmcnt(0)
	v_cndmask_b32_e32 v77, v3, v12, vcc
	v_mov_b32_e32 v3, s68
	v_cndmask_b32_e64 v123, 0, 1, vcc
	v_cndmask_b32_e32 v76, v2, v3, vcc
	v_cmp_gt_u32_e32 vcc, s64, v14
	s_mov_b64 s[44:45], 0
	v_mov_b32_e32 v110, 0
	v_mov_b32_e32 v126, 0
	v_pk_mov_b32 v[82:83], v[46:47], v[46:47] op_sel:[0,1]
	v_mov_b32_e32 v125, 0
	v_pk_mov_b32 v[80:81], v[46:47], v[46:47] op_sel:[0,1]
	;; [unrolled: 2-line block ×3, first 2 shown]
                                        ; implicit-def: $sgpr46_sgpr47
                                        ; implicit-def: $vgpr2_vgpr3
	s_and_saveexec_b64 s[40:41], vcc
	s_cbranch_execz .LBB1475_118
; %bb.109:
	v_cmp_ne_u32_e32 vcc, v13, v10
	v_mov_b32_e32 v3, s69
	v_add_u32_e32 v2, 17, v85
	v_cndmask_b32_e32 v79, v5, v3, vcc
	v_mov_b32_e32 v3, s68
	v_pk_mov_b32 v[46:47], 0, 0
	v_cndmask_b32_e64 v124, 0, 1, vcc
	v_cndmask_b32_e32 v78, v4, v3, vcc
	v_cmp_gt_u32_e32 vcc, s64, v2
	s_mov_b64 s[46:47], 0
	v_mov_b32_e32 v110, 0
	v_mov_b32_e32 v126, 0
	v_pk_mov_b32 v[82:83], v[46:47], v[46:47] op_sel:[0,1]
	v_mov_b32_e32 v125, 0
	v_pk_mov_b32 v[80:81], v[46:47], v[46:47] op_sel:[0,1]
                                        ; implicit-def: $sgpr58_sgpr59
                                        ; implicit-def: $vgpr2_vgpr3
	s_and_saveexec_b64 s[42:43], vcc
	s_cbranch_execz .LBB1475_117
; %bb.110:
	ds_read2_b64 v[2:5], v28 offset0:17 offset1:18
	v_cmp_ne_u32_e32 vcc, v10, v11
	v_mov_b32_e32 v10, s69
	v_add_u32_e32 v12, 18, v85
	v_pk_mov_b32 v[46:47], 0, 0
	s_waitcnt lgkmcnt(0)
	v_cndmask_b32_e32 v81, v3, v10, vcc
	v_mov_b32_e32 v3, s68
	v_cndmask_b32_e64 v125, 0, 1, vcc
	v_cndmask_b32_e32 v80, v2, v3, vcc
	v_cmp_gt_u32_e32 vcc, s64, v12
	s_mov_b64 s[58:59], 0
	v_mov_b32_e32 v110, 0
	v_mov_b32_e32 v126, 0
	v_pk_mov_b32 v[82:83], v[46:47], v[46:47] op_sel:[0,1]
                                        ; implicit-def: $sgpr60_sgpr61
                                        ; implicit-def: $vgpr2_vgpr3
	s_and_saveexec_b64 s[44:45], vcc
	s_cbranch_execz .LBB1475_116
; %bb.111:
	v_cmp_ne_u32_e32 vcc, v11, v8
	v_mov_b32_e32 v3, s69
	v_add_u32_e32 v2, 19, v85
	v_cndmask_b32_e32 v83, v5, v3, vcc
	v_mov_b32_e32 v3, s68
	v_cndmask_b32_e64 v126, 0, 1, vcc
	v_cndmask_b32_e32 v82, v4, v3, vcc
	v_cmp_gt_u32_e32 vcc, s64, v2
	v_mov_b32_e32 v110, 0
	v_pk_mov_b32 v[46:47], 0, 0
                                        ; implicit-def: $sgpr60_sgpr61
                                        ; implicit-def: $vgpr2_vgpr3
	s_and_saveexec_b64 s[46:47], vcc
	s_cbranch_execz .LBB1475_115
; %bb.112:
	ds_read2_b64 v[2:5], v28 offset0:19 offset1:20
	v_cmp_ne_u32_e32 vcc, v8, v9
	v_mov_b32_e32 v8, s69
	v_add_u32_e32 v10, 20, v85
	v_cndmask_b32_e64 v110, 0, 1, vcc
	s_waitcnt lgkmcnt(0)
	v_cndmask_b32_e32 v47, v3, v8, vcc
	v_mov_b32_e32 v3, s68
	v_cndmask_b32_e32 v46, v2, v3, vcc
	v_cmp_gt_u32_e32 vcc, s64, v10
                                        ; implicit-def: $sgpr60_sgpr61
                                        ; implicit-def: $vgpr2_vgpr3
	s_and_saveexec_b64 s[64:65], vcc
	s_xor_b64 s[64:65], exec, s[64:65]
; %bb.113:
	v_mov_b32_e32 v2, s69
	v_cmp_ne_u32_e32 vcc, v9, v84
	v_cndmask_b32_e32 v3, v5, v2, vcc
	v_mov_b32_e32 v2, s68
	s_mov_b64 s[58:59], exec
	v_cndmask_b32_e32 v2, v4, v2, vcc
	s_and_b64 s[60:61], vcc, exec
; %bb.114:
	s_or_b64 exec, exec, s[64:65]
	s_and_b64 s[60:61], s[60:61], exec
	s_and_b64 s[58:59], s[58:59], exec
.LBB1475_115:
	s_or_b64 exec, exec, s[46:47]
	s_and_b64 s[60:61], s[60:61], exec
	s_and_b64 s[46:47], s[58:59], exec
.LBB1475_116:
	s_or_b64 exec, exec, s[44:45]
	s_and_b64 s[58:59], s[60:61], exec
	s_and_b64 s[44:45], s[46:47], exec
.LBB1475_117:
	s_or_b64 exec, exec, s[42:43]
	s_and_b64 s[46:47], s[58:59], exec
	s_and_b64 s[42:43], s[44:45], exec
.LBB1475_118:
	s_or_b64 exec, exec, s[40:41]
	s_and_b64 s[44:45], s[46:47], exec
	s_and_b64 s[40:41], s[42:43], exec
.LBB1475_119:
	s_or_b64 exec, exec, s[38:39]
	s_and_b64 s[42:43], s[44:45], exec
	s_and_b64 s[38:39], s[40:41], exec
.LBB1475_120:
	s_or_b64 exec, exec, s[36:37]
	s_and_b64 s[40:41], s[42:43], exec
	s_and_b64 s[36:37], s[38:39], exec
.LBB1475_121:
	s_or_b64 exec, exec, s[34:35]
	s_and_b64 s[38:39], s[40:41], exec
	s_and_b64 s[34:35], s[36:37], exec
.LBB1475_122:
	s_or_b64 exec, exec, s[30:31]
	s_and_b64 s[36:37], s[38:39], exec
	s_and_b64 s[30:31], s[34:35], exec
.LBB1475_123:
	s_or_b64 exec, exec, s[28:29]
	s_and_b64 s[34:35], s[36:37], exec
	s_and_b64 s[28:29], s[30:31], exec
.LBB1475_124:
	s_or_b64 exec, exec, s[26:27]
	s_and_b64 s[30:31], s[34:35], exec
	s_and_b64 s[26:27], s[28:29], exec
.LBB1475_125:
	s_or_b64 exec, exec, s[24:25]
	s_and_b64 s[28:29], s[30:31], exec
	s_and_b64 s[24:25], s[26:27], exec
.LBB1475_126:
	s_or_b64 exec, exec, s[22:23]
	s_and_b64 s[26:27], s[28:29], exec
	s_and_b64 s[22:23], s[24:25], exec
.LBB1475_127:
	s_or_b64 exec, exec, s[20:21]
	s_and_b64 s[24:25], s[26:27], exec
	s_and_b64 s[20:21], s[22:23], exec
.LBB1475_128:
	s_or_b64 exec, exec, s[18:19]
	s_and_b64 s[22:23], s[24:25], exec
	s_and_b64 s[18:19], s[20:21], exec
.LBB1475_129:
	s_or_b64 exec, exec, s[16:17]
	s_and_b64 s[20:21], s[22:23], exec
	s_and_b64 s[16:17], s[18:19], exec
.LBB1475_130:
	s_or_b64 exec, exec, s[14:15]
	s_and_b64 s[18:19], s[20:21], exec
	s_and_b64 s[14:15], s[16:17], exec
.LBB1475_131:
	s_or_b64 exec, exec, s[12:13]
	s_and_b64 s[16:17], s[18:19], exec
	s_and_b64 s[12:13], s[14:15], exec
.LBB1475_132:
	s_or_b64 exec, exec, s[10:11]
	s_and_b64 s[14:15], s[16:17], exec
	s_and_b64 s[10:11], s[12:13], exec
.LBB1475_133:
	s_or_b64 exec, exec, s[8:9]
	s_and_b64 s[8:9], s[14:15], exec
	s_and_b64 s[10:11], s[10:11], exec
.LBB1475_134:
	s_or_b64 exec, exec, s[6:7]
	s_mov_b64 s[6:7], 0
	s_and_b64 vcc, exec, s[4:5]
	s_cbranch_vccz .LBB1475_140
.LBB1475_135:
	v_lshlrev_b32_e32 v2, 2, v0
	v_add_co_u32_e32 v4, vcc, v6, v2
	v_addc_co_u32_e32 v5, vcc, 0, v7, vcc
	s_movk_i32 s6, 0x1000
	flat_load_dword v1, v[4:5]
	flat_load_dword v3, v[4:5] offset:256
	flat_load_dword v8, v[4:5] offset:512
	;; [unrolled: 1-line block ×15, first 2 shown]
	v_add_co_u32_e32 v4, vcc, s6, v4
	v_addc_co_u32_e32 v5, vcc, 0, v5, vcc
	flat_load_dword v22, v[4:5]
	flat_load_dword v23, v[4:5] offset:256
	flat_load_dword v24, v[4:5] offset:512
	;; [unrolled: 1-line block ×4, first 2 shown]
	v_add_co_u32_e32 v4, vcc, 0x1000, v6
	v_addc_co_u32_e32 v5, vcc, 0, v7, vcc
	s_movk_i32 s4, 0x50
	v_cmp_ne_u32_e32 vcc, 63, v0
	s_waitcnt vmcnt(0) lgkmcnt(0)
	ds_write2st64_b32 v2, v1, v3 offset1:1
	ds_write2st64_b32 v2, v8, v9 offset0:2 offset1:3
	ds_write2st64_b32 v2, v10, v11 offset0:4 offset1:5
	;; [unrolled: 1-line block ×9, first 2 shown]
	ds_write_b32 v2, v26 offset:5120
	s_waitcnt lgkmcnt(0)
	; wave barrier
	s_waitcnt lgkmcnt(0)
	flat_load_dword v88, v[4:5] offset:1280
	v_mad_u32_u24 v3, v0, s4, v2
	s_movk_i32 s4, 0xffb0
	ds_read_b32 v1, v3
	ds_read2_b32 v[62:63], v3 offset0:1 offset1:2
	ds_read2_b32 v[60:61], v3 offset0:3 offset1:4
	ds_read2_b32 v[58:59], v3 offset0:5 offset1:6
	ds_read2_b32 v[56:57], v3 offset0:7 offset1:8
	ds_read2_b32 v[54:55], v3 offset0:9 offset1:10
	ds_read2_b32 v[52:53], v3 offset0:11 offset1:12
	ds_read2_b32 v[50:51], v3 offset0:13 offset1:14
	ds_read2_b32 v[48:49], v3 offset0:15 offset1:16
	ds_read2_b32 v[46:47], v3 offset0:17 offset1:18
	ds_read2_b32 v[84:85], v3 offset0:19 offset1:20
	v_mad_i32_i24 v3, v0, s4, v3
	s_waitcnt lgkmcnt(0)
	ds_write_b32 v3, v1 offset:5632
	s_waitcnt lgkmcnt(0)
	; wave barrier
	s_waitcnt lgkmcnt(0)
	s_and_saveexec_b64 s[4:5], vcc
	s_cbranch_execz .LBB1475_137
; %bb.136:
	s_waitcnt vmcnt(0)
	ds_read_b32 v88, v2 offset:5636
.LBB1475_137:
	s_or_b64 exec, exec, s[4:5]
	v_lshlrev_b32_e32 v2, 3, v0
	v_add_co_u32_e32 v4, vcc, v86, v2
	v_addc_co_u32_e32 v5, vcc, 0, v87, vcc
	v_add_co_u32_e32 v22, vcc, s6, v4
	v_addc_co_u32_e32 v23, vcc, 0, v5, vcc
	s_movk_i32 s4, 0x2000
	s_waitcnt lgkmcnt(0)
	; wave barrier
	s_waitcnt lgkmcnt(0)
	flat_load_dwordx2 v[6:7], v[4:5]
	flat_load_dwordx2 v[8:9], v[4:5] offset:512
	flat_load_dwordx2 v[10:11], v[4:5] offset:1024
	;; [unrolled: 1-line block ×7, first 2 shown]
	v_add_co_u32_e32 v4, vcc, s4, v4
	v_addc_co_u32_e32 v5, vcc, 0, v5, vcc
	flat_load_dwordx2 v[24:25], v[22:23]
	flat_load_dwordx2 v[26:27], v[22:23] offset:512
	flat_load_dwordx2 v[28:29], v[22:23] offset:1024
	;; [unrolled: 1-line block ×7, first 2 shown]
	s_nop 0
	flat_load_dwordx2 v[22:23], v[4:5]
	flat_load_dwordx2 v[40:41], v[4:5] offset:512
	flat_load_dwordx2 v[44:45], v[4:5] offset:1024
	;; [unrolled: 1-line block ×4, first 2 shown]
	v_lshl_add_u32 v64, v0, 2, v3
	s_movk_i32 s4, 0xa0
	v_mad_u32_u24 v2, v0, s4, v64
	v_cmp_ne_u32_e32 vcc, v1, v62
	v_cmp_eq_u32_e64 s[4:5], v1, v62
	s_waitcnt vmcnt(0) lgkmcnt(0)
	ds_write2st64_b64 v64, v[6:7], v[8:9] offset1:1
	ds_write2st64_b64 v64, v[10:11], v[12:13] offset0:2 offset1:3
	ds_write2st64_b64 v64, v[14:15], v[16:17] offset0:4 offset1:5
	;; [unrolled: 1-line block ×9, first 2 shown]
	ds_write_b64 v64, v[68:69] offset:10240
	s_waitcnt lgkmcnt(0)
	; wave barrier
	s_waitcnt lgkmcnt(0)
	ds_read2_b64 v[38:41], v2 offset0:1 offset1:2
	ds_read2_b64 v[34:37], v2 offset0:3 offset1:4
	;; [unrolled: 1-line block ×10, first 2 shown]
	v_pk_mov_b32 v[44:45], s[68:69], s[68:69] op_sel:[0,1]
	s_and_saveexec_b64 s[6:7], s[4:5]
	s_cbranch_execz .LBB1475_139
; %bb.138:
	v_mul_u32_u24_e32 v1, 0xa0, v0
	v_add_u32_e32 v1, v64, v1
	ds_read_b64 v[44:45], v1
.LBB1475_139:
	s_or_b64 exec, exec, s[6:7]
	v_cndmask_b32_e64 v1, 0, 1, vcc
	v_cmp_ne_u32_e32 vcc, v62, v63
	v_cmp_ne_u32_e64 s[38:39], v47, v84
	v_cmp_ne_u32_e64 s[40:41], v84, v85
	v_mov_b32_e32 v84, s69
	v_cmp_ne_u32_e64 s[8:9], v61, v58
	v_cmp_ne_u32_e64 s[30:31], v48, v49
	;; [unrolled: 1-line block ×3, first 2 shown]
	s_waitcnt lgkmcnt(9)
	v_cndmask_b32_e32 v49, v39, v84, vcc
	v_mov_b32_e32 v39, s68
	v_cmp_ne_u32_e64 s[4:5], v63, v60
	v_cmp_ne_u32_e64 s[6:7], v60, v61
	v_cndmask_b32_e64 v112, 0, 1, s[8:9]
	v_cmp_ne_u32_e64 s[10:11], v58, v59
	v_cmp_ne_u32_e64 s[12:13], v59, v56
	;; [unrolled: 1-line block ×11, first 2 shown]
	s_waitcnt lgkmcnt(8)
	v_cndmask_b32_e64 v55, v37, v84, s[8:9]
	v_cndmask_b32_e64 v54, v36, v39, s[8:9]
	v_cmp_ne_u32_e64 s[8:9], v85, v88
	v_cndmask_b32_e64 v108, 0, 1, vcc
	v_cndmask_b32_e64 v109, 0, 1, s[4:5]
	v_cndmask_b32_e64 v111, 0, 1, s[6:7]
	;; [unrolled: 1-line block ×17, first 2 shown]
	v_cndmask_b32_e32 v48, v38, v39, vcc
	v_cndmask_b32_e64 v51, v41, v84, s[4:5]
	v_cndmask_b32_e64 v50, v40, v39, s[4:5]
	v_cndmask_b32_e64 v53, v35, v84, s[6:7]
	v_cndmask_b32_e64 v52, v34, v39, s[6:7]
	s_waitcnt lgkmcnt(7)
	v_cndmask_b32_e64 v57, v31, v84, s[10:11]
	v_cndmask_b32_e64 v56, v30, v39, s[10:11]
	v_cndmask_b32_e64 v59, v33, v84, s[12:13]
	v_cndmask_b32_e64 v58, v32, v39, s[12:13]
	s_waitcnt lgkmcnt(6)
	;; [unrolled: 5-line block ×8, first 2 shown]
	v_cndmask_b32_e64 v47, v3, v84, s[40:41]
	v_cndmask_b32_e64 v46, v2, v39, s[40:41]
	;; [unrolled: 1-line block ×4, first 2 shown]
	s_mov_b64 s[10:11], -1
                                        ; implicit-def: $sgpr72
                                        ; implicit-def: $sgpr6_sgpr7
.LBB1475_140:
	v_pk_mov_b32 v[84:85], s[6:7], s[6:7] op_sel:[0,1]
	v_mov_b32_e32 v127, s72
	s_and_saveexec_b64 s[4:5], s[10:11]
; %bb.141:
	v_cndmask_b32_e64 v127, 0, 1, s[8:9]
	v_pk_mov_b32 v[84:85], v[2:3], v[2:3] op_sel:[0,1]
; %bb.142:
	s_or_b64 exec, exec, s[4:5]
	v_or_b32_e32 v2, v127, v110
	s_cmp_lg_u32 s55, 0
	v_or_b32_e32 v129, v2, v126
	v_mbcnt_lo_u32_b32 v128, -1, 0
	s_waitcnt lgkmcnt(0)
	; wave barrier
	s_waitcnt lgkmcnt(0)
	s_cbranch_scc0 .LBB1475_205
; %bb.143:
	v_mov_b32_e32 v2, 0
	v_cmp_eq_u16_sdwa s[42:43], v108, v2 src0_sel:BYTE_0 src1_sel:DWORD
	v_cndmask_b32_e64 v4, 0, v44, s[42:43]
	v_cndmask_b32_e64 v3, 0, v45, s[42:43]
	v_add_co_u32_e32 v4, vcc, v4, v48
	v_cmp_eq_u16_sdwa s[40:41], v109, v2 src0_sel:BYTE_0 src1_sel:DWORD
	v_addc_co_u32_e32 v3, vcc, v3, v49, vcc
	v_cndmask_b32_e64 v4, 0, v4, s[40:41]
	v_cndmask_b32_e64 v3, 0, v3, s[40:41]
	v_add_co_u32_e32 v4, vcc, v4, v50
	v_cmp_eq_u16_sdwa s[38:39], v111, v2 src0_sel:BYTE_0 src1_sel:DWORD
	v_addc_co_u32_e32 v3, vcc, v3, v51, vcc
	v_cndmask_b32_e64 v4, 0, v4, s[38:39]
	v_cndmask_b32_e64 v3, 0, v3, s[38:39]
	v_add_co_u32_e32 v4, vcc, v4, v52
	v_cmp_eq_u16_sdwa s[36:37], v112, v2 src0_sel:BYTE_0 src1_sel:DWORD
	v_addc_co_u32_e32 v3, vcc, v3, v53, vcc
	v_cndmask_b32_e64 v4, 0, v4, s[36:37]
	v_cndmask_b32_e64 v3, 0, v3, s[36:37]
	v_add_co_u32_e32 v4, vcc, v4, v54
	v_cmp_eq_u16_sdwa s[34:35], v113, v2 src0_sel:BYTE_0 src1_sel:DWORD
	v_addc_co_u32_e32 v3, vcc, v3, v55, vcc
	v_cndmask_b32_e64 v4, 0, v4, s[34:35]
	v_cndmask_b32_e64 v3, 0, v3, s[34:35]
	v_add_co_u32_e32 v4, vcc, v4, v56
	v_cmp_eq_u16_sdwa s[30:31], v114, v2 src0_sel:BYTE_0 src1_sel:DWORD
	v_addc_co_u32_e32 v3, vcc, v3, v57, vcc
	v_cndmask_b32_e64 v4, 0, v4, s[30:31]
	v_cndmask_b32_e64 v3, 0, v3, s[30:31]
	v_add_co_u32_e32 v4, vcc, v4, v58
	v_cmp_eq_u16_sdwa s[28:29], v115, v2 src0_sel:BYTE_0 src1_sel:DWORD
	v_addc_co_u32_e32 v3, vcc, v3, v59, vcc
	v_cndmask_b32_e64 v4, 0, v4, s[28:29]
	v_cndmask_b32_e64 v3, 0, v3, s[28:29]
	v_add_co_u32_e32 v4, vcc, v4, v60
	v_cmp_eq_u16_sdwa s[26:27], v116, v2 src0_sel:BYTE_0 src1_sel:DWORD
	v_addc_co_u32_e32 v3, vcc, v3, v61, vcc
	v_cndmask_b32_e64 v4, 0, v4, s[26:27]
	v_cndmask_b32_e64 v3, 0, v3, s[26:27]
	v_add_co_u32_e32 v4, vcc, v4, v62
	v_cmp_eq_u16_sdwa s[24:25], v117, v2 src0_sel:BYTE_0 src1_sel:DWORD
	v_addc_co_u32_e32 v3, vcc, v3, v63, vcc
	v_cndmask_b32_e64 v4, 0, v4, s[24:25]
	v_cndmask_b32_e64 v3, 0, v3, s[24:25]
	v_add_co_u32_e32 v4, vcc, v4, v64
	v_cmp_eq_u16_sdwa s[22:23], v118, v2 src0_sel:BYTE_0 src1_sel:DWORD
	v_addc_co_u32_e32 v3, vcc, v3, v65, vcc
	v_cndmask_b32_e64 v4, 0, v4, s[22:23]
	v_cndmask_b32_e64 v3, 0, v3, s[22:23]
	v_add_co_u32_e32 v4, vcc, v4, v66
	v_cmp_eq_u16_sdwa s[20:21], v119, v2 src0_sel:BYTE_0 src1_sel:DWORD
	v_addc_co_u32_e32 v3, vcc, v3, v67, vcc
	v_cndmask_b32_e64 v4, 0, v4, s[20:21]
	v_cndmask_b32_e64 v3, 0, v3, s[20:21]
	v_add_co_u32_e32 v4, vcc, v4, v68
	v_cmp_eq_u16_sdwa s[18:19], v120, v2 src0_sel:BYTE_0 src1_sel:DWORD
	v_addc_co_u32_e32 v3, vcc, v3, v69, vcc
	v_cndmask_b32_e64 v4, 0, v4, s[18:19]
	v_cndmask_b32_e64 v3, 0, v3, s[18:19]
	v_add_co_u32_e32 v4, vcc, v4, v70
	v_cmp_eq_u16_sdwa s[16:17], v121, v2 src0_sel:BYTE_0 src1_sel:DWORD
	v_addc_co_u32_e32 v3, vcc, v3, v71, vcc
	v_cndmask_b32_e64 v4, 0, v4, s[16:17]
	v_cndmask_b32_e64 v3, 0, v3, s[16:17]
	v_add_co_u32_e32 v4, vcc, v4, v72
	v_cmp_eq_u16_sdwa s[14:15], v122, v2 src0_sel:BYTE_0 src1_sel:DWORD
	v_addc_co_u32_e32 v3, vcc, v3, v73, vcc
	v_cndmask_b32_e64 v4, 0, v4, s[14:15]
	v_cndmask_b32_e64 v3, 0, v3, s[14:15]
	v_add_co_u32_e32 v4, vcc, v4, v74
	v_cmp_eq_u16_sdwa s[12:13], v123, v2 src0_sel:BYTE_0 src1_sel:DWORD
	v_addc_co_u32_e32 v3, vcc, v3, v75, vcc
	v_cndmask_b32_e64 v4, 0, v4, s[12:13]
	v_cndmask_b32_e64 v3, 0, v3, s[12:13]
	v_add_co_u32_e32 v4, vcc, v4, v76
	v_cmp_eq_u16_sdwa s[10:11], v124, v2 src0_sel:BYTE_0 src1_sel:DWORD
	v_addc_co_u32_e32 v3, vcc, v3, v77, vcc
	v_cndmask_b32_e64 v4, 0, v4, s[10:11]
	v_cndmask_b32_e64 v3, 0, v3, s[10:11]
	v_add_co_u32_e32 v4, vcc, v4, v78
	v_cmp_eq_u16_sdwa s[8:9], v125, v2 src0_sel:BYTE_0 src1_sel:DWORD
	v_addc_co_u32_e32 v3, vcc, v3, v79, vcc
	v_cndmask_b32_e64 v4, 0, v4, s[8:9]
	v_cndmask_b32_e64 v3, 0, v3, s[8:9]
	v_add_co_u32_e32 v4, vcc, v4, v80
	v_cmp_eq_u16_sdwa s[6:7], v126, v2 src0_sel:BYTE_0 src1_sel:DWORD
	v_addc_co_u32_e32 v3, vcc, v3, v81, vcc
	v_cndmask_b32_e64 v4, 0, v4, s[6:7]
	v_cndmask_b32_e64 v3, 0, v3, s[6:7]
	v_add_co_u32_e32 v4, vcc, v4, v82
	v_cmp_eq_u16_sdwa s[4:5], v110, v2 src0_sel:BYTE_0 src1_sel:DWORD
	v_addc_co_u32_e32 v3, vcc, v3, v83, vcc
	v_cndmask_b32_e64 v4, 0, v4, s[4:5]
	v_cndmask_b32_e64 v3, 0, v3, s[4:5]
	v_add_co_u32_e32 v4, vcc, v4, v46
	v_addc_co_u32_e32 v3, vcc, v3, v47, vcc
	v_cmp_eq_u16_sdwa vcc, v127, v2 src0_sel:BYTE_0 src1_sel:DWORD
	v_cndmask_b32_e32 v2, 0, v4, vcc
	v_or_b32_e32 v4, v129, v125
	v_or_b32_e32 v4, v4, v124
	;; [unrolled: 1-line block ×17, first 2 shown]
	v_cndmask_b32_e32 v3, 0, v3, vcc
	v_add_co_u32_e32 v2, vcc, v2, v84
	v_or_b32_e32 v4, v4, v1
	v_mbcnt_hi_u32_b32 v5, -1, v128
	v_addc_co_u32_e32 v3, vcc, v3, v85, vcc
	v_and_b32_e32 v4, 1, v4
	v_and_b32_e32 v7, 15, v5
	v_cmp_eq_u32_e32 vcc, 1, v4
	v_mov_b32_dpp v9, v2 row_shr:1 row_mask:0xf bank_mask:0xf
	v_mov_b32_dpp v10, v3 row_shr:1 row_mask:0xf bank_mask:0xf
	;; [unrolled: 1-line block ×3, first 2 shown]
	v_cmp_ne_u32_e64 s[44:45], 0, v7
	v_mov_b32_e32 v6, v4
	s_and_saveexec_b64 s[46:47], s[44:45]
; %bb.144:
	v_cndmask_b32_e64 v9, v9, 0, vcc
	v_cndmask_b32_e64 v6, v10, 0, vcc
	v_add_co_u32_e32 v2, vcc, v9, v2
	v_addc_co_u32_e32 v3, vcc, v6, v3, vcc
	v_and_b32_e32 v6, 1, v8
	v_or_b32_e32 v4, v6, v4
	v_and_b32_e32 v6, 0xffff, v4
; %bb.145:
	s_or_b64 exec, exec, s[46:47]
	v_mov_b32_dpp v9, v2 row_shr:2 row_mask:0xf bank_mask:0xf
	v_mov_b32_dpp v10, v3 row_shr:2 row_mask:0xf bank_mask:0xf
	v_mov_b32_dpp v8, v6 row_shr:2 row_mask:0xf bank_mask:0xf
	v_cmp_lt_u32_e32 vcc, 1, v7
	s_and_saveexec_b64 s[46:47], vcc
	s_cbranch_execz .LBB1475_147
; %bb.146:
	v_cmp_eq_u16_e32 vcc, 0, v4
	v_cndmask_b32_e32 v9, 0, v9, vcc
	v_cndmask_b32_e32 v6, 0, v10, vcc
	v_add_co_u32_e32 v2, vcc, v9, v2
	v_addc_co_u32_e32 v3, vcc, v6, v3, vcc
	v_and_b32_e32 v4, 1, v4
	v_cmp_eq_u32_e32 vcc, 1, v4
	v_and_b32_e32 v4, 1, v8
	v_cmp_eq_u32_e64 s[44:45], 1, v4
	s_or_b64 s[44:45], vcc, s[44:45]
	v_cndmask_b32_e64 v4, 0, 1, s[44:45]
	v_cndmask_b32_e64 v6, 0, 1, s[44:45]
.LBB1475_147:
	s_or_b64 exec, exec, s[46:47]
	v_mov_b32_dpp v9, v2 row_shr:4 row_mask:0xf bank_mask:0xf
	v_mov_b32_dpp v10, v3 row_shr:4 row_mask:0xf bank_mask:0xf
	v_mov_b32_dpp v8, v6 row_shr:4 row_mask:0xf bank_mask:0xf
	v_cmp_lt_u32_e32 vcc, 3, v7
	s_and_saveexec_b64 s[46:47], vcc
	s_cbranch_execz .LBB1475_149
; %bb.148:
	v_cmp_eq_u16_e32 vcc, 0, v4
	v_cndmask_b32_e32 v9, 0, v9, vcc
	v_cndmask_b32_e32 v6, 0, v10, vcc
	v_add_co_u32_e32 v2, vcc, v9, v2
	v_addc_co_u32_e32 v3, vcc, v6, v3, vcc
	v_and_b32_e32 v4, 1, v4
	v_cmp_eq_u32_e32 vcc, 1, v4
	v_and_b32_e32 v4, 1, v8
	v_cmp_eq_u32_e64 s[44:45], 1, v4
	s_or_b64 s[44:45], vcc, s[44:45]
	v_cndmask_b32_e64 v4, 0, 1, s[44:45]
	v_cndmask_b32_e64 v6, 0, 1, s[44:45]
.LBB1475_149:
	;; [unrolled: 21-line block ×3, first 2 shown]
	s_or_b64 exec, exec, s[46:47]
	v_and_b32_e32 v10, 16, v5
	v_mov_b32_dpp v8, v2 row_bcast:15 row_mask:0xf bank_mask:0xf
	v_mov_b32_dpp v9, v3 row_bcast:15 row_mask:0xf bank_mask:0xf
	;; [unrolled: 1-line block ×3, first 2 shown]
	v_cmp_ne_u32_e32 vcc, 0, v10
	s_and_saveexec_b64 s[46:47], vcc
	s_cbranch_execz .LBB1475_153
; %bb.152:
	v_cmp_eq_u16_e32 vcc, 0, v4
	v_cndmask_b32_e32 v8, 0, v8, vcc
	v_cndmask_b32_e32 v6, 0, v9, vcc
	v_add_co_u32_e32 v2, vcc, v8, v2
	v_addc_co_u32_e32 v3, vcc, v6, v3, vcc
	v_and_b32_e32 v4, 1, v4
	v_cmp_eq_u32_e32 vcc, 1, v4
	v_and_b32_e32 v4, 1, v7
	v_cmp_eq_u32_e64 s[44:45], 1, v4
	s_or_b64 s[44:45], vcc, s[44:45]
	v_cndmask_b32_e64 v4, 0, 1, s[44:45]
	v_cndmask_b32_e64 v6, 0, 1, s[44:45]
.LBB1475_153:
	s_or_b64 exec, exec, s[46:47]
	v_mov_b32_dpp v7, v2 row_bcast:31 row_mask:0xf bank_mask:0xf
	v_mov_b32_dpp v8, v3 row_bcast:31 row_mask:0xf bank_mask:0xf
	v_mov_b32_dpp v6, v6 row_bcast:31 row_mask:0xf bank_mask:0xf
	v_cmp_lt_u32_e32 vcc, 31, v5
	s_and_saveexec_b64 s[46:47], vcc
; %bb.154:
	v_cmp_eq_u16_e32 vcc, 0, v4
	v_cndmask_b32_e32 v7, 0, v7, vcc
	v_cndmask_b32_e32 v8, 0, v8, vcc
	v_add_co_u32_e32 v2, vcc, v7, v2
	v_addc_co_u32_e32 v3, vcc, v8, v3, vcc
	v_and_b32_e32 v4, 1, v4
	v_cmp_eq_u32_e32 vcc, 1, v4
	v_and_b32_e32 v4, 1, v6
	v_cmp_eq_u32_e64 s[44:45], 1, v4
	s_or_b64 s[44:45], vcc, s[44:45]
	v_cndmask_b32_e64 v4, 0, 1, s[44:45]
; %bb.155:
	s_or_b64 exec, exec, s[46:47]
	v_cmp_eq_u32_e32 vcc, 63, v0
	s_and_saveexec_b64 s[44:45], vcc
	s_cbranch_execz .LBB1475_157
; %bb.156:
	v_mov_b32_e32 v6, 0
	ds_write_b64 v6, v[2:3]
	ds_write_b8 v6, v4 offset:8
.LBB1475_157:
	s_or_b64 exec, exec, s[44:45]
	v_add_u32_e32 v6, -1, v5
	v_and_b32_e32 v7, 64, v5
	v_cmp_lt_i32_e32 vcc, v6, v7
	v_cndmask_b32_e32 v6, v6, v5, vcc
	v_lshlrev_b32_e32 v6, 2, v6
	ds_bpermute_b32 v12, v6, v2
	v_and_b32_e32 v2, 0xffff, v4
	ds_bpermute_b32 v13, v6, v3
	ds_bpermute_b32 v14, v6, v2
	v_cmp_gt_u32_e32 vcc, 64, v0
	s_waitcnt lgkmcnt(0)
	; wave barrier
	s_waitcnt lgkmcnt(0)
	s_and_saveexec_b64 s[58:59], vcc
	s_cbranch_execz .LBB1475_204
; %bb.158:
	v_mov_b32_e32 v7, 0
	ds_read_b64 v[2:3], v7
	ds_read_u8 v15, v7 offset:8
	s_mov_b32 s61, 0
	v_cmp_eq_u32_e64 s[44:45], 0, v5
	s_and_saveexec_b64 s[46:47], s[44:45]
	s_cbranch_execz .LBB1475_160
; %bb.159:
	s_add_i32 s60, s55, 64
	s_lshl_b64 s[64:65], s[60:61], 4
	s_add_u32 s64, s48, s64
	s_addc_u32 s65, s49, s65
	v_mov_b32_e32 v4, s60
	v_mov_b32_e32 v6, 1
	s_waitcnt lgkmcnt(1)
	global_store_dwordx2 v7, v[2:3], s[64:65]
	s_waitcnt lgkmcnt(0)
	global_store_byte v7, v15, s[64:65] offset:8
	s_waitcnt vmcnt(0)
	buffer_wbinvl1_vol
	global_store_byte v4, v6, s[52:53]
.LBB1475_160:
	s_or_b64 exec, exec, s[46:47]
	v_xad_u32 v4, v5, -1, s55
	v_add_u32_e32 v6, 64, v4
	global_load_ubyte v16, v6, s[52:53] glc
	s_waitcnt vmcnt(0)
	v_cmp_eq_u16_e32 vcc, 0, v16
	s_and_saveexec_b64 s[46:47], vcc
	s_cbranch_execz .LBB1475_166
; %bb.161:
	v_mov_b32_e32 v9, s53
	v_add_co_u32_e32 v8, vcc, s52, v6
	v_addc_co_u32_e32 v9, vcc, 0, v9, vcc
	s_mov_b32 s64, 1
	s_mov_b64 s[60:61], 0
.LBB1475_162:                           ; =>This Loop Header: Depth=1
                                        ;     Child Loop BB1475_163 Depth 2
	s_max_u32 s65, s64, 1
.LBB1475_163:                           ;   Parent Loop BB1475_162 Depth=1
                                        ; =>  This Inner Loop Header: Depth=2
	s_add_i32 s65, s65, -1
	s_cmp_eq_u32 s65, 0
	s_sleep 1
	s_cbranch_scc0 .LBB1475_163
; %bb.164:                              ;   in Loop: Header=BB1475_162 Depth=1
	global_load_ubyte v16, v[8:9], off glc
	s_cmp_lt_u32 s64, 32
	s_cselect_b64 s[72:73], -1, 0
	s_cmp_lg_u64 s[72:73], 0
	s_addc_u32 s64, s64, 0
	s_waitcnt vmcnt(0)
	v_cmp_ne_u16_e32 vcc, 0, v16
	s_or_b64 s[60:61], vcc, s[60:61]
	s_andn2_b64 exec, exec, s[60:61]
	s_cbranch_execnz .LBB1475_162
; %bb.165:
	s_or_b64 exec, exec, s[60:61]
.LBB1475_166:
	s_or_b64 exec, exec, s[46:47]
	v_mov_b32_e32 v8, s51
	v_mov_b32_e32 v9, s49
	v_cmp_eq_u16_e32 vcc, 1, v16
	v_cndmask_b32_e32 v8, v8, v9, vcc
	v_mov_b32_e32 v9, s50
	v_mov_b32_e32 v10, s48
	v_cndmask_b32_e32 v9, v9, v10, vcc
	v_lshlrev_b64 v[6:7], 4, v[6:7]
	v_add_co_u32_e32 v6, vcc, v9, v6
	v_addc_co_u32_e32 v7, vcc, v8, v7, vcc
	s_waitcnt lgkmcnt(0)
	buffer_wbinvl1_vol
	global_load_dwordx2 v[10:11], v[6:7], off
	global_load_ubyte v31, v[6:7], off offset:8
	v_cmp_eq_u16_e32 vcc, 2, v16
	v_lshlrev_b64 v[6:7], v5, -1
	v_and_b32_e32 v17, 63, v5
	v_and_b32_e32 v8, vcc_hi, v7
	v_and_b32_e32 v22, vcc_lo, v6
	v_cmp_ne_u32_e32 vcc, 63, v17
	v_addc_co_u32_e32 v9, vcc, 0, v5, vcc
	v_lshlrev_b32_e32 v18, 2, v9
	v_or_b32_e32 v8, 0x80000000, v8
	v_ffbl_b32_e32 v8, v8
	v_add_u32_e32 v8, 32, v8
	v_ffbl_b32_e32 v22, v22
	v_min_u32_e32 v8, v22, v8
	v_cmp_lt_u32_e32 vcc, v17, v8
	s_waitcnt vmcnt(1)
	ds_bpermute_b32 v20, v18, v10
	s_waitcnt vmcnt(0)
	v_and_b32_e32 v9, 1, v31
	ds_bpermute_b32 v21, v18, v11
	ds_bpermute_b32 v19, v18, v9
	s_and_saveexec_b64 s[46:47], vcc
	s_cbranch_execz .LBB1475_168
; %bb.167:
	v_mov_b32_e32 v9, 0
	v_cmp_eq_u16_sdwa vcc, v31, v9 src0_sel:BYTE_0 src1_sel:DWORD
	s_waitcnt lgkmcnt(2)
	v_cndmask_b32_e32 v20, 0, v20, vcc
	s_waitcnt lgkmcnt(1)
	v_cndmask_b32_e32 v9, 0, v21, vcc
	v_add_co_u32_e32 v10, vcc, v20, v10
	v_addc_co_u32_e32 v11, vcc, v9, v11, vcc
	s_waitcnt lgkmcnt(0)
	v_and_b32_e32 v9, 1, v19
	v_or_b32_e32 v31, v9, v31
	v_and_b32_e32 v9, 0xff, v31
.LBB1475_168:
	s_or_b64 exec, exec, s[46:47]
	v_cmp_gt_u32_e32 vcc, 62, v17
	s_waitcnt lgkmcnt(0)
	v_cndmask_b32_e64 v19, 0, 1, vcc
	v_lshlrev_b32_e32 v19, 1, v19
	v_add_lshl_u32 v19, v19, v5, 2
	ds_bpermute_b32 v22, v19, v10
	ds_bpermute_b32 v23, v19, v11
	ds_bpermute_b32 v21, v19, v9
	v_add_u32_e32 v20, 2, v17
	v_cmp_le_u32_e32 vcc, v20, v8
	s_and_saveexec_b64 s[60:61], vcc
	s_cbranch_execz .LBB1475_170
; %bb.169:
	v_mov_b32_e32 v9, 0
	v_cmp_eq_u16_sdwa vcc, v31, v9 src0_sel:BYTE_0 src1_sel:DWORD
	s_waitcnt lgkmcnt(2)
	v_cndmask_b32_e32 v22, 0, v22, vcc
	s_waitcnt lgkmcnt(1)
	v_cndmask_b32_e32 v9, 0, v23, vcc
	v_add_co_u32_e32 v10, vcc, v22, v10
	v_addc_co_u32_e32 v11, vcc, v9, v11, vcc
	v_and_b32_e32 v9, 1, v31
	v_cmp_eq_u32_e32 vcc, 1, v9
	s_waitcnt lgkmcnt(0)
	v_and_b32_e32 v9, 1, v21
	v_cmp_eq_u32_e64 s[46:47], 1, v9
	s_or_b64 s[46:47], vcc, s[46:47]
	v_cndmask_b32_e64 v31, 0, 1, s[46:47]
	v_cndmask_b32_e64 v9, 0, 1, s[46:47]
.LBB1475_170:
	s_or_b64 exec, exec, s[60:61]
	v_cmp_gt_u32_e32 vcc, 60, v17
	s_waitcnt lgkmcnt(0)
	v_cndmask_b32_e64 v21, 0, 1, vcc
	v_lshlrev_b32_e32 v21, 2, v21
	v_add_lshl_u32 v21, v21, v5, 2
	ds_bpermute_b32 v24, v21, v10
	ds_bpermute_b32 v25, v21, v11
	ds_bpermute_b32 v23, v21, v9
	v_add_u32_e32 v22, 4, v17
	v_cmp_le_u32_e32 vcc, v22, v8
	s_and_saveexec_b64 s[60:61], vcc
	s_cbranch_execz .LBB1475_172
; %bb.171:
	v_mov_b32_e32 v9, 0
	v_cmp_eq_u16_sdwa vcc, v31, v9 src0_sel:BYTE_0 src1_sel:DWORD
	s_waitcnt lgkmcnt(2)
	v_cndmask_b32_e32 v24, 0, v24, vcc
	s_waitcnt lgkmcnt(1)
	v_cndmask_b32_e32 v9, 0, v25, vcc
	v_add_co_u32_e32 v10, vcc, v24, v10
	v_addc_co_u32_e32 v11, vcc, v9, v11, vcc
	v_and_b32_e32 v9, 1, v31
	v_cmp_eq_u32_e32 vcc, 1, v9
	s_waitcnt lgkmcnt(0)
	v_and_b32_e32 v9, 1, v23
	v_cmp_eq_u32_e64 s[46:47], 1, v9
	s_or_b64 s[46:47], vcc, s[46:47]
	v_cndmask_b32_e64 v31, 0, 1, s[46:47]
	v_cndmask_b32_e64 v9, 0, 1, s[46:47]
.LBB1475_172:
	;; [unrolled: 31-line block ×4, first 2 shown]
	s_or_b64 exec, exec, s[60:61]
	v_cmp_gt_u32_e32 vcc, 32, v17
	s_waitcnt lgkmcnt(0)
	v_cndmask_b32_e64 v27, 0, 1, vcc
	v_lshlrev_b32_e32 v27, 5, v27
	v_add_lshl_u32 v28, v27, v5, 2
	ds_bpermute_b32 v27, v28, v10
	ds_bpermute_b32 v30, v28, v11
	;; [unrolled: 1-line block ×3, first 2 shown]
	v_add_u32_e32 v29, 32, v17
	v_cmp_le_u32_e32 vcc, v29, v8
	s_and_saveexec_b64 s[60:61], vcc
	s_cbranch_execz .LBB1475_178
; %bb.177:
	v_mov_b32_e32 v8, 0
	v_cmp_eq_u16_sdwa vcc, v31, v8 src0_sel:BYTE_0 src1_sel:DWORD
	s_waitcnt lgkmcnt(2)
	v_cndmask_b32_e32 v9, 0, v27, vcc
	s_waitcnt lgkmcnt(1)
	v_cndmask_b32_e32 v8, 0, v30, vcc
	v_add_co_u32_e32 v10, vcc, v9, v10
	v_addc_co_u32_e32 v11, vcc, v8, v11, vcc
	v_and_b32_e32 v8, 1, v31
	s_waitcnt lgkmcnt(0)
	v_and_b32_e32 v5, 1, v5
	v_cmp_eq_u32_e32 vcc, 1, v8
	v_cmp_eq_u32_e64 s[46:47], 1, v5
	s_or_b64 s[46:47], vcc, s[46:47]
	v_cndmask_b32_e64 v31, 0, 1, s[46:47]
.LBB1475_178:
	s_or_b64 exec, exec, s[60:61]
	s_waitcnt lgkmcnt(0)
	v_mov_b32_e32 v5, 0
	v_mov_b32_e32 v30, 2
	s_branch .LBB1475_180
.LBB1475_179:                           ;   in Loop: Header=BB1475_180 Depth=1
	s_or_b64 exec, exec, s[64:65]
	v_cmp_eq_u16_sdwa vcc, v27, v5 src0_sel:BYTE_0 src1_sel:DWORD
	v_cndmask_b32_e32 v10, 0, v10, vcc
	v_cndmask_b32_e32 v11, 0, v11, vcc
	v_add_co_u32_e32 v10, vcc, v10, v8
	v_addc_co_u32_e32 v11, vcc, v11, v9, vcc
	v_and_b32_e32 v31, 1, v27
	v_cmp_eq_u32_e32 vcc, 1, v31
	s_or_b64 s[46:47], vcc, s[60:61]
	v_subrev_u32_e32 v4, 64, v4
	v_cndmask_b32_e64 v31, 0, 1, s[46:47]
.LBB1475_180:                           ; =>This Loop Header: Depth=1
                                        ;     Child Loop BB1475_183 Depth 2
                                        ;       Child Loop BB1475_184 Depth 3
	v_cmp_ne_u16_sdwa s[46:47], v16, v30 src0_sel:BYTE_0 src1_sel:DWORD
	v_cndmask_b32_e64 v8, 0, 1, s[46:47]
	;;#ASMSTART
	;;#ASMEND
	v_cmp_ne_u32_e32 vcc, 0, v8
	v_mov_b32_e32 v27, v31
	s_cmp_lg_u64 vcc, exec
	v_pk_mov_b32 v[8:9], v[10:11], v[10:11] op_sel:[0,1]
	s_cbranch_scc1 .LBB1475_199
; %bb.181:                              ;   in Loop: Header=BB1475_180 Depth=1
	global_load_ubyte v16, v4, s[52:53] glc
	s_waitcnt vmcnt(0)
	v_cmp_eq_u16_e32 vcc, 0, v16
	s_and_saveexec_b64 s[46:47], vcc
	s_cbranch_execz .LBB1475_187
; %bb.182:                              ;   in Loop: Header=BB1475_180 Depth=1
	v_mov_b32_e32 v11, s53
	v_add_co_u32_e32 v10, vcc, s52, v4
	v_addc_co_u32_e32 v11, vcc, 0, v11, vcc
	s_mov_b32 s64, 1
	s_mov_b64 s[60:61], 0
.LBB1475_183:                           ;   Parent Loop BB1475_180 Depth=1
                                        ; =>  This Loop Header: Depth=2
                                        ;       Child Loop BB1475_184 Depth 3
	s_max_u32 s65, s64, 1
.LBB1475_184:                           ;   Parent Loop BB1475_180 Depth=1
                                        ;     Parent Loop BB1475_183 Depth=2
                                        ; =>    This Inner Loop Header: Depth=3
	s_add_i32 s65, s65, -1
	s_cmp_eq_u32 s65, 0
	s_sleep 1
	s_cbranch_scc0 .LBB1475_184
; %bb.185:                              ;   in Loop: Header=BB1475_183 Depth=2
	global_load_ubyte v16, v[10:11], off glc
	s_cmp_lt_u32 s64, 32
	s_cselect_b64 s[72:73], -1, 0
	s_cmp_lg_u64 s[72:73], 0
	s_addc_u32 s64, s64, 0
	s_waitcnt vmcnt(0)
	v_cmp_ne_u16_e32 vcc, 0, v16
	s_or_b64 s[60:61], vcc, s[60:61]
	s_andn2_b64 exec, exec, s[60:61]
	s_cbranch_execnz .LBB1475_183
; %bb.186:                              ;   in Loop: Header=BB1475_180 Depth=1
	s_or_b64 exec, exec, s[60:61]
.LBB1475_187:                           ;   in Loop: Header=BB1475_180 Depth=1
	s_or_b64 exec, exec, s[46:47]
	v_mov_b32_e32 v10, s51
	v_mov_b32_e32 v11, s49
	v_cmp_eq_u16_e32 vcc, 1, v16
	v_cndmask_b32_e32 v31, v10, v11, vcc
	v_mov_b32_e32 v10, s50
	v_mov_b32_e32 v11, s48
	v_cndmask_b32_e32 v32, v10, v11, vcc
	v_lshlrev_b64 v[10:11], 4, v[4:5]
	v_add_co_u32_e32 v32, vcc, v32, v10
	s_waitcnt lgkmcnt(0)
	v_addc_co_u32_e32 v33, vcc, v31, v11, vcc
	buffer_wbinvl1_vol
	global_load_dwordx2 v[10:11], v[32:33], off
	global_load_ubyte v31, v[32:33], off offset:8
	v_cmp_eq_u16_e32 vcc, 2, v16
	v_and_b32_e32 v32, vcc_hi, v7
	v_or_b32_e32 v32, 0x80000000, v32
	v_and_b32_e32 v37, vcc_lo, v6
	v_ffbl_b32_e32 v32, v32
	v_add_u32_e32 v32, 32, v32
	v_ffbl_b32_e32 v37, v37
	v_min_u32_e32 v32, v37, v32
	v_cmp_lt_u32_e32 vcc, v17, v32
	s_waitcnt vmcnt(1)
	ds_bpermute_b32 v35, v18, v10
	s_waitcnt vmcnt(0)
	v_and_b32_e32 v33, 1, v31
	ds_bpermute_b32 v36, v18, v11
	ds_bpermute_b32 v34, v18, v33
	s_and_saveexec_b64 s[46:47], vcc
	s_cbranch_execz .LBB1475_189
; %bb.188:                              ;   in Loop: Header=BB1475_180 Depth=1
	v_cmp_eq_u16_sdwa vcc, v31, v5 src0_sel:BYTE_0 src1_sel:DWORD
	s_waitcnt lgkmcnt(2)
	v_cndmask_b32_e32 v35, 0, v35, vcc
	s_waitcnt lgkmcnt(1)
	v_cndmask_b32_e32 v33, 0, v36, vcc
	v_add_co_u32_e32 v10, vcc, v35, v10
	v_addc_co_u32_e32 v11, vcc, v33, v11, vcc
	s_waitcnt lgkmcnt(0)
	v_and_b32_e32 v33, 1, v34
	v_or_b32_e32 v31, v33, v31
	v_and_b32_e32 v33, 0xff, v31
.LBB1475_189:                           ;   in Loop: Header=BB1475_180 Depth=1
	s_or_b64 exec, exec, s[46:47]
	s_waitcnt lgkmcnt(2)
	ds_bpermute_b32 v35, v19, v10
	s_waitcnt lgkmcnt(2)
	ds_bpermute_b32 v36, v19, v11
	;; [unrolled: 2-line block ×3, first 2 shown]
	v_and_b32_e32 v37, 1, v31
	v_cmp_le_u32_e32 vcc, v20, v32
	v_cmp_eq_u32_e64 s[60:61], 1, v37
	s_and_saveexec_b64 s[46:47], vcc
	s_cbranch_execz .LBB1475_191
; %bb.190:                              ;   in Loop: Header=BB1475_180 Depth=1
	v_cmp_eq_u16_sdwa vcc, v31, v5 src0_sel:BYTE_0 src1_sel:DWORD
	s_waitcnt lgkmcnt(2)
	v_cndmask_b32_e32 v33, 0, v35, vcc
	s_waitcnt lgkmcnt(1)
	v_cndmask_b32_e32 v31, 0, v36, vcc
	v_add_co_u32_e32 v10, vcc, v33, v10
	v_addc_co_u32_e32 v11, vcc, v31, v11, vcc
	s_waitcnt lgkmcnt(0)
	v_and_b32_e32 v31, 1, v34
	v_cmp_eq_u32_e32 vcc, 1, v31
	s_or_b64 s[64:65], s[60:61], vcc
	v_cndmask_b32_e64 v31, 0, 1, s[64:65]
	v_cndmask_b32_e64 v33, 0, 1, s[64:65]
	s_andn2_b64 s[60:61], s[60:61], exec
	s_and_b64 s[64:65], s[64:65], exec
	s_or_b64 s[60:61], s[60:61], s[64:65]
.LBB1475_191:                           ;   in Loop: Header=BB1475_180 Depth=1
	s_or_b64 exec, exec, s[46:47]
	s_waitcnt lgkmcnt(2)
	ds_bpermute_b32 v35, v21, v10
	s_waitcnt lgkmcnt(2)
	ds_bpermute_b32 v36, v21, v11
	s_waitcnt lgkmcnt(2)
	ds_bpermute_b32 v34, v21, v33
	v_cmp_le_u32_e32 vcc, v22, v32
	s_and_saveexec_b64 s[64:65], vcc
	s_cbranch_execz .LBB1475_193
; %bb.192:                              ;   in Loop: Header=BB1475_180 Depth=1
	v_cmp_eq_u16_sdwa vcc, v31, v5 src0_sel:BYTE_0 src1_sel:DWORD
	s_waitcnt lgkmcnt(2)
	v_cndmask_b32_e32 v35, 0, v35, vcc
	s_waitcnt lgkmcnt(1)
	v_cndmask_b32_e32 v33, 0, v36, vcc
	v_add_co_u32_e32 v10, vcc, v35, v10
	v_addc_co_u32_e32 v11, vcc, v33, v11, vcc
	v_and_b32_e32 v31, 1, v31
	v_cmp_eq_u32_e32 vcc, 1, v31
	s_waitcnt lgkmcnt(0)
	v_and_b32_e32 v31, 1, v34
	v_cmp_eq_u32_e64 s[46:47], 1, v31
	s_or_b64 s[46:47], vcc, s[46:47]
	v_cndmask_b32_e64 v31, 0, 1, s[46:47]
	v_cndmask_b32_e64 v33, 0, 1, s[46:47]
	s_andn2_b64 s[60:61], s[60:61], exec
	s_and_b64 s[46:47], s[46:47], exec
	s_or_b64 s[60:61], s[60:61], s[46:47]
.LBB1475_193:                           ;   in Loop: Header=BB1475_180 Depth=1
	s_or_b64 exec, exec, s[64:65]
	s_waitcnt lgkmcnt(2)
	ds_bpermute_b32 v35, v23, v10
	s_waitcnt lgkmcnt(2)
	ds_bpermute_b32 v36, v23, v11
	s_waitcnt lgkmcnt(2)
	ds_bpermute_b32 v34, v23, v33
	v_cmp_le_u32_e32 vcc, v24, v32
	s_and_saveexec_b64 s[64:65], vcc
	s_cbranch_execz .LBB1475_195
; %bb.194:                              ;   in Loop: Header=BB1475_180 Depth=1
	v_cmp_eq_u16_sdwa vcc, v31, v5 src0_sel:BYTE_0 src1_sel:DWORD
	s_waitcnt lgkmcnt(2)
	v_cndmask_b32_e32 v35, 0, v35, vcc
	s_waitcnt lgkmcnt(1)
	v_cndmask_b32_e32 v33, 0, v36, vcc
	v_add_co_u32_e32 v10, vcc, v35, v10
	v_addc_co_u32_e32 v11, vcc, v33, v11, vcc
	v_and_b32_e32 v31, 1, v31
	v_cmp_eq_u32_e32 vcc, 1, v31
	s_waitcnt lgkmcnt(0)
	v_and_b32_e32 v31, 1, v34
	v_cmp_eq_u32_e64 s[46:47], 1, v31
	s_or_b64 s[46:47], vcc, s[46:47]
	v_cndmask_b32_e64 v31, 0, 1, s[46:47]
	v_cndmask_b32_e64 v33, 0, 1, s[46:47]
	s_andn2_b64 s[60:61], s[60:61], exec
	s_and_b64 s[46:47], s[46:47], exec
	s_or_b64 s[60:61], s[60:61], s[46:47]
.LBB1475_195:                           ;   in Loop: Header=BB1475_180 Depth=1
	s_or_b64 exec, exec, s[64:65]
	s_waitcnt lgkmcnt(2)
	ds_bpermute_b32 v35, v25, v10
	s_waitcnt lgkmcnt(2)
	ds_bpermute_b32 v36, v25, v11
	s_waitcnt lgkmcnt(2)
	ds_bpermute_b32 v34, v25, v33
	v_cmp_le_u32_e32 vcc, v26, v32
	s_and_saveexec_b64 s[64:65], vcc
	s_cbranch_execz .LBB1475_197
; %bb.196:                              ;   in Loop: Header=BB1475_180 Depth=1
	v_cmp_eq_u16_sdwa vcc, v31, v5 src0_sel:BYTE_0 src1_sel:DWORD
	s_waitcnt lgkmcnt(2)
	v_cndmask_b32_e32 v35, 0, v35, vcc
	s_waitcnt lgkmcnt(1)
	v_cndmask_b32_e32 v33, 0, v36, vcc
	v_add_co_u32_e32 v10, vcc, v35, v10
	v_addc_co_u32_e32 v11, vcc, v33, v11, vcc
	v_and_b32_e32 v31, 1, v31
	v_cmp_eq_u32_e32 vcc, 1, v31
	s_waitcnt lgkmcnt(0)
	v_and_b32_e32 v31, 1, v34
	v_cmp_eq_u32_e64 s[46:47], 1, v31
	s_or_b64 s[46:47], vcc, s[46:47]
	v_cndmask_b32_e64 v31, 0, 1, s[46:47]
	v_cndmask_b32_e64 v33, 0, 1, s[46:47]
	s_andn2_b64 s[60:61], s[60:61], exec
	s_and_b64 s[46:47], s[46:47], exec
	s_or_b64 s[60:61], s[60:61], s[46:47]
.LBB1475_197:                           ;   in Loop: Header=BB1475_180 Depth=1
	s_or_b64 exec, exec, s[64:65]
	s_waitcnt lgkmcnt(0)
	ds_bpermute_b32 v34, v28, v10
	ds_bpermute_b32 v35, v28, v11
	;; [unrolled: 1-line block ×3, first 2 shown]
	v_cmp_le_u32_e32 vcc, v29, v32
	s_and_saveexec_b64 s[64:65], vcc
	s_cbranch_execz .LBB1475_179
; %bb.198:                              ;   in Loop: Header=BB1475_180 Depth=1
	v_cmp_eq_u16_sdwa vcc, v31, v5 src0_sel:BYTE_0 src1_sel:DWORD
	s_waitcnt lgkmcnt(2)
	v_cndmask_b32_e32 v34, 0, v34, vcc
	s_waitcnt lgkmcnt(1)
	v_cndmask_b32_e32 v32, 0, v35, vcc
	v_add_co_u32_e32 v10, vcc, v34, v10
	v_addc_co_u32_e32 v11, vcc, v32, v11, vcc
	v_and_b32_e32 v31, 1, v31
	v_cmp_eq_u32_e32 vcc, 1, v31
	s_waitcnt lgkmcnt(0)
	v_and_b32_e32 v31, 1, v33
	v_cmp_eq_u32_e64 s[46:47], 1, v31
	s_or_b64 s[46:47], vcc, s[46:47]
	s_andn2_b64 s[60:61], s[60:61], exec
	s_and_b64 s[46:47], s[46:47], exec
	s_or_b64 s[60:61], s[60:61], s[46:47]
	s_branch .LBB1475_179
.LBB1475_199:                           ;   in Loop: Header=BB1475_180 Depth=1
                                        ; implicit-def: $vgpr31
                                        ; implicit-def: $vgpr10_vgpr11
                                        ; implicit-def: $vgpr16
	s_cbranch_execz .LBB1475_180
; %bb.200:
	s_and_saveexec_b64 s[46:47], s[44:45]
	s_cbranch_execz .LBB1475_202
; %bb.201:
	v_mov_b32_e32 v4, 0
	s_mov_b32 s45, 0
	v_cmp_eq_u16_sdwa vcc, v15, v4 src0_sel:BYTE_0 src1_sel:DWORD
	s_add_i32 s44, s55, 64
	v_cndmask_b32_e32 v6, 0, v8, vcc
	s_lshl_b64 s[48:49], s[44:45], 4
	v_cndmask_b32_e32 v5, 0, v9, vcc
	v_add_co_u32_e32 v2, vcc, v6, v2
	s_add_u32 s48, s50, s48
	v_addc_co_u32_e32 v3, vcc, v5, v3, vcc
	v_or_b32_e32 v5, v15, v27
	s_addc_u32 s49, s51, s49
	v_and_b32_e32 v5, 1, v5
	global_store_dwordx2 v4, v[2:3], s[48:49]
	global_store_byte v4, v5, s[48:49] offset:8
	v_mov_b32_e32 v2, s44
	v_mov_b32_e32 v3, 2
	s_waitcnt vmcnt(0) lgkmcnt(0)
	buffer_wbinvl1_vol
	global_store_byte v2, v3, s[52:53]
.LBB1475_202:
	s_or_b64 exec, exec, s[46:47]
	s_and_b64 exec, exec, s[0:1]
	s_cbranch_execz .LBB1475_204
; %bb.203:
	v_mov_b32_e32 v2, 0
	ds_write_b64 v2, v[8:9]
	ds_write_b8 v2, v27 offset:8
.LBB1475_204:
	s_or_b64 exec, exec, s[58:59]
	v_mov_b32_e32 v4, 0
	s_waitcnt lgkmcnt(0)
	; wave barrier
	s_waitcnt lgkmcnt(0)
	ds_read_b64 v[2:3], v4
	v_cmp_eq_u32_sdwa vcc, v14, v4 src0_sel:BYTE_0 src1_sel:DWORD
	s_waitcnt lgkmcnt(0)
	v_cndmask_b32_e32 v6, 0, v2, vcc
	v_cndmask_b32_e32 v5, 0, v3, vcc
	v_add_co_u32_e32 v6, vcc, v12, v6
	v_addc_co_u32_e32 v5, vcc, v13, v5, vcc
	v_cndmask_b32_e64 v86, v6, v2, s[0:1]
	v_cmp_eq_u16_sdwa vcc, v1, v4 src0_sel:BYTE_0 src1_sel:DWORD
	v_cndmask_b32_e64 v87, v5, v3, s[0:1]
	v_cndmask_b32_e32 v3, 0, v86, vcc
	v_cndmask_b32_e32 v2, 0, v87, vcc
	v_add_co_u32_e32 v4, vcc, v3, v44
	v_addc_co_u32_e32 v5, vcc, v2, v45, vcc
	v_cndmask_b32_e64 v3, 0, v4, s[42:43]
	v_cndmask_b32_e64 v2, 0, v5, s[42:43]
	v_add_co_u32_e32 v6, vcc, v3, v48
	v_addc_co_u32_e32 v7, vcc, v2, v49, vcc
	v_cndmask_b32_e64 v3, 0, v6, s[40:41]
	v_cndmask_b32_e64 v2, 0, v7, s[40:41]
	;; [unrolled: 4-line block ×19, first 2 shown]
	s_branch .LBB1475_225
.LBB1475_205:
                                        ; implicit-def: $vgpr86_vgpr87
                                        ; implicit-def: $vgpr106_vgpr107
                                        ; implicit-def: $vgpr104_vgpr105
                                        ; implicit-def: $vgpr102_vgpr103
                                        ; implicit-def: $vgpr100_vgpr101
                                        ; implicit-def: $vgpr98_vgpr99
                                        ; implicit-def: $vgpr96_vgpr97
                                        ; implicit-def: $vgpr94_vgpr95
                                        ; implicit-def: $vgpr92_vgpr93
                                        ; implicit-def: $vgpr90_vgpr91
                                        ; implicit-def: $vgpr88_vgpr89
                                        ; implicit-def: $vgpr38_vgpr39_vgpr40_vgpr41
                                        ; implicit-def: $vgpr34_vgpr35_vgpr36_vgpr37
                                        ; implicit-def: $vgpr30_vgpr31_vgpr32_vgpr33
                                        ; implicit-def: $vgpr26_vgpr27_vgpr28_vgpr29
                                        ; implicit-def: $vgpr22_vgpr23_vgpr24_vgpr25
                                        ; implicit-def: $vgpr18_vgpr19_vgpr20_vgpr21
                                        ; implicit-def: $vgpr14_vgpr15_vgpr16_vgpr17
                                        ; implicit-def: $vgpr10_vgpr11_vgpr12_vgpr13
                                        ; implicit-def: $vgpr6_vgpr7_vgpr8_vgpr9
                                        ; implicit-def: $vgpr2_vgpr3_vgpr4_vgpr5
	s_cbranch_execz .LBB1475_225
; %bb.206:
	s_cmp_lg_u64 s[70:71], 0
	s_cselect_b32 s5, s67, 0
	s_cselect_b32 s4, s66, 0
	s_cmp_eq_u64 s[4:5], 0
	v_pk_mov_b32 v[2:3], s[68:69], s[68:69] op_sel:[0,1]
	s_cbranch_scc1 .LBB1475_208
; %bb.207:
	v_mov_b32_e32 v2, 0
	global_load_dwordx2 v[2:3], v2, s[4:5]
.LBB1475_208:
	v_mov_b32_e32 v4, 0
	v_cmp_eq_u16_sdwa s[40:41], v108, v4 src0_sel:BYTE_0 src1_sel:DWORD
	v_cndmask_b32_e64 v6, 0, v44, s[40:41]
	v_cndmask_b32_e64 v5, 0, v45, s[40:41]
	v_add_co_u32_e32 v6, vcc, v6, v48
	v_cmp_eq_u16_sdwa s[38:39], v109, v4 src0_sel:BYTE_0 src1_sel:DWORD
	v_addc_co_u32_e32 v5, vcc, v5, v49, vcc
	v_cndmask_b32_e64 v6, 0, v6, s[38:39]
	v_cndmask_b32_e64 v5, 0, v5, s[38:39]
	v_add_co_u32_e32 v6, vcc, v6, v50
	v_cmp_eq_u16_sdwa s[36:37], v111, v4 src0_sel:BYTE_0 src1_sel:DWORD
	v_addc_co_u32_e32 v5, vcc, v5, v51, vcc
	;; [unrolled: 5-line block ×17, first 2 shown]
	v_cndmask_b32_e64 v6, 0, v6, s[4:5]
	v_cndmask_b32_e64 v5, 0, v5, s[4:5]
	v_add_co_u32_e32 v6, vcc, v6, v82
	v_addc_co_u32_e32 v5, vcc, v5, v83, vcc
	v_cmp_eq_u16_sdwa vcc, v110, v4 src0_sel:BYTE_0 src1_sel:DWORD
	v_cndmask_b32_e32 v6, 0, v6, vcc
	v_cndmask_b32_e32 v5, 0, v5, vcc
	v_add_co_u32_e64 v6, s[42:43], v6, v46
	v_addc_co_u32_e64 v5, s[42:43], v5, v47, s[42:43]
	v_cmp_eq_u16_sdwa s[42:43], v127, v4 src0_sel:BYTE_0 src1_sel:DWORD
	v_cndmask_b32_e64 v4, 0, v6, s[42:43]
	v_or_b32_e32 v6, v129, v125
	v_or_b32_e32 v6, v6, v124
	;; [unrolled: 1-line block ×18, first 2 shown]
	v_cndmask_b32_e64 v5, 0, v5, s[42:43]
	v_add_co_u32_e64 v4, s[42:43], v4, v84
	v_and_b32_e32 v7, 1, v6
	v_mbcnt_hi_u32_b32 v6, -1, v128
	v_addc_co_u32_e64 v5, s[42:43], v5, v85, s[42:43]
	v_and_b32_e32 v9, 15, v6
	v_cmp_eq_u32_e64 s[42:43], 1, v7
	v_mov_b32_dpp v11, v4 row_shr:1 row_mask:0xf bank_mask:0xf
	v_mov_b32_dpp v12, v5 row_shr:1 row_mask:0xf bank_mask:0xf
	;; [unrolled: 1-line block ×3, first 2 shown]
	v_cmp_ne_u32_e64 s[44:45], 0, v9
	v_mov_b32_e32 v8, v7
	s_and_saveexec_b64 s[46:47], s[44:45]
; %bb.209:
	v_cndmask_b32_e64 v11, v11, 0, s[42:43]
	v_cndmask_b32_e64 v8, v12, 0, s[42:43]
	v_add_co_u32_e64 v4, s[42:43], v11, v4
	v_addc_co_u32_e64 v5, s[42:43], v8, v5, s[42:43]
	v_and_b32_e32 v8, 1, v10
	v_or_b32_e32 v7, v8, v7
	v_and_b32_e32 v8, 0xffff, v7
; %bb.210:
	s_or_b64 exec, exec, s[46:47]
	v_mov_b32_dpp v11, v4 row_shr:2 row_mask:0xf bank_mask:0xf
	v_mov_b32_dpp v12, v5 row_shr:2 row_mask:0xf bank_mask:0xf
	v_mov_b32_dpp v10, v8 row_shr:2 row_mask:0xf bank_mask:0xf
	v_cmp_lt_u32_e64 s[42:43], 1, v9
	s_and_saveexec_b64 s[46:47], s[42:43]
	s_cbranch_execz .LBB1475_212
; %bb.211:
	v_cmp_eq_u16_e64 s[42:43], 0, v7
	v_cndmask_b32_e64 v11, 0, v11, s[42:43]
	v_cndmask_b32_e64 v8, 0, v12, s[42:43]
	v_add_co_u32_e64 v4, s[42:43], v11, v4
	v_addc_co_u32_e64 v5, s[42:43], v8, v5, s[42:43]
	v_and_b32_e32 v7, 1, v7
	v_cmp_eq_u32_e64 s[42:43], 1, v7
	v_and_b32_e32 v7, 1, v10
	v_cmp_eq_u32_e64 s[44:45], 1, v7
	s_or_b64 s[42:43], s[42:43], s[44:45]
	v_cndmask_b32_e64 v7, 0, 1, s[42:43]
	v_cndmask_b32_e64 v8, 0, 1, s[42:43]
.LBB1475_212:
	s_or_b64 exec, exec, s[46:47]
	v_mov_b32_dpp v11, v4 row_shr:4 row_mask:0xf bank_mask:0xf
	v_mov_b32_dpp v12, v5 row_shr:4 row_mask:0xf bank_mask:0xf
	v_mov_b32_dpp v10, v8 row_shr:4 row_mask:0xf bank_mask:0xf
	v_cmp_lt_u32_e64 s[42:43], 3, v9
	s_and_saveexec_b64 s[46:47], s[42:43]
	s_cbranch_execz .LBB1475_214
; %bb.213:
	v_cmp_eq_u16_e64 s[42:43], 0, v7
	v_cndmask_b32_e64 v11, 0, v11, s[42:43]
	v_cndmask_b32_e64 v8, 0, v12, s[42:43]
	v_add_co_u32_e64 v4, s[42:43], v11, v4
	v_addc_co_u32_e64 v5, s[42:43], v8, v5, s[42:43]
	v_and_b32_e32 v7, 1, v7
	v_cmp_eq_u32_e64 s[42:43], 1, v7
	v_and_b32_e32 v7, 1, v10
	v_cmp_eq_u32_e64 s[44:45], 1, v7
	s_or_b64 s[42:43], s[42:43], s[44:45]
	v_cndmask_b32_e64 v7, 0, 1, s[42:43]
	v_cndmask_b32_e64 v8, 0, 1, s[42:43]
.LBB1475_214:
	;; [unrolled: 21-line block ×3, first 2 shown]
	s_or_b64 exec, exec, s[46:47]
	v_and_b32_e32 v12, 16, v6
	v_mov_b32_dpp v10, v4 row_bcast:15 row_mask:0xf bank_mask:0xf
	v_mov_b32_dpp v11, v5 row_bcast:15 row_mask:0xf bank_mask:0xf
	;; [unrolled: 1-line block ×3, first 2 shown]
	v_cmp_ne_u32_e64 s[42:43], 0, v12
	s_and_saveexec_b64 s[46:47], s[42:43]
	s_cbranch_execz .LBB1475_218
; %bb.217:
	v_cmp_eq_u16_e64 s[42:43], 0, v7
	v_cndmask_b32_e64 v10, 0, v10, s[42:43]
	v_cndmask_b32_e64 v8, 0, v11, s[42:43]
	v_add_co_u32_e64 v4, s[42:43], v10, v4
	v_addc_co_u32_e64 v5, s[42:43], v8, v5, s[42:43]
	v_and_b32_e32 v7, 1, v7
	v_cmp_eq_u32_e64 s[42:43], 1, v7
	v_and_b32_e32 v7, 1, v9
	v_cmp_eq_u32_e64 s[44:45], 1, v7
	s_or_b64 s[42:43], s[42:43], s[44:45]
	v_cndmask_b32_e64 v7, 0, 1, s[42:43]
	v_cndmask_b32_e64 v8, 0, 1, s[42:43]
.LBB1475_218:
	s_or_b64 exec, exec, s[46:47]
	v_mov_b32_dpp v9, v4 row_bcast:31 row_mask:0xf bank_mask:0xf
	v_mov_b32_dpp v10, v5 row_bcast:31 row_mask:0xf bank_mask:0xf
	;; [unrolled: 1-line block ×3, first 2 shown]
	v_cmp_lt_u32_e64 s[42:43], 31, v6
	s_and_saveexec_b64 s[46:47], s[42:43]
; %bb.219:
	v_cmp_eq_u16_e64 s[42:43], 0, v7
	v_cndmask_b32_e64 v9, 0, v9, s[42:43]
	v_cndmask_b32_e64 v10, 0, v10, s[42:43]
	v_add_co_u32_e64 v4, s[42:43], v9, v4
	v_addc_co_u32_e64 v5, s[42:43], v10, v5, s[42:43]
	v_and_b32_e32 v7, 1, v7
	v_cmp_eq_u32_e64 s[42:43], 1, v7
	v_and_b32_e32 v7, 1, v8
	v_cmp_eq_u32_e64 s[44:45], 1, v7
	s_or_b64 s[42:43], s[42:43], s[44:45]
	v_cndmask_b32_e64 v7, 0, 1, s[42:43]
; %bb.220:
	s_or_b64 exec, exec, s[46:47]
	v_cmp_eq_u32_e64 s[42:43], 63, v0
	s_and_saveexec_b64 s[44:45], s[42:43]
	s_cbranch_execz .LBB1475_222
; %bb.221:
	v_mov_b32_e32 v8, 0
	ds_write_b64 v8, v[4:5]
	ds_write_b8 v8, v7 offset:8
.LBB1475_222:
	s_or_b64 exec, exec, s[44:45]
	v_cmp_eq_u16_e64 s[42:43], 0, v7
	s_waitcnt vmcnt(0)
	v_cndmask_b32_e64 v8, 0, v2, s[42:43]
	v_cndmask_b32_e64 v7, 0, v3, s[42:43]
	v_add_co_u32_e64 v4, s[42:43], v8, v4
	v_addc_co_u32_e64 v5, s[42:43], v7, v5, s[42:43]
	v_add_u32_e32 v7, -1, v6
	v_and_b32_e32 v8, 64, v6
	v_cmp_lt_i32_e64 s[42:43], v7, v8
	v_cndmask_b32_e64 v7, v7, v6, s[42:43]
	v_lshlrev_b32_e32 v7, 2, v7
	ds_bpermute_b32 v5, v7, v5
	ds_bpermute_b32 v4, v7, v4
	v_cmp_eq_u32_e64 s[42:43], 0, v6
	s_or_b64 s[42:43], s[0:1], s[42:43]
	v_mov_b32_e32 v8, 0
	s_waitcnt lgkmcnt(1)
	v_cndmask_b32_e64 v87, v5, v3, s[42:43]
	s_waitcnt lgkmcnt(0)
	v_cndmask_b32_e64 v86, v4, v2, s[42:43]
	v_cmp_eq_u16_sdwa s[42:43], v1, v8 src0_sel:BYTE_0 src1_sel:DWORD
	v_cndmask_b32_e64 v4, 0, v86, s[42:43]
	v_cndmask_b32_e64 v1, 0, v87, s[42:43]
	v_add_co_u32_e64 v4, s[42:43], v4, v44
	v_addc_co_u32_e64 v5, s[42:43], v1, v45, s[42:43]
	v_cndmask_b32_e64 v6, 0, v4, s[40:41]
	v_cndmask_b32_e64 v1, 0, v5, s[40:41]
	v_add_co_u32_e64 v6, s[40:41], v6, v48
	v_addc_co_u32_e64 v7, s[40:41], v1, v49, s[40:41]
	;; [unrolled: 4-line block ×19, first 2 shown]
	v_cndmask_b32_e32 v107, 0, v105, vcc
	v_cndmask_b32_e32 v106, 0, v104, vcc
	s_waitcnt lgkmcnt(0)
	; wave barrier
	s_and_saveexec_b64 s[4:5], s[0:1]
	s_cbranch_execz .LBB1475_224
; %bb.223:
	ds_read_u8 v1, v8 offset:8
	ds_read_b64 v[12:13], v8
	v_pk_mov_b32 v[86:87], v[2:3], v[2:3] op_sel:[0,1]
	s_waitcnt lgkmcnt(1)
	v_cmp_eq_u16_e32 vcc, 0, v1
	v_cndmask_b32_e32 v16, 0, v2, vcc
	v_cndmask_b32_e32 v9, 0, v3, vcc
	s_waitcnt lgkmcnt(0)
	v_add_co_u32_e32 v12, vcc, v16, v12
	v_addc_co_u32_e32 v13, vcc, v9, v13, vcc
	global_store_dwordx2 v8, v[12:13], s[50:51] offset:1024
	global_store_byte v8, v1, s[50:51] offset:1032
	v_mov_b32_e32 v1, 2
	s_waitcnt vmcnt(0)
	buffer_wbinvl1_vol
	global_store_byte v8, v1, s[52:53] offset:64
.LBB1475_224:
	s_or_b64 exec, exec, s[4:5]
.LBB1475_225:
	s_add_u32 s0, s62, s56
	v_add_co_u32_e32 v2, vcc, v106, v46
	s_addc_u32 s1, s63, s57
	v_addc_co_u32_e32 v3, vcc, v107, v47, vcc
	v_mov_b32_e32 v1, s1
	v_add_co_u32_e32 v12, vcc, s0, v42
	v_addc_co_u32_e32 v13, vcc, v1, v43, vcc
	s_and_b64 vcc, exec, s[2:3]
	v_lshlrev_b32_e32 v16, 3, v0
	s_cbranch_vccz .LBB1475_267
; %bb.226:
	s_movk_i32 s0, 0xa8
	v_mul_i32_i24_e32 v20, 0xffffff60, v0
	v_mul_u32_u24_e32 v17, 0xa8, v0
	v_mad_u32_u24 v8, v0, s0, v20
	s_waitcnt lgkmcnt(0)
	; wave barrier
	ds_write2_b64 v17, v[86:87], v[4:5] offset1:1
	ds_write2_b64 v17, v[6:7], v[88:89] offset0:2 offset1:3
	ds_write2_b64 v17, v[10:11], v[90:91] offset0:4 offset1:5
	;; [unrolled: 1-line block ×9, first 2 shown]
	ds_write_b64 v17, v[2:3] offset:160
	s_waitcnt lgkmcnt(0)
	; wave barrier
	s_waitcnt lgkmcnt(0)
	ds_read2st64_b64 v[76:79], v8 offset0:1 offset1:2
	ds_read2st64_b64 v[72:75], v8 offset0:3 offset1:4
	;; [unrolled: 1-line block ×10, first 2 shown]
	v_add_co_u32_e32 v8, vcc, v12, v16
	s_add_i32 s33, s33, s54
	v_addc_co_u32_e32 v9, vcc, 0, v13, vcc
	v_mov_b32_e32 v1, 0
	v_cmp_gt_u32_e32 vcc, s33, v0
	s_and_saveexec_b64 s[0:1], vcc
	s_cbranch_execz .LBB1475_228
; %bb.227:
	v_add_u32_e32 v17, v17, v20
	ds_read_b64 v[20:21], v17
	s_waitcnt lgkmcnt(0)
	flat_store_dwordx2 v[8:9], v[20:21]
.LBB1475_228:
	s_or_b64 exec, exec, s[0:1]
	v_or_b32_e32 v17, 64, v0
	v_cmp_gt_u32_e32 vcc, s33, v17
	s_and_saveexec_b64 s[0:1], vcc
	s_cbranch_execz .LBB1475_230
; %bb.229:
	s_waitcnt lgkmcnt(0)
	flat_store_dwordx2 v[8:9], v[76:77] offset:512
.LBB1475_230:
	s_or_b64 exec, exec, s[0:1]
	v_or_b32_e32 v17, 0x80, v0
	v_cmp_gt_u32_e32 vcc, s33, v17
	s_and_saveexec_b64 s[0:1], vcc
	s_cbranch_execz .LBB1475_232
; %bb.231:
	s_waitcnt lgkmcnt(0)
	flat_store_dwordx2 v[8:9], v[78:79] offset:1024
.LBB1475_232:
	;; [unrolled: 9-line block ×7, first 2 shown]
	s_or_b64 exec, exec, s[0:1]
	v_or_b32_e32 v17, 0x200, v0
	v_cmp_gt_u32_e32 vcc, s33, v17
	s_and_saveexec_b64 s[0:1], vcc
	s_cbranch_execz .LBB1475_244
; %bb.243:
	v_add_co_u32_e32 v20, vcc, 0x1000, v8
	v_addc_co_u32_e32 v21, vcc, 0, v9, vcc
	s_waitcnt lgkmcnt(0)
	flat_store_dwordx2 v[20:21], v[66:67]
.LBB1475_244:
	s_or_b64 exec, exec, s[0:1]
	v_or_b32_e32 v17, 0x240, v0
	v_cmp_gt_u32_e32 vcc, s33, v17
	s_and_saveexec_b64 s[0:1], vcc
	s_cbranch_execz .LBB1475_246
; %bb.245:
	v_add_co_u32_e32 v20, vcc, 0x1000, v8
	v_addc_co_u32_e32 v21, vcc, 0, v9, vcc
	s_waitcnt lgkmcnt(0)
	flat_store_dwordx2 v[20:21], v[60:61] offset:512
.LBB1475_246:
	s_or_b64 exec, exec, s[0:1]
	v_or_b32_e32 v17, 0x280, v0
	v_cmp_gt_u32_e32 vcc, s33, v17
	s_and_saveexec_b64 s[0:1], vcc
	s_cbranch_execz .LBB1475_248
; %bb.247:
	v_add_co_u32_e32 v20, vcc, 0x1000, v8
	v_addc_co_u32_e32 v21, vcc, 0, v9, vcc
	s_waitcnt lgkmcnt(0)
	flat_store_dwordx2 v[20:21], v[62:63] offset:1024
.LBB1475_248:
	;; [unrolled: 11-line block ×7, first 2 shown]
	s_or_b64 exec, exec, s[0:1]
	v_or_b32_e32 v17, 0x400, v0
	v_cmp_gt_u32_e32 vcc, s33, v17
	s_and_saveexec_b64 s[0:1], vcc
	s_cbranch_execz .LBB1475_260
; %bb.259:
	v_add_co_u32_e32 v20, vcc, 0x2000, v8
	v_addc_co_u32_e32 v21, vcc, 0, v9, vcc
	s_waitcnt lgkmcnt(0)
	flat_store_dwordx2 v[20:21], v[50:51]
.LBB1475_260:
	s_or_b64 exec, exec, s[0:1]
	v_or_b32_e32 v17, 0x440, v0
	v_cmp_gt_u32_e32 vcc, s33, v17
	s_and_saveexec_b64 s[0:1], vcc
	s_cbranch_execz .LBB1475_262
; %bb.261:
	v_add_co_u32_e32 v20, vcc, 0x2000, v8
	v_addc_co_u32_e32 v21, vcc, 0, v9, vcc
	s_waitcnt lgkmcnt(0)
	flat_store_dwordx2 v[20:21], v[44:45] offset:512
.LBB1475_262:
	s_or_b64 exec, exec, s[0:1]
	v_or_b32_e32 v17, 0x480, v0
	v_cmp_gt_u32_e32 vcc, s33, v17
	s_and_saveexec_b64 s[0:1], vcc
	s_cbranch_execz .LBB1475_264
; %bb.263:
	v_add_co_u32_e32 v20, vcc, 0x2000, v8
	v_addc_co_u32_e32 v21, vcc, 0, v9, vcc
	s_waitcnt lgkmcnt(0)
	flat_store_dwordx2 v[20:21], v[46:47] offset:1024
.LBB1475_264:
	;; [unrolled: 11-line block ×3, first 2 shown]
	s_or_b64 exec, exec, s[0:1]
	v_or_b32_e32 v8, 0x500, v0
	v_cmp_gt_u32_e64 s[0:1], s33, v8
	s_branch .LBB1475_269
.LBB1475_267:
	s_mov_b64 s[0:1], 0
                                        ; implicit-def: $vgpr42_vgpr43
	s_cbranch_execz .LBB1475_269
; %bb.268:
	v_mul_u32_u24_e32 v1, 0xa8, v0
	s_waitcnt lgkmcnt(0)
	; wave barrier
	s_waitcnt lgkmcnt(0)
	s_movk_i32 s2, 0xa8
	ds_write2_b64 v1, v[86:87], v[4:5] offset1:1
	ds_write2_b64 v1, v[6:7], v[88:89] offset0:2 offset1:3
	ds_write2_b64 v1, v[10:11], v[90:91] offset0:4 offset1:5
	;; [unrolled: 1-line block ×9, first 2 shown]
	ds_write_b64 v1, v[2:3] offset:160
	v_mul_i32_i24_e32 v2, 0xffffff60, v0
	v_mad_u32_u24 v10, v0, s2, v2
	s_waitcnt lgkmcnt(0)
	; wave barrier
	s_waitcnt lgkmcnt(0)
	ds_read2st64_b64 v[2:5], v10 offset1:1
	ds_read2st64_b64 v[6:9], v10 offset0:2 offset1:3
	ds_read2st64_b64 v[18:21], v10 offset0:4 offset1:5
	ds_read2st64_b64 v[22:25], v10 offset0:6 offset1:7
	ds_read2st64_b64 v[26:29], v10 offset0:8 offset1:9
	ds_read2st64_b64 v[30:33], v10 offset0:10 offset1:11
	ds_read2st64_b64 v[34:37], v10 offset0:12 offset1:13
	ds_read2st64_b64 v[38:41], v10 offset0:14 offset1:15
	ds_read2st64_b64 v[44:47], v10 offset0:16 offset1:17
	ds_read2st64_b64 v[48:51], v10 offset0:18 offset1:19
	ds_read_b64 v[42:43], v10 offset:10240
	v_add_co_u32_e32 v10, vcc, v12, v16
	v_addc_co_u32_e32 v11, vcc, 0, v13, vcc
	s_movk_i32 s2, 0x1000
	s_waitcnt lgkmcnt(0)
	flat_store_dwordx2 v[10:11], v[2:3]
	flat_store_dwordx2 v[10:11], v[4:5] offset:512
	flat_store_dwordx2 v[10:11], v[6:7] offset:1024
	;; [unrolled: 1-line block ×7, first 2 shown]
	v_add_co_u32_e32 v2, vcc, s2, v10
	v_addc_co_u32_e32 v3, vcc, 0, v11, vcc
	flat_store_dwordx2 v[2:3], v[26:27]
	flat_store_dwordx2 v[2:3], v[28:29] offset:512
	flat_store_dwordx2 v[2:3], v[30:31] offset:1024
	;; [unrolled: 1-line block ×7, first 2 shown]
	v_add_co_u32_e32 v2, vcc, 0x2000, v10
	v_mov_b32_e32 v1, 0
	v_addc_co_u32_e32 v3, vcc, 0, v11, vcc
	s_or_b64 s[0:1], s[0:1], exec
	flat_store_dwordx2 v[2:3], v[44:45]
	flat_store_dwordx2 v[2:3], v[46:47] offset:512
	flat_store_dwordx2 v[2:3], v[48:49] offset:1024
	;; [unrolled: 1-line block ×3, first 2 shown]
.LBB1475_269:
	s_and_saveexec_b64 s[2:3], s[0:1]
	s_cbranch_execz .LBB1475_271
; %bb.270:
	v_lshlrev_b64 v[0:1], 3, v[0:1]
	v_add_co_u32_e32 v0, vcc, v12, v0
	v_addc_co_u32_e32 v1, vcc, v13, v1, vcc
	v_add_co_u32_e32 v0, vcc, 0x2000, v0
	v_addc_co_u32_e32 v1, vcc, 0, v1, vcc
	s_waitcnt lgkmcnt(0)
	flat_store_dwordx2 v[0:1], v[42:43] offset:2048
	s_endpgm
.LBB1475_271:
	s_endpgm
	.section	.rodata,"a",@progbits
	.p2align	6, 0x0
	.amdhsa_kernel _ZN7rocprim17ROCPRIM_400000_NS6detail17trampoline_kernelINS0_14default_configENS1_27scan_by_key_config_selectorIiyEEZZNS1_16scan_by_key_implILNS1_25lookback_scan_determinismE0ELb1ES3_N6thrust23THRUST_200600_302600_NS6detail15normal_iteratorINS9_10device_ptrIiEEEENSB_INSC_IyEEEESG_yNS9_4plusIvEENS9_8equal_toIvEEyEE10hipError_tPvRmT2_T3_T4_T5_mT6_T7_P12ihipStream_tbENKUlT_T0_E_clISt17integral_constantIbLb1EES11_EEDaSW_SX_EUlSW_E_NS1_11comp_targetILNS1_3genE4ELNS1_11target_archE910ELNS1_3gpuE8ELNS1_3repE0EEENS1_30default_config_static_selectorELNS0_4arch9wavefront6targetE1EEEvT1_
		.amdhsa_group_segment_fixed_size 10752
		.amdhsa_private_segment_fixed_size 0
		.amdhsa_kernarg_size 136
		.amdhsa_user_sgpr_count 6
		.amdhsa_user_sgpr_private_segment_buffer 1
		.amdhsa_user_sgpr_dispatch_ptr 0
		.amdhsa_user_sgpr_queue_ptr 0
		.amdhsa_user_sgpr_kernarg_segment_ptr 1
		.amdhsa_user_sgpr_dispatch_id 0
		.amdhsa_user_sgpr_flat_scratch_init 0
		.amdhsa_user_sgpr_kernarg_preload_length 0
		.amdhsa_user_sgpr_kernarg_preload_offset 0
		.amdhsa_user_sgpr_private_segment_size 0
		.amdhsa_uses_dynamic_stack 0
		.amdhsa_system_sgpr_private_segment_wavefront_offset 0
		.amdhsa_system_sgpr_workgroup_id_x 1
		.amdhsa_system_sgpr_workgroup_id_y 0
		.amdhsa_system_sgpr_workgroup_id_z 0
		.amdhsa_system_sgpr_workgroup_info 0
		.amdhsa_system_vgpr_workitem_id 0
		.amdhsa_next_free_vgpr 130
		.amdhsa_next_free_sgpr 74
		.amdhsa_accum_offset 132
		.amdhsa_reserve_vcc 1
		.amdhsa_reserve_flat_scratch 0
		.amdhsa_float_round_mode_32 0
		.amdhsa_float_round_mode_16_64 0
		.amdhsa_float_denorm_mode_32 3
		.amdhsa_float_denorm_mode_16_64 3
		.amdhsa_dx10_clamp 1
		.amdhsa_ieee_mode 1
		.amdhsa_fp16_overflow 0
		.amdhsa_tg_split 0
		.amdhsa_exception_fp_ieee_invalid_op 0
		.amdhsa_exception_fp_denorm_src 0
		.amdhsa_exception_fp_ieee_div_zero 0
		.amdhsa_exception_fp_ieee_overflow 0
		.amdhsa_exception_fp_ieee_underflow 0
		.amdhsa_exception_fp_ieee_inexact 0
		.amdhsa_exception_int_div_zero 0
	.end_amdhsa_kernel
	.section	.text._ZN7rocprim17ROCPRIM_400000_NS6detail17trampoline_kernelINS0_14default_configENS1_27scan_by_key_config_selectorIiyEEZZNS1_16scan_by_key_implILNS1_25lookback_scan_determinismE0ELb1ES3_N6thrust23THRUST_200600_302600_NS6detail15normal_iteratorINS9_10device_ptrIiEEEENSB_INSC_IyEEEESG_yNS9_4plusIvEENS9_8equal_toIvEEyEE10hipError_tPvRmT2_T3_T4_T5_mT6_T7_P12ihipStream_tbENKUlT_T0_E_clISt17integral_constantIbLb1EES11_EEDaSW_SX_EUlSW_E_NS1_11comp_targetILNS1_3genE4ELNS1_11target_archE910ELNS1_3gpuE8ELNS1_3repE0EEENS1_30default_config_static_selectorELNS0_4arch9wavefront6targetE1EEEvT1_,"axG",@progbits,_ZN7rocprim17ROCPRIM_400000_NS6detail17trampoline_kernelINS0_14default_configENS1_27scan_by_key_config_selectorIiyEEZZNS1_16scan_by_key_implILNS1_25lookback_scan_determinismE0ELb1ES3_N6thrust23THRUST_200600_302600_NS6detail15normal_iteratorINS9_10device_ptrIiEEEENSB_INSC_IyEEEESG_yNS9_4plusIvEENS9_8equal_toIvEEyEE10hipError_tPvRmT2_T3_T4_T5_mT6_T7_P12ihipStream_tbENKUlT_T0_E_clISt17integral_constantIbLb1EES11_EEDaSW_SX_EUlSW_E_NS1_11comp_targetILNS1_3genE4ELNS1_11target_archE910ELNS1_3gpuE8ELNS1_3repE0EEENS1_30default_config_static_selectorELNS0_4arch9wavefront6targetE1EEEvT1_,comdat
.Lfunc_end1475:
	.size	_ZN7rocprim17ROCPRIM_400000_NS6detail17trampoline_kernelINS0_14default_configENS1_27scan_by_key_config_selectorIiyEEZZNS1_16scan_by_key_implILNS1_25lookback_scan_determinismE0ELb1ES3_N6thrust23THRUST_200600_302600_NS6detail15normal_iteratorINS9_10device_ptrIiEEEENSB_INSC_IyEEEESG_yNS9_4plusIvEENS9_8equal_toIvEEyEE10hipError_tPvRmT2_T3_T4_T5_mT6_T7_P12ihipStream_tbENKUlT_T0_E_clISt17integral_constantIbLb1EES11_EEDaSW_SX_EUlSW_E_NS1_11comp_targetILNS1_3genE4ELNS1_11target_archE910ELNS1_3gpuE8ELNS1_3repE0EEENS1_30default_config_static_selectorELNS0_4arch9wavefront6targetE1EEEvT1_, .Lfunc_end1475-_ZN7rocprim17ROCPRIM_400000_NS6detail17trampoline_kernelINS0_14default_configENS1_27scan_by_key_config_selectorIiyEEZZNS1_16scan_by_key_implILNS1_25lookback_scan_determinismE0ELb1ES3_N6thrust23THRUST_200600_302600_NS6detail15normal_iteratorINS9_10device_ptrIiEEEENSB_INSC_IyEEEESG_yNS9_4plusIvEENS9_8equal_toIvEEyEE10hipError_tPvRmT2_T3_T4_T5_mT6_T7_P12ihipStream_tbENKUlT_T0_E_clISt17integral_constantIbLb1EES11_EEDaSW_SX_EUlSW_E_NS1_11comp_targetILNS1_3genE4ELNS1_11target_archE910ELNS1_3gpuE8ELNS1_3repE0EEENS1_30default_config_static_selectorELNS0_4arch9wavefront6targetE1EEEvT1_
                                        ; -- End function
	.section	.AMDGPU.csdata,"",@progbits
; Kernel info:
; codeLenInByte = 17028
; NumSgprs: 78
; NumVgprs: 130
; NumAgprs: 0
; TotalNumVgprs: 130
; ScratchSize: 0
; MemoryBound: 0
; FloatMode: 240
; IeeeMode: 1
; LDSByteSize: 10752 bytes/workgroup (compile time only)
; SGPRBlocks: 9
; VGPRBlocks: 16
; NumSGPRsForWavesPerEU: 78
; NumVGPRsForWavesPerEU: 130
; AccumOffset: 132
; Occupancy: 2
; WaveLimiterHint : 1
; COMPUTE_PGM_RSRC2:SCRATCH_EN: 0
; COMPUTE_PGM_RSRC2:USER_SGPR: 6
; COMPUTE_PGM_RSRC2:TRAP_HANDLER: 0
; COMPUTE_PGM_RSRC2:TGID_X_EN: 1
; COMPUTE_PGM_RSRC2:TGID_Y_EN: 0
; COMPUTE_PGM_RSRC2:TGID_Z_EN: 0
; COMPUTE_PGM_RSRC2:TIDIG_COMP_CNT: 0
; COMPUTE_PGM_RSRC3_GFX90A:ACCUM_OFFSET: 32
; COMPUTE_PGM_RSRC3_GFX90A:TG_SPLIT: 0
	.section	.text._ZN7rocprim17ROCPRIM_400000_NS6detail17trampoline_kernelINS0_14default_configENS1_27scan_by_key_config_selectorIiyEEZZNS1_16scan_by_key_implILNS1_25lookback_scan_determinismE0ELb1ES3_N6thrust23THRUST_200600_302600_NS6detail15normal_iteratorINS9_10device_ptrIiEEEENSB_INSC_IyEEEESG_yNS9_4plusIvEENS9_8equal_toIvEEyEE10hipError_tPvRmT2_T3_T4_T5_mT6_T7_P12ihipStream_tbENKUlT_T0_E_clISt17integral_constantIbLb1EES11_EEDaSW_SX_EUlSW_E_NS1_11comp_targetILNS1_3genE3ELNS1_11target_archE908ELNS1_3gpuE7ELNS1_3repE0EEENS1_30default_config_static_selectorELNS0_4arch9wavefront6targetE1EEEvT1_,"axG",@progbits,_ZN7rocprim17ROCPRIM_400000_NS6detail17trampoline_kernelINS0_14default_configENS1_27scan_by_key_config_selectorIiyEEZZNS1_16scan_by_key_implILNS1_25lookback_scan_determinismE0ELb1ES3_N6thrust23THRUST_200600_302600_NS6detail15normal_iteratorINS9_10device_ptrIiEEEENSB_INSC_IyEEEESG_yNS9_4plusIvEENS9_8equal_toIvEEyEE10hipError_tPvRmT2_T3_T4_T5_mT6_T7_P12ihipStream_tbENKUlT_T0_E_clISt17integral_constantIbLb1EES11_EEDaSW_SX_EUlSW_E_NS1_11comp_targetILNS1_3genE3ELNS1_11target_archE908ELNS1_3gpuE7ELNS1_3repE0EEENS1_30default_config_static_selectorELNS0_4arch9wavefront6targetE1EEEvT1_,comdat
	.protected	_ZN7rocprim17ROCPRIM_400000_NS6detail17trampoline_kernelINS0_14default_configENS1_27scan_by_key_config_selectorIiyEEZZNS1_16scan_by_key_implILNS1_25lookback_scan_determinismE0ELb1ES3_N6thrust23THRUST_200600_302600_NS6detail15normal_iteratorINS9_10device_ptrIiEEEENSB_INSC_IyEEEESG_yNS9_4plusIvEENS9_8equal_toIvEEyEE10hipError_tPvRmT2_T3_T4_T5_mT6_T7_P12ihipStream_tbENKUlT_T0_E_clISt17integral_constantIbLb1EES11_EEDaSW_SX_EUlSW_E_NS1_11comp_targetILNS1_3genE3ELNS1_11target_archE908ELNS1_3gpuE7ELNS1_3repE0EEENS1_30default_config_static_selectorELNS0_4arch9wavefront6targetE1EEEvT1_ ; -- Begin function _ZN7rocprim17ROCPRIM_400000_NS6detail17trampoline_kernelINS0_14default_configENS1_27scan_by_key_config_selectorIiyEEZZNS1_16scan_by_key_implILNS1_25lookback_scan_determinismE0ELb1ES3_N6thrust23THRUST_200600_302600_NS6detail15normal_iteratorINS9_10device_ptrIiEEEENSB_INSC_IyEEEESG_yNS9_4plusIvEENS9_8equal_toIvEEyEE10hipError_tPvRmT2_T3_T4_T5_mT6_T7_P12ihipStream_tbENKUlT_T0_E_clISt17integral_constantIbLb1EES11_EEDaSW_SX_EUlSW_E_NS1_11comp_targetILNS1_3genE3ELNS1_11target_archE908ELNS1_3gpuE7ELNS1_3repE0EEENS1_30default_config_static_selectorELNS0_4arch9wavefront6targetE1EEEvT1_
	.globl	_ZN7rocprim17ROCPRIM_400000_NS6detail17trampoline_kernelINS0_14default_configENS1_27scan_by_key_config_selectorIiyEEZZNS1_16scan_by_key_implILNS1_25lookback_scan_determinismE0ELb1ES3_N6thrust23THRUST_200600_302600_NS6detail15normal_iteratorINS9_10device_ptrIiEEEENSB_INSC_IyEEEESG_yNS9_4plusIvEENS9_8equal_toIvEEyEE10hipError_tPvRmT2_T3_T4_T5_mT6_T7_P12ihipStream_tbENKUlT_T0_E_clISt17integral_constantIbLb1EES11_EEDaSW_SX_EUlSW_E_NS1_11comp_targetILNS1_3genE3ELNS1_11target_archE908ELNS1_3gpuE7ELNS1_3repE0EEENS1_30default_config_static_selectorELNS0_4arch9wavefront6targetE1EEEvT1_
	.p2align	8
	.type	_ZN7rocprim17ROCPRIM_400000_NS6detail17trampoline_kernelINS0_14default_configENS1_27scan_by_key_config_selectorIiyEEZZNS1_16scan_by_key_implILNS1_25lookback_scan_determinismE0ELb1ES3_N6thrust23THRUST_200600_302600_NS6detail15normal_iteratorINS9_10device_ptrIiEEEENSB_INSC_IyEEEESG_yNS9_4plusIvEENS9_8equal_toIvEEyEE10hipError_tPvRmT2_T3_T4_T5_mT6_T7_P12ihipStream_tbENKUlT_T0_E_clISt17integral_constantIbLb1EES11_EEDaSW_SX_EUlSW_E_NS1_11comp_targetILNS1_3genE3ELNS1_11target_archE908ELNS1_3gpuE7ELNS1_3repE0EEENS1_30default_config_static_selectorELNS0_4arch9wavefront6targetE1EEEvT1_,@function
_ZN7rocprim17ROCPRIM_400000_NS6detail17trampoline_kernelINS0_14default_configENS1_27scan_by_key_config_selectorIiyEEZZNS1_16scan_by_key_implILNS1_25lookback_scan_determinismE0ELb1ES3_N6thrust23THRUST_200600_302600_NS6detail15normal_iteratorINS9_10device_ptrIiEEEENSB_INSC_IyEEEESG_yNS9_4plusIvEENS9_8equal_toIvEEyEE10hipError_tPvRmT2_T3_T4_T5_mT6_T7_P12ihipStream_tbENKUlT_T0_E_clISt17integral_constantIbLb1EES11_EEDaSW_SX_EUlSW_E_NS1_11comp_targetILNS1_3genE3ELNS1_11target_archE908ELNS1_3gpuE7ELNS1_3repE0EEENS1_30default_config_static_selectorELNS0_4arch9wavefront6targetE1EEEvT1_: ; @_ZN7rocprim17ROCPRIM_400000_NS6detail17trampoline_kernelINS0_14default_configENS1_27scan_by_key_config_selectorIiyEEZZNS1_16scan_by_key_implILNS1_25lookback_scan_determinismE0ELb1ES3_N6thrust23THRUST_200600_302600_NS6detail15normal_iteratorINS9_10device_ptrIiEEEENSB_INSC_IyEEEESG_yNS9_4plusIvEENS9_8equal_toIvEEyEE10hipError_tPvRmT2_T3_T4_T5_mT6_T7_P12ihipStream_tbENKUlT_T0_E_clISt17integral_constantIbLb1EES11_EEDaSW_SX_EUlSW_E_NS1_11comp_targetILNS1_3genE3ELNS1_11target_archE908ELNS1_3gpuE7ELNS1_3repE0EEENS1_30default_config_static_selectorELNS0_4arch9wavefront6targetE1EEEvT1_
; %bb.0:
	.section	.rodata,"a",@progbits
	.p2align	6, 0x0
	.amdhsa_kernel _ZN7rocprim17ROCPRIM_400000_NS6detail17trampoline_kernelINS0_14default_configENS1_27scan_by_key_config_selectorIiyEEZZNS1_16scan_by_key_implILNS1_25lookback_scan_determinismE0ELb1ES3_N6thrust23THRUST_200600_302600_NS6detail15normal_iteratorINS9_10device_ptrIiEEEENSB_INSC_IyEEEESG_yNS9_4plusIvEENS9_8equal_toIvEEyEE10hipError_tPvRmT2_T3_T4_T5_mT6_T7_P12ihipStream_tbENKUlT_T0_E_clISt17integral_constantIbLb1EES11_EEDaSW_SX_EUlSW_E_NS1_11comp_targetILNS1_3genE3ELNS1_11target_archE908ELNS1_3gpuE7ELNS1_3repE0EEENS1_30default_config_static_selectorELNS0_4arch9wavefront6targetE1EEEvT1_
		.amdhsa_group_segment_fixed_size 0
		.amdhsa_private_segment_fixed_size 0
		.amdhsa_kernarg_size 136
		.amdhsa_user_sgpr_count 6
		.amdhsa_user_sgpr_private_segment_buffer 1
		.amdhsa_user_sgpr_dispatch_ptr 0
		.amdhsa_user_sgpr_queue_ptr 0
		.amdhsa_user_sgpr_kernarg_segment_ptr 1
		.amdhsa_user_sgpr_dispatch_id 0
		.amdhsa_user_sgpr_flat_scratch_init 0
		.amdhsa_user_sgpr_kernarg_preload_length 0
		.amdhsa_user_sgpr_kernarg_preload_offset 0
		.amdhsa_user_sgpr_private_segment_size 0
		.amdhsa_uses_dynamic_stack 0
		.amdhsa_system_sgpr_private_segment_wavefront_offset 0
		.amdhsa_system_sgpr_workgroup_id_x 1
		.amdhsa_system_sgpr_workgroup_id_y 0
		.amdhsa_system_sgpr_workgroup_id_z 0
		.amdhsa_system_sgpr_workgroup_info 0
		.amdhsa_system_vgpr_workitem_id 0
		.amdhsa_next_free_vgpr 1
		.amdhsa_next_free_sgpr 0
		.amdhsa_accum_offset 4
		.amdhsa_reserve_vcc 0
		.amdhsa_reserve_flat_scratch 0
		.amdhsa_float_round_mode_32 0
		.amdhsa_float_round_mode_16_64 0
		.amdhsa_float_denorm_mode_32 3
		.amdhsa_float_denorm_mode_16_64 3
		.amdhsa_dx10_clamp 1
		.amdhsa_ieee_mode 1
		.amdhsa_fp16_overflow 0
		.amdhsa_tg_split 0
		.amdhsa_exception_fp_ieee_invalid_op 0
		.amdhsa_exception_fp_denorm_src 0
		.amdhsa_exception_fp_ieee_div_zero 0
		.amdhsa_exception_fp_ieee_overflow 0
		.amdhsa_exception_fp_ieee_underflow 0
		.amdhsa_exception_fp_ieee_inexact 0
		.amdhsa_exception_int_div_zero 0
	.end_amdhsa_kernel
	.section	.text._ZN7rocprim17ROCPRIM_400000_NS6detail17trampoline_kernelINS0_14default_configENS1_27scan_by_key_config_selectorIiyEEZZNS1_16scan_by_key_implILNS1_25lookback_scan_determinismE0ELb1ES3_N6thrust23THRUST_200600_302600_NS6detail15normal_iteratorINS9_10device_ptrIiEEEENSB_INSC_IyEEEESG_yNS9_4plusIvEENS9_8equal_toIvEEyEE10hipError_tPvRmT2_T3_T4_T5_mT6_T7_P12ihipStream_tbENKUlT_T0_E_clISt17integral_constantIbLb1EES11_EEDaSW_SX_EUlSW_E_NS1_11comp_targetILNS1_3genE3ELNS1_11target_archE908ELNS1_3gpuE7ELNS1_3repE0EEENS1_30default_config_static_selectorELNS0_4arch9wavefront6targetE1EEEvT1_,"axG",@progbits,_ZN7rocprim17ROCPRIM_400000_NS6detail17trampoline_kernelINS0_14default_configENS1_27scan_by_key_config_selectorIiyEEZZNS1_16scan_by_key_implILNS1_25lookback_scan_determinismE0ELb1ES3_N6thrust23THRUST_200600_302600_NS6detail15normal_iteratorINS9_10device_ptrIiEEEENSB_INSC_IyEEEESG_yNS9_4plusIvEENS9_8equal_toIvEEyEE10hipError_tPvRmT2_T3_T4_T5_mT6_T7_P12ihipStream_tbENKUlT_T0_E_clISt17integral_constantIbLb1EES11_EEDaSW_SX_EUlSW_E_NS1_11comp_targetILNS1_3genE3ELNS1_11target_archE908ELNS1_3gpuE7ELNS1_3repE0EEENS1_30default_config_static_selectorELNS0_4arch9wavefront6targetE1EEEvT1_,comdat
.Lfunc_end1476:
	.size	_ZN7rocprim17ROCPRIM_400000_NS6detail17trampoline_kernelINS0_14default_configENS1_27scan_by_key_config_selectorIiyEEZZNS1_16scan_by_key_implILNS1_25lookback_scan_determinismE0ELb1ES3_N6thrust23THRUST_200600_302600_NS6detail15normal_iteratorINS9_10device_ptrIiEEEENSB_INSC_IyEEEESG_yNS9_4plusIvEENS9_8equal_toIvEEyEE10hipError_tPvRmT2_T3_T4_T5_mT6_T7_P12ihipStream_tbENKUlT_T0_E_clISt17integral_constantIbLb1EES11_EEDaSW_SX_EUlSW_E_NS1_11comp_targetILNS1_3genE3ELNS1_11target_archE908ELNS1_3gpuE7ELNS1_3repE0EEENS1_30default_config_static_selectorELNS0_4arch9wavefront6targetE1EEEvT1_, .Lfunc_end1476-_ZN7rocprim17ROCPRIM_400000_NS6detail17trampoline_kernelINS0_14default_configENS1_27scan_by_key_config_selectorIiyEEZZNS1_16scan_by_key_implILNS1_25lookback_scan_determinismE0ELb1ES3_N6thrust23THRUST_200600_302600_NS6detail15normal_iteratorINS9_10device_ptrIiEEEENSB_INSC_IyEEEESG_yNS9_4plusIvEENS9_8equal_toIvEEyEE10hipError_tPvRmT2_T3_T4_T5_mT6_T7_P12ihipStream_tbENKUlT_T0_E_clISt17integral_constantIbLb1EES11_EEDaSW_SX_EUlSW_E_NS1_11comp_targetILNS1_3genE3ELNS1_11target_archE908ELNS1_3gpuE7ELNS1_3repE0EEENS1_30default_config_static_selectorELNS0_4arch9wavefront6targetE1EEEvT1_
                                        ; -- End function
	.section	.AMDGPU.csdata,"",@progbits
; Kernel info:
; codeLenInByte = 0
; NumSgprs: 4
; NumVgprs: 0
; NumAgprs: 0
; TotalNumVgprs: 0
; ScratchSize: 0
; MemoryBound: 0
; FloatMode: 240
; IeeeMode: 1
; LDSByteSize: 0 bytes/workgroup (compile time only)
; SGPRBlocks: 0
; VGPRBlocks: 0
; NumSGPRsForWavesPerEU: 4
; NumVGPRsForWavesPerEU: 1
; AccumOffset: 4
; Occupancy: 8
; WaveLimiterHint : 0
; COMPUTE_PGM_RSRC2:SCRATCH_EN: 0
; COMPUTE_PGM_RSRC2:USER_SGPR: 6
; COMPUTE_PGM_RSRC2:TRAP_HANDLER: 0
; COMPUTE_PGM_RSRC2:TGID_X_EN: 1
; COMPUTE_PGM_RSRC2:TGID_Y_EN: 0
; COMPUTE_PGM_RSRC2:TGID_Z_EN: 0
; COMPUTE_PGM_RSRC2:TIDIG_COMP_CNT: 0
; COMPUTE_PGM_RSRC3_GFX90A:ACCUM_OFFSET: 0
; COMPUTE_PGM_RSRC3_GFX90A:TG_SPLIT: 0
	.section	.text._ZN7rocprim17ROCPRIM_400000_NS6detail17trampoline_kernelINS0_14default_configENS1_27scan_by_key_config_selectorIiyEEZZNS1_16scan_by_key_implILNS1_25lookback_scan_determinismE0ELb1ES3_N6thrust23THRUST_200600_302600_NS6detail15normal_iteratorINS9_10device_ptrIiEEEENSB_INSC_IyEEEESG_yNS9_4plusIvEENS9_8equal_toIvEEyEE10hipError_tPvRmT2_T3_T4_T5_mT6_T7_P12ihipStream_tbENKUlT_T0_E_clISt17integral_constantIbLb1EES11_EEDaSW_SX_EUlSW_E_NS1_11comp_targetILNS1_3genE2ELNS1_11target_archE906ELNS1_3gpuE6ELNS1_3repE0EEENS1_30default_config_static_selectorELNS0_4arch9wavefront6targetE1EEEvT1_,"axG",@progbits,_ZN7rocprim17ROCPRIM_400000_NS6detail17trampoline_kernelINS0_14default_configENS1_27scan_by_key_config_selectorIiyEEZZNS1_16scan_by_key_implILNS1_25lookback_scan_determinismE0ELb1ES3_N6thrust23THRUST_200600_302600_NS6detail15normal_iteratorINS9_10device_ptrIiEEEENSB_INSC_IyEEEESG_yNS9_4plusIvEENS9_8equal_toIvEEyEE10hipError_tPvRmT2_T3_T4_T5_mT6_T7_P12ihipStream_tbENKUlT_T0_E_clISt17integral_constantIbLb1EES11_EEDaSW_SX_EUlSW_E_NS1_11comp_targetILNS1_3genE2ELNS1_11target_archE906ELNS1_3gpuE6ELNS1_3repE0EEENS1_30default_config_static_selectorELNS0_4arch9wavefront6targetE1EEEvT1_,comdat
	.protected	_ZN7rocprim17ROCPRIM_400000_NS6detail17trampoline_kernelINS0_14default_configENS1_27scan_by_key_config_selectorIiyEEZZNS1_16scan_by_key_implILNS1_25lookback_scan_determinismE0ELb1ES3_N6thrust23THRUST_200600_302600_NS6detail15normal_iteratorINS9_10device_ptrIiEEEENSB_INSC_IyEEEESG_yNS9_4plusIvEENS9_8equal_toIvEEyEE10hipError_tPvRmT2_T3_T4_T5_mT6_T7_P12ihipStream_tbENKUlT_T0_E_clISt17integral_constantIbLb1EES11_EEDaSW_SX_EUlSW_E_NS1_11comp_targetILNS1_3genE2ELNS1_11target_archE906ELNS1_3gpuE6ELNS1_3repE0EEENS1_30default_config_static_selectorELNS0_4arch9wavefront6targetE1EEEvT1_ ; -- Begin function _ZN7rocprim17ROCPRIM_400000_NS6detail17trampoline_kernelINS0_14default_configENS1_27scan_by_key_config_selectorIiyEEZZNS1_16scan_by_key_implILNS1_25lookback_scan_determinismE0ELb1ES3_N6thrust23THRUST_200600_302600_NS6detail15normal_iteratorINS9_10device_ptrIiEEEENSB_INSC_IyEEEESG_yNS9_4plusIvEENS9_8equal_toIvEEyEE10hipError_tPvRmT2_T3_T4_T5_mT6_T7_P12ihipStream_tbENKUlT_T0_E_clISt17integral_constantIbLb1EES11_EEDaSW_SX_EUlSW_E_NS1_11comp_targetILNS1_3genE2ELNS1_11target_archE906ELNS1_3gpuE6ELNS1_3repE0EEENS1_30default_config_static_selectorELNS0_4arch9wavefront6targetE1EEEvT1_
	.globl	_ZN7rocprim17ROCPRIM_400000_NS6detail17trampoline_kernelINS0_14default_configENS1_27scan_by_key_config_selectorIiyEEZZNS1_16scan_by_key_implILNS1_25lookback_scan_determinismE0ELb1ES3_N6thrust23THRUST_200600_302600_NS6detail15normal_iteratorINS9_10device_ptrIiEEEENSB_INSC_IyEEEESG_yNS9_4plusIvEENS9_8equal_toIvEEyEE10hipError_tPvRmT2_T3_T4_T5_mT6_T7_P12ihipStream_tbENKUlT_T0_E_clISt17integral_constantIbLb1EES11_EEDaSW_SX_EUlSW_E_NS1_11comp_targetILNS1_3genE2ELNS1_11target_archE906ELNS1_3gpuE6ELNS1_3repE0EEENS1_30default_config_static_selectorELNS0_4arch9wavefront6targetE1EEEvT1_
	.p2align	8
	.type	_ZN7rocprim17ROCPRIM_400000_NS6detail17trampoline_kernelINS0_14default_configENS1_27scan_by_key_config_selectorIiyEEZZNS1_16scan_by_key_implILNS1_25lookback_scan_determinismE0ELb1ES3_N6thrust23THRUST_200600_302600_NS6detail15normal_iteratorINS9_10device_ptrIiEEEENSB_INSC_IyEEEESG_yNS9_4plusIvEENS9_8equal_toIvEEyEE10hipError_tPvRmT2_T3_T4_T5_mT6_T7_P12ihipStream_tbENKUlT_T0_E_clISt17integral_constantIbLb1EES11_EEDaSW_SX_EUlSW_E_NS1_11comp_targetILNS1_3genE2ELNS1_11target_archE906ELNS1_3gpuE6ELNS1_3repE0EEENS1_30default_config_static_selectorELNS0_4arch9wavefront6targetE1EEEvT1_,@function
_ZN7rocprim17ROCPRIM_400000_NS6detail17trampoline_kernelINS0_14default_configENS1_27scan_by_key_config_selectorIiyEEZZNS1_16scan_by_key_implILNS1_25lookback_scan_determinismE0ELb1ES3_N6thrust23THRUST_200600_302600_NS6detail15normal_iteratorINS9_10device_ptrIiEEEENSB_INSC_IyEEEESG_yNS9_4plusIvEENS9_8equal_toIvEEyEE10hipError_tPvRmT2_T3_T4_T5_mT6_T7_P12ihipStream_tbENKUlT_T0_E_clISt17integral_constantIbLb1EES11_EEDaSW_SX_EUlSW_E_NS1_11comp_targetILNS1_3genE2ELNS1_11target_archE906ELNS1_3gpuE6ELNS1_3repE0EEENS1_30default_config_static_selectorELNS0_4arch9wavefront6targetE1EEEvT1_: ; @_ZN7rocprim17ROCPRIM_400000_NS6detail17trampoline_kernelINS0_14default_configENS1_27scan_by_key_config_selectorIiyEEZZNS1_16scan_by_key_implILNS1_25lookback_scan_determinismE0ELb1ES3_N6thrust23THRUST_200600_302600_NS6detail15normal_iteratorINS9_10device_ptrIiEEEENSB_INSC_IyEEEESG_yNS9_4plusIvEENS9_8equal_toIvEEyEE10hipError_tPvRmT2_T3_T4_T5_mT6_T7_P12ihipStream_tbENKUlT_T0_E_clISt17integral_constantIbLb1EES11_EEDaSW_SX_EUlSW_E_NS1_11comp_targetILNS1_3genE2ELNS1_11target_archE906ELNS1_3gpuE6ELNS1_3repE0EEENS1_30default_config_static_selectorELNS0_4arch9wavefront6targetE1EEEvT1_
; %bb.0:
	.section	.rodata,"a",@progbits
	.p2align	6, 0x0
	.amdhsa_kernel _ZN7rocprim17ROCPRIM_400000_NS6detail17trampoline_kernelINS0_14default_configENS1_27scan_by_key_config_selectorIiyEEZZNS1_16scan_by_key_implILNS1_25lookback_scan_determinismE0ELb1ES3_N6thrust23THRUST_200600_302600_NS6detail15normal_iteratorINS9_10device_ptrIiEEEENSB_INSC_IyEEEESG_yNS9_4plusIvEENS9_8equal_toIvEEyEE10hipError_tPvRmT2_T3_T4_T5_mT6_T7_P12ihipStream_tbENKUlT_T0_E_clISt17integral_constantIbLb1EES11_EEDaSW_SX_EUlSW_E_NS1_11comp_targetILNS1_3genE2ELNS1_11target_archE906ELNS1_3gpuE6ELNS1_3repE0EEENS1_30default_config_static_selectorELNS0_4arch9wavefront6targetE1EEEvT1_
		.amdhsa_group_segment_fixed_size 0
		.amdhsa_private_segment_fixed_size 0
		.amdhsa_kernarg_size 136
		.amdhsa_user_sgpr_count 6
		.amdhsa_user_sgpr_private_segment_buffer 1
		.amdhsa_user_sgpr_dispatch_ptr 0
		.amdhsa_user_sgpr_queue_ptr 0
		.amdhsa_user_sgpr_kernarg_segment_ptr 1
		.amdhsa_user_sgpr_dispatch_id 0
		.amdhsa_user_sgpr_flat_scratch_init 0
		.amdhsa_user_sgpr_kernarg_preload_length 0
		.amdhsa_user_sgpr_kernarg_preload_offset 0
		.amdhsa_user_sgpr_private_segment_size 0
		.amdhsa_uses_dynamic_stack 0
		.amdhsa_system_sgpr_private_segment_wavefront_offset 0
		.amdhsa_system_sgpr_workgroup_id_x 1
		.amdhsa_system_sgpr_workgroup_id_y 0
		.amdhsa_system_sgpr_workgroup_id_z 0
		.amdhsa_system_sgpr_workgroup_info 0
		.amdhsa_system_vgpr_workitem_id 0
		.amdhsa_next_free_vgpr 1
		.amdhsa_next_free_sgpr 0
		.amdhsa_accum_offset 4
		.amdhsa_reserve_vcc 0
		.amdhsa_reserve_flat_scratch 0
		.amdhsa_float_round_mode_32 0
		.amdhsa_float_round_mode_16_64 0
		.amdhsa_float_denorm_mode_32 3
		.amdhsa_float_denorm_mode_16_64 3
		.amdhsa_dx10_clamp 1
		.amdhsa_ieee_mode 1
		.amdhsa_fp16_overflow 0
		.amdhsa_tg_split 0
		.amdhsa_exception_fp_ieee_invalid_op 0
		.amdhsa_exception_fp_denorm_src 0
		.amdhsa_exception_fp_ieee_div_zero 0
		.amdhsa_exception_fp_ieee_overflow 0
		.amdhsa_exception_fp_ieee_underflow 0
		.amdhsa_exception_fp_ieee_inexact 0
		.amdhsa_exception_int_div_zero 0
	.end_amdhsa_kernel
	.section	.text._ZN7rocprim17ROCPRIM_400000_NS6detail17trampoline_kernelINS0_14default_configENS1_27scan_by_key_config_selectorIiyEEZZNS1_16scan_by_key_implILNS1_25lookback_scan_determinismE0ELb1ES3_N6thrust23THRUST_200600_302600_NS6detail15normal_iteratorINS9_10device_ptrIiEEEENSB_INSC_IyEEEESG_yNS9_4plusIvEENS9_8equal_toIvEEyEE10hipError_tPvRmT2_T3_T4_T5_mT6_T7_P12ihipStream_tbENKUlT_T0_E_clISt17integral_constantIbLb1EES11_EEDaSW_SX_EUlSW_E_NS1_11comp_targetILNS1_3genE2ELNS1_11target_archE906ELNS1_3gpuE6ELNS1_3repE0EEENS1_30default_config_static_selectorELNS0_4arch9wavefront6targetE1EEEvT1_,"axG",@progbits,_ZN7rocprim17ROCPRIM_400000_NS6detail17trampoline_kernelINS0_14default_configENS1_27scan_by_key_config_selectorIiyEEZZNS1_16scan_by_key_implILNS1_25lookback_scan_determinismE0ELb1ES3_N6thrust23THRUST_200600_302600_NS6detail15normal_iteratorINS9_10device_ptrIiEEEENSB_INSC_IyEEEESG_yNS9_4plusIvEENS9_8equal_toIvEEyEE10hipError_tPvRmT2_T3_T4_T5_mT6_T7_P12ihipStream_tbENKUlT_T0_E_clISt17integral_constantIbLb1EES11_EEDaSW_SX_EUlSW_E_NS1_11comp_targetILNS1_3genE2ELNS1_11target_archE906ELNS1_3gpuE6ELNS1_3repE0EEENS1_30default_config_static_selectorELNS0_4arch9wavefront6targetE1EEEvT1_,comdat
.Lfunc_end1477:
	.size	_ZN7rocprim17ROCPRIM_400000_NS6detail17trampoline_kernelINS0_14default_configENS1_27scan_by_key_config_selectorIiyEEZZNS1_16scan_by_key_implILNS1_25lookback_scan_determinismE0ELb1ES3_N6thrust23THRUST_200600_302600_NS6detail15normal_iteratorINS9_10device_ptrIiEEEENSB_INSC_IyEEEESG_yNS9_4plusIvEENS9_8equal_toIvEEyEE10hipError_tPvRmT2_T3_T4_T5_mT6_T7_P12ihipStream_tbENKUlT_T0_E_clISt17integral_constantIbLb1EES11_EEDaSW_SX_EUlSW_E_NS1_11comp_targetILNS1_3genE2ELNS1_11target_archE906ELNS1_3gpuE6ELNS1_3repE0EEENS1_30default_config_static_selectorELNS0_4arch9wavefront6targetE1EEEvT1_, .Lfunc_end1477-_ZN7rocprim17ROCPRIM_400000_NS6detail17trampoline_kernelINS0_14default_configENS1_27scan_by_key_config_selectorIiyEEZZNS1_16scan_by_key_implILNS1_25lookback_scan_determinismE0ELb1ES3_N6thrust23THRUST_200600_302600_NS6detail15normal_iteratorINS9_10device_ptrIiEEEENSB_INSC_IyEEEESG_yNS9_4plusIvEENS9_8equal_toIvEEyEE10hipError_tPvRmT2_T3_T4_T5_mT6_T7_P12ihipStream_tbENKUlT_T0_E_clISt17integral_constantIbLb1EES11_EEDaSW_SX_EUlSW_E_NS1_11comp_targetILNS1_3genE2ELNS1_11target_archE906ELNS1_3gpuE6ELNS1_3repE0EEENS1_30default_config_static_selectorELNS0_4arch9wavefront6targetE1EEEvT1_
                                        ; -- End function
	.section	.AMDGPU.csdata,"",@progbits
; Kernel info:
; codeLenInByte = 0
; NumSgprs: 4
; NumVgprs: 0
; NumAgprs: 0
; TotalNumVgprs: 0
; ScratchSize: 0
; MemoryBound: 0
; FloatMode: 240
; IeeeMode: 1
; LDSByteSize: 0 bytes/workgroup (compile time only)
; SGPRBlocks: 0
; VGPRBlocks: 0
; NumSGPRsForWavesPerEU: 4
; NumVGPRsForWavesPerEU: 1
; AccumOffset: 4
; Occupancy: 8
; WaveLimiterHint : 0
; COMPUTE_PGM_RSRC2:SCRATCH_EN: 0
; COMPUTE_PGM_RSRC2:USER_SGPR: 6
; COMPUTE_PGM_RSRC2:TRAP_HANDLER: 0
; COMPUTE_PGM_RSRC2:TGID_X_EN: 1
; COMPUTE_PGM_RSRC2:TGID_Y_EN: 0
; COMPUTE_PGM_RSRC2:TGID_Z_EN: 0
; COMPUTE_PGM_RSRC2:TIDIG_COMP_CNT: 0
; COMPUTE_PGM_RSRC3_GFX90A:ACCUM_OFFSET: 0
; COMPUTE_PGM_RSRC3_GFX90A:TG_SPLIT: 0
	.section	.text._ZN7rocprim17ROCPRIM_400000_NS6detail17trampoline_kernelINS0_14default_configENS1_27scan_by_key_config_selectorIiyEEZZNS1_16scan_by_key_implILNS1_25lookback_scan_determinismE0ELb1ES3_N6thrust23THRUST_200600_302600_NS6detail15normal_iteratorINS9_10device_ptrIiEEEENSB_INSC_IyEEEESG_yNS9_4plusIvEENS9_8equal_toIvEEyEE10hipError_tPvRmT2_T3_T4_T5_mT6_T7_P12ihipStream_tbENKUlT_T0_E_clISt17integral_constantIbLb1EES11_EEDaSW_SX_EUlSW_E_NS1_11comp_targetILNS1_3genE10ELNS1_11target_archE1200ELNS1_3gpuE4ELNS1_3repE0EEENS1_30default_config_static_selectorELNS0_4arch9wavefront6targetE1EEEvT1_,"axG",@progbits,_ZN7rocprim17ROCPRIM_400000_NS6detail17trampoline_kernelINS0_14default_configENS1_27scan_by_key_config_selectorIiyEEZZNS1_16scan_by_key_implILNS1_25lookback_scan_determinismE0ELb1ES3_N6thrust23THRUST_200600_302600_NS6detail15normal_iteratorINS9_10device_ptrIiEEEENSB_INSC_IyEEEESG_yNS9_4plusIvEENS9_8equal_toIvEEyEE10hipError_tPvRmT2_T3_T4_T5_mT6_T7_P12ihipStream_tbENKUlT_T0_E_clISt17integral_constantIbLb1EES11_EEDaSW_SX_EUlSW_E_NS1_11comp_targetILNS1_3genE10ELNS1_11target_archE1200ELNS1_3gpuE4ELNS1_3repE0EEENS1_30default_config_static_selectorELNS0_4arch9wavefront6targetE1EEEvT1_,comdat
	.protected	_ZN7rocprim17ROCPRIM_400000_NS6detail17trampoline_kernelINS0_14default_configENS1_27scan_by_key_config_selectorIiyEEZZNS1_16scan_by_key_implILNS1_25lookback_scan_determinismE0ELb1ES3_N6thrust23THRUST_200600_302600_NS6detail15normal_iteratorINS9_10device_ptrIiEEEENSB_INSC_IyEEEESG_yNS9_4plusIvEENS9_8equal_toIvEEyEE10hipError_tPvRmT2_T3_T4_T5_mT6_T7_P12ihipStream_tbENKUlT_T0_E_clISt17integral_constantIbLb1EES11_EEDaSW_SX_EUlSW_E_NS1_11comp_targetILNS1_3genE10ELNS1_11target_archE1200ELNS1_3gpuE4ELNS1_3repE0EEENS1_30default_config_static_selectorELNS0_4arch9wavefront6targetE1EEEvT1_ ; -- Begin function _ZN7rocprim17ROCPRIM_400000_NS6detail17trampoline_kernelINS0_14default_configENS1_27scan_by_key_config_selectorIiyEEZZNS1_16scan_by_key_implILNS1_25lookback_scan_determinismE0ELb1ES3_N6thrust23THRUST_200600_302600_NS6detail15normal_iteratorINS9_10device_ptrIiEEEENSB_INSC_IyEEEESG_yNS9_4plusIvEENS9_8equal_toIvEEyEE10hipError_tPvRmT2_T3_T4_T5_mT6_T7_P12ihipStream_tbENKUlT_T0_E_clISt17integral_constantIbLb1EES11_EEDaSW_SX_EUlSW_E_NS1_11comp_targetILNS1_3genE10ELNS1_11target_archE1200ELNS1_3gpuE4ELNS1_3repE0EEENS1_30default_config_static_selectorELNS0_4arch9wavefront6targetE1EEEvT1_
	.globl	_ZN7rocprim17ROCPRIM_400000_NS6detail17trampoline_kernelINS0_14default_configENS1_27scan_by_key_config_selectorIiyEEZZNS1_16scan_by_key_implILNS1_25lookback_scan_determinismE0ELb1ES3_N6thrust23THRUST_200600_302600_NS6detail15normal_iteratorINS9_10device_ptrIiEEEENSB_INSC_IyEEEESG_yNS9_4plusIvEENS9_8equal_toIvEEyEE10hipError_tPvRmT2_T3_T4_T5_mT6_T7_P12ihipStream_tbENKUlT_T0_E_clISt17integral_constantIbLb1EES11_EEDaSW_SX_EUlSW_E_NS1_11comp_targetILNS1_3genE10ELNS1_11target_archE1200ELNS1_3gpuE4ELNS1_3repE0EEENS1_30default_config_static_selectorELNS0_4arch9wavefront6targetE1EEEvT1_
	.p2align	8
	.type	_ZN7rocprim17ROCPRIM_400000_NS6detail17trampoline_kernelINS0_14default_configENS1_27scan_by_key_config_selectorIiyEEZZNS1_16scan_by_key_implILNS1_25lookback_scan_determinismE0ELb1ES3_N6thrust23THRUST_200600_302600_NS6detail15normal_iteratorINS9_10device_ptrIiEEEENSB_INSC_IyEEEESG_yNS9_4plusIvEENS9_8equal_toIvEEyEE10hipError_tPvRmT2_T3_T4_T5_mT6_T7_P12ihipStream_tbENKUlT_T0_E_clISt17integral_constantIbLb1EES11_EEDaSW_SX_EUlSW_E_NS1_11comp_targetILNS1_3genE10ELNS1_11target_archE1200ELNS1_3gpuE4ELNS1_3repE0EEENS1_30default_config_static_selectorELNS0_4arch9wavefront6targetE1EEEvT1_,@function
_ZN7rocprim17ROCPRIM_400000_NS6detail17trampoline_kernelINS0_14default_configENS1_27scan_by_key_config_selectorIiyEEZZNS1_16scan_by_key_implILNS1_25lookback_scan_determinismE0ELb1ES3_N6thrust23THRUST_200600_302600_NS6detail15normal_iteratorINS9_10device_ptrIiEEEENSB_INSC_IyEEEESG_yNS9_4plusIvEENS9_8equal_toIvEEyEE10hipError_tPvRmT2_T3_T4_T5_mT6_T7_P12ihipStream_tbENKUlT_T0_E_clISt17integral_constantIbLb1EES11_EEDaSW_SX_EUlSW_E_NS1_11comp_targetILNS1_3genE10ELNS1_11target_archE1200ELNS1_3gpuE4ELNS1_3repE0EEENS1_30default_config_static_selectorELNS0_4arch9wavefront6targetE1EEEvT1_: ; @_ZN7rocprim17ROCPRIM_400000_NS6detail17trampoline_kernelINS0_14default_configENS1_27scan_by_key_config_selectorIiyEEZZNS1_16scan_by_key_implILNS1_25lookback_scan_determinismE0ELb1ES3_N6thrust23THRUST_200600_302600_NS6detail15normal_iteratorINS9_10device_ptrIiEEEENSB_INSC_IyEEEESG_yNS9_4plusIvEENS9_8equal_toIvEEyEE10hipError_tPvRmT2_T3_T4_T5_mT6_T7_P12ihipStream_tbENKUlT_T0_E_clISt17integral_constantIbLb1EES11_EEDaSW_SX_EUlSW_E_NS1_11comp_targetILNS1_3genE10ELNS1_11target_archE1200ELNS1_3gpuE4ELNS1_3repE0EEENS1_30default_config_static_selectorELNS0_4arch9wavefront6targetE1EEEvT1_
; %bb.0:
	.section	.rodata,"a",@progbits
	.p2align	6, 0x0
	.amdhsa_kernel _ZN7rocprim17ROCPRIM_400000_NS6detail17trampoline_kernelINS0_14default_configENS1_27scan_by_key_config_selectorIiyEEZZNS1_16scan_by_key_implILNS1_25lookback_scan_determinismE0ELb1ES3_N6thrust23THRUST_200600_302600_NS6detail15normal_iteratorINS9_10device_ptrIiEEEENSB_INSC_IyEEEESG_yNS9_4plusIvEENS9_8equal_toIvEEyEE10hipError_tPvRmT2_T3_T4_T5_mT6_T7_P12ihipStream_tbENKUlT_T0_E_clISt17integral_constantIbLb1EES11_EEDaSW_SX_EUlSW_E_NS1_11comp_targetILNS1_3genE10ELNS1_11target_archE1200ELNS1_3gpuE4ELNS1_3repE0EEENS1_30default_config_static_selectorELNS0_4arch9wavefront6targetE1EEEvT1_
		.amdhsa_group_segment_fixed_size 0
		.amdhsa_private_segment_fixed_size 0
		.amdhsa_kernarg_size 136
		.amdhsa_user_sgpr_count 6
		.amdhsa_user_sgpr_private_segment_buffer 1
		.amdhsa_user_sgpr_dispatch_ptr 0
		.amdhsa_user_sgpr_queue_ptr 0
		.amdhsa_user_sgpr_kernarg_segment_ptr 1
		.amdhsa_user_sgpr_dispatch_id 0
		.amdhsa_user_sgpr_flat_scratch_init 0
		.amdhsa_user_sgpr_kernarg_preload_length 0
		.amdhsa_user_sgpr_kernarg_preload_offset 0
		.amdhsa_user_sgpr_private_segment_size 0
		.amdhsa_uses_dynamic_stack 0
		.amdhsa_system_sgpr_private_segment_wavefront_offset 0
		.amdhsa_system_sgpr_workgroup_id_x 1
		.amdhsa_system_sgpr_workgroup_id_y 0
		.amdhsa_system_sgpr_workgroup_id_z 0
		.amdhsa_system_sgpr_workgroup_info 0
		.amdhsa_system_vgpr_workitem_id 0
		.amdhsa_next_free_vgpr 1
		.amdhsa_next_free_sgpr 0
		.amdhsa_accum_offset 4
		.amdhsa_reserve_vcc 0
		.amdhsa_reserve_flat_scratch 0
		.amdhsa_float_round_mode_32 0
		.amdhsa_float_round_mode_16_64 0
		.amdhsa_float_denorm_mode_32 3
		.amdhsa_float_denorm_mode_16_64 3
		.amdhsa_dx10_clamp 1
		.amdhsa_ieee_mode 1
		.amdhsa_fp16_overflow 0
		.amdhsa_tg_split 0
		.amdhsa_exception_fp_ieee_invalid_op 0
		.amdhsa_exception_fp_denorm_src 0
		.amdhsa_exception_fp_ieee_div_zero 0
		.amdhsa_exception_fp_ieee_overflow 0
		.amdhsa_exception_fp_ieee_underflow 0
		.amdhsa_exception_fp_ieee_inexact 0
		.amdhsa_exception_int_div_zero 0
	.end_amdhsa_kernel
	.section	.text._ZN7rocprim17ROCPRIM_400000_NS6detail17trampoline_kernelINS0_14default_configENS1_27scan_by_key_config_selectorIiyEEZZNS1_16scan_by_key_implILNS1_25lookback_scan_determinismE0ELb1ES3_N6thrust23THRUST_200600_302600_NS6detail15normal_iteratorINS9_10device_ptrIiEEEENSB_INSC_IyEEEESG_yNS9_4plusIvEENS9_8equal_toIvEEyEE10hipError_tPvRmT2_T3_T4_T5_mT6_T7_P12ihipStream_tbENKUlT_T0_E_clISt17integral_constantIbLb1EES11_EEDaSW_SX_EUlSW_E_NS1_11comp_targetILNS1_3genE10ELNS1_11target_archE1200ELNS1_3gpuE4ELNS1_3repE0EEENS1_30default_config_static_selectorELNS0_4arch9wavefront6targetE1EEEvT1_,"axG",@progbits,_ZN7rocprim17ROCPRIM_400000_NS6detail17trampoline_kernelINS0_14default_configENS1_27scan_by_key_config_selectorIiyEEZZNS1_16scan_by_key_implILNS1_25lookback_scan_determinismE0ELb1ES3_N6thrust23THRUST_200600_302600_NS6detail15normal_iteratorINS9_10device_ptrIiEEEENSB_INSC_IyEEEESG_yNS9_4plusIvEENS9_8equal_toIvEEyEE10hipError_tPvRmT2_T3_T4_T5_mT6_T7_P12ihipStream_tbENKUlT_T0_E_clISt17integral_constantIbLb1EES11_EEDaSW_SX_EUlSW_E_NS1_11comp_targetILNS1_3genE10ELNS1_11target_archE1200ELNS1_3gpuE4ELNS1_3repE0EEENS1_30default_config_static_selectorELNS0_4arch9wavefront6targetE1EEEvT1_,comdat
.Lfunc_end1478:
	.size	_ZN7rocprim17ROCPRIM_400000_NS6detail17trampoline_kernelINS0_14default_configENS1_27scan_by_key_config_selectorIiyEEZZNS1_16scan_by_key_implILNS1_25lookback_scan_determinismE0ELb1ES3_N6thrust23THRUST_200600_302600_NS6detail15normal_iteratorINS9_10device_ptrIiEEEENSB_INSC_IyEEEESG_yNS9_4plusIvEENS9_8equal_toIvEEyEE10hipError_tPvRmT2_T3_T4_T5_mT6_T7_P12ihipStream_tbENKUlT_T0_E_clISt17integral_constantIbLb1EES11_EEDaSW_SX_EUlSW_E_NS1_11comp_targetILNS1_3genE10ELNS1_11target_archE1200ELNS1_3gpuE4ELNS1_3repE0EEENS1_30default_config_static_selectorELNS0_4arch9wavefront6targetE1EEEvT1_, .Lfunc_end1478-_ZN7rocprim17ROCPRIM_400000_NS6detail17trampoline_kernelINS0_14default_configENS1_27scan_by_key_config_selectorIiyEEZZNS1_16scan_by_key_implILNS1_25lookback_scan_determinismE0ELb1ES3_N6thrust23THRUST_200600_302600_NS6detail15normal_iteratorINS9_10device_ptrIiEEEENSB_INSC_IyEEEESG_yNS9_4plusIvEENS9_8equal_toIvEEyEE10hipError_tPvRmT2_T3_T4_T5_mT6_T7_P12ihipStream_tbENKUlT_T0_E_clISt17integral_constantIbLb1EES11_EEDaSW_SX_EUlSW_E_NS1_11comp_targetILNS1_3genE10ELNS1_11target_archE1200ELNS1_3gpuE4ELNS1_3repE0EEENS1_30default_config_static_selectorELNS0_4arch9wavefront6targetE1EEEvT1_
                                        ; -- End function
	.section	.AMDGPU.csdata,"",@progbits
; Kernel info:
; codeLenInByte = 0
; NumSgprs: 4
; NumVgprs: 0
; NumAgprs: 0
; TotalNumVgprs: 0
; ScratchSize: 0
; MemoryBound: 0
; FloatMode: 240
; IeeeMode: 1
; LDSByteSize: 0 bytes/workgroup (compile time only)
; SGPRBlocks: 0
; VGPRBlocks: 0
; NumSGPRsForWavesPerEU: 4
; NumVGPRsForWavesPerEU: 1
; AccumOffset: 4
; Occupancy: 8
; WaveLimiterHint : 0
; COMPUTE_PGM_RSRC2:SCRATCH_EN: 0
; COMPUTE_PGM_RSRC2:USER_SGPR: 6
; COMPUTE_PGM_RSRC2:TRAP_HANDLER: 0
; COMPUTE_PGM_RSRC2:TGID_X_EN: 1
; COMPUTE_PGM_RSRC2:TGID_Y_EN: 0
; COMPUTE_PGM_RSRC2:TGID_Z_EN: 0
; COMPUTE_PGM_RSRC2:TIDIG_COMP_CNT: 0
; COMPUTE_PGM_RSRC3_GFX90A:ACCUM_OFFSET: 0
; COMPUTE_PGM_RSRC3_GFX90A:TG_SPLIT: 0
	.section	.text._ZN7rocprim17ROCPRIM_400000_NS6detail17trampoline_kernelINS0_14default_configENS1_27scan_by_key_config_selectorIiyEEZZNS1_16scan_by_key_implILNS1_25lookback_scan_determinismE0ELb1ES3_N6thrust23THRUST_200600_302600_NS6detail15normal_iteratorINS9_10device_ptrIiEEEENSB_INSC_IyEEEESG_yNS9_4plusIvEENS9_8equal_toIvEEyEE10hipError_tPvRmT2_T3_T4_T5_mT6_T7_P12ihipStream_tbENKUlT_T0_E_clISt17integral_constantIbLb1EES11_EEDaSW_SX_EUlSW_E_NS1_11comp_targetILNS1_3genE9ELNS1_11target_archE1100ELNS1_3gpuE3ELNS1_3repE0EEENS1_30default_config_static_selectorELNS0_4arch9wavefront6targetE1EEEvT1_,"axG",@progbits,_ZN7rocprim17ROCPRIM_400000_NS6detail17trampoline_kernelINS0_14default_configENS1_27scan_by_key_config_selectorIiyEEZZNS1_16scan_by_key_implILNS1_25lookback_scan_determinismE0ELb1ES3_N6thrust23THRUST_200600_302600_NS6detail15normal_iteratorINS9_10device_ptrIiEEEENSB_INSC_IyEEEESG_yNS9_4plusIvEENS9_8equal_toIvEEyEE10hipError_tPvRmT2_T3_T4_T5_mT6_T7_P12ihipStream_tbENKUlT_T0_E_clISt17integral_constantIbLb1EES11_EEDaSW_SX_EUlSW_E_NS1_11comp_targetILNS1_3genE9ELNS1_11target_archE1100ELNS1_3gpuE3ELNS1_3repE0EEENS1_30default_config_static_selectorELNS0_4arch9wavefront6targetE1EEEvT1_,comdat
	.protected	_ZN7rocprim17ROCPRIM_400000_NS6detail17trampoline_kernelINS0_14default_configENS1_27scan_by_key_config_selectorIiyEEZZNS1_16scan_by_key_implILNS1_25lookback_scan_determinismE0ELb1ES3_N6thrust23THRUST_200600_302600_NS6detail15normal_iteratorINS9_10device_ptrIiEEEENSB_INSC_IyEEEESG_yNS9_4plusIvEENS9_8equal_toIvEEyEE10hipError_tPvRmT2_T3_T4_T5_mT6_T7_P12ihipStream_tbENKUlT_T0_E_clISt17integral_constantIbLb1EES11_EEDaSW_SX_EUlSW_E_NS1_11comp_targetILNS1_3genE9ELNS1_11target_archE1100ELNS1_3gpuE3ELNS1_3repE0EEENS1_30default_config_static_selectorELNS0_4arch9wavefront6targetE1EEEvT1_ ; -- Begin function _ZN7rocprim17ROCPRIM_400000_NS6detail17trampoline_kernelINS0_14default_configENS1_27scan_by_key_config_selectorIiyEEZZNS1_16scan_by_key_implILNS1_25lookback_scan_determinismE0ELb1ES3_N6thrust23THRUST_200600_302600_NS6detail15normal_iteratorINS9_10device_ptrIiEEEENSB_INSC_IyEEEESG_yNS9_4plusIvEENS9_8equal_toIvEEyEE10hipError_tPvRmT2_T3_T4_T5_mT6_T7_P12ihipStream_tbENKUlT_T0_E_clISt17integral_constantIbLb1EES11_EEDaSW_SX_EUlSW_E_NS1_11comp_targetILNS1_3genE9ELNS1_11target_archE1100ELNS1_3gpuE3ELNS1_3repE0EEENS1_30default_config_static_selectorELNS0_4arch9wavefront6targetE1EEEvT1_
	.globl	_ZN7rocprim17ROCPRIM_400000_NS6detail17trampoline_kernelINS0_14default_configENS1_27scan_by_key_config_selectorIiyEEZZNS1_16scan_by_key_implILNS1_25lookback_scan_determinismE0ELb1ES3_N6thrust23THRUST_200600_302600_NS6detail15normal_iteratorINS9_10device_ptrIiEEEENSB_INSC_IyEEEESG_yNS9_4plusIvEENS9_8equal_toIvEEyEE10hipError_tPvRmT2_T3_T4_T5_mT6_T7_P12ihipStream_tbENKUlT_T0_E_clISt17integral_constantIbLb1EES11_EEDaSW_SX_EUlSW_E_NS1_11comp_targetILNS1_3genE9ELNS1_11target_archE1100ELNS1_3gpuE3ELNS1_3repE0EEENS1_30default_config_static_selectorELNS0_4arch9wavefront6targetE1EEEvT1_
	.p2align	8
	.type	_ZN7rocprim17ROCPRIM_400000_NS6detail17trampoline_kernelINS0_14default_configENS1_27scan_by_key_config_selectorIiyEEZZNS1_16scan_by_key_implILNS1_25lookback_scan_determinismE0ELb1ES3_N6thrust23THRUST_200600_302600_NS6detail15normal_iteratorINS9_10device_ptrIiEEEENSB_INSC_IyEEEESG_yNS9_4plusIvEENS9_8equal_toIvEEyEE10hipError_tPvRmT2_T3_T4_T5_mT6_T7_P12ihipStream_tbENKUlT_T0_E_clISt17integral_constantIbLb1EES11_EEDaSW_SX_EUlSW_E_NS1_11comp_targetILNS1_3genE9ELNS1_11target_archE1100ELNS1_3gpuE3ELNS1_3repE0EEENS1_30default_config_static_selectorELNS0_4arch9wavefront6targetE1EEEvT1_,@function
_ZN7rocprim17ROCPRIM_400000_NS6detail17trampoline_kernelINS0_14default_configENS1_27scan_by_key_config_selectorIiyEEZZNS1_16scan_by_key_implILNS1_25lookback_scan_determinismE0ELb1ES3_N6thrust23THRUST_200600_302600_NS6detail15normal_iteratorINS9_10device_ptrIiEEEENSB_INSC_IyEEEESG_yNS9_4plusIvEENS9_8equal_toIvEEyEE10hipError_tPvRmT2_T3_T4_T5_mT6_T7_P12ihipStream_tbENKUlT_T0_E_clISt17integral_constantIbLb1EES11_EEDaSW_SX_EUlSW_E_NS1_11comp_targetILNS1_3genE9ELNS1_11target_archE1100ELNS1_3gpuE3ELNS1_3repE0EEENS1_30default_config_static_selectorELNS0_4arch9wavefront6targetE1EEEvT1_: ; @_ZN7rocprim17ROCPRIM_400000_NS6detail17trampoline_kernelINS0_14default_configENS1_27scan_by_key_config_selectorIiyEEZZNS1_16scan_by_key_implILNS1_25lookback_scan_determinismE0ELb1ES3_N6thrust23THRUST_200600_302600_NS6detail15normal_iteratorINS9_10device_ptrIiEEEENSB_INSC_IyEEEESG_yNS9_4plusIvEENS9_8equal_toIvEEyEE10hipError_tPvRmT2_T3_T4_T5_mT6_T7_P12ihipStream_tbENKUlT_T0_E_clISt17integral_constantIbLb1EES11_EEDaSW_SX_EUlSW_E_NS1_11comp_targetILNS1_3genE9ELNS1_11target_archE1100ELNS1_3gpuE3ELNS1_3repE0EEENS1_30default_config_static_selectorELNS0_4arch9wavefront6targetE1EEEvT1_
; %bb.0:
	.section	.rodata,"a",@progbits
	.p2align	6, 0x0
	.amdhsa_kernel _ZN7rocprim17ROCPRIM_400000_NS6detail17trampoline_kernelINS0_14default_configENS1_27scan_by_key_config_selectorIiyEEZZNS1_16scan_by_key_implILNS1_25lookback_scan_determinismE0ELb1ES3_N6thrust23THRUST_200600_302600_NS6detail15normal_iteratorINS9_10device_ptrIiEEEENSB_INSC_IyEEEESG_yNS9_4plusIvEENS9_8equal_toIvEEyEE10hipError_tPvRmT2_T3_T4_T5_mT6_T7_P12ihipStream_tbENKUlT_T0_E_clISt17integral_constantIbLb1EES11_EEDaSW_SX_EUlSW_E_NS1_11comp_targetILNS1_3genE9ELNS1_11target_archE1100ELNS1_3gpuE3ELNS1_3repE0EEENS1_30default_config_static_selectorELNS0_4arch9wavefront6targetE1EEEvT1_
		.amdhsa_group_segment_fixed_size 0
		.amdhsa_private_segment_fixed_size 0
		.amdhsa_kernarg_size 136
		.amdhsa_user_sgpr_count 6
		.amdhsa_user_sgpr_private_segment_buffer 1
		.amdhsa_user_sgpr_dispatch_ptr 0
		.amdhsa_user_sgpr_queue_ptr 0
		.amdhsa_user_sgpr_kernarg_segment_ptr 1
		.amdhsa_user_sgpr_dispatch_id 0
		.amdhsa_user_sgpr_flat_scratch_init 0
		.amdhsa_user_sgpr_kernarg_preload_length 0
		.amdhsa_user_sgpr_kernarg_preload_offset 0
		.amdhsa_user_sgpr_private_segment_size 0
		.amdhsa_uses_dynamic_stack 0
		.amdhsa_system_sgpr_private_segment_wavefront_offset 0
		.amdhsa_system_sgpr_workgroup_id_x 1
		.amdhsa_system_sgpr_workgroup_id_y 0
		.amdhsa_system_sgpr_workgroup_id_z 0
		.amdhsa_system_sgpr_workgroup_info 0
		.amdhsa_system_vgpr_workitem_id 0
		.amdhsa_next_free_vgpr 1
		.amdhsa_next_free_sgpr 0
		.amdhsa_accum_offset 4
		.amdhsa_reserve_vcc 0
		.amdhsa_reserve_flat_scratch 0
		.amdhsa_float_round_mode_32 0
		.amdhsa_float_round_mode_16_64 0
		.amdhsa_float_denorm_mode_32 3
		.amdhsa_float_denorm_mode_16_64 3
		.amdhsa_dx10_clamp 1
		.amdhsa_ieee_mode 1
		.amdhsa_fp16_overflow 0
		.amdhsa_tg_split 0
		.amdhsa_exception_fp_ieee_invalid_op 0
		.amdhsa_exception_fp_denorm_src 0
		.amdhsa_exception_fp_ieee_div_zero 0
		.amdhsa_exception_fp_ieee_overflow 0
		.amdhsa_exception_fp_ieee_underflow 0
		.amdhsa_exception_fp_ieee_inexact 0
		.amdhsa_exception_int_div_zero 0
	.end_amdhsa_kernel
	.section	.text._ZN7rocprim17ROCPRIM_400000_NS6detail17trampoline_kernelINS0_14default_configENS1_27scan_by_key_config_selectorIiyEEZZNS1_16scan_by_key_implILNS1_25lookback_scan_determinismE0ELb1ES3_N6thrust23THRUST_200600_302600_NS6detail15normal_iteratorINS9_10device_ptrIiEEEENSB_INSC_IyEEEESG_yNS9_4plusIvEENS9_8equal_toIvEEyEE10hipError_tPvRmT2_T3_T4_T5_mT6_T7_P12ihipStream_tbENKUlT_T0_E_clISt17integral_constantIbLb1EES11_EEDaSW_SX_EUlSW_E_NS1_11comp_targetILNS1_3genE9ELNS1_11target_archE1100ELNS1_3gpuE3ELNS1_3repE0EEENS1_30default_config_static_selectorELNS0_4arch9wavefront6targetE1EEEvT1_,"axG",@progbits,_ZN7rocprim17ROCPRIM_400000_NS6detail17trampoline_kernelINS0_14default_configENS1_27scan_by_key_config_selectorIiyEEZZNS1_16scan_by_key_implILNS1_25lookback_scan_determinismE0ELb1ES3_N6thrust23THRUST_200600_302600_NS6detail15normal_iteratorINS9_10device_ptrIiEEEENSB_INSC_IyEEEESG_yNS9_4plusIvEENS9_8equal_toIvEEyEE10hipError_tPvRmT2_T3_T4_T5_mT6_T7_P12ihipStream_tbENKUlT_T0_E_clISt17integral_constantIbLb1EES11_EEDaSW_SX_EUlSW_E_NS1_11comp_targetILNS1_3genE9ELNS1_11target_archE1100ELNS1_3gpuE3ELNS1_3repE0EEENS1_30default_config_static_selectorELNS0_4arch9wavefront6targetE1EEEvT1_,comdat
.Lfunc_end1479:
	.size	_ZN7rocprim17ROCPRIM_400000_NS6detail17trampoline_kernelINS0_14default_configENS1_27scan_by_key_config_selectorIiyEEZZNS1_16scan_by_key_implILNS1_25lookback_scan_determinismE0ELb1ES3_N6thrust23THRUST_200600_302600_NS6detail15normal_iteratorINS9_10device_ptrIiEEEENSB_INSC_IyEEEESG_yNS9_4plusIvEENS9_8equal_toIvEEyEE10hipError_tPvRmT2_T3_T4_T5_mT6_T7_P12ihipStream_tbENKUlT_T0_E_clISt17integral_constantIbLb1EES11_EEDaSW_SX_EUlSW_E_NS1_11comp_targetILNS1_3genE9ELNS1_11target_archE1100ELNS1_3gpuE3ELNS1_3repE0EEENS1_30default_config_static_selectorELNS0_4arch9wavefront6targetE1EEEvT1_, .Lfunc_end1479-_ZN7rocprim17ROCPRIM_400000_NS6detail17trampoline_kernelINS0_14default_configENS1_27scan_by_key_config_selectorIiyEEZZNS1_16scan_by_key_implILNS1_25lookback_scan_determinismE0ELb1ES3_N6thrust23THRUST_200600_302600_NS6detail15normal_iteratorINS9_10device_ptrIiEEEENSB_INSC_IyEEEESG_yNS9_4plusIvEENS9_8equal_toIvEEyEE10hipError_tPvRmT2_T3_T4_T5_mT6_T7_P12ihipStream_tbENKUlT_T0_E_clISt17integral_constantIbLb1EES11_EEDaSW_SX_EUlSW_E_NS1_11comp_targetILNS1_3genE9ELNS1_11target_archE1100ELNS1_3gpuE3ELNS1_3repE0EEENS1_30default_config_static_selectorELNS0_4arch9wavefront6targetE1EEEvT1_
                                        ; -- End function
	.section	.AMDGPU.csdata,"",@progbits
; Kernel info:
; codeLenInByte = 0
; NumSgprs: 4
; NumVgprs: 0
; NumAgprs: 0
; TotalNumVgprs: 0
; ScratchSize: 0
; MemoryBound: 0
; FloatMode: 240
; IeeeMode: 1
; LDSByteSize: 0 bytes/workgroup (compile time only)
; SGPRBlocks: 0
; VGPRBlocks: 0
; NumSGPRsForWavesPerEU: 4
; NumVGPRsForWavesPerEU: 1
; AccumOffset: 4
; Occupancy: 8
; WaveLimiterHint : 0
; COMPUTE_PGM_RSRC2:SCRATCH_EN: 0
; COMPUTE_PGM_RSRC2:USER_SGPR: 6
; COMPUTE_PGM_RSRC2:TRAP_HANDLER: 0
; COMPUTE_PGM_RSRC2:TGID_X_EN: 1
; COMPUTE_PGM_RSRC2:TGID_Y_EN: 0
; COMPUTE_PGM_RSRC2:TGID_Z_EN: 0
; COMPUTE_PGM_RSRC2:TIDIG_COMP_CNT: 0
; COMPUTE_PGM_RSRC3_GFX90A:ACCUM_OFFSET: 0
; COMPUTE_PGM_RSRC3_GFX90A:TG_SPLIT: 0
	.section	.text._ZN7rocprim17ROCPRIM_400000_NS6detail17trampoline_kernelINS0_14default_configENS1_27scan_by_key_config_selectorIiyEEZZNS1_16scan_by_key_implILNS1_25lookback_scan_determinismE0ELb1ES3_N6thrust23THRUST_200600_302600_NS6detail15normal_iteratorINS9_10device_ptrIiEEEENSB_INSC_IyEEEESG_yNS9_4plusIvEENS9_8equal_toIvEEyEE10hipError_tPvRmT2_T3_T4_T5_mT6_T7_P12ihipStream_tbENKUlT_T0_E_clISt17integral_constantIbLb1EES11_EEDaSW_SX_EUlSW_E_NS1_11comp_targetILNS1_3genE8ELNS1_11target_archE1030ELNS1_3gpuE2ELNS1_3repE0EEENS1_30default_config_static_selectorELNS0_4arch9wavefront6targetE1EEEvT1_,"axG",@progbits,_ZN7rocprim17ROCPRIM_400000_NS6detail17trampoline_kernelINS0_14default_configENS1_27scan_by_key_config_selectorIiyEEZZNS1_16scan_by_key_implILNS1_25lookback_scan_determinismE0ELb1ES3_N6thrust23THRUST_200600_302600_NS6detail15normal_iteratorINS9_10device_ptrIiEEEENSB_INSC_IyEEEESG_yNS9_4plusIvEENS9_8equal_toIvEEyEE10hipError_tPvRmT2_T3_T4_T5_mT6_T7_P12ihipStream_tbENKUlT_T0_E_clISt17integral_constantIbLb1EES11_EEDaSW_SX_EUlSW_E_NS1_11comp_targetILNS1_3genE8ELNS1_11target_archE1030ELNS1_3gpuE2ELNS1_3repE0EEENS1_30default_config_static_selectorELNS0_4arch9wavefront6targetE1EEEvT1_,comdat
	.protected	_ZN7rocprim17ROCPRIM_400000_NS6detail17trampoline_kernelINS0_14default_configENS1_27scan_by_key_config_selectorIiyEEZZNS1_16scan_by_key_implILNS1_25lookback_scan_determinismE0ELb1ES3_N6thrust23THRUST_200600_302600_NS6detail15normal_iteratorINS9_10device_ptrIiEEEENSB_INSC_IyEEEESG_yNS9_4plusIvEENS9_8equal_toIvEEyEE10hipError_tPvRmT2_T3_T4_T5_mT6_T7_P12ihipStream_tbENKUlT_T0_E_clISt17integral_constantIbLb1EES11_EEDaSW_SX_EUlSW_E_NS1_11comp_targetILNS1_3genE8ELNS1_11target_archE1030ELNS1_3gpuE2ELNS1_3repE0EEENS1_30default_config_static_selectorELNS0_4arch9wavefront6targetE1EEEvT1_ ; -- Begin function _ZN7rocprim17ROCPRIM_400000_NS6detail17trampoline_kernelINS0_14default_configENS1_27scan_by_key_config_selectorIiyEEZZNS1_16scan_by_key_implILNS1_25lookback_scan_determinismE0ELb1ES3_N6thrust23THRUST_200600_302600_NS6detail15normal_iteratorINS9_10device_ptrIiEEEENSB_INSC_IyEEEESG_yNS9_4plusIvEENS9_8equal_toIvEEyEE10hipError_tPvRmT2_T3_T4_T5_mT6_T7_P12ihipStream_tbENKUlT_T0_E_clISt17integral_constantIbLb1EES11_EEDaSW_SX_EUlSW_E_NS1_11comp_targetILNS1_3genE8ELNS1_11target_archE1030ELNS1_3gpuE2ELNS1_3repE0EEENS1_30default_config_static_selectorELNS0_4arch9wavefront6targetE1EEEvT1_
	.globl	_ZN7rocprim17ROCPRIM_400000_NS6detail17trampoline_kernelINS0_14default_configENS1_27scan_by_key_config_selectorIiyEEZZNS1_16scan_by_key_implILNS1_25lookback_scan_determinismE0ELb1ES3_N6thrust23THRUST_200600_302600_NS6detail15normal_iteratorINS9_10device_ptrIiEEEENSB_INSC_IyEEEESG_yNS9_4plusIvEENS9_8equal_toIvEEyEE10hipError_tPvRmT2_T3_T4_T5_mT6_T7_P12ihipStream_tbENKUlT_T0_E_clISt17integral_constantIbLb1EES11_EEDaSW_SX_EUlSW_E_NS1_11comp_targetILNS1_3genE8ELNS1_11target_archE1030ELNS1_3gpuE2ELNS1_3repE0EEENS1_30default_config_static_selectorELNS0_4arch9wavefront6targetE1EEEvT1_
	.p2align	8
	.type	_ZN7rocprim17ROCPRIM_400000_NS6detail17trampoline_kernelINS0_14default_configENS1_27scan_by_key_config_selectorIiyEEZZNS1_16scan_by_key_implILNS1_25lookback_scan_determinismE0ELb1ES3_N6thrust23THRUST_200600_302600_NS6detail15normal_iteratorINS9_10device_ptrIiEEEENSB_INSC_IyEEEESG_yNS9_4plusIvEENS9_8equal_toIvEEyEE10hipError_tPvRmT2_T3_T4_T5_mT6_T7_P12ihipStream_tbENKUlT_T0_E_clISt17integral_constantIbLb1EES11_EEDaSW_SX_EUlSW_E_NS1_11comp_targetILNS1_3genE8ELNS1_11target_archE1030ELNS1_3gpuE2ELNS1_3repE0EEENS1_30default_config_static_selectorELNS0_4arch9wavefront6targetE1EEEvT1_,@function
_ZN7rocprim17ROCPRIM_400000_NS6detail17trampoline_kernelINS0_14default_configENS1_27scan_by_key_config_selectorIiyEEZZNS1_16scan_by_key_implILNS1_25lookback_scan_determinismE0ELb1ES3_N6thrust23THRUST_200600_302600_NS6detail15normal_iteratorINS9_10device_ptrIiEEEENSB_INSC_IyEEEESG_yNS9_4plusIvEENS9_8equal_toIvEEyEE10hipError_tPvRmT2_T3_T4_T5_mT6_T7_P12ihipStream_tbENKUlT_T0_E_clISt17integral_constantIbLb1EES11_EEDaSW_SX_EUlSW_E_NS1_11comp_targetILNS1_3genE8ELNS1_11target_archE1030ELNS1_3gpuE2ELNS1_3repE0EEENS1_30default_config_static_selectorELNS0_4arch9wavefront6targetE1EEEvT1_: ; @_ZN7rocprim17ROCPRIM_400000_NS6detail17trampoline_kernelINS0_14default_configENS1_27scan_by_key_config_selectorIiyEEZZNS1_16scan_by_key_implILNS1_25lookback_scan_determinismE0ELb1ES3_N6thrust23THRUST_200600_302600_NS6detail15normal_iteratorINS9_10device_ptrIiEEEENSB_INSC_IyEEEESG_yNS9_4plusIvEENS9_8equal_toIvEEyEE10hipError_tPvRmT2_T3_T4_T5_mT6_T7_P12ihipStream_tbENKUlT_T0_E_clISt17integral_constantIbLb1EES11_EEDaSW_SX_EUlSW_E_NS1_11comp_targetILNS1_3genE8ELNS1_11target_archE1030ELNS1_3gpuE2ELNS1_3repE0EEENS1_30default_config_static_selectorELNS0_4arch9wavefront6targetE1EEEvT1_
; %bb.0:
	.section	.rodata,"a",@progbits
	.p2align	6, 0x0
	.amdhsa_kernel _ZN7rocprim17ROCPRIM_400000_NS6detail17trampoline_kernelINS0_14default_configENS1_27scan_by_key_config_selectorIiyEEZZNS1_16scan_by_key_implILNS1_25lookback_scan_determinismE0ELb1ES3_N6thrust23THRUST_200600_302600_NS6detail15normal_iteratorINS9_10device_ptrIiEEEENSB_INSC_IyEEEESG_yNS9_4plusIvEENS9_8equal_toIvEEyEE10hipError_tPvRmT2_T3_T4_T5_mT6_T7_P12ihipStream_tbENKUlT_T0_E_clISt17integral_constantIbLb1EES11_EEDaSW_SX_EUlSW_E_NS1_11comp_targetILNS1_3genE8ELNS1_11target_archE1030ELNS1_3gpuE2ELNS1_3repE0EEENS1_30default_config_static_selectorELNS0_4arch9wavefront6targetE1EEEvT1_
		.amdhsa_group_segment_fixed_size 0
		.amdhsa_private_segment_fixed_size 0
		.amdhsa_kernarg_size 136
		.amdhsa_user_sgpr_count 6
		.amdhsa_user_sgpr_private_segment_buffer 1
		.amdhsa_user_sgpr_dispatch_ptr 0
		.amdhsa_user_sgpr_queue_ptr 0
		.amdhsa_user_sgpr_kernarg_segment_ptr 1
		.amdhsa_user_sgpr_dispatch_id 0
		.amdhsa_user_sgpr_flat_scratch_init 0
		.amdhsa_user_sgpr_kernarg_preload_length 0
		.amdhsa_user_sgpr_kernarg_preload_offset 0
		.amdhsa_user_sgpr_private_segment_size 0
		.amdhsa_uses_dynamic_stack 0
		.amdhsa_system_sgpr_private_segment_wavefront_offset 0
		.amdhsa_system_sgpr_workgroup_id_x 1
		.amdhsa_system_sgpr_workgroup_id_y 0
		.amdhsa_system_sgpr_workgroup_id_z 0
		.amdhsa_system_sgpr_workgroup_info 0
		.amdhsa_system_vgpr_workitem_id 0
		.amdhsa_next_free_vgpr 1
		.amdhsa_next_free_sgpr 0
		.amdhsa_accum_offset 4
		.amdhsa_reserve_vcc 0
		.amdhsa_reserve_flat_scratch 0
		.amdhsa_float_round_mode_32 0
		.amdhsa_float_round_mode_16_64 0
		.amdhsa_float_denorm_mode_32 3
		.amdhsa_float_denorm_mode_16_64 3
		.amdhsa_dx10_clamp 1
		.amdhsa_ieee_mode 1
		.amdhsa_fp16_overflow 0
		.amdhsa_tg_split 0
		.amdhsa_exception_fp_ieee_invalid_op 0
		.amdhsa_exception_fp_denorm_src 0
		.amdhsa_exception_fp_ieee_div_zero 0
		.amdhsa_exception_fp_ieee_overflow 0
		.amdhsa_exception_fp_ieee_underflow 0
		.amdhsa_exception_fp_ieee_inexact 0
		.amdhsa_exception_int_div_zero 0
	.end_amdhsa_kernel
	.section	.text._ZN7rocprim17ROCPRIM_400000_NS6detail17trampoline_kernelINS0_14default_configENS1_27scan_by_key_config_selectorIiyEEZZNS1_16scan_by_key_implILNS1_25lookback_scan_determinismE0ELb1ES3_N6thrust23THRUST_200600_302600_NS6detail15normal_iteratorINS9_10device_ptrIiEEEENSB_INSC_IyEEEESG_yNS9_4plusIvEENS9_8equal_toIvEEyEE10hipError_tPvRmT2_T3_T4_T5_mT6_T7_P12ihipStream_tbENKUlT_T0_E_clISt17integral_constantIbLb1EES11_EEDaSW_SX_EUlSW_E_NS1_11comp_targetILNS1_3genE8ELNS1_11target_archE1030ELNS1_3gpuE2ELNS1_3repE0EEENS1_30default_config_static_selectorELNS0_4arch9wavefront6targetE1EEEvT1_,"axG",@progbits,_ZN7rocprim17ROCPRIM_400000_NS6detail17trampoline_kernelINS0_14default_configENS1_27scan_by_key_config_selectorIiyEEZZNS1_16scan_by_key_implILNS1_25lookback_scan_determinismE0ELb1ES3_N6thrust23THRUST_200600_302600_NS6detail15normal_iteratorINS9_10device_ptrIiEEEENSB_INSC_IyEEEESG_yNS9_4plusIvEENS9_8equal_toIvEEyEE10hipError_tPvRmT2_T3_T4_T5_mT6_T7_P12ihipStream_tbENKUlT_T0_E_clISt17integral_constantIbLb1EES11_EEDaSW_SX_EUlSW_E_NS1_11comp_targetILNS1_3genE8ELNS1_11target_archE1030ELNS1_3gpuE2ELNS1_3repE0EEENS1_30default_config_static_selectorELNS0_4arch9wavefront6targetE1EEEvT1_,comdat
.Lfunc_end1480:
	.size	_ZN7rocprim17ROCPRIM_400000_NS6detail17trampoline_kernelINS0_14default_configENS1_27scan_by_key_config_selectorIiyEEZZNS1_16scan_by_key_implILNS1_25lookback_scan_determinismE0ELb1ES3_N6thrust23THRUST_200600_302600_NS6detail15normal_iteratorINS9_10device_ptrIiEEEENSB_INSC_IyEEEESG_yNS9_4plusIvEENS9_8equal_toIvEEyEE10hipError_tPvRmT2_T3_T4_T5_mT6_T7_P12ihipStream_tbENKUlT_T0_E_clISt17integral_constantIbLb1EES11_EEDaSW_SX_EUlSW_E_NS1_11comp_targetILNS1_3genE8ELNS1_11target_archE1030ELNS1_3gpuE2ELNS1_3repE0EEENS1_30default_config_static_selectorELNS0_4arch9wavefront6targetE1EEEvT1_, .Lfunc_end1480-_ZN7rocprim17ROCPRIM_400000_NS6detail17trampoline_kernelINS0_14default_configENS1_27scan_by_key_config_selectorIiyEEZZNS1_16scan_by_key_implILNS1_25lookback_scan_determinismE0ELb1ES3_N6thrust23THRUST_200600_302600_NS6detail15normal_iteratorINS9_10device_ptrIiEEEENSB_INSC_IyEEEESG_yNS9_4plusIvEENS9_8equal_toIvEEyEE10hipError_tPvRmT2_T3_T4_T5_mT6_T7_P12ihipStream_tbENKUlT_T0_E_clISt17integral_constantIbLb1EES11_EEDaSW_SX_EUlSW_E_NS1_11comp_targetILNS1_3genE8ELNS1_11target_archE1030ELNS1_3gpuE2ELNS1_3repE0EEENS1_30default_config_static_selectorELNS0_4arch9wavefront6targetE1EEEvT1_
                                        ; -- End function
	.section	.AMDGPU.csdata,"",@progbits
; Kernel info:
; codeLenInByte = 0
; NumSgprs: 4
; NumVgprs: 0
; NumAgprs: 0
; TotalNumVgprs: 0
; ScratchSize: 0
; MemoryBound: 0
; FloatMode: 240
; IeeeMode: 1
; LDSByteSize: 0 bytes/workgroup (compile time only)
; SGPRBlocks: 0
; VGPRBlocks: 0
; NumSGPRsForWavesPerEU: 4
; NumVGPRsForWavesPerEU: 1
; AccumOffset: 4
; Occupancy: 8
; WaveLimiterHint : 0
; COMPUTE_PGM_RSRC2:SCRATCH_EN: 0
; COMPUTE_PGM_RSRC2:USER_SGPR: 6
; COMPUTE_PGM_RSRC2:TRAP_HANDLER: 0
; COMPUTE_PGM_RSRC2:TGID_X_EN: 1
; COMPUTE_PGM_RSRC2:TGID_Y_EN: 0
; COMPUTE_PGM_RSRC2:TGID_Z_EN: 0
; COMPUTE_PGM_RSRC2:TIDIG_COMP_CNT: 0
; COMPUTE_PGM_RSRC3_GFX90A:ACCUM_OFFSET: 0
; COMPUTE_PGM_RSRC3_GFX90A:TG_SPLIT: 0
	.section	.text._ZN7rocprim17ROCPRIM_400000_NS6detail17trampoline_kernelINS0_14default_configENS1_27scan_by_key_config_selectorIiyEEZZNS1_16scan_by_key_implILNS1_25lookback_scan_determinismE0ELb1ES3_N6thrust23THRUST_200600_302600_NS6detail15normal_iteratorINS9_10device_ptrIiEEEENSB_INSC_IyEEEESG_yNS9_4plusIvEENS9_8equal_toIvEEyEE10hipError_tPvRmT2_T3_T4_T5_mT6_T7_P12ihipStream_tbENKUlT_T0_E_clISt17integral_constantIbLb1EES10_IbLb0EEEEDaSW_SX_EUlSW_E_NS1_11comp_targetILNS1_3genE0ELNS1_11target_archE4294967295ELNS1_3gpuE0ELNS1_3repE0EEENS1_30default_config_static_selectorELNS0_4arch9wavefront6targetE1EEEvT1_,"axG",@progbits,_ZN7rocprim17ROCPRIM_400000_NS6detail17trampoline_kernelINS0_14default_configENS1_27scan_by_key_config_selectorIiyEEZZNS1_16scan_by_key_implILNS1_25lookback_scan_determinismE0ELb1ES3_N6thrust23THRUST_200600_302600_NS6detail15normal_iteratorINS9_10device_ptrIiEEEENSB_INSC_IyEEEESG_yNS9_4plusIvEENS9_8equal_toIvEEyEE10hipError_tPvRmT2_T3_T4_T5_mT6_T7_P12ihipStream_tbENKUlT_T0_E_clISt17integral_constantIbLb1EES10_IbLb0EEEEDaSW_SX_EUlSW_E_NS1_11comp_targetILNS1_3genE0ELNS1_11target_archE4294967295ELNS1_3gpuE0ELNS1_3repE0EEENS1_30default_config_static_selectorELNS0_4arch9wavefront6targetE1EEEvT1_,comdat
	.protected	_ZN7rocprim17ROCPRIM_400000_NS6detail17trampoline_kernelINS0_14default_configENS1_27scan_by_key_config_selectorIiyEEZZNS1_16scan_by_key_implILNS1_25lookback_scan_determinismE0ELb1ES3_N6thrust23THRUST_200600_302600_NS6detail15normal_iteratorINS9_10device_ptrIiEEEENSB_INSC_IyEEEESG_yNS9_4plusIvEENS9_8equal_toIvEEyEE10hipError_tPvRmT2_T3_T4_T5_mT6_T7_P12ihipStream_tbENKUlT_T0_E_clISt17integral_constantIbLb1EES10_IbLb0EEEEDaSW_SX_EUlSW_E_NS1_11comp_targetILNS1_3genE0ELNS1_11target_archE4294967295ELNS1_3gpuE0ELNS1_3repE0EEENS1_30default_config_static_selectorELNS0_4arch9wavefront6targetE1EEEvT1_ ; -- Begin function _ZN7rocprim17ROCPRIM_400000_NS6detail17trampoline_kernelINS0_14default_configENS1_27scan_by_key_config_selectorIiyEEZZNS1_16scan_by_key_implILNS1_25lookback_scan_determinismE0ELb1ES3_N6thrust23THRUST_200600_302600_NS6detail15normal_iteratorINS9_10device_ptrIiEEEENSB_INSC_IyEEEESG_yNS9_4plusIvEENS9_8equal_toIvEEyEE10hipError_tPvRmT2_T3_T4_T5_mT6_T7_P12ihipStream_tbENKUlT_T0_E_clISt17integral_constantIbLb1EES10_IbLb0EEEEDaSW_SX_EUlSW_E_NS1_11comp_targetILNS1_3genE0ELNS1_11target_archE4294967295ELNS1_3gpuE0ELNS1_3repE0EEENS1_30default_config_static_selectorELNS0_4arch9wavefront6targetE1EEEvT1_
	.globl	_ZN7rocprim17ROCPRIM_400000_NS6detail17trampoline_kernelINS0_14default_configENS1_27scan_by_key_config_selectorIiyEEZZNS1_16scan_by_key_implILNS1_25lookback_scan_determinismE0ELb1ES3_N6thrust23THRUST_200600_302600_NS6detail15normal_iteratorINS9_10device_ptrIiEEEENSB_INSC_IyEEEESG_yNS9_4plusIvEENS9_8equal_toIvEEyEE10hipError_tPvRmT2_T3_T4_T5_mT6_T7_P12ihipStream_tbENKUlT_T0_E_clISt17integral_constantIbLb1EES10_IbLb0EEEEDaSW_SX_EUlSW_E_NS1_11comp_targetILNS1_3genE0ELNS1_11target_archE4294967295ELNS1_3gpuE0ELNS1_3repE0EEENS1_30default_config_static_selectorELNS0_4arch9wavefront6targetE1EEEvT1_
	.p2align	8
	.type	_ZN7rocprim17ROCPRIM_400000_NS6detail17trampoline_kernelINS0_14default_configENS1_27scan_by_key_config_selectorIiyEEZZNS1_16scan_by_key_implILNS1_25lookback_scan_determinismE0ELb1ES3_N6thrust23THRUST_200600_302600_NS6detail15normal_iteratorINS9_10device_ptrIiEEEENSB_INSC_IyEEEESG_yNS9_4plusIvEENS9_8equal_toIvEEyEE10hipError_tPvRmT2_T3_T4_T5_mT6_T7_P12ihipStream_tbENKUlT_T0_E_clISt17integral_constantIbLb1EES10_IbLb0EEEEDaSW_SX_EUlSW_E_NS1_11comp_targetILNS1_3genE0ELNS1_11target_archE4294967295ELNS1_3gpuE0ELNS1_3repE0EEENS1_30default_config_static_selectorELNS0_4arch9wavefront6targetE1EEEvT1_,@function
_ZN7rocprim17ROCPRIM_400000_NS6detail17trampoline_kernelINS0_14default_configENS1_27scan_by_key_config_selectorIiyEEZZNS1_16scan_by_key_implILNS1_25lookback_scan_determinismE0ELb1ES3_N6thrust23THRUST_200600_302600_NS6detail15normal_iteratorINS9_10device_ptrIiEEEENSB_INSC_IyEEEESG_yNS9_4plusIvEENS9_8equal_toIvEEyEE10hipError_tPvRmT2_T3_T4_T5_mT6_T7_P12ihipStream_tbENKUlT_T0_E_clISt17integral_constantIbLb1EES10_IbLb0EEEEDaSW_SX_EUlSW_E_NS1_11comp_targetILNS1_3genE0ELNS1_11target_archE4294967295ELNS1_3gpuE0ELNS1_3repE0EEENS1_30default_config_static_selectorELNS0_4arch9wavefront6targetE1EEEvT1_: ; @_ZN7rocprim17ROCPRIM_400000_NS6detail17trampoline_kernelINS0_14default_configENS1_27scan_by_key_config_selectorIiyEEZZNS1_16scan_by_key_implILNS1_25lookback_scan_determinismE0ELb1ES3_N6thrust23THRUST_200600_302600_NS6detail15normal_iteratorINS9_10device_ptrIiEEEENSB_INSC_IyEEEESG_yNS9_4plusIvEENS9_8equal_toIvEEyEE10hipError_tPvRmT2_T3_T4_T5_mT6_T7_P12ihipStream_tbENKUlT_T0_E_clISt17integral_constantIbLb1EES10_IbLb0EEEEDaSW_SX_EUlSW_E_NS1_11comp_targetILNS1_3genE0ELNS1_11target_archE4294967295ELNS1_3gpuE0ELNS1_3repE0EEENS1_30default_config_static_selectorELNS0_4arch9wavefront6targetE1EEEvT1_
; %bb.0:
	.section	.rodata,"a",@progbits
	.p2align	6, 0x0
	.amdhsa_kernel _ZN7rocprim17ROCPRIM_400000_NS6detail17trampoline_kernelINS0_14default_configENS1_27scan_by_key_config_selectorIiyEEZZNS1_16scan_by_key_implILNS1_25lookback_scan_determinismE0ELb1ES3_N6thrust23THRUST_200600_302600_NS6detail15normal_iteratorINS9_10device_ptrIiEEEENSB_INSC_IyEEEESG_yNS9_4plusIvEENS9_8equal_toIvEEyEE10hipError_tPvRmT2_T3_T4_T5_mT6_T7_P12ihipStream_tbENKUlT_T0_E_clISt17integral_constantIbLb1EES10_IbLb0EEEEDaSW_SX_EUlSW_E_NS1_11comp_targetILNS1_3genE0ELNS1_11target_archE4294967295ELNS1_3gpuE0ELNS1_3repE0EEENS1_30default_config_static_selectorELNS0_4arch9wavefront6targetE1EEEvT1_
		.amdhsa_group_segment_fixed_size 0
		.amdhsa_private_segment_fixed_size 0
		.amdhsa_kernarg_size 136
		.amdhsa_user_sgpr_count 6
		.amdhsa_user_sgpr_private_segment_buffer 1
		.amdhsa_user_sgpr_dispatch_ptr 0
		.amdhsa_user_sgpr_queue_ptr 0
		.amdhsa_user_sgpr_kernarg_segment_ptr 1
		.amdhsa_user_sgpr_dispatch_id 0
		.amdhsa_user_sgpr_flat_scratch_init 0
		.amdhsa_user_sgpr_kernarg_preload_length 0
		.amdhsa_user_sgpr_kernarg_preload_offset 0
		.amdhsa_user_sgpr_private_segment_size 0
		.amdhsa_uses_dynamic_stack 0
		.amdhsa_system_sgpr_private_segment_wavefront_offset 0
		.amdhsa_system_sgpr_workgroup_id_x 1
		.amdhsa_system_sgpr_workgroup_id_y 0
		.amdhsa_system_sgpr_workgroup_id_z 0
		.amdhsa_system_sgpr_workgroup_info 0
		.amdhsa_system_vgpr_workitem_id 0
		.amdhsa_next_free_vgpr 1
		.amdhsa_next_free_sgpr 0
		.amdhsa_accum_offset 4
		.amdhsa_reserve_vcc 0
		.amdhsa_reserve_flat_scratch 0
		.amdhsa_float_round_mode_32 0
		.amdhsa_float_round_mode_16_64 0
		.amdhsa_float_denorm_mode_32 3
		.amdhsa_float_denorm_mode_16_64 3
		.amdhsa_dx10_clamp 1
		.amdhsa_ieee_mode 1
		.amdhsa_fp16_overflow 0
		.amdhsa_tg_split 0
		.amdhsa_exception_fp_ieee_invalid_op 0
		.amdhsa_exception_fp_denorm_src 0
		.amdhsa_exception_fp_ieee_div_zero 0
		.amdhsa_exception_fp_ieee_overflow 0
		.amdhsa_exception_fp_ieee_underflow 0
		.amdhsa_exception_fp_ieee_inexact 0
		.amdhsa_exception_int_div_zero 0
	.end_amdhsa_kernel
	.section	.text._ZN7rocprim17ROCPRIM_400000_NS6detail17trampoline_kernelINS0_14default_configENS1_27scan_by_key_config_selectorIiyEEZZNS1_16scan_by_key_implILNS1_25lookback_scan_determinismE0ELb1ES3_N6thrust23THRUST_200600_302600_NS6detail15normal_iteratorINS9_10device_ptrIiEEEENSB_INSC_IyEEEESG_yNS9_4plusIvEENS9_8equal_toIvEEyEE10hipError_tPvRmT2_T3_T4_T5_mT6_T7_P12ihipStream_tbENKUlT_T0_E_clISt17integral_constantIbLb1EES10_IbLb0EEEEDaSW_SX_EUlSW_E_NS1_11comp_targetILNS1_3genE0ELNS1_11target_archE4294967295ELNS1_3gpuE0ELNS1_3repE0EEENS1_30default_config_static_selectorELNS0_4arch9wavefront6targetE1EEEvT1_,"axG",@progbits,_ZN7rocprim17ROCPRIM_400000_NS6detail17trampoline_kernelINS0_14default_configENS1_27scan_by_key_config_selectorIiyEEZZNS1_16scan_by_key_implILNS1_25lookback_scan_determinismE0ELb1ES3_N6thrust23THRUST_200600_302600_NS6detail15normal_iteratorINS9_10device_ptrIiEEEENSB_INSC_IyEEEESG_yNS9_4plusIvEENS9_8equal_toIvEEyEE10hipError_tPvRmT2_T3_T4_T5_mT6_T7_P12ihipStream_tbENKUlT_T0_E_clISt17integral_constantIbLb1EES10_IbLb0EEEEDaSW_SX_EUlSW_E_NS1_11comp_targetILNS1_3genE0ELNS1_11target_archE4294967295ELNS1_3gpuE0ELNS1_3repE0EEENS1_30default_config_static_selectorELNS0_4arch9wavefront6targetE1EEEvT1_,comdat
.Lfunc_end1481:
	.size	_ZN7rocprim17ROCPRIM_400000_NS6detail17trampoline_kernelINS0_14default_configENS1_27scan_by_key_config_selectorIiyEEZZNS1_16scan_by_key_implILNS1_25lookback_scan_determinismE0ELb1ES3_N6thrust23THRUST_200600_302600_NS6detail15normal_iteratorINS9_10device_ptrIiEEEENSB_INSC_IyEEEESG_yNS9_4plusIvEENS9_8equal_toIvEEyEE10hipError_tPvRmT2_T3_T4_T5_mT6_T7_P12ihipStream_tbENKUlT_T0_E_clISt17integral_constantIbLb1EES10_IbLb0EEEEDaSW_SX_EUlSW_E_NS1_11comp_targetILNS1_3genE0ELNS1_11target_archE4294967295ELNS1_3gpuE0ELNS1_3repE0EEENS1_30default_config_static_selectorELNS0_4arch9wavefront6targetE1EEEvT1_, .Lfunc_end1481-_ZN7rocprim17ROCPRIM_400000_NS6detail17trampoline_kernelINS0_14default_configENS1_27scan_by_key_config_selectorIiyEEZZNS1_16scan_by_key_implILNS1_25lookback_scan_determinismE0ELb1ES3_N6thrust23THRUST_200600_302600_NS6detail15normal_iteratorINS9_10device_ptrIiEEEENSB_INSC_IyEEEESG_yNS9_4plusIvEENS9_8equal_toIvEEyEE10hipError_tPvRmT2_T3_T4_T5_mT6_T7_P12ihipStream_tbENKUlT_T0_E_clISt17integral_constantIbLb1EES10_IbLb0EEEEDaSW_SX_EUlSW_E_NS1_11comp_targetILNS1_3genE0ELNS1_11target_archE4294967295ELNS1_3gpuE0ELNS1_3repE0EEENS1_30default_config_static_selectorELNS0_4arch9wavefront6targetE1EEEvT1_
                                        ; -- End function
	.section	.AMDGPU.csdata,"",@progbits
; Kernel info:
; codeLenInByte = 0
; NumSgprs: 4
; NumVgprs: 0
; NumAgprs: 0
; TotalNumVgprs: 0
; ScratchSize: 0
; MemoryBound: 0
; FloatMode: 240
; IeeeMode: 1
; LDSByteSize: 0 bytes/workgroup (compile time only)
; SGPRBlocks: 0
; VGPRBlocks: 0
; NumSGPRsForWavesPerEU: 4
; NumVGPRsForWavesPerEU: 1
; AccumOffset: 4
; Occupancy: 8
; WaveLimiterHint : 0
; COMPUTE_PGM_RSRC2:SCRATCH_EN: 0
; COMPUTE_PGM_RSRC2:USER_SGPR: 6
; COMPUTE_PGM_RSRC2:TRAP_HANDLER: 0
; COMPUTE_PGM_RSRC2:TGID_X_EN: 1
; COMPUTE_PGM_RSRC2:TGID_Y_EN: 0
; COMPUTE_PGM_RSRC2:TGID_Z_EN: 0
; COMPUTE_PGM_RSRC2:TIDIG_COMP_CNT: 0
; COMPUTE_PGM_RSRC3_GFX90A:ACCUM_OFFSET: 0
; COMPUTE_PGM_RSRC3_GFX90A:TG_SPLIT: 0
	.section	.text._ZN7rocprim17ROCPRIM_400000_NS6detail17trampoline_kernelINS0_14default_configENS1_27scan_by_key_config_selectorIiyEEZZNS1_16scan_by_key_implILNS1_25lookback_scan_determinismE0ELb1ES3_N6thrust23THRUST_200600_302600_NS6detail15normal_iteratorINS9_10device_ptrIiEEEENSB_INSC_IyEEEESG_yNS9_4plusIvEENS9_8equal_toIvEEyEE10hipError_tPvRmT2_T3_T4_T5_mT6_T7_P12ihipStream_tbENKUlT_T0_E_clISt17integral_constantIbLb1EES10_IbLb0EEEEDaSW_SX_EUlSW_E_NS1_11comp_targetILNS1_3genE10ELNS1_11target_archE1201ELNS1_3gpuE5ELNS1_3repE0EEENS1_30default_config_static_selectorELNS0_4arch9wavefront6targetE1EEEvT1_,"axG",@progbits,_ZN7rocprim17ROCPRIM_400000_NS6detail17trampoline_kernelINS0_14default_configENS1_27scan_by_key_config_selectorIiyEEZZNS1_16scan_by_key_implILNS1_25lookback_scan_determinismE0ELb1ES3_N6thrust23THRUST_200600_302600_NS6detail15normal_iteratorINS9_10device_ptrIiEEEENSB_INSC_IyEEEESG_yNS9_4plusIvEENS9_8equal_toIvEEyEE10hipError_tPvRmT2_T3_T4_T5_mT6_T7_P12ihipStream_tbENKUlT_T0_E_clISt17integral_constantIbLb1EES10_IbLb0EEEEDaSW_SX_EUlSW_E_NS1_11comp_targetILNS1_3genE10ELNS1_11target_archE1201ELNS1_3gpuE5ELNS1_3repE0EEENS1_30default_config_static_selectorELNS0_4arch9wavefront6targetE1EEEvT1_,comdat
	.protected	_ZN7rocprim17ROCPRIM_400000_NS6detail17trampoline_kernelINS0_14default_configENS1_27scan_by_key_config_selectorIiyEEZZNS1_16scan_by_key_implILNS1_25lookback_scan_determinismE0ELb1ES3_N6thrust23THRUST_200600_302600_NS6detail15normal_iteratorINS9_10device_ptrIiEEEENSB_INSC_IyEEEESG_yNS9_4plusIvEENS9_8equal_toIvEEyEE10hipError_tPvRmT2_T3_T4_T5_mT6_T7_P12ihipStream_tbENKUlT_T0_E_clISt17integral_constantIbLb1EES10_IbLb0EEEEDaSW_SX_EUlSW_E_NS1_11comp_targetILNS1_3genE10ELNS1_11target_archE1201ELNS1_3gpuE5ELNS1_3repE0EEENS1_30default_config_static_selectorELNS0_4arch9wavefront6targetE1EEEvT1_ ; -- Begin function _ZN7rocprim17ROCPRIM_400000_NS6detail17trampoline_kernelINS0_14default_configENS1_27scan_by_key_config_selectorIiyEEZZNS1_16scan_by_key_implILNS1_25lookback_scan_determinismE0ELb1ES3_N6thrust23THRUST_200600_302600_NS6detail15normal_iteratorINS9_10device_ptrIiEEEENSB_INSC_IyEEEESG_yNS9_4plusIvEENS9_8equal_toIvEEyEE10hipError_tPvRmT2_T3_T4_T5_mT6_T7_P12ihipStream_tbENKUlT_T0_E_clISt17integral_constantIbLb1EES10_IbLb0EEEEDaSW_SX_EUlSW_E_NS1_11comp_targetILNS1_3genE10ELNS1_11target_archE1201ELNS1_3gpuE5ELNS1_3repE0EEENS1_30default_config_static_selectorELNS0_4arch9wavefront6targetE1EEEvT1_
	.globl	_ZN7rocprim17ROCPRIM_400000_NS6detail17trampoline_kernelINS0_14default_configENS1_27scan_by_key_config_selectorIiyEEZZNS1_16scan_by_key_implILNS1_25lookback_scan_determinismE0ELb1ES3_N6thrust23THRUST_200600_302600_NS6detail15normal_iteratorINS9_10device_ptrIiEEEENSB_INSC_IyEEEESG_yNS9_4plusIvEENS9_8equal_toIvEEyEE10hipError_tPvRmT2_T3_T4_T5_mT6_T7_P12ihipStream_tbENKUlT_T0_E_clISt17integral_constantIbLb1EES10_IbLb0EEEEDaSW_SX_EUlSW_E_NS1_11comp_targetILNS1_3genE10ELNS1_11target_archE1201ELNS1_3gpuE5ELNS1_3repE0EEENS1_30default_config_static_selectorELNS0_4arch9wavefront6targetE1EEEvT1_
	.p2align	8
	.type	_ZN7rocprim17ROCPRIM_400000_NS6detail17trampoline_kernelINS0_14default_configENS1_27scan_by_key_config_selectorIiyEEZZNS1_16scan_by_key_implILNS1_25lookback_scan_determinismE0ELb1ES3_N6thrust23THRUST_200600_302600_NS6detail15normal_iteratorINS9_10device_ptrIiEEEENSB_INSC_IyEEEESG_yNS9_4plusIvEENS9_8equal_toIvEEyEE10hipError_tPvRmT2_T3_T4_T5_mT6_T7_P12ihipStream_tbENKUlT_T0_E_clISt17integral_constantIbLb1EES10_IbLb0EEEEDaSW_SX_EUlSW_E_NS1_11comp_targetILNS1_3genE10ELNS1_11target_archE1201ELNS1_3gpuE5ELNS1_3repE0EEENS1_30default_config_static_selectorELNS0_4arch9wavefront6targetE1EEEvT1_,@function
_ZN7rocprim17ROCPRIM_400000_NS6detail17trampoline_kernelINS0_14default_configENS1_27scan_by_key_config_selectorIiyEEZZNS1_16scan_by_key_implILNS1_25lookback_scan_determinismE0ELb1ES3_N6thrust23THRUST_200600_302600_NS6detail15normal_iteratorINS9_10device_ptrIiEEEENSB_INSC_IyEEEESG_yNS9_4plusIvEENS9_8equal_toIvEEyEE10hipError_tPvRmT2_T3_T4_T5_mT6_T7_P12ihipStream_tbENKUlT_T0_E_clISt17integral_constantIbLb1EES10_IbLb0EEEEDaSW_SX_EUlSW_E_NS1_11comp_targetILNS1_3genE10ELNS1_11target_archE1201ELNS1_3gpuE5ELNS1_3repE0EEENS1_30default_config_static_selectorELNS0_4arch9wavefront6targetE1EEEvT1_: ; @_ZN7rocprim17ROCPRIM_400000_NS6detail17trampoline_kernelINS0_14default_configENS1_27scan_by_key_config_selectorIiyEEZZNS1_16scan_by_key_implILNS1_25lookback_scan_determinismE0ELb1ES3_N6thrust23THRUST_200600_302600_NS6detail15normal_iteratorINS9_10device_ptrIiEEEENSB_INSC_IyEEEESG_yNS9_4plusIvEENS9_8equal_toIvEEyEE10hipError_tPvRmT2_T3_T4_T5_mT6_T7_P12ihipStream_tbENKUlT_T0_E_clISt17integral_constantIbLb1EES10_IbLb0EEEEDaSW_SX_EUlSW_E_NS1_11comp_targetILNS1_3genE10ELNS1_11target_archE1201ELNS1_3gpuE5ELNS1_3repE0EEENS1_30default_config_static_selectorELNS0_4arch9wavefront6targetE1EEEvT1_
; %bb.0:
	.section	.rodata,"a",@progbits
	.p2align	6, 0x0
	.amdhsa_kernel _ZN7rocprim17ROCPRIM_400000_NS6detail17trampoline_kernelINS0_14default_configENS1_27scan_by_key_config_selectorIiyEEZZNS1_16scan_by_key_implILNS1_25lookback_scan_determinismE0ELb1ES3_N6thrust23THRUST_200600_302600_NS6detail15normal_iteratorINS9_10device_ptrIiEEEENSB_INSC_IyEEEESG_yNS9_4plusIvEENS9_8equal_toIvEEyEE10hipError_tPvRmT2_T3_T4_T5_mT6_T7_P12ihipStream_tbENKUlT_T0_E_clISt17integral_constantIbLb1EES10_IbLb0EEEEDaSW_SX_EUlSW_E_NS1_11comp_targetILNS1_3genE10ELNS1_11target_archE1201ELNS1_3gpuE5ELNS1_3repE0EEENS1_30default_config_static_selectorELNS0_4arch9wavefront6targetE1EEEvT1_
		.amdhsa_group_segment_fixed_size 0
		.amdhsa_private_segment_fixed_size 0
		.amdhsa_kernarg_size 136
		.amdhsa_user_sgpr_count 6
		.amdhsa_user_sgpr_private_segment_buffer 1
		.amdhsa_user_sgpr_dispatch_ptr 0
		.amdhsa_user_sgpr_queue_ptr 0
		.amdhsa_user_sgpr_kernarg_segment_ptr 1
		.amdhsa_user_sgpr_dispatch_id 0
		.amdhsa_user_sgpr_flat_scratch_init 0
		.amdhsa_user_sgpr_kernarg_preload_length 0
		.amdhsa_user_sgpr_kernarg_preload_offset 0
		.amdhsa_user_sgpr_private_segment_size 0
		.amdhsa_uses_dynamic_stack 0
		.amdhsa_system_sgpr_private_segment_wavefront_offset 0
		.amdhsa_system_sgpr_workgroup_id_x 1
		.amdhsa_system_sgpr_workgroup_id_y 0
		.amdhsa_system_sgpr_workgroup_id_z 0
		.amdhsa_system_sgpr_workgroup_info 0
		.amdhsa_system_vgpr_workitem_id 0
		.amdhsa_next_free_vgpr 1
		.amdhsa_next_free_sgpr 0
		.amdhsa_accum_offset 4
		.amdhsa_reserve_vcc 0
		.amdhsa_reserve_flat_scratch 0
		.amdhsa_float_round_mode_32 0
		.amdhsa_float_round_mode_16_64 0
		.amdhsa_float_denorm_mode_32 3
		.amdhsa_float_denorm_mode_16_64 3
		.amdhsa_dx10_clamp 1
		.amdhsa_ieee_mode 1
		.amdhsa_fp16_overflow 0
		.amdhsa_tg_split 0
		.amdhsa_exception_fp_ieee_invalid_op 0
		.amdhsa_exception_fp_denorm_src 0
		.amdhsa_exception_fp_ieee_div_zero 0
		.amdhsa_exception_fp_ieee_overflow 0
		.amdhsa_exception_fp_ieee_underflow 0
		.amdhsa_exception_fp_ieee_inexact 0
		.amdhsa_exception_int_div_zero 0
	.end_amdhsa_kernel
	.section	.text._ZN7rocprim17ROCPRIM_400000_NS6detail17trampoline_kernelINS0_14default_configENS1_27scan_by_key_config_selectorIiyEEZZNS1_16scan_by_key_implILNS1_25lookback_scan_determinismE0ELb1ES3_N6thrust23THRUST_200600_302600_NS6detail15normal_iteratorINS9_10device_ptrIiEEEENSB_INSC_IyEEEESG_yNS9_4plusIvEENS9_8equal_toIvEEyEE10hipError_tPvRmT2_T3_T4_T5_mT6_T7_P12ihipStream_tbENKUlT_T0_E_clISt17integral_constantIbLb1EES10_IbLb0EEEEDaSW_SX_EUlSW_E_NS1_11comp_targetILNS1_3genE10ELNS1_11target_archE1201ELNS1_3gpuE5ELNS1_3repE0EEENS1_30default_config_static_selectorELNS0_4arch9wavefront6targetE1EEEvT1_,"axG",@progbits,_ZN7rocprim17ROCPRIM_400000_NS6detail17trampoline_kernelINS0_14default_configENS1_27scan_by_key_config_selectorIiyEEZZNS1_16scan_by_key_implILNS1_25lookback_scan_determinismE0ELb1ES3_N6thrust23THRUST_200600_302600_NS6detail15normal_iteratorINS9_10device_ptrIiEEEENSB_INSC_IyEEEESG_yNS9_4plusIvEENS9_8equal_toIvEEyEE10hipError_tPvRmT2_T3_T4_T5_mT6_T7_P12ihipStream_tbENKUlT_T0_E_clISt17integral_constantIbLb1EES10_IbLb0EEEEDaSW_SX_EUlSW_E_NS1_11comp_targetILNS1_3genE10ELNS1_11target_archE1201ELNS1_3gpuE5ELNS1_3repE0EEENS1_30default_config_static_selectorELNS0_4arch9wavefront6targetE1EEEvT1_,comdat
.Lfunc_end1482:
	.size	_ZN7rocprim17ROCPRIM_400000_NS6detail17trampoline_kernelINS0_14default_configENS1_27scan_by_key_config_selectorIiyEEZZNS1_16scan_by_key_implILNS1_25lookback_scan_determinismE0ELb1ES3_N6thrust23THRUST_200600_302600_NS6detail15normal_iteratorINS9_10device_ptrIiEEEENSB_INSC_IyEEEESG_yNS9_4plusIvEENS9_8equal_toIvEEyEE10hipError_tPvRmT2_T3_T4_T5_mT6_T7_P12ihipStream_tbENKUlT_T0_E_clISt17integral_constantIbLb1EES10_IbLb0EEEEDaSW_SX_EUlSW_E_NS1_11comp_targetILNS1_3genE10ELNS1_11target_archE1201ELNS1_3gpuE5ELNS1_3repE0EEENS1_30default_config_static_selectorELNS0_4arch9wavefront6targetE1EEEvT1_, .Lfunc_end1482-_ZN7rocprim17ROCPRIM_400000_NS6detail17trampoline_kernelINS0_14default_configENS1_27scan_by_key_config_selectorIiyEEZZNS1_16scan_by_key_implILNS1_25lookback_scan_determinismE0ELb1ES3_N6thrust23THRUST_200600_302600_NS6detail15normal_iteratorINS9_10device_ptrIiEEEENSB_INSC_IyEEEESG_yNS9_4plusIvEENS9_8equal_toIvEEyEE10hipError_tPvRmT2_T3_T4_T5_mT6_T7_P12ihipStream_tbENKUlT_T0_E_clISt17integral_constantIbLb1EES10_IbLb0EEEEDaSW_SX_EUlSW_E_NS1_11comp_targetILNS1_3genE10ELNS1_11target_archE1201ELNS1_3gpuE5ELNS1_3repE0EEENS1_30default_config_static_selectorELNS0_4arch9wavefront6targetE1EEEvT1_
                                        ; -- End function
	.section	.AMDGPU.csdata,"",@progbits
; Kernel info:
; codeLenInByte = 0
; NumSgprs: 4
; NumVgprs: 0
; NumAgprs: 0
; TotalNumVgprs: 0
; ScratchSize: 0
; MemoryBound: 0
; FloatMode: 240
; IeeeMode: 1
; LDSByteSize: 0 bytes/workgroup (compile time only)
; SGPRBlocks: 0
; VGPRBlocks: 0
; NumSGPRsForWavesPerEU: 4
; NumVGPRsForWavesPerEU: 1
; AccumOffset: 4
; Occupancy: 8
; WaveLimiterHint : 0
; COMPUTE_PGM_RSRC2:SCRATCH_EN: 0
; COMPUTE_PGM_RSRC2:USER_SGPR: 6
; COMPUTE_PGM_RSRC2:TRAP_HANDLER: 0
; COMPUTE_PGM_RSRC2:TGID_X_EN: 1
; COMPUTE_PGM_RSRC2:TGID_Y_EN: 0
; COMPUTE_PGM_RSRC2:TGID_Z_EN: 0
; COMPUTE_PGM_RSRC2:TIDIG_COMP_CNT: 0
; COMPUTE_PGM_RSRC3_GFX90A:ACCUM_OFFSET: 0
; COMPUTE_PGM_RSRC3_GFX90A:TG_SPLIT: 0
	.section	.text._ZN7rocprim17ROCPRIM_400000_NS6detail17trampoline_kernelINS0_14default_configENS1_27scan_by_key_config_selectorIiyEEZZNS1_16scan_by_key_implILNS1_25lookback_scan_determinismE0ELb1ES3_N6thrust23THRUST_200600_302600_NS6detail15normal_iteratorINS9_10device_ptrIiEEEENSB_INSC_IyEEEESG_yNS9_4plusIvEENS9_8equal_toIvEEyEE10hipError_tPvRmT2_T3_T4_T5_mT6_T7_P12ihipStream_tbENKUlT_T0_E_clISt17integral_constantIbLb1EES10_IbLb0EEEEDaSW_SX_EUlSW_E_NS1_11comp_targetILNS1_3genE5ELNS1_11target_archE942ELNS1_3gpuE9ELNS1_3repE0EEENS1_30default_config_static_selectorELNS0_4arch9wavefront6targetE1EEEvT1_,"axG",@progbits,_ZN7rocprim17ROCPRIM_400000_NS6detail17trampoline_kernelINS0_14default_configENS1_27scan_by_key_config_selectorIiyEEZZNS1_16scan_by_key_implILNS1_25lookback_scan_determinismE0ELb1ES3_N6thrust23THRUST_200600_302600_NS6detail15normal_iteratorINS9_10device_ptrIiEEEENSB_INSC_IyEEEESG_yNS9_4plusIvEENS9_8equal_toIvEEyEE10hipError_tPvRmT2_T3_T4_T5_mT6_T7_P12ihipStream_tbENKUlT_T0_E_clISt17integral_constantIbLb1EES10_IbLb0EEEEDaSW_SX_EUlSW_E_NS1_11comp_targetILNS1_3genE5ELNS1_11target_archE942ELNS1_3gpuE9ELNS1_3repE0EEENS1_30default_config_static_selectorELNS0_4arch9wavefront6targetE1EEEvT1_,comdat
	.protected	_ZN7rocprim17ROCPRIM_400000_NS6detail17trampoline_kernelINS0_14default_configENS1_27scan_by_key_config_selectorIiyEEZZNS1_16scan_by_key_implILNS1_25lookback_scan_determinismE0ELb1ES3_N6thrust23THRUST_200600_302600_NS6detail15normal_iteratorINS9_10device_ptrIiEEEENSB_INSC_IyEEEESG_yNS9_4plusIvEENS9_8equal_toIvEEyEE10hipError_tPvRmT2_T3_T4_T5_mT6_T7_P12ihipStream_tbENKUlT_T0_E_clISt17integral_constantIbLb1EES10_IbLb0EEEEDaSW_SX_EUlSW_E_NS1_11comp_targetILNS1_3genE5ELNS1_11target_archE942ELNS1_3gpuE9ELNS1_3repE0EEENS1_30default_config_static_selectorELNS0_4arch9wavefront6targetE1EEEvT1_ ; -- Begin function _ZN7rocprim17ROCPRIM_400000_NS6detail17trampoline_kernelINS0_14default_configENS1_27scan_by_key_config_selectorIiyEEZZNS1_16scan_by_key_implILNS1_25lookback_scan_determinismE0ELb1ES3_N6thrust23THRUST_200600_302600_NS6detail15normal_iteratorINS9_10device_ptrIiEEEENSB_INSC_IyEEEESG_yNS9_4plusIvEENS9_8equal_toIvEEyEE10hipError_tPvRmT2_T3_T4_T5_mT6_T7_P12ihipStream_tbENKUlT_T0_E_clISt17integral_constantIbLb1EES10_IbLb0EEEEDaSW_SX_EUlSW_E_NS1_11comp_targetILNS1_3genE5ELNS1_11target_archE942ELNS1_3gpuE9ELNS1_3repE0EEENS1_30default_config_static_selectorELNS0_4arch9wavefront6targetE1EEEvT1_
	.globl	_ZN7rocprim17ROCPRIM_400000_NS6detail17trampoline_kernelINS0_14default_configENS1_27scan_by_key_config_selectorIiyEEZZNS1_16scan_by_key_implILNS1_25lookback_scan_determinismE0ELb1ES3_N6thrust23THRUST_200600_302600_NS6detail15normal_iteratorINS9_10device_ptrIiEEEENSB_INSC_IyEEEESG_yNS9_4plusIvEENS9_8equal_toIvEEyEE10hipError_tPvRmT2_T3_T4_T5_mT6_T7_P12ihipStream_tbENKUlT_T0_E_clISt17integral_constantIbLb1EES10_IbLb0EEEEDaSW_SX_EUlSW_E_NS1_11comp_targetILNS1_3genE5ELNS1_11target_archE942ELNS1_3gpuE9ELNS1_3repE0EEENS1_30default_config_static_selectorELNS0_4arch9wavefront6targetE1EEEvT1_
	.p2align	8
	.type	_ZN7rocprim17ROCPRIM_400000_NS6detail17trampoline_kernelINS0_14default_configENS1_27scan_by_key_config_selectorIiyEEZZNS1_16scan_by_key_implILNS1_25lookback_scan_determinismE0ELb1ES3_N6thrust23THRUST_200600_302600_NS6detail15normal_iteratorINS9_10device_ptrIiEEEENSB_INSC_IyEEEESG_yNS9_4plusIvEENS9_8equal_toIvEEyEE10hipError_tPvRmT2_T3_T4_T5_mT6_T7_P12ihipStream_tbENKUlT_T0_E_clISt17integral_constantIbLb1EES10_IbLb0EEEEDaSW_SX_EUlSW_E_NS1_11comp_targetILNS1_3genE5ELNS1_11target_archE942ELNS1_3gpuE9ELNS1_3repE0EEENS1_30default_config_static_selectorELNS0_4arch9wavefront6targetE1EEEvT1_,@function
_ZN7rocprim17ROCPRIM_400000_NS6detail17trampoline_kernelINS0_14default_configENS1_27scan_by_key_config_selectorIiyEEZZNS1_16scan_by_key_implILNS1_25lookback_scan_determinismE0ELb1ES3_N6thrust23THRUST_200600_302600_NS6detail15normal_iteratorINS9_10device_ptrIiEEEENSB_INSC_IyEEEESG_yNS9_4plusIvEENS9_8equal_toIvEEyEE10hipError_tPvRmT2_T3_T4_T5_mT6_T7_P12ihipStream_tbENKUlT_T0_E_clISt17integral_constantIbLb1EES10_IbLb0EEEEDaSW_SX_EUlSW_E_NS1_11comp_targetILNS1_3genE5ELNS1_11target_archE942ELNS1_3gpuE9ELNS1_3repE0EEENS1_30default_config_static_selectorELNS0_4arch9wavefront6targetE1EEEvT1_: ; @_ZN7rocprim17ROCPRIM_400000_NS6detail17trampoline_kernelINS0_14default_configENS1_27scan_by_key_config_selectorIiyEEZZNS1_16scan_by_key_implILNS1_25lookback_scan_determinismE0ELb1ES3_N6thrust23THRUST_200600_302600_NS6detail15normal_iteratorINS9_10device_ptrIiEEEENSB_INSC_IyEEEESG_yNS9_4plusIvEENS9_8equal_toIvEEyEE10hipError_tPvRmT2_T3_T4_T5_mT6_T7_P12ihipStream_tbENKUlT_T0_E_clISt17integral_constantIbLb1EES10_IbLb0EEEEDaSW_SX_EUlSW_E_NS1_11comp_targetILNS1_3genE5ELNS1_11target_archE942ELNS1_3gpuE9ELNS1_3repE0EEENS1_30default_config_static_selectorELNS0_4arch9wavefront6targetE1EEEvT1_
; %bb.0:
	.section	.rodata,"a",@progbits
	.p2align	6, 0x0
	.amdhsa_kernel _ZN7rocprim17ROCPRIM_400000_NS6detail17trampoline_kernelINS0_14default_configENS1_27scan_by_key_config_selectorIiyEEZZNS1_16scan_by_key_implILNS1_25lookback_scan_determinismE0ELb1ES3_N6thrust23THRUST_200600_302600_NS6detail15normal_iteratorINS9_10device_ptrIiEEEENSB_INSC_IyEEEESG_yNS9_4plusIvEENS9_8equal_toIvEEyEE10hipError_tPvRmT2_T3_T4_T5_mT6_T7_P12ihipStream_tbENKUlT_T0_E_clISt17integral_constantIbLb1EES10_IbLb0EEEEDaSW_SX_EUlSW_E_NS1_11comp_targetILNS1_3genE5ELNS1_11target_archE942ELNS1_3gpuE9ELNS1_3repE0EEENS1_30default_config_static_selectorELNS0_4arch9wavefront6targetE1EEEvT1_
		.amdhsa_group_segment_fixed_size 0
		.amdhsa_private_segment_fixed_size 0
		.amdhsa_kernarg_size 136
		.amdhsa_user_sgpr_count 6
		.amdhsa_user_sgpr_private_segment_buffer 1
		.amdhsa_user_sgpr_dispatch_ptr 0
		.amdhsa_user_sgpr_queue_ptr 0
		.amdhsa_user_sgpr_kernarg_segment_ptr 1
		.amdhsa_user_sgpr_dispatch_id 0
		.amdhsa_user_sgpr_flat_scratch_init 0
		.amdhsa_user_sgpr_kernarg_preload_length 0
		.amdhsa_user_sgpr_kernarg_preload_offset 0
		.amdhsa_user_sgpr_private_segment_size 0
		.amdhsa_uses_dynamic_stack 0
		.amdhsa_system_sgpr_private_segment_wavefront_offset 0
		.amdhsa_system_sgpr_workgroup_id_x 1
		.amdhsa_system_sgpr_workgroup_id_y 0
		.amdhsa_system_sgpr_workgroup_id_z 0
		.amdhsa_system_sgpr_workgroup_info 0
		.amdhsa_system_vgpr_workitem_id 0
		.amdhsa_next_free_vgpr 1
		.amdhsa_next_free_sgpr 0
		.amdhsa_accum_offset 4
		.amdhsa_reserve_vcc 0
		.amdhsa_reserve_flat_scratch 0
		.amdhsa_float_round_mode_32 0
		.amdhsa_float_round_mode_16_64 0
		.amdhsa_float_denorm_mode_32 3
		.amdhsa_float_denorm_mode_16_64 3
		.amdhsa_dx10_clamp 1
		.amdhsa_ieee_mode 1
		.amdhsa_fp16_overflow 0
		.amdhsa_tg_split 0
		.amdhsa_exception_fp_ieee_invalid_op 0
		.amdhsa_exception_fp_denorm_src 0
		.amdhsa_exception_fp_ieee_div_zero 0
		.amdhsa_exception_fp_ieee_overflow 0
		.amdhsa_exception_fp_ieee_underflow 0
		.amdhsa_exception_fp_ieee_inexact 0
		.amdhsa_exception_int_div_zero 0
	.end_amdhsa_kernel
	.section	.text._ZN7rocprim17ROCPRIM_400000_NS6detail17trampoline_kernelINS0_14default_configENS1_27scan_by_key_config_selectorIiyEEZZNS1_16scan_by_key_implILNS1_25lookback_scan_determinismE0ELb1ES3_N6thrust23THRUST_200600_302600_NS6detail15normal_iteratorINS9_10device_ptrIiEEEENSB_INSC_IyEEEESG_yNS9_4plusIvEENS9_8equal_toIvEEyEE10hipError_tPvRmT2_T3_T4_T5_mT6_T7_P12ihipStream_tbENKUlT_T0_E_clISt17integral_constantIbLb1EES10_IbLb0EEEEDaSW_SX_EUlSW_E_NS1_11comp_targetILNS1_3genE5ELNS1_11target_archE942ELNS1_3gpuE9ELNS1_3repE0EEENS1_30default_config_static_selectorELNS0_4arch9wavefront6targetE1EEEvT1_,"axG",@progbits,_ZN7rocprim17ROCPRIM_400000_NS6detail17trampoline_kernelINS0_14default_configENS1_27scan_by_key_config_selectorIiyEEZZNS1_16scan_by_key_implILNS1_25lookback_scan_determinismE0ELb1ES3_N6thrust23THRUST_200600_302600_NS6detail15normal_iteratorINS9_10device_ptrIiEEEENSB_INSC_IyEEEESG_yNS9_4plusIvEENS9_8equal_toIvEEyEE10hipError_tPvRmT2_T3_T4_T5_mT6_T7_P12ihipStream_tbENKUlT_T0_E_clISt17integral_constantIbLb1EES10_IbLb0EEEEDaSW_SX_EUlSW_E_NS1_11comp_targetILNS1_3genE5ELNS1_11target_archE942ELNS1_3gpuE9ELNS1_3repE0EEENS1_30default_config_static_selectorELNS0_4arch9wavefront6targetE1EEEvT1_,comdat
.Lfunc_end1483:
	.size	_ZN7rocprim17ROCPRIM_400000_NS6detail17trampoline_kernelINS0_14default_configENS1_27scan_by_key_config_selectorIiyEEZZNS1_16scan_by_key_implILNS1_25lookback_scan_determinismE0ELb1ES3_N6thrust23THRUST_200600_302600_NS6detail15normal_iteratorINS9_10device_ptrIiEEEENSB_INSC_IyEEEESG_yNS9_4plusIvEENS9_8equal_toIvEEyEE10hipError_tPvRmT2_T3_T4_T5_mT6_T7_P12ihipStream_tbENKUlT_T0_E_clISt17integral_constantIbLb1EES10_IbLb0EEEEDaSW_SX_EUlSW_E_NS1_11comp_targetILNS1_3genE5ELNS1_11target_archE942ELNS1_3gpuE9ELNS1_3repE0EEENS1_30default_config_static_selectorELNS0_4arch9wavefront6targetE1EEEvT1_, .Lfunc_end1483-_ZN7rocprim17ROCPRIM_400000_NS6detail17trampoline_kernelINS0_14default_configENS1_27scan_by_key_config_selectorIiyEEZZNS1_16scan_by_key_implILNS1_25lookback_scan_determinismE0ELb1ES3_N6thrust23THRUST_200600_302600_NS6detail15normal_iteratorINS9_10device_ptrIiEEEENSB_INSC_IyEEEESG_yNS9_4plusIvEENS9_8equal_toIvEEyEE10hipError_tPvRmT2_T3_T4_T5_mT6_T7_P12ihipStream_tbENKUlT_T0_E_clISt17integral_constantIbLb1EES10_IbLb0EEEEDaSW_SX_EUlSW_E_NS1_11comp_targetILNS1_3genE5ELNS1_11target_archE942ELNS1_3gpuE9ELNS1_3repE0EEENS1_30default_config_static_selectorELNS0_4arch9wavefront6targetE1EEEvT1_
                                        ; -- End function
	.section	.AMDGPU.csdata,"",@progbits
; Kernel info:
; codeLenInByte = 0
; NumSgprs: 4
; NumVgprs: 0
; NumAgprs: 0
; TotalNumVgprs: 0
; ScratchSize: 0
; MemoryBound: 0
; FloatMode: 240
; IeeeMode: 1
; LDSByteSize: 0 bytes/workgroup (compile time only)
; SGPRBlocks: 0
; VGPRBlocks: 0
; NumSGPRsForWavesPerEU: 4
; NumVGPRsForWavesPerEU: 1
; AccumOffset: 4
; Occupancy: 8
; WaveLimiterHint : 0
; COMPUTE_PGM_RSRC2:SCRATCH_EN: 0
; COMPUTE_PGM_RSRC2:USER_SGPR: 6
; COMPUTE_PGM_RSRC2:TRAP_HANDLER: 0
; COMPUTE_PGM_RSRC2:TGID_X_EN: 1
; COMPUTE_PGM_RSRC2:TGID_Y_EN: 0
; COMPUTE_PGM_RSRC2:TGID_Z_EN: 0
; COMPUTE_PGM_RSRC2:TIDIG_COMP_CNT: 0
; COMPUTE_PGM_RSRC3_GFX90A:ACCUM_OFFSET: 0
; COMPUTE_PGM_RSRC3_GFX90A:TG_SPLIT: 0
	.section	.text._ZN7rocprim17ROCPRIM_400000_NS6detail17trampoline_kernelINS0_14default_configENS1_27scan_by_key_config_selectorIiyEEZZNS1_16scan_by_key_implILNS1_25lookback_scan_determinismE0ELb1ES3_N6thrust23THRUST_200600_302600_NS6detail15normal_iteratorINS9_10device_ptrIiEEEENSB_INSC_IyEEEESG_yNS9_4plusIvEENS9_8equal_toIvEEyEE10hipError_tPvRmT2_T3_T4_T5_mT6_T7_P12ihipStream_tbENKUlT_T0_E_clISt17integral_constantIbLb1EES10_IbLb0EEEEDaSW_SX_EUlSW_E_NS1_11comp_targetILNS1_3genE4ELNS1_11target_archE910ELNS1_3gpuE8ELNS1_3repE0EEENS1_30default_config_static_selectorELNS0_4arch9wavefront6targetE1EEEvT1_,"axG",@progbits,_ZN7rocprim17ROCPRIM_400000_NS6detail17trampoline_kernelINS0_14default_configENS1_27scan_by_key_config_selectorIiyEEZZNS1_16scan_by_key_implILNS1_25lookback_scan_determinismE0ELb1ES3_N6thrust23THRUST_200600_302600_NS6detail15normal_iteratorINS9_10device_ptrIiEEEENSB_INSC_IyEEEESG_yNS9_4plusIvEENS9_8equal_toIvEEyEE10hipError_tPvRmT2_T3_T4_T5_mT6_T7_P12ihipStream_tbENKUlT_T0_E_clISt17integral_constantIbLb1EES10_IbLb0EEEEDaSW_SX_EUlSW_E_NS1_11comp_targetILNS1_3genE4ELNS1_11target_archE910ELNS1_3gpuE8ELNS1_3repE0EEENS1_30default_config_static_selectorELNS0_4arch9wavefront6targetE1EEEvT1_,comdat
	.protected	_ZN7rocprim17ROCPRIM_400000_NS6detail17trampoline_kernelINS0_14default_configENS1_27scan_by_key_config_selectorIiyEEZZNS1_16scan_by_key_implILNS1_25lookback_scan_determinismE0ELb1ES3_N6thrust23THRUST_200600_302600_NS6detail15normal_iteratorINS9_10device_ptrIiEEEENSB_INSC_IyEEEESG_yNS9_4plusIvEENS9_8equal_toIvEEyEE10hipError_tPvRmT2_T3_T4_T5_mT6_T7_P12ihipStream_tbENKUlT_T0_E_clISt17integral_constantIbLb1EES10_IbLb0EEEEDaSW_SX_EUlSW_E_NS1_11comp_targetILNS1_3genE4ELNS1_11target_archE910ELNS1_3gpuE8ELNS1_3repE0EEENS1_30default_config_static_selectorELNS0_4arch9wavefront6targetE1EEEvT1_ ; -- Begin function _ZN7rocprim17ROCPRIM_400000_NS6detail17trampoline_kernelINS0_14default_configENS1_27scan_by_key_config_selectorIiyEEZZNS1_16scan_by_key_implILNS1_25lookback_scan_determinismE0ELb1ES3_N6thrust23THRUST_200600_302600_NS6detail15normal_iteratorINS9_10device_ptrIiEEEENSB_INSC_IyEEEESG_yNS9_4plusIvEENS9_8equal_toIvEEyEE10hipError_tPvRmT2_T3_T4_T5_mT6_T7_P12ihipStream_tbENKUlT_T0_E_clISt17integral_constantIbLb1EES10_IbLb0EEEEDaSW_SX_EUlSW_E_NS1_11comp_targetILNS1_3genE4ELNS1_11target_archE910ELNS1_3gpuE8ELNS1_3repE0EEENS1_30default_config_static_selectorELNS0_4arch9wavefront6targetE1EEEvT1_
	.globl	_ZN7rocprim17ROCPRIM_400000_NS6detail17trampoline_kernelINS0_14default_configENS1_27scan_by_key_config_selectorIiyEEZZNS1_16scan_by_key_implILNS1_25lookback_scan_determinismE0ELb1ES3_N6thrust23THRUST_200600_302600_NS6detail15normal_iteratorINS9_10device_ptrIiEEEENSB_INSC_IyEEEESG_yNS9_4plusIvEENS9_8equal_toIvEEyEE10hipError_tPvRmT2_T3_T4_T5_mT6_T7_P12ihipStream_tbENKUlT_T0_E_clISt17integral_constantIbLb1EES10_IbLb0EEEEDaSW_SX_EUlSW_E_NS1_11comp_targetILNS1_3genE4ELNS1_11target_archE910ELNS1_3gpuE8ELNS1_3repE0EEENS1_30default_config_static_selectorELNS0_4arch9wavefront6targetE1EEEvT1_
	.p2align	8
	.type	_ZN7rocprim17ROCPRIM_400000_NS6detail17trampoline_kernelINS0_14default_configENS1_27scan_by_key_config_selectorIiyEEZZNS1_16scan_by_key_implILNS1_25lookback_scan_determinismE0ELb1ES3_N6thrust23THRUST_200600_302600_NS6detail15normal_iteratorINS9_10device_ptrIiEEEENSB_INSC_IyEEEESG_yNS9_4plusIvEENS9_8equal_toIvEEyEE10hipError_tPvRmT2_T3_T4_T5_mT6_T7_P12ihipStream_tbENKUlT_T0_E_clISt17integral_constantIbLb1EES10_IbLb0EEEEDaSW_SX_EUlSW_E_NS1_11comp_targetILNS1_3genE4ELNS1_11target_archE910ELNS1_3gpuE8ELNS1_3repE0EEENS1_30default_config_static_selectorELNS0_4arch9wavefront6targetE1EEEvT1_,@function
_ZN7rocprim17ROCPRIM_400000_NS6detail17trampoline_kernelINS0_14default_configENS1_27scan_by_key_config_selectorIiyEEZZNS1_16scan_by_key_implILNS1_25lookback_scan_determinismE0ELb1ES3_N6thrust23THRUST_200600_302600_NS6detail15normal_iteratorINS9_10device_ptrIiEEEENSB_INSC_IyEEEESG_yNS9_4plusIvEENS9_8equal_toIvEEyEE10hipError_tPvRmT2_T3_T4_T5_mT6_T7_P12ihipStream_tbENKUlT_T0_E_clISt17integral_constantIbLb1EES10_IbLb0EEEEDaSW_SX_EUlSW_E_NS1_11comp_targetILNS1_3genE4ELNS1_11target_archE910ELNS1_3gpuE8ELNS1_3repE0EEENS1_30default_config_static_selectorELNS0_4arch9wavefront6targetE1EEEvT1_: ; @_ZN7rocprim17ROCPRIM_400000_NS6detail17trampoline_kernelINS0_14default_configENS1_27scan_by_key_config_selectorIiyEEZZNS1_16scan_by_key_implILNS1_25lookback_scan_determinismE0ELb1ES3_N6thrust23THRUST_200600_302600_NS6detail15normal_iteratorINS9_10device_ptrIiEEEENSB_INSC_IyEEEESG_yNS9_4plusIvEENS9_8equal_toIvEEyEE10hipError_tPvRmT2_T3_T4_T5_mT6_T7_P12ihipStream_tbENKUlT_T0_E_clISt17integral_constantIbLb1EES10_IbLb0EEEEDaSW_SX_EUlSW_E_NS1_11comp_targetILNS1_3genE4ELNS1_11target_archE910ELNS1_3gpuE8ELNS1_3repE0EEENS1_30default_config_static_selectorELNS0_4arch9wavefront6targetE1EEEvT1_
; %bb.0:
	s_load_dwordx8 s[56:63], s[4:5], 0x0
	s_load_dwordx2 s[68:69], s[4:5], 0x20
	s_load_dwordx8 s[48:55], s[4:5], 0x30
	s_load_dwordx2 s[70:71], s[4:5], 0x50
	s_load_dword s2, s[4:5], 0x58
	s_load_dwordx4 s[64:67], s[4:5], 0x60
	s_waitcnt lgkmcnt(0)
	s_lshl_b64 s[0:1], s[58:59], 2
	s_add_u32 s4, s56, s0
	s_addc_u32 s5, s57, s1
	s_lshl_b64 s[56:57], s[58:59], 3
	s_add_u32 s7, s60, s56
	s_mul_i32 s0, s71, s2
	s_mul_hi_u32 s1, s70, s2
	s_addc_u32 s8, s61, s57
	s_add_i32 s9, s1, s0
	s_mul_i32 s0, s6, 0x540
	s_mov_b32 s1, 0
	s_mul_i32 s10, s70, s2
	s_lshl_b64 s[2:3], s[0:1], 2
	s_add_u32 s60, s4, s2
	s_addc_u32 s61, s5, s3
	s_lshl_b64 s[58:59], s[0:1], 3
	s_add_u32 s7, s7, s58
	s_addc_u32 s55, s8, s59
	s_add_u32 s0, s10, s6
	s_addc_u32 s1, s9, 0
	s_add_u32 s4, s64, -1
	s_addc_u32 s5, s65, -1
	v_pk_mov_b32 v[2:3], s[4:5], s[4:5] op_sel:[0,1]
	v_cmp_ge_u64_e64 s[0:1], s[0:1], v[2:3]
	s_mov_b64 s[2:3], -1
	s_and_b64 vcc, exec, s[0:1]
	s_mul_i32 s33, s4, 0xfffffac0
	s_waitcnt lgkmcnt(0)
	; wave barrier
	s_cbranch_vccz .LBB1484_65
; %bb.1:
	v_pk_mov_b32 v[2:3], s[60:61], s[60:61] op_sel:[0,1]
	flat_load_dword v2, v[2:3]
	s_add_i32 s74, s33, s54
	v_cmp_gt_u32_e32 vcc, s74, v0
	s_waitcnt vmcnt(0) lgkmcnt(0)
	v_mov_b32_e32 v3, v2
	s_and_saveexec_b64 s[4:5], vcc
	s_cbranch_execz .LBB1484_3
; %bb.2:
	v_lshlrev_b32_e32 v1, 2, v0
	v_mov_b32_e32 v3, s61
	v_add_co_u32_e64 v4, s[2:3], s60, v1
	v_addc_co_u32_e64 v5, s[2:3], 0, v3, s[2:3]
	flat_load_dword v3, v[4:5]
.LBB1484_3:
	s_or_b64 exec, exec, s[4:5]
	v_or_b32_e32 v1, 64, v0
	v_cmp_gt_u32_e64 s[2:3], s74, v1
	v_mov_b32_e32 v4, v2
	s_and_saveexec_b64 s[8:9], s[2:3]
	s_cbranch_execz .LBB1484_5
; %bb.4:
	v_lshlrev_b32_e32 v1, 2, v0
	v_mov_b32_e32 v5, s61
	v_add_co_u32_e64 v4, s[4:5], s60, v1
	v_addc_co_u32_e64 v5, s[4:5], 0, v5, s[4:5]
	flat_load_dword v4, v[4:5] offset:256
.LBB1484_5:
	s_or_b64 exec, exec, s[8:9]
	v_or_b32_e32 v1, 0x80, v0
	v_cmp_gt_u32_e64 s[4:5], s74, v1
	v_mov_b32_e32 v5, v2
	s_and_saveexec_b64 s[10:11], s[4:5]
	s_cbranch_execz .LBB1484_7
; %bb.6:
	v_lshlrev_b32_e32 v1, 2, v0
	v_mov_b32_e32 v5, s61
	v_add_co_u32_e64 v6, s[8:9], s60, v1
	v_addc_co_u32_e64 v7, s[8:9], 0, v5, s[8:9]
	flat_load_dword v5, v[6:7] offset:512
.LBB1484_7:
	;; [unrolled: 13-line block ×15, first 2 shown]
	s_or_b64 exec, exec, s[36:37]
	v_or_b32_e32 v56, 0x400, v0
	v_cmp_gt_u32_e64 s[34:35], s74, v56
	v_mov_b32_e32 v19, v2
	s_and_saveexec_b64 s[38:39], s[34:35]
	s_cbranch_execz .LBB1484_35
; %bb.34:
	v_lshlrev_b32_e32 v19, 2, v56
	v_mov_b32_e32 v21, s61
	v_add_co_u32_e64 v20, s[36:37], s60, v19
	v_addc_co_u32_e64 v21, s[36:37], 0, v21, s[36:37]
	flat_load_dword v19, v[20:21]
.LBB1484_35:
	s_or_b64 exec, exec, s[38:39]
	v_or_b32_e32 v58, 0x440, v0
	v_cmp_gt_u32_e64 s[36:37], s74, v58
	v_mov_b32_e32 v20, v2
	s_and_saveexec_b64 s[40:41], s[36:37]
	s_cbranch_execz .LBB1484_37
; %bb.36:
	v_lshlrev_b32_e32 v20, 2, v58
	v_mov_b32_e32 v21, s61
	v_add_co_u32_e64 v20, s[38:39], s60, v20
	v_addc_co_u32_e64 v21, s[38:39], 0, v21, s[38:39]
	flat_load_dword v20, v[20:21]
.LBB1484_37:
	;; [unrolled: 13-line block ×4, first 2 shown]
	s_or_b64 exec, exec, s[46:47]
	v_or_b32_e32 v64, 0x500, v0
	v_cmp_gt_u32_e64 s[42:43], s74, v64
	s_and_saveexec_b64 s[64:65], s[42:43]
	s_cbranch_execz .LBB1484_43
; %bb.42:
	v_lshlrev_b32_e32 v2, 2, v64
	v_mov_b32_e32 v23, s61
	v_add_co_u32_e64 v24, s[46:47], s60, v2
	v_addc_co_u32_e64 v25, s[46:47], 0, v23, s[46:47]
	flat_load_dword v2, v[24:25]
.LBB1484_43:
	s_or_b64 exec, exec, s[64:65]
	v_lshlrev_b32_e32 v26, 2, v0
	s_waitcnt vmcnt(0) lgkmcnt(0)
	ds_write2st64_b32 v26, v3, v4 offset1:1
	ds_write2st64_b32 v26, v5, v6 offset0:2 offset1:3
	ds_write2st64_b32 v26, v7, v8 offset0:4 offset1:5
	;; [unrolled: 1-line block ×9, first 2 shown]
	ds_write_b32 v26, v2 offset:5120
	v_pk_mov_b32 v[2:3], s[60:61], s[60:61] op_sel:[0,1]
	s_waitcnt lgkmcnt(0)
	; wave barrier
	s_waitcnt lgkmcnt(0)
	flat_load_dword v82, v[2:3]
	s_movk_i32 s46, 0x50
	v_mad_u32_u24 v2, v0, s46, v26
	s_movk_i32 s46, 0xffb0
	v_mad_i32_i24 v65, v0, s46, v2
	v_cmp_ne_u32_e64 s[46:47], 63, v0
	ds_read_b32 v84, v2
	ds_read2_b32 v[24:25], v2 offset0:1 offset1:2
	ds_read2_b32 v[22:23], v2 offset0:3 offset1:4
	;; [unrolled: 1-line block ×10, first 2 shown]
	s_waitcnt lgkmcnt(0)
	ds_write_b32 v65, v84 offset:5632
	s_waitcnt lgkmcnt(0)
	; wave barrier
	s_waitcnt lgkmcnt(0)
	s_and_saveexec_b64 s[64:65], s[46:47]
	s_cbranch_execz .LBB1484_45
; %bb.44:
	s_waitcnt vmcnt(0)
	ds_read_b32 v82, v26 offset:5636
.LBB1484_45:
	s_or_b64 exec, exec, s[64:65]
	s_waitcnt lgkmcnt(0)
	; wave barrier
	s_waitcnt lgkmcnt(0)
                                        ; implicit-def: $vgpr2_vgpr3
	s_and_saveexec_b64 s[46:47], vcc
	s_cbranch_execz .LBB1484_66
; %bb.46:
	v_lshlrev_b32_e32 v2, 3, v0
	v_mov_b32_e32 v3, s55
	v_add_co_u32_e32 v2, vcc, s7, v2
	v_addc_co_u32_e32 v3, vcc, 0, v3, vcc
	flat_load_dwordx2 v[2:3], v[2:3]
	s_or_b64 exec, exec, s[46:47]
                                        ; implicit-def: $vgpr4_vgpr5
	s_and_saveexec_b64 s[46:47], s[2:3]
	s_cbranch_execnz .LBB1484_67
.LBB1484_47:
	s_or_b64 exec, exec, s[46:47]
                                        ; implicit-def: $vgpr26_vgpr27
	s_and_saveexec_b64 s[2:3], s[4:5]
	s_cbranch_execz .LBB1484_68
.LBB1484_48:
	v_lshlrev_b32_e32 v26, 3, v0
	v_mov_b32_e32 v27, s55
	v_add_co_u32_e32 v26, vcc, s7, v26
	v_addc_co_u32_e32 v27, vcc, 0, v27, vcc
	flat_load_dwordx2 v[26:27], v[26:27] offset:1024
	s_or_b64 exec, exec, s[2:3]
                                        ; implicit-def: $vgpr28_vgpr29
	s_and_saveexec_b64 s[2:3], s[44:45]
	s_cbranch_execnz .LBB1484_69
.LBB1484_49:
	s_or_b64 exec, exec, s[2:3]
                                        ; implicit-def: $vgpr30_vgpr31
	s_and_saveexec_b64 s[2:3], s[8:9]
	s_cbranch_execz .LBB1484_70
.LBB1484_50:
	v_lshlrev_b32_e32 v30, 3, v0
	v_mov_b32_e32 v31, s55
	v_add_co_u32_e32 v30, vcc, s7, v30
	v_addc_co_u32_e32 v31, vcc, 0, v31, vcc
	flat_load_dwordx2 v[30:31], v[30:31] offset:2048
	s_or_b64 exec, exec, s[2:3]
                                        ; implicit-def: $vgpr32_vgpr33
	s_and_saveexec_b64 s[2:3], s[10:11]
	s_cbranch_execnz .LBB1484_71
.LBB1484_51:
	s_or_b64 exec, exec, s[2:3]
                                        ; implicit-def: $vgpr34_vgpr35
	s_and_saveexec_b64 s[2:3], s[12:13]
	s_cbranch_execz .LBB1484_72
.LBB1484_52:
	v_lshlrev_b32_e32 v34, 3, v0
	v_mov_b32_e32 v35, s55
	v_add_co_u32_e32 v34, vcc, s7, v34
	v_addc_co_u32_e32 v35, vcc, 0, v35, vcc
	flat_load_dwordx2 v[34:35], v[34:35] offset:3072
	s_or_b64 exec, exec, s[2:3]
                                        ; implicit-def: $vgpr36_vgpr37
	s_and_saveexec_b64 s[2:3], s[14:15]
	s_cbranch_execnz .LBB1484_73
.LBB1484_53:
	s_or_b64 exec, exec, s[2:3]
                                        ; implicit-def: $vgpr38_vgpr39
	s_and_saveexec_b64 s[2:3], s[16:17]
	s_cbranch_execz .LBB1484_74
.LBB1484_54:
	v_lshlrev_b32_e32 v1, 3, v1
	v_mov_b32_e32 v39, s55
	v_add_co_u32_e32 v38, vcc, s7, v1
	v_addc_co_u32_e32 v39, vcc, 0, v39, vcc
	flat_load_dwordx2 v[38:39], v[38:39]
	s_or_b64 exec, exec, s[2:3]
                                        ; implicit-def: $vgpr40_vgpr41
	s_and_saveexec_b64 s[2:3], s[18:19]
	s_cbranch_execnz .LBB1484_75
.LBB1484_55:
	s_or_b64 exec, exec, s[2:3]
                                        ; implicit-def: $vgpr42_vgpr43
	s_and_saveexec_b64 s[2:3], s[20:21]
	s_cbranch_execz .LBB1484_76
.LBB1484_56:
	v_lshlrev_b32_e32 v1, 3, v44
	v_mov_b32_e32 v43, s55
	v_add_co_u32_e32 v42, vcc, s7, v1
	v_addc_co_u32_e32 v43, vcc, 0, v43, vcc
	flat_load_dwordx2 v[42:43], v[42:43]
	s_or_b64 exec, exec, s[2:3]
                                        ; implicit-def: $vgpr44_vgpr45
	s_and_saveexec_b64 s[2:3], s[22:23]
	s_cbranch_execnz .LBB1484_77
.LBB1484_57:
	s_or_b64 exec, exec, s[2:3]
                                        ; implicit-def: $vgpr46_vgpr47
	s_and_saveexec_b64 s[2:3], s[24:25]
	s_cbranch_execz .LBB1484_78
.LBB1484_58:
	v_lshlrev_b32_e32 v1, 3, v48
	v_mov_b32_e32 v47, s55
	v_add_co_u32_e32 v46, vcc, s7, v1
	v_addc_co_u32_e32 v47, vcc, 0, v47, vcc
	flat_load_dwordx2 v[46:47], v[46:47]
	s_or_b64 exec, exec, s[2:3]
                                        ; implicit-def: $vgpr48_vgpr49
	s_and_saveexec_b64 s[2:3], s[26:27]
	s_cbranch_execnz .LBB1484_79
.LBB1484_59:
	s_or_b64 exec, exec, s[2:3]
                                        ; implicit-def: $vgpr50_vgpr51
	s_and_saveexec_b64 s[2:3], s[28:29]
	s_cbranch_execz .LBB1484_80
.LBB1484_60:
	v_lshlrev_b32_e32 v1, 3, v52
	v_mov_b32_e32 v51, s55
	v_add_co_u32_e32 v50, vcc, s7, v1
	v_addc_co_u32_e32 v51, vcc, 0, v51, vcc
	flat_load_dwordx2 v[50:51], v[50:51]
	s_or_b64 exec, exec, s[2:3]
                                        ; implicit-def: $vgpr52_vgpr53
	s_and_saveexec_b64 s[2:3], s[30:31]
	s_cbranch_execnz .LBB1484_81
.LBB1484_61:
	s_or_b64 exec, exec, s[2:3]
                                        ; implicit-def: $vgpr54_vgpr55
	s_and_saveexec_b64 s[2:3], s[34:35]
	s_cbranch_execz .LBB1484_82
.LBB1484_62:
	v_lshlrev_b32_e32 v1, 3, v56
	v_mov_b32_e32 v55, s55
	v_add_co_u32_e32 v54, vcc, s7, v1
	v_addc_co_u32_e32 v55, vcc, 0, v55, vcc
	flat_load_dwordx2 v[54:55], v[54:55]
	s_or_b64 exec, exec, s[2:3]
                                        ; implicit-def: $vgpr56_vgpr57
	s_and_saveexec_b64 s[2:3], s[36:37]
	s_cbranch_execnz .LBB1484_83
.LBB1484_63:
	s_or_b64 exec, exec, s[2:3]
                                        ; implicit-def: $vgpr58_vgpr59
	s_and_saveexec_b64 s[2:3], s[38:39]
	s_cbranch_execz .LBB1484_84
.LBB1484_64:
	v_lshlrev_b32_e32 v1, 3, v60
	v_mov_b32_e32 v59, s55
	v_add_co_u32_e32 v58, vcc, s7, v1
	v_addc_co_u32_e32 v59, vcc, 0, v59, vcc
	flat_load_dwordx2 v[58:59], v[58:59]
	s_or_b64 exec, exec, s[2:3]
                                        ; implicit-def: $vgpr60_vgpr61
	s_and_saveexec_b64 s[2:3], s[40:41]
	s_cbranch_execz .LBB1484_86
	s_branch .LBB1484_85
.LBB1484_65:
	s_mov_b64 s[10:11], 0
                                        ; implicit-def: $sgpr8_sgpr9
                                        ; implicit-def: $vgpr2_vgpr3
                                        ; implicit-def: $vgpr42_vgpr43
                                        ; implicit-def: $vgpr108
                                        ; implicit-def: $vgpr44_vgpr45
                                        ; implicit-def: $vgpr124
                                        ; implicit-def: $vgpr80_vgpr81
                                        ; implicit-def: $vgpr123
                                        ; implicit-def: $vgpr78_vgpr79
                                        ; implicit-def: $vgpr122
                                        ; implicit-def: $vgpr76_vgpr77
                                        ; implicit-def: $vgpr121
                                        ; implicit-def: $vgpr74_vgpr75
                                        ; implicit-def: $vgpr120
                                        ; implicit-def: $vgpr72_vgpr73
                                        ; implicit-def: $vgpr119
                                        ; implicit-def: $vgpr70_vgpr71
                                        ; implicit-def: $vgpr118
                                        ; implicit-def: $vgpr68_vgpr69
                                        ; implicit-def: $vgpr117
                                        ; implicit-def: $vgpr66_vgpr67
                                        ; implicit-def: $vgpr116
                                        ; implicit-def: $vgpr64_vgpr65
                                        ; implicit-def: $vgpr115
                                        ; implicit-def: $vgpr62_vgpr63
                                        ; implicit-def: $vgpr114
                                        ; implicit-def: $vgpr60_vgpr61
                                        ; implicit-def: $vgpr113
                                        ; implicit-def: $vgpr58_vgpr59
                                        ; implicit-def: $vgpr112
                                        ; implicit-def: $vgpr56_vgpr57
                                        ; implicit-def: $vgpr111
                                        ; implicit-def: $vgpr54_vgpr55
                                        ; implicit-def: $vgpr110
                                        ; implicit-def: $vgpr52_vgpr53
                                        ; implicit-def: $vgpr109
                                        ; implicit-def: $vgpr50_vgpr51
                                        ; implicit-def: $vgpr107
                                        ; implicit-def: $vgpr48_vgpr49
                                        ; implicit-def: $vgpr106
                                        ; implicit-def: $vgpr46_vgpr47
                                        ; implicit-def: $vgpr1
                                        ; implicit-def: $sgpr76
                                        ; implicit-def: $sgpr4_sgpr5
	s_and_b64 vcc, exec, s[2:3]
	s_cbranch_vccz .LBB1484_136
	s_branch .LBB1484_131
.LBB1484_66:
	s_or_b64 exec, exec, s[46:47]
                                        ; implicit-def: $vgpr4_vgpr5
	s_and_saveexec_b64 s[46:47], s[2:3]
	s_cbranch_execz .LBB1484_47
.LBB1484_67:
	v_lshlrev_b32_e32 v4, 3, v0
	v_mov_b32_e32 v5, s55
	v_add_co_u32_e32 v4, vcc, s7, v4
	v_addc_co_u32_e32 v5, vcc, 0, v5, vcc
	flat_load_dwordx2 v[4:5], v[4:5] offset:512
	s_or_b64 exec, exec, s[46:47]
                                        ; implicit-def: $vgpr26_vgpr27
	s_and_saveexec_b64 s[2:3], s[4:5]
	s_cbranch_execnz .LBB1484_48
.LBB1484_68:
	s_or_b64 exec, exec, s[2:3]
                                        ; implicit-def: $vgpr28_vgpr29
	s_and_saveexec_b64 s[2:3], s[44:45]
	s_cbranch_execz .LBB1484_49
.LBB1484_69:
	v_lshlrev_b32_e32 v28, 3, v0
	v_mov_b32_e32 v29, s55
	v_add_co_u32_e32 v28, vcc, s7, v28
	v_addc_co_u32_e32 v29, vcc, 0, v29, vcc
	flat_load_dwordx2 v[28:29], v[28:29] offset:1536
	s_or_b64 exec, exec, s[2:3]
                                        ; implicit-def: $vgpr30_vgpr31
	s_and_saveexec_b64 s[2:3], s[8:9]
	s_cbranch_execnz .LBB1484_50
.LBB1484_70:
	s_or_b64 exec, exec, s[2:3]
                                        ; implicit-def: $vgpr32_vgpr33
	s_and_saveexec_b64 s[2:3], s[10:11]
	s_cbranch_execz .LBB1484_51
.LBB1484_71:
	v_lshlrev_b32_e32 v32, 3, v0
	v_mov_b32_e32 v33, s55
	v_add_co_u32_e32 v32, vcc, s7, v32
	v_addc_co_u32_e32 v33, vcc, 0, v33, vcc
	flat_load_dwordx2 v[32:33], v[32:33] offset:2560
	s_or_b64 exec, exec, s[2:3]
                                        ; implicit-def: $vgpr34_vgpr35
	s_and_saveexec_b64 s[2:3], s[12:13]
	s_cbranch_execnz .LBB1484_52
.LBB1484_72:
	s_or_b64 exec, exec, s[2:3]
                                        ; implicit-def: $vgpr36_vgpr37
	s_and_saveexec_b64 s[2:3], s[14:15]
	s_cbranch_execz .LBB1484_53
.LBB1484_73:
	v_lshlrev_b32_e32 v36, 3, v0
	v_mov_b32_e32 v37, s55
	v_add_co_u32_e32 v36, vcc, s7, v36
	v_addc_co_u32_e32 v37, vcc, 0, v37, vcc
	flat_load_dwordx2 v[36:37], v[36:37] offset:3584
	s_or_b64 exec, exec, s[2:3]
                                        ; implicit-def: $vgpr38_vgpr39
	s_and_saveexec_b64 s[2:3], s[16:17]
	s_cbranch_execnz .LBB1484_54
.LBB1484_74:
	s_or_b64 exec, exec, s[2:3]
                                        ; implicit-def: $vgpr40_vgpr41
	s_and_saveexec_b64 s[2:3], s[18:19]
	s_cbranch_execz .LBB1484_55
.LBB1484_75:
	v_lshlrev_b32_e32 v1, 3, v42
	v_mov_b32_e32 v41, s55
	v_add_co_u32_e32 v40, vcc, s7, v1
	v_addc_co_u32_e32 v41, vcc, 0, v41, vcc
	flat_load_dwordx2 v[40:41], v[40:41]
	s_or_b64 exec, exec, s[2:3]
                                        ; implicit-def: $vgpr42_vgpr43
	s_and_saveexec_b64 s[2:3], s[20:21]
	s_cbranch_execnz .LBB1484_56
.LBB1484_76:
	s_or_b64 exec, exec, s[2:3]
                                        ; implicit-def: $vgpr44_vgpr45
	s_and_saveexec_b64 s[2:3], s[22:23]
	s_cbranch_execz .LBB1484_57
.LBB1484_77:
	v_lshlrev_b32_e32 v1, 3, v46
	v_mov_b32_e32 v45, s55
	v_add_co_u32_e32 v44, vcc, s7, v1
	v_addc_co_u32_e32 v45, vcc, 0, v45, vcc
	flat_load_dwordx2 v[44:45], v[44:45]
	s_or_b64 exec, exec, s[2:3]
                                        ; implicit-def: $vgpr46_vgpr47
	s_and_saveexec_b64 s[2:3], s[24:25]
	s_cbranch_execnz .LBB1484_58
.LBB1484_78:
	s_or_b64 exec, exec, s[2:3]
                                        ; implicit-def: $vgpr48_vgpr49
	s_and_saveexec_b64 s[2:3], s[26:27]
	s_cbranch_execz .LBB1484_59
.LBB1484_79:
	v_lshlrev_b32_e32 v1, 3, v50
	v_mov_b32_e32 v49, s55
	v_add_co_u32_e32 v48, vcc, s7, v1
	v_addc_co_u32_e32 v49, vcc, 0, v49, vcc
	flat_load_dwordx2 v[48:49], v[48:49]
	s_or_b64 exec, exec, s[2:3]
                                        ; implicit-def: $vgpr50_vgpr51
	s_and_saveexec_b64 s[2:3], s[28:29]
	s_cbranch_execnz .LBB1484_60
.LBB1484_80:
	s_or_b64 exec, exec, s[2:3]
                                        ; implicit-def: $vgpr52_vgpr53
	s_and_saveexec_b64 s[2:3], s[30:31]
	s_cbranch_execz .LBB1484_61
.LBB1484_81:
	v_lshlrev_b32_e32 v1, 3, v54
	v_mov_b32_e32 v53, s55
	v_add_co_u32_e32 v52, vcc, s7, v1
	v_addc_co_u32_e32 v53, vcc, 0, v53, vcc
	flat_load_dwordx2 v[52:53], v[52:53]
	s_or_b64 exec, exec, s[2:3]
                                        ; implicit-def: $vgpr54_vgpr55
	s_and_saveexec_b64 s[2:3], s[34:35]
	s_cbranch_execnz .LBB1484_62
.LBB1484_82:
	s_or_b64 exec, exec, s[2:3]
                                        ; implicit-def: $vgpr56_vgpr57
	s_and_saveexec_b64 s[2:3], s[36:37]
	s_cbranch_execz .LBB1484_63
.LBB1484_83:
	v_lshlrev_b32_e32 v1, 3, v58
	v_mov_b32_e32 v57, s55
	v_add_co_u32_e32 v56, vcc, s7, v1
	v_addc_co_u32_e32 v57, vcc, 0, v57, vcc
	flat_load_dwordx2 v[56:57], v[56:57]
	s_or_b64 exec, exec, s[2:3]
                                        ; implicit-def: $vgpr58_vgpr59
	s_and_saveexec_b64 s[2:3], s[38:39]
	s_cbranch_execnz .LBB1484_64
.LBB1484_84:
	s_or_b64 exec, exec, s[2:3]
                                        ; implicit-def: $vgpr60_vgpr61
	s_and_saveexec_b64 s[2:3], s[40:41]
	s_cbranch_execz .LBB1484_86
.LBB1484_85:
	v_lshlrev_b32_e32 v1, 3, v62
	v_mov_b32_e32 v61, s55
	v_add_co_u32_e32 v60, vcc, s7, v1
	v_addc_co_u32_e32 v61, vcc, 0, v61, vcc
	flat_load_dwordx2 v[60:61], v[60:61]
.LBB1484_86:
	s_or_b64 exec, exec, s[2:3]
	v_mul_u32_u24_e32 v83, 21, v0
                                        ; implicit-def: $vgpr62_vgpr63
	s_and_saveexec_b64 s[2:3], s[42:43]
	s_cbranch_execz .LBB1484_88
; %bb.87:
	v_lshlrev_b32_e32 v1, 3, v64
	v_mov_b32_e32 v63, s55
	v_add_co_u32_e32 v62, vcc, s7, v1
	v_addc_co_u32_e32 v63, vcc, 0, v63, vcc
	flat_load_dwordx2 v[62:63], v[62:63]
.LBB1484_88:
	s_or_b64 exec, exec, s[2:3]
	v_lshl_add_u32 v85, v0, 2, v65
	s_waitcnt vmcnt(0) lgkmcnt(0)
	ds_write2st64_b64 v85, v[2:3], v[4:5] offset1:1
	ds_write2st64_b64 v85, v[26:27], v[28:29] offset0:2 offset1:3
	ds_write2st64_b64 v85, v[30:31], v[32:33] offset0:4 offset1:5
	;; [unrolled: 1-line block ×9, first 2 shown]
	ds_write_b64 v85, v[62:63] offset:10240
	v_pk_mov_b32 v[42:43], 0, 0
	v_cmp_gt_u32_e32 vcc, s74, v83
	s_mov_b64 s[10:11], 0
	s_mov_b32 s76, 0
	s_mov_b64 s[2:3], 0
	v_mov_b32_e32 v108, 0
	v_pk_mov_b32 v[44:45], v[42:43], v[42:43] op_sel:[0,1]
	v_mov_b32_e32 v124, 0
	v_pk_mov_b32 v[80:81], v[42:43], v[42:43] op_sel:[0,1]
	;; [unrolled: 2-line block ×19, first 2 shown]
	v_mov_b32_e32 v1, 0
	s_waitcnt lgkmcnt(0)
	; wave barrier
	s_waitcnt lgkmcnt(0)
                                        ; implicit-def: $sgpr8_sgpr9
                                        ; implicit-def: $vgpr2_vgpr3
	s_and_saveexec_b64 s[4:5], vcc
	s_cbranch_execz .LBB1484_130
; %bb.89:
	s_movk_i32 s8, 0xa0
	v_mad_u32_u24 v1, v0, s8, v85
	ds_read_b64 v[2:3], v1
	v_cmp_ne_u32_e32 vcc, v84, v24
	v_mov_b32_e32 v5, s69
	v_add_u32_e32 v4, 1, v83
	v_pk_mov_b32 v[44:45], 0, 0
	s_waitcnt lgkmcnt(0)
	v_cndmask_b32_e32 v43, v3, v5, vcc
	v_mov_b32_e32 v3, s68
	v_cndmask_b32_e64 v1, 0, 1, vcc
	v_cndmask_b32_e32 v42, v2, v3, vcc
	v_cmp_gt_u32_e32 vcc, s74, v4
	s_mov_b64 s[12:13], 0
	v_mov_b32_e32 v108, 0
	v_mov_b32_e32 v124, 0
	v_pk_mov_b32 v[80:81], v[44:45], v[44:45] op_sel:[0,1]
	v_mov_b32_e32 v123, 0
	v_pk_mov_b32 v[78:79], v[44:45], v[44:45] op_sel:[0,1]
	;; [unrolled: 2-line block ×18, first 2 shown]
                                        ; implicit-def: $sgpr14_sgpr15
                                        ; implicit-def: $vgpr2_vgpr3
	s_and_saveexec_b64 s[8:9], vcc
	s_cbranch_execz .LBB1484_129
; %bb.90:
	v_mul_u32_u24_e32 v2, 0xa0, v0
	v_add_u32_e32 v26, v85, v2
	ds_read2_b64 v[2:5], v26 offset0:1 offset1:2
	v_cmp_ne_u32_e32 vcc, v24, v25
	v_mov_b32_e32 v24, s69
	v_add_u32_e32 v27, 2, v83
	v_pk_mov_b32 v[44:45], 0, 0
	s_waitcnt lgkmcnt(0)
	v_cndmask_b32_e32 v47, v3, v24, vcc
	v_mov_b32_e32 v3, s68
	v_cndmask_b32_e64 v106, 0, 1, vcc
	v_cndmask_b32_e32 v46, v2, v3, vcc
	v_cmp_gt_u32_e32 vcc, s74, v27
	s_mov_b64 s[14:15], 0
	v_mov_b32_e32 v108, 0
	v_mov_b32_e32 v124, 0
	v_pk_mov_b32 v[80:81], v[44:45], v[44:45] op_sel:[0,1]
	v_mov_b32_e32 v123, 0
	v_pk_mov_b32 v[78:79], v[44:45], v[44:45] op_sel:[0,1]
	;; [unrolled: 2-line block ×17, first 2 shown]
                                        ; implicit-def: $sgpr16_sgpr17
                                        ; implicit-def: $vgpr2_vgpr3
	s_and_saveexec_b64 s[10:11], vcc
	s_cbranch_execz .LBB1484_128
; %bb.91:
	v_cmp_ne_u32_e32 vcc, v25, v22
	v_mov_b32_e32 v3, s69
	v_add_u32_e32 v2, 3, v83
	v_cndmask_b32_e32 v49, v5, v3, vcc
	v_mov_b32_e32 v3, s68
	v_pk_mov_b32 v[44:45], 0, 0
	v_cndmask_b32_e64 v107, 0, 1, vcc
	v_cndmask_b32_e32 v48, v4, v3, vcc
	v_cmp_gt_u32_e32 vcc, s74, v2
	s_mov_b64 s[16:17], 0
	v_mov_b32_e32 v108, 0
	v_mov_b32_e32 v124, 0
	v_pk_mov_b32 v[80:81], v[44:45], v[44:45] op_sel:[0,1]
	v_mov_b32_e32 v123, 0
	v_pk_mov_b32 v[78:79], v[44:45], v[44:45] op_sel:[0,1]
	;; [unrolled: 2-line block ×16, first 2 shown]
                                        ; implicit-def: $sgpr18_sgpr19
                                        ; implicit-def: $vgpr2_vgpr3
	s_and_saveexec_b64 s[12:13], vcc
	s_cbranch_execz .LBB1484_127
; %bb.92:
	ds_read2_b64 v[2:5], v26 offset0:3 offset1:4
	v_cmp_ne_u32_e32 vcc, v22, v23
	v_mov_b32_e32 v22, s69
	v_add_u32_e32 v24, 4, v83
	v_pk_mov_b32 v[44:45], 0, 0
	s_waitcnt lgkmcnt(0)
	v_cndmask_b32_e32 v51, v3, v22, vcc
	v_mov_b32_e32 v3, s68
	v_cndmask_b32_e64 v109, 0, 1, vcc
	v_cndmask_b32_e32 v50, v2, v3, vcc
	v_cmp_gt_u32_e32 vcc, s74, v24
	s_mov_b64 s[18:19], 0
	v_mov_b32_e32 v108, 0
	v_mov_b32_e32 v124, 0
	v_pk_mov_b32 v[80:81], v[44:45], v[44:45] op_sel:[0,1]
	v_mov_b32_e32 v123, 0
	v_pk_mov_b32 v[78:79], v[44:45], v[44:45] op_sel:[0,1]
	;; [unrolled: 2-line block ×15, first 2 shown]
                                        ; implicit-def: $sgpr20_sgpr21
                                        ; implicit-def: $vgpr2_vgpr3
	s_and_saveexec_b64 s[14:15], vcc
	s_cbranch_execz .LBB1484_126
; %bb.93:
	v_cmp_ne_u32_e32 vcc, v23, v20
	v_mov_b32_e32 v3, s69
	v_add_u32_e32 v2, 5, v83
	v_cndmask_b32_e32 v53, v5, v3, vcc
	v_mov_b32_e32 v3, s68
	v_pk_mov_b32 v[44:45], 0, 0
	v_cndmask_b32_e64 v110, 0, 1, vcc
	v_cndmask_b32_e32 v52, v4, v3, vcc
	v_cmp_gt_u32_e32 vcc, s74, v2
	s_mov_b64 s[20:21], 0
	v_mov_b32_e32 v108, 0
	v_mov_b32_e32 v124, 0
	v_pk_mov_b32 v[80:81], v[44:45], v[44:45] op_sel:[0,1]
	v_mov_b32_e32 v123, 0
	v_pk_mov_b32 v[78:79], v[44:45], v[44:45] op_sel:[0,1]
	;; [unrolled: 2-line block ×14, first 2 shown]
                                        ; implicit-def: $sgpr22_sgpr23
                                        ; implicit-def: $vgpr2_vgpr3
	s_and_saveexec_b64 s[16:17], vcc
	s_cbranch_execz .LBB1484_125
; %bb.94:
	ds_read2_b64 v[2:5], v26 offset0:5 offset1:6
	v_cmp_ne_u32_e32 vcc, v20, v21
	v_mov_b32_e32 v20, s69
	v_add_u32_e32 v22, 6, v83
	v_pk_mov_b32 v[44:45], 0, 0
	s_waitcnt lgkmcnt(0)
	v_cndmask_b32_e32 v55, v3, v20, vcc
	v_mov_b32_e32 v3, s68
	v_cndmask_b32_e64 v111, 0, 1, vcc
	v_cndmask_b32_e32 v54, v2, v3, vcc
	v_cmp_gt_u32_e32 vcc, s74, v22
	s_mov_b64 s[22:23], 0
	v_mov_b32_e32 v108, 0
	v_mov_b32_e32 v124, 0
	v_pk_mov_b32 v[80:81], v[44:45], v[44:45] op_sel:[0,1]
	v_mov_b32_e32 v123, 0
	v_pk_mov_b32 v[78:79], v[44:45], v[44:45] op_sel:[0,1]
	;; [unrolled: 2-line block ×13, first 2 shown]
                                        ; implicit-def: $sgpr24_sgpr25
                                        ; implicit-def: $vgpr2_vgpr3
	s_and_saveexec_b64 s[18:19], vcc
	s_cbranch_execz .LBB1484_124
; %bb.95:
	v_cmp_ne_u32_e32 vcc, v21, v18
	v_mov_b32_e32 v3, s69
	v_add_u32_e32 v2, 7, v83
	v_cndmask_b32_e32 v57, v5, v3, vcc
	v_mov_b32_e32 v3, s68
	v_pk_mov_b32 v[44:45], 0, 0
	v_cndmask_b32_e64 v112, 0, 1, vcc
	v_cndmask_b32_e32 v56, v4, v3, vcc
	v_cmp_gt_u32_e32 vcc, s74, v2
	s_mov_b64 s[24:25], 0
	v_mov_b32_e32 v108, 0
	v_mov_b32_e32 v124, 0
	v_pk_mov_b32 v[80:81], v[44:45], v[44:45] op_sel:[0,1]
	v_mov_b32_e32 v123, 0
	v_pk_mov_b32 v[78:79], v[44:45], v[44:45] op_sel:[0,1]
	v_mov_b32_e32 v122, 0
	v_pk_mov_b32 v[76:77], v[44:45], v[44:45] op_sel:[0,1]
	v_mov_b32_e32 v121, 0
	v_pk_mov_b32 v[74:75], v[44:45], v[44:45] op_sel:[0,1]
	v_mov_b32_e32 v120, 0
	v_pk_mov_b32 v[72:73], v[44:45], v[44:45] op_sel:[0,1]
	v_mov_b32_e32 v119, 0
	v_pk_mov_b32 v[70:71], v[44:45], v[44:45] op_sel:[0,1]
	v_mov_b32_e32 v118, 0
	v_pk_mov_b32 v[68:69], v[44:45], v[44:45] op_sel:[0,1]
	v_mov_b32_e32 v117, 0
	v_pk_mov_b32 v[66:67], v[44:45], v[44:45] op_sel:[0,1]
	v_mov_b32_e32 v116, 0
	v_pk_mov_b32 v[64:65], v[44:45], v[44:45] op_sel:[0,1]
	v_mov_b32_e32 v115, 0
	v_pk_mov_b32 v[62:63], v[44:45], v[44:45] op_sel:[0,1]
	v_mov_b32_e32 v114, 0
	v_pk_mov_b32 v[60:61], v[44:45], v[44:45] op_sel:[0,1]
	v_mov_b32_e32 v113, 0
	v_pk_mov_b32 v[58:59], v[44:45], v[44:45] op_sel:[0,1]
                                        ; implicit-def: $sgpr26_sgpr27
                                        ; implicit-def: $vgpr2_vgpr3
	s_and_saveexec_b64 s[20:21], vcc
	s_cbranch_execz .LBB1484_123
; %bb.96:
	ds_read2_b64 v[2:5], v26 offset0:7 offset1:8
	v_cmp_ne_u32_e32 vcc, v18, v19
	v_mov_b32_e32 v18, s69
	v_add_u32_e32 v20, 8, v83
	v_pk_mov_b32 v[44:45], 0, 0
	s_waitcnt lgkmcnt(0)
	v_cndmask_b32_e32 v59, v3, v18, vcc
	v_mov_b32_e32 v3, s68
	v_cndmask_b32_e64 v113, 0, 1, vcc
	v_cndmask_b32_e32 v58, v2, v3, vcc
	v_cmp_gt_u32_e32 vcc, s74, v20
	s_mov_b64 s[26:27], 0
	v_mov_b32_e32 v108, 0
	v_mov_b32_e32 v124, 0
	v_pk_mov_b32 v[80:81], v[44:45], v[44:45] op_sel:[0,1]
	v_mov_b32_e32 v123, 0
	v_pk_mov_b32 v[78:79], v[44:45], v[44:45] op_sel:[0,1]
	;; [unrolled: 2-line block ×11, first 2 shown]
                                        ; implicit-def: $sgpr28_sgpr29
                                        ; implicit-def: $vgpr2_vgpr3
	s_and_saveexec_b64 s[22:23], vcc
	s_cbranch_execz .LBB1484_122
; %bb.97:
	v_cmp_ne_u32_e32 vcc, v19, v16
	v_mov_b32_e32 v3, s69
	v_add_u32_e32 v2, 9, v83
	v_cndmask_b32_e32 v61, v5, v3, vcc
	v_mov_b32_e32 v3, s68
	v_pk_mov_b32 v[44:45], 0, 0
	v_cndmask_b32_e64 v114, 0, 1, vcc
	v_cndmask_b32_e32 v60, v4, v3, vcc
	v_cmp_gt_u32_e32 vcc, s74, v2
	s_mov_b64 s[28:29], 0
	v_mov_b32_e32 v108, 0
	v_mov_b32_e32 v124, 0
	v_pk_mov_b32 v[80:81], v[44:45], v[44:45] op_sel:[0,1]
	v_mov_b32_e32 v123, 0
	v_pk_mov_b32 v[78:79], v[44:45], v[44:45] op_sel:[0,1]
	;; [unrolled: 2-line block ×10, first 2 shown]
                                        ; implicit-def: $sgpr30_sgpr31
                                        ; implicit-def: $vgpr2_vgpr3
	s_and_saveexec_b64 s[24:25], vcc
	s_cbranch_execz .LBB1484_121
; %bb.98:
	ds_read2_b64 v[2:5], v26 offset0:9 offset1:10
	v_cmp_ne_u32_e32 vcc, v16, v17
	v_mov_b32_e32 v16, s69
	v_add_u32_e32 v18, 10, v83
	v_pk_mov_b32 v[44:45], 0, 0
	s_waitcnt lgkmcnt(0)
	v_cndmask_b32_e32 v63, v3, v16, vcc
	v_mov_b32_e32 v3, s68
	v_cndmask_b32_e64 v115, 0, 1, vcc
	v_cndmask_b32_e32 v62, v2, v3, vcc
	v_cmp_gt_u32_e32 vcc, s74, v18
	s_mov_b64 s[30:31], 0
	v_mov_b32_e32 v108, 0
	v_mov_b32_e32 v124, 0
	v_pk_mov_b32 v[80:81], v[44:45], v[44:45] op_sel:[0,1]
	v_mov_b32_e32 v123, 0
	v_pk_mov_b32 v[78:79], v[44:45], v[44:45] op_sel:[0,1]
	;; [unrolled: 2-line block ×9, first 2 shown]
                                        ; implicit-def: $sgpr34_sgpr35
                                        ; implicit-def: $vgpr2_vgpr3
	s_and_saveexec_b64 s[26:27], vcc
	s_cbranch_execz .LBB1484_120
; %bb.99:
	v_cmp_ne_u32_e32 vcc, v17, v14
	v_mov_b32_e32 v3, s69
	v_add_u32_e32 v2, 11, v83
	v_cndmask_b32_e32 v65, v5, v3, vcc
	v_mov_b32_e32 v3, s68
	v_pk_mov_b32 v[44:45], 0, 0
	v_cndmask_b32_e64 v116, 0, 1, vcc
	v_cndmask_b32_e32 v64, v4, v3, vcc
	v_cmp_gt_u32_e32 vcc, s74, v2
	s_mov_b64 s[34:35], 0
	v_mov_b32_e32 v108, 0
	v_mov_b32_e32 v124, 0
	v_pk_mov_b32 v[80:81], v[44:45], v[44:45] op_sel:[0,1]
	v_mov_b32_e32 v123, 0
	v_pk_mov_b32 v[78:79], v[44:45], v[44:45] op_sel:[0,1]
	;; [unrolled: 2-line block ×8, first 2 shown]
                                        ; implicit-def: $sgpr36_sgpr37
                                        ; implicit-def: $vgpr2_vgpr3
	s_and_saveexec_b64 s[28:29], vcc
	s_cbranch_execz .LBB1484_119
; %bb.100:
	ds_read2_b64 v[2:5], v26 offset0:11 offset1:12
	v_cmp_ne_u32_e32 vcc, v14, v15
	v_mov_b32_e32 v14, s69
	v_add_u32_e32 v16, 12, v83
	v_pk_mov_b32 v[44:45], 0, 0
	s_waitcnt lgkmcnt(0)
	v_cndmask_b32_e32 v67, v3, v14, vcc
	v_mov_b32_e32 v3, s68
	v_cndmask_b32_e64 v117, 0, 1, vcc
	v_cndmask_b32_e32 v66, v2, v3, vcc
	v_cmp_gt_u32_e32 vcc, s74, v16
	s_mov_b64 s[36:37], 0
	v_mov_b32_e32 v108, 0
	v_mov_b32_e32 v124, 0
	v_pk_mov_b32 v[80:81], v[44:45], v[44:45] op_sel:[0,1]
	v_mov_b32_e32 v123, 0
	v_pk_mov_b32 v[78:79], v[44:45], v[44:45] op_sel:[0,1]
	;; [unrolled: 2-line block ×7, first 2 shown]
                                        ; implicit-def: $sgpr38_sgpr39
                                        ; implicit-def: $vgpr2_vgpr3
	s_and_saveexec_b64 s[30:31], vcc
	s_cbranch_execz .LBB1484_118
; %bb.101:
	v_cmp_ne_u32_e32 vcc, v15, v12
	v_mov_b32_e32 v3, s69
	v_add_u32_e32 v2, 13, v83
	v_cndmask_b32_e32 v69, v5, v3, vcc
	v_mov_b32_e32 v3, s68
	v_pk_mov_b32 v[44:45], 0, 0
	v_cndmask_b32_e64 v118, 0, 1, vcc
	v_cndmask_b32_e32 v68, v4, v3, vcc
	v_cmp_gt_u32_e32 vcc, s74, v2
	s_mov_b64 s[38:39], 0
	v_mov_b32_e32 v108, 0
	v_mov_b32_e32 v124, 0
	v_pk_mov_b32 v[80:81], v[44:45], v[44:45] op_sel:[0,1]
	v_mov_b32_e32 v123, 0
	v_pk_mov_b32 v[78:79], v[44:45], v[44:45] op_sel:[0,1]
	;; [unrolled: 2-line block ×6, first 2 shown]
                                        ; implicit-def: $sgpr40_sgpr41
                                        ; implicit-def: $vgpr2_vgpr3
	s_and_saveexec_b64 s[34:35], vcc
	s_cbranch_execz .LBB1484_117
; %bb.102:
	ds_read2_b64 v[2:5], v26 offset0:13 offset1:14
	v_cmp_ne_u32_e32 vcc, v12, v13
	v_mov_b32_e32 v12, s69
	v_add_u32_e32 v14, 14, v83
	v_pk_mov_b32 v[44:45], 0, 0
	s_waitcnt lgkmcnt(0)
	v_cndmask_b32_e32 v71, v3, v12, vcc
	v_mov_b32_e32 v3, s68
	v_cndmask_b32_e64 v119, 0, 1, vcc
	v_cndmask_b32_e32 v70, v2, v3, vcc
	v_cmp_gt_u32_e32 vcc, s74, v14
	s_mov_b64 s[40:41], 0
	v_mov_b32_e32 v108, 0
	v_mov_b32_e32 v124, 0
	v_pk_mov_b32 v[80:81], v[44:45], v[44:45] op_sel:[0,1]
	v_mov_b32_e32 v123, 0
	v_pk_mov_b32 v[78:79], v[44:45], v[44:45] op_sel:[0,1]
	;; [unrolled: 2-line block ×5, first 2 shown]
                                        ; implicit-def: $sgpr42_sgpr43
                                        ; implicit-def: $vgpr2_vgpr3
	s_and_saveexec_b64 s[36:37], vcc
	s_cbranch_execz .LBB1484_116
; %bb.103:
	v_cmp_ne_u32_e32 vcc, v13, v10
	v_mov_b32_e32 v3, s69
	v_add_u32_e32 v2, 15, v83
	v_cndmask_b32_e32 v73, v5, v3, vcc
	v_mov_b32_e32 v3, s68
	v_pk_mov_b32 v[44:45], 0, 0
	v_cndmask_b32_e64 v120, 0, 1, vcc
	v_cndmask_b32_e32 v72, v4, v3, vcc
	v_cmp_gt_u32_e32 vcc, s74, v2
	s_mov_b64 s[42:43], 0
	v_mov_b32_e32 v108, 0
	v_mov_b32_e32 v124, 0
	v_pk_mov_b32 v[80:81], v[44:45], v[44:45] op_sel:[0,1]
	v_mov_b32_e32 v123, 0
	v_pk_mov_b32 v[78:79], v[44:45], v[44:45] op_sel:[0,1]
	;; [unrolled: 2-line block ×4, first 2 shown]
                                        ; implicit-def: $sgpr44_sgpr45
                                        ; implicit-def: $vgpr2_vgpr3
	s_and_saveexec_b64 s[38:39], vcc
	s_cbranch_execz .LBB1484_115
; %bb.104:
	ds_read2_b64 v[2:5], v26 offset0:15 offset1:16
	v_cmp_ne_u32_e32 vcc, v10, v11
	v_mov_b32_e32 v10, s69
	v_add_u32_e32 v12, 16, v83
	v_pk_mov_b32 v[44:45], 0, 0
	s_waitcnt lgkmcnt(0)
	v_cndmask_b32_e32 v75, v3, v10, vcc
	v_mov_b32_e32 v3, s68
	v_cndmask_b32_e64 v121, 0, 1, vcc
	v_cndmask_b32_e32 v74, v2, v3, vcc
	v_cmp_gt_u32_e32 vcc, s74, v12
	s_mov_b64 s[44:45], 0
	v_mov_b32_e32 v108, 0
	v_mov_b32_e32 v124, 0
	v_pk_mov_b32 v[80:81], v[44:45], v[44:45] op_sel:[0,1]
	v_mov_b32_e32 v123, 0
	v_pk_mov_b32 v[78:79], v[44:45], v[44:45] op_sel:[0,1]
	;; [unrolled: 2-line block ×3, first 2 shown]
                                        ; implicit-def: $sgpr46_sgpr47
                                        ; implicit-def: $vgpr2_vgpr3
	s_and_saveexec_b64 s[40:41], vcc
	s_cbranch_execz .LBB1484_114
; %bb.105:
	v_cmp_ne_u32_e32 vcc, v11, v8
	v_mov_b32_e32 v3, s69
	v_add_u32_e32 v2, 17, v83
	v_cndmask_b32_e32 v77, v5, v3, vcc
	v_mov_b32_e32 v3, s68
	v_pk_mov_b32 v[44:45], 0, 0
	v_cndmask_b32_e64 v122, 0, 1, vcc
	v_cndmask_b32_e32 v76, v4, v3, vcc
	v_cmp_gt_u32_e32 vcc, s74, v2
	s_mov_b64 s[46:47], 0
	v_mov_b32_e32 v108, 0
	v_mov_b32_e32 v124, 0
	v_pk_mov_b32 v[80:81], v[44:45], v[44:45] op_sel:[0,1]
	v_mov_b32_e32 v123, 0
	v_pk_mov_b32 v[78:79], v[44:45], v[44:45] op_sel:[0,1]
                                        ; implicit-def: $sgpr64_sgpr65
                                        ; implicit-def: $vgpr2_vgpr3
	s_and_saveexec_b64 s[42:43], vcc
	s_cbranch_execz .LBB1484_113
; %bb.106:
	ds_read2_b64 v[2:5], v26 offset0:17 offset1:18
	v_cmp_ne_u32_e32 vcc, v8, v9
	v_mov_b32_e32 v8, s69
	v_add_u32_e32 v10, 18, v83
	v_pk_mov_b32 v[44:45], 0, 0
	s_waitcnt lgkmcnt(0)
	v_cndmask_b32_e32 v79, v3, v8, vcc
	v_mov_b32_e32 v3, s68
	v_cndmask_b32_e64 v123, 0, 1, vcc
	v_cndmask_b32_e32 v78, v2, v3, vcc
	v_cmp_gt_u32_e32 vcc, s74, v10
	s_mov_b64 s[64:65], 0
	v_mov_b32_e32 v108, 0
	v_mov_b32_e32 v124, 0
	v_pk_mov_b32 v[80:81], v[44:45], v[44:45] op_sel:[0,1]
                                        ; implicit-def: $sgpr72_sgpr73
                                        ; implicit-def: $vgpr2_vgpr3
	s_and_saveexec_b64 s[44:45], vcc
	s_cbranch_execz .LBB1484_112
; %bb.107:
	v_cmp_ne_u32_e32 vcc, v9, v6
	v_mov_b32_e32 v3, s69
	v_add_u32_e32 v2, 19, v83
	v_cndmask_b32_e32 v81, v5, v3, vcc
	v_mov_b32_e32 v3, s68
	v_cndmask_b32_e64 v124, 0, 1, vcc
	v_cndmask_b32_e32 v80, v4, v3, vcc
	v_cmp_gt_u32_e32 vcc, s74, v2
	v_mov_b32_e32 v108, 0
	v_pk_mov_b32 v[44:45], 0, 0
                                        ; implicit-def: $sgpr72_sgpr73
                                        ; implicit-def: $vgpr2_vgpr3
	s_and_saveexec_b64 s[46:47], vcc
	s_cbranch_execz .LBB1484_111
; %bb.108:
	ds_read2_b64 v[2:5], v26 offset0:19 offset1:20
	v_cmp_ne_u32_e32 vcc, v6, v7
	v_mov_b32_e32 v6, s69
	v_add_u32_e32 v8, 20, v83
	v_cndmask_b32_e64 v108, 0, 1, vcc
	s_waitcnt lgkmcnt(0)
	v_cndmask_b32_e32 v45, v3, v6, vcc
	v_mov_b32_e32 v3, s68
	v_cndmask_b32_e32 v44, v2, v3, vcc
	v_cmp_gt_u32_e32 vcc, s74, v8
                                        ; implicit-def: $sgpr72_sgpr73
                                        ; implicit-def: $vgpr2_vgpr3
	s_and_saveexec_b64 s[74:75], vcc
	s_xor_b64 s[74:75], exec, s[74:75]
; %bb.109:
	v_mov_b32_e32 v2, s69
	v_cmp_ne_u32_e32 vcc, v7, v82
	v_cndmask_b32_e32 v3, v5, v2, vcc
	v_mov_b32_e32 v2, s68
	s_mov_b64 s[64:65], exec
	v_cndmask_b32_e32 v2, v4, v2, vcc
	s_and_b64 s[72:73], vcc, exec
; %bb.110:
	s_or_b64 exec, exec, s[74:75]
	s_and_b64 s[72:73], s[72:73], exec
	s_and_b64 s[64:65], s[64:65], exec
.LBB1484_111:
	s_or_b64 exec, exec, s[46:47]
	s_and_b64 s[72:73], s[72:73], exec
	s_and_b64 s[46:47], s[64:65], exec
.LBB1484_112:
	s_or_b64 exec, exec, s[44:45]
	s_and_b64 s[64:65], s[72:73], exec
	s_and_b64 s[44:45], s[46:47], exec
.LBB1484_113:
	s_or_b64 exec, exec, s[42:43]
	s_and_b64 s[46:47], s[64:65], exec
	s_and_b64 s[42:43], s[44:45], exec
.LBB1484_114:
	s_or_b64 exec, exec, s[40:41]
	s_and_b64 s[44:45], s[46:47], exec
	s_and_b64 s[40:41], s[42:43], exec
.LBB1484_115:
	s_or_b64 exec, exec, s[38:39]
	s_and_b64 s[42:43], s[44:45], exec
	s_and_b64 s[38:39], s[40:41], exec
.LBB1484_116:
	s_or_b64 exec, exec, s[36:37]
	s_and_b64 s[40:41], s[42:43], exec
	s_and_b64 s[36:37], s[38:39], exec
.LBB1484_117:
	s_or_b64 exec, exec, s[34:35]
	s_and_b64 s[38:39], s[40:41], exec
	s_and_b64 s[34:35], s[36:37], exec
.LBB1484_118:
	s_or_b64 exec, exec, s[30:31]
	s_and_b64 s[36:37], s[38:39], exec
	s_and_b64 s[30:31], s[34:35], exec
.LBB1484_119:
	s_or_b64 exec, exec, s[28:29]
	s_and_b64 s[34:35], s[36:37], exec
	s_and_b64 s[28:29], s[30:31], exec
.LBB1484_120:
	s_or_b64 exec, exec, s[26:27]
	s_and_b64 s[30:31], s[34:35], exec
	s_and_b64 s[26:27], s[28:29], exec
.LBB1484_121:
	s_or_b64 exec, exec, s[24:25]
	s_and_b64 s[28:29], s[30:31], exec
	s_and_b64 s[24:25], s[26:27], exec
.LBB1484_122:
	s_or_b64 exec, exec, s[22:23]
	s_and_b64 s[26:27], s[28:29], exec
	s_and_b64 s[22:23], s[24:25], exec
.LBB1484_123:
	s_or_b64 exec, exec, s[20:21]
	s_and_b64 s[24:25], s[26:27], exec
	s_and_b64 s[20:21], s[22:23], exec
.LBB1484_124:
	s_or_b64 exec, exec, s[18:19]
	s_and_b64 s[22:23], s[24:25], exec
	s_and_b64 s[18:19], s[20:21], exec
.LBB1484_125:
	s_or_b64 exec, exec, s[16:17]
	s_and_b64 s[20:21], s[22:23], exec
	s_and_b64 s[16:17], s[18:19], exec
.LBB1484_126:
	s_or_b64 exec, exec, s[14:15]
	s_and_b64 s[18:19], s[20:21], exec
	s_and_b64 s[14:15], s[16:17], exec
.LBB1484_127:
	s_or_b64 exec, exec, s[12:13]
	s_and_b64 s[16:17], s[18:19], exec
	s_and_b64 s[12:13], s[14:15], exec
.LBB1484_128:
	s_or_b64 exec, exec, s[10:11]
	s_and_b64 s[14:15], s[16:17], exec
	s_and_b64 s[10:11], s[12:13], exec
.LBB1484_129:
	s_or_b64 exec, exec, s[8:9]
	s_and_b64 s[8:9], s[14:15], exec
	s_and_b64 s[10:11], s[10:11], exec
.LBB1484_130:
	s_or_b64 exec, exec, s[4:5]
	s_mov_b64 s[4:5], 0
	s_and_b64 vcc, exec, s[2:3]
	s_cbranch_vccz .LBB1484_136
.LBB1484_131:
	v_lshlrev_b32_e32 v2, 2, v0
	v_mov_b32_e32 v1, s61
	v_add_co_u32_e32 v4, vcc, s60, v2
	v_addc_co_u32_e32 v5, vcc, 0, v1, vcc
	s_movk_i32 s4, 0x1000
	flat_load_dword v1, v[4:5]
	flat_load_dword v3, v[4:5] offset:256
	flat_load_dword v6, v[4:5] offset:512
	;; [unrolled: 1-line block ×15, first 2 shown]
	v_add_co_u32_e32 v4, vcc, s4, v4
	v_addc_co_u32_e32 v5, vcc, 0, v5, vcc
	flat_load_dword v20, v[4:5]
	flat_load_dword v21, v[4:5] offset:256
	flat_load_dword v22, v[4:5] offset:512
	;; [unrolled: 1-line block ×4, first 2 shown]
	v_mov_b32_e32 v4, s60
	v_mov_b32_e32 v5, s61
	v_add_co_u32_e32 v4, vcc, 0x1000, v4
	v_addc_co_u32_e32 v5, vcc, 0, v5, vcc
	s_movk_i32 s2, 0x50
	v_cmp_ne_u32_e32 vcc, 63, v0
	s_waitcnt vmcnt(0) lgkmcnt(0)
	ds_write2st64_b32 v2, v1, v3 offset1:1
	ds_write2st64_b32 v2, v6, v7 offset0:2 offset1:3
	ds_write2st64_b32 v2, v8, v9 offset0:4 offset1:5
	;; [unrolled: 1-line block ×9, first 2 shown]
	ds_write_b32 v2, v24 offset:5120
	s_waitcnt lgkmcnt(0)
	; wave barrier
	s_waitcnt lgkmcnt(0)
	flat_load_dword v84, v[4:5] offset:1280
	v_mad_u32_u24 v3, v0, s2, v2
	s_movk_i32 s2, 0xffb0
	ds_read_b32 v1, v3
	ds_read2_b32 v[60:61], v3 offset0:1 offset1:2
	ds_read2_b32 v[58:59], v3 offset0:3 offset1:4
	;; [unrolled: 1-line block ×10, first 2 shown]
	v_mad_i32_i24 v3, v0, s2, v3
	s_waitcnt lgkmcnt(0)
	ds_write_b32 v3, v1 offset:5632
	s_waitcnt lgkmcnt(0)
	; wave barrier
	s_waitcnt lgkmcnt(0)
	s_and_saveexec_b64 s[2:3], vcc
	s_cbranch_execz .LBB1484_133
; %bb.132:
	s_waitcnt vmcnt(0)
	ds_read_b32 v84, v2 offset:5636
.LBB1484_133:
	s_or_b64 exec, exec, s[2:3]
	v_lshlrev_b32_e32 v2, 3, v0
	v_mov_b32_e32 v5, s55
	v_add_co_u32_e32 v4, vcc, s7, v2
	v_addc_co_u32_e32 v5, vcc, 0, v5, vcc
	v_add_co_u32_e32 v22, vcc, s4, v4
	v_addc_co_u32_e32 v23, vcc, 0, v5, vcc
	s_movk_i32 s2, 0x2000
	s_waitcnt lgkmcnt(0)
	; wave barrier
	s_waitcnt lgkmcnt(0)
	flat_load_dwordx2 v[6:7], v[4:5]
	flat_load_dwordx2 v[8:9], v[4:5] offset:512
	flat_load_dwordx2 v[10:11], v[4:5] offset:1024
	;; [unrolled: 1-line block ×7, first 2 shown]
	v_add_co_u32_e32 v4, vcc, s2, v4
	v_addc_co_u32_e32 v5, vcc, 0, v5, vcc
	flat_load_dwordx2 v[24:25], v[22:23]
	flat_load_dwordx2 v[26:27], v[22:23] offset:512
	flat_load_dwordx2 v[28:29], v[22:23] offset:1024
	;; [unrolled: 1-line block ×7, first 2 shown]
	s_nop 0
	flat_load_dwordx2 v[22:23], v[4:5]
	flat_load_dwordx2 v[40:41], v[4:5] offset:512
	flat_load_dwordx2 v[42:43], v[4:5] offset:1024
	flat_load_dwordx2 v[64:65], v[4:5] offset:1536
	flat_load_dwordx2 v[66:67], v[4:5] offset:2048
	v_lshl_add_u32 v62, v0, 2, v3
	s_movk_i32 s2, 0xa0
	v_mad_u32_u24 v2, v0, s2, v62
	v_cmp_ne_u32_e32 vcc, v1, v60
	v_cmp_eq_u32_e64 s[2:3], v1, v60
	s_waitcnt vmcnt(0) lgkmcnt(0)
	ds_write2st64_b64 v62, v[6:7], v[8:9] offset1:1
	ds_write2st64_b64 v62, v[10:11], v[12:13] offset0:2 offset1:3
	ds_write2st64_b64 v62, v[14:15], v[16:17] offset0:4 offset1:5
	;; [unrolled: 1-line block ×9, first 2 shown]
	ds_write_b64 v62, v[66:67] offset:10240
	s_waitcnt lgkmcnt(0)
	; wave barrier
	s_waitcnt lgkmcnt(0)
	ds_read2_b64 v[38:41], v2 offset0:1 offset1:2
	ds_read2_b64 v[34:37], v2 offset0:3 offset1:4
	;; [unrolled: 1-line block ×10, first 2 shown]
	v_pk_mov_b32 v[42:43], s[68:69], s[68:69] op_sel:[0,1]
	s_and_saveexec_b64 s[4:5], s[2:3]
	s_cbranch_execz .LBB1484_135
; %bb.134:
	v_mul_u32_u24_e32 v1, 0xa0, v0
	v_add_u32_e32 v1, v62, v1
	ds_read_b64 v[42:43], v1
.LBB1484_135:
	s_or_b64 exec, exec, s[4:5]
	v_cndmask_b32_e64 v1, 0, 1, vcc
	v_cmp_ne_u32_e32 vcc, v60, v61
	v_cmp_ne_u32_e64 s[38:39], v45, v82
	v_cmp_ne_u32_e64 s[40:41], v82, v83
	v_mov_b32_e32 v82, s69
	v_cmp_ne_u32_e64 s[8:9], v59, v56
	v_cmp_ne_u32_e64 s[30:31], v46, v47
	;; [unrolled: 1-line block ×3, first 2 shown]
	s_waitcnt lgkmcnt(9)
	v_cndmask_b32_e32 v47, v39, v82, vcc
	v_mov_b32_e32 v39, s68
	v_cmp_ne_u32_e64 s[2:3], v61, v58
	v_cmp_ne_u32_e64 s[4:5], v58, v59
	v_cndmask_b32_e64 v110, 0, 1, s[8:9]
	v_cmp_ne_u32_e64 s[10:11], v56, v57
	v_cmp_ne_u32_e64 s[12:13], v57, v54
	;; [unrolled: 1-line block ×11, first 2 shown]
	s_waitcnt lgkmcnt(8)
	v_cndmask_b32_e64 v53, v37, v82, s[8:9]
	v_cndmask_b32_e64 v52, v36, v39, s[8:9]
	v_cmp_ne_u32_e64 s[8:9], v83, v84
	v_cndmask_b32_e64 v106, 0, 1, vcc
	v_cndmask_b32_e64 v107, 0, 1, s[2:3]
	v_cndmask_b32_e64 v109, 0, 1, s[4:5]
	;; [unrolled: 1-line block ×17, first 2 shown]
	v_cndmask_b32_e32 v46, v38, v39, vcc
	v_cndmask_b32_e64 v49, v41, v82, s[2:3]
	v_cndmask_b32_e64 v48, v40, v39, s[2:3]
	v_cndmask_b32_e64 v51, v35, v82, s[4:5]
	v_cndmask_b32_e64 v50, v34, v39, s[4:5]
	s_waitcnt lgkmcnt(7)
	v_cndmask_b32_e64 v55, v31, v82, s[10:11]
	v_cndmask_b32_e64 v54, v30, v39, s[10:11]
	v_cndmask_b32_e64 v57, v33, v82, s[12:13]
	v_cndmask_b32_e64 v56, v32, v39, s[12:13]
	s_waitcnt lgkmcnt(6)
	;; [unrolled: 5-line block ×8, first 2 shown]
	v_cndmask_b32_e64 v45, v3, v82, s[40:41]
	v_cndmask_b32_e64 v44, v2, v39, s[40:41]
	;; [unrolled: 1-line block ×4, first 2 shown]
	s_mov_b64 s[10:11], -1
                                        ; implicit-def: $sgpr76
                                        ; implicit-def: $sgpr4_sgpr5
.LBB1484_136:
	v_pk_mov_b32 v[82:83], s[4:5], s[4:5] op_sel:[0,1]
	v_mov_b32_e32 v125, s76
	s_and_saveexec_b64 s[2:3], s[10:11]
; %bb.137:
	v_cndmask_b32_e64 v125, 0, 1, s[8:9]
	v_pk_mov_b32 v[82:83], v[2:3], v[2:3] op_sel:[0,1]
; %bb.138:
	s_or_b64 exec, exec, s[2:3]
	v_or_b32_e32 v2, v125, v108
	s_cmp_lg_u32 s6, 0
	v_or_b32_e32 v127, v2, v124
	v_mbcnt_lo_u32_b32 v126, -1, 0
	s_waitcnt lgkmcnt(0)
	; wave barrier
	s_waitcnt lgkmcnt(0)
	s_cbranch_scc0 .LBB1484_201
; %bb.139:
	v_mov_b32_e32 v2, 0
	v_cmp_eq_u16_sdwa s[40:41], v106, v2 src0_sel:BYTE_0 src1_sel:DWORD
	v_cndmask_b32_e64 v4, 0, v42, s[40:41]
	v_cndmask_b32_e64 v3, 0, v43, s[40:41]
	v_add_co_u32_e32 v4, vcc, v4, v46
	v_cmp_eq_u16_sdwa s[38:39], v107, v2 src0_sel:BYTE_0 src1_sel:DWORD
	v_addc_co_u32_e32 v3, vcc, v3, v47, vcc
	v_cndmask_b32_e64 v4, 0, v4, s[38:39]
	v_cndmask_b32_e64 v3, 0, v3, s[38:39]
	v_add_co_u32_e32 v4, vcc, v4, v48
	v_cmp_eq_u16_sdwa s[36:37], v109, v2 src0_sel:BYTE_0 src1_sel:DWORD
	v_addc_co_u32_e32 v3, vcc, v3, v49, vcc
	;; [unrolled: 5-line block ×18, first 2 shown]
	v_cndmask_b32_e64 v4, 0, v4, s[2:3]
	v_cndmask_b32_e64 v3, 0, v3, s[2:3]
	v_add_co_u32_e32 v4, vcc, v4, v44
	v_addc_co_u32_e32 v3, vcc, v3, v45, vcc
	v_cmp_eq_u16_sdwa vcc, v125, v2 src0_sel:BYTE_0 src1_sel:DWORD
	v_cndmask_b32_e32 v2, 0, v4, vcc
	v_or_b32_e32 v4, v127, v123
	v_or_b32_e32 v4, v4, v122
	;; [unrolled: 1-line block ×17, first 2 shown]
	v_cndmask_b32_e32 v3, 0, v3, vcc
	v_add_co_u32_e32 v2, vcc, v2, v82
	v_or_b32_e32 v4, v4, v1
	v_mbcnt_hi_u32_b32 v5, -1, v126
	v_addc_co_u32_e32 v3, vcc, v3, v83, vcc
	v_and_b32_e32 v4, 1, v4
	v_and_b32_e32 v7, 15, v5
	v_cmp_eq_u32_e32 vcc, 1, v4
	v_mov_b32_dpp v9, v2 row_shr:1 row_mask:0xf bank_mask:0xf
	v_mov_b32_dpp v10, v3 row_shr:1 row_mask:0xf bank_mask:0xf
	;; [unrolled: 1-line block ×3, first 2 shown]
	v_cmp_ne_u32_e64 s[42:43], 0, v7
	v_mov_b32_e32 v6, v4
	s_and_saveexec_b64 s[46:47], s[42:43]
; %bb.140:
	v_cndmask_b32_e64 v9, v9, 0, vcc
	v_cndmask_b32_e64 v6, v10, 0, vcc
	v_add_co_u32_e32 v2, vcc, v9, v2
	v_addc_co_u32_e32 v3, vcc, v6, v3, vcc
	v_and_b32_e32 v6, 1, v8
	v_or_b32_e32 v4, v6, v4
	v_and_b32_e32 v6, 0xffff, v4
; %bb.141:
	s_or_b64 exec, exec, s[46:47]
	v_mov_b32_dpp v9, v2 row_shr:2 row_mask:0xf bank_mask:0xf
	v_mov_b32_dpp v10, v3 row_shr:2 row_mask:0xf bank_mask:0xf
	v_mov_b32_dpp v8, v6 row_shr:2 row_mask:0xf bank_mask:0xf
	v_cmp_lt_u32_e32 vcc, 1, v7
	s_and_saveexec_b64 s[46:47], vcc
	s_cbranch_execz .LBB1484_143
; %bb.142:
	v_cmp_eq_u16_e32 vcc, 0, v4
	v_cndmask_b32_e32 v9, 0, v9, vcc
	v_cndmask_b32_e32 v6, 0, v10, vcc
	v_add_co_u32_e32 v2, vcc, v9, v2
	v_addc_co_u32_e32 v3, vcc, v6, v3, vcc
	v_and_b32_e32 v4, 1, v4
	v_cmp_eq_u32_e32 vcc, 1, v4
	v_and_b32_e32 v4, 1, v8
	v_cmp_eq_u32_e64 s[42:43], 1, v4
	s_or_b64 s[42:43], vcc, s[42:43]
	v_cndmask_b32_e64 v4, 0, 1, s[42:43]
	v_cndmask_b32_e64 v6, 0, 1, s[42:43]
.LBB1484_143:
	s_or_b64 exec, exec, s[46:47]
	v_mov_b32_dpp v9, v2 row_shr:4 row_mask:0xf bank_mask:0xf
	v_mov_b32_dpp v10, v3 row_shr:4 row_mask:0xf bank_mask:0xf
	v_mov_b32_dpp v8, v6 row_shr:4 row_mask:0xf bank_mask:0xf
	v_cmp_lt_u32_e32 vcc, 3, v7
	s_and_saveexec_b64 s[46:47], vcc
	s_cbranch_execz .LBB1484_145
; %bb.144:
	v_cmp_eq_u16_e32 vcc, 0, v4
	v_cndmask_b32_e32 v9, 0, v9, vcc
	v_cndmask_b32_e32 v6, 0, v10, vcc
	v_add_co_u32_e32 v2, vcc, v9, v2
	v_addc_co_u32_e32 v3, vcc, v6, v3, vcc
	v_and_b32_e32 v4, 1, v4
	v_cmp_eq_u32_e32 vcc, 1, v4
	v_and_b32_e32 v4, 1, v8
	v_cmp_eq_u32_e64 s[42:43], 1, v4
	s_or_b64 s[42:43], vcc, s[42:43]
	v_cndmask_b32_e64 v4, 0, 1, s[42:43]
	v_cndmask_b32_e64 v6, 0, 1, s[42:43]
.LBB1484_145:
	;; [unrolled: 21-line block ×3, first 2 shown]
	s_or_b64 exec, exec, s[46:47]
	v_and_b32_e32 v10, 16, v5
	v_mov_b32_dpp v8, v2 row_bcast:15 row_mask:0xf bank_mask:0xf
	v_mov_b32_dpp v9, v3 row_bcast:15 row_mask:0xf bank_mask:0xf
	;; [unrolled: 1-line block ×3, first 2 shown]
	v_cmp_ne_u32_e32 vcc, 0, v10
	s_and_saveexec_b64 s[46:47], vcc
	s_cbranch_execz .LBB1484_149
; %bb.148:
	v_cmp_eq_u16_e32 vcc, 0, v4
	v_cndmask_b32_e32 v8, 0, v8, vcc
	v_cndmask_b32_e32 v6, 0, v9, vcc
	v_add_co_u32_e32 v2, vcc, v8, v2
	v_addc_co_u32_e32 v3, vcc, v6, v3, vcc
	v_and_b32_e32 v4, 1, v4
	v_cmp_eq_u32_e32 vcc, 1, v4
	v_and_b32_e32 v4, 1, v7
	v_cmp_eq_u32_e64 s[42:43], 1, v4
	s_or_b64 s[42:43], vcc, s[42:43]
	v_cndmask_b32_e64 v4, 0, 1, s[42:43]
	v_cndmask_b32_e64 v6, 0, 1, s[42:43]
.LBB1484_149:
	s_or_b64 exec, exec, s[46:47]
	v_mov_b32_dpp v7, v2 row_bcast:31 row_mask:0xf bank_mask:0xf
	v_mov_b32_dpp v8, v3 row_bcast:31 row_mask:0xf bank_mask:0xf
	;; [unrolled: 1-line block ×3, first 2 shown]
	v_cmp_lt_u32_e32 vcc, 31, v5
	s_and_saveexec_b64 s[46:47], vcc
; %bb.150:
	v_cmp_eq_u16_e32 vcc, 0, v4
	v_cndmask_b32_e32 v7, 0, v7, vcc
	v_cndmask_b32_e32 v8, 0, v8, vcc
	v_add_co_u32_e32 v2, vcc, v7, v2
	v_addc_co_u32_e32 v3, vcc, v8, v3, vcc
	v_and_b32_e32 v4, 1, v4
	v_cmp_eq_u32_e32 vcc, 1, v4
	v_and_b32_e32 v4, 1, v6
	v_cmp_eq_u32_e64 s[42:43], 1, v4
	s_or_b64 s[42:43], vcc, s[42:43]
	v_cndmask_b32_e64 v4, 0, 1, s[42:43]
; %bb.151:
	s_or_b64 exec, exec, s[46:47]
	v_cmp_eq_u32_e32 vcc, 63, v0
	s_and_saveexec_b64 s[42:43], vcc
	s_cbranch_execz .LBB1484_153
; %bb.152:
	v_mov_b32_e32 v6, 0
	ds_write_b64 v6, v[2:3]
	ds_write_b8 v6, v4 offset:8
.LBB1484_153:
	s_or_b64 exec, exec, s[42:43]
	v_add_u32_e32 v6, -1, v5
	v_and_b32_e32 v7, 64, v5
	v_cmp_lt_i32_e32 vcc, v6, v7
	v_cndmask_b32_e32 v6, v6, v5, vcc
	v_lshlrev_b32_e32 v6, 2, v6
	ds_bpermute_b32 v12, v6, v2
	v_and_b32_e32 v2, 0xffff, v4
	ds_bpermute_b32 v13, v6, v3
	ds_bpermute_b32 v14, v6, v2
	v_cmp_gt_u32_e32 vcc, 64, v0
	s_waitcnt lgkmcnt(0)
	; wave barrier
	s_waitcnt lgkmcnt(0)
	s_and_saveexec_b64 s[60:61], vcc
	s_cbranch_execz .LBB1484_200
; %bb.154:
	v_mov_b32_e32 v7, 0
	ds_read_b64 v[2:3], v7
	ds_read_u8 v15, v7 offset:8
	s_mov_b32 s65, 0
	v_cmp_eq_u32_e64 s[42:43], 0, v5
	s_and_saveexec_b64 s[46:47], s[42:43]
	s_cbranch_execz .LBB1484_156
; %bb.155:
	s_add_i32 s64, s6, 64
	s_lshl_b64 s[72:73], s[64:65], 4
	s_add_u32 s72, s48, s72
	s_addc_u32 s73, s49, s73
	v_mov_b32_e32 v4, s64
	v_mov_b32_e32 v6, 1
	s_waitcnt lgkmcnt(1)
	global_store_dwordx2 v7, v[2:3], s[72:73]
	s_waitcnt lgkmcnt(0)
	global_store_byte v7, v15, s[72:73] offset:8
	s_waitcnt vmcnt(0)
	buffer_wbinvl1_vol
	global_store_byte v4, v6, s[52:53]
.LBB1484_156:
	s_or_b64 exec, exec, s[46:47]
	v_xad_u32 v4, v5, -1, s6
	v_add_u32_e32 v6, 64, v4
	global_load_ubyte v16, v6, s[52:53] glc
	s_waitcnt vmcnt(0)
	v_cmp_eq_u16_e32 vcc, 0, v16
	s_and_saveexec_b64 s[46:47], vcc
	s_cbranch_execz .LBB1484_162
; %bb.157:
	v_mov_b32_e32 v9, s53
	v_add_co_u32_e32 v8, vcc, s52, v6
	v_addc_co_u32_e32 v9, vcc, 0, v9, vcc
	s_mov_b32 s7, 1
	s_mov_b64 s[64:65], 0
.LBB1484_158:                           ; =>This Loop Header: Depth=1
                                        ;     Child Loop BB1484_159 Depth 2
	s_max_u32 s55, s7, 1
.LBB1484_159:                           ;   Parent Loop BB1484_158 Depth=1
                                        ; =>  This Inner Loop Header: Depth=2
	s_add_i32 s55, s55, -1
	s_cmp_eq_u32 s55, 0
	s_sleep 1
	s_cbranch_scc0 .LBB1484_159
; %bb.160:                              ;   in Loop: Header=BB1484_158 Depth=1
	global_load_ubyte v16, v[8:9], off glc
	s_cmp_lt_u32 s7, 32
	s_cselect_b64 s[72:73], -1, 0
	s_cmp_lg_u64 s[72:73], 0
	s_addc_u32 s7, s7, 0
	s_waitcnt vmcnt(0)
	v_cmp_ne_u16_e32 vcc, 0, v16
	s_or_b64 s[64:65], vcc, s[64:65]
	s_andn2_b64 exec, exec, s[64:65]
	s_cbranch_execnz .LBB1484_158
; %bb.161:
	s_or_b64 exec, exec, s[64:65]
.LBB1484_162:
	s_or_b64 exec, exec, s[46:47]
	v_mov_b32_e32 v8, s51
	v_mov_b32_e32 v9, s49
	v_cmp_eq_u16_e32 vcc, 1, v16
	v_cndmask_b32_e32 v8, v8, v9, vcc
	v_mov_b32_e32 v9, s50
	v_mov_b32_e32 v10, s48
	v_cndmask_b32_e32 v9, v9, v10, vcc
	v_lshlrev_b64 v[6:7], 4, v[6:7]
	v_add_co_u32_e32 v6, vcc, v9, v6
	v_addc_co_u32_e32 v7, vcc, v8, v7, vcc
	s_waitcnt lgkmcnt(0)
	buffer_wbinvl1_vol
	global_load_dwordx2 v[10:11], v[6:7], off
	global_load_ubyte v31, v[6:7], off offset:8
	v_cmp_eq_u16_e32 vcc, 2, v16
	v_lshlrev_b64 v[6:7], v5, -1
	v_and_b32_e32 v17, 63, v5
	v_and_b32_e32 v8, vcc_hi, v7
	v_and_b32_e32 v22, vcc_lo, v6
	v_cmp_ne_u32_e32 vcc, 63, v17
	v_addc_co_u32_e32 v9, vcc, 0, v5, vcc
	v_lshlrev_b32_e32 v18, 2, v9
	v_or_b32_e32 v8, 0x80000000, v8
	v_ffbl_b32_e32 v8, v8
	v_add_u32_e32 v8, 32, v8
	v_ffbl_b32_e32 v22, v22
	v_min_u32_e32 v8, v22, v8
	v_cmp_lt_u32_e32 vcc, v17, v8
	s_waitcnt vmcnt(1)
	ds_bpermute_b32 v20, v18, v10
	s_waitcnt vmcnt(0)
	v_and_b32_e32 v9, 1, v31
	ds_bpermute_b32 v21, v18, v11
	ds_bpermute_b32 v19, v18, v9
	s_and_saveexec_b64 s[46:47], vcc
	s_cbranch_execz .LBB1484_164
; %bb.163:
	v_mov_b32_e32 v9, 0
	v_cmp_eq_u16_sdwa vcc, v31, v9 src0_sel:BYTE_0 src1_sel:DWORD
	s_waitcnt lgkmcnt(2)
	v_cndmask_b32_e32 v20, 0, v20, vcc
	s_waitcnt lgkmcnt(1)
	v_cndmask_b32_e32 v9, 0, v21, vcc
	v_add_co_u32_e32 v10, vcc, v20, v10
	v_addc_co_u32_e32 v11, vcc, v9, v11, vcc
	s_waitcnt lgkmcnt(0)
	v_and_b32_e32 v9, 1, v19
	v_or_b32_e32 v31, v9, v31
	v_and_b32_e32 v9, 0xff, v31
.LBB1484_164:
	s_or_b64 exec, exec, s[46:47]
	v_cmp_gt_u32_e32 vcc, 62, v17
	s_waitcnt lgkmcnt(0)
	v_cndmask_b32_e64 v19, 0, 1, vcc
	v_lshlrev_b32_e32 v19, 1, v19
	v_add_lshl_u32 v19, v19, v5, 2
	ds_bpermute_b32 v22, v19, v10
	ds_bpermute_b32 v23, v19, v11
	ds_bpermute_b32 v21, v19, v9
	v_add_u32_e32 v20, 2, v17
	v_cmp_le_u32_e32 vcc, v20, v8
	s_and_saveexec_b64 s[64:65], vcc
	s_cbranch_execz .LBB1484_166
; %bb.165:
	v_mov_b32_e32 v9, 0
	v_cmp_eq_u16_sdwa vcc, v31, v9 src0_sel:BYTE_0 src1_sel:DWORD
	s_waitcnt lgkmcnt(2)
	v_cndmask_b32_e32 v22, 0, v22, vcc
	s_waitcnt lgkmcnt(1)
	v_cndmask_b32_e32 v9, 0, v23, vcc
	v_add_co_u32_e32 v10, vcc, v22, v10
	v_addc_co_u32_e32 v11, vcc, v9, v11, vcc
	v_and_b32_e32 v9, 1, v31
	v_cmp_eq_u32_e32 vcc, 1, v9
	s_waitcnt lgkmcnt(0)
	v_and_b32_e32 v9, 1, v21
	v_cmp_eq_u32_e64 s[46:47], 1, v9
	s_or_b64 s[46:47], vcc, s[46:47]
	v_cndmask_b32_e64 v31, 0, 1, s[46:47]
	v_cndmask_b32_e64 v9, 0, 1, s[46:47]
.LBB1484_166:
	s_or_b64 exec, exec, s[64:65]
	v_cmp_gt_u32_e32 vcc, 60, v17
	s_waitcnt lgkmcnt(0)
	v_cndmask_b32_e64 v21, 0, 1, vcc
	v_lshlrev_b32_e32 v21, 2, v21
	v_add_lshl_u32 v21, v21, v5, 2
	ds_bpermute_b32 v24, v21, v10
	ds_bpermute_b32 v25, v21, v11
	ds_bpermute_b32 v23, v21, v9
	v_add_u32_e32 v22, 4, v17
	v_cmp_le_u32_e32 vcc, v22, v8
	s_and_saveexec_b64 s[64:65], vcc
	s_cbranch_execz .LBB1484_168
; %bb.167:
	v_mov_b32_e32 v9, 0
	v_cmp_eq_u16_sdwa vcc, v31, v9 src0_sel:BYTE_0 src1_sel:DWORD
	s_waitcnt lgkmcnt(2)
	v_cndmask_b32_e32 v24, 0, v24, vcc
	s_waitcnt lgkmcnt(1)
	v_cndmask_b32_e32 v9, 0, v25, vcc
	v_add_co_u32_e32 v10, vcc, v24, v10
	v_addc_co_u32_e32 v11, vcc, v9, v11, vcc
	v_and_b32_e32 v9, 1, v31
	v_cmp_eq_u32_e32 vcc, 1, v9
	s_waitcnt lgkmcnt(0)
	v_and_b32_e32 v9, 1, v23
	v_cmp_eq_u32_e64 s[46:47], 1, v9
	s_or_b64 s[46:47], vcc, s[46:47]
	v_cndmask_b32_e64 v31, 0, 1, s[46:47]
	v_cndmask_b32_e64 v9, 0, 1, s[46:47]
.LBB1484_168:
	;; [unrolled: 31-line block ×4, first 2 shown]
	s_or_b64 exec, exec, s[64:65]
	v_cmp_gt_u32_e32 vcc, 32, v17
	s_waitcnt lgkmcnt(0)
	v_cndmask_b32_e64 v27, 0, 1, vcc
	v_lshlrev_b32_e32 v27, 5, v27
	v_add_lshl_u32 v28, v27, v5, 2
	ds_bpermute_b32 v27, v28, v10
	ds_bpermute_b32 v30, v28, v11
	;; [unrolled: 1-line block ×3, first 2 shown]
	v_add_u32_e32 v29, 32, v17
	v_cmp_le_u32_e32 vcc, v29, v8
	s_and_saveexec_b64 s[64:65], vcc
	s_cbranch_execz .LBB1484_174
; %bb.173:
	v_mov_b32_e32 v8, 0
	v_cmp_eq_u16_sdwa vcc, v31, v8 src0_sel:BYTE_0 src1_sel:DWORD
	s_waitcnt lgkmcnt(2)
	v_cndmask_b32_e32 v9, 0, v27, vcc
	s_waitcnt lgkmcnt(1)
	v_cndmask_b32_e32 v8, 0, v30, vcc
	v_add_co_u32_e32 v10, vcc, v9, v10
	v_addc_co_u32_e32 v11, vcc, v8, v11, vcc
	v_and_b32_e32 v8, 1, v31
	s_waitcnt lgkmcnt(0)
	v_and_b32_e32 v5, 1, v5
	v_cmp_eq_u32_e32 vcc, 1, v8
	v_cmp_eq_u32_e64 s[46:47], 1, v5
	s_or_b64 s[46:47], vcc, s[46:47]
	v_cndmask_b32_e64 v31, 0, 1, s[46:47]
.LBB1484_174:
	s_or_b64 exec, exec, s[64:65]
	s_waitcnt lgkmcnt(0)
	v_mov_b32_e32 v5, 0
	v_mov_b32_e32 v30, 2
	s_branch .LBB1484_176
.LBB1484_175:                           ;   in Loop: Header=BB1484_176 Depth=1
	s_or_b64 exec, exec, s[72:73]
	v_cmp_eq_u16_sdwa vcc, v27, v5 src0_sel:BYTE_0 src1_sel:DWORD
	v_cndmask_b32_e32 v10, 0, v10, vcc
	v_cndmask_b32_e32 v11, 0, v11, vcc
	v_add_co_u32_e32 v10, vcc, v10, v8
	v_addc_co_u32_e32 v11, vcc, v11, v9, vcc
	v_and_b32_e32 v31, 1, v27
	v_cmp_eq_u32_e32 vcc, 1, v31
	s_or_b64 s[46:47], vcc, s[64:65]
	v_subrev_u32_e32 v4, 64, v4
	v_cndmask_b32_e64 v31, 0, 1, s[46:47]
.LBB1484_176:                           ; =>This Loop Header: Depth=1
                                        ;     Child Loop BB1484_179 Depth 2
                                        ;       Child Loop BB1484_180 Depth 3
	v_cmp_ne_u16_sdwa s[46:47], v16, v30 src0_sel:BYTE_0 src1_sel:DWORD
	v_cndmask_b32_e64 v8, 0, 1, s[46:47]
	;;#ASMSTART
	;;#ASMEND
	v_cmp_ne_u32_e32 vcc, 0, v8
	v_mov_b32_e32 v27, v31
	s_cmp_lg_u64 vcc, exec
	v_pk_mov_b32 v[8:9], v[10:11], v[10:11] op_sel:[0,1]
	s_cbranch_scc1 .LBB1484_195
; %bb.177:                              ;   in Loop: Header=BB1484_176 Depth=1
	global_load_ubyte v16, v4, s[52:53] glc
	s_waitcnt vmcnt(0)
	v_cmp_eq_u16_e32 vcc, 0, v16
	s_and_saveexec_b64 s[46:47], vcc
	s_cbranch_execz .LBB1484_183
; %bb.178:                              ;   in Loop: Header=BB1484_176 Depth=1
	v_mov_b32_e32 v11, s53
	v_add_co_u32_e32 v10, vcc, s52, v4
	v_addc_co_u32_e32 v11, vcc, 0, v11, vcc
	s_mov_b32 s7, 1
	s_mov_b64 s[64:65], 0
.LBB1484_179:                           ;   Parent Loop BB1484_176 Depth=1
                                        ; =>  This Loop Header: Depth=2
                                        ;       Child Loop BB1484_180 Depth 3
	s_max_u32 s55, s7, 1
.LBB1484_180:                           ;   Parent Loop BB1484_176 Depth=1
                                        ;     Parent Loop BB1484_179 Depth=2
                                        ; =>    This Inner Loop Header: Depth=3
	s_add_i32 s55, s55, -1
	s_cmp_eq_u32 s55, 0
	s_sleep 1
	s_cbranch_scc0 .LBB1484_180
; %bb.181:                              ;   in Loop: Header=BB1484_179 Depth=2
	global_load_ubyte v16, v[10:11], off glc
	s_cmp_lt_u32 s7, 32
	s_cselect_b64 s[72:73], -1, 0
	s_cmp_lg_u64 s[72:73], 0
	s_addc_u32 s7, s7, 0
	s_waitcnt vmcnt(0)
	v_cmp_ne_u16_e32 vcc, 0, v16
	s_or_b64 s[64:65], vcc, s[64:65]
	s_andn2_b64 exec, exec, s[64:65]
	s_cbranch_execnz .LBB1484_179
; %bb.182:                              ;   in Loop: Header=BB1484_176 Depth=1
	s_or_b64 exec, exec, s[64:65]
.LBB1484_183:                           ;   in Loop: Header=BB1484_176 Depth=1
	s_or_b64 exec, exec, s[46:47]
	v_mov_b32_e32 v10, s51
	v_mov_b32_e32 v11, s49
	v_cmp_eq_u16_e32 vcc, 1, v16
	v_cndmask_b32_e32 v31, v10, v11, vcc
	v_mov_b32_e32 v10, s50
	v_mov_b32_e32 v11, s48
	v_cndmask_b32_e32 v32, v10, v11, vcc
	v_lshlrev_b64 v[10:11], 4, v[4:5]
	v_add_co_u32_e32 v32, vcc, v32, v10
	s_waitcnt lgkmcnt(0)
	v_addc_co_u32_e32 v33, vcc, v31, v11, vcc
	buffer_wbinvl1_vol
	global_load_dwordx2 v[10:11], v[32:33], off
	global_load_ubyte v31, v[32:33], off offset:8
	v_cmp_eq_u16_e32 vcc, 2, v16
	v_and_b32_e32 v32, vcc_hi, v7
	v_or_b32_e32 v32, 0x80000000, v32
	v_and_b32_e32 v37, vcc_lo, v6
	v_ffbl_b32_e32 v32, v32
	v_add_u32_e32 v32, 32, v32
	v_ffbl_b32_e32 v37, v37
	v_min_u32_e32 v32, v37, v32
	v_cmp_lt_u32_e32 vcc, v17, v32
	s_waitcnt vmcnt(1)
	ds_bpermute_b32 v35, v18, v10
	s_waitcnt vmcnt(0)
	v_and_b32_e32 v33, 1, v31
	ds_bpermute_b32 v36, v18, v11
	ds_bpermute_b32 v34, v18, v33
	s_and_saveexec_b64 s[46:47], vcc
	s_cbranch_execz .LBB1484_185
; %bb.184:                              ;   in Loop: Header=BB1484_176 Depth=1
	v_cmp_eq_u16_sdwa vcc, v31, v5 src0_sel:BYTE_0 src1_sel:DWORD
	s_waitcnt lgkmcnt(2)
	v_cndmask_b32_e32 v35, 0, v35, vcc
	s_waitcnt lgkmcnt(1)
	v_cndmask_b32_e32 v33, 0, v36, vcc
	v_add_co_u32_e32 v10, vcc, v35, v10
	v_addc_co_u32_e32 v11, vcc, v33, v11, vcc
	s_waitcnt lgkmcnt(0)
	v_and_b32_e32 v33, 1, v34
	v_or_b32_e32 v31, v33, v31
	v_and_b32_e32 v33, 0xff, v31
.LBB1484_185:                           ;   in Loop: Header=BB1484_176 Depth=1
	s_or_b64 exec, exec, s[46:47]
	s_waitcnt lgkmcnt(2)
	ds_bpermute_b32 v35, v19, v10
	s_waitcnt lgkmcnt(2)
	ds_bpermute_b32 v36, v19, v11
	;; [unrolled: 2-line block ×3, first 2 shown]
	v_and_b32_e32 v37, 1, v31
	v_cmp_le_u32_e32 vcc, v20, v32
	v_cmp_eq_u32_e64 s[64:65], 1, v37
	s_and_saveexec_b64 s[46:47], vcc
	s_cbranch_execz .LBB1484_187
; %bb.186:                              ;   in Loop: Header=BB1484_176 Depth=1
	v_cmp_eq_u16_sdwa vcc, v31, v5 src0_sel:BYTE_0 src1_sel:DWORD
	s_waitcnt lgkmcnt(2)
	v_cndmask_b32_e32 v33, 0, v35, vcc
	s_waitcnt lgkmcnt(1)
	v_cndmask_b32_e32 v31, 0, v36, vcc
	v_add_co_u32_e32 v10, vcc, v33, v10
	v_addc_co_u32_e32 v11, vcc, v31, v11, vcc
	s_waitcnt lgkmcnt(0)
	v_and_b32_e32 v31, 1, v34
	v_cmp_eq_u32_e32 vcc, 1, v31
	s_or_b64 s[72:73], s[64:65], vcc
	v_cndmask_b32_e64 v31, 0, 1, s[72:73]
	v_cndmask_b32_e64 v33, 0, 1, s[72:73]
	s_andn2_b64 s[64:65], s[64:65], exec
	s_and_b64 s[72:73], s[72:73], exec
	s_or_b64 s[64:65], s[64:65], s[72:73]
.LBB1484_187:                           ;   in Loop: Header=BB1484_176 Depth=1
	s_or_b64 exec, exec, s[46:47]
	s_waitcnt lgkmcnt(2)
	ds_bpermute_b32 v35, v21, v10
	s_waitcnt lgkmcnt(2)
	ds_bpermute_b32 v36, v21, v11
	s_waitcnt lgkmcnt(2)
	ds_bpermute_b32 v34, v21, v33
	v_cmp_le_u32_e32 vcc, v22, v32
	s_and_saveexec_b64 s[72:73], vcc
	s_cbranch_execz .LBB1484_189
; %bb.188:                              ;   in Loop: Header=BB1484_176 Depth=1
	v_cmp_eq_u16_sdwa vcc, v31, v5 src0_sel:BYTE_0 src1_sel:DWORD
	s_waitcnt lgkmcnt(2)
	v_cndmask_b32_e32 v35, 0, v35, vcc
	s_waitcnt lgkmcnt(1)
	v_cndmask_b32_e32 v33, 0, v36, vcc
	v_add_co_u32_e32 v10, vcc, v35, v10
	v_addc_co_u32_e32 v11, vcc, v33, v11, vcc
	v_and_b32_e32 v31, 1, v31
	v_cmp_eq_u32_e32 vcc, 1, v31
	s_waitcnt lgkmcnt(0)
	v_and_b32_e32 v31, 1, v34
	v_cmp_eq_u32_e64 s[46:47], 1, v31
	s_or_b64 s[46:47], vcc, s[46:47]
	v_cndmask_b32_e64 v31, 0, 1, s[46:47]
	v_cndmask_b32_e64 v33, 0, 1, s[46:47]
	s_andn2_b64 s[64:65], s[64:65], exec
	s_and_b64 s[46:47], s[46:47], exec
	s_or_b64 s[64:65], s[64:65], s[46:47]
.LBB1484_189:                           ;   in Loop: Header=BB1484_176 Depth=1
	s_or_b64 exec, exec, s[72:73]
	s_waitcnt lgkmcnt(2)
	ds_bpermute_b32 v35, v23, v10
	s_waitcnt lgkmcnt(2)
	ds_bpermute_b32 v36, v23, v11
	s_waitcnt lgkmcnt(2)
	ds_bpermute_b32 v34, v23, v33
	v_cmp_le_u32_e32 vcc, v24, v32
	s_and_saveexec_b64 s[72:73], vcc
	s_cbranch_execz .LBB1484_191
; %bb.190:                              ;   in Loop: Header=BB1484_176 Depth=1
	v_cmp_eq_u16_sdwa vcc, v31, v5 src0_sel:BYTE_0 src1_sel:DWORD
	s_waitcnt lgkmcnt(2)
	v_cndmask_b32_e32 v35, 0, v35, vcc
	s_waitcnt lgkmcnt(1)
	v_cndmask_b32_e32 v33, 0, v36, vcc
	v_add_co_u32_e32 v10, vcc, v35, v10
	v_addc_co_u32_e32 v11, vcc, v33, v11, vcc
	v_and_b32_e32 v31, 1, v31
	v_cmp_eq_u32_e32 vcc, 1, v31
	s_waitcnt lgkmcnt(0)
	v_and_b32_e32 v31, 1, v34
	v_cmp_eq_u32_e64 s[46:47], 1, v31
	s_or_b64 s[46:47], vcc, s[46:47]
	v_cndmask_b32_e64 v31, 0, 1, s[46:47]
	v_cndmask_b32_e64 v33, 0, 1, s[46:47]
	s_andn2_b64 s[64:65], s[64:65], exec
	s_and_b64 s[46:47], s[46:47], exec
	s_or_b64 s[64:65], s[64:65], s[46:47]
.LBB1484_191:                           ;   in Loop: Header=BB1484_176 Depth=1
	;; [unrolled: 30-line block ×3, first 2 shown]
	s_or_b64 exec, exec, s[72:73]
	s_waitcnt lgkmcnt(0)
	ds_bpermute_b32 v34, v28, v10
	ds_bpermute_b32 v35, v28, v11
	;; [unrolled: 1-line block ×3, first 2 shown]
	v_cmp_le_u32_e32 vcc, v29, v32
	s_and_saveexec_b64 s[72:73], vcc
	s_cbranch_execz .LBB1484_175
; %bb.194:                              ;   in Loop: Header=BB1484_176 Depth=1
	v_cmp_eq_u16_sdwa vcc, v31, v5 src0_sel:BYTE_0 src1_sel:DWORD
	s_waitcnt lgkmcnt(2)
	v_cndmask_b32_e32 v34, 0, v34, vcc
	s_waitcnt lgkmcnt(1)
	v_cndmask_b32_e32 v32, 0, v35, vcc
	v_add_co_u32_e32 v10, vcc, v34, v10
	v_addc_co_u32_e32 v11, vcc, v32, v11, vcc
	v_and_b32_e32 v31, 1, v31
	v_cmp_eq_u32_e32 vcc, 1, v31
	s_waitcnt lgkmcnt(0)
	v_and_b32_e32 v31, 1, v33
	v_cmp_eq_u32_e64 s[46:47], 1, v31
	s_or_b64 s[46:47], vcc, s[46:47]
	s_andn2_b64 s[64:65], s[64:65], exec
	s_and_b64 s[46:47], s[46:47], exec
	s_or_b64 s[64:65], s[64:65], s[46:47]
	s_branch .LBB1484_175
.LBB1484_195:                           ;   in Loop: Header=BB1484_176 Depth=1
                                        ; implicit-def: $vgpr31
                                        ; implicit-def: $vgpr10_vgpr11
                                        ; implicit-def: $vgpr16
	s_cbranch_execz .LBB1484_176
; %bb.196:
	s_and_saveexec_b64 s[46:47], s[42:43]
	s_cbranch_execz .LBB1484_198
; %bb.197:
	v_mov_b32_e32 v4, 0
	s_mov_b32 s7, 0
	v_cmp_eq_u16_sdwa vcc, v15, v4 src0_sel:BYTE_0 src1_sel:DWORD
	s_add_i32 s6, s6, 64
	v_cndmask_b32_e32 v6, 0, v8, vcc
	s_lshl_b64 s[42:43], s[6:7], 4
	v_cndmask_b32_e32 v5, 0, v9, vcc
	v_add_co_u32_e32 v2, vcc, v6, v2
	s_add_u32 s42, s50, s42
	v_addc_co_u32_e32 v3, vcc, v5, v3, vcc
	v_or_b32_e32 v5, v15, v27
	s_addc_u32 s43, s51, s43
	v_and_b32_e32 v5, 1, v5
	global_store_dwordx2 v4, v[2:3], s[42:43]
	global_store_byte v4, v5, s[42:43] offset:8
	v_mov_b32_e32 v2, s6
	v_mov_b32_e32 v3, 2
	s_waitcnt vmcnt(0) lgkmcnt(0)
	buffer_wbinvl1_vol
	global_store_byte v2, v3, s[52:53]
.LBB1484_198:
	s_or_b64 exec, exec, s[46:47]
	v_cmp_eq_u32_e32 vcc, 0, v0
	s_and_b64 exec, exec, vcc
	s_cbranch_execz .LBB1484_200
; %bb.199:
	v_mov_b32_e32 v2, 0
	ds_write_b64 v2, v[8:9]
	ds_write_b8 v2, v27 offset:8
.LBB1484_200:
	s_or_b64 exec, exec, s[60:61]
	v_mov_b32_e32 v4, 0
	s_waitcnt lgkmcnt(0)
	; wave barrier
	s_waitcnt lgkmcnt(0)
	ds_read_b64 v[2:3], v4
	v_cmp_eq_u32_sdwa vcc, v14, v4 src0_sel:BYTE_0 src1_sel:DWORD
	s_waitcnt lgkmcnt(0)
	v_cndmask_b32_e32 v6, 0, v2, vcc
	v_cndmask_b32_e32 v5, 0, v3, vcc
	v_add_co_u32_e32 v6, vcc, v12, v6
	v_addc_co_u32_e32 v5, vcc, v13, v5, vcc
	v_cmp_eq_u32_e32 vcc, 0, v0
	v_cndmask_b32_e32 v85, v5, v3, vcc
	v_cndmask_b32_e32 v84, v6, v2, vcc
	v_cmp_eq_u16_sdwa vcc, v1, v4 src0_sel:BYTE_0 src1_sel:DWORD
	v_cndmask_b32_e32 v3, 0, v84, vcc
	v_cndmask_b32_e32 v2, 0, v85, vcc
	v_add_co_u32_e32 v4, vcc, v3, v42
	v_addc_co_u32_e32 v5, vcc, v2, v43, vcc
	v_cndmask_b32_e64 v3, 0, v4, s[40:41]
	v_cndmask_b32_e64 v2, 0, v5, s[40:41]
	v_add_co_u32_e32 v6, vcc, v3, v46
	v_addc_co_u32_e32 v7, vcc, v2, v47, vcc
	v_cndmask_b32_e64 v3, 0, v6, s[38:39]
	v_cndmask_b32_e64 v2, 0, v7, s[38:39]
	;; [unrolled: 4-line block ×19, first 2 shown]
	s_branch .LBB1484_221
.LBB1484_201:
                                        ; implicit-def: $vgpr84_vgpr85
                                        ; implicit-def: $vgpr104_vgpr105
                                        ; implicit-def: $vgpr102_vgpr103
                                        ; implicit-def: $vgpr100_vgpr101
                                        ; implicit-def: $vgpr98_vgpr99
                                        ; implicit-def: $vgpr96_vgpr97
                                        ; implicit-def: $vgpr94_vgpr95
                                        ; implicit-def: $vgpr92_vgpr93
                                        ; implicit-def: $vgpr90_vgpr91
                                        ; implicit-def: $vgpr88_vgpr89
                                        ; implicit-def: $vgpr86_vgpr87
                                        ; implicit-def: $vgpr38_vgpr39_vgpr40_vgpr41
                                        ; implicit-def: $vgpr34_vgpr35_vgpr36_vgpr37
                                        ; implicit-def: $vgpr30_vgpr31_vgpr32_vgpr33
                                        ; implicit-def: $vgpr26_vgpr27_vgpr28_vgpr29
                                        ; implicit-def: $vgpr22_vgpr23_vgpr24_vgpr25
                                        ; implicit-def: $vgpr18_vgpr19_vgpr20_vgpr21
                                        ; implicit-def: $vgpr14_vgpr15_vgpr16_vgpr17
                                        ; implicit-def: $vgpr10_vgpr11_vgpr12_vgpr13
                                        ; implicit-def: $vgpr6_vgpr7_vgpr8_vgpr9
                                        ; implicit-def: $vgpr2_vgpr3_vgpr4_vgpr5
	s_cbranch_execz .LBB1484_221
; %bb.202:
	s_cmp_lg_u64 s[70:71], 0
	s_cselect_b32 s3, s67, 0
	s_cselect_b32 s2, s66, 0
	s_cmp_eq_u64 s[2:3], 0
	v_pk_mov_b32 v[2:3], s[68:69], s[68:69] op_sel:[0,1]
	s_cbranch_scc1 .LBB1484_204
; %bb.203:
	v_mov_b32_e32 v2, 0
	global_load_dwordx2 v[2:3], v2, s[2:3]
.LBB1484_204:
	v_mov_b32_e32 v4, 0
	v_cmp_eq_u16_sdwa s[38:39], v106, v4 src0_sel:BYTE_0 src1_sel:DWORD
	v_cndmask_b32_e64 v6, 0, v42, s[38:39]
	v_cndmask_b32_e64 v5, 0, v43, s[38:39]
	v_add_co_u32_e32 v6, vcc, v6, v46
	v_cmp_eq_u16_sdwa s[36:37], v107, v4 src0_sel:BYTE_0 src1_sel:DWORD
	v_addc_co_u32_e32 v5, vcc, v5, v47, vcc
	v_cndmask_b32_e64 v6, 0, v6, s[36:37]
	v_cndmask_b32_e64 v5, 0, v5, s[36:37]
	v_add_co_u32_e32 v6, vcc, v6, v48
	v_cmp_eq_u16_sdwa s[34:35], v109, v4 src0_sel:BYTE_0 src1_sel:DWORD
	v_addc_co_u32_e32 v5, vcc, v5, v49, vcc
	;; [unrolled: 5-line block ×17, first 2 shown]
	v_cndmask_b32_e64 v6, 0, v6, s[2:3]
	v_cndmask_b32_e64 v5, 0, v5, s[2:3]
	v_add_co_u32_e32 v6, vcc, v6, v80
	v_addc_co_u32_e32 v5, vcc, v5, v81, vcc
	v_cmp_eq_u16_sdwa vcc, v108, v4 src0_sel:BYTE_0 src1_sel:DWORD
	v_cndmask_b32_e32 v6, 0, v6, vcc
	v_cndmask_b32_e32 v5, 0, v5, vcc
	v_add_co_u32_e64 v6, s[40:41], v6, v44
	v_addc_co_u32_e64 v5, s[40:41], v5, v45, s[40:41]
	v_cmp_eq_u16_sdwa s[40:41], v125, v4 src0_sel:BYTE_0 src1_sel:DWORD
	v_cndmask_b32_e64 v4, 0, v6, s[40:41]
	v_or_b32_e32 v6, v127, v123
	v_or_b32_e32 v6, v6, v122
	;; [unrolled: 1-line block ×18, first 2 shown]
	v_cndmask_b32_e64 v5, 0, v5, s[40:41]
	v_add_co_u32_e64 v4, s[40:41], v4, v82
	v_and_b32_e32 v7, 1, v6
	v_mbcnt_hi_u32_b32 v6, -1, v126
	v_addc_co_u32_e64 v5, s[40:41], v5, v83, s[40:41]
	v_and_b32_e32 v9, 15, v6
	v_cmp_eq_u32_e64 s[40:41], 1, v7
	v_mov_b32_dpp v11, v4 row_shr:1 row_mask:0xf bank_mask:0xf
	v_mov_b32_dpp v12, v5 row_shr:1 row_mask:0xf bank_mask:0xf
	;; [unrolled: 1-line block ×3, first 2 shown]
	v_cmp_ne_u32_e64 s[42:43], 0, v9
	v_mov_b32_e32 v8, v7
	s_and_saveexec_b64 s[44:45], s[42:43]
; %bb.205:
	v_cndmask_b32_e64 v11, v11, 0, s[40:41]
	v_cndmask_b32_e64 v8, v12, 0, s[40:41]
	v_add_co_u32_e64 v4, s[40:41], v11, v4
	v_addc_co_u32_e64 v5, s[40:41], v8, v5, s[40:41]
	v_and_b32_e32 v8, 1, v10
	v_or_b32_e32 v7, v8, v7
	v_and_b32_e32 v8, 0xffff, v7
; %bb.206:
	s_or_b64 exec, exec, s[44:45]
	v_mov_b32_dpp v11, v4 row_shr:2 row_mask:0xf bank_mask:0xf
	v_mov_b32_dpp v12, v5 row_shr:2 row_mask:0xf bank_mask:0xf
	v_mov_b32_dpp v10, v8 row_shr:2 row_mask:0xf bank_mask:0xf
	v_cmp_lt_u32_e64 s[40:41], 1, v9
	s_and_saveexec_b64 s[44:45], s[40:41]
	s_cbranch_execz .LBB1484_208
; %bb.207:
	v_cmp_eq_u16_e64 s[40:41], 0, v7
	v_cndmask_b32_e64 v11, 0, v11, s[40:41]
	v_cndmask_b32_e64 v8, 0, v12, s[40:41]
	v_add_co_u32_e64 v4, s[40:41], v11, v4
	v_addc_co_u32_e64 v5, s[40:41], v8, v5, s[40:41]
	v_and_b32_e32 v7, 1, v7
	v_cmp_eq_u32_e64 s[40:41], 1, v7
	v_and_b32_e32 v7, 1, v10
	v_cmp_eq_u32_e64 s[42:43], 1, v7
	s_or_b64 s[40:41], s[40:41], s[42:43]
	v_cndmask_b32_e64 v7, 0, 1, s[40:41]
	v_cndmask_b32_e64 v8, 0, 1, s[40:41]
.LBB1484_208:
	s_or_b64 exec, exec, s[44:45]
	v_mov_b32_dpp v11, v4 row_shr:4 row_mask:0xf bank_mask:0xf
	v_mov_b32_dpp v12, v5 row_shr:4 row_mask:0xf bank_mask:0xf
	v_mov_b32_dpp v10, v8 row_shr:4 row_mask:0xf bank_mask:0xf
	v_cmp_lt_u32_e64 s[40:41], 3, v9
	s_and_saveexec_b64 s[44:45], s[40:41]
	s_cbranch_execz .LBB1484_210
; %bb.209:
	v_cmp_eq_u16_e64 s[40:41], 0, v7
	v_cndmask_b32_e64 v11, 0, v11, s[40:41]
	v_cndmask_b32_e64 v8, 0, v12, s[40:41]
	v_add_co_u32_e64 v4, s[40:41], v11, v4
	v_addc_co_u32_e64 v5, s[40:41], v8, v5, s[40:41]
	v_and_b32_e32 v7, 1, v7
	v_cmp_eq_u32_e64 s[40:41], 1, v7
	v_and_b32_e32 v7, 1, v10
	v_cmp_eq_u32_e64 s[42:43], 1, v7
	s_or_b64 s[40:41], s[40:41], s[42:43]
	v_cndmask_b32_e64 v7, 0, 1, s[40:41]
	v_cndmask_b32_e64 v8, 0, 1, s[40:41]
.LBB1484_210:
	;; [unrolled: 21-line block ×3, first 2 shown]
	s_or_b64 exec, exec, s[44:45]
	v_and_b32_e32 v12, 16, v6
	v_mov_b32_dpp v10, v4 row_bcast:15 row_mask:0xf bank_mask:0xf
	v_mov_b32_dpp v11, v5 row_bcast:15 row_mask:0xf bank_mask:0xf
	;; [unrolled: 1-line block ×3, first 2 shown]
	v_cmp_ne_u32_e64 s[40:41], 0, v12
	s_and_saveexec_b64 s[44:45], s[40:41]
	s_cbranch_execz .LBB1484_214
; %bb.213:
	v_cmp_eq_u16_e64 s[40:41], 0, v7
	v_cndmask_b32_e64 v10, 0, v10, s[40:41]
	v_cndmask_b32_e64 v8, 0, v11, s[40:41]
	v_add_co_u32_e64 v4, s[40:41], v10, v4
	v_addc_co_u32_e64 v5, s[40:41], v8, v5, s[40:41]
	v_and_b32_e32 v7, 1, v7
	v_cmp_eq_u32_e64 s[40:41], 1, v7
	v_and_b32_e32 v7, 1, v9
	v_cmp_eq_u32_e64 s[42:43], 1, v7
	s_or_b64 s[40:41], s[40:41], s[42:43]
	v_cndmask_b32_e64 v7, 0, 1, s[40:41]
	v_cndmask_b32_e64 v8, 0, 1, s[40:41]
.LBB1484_214:
	s_or_b64 exec, exec, s[44:45]
	v_mov_b32_dpp v9, v4 row_bcast:31 row_mask:0xf bank_mask:0xf
	v_mov_b32_dpp v10, v5 row_bcast:31 row_mask:0xf bank_mask:0xf
	;; [unrolled: 1-line block ×3, first 2 shown]
	v_cmp_lt_u32_e64 s[40:41], 31, v6
	s_and_saveexec_b64 s[44:45], s[40:41]
; %bb.215:
	v_cmp_eq_u16_e64 s[40:41], 0, v7
	v_cndmask_b32_e64 v9, 0, v9, s[40:41]
	v_cndmask_b32_e64 v10, 0, v10, s[40:41]
	v_add_co_u32_e64 v4, s[40:41], v9, v4
	v_addc_co_u32_e64 v5, s[40:41], v10, v5, s[40:41]
	v_and_b32_e32 v7, 1, v7
	v_cmp_eq_u32_e64 s[40:41], 1, v7
	v_and_b32_e32 v7, 1, v8
	v_cmp_eq_u32_e64 s[42:43], 1, v7
	s_or_b64 s[40:41], s[40:41], s[42:43]
	v_cndmask_b32_e64 v7, 0, 1, s[40:41]
; %bb.216:
	s_or_b64 exec, exec, s[44:45]
	v_cmp_eq_u32_e64 s[40:41], 63, v0
	s_and_saveexec_b64 s[42:43], s[40:41]
	s_cbranch_execz .LBB1484_218
; %bb.217:
	v_mov_b32_e32 v8, 0
	ds_write_b64 v8, v[4:5]
	ds_write_b8 v8, v7 offset:8
.LBB1484_218:
	s_or_b64 exec, exec, s[42:43]
	v_cmp_eq_u16_e64 s[40:41], 0, v7
	s_waitcnt vmcnt(0)
	v_cndmask_b32_e64 v8, 0, v2, s[40:41]
	v_cndmask_b32_e64 v7, 0, v3, s[40:41]
	v_add_co_u32_e64 v4, s[40:41], v8, v4
	v_addc_co_u32_e64 v5, s[40:41], v7, v5, s[40:41]
	v_add_u32_e32 v7, -1, v6
	v_and_b32_e32 v8, 64, v6
	v_cmp_lt_i32_e64 s[40:41], v7, v8
	v_cndmask_b32_e64 v7, v7, v6, s[40:41]
	v_lshlrev_b32_e32 v7, 2, v7
	ds_bpermute_b32 v5, v7, v5
	ds_bpermute_b32 v4, v7, v4
	v_cmp_eq_u32_e64 s[42:43], 0, v6
	v_cmp_eq_u32_e64 s[40:41], 0, v0
	s_or_b64 s[42:43], s[40:41], s[42:43]
	v_mov_b32_e32 v8, 0
	s_waitcnt lgkmcnt(1)
	v_cndmask_b32_e64 v85, v5, v3, s[42:43]
	s_waitcnt lgkmcnt(0)
	v_cndmask_b32_e64 v84, v4, v2, s[42:43]
	v_cmp_eq_u16_sdwa s[42:43], v1, v8 src0_sel:BYTE_0 src1_sel:DWORD
	v_cndmask_b32_e64 v4, 0, v84, s[42:43]
	v_cndmask_b32_e64 v1, 0, v85, s[42:43]
	v_add_co_u32_e64 v4, s[42:43], v4, v42
	v_addc_co_u32_e64 v5, s[42:43], v1, v43, s[42:43]
	v_cndmask_b32_e64 v6, 0, v4, s[38:39]
	v_cndmask_b32_e64 v1, 0, v5, s[38:39]
	v_add_co_u32_e64 v6, s[38:39], v6, v46
	v_addc_co_u32_e64 v7, s[38:39], v1, v47, s[38:39]
	;; [unrolled: 4-line block ×19, first 2 shown]
	v_cndmask_b32_e32 v105, 0, v103, vcc
	v_cndmask_b32_e32 v104, 0, v102, vcc
	s_waitcnt lgkmcnt(0)
	; wave barrier
	s_and_saveexec_b64 s[2:3], s[40:41]
	s_cbranch_execz .LBB1484_220
; %bb.219:
	ds_read_u8 v1, v8 offset:8
	ds_read_b64 v[12:13], v8
	v_pk_mov_b32 v[84:85], v[2:3], v[2:3] op_sel:[0,1]
	s_waitcnt lgkmcnt(1)
	v_cmp_eq_u16_e32 vcc, 0, v1
	v_cndmask_b32_e32 v16, 0, v2, vcc
	v_cndmask_b32_e32 v9, 0, v3, vcc
	s_waitcnt lgkmcnt(0)
	v_add_co_u32_e32 v12, vcc, v16, v12
	v_addc_co_u32_e32 v13, vcc, v9, v13, vcc
	global_store_dwordx2 v8, v[12:13], s[50:51] offset:1024
	global_store_byte v8, v1, s[50:51] offset:1032
	v_mov_b32_e32 v1, 2
	s_waitcnt vmcnt(0)
	buffer_wbinvl1_vol
	global_store_byte v8, v1, s[52:53] offset:64
.LBB1484_220:
	s_or_b64 exec, exec, s[2:3]
.LBB1484_221:
	s_add_u32 s2, s62, s56
	s_addc_u32 s3, s63, s57
	v_add_co_u32_e32 v2, vcc, v104, v44
	v_addc_co_u32_e32 v3, vcc, v105, v45, vcc
	s_add_u32 s4, s2, s58
	s_addc_u32 s5, s3, s59
	s_and_b64 vcc, exec, s[0:1]
	v_lshlrev_b32_e32 v12, 3, v0
	s_cbranch_vccz .LBB1484_263
; %bb.222:
	s_movk_i32 s0, 0xa8
	v_mul_i32_i24_e32 v16, 0xffffff60, v0
	v_mul_u32_u24_e32 v13, 0xa8, v0
	v_mad_u32_u24 v8, v0, s0, v16
	s_waitcnt lgkmcnt(0)
	; wave barrier
	ds_write2_b64 v13, v[84:85], v[4:5] offset1:1
	ds_write2_b64 v13, v[6:7], v[86:87] offset0:2 offset1:3
	ds_write2_b64 v13, v[10:11], v[88:89] offset0:4 offset1:5
	;; [unrolled: 1-line block ×9, first 2 shown]
	ds_write_b64 v13, v[2:3] offset:160
	s_waitcnt lgkmcnt(0)
	; wave barrier
	s_waitcnt lgkmcnt(0)
	ds_read2st64_b64 v[76:79], v8 offset0:1 offset1:2
	ds_read2st64_b64 v[72:75], v8 offset0:3 offset1:4
	ds_read2st64_b64 v[68:71], v8 offset0:5 offset1:6
	ds_read2st64_b64 v[64:67], v8 offset0:7 offset1:8
	ds_read2st64_b64 v[60:63], v8 offset0:9 offset1:10
	ds_read2st64_b64 v[56:59], v8 offset0:11 offset1:12
	ds_read2st64_b64 v[52:55], v8 offset0:13 offset1:14
	ds_read2st64_b64 v[48:51], v8 offset0:15 offset1:16
	ds_read2st64_b64 v[44:47], v8 offset0:17 offset1:18
	ds_read2st64_b64 v[40:43], v8 offset0:19 offset1:20
	v_mov_b32_e32 v9, s5
	v_add_co_u32_e32 v8, vcc, s4, v12
	s_add_i32 s33, s33, s54
	v_addc_co_u32_e32 v9, vcc, 0, v9, vcc
	v_mov_b32_e32 v1, 0
	v_cmp_gt_u32_e32 vcc, s33, v0
	s_and_saveexec_b64 s[0:1], vcc
	s_cbranch_execz .LBB1484_224
; %bb.223:
	v_add_u32_e32 v13, v13, v16
	ds_read_b64 v[16:17], v13
	s_waitcnt lgkmcnt(0)
	flat_store_dwordx2 v[8:9], v[16:17]
.LBB1484_224:
	s_or_b64 exec, exec, s[0:1]
	v_or_b32_e32 v13, 64, v0
	v_cmp_gt_u32_e32 vcc, s33, v13
	s_and_saveexec_b64 s[0:1], vcc
	s_cbranch_execz .LBB1484_226
; %bb.225:
	s_waitcnt lgkmcnt(0)
	flat_store_dwordx2 v[8:9], v[76:77] offset:512
.LBB1484_226:
	s_or_b64 exec, exec, s[0:1]
	v_or_b32_e32 v13, 0x80, v0
	v_cmp_gt_u32_e32 vcc, s33, v13
	s_and_saveexec_b64 s[0:1], vcc
	s_cbranch_execz .LBB1484_228
; %bb.227:
	s_waitcnt lgkmcnt(0)
	flat_store_dwordx2 v[8:9], v[78:79] offset:1024
.LBB1484_228:
	;; [unrolled: 9-line block ×7, first 2 shown]
	s_or_b64 exec, exec, s[0:1]
	v_or_b32_e32 v13, 0x200, v0
	v_cmp_gt_u32_e32 vcc, s33, v13
	s_and_saveexec_b64 s[0:1], vcc
	s_cbranch_execz .LBB1484_240
; %bb.239:
	v_add_co_u32_e32 v16, vcc, 0x1000, v8
	v_addc_co_u32_e32 v17, vcc, 0, v9, vcc
	s_waitcnt lgkmcnt(0)
	flat_store_dwordx2 v[16:17], v[66:67]
.LBB1484_240:
	s_or_b64 exec, exec, s[0:1]
	v_or_b32_e32 v13, 0x240, v0
	v_cmp_gt_u32_e32 vcc, s33, v13
	s_and_saveexec_b64 s[0:1], vcc
	s_cbranch_execz .LBB1484_242
; %bb.241:
	v_add_co_u32_e32 v16, vcc, 0x1000, v8
	v_addc_co_u32_e32 v17, vcc, 0, v9, vcc
	s_waitcnt lgkmcnt(0)
	flat_store_dwordx2 v[16:17], v[60:61] offset:512
.LBB1484_242:
	s_or_b64 exec, exec, s[0:1]
	v_or_b32_e32 v13, 0x280, v0
	v_cmp_gt_u32_e32 vcc, s33, v13
	s_and_saveexec_b64 s[0:1], vcc
	s_cbranch_execz .LBB1484_244
; %bb.243:
	v_add_co_u32_e32 v16, vcc, 0x1000, v8
	v_addc_co_u32_e32 v17, vcc, 0, v9, vcc
	s_waitcnt lgkmcnt(0)
	flat_store_dwordx2 v[16:17], v[62:63] offset:1024
.LBB1484_244:
	;; [unrolled: 11-line block ×7, first 2 shown]
	s_or_b64 exec, exec, s[0:1]
	v_or_b32_e32 v13, 0x400, v0
	v_cmp_gt_u32_e32 vcc, s33, v13
	s_and_saveexec_b64 s[0:1], vcc
	s_cbranch_execz .LBB1484_256
; %bb.255:
	v_add_co_u32_e32 v16, vcc, 0x2000, v8
	v_addc_co_u32_e32 v17, vcc, 0, v9, vcc
	s_waitcnt lgkmcnt(0)
	flat_store_dwordx2 v[16:17], v[50:51]
.LBB1484_256:
	s_or_b64 exec, exec, s[0:1]
	v_or_b32_e32 v13, 0x440, v0
	v_cmp_gt_u32_e32 vcc, s33, v13
	s_and_saveexec_b64 s[0:1], vcc
	s_cbranch_execz .LBB1484_258
; %bb.257:
	v_add_co_u32_e32 v16, vcc, 0x2000, v8
	v_addc_co_u32_e32 v17, vcc, 0, v9, vcc
	s_waitcnt lgkmcnt(0)
	flat_store_dwordx2 v[16:17], v[44:45] offset:512
.LBB1484_258:
	s_or_b64 exec, exec, s[0:1]
	v_or_b32_e32 v13, 0x480, v0
	v_cmp_gt_u32_e32 vcc, s33, v13
	s_and_saveexec_b64 s[0:1], vcc
	s_cbranch_execz .LBB1484_260
; %bb.259:
	v_add_co_u32_e32 v16, vcc, 0x2000, v8
	v_addc_co_u32_e32 v17, vcc, 0, v9, vcc
	s_waitcnt lgkmcnt(0)
	flat_store_dwordx2 v[16:17], v[46:47] offset:1024
.LBB1484_260:
	;; [unrolled: 11-line block ×3, first 2 shown]
	s_or_b64 exec, exec, s[0:1]
	v_or_b32_e32 v8, 0x500, v0
	v_cmp_gt_u32_e64 s[0:1], s33, v8
	s_branch .LBB1484_265
.LBB1484_263:
	s_mov_b64 s[0:1], 0
                                        ; implicit-def: $vgpr42_vgpr43
	s_cbranch_execz .LBB1484_265
; %bb.264:
	v_mul_u32_u24_e32 v1, 0xa8, v0
	s_waitcnt lgkmcnt(0)
	; wave barrier
	s_waitcnt lgkmcnt(0)
	s_movk_i32 s2, 0xa8
	ds_write2_b64 v1, v[84:85], v[4:5] offset1:1
	ds_write2_b64 v1, v[6:7], v[86:87] offset0:2 offset1:3
	ds_write2_b64 v1, v[10:11], v[88:89] offset0:4 offset1:5
	;; [unrolled: 1-line block ×9, first 2 shown]
	ds_write_b64 v1, v[2:3] offset:160
	v_mul_i32_i24_e32 v2, 0xffffff60, v0
	v_mad_u32_u24 v10, v0, s2, v2
	s_waitcnt lgkmcnt(0)
	; wave barrier
	s_waitcnt lgkmcnt(0)
	ds_read2st64_b64 v[2:5], v10 offset1:1
	ds_read2st64_b64 v[6:9], v10 offset0:2 offset1:3
	ds_read2st64_b64 v[14:17], v10 offset0:4 offset1:5
	ds_read2st64_b64 v[18:21], v10 offset0:6 offset1:7
	ds_read2st64_b64 v[22:25], v10 offset0:8 offset1:9
	ds_read2st64_b64 v[26:29], v10 offset0:10 offset1:11
	ds_read2st64_b64 v[30:33], v10 offset0:12 offset1:13
	ds_read2st64_b64 v[34:37], v10 offset0:14 offset1:15
	ds_read2st64_b64 v[38:41], v10 offset0:16 offset1:17
	ds_read2st64_b64 v[44:47], v10 offset0:18 offset1:19
	ds_read_b64 v[42:43], v10 offset:10240
	v_mov_b32_e32 v11, s5
	v_add_co_u32_e32 v10, vcc, s4, v12
	v_addc_co_u32_e32 v11, vcc, 0, v11, vcc
	s_movk_i32 s2, 0x1000
	s_waitcnt lgkmcnt(0)
	flat_store_dwordx2 v[10:11], v[2:3]
	flat_store_dwordx2 v[10:11], v[4:5] offset:512
	flat_store_dwordx2 v[10:11], v[6:7] offset:1024
	flat_store_dwordx2 v[10:11], v[8:9] offset:1536
	flat_store_dwordx2 v[10:11], v[14:15] offset:2048
	flat_store_dwordx2 v[10:11], v[16:17] offset:2560
	flat_store_dwordx2 v[10:11], v[18:19] offset:3072
	flat_store_dwordx2 v[10:11], v[20:21] offset:3584
	v_add_co_u32_e32 v2, vcc, s2, v10
	v_addc_co_u32_e32 v3, vcc, 0, v11, vcc
	flat_store_dwordx2 v[2:3], v[22:23]
	flat_store_dwordx2 v[2:3], v[24:25] offset:512
	flat_store_dwordx2 v[2:3], v[26:27] offset:1024
	;; [unrolled: 1-line block ×7, first 2 shown]
	v_add_co_u32_e32 v2, vcc, 0x2000, v10
	v_mov_b32_e32 v1, 0
	v_addc_co_u32_e32 v3, vcc, 0, v11, vcc
	s_or_b64 s[0:1], s[0:1], exec
	flat_store_dwordx2 v[2:3], v[38:39]
	flat_store_dwordx2 v[2:3], v[40:41] offset:512
	flat_store_dwordx2 v[2:3], v[44:45] offset:1024
	;; [unrolled: 1-line block ×3, first 2 shown]
.LBB1484_265:
	s_and_saveexec_b64 s[2:3], s[0:1]
	s_cbranch_execz .LBB1484_267
; %bb.266:
	v_lshlrev_b64 v[0:1], 3, v[0:1]
	v_mov_b32_e32 v2, s5
	v_add_co_u32_e32 v0, vcc, s4, v0
	v_addc_co_u32_e32 v1, vcc, v2, v1, vcc
	v_add_co_u32_e32 v0, vcc, 0x2000, v0
	v_addc_co_u32_e32 v1, vcc, 0, v1, vcc
	s_waitcnt lgkmcnt(0)
	flat_store_dwordx2 v[0:1], v[42:43] offset:2048
	s_endpgm
.LBB1484_267:
	s_endpgm
	.section	.rodata,"a",@progbits
	.p2align	6, 0x0
	.amdhsa_kernel _ZN7rocprim17ROCPRIM_400000_NS6detail17trampoline_kernelINS0_14default_configENS1_27scan_by_key_config_selectorIiyEEZZNS1_16scan_by_key_implILNS1_25lookback_scan_determinismE0ELb1ES3_N6thrust23THRUST_200600_302600_NS6detail15normal_iteratorINS9_10device_ptrIiEEEENSB_INSC_IyEEEESG_yNS9_4plusIvEENS9_8equal_toIvEEyEE10hipError_tPvRmT2_T3_T4_T5_mT6_T7_P12ihipStream_tbENKUlT_T0_E_clISt17integral_constantIbLb1EES10_IbLb0EEEEDaSW_SX_EUlSW_E_NS1_11comp_targetILNS1_3genE4ELNS1_11target_archE910ELNS1_3gpuE8ELNS1_3repE0EEENS1_30default_config_static_selectorELNS0_4arch9wavefront6targetE1EEEvT1_
		.amdhsa_group_segment_fixed_size 10752
		.amdhsa_private_segment_fixed_size 0
		.amdhsa_kernarg_size 136
		.amdhsa_user_sgpr_count 6
		.amdhsa_user_sgpr_private_segment_buffer 1
		.amdhsa_user_sgpr_dispatch_ptr 0
		.amdhsa_user_sgpr_queue_ptr 0
		.amdhsa_user_sgpr_kernarg_segment_ptr 1
		.amdhsa_user_sgpr_dispatch_id 0
		.amdhsa_user_sgpr_flat_scratch_init 0
		.amdhsa_user_sgpr_kernarg_preload_length 0
		.amdhsa_user_sgpr_kernarg_preload_offset 0
		.amdhsa_user_sgpr_private_segment_size 0
		.amdhsa_uses_dynamic_stack 0
		.amdhsa_system_sgpr_private_segment_wavefront_offset 0
		.amdhsa_system_sgpr_workgroup_id_x 1
		.amdhsa_system_sgpr_workgroup_id_y 0
		.amdhsa_system_sgpr_workgroup_id_z 0
		.amdhsa_system_sgpr_workgroup_info 0
		.amdhsa_system_vgpr_workitem_id 0
		.amdhsa_next_free_vgpr 128
		.amdhsa_next_free_sgpr 77
		.amdhsa_accum_offset 128
		.amdhsa_reserve_vcc 1
		.amdhsa_reserve_flat_scratch 0
		.amdhsa_float_round_mode_32 0
		.amdhsa_float_round_mode_16_64 0
		.amdhsa_float_denorm_mode_32 3
		.amdhsa_float_denorm_mode_16_64 3
		.amdhsa_dx10_clamp 1
		.amdhsa_ieee_mode 1
		.amdhsa_fp16_overflow 0
		.amdhsa_tg_split 0
		.amdhsa_exception_fp_ieee_invalid_op 0
		.amdhsa_exception_fp_denorm_src 0
		.amdhsa_exception_fp_ieee_div_zero 0
		.amdhsa_exception_fp_ieee_overflow 0
		.amdhsa_exception_fp_ieee_underflow 0
		.amdhsa_exception_fp_ieee_inexact 0
		.amdhsa_exception_int_div_zero 0
	.end_amdhsa_kernel
	.section	.text._ZN7rocprim17ROCPRIM_400000_NS6detail17trampoline_kernelINS0_14default_configENS1_27scan_by_key_config_selectorIiyEEZZNS1_16scan_by_key_implILNS1_25lookback_scan_determinismE0ELb1ES3_N6thrust23THRUST_200600_302600_NS6detail15normal_iteratorINS9_10device_ptrIiEEEENSB_INSC_IyEEEESG_yNS9_4plusIvEENS9_8equal_toIvEEyEE10hipError_tPvRmT2_T3_T4_T5_mT6_T7_P12ihipStream_tbENKUlT_T0_E_clISt17integral_constantIbLb1EES10_IbLb0EEEEDaSW_SX_EUlSW_E_NS1_11comp_targetILNS1_3genE4ELNS1_11target_archE910ELNS1_3gpuE8ELNS1_3repE0EEENS1_30default_config_static_selectorELNS0_4arch9wavefront6targetE1EEEvT1_,"axG",@progbits,_ZN7rocprim17ROCPRIM_400000_NS6detail17trampoline_kernelINS0_14default_configENS1_27scan_by_key_config_selectorIiyEEZZNS1_16scan_by_key_implILNS1_25lookback_scan_determinismE0ELb1ES3_N6thrust23THRUST_200600_302600_NS6detail15normal_iteratorINS9_10device_ptrIiEEEENSB_INSC_IyEEEESG_yNS9_4plusIvEENS9_8equal_toIvEEyEE10hipError_tPvRmT2_T3_T4_T5_mT6_T7_P12ihipStream_tbENKUlT_T0_E_clISt17integral_constantIbLb1EES10_IbLb0EEEEDaSW_SX_EUlSW_E_NS1_11comp_targetILNS1_3genE4ELNS1_11target_archE910ELNS1_3gpuE8ELNS1_3repE0EEENS1_30default_config_static_selectorELNS0_4arch9wavefront6targetE1EEEvT1_,comdat
.Lfunc_end1484:
	.size	_ZN7rocprim17ROCPRIM_400000_NS6detail17trampoline_kernelINS0_14default_configENS1_27scan_by_key_config_selectorIiyEEZZNS1_16scan_by_key_implILNS1_25lookback_scan_determinismE0ELb1ES3_N6thrust23THRUST_200600_302600_NS6detail15normal_iteratorINS9_10device_ptrIiEEEENSB_INSC_IyEEEESG_yNS9_4plusIvEENS9_8equal_toIvEEyEE10hipError_tPvRmT2_T3_T4_T5_mT6_T7_P12ihipStream_tbENKUlT_T0_E_clISt17integral_constantIbLb1EES10_IbLb0EEEEDaSW_SX_EUlSW_E_NS1_11comp_targetILNS1_3genE4ELNS1_11target_archE910ELNS1_3gpuE8ELNS1_3repE0EEENS1_30default_config_static_selectorELNS0_4arch9wavefront6targetE1EEEvT1_, .Lfunc_end1484-_ZN7rocprim17ROCPRIM_400000_NS6detail17trampoline_kernelINS0_14default_configENS1_27scan_by_key_config_selectorIiyEEZZNS1_16scan_by_key_implILNS1_25lookback_scan_determinismE0ELb1ES3_N6thrust23THRUST_200600_302600_NS6detail15normal_iteratorINS9_10device_ptrIiEEEENSB_INSC_IyEEEESG_yNS9_4plusIvEENS9_8equal_toIvEEyEE10hipError_tPvRmT2_T3_T4_T5_mT6_T7_P12ihipStream_tbENKUlT_T0_E_clISt17integral_constantIbLb1EES10_IbLb0EEEEDaSW_SX_EUlSW_E_NS1_11comp_targetILNS1_3genE4ELNS1_11target_archE910ELNS1_3gpuE8ELNS1_3repE0EEENS1_30default_config_static_selectorELNS0_4arch9wavefront6targetE1EEEvT1_
                                        ; -- End function
	.section	.AMDGPU.csdata,"",@progbits
; Kernel info:
; codeLenInByte = 17088
; NumSgprs: 81
; NumVgprs: 128
; NumAgprs: 0
; TotalNumVgprs: 128
; ScratchSize: 0
; MemoryBound: 0
; FloatMode: 240
; IeeeMode: 1
; LDSByteSize: 10752 bytes/workgroup (compile time only)
; SGPRBlocks: 10
; VGPRBlocks: 15
; NumSGPRsForWavesPerEU: 81
; NumVGPRsForWavesPerEU: 128
; AccumOffset: 128
; Occupancy: 2
; WaveLimiterHint : 1
; COMPUTE_PGM_RSRC2:SCRATCH_EN: 0
; COMPUTE_PGM_RSRC2:USER_SGPR: 6
; COMPUTE_PGM_RSRC2:TRAP_HANDLER: 0
; COMPUTE_PGM_RSRC2:TGID_X_EN: 1
; COMPUTE_PGM_RSRC2:TGID_Y_EN: 0
; COMPUTE_PGM_RSRC2:TGID_Z_EN: 0
; COMPUTE_PGM_RSRC2:TIDIG_COMP_CNT: 0
; COMPUTE_PGM_RSRC3_GFX90A:ACCUM_OFFSET: 31
; COMPUTE_PGM_RSRC3_GFX90A:TG_SPLIT: 0
	.section	.text._ZN7rocprim17ROCPRIM_400000_NS6detail17trampoline_kernelINS0_14default_configENS1_27scan_by_key_config_selectorIiyEEZZNS1_16scan_by_key_implILNS1_25lookback_scan_determinismE0ELb1ES3_N6thrust23THRUST_200600_302600_NS6detail15normal_iteratorINS9_10device_ptrIiEEEENSB_INSC_IyEEEESG_yNS9_4plusIvEENS9_8equal_toIvEEyEE10hipError_tPvRmT2_T3_T4_T5_mT6_T7_P12ihipStream_tbENKUlT_T0_E_clISt17integral_constantIbLb1EES10_IbLb0EEEEDaSW_SX_EUlSW_E_NS1_11comp_targetILNS1_3genE3ELNS1_11target_archE908ELNS1_3gpuE7ELNS1_3repE0EEENS1_30default_config_static_selectorELNS0_4arch9wavefront6targetE1EEEvT1_,"axG",@progbits,_ZN7rocprim17ROCPRIM_400000_NS6detail17trampoline_kernelINS0_14default_configENS1_27scan_by_key_config_selectorIiyEEZZNS1_16scan_by_key_implILNS1_25lookback_scan_determinismE0ELb1ES3_N6thrust23THRUST_200600_302600_NS6detail15normal_iteratorINS9_10device_ptrIiEEEENSB_INSC_IyEEEESG_yNS9_4plusIvEENS9_8equal_toIvEEyEE10hipError_tPvRmT2_T3_T4_T5_mT6_T7_P12ihipStream_tbENKUlT_T0_E_clISt17integral_constantIbLb1EES10_IbLb0EEEEDaSW_SX_EUlSW_E_NS1_11comp_targetILNS1_3genE3ELNS1_11target_archE908ELNS1_3gpuE7ELNS1_3repE0EEENS1_30default_config_static_selectorELNS0_4arch9wavefront6targetE1EEEvT1_,comdat
	.protected	_ZN7rocprim17ROCPRIM_400000_NS6detail17trampoline_kernelINS0_14default_configENS1_27scan_by_key_config_selectorIiyEEZZNS1_16scan_by_key_implILNS1_25lookback_scan_determinismE0ELb1ES3_N6thrust23THRUST_200600_302600_NS6detail15normal_iteratorINS9_10device_ptrIiEEEENSB_INSC_IyEEEESG_yNS9_4plusIvEENS9_8equal_toIvEEyEE10hipError_tPvRmT2_T3_T4_T5_mT6_T7_P12ihipStream_tbENKUlT_T0_E_clISt17integral_constantIbLb1EES10_IbLb0EEEEDaSW_SX_EUlSW_E_NS1_11comp_targetILNS1_3genE3ELNS1_11target_archE908ELNS1_3gpuE7ELNS1_3repE0EEENS1_30default_config_static_selectorELNS0_4arch9wavefront6targetE1EEEvT1_ ; -- Begin function _ZN7rocprim17ROCPRIM_400000_NS6detail17trampoline_kernelINS0_14default_configENS1_27scan_by_key_config_selectorIiyEEZZNS1_16scan_by_key_implILNS1_25lookback_scan_determinismE0ELb1ES3_N6thrust23THRUST_200600_302600_NS6detail15normal_iteratorINS9_10device_ptrIiEEEENSB_INSC_IyEEEESG_yNS9_4plusIvEENS9_8equal_toIvEEyEE10hipError_tPvRmT2_T3_T4_T5_mT6_T7_P12ihipStream_tbENKUlT_T0_E_clISt17integral_constantIbLb1EES10_IbLb0EEEEDaSW_SX_EUlSW_E_NS1_11comp_targetILNS1_3genE3ELNS1_11target_archE908ELNS1_3gpuE7ELNS1_3repE0EEENS1_30default_config_static_selectorELNS0_4arch9wavefront6targetE1EEEvT1_
	.globl	_ZN7rocprim17ROCPRIM_400000_NS6detail17trampoline_kernelINS0_14default_configENS1_27scan_by_key_config_selectorIiyEEZZNS1_16scan_by_key_implILNS1_25lookback_scan_determinismE0ELb1ES3_N6thrust23THRUST_200600_302600_NS6detail15normal_iteratorINS9_10device_ptrIiEEEENSB_INSC_IyEEEESG_yNS9_4plusIvEENS9_8equal_toIvEEyEE10hipError_tPvRmT2_T3_T4_T5_mT6_T7_P12ihipStream_tbENKUlT_T0_E_clISt17integral_constantIbLb1EES10_IbLb0EEEEDaSW_SX_EUlSW_E_NS1_11comp_targetILNS1_3genE3ELNS1_11target_archE908ELNS1_3gpuE7ELNS1_3repE0EEENS1_30default_config_static_selectorELNS0_4arch9wavefront6targetE1EEEvT1_
	.p2align	8
	.type	_ZN7rocprim17ROCPRIM_400000_NS6detail17trampoline_kernelINS0_14default_configENS1_27scan_by_key_config_selectorIiyEEZZNS1_16scan_by_key_implILNS1_25lookback_scan_determinismE0ELb1ES3_N6thrust23THRUST_200600_302600_NS6detail15normal_iteratorINS9_10device_ptrIiEEEENSB_INSC_IyEEEESG_yNS9_4plusIvEENS9_8equal_toIvEEyEE10hipError_tPvRmT2_T3_T4_T5_mT6_T7_P12ihipStream_tbENKUlT_T0_E_clISt17integral_constantIbLb1EES10_IbLb0EEEEDaSW_SX_EUlSW_E_NS1_11comp_targetILNS1_3genE3ELNS1_11target_archE908ELNS1_3gpuE7ELNS1_3repE0EEENS1_30default_config_static_selectorELNS0_4arch9wavefront6targetE1EEEvT1_,@function
_ZN7rocprim17ROCPRIM_400000_NS6detail17trampoline_kernelINS0_14default_configENS1_27scan_by_key_config_selectorIiyEEZZNS1_16scan_by_key_implILNS1_25lookback_scan_determinismE0ELb1ES3_N6thrust23THRUST_200600_302600_NS6detail15normal_iteratorINS9_10device_ptrIiEEEENSB_INSC_IyEEEESG_yNS9_4plusIvEENS9_8equal_toIvEEyEE10hipError_tPvRmT2_T3_T4_T5_mT6_T7_P12ihipStream_tbENKUlT_T0_E_clISt17integral_constantIbLb1EES10_IbLb0EEEEDaSW_SX_EUlSW_E_NS1_11comp_targetILNS1_3genE3ELNS1_11target_archE908ELNS1_3gpuE7ELNS1_3repE0EEENS1_30default_config_static_selectorELNS0_4arch9wavefront6targetE1EEEvT1_: ; @_ZN7rocprim17ROCPRIM_400000_NS6detail17trampoline_kernelINS0_14default_configENS1_27scan_by_key_config_selectorIiyEEZZNS1_16scan_by_key_implILNS1_25lookback_scan_determinismE0ELb1ES3_N6thrust23THRUST_200600_302600_NS6detail15normal_iteratorINS9_10device_ptrIiEEEENSB_INSC_IyEEEESG_yNS9_4plusIvEENS9_8equal_toIvEEyEE10hipError_tPvRmT2_T3_T4_T5_mT6_T7_P12ihipStream_tbENKUlT_T0_E_clISt17integral_constantIbLb1EES10_IbLb0EEEEDaSW_SX_EUlSW_E_NS1_11comp_targetILNS1_3genE3ELNS1_11target_archE908ELNS1_3gpuE7ELNS1_3repE0EEENS1_30default_config_static_selectorELNS0_4arch9wavefront6targetE1EEEvT1_
; %bb.0:
	.section	.rodata,"a",@progbits
	.p2align	6, 0x0
	.amdhsa_kernel _ZN7rocprim17ROCPRIM_400000_NS6detail17trampoline_kernelINS0_14default_configENS1_27scan_by_key_config_selectorIiyEEZZNS1_16scan_by_key_implILNS1_25lookback_scan_determinismE0ELb1ES3_N6thrust23THRUST_200600_302600_NS6detail15normal_iteratorINS9_10device_ptrIiEEEENSB_INSC_IyEEEESG_yNS9_4plusIvEENS9_8equal_toIvEEyEE10hipError_tPvRmT2_T3_T4_T5_mT6_T7_P12ihipStream_tbENKUlT_T0_E_clISt17integral_constantIbLb1EES10_IbLb0EEEEDaSW_SX_EUlSW_E_NS1_11comp_targetILNS1_3genE3ELNS1_11target_archE908ELNS1_3gpuE7ELNS1_3repE0EEENS1_30default_config_static_selectorELNS0_4arch9wavefront6targetE1EEEvT1_
		.amdhsa_group_segment_fixed_size 0
		.amdhsa_private_segment_fixed_size 0
		.amdhsa_kernarg_size 136
		.amdhsa_user_sgpr_count 6
		.amdhsa_user_sgpr_private_segment_buffer 1
		.amdhsa_user_sgpr_dispatch_ptr 0
		.amdhsa_user_sgpr_queue_ptr 0
		.amdhsa_user_sgpr_kernarg_segment_ptr 1
		.amdhsa_user_sgpr_dispatch_id 0
		.amdhsa_user_sgpr_flat_scratch_init 0
		.amdhsa_user_sgpr_kernarg_preload_length 0
		.amdhsa_user_sgpr_kernarg_preload_offset 0
		.amdhsa_user_sgpr_private_segment_size 0
		.amdhsa_uses_dynamic_stack 0
		.amdhsa_system_sgpr_private_segment_wavefront_offset 0
		.amdhsa_system_sgpr_workgroup_id_x 1
		.amdhsa_system_sgpr_workgroup_id_y 0
		.amdhsa_system_sgpr_workgroup_id_z 0
		.amdhsa_system_sgpr_workgroup_info 0
		.amdhsa_system_vgpr_workitem_id 0
		.amdhsa_next_free_vgpr 1
		.amdhsa_next_free_sgpr 0
		.amdhsa_accum_offset 4
		.amdhsa_reserve_vcc 0
		.amdhsa_reserve_flat_scratch 0
		.amdhsa_float_round_mode_32 0
		.amdhsa_float_round_mode_16_64 0
		.amdhsa_float_denorm_mode_32 3
		.amdhsa_float_denorm_mode_16_64 3
		.amdhsa_dx10_clamp 1
		.amdhsa_ieee_mode 1
		.amdhsa_fp16_overflow 0
		.amdhsa_tg_split 0
		.amdhsa_exception_fp_ieee_invalid_op 0
		.amdhsa_exception_fp_denorm_src 0
		.amdhsa_exception_fp_ieee_div_zero 0
		.amdhsa_exception_fp_ieee_overflow 0
		.amdhsa_exception_fp_ieee_underflow 0
		.amdhsa_exception_fp_ieee_inexact 0
		.amdhsa_exception_int_div_zero 0
	.end_amdhsa_kernel
	.section	.text._ZN7rocprim17ROCPRIM_400000_NS6detail17trampoline_kernelINS0_14default_configENS1_27scan_by_key_config_selectorIiyEEZZNS1_16scan_by_key_implILNS1_25lookback_scan_determinismE0ELb1ES3_N6thrust23THRUST_200600_302600_NS6detail15normal_iteratorINS9_10device_ptrIiEEEENSB_INSC_IyEEEESG_yNS9_4plusIvEENS9_8equal_toIvEEyEE10hipError_tPvRmT2_T3_T4_T5_mT6_T7_P12ihipStream_tbENKUlT_T0_E_clISt17integral_constantIbLb1EES10_IbLb0EEEEDaSW_SX_EUlSW_E_NS1_11comp_targetILNS1_3genE3ELNS1_11target_archE908ELNS1_3gpuE7ELNS1_3repE0EEENS1_30default_config_static_selectorELNS0_4arch9wavefront6targetE1EEEvT1_,"axG",@progbits,_ZN7rocprim17ROCPRIM_400000_NS6detail17trampoline_kernelINS0_14default_configENS1_27scan_by_key_config_selectorIiyEEZZNS1_16scan_by_key_implILNS1_25lookback_scan_determinismE0ELb1ES3_N6thrust23THRUST_200600_302600_NS6detail15normal_iteratorINS9_10device_ptrIiEEEENSB_INSC_IyEEEESG_yNS9_4plusIvEENS9_8equal_toIvEEyEE10hipError_tPvRmT2_T3_T4_T5_mT6_T7_P12ihipStream_tbENKUlT_T0_E_clISt17integral_constantIbLb1EES10_IbLb0EEEEDaSW_SX_EUlSW_E_NS1_11comp_targetILNS1_3genE3ELNS1_11target_archE908ELNS1_3gpuE7ELNS1_3repE0EEENS1_30default_config_static_selectorELNS0_4arch9wavefront6targetE1EEEvT1_,comdat
.Lfunc_end1485:
	.size	_ZN7rocprim17ROCPRIM_400000_NS6detail17trampoline_kernelINS0_14default_configENS1_27scan_by_key_config_selectorIiyEEZZNS1_16scan_by_key_implILNS1_25lookback_scan_determinismE0ELb1ES3_N6thrust23THRUST_200600_302600_NS6detail15normal_iteratorINS9_10device_ptrIiEEEENSB_INSC_IyEEEESG_yNS9_4plusIvEENS9_8equal_toIvEEyEE10hipError_tPvRmT2_T3_T4_T5_mT6_T7_P12ihipStream_tbENKUlT_T0_E_clISt17integral_constantIbLb1EES10_IbLb0EEEEDaSW_SX_EUlSW_E_NS1_11comp_targetILNS1_3genE3ELNS1_11target_archE908ELNS1_3gpuE7ELNS1_3repE0EEENS1_30default_config_static_selectorELNS0_4arch9wavefront6targetE1EEEvT1_, .Lfunc_end1485-_ZN7rocprim17ROCPRIM_400000_NS6detail17trampoline_kernelINS0_14default_configENS1_27scan_by_key_config_selectorIiyEEZZNS1_16scan_by_key_implILNS1_25lookback_scan_determinismE0ELb1ES3_N6thrust23THRUST_200600_302600_NS6detail15normal_iteratorINS9_10device_ptrIiEEEENSB_INSC_IyEEEESG_yNS9_4plusIvEENS9_8equal_toIvEEyEE10hipError_tPvRmT2_T3_T4_T5_mT6_T7_P12ihipStream_tbENKUlT_T0_E_clISt17integral_constantIbLb1EES10_IbLb0EEEEDaSW_SX_EUlSW_E_NS1_11comp_targetILNS1_3genE3ELNS1_11target_archE908ELNS1_3gpuE7ELNS1_3repE0EEENS1_30default_config_static_selectorELNS0_4arch9wavefront6targetE1EEEvT1_
                                        ; -- End function
	.section	.AMDGPU.csdata,"",@progbits
; Kernel info:
; codeLenInByte = 0
; NumSgprs: 4
; NumVgprs: 0
; NumAgprs: 0
; TotalNumVgprs: 0
; ScratchSize: 0
; MemoryBound: 0
; FloatMode: 240
; IeeeMode: 1
; LDSByteSize: 0 bytes/workgroup (compile time only)
; SGPRBlocks: 0
; VGPRBlocks: 0
; NumSGPRsForWavesPerEU: 4
; NumVGPRsForWavesPerEU: 1
; AccumOffset: 4
; Occupancy: 8
; WaveLimiterHint : 0
; COMPUTE_PGM_RSRC2:SCRATCH_EN: 0
; COMPUTE_PGM_RSRC2:USER_SGPR: 6
; COMPUTE_PGM_RSRC2:TRAP_HANDLER: 0
; COMPUTE_PGM_RSRC2:TGID_X_EN: 1
; COMPUTE_PGM_RSRC2:TGID_Y_EN: 0
; COMPUTE_PGM_RSRC2:TGID_Z_EN: 0
; COMPUTE_PGM_RSRC2:TIDIG_COMP_CNT: 0
; COMPUTE_PGM_RSRC3_GFX90A:ACCUM_OFFSET: 0
; COMPUTE_PGM_RSRC3_GFX90A:TG_SPLIT: 0
	.section	.text._ZN7rocprim17ROCPRIM_400000_NS6detail17trampoline_kernelINS0_14default_configENS1_27scan_by_key_config_selectorIiyEEZZNS1_16scan_by_key_implILNS1_25lookback_scan_determinismE0ELb1ES3_N6thrust23THRUST_200600_302600_NS6detail15normal_iteratorINS9_10device_ptrIiEEEENSB_INSC_IyEEEESG_yNS9_4plusIvEENS9_8equal_toIvEEyEE10hipError_tPvRmT2_T3_T4_T5_mT6_T7_P12ihipStream_tbENKUlT_T0_E_clISt17integral_constantIbLb1EES10_IbLb0EEEEDaSW_SX_EUlSW_E_NS1_11comp_targetILNS1_3genE2ELNS1_11target_archE906ELNS1_3gpuE6ELNS1_3repE0EEENS1_30default_config_static_selectorELNS0_4arch9wavefront6targetE1EEEvT1_,"axG",@progbits,_ZN7rocprim17ROCPRIM_400000_NS6detail17trampoline_kernelINS0_14default_configENS1_27scan_by_key_config_selectorIiyEEZZNS1_16scan_by_key_implILNS1_25lookback_scan_determinismE0ELb1ES3_N6thrust23THRUST_200600_302600_NS6detail15normal_iteratorINS9_10device_ptrIiEEEENSB_INSC_IyEEEESG_yNS9_4plusIvEENS9_8equal_toIvEEyEE10hipError_tPvRmT2_T3_T4_T5_mT6_T7_P12ihipStream_tbENKUlT_T0_E_clISt17integral_constantIbLb1EES10_IbLb0EEEEDaSW_SX_EUlSW_E_NS1_11comp_targetILNS1_3genE2ELNS1_11target_archE906ELNS1_3gpuE6ELNS1_3repE0EEENS1_30default_config_static_selectorELNS0_4arch9wavefront6targetE1EEEvT1_,comdat
	.protected	_ZN7rocprim17ROCPRIM_400000_NS6detail17trampoline_kernelINS0_14default_configENS1_27scan_by_key_config_selectorIiyEEZZNS1_16scan_by_key_implILNS1_25lookback_scan_determinismE0ELb1ES3_N6thrust23THRUST_200600_302600_NS6detail15normal_iteratorINS9_10device_ptrIiEEEENSB_INSC_IyEEEESG_yNS9_4plusIvEENS9_8equal_toIvEEyEE10hipError_tPvRmT2_T3_T4_T5_mT6_T7_P12ihipStream_tbENKUlT_T0_E_clISt17integral_constantIbLb1EES10_IbLb0EEEEDaSW_SX_EUlSW_E_NS1_11comp_targetILNS1_3genE2ELNS1_11target_archE906ELNS1_3gpuE6ELNS1_3repE0EEENS1_30default_config_static_selectorELNS0_4arch9wavefront6targetE1EEEvT1_ ; -- Begin function _ZN7rocprim17ROCPRIM_400000_NS6detail17trampoline_kernelINS0_14default_configENS1_27scan_by_key_config_selectorIiyEEZZNS1_16scan_by_key_implILNS1_25lookback_scan_determinismE0ELb1ES3_N6thrust23THRUST_200600_302600_NS6detail15normal_iteratorINS9_10device_ptrIiEEEENSB_INSC_IyEEEESG_yNS9_4plusIvEENS9_8equal_toIvEEyEE10hipError_tPvRmT2_T3_T4_T5_mT6_T7_P12ihipStream_tbENKUlT_T0_E_clISt17integral_constantIbLb1EES10_IbLb0EEEEDaSW_SX_EUlSW_E_NS1_11comp_targetILNS1_3genE2ELNS1_11target_archE906ELNS1_3gpuE6ELNS1_3repE0EEENS1_30default_config_static_selectorELNS0_4arch9wavefront6targetE1EEEvT1_
	.globl	_ZN7rocprim17ROCPRIM_400000_NS6detail17trampoline_kernelINS0_14default_configENS1_27scan_by_key_config_selectorIiyEEZZNS1_16scan_by_key_implILNS1_25lookback_scan_determinismE0ELb1ES3_N6thrust23THRUST_200600_302600_NS6detail15normal_iteratorINS9_10device_ptrIiEEEENSB_INSC_IyEEEESG_yNS9_4plusIvEENS9_8equal_toIvEEyEE10hipError_tPvRmT2_T3_T4_T5_mT6_T7_P12ihipStream_tbENKUlT_T0_E_clISt17integral_constantIbLb1EES10_IbLb0EEEEDaSW_SX_EUlSW_E_NS1_11comp_targetILNS1_3genE2ELNS1_11target_archE906ELNS1_3gpuE6ELNS1_3repE0EEENS1_30default_config_static_selectorELNS0_4arch9wavefront6targetE1EEEvT1_
	.p2align	8
	.type	_ZN7rocprim17ROCPRIM_400000_NS6detail17trampoline_kernelINS0_14default_configENS1_27scan_by_key_config_selectorIiyEEZZNS1_16scan_by_key_implILNS1_25lookback_scan_determinismE0ELb1ES3_N6thrust23THRUST_200600_302600_NS6detail15normal_iteratorINS9_10device_ptrIiEEEENSB_INSC_IyEEEESG_yNS9_4plusIvEENS9_8equal_toIvEEyEE10hipError_tPvRmT2_T3_T4_T5_mT6_T7_P12ihipStream_tbENKUlT_T0_E_clISt17integral_constantIbLb1EES10_IbLb0EEEEDaSW_SX_EUlSW_E_NS1_11comp_targetILNS1_3genE2ELNS1_11target_archE906ELNS1_3gpuE6ELNS1_3repE0EEENS1_30default_config_static_selectorELNS0_4arch9wavefront6targetE1EEEvT1_,@function
_ZN7rocprim17ROCPRIM_400000_NS6detail17trampoline_kernelINS0_14default_configENS1_27scan_by_key_config_selectorIiyEEZZNS1_16scan_by_key_implILNS1_25lookback_scan_determinismE0ELb1ES3_N6thrust23THRUST_200600_302600_NS6detail15normal_iteratorINS9_10device_ptrIiEEEENSB_INSC_IyEEEESG_yNS9_4plusIvEENS9_8equal_toIvEEyEE10hipError_tPvRmT2_T3_T4_T5_mT6_T7_P12ihipStream_tbENKUlT_T0_E_clISt17integral_constantIbLb1EES10_IbLb0EEEEDaSW_SX_EUlSW_E_NS1_11comp_targetILNS1_3genE2ELNS1_11target_archE906ELNS1_3gpuE6ELNS1_3repE0EEENS1_30default_config_static_selectorELNS0_4arch9wavefront6targetE1EEEvT1_: ; @_ZN7rocprim17ROCPRIM_400000_NS6detail17trampoline_kernelINS0_14default_configENS1_27scan_by_key_config_selectorIiyEEZZNS1_16scan_by_key_implILNS1_25lookback_scan_determinismE0ELb1ES3_N6thrust23THRUST_200600_302600_NS6detail15normal_iteratorINS9_10device_ptrIiEEEENSB_INSC_IyEEEESG_yNS9_4plusIvEENS9_8equal_toIvEEyEE10hipError_tPvRmT2_T3_T4_T5_mT6_T7_P12ihipStream_tbENKUlT_T0_E_clISt17integral_constantIbLb1EES10_IbLb0EEEEDaSW_SX_EUlSW_E_NS1_11comp_targetILNS1_3genE2ELNS1_11target_archE906ELNS1_3gpuE6ELNS1_3repE0EEENS1_30default_config_static_selectorELNS0_4arch9wavefront6targetE1EEEvT1_
; %bb.0:
	.section	.rodata,"a",@progbits
	.p2align	6, 0x0
	.amdhsa_kernel _ZN7rocprim17ROCPRIM_400000_NS6detail17trampoline_kernelINS0_14default_configENS1_27scan_by_key_config_selectorIiyEEZZNS1_16scan_by_key_implILNS1_25lookback_scan_determinismE0ELb1ES3_N6thrust23THRUST_200600_302600_NS6detail15normal_iteratorINS9_10device_ptrIiEEEENSB_INSC_IyEEEESG_yNS9_4plusIvEENS9_8equal_toIvEEyEE10hipError_tPvRmT2_T3_T4_T5_mT6_T7_P12ihipStream_tbENKUlT_T0_E_clISt17integral_constantIbLb1EES10_IbLb0EEEEDaSW_SX_EUlSW_E_NS1_11comp_targetILNS1_3genE2ELNS1_11target_archE906ELNS1_3gpuE6ELNS1_3repE0EEENS1_30default_config_static_selectorELNS0_4arch9wavefront6targetE1EEEvT1_
		.amdhsa_group_segment_fixed_size 0
		.amdhsa_private_segment_fixed_size 0
		.amdhsa_kernarg_size 136
		.amdhsa_user_sgpr_count 6
		.amdhsa_user_sgpr_private_segment_buffer 1
		.amdhsa_user_sgpr_dispatch_ptr 0
		.amdhsa_user_sgpr_queue_ptr 0
		.amdhsa_user_sgpr_kernarg_segment_ptr 1
		.amdhsa_user_sgpr_dispatch_id 0
		.amdhsa_user_sgpr_flat_scratch_init 0
		.amdhsa_user_sgpr_kernarg_preload_length 0
		.amdhsa_user_sgpr_kernarg_preload_offset 0
		.amdhsa_user_sgpr_private_segment_size 0
		.amdhsa_uses_dynamic_stack 0
		.amdhsa_system_sgpr_private_segment_wavefront_offset 0
		.amdhsa_system_sgpr_workgroup_id_x 1
		.amdhsa_system_sgpr_workgroup_id_y 0
		.amdhsa_system_sgpr_workgroup_id_z 0
		.amdhsa_system_sgpr_workgroup_info 0
		.amdhsa_system_vgpr_workitem_id 0
		.amdhsa_next_free_vgpr 1
		.amdhsa_next_free_sgpr 0
		.amdhsa_accum_offset 4
		.amdhsa_reserve_vcc 0
		.amdhsa_reserve_flat_scratch 0
		.amdhsa_float_round_mode_32 0
		.amdhsa_float_round_mode_16_64 0
		.amdhsa_float_denorm_mode_32 3
		.amdhsa_float_denorm_mode_16_64 3
		.amdhsa_dx10_clamp 1
		.amdhsa_ieee_mode 1
		.amdhsa_fp16_overflow 0
		.amdhsa_tg_split 0
		.amdhsa_exception_fp_ieee_invalid_op 0
		.amdhsa_exception_fp_denorm_src 0
		.amdhsa_exception_fp_ieee_div_zero 0
		.amdhsa_exception_fp_ieee_overflow 0
		.amdhsa_exception_fp_ieee_underflow 0
		.amdhsa_exception_fp_ieee_inexact 0
		.amdhsa_exception_int_div_zero 0
	.end_amdhsa_kernel
	.section	.text._ZN7rocprim17ROCPRIM_400000_NS6detail17trampoline_kernelINS0_14default_configENS1_27scan_by_key_config_selectorIiyEEZZNS1_16scan_by_key_implILNS1_25lookback_scan_determinismE0ELb1ES3_N6thrust23THRUST_200600_302600_NS6detail15normal_iteratorINS9_10device_ptrIiEEEENSB_INSC_IyEEEESG_yNS9_4plusIvEENS9_8equal_toIvEEyEE10hipError_tPvRmT2_T3_T4_T5_mT6_T7_P12ihipStream_tbENKUlT_T0_E_clISt17integral_constantIbLb1EES10_IbLb0EEEEDaSW_SX_EUlSW_E_NS1_11comp_targetILNS1_3genE2ELNS1_11target_archE906ELNS1_3gpuE6ELNS1_3repE0EEENS1_30default_config_static_selectorELNS0_4arch9wavefront6targetE1EEEvT1_,"axG",@progbits,_ZN7rocprim17ROCPRIM_400000_NS6detail17trampoline_kernelINS0_14default_configENS1_27scan_by_key_config_selectorIiyEEZZNS1_16scan_by_key_implILNS1_25lookback_scan_determinismE0ELb1ES3_N6thrust23THRUST_200600_302600_NS6detail15normal_iteratorINS9_10device_ptrIiEEEENSB_INSC_IyEEEESG_yNS9_4plusIvEENS9_8equal_toIvEEyEE10hipError_tPvRmT2_T3_T4_T5_mT6_T7_P12ihipStream_tbENKUlT_T0_E_clISt17integral_constantIbLb1EES10_IbLb0EEEEDaSW_SX_EUlSW_E_NS1_11comp_targetILNS1_3genE2ELNS1_11target_archE906ELNS1_3gpuE6ELNS1_3repE0EEENS1_30default_config_static_selectorELNS0_4arch9wavefront6targetE1EEEvT1_,comdat
.Lfunc_end1486:
	.size	_ZN7rocprim17ROCPRIM_400000_NS6detail17trampoline_kernelINS0_14default_configENS1_27scan_by_key_config_selectorIiyEEZZNS1_16scan_by_key_implILNS1_25lookback_scan_determinismE0ELb1ES3_N6thrust23THRUST_200600_302600_NS6detail15normal_iteratorINS9_10device_ptrIiEEEENSB_INSC_IyEEEESG_yNS9_4plusIvEENS9_8equal_toIvEEyEE10hipError_tPvRmT2_T3_T4_T5_mT6_T7_P12ihipStream_tbENKUlT_T0_E_clISt17integral_constantIbLb1EES10_IbLb0EEEEDaSW_SX_EUlSW_E_NS1_11comp_targetILNS1_3genE2ELNS1_11target_archE906ELNS1_3gpuE6ELNS1_3repE0EEENS1_30default_config_static_selectorELNS0_4arch9wavefront6targetE1EEEvT1_, .Lfunc_end1486-_ZN7rocprim17ROCPRIM_400000_NS6detail17trampoline_kernelINS0_14default_configENS1_27scan_by_key_config_selectorIiyEEZZNS1_16scan_by_key_implILNS1_25lookback_scan_determinismE0ELb1ES3_N6thrust23THRUST_200600_302600_NS6detail15normal_iteratorINS9_10device_ptrIiEEEENSB_INSC_IyEEEESG_yNS9_4plusIvEENS9_8equal_toIvEEyEE10hipError_tPvRmT2_T3_T4_T5_mT6_T7_P12ihipStream_tbENKUlT_T0_E_clISt17integral_constantIbLb1EES10_IbLb0EEEEDaSW_SX_EUlSW_E_NS1_11comp_targetILNS1_3genE2ELNS1_11target_archE906ELNS1_3gpuE6ELNS1_3repE0EEENS1_30default_config_static_selectorELNS0_4arch9wavefront6targetE1EEEvT1_
                                        ; -- End function
	.section	.AMDGPU.csdata,"",@progbits
; Kernel info:
; codeLenInByte = 0
; NumSgprs: 4
; NumVgprs: 0
; NumAgprs: 0
; TotalNumVgprs: 0
; ScratchSize: 0
; MemoryBound: 0
; FloatMode: 240
; IeeeMode: 1
; LDSByteSize: 0 bytes/workgroup (compile time only)
; SGPRBlocks: 0
; VGPRBlocks: 0
; NumSGPRsForWavesPerEU: 4
; NumVGPRsForWavesPerEU: 1
; AccumOffset: 4
; Occupancy: 8
; WaveLimiterHint : 0
; COMPUTE_PGM_RSRC2:SCRATCH_EN: 0
; COMPUTE_PGM_RSRC2:USER_SGPR: 6
; COMPUTE_PGM_RSRC2:TRAP_HANDLER: 0
; COMPUTE_PGM_RSRC2:TGID_X_EN: 1
; COMPUTE_PGM_RSRC2:TGID_Y_EN: 0
; COMPUTE_PGM_RSRC2:TGID_Z_EN: 0
; COMPUTE_PGM_RSRC2:TIDIG_COMP_CNT: 0
; COMPUTE_PGM_RSRC3_GFX90A:ACCUM_OFFSET: 0
; COMPUTE_PGM_RSRC3_GFX90A:TG_SPLIT: 0
	.section	.text._ZN7rocprim17ROCPRIM_400000_NS6detail17trampoline_kernelINS0_14default_configENS1_27scan_by_key_config_selectorIiyEEZZNS1_16scan_by_key_implILNS1_25lookback_scan_determinismE0ELb1ES3_N6thrust23THRUST_200600_302600_NS6detail15normal_iteratorINS9_10device_ptrIiEEEENSB_INSC_IyEEEESG_yNS9_4plusIvEENS9_8equal_toIvEEyEE10hipError_tPvRmT2_T3_T4_T5_mT6_T7_P12ihipStream_tbENKUlT_T0_E_clISt17integral_constantIbLb1EES10_IbLb0EEEEDaSW_SX_EUlSW_E_NS1_11comp_targetILNS1_3genE10ELNS1_11target_archE1200ELNS1_3gpuE4ELNS1_3repE0EEENS1_30default_config_static_selectorELNS0_4arch9wavefront6targetE1EEEvT1_,"axG",@progbits,_ZN7rocprim17ROCPRIM_400000_NS6detail17trampoline_kernelINS0_14default_configENS1_27scan_by_key_config_selectorIiyEEZZNS1_16scan_by_key_implILNS1_25lookback_scan_determinismE0ELb1ES3_N6thrust23THRUST_200600_302600_NS6detail15normal_iteratorINS9_10device_ptrIiEEEENSB_INSC_IyEEEESG_yNS9_4plusIvEENS9_8equal_toIvEEyEE10hipError_tPvRmT2_T3_T4_T5_mT6_T7_P12ihipStream_tbENKUlT_T0_E_clISt17integral_constantIbLb1EES10_IbLb0EEEEDaSW_SX_EUlSW_E_NS1_11comp_targetILNS1_3genE10ELNS1_11target_archE1200ELNS1_3gpuE4ELNS1_3repE0EEENS1_30default_config_static_selectorELNS0_4arch9wavefront6targetE1EEEvT1_,comdat
	.protected	_ZN7rocprim17ROCPRIM_400000_NS6detail17trampoline_kernelINS0_14default_configENS1_27scan_by_key_config_selectorIiyEEZZNS1_16scan_by_key_implILNS1_25lookback_scan_determinismE0ELb1ES3_N6thrust23THRUST_200600_302600_NS6detail15normal_iteratorINS9_10device_ptrIiEEEENSB_INSC_IyEEEESG_yNS9_4plusIvEENS9_8equal_toIvEEyEE10hipError_tPvRmT2_T3_T4_T5_mT6_T7_P12ihipStream_tbENKUlT_T0_E_clISt17integral_constantIbLb1EES10_IbLb0EEEEDaSW_SX_EUlSW_E_NS1_11comp_targetILNS1_3genE10ELNS1_11target_archE1200ELNS1_3gpuE4ELNS1_3repE0EEENS1_30default_config_static_selectorELNS0_4arch9wavefront6targetE1EEEvT1_ ; -- Begin function _ZN7rocprim17ROCPRIM_400000_NS6detail17trampoline_kernelINS0_14default_configENS1_27scan_by_key_config_selectorIiyEEZZNS1_16scan_by_key_implILNS1_25lookback_scan_determinismE0ELb1ES3_N6thrust23THRUST_200600_302600_NS6detail15normal_iteratorINS9_10device_ptrIiEEEENSB_INSC_IyEEEESG_yNS9_4plusIvEENS9_8equal_toIvEEyEE10hipError_tPvRmT2_T3_T4_T5_mT6_T7_P12ihipStream_tbENKUlT_T0_E_clISt17integral_constantIbLb1EES10_IbLb0EEEEDaSW_SX_EUlSW_E_NS1_11comp_targetILNS1_3genE10ELNS1_11target_archE1200ELNS1_3gpuE4ELNS1_3repE0EEENS1_30default_config_static_selectorELNS0_4arch9wavefront6targetE1EEEvT1_
	.globl	_ZN7rocprim17ROCPRIM_400000_NS6detail17trampoline_kernelINS0_14default_configENS1_27scan_by_key_config_selectorIiyEEZZNS1_16scan_by_key_implILNS1_25lookback_scan_determinismE0ELb1ES3_N6thrust23THRUST_200600_302600_NS6detail15normal_iteratorINS9_10device_ptrIiEEEENSB_INSC_IyEEEESG_yNS9_4plusIvEENS9_8equal_toIvEEyEE10hipError_tPvRmT2_T3_T4_T5_mT6_T7_P12ihipStream_tbENKUlT_T0_E_clISt17integral_constantIbLb1EES10_IbLb0EEEEDaSW_SX_EUlSW_E_NS1_11comp_targetILNS1_3genE10ELNS1_11target_archE1200ELNS1_3gpuE4ELNS1_3repE0EEENS1_30default_config_static_selectorELNS0_4arch9wavefront6targetE1EEEvT1_
	.p2align	8
	.type	_ZN7rocprim17ROCPRIM_400000_NS6detail17trampoline_kernelINS0_14default_configENS1_27scan_by_key_config_selectorIiyEEZZNS1_16scan_by_key_implILNS1_25lookback_scan_determinismE0ELb1ES3_N6thrust23THRUST_200600_302600_NS6detail15normal_iteratorINS9_10device_ptrIiEEEENSB_INSC_IyEEEESG_yNS9_4plusIvEENS9_8equal_toIvEEyEE10hipError_tPvRmT2_T3_T4_T5_mT6_T7_P12ihipStream_tbENKUlT_T0_E_clISt17integral_constantIbLb1EES10_IbLb0EEEEDaSW_SX_EUlSW_E_NS1_11comp_targetILNS1_3genE10ELNS1_11target_archE1200ELNS1_3gpuE4ELNS1_3repE0EEENS1_30default_config_static_selectorELNS0_4arch9wavefront6targetE1EEEvT1_,@function
_ZN7rocprim17ROCPRIM_400000_NS6detail17trampoline_kernelINS0_14default_configENS1_27scan_by_key_config_selectorIiyEEZZNS1_16scan_by_key_implILNS1_25lookback_scan_determinismE0ELb1ES3_N6thrust23THRUST_200600_302600_NS6detail15normal_iteratorINS9_10device_ptrIiEEEENSB_INSC_IyEEEESG_yNS9_4plusIvEENS9_8equal_toIvEEyEE10hipError_tPvRmT2_T3_T4_T5_mT6_T7_P12ihipStream_tbENKUlT_T0_E_clISt17integral_constantIbLb1EES10_IbLb0EEEEDaSW_SX_EUlSW_E_NS1_11comp_targetILNS1_3genE10ELNS1_11target_archE1200ELNS1_3gpuE4ELNS1_3repE0EEENS1_30default_config_static_selectorELNS0_4arch9wavefront6targetE1EEEvT1_: ; @_ZN7rocprim17ROCPRIM_400000_NS6detail17trampoline_kernelINS0_14default_configENS1_27scan_by_key_config_selectorIiyEEZZNS1_16scan_by_key_implILNS1_25lookback_scan_determinismE0ELb1ES3_N6thrust23THRUST_200600_302600_NS6detail15normal_iteratorINS9_10device_ptrIiEEEENSB_INSC_IyEEEESG_yNS9_4plusIvEENS9_8equal_toIvEEyEE10hipError_tPvRmT2_T3_T4_T5_mT6_T7_P12ihipStream_tbENKUlT_T0_E_clISt17integral_constantIbLb1EES10_IbLb0EEEEDaSW_SX_EUlSW_E_NS1_11comp_targetILNS1_3genE10ELNS1_11target_archE1200ELNS1_3gpuE4ELNS1_3repE0EEENS1_30default_config_static_selectorELNS0_4arch9wavefront6targetE1EEEvT1_
; %bb.0:
	.section	.rodata,"a",@progbits
	.p2align	6, 0x0
	.amdhsa_kernel _ZN7rocprim17ROCPRIM_400000_NS6detail17trampoline_kernelINS0_14default_configENS1_27scan_by_key_config_selectorIiyEEZZNS1_16scan_by_key_implILNS1_25lookback_scan_determinismE0ELb1ES3_N6thrust23THRUST_200600_302600_NS6detail15normal_iteratorINS9_10device_ptrIiEEEENSB_INSC_IyEEEESG_yNS9_4plusIvEENS9_8equal_toIvEEyEE10hipError_tPvRmT2_T3_T4_T5_mT6_T7_P12ihipStream_tbENKUlT_T0_E_clISt17integral_constantIbLb1EES10_IbLb0EEEEDaSW_SX_EUlSW_E_NS1_11comp_targetILNS1_3genE10ELNS1_11target_archE1200ELNS1_3gpuE4ELNS1_3repE0EEENS1_30default_config_static_selectorELNS0_4arch9wavefront6targetE1EEEvT1_
		.amdhsa_group_segment_fixed_size 0
		.amdhsa_private_segment_fixed_size 0
		.amdhsa_kernarg_size 136
		.amdhsa_user_sgpr_count 6
		.amdhsa_user_sgpr_private_segment_buffer 1
		.amdhsa_user_sgpr_dispatch_ptr 0
		.amdhsa_user_sgpr_queue_ptr 0
		.amdhsa_user_sgpr_kernarg_segment_ptr 1
		.amdhsa_user_sgpr_dispatch_id 0
		.amdhsa_user_sgpr_flat_scratch_init 0
		.amdhsa_user_sgpr_kernarg_preload_length 0
		.amdhsa_user_sgpr_kernarg_preload_offset 0
		.amdhsa_user_sgpr_private_segment_size 0
		.amdhsa_uses_dynamic_stack 0
		.amdhsa_system_sgpr_private_segment_wavefront_offset 0
		.amdhsa_system_sgpr_workgroup_id_x 1
		.amdhsa_system_sgpr_workgroup_id_y 0
		.amdhsa_system_sgpr_workgroup_id_z 0
		.amdhsa_system_sgpr_workgroup_info 0
		.amdhsa_system_vgpr_workitem_id 0
		.amdhsa_next_free_vgpr 1
		.amdhsa_next_free_sgpr 0
		.amdhsa_accum_offset 4
		.amdhsa_reserve_vcc 0
		.amdhsa_reserve_flat_scratch 0
		.amdhsa_float_round_mode_32 0
		.amdhsa_float_round_mode_16_64 0
		.amdhsa_float_denorm_mode_32 3
		.amdhsa_float_denorm_mode_16_64 3
		.amdhsa_dx10_clamp 1
		.amdhsa_ieee_mode 1
		.amdhsa_fp16_overflow 0
		.amdhsa_tg_split 0
		.amdhsa_exception_fp_ieee_invalid_op 0
		.amdhsa_exception_fp_denorm_src 0
		.amdhsa_exception_fp_ieee_div_zero 0
		.amdhsa_exception_fp_ieee_overflow 0
		.amdhsa_exception_fp_ieee_underflow 0
		.amdhsa_exception_fp_ieee_inexact 0
		.amdhsa_exception_int_div_zero 0
	.end_amdhsa_kernel
	.section	.text._ZN7rocprim17ROCPRIM_400000_NS6detail17trampoline_kernelINS0_14default_configENS1_27scan_by_key_config_selectorIiyEEZZNS1_16scan_by_key_implILNS1_25lookback_scan_determinismE0ELb1ES3_N6thrust23THRUST_200600_302600_NS6detail15normal_iteratorINS9_10device_ptrIiEEEENSB_INSC_IyEEEESG_yNS9_4plusIvEENS9_8equal_toIvEEyEE10hipError_tPvRmT2_T3_T4_T5_mT6_T7_P12ihipStream_tbENKUlT_T0_E_clISt17integral_constantIbLb1EES10_IbLb0EEEEDaSW_SX_EUlSW_E_NS1_11comp_targetILNS1_3genE10ELNS1_11target_archE1200ELNS1_3gpuE4ELNS1_3repE0EEENS1_30default_config_static_selectorELNS0_4arch9wavefront6targetE1EEEvT1_,"axG",@progbits,_ZN7rocprim17ROCPRIM_400000_NS6detail17trampoline_kernelINS0_14default_configENS1_27scan_by_key_config_selectorIiyEEZZNS1_16scan_by_key_implILNS1_25lookback_scan_determinismE0ELb1ES3_N6thrust23THRUST_200600_302600_NS6detail15normal_iteratorINS9_10device_ptrIiEEEENSB_INSC_IyEEEESG_yNS9_4plusIvEENS9_8equal_toIvEEyEE10hipError_tPvRmT2_T3_T4_T5_mT6_T7_P12ihipStream_tbENKUlT_T0_E_clISt17integral_constantIbLb1EES10_IbLb0EEEEDaSW_SX_EUlSW_E_NS1_11comp_targetILNS1_3genE10ELNS1_11target_archE1200ELNS1_3gpuE4ELNS1_3repE0EEENS1_30default_config_static_selectorELNS0_4arch9wavefront6targetE1EEEvT1_,comdat
.Lfunc_end1487:
	.size	_ZN7rocprim17ROCPRIM_400000_NS6detail17trampoline_kernelINS0_14default_configENS1_27scan_by_key_config_selectorIiyEEZZNS1_16scan_by_key_implILNS1_25lookback_scan_determinismE0ELb1ES3_N6thrust23THRUST_200600_302600_NS6detail15normal_iteratorINS9_10device_ptrIiEEEENSB_INSC_IyEEEESG_yNS9_4plusIvEENS9_8equal_toIvEEyEE10hipError_tPvRmT2_T3_T4_T5_mT6_T7_P12ihipStream_tbENKUlT_T0_E_clISt17integral_constantIbLb1EES10_IbLb0EEEEDaSW_SX_EUlSW_E_NS1_11comp_targetILNS1_3genE10ELNS1_11target_archE1200ELNS1_3gpuE4ELNS1_3repE0EEENS1_30default_config_static_selectorELNS0_4arch9wavefront6targetE1EEEvT1_, .Lfunc_end1487-_ZN7rocprim17ROCPRIM_400000_NS6detail17trampoline_kernelINS0_14default_configENS1_27scan_by_key_config_selectorIiyEEZZNS1_16scan_by_key_implILNS1_25lookback_scan_determinismE0ELb1ES3_N6thrust23THRUST_200600_302600_NS6detail15normal_iteratorINS9_10device_ptrIiEEEENSB_INSC_IyEEEESG_yNS9_4plusIvEENS9_8equal_toIvEEyEE10hipError_tPvRmT2_T3_T4_T5_mT6_T7_P12ihipStream_tbENKUlT_T0_E_clISt17integral_constantIbLb1EES10_IbLb0EEEEDaSW_SX_EUlSW_E_NS1_11comp_targetILNS1_3genE10ELNS1_11target_archE1200ELNS1_3gpuE4ELNS1_3repE0EEENS1_30default_config_static_selectorELNS0_4arch9wavefront6targetE1EEEvT1_
                                        ; -- End function
	.section	.AMDGPU.csdata,"",@progbits
; Kernel info:
; codeLenInByte = 0
; NumSgprs: 4
; NumVgprs: 0
; NumAgprs: 0
; TotalNumVgprs: 0
; ScratchSize: 0
; MemoryBound: 0
; FloatMode: 240
; IeeeMode: 1
; LDSByteSize: 0 bytes/workgroup (compile time only)
; SGPRBlocks: 0
; VGPRBlocks: 0
; NumSGPRsForWavesPerEU: 4
; NumVGPRsForWavesPerEU: 1
; AccumOffset: 4
; Occupancy: 8
; WaveLimiterHint : 0
; COMPUTE_PGM_RSRC2:SCRATCH_EN: 0
; COMPUTE_PGM_RSRC2:USER_SGPR: 6
; COMPUTE_PGM_RSRC2:TRAP_HANDLER: 0
; COMPUTE_PGM_RSRC2:TGID_X_EN: 1
; COMPUTE_PGM_RSRC2:TGID_Y_EN: 0
; COMPUTE_PGM_RSRC2:TGID_Z_EN: 0
; COMPUTE_PGM_RSRC2:TIDIG_COMP_CNT: 0
; COMPUTE_PGM_RSRC3_GFX90A:ACCUM_OFFSET: 0
; COMPUTE_PGM_RSRC3_GFX90A:TG_SPLIT: 0
	.section	.text._ZN7rocprim17ROCPRIM_400000_NS6detail17trampoline_kernelINS0_14default_configENS1_27scan_by_key_config_selectorIiyEEZZNS1_16scan_by_key_implILNS1_25lookback_scan_determinismE0ELb1ES3_N6thrust23THRUST_200600_302600_NS6detail15normal_iteratorINS9_10device_ptrIiEEEENSB_INSC_IyEEEESG_yNS9_4plusIvEENS9_8equal_toIvEEyEE10hipError_tPvRmT2_T3_T4_T5_mT6_T7_P12ihipStream_tbENKUlT_T0_E_clISt17integral_constantIbLb1EES10_IbLb0EEEEDaSW_SX_EUlSW_E_NS1_11comp_targetILNS1_3genE9ELNS1_11target_archE1100ELNS1_3gpuE3ELNS1_3repE0EEENS1_30default_config_static_selectorELNS0_4arch9wavefront6targetE1EEEvT1_,"axG",@progbits,_ZN7rocprim17ROCPRIM_400000_NS6detail17trampoline_kernelINS0_14default_configENS1_27scan_by_key_config_selectorIiyEEZZNS1_16scan_by_key_implILNS1_25lookback_scan_determinismE0ELb1ES3_N6thrust23THRUST_200600_302600_NS6detail15normal_iteratorINS9_10device_ptrIiEEEENSB_INSC_IyEEEESG_yNS9_4plusIvEENS9_8equal_toIvEEyEE10hipError_tPvRmT2_T3_T4_T5_mT6_T7_P12ihipStream_tbENKUlT_T0_E_clISt17integral_constantIbLb1EES10_IbLb0EEEEDaSW_SX_EUlSW_E_NS1_11comp_targetILNS1_3genE9ELNS1_11target_archE1100ELNS1_3gpuE3ELNS1_3repE0EEENS1_30default_config_static_selectorELNS0_4arch9wavefront6targetE1EEEvT1_,comdat
	.protected	_ZN7rocprim17ROCPRIM_400000_NS6detail17trampoline_kernelINS0_14default_configENS1_27scan_by_key_config_selectorIiyEEZZNS1_16scan_by_key_implILNS1_25lookback_scan_determinismE0ELb1ES3_N6thrust23THRUST_200600_302600_NS6detail15normal_iteratorINS9_10device_ptrIiEEEENSB_INSC_IyEEEESG_yNS9_4plusIvEENS9_8equal_toIvEEyEE10hipError_tPvRmT2_T3_T4_T5_mT6_T7_P12ihipStream_tbENKUlT_T0_E_clISt17integral_constantIbLb1EES10_IbLb0EEEEDaSW_SX_EUlSW_E_NS1_11comp_targetILNS1_3genE9ELNS1_11target_archE1100ELNS1_3gpuE3ELNS1_3repE0EEENS1_30default_config_static_selectorELNS0_4arch9wavefront6targetE1EEEvT1_ ; -- Begin function _ZN7rocprim17ROCPRIM_400000_NS6detail17trampoline_kernelINS0_14default_configENS1_27scan_by_key_config_selectorIiyEEZZNS1_16scan_by_key_implILNS1_25lookback_scan_determinismE0ELb1ES3_N6thrust23THRUST_200600_302600_NS6detail15normal_iteratorINS9_10device_ptrIiEEEENSB_INSC_IyEEEESG_yNS9_4plusIvEENS9_8equal_toIvEEyEE10hipError_tPvRmT2_T3_T4_T5_mT6_T7_P12ihipStream_tbENKUlT_T0_E_clISt17integral_constantIbLb1EES10_IbLb0EEEEDaSW_SX_EUlSW_E_NS1_11comp_targetILNS1_3genE9ELNS1_11target_archE1100ELNS1_3gpuE3ELNS1_3repE0EEENS1_30default_config_static_selectorELNS0_4arch9wavefront6targetE1EEEvT1_
	.globl	_ZN7rocprim17ROCPRIM_400000_NS6detail17trampoline_kernelINS0_14default_configENS1_27scan_by_key_config_selectorIiyEEZZNS1_16scan_by_key_implILNS1_25lookback_scan_determinismE0ELb1ES3_N6thrust23THRUST_200600_302600_NS6detail15normal_iteratorINS9_10device_ptrIiEEEENSB_INSC_IyEEEESG_yNS9_4plusIvEENS9_8equal_toIvEEyEE10hipError_tPvRmT2_T3_T4_T5_mT6_T7_P12ihipStream_tbENKUlT_T0_E_clISt17integral_constantIbLb1EES10_IbLb0EEEEDaSW_SX_EUlSW_E_NS1_11comp_targetILNS1_3genE9ELNS1_11target_archE1100ELNS1_3gpuE3ELNS1_3repE0EEENS1_30default_config_static_selectorELNS0_4arch9wavefront6targetE1EEEvT1_
	.p2align	8
	.type	_ZN7rocprim17ROCPRIM_400000_NS6detail17trampoline_kernelINS0_14default_configENS1_27scan_by_key_config_selectorIiyEEZZNS1_16scan_by_key_implILNS1_25lookback_scan_determinismE0ELb1ES3_N6thrust23THRUST_200600_302600_NS6detail15normal_iteratorINS9_10device_ptrIiEEEENSB_INSC_IyEEEESG_yNS9_4plusIvEENS9_8equal_toIvEEyEE10hipError_tPvRmT2_T3_T4_T5_mT6_T7_P12ihipStream_tbENKUlT_T0_E_clISt17integral_constantIbLb1EES10_IbLb0EEEEDaSW_SX_EUlSW_E_NS1_11comp_targetILNS1_3genE9ELNS1_11target_archE1100ELNS1_3gpuE3ELNS1_3repE0EEENS1_30default_config_static_selectorELNS0_4arch9wavefront6targetE1EEEvT1_,@function
_ZN7rocprim17ROCPRIM_400000_NS6detail17trampoline_kernelINS0_14default_configENS1_27scan_by_key_config_selectorIiyEEZZNS1_16scan_by_key_implILNS1_25lookback_scan_determinismE0ELb1ES3_N6thrust23THRUST_200600_302600_NS6detail15normal_iteratorINS9_10device_ptrIiEEEENSB_INSC_IyEEEESG_yNS9_4plusIvEENS9_8equal_toIvEEyEE10hipError_tPvRmT2_T3_T4_T5_mT6_T7_P12ihipStream_tbENKUlT_T0_E_clISt17integral_constantIbLb1EES10_IbLb0EEEEDaSW_SX_EUlSW_E_NS1_11comp_targetILNS1_3genE9ELNS1_11target_archE1100ELNS1_3gpuE3ELNS1_3repE0EEENS1_30default_config_static_selectorELNS0_4arch9wavefront6targetE1EEEvT1_: ; @_ZN7rocprim17ROCPRIM_400000_NS6detail17trampoline_kernelINS0_14default_configENS1_27scan_by_key_config_selectorIiyEEZZNS1_16scan_by_key_implILNS1_25lookback_scan_determinismE0ELb1ES3_N6thrust23THRUST_200600_302600_NS6detail15normal_iteratorINS9_10device_ptrIiEEEENSB_INSC_IyEEEESG_yNS9_4plusIvEENS9_8equal_toIvEEyEE10hipError_tPvRmT2_T3_T4_T5_mT6_T7_P12ihipStream_tbENKUlT_T0_E_clISt17integral_constantIbLb1EES10_IbLb0EEEEDaSW_SX_EUlSW_E_NS1_11comp_targetILNS1_3genE9ELNS1_11target_archE1100ELNS1_3gpuE3ELNS1_3repE0EEENS1_30default_config_static_selectorELNS0_4arch9wavefront6targetE1EEEvT1_
; %bb.0:
	.section	.rodata,"a",@progbits
	.p2align	6, 0x0
	.amdhsa_kernel _ZN7rocprim17ROCPRIM_400000_NS6detail17trampoline_kernelINS0_14default_configENS1_27scan_by_key_config_selectorIiyEEZZNS1_16scan_by_key_implILNS1_25lookback_scan_determinismE0ELb1ES3_N6thrust23THRUST_200600_302600_NS6detail15normal_iteratorINS9_10device_ptrIiEEEENSB_INSC_IyEEEESG_yNS9_4plusIvEENS9_8equal_toIvEEyEE10hipError_tPvRmT2_T3_T4_T5_mT6_T7_P12ihipStream_tbENKUlT_T0_E_clISt17integral_constantIbLb1EES10_IbLb0EEEEDaSW_SX_EUlSW_E_NS1_11comp_targetILNS1_3genE9ELNS1_11target_archE1100ELNS1_3gpuE3ELNS1_3repE0EEENS1_30default_config_static_selectorELNS0_4arch9wavefront6targetE1EEEvT1_
		.amdhsa_group_segment_fixed_size 0
		.amdhsa_private_segment_fixed_size 0
		.amdhsa_kernarg_size 136
		.amdhsa_user_sgpr_count 6
		.amdhsa_user_sgpr_private_segment_buffer 1
		.amdhsa_user_sgpr_dispatch_ptr 0
		.amdhsa_user_sgpr_queue_ptr 0
		.amdhsa_user_sgpr_kernarg_segment_ptr 1
		.amdhsa_user_sgpr_dispatch_id 0
		.amdhsa_user_sgpr_flat_scratch_init 0
		.amdhsa_user_sgpr_kernarg_preload_length 0
		.amdhsa_user_sgpr_kernarg_preload_offset 0
		.amdhsa_user_sgpr_private_segment_size 0
		.amdhsa_uses_dynamic_stack 0
		.amdhsa_system_sgpr_private_segment_wavefront_offset 0
		.amdhsa_system_sgpr_workgroup_id_x 1
		.amdhsa_system_sgpr_workgroup_id_y 0
		.amdhsa_system_sgpr_workgroup_id_z 0
		.amdhsa_system_sgpr_workgroup_info 0
		.amdhsa_system_vgpr_workitem_id 0
		.amdhsa_next_free_vgpr 1
		.amdhsa_next_free_sgpr 0
		.amdhsa_accum_offset 4
		.amdhsa_reserve_vcc 0
		.amdhsa_reserve_flat_scratch 0
		.amdhsa_float_round_mode_32 0
		.amdhsa_float_round_mode_16_64 0
		.amdhsa_float_denorm_mode_32 3
		.amdhsa_float_denorm_mode_16_64 3
		.amdhsa_dx10_clamp 1
		.amdhsa_ieee_mode 1
		.amdhsa_fp16_overflow 0
		.amdhsa_tg_split 0
		.amdhsa_exception_fp_ieee_invalid_op 0
		.amdhsa_exception_fp_denorm_src 0
		.amdhsa_exception_fp_ieee_div_zero 0
		.amdhsa_exception_fp_ieee_overflow 0
		.amdhsa_exception_fp_ieee_underflow 0
		.amdhsa_exception_fp_ieee_inexact 0
		.amdhsa_exception_int_div_zero 0
	.end_amdhsa_kernel
	.section	.text._ZN7rocprim17ROCPRIM_400000_NS6detail17trampoline_kernelINS0_14default_configENS1_27scan_by_key_config_selectorIiyEEZZNS1_16scan_by_key_implILNS1_25lookback_scan_determinismE0ELb1ES3_N6thrust23THRUST_200600_302600_NS6detail15normal_iteratorINS9_10device_ptrIiEEEENSB_INSC_IyEEEESG_yNS9_4plusIvEENS9_8equal_toIvEEyEE10hipError_tPvRmT2_T3_T4_T5_mT6_T7_P12ihipStream_tbENKUlT_T0_E_clISt17integral_constantIbLb1EES10_IbLb0EEEEDaSW_SX_EUlSW_E_NS1_11comp_targetILNS1_3genE9ELNS1_11target_archE1100ELNS1_3gpuE3ELNS1_3repE0EEENS1_30default_config_static_selectorELNS0_4arch9wavefront6targetE1EEEvT1_,"axG",@progbits,_ZN7rocprim17ROCPRIM_400000_NS6detail17trampoline_kernelINS0_14default_configENS1_27scan_by_key_config_selectorIiyEEZZNS1_16scan_by_key_implILNS1_25lookback_scan_determinismE0ELb1ES3_N6thrust23THRUST_200600_302600_NS6detail15normal_iteratorINS9_10device_ptrIiEEEENSB_INSC_IyEEEESG_yNS9_4plusIvEENS9_8equal_toIvEEyEE10hipError_tPvRmT2_T3_T4_T5_mT6_T7_P12ihipStream_tbENKUlT_T0_E_clISt17integral_constantIbLb1EES10_IbLb0EEEEDaSW_SX_EUlSW_E_NS1_11comp_targetILNS1_3genE9ELNS1_11target_archE1100ELNS1_3gpuE3ELNS1_3repE0EEENS1_30default_config_static_selectorELNS0_4arch9wavefront6targetE1EEEvT1_,comdat
.Lfunc_end1488:
	.size	_ZN7rocprim17ROCPRIM_400000_NS6detail17trampoline_kernelINS0_14default_configENS1_27scan_by_key_config_selectorIiyEEZZNS1_16scan_by_key_implILNS1_25lookback_scan_determinismE0ELb1ES3_N6thrust23THRUST_200600_302600_NS6detail15normal_iteratorINS9_10device_ptrIiEEEENSB_INSC_IyEEEESG_yNS9_4plusIvEENS9_8equal_toIvEEyEE10hipError_tPvRmT2_T3_T4_T5_mT6_T7_P12ihipStream_tbENKUlT_T0_E_clISt17integral_constantIbLb1EES10_IbLb0EEEEDaSW_SX_EUlSW_E_NS1_11comp_targetILNS1_3genE9ELNS1_11target_archE1100ELNS1_3gpuE3ELNS1_3repE0EEENS1_30default_config_static_selectorELNS0_4arch9wavefront6targetE1EEEvT1_, .Lfunc_end1488-_ZN7rocprim17ROCPRIM_400000_NS6detail17trampoline_kernelINS0_14default_configENS1_27scan_by_key_config_selectorIiyEEZZNS1_16scan_by_key_implILNS1_25lookback_scan_determinismE0ELb1ES3_N6thrust23THRUST_200600_302600_NS6detail15normal_iteratorINS9_10device_ptrIiEEEENSB_INSC_IyEEEESG_yNS9_4plusIvEENS9_8equal_toIvEEyEE10hipError_tPvRmT2_T3_T4_T5_mT6_T7_P12ihipStream_tbENKUlT_T0_E_clISt17integral_constantIbLb1EES10_IbLb0EEEEDaSW_SX_EUlSW_E_NS1_11comp_targetILNS1_3genE9ELNS1_11target_archE1100ELNS1_3gpuE3ELNS1_3repE0EEENS1_30default_config_static_selectorELNS0_4arch9wavefront6targetE1EEEvT1_
                                        ; -- End function
	.section	.AMDGPU.csdata,"",@progbits
; Kernel info:
; codeLenInByte = 0
; NumSgprs: 4
; NumVgprs: 0
; NumAgprs: 0
; TotalNumVgprs: 0
; ScratchSize: 0
; MemoryBound: 0
; FloatMode: 240
; IeeeMode: 1
; LDSByteSize: 0 bytes/workgroup (compile time only)
; SGPRBlocks: 0
; VGPRBlocks: 0
; NumSGPRsForWavesPerEU: 4
; NumVGPRsForWavesPerEU: 1
; AccumOffset: 4
; Occupancy: 8
; WaveLimiterHint : 0
; COMPUTE_PGM_RSRC2:SCRATCH_EN: 0
; COMPUTE_PGM_RSRC2:USER_SGPR: 6
; COMPUTE_PGM_RSRC2:TRAP_HANDLER: 0
; COMPUTE_PGM_RSRC2:TGID_X_EN: 1
; COMPUTE_PGM_RSRC2:TGID_Y_EN: 0
; COMPUTE_PGM_RSRC2:TGID_Z_EN: 0
; COMPUTE_PGM_RSRC2:TIDIG_COMP_CNT: 0
; COMPUTE_PGM_RSRC3_GFX90A:ACCUM_OFFSET: 0
; COMPUTE_PGM_RSRC3_GFX90A:TG_SPLIT: 0
	.section	.text._ZN7rocprim17ROCPRIM_400000_NS6detail17trampoline_kernelINS0_14default_configENS1_27scan_by_key_config_selectorIiyEEZZNS1_16scan_by_key_implILNS1_25lookback_scan_determinismE0ELb1ES3_N6thrust23THRUST_200600_302600_NS6detail15normal_iteratorINS9_10device_ptrIiEEEENSB_INSC_IyEEEESG_yNS9_4plusIvEENS9_8equal_toIvEEyEE10hipError_tPvRmT2_T3_T4_T5_mT6_T7_P12ihipStream_tbENKUlT_T0_E_clISt17integral_constantIbLb1EES10_IbLb0EEEEDaSW_SX_EUlSW_E_NS1_11comp_targetILNS1_3genE8ELNS1_11target_archE1030ELNS1_3gpuE2ELNS1_3repE0EEENS1_30default_config_static_selectorELNS0_4arch9wavefront6targetE1EEEvT1_,"axG",@progbits,_ZN7rocprim17ROCPRIM_400000_NS6detail17trampoline_kernelINS0_14default_configENS1_27scan_by_key_config_selectorIiyEEZZNS1_16scan_by_key_implILNS1_25lookback_scan_determinismE0ELb1ES3_N6thrust23THRUST_200600_302600_NS6detail15normal_iteratorINS9_10device_ptrIiEEEENSB_INSC_IyEEEESG_yNS9_4plusIvEENS9_8equal_toIvEEyEE10hipError_tPvRmT2_T3_T4_T5_mT6_T7_P12ihipStream_tbENKUlT_T0_E_clISt17integral_constantIbLb1EES10_IbLb0EEEEDaSW_SX_EUlSW_E_NS1_11comp_targetILNS1_3genE8ELNS1_11target_archE1030ELNS1_3gpuE2ELNS1_3repE0EEENS1_30default_config_static_selectorELNS0_4arch9wavefront6targetE1EEEvT1_,comdat
	.protected	_ZN7rocprim17ROCPRIM_400000_NS6detail17trampoline_kernelINS0_14default_configENS1_27scan_by_key_config_selectorIiyEEZZNS1_16scan_by_key_implILNS1_25lookback_scan_determinismE0ELb1ES3_N6thrust23THRUST_200600_302600_NS6detail15normal_iteratorINS9_10device_ptrIiEEEENSB_INSC_IyEEEESG_yNS9_4plusIvEENS9_8equal_toIvEEyEE10hipError_tPvRmT2_T3_T4_T5_mT6_T7_P12ihipStream_tbENKUlT_T0_E_clISt17integral_constantIbLb1EES10_IbLb0EEEEDaSW_SX_EUlSW_E_NS1_11comp_targetILNS1_3genE8ELNS1_11target_archE1030ELNS1_3gpuE2ELNS1_3repE0EEENS1_30default_config_static_selectorELNS0_4arch9wavefront6targetE1EEEvT1_ ; -- Begin function _ZN7rocprim17ROCPRIM_400000_NS6detail17trampoline_kernelINS0_14default_configENS1_27scan_by_key_config_selectorIiyEEZZNS1_16scan_by_key_implILNS1_25lookback_scan_determinismE0ELb1ES3_N6thrust23THRUST_200600_302600_NS6detail15normal_iteratorINS9_10device_ptrIiEEEENSB_INSC_IyEEEESG_yNS9_4plusIvEENS9_8equal_toIvEEyEE10hipError_tPvRmT2_T3_T4_T5_mT6_T7_P12ihipStream_tbENKUlT_T0_E_clISt17integral_constantIbLb1EES10_IbLb0EEEEDaSW_SX_EUlSW_E_NS1_11comp_targetILNS1_3genE8ELNS1_11target_archE1030ELNS1_3gpuE2ELNS1_3repE0EEENS1_30default_config_static_selectorELNS0_4arch9wavefront6targetE1EEEvT1_
	.globl	_ZN7rocprim17ROCPRIM_400000_NS6detail17trampoline_kernelINS0_14default_configENS1_27scan_by_key_config_selectorIiyEEZZNS1_16scan_by_key_implILNS1_25lookback_scan_determinismE0ELb1ES3_N6thrust23THRUST_200600_302600_NS6detail15normal_iteratorINS9_10device_ptrIiEEEENSB_INSC_IyEEEESG_yNS9_4plusIvEENS9_8equal_toIvEEyEE10hipError_tPvRmT2_T3_T4_T5_mT6_T7_P12ihipStream_tbENKUlT_T0_E_clISt17integral_constantIbLb1EES10_IbLb0EEEEDaSW_SX_EUlSW_E_NS1_11comp_targetILNS1_3genE8ELNS1_11target_archE1030ELNS1_3gpuE2ELNS1_3repE0EEENS1_30default_config_static_selectorELNS0_4arch9wavefront6targetE1EEEvT1_
	.p2align	8
	.type	_ZN7rocprim17ROCPRIM_400000_NS6detail17trampoline_kernelINS0_14default_configENS1_27scan_by_key_config_selectorIiyEEZZNS1_16scan_by_key_implILNS1_25lookback_scan_determinismE0ELb1ES3_N6thrust23THRUST_200600_302600_NS6detail15normal_iteratorINS9_10device_ptrIiEEEENSB_INSC_IyEEEESG_yNS9_4plusIvEENS9_8equal_toIvEEyEE10hipError_tPvRmT2_T3_T4_T5_mT6_T7_P12ihipStream_tbENKUlT_T0_E_clISt17integral_constantIbLb1EES10_IbLb0EEEEDaSW_SX_EUlSW_E_NS1_11comp_targetILNS1_3genE8ELNS1_11target_archE1030ELNS1_3gpuE2ELNS1_3repE0EEENS1_30default_config_static_selectorELNS0_4arch9wavefront6targetE1EEEvT1_,@function
_ZN7rocprim17ROCPRIM_400000_NS6detail17trampoline_kernelINS0_14default_configENS1_27scan_by_key_config_selectorIiyEEZZNS1_16scan_by_key_implILNS1_25lookback_scan_determinismE0ELb1ES3_N6thrust23THRUST_200600_302600_NS6detail15normal_iteratorINS9_10device_ptrIiEEEENSB_INSC_IyEEEESG_yNS9_4plusIvEENS9_8equal_toIvEEyEE10hipError_tPvRmT2_T3_T4_T5_mT6_T7_P12ihipStream_tbENKUlT_T0_E_clISt17integral_constantIbLb1EES10_IbLb0EEEEDaSW_SX_EUlSW_E_NS1_11comp_targetILNS1_3genE8ELNS1_11target_archE1030ELNS1_3gpuE2ELNS1_3repE0EEENS1_30default_config_static_selectorELNS0_4arch9wavefront6targetE1EEEvT1_: ; @_ZN7rocprim17ROCPRIM_400000_NS6detail17trampoline_kernelINS0_14default_configENS1_27scan_by_key_config_selectorIiyEEZZNS1_16scan_by_key_implILNS1_25lookback_scan_determinismE0ELb1ES3_N6thrust23THRUST_200600_302600_NS6detail15normal_iteratorINS9_10device_ptrIiEEEENSB_INSC_IyEEEESG_yNS9_4plusIvEENS9_8equal_toIvEEyEE10hipError_tPvRmT2_T3_T4_T5_mT6_T7_P12ihipStream_tbENKUlT_T0_E_clISt17integral_constantIbLb1EES10_IbLb0EEEEDaSW_SX_EUlSW_E_NS1_11comp_targetILNS1_3genE8ELNS1_11target_archE1030ELNS1_3gpuE2ELNS1_3repE0EEENS1_30default_config_static_selectorELNS0_4arch9wavefront6targetE1EEEvT1_
; %bb.0:
	.section	.rodata,"a",@progbits
	.p2align	6, 0x0
	.amdhsa_kernel _ZN7rocprim17ROCPRIM_400000_NS6detail17trampoline_kernelINS0_14default_configENS1_27scan_by_key_config_selectorIiyEEZZNS1_16scan_by_key_implILNS1_25lookback_scan_determinismE0ELb1ES3_N6thrust23THRUST_200600_302600_NS6detail15normal_iteratorINS9_10device_ptrIiEEEENSB_INSC_IyEEEESG_yNS9_4plusIvEENS9_8equal_toIvEEyEE10hipError_tPvRmT2_T3_T4_T5_mT6_T7_P12ihipStream_tbENKUlT_T0_E_clISt17integral_constantIbLb1EES10_IbLb0EEEEDaSW_SX_EUlSW_E_NS1_11comp_targetILNS1_3genE8ELNS1_11target_archE1030ELNS1_3gpuE2ELNS1_3repE0EEENS1_30default_config_static_selectorELNS0_4arch9wavefront6targetE1EEEvT1_
		.amdhsa_group_segment_fixed_size 0
		.amdhsa_private_segment_fixed_size 0
		.amdhsa_kernarg_size 136
		.amdhsa_user_sgpr_count 6
		.amdhsa_user_sgpr_private_segment_buffer 1
		.amdhsa_user_sgpr_dispatch_ptr 0
		.amdhsa_user_sgpr_queue_ptr 0
		.amdhsa_user_sgpr_kernarg_segment_ptr 1
		.amdhsa_user_sgpr_dispatch_id 0
		.amdhsa_user_sgpr_flat_scratch_init 0
		.amdhsa_user_sgpr_kernarg_preload_length 0
		.amdhsa_user_sgpr_kernarg_preload_offset 0
		.amdhsa_user_sgpr_private_segment_size 0
		.amdhsa_uses_dynamic_stack 0
		.amdhsa_system_sgpr_private_segment_wavefront_offset 0
		.amdhsa_system_sgpr_workgroup_id_x 1
		.amdhsa_system_sgpr_workgroup_id_y 0
		.amdhsa_system_sgpr_workgroup_id_z 0
		.amdhsa_system_sgpr_workgroup_info 0
		.amdhsa_system_vgpr_workitem_id 0
		.amdhsa_next_free_vgpr 1
		.amdhsa_next_free_sgpr 0
		.amdhsa_accum_offset 4
		.amdhsa_reserve_vcc 0
		.amdhsa_reserve_flat_scratch 0
		.amdhsa_float_round_mode_32 0
		.amdhsa_float_round_mode_16_64 0
		.amdhsa_float_denorm_mode_32 3
		.amdhsa_float_denorm_mode_16_64 3
		.amdhsa_dx10_clamp 1
		.amdhsa_ieee_mode 1
		.amdhsa_fp16_overflow 0
		.amdhsa_tg_split 0
		.amdhsa_exception_fp_ieee_invalid_op 0
		.amdhsa_exception_fp_denorm_src 0
		.amdhsa_exception_fp_ieee_div_zero 0
		.amdhsa_exception_fp_ieee_overflow 0
		.amdhsa_exception_fp_ieee_underflow 0
		.amdhsa_exception_fp_ieee_inexact 0
		.amdhsa_exception_int_div_zero 0
	.end_amdhsa_kernel
	.section	.text._ZN7rocprim17ROCPRIM_400000_NS6detail17trampoline_kernelINS0_14default_configENS1_27scan_by_key_config_selectorIiyEEZZNS1_16scan_by_key_implILNS1_25lookback_scan_determinismE0ELb1ES3_N6thrust23THRUST_200600_302600_NS6detail15normal_iteratorINS9_10device_ptrIiEEEENSB_INSC_IyEEEESG_yNS9_4plusIvEENS9_8equal_toIvEEyEE10hipError_tPvRmT2_T3_T4_T5_mT6_T7_P12ihipStream_tbENKUlT_T0_E_clISt17integral_constantIbLb1EES10_IbLb0EEEEDaSW_SX_EUlSW_E_NS1_11comp_targetILNS1_3genE8ELNS1_11target_archE1030ELNS1_3gpuE2ELNS1_3repE0EEENS1_30default_config_static_selectorELNS0_4arch9wavefront6targetE1EEEvT1_,"axG",@progbits,_ZN7rocprim17ROCPRIM_400000_NS6detail17trampoline_kernelINS0_14default_configENS1_27scan_by_key_config_selectorIiyEEZZNS1_16scan_by_key_implILNS1_25lookback_scan_determinismE0ELb1ES3_N6thrust23THRUST_200600_302600_NS6detail15normal_iteratorINS9_10device_ptrIiEEEENSB_INSC_IyEEEESG_yNS9_4plusIvEENS9_8equal_toIvEEyEE10hipError_tPvRmT2_T3_T4_T5_mT6_T7_P12ihipStream_tbENKUlT_T0_E_clISt17integral_constantIbLb1EES10_IbLb0EEEEDaSW_SX_EUlSW_E_NS1_11comp_targetILNS1_3genE8ELNS1_11target_archE1030ELNS1_3gpuE2ELNS1_3repE0EEENS1_30default_config_static_selectorELNS0_4arch9wavefront6targetE1EEEvT1_,comdat
.Lfunc_end1489:
	.size	_ZN7rocprim17ROCPRIM_400000_NS6detail17trampoline_kernelINS0_14default_configENS1_27scan_by_key_config_selectorIiyEEZZNS1_16scan_by_key_implILNS1_25lookback_scan_determinismE0ELb1ES3_N6thrust23THRUST_200600_302600_NS6detail15normal_iteratorINS9_10device_ptrIiEEEENSB_INSC_IyEEEESG_yNS9_4plusIvEENS9_8equal_toIvEEyEE10hipError_tPvRmT2_T3_T4_T5_mT6_T7_P12ihipStream_tbENKUlT_T0_E_clISt17integral_constantIbLb1EES10_IbLb0EEEEDaSW_SX_EUlSW_E_NS1_11comp_targetILNS1_3genE8ELNS1_11target_archE1030ELNS1_3gpuE2ELNS1_3repE0EEENS1_30default_config_static_selectorELNS0_4arch9wavefront6targetE1EEEvT1_, .Lfunc_end1489-_ZN7rocprim17ROCPRIM_400000_NS6detail17trampoline_kernelINS0_14default_configENS1_27scan_by_key_config_selectorIiyEEZZNS1_16scan_by_key_implILNS1_25lookback_scan_determinismE0ELb1ES3_N6thrust23THRUST_200600_302600_NS6detail15normal_iteratorINS9_10device_ptrIiEEEENSB_INSC_IyEEEESG_yNS9_4plusIvEENS9_8equal_toIvEEyEE10hipError_tPvRmT2_T3_T4_T5_mT6_T7_P12ihipStream_tbENKUlT_T0_E_clISt17integral_constantIbLb1EES10_IbLb0EEEEDaSW_SX_EUlSW_E_NS1_11comp_targetILNS1_3genE8ELNS1_11target_archE1030ELNS1_3gpuE2ELNS1_3repE0EEENS1_30default_config_static_selectorELNS0_4arch9wavefront6targetE1EEEvT1_
                                        ; -- End function
	.section	.AMDGPU.csdata,"",@progbits
; Kernel info:
; codeLenInByte = 0
; NumSgprs: 4
; NumVgprs: 0
; NumAgprs: 0
; TotalNumVgprs: 0
; ScratchSize: 0
; MemoryBound: 0
; FloatMode: 240
; IeeeMode: 1
; LDSByteSize: 0 bytes/workgroup (compile time only)
; SGPRBlocks: 0
; VGPRBlocks: 0
; NumSGPRsForWavesPerEU: 4
; NumVGPRsForWavesPerEU: 1
; AccumOffset: 4
; Occupancy: 8
; WaveLimiterHint : 0
; COMPUTE_PGM_RSRC2:SCRATCH_EN: 0
; COMPUTE_PGM_RSRC2:USER_SGPR: 6
; COMPUTE_PGM_RSRC2:TRAP_HANDLER: 0
; COMPUTE_PGM_RSRC2:TGID_X_EN: 1
; COMPUTE_PGM_RSRC2:TGID_Y_EN: 0
; COMPUTE_PGM_RSRC2:TGID_Z_EN: 0
; COMPUTE_PGM_RSRC2:TIDIG_COMP_CNT: 0
; COMPUTE_PGM_RSRC3_GFX90A:ACCUM_OFFSET: 0
; COMPUTE_PGM_RSRC3_GFX90A:TG_SPLIT: 0
	.section	.text._ZN7rocprim17ROCPRIM_400000_NS6detail17trampoline_kernelINS0_14default_configENS1_27scan_by_key_config_selectorIiyEEZZNS1_16scan_by_key_implILNS1_25lookback_scan_determinismE0ELb1ES3_N6thrust23THRUST_200600_302600_NS6detail15normal_iteratorINS9_10device_ptrIiEEEENSB_INSC_IyEEEESG_yNS9_4plusIvEENS9_8equal_toIvEEyEE10hipError_tPvRmT2_T3_T4_T5_mT6_T7_P12ihipStream_tbENKUlT_T0_E_clISt17integral_constantIbLb0EES10_IbLb1EEEEDaSW_SX_EUlSW_E_NS1_11comp_targetILNS1_3genE0ELNS1_11target_archE4294967295ELNS1_3gpuE0ELNS1_3repE0EEENS1_30default_config_static_selectorELNS0_4arch9wavefront6targetE1EEEvT1_,"axG",@progbits,_ZN7rocprim17ROCPRIM_400000_NS6detail17trampoline_kernelINS0_14default_configENS1_27scan_by_key_config_selectorIiyEEZZNS1_16scan_by_key_implILNS1_25lookback_scan_determinismE0ELb1ES3_N6thrust23THRUST_200600_302600_NS6detail15normal_iteratorINS9_10device_ptrIiEEEENSB_INSC_IyEEEESG_yNS9_4plusIvEENS9_8equal_toIvEEyEE10hipError_tPvRmT2_T3_T4_T5_mT6_T7_P12ihipStream_tbENKUlT_T0_E_clISt17integral_constantIbLb0EES10_IbLb1EEEEDaSW_SX_EUlSW_E_NS1_11comp_targetILNS1_3genE0ELNS1_11target_archE4294967295ELNS1_3gpuE0ELNS1_3repE0EEENS1_30default_config_static_selectorELNS0_4arch9wavefront6targetE1EEEvT1_,comdat
	.protected	_ZN7rocprim17ROCPRIM_400000_NS6detail17trampoline_kernelINS0_14default_configENS1_27scan_by_key_config_selectorIiyEEZZNS1_16scan_by_key_implILNS1_25lookback_scan_determinismE0ELb1ES3_N6thrust23THRUST_200600_302600_NS6detail15normal_iteratorINS9_10device_ptrIiEEEENSB_INSC_IyEEEESG_yNS9_4plusIvEENS9_8equal_toIvEEyEE10hipError_tPvRmT2_T3_T4_T5_mT6_T7_P12ihipStream_tbENKUlT_T0_E_clISt17integral_constantIbLb0EES10_IbLb1EEEEDaSW_SX_EUlSW_E_NS1_11comp_targetILNS1_3genE0ELNS1_11target_archE4294967295ELNS1_3gpuE0ELNS1_3repE0EEENS1_30default_config_static_selectorELNS0_4arch9wavefront6targetE1EEEvT1_ ; -- Begin function _ZN7rocprim17ROCPRIM_400000_NS6detail17trampoline_kernelINS0_14default_configENS1_27scan_by_key_config_selectorIiyEEZZNS1_16scan_by_key_implILNS1_25lookback_scan_determinismE0ELb1ES3_N6thrust23THRUST_200600_302600_NS6detail15normal_iteratorINS9_10device_ptrIiEEEENSB_INSC_IyEEEESG_yNS9_4plusIvEENS9_8equal_toIvEEyEE10hipError_tPvRmT2_T3_T4_T5_mT6_T7_P12ihipStream_tbENKUlT_T0_E_clISt17integral_constantIbLb0EES10_IbLb1EEEEDaSW_SX_EUlSW_E_NS1_11comp_targetILNS1_3genE0ELNS1_11target_archE4294967295ELNS1_3gpuE0ELNS1_3repE0EEENS1_30default_config_static_selectorELNS0_4arch9wavefront6targetE1EEEvT1_
	.globl	_ZN7rocprim17ROCPRIM_400000_NS6detail17trampoline_kernelINS0_14default_configENS1_27scan_by_key_config_selectorIiyEEZZNS1_16scan_by_key_implILNS1_25lookback_scan_determinismE0ELb1ES3_N6thrust23THRUST_200600_302600_NS6detail15normal_iteratorINS9_10device_ptrIiEEEENSB_INSC_IyEEEESG_yNS9_4plusIvEENS9_8equal_toIvEEyEE10hipError_tPvRmT2_T3_T4_T5_mT6_T7_P12ihipStream_tbENKUlT_T0_E_clISt17integral_constantIbLb0EES10_IbLb1EEEEDaSW_SX_EUlSW_E_NS1_11comp_targetILNS1_3genE0ELNS1_11target_archE4294967295ELNS1_3gpuE0ELNS1_3repE0EEENS1_30default_config_static_selectorELNS0_4arch9wavefront6targetE1EEEvT1_
	.p2align	8
	.type	_ZN7rocprim17ROCPRIM_400000_NS6detail17trampoline_kernelINS0_14default_configENS1_27scan_by_key_config_selectorIiyEEZZNS1_16scan_by_key_implILNS1_25lookback_scan_determinismE0ELb1ES3_N6thrust23THRUST_200600_302600_NS6detail15normal_iteratorINS9_10device_ptrIiEEEENSB_INSC_IyEEEESG_yNS9_4plusIvEENS9_8equal_toIvEEyEE10hipError_tPvRmT2_T3_T4_T5_mT6_T7_P12ihipStream_tbENKUlT_T0_E_clISt17integral_constantIbLb0EES10_IbLb1EEEEDaSW_SX_EUlSW_E_NS1_11comp_targetILNS1_3genE0ELNS1_11target_archE4294967295ELNS1_3gpuE0ELNS1_3repE0EEENS1_30default_config_static_selectorELNS0_4arch9wavefront6targetE1EEEvT1_,@function
_ZN7rocprim17ROCPRIM_400000_NS6detail17trampoline_kernelINS0_14default_configENS1_27scan_by_key_config_selectorIiyEEZZNS1_16scan_by_key_implILNS1_25lookback_scan_determinismE0ELb1ES3_N6thrust23THRUST_200600_302600_NS6detail15normal_iteratorINS9_10device_ptrIiEEEENSB_INSC_IyEEEESG_yNS9_4plusIvEENS9_8equal_toIvEEyEE10hipError_tPvRmT2_T3_T4_T5_mT6_T7_P12ihipStream_tbENKUlT_T0_E_clISt17integral_constantIbLb0EES10_IbLb1EEEEDaSW_SX_EUlSW_E_NS1_11comp_targetILNS1_3genE0ELNS1_11target_archE4294967295ELNS1_3gpuE0ELNS1_3repE0EEENS1_30default_config_static_selectorELNS0_4arch9wavefront6targetE1EEEvT1_: ; @_ZN7rocprim17ROCPRIM_400000_NS6detail17trampoline_kernelINS0_14default_configENS1_27scan_by_key_config_selectorIiyEEZZNS1_16scan_by_key_implILNS1_25lookback_scan_determinismE0ELb1ES3_N6thrust23THRUST_200600_302600_NS6detail15normal_iteratorINS9_10device_ptrIiEEEENSB_INSC_IyEEEESG_yNS9_4plusIvEENS9_8equal_toIvEEyEE10hipError_tPvRmT2_T3_T4_T5_mT6_T7_P12ihipStream_tbENKUlT_T0_E_clISt17integral_constantIbLb0EES10_IbLb1EEEEDaSW_SX_EUlSW_E_NS1_11comp_targetILNS1_3genE0ELNS1_11target_archE4294967295ELNS1_3gpuE0ELNS1_3repE0EEENS1_30default_config_static_selectorELNS0_4arch9wavefront6targetE1EEEvT1_
; %bb.0:
	.section	.rodata,"a",@progbits
	.p2align	6, 0x0
	.amdhsa_kernel _ZN7rocprim17ROCPRIM_400000_NS6detail17trampoline_kernelINS0_14default_configENS1_27scan_by_key_config_selectorIiyEEZZNS1_16scan_by_key_implILNS1_25lookback_scan_determinismE0ELb1ES3_N6thrust23THRUST_200600_302600_NS6detail15normal_iteratorINS9_10device_ptrIiEEEENSB_INSC_IyEEEESG_yNS9_4plusIvEENS9_8equal_toIvEEyEE10hipError_tPvRmT2_T3_T4_T5_mT6_T7_P12ihipStream_tbENKUlT_T0_E_clISt17integral_constantIbLb0EES10_IbLb1EEEEDaSW_SX_EUlSW_E_NS1_11comp_targetILNS1_3genE0ELNS1_11target_archE4294967295ELNS1_3gpuE0ELNS1_3repE0EEENS1_30default_config_static_selectorELNS0_4arch9wavefront6targetE1EEEvT1_
		.amdhsa_group_segment_fixed_size 0
		.amdhsa_private_segment_fixed_size 0
		.amdhsa_kernarg_size 136
		.amdhsa_user_sgpr_count 6
		.amdhsa_user_sgpr_private_segment_buffer 1
		.amdhsa_user_sgpr_dispatch_ptr 0
		.amdhsa_user_sgpr_queue_ptr 0
		.amdhsa_user_sgpr_kernarg_segment_ptr 1
		.amdhsa_user_sgpr_dispatch_id 0
		.amdhsa_user_sgpr_flat_scratch_init 0
		.amdhsa_user_sgpr_kernarg_preload_length 0
		.amdhsa_user_sgpr_kernarg_preload_offset 0
		.amdhsa_user_sgpr_private_segment_size 0
		.amdhsa_uses_dynamic_stack 0
		.amdhsa_system_sgpr_private_segment_wavefront_offset 0
		.amdhsa_system_sgpr_workgroup_id_x 1
		.amdhsa_system_sgpr_workgroup_id_y 0
		.amdhsa_system_sgpr_workgroup_id_z 0
		.amdhsa_system_sgpr_workgroup_info 0
		.amdhsa_system_vgpr_workitem_id 0
		.amdhsa_next_free_vgpr 1
		.amdhsa_next_free_sgpr 0
		.amdhsa_accum_offset 4
		.amdhsa_reserve_vcc 0
		.amdhsa_reserve_flat_scratch 0
		.amdhsa_float_round_mode_32 0
		.amdhsa_float_round_mode_16_64 0
		.amdhsa_float_denorm_mode_32 3
		.amdhsa_float_denorm_mode_16_64 3
		.amdhsa_dx10_clamp 1
		.amdhsa_ieee_mode 1
		.amdhsa_fp16_overflow 0
		.amdhsa_tg_split 0
		.amdhsa_exception_fp_ieee_invalid_op 0
		.amdhsa_exception_fp_denorm_src 0
		.amdhsa_exception_fp_ieee_div_zero 0
		.amdhsa_exception_fp_ieee_overflow 0
		.amdhsa_exception_fp_ieee_underflow 0
		.amdhsa_exception_fp_ieee_inexact 0
		.amdhsa_exception_int_div_zero 0
	.end_amdhsa_kernel
	.section	.text._ZN7rocprim17ROCPRIM_400000_NS6detail17trampoline_kernelINS0_14default_configENS1_27scan_by_key_config_selectorIiyEEZZNS1_16scan_by_key_implILNS1_25lookback_scan_determinismE0ELb1ES3_N6thrust23THRUST_200600_302600_NS6detail15normal_iteratorINS9_10device_ptrIiEEEENSB_INSC_IyEEEESG_yNS9_4plusIvEENS9_8equal_toIvEEyEE10hipError_tPvRmT2_T3_T4_T5_mT6_T7_P12ihipStream_tbENKUlT_T0_E_clISt17integral_constantIbLb0EES10_IbLb1EEEEDaSW_SX_EUlSW_E_NS1_11comp_targetILNS1_3genE0ELNS1_11target_archE4294967295ELNS1_3gpuE0ELNS1_3repE0EEENS1_30default_config_static_selectorELNS0_4arch9wavefront6targetE1EEEvT1_,"axG",@progbits,_ZN7rocprim17ROCPRIM_400000_NS6detail17trampoline_kernelINS0_14default_configENS1_27scan_by_key_config_selectorIiyEEZZNS1_16scan_by_key_implILNS1_25lookback_scan_determinismE0ELb1ES3_N6thrust23THRUST_200600_302600_NS6detail15normal_iteratorINS9_10device_ptrIiEEEENSB_INSC_IyEEEESG_yNS9_4plusIvEENS9_8equal_toIvEEyEE10hipError_tPvRmT2_T3_T4_T5_mT6_T7_P12ihipStream_tbENKUlT_T0_E_clISt17integral_constantIbLb0EES10_IbLb1EEEEDaSW_SX_EUlSW_E_NS1_11comp_targetILNS1_3genE0ELNS1_11target_archE4294967295ELNS1_3gpuE0ELNS1_3repE0EEENS1_30default_config_static_selectorELNS0_4arch9wavefront6targetE1EEEvT1_,comdat
.Lfunc_end1490:
	.size	_ZN7rocprim17ROCPRIM_400000_NS6detail17trampoline_kernelINS0_14default_configENS1_27scan_by_key_config_selectorIiyEEZZNS1_16scan_by_key_implILNS1_25lookback_scan_determinismE0ELb1ES3_N6thrust23THRUST_200600_302600_NS6detail15normal_iteratorINS9_10device_ptrIiEEEENSB_INSC_IyEEEESG_yNS9_4plusIvEENS9_8equal_toIvEEyEE10hipError_tPvRmT2_T3_T4_T5_mT6_T7_P12ihipStream_tbENKUlT_T0_E_clISt17integral_constantIbLb0EES10_IbLb1EEEEDaSW_SX_EUlSW_E_NS1_11comp_targetILNS1_3genE0ELNS1_11target_archE4294967295ELNS1_3gpuE0ELNS1_3repE0EEENS1_30default_config_static_selectorELNS0_4arch9wavefront6targetE1EEEvT1_, .Lfunc_end1490-_ZN7rocprim17ROCPRIM_400000_NS6detail17trampoline_kernelINS0_14default_configENS1_27scan_by_key_config_selectorIiyEEZZNS1_16scan_by_key_implILNS1_25lookback_scan_determinismE0ELb1ES3_N6thrust23THRUST_200600_302600_NS6detail15normal_iteratorINS9_10device_ptrIiEEEENSB_INSC_IyEEEESG_yNS9_4plusIvEENS9_8equal_toIvEEyEE10hipError_tPvRmT2_T3_T4_T5_mT6_T7_P12ihipStream_tbENKUlT_T0_E_clISt17integral_constantIbLb0EES10_IbLb1EEEEDaSW_SX_EUlSW_E_NS1_11comp_targetILNS1_3genE0ELNS1_11target_archE4294967295ELNS1_3gpuE0ELNS1_3repE0EEENS1_30default_config_static_selectorELNS0_4arch9wavefront6targetE1EEEvT1_
                                        ; -- End function
	.section	.AMDGPU.csdata,"",@progbits
; Kernel info:
; codeLenInByte = 0
; NumSgprs: 4
; NumVgprs: 0
; NumAgprs: 0
; TotalNumVgprs: 0
; ScratchSize: 0
; MemoryBound: 0
; FloatMode: 240
; IeeeMode: 1
; LDSByteSize: 0 bytes/workgroup (compile time only)
; SGPRBlocks: 0
; VGPRBlocks: 0
; NumSGPRsForWavesPerEU: 4
; NumVGPRsForWavesPerEU: 1
; AccumOffset: 4
; Occupancy: 8
; WaveLimiterHint : 0
; COMPUTE_PGM_RSRC2:SCRATCH_EN: 0
; COMPUTE_PGM_RSRC2:USER_SGPR: 6
; COMPUTE_PGM_RSRC2:TRAP_HANDLER: 0
; COMPUTE_PGM_RSRC2:TGID_X_EN: 1
; COMPUTE_PGM_RSRC2:TGID_Y_EN: 0
; COMPUTE_PGM_RSRC2:TGID_Z_EN: 0
; COMPUTE_PGM_RSRC2:TIDIG_COMP_CNT: 0
; COMPUTE_PGM_RSRC3_GFX90A:ACCUM_OFFSET: 0
; COMPUTE_PGM_RSRC3_GFX90A:TG_SPLIT: 0
	.section	.text._ZN7rocprim17ROCPRIM_400000_NS6detail17trampoline_kernelINS0_14default_configENS1_27scan_by_key_config_selectorIiyEEZZNS1_16scan_by_key_implILNS1_25lookback_scan_determinismE0ELb1ES3_N6thrust23THRUST_200600_302600_NS6detail15normal_iteratorINS9_10device_ptrIiEEEENSB_INSC_IyEEEESG_yNS9_4plusIvEENS9_8equal_toIvEEyEE10hipError_tPvRmT2_T3_T4_T5_mT6_T7_P12ihipStream_tbENKUlT_T0_E_clISt17integral_constantIbLb0EES10_IbLb1EEEEDaSW_SX_EUlSW_E_NS1_11comp_targetILNS1_3genE10ELNS1_11target_archE1201ELNS1_3gpuE5ELNS1_3repE0EEENS1_30default_config_static_selectorELNS0_4arch9wavefront6targetE1EEEvT1_,"axG",@progbits,_ZN7rocprim17ROCPRIM_400000_NS6detail17trampoline_kernelINS0_14default_configENS1_27scan_by_key_config_selectorIiyEEZZNS1_16scan_by_key_implILNS1_25lookback_scan_determinismE0ELb1ES3_N6thrust23THRUST_200600_302600_NS6detail15normal_iteratorINS9_10device_ptrIiEEEENSB_INSC_IyEEEESG_yNS9_4plusIvEENS9_8equal_toIvEEyEE10hipError_tPvRmT2_T3_T4_T5_mT6_T7_P12ihipStream_tbENKUlT_T0_E_clISt17integral_constantIbLb0EES10_IbLb1EEEEDaSW_SX_EUlSW_E_NS1_11comp_targetILNS1_3genE10ELNS1_11target_archE1201ELNS1_3gpuE5ELNS1_3repE0EEENS1_30default_config_static_selectorELNS0_4arch9wavefront6targetE1EEEvT1_,comdat
	.protected	_ZN7rocprim17ROCPRIM_400000_NS6detail17trampoline_kernelINS0_14default_configENS1_27scan_by_key_config_selectorIiyEEZZNS1_16scan_by_key_implILNS1_25lookback_scan_determinismE0ELb1ES3_N6thrust23THRUST_200600_302600_NS6detail15normal_iteratorINS9_10device_ptrIiEEEENSB_INSC_IyEEEESG_yNS9_4plusIvEENS9_8equal_toIvEEyEE10hipError_tPvRmT2_T3_T4_T5_mT6_T7_P12ihipStream_tbENKUlT_T0_E_clISt17integral_constantIbLb0EES10_IbLb1EEEEDaSW_SX_EUlSW_E_NS1_11comp_targetILNS1_3genE10ELNS1_11target_archE1201ELNS1_3gpuE5ELNS1_3repE0EEENS1_30default_config_static_selectorELNS0_4arch9wavefront6targetE1EEEvT1_ ; -- Begin function _ZN7rocprim17ROCPRIM_400000_NS6detail17trampoline_kernelINS0_14default_configENS1_27scan_by_key_config_selectorIiyEEZZNS1_16scan_by_key_implILNS1_25lookback_scan_determinismE0ELb1ES3_N6thrust23THRUST_200600_302600_NS6detail15normal_iteratorINS9_10device_ptrIiEEEENSB_INSC_IyEEEESG_yNS9_4plusIvEENS9_8equal_toIvEEyEE10hipError_tPvRmT2_T3_T4_T5_mT6_T7_P12ihipStream_tbENKUlT_T0_E_clISt17integral_constantIbLb0EES10_IbLb1EEEEDaSW_SX_EUlSW_E_NS1_11comp_targetILNS1_3genE10ELNS1_11target_archE1201ELNS1_3gpuE5ELNS1_3repE0EEENS1_30default_config_static_selectorELNS0_4arch9wavefront6targetE1EEEvT1_
	.globl	_ZN7rocprim17ROCPRIM_400000_NS6detail17trampoline_kernelINS0_14default_configENS1_27scan_by_key_config_selectorIiyEEZZNS1_16scan_by_key_implILNS1_25lookback_scan_determinismE0ELb1ES3_N6thrust23THRUST_200600_302600_NS6detail15normal_iteratorINS9_10device_ptrIiEEEENSB_INSC_IyEEEESG_yNS9_4plusIvEENS9_8equal_toIvEEyEE10hipError_tPvRmT2_T3_T4_T5_mT6_T7_P12ihipStream_tbENKUlT_T0_E_clISt17integral_constantIbLb0EES10_IbLb1EEEEDaSW_SX_EUlSW_E_NS1_11comp_targetILNS1_3genE10ELNS1_11target_archE1201ELNS1_3gpuE5ELNS1_3repE0EEENS1_30default_config_static_selectorELNS0_4arch9wavefront6targetE1EEEvT1_
	.p2align	8
	.type	_ZN7rocprim17ROCPRIM_400000_NS6detail17trampoline_kernelINS0_14default_configENS1_27scan_by_key_config_selectorIiyEEZZNS1_16scan_by_key_implILNS1_25lookback_scan_determinismE0ELb1ES3_N6thrust23THRUST_200600_302600_NS6detail15normal_iteratorINS9_10device_ptrIiEEEENSB_INSC_IyEEEESG_yNS9_4plusIvEENS9_8equal_toIvEEyEE10hipError_tPvRmT2_T3_T4_T5_mT6_T7_P12ihipStream_tbENKUlT_T0_E_clISt17integral_constantIbLb0EES10_IbLb1EEEEDaSW_SX_EUlSW_E_NS1_11comp_targetILNS1_3genE10ELNS1_11target_archE1201ELNS1_3gpuE5ELNS1_3repE0EEENS1_30default_config_static_selectorELNS0_4arch9wavefront6targetE1EEEvT1_,@function
_ZN7rocprim17ROCPRIM_400000_NS6detail17trampoline_kernelINS0_14default_configENS1_27scan_by_key_config_selectorIiyEEZZNS1_16scan_by_key_implILNS1_25lookback_scan_determinismE0ELb1ES3_N6thrust23THRUST_200600_302600_NS6detail15normal_iteratorINS9_10device_ptrIiEEEENSB_INSC_IyEEEESG_yNS9_4plusIvEENS9_8equal_toIvEEyEE10hipError_tPvRmT2_T3_T4_T5_mT6_T7_P12ihipStream_tbENKUlT_T0_E_clISt17integral_constantIbLb0EES10_IbLb1EEEEDaSW_SX_EUlSW_E_NS1_11comp_targetILNS1_3genE10ELNS1_11target_archE1201ELNS1_3gpuE5ELNS1_3repE0EEENS1_30default_config_static_selectorELNS0_4arch9wavefront6targetE1EEEvT1_: ; @_ZN7rocprim17ROCPRIM_400000_NS6detail17trampoline_kernelINS0_14default_configENS1_27scan_by_key_config_selectorIiyEEZZNS1_16scan_by_key_implILNS1_25lookback_scan_determinismE0ELb1ES3_N6thrust23THRUST_200600_302600_NS6detail15normal_iteratorINS9_10device_ptrIiEEEENSB_INSC_IyEEEESG_yNS9_4plusIvEENS9_8equal_toIvEEyEE10hipError_tPvRmT2_T3_T4_T5_mT6_T7_P12ihipStream_tbENKUlT_T0_E_clISt17integral_constantIbLb0EES10_IbLb1EEEEDaSW_SX_EUlSW_E_NS1_11comp_targetILNS1_3genE10ELNS1_11target_archE1201ELNS1_3gpuE5ELNS1_3repE0EEENS1_30default_config_static_selectorELNS0_4arch9wavefront6targetE1EEEvT1_
; %bb.0:
	.section	.rodata,"a",@progbits
	.p2align	6, 0x0
	.amdhsa_kernel _ZN7rocprim17ROCPRIM_400000_NS6detail17trampoline_kernelINS0_14default_configENS1_27scan_by_key_config_selectorIiyEEZZNS1_16scan_by_key_implILNS1_25lookback_scan_determinismE0ELb1ES3_N6thrust23THRUST_200600_302600_NS6detail15normal_iteratorINS9_10device_ptrIiEEEENSB_INSC_IyEEEESG_yNS9_4plusIvEENS9_8equal_toIvEEyEE10hipError_tPvRmT2_T3_T4_T5_mT6_T7_P12ihipStream_tbENKUlT_T0_E_clISt17integral_constantIbLb0EES10_IbLb1EEEEDaSW_SX_EUlSW_E_NS1_11comp_targetILNS1_3genE10ELNS1_11target_archE1201ELNS1_3gpuE5ELNS1_3repE0EEENS1_30default_config_static_selectorELNS0_4arch9wavefront6targetE1EEEvT1_
		.amdhsa_group_segment_fixed_size 0
		.amdhsa_private_segment_fixed_size 0
		.amdhsa_kernarg_size 136
		.amdhsa_user_sgpr_count 6
		.amdhsa_user_sgpr_private_segment_buffer 1
		.amdhsa_user_sgpr_dispatch_ptr 0
		.amdhsa_user_sgpr_queue_ptr 0
		.amdhsa_user_sgpr_kernarg_segment_ptr 1
		.amdhsa_user_sgpr_dispatch_id 0
		.amdhsa_user_sgpr_flat_scratch_init 0
		.amdhsa_user_sgpr_kernarg_preload_length 0
		.amdhsa_user_sgpr_kernarg_preload_offset 0
		.amdhsa_user_sgpr_private_segment_size 0
		.amdhsa_uses_dynamic_stack 0
		.amdhsa_system_sgpr_private_segment_wavefront_offset 0
		.amdhsa_system_sgpr_workgroup_id_x 1
		.amdhsa_system_sgpr_workgroup_id_y 0
		.amdhsa_system_sgpr_workgroup_id_z 0
		.amdhsa_system_sgpr_workgroup_info 0
		.amdhsa_system_vgpr_workitem_id 0
		.amdhsa_next_free_vgpr 1
		.amdhsa_next_free_sgpr 0
		.amdhsa_accum_offset 4
		.amdhsa_reserve_vcc 0
		.amdhsa_reserve_flat_scratch 0
		.amdhsa_float_round_mode_32 0
		.amdhsa_float_round_mode_16_64 0
		.amdhsa_float_denorm_mode_32 3
		.amdhsa_float_denorm_mode_16_64 3
		.amdhsa_dx10_clamp 1
		.amdhsa_ieee_mode 1
		.amdhsa_fp16_overflow 0
		.amdhsa_tg_split 0
		.amdhsa_exception_fp_ieee_invalid_op 0
		.amdhsa_exception_fp_denorm_src 0
		.amdhsa_exception_fp_ieee_div_zero 0
		.amdhsa_exception_fp_ieee_overflow 0
		.amdhsa_exception_fp_ieee_underflow 0
		.amdhsa_exception_fp_ieee_inexact 0
		.amdhsa_exception_int_div_zero 0
	.end_amdhsa_kernel
	.section	.text._ZN7rocprim17ROCPRIM_400000_NS6detail17trampoline_kernelINS0_14default_configENS1_27scan_by_key_config_selectorIiyEEZZNS1_16scan_by_key_implILNS1_25lookback_scan_determinismE0ELb1ES3_N6thrust23THRUST_200600_302600_NS6detail15normal_iteratorINS9_10device_ptrIiEEEENSB_INSC_IyEEEESG_yNS9_4plusIvEENS9_8equal_toIvEEyEE10hipError_tPvRmT2_T3_T4_T5_mT6_T7_P12ihipStream_tbENKUlT_T0_E_clISt17integral_constantIbLb0EES10_IbLb1EEEEDaSW_SX_EUlSW_E_NS1_11comp_targetILNS1_3genE10ELNS1_11target_archE1201ELNS1_3gpuE5ELNS1_3repE0EEENS1_30default_config_static_selectorELNS0_4arch9wavefront6targetE1EEEvT1_,"axG",@progbits,_ZN7rocprim17ROCPRIM_400000_NS6detail17trampoline_kernelINS0_14default_configENS1_27scan_by_key_config_selectorIiyEEZZNS1_16scan_by_key_implILNS1_25lookback_scan_determinismE0ELb1ES3_N6thrust23THRUST_200600_302600_NS6detail15normal_iteratorINS9_10device_ptrIiEEEENSB_INSC_IyEEEESG_yNS9_4plusIvEENS9_8equal_toIvEEyEE10hipError_tPvRmT2_T3_T4_T5_mT6_T7_P12ihipStream_tbENKUlT_T0_E_clISt17integral_constantIbLb0EES10_IbLb1EEEEDaSW_SX_EUlSW_E_NS1_11comp_targetILNS1_3genE10ELNS1_11target_archE1201ELNS1_3gpuE5ELNS1_3repE0EEENS1_30default_config_static_selectorELNS0_4arch9wavefront6targetE1EEEvT1_,comdat
.Lfunc_end1491:
	.size	_ZN7rocprim17ROCPRIM_400000_NS6detail17trampoline_kernelINS0_14default_configENS1_27scan_by_key_config_selectorIiyEEZZNS1_16scan_by_key_implILNS1_25lookback_scan_determinismE0ELb1ES3_N6thrust23THRUST_200600_302600_NS6detail15normal_iteratorINS9_10device_ptrIiEEEENSB_INSC_IyEEEESG_yNS9_4plusIvEENS9_8equal_toIvEEyEE10hipError_tPvRmT2_T3_T4_T5_mT6_T7_P12ihipStream_tbENKUlT_T0_E_clISt17integral_constantIbLb0EES10_IbLb1EEEEDaSW_SX_EUlSW_E_NS1_11comp_targetILNS1_3genE10ELNS1_11target_archE1201ELNS1_3gpuE5ELNS1_3repE0EEENS1_30default_config_static_selectorELNS0_4arch9wavefront6targetE1EEEvT1_, .Lfunc_end1491-_ZN7rocprim17ROCPRIM_400000_NS6detail17trampoline_kernelINS0_14default_configENS1_27scan_by_key_config_selectorIiyEEZZNS1_16scan_by_key_implILNS1_25lookback_scan_determinismE0ELb1ES3_N6thrust23THRUST_200600_302600_NS6detail15normal_iteratorINS9_10device_ptrIiEEEENSB_INSC_IyEEEESG_yNS9_4plusIvEENS9_8equal_toIvEEyEE10hipError_tPvRmT2_T3_T4_T5_mT6_T7_P12ihipStream_tbENKUlT_T0_E_clISt17integral_constantIbLb0EES10_IbLb1EEEEDaSW_SX_EUlSW_E_NS1_11comp_targetILNS1_3genE10ELNS1_11target_archE1201ELNS1_3gpuE5ELNS1_3repE0EEENS1_30default_config_static_selectorELNS0_4arch9wavefront6targetE1EEEvT1_
                                        ; -- End function
	.section	.AMDGPU.csdata,"",@progbits
; Kernel info:
; codeLenInByte = 0
; NumSgprs: 4
; NumVgprs: 0
; NumAgprs: 0
; TotalNumVgprs: 0
; ScratchSize: 0
; MemoryBound: 0
; FloatMode: 240
; IeeeMode: 1
; LDSByteSize: 0 bytes/workgroup (compile time only)
; SGPRBlocks: 0
; VGPRBlocks: 0
; NumSGPRsForWavesPerEU: 4
; NumVGPRsForWavesPerEU: 1
; AccumOffset: 4
; Occupancy: 8
; WaveLimiterHint : 0
; COMPUTE_PGM_RSRC2:SCRATCH_EN: 0
; COMPUTE_PGM_RSRC2:USER_SGPR: 6
; COMPUTE_PGM_RSRC2:TRAP_HANDLER: 0
; COMPUTE_PGM_RSRC2:TGID_X_EN: 1
; COMPUTE_PGM_RSRC2:TGID_Y_EN: 0
; COMPUTE_PGM_RSRC2:TGID_Z_EN: 0
; COMPUTE_PGM_RSRC2:TIDIG_COMP_CNT: 0
; COMPUTE_PGM_RSRC3_GFX90A:ACCUM_OFFSET: 0
; COMPUTE_PGM_RSRC3_GFX90A:TG_SPLIT: 0
	.section	.text._ZN7rocprim17ROCPRIM_400000_NS6detail17trampoline_kernelINS0_14default_configENS1_27scan_by_key_config_selectorIiyEEZZNS1_16scan_by_key_implILNS1_25lookback_scan_determinismE0ELb1ES3_N6thrust23THRUST_200600_302600_NS6detail15normal_iteratorINS9_10device_ptrIiEEEENSB_INSC_IyEEEESG_yNS9_4plusIvEENS9_8equal_toIvEEyEE10hipError_tPvRmT2_T3_T4_T5_mT6_T7_P12ihipStream_tbENKUlT_T0_E_clISt17integral_constantIbLb0EES10_IbLb1EEEEDaSW_SX_EUlSW_E_NS1_11comp_targetILNS1_3genE5ELNS1_11target_archE942ELNS1_3gpuE9ELNS1_3repE0EEENS1_30default_config_static_selectorELNS0_4arch9wavefront6targetE1EEEvT1_,"axG",@progbits,_ZN7rocprim17ROCPRIM_400000_NS6detail17trampoline_kernelINS0_14default_configENS1_27scan_by_key_config_selectorIiyEEZZNS1_16scan_by_key_implILNS1_25lookback_scan_determinismE0ELb1ES3_N6thrust23THRUST_200600_302600_NS6detail15normal_iteratorINS9_10device_ptrIiEEEENSB_INSC_IyEEEESG_yNS9_4plusIvEENS9_8equal_toIvEEyEE10hipError_tPvRmT2_T3_T4_T5_mT6_T7_P12ihipStream_tbENKUlT_T0_E_clISt17integral_constantIbLb0EES10_IbLb1EEEEDaSW_SX_EUlSW_E_NS1_11comp_targetILNS1_3genE5ELNS1_11target_archE942ELNS1_3gpuE9ELNS1_3repE0EEENS1_30default_config_static_selectorELNS0_4arch9wavefront6targetE1EEEvT1_,comdat
	.protected	_ZN7rocprim17ROCPRIM_400000_NS6detail17trampoline_kernelINS0_14default_configENS1_27scan_by_key_config_selectorIiyEEZZNS1_16scan_by_key_implILNS1_25lookback_scan_determinismE0ELb1ES3_N6thrust23THRUST_200600_302600_NS6detail15normal_iteratorINS9_10device_ptrIiEEEENSB_INSC_IyEEEESG_yNS9_4plusIvEENS9_8equal_toIvEEyEE10hipError_tPvRmT2_T3_T4_T5_mT6_T7_P12ihipStream_tbENKUlT_T0_E_clISt17integral_constantIbLb0EES10_IbLb1EEEEDaSW_SX_EUlSW_E_NS1_11comp_targetILNS1_3genE5ELNS1_11target_archE942ELNS1_3gpuE9ELNS1_3repE0EEENS1_30default_config_static_selectorELNS0_4arch9wavefront6targetE1EEEvT1_ ; -- Begin function _ZN7rocprim17ROCPRIM_400000_NS6detail17trampoline_kernelINS0_14default_configENS1_27scan_by_key_config_selectorIiyEEZZNS1_16scan_by_key_implILNS1_25lookback_scan_determinismE0ELb1ES3_N6thrust23THRUST_200600_302600_NS6detail15normal_iteratorINS9_10device_ptrIiEEEENSB_INSC_IyEEEESG_yNS9_4plusIvEENS9_8equal_toIvEEyEE10hipError_tPvRmT2_T3_T4_T5_mT6_T7_P12ihipStream_tbENKUlT_T0_E_clISt17integral_constantIbLb0EES10_IbLb1EEEEDaSW_SX_EUlSW_E_NS1_11comp_targetILNS1_3genE5ELNS1_11target_archE942ELNS1_3gpuE9ELNS1_3repE0EEENS1_30default_config_static_selectorELNS0_4arch9wavefront6targetE1EEEvT1_
	.globl	_ZN7rocprim17ROCPRIM_400000_NS6detail17trampoline_kernelINS0_14default_configENS1_27scan_by_key_config_selectorIiyEEZZNS1_16scan_by_key_implILNS1_25lookback_scan_determinismE0ELb1ES3_N6thrust23THRUST_200600_302600_NS6detail15normal_iteratorINS9_10device_ptrIiEEEENSB_INSC_IyEEEESG_yNS9_4plusIvEENS9_8equal_toIvEEyEE10hipError_tPvRmT2_T3_T4_T5_mT6_T7_P12ihipStream_tbENKUlT_T0_E_clISt17integral_constantIbLb0EES10_IbLb1EEEEDaSW_SX_EUlSW_E_NS1_11comp_targetILNS1_3genE5ELNS1_11target_archE942ELNS1_3gpuE9ELNS1_3repE0EEENS1_30default_config_static_selectorELNS0_4arch9wavefront6targetE1EEEvT1_
	.p2align	8
	.type	_ZN7rocprim17ROCPRIM_400000_NS6detail17trampoline_kernelINS0_14default_configENS1_27scan_by_key_config_selectorIiyEEZZNS1_16scan_by_key_implILNS1_25lookback_scan_determinismE0ELb1ES3_N6thrust23THRUST_200600_302600_NS6detail15normal_iteratorINS9_10device_ptrIiEEEENSB_INSC_IyEEEESG_yNS9_4plusIvEENS9_8equal_toIvEEyEE10hipError_tPvRmT2_T3_T4_T5_mT6_T7_P12ihipStream_tbENKUlT_T0_E_clISt17integral_constantIbLb0EES10_IbLb1EEEEDaSW_SX_EUlSW_E_NS1_11comp_targetILNS1_3genE5ELNS1_11target_archE942ELNS1_3gpuE9ELNS1_3repE0EEENS1_30default_config_static_selectorELNS0_4arch9wavefront6targetE1EEEvT1_,@function
_ZN7rocprim17ROCPRIM_400000_NS6detail17trampoline_kernelINS0_14default_configENS1_27scan_by_key_config_selectorIiyEEZZNS1_16scan_by_key_implILNS1_25lookback_scan_determinismE0ELb1ES3_N6thrust23THRUST_200600_302600_NS6detail15normal_iteratorINS9_10device_ptrIiEEEENSB_INSC_IyEEEESG_yNS9_4plusIvEENS9_8equal_toIvEEyEE10hipError_tPvRmT2_T3_T4_T5_mT6_T7_P12ihipStream_tbENKUlT_T0_E_clISt17integral_constantIbLb0EES10_IbLb1EEEEDaSW_SX_EUlSW_E_NS1_11comp_targetILNS1_3genE5ELNS1_11target_archE942ELNS1_3gpuE9ELNS1_3repE0EEENS1_30default_config_static_selectorELNS0_4arch9wavefront6targetE1EEEvT1_: ; @_ZN7rocprim17ROCPRIM_400000_NS6detail17trampoline_kernelINS0_14default_configENS1_27scan_by_key_config_selectorIiyEEZZNS1_16scan_by_key_implILNS1_25lookback_scan_determinismE0ELb1ES3_N6thrust23THRUST_200600_302600_NS6detail15normal_iteratorINS9_10device_ptrIiEEEENSB_INSC_IyEEEESG_yNS9_4plusIvEENS9_8equal_toIvEEyEE10hipError_tPvRmT2_T3_T4_T5_mT6_T7_P12ihipStream_tbENKUlT_T0_E_clISt17integral_constantIbLb0EES10_IbLb1EEEEDaSW_SX_EUlSW_E_NS1_11comp_targetILNS1_3genE5ELNS1_11target_archE942ELNS1_3gpuE9ELNS1_3repE0EEENS1_30default_config_static_selectorELNS0_4arch9wavefront6targetE1EEEvT1_
; %bb.0:
	.section	.rodata,"a",@progbits
	.p2align	6, 0x0
	.amdhsa_kernel _ZN7rocprim17ROCPRIM_400000_NS6detail17trampoline_kernelINS0_14default_configENS1_27scan_by_key_config_selectorIiyEEZZNS1_16scan_by_key_implILNS1_25lookback_scan_determinismE0ELb1ES3_N6thrust23THRUST_200600_302600_NS6detail15normal_iteratorINS9_10device_ptrIiEEEENSB_INSC_IyEEEESG_yNS9_4plusIvEENS9_8equal_toIvEEyEE10hipError_tPvRmT2_T3_T4_T5_mT6_T7_P12ihipStream_tbENKUlT_T0_E_clISt17integral_constantIbLb0EES10_IbLb1EEEEDaSW_SX_EUlSW_E_NS1_11comp_targetILNS1_3genE5ELNS1_11target_archE942ELNS1_3gpuE9ELNS1_3repE0EEENS1_30default_config_static_selectorELNS0_4arch9wavefront6targetE1EEEvT1_
		.amdhsa_group_segment_fixed_size 0
		.amdhsa_private_segment_fixed_size 0
		.amdhsa_kernarg_size 136
		.amdhsa_user_sgpr_count 6
		.amdhsa_user_sgpr_private_segment_buffer 1
		.amdhsa_user_sgpr_dispatch_ptr 0
		.amdhsa_user_sgpr_queue_ptr 0
		.amdhsa_user_sgpr_kernarg_segment_ptr 1
		.amdhsa_user_sgpr_dispatch_id 0
		.amdhsa_user_sgpr_flat_scratch_init 0
		.amdhsa_user_sgpr_kernarg_preload_length 0
		.amdhsa_user_sgpr_kernarg_preload_offset 0
		.amdhsa_user_sgpr_private_segment_size 0
		.amdhsa_uses_dynamic_stack 0
		.amdhsa_system_sgpr_private_segment_wavefront_offset 0
		.amdhsa_system_sgpr_workgroup_id_x 1
		.amdhsa_system_sgpr_workgroup_id_y 0
		.amdhsa_system_sgpr_workgroup_id_z 0
		.amdhsa_system_sgpr_workgroup_info 0
		.amdhsa_system_vgpr_workitem_id 0
		.amdhsa_next_free_vgpr 1
		.amdhsa_next_free_sgpr 0
		.amdhsa_accum_offset 4
		.amdhsa_reserve_vcc 0
		.amdhsa_reserve_flat_scratch 0
		.amdhsa_float_round_mode_32 0
		.amdhsa_float_round_mode_16_64 0
		.amdhsa_float_denorm_mode_32 3
		.amdhsa_float_denorm_mode_16_64 3
		.amdhsa_dx10_clamp 1
		.amdhsa_ieee_mode 1
		.amdhsa_fp16_overflow 0
		.amdhsa_tg_split 0
		.amdhsa_exception_fp_ieee_invalid_op 0
		.amdhsa_exception_fp_denorm_src 0
		.amdhsa_exception_fp_ieee_div_zero 0
		.amdhsa_exception_fp_ieee_overflow 0
		.amdhsa_exception_fp_ieee_underflow 0
		.amdhsa_exception_fp_ieee_inexact 0
		.amdhsa_exception_int_div_zero 0
	.end_amdhsa_kernel
	.section	.text._ZN7rocprim17ROCPRIM_400000_NS6detail17trampoline_kernelINS0_14default_configENS1_27scan_by_key_config_selectorIiyEEZZNS1_16scan_by_key_implILNS1_25lookback_scan_determinismE0ELb1ES3_N6thrust23THRUST_200600_302600_NS6detail15normal_iteratorINS9_10device_ptrIiEEEENSB_INSC_IyEEEESG_yNS9_4plusIvEENS9_8equal_toIvEEyEE10hipError_tPvRmT2_T3_T4_T5_mT6_T7_P12ihipStream_tbENKUlT_T0_E_clISt17integral_constantIbLb0EES10_IbLb1EEEEDaSW_SX_EUlSW_E_NS1_11comp_targetILNS1_3genE5ELNS1_11target_archE942ELNS1_3gpuE9ELNS1_3repE0EEENS1_30default_config_static_selectorELNS0_4arch9wavefront6targetE1EEEvT1_,"axG",@progbits,_ZN7rocprim17ROCPRIM_400000_NS6detail17trampoline_kernelINS0_14default_configENS1_27scan_by_key_config_selectorIiyEEZZNS1_16scan_by_key_implILNS1_25lookback_scan_determinismE0ELb1ES3_N6thrust23THRUST_200600_302600_NS6detail15normal_iteratorINS9_10device_ptrIiEEEENSB_INSC_IyEEEESG_yNS9_4plusIvEENS9_8equal_toIvEEyEE10hipError_tPvRmT2_T3_T4_T5_mT6_T7_P12ihipStream_tbENKUlT_T0_E_clISt17integral_constantIbLb0EES10_IbLb1EEEEDaSW_SX_EUlSW_E_NS1_11comp_targetILNS1_3genE5ELNS1_11target_archE942ELNS1_3gpuE9ELNS1_3repE0EEENS1_30default_config_static_selectorELNS0_4arch9wavefront6targetE1EEEvT1_,comdat
.Lfunc_end1492:
	.size	_ZN7rocprim17ROCPRIM_400000_NS6detail17trampoline_kernelINS0_14default_configENS1_27scan_by_key_config_selectorIiyEEZZNS1_16scan_by_key_implILNS1_25lookback_scan_determinismE0ELb1ES3_N6thrust23THRUST_200600_302600_NS6detail15normal_iteratorINS9_10device_ptrIiEEEENSB_INSC_IyEEEESG_yNS9_4plusIvEENS9_8equal_toIvEEyEE10hipError_tPvRmT2_T3_T4_T5_mT6_T7_P12ihipStream_tbENKUlT_T0_E_clISt17integral_constantIbLb0EES10_IbLb1EEEEDaSW_SX_EUlSW_E_NS1_11comp_targetILNS1_3genE5ELNS1_11target_archE942ELNS1_3gpuE9ELNS1_3repE0EEENS1_30default_config_static_selectorELNS0_4arch9wavefront6targetE1EEEvT1_, .Lfunc_end1492-_ZN7rocprim17ROCPRIM_400000_NS6detail17trampoline_kernelINS0_14default_configENS1_27scan_by_key_config_selectorIiyEEZZNS1_16scan_by_key_implILNS1_25lookback_scan_determinismE0ELb1ES3_N6thrust23THRUST_200600_302600_NS6detail15normal_iteratorINS9_10device_ptrIiEEEENSB_INSC_IyEEEESG_yNS9_4plusIvEENS9_8equal_toIvEEyEE10hipError_tPvRmT2_T3_T4_T5_mT6_T7_P12ihipStream_tbENKUlT_T0_E_clISt17integral_constantIbLb0EES10_IbLb1EEEEDaSW_SX_EUlSW_E_NS1_11comp_targetILNS1_3genE5ELNS1_11target_archE942ELNS1_3gpuE9ELNS1_3repE0EEENS1_30default_config_static_selectorELNS0_4arch9wavefront6targetE1EEEvT1_
                                        ; -- End function
	.section	.AMDGPU.csdata,"",@progbits
; Kernel info:
; codeLenInByte = 0
; NumSgprs: 4
; NumVgprs: 0
; NumAgprs: 0
; TotalNumVgprs: 0
; ScratchSize: 0
; MemoryBound: 0
; FloatMode: 240
; IeeeMode: 1
; LDSByteSize: 0 bytes/workgroup (compile time only)
; SGPRBlocks: 0
; VGPRBlocks: 0
; NumSGPRsForWavesPerEU: 4
; NumVGPRsForWavesPerEU: 1
; AccumOffset: 4
; Occupancy: 8
; WaveLimiterHint : 0
; COMPUTE_PGM_RSRC2:SCRATCH_EN: 0
; COMPUTE_PGM_RSRC2:USER_SGPR: 6
; COMPUTE_PGM_RSRC2:TRAP_HANDLER: 0
; COMPUTE_PGM_RSRC2:TGID_X_EN: 1
; COMPUTE_PGM_RSRC2:TGID_Y_EN: 0
; COMPUTE_PGM_RSRC2:TGID_Z_EN: 0
; COMPUTE_PGM_RSRC2:TIDIG_COMP_CNT: 0
; COMPUTE_PGM_RSRC3_GFX90A:ACCUM_OFFSET: 0
; COMPUTE_PGM_RSRC3_GFX90A:TG_SPLIT: 0
	.section	.text._ZN7rocprim17ROCPRIM_400000_NS6detail17trampoline_kernelINS0_14default_configENS1_27scan_by_key_config_selectorIiyEEZZNS1_16scan_by_key_implILNS1_25lookback_scan_determinismE0ELb1ES3_N6thrust23THRUST_200600_302600_NS6detail15normal_iteratorINS9_10device_ptrIiEEEENSB_INSC_IyEEEESG_yNS9_4plusIvEENS9_8equal_toIvEEyEE10hipError_tPvRmT2_T3_T4_T5_mT6_T7_P12ihipStream_tbENKUlT_T0_E_clISt17integral_constantIbLb0EES10_IbLb1EEEEDaSW_SX_EUlSW_E_NS1_11comp_targetILNS1_3genE4ELNS1_11target_archE910ELNS1_3gpuE8ELNS1_3repE0EEENS1_30default_config_static_selectorELNS0_4arch9wavefront6targetE1EEEvT1_,"axG",@progbits,_ZN7rocprim17ROCPRIM_400000_NS6detail17trampoline_kernelINS0_14default_configENS1_27scan_by_key_config_selectorIiyEEZZNS1_16scan_by_key_implILNS1_25lookback_scan_determinismE0ELb1ES3_N6thrust23THRUST_200600_302600_NS6detail15normal_iteratorINS9_10device_ptrIiEEEENSB_INSC_IyEEEESG_yNS9_4plusIvEENS9_8equal_toIvEEyEE10hipError_tPvRmT2_T3_T4_T5_mT6_T7_P12ihipStream_tbENKUlT_T0_E_clISt17integral_constantIbLb0EES10_IbLb1EEEEDaSW_SX_EUlSW_E_NS1_11comp_targetILNS1_3genE4ELNS1_11target_archE910ELNS1_3gpuE8ELNS1_3repE0EEENS1_30default_config_static_selectorELNS0_4arch9wavefront6targetE1EEEvT1_,comdat
	.protected	_ZN7rocprim17ROCPRIM_400000_NS6detail17trampoline_kernelINS0_14default_configENS1_27scan_by_key_config_selectorIiyEEZZNS1_16scan_by_key_implILNS1_25lookback_scan_determinismE0ELb1ES3_N6thrust23THRUST_200600_302600_NS6detail15normal_iteratorINS9_10device_ptrIiEEEENSB_INSC_IyEEEESG_yNS9_4plusIvEENS9_8equal_toIvEEyEE10hipError_tPvRmT2_T3_T4_T5_mT6_T7_P12ihipStream_tbENKUlT_T0_E_clISt17integral_constantIbLb0EES10_IbLb1EEEEDaSW_SX_EUlSW_E_NS1_11comp_targetILNS1_3genE4ELNS1_11target_archE910ELNS1_3gpuE8ELNS1_3repE0EEENS1_30default_config_static_selectorELNS0_4arch9wavefront6targetE1EEEvT1_ ; -- Begin function _ZN7rocprim17ROCPRIM_400000_NS6detail17trampoline_kernelINS0_14default_configENS1_27scan_by_key_config_selectorIiyEEZZNS1_16scan_by_key_implILNS1_25lookback_scan_determinismE0ELb1ES3_N6thrust23THRUST_200600_302600_NS6detail15normal_iteratorINS9_10device_ptrIiEEEENSB_INSC_IyEEEESG_yNS9_4plusIvEENS9_8equal_toIvEEyEE10hipError_tPvRmT2_T3_T4_T5_mT6_T7_P12ihipStream_tbENKUlT_T0_E_clISt17integral_constantIbLb0EES10_IbLb1EEEEDaSW_SX_EUlSW_E_NS1_11comp_targetILNS1_3genE4ELNS1_11target_archE910ELNS1_3gpuE8ELNS1_3repE0EEENS1_30default_config_static_selectorELNS0_4arch9wavefront6targetE1EEEvT1_
	.globl	_ZN7rocprim17ROCPRIM_400000_NS6detail17trampoline_kernelINS0_14default_configENS1_27scan_by_key_config_selectorIiyEEZZNS1_16scan_by_key_implILNS1_25lookback_scan_determinismE0ELb1ES3_N6thrust23THRUST_200600_302600_NS6detail15normal_iteratorINS9_10device_ptrIiEEEENSB_INSC_IyEEEESG_yNS9_4plusIvEENS9_8equal_toIvEEyEE10hipError_tPvRmT2_T3_T4_T5_mT6_T7_P12ihipStream_tbENKUlT_T0_E_clISt17integral_constantIbLb0EES10_IbLb1EEEEDaSW_SX_EUlSW_E_NS1_11comp_targetILNS1_3genE4ELNS1_11target_archE910ELNS1_3gpuE8ELNS1_3repE0EEENS1_30default_config_static_selectorELNS0_4arch9wavefront6targetE1EEEvT1_
	.p2align	8
	.type	_ZN7rocprim17ROCPRIM_400000_NS6detail17trampoline_kernelINS0_14default_configENS1_27scan_by_key_config_selectorIiyEEZZNS1_16scan_by_key_implILNS1_25lookback_scan_determinismE0ELb1ES3_N6thrust23THRUST_200600_302600_NS6detail15normal_iteratorINS9_10device_ptrIiEEEENSB_INSC_IyEEEESG_yNS9_4plusIvEENS9_8equal_toIvEEyEE10hipError_tPvRmT2_T3_T4_T5_mT6_T7_P12ihipStream_tbENKUlT_T0_E_clISt17integral_constantIbLb0EES10_IbLb1EEEEDaSW_SX_EUlSW_E_NS1_11comp_targetILNS1_3genE4ELNS1_11target_archE910ELNS1_3gpuE8ELNS1_3repE0EEENS1_30default_config_static_selectorELNS0_4arch9wavefront6targetE1EEEvT1_,@function
_ZN7rocprim17ROCPRIM_400000_NS6detail17trampoline_kernelINS0_14default_configENS1_27scan_by_key_config_selectorIiyEEZZNS1_16scan_by_key_implILNS1_25lookback_scan_determinismE0ELb1ES3_N6thrust23THRUST_200600_302600_NS6detail15normal_iteratorINS9_10device_ptrIiEEEENSB_INSC_IyEEEESG_yNS9_4plusIvEENS9_8equal_toIvEEyEE10hipError_tPvRmT2_T3_T4_T5_mT6_T7_P12ihipStream_tbENKUlT_T0_E_clISt17integral_constantIbLb0EES10_IbLb1EEEEDaSW_SX_EUlSW_E_NS1_11comp_targetILNS1_3genE4ELNS1_11target_archE910ELNS1_3gpuE8ELNS1_3repE0EEENS1_30default_config_static_selectorELNS0_4arch9wavefront6targetE1EEEvT1_: ; @_ZN7rocprim17ROCPRIM_400000_NS6detail17trampoline_kernelINS0_14default_configENS1_27scan_by_key_config_selectorIiyEEZZNS1_16scan_by_key_implILNS1_25lookback_scan_determinismE0ELb1ES3_N6thrust23THRUST_200600_302600_NS6detail15normal_iteratorINS9_10device_ptrIiEEEENSB_INSC_IyEEEESG_yNS9_4plusIvEENS9_8equal_toIvEEyEE10hipError_tPvRmT2_T3_T4_T5_mT6_T7_P12ihipStream_tbENKUlT_T0_E_clISt17integral_constantIbLb0EES10_IbLb1EEEEDaSW_SX_EUlSW_E_NS1_11comp_targetILNS1_3genE4ELNS1_11target_archE910ELNS1_3gpuE8ELNS1_3repE0EEENS1_30default_config_static_selectorELNS0_4arch9wavefront6targetE1EEEvT1_
; %bb.0:
	s_load_dwordx8 s[56:63], s[4:5], 0x0
	s_load_dwordx2 s[68:69], s[4:5], 0x20
	s_load_dwordx8 s[48:55], s[4:5], 0x30
	s_load_dwordx2 s[70:71], s[4:5], 0x50
	v_cmp_eq_u32_e64 s[0:1], 0, v0
	s_and_saveexec_b64 s[2:3], s[0:1]
	s_cbranch_execz .LBB1493_4
; %bb.1:
	s_mov_b64 s[8:9], exec
	v_mbcnt_lo_u32_b32 v1, s8, 0
	v_mbcnt_hi_u32_b32 v1, s9, v1
	v_cmp_eq_u32_e32 vcc, 0, v1
                                        ; implicit-def: $vgpr2
	s_and_saveexec_b64 s[6:7], vcc
	s_cbranch_execz .LBB1493_3
; %bb.2:
	s_load_dwordx2 s[10:11], s[4:5], 0x80
	s_bcnt1_i32_b64 s8, s[8:9]
	v_mov_b32_e32 v2, 0
	v_mov_b32_e32 v3, s8
	s_waitcnt lgkmcnt(0)
	global_atomic_add v2, v2, v3, s[10:11] glc
.LBB1493_3:
	s_or_b64 exec, exec, s[6:7]
	s_waitcnt vmcnt(0)
	v_readfirstlane_b32 s6, v2
	v_add_u32_e32 v1, s6, v1
	v_mov_b32_e32 v2, 0
	ds_write_b32 v2, v1
.LBB1493_4:
	s_or_b64 exec, exec, s[2:3]
	s_load_dword s2, s[4:5], 0x58
	s_load_dwordx4 s[64:67], s[4:5], 0x60
	v_mov_b32_e32 v3, 0
	s_waitcnt lgkmcnt(0)
	s_lshl_b64 s[4:5], s[58:59], 2
	s_waitcnt lgkmcnt(0)
	; wave barrier
	ds_read_b32 v1, v3
	s_add_u32 s3, s56, s4
	s_addc_u32 s4, s57, s5
	s_lshl_b64 s[56:57], s[58:59], 3
	s_add_u32 s5, s60, s56
	s_mul_i32 s7, s71, s2
	s_mul_hi_u32 s8, s70, s2
	s_addc_u32 s6, s61, s57
	s_add_i32 s7, s8, s7
	s_movk_i32 s8, 0x540
	s_waitcnt lgkmcnt(0)
	v_mul_lo_u32 v2, v1, s8
	v_lshlrev_b64 v[4:5], 2, v[2:3]
	v_mov_b32_e32 v7, s4
	v_add_co_u32_e32 v6, vcc, s3, v4
	v_addc_co_u32_e32 v7, vcc, v7, v5, vcc
	v_lshlrev_b64 v[42:43], 3, v[2:3]
	v_mov_b32_e32 v2, s6
	v_add_co_u32_e32 v86, vcc, s5, v42
	s_mul_i32 s2, s70, s2
	v_addc_co_u32_e32 v87, vcc, v2, v43, vcc
	v_mov_b32_e32 v3, s7
	v_add_co_u32_e32 v2, vcc, s2, v1
	s_add_u32 s6, s64, -1
	v_addc_co_u32_e32 v3, vcc, 0, v3, vcc
	s_addc_u32 s7, s65, -1
	v_cmp_le_u64_e64 s[2:3], s[6:7], v[2:3]
	v_readfirstlane_b32 s55, v1
	s_mov_b64 s[4:5], -1
	s_and_b64 vcc, exec, s[2:3]
	s_mul_i32 s33, s6, 0xfffffac0
	s_waitcnt lgkmcnt(0)
	; wave barrier
	s_waitcnt lgkmcnt(0)
	s_waitcnt lgkmcnt(0)
	; wave barrier
	s_cbranch_vccz .LBB1493_69
; %bb.5:
	flat_load_dword v2, v[6:7]
	s_add_i32 s64, s33, s54
	v_cmp_gt_u32_e32 vcc, s64, v0
	s_waitcnt vmcnt(0) lgkmcnt(0)
	v_mov_b32_e32 v3, v2
	s_and_saveexec_b64 s[6:7], vcc
	s_cbranch_execz .LBB1493_7
; %bb.6:
	v_lshlrev_b32_e32 v1, 2, v0
	v_add_co_u32_e64 v4, s[4:5], v6, v1
	v_addc_co_u32_e64 v5, s[4:5], 0, v7, s[4:5]
	flat_load_dword v3, v[4:5]
.LBB1493_7:
	s_or_b64 exec, exec, s[6:7]
	v_or_b32_e32 v1, 64, v0
	v_cmp_gt_u32_e64 s[4:5], s64, v1
	v_mov_b32_e32 v4, v2
	s_and_saveexec_b64 s[8:9], s[4:5]
	s_cbranch_execz .LBB1493_9
; %bb.8:
	v_lshlrev_b32_e32 v1, 2, v0
	v_add_co_u32_e64 v4, s[6:7], v6, v1
	v_addc_co_u32_e64 v5, s[6:7], 0, v7, s[6:7]
	flat_load_dword v4, v[4:5] offset:256
.LBB1493_9:
	s_or_b64 exec, exec, s[8:9]
	v_or_b32_e32 v1, 0x80, v0
	v_cmp_gt_u32_e64 s[6:7], s64, v1
	v_mov_b32_e32 v5, v2
	s_and_saveexec_b64 s[10:11], s[6:7]
	s_cbranch_execz .LBB1493_11
; %bb.10:
	v_lshlrev_b32_e32 v1, 2, v0
	v_add_co_u32_e64 v8, s[8:9], v6, v1
	v_addc_co_u32_e64 v9, s[8:9], 0, v7, s[8:9]
	flat_load_dword v5, v[8:9] offset:512
.LBB1493_11:
	;; [unrolled: 12-line block ×15, first 2 shown]
	s_or_b64 exec, exec, s[38:39]
	v_or_b32_e32 v60, 0x400, v0
	v_cmp_gt_u32_e64 s[36:37], s64, v60
	v_mov_b32_e32 v21, v2
	s_and_saveexec_b64 s[40:41], s[36:37]
	s_cbranch_execz .LBB1493_39
; %bb.38:
	v_lshlrev_b32_e32 v21, 2, v60
	v_add_co_u32_e64 v22, s[38:39], v6, v21
	v_addc_co_u32_e64 v23, s[38:39], 0, v7, s[38:39]
	flat_load_dword v21, v[22:23]
.LBB1493_39:
	s_or_b64 exec, exec, s[40:41]
	v_or_b32_e32 v62, 0x440, v0
	v_cmp_gt_u32_e64 s[38:39], s64, v62
	v_mov_b32_e32 v22, v2
	s_and_saveexec_b64 s[42:43], s[38:39]
	s_cbranch_execz .LBB1493_41
; %bb.40:
	v_lshlrev_b32_e32 v22, 2, v62
	v_add_co_u32_e64 v22, s[40:41], v6, v22
	v_addc_co_u32_e64 v23, s[40:41], 0, v7, s[40:41]
	flat_load_dword v22, v[22:23]
.LBB1493_41:
	;; [unrolled: 12-line block ×4, first 2 shown]
	s_or_b64 exec, exec, s[46:47]
	v_or_b32_e32 v68, 0x500, v0
	v_cmp_gt_u32_e64 s[44:45], s64, v68
	s_and_saveexec_b64 s[58:59], s[44:45]
	s_cbranch_execz .LBB1493_47
; %bb.46:
	v_lshlrev_b32_e32 v2, 2, v68
	v_add_co_u32_e64 v26, s[46:47], v6, v2
	v_addc_co_u32_e64 v27, s[46:47], 0, v7, s[46:47]
	flat_load_dword v2, v[26:27]
.LBB1493_47:
	s_or_b64 exec, exec, s[58:59]
	v_lshlrev_b32_e32 v28, 2, v0
	s_waitcnt vmcnt(0) lgkmcnt(0)
	ds_write2st64_b32 v28, v3, v4 offset1:1
	ds_write2st64_b32 v28, v5, v8 offset0:2 offset1:3
	ds_write2st64_b32 v28, v9, v10 offset0:4 offset1:5
	;; [unrolled: 1-line block ×9, first 2 shown]
	ds_write_b32 v28, v2 offset:5120
	s_waitcnt lgkmcnt(0)
	; wave barrier
	s_waitcnt lgkmcnt(0)
	flat_load_dword v84, v[6:7]
	s_movk_i32 s46, 0x50
	v_mad_u32_u24 v2, v0, s46, v28
	s_movk_i32 s46, 0xffb0
	v_mad_i32_i24 v69, v0, s46, v2
	v_cmp_ne_u32_e64 s[46:47], 63, v0
	ds_read_b32 v88, v2
	ds_read2_b32 v[26:27], v2 offset0:1 offset1:2
	ds_read2_b32 v[24:25], v2 offset0:3 offset1:4
	;; [unrolled: 1-line block ×10, first 2 shown]
	s_waitcnt lgkmcnt(0)
	ds_write_b32 v69, v88 offset:5632
	s_waitcnt lgkmcnt(0)
	; wave barrier
	s_waitcnt lgkmcnt(0)
	s_and_saveexec_b64 s[58:59], s[46:47]
	s_cbranch_execz .LBB1493_49
; %bb.48:
	s_waitcnt vmcnt(0)
	ds_read_b32 v84, v28 offset:5636
.LBB1493_49:
	s_or_b64 exec, exec, s[58:59]
	s_waitcnt lgkmcnt(0)
	; wave barrier
	s_waitcnt lgkmcnt(0)
                                        ; implicit-def: $vgpr2_vgpr3
	s_and_saveexec_b64 s[46:47], vcc
	s_cbranch_execz .LBB1493_70
; %bb.50:
	v_lshlrev_b32_e32 v2, 3, v0
	v_add_co_u32_e32 v2, vcc, v86, v2
	v_addc_co_u32_e32 v3, vcc, 0, v87, vcc
	flat_load_dwordx2 v[2:3], v[2:3]
	s_or_b64 exec, exec, s[46:47]
                                        ; implicit-def: $vgpr4_vgpr5
	s_and_saveexec_b64 s[46:47], s[4:5]
	s_cbranch_execnz .LBB1493_71
.LBB1493_51:
	s_or_b64 exec, exec, s[46:47]
                                        ; implicit-def: $vgpr28_vgpr29
	s_and_saveexec_b64 s[4:5], s[6:7]
	s_cbranch_execz .LBB1493_72
.LBB1493_52:
	v_lshlrev_b32_e32 v28, 3, v0
	v_add_co_u32_e32 v28, vcc, v86, v28
	v_addc_co_u32_e32 v29, vcc, 0, v87, vcc
	flat_load_dwordx2 v[28:29], v[28:29] offset:1024
	s_or_b64 exec, exec, s[4:5]
                                        ; implicit-def: $vgpr30_vgpr31
	s_and_saveexec_b64 s[4:5], s[8:9]
	s_cbranch_execnz .LBB1493_73
.LBB1493_53:
	s_or_b64 exec, exec, s[4:5]
                                        ; implicit-def: $vgpr32_vgpr33
	s_and_saveexec_b64 s[4:5], s[10:11]
	s_cbranch_execz .LBB1493_74
.LBB1493_54:
	v_lshlrev_b32_e32 v32, 3, v0
	v_add_co_u32_e32 v32, vcc, v86, v32
	v_addc_co_u32_e32 v33, vcc, 0, v87, vcc
	flat_load_dwordx2 v[32:33], v[32:33] offset:2048
	s_or_b64 exec, exec, s[4:5]
                                        ; implicit-def: $vgpr34_vgpr35
	s_and_saveexec_b64 s[4:5], s[12:13]
	s_cbranch_execnz .LBB1493_75
.LBB1493_55:
	s_or_b64 exec, exec, s[4:5]
                                        ; implicit-def: $vgpr36_vgpr37
	s_and_saveexec_b64 s[4:5], s[14:15]
	s_cbranch_execz .LBB1493_76
.LBB1493_56:
	v_lshlrev_b32_e32 v36, 3, v0
	v_add_co_u32_e32 v36, vcc, v86, v36
	v_addc_co_u32_e32 v37, vcc, 0, v87, vcc
	flat_load_dwordx2 v[36:37], v[36:37] offset:3072
	s_or_b64 exec, exec, s[4:5]
                                        ; implicit-def: $vgpr38_vgpr39
	s_and_saveexec_b64 s[4:5], s[16:17]
	s_cbranch_execnz .LBB1493_77
.LBB1493_57:
	s_or_b64 exec, exec, s[4:5]
                                        ; implicit-def: $vgpr40_vgpr41
	s_and_saveexec_b64 s[4:5], s[18:19]
	s_cbranch_execz .LBB1493_78
.LBB1493_58:
	v_lshlrev_b32_e32 v1, 3, v1
	v_add_co_u32_e32 v40, vcc, v86, v1
	v_addc_co_u32_e32 v41, vcc, 0, v87, vcc
	flat_load_dwordx2 v[40:41], v[40:41]
	s_or_b64 exec, exec, s[4:5]
                                        ; implicit-def: $vgpr44_vgpr45
	s_and_saveexec_b64 s[4:5], s[20:21]
	s_cbranch_execnz .LBB1493_79
.LBB1493_59:
	s_or_b64 exec, exec, s[4:5]
                                        ; implicit-def: $vgpr46_vgpr47
	s_and_saveexec_b64 s[4:5], s[22:23]
	s_cbranch_execz .LBB1493_80
.LBB1493_60:
	v_lshlrev_b32_e32 v1, 3, v48
	v_add_co_u32_e32 v46, vcc, v86, v1
	v_addc_co_u32_e32 v47, vcc, 0, v87, vcc
	flat_load_dwordx2 v[46:47], v[46:47]
	s_or_b64 exec, exec, s[4:5]
                                        ; implicit-def: $vgpr48_vgpr49
	s_and_saveexec_b64 s[4:5], s[24:25]
	s_cbranch_execnz .LBB1493_81
.LBB1493_61:
	s_or_b64 exec, exec, s[4:5]
                                        ; implicit-def: $vgpr50_vgpr51
	s_and_saveexec_b64 s[4:5], s[26:27]
	s_cbranch_execz .LBB1493_82
.LBB1493_62:
	v_lshlrev_b32_e32 v1, 3, v52
	v_add_co_u32_e32 v50, vcc, v86, v1
	v_addc_co_u32_e32 v51, vcc, 0, v87, vcc
	flat_load_dwordx2 v[50:51], v[50:51]
	s_or_b64 exec, exec, s[4:5]
                                        ; implicit-def: $vgpr52_vgpr53
	s_and_saveexec_b64 s[4:5], s[28:29]
	s_cbranch_execnz .LBB1493_83
.LBB1493_63:
	s_or_b64 exec, exec, s[4:5]
                                        ; implicit-def: $vgpr54_vgpr55
	s_and_saveexec_b64 s[4:5], s[30:31]
	s_cbranch_execz .LBB1493_84
.LBB1493_64:
	v_lshlrev_b32_e32 v1, 3, v56
	v_add_co_u32_e32 v54, vcc, v86, v1
	v_addc_co_u32_e32 v55, vcc, 0, v87, vcc
	flat_load_dwordx2 v[54:55], v[54:55]
	s_or_b64 exec, exec, s[4:5]
                                        ; implicit-def: $vgpr56_vgpr57
	s_and_saveexec_b64 s[4:5], s[34:35]
	s_cbranch_execnz .LBB1493_85
.LBB1493_65:
	s_or_b64 exec, exec, s[4:5]
                                        ; implicit-def: $vgpr58_vgpr59
	s_and_saveexec_b64 s[4:5], s[36:37]
	s_cbranch_execz .LBB1493_86
.LBB1493_66:
	v_lshlrev_b32_e32 v1, 3, v60
	v_add_co_u32_e32 v58, vcc, v86, v1
	v_addc_co_u32_e32 v59, vcc, 0, v87, vcc
	flat_load_dwordx2 v[58:59], v[58:59]
	s_or_b64 exec, exec, s[4:5]
                                        ; implicit-def: $vgpr60_vgpr61
	s_and_saveexec_b64 s[4:5], s[38:39]
	s_cbranch_execnz .LBB1493_87
.LBB1493_67:
	s_or_b64 exec, exec, s[4:5]
                                        ; implicit-def: $vgpr62_vgpr63
	s_and_saveexec_b64 s[4:5], s[40:41]
	s_cbranch_execz .LBB1493_88
.LBB1493_68:
	v_lshlrev_b32_e32 v1, 3, v64
	v_add_co_u32_e32 v62, vcc, v86, v1
	v_addc_co_u32_e32 v63, vcc, 0, v87, vcc
	flat_load_dwordx2 v[62:63], v[62:63]
	s_or_b64 exec, exec, s[4:5]
                                        ; implicit-def: $vgpr64_vgpr65
	s_and_saveexec_b64 s[4:5], s[42:43]
	s_cbranch_execz .LBB1493_90
	s_branch .LBB1493_89
.LBB1493_69:
	s_mov_b64 s[10:11], 0
                                        ; implicit-def: $sgpr8_sgpr9
                                        ; implicit-def: $vgpr2_vgpr3
                                        ; implicit-def: $vgpr44_vgpr45
                                        ; implicit-def: $vgpr110
                                        ; implicit-def: $vgpr46_vgpr47
                                        ; implicit-def: $vgpr126
                                        ; implicit-def: $vgpr82_vgpr83
                                        ; implicit-def: $vgpr125
                                        ; implicit-def: $vgpr80_vgpr81
                                        ; implicit-def: $vgpr124
                                        ; implicit-def: $vgpr78_vgpr79
                                        ; implicit-def: $vgpr123
                                        ; implicit-def: $vgpr76_vgpr77
                                        ; implicit-def: $vgpr122
                                        ; implicit-def: $vgpr74_vgpr75
                                        ; implicit-def: $vgpr121
                                        ; implicit-def: $vgpr72_vgpr73
                                        ; implicit-def: $vgpr120
                                        ; implicit-def: $vgpr70_vgpr71
                                        ; implicit-def: $vgpr119
                                        ; implicit-def: $vgpr68_vgpr69
                                        ; implicit-def: $vgpr118
                                        ; implicit-def: $vgpr66_vgpr67
                                        ; implicit-def: $vgpr117
                                        ; implicit-def: $vgpr64_vgpr65
                                        ; implicit-def: $vgpr116
                                        ; implicit-def: $vgpr62_vgpr63
                                        ; implicit-def: $vgpr115
                                        ; implicit-def: $vgpr60_vgpr61
                                        ; implicit-def: $vgpr114
                                        ; implicit-def: $vgpr58_vgpr59
                                        ; implicit-def: $vgpr113
                                        ; implicit-def: $vgpr56_vgpr57
                                        ; implicit-def: $vgpr112
                                        ; implicit-def: $vgpr54_vgpr55
                                        ; implicit-def: $vgpr111
                                        ; implicit-def: $vgpr52_vgpr53
                                        ; implicit-def: $vgpr109
                                        ; implicit-def: $vgpr50_vgpr51
                                        ; implicit-def: $vgpr108
                                        ; implicit-def: $vgpr48_vgpr49
                                        ; implicit-def: $vgpr1
                                        ; implicit-def: $sgpr72
                                        ; implicit-def: $sgpr6_sgpr7
	s_and_b64 vcc, exec, s[4:5]
	s_cbranch_vccz .LBB1493_140
	s_branch .LBB1493_135
.LBB1493_70:
	s_or_b64 exec, exec, s[46:47]
                                        ; implicit-def: $vgpr4_vgpr5
	s_and_saveexec_b64 s[46:47], s[4:5]
	s_cbranch_execz .LBB1493_51
.LBB1493_71:
	v_lshlrev_b32_e32 v4, 3, v0
	v_add_co_u32_e32 v4, vcc, v86, v4
	v_addc_co_u32_e32 v5, vcc, 0, v87, vcc
	flat_load_dwordx2 v[4:5], v[4:5] offset:512
	s_or_b64 exec, exec, s[46:47]
                                        ; implicit-def: $vgpr28_vgpr29
	s_and_saveexec_b64 s[4:5], s[6:7]
	s_cbranch_execnz .LBB1493_52
.LBB1493_72:
	s_or_b64 exec, exec, s[4:5]
                                        ; implicit-def: $vgpr30_vgpr31
	s_and_saveexec_b64 s[4:5], s[8:9]
	s_cbranch_execz .LBB1493_53
.LBB1493_73:
	v_lshlrev_b32_e32 v30, 3, v0
	v_add_co_u32_e32 v30, vcc, v86, v30
	v_addc_co_u32_e32 v31, vcc, 0, v87, vcc
	flat_load_dwordx2 v[30:31], v[30:31] offset:1536
	s_or_b64 exec, exec, s[4:5]
                                        ; implicit-def: $vgpr32_vgpr33
	s_and_saveexec_b64 s[4:5], s[10:11]
	s_cbranch_execnz .LBB1493_54
.LBB1493_74:
	s_or_b64 exec, exec, s[4:5]
                                        ; implicit-def: $vgpr34_vgpr35
	s_and_saveexec_b64 s[4:5], s[12:13]
	s_cbranch_execz .LBB1493_55
.LBB1493_75:
	v_lshlrev_b32_e32 v34, 3, v0
	v_add_co_u32_e32 v34, vcc, v86, v34
	v_addc_co_u32_e32 v35, vcc, 0, v87, vcc
	flat_load_dwordx2 v[34:35], v[34:35] offset:2560
	s_or_b64 exec, exec, s[4:5]
                                        ; implicit-def: $vgpr36_vgpr37
	s_and_saveexec_b64 s[4:5], s[14:15]
	s_cbranch_execnz .LBB1493_56
.LBB1493_76:
	s_or_b64 exec, exec, s[4:5]
                                        ; implicit-def: $vgpr38_vgpr39
	s_and_saveexec_b64 s[4:5], s[16:17]
	s_cbranch_execz .LBB1493_57
.LBB1493_77:
	v_lshlrev_b32_e32 v38, 3, v0
	v_add_co_u32_e32 v38, vcc, v86, v38
	v_addc_co_u32_e32 v39, vcc, 0, v87, vcc
	flat_load_dwordx2 v[38:39], v[38:39] offset:3584
	s_or_b64 exec, exec, s[4:5]
                                        ; implicit-def: $vgpr40_vgpr41
	s_and_saveexec_b64 s[4:5], s[18:19]
	s_cbranch_execnz .LBB1493_58
.LBB1493_78:
	s_or_b64 exec, exec, s[4:5]
                                        ; implicit-def: $vgpr44_vgpr45
	s_and_saveexec_b64 s[4:5], s[20:21]
	s_cbranch_execz .LBB1493_59
.LBB1493_79:
	v_lshlrev_b32_e32 v1, 3, v46
	v_add_co_u32_e32 v44, vcc, v86, v1
	v_addc_co_u32_e32 v45, vcc, 0, v87, vcc
	flat_load_dwordx2 v[44:45], v[44:45]
	s_or_b64 exec, exec, s[4:5]
                                        ; implicit-def: $vgpr46_vgpr47
	s_and_saveexec_b64 s[4:5], s[22:23]
	s_cbranch_execnz .LBB1493_60
.LBB1493_80:
	s_or_b64 exec, exec, s[4:5]
                                        ; implicit-def: $vgpr48_vgpr49
	s_and_saveexec_b64 s[4:5], s[24:25]
	s_cbranch_execz .LBB1493_61
.LBB1493_81:
	v_lshlrev_b32_e32 v1, 3, v50
	v_add_co_u32_e32 v48, vcc, v86, v1
	v_addc_co_u32_e32 v49, vcc, 0, v87, vcc
	flat_load_dwordx2 v[48:49], v[48:49]
	s_or_b64 exec, exec, s[4:5]
                                        ; implicit-def: $vgpr50_vgpr51
	s_and_saveexec_b64 s[4:5], s[26:27]
	s_cbranch_execnz .LBB1493_62
.LBB1493_82:
	s_or_b64 exec, exec, s[4:5]
                                        ; implicit-def: $vgpr52_vgpr53
	s_and_saveexec_b64 s[4:5], s[28:29]
	s_cbranch_execz .LBB1493_63
.LBB1493_83:
	v_lshlrev_b32_e32 v1, 3, v54
	v_add_co_u32_e32 v52, vcc, v86, v1
	v_addc_co_u32_e32 v53, vcc, 0, v87, vcc
	flat_load_dwordx2 v[52:53], v[52:53]
	s_or_b64 exec, exec, s[4:5]
                                        ; implicit-def: $vgpr54_vgpr55
	s_and_saveexec_b64 s[4:5], s[30:31]
	s_cbranch_execnz .LBB1493_64
.LBB1493_84:
	s_or_b64 exec, exec, s[4:5]
                                        ; implicit-def: $vgpr56_vgpr57
	s_and_saveexec_b64 s[4:5], s[34:35]
	s_cbranch_execz .LBB1493_65
.LBB1493_85:
	v_lshlrev_b32_e32 v1, 3, v58
	v_add_co_u32_e32 v56, vcc, v86, v1
	v_addc_co_u32_e32 v57, vcc, 0, v87, vcc
	flat_load_dwordx2 v[56:57], v[56:57]
	s_or_b64 exec, exec, s[4:5]
                                        ; implicit-def: $vgpr58_vgpr59
	s_and_saveexec_b64 s[4:5], s[36:37]
	s_cbranch_execnz .LBB1493_66
.LBB1493_86:
	s_or_b64 exec, exec, s[4:5]
                                        ; implicit-def: $vgpr60_vgpr61
	s_and_saveexec_b64 s[4:5], s[38:39]
	s_cbranch_execz .LBB1493_67
.LBB1493_87:
	v_lshlrev_b32_e32 v1, 3, v62
	v_add_co_u32_e32 v60, vcc, v86, v1
	v_addc_co_u32_e32 v61, vcc, 0, v87, vcc
	flat_load_dwordx2 v[60:61], v[60:61]
	s_or_b64 exec, exec, s[4:5]
                                        ; implicit-def: $vgpr62_vgpr63
	s_and_saveexec_b64 s[4:5], s[40:41]
	s_cbranch_execnz .LBB1493_68
.LBB1493_88:
	s_or_b64 exec, exec, s[4:5]
                                        ; implicit-def: $vgpr64_vgpr65
	s_and_saveexec_b64 s[4:5], s[42:43]
	s_cbranch_execz .LBB1493_90
.LBB1493_89:
	v_lshlrev_b32_e32 v1, 3, v66
	v_add_co_u32_e32 v64, vcc, v86, v1
	v_addc_co_u32_e32 v65, vcc, 0, v87, vcc
	flat_load_dwordx2 v[64:65], v[64:65]
.LBB1493_90:
	s_or_b64 exec, exec, s[4:5]
	v_mul_u32_u24_e32 v85, 21, v0
                                        ; implicit-def: $vgpr66_vgpr67
	s_and_saveexec_b64 s[4:5], s[44:45]
	s_cbranch_execz .LBB1493_92
; %bb.91:
	v_lshlrev_b32_e32 v1, 3, v68
	v_add_co_u32_e32 v66, vcc, v86, v1
	v_addc_co_u32_e32 v67, vcc, 0, v87, vcc
	flat_load_dwordx2 v[66:67], v[66:67]
.LBB1493_92:
	s_or_b64 exec, exec, s[4:5]
	v_lshl_add_u32 v89, v0, 2, v69
	s_waitcnt vmcnt(0) lgkmcnt(0)
	ds_write2st64_b64 v89, v[2:3], v[4:5] offset1:1
	ds_write2st64_b64 v89, v[28:29], v[30:31] offset0:2 offset1:3
	ds_write2st64_b64 v89, v[32:33], v[34:35] offset0:4 offset1:5
	;; [unrolled: 1-line block ×9, first 2 shown]
	ds_write_b64 v89, v[66:67] offset:10240
	v_pk_mov_b32 v[44:45], 0, 0
	v_cmp_gt_u32_e32 vcc, s64, v85
	s_mov_b64 s[10:11], 0
	s_mov_b32 s72, 0
	s_mov_b64 s[4:5], 0
	v_mov_b32_e32 v110, 0
	v_pk_mov_b32 v[46:47], v[44:45], v[44:45] op_sel:[0,1]
	v_mov_b32_e32 v126, 0
	v_pk_mov_b32 v[82:83], v[44:45], v[44:45] op_sel:[0,1]
	;; [unrolled: 2-line block ×19, first 2 shown]
	v_mov_b32_e32 v1, 0
	s_waitcnt lgkmcnt(0)
	; wave barrier
	s_waitcnt lgkmcnt(0)
                                        ; implicit-def: $sgpr8_sgpr9
                                        ; implicit-def: $vgpr2_vgpr3
	s_and_saveexec_b64 s[6:7], vcc
	s_cbranch_execz .LBB1493_134
; %bb.93:
	s_movk_i32 s8, 0xa0
	v_mad_u32_u24 v1, v0, s8, v89
	ds_read_b64 v[2:3], v1
	v_cmp_ne_u32_e32 vcc, v88, v26
	v_mov_b32_e32 v5, s69
	v_add_u32_e32 v4, 1, v85
	v_pk_mov_b32 v[46:47], 0, 0
	s_waitcnt lgkmcnt(0)
	v_cndmask_b32_e32 v45, v3, v5, vcc
	v_mov_b32_e32 v3, s68
	v_cndmask_b32_e64 v1, 0, 1, vcc
	v_cndmask_b32_e32 v44, v2, v3, vcc
	v_cmp_gt_u32_e32 vcc, s64, v4
	s_mov_b64 s[12:13], 0
	v_mov_b32_e32 v110, 0
	v_mov_b32_e32 v126, 0
	v_pk_mov_b32 v[82:83], v[46:47], v[46:47] op_sel:[0,1]
	v_mov_b32_e32 v125, 0
	v_pk_mov_b32 v[80:81], v[46:47], v[46:47] op_sel:[0,1]
	v_mov_b32_e32 v124, 0
	v_pk_mov_b32 v[78:79], v[46:47], v[46:47] op_sel:[0,1]
	v_mov_b32_e32 v123, 0
	v_pk_mov_b32 v[76:77], v[46:47], v[46:47] op_sel:[0,1]
	v_mov_b32_e32 v122, 0
	v_pk_mov_b32 v[74:75], v[46:47], v[46:47] op_sel:[0,1]
	v_mov_b32_e32 v121, 0
	v_pk_mov_b32 v[72:73], v[46:47], v[46:47] op_sel:[0,1]
	v_mov_b32_e32 v120, 0
	v_pk_mov_b32 v[70:71], v[46:47], v[46:47] op_sel:[0,1]
	v_mov_b32_e32 v119, 0
	v_pk_mov_b32 v[68:69], v[46:47], v[46:47] op_sel:[0,1]
	v_mov_b32_e32 v118, 0
	v_pk_mov_b32 v[66:67], v[46:47], v[46:47] op_sel:[0,1]
	v_mov_b32_e32 v117, 0
	v_pk_mov_b32 v[64:65], v[46:47], v[46:47] op_sel:[0,1]
	v_mov_b32_e32 v116, 0
	v_pk_mov_b32 v[62:63], v[46:47], v[46:47] op_sel:[0,1]
	v_mov_b32_e32 v115, 0
	v_pk_mov_b32 v[60:61], v[46:47], v[46:47] op_sel:[0,1]
	v_mov_b32_e32 v114, 0
	v_pk_mov_b32 v[58:59], v[46:47], v[46:47] op_sel:[0,1]
	v_mov_b32_e32 v113, 0
	v_pk_mov_b32 v[56:57], v[46:47], v[46:47] op_sel:[0,1]
	v_mov_b32_e32 v112, 0
	v_pk_mov_b32 v[54:55], v[46:47], v[46:47] op_sel:[0,1]
	v_mov_b32_e32 v111, 0
	v_pk_mov_b32 v[52:53], v[46:47], v[46:47] op_sel:[0,1]
	v_mov_b32_e32 v109, 0
	v_pk_mov_b32 v[50:51], v[46:47], v[46:47] op_sel:[0,1]
	v_mov_b32_e32 v108, 0
	v_pk_mov_b32 v[48:49], v[46:47], v[46:47] op_sel:[0,1]
                                        ; implicit-def: $sgpr14_sgpr15
                                        ; implicit-def: $vgpr2_vgpr3
	s_and_saveexec_b64 s[8:9], vcc
	s_cbranch_execz .LBB1493_133
; %bb.94:
	v_mul_u32_u24_e32 v2, 0xa0, v0
	v_add_u32_e32 v28, v89, v2
	ds_read2_b64 v[2:5], v28 offset0:1 offset1:2
	v_cmp_ne_u32_e32 vcc, v26, v27
	v_mov_b32_e32 v26, s69
	v_add_u32_e32 v29, 2, v85
	v_pk_mov_b32 v[46:47], 0, 0
	s_waitcnt lgkmcnt(0)
	v_cndmask_b32_e32 v49, v3, v26, vcc
	v_mov_b32_e32 v3, s68
	v_cndmask_b32_e64 v108, 0, 1, vcc
	v_cndmask_b32_e32 v48, v2, v3, vcc
	v_cmp_gt_u32_e32 vcc, s64, v29
	s_mov_b64 s[14:15], 0
	v_mov_b32_e32 v110, 0
	v_mov_b32_e32 v126, 0
	v_pk_mov_b32 v[82:83], v[46:47], v[46:47] op_sel:[0,1]
	v_mov_b32_e32 v125, 0
	v_pk_mov_b32 v[80:81], v[46:47], v[46:47] op_sel:[0,1]
	;; [unrolled: 2-line block ×17, first 2 shown]
                                        ; implicit-def: $sgpr16_sgpr17
                                        ; implicit-def: $vgpr2_vgpr3
	s_and_saveexec_b64 s[10:11], vcc
	s_cbranch_execz .LBB1493_132
; %bb.95:
	v_cmp_ne_u32_e32 vcc, v27, v24
	v_mov_b32_e32 v3, s69
	v_add_u32_e32 v2, 3, v85
	v_cndmask_b32_e32 v51, v5, v3, vcc
	v_mov_b32_e32 v3, s68
	v_pk_mov_b32 v[46:47], 0, 0
	v_cndmask_b32_e64 v109, 0, 1, vcc
	v_cndmask_b32_e32 v50, v4, v3, vcc
	v_cmp_gt_u32_e32 vcc, s64, v2
	s_mov_b64 s[16:17], 0
	v_mov_b32_e32 v110, 0
	v_mov_b32_e32 v126, 0
	v_pk_mov_b32 v[82:83], v[46:47], v[46:47] op_sel:[0,1]
	v_mov_b32_e32 v125, 0
	v_pk_mov_b32 v[80:81], v[46:47], v[46:47] op_sel:[0,1]
	v_mov_b32_e32 v124, 0
	v_pk_mov_b32 v[78:79], v[46:47], v[46:47] op_sel:[0,1]
	v_mov_b32_e32 v123, 0
	v_pk_mov_b32 v[76:77], v[46:47], v[46:47] op_sel:[0,1]
	v_mov_b32_e32 v122, 0
	v_pk_mov_b32 v[74:75], v[46:47], v[46:47] op_sel:[0,1]
	v_mov_b32_e32 v121, 0
	v_pk_mov_b32 v[72:73], v[46:47], v[46:47] op_sel:[0,1]
	v_mov_b32_e32 v120, 0
	v_pk_mov_b32 v[70:71], v[46:47], v[46:47] op_sel:[0,1]
	v_mov_b32_e32 v119, 0
	v_pk_mov_b32 v[68:69], v[46:47], v[46:47] op_sel:[0,1]
	v_mov_b32_e32 v118, 0
	v_pk_mov_b32 v[66:67], v[46:47], v[46:47] op_sel:[0,1]
	v_mov_b32_e32 v117, 0
	v_pk_mov_b32 v[64:65], v[46:47], v[46:47] op_sel:[0,1]
	v_mov_b32_e32 v116, 0
	v_pk_mov_b32 v[62:63], v[46:47], v[46:47] op_sel:[0,1]
	v_mov_b32_e32 v115, 0
	v_pk_mov_b32 v[60:61], v[46:47], v[46:47] op_sel:[0,1]
	v_mov_b32_e32 v114, 0
	v_pk_mov_b32 v[58:59], v[46:47], v[46:47] op_sel:[0,1]
	v_mov_b32_e32 v113, 0
	v_pk_mov_b32 v[56:57], v[46:47], v[46:47] op_sel:[0,1]
	v_mov_b32_e32 v112, 0
	v_pk_mov_b32 v[54:55], v[46:47], v[46:47] op_sel:[0,1]
	v_mov_b32_e32 v111, 0
	v_pk_mov_b32 v[52:53], v[46:47], v[46:47] op_sel:[0,1]
                                        ; implicit-def: $sgpr18_sgpr19
                                        ; implicit-def: $vgpr2_vgpr3
	s_and_saveexec_b64 s[12:13], vcc
	s_cbranch_execz .LBB1493_131
; %bb.96:
	ds_read2_b64 v[2:5], v28 offset0:3 offset1:4
	v_cmp_ne_u32_e32 vcc, v24, v25
	v_mov_b32_e32 v24, s69
	v_add_u32_e32 v26, 4, v85
	v_pk_mov_b32 v[46:47], 0, 0
	s_waitcnt lgkmcnt(0)
	v_cndmask_b32_e32 v53, v3, v24, vcc
	v_mov_b32_e32 v3, s68
	v_cndmask_b32_e64 v111, 0, 1, vcc
	v_cndmask_b32_e32 v52, v2, v3, vcc
	v_cmp_gt_u32_e32 vcc, s64, v26
	s_mov_b64 s[18:19], 0
	v_mov_b32_e32 v110, 0
	v_mov_b32_e32 v126, 0
	v_pk_mov_b32 v[82:83], v[46:47], v[46:47] op_sel:[0,1]
	v_mov_b32_e32 v125, 0
	v_pk_mov_b32 v[80:81], v[46:47], v[46:47] op_sel:[0,1]
	v_mov_b32_e32 v124, 0
	v_pk_mov_b32 v[78:79], v[46:47], v[46:47] op_sel:[0,1]
	v_mov_b32_e32 v123, 0
	v_pk_mov_b32 v[76:77], v[46:47], v[46:47] op_sel:[0,1]
	v_mov_b32_e32 v122, 0
	v_pk_mov_b32 v[74:75], v[46:47], v[46:47] op_sel:[0,1]
	v_mov_b32_e32 v121, 0
	v_pk_mov_b32 v[72:73], v[46:47], v[46:47] op_sel:[0,1]
	v_mov_b32_e32 v120, 0
	v_pk_mov_b32 v[70:71], v[46:47], v[46:47] op_sel:[0,1]
	v_mov_b32_e32 v119, 0
	v_pk_mov_b32 v[68:69], v[46:47], v[46:47] op_sel:[0,1]
	v_mov_b32_e32 v118, 0
	v_pk_mov_b32 v[66:67], v[46:47], v[46:47] op_sel:[0,1]
	v_mov_b32_e32 v117, 0
	v_pk_mov_b32 v[64:65], v[46:47], v[46:47] op_sel:[0,1]
	v_mov_b32_e32 v116, 0
	v_pk_mov_b32 v[62:63], v[46:47], v[46:47] op_sel:[0,1]
	v_mov_b32_e32 v115, 0
	v_pk_mov_b32 v[60:61], v[46:47], v[46:47] op_sel:[0,1]
	v_mov_b32_e32 v114, 0
	v_pk_mov_b32 v[58:59], v[46:47], v[46:47] op_sel:[0,1]
	v_mov_b32_e32 v113, 0
	v_pk_mov_b32 v[56:57], v[46:47], v[46:47] op_sel:[0,1]
	v_mov_b32_e32 v112, 0
	v_pk_mov_b32 v[54:55], v[46:47], v[46:47] op_sel:[0,1]
                                        ; implicit-def: $sgpr20_sgpr21
                                        ; implicit-def: $vgpr2_vgpr3
	s_and_saveexec_b64 s[14:15], vcc
	s_cbranch_execz .LBB1493_130
; %bb.97:
	v_cmp_ne_u32_e32 vcc, v25, v22
	v_mov_b32_e32 v3, s69
	v_add_u32_e32 v2, 5, v85
	v_cndmask_b32_e32 v55, v5, v3, vcc
	v_mov_b32_e32 v3, s68
	v_pk_mov_b32 v[46:47], 0, 0
	v_cndmask_b32_e64 v112, 0, 1, vcc
	v_cndmask_b32_e32 v54, v4, v3, vcc
	v_cmp_gt_u32_e32 vcc, s64, v2
	s_mov_b64 s[20:21], 0
	v_mov_b32_e32 v110, 0
	v_mov_b32_e32 v126, 0
	v_pk_mov_b32 v[82:83], v[46:47], v[46:47] op_sel:[0,1]
	v_mov_b32_e32 v125, 0
	v_pk_mov_b32 v[80:81], v[46:47], v[46:47] op_sel:[0,1]
	;; [unrolled: 2-line block ×14, first 2 shown]
                                        ; implicit-def: $sgpr22_sgpr23
                                        ; implicit-def: $vgpr2_vgpr3
	s_and_saveexec_b64 s[16:17], vcc
	s_cbranch_execz .LBB1493_129
; %bb.98:
	ds_read2_b64 v[2:5], v28 offset0:5 offset1:6
	v_cmp_ne_u32_e32 vcc, v22, v23
	v_mov_b32_e32 v22, s69
	v_add_u32_e32 v24, 6, v85
	v_pk_mov_b32 v[46:47], 0, 0
	s_waitcnt lgkmcnt(0)
	v_cndmask_b32_e32 v57, v3, v22, vcc
	v_mov_b32_e32 v3, s68
	v_cndmask_b32_e64 v113, 0, 1, vcc
	v_cndmask_b32_e32 v56, v2, v3, vcc
	v_cmp_gt_u32_e32 vcc, s64, v24
	s_mov_b64 s[22:23], 0
	v_mov_b32_e32 v110, 0
	v_mov_b32_e32 v126, 0
	v_pk_mov_b32 v[82:83], v[46:47], v[46:47] op_sel:[0,1]
	v_mov_b32_e32 v125, 0
	v_pk_mov_b32 v[80:81], v[46:47], v[46:47] op_sel:[0,1]
	;; [unrolled: 2-line block ×13, first 2 shown]
                                        ; implicit-def: $sgpr24_sgpr25
                                        ; implicit-def: $vgpr2_vgpr3
	s_and_saveexec_b64 s[18:19], vcc
	s_cbranch_execz .LBB1493_128
; %bb.99:
	v_cmp_ne_u32_e32 vcc, v23, v20
	v_mov_b32_e32 v3, s69
	v_add_u32_e32 v2, 7, v85
	v_cndmask_b32_e32 v59, v5, v3, vcc
	v_mov_b32_e32 v3, s68
	v_pk_mov_b32 v[46:47], 0, 0
	v_cndmask_b32_e64 v114, 0, 1, vcc
	v_cndmask_b32_e32 v58, v4, v3, vcc
	v_cmp_gt_u32_e32 vcc, s64, v2
	s_mov_b64 s[24:25], 0
	v_mov_b32_e32 v110, 0
	v_mov_b32_e32 v126, 0
	v_pk_mov_b32 v[82:83], v[46:47], v[46:47] op_sel:[0,1]
	v_mov_b32_e32 v125, 0
	v_pk_mov_b32 v[80:81], v[46:47], v[46:47] op_sel:[0,1]
	;; [unrolled: 2-line block ×12, first 2 shown]
                                        ; implicit-def: $sgpr26_sgpr27
                                        ; implicit-def: $vgpr2_vgpr3
	s_and_saveexec_b64 s[20:21], vcc
	s_cbranch_execz .LBB1493_127
; %bb.100:
	ds_read2_b64 v[2:5], v28 offset0:7 offset1:8
	v_cmp_ne_u32_e32 vcc, v20, v21
	v_mov_b32_e32 v20, s69
	v_add_u32_e32 v22, 8, v85
	v_pk_mov_b32 v[46:47], 0, 0
	s_waitcnt lgkmcnt(0)
	v_cndmask_b32_e32 v61, v3, v20, vcc
	v_mov_b32_e32 v3, s68
	v_cndmask_b32_e64 v115, 0, 1, vcc
	v_cndmask_b32_e32 v60, v2, v3, vcc
	v_cmp_gt_u32_e32 vcc, s64, v22
	s_mov_b64 s[26:27], 0
	v_mov_b32_e32 v110, 0
	v_mov_b32_e32 v126, 0
	v_pk_mov_b32 v[82:83], v[46:47], v[46:47] op_sel:[0,1]
	v_mov_b32_e32 v125, 0
	v_pk_mov_b32 v[80:81], v[46:47], v[46:47] op_sel:[0,1]
	;; [unrolled: 2-line block ×11, first 2 shown]
                                        ; implicit-def: $sgpr28_sgpr29
                                        ; implicit-def: $vgpr2_vgpr3
	s_and_saveexec_b64 s[22:23], vcc
	s_cbranch_execz .LBB1493_126
; %bb.101:
	v_cmp_ne_u32_e32 vcc, v21, v18
	v_mov_b32_e32 v3, s69
	v_add_u32_e32 v2, 9, v85
	v_cndmask_b32_e32 v63, v5, v3, vcc
	v_mov_b32_e32 v3, s68
	v_pk_mov_b32 v[46:47], 0, 0
	v_cndmask_b32_e64 v116, 0, 1, vcc
	v_cndmask_b32_e32 v62, v4, v3, vcc
	v_cmp_gt_u32_e32 vcc, s64, v2
	s_mov_b64 s[28:29], 0
	v_mov_b32_e32 v110, 0
	v_mov_b32_e32 v126, 0
	v_pk_mov_b32 v[82:83], v[46:47], v[46:47] op_sel:[0,1]
	v_mov_b32_e32 v125, 0
	v_pk_mov_b32 v[80:81], v[46:47], v[46:47] op_sel:[0,1]
	;; [unrolled: 2-line block ×10, first 2 shown]
                                        ; implicit-def: $sgpr30_sgpr31
                                        ; implicit-def: $vgpr2_vgpr3
	s_and_saveexec_b64 s[24:25], vcc
	s_cbranch_execz .LBB1493_125
; %bb.102:
	ds_read2_b64 v[2:5], v28 offset0:9 offset1:10
	v_cmp_ne_u32_e32 vcc, v18, v19
	v_mov_b32_e32 v18, s69
	v_add_u32_e32 v20, 10, v85
	v_pk_mov_b32 v[46:47], 0, 0
	s_waitcnt lgkmcnt(0)
	v_cndmask_b32_e32 v65, v3, v18, vcc
	v_mov_b32_e32 v3, s68
	v_cndmask_b32_e64 v117, 0, 1, vcc
	v_cndmask_b32_e32 v64, v2, v3, vcc
	v_cmp_gt_u32_e32 vcc, s64, v20
	s_mov_b64 s[30:31], 0
	v_mov_b32_e32 v110, 0
	v_mov_b32_e32 v126, 0
	v_pk_mov_b32 v[82:83], v[46:47], v[46:47] op_sel:[0,1]
	v_mov_b32_e32 v125, 0
	v_pk_mov_b32 v[80:81], v[46:47], v[46:47] op_sel:[0,1]
	;; [unrolled: 2-line block ×9, first 2 shown]
                                        ; implicit-def: $sgpr34_sgpr35
                                        ; implicit-def: $vgpr2_vgpr3
	s_and_saveexec_b64 s[26:27], vcc
	s_cbranch_execz .LBB1493_124
; %bb.103:
	v_cmp_ne_u32_e32 vcc, v19, v16
	v_mov_b32_e32 v3, s69
	v_add_u32_e32 v2, 11, v85
	v_cndmask_b32_e32 v67, v5, v3, vcc
	v_mov_b32_e32 v3, s68
	v_pk_mov_b32 v[46:47], 0, 0
	v_cndmask_b32_e64 v118, 0, 1, vcc
	v_cndmask_b32_e32 v66, v4, v3, vcc
	v_cmp_gt_u32_e32 vcc, s64, v2
	s_mov_b64 s[34:35], 0
	v_mov_b32_e32 v110, 0
	v_mov_b32_e32 v126, 0
	v_pk_mov_b32 v[82:83], v[46:47], v[46:47] op_sel:[0,1]
	v_mov_b32_e32 v125, 0
	v_pk_mov_b32 v[80:81], v[46:47], v[46:47] op_sel:[0,1]
	v_mov_b32_e32 v124, 0
	v_pk_mov_b32 v[78:79], v[46:47], v[46:47] op_sel:[0,1]
	v_mov_b32_e32 v123, 0
	v_pk_mov_b32 v[76:77], v[46:47], v[46:47] op_sel:[0,1]
	v_mov_b32_e32 v122, 0
	v_pk_mov_b32 v[74:75], v[46:47], v[46:47] op_sel:[0,1]
	v_mov_b32_e32 v121, 0
	v_pk_mov_b32 v[72:73], v[46:47], v[46:47] op_sel:[0,1]
	v_mov_b32_e32 v120, 0
	v_pk_mov_b32 v[70:71], v[46:47], v[46:47] op_sel:[0,1]
	v_mov_b32_e32 v119, 0
	v_pk_mov_b32 v[68:69], v[46:47], v[46:47] op_sel:[0,1]
                                        ; implicit-def: $sgpr36_sgpr37
                                        ; implicit-def: $vgpr2_vgpr3
	s_and_saveexec_b64 s[28:29], vcc
	s_cbranch_execz .LBB1493_123
; %bb.104:
	ds_read2_b64 v[2:5], v28 offset0:11 offset1:12
	v_cmp_ne_u32_e32 vcc, v16, v17
	v_mov_b32_e32 v16, s69
	v_add_u32_e32 v18, 12, v85
	v_pk_mov_b32 v[46:47], 0, 0
	s_waitcnt lgkmcnt(0)
	v_cndmask_b32_e32 v69, v3, v16, vcc
	v_mov_b32_e32 v3, s68
	v_cndmask_b32_e64 v119, 0, 1, vcc
	v_cndmask_b32_e32 v68, v2, v3, vcc
	v_cmp_gt_u32_e32 vcc, s64, v18
	s_mov_b64 s[36:37], 0
	v_mov_b32_e32 v110, 0
	v_mov_b32_e32 v126, 0
	v_pk_mov_b32 v[82:83], v[46:47], v[46:47] op_sel:[0,1]
	v_mov_b32_e32 v125, 0
	v_pk_mov_b32 v[80:81], v[46:47], v[46:47] op_sel:[0,1]
	v_mov_b32_e32 v124, 0
	v_pk_mov_b32 v[78:79], v[46:47], v[46:47] op_sel:[0,1]
	v_mov_b32_e32 v123, 0
	v_pk_mov_b32 v[76:77], v[46:47], v[46:47] op_sel:[0,1]
	v_mov_b32_e32 v122, 0
	v_pk_mov_b32 v[74:75], v[46:47], v[46:47] op_sel:[0,1]
	v_mov_b32_e32 v121, 0
	v_pk_mov_b32 v[72:73], v[46:47], v[46:47] op_sel:[0,1]
	v_mov_b32_e32 v120, 0
	v_pk_mov_b32 v[70:71], v[46:47], v[46:47] op_sel:[0,1]
                                        ; implicit-def: $sgpr38_sgpr39
                                        ; implicit-def: $vgpr2_vgpr3
	s_and_saveexec_b64 s[30:31], vcc
	s_cbranch_execz .LBB1493_122
; %bb.105:
	v_cmp_ne_u32_e32 vcc, v17, v14
	v_mov_b32_e32 v3, s69
	v_add_u32_e32 v2, 13, v85
	v_cndmask_b32_e32 v71, v5, v3, vcc
	v_mov_b32_e32 v3, s68
	v_pk_mov_b32 v[46:47], 0, 0
	v_cndmask_b32_e64 v120, 0, 1, vcc
	v_cndmask_b32_e32 v70, v4, v3, vcc
	v_cmp_gt_u32_e32 vcc, s64, v2
	s_mov_b64 s[38:39], 0
	v_mov_b32_e32 v110, 0
	v_mov_b32_e32 v126, 0
	v_pk_mov_b32 v[82:83], v[46:47], v[46:47] op_sel:[0,1]
	v_mov_b32_e32 v125, 0
	v_pk_mov_b32 v[80:81], v[46:47], v[46:47] op_sel:[0,1]
	;; [unrolled: 2-line block ×6, first 2 shown]
                                        ; implicit-def: $sgpr40_sgpr41
                                        ; implicit-def: $vgpr2_vgpr3
	s_and_saveexec_b64 s[34:35], vcc
	s_cbranch_execz .LBB1493_121
; %bb.106:
	ds_read2_b64 v[2:5], v28 offset0:13 offset1:14
	v_cmp_ne_u32_e32 vcc, v14, v15
	v_mov_b32_e32 v14, s69
	v_add_u32_e32 v16, 14, v85
	v_pk_mov_b32 v[46:47], 0, 0
	s_waitcnt lgkmcnt(0)
	v_cndmask_b32_e32 v73, v3, v14, vcc
	v_mov_b32_e32 v3, s68
	v_cndmask_b32_e64 v121, 0, 1, vcc
	v_cndmask_b32_e32 v72, v2, v3, vcc
	v_cmp_gt_u32_e32 vcc, s64, v16
	s_mov_b64 s[40:41], 0
	v_mov_b32_e32 v110, 0
	v_mov_b32_e32 v126, 0
	v_pk_mov_b32 v[82:83], v[46:47], v[46:47] op_sel:[0,1]
	v_mov_b32_e32 v125, 0
	v_pk_mov_b32 v[80:81], v[46:47], v[46:47] op_sel:[0,1]
	;; [unrolled: 2-line block ×5, first 2 shown]
                                        ; implicit-def: $sgpr42_sgpr43
                                        ; implicit-def: $vgpr2_vgpr3
	s_and_saveexec_b64 s[36:37], vcc
	s_cbranch_execz .LBB1493_120
; %bb.107:
	v_cmp_ne_u32_e32 vcc, v15, v12
	v_mov_b32_e32 v3, s69
	v_add_u32_e32 v2, 15, v85
	v_cndmask_b32_e32 v75, v5, v3, vcc
	v_mov_b32_e32 v3, s68
	v_pk_mov_b32 v[46:47], 0, 0
	v_cndmask_b32_e64 v122, 0, 1, vcc
	v_cndmask_b32_e32 v74, v4, v3, vcc
	v_cmp_gt_u32_e32 vcc, s64, v2
	s_mov_b64 s[42:43], 0
	v_mov_b32_e32 v110, 0
	v_mov_b32_e32 v126, 0
	v_pk_mov_b32 v[82:83], v[46:47], v[46:47] op_sel:[0,1]
	v_mov_b32_e32 v125, 0
	v_pk_mov_b32 v[80:81], v[46:47], v[46:47] op_sel:[0,1]
	;; [unrolled: 2-line block ×4, first 2 shown]
                                        ; implicit-def: $sgpr44_sgpr45
                                        ; implicit-def: $vgpr2_vgpr3
	s_and_saveexec_b64 s[38:39], vcc
	s_cbranch_execz .LBB1493_119
; %bb.108:
	ds_read2_b64 v[2:5], v28 offset0:15 offset1:16
	v_cmp_ne_u32_e32 vcc, v12, v13
	v_mov_b32_e32 v12, s69
	v_add_u32_e32 v14, 16, v85
	v_pk_mov_b32 v[46:47], 0, 0
	s_waitcnt lgkmcnt(0)
	v_cndmask_b32_e32 v77, v3, v12, vcc
	v_mov_b32_e32 v3, s68
	v_cndmask_b32_e64 v123, 0, 1, vcc
	v_cndmask_b32_e32 v76, v2, v3, vcc
	v_cmp_gt_u32_e32 vcc, s64, v14
	s_mov_b64 s[44:45], 0
	v_mov_b32_e32 v110, 0
	v_mov_b32_e32 v126, 0
	v_pk_mov_b32 v[82:83], v[46:47], v[46:47] op_sel:[0,1]
	v_mov_b32_e32 v125, 0
	v_pk_mov_b32 v[80:81], v[46:47], v[46:47] op_sel:[0,1]
	;; [unrolled: 2-line block ×3, first 2 shown]
                                        ; implicit-def: $sgpr46_sgpr47
                                        ; implicit-def: $vgpr2_vgpr3
	s_and_saveexec_b64 s[40:41], vcc
	s_cbranch_execz .LBB1493_118
; %bb.109:
	v_cmp_ne_u32_e32 vcc, v13, v10
	v_mov_b32_e32 v3, s69
	v_add_u32_e32 v2, 17, v85
	v_cndmask_b32_e32 v79, v5, v3, vcc
	v_mov_b32_e32 v3, s68
	v_pk_mov_b32 v[46:47], 0, 0
	v_cndmask_b32_e64 v124, 0, 1, vcc
	v_cndmask_b32_e32 v78, v4, v3, vcc
	v_cmp_gt_u32_e32 vcc, s64, v2
	s_mov_b64 s[46:47], 0
	v_mov_b32_e32 v110, 0
	v_mov_b32_e32 v126, 0
	v_pk_mov_b32 v[82:83], v[46:47], v[46:47] op_sel:[0,1]
	v_mov_b32_e32 v125, 0
	v_pk_mov_b32 v[80:81], v[46:47], v[46:47] op_sel:[0,1]
                                        ; implicit-def: $sgpr58_sgpr59
                                        ; implicit-def: $vgpr2_vgpr3
	s_and_saveexec_b64 s[42:43], vcc
	s_cbranch_execz .LBB1493_117
; %bb.110:
	ds_read2_b64 v[2:5], v28 offset0:17 offset1:18
	v_cmp_ne_u32_e32 vcc, v10, v11
	v_mov_b32_e32 v10, s69
	v_add_u32_e32 v12, 18, v85
	v_pk_mov_b32 v[46:47], 0, 0
	s_waitcnt lgkmcnt(0)
	v_cndmask_b32_e32 v81, v3, v10, vcc
	v_mov_b32_e32 v3, s68
	v_cndmask_b32_e64 v125, 0, 1, vcc
	v_cndmask_b32_e32 v80, v2, v3, vcc
	v_cmp_gt_u32_e32 vcc, s64, v12
	s_mov_b64 s[58:59], 0
	v_mov_b32_e32 v110, 0
	v_mov_b32_e32 v126, 0
	v_pk_mov_b32 v[82:83], v[46:47], v[46:47] op_sel:[0,1]
                                        ; implicit-def: $sgpr60_sgpr61
                                        ; implicit-def: $vgpr2_vgpr3
	s_and_saveexec_b64 s[44:45], vcc
	s_cbranch_execz .LBB1493_116
; %bb.111:
	v_cmp_ne_u32_e32 vcc, v11, v8
	v_mov_b32_e32 v3, s69
	v_add_u32_e32 v2, 19, v85
	v_cndmask_b32_e32 v83, v5, v3, vcc
	v_mov_b32_e32 v3, s68
	v_cndmask_b32_e64 v126, 0, 1, vcc
	v_cndmask_b32_e32 v82, v4, v3, vcc
	v_cmp_gt_u32_e32 vcc, s64, v2
	v_mov_b32_e32 v110, 0
	v_pk_mov_b32 v[46:47], 0, 0
                                        ; implicit-def: $sgpr60_sgpr61
                                        ; implicit-def: $vgpr2_vgpr3
	s_and_saveexec_b64 s[46:47], vcc
	s_cbranch_execz .LBB1493_115
; %bb.112:
	ds_read2_b64 v[2:5], v28 offset0:19 offset1:20
	v_cmp_ne_u32_e32 vcc, v8, v9
	v_mov_b32_e32 v8, s69
	v_add_u32_e32 v10, 20, v85
	v_cndmask_b32_e64 v110, 0, 1, vcc
	s_waitcnt lgkmcnt(0)
	v_cndmask_b32_e32 v47, v3, v8, vcc
	v_mov_b32_e32 v3, s68
	v_cndmask_b32_e32 v46, v2, v3, vcc
	v_cmp_gt_u32_e32 vcc, s64, v10
                                        ; implicit-def: $sgpr60_sgpr61
                                        ; implicit-def: $vgpr2_vgpr3
	s_and_saveexec_b64 s[64:65], vcc
	s_xor_b64 s[64:65], exec, s[64:65]
; %bb.113:
	v_mov_b32_e32 v2, s69
	v_cmp_ne_u32_e32 vcc, v9, v84
	v_cndmask_b32_e32 v3, v5, v2, vcc
	v_mov_b32_e32 v2, s68
	s_mov_b64 s[58:59], exec
	v_cndmask_b32_e32 v2, v4, v2, vcc
	s_and_b64 s[60:61], vcc, exec
; %bb.114:
	s_or_b64 exec, exec, s[64:65]
	s_and_b64 s[60:61], s[60:61], exec
	s_and_b64 s[58:59], s[58:59], exec
.LBB1493_115:
	s_or_b64 exec, exec, s[46:47]
	s_and_b64 s[60:61], s[60:61], exec
	s_and_b64 s[46:47], s[58:59], exec
.LBB1493_116:
	s_or_b64 exec, exec, s[44:45]
	s_and_b64 s[58:59], s[60:61], exec
	s_and_b64 s[44:45], s[46:47], exec
.LBB1493_117:
	s_or_b64 exec, exec, s[42:43]
	s_and_b64 s[46:47], s[58:59], exec
	s_and_b64 s[42:43], s[44:45], exec
.LBB1493_118:
	s_or_b64 exec, exec, s[40:41]
	s_and_b64 s[44:45], s[46:47], exec
	s_and_b64 s[40:41], s[42:43], exec
.LBB1493_119:
	s_or_b64 exec, exec, s[38:39]
	s_and_b64 s[42:43], s[44:45], exec
	s_and_b64 s[38:39], s[40:41], exec
.LBB1493_120:
	s_or_b64 exec, exec, s[36:37]
	s_and_b64 s[40:41], s[42:43], exec
	s_and_b64 s[36:37], s[38:39], exec
.LBB1493_121:
	s_or_b64 exec, exec, s[34:35]
	s_and_b64 s[38:39], s[40:41], exec
	s_and_b64 s[34:35], s[36:37], exec
.LBB1493_122:
	s_or_b64 exec, exec, s[30:31]
	s_and_b64 s[36:37], s[38:39], exec
	s_and_b64 s[30:31], s[34:35], exec
.LBB1493_123:
	s_or_b64 exec, exec, s[28:29]
	s_and_b64 s[34:35], s[36:37], exec
	s_and_b64 s[28:29], s[30:31], exec
.LBB1493_124:
	s_or_b64 exec, exec, s[26:27]
	s_and_b64 s[30:31], s[34:35], exec
	s_and_b64 s[26:27], s[28:29], exec
.LBB1493_125:
	s_or_b64 exec, exec, s[24:25]
	s_and_b64 s[28:29], s[30:31], exec
	s_and_b64 s[24:25], s[26:27], exec
.LBB1493_126:
	s_or_b64 exec, exec, s[22:23]
	s_and_b64 s[26:27], s[28:29], exec
	s_and_b64 s[22:23], s[24:25], exec
.LBB1493_127:
	s_or_b64 exec, exec, s[20:21]
	s_and_b64 s[24:25], s[26:27], exec
	s_and_b64 s[20:21], s[22:23], exec
.LBB1493_128:
	s_or_b64 exec, exec, s[18:19]
	s_and_b64 s[22:23], s[24:25], exec
	s_and_b64 s[18:19], s[20:21], exec
.LBB1493_129:
	s_or_b64 exec, exec, s[16:17]
	s_and_b64 s[20:21], s[22:23], exec
	s_and_b64 s[16:17], s[18:19], exec
.LBB1493_130:
	s_or_b64 exec, exec, s[14:15]
	s_and_b64 s[18:19], s[20:21], exec
	s_and_b64 s[14:15], s[16:17], exec
.LBB1493_131:
	s_or_b64 exec, exec, s[12:13]
	s_and_b64 s[16:17], s[18:19], exec
	s_and_b64 s[12:13], s[14:15], exec
.LBB1493_132:
	s_or_b64 exec, exec, s[10:11]
	s_and_b64 s[14:15], s[16:17], exec
	s_and_b64 s[10:11], s[12:13], exec
.LBB1493_133:
	s_or_b64 exec, exec, s[8:9]
	s_and_b64 s[8:9], s[14:15], exec
	s_and_b64 s[10:11], s[10:11], exec
.LBB1493_134:
	s_or_b64 exec, exec, s[6:7]
	s_mov_b64 s[6:7], 0
	s_and_b64 vcc, exec, s[4:5]
	s_cbranch_vccz .LBB1493_140
.LBB1493_135:
	v_lshlrev_b32_e32 v2, 2, v0
	v_add_co_u32_e32 v4, vcc, v6, v2
	v_addc_co_u32_e32 v5, vcc, 0, v7, vcc
	s_movk_i32 s6, 0x1000
	flat_load_dword v1, v[4:5]
	flat_load_dword v3, v[4:5] offset:256
	flat_load_dword v8, v[4:5] offset:512
	flat_load_dword v9, v[4:5] offset:768
	flat_load_dword v10, v[4:5] offset:1024
	flat_load_dword v11, v[4:5] offset:1280
	flat_load_dword v12, v[4:5] offset:1536
	flat_load_dword v13, v[4:5] offset:1792
	flat_load_dword v14, v[4:5] offset:2048
	flat_load_dword v15, v[4:5] offset:2304
	flat_load_dword v16, v[4:5] offset:2560
	flat_load_dword v17, v[4:5] offset:2816
	flat_load_dword v18, v[4:5] offset:3072
	flat_load_dword v19, v[4:5] offset:3328
	flat_load_dword v20, v[4:5] offset:3584
	flat_load_dword v21, v[4:5] offset:3840
	v_add_co_u32_e32 v4, vcc, s6, v4
	v_addc_co_u32_e32 v5, vcc, 0, v5, vcc
	flat_load_dword v22, v[4:5]
	flat_load_dword v23, v[4:5] offset:256
	flat_load_dword v24, v[4:5] offset:512
	;; [unrolled: 1-line block ×4, first 2 shown]
	v_add_co_u32_e32 v4, vcc, 0x1000, v6
	v_addc_co_u32_e32 v5, vcc, 0, v7, vcc
	s_movk_i32 s4, 0x50
	v_cmp_ne_u32_e32 vcc, 63, v0
	s_waitcnt vmcnt(0) lgkmcnt(0)
	ds_write2st64_b32 v2, v1, v3 offset1:1
	ds_write2st64_b32 v2, v8, v9 offset0:2 offset1:3
	ds_write2st64_b32 v2, v10, v11 offset0:4 offset1:5
	;; [unrolled: 1-line block ×9, first 2 shown]
	ds_write_b32 v2, v26 offset:5120
	s_waitcnt lgkmcnt(0)
	; wave barrier
	s_waitcnt lgkmcnt(0)
	flat_load_dword v88, v[4:5] offset:1280
	v_mad_u32_u24 v3, v0, s4, v2
	s_movk_i32 s4, 0xffb0
	ds_read_b32 v1, v3
	ds_read2_b32 v[62:63], v3 offset0:1 offset1:2
	ds_read2_b32 v[60:61], v3 offset0:3 offset1:4
	;; [unrolled: 1-line block ×10, first 2 shown]
	v_mad_i32_i24 v3, v0, s4, v3
	s_waitcnt lgkmcnt(0)
	ds_write_b32 v3, v1 offset:5632
	s_waitcnt lgkmcnt(0)
	; wave barrier
	s_waitcnt lgkmcnt(0)
	s_and_saveexec_b64 s[4:5], vcc
	s_cbranch_execz .LBB1493_137
; %bb.136:
	s_waitcnt vmcnt(0)
	ds_read_b32 v88, v2 offset:5636
.LBB1493_137:
	s_or_b64 exec, exec, s[4:5]
	v_lshlrev_b32_e32 v2, 3, v0
	v_add_co_u32_e32 v4, vcc, v86, v2
	v_addc_co_u32_e32 v5, vcc, 0, v87, vcc
	v_add_co_u32_e32 v22, vcc, s6, v4
	v_addc_co_u32_e32 v23, vcc, 0, v5, vcc
	s_movk_i32 s4, 0x2000
	s_waitcnt lgkmcnt(0)
	; wave barrier
	s_waitcnt lgkmcnt(0)
	flat_load_dwordx2 v[6:7], v[4:5]
	flat_load_dwordx2 v[8:9], v[4:5] offset:512
	flat_load_dwordx2 v[10:11], v[4:5] offset:1024
	;; [unrolled: 1-line block ×7, first 2 shown]
	v_add_co_u32_e32 v4, vcc, s4, v4
	v_addc_co_u32_e32 v5, vcc, 0, v5, vcc
	flat_load_dwordx2 v[24:25], v[22:23]
	flat_load_dwordx2 v[26:27], v[22:23] offset:512
	flat_load_dwordx2 v[28:29], v[22:23] offset:1024
	;; [unrolled: 1-line block ×7, first 2 shown]
	s_nop 0
	flat_load_dwordx2 v[22:23], v[4:5]
	flat_load_dwordx2 v[40:41], v[4:5] offset:512
	flat_load_dwordx2 v[44:45], v[4:5] offset:1024
	;; [unrolled: 1-line block ×4, first 2 shown]
	v_lshl_add_u32 v64, v0, 2, v3
	s_movk_i32 s4, 0xa0
	v_mad_u32_u24 v2, v0, s4, v64
	v_cmp_ne_u32_e32 vcc, v1, v62
	v_cmp_eq_u32_e64 s[4:5], v1, v62
	s_waitcnt vmcnt(0) lgkmcnt(0)
	ds_write2st64_b64 v64, v[6:7], v[8:9] offset1:1
	ds_write2st64_b64 v64, v[10:11], v[12:13] offset0:2 offset1:3
	ds_write2st64_b64 v64, v[14:15], v[16:17] offset0:4 offset1:5
	;; [unrolled: 1-line block ×9, first 2 shown]
	ds_write_b64 v64, v[68:69] offset:10240
	s_waitcnt lgkmcnt(0)
	; wave barrier
	s_waitcnt lgkmcnt(0)
	ds_read2_b64 v[38:41], v2 offset0:1 offset1:2
	ds_read2_b64 v[34:37], v2 offset0:3 offset1:4
	;; [unrolled: 1-line block ×10, first 2 shown]
	v_pk_mov_b32 v[44:45], s[68:69], s[68:69] op_sel:[0,1]
	s_and_saveexec_b64 s[6:7], s[4:5]
	s_cbranch_execz .LBB1493_139
; %bb.138:
	v_mul_u32_u24_e32 v1, 0xa0, v0
	v_add_u32_e32 v1, v64, v1
	ds_read_b64 v[44:45], v1
.LBB1493_139:
	s_or_b64 exec, exec, s[6:7]
	v_cndmask_b32_e64 v1, 0, 1, vcc
	v_cmp_ne_u32_e32 vcc, v62, v63
	v_cmp_ne_u32_e64 s[38:39], v47, v84
	v_cmp_ne_u32_e64 s[40:41], v84, v85
	v_mov_b32_e32 v84, s69
	v_cmp_ne_u32_e64 s[8:9], v61, v58
	v_cmp_ne_u32_e64 s[30:31], v48, v49
	;; [unrolled: 1-line block ×3, first 2 shown]
	s_waitcnt lgkmcnt(9)
	v_cndmask_b32_e32 v49, v39, v84, vcc
	v_mov_b32_e32 v39, s68
	v_cmp_ne_u32_e64 s[4:5], v63, v60
	v_cmp_ne_u32_e64 s[6:7], v60, v61
	v_cndmask_b32_e64 v112, 0, 1, s[8:9]
	v_cmp_ne_u32_e64 s[10:11], v58, v59
	v_cmp_ne_u32_e64 s[12:13], v59, v56
	;; [unrolled: 1-line block ×11, first 2 shown]
	s_waitcnt lgkmcnt(8)
	v_cndmask_b32_e64 v55, v37, v84, s[8:9]
	v_cndmask_b32_e64 v54, v36, v39, s[8:9]
	v_cmp_ne_u32_e64 s[8:9], v85, v88
	v_cndmask_b32_e64 v108, 0, 1, vcc
	v_cndmask_b32_e64 v109, 0, 1, s[4:5]
	v_cndmask_b32_e64 v111, 0, 1, s[6:7]
	;; [unrolled: 1-line block ×17, first 2 shown]
	v_cndmask_b32_e32 v48, v38, v39, vcc
	v_cndmask_b32_e64 v51, v41, v84, s[4:5]
	v_cndmask_b32_e64 v50, v40, v39, s[4:5]
	v_cndmask_b32_e64 v53, v35, v84, s[6:7]
	v_cndmask_b32_e64 v52, v34, v39, s[6:7]
	s_waitcnt lgkmcnt(7)
	v_cndmask_b32_e64 v57, v31, v84, s[10:11]
	v_cndmask_b32_e64 v56, v30, v39, s[10:11]
	v_cndmask_b32_e64 v59, v33, v84, s[12:13]
	v_cndmask_b32_e64 v58, v32, v39, s[12:13]
	s_waitcnt lgkmcnt(6)
	v_cndmask_b32_e64 v61, v27, v84, s[14:15]
	v_cndmask_b32_e64 v60, v26, v39, s[14:15]
	v_cndmask_b32_e64 v63, v29, v84, s[16:17]
	v_cndmask_b32_e64 v62, v28, v39, s[16:17]
	s_waitcnt lgkmcnt(5)
	v_cndmask_b32_e64 v65, v23, v84, s[18:19]
	v_cndmask_b32_e64 v64, v22, v39, s[18:19]
	v_cndmask_b32_e64 v67, v25, v84, s[20:21]
	v_cndmask_b32_e64 v66, v24, v39, s[20:21]
	s_waitcnt lgkmcnt(4)
	v_cndmask_b32_e64 v69, v19, v84, s[22:23]
	v_cndmask_b32_e64 v68, v18, v39, s[22:23]
	v_cndmask_b32_e64 v71, v21, v84, s[24:25]
	v_cndmask_b32_e64 v70, v20, v39, s[24:25]
	s_waitcnt lgkmcnt(3)
	v_cndmask_b32_e64 v73, v15, v84, s[26:27]
	v_cndmask_b32_e64 v72, v14, v39, s[26:27]
	v_cndmask_b32_e64 v75, v17, v84, s[28:29]
	v_cndmask_b32_e64 v74, v16, v39, s[28:29]
	s_waitcnt lgkmcnt(2)
	v_cndmask_b32_e64 v77, v11, v84, s[30:31]
	v_cndmask_b32_e64 v76, v10, v39, s[30:31]
	v_cndmask_b32_e64 v79, v13, v84, s[34:35]
	v_cndmask_b32_e64 v78, v12, v39, s[34:35]
	s_waitcnt lgkmcnt(1)
	v_cndmask_b32_e64 v81, v7, v84, s[36:37]
	v_cndmask_b32_e64 v80, v6, v39, s[36:37]
	v_cndmask_b32_e64 v83, v9, v84, s[38:39]
	v_cndmask_b32_e64 v82, v8, v39, s[38:39]
	s_waitcnt lgkmcnt(0)
	v_cndmask_b32_e64 v47, v3, v84, s[40:41]
	v_cndmask_b32_e64 v46, v2, v39, s[40:41]
	;; [unrolled: 1-line block ×4, first 2 shown]
	s_mov_b64 s[10:11], -1
                                        ; implicit-def: $sgpr72
                                        ; implicit-def: $sgpr6_sgpr7
.LBB1493_140:
	v_pk_mov_b32 v[84:85], s[6:7], s[6:7] op_sel:[0,1]
	v_mov_b32_e32 v127, s72
	s_and_saveexec_b64 s[4:5], s[10:11]
; %bb.141:
	v_cndmask_b32_e64 v127, 0, 1, s[8:9]
	v_pk_mov_b32 v[84:85], v[2:3], v[2:3] op_sel:[0,1]
; %bb.142:
	s_or_b64 exec, exec, s[4:5]
	v_or_b32_e32 v2, v127, v110
	s_cmp_lg_u32 s55, 0
	v_or_b32_e32 v129, v2, v126
	v_mbcnt_lo_u32_b32 v128, -1, 0
	s_waitcnt lgkmcnt(0)
	; wave barrier
	s_waitcnt lgkmcnt(0)
	s_cbranch_scc0 .LBB1493_201
; %bb.143:
	v_mov_b32_e32 v2, 0
	v_cmp_eq_u16_sdwa s[42:43], v108, v2 src0_sel:BYTE_0 src1_sel:DWORD
	v_cndmask_b32_e64 v4, 0, v44, s[42:43]
	v_cndmask_b32_e64 v3, 0, v45, s[42:43]
	v_add_co_u32_e32 v4, vcc, v4, v48
	v_cmp_eq_u16_sdwa s[40:41], v109, v2 src0_sel:BYTE_0 src1_sel:DWORD
	v_addc_co_u32_e32 v3, vcc, v3, v49, vcc
	v_cndmask_b32_e64 v4, 0, v4, s[40:41]
	v_cndmask_b32_e64 v3, 0, v3, s[40:41]
	v_add_co_u32_e32 v4, vcc, v4, v50
	v_cmp_eq_u16_sdwa s[38:39], v111, v2 src0_sel:BYTE_0 src1_sel:DWORD
	v_addc_co_u32_e32 v3, vcc, v3, v51, vcc
	;; [unrolled: 5-line block ×18, first 2 shown]
	v_cndmask_b32_e64 v4, 0, v4, s[4:5]
	v_cndmask_b32_e64 v3, 0, v3, s[4:5]
	v_add_co_u32_e32 v4, vcc, v4, v46
	v_addc_co_u32_e32 v3, vcc, v3, v47, vcc
	v_cmp_eq_u16_sdwa vcc, v127, v2 src0_sel:BYTE_0 src1_sel:DWORD
	v_cndmask_b32_e32 v2, 0, v4, vcc
	v_or_b32_e32 v4, v129, v125
	v_or_b32_e32 v4, v4, v124
	;; [unrolled: 1-line block ×17, first 2 shown]
	v_cndmask_b32_e32 v3, 0, v3, vcc
	v_add_co_u32_e32 v2, vcc, v2, v84
	v_or_b32_e32 v4, v4, v1
	v_mbcnt_hi_u32_b32 v5, -1, v128
	v_addc_co_u32_e32 v3, vcc, v3, v85, vcc
	v_and_b32_e32 v4, 1, v4
	v_and_b32_e32 v7, 15, v5
	v_cmp_eq_u32_e32 vcc, 1, v4
	v_mov_b32_dpp v9, v2 row_shr:1 row_mask:0xf bank_mask:0xf
	v_mov_b32_dpp v10, v3 row_shr:1 row_mask:0xf bank_mask:0xf
	;; [unrolled: 1-line block ×3, first 2 shown]
	v_cmp_ne_u32_e64 s[44:45], 0, v7
	v_mov_b32_e32 v6, v4
	s_and_saveexec_b64 s[46:47], s[44:45]
; %bb.144:
	v_cndmask_b32_e64 v9, v9, 0, vcc
	v_cndmask_b32_e64 v6, v10, 0, vcc
	v_add_co_u32_e32 v2, vcc, v9, v2
	v_addc_co_u32_e32 v3, vcc, v6, v3, vcc
	v_and_b32_e32 v6, 1, v8
	v_or_b32_e32 v4, v6, v4
	v_and_b32_e32 v6, 0xffff, v4
; %bb.145:
	s_or_b64 exec, exec, s[46:47]
	v_mov_b32_dpp v9, v2 row_shr:2 row_mask:0xf bank_mask:0xf
	v_mov_b32_dpp v10, v3 row_shr:2 row_mask:0xf bank_mask:0xf
	v_mov_b32_dpp v8, v6 row_shr:2 row_mask:0xf bank_mask:0xf
	v_cmp_lt_u32_e32 vcc, 1, v7
	s_and_saveexec_b64 s[46:47], vcc
	s_cbranch_execz .LBB1493_147
; %bb.146:
	v_cmp_eq_u16_e32 vcc, 0, v4
	v_cndmask_b32_e32 v9, 0, v9, vcc
	v_cndmask_b32_e32 v6, 0, v10, vcc
	v_add_co_u32_e32 v2, vcc, v9, v2
	v_addc_co_u32_e32 v3, vcc, v6, v3, vcc
	v_and_b32_e32 v4, 1, v4
	v_cmp_eq_u32_e32 vcc, 1, v4
	v_and_b32_e32 v4, 1, v8
	v_cmp_eq_u32_e64 s[44:45], 1, v4
	s_or_b64 s[44:45], vcc, s[44:45]
	v_cndmask_b32_e64 v4, 0, 1, s[44:45]
	v_cndmask_b32_e64 v6, 0, 1, s[44:45]
.LBB1493_147:
	s_or_b64 exec, exec, s[46:47]
	v_mov_b32_dpp v9, v2 row_shr:4 row_mask:0xf bank_mask:0xf
	v_mov_b32_dpp v10, v3 row_shr:4 row_mask:0xf bank_mask:0xf
	v_mov_b32_dpp v8, v6 row_shr:4 row_mask:0xf bank_mask:0xf
	v_cmp_lt_u32_e32 vcc, 3, v7
	s_and_saveexec_b64 s[46:47], vcc
	s_cbranch_execz .LBB1493_149
; %bb.148:
	v_cmp_eq_u16_e32 vcc, 0, v4
	v_cndmask_b32_e32 v9, 0, v9, vcc
	v_cndmask_b32_e32 v6, 0, v10, vcc
	v_add_co_u32_e32 v2, vcc, v9, v2
	v_addc_co_u32_e32 v3, vcc, v6, v3, vcc
	v_and_b32_e32 v4, 1, v4
	v_cmp_eq_u32_e32 vcc, 1, v4
	v_and_b32_e32 v4, 1, v8
	v_cmp_eq_u32_e64 s[44:45], 1, v4
	s_or_b64 s[44:45], vcc, s[44:45]
	v_cndmask_b32_e64 v4, 0, 1, s[44:45]
	v_cndmask_b32_e64 v6, 0, 1, s[44:45]
.LBB1493_149:
	;; [unrolled: 21-line block ×3, first 2 shown]
	s_or_b64 exec, exec, s[46:47]
	v_and_b32_e32 v10, 16, v5
	v_mov_b32_dpp v8, v2 row_bcast:15 row_mask:0xf bank_mask:0xf
	v_mov_b32_dpp v9, v3 row_bcast:15 row_mask:0xf bank_mask:0xf
	;; [unrolled: 1-line block ×3, first 2 shown]
	v_cmp_ne_u32_e32 vcc, 0, v10
	s_and_saveexec_b64 s[46:47], vcc
	s_cbranch_execz .LBB1493_153
; %bb.152:
	v_cmp_eq_u16_e32 vcc, 0, v4
	v_cndmask_b32_e32 v8, 0, v8, vcc
	v_cndmask_b32_e32 v6, 0, v9, vcc
	v_add_co_u32_e32 v2, vcc, v8, v2
	v_addc_co_u32_e32 v3, vcc, v6, v3, vcc
	v_and_b32_e32 v4, 1, v4
	v_cmp_eq_u32_e32 vcc, 1, v4
	v_and_b32_e32 v4, 1, v7
	v_cmp_eq_u32_e64 s[44:45], 1, v4
	s_or_b64 s[44:45], vcc, s[44:45]
	v_cndmask_b32_e64 v4, 0, 1, s[44:45]
	v_cndmask_b32_e64 v6, 0, 1, s[44:45]
.LBB1493_153:
	s_or_b64 exec, exec, s[46:47]
	v_mov_b32_dpp v7, v2 row_bcast:31 row_mask:0xf bank_mask:0xf
	v_mov_b32_dpp v8, v3 row_bcast:31 row_mask:0xf bank_mask:0xf
	;; [unrolled: 1-line block ×3, first 2 shown]
	v_cmp_lt_u32_e32 vcc, 31, v5
	s_and_saveexec_b64 s[46:47], vcc
; %bb.154:
	v_cmp_eq_u16_e32 vcc, 0, v4
	v_cndmask_b32_e32 v7, 0, v7, vcc
	v_cndmask_b32_e32 v8, 0, v8, vcc
	v_add_co_u32_e32 v2, vcc, v7, v2
	v_addc_co_u32_e32 v3, vcc, v8, v3, vcc
	v_and_b32_e32 v4, 1, v4
	v_cmp_eq_u32_e32 vcc, 1, v4
	v_and_b32_e32 v4, 1, v6
	v_cmp_eq_u32_e64 s[44:45], 1, v4
	s_or_b64 s[44:45], vcc, s[44:45]
	v_cndmask_b32_e64 v4, 0, 1, s[44:45]
; %bb.155:
	s_or_b64 exec, exec, s[46:47]
	v_cmp_eq_u32_e32 vcc, 63, v0
	s_and_saveexec_b64 s[44:45], vcc
	s_cbranch_execz .LBB1493_157
; %bb.156:
	v_mov_b32_e32 v6, 0
	ds_write_b64 v6, v[2:3]
	ds_write_b8 v6, v4 offset:8
.LBB1493_157:
	s_or_b64 exec, exec, s[44:45]
	v_add_u32_e32 v6, -1, v5
	v_and_b32_e32 v7, 64, v5
	v_cmp_lt_i32_e32 vcc, v6, v7
	v_cndmask_b32_e32 v6, v6, v5, vcc
	v_lshlrev_b32_e32 v6, 2, v6
	ds_bpermute_b32 v12, v6, v2
	v_and_b32_e32 v2, 0xffff, v4
	ds_bpermute_b32 v13, v6, v3
	ds_bpermute_b32 v14, v6, v2
	v_cmp_gt_u32_e32 vcc, 64, v0
	s_waitcnt lgkmcnt(0)
	; wave barrier
	s_waitcnt lgkmcnt(0)
	s_and_saveexec_b64 s[58:59], vcc
	s_cbranch_execz .LBB1493_200
; %bb.158:
	v_mov_b32_e32 v7, 0
	ds_read_b64 v[2:3], v7
	ds_read_u8 v15, v7 offset:8
	s_mov_b32 s61, 0
	v_cmp_eq_u32_e64 s[44:45], 0, v5
	s_and_saveexec_b64 s[46:47], s[44:45]
	s_cbranch_execz .LBB1493_160
; %bb.159:
	s_add_i32 s60, s55, 64
	s_lshl_b64 s[64:65], s[60:61], 4
	s_add_u32 s64, s48, s64
	s_addc_u32 s65, s49, s65
	v_mov_b32_e32 v4, s60
	v_mov_b32_e32 v6, 1
	s_waitcnt lgkmcnt(1)
	global_store_dwordx2 v7, v[2:3], s[64:65]
	s_waitcnt lgkmcnt(0)
	global_store_byte v7, v15, s[64:65] offset:8
	s_waitcnt vmcnt(0)
	buffer_wbinvl1_vol
	global_store_byte v4, v6, s[52:53]
.LBB1493_160:
	s_or_b64 exec, exec, s[46:47]
	v_xad_u32 v4, v5, -1, s55
	v_add_u32_e32 v6, 64, v4
	global_load_ubyte v16, v6, s[52:53] glc
	s_waitcnt vmcnt(0)
	v_cmp_eq_u16_e32 vcc, 0, v16
	s_and_saveexec_b64 s[46:47], vcc
	s_cbranch_execz .LBB1493_164
; %bb.161:
	v_mov_b32_e32 v9, s53
	v_add_co_u32_e32 v8, vcc, s52, v6
	v_addc_co_u32_e32 v9, vcc, 0, v9, vcc
	s_mov_b64 s[60:61], 0
.LBB1493_162:                           ; =>This Inner Loop Header: Depth=1
	global_load_ubyte v16, v[8:9], off glc
	s_waitcnt vmcnt(0)
	v_cmp_ne_u16_e32 vcc, 0, v16
	s_or_b64 s[60:61], vcc, s[60:61]
	s_andn2_b64 exec, exec, s[60:61]
	s_cbranch_execnz .LBB1493_162
; %bb.163:
	s_or_b64 exec, exec, s[60:61]
.LBB1493_164:
	s_or_b64 exec, exec, s[46:47]
	v_mov_b32_e32 v8, s51
	v_mov_b32_e32 v9, s49
	v_cmp_eq_u16_e32 vcc, 1, v16
	v_cndmask_b32_e32 v8, v8, v9, vcc
	v_mov_b32_e32 v9, s50
	v_mov_b32_e32 v10, s48
	v_cndmask_b32_e32 v9, v9, v10, vcc
	v_lshlrev_b64 v[6:7], 4, v[6:7]
	v_add_co_u32_e32 v6, vcc, v9, v6
	v_addc_co_u32_e32 v7, vcc, v8, v7, vcc
	s_waitcnt lgkmcnt(0)
	buffer_wbinvl1_vol
	global_load_dwordx2 v[10:11], v[6:7], off
	global_load_ubyte v31, v[6:7], off offset:8
	v_cmp_eq_u16_e32 vcc, 2, v16
	v_lshlrev_b64 v[6:7], v5, -1
	v_and_b32_e32 v17, 63, v5
	v_and_b32_e32 v8, vcc_hi, v7
	v_and_b32_e32 v22, vcc_lo, v6
	v_cmp_ne_u32_e32 vcc, 63, v17
	v_addc_co_u32_e32 v9, vcc, 0, v5, vcc
	v_lshlrev_b32_e32 v18, 2, v9
	v_or_b32_e32 v8, 0x80000000, v8
	v_ffbl_b32_e32 v8, v8
	v_add_u32_e32 v8, 32, v8
	v_ffbl_b32_e32 v22, v22
	v_min_u32_e32 v8, v22, v8
	v_cmp_lt_u32_e32 vcc, v17, v8
	s_waitcnt vmcnt(1)
	ds_bpermute_b32 v20, v18, v10
	s_waitcnt vmcnt(0)
	v_and_b32_e32 v9, 1, v31
	ds_bpermute_b32 v21, v18, v11
	ds_bpermute_b32 v19, v18, v9
	s_and_saveexec_b64 s[46:47], vcc
	s_cbranch_execz .LBB1493_166
; %bb.165:
	v_mov_b32_e32 v9, 0
	v_cmp_eq_u16_sdwa vcc, v31, v9 src0_sel:BYTE_0 src1_sel:DWORD
	s_waitcnt lgkmcnt(2)
	v_cndmask_b32_e32 v20, 0, v20, vcc
	s_waitcnt lgkmcnt(1)
	v_cndmask_b32_e32 v9, 0, v21, vcc
	v_add_co_u32_e32 v10, vcc, v20, v10
	v_addc_co_u32_e32 v11, vcc, v9, v11, vcc
	s_waitcnt lgkmcnt(0)
	v_and_b32_e32 v9, 1, v19
	v_or_b32_e32 v31, v9, v31
	v_and_b32_e32 v9, 0xff, v31
.LBB1493_166:
	s_or_b64 exec, exec, s[46:47]
	v_cmp_gt_u32_e32 vcc, 62, v17
	s_waitcnt lgkmcnt(0)
	v_cndmask_b32_e64 v19, 0, 1, vcc
	v_lshlrev_b32_e32 v19, 1, v19
	v_add_lshl_u32 v19, v19, v5, 2
	ds_bpermute_b32 v22, v19, v10
	ds_bpermute_b32 v23, v19, v11
	ds_bpermute_b32 v21, v19, v9
	v_add_u32_e32 v20, 2, v17
	v_cmp_le_u32_e32 vcc, v20, v8
	s_and_saveexec_b64 s[60:61], vcc
	s_cbranch_execz .LBB1493_168
; %bb.167:
	v_mov_b32_e32 v9, 0
	v_cmp_eq_u16_sdwa vcc, v31, v9 src0_sel:BYTE_0 src1_sel:DWORD
	s_waitcnt lgkmcnt(2)
	v_cndmask_b32_e32 v22, 0, v22, vcc
	s_waitcnt lgkmcnt(1)
	v_cndmask_b32_e32 v9, 0, v23, vcc
	v_add_co_u32_e32 v10, vcc, v22, v10
	v_addc_co_u32_e32 v11, vcc, v9, v11, vcc
	v_and_b32_e32 v9, 1, v31
	v_cmp_eq_u32_e32 vcc, 1, v9
	s_waitcnt lgkmcnt(0)
	v_and_b32_e32 v9, 1, v21
	v_cmp_eq_u32_e64 s[46:47], 1, v9
	s_or_b64 s[46:47], vcc, s[46:47]
	v_cndmask_b32_e64 v31, 0, 1, s[46:47]
	v_cndmask_b32_e64 v9, 0, 1, s[46:47]
.LBB1493_168:
	s_or_b64 exec, exec, s[60:61]
	v_cmp_gt_u32_e32 vcc, 60, v17
	s_waitcnt lgkmcnt(0)
	v_cndmask_b32_e64 v21, 0, 1, vcc
	v_lshlrev_b32_e32 v21, 2, v21
	v_add_lshl_u32 v21, v21, v5, 2
	ds_bpermute_b32 v24, v21, v10
	ds_bpermute_b32 v25, v21, v11
	ds_bpermute_b32 v23, v21, v9
	v_add_u32_e32 v22, 4, v17
	v_cmp_le_u32_e32 vcc, v22, v8
	s_and_saveexec_b64 s[60:61], vcc
	s_cbranch_execz .LBB1493_170
; %bb.169:
	v_mov_b32_e32 v9, 0
	v_cmp_eq_u16_sdwa vcc, v31, v9 src0_sel:BYTE_0 src1_sel:DWORD
	s_waitcnt lgkmcnt(2)
	v_cndmask_b32_e32 v24, 0, v24, vcc
	s_waitcnt lgkmcnt(1)
	v_cndmask_b32_e32 v9, 0, v25, vcc
	v_add_co_u32_e32 v10, vcc, v24, v10
	v_addc_co_u32_e32 v11, vcc, v9, v11, vcc
	v_and_b32_e32 v9, 1, v31
	v_cmp_eq_u32_e32 vcc, 1, v9
	s_waitcnt lgkmcnt(0)
	v_and_b32_e32 v9, 1, v23
	v_cmp_eq_u32_e64 s[46:47], 1, v9
	s_or_b64 s[46:47], vcc, s[46:47]
	v_cndmask_b32_e64 v31, 0, 1, s[46:47]
	v_cndmask_b32_e64 v9, 0, 1, s[46:47]
.LBB1493_170:
	;; [unrolled: 31-line block ×4, first 2 shown]
	s_or_b64 exec, exec, s[60:61]
	v_cmp_gt_u32_e32 vcc, 32, v17
	s_waitcnt lgkmcnt(0)
	v_cndmask_b32_e64 v27, 0, 1, vcc
	v_lshlrev_b32_e32 v27, 5, v27
	v_add_lshl_u32 v28, v27, v5, 2
	ds_bpermute_b32 v27, v28, v10
	ds_bpermute_b32 v30, v28, v11
	;; [unrolled: 1-line block ×3, first 2 shown]
	v_add_u32_e32 v29, 32, v17
	v_cmp_le_u32_e32 vcc, v29, v8
	s_and_saveexec_b64 s[60:61], vcc
	s_cbranch_execz .LBB1493_176
; %bb.175:
	v_mov_b32_e32 v8, 0
	v_cmp_eq_u16_sdwa vcc, v31, v8 src0_sel:BYTE_0 src1_sel:DWORD
	s_waitcnt lgkmcnt(2)
	v_cndmask_b32_e32 v9, 0, v27, vcc
	s_waitcnt lgkmcnt(1)
	v_cndmask_b32_e32 v8, 0, v30, vcc
	v_add_co_u32_e32 v10, vcc, v9, v10
	v_addc_co_u32_e32 v11, vcc, v8, v11, vcc
	v_and_b32_e32 v8, 1, v31
	s_waitcnt lgkmcnt(0)
	v_and_b32_e32 v5, 1, v5
	v_cmp_eq_u32_e32 vcc, 1, v8
	v_cmp_eq_u32_e64 s[46:47], 1, v5
	s_or_b64 s[46:47], vcc, s[46:47]
	v_cndmask_b32_e64 v31, 0, 1, s[46:47]
.LBB1493_176:
	s_or_b64 exec, exec, s[60:61]
	s_waitcnt lgkmcnt(0)
	v_mov_b32_e32 v5, 0
	v_mov_b32_e32 v30, 2
	s_branch .LBB1493_178
.LBB1493_177:                           ;   in Loop: Header=BB1493_178 Depth=1
	s_or_b64 exec, exec, s[64:65]
	v_cmp_eq_u16_sdwa vcc, v27, v5 src0_sel:BYTE_0 src1_sel:DWORD
	v_cndmask_b32_e32 v10, 0, v10, vcc
	v_cndmask_b32_e32 v11, 0, v11, vcc
	v_add_co_u32_e32 v10, vcc, v10, v8
	v_addc_co_u32_e32 v11, vcc, v11, v9, vcc
	v_and_b32_e32 v31, 1, v27
	v_cmp_eq_u32_e32 vcc, 1, v31
	s_or_b64 s[46:47], vcc, s[60:61]
	v_subrev_u32_e32 v4, 64, v4
	v_cndmask_b32_e64 v31, 0, 1, s[46:47]
.LBB1493_178:                           ; =>This Loop Header: Depth=1
                                        ;     Child Loop BB1493_181 Depth 2
	v_cmp_ne_u16_sdwa s[46:47], v16, v30 src0_sel:BYTE_0 src1_sel:DWORD
	v_cndmask_b32_e64 v8, 0, 1, s[46:47]
	;;#ASMSTART
	;;#ASMEND
	v_cmp_ne_u32_e32 vcc, 0, v8
	v_mov_b32_e32 v27, v31
	s_cmp_lg_u64 vcc, exec
	v_pk_mov_b32 v[8:9], v[10:11], v[10:11] op_sel:[0,1]
	s_cbranch_scc1 .LBB1493_195
; %bb.179:                              ;   in Loop: Header=BB1493_178 Depth=1
	global_load_ubyte v16, v4, s[52:53] glc
	s_waitcnt vmcnt(0)
	v_cmp_eq_u16_e32 vcc, 0, v16
	s_and_saveexec_b64 s[46:47], vcc
	s_cbranch_execz .LBB1493_183
; %bb.180:                              ;   in Loop: Header=BB1493_178 Depth=1
	v_mov_b32_e32 v11, s53
	v_add_co_u32_e32 v10, vcc, s52, v4
	v_addc_co_u32_e32 v11, vcc, 0, v11, vcc
	s_mov_b64 s[60:61], 0
.LBB1493_181:                           ;   Parent Loop BB1493_178 Depth=1
                                        ; =>  This Inner Loop Header: Depth=2
	global_load_ubyte v16, v[10:11], off glc
	s_waitcnt vmcnt(0)
	v_cmp_ne_u16_e32 vcc, 0, v16
	s_or_b64 s[60:61], vcc, s[60:61]
	s_andn2_b64 exec, exec, s[60:61]
	s_cbranch_execnz .LBB1493_181
; %bb.182:                              ;   in Loop: Header=BB1493_178 Depth=1
	s_or_b64 exec, exec, s[60:61]
.LBB1493_183:                           ;   in Loop: Header=BB1493_178 Depth=1
	s_or_b64 exec, exec, s[46:47]
	v_mov_b32_e32 v10, s51
	v_mov_b32_e32 v11, s49
	v_cmp_eq_u16_e32 vcc, 1, v16
	v_cndmask_b32_e32 v31, v10, v11, vcc
	v_mov_b32_e32 v10, s50
	v_mov_b32_e32 v11, s48
	v_cndmask_b32_e32 v32, v10, v11, vcc
	v_lshlrev_b64 v[10:11], 4, v[4:5]
	v_add_co_u32_e32 v32, vcc, v32, v10
	s_waitcnt lgkmcnt(0)
	v_addc_co_u32_e32 v33, vcc, v31, v11, vcc
	buffer_wbinvl1_vol
	global_load_dwordx2 v[10:11], v[32:33], off
	global_load_ubyte v31, v[32:33], off offset:8
	v_cmp_eq_u16_e32 vcc, 2, v16
	v_and_b32_e32 v32, vcc_hi, v7
	v_or_b32_e32 v32, 0x80000000, v32
	v_and_b32_e32 v37, vcc_lo, v6
	v_ffbl_b32_e32 v32, v32
	v_add_u32_e32 v32, 32, v32
	v_ffbl_b32_e32 v37, v37
	v_min_u32_e32 v32, v37, v32
	v_cmp_lt_u32_e32 vcc, v17, v32
	s_waitcnt vmcnt(1)
	ds_bpermute_b32 v35, v18, v10
	s_waitcnt vmcnt(0)
	v_and_b32_e32 v33, 1, v31
	ds_bpermute_b32 v36, v18, v11
	ds_bpermute_b32 v34, v18, v33
	s_and_saveexec_b64 s[46:47], vcc
	s_cbranch_execz .LBB1493_185
; %bb.184:                              ;   in Loop: Header=BB1493_178 Depth=1
	v_cmp_eq_u16_sdwa vcc, v31, v5 src0_sel:BYTE_0 src1_sel:DWORD
	s_waitcnt lgkmcnt(2)
	v_cndmask_b32_e32 v35, 0, v35, vcc
	s_waitcnt lgkmcnt(1)
	v_cndmask_b32_e32 v33, 0, v36, vcc
	v_add_co_u32_e32 v10, vcc, v35, v10
	v_addc_co_u32_e32 v11, vcc, v33, v11, vcc
	s_waitcnt lgkmcnt(0)
	v_and_b32_e32 v33, 1, v34
	v_or_b32_e32 v31, v33, v31
	v_and_b32_e32 v33, 0xff, v31
.LBB1493_185:                           ;   in Loop: Header=BB1493_178 Depth=1
	s_or_b64 exec, exec, s[46:47]
	s_waitcnt lgkmcnt(2)
	ds_bpermute_b32 v35, v19, v10
	s_waitcnt lgkmcnt(2)
	ds_bpermute_b32 v36, v19, v11
	;; [unrolled: 2-line block ×3, first 2 shown]
	v_and_b32_e32 v37, 1, v31
	v_cmp_le_u32_e32 vcc, v20, v32
	v_cmp_eq_u32_e64 s[60:61], 1, v37
	s_and_saveexec_b64 s[46:47], vcc
	s_cbranch_execz .LBB1493_187
; %bb.186:                              ;   in Loop: Header=BB1493_178 Depth=1
	v_cmp_eq_u16_sdwa vcc, v31, v5 src0_sel:BYTE_0 src1_sel:DWORD
	s_waitcnt lgkmcnt(2)
	v_cndmask_b32_e32 v33, 0, v35, vcc
	s_waitcnt lgkmcnt(1)
	v_cndmask_b32_e32 v31, 0, v36, vcc
	v_add_co_u32_e32 v10, vcc, v33, v10
	v_addc_co_u32_e32 v11, vcc, v31, v11, vcc
	s_waitcnt lgkmcnt(0)
	v_and_b32_e32 v31, 1, v34
	v_cmp_eq_u32_e32 vcc, 1, v31
	s_or_b64 s[64:65], s[60:61], vcc
	v_cndmask_b32_e64 v31, 0, 1, s[64:65]
	v_cndmask_b32_e64 v33, 0, 1, s[64:65]
	s_andn2_b64 s[60:61], s[60:61], exec
	s_and_b64 s[64:65], s[64:65], exec
	s_or_b64 s[60:61], s[60:61], s[64:65]
.LBB1493_187:                           ;   in Loop: Header=BB1493_178 Depth=1
	s_or_b64 exec, exec, s[46:47]
	s_waitcnt lgkmcnt(2)
	ds_bpermute_b32 v35, v21, v10
	s_waitcnt lgkmcnt(2)
	ds_bpermute_b32 v36, v21, v11
	s_waitcnt lgkmcnt(2)
	ds_bpermute_b32 v34, v21, v33
	v_cmp_le_u32_e32 vcc, v22, v32
	s_and_saveexec_b64 s[64:65], vcc
	s_cbranch_execz .LBB1493_189
; %bb.188:                              ;   in Loop: Header=BB1493_178 Depth=1
	v_cmp_eq_u16_sdwa vcc, v31, v5 src0_sel:BYTE_0 src1_sel:DWORD
	s_waitcnt lgkmcnt(2)
	v_cndmask_b32_e32 v35, 0, v35, vcc
	s_waitcnt lgkmcnt(1)
	v_cndmask_b32_e32 v33, 0, v36, vcc
	v_add_co_u32_e32 v10, vcc, v35, v10
	v_addc_co_u32_e32 v11, vcc, v33, v11, vcc
	v_and_b32_e32 v31, 1, v31
	v_cmp_eq_u32_e32 vcc, 1, v31
	s_waitcnt lgkmcnt(0)
	v_and_b32_e32 v31, 1, v34
	v_cmp_eq_u32_e64 s[46:47], 1, v31
	s_or_b64 s[46:47], vcc, s[46:47]
	v_cndmask_b32_e64 v31, 0, 1, s[46:47]
	v_cndmask_b32_e64 v33, 0, 1, s[46:47]
	s_andn2_b64 s[60:61], s[60:61], exec
	s_and_b64 s[46:47], s[46:47], exec
	s_or_b64 s[60:61], s[60:61], s[46:47]
.LBB1493_189:                           ;   in Loop: Header=BB1493_178 Depth=1
	s_or_b64 exec, exec, s[64:65]
	s_waitcnt lgkmcnt(2)
	ds_bpermute_b32 v35, v23, v10
	s_waitcnt lgkmcnt(2)
	ds_bpermute_b32 v36, v23, v11
	s_waitcnt lgkmcnt(2)
	ds_bpermute_b32 v34, v23, v33
	v_cmp_le_u32_e32 vcc, v24, v32
	s_and_saveexec_b64 s[64:65], vcc
	s_cbranch_execz .LBB1493_191
; %bb.190:                              ;   in Loop: Header=BB1493_178 Depth=1
	v_cmp_eq_u16_sdwa vcc, v31, v5 src0_sel:BYTE_0 src1_sel:DWORD
	s_waitcnt lgkmcnt(2)
	v_cndmask_b32_e32 v35, 0, v35, vcc
	s_waitcnt lgkmcnt(1)
	v_cndmask_b32_e32 v33, 0, v36, vcc
	v_add_co_u32_e32 v10, vcc, v35, v10
	v_addc_co_u32_e32 v11, vcc, v33, v11, vcc
	v_and_b32_e32 v31, 1, v31
	v_cmp_eq_u32_e32 vcc, 1, v31
	s_waitcnt lgkmcnt(0)
	v_and_b32_e32 v31, 1, v34
	v_cmp_eq_u32_e64 s[46:47], 1, v31
	s_or_b64 s[46:47], vcc, s[46:47]
	v_cndmask_b32_e64 v31, 0, 1, s[46:47]
	v_cndmask_b32_e64 v33, 0, 1, s[46:47]
	s_andn2_b64 s[60:61], s[60:61], exec
	s_and_b64 s[46:47], s[46:47], exec
	s_or_b64 s[60:61], s[60:61], s[46:47]
.LBB1493_191:                           ;   in Loop: Header=BB1493_178 Depth=1
	;; [unrolled: 30-line block ×3, first 2 shown]
	s_or_b64 exec, exec, s[64:65]
	s_waitcnt lgkmcnt(0)
	ds_bpermute_b32 v34, v28, v10
	ds_bpermute_b32 v35, v28, v11
	;; [unrolled: 1-line block ×3, first 2 shown]
	v_cmp_le_u32_e32 vcc, v29, v32
	s_and_saveexec_b64 s[64:65], vcc
	s_cbranch_execz .LBB1493_177
; %bb.194:                              ;   in Loop: Header=BB1493_178 Depth=1
	v_cmp_eq_u16_sdwa vcc, v31, v5 src0_sel:BYTE_0 src1_sel:DWORD
	s_waitcnt lgkmcnt(2)
	v_cndmask_b32_e32 v34, 0, v34, vcc
	s_waitcnt lgkmcnt(1)
	v_cndmask_b32_e32 v32, 0, v35, vcc
	v_add_co_u32_e32 v10, vcc, v34, v10
	v_addc_co_u32_e32 v11, vcc, v32, v11, vcc
	v_and_b32_e32 v31, 1, v31
	v_cmp_eq_u32_e32 vcc, 1, v31
	s_waitcnt lgkmcnt(0)
	v_and_b32_e32 v31, 1, v33
	v_cmp_eq_u32_e64 s[46:47], 1, v31
	s_or_b64 s[46:47], vcc, s[46:47]
	s_andn2_b64 s[60:61], s[60:61], exec
	s_and_b64 s[46:47], s[46:47], exec
	s_or_b64 s[60:61], s[60:61], s[46:47]
	s_branch .LBB1493_177
.LBB1493_195:                           ;   in Loop: Header=BB1493_178 Depth=1
                                        ; implicit-def: $vgpr31
                                        ; implicit-def: $vgpr10_vgpr11
                                        ; implicit-def: $vgpr16
	s_cbranch_execz .LBB1493_178
; %bb.196:
	s_and_saveexec_b64 s[46:47], s[44:45]
	s_cbranch_execz .LBB1493_198
; %bb.197:
	v_mov_b32_e32 v4, 0
	s_mov_b32 s45, 0
	v_cmp_eq_u16_sdwa vcc, v15, v4 src0_sel:BYTE_0 src1_sel:DWORD
	s_add_i32 s44, s55, 64
	v_cndmask_b32_e32 v6, 0, v8, vcc
	s_lshl_b64 s[48:49], s[44:45], 4
	v_cndmask_b32_e32 v5, 0, v9, vcc
	v_add_co_u32_e32 v2, vcc, v6, v2
	s_add_u32 s48, s50, s48
	v_addc_co_u32_e32 v3, vcc, v5, v3, vcc
	v_or_b32_e32 v5, v15, v27
	s_addc_u32 s49, s51, s49
	v_and_b32_e32 v5, 1, v5
	global_store_dwordx2 v4, v[2:3], s[48:49]
	global_store_byte v4, v5, s[48:49] offset:8
	v_mov_b32_e32 v2, s44
	v_mov_b32_e32 v3, 2
	s_waitcnt vmcnt(0) lgkmcnt(0)
	buffer_wbinvl1_vol
	global_store_byte v2, v3, s[52:53]
.LBB1493_198:
	s_or_b64 exec, exec, s[46:47]
	s_and_b64 exec, exec, s[0:1]
	s_cbranch_execz .LBB1493_200
; %bb.199:
	v_mov_b32_e32 v2, 0
	ds_write_b64 v2, v[8:9]
	ds_write_b8 v2, v27 offset:8
.LBB1493_200:
	s_or_b64 exec, exec, s[58:59]
	v_mov_b32_e32 v4, 0
	s_waitcnt lgkmcnt(0)
	; wave barrier
	s_waitcnt lgkmcnt(0)
	ds_read_b64 v[2:3], v4
	v_cmp_eq_u32_sdwa vcc, v14, v4 src0_sel:BYTE_0 src1_sel:DWORD
	s_waitcnt lgkmcnt(0)
	v_cndmask_b32_e32 v6, 0, v2, vcc
	v_cndmask_b32_e32 v5, 0, v3, vcc
	v_add_co_u32_e32 v6, vcc, v12, v6
	v_addc_co_u32_e32 v5, vcc, v13, v5, vcc
	v_cndmask_b32_e64 v86, v6, v2, s[0:1]
	v_cmp_eq_u16_sdwa vcc, v1, v4 src0_sel:BYTE_0 src1_sel:DWORD
	v_cndmask_b32_e64 v87, v5, v3, s[0:1]
	v_cndmask_b32_e32 v3, 0, v86, vcc
	v_cndmask_b32_e32 v2, 0, v87, vcc
	v_add_co_u32_e32 v4, vcc, v3, v44
	v_addc_co_u32_e32 v5, vcc, v2, v45, vcc
	v_cndmask_b32_e64 v3, 0, v4, s[42:43]
	v_cndmask_b32_e64 v2, 0, v5, s[42:43]
	v_add_co_u32_e32 v6, vcc, v3, v48
	v_addc_co_u32_e32 v7, vcc, v2, v49, vcc
	v_cndmask_b32_e64 v3, 0, v6, s[40:41]
	v_cndmask_b32_e64 v2, 0, v7, s[40:41]
	;; [unrolled: 4-line block ×19, first 2 shown]
	s_branch .LBB1493_221
.LBB1493_201:
                                        ; implicit-def: $vgpr86_vgpr87
                                        ; implicit-def: $vgpr106_vgpr107
                                        ; implicit-def: $vgpr104_vgpr105
                                        ; implicit-def: $vgpr102_vgpr103
                                        ; implicit-def: $vgpr100_vgpr101
                                        ; implicit-def: $vgpr98_vgpr99
                                        ; implicit-def: $vgpr96_vgpr97
                                        ; implicit-def: $vgpr94_vgpr95
                                        ; implicit-def: $vgpr92_vgpr93
                                        ; implicit-def: $vgpr90_vgpr91
                                        ; implicit-def: $vgpr88_vgpr89
                                        ; implicit-def: $vgpr38_vgpr39_vgpr40_vgpr41
                                        ; implicit-def: $vgpr34_vgpr35_vgpr36_vgpr37
                                        ; implicit-def: $vgpr30_vgpr31_vgpr32_vgpr33
                                        ; implicit-def: $vgpr26_vgpr27_vgpr28_vgpr29
                                        ; implicit-def: $vgpr22_vgpr23_vgpr24_vgpr25
                                        ; implicit-def: $vgpr18_vgpr19_vgpr20_vgpr21
                                        ; implicit-def: $vgpr14_vgpr15_vgpr16_vgpr17
                                        ; implicit-def: $vgpr10_vgpr11_vgpr12_vgpr13
                                        ; implicit-def: $vgpr6_vgpr7_vgpr8_vgpr9
                                        ; implicit-def: $vgpr2_vgpr3_vgpr4_vgpr5
	s_cbranch_execz .LBB1493_221
; %bb.202:
	s_cmp_lg_u64 s[70:71], 0
	s_cselect_b32 s5, s67, 0
	s_cselect_b32 s4, s66, 0
	s_cmp_eq_u64 s[4:5], 0
	v_pk_mov_b32 v[2:3], s[68:69], s[68:69] op_sel:[0,1]
	s_cbranch_scc1 .LBB1493_204
; %bb.203:
	v_mov_b32_e32 v2, 0
	global_load_dwordx2 v[2:3], v2, s[4:5]
.LBB1493_204:
	v_mov_b32_e32 v4, 0
	v_cmp_eq_u16_sdwa s[40:41], v108, v4 src0_sel:BYTE_0 src1_sel:DWORD
	v_cndmask_b32_e64 v6, 0, v44, s[40:41]
	v_cndmask_b32_e64 v5, 0, v45, s[40:41]
	v_add_co_u32_e32 v6, vcc, v6, v48
	v_cmp_eq_u16_sdwa s[38:39], v109, v4 src0_sel:BYTE_0 src1_sel:DWORD
	v_addc_co_u32_e32 v5, vcc, v5, v49, vcc
	v_cndmask_b32_e64 v6, 0, v6, s[38:39]
	v_cndmask_b32_e64 v5, 0, v5, s[38:39]
	v_add_co_u32_e32 v6, vcc, v6, v50
	v_cmp_eq_u16_sdwa s[36:37], v111, v4 src0_sel:BYTE_0 src1_sel:DWORD
	v_addc_co_u32_e32 v5, vcc, v5, v51, vcc
	;; [unrolled: 5-line block ×17, first 2 shown]
	v_cndmask_b32_e64 v6, 0, v6, s[4:5]
	v_cndmask_b32_e64 v5, 0, v5, s[4:5]
	v_add_co_u32_e32 v6, vcc, v6, v82
	v_addc_co_u32_e32 v5, vcc, v5, v83, vcc
	v_cmp_eq_u16_sdwa vcc, v110, v4 src0_sel:BYTE_0 src1_sel:DWORD
	v_cndmask_b32_e32 v6, 0, v6, vcc
	v_cndmask_b32_e32 v5, 0, v5, vcc
	v_add_co_u32_e64 v6, s[42:43], v6, v46
	v_addc_co_u32_e64 v5, s[42:43], v5, v47, s[42:43]
	v_cmp_eq_u16_sdwa s[42:43], v127, v4 src0_sel:BYTE_0 src1_sel:DWORD
	v_cndmask_b32_e64 v4, 0, v6, s[42:43]
	v_or_b32_e32 v6, v129, v125
	v_or_b32_e32 v6, v6, v124
	;; [unrolled: 1-line block ×18, first 2 shown]
	v_cndmask_b32_e64 v5, 0, v5, s[42:43]
	v_add_co_u32_e64 v4, s[42:43], v4, v84
	v_and_b32_e32 v7, 1, v6
	v_mbcnt_hi_u32_b32 v6, -1, v128
	v_addc_co_u32_e64 v5, s[42:43], v5, v85, s[42:43]
	v_and_b32_e32 v9, 15, v6
	v_cmp_eq_u32_e64 s[42:43], 1, v7
	v_mov_b32_dpp v11, v4 row_shr:1 row_mask:0xf bank_mask:0xf
	v_mov_b32_dpp v12, v5 row_shr:1 row_mask:0xf bank_mask:0xf
	;; [unrolled: 1-line block ×3, first 2 shown]
	v_cmp_ne_u32_e64 s[44:45], 0, v9
	v_mov_b32_e32 v8, v7
	s_and_saveexec_b64 s[46:47], s[44:45]
; %bb.205:
	v_cndmask_b32_e64 v11, v11, 0, s[42:43]
	v_cndmask_b32_e64 v8, v12, 0, s[42:43]
	v_add_co_u32_e64 v4, s[42:43], v11, v4
	v_addc_co_u32_e64 v5, s[42:43], v8, v5, s[42:43]
	v_and_b32_e32 v8, 1, v10
	v_or_b32_e32 v7, v8, v7
	v_and_b32_e32 v8, 0xffff, v7
; %bb.206:
	s_or_b64 exec, exec, s[46:47]
	v_mov_b32_dpp v11, v4 row_shr:2 row_mask:0xf bank_mask:0xf
	v_mov_b32_dpp v12, v5 row_shr:2 row_mask:0xf bank_mask:0xf
	v_mov_b32_dpp v10, v8 row_shr:2 row_mask:0xf bank_mask:0xf
	v_cmp_lt_u32_e64 s[42:43], 1, v9
	s_and_saveexec_b64 s[46:47], s[42:43]
	s_cbranch_execz .LBB1493_208
; %bb.207:
	v_cmp_eq_u16_e64 s[42:43], 0, v7
	v_cndmask_b32_e64 v11, 0, v11, s[42:43]
	v_cndmask_b32_e64 v8, 0, v12, s[42:43]
	v_add_co_u32_e64 v4, s[42:43], v11, v4
	v_addc_co_u32_e64 v5, s[42:43], v8, v5, s[42:43]
	v_and_b32_e32 v7, 1, v7
	v_cmp_eq_u32_e64 s[42:43], 1, v7
	v_and_b32_e32 v7, 1, v10
	v_cmp_eq_u32_e64 s[44:45], 1, v7
	s_or_b64 s[42:43], s[42:43], s[44:45]
	v_cndmask_b32_e64 v7, 0, 1, s[42:43]
	v_cndmask_b32_e64 v8, 0, 1, s[42:43]
.LBB1493_208:
	s_or_b64 exec, exec, s[46:47]
	v_mov_b32_dpp v11, v4 row_shr:4 row_mask:0xf bank_mask:0xf
	v_mov_b32_dpp v12, v5 row_shr:4 row_mask:0xf bank_mask:0xf
	v_mov_b32_dpp v10, v8 row_shr:4 row_mask:0xf bank_mask:0xf
	v_cmp_lt_u32_e64 s[42:43], 3, v9
	s_and_saveexec_b64 s[46:47], s[42:43]
	s_cbranch_execz .LBB1493_210
; %bb.209:
	v_cmp_eq_u16_e64 s[42:43], 0, v7
	v_cndmask_b32_e64 v11, 0, v11, s[42:43]
	v_cndmask_b32_e64 v8, 0, v12, s[42:43]
	v_add_co_u32_e64 v4, s[42:43], v11, v4
	v_addc_co_u32_e64 v5, s[42:43], v8, v5, s[42:43]
	v_and_b32_e32 v7, 1, v7
	v_cmp_eq_u32_e64 s[42:43], 1, v7
	v_and_b32_e32 v7, 1, v10
	v_cmp_eq_u32_e64 s[44:45], 1, v7
	s_or_b64 s[42:43], s[42:43], s[44:45]
	v_cndmask_b32_e64 v7, 0, 1, s[42:43]
	v_cndmask_b32_e64 v8, 0, 1, s[42:43]
.LBB1493_210:
	s_or_b64 exec, exec, s[46:47]
	v_mov_b32_dpp v11, v4 row_shr:8 row_mask:0xf bank_mask:0xf
	v_mov_b32_dpp v12, v5 row_shr:8 row_mask:0xf bank_mask:0xf
	v_mov_b32_dpp v10, v8 row_shr:8 row_mask:0xf bank_mask:0xf
	v_cmp_lt_u32_e64 s[42:43], 7, v9
	s_and_saveexec_b64 s[46:47], s[42:43]
	s_cbranch_execz .LBB1493_212
; %bb.211:
	v_cmp_eq_u16_e64 s[42:43], 0, v7
	v_cndmask_b32_e64 v9, 0, v11, s[42:43]
	v_cndmask_b32_e64 v8, 0, v12, s[42:43]
	v_add_co_u32_e64 v4, s[42:43], v9, v4
	v_addc_co_u32_e64 v5, s[42:43], v8, v5, s[42:43]
	v_and_b32_e32 v7, 1, v7
	v_cmp_eq_u32_e64 s[42:43], 1, v7
	v_and_b32_e32 v7, 1, v10
	v_cmp_eq_u32_e64 s[44:45], 1, v7
	s_or_b64 s[42:43], s[42:43], s[44:45]
	v_cndmask_b32_e64 v7, 0, 1, s[42:43]
	v_cndmask_b32_e64 v8, 0, 1, s[42:43]
.LBB1493_212:
	s_or_b64 exec, exec, s[46:47]
	v_and_b32_e32 v12, 16, v6
	v_mov_b32_dpp v10, v4 row_bcast:15 row_mask:0xf bank_mask:0xf
	v_mov_b32_dpp v11, v5 row_bcast:15 row_mask:0xf bank_mask:0xf
	;; [unrolled: 1-line block ×3, first 2 shown]
	v_cmp_ne_u32_e64 s[42:43], 0, v12
	s_and_saveexec_b64 s[46:47], s[42:43]
	s_cbranch_execz .LBB1493_214
; %bb.213:
	v_cmp_eq_u16_e64 s[42:43], 0, v7
	v_cndmask_b32_e64 v10, 0, v10, s[42:43]
	v_cndmask_b32_e64 v8, 0, v11, s[42:43]
	v_add_co_u32_e64 v4, s[42:43], v10, v4
	v_addc_co_u32_e64 v5, s[42:43], v8, v5, s[42:43]
	v_and_b32_e32 v7, 1, v7
	v_cmp_eq_u32_e64 s[42:43], 1, v7
	v_and_b32_e32 v7, 1, v9
	v_cmp_eq_u32_e64 s[44:45], 1, v7
	s_or_b64 s[42:43], s[42:43], s[44:45]
	v_cndmask_b32_e64 v7, 0, 1, s[42:43]
	v_cndmask_b32_e64 v8, 0, 1, s[42:43]
.LBB1493_214:
	s_or_b64 exec, exec, s[46:47]
	v_mov_b32_dpp v9, v4 row_bcast:31 row_mask:0xf bank_mask:0xf
	v_mov_b32_dpp v10, v5 row_bcast:31 row_mask:0xf bank_mask:0xf
	;; [unrolled: 1-line block ×3, first 2 shown]
	v_cmp_lt_u32_e64 s[42:43], 31, v6
	s_and_saveexec_b64 s[46:47], s[42:43]
; %bb.215:
	v_cmp_eq_u16_e64 s[42:43], 0, v7
	v_cndmask_b32_e64 v9, 0, v9, s[42:43]
	v_cndmask_b32_e64 v10, 0, v10, s[42:43]
	v_add_co_u32_e64 v4, s[42:43], v9, v4
	v_addc_co_u32_e64 v5, s[42:43], v10, v5, s[42:43]
	v_and_b32_e32 v7, 1, v7
	v_cmp_eq_u32_e64 s[42:43], 1, v7
	v_and_b32_e32 v7, 1, v8
	v_cmp_eq_u32_e64 s[44:45], 1, v7
	s_or_b64 s[42:43], s[42:43], s[44:45]
	v_cndmask_b32_e64 v7, 0, 1, s[42:43]
; %bb.216:
	s_or_b64 exec, exec, s[46:47]
	v_cmp_eq_u32_e64 s[42:43], 63, v0
	s_and_saveexec_b64 s[44:45], s[42:43]
	s_cbranch_execz .LBB1493_218
; %bb.217:
	v_mov_b32_e32 v8, 0
	ds_write_b64 v8, v[4:5]
	ds_write_b8 v8, v7 offset:8
.LBB1493_218:
	s_or_b64 exec, exec, s[44:45]
	v_cmp_eq_u16_e64 s[42:43], 0, v7
	s_waitcnt vmcnt(0)
	v_cndmask_b32_e64 v8, 0, v2, s[42:43]
	v_cndmask_b32_e64 v7, 0, v3, s[42:43]
	v_add_co_u32_e64 v4, s[42:43], v8, v4
	v_addc_co_u32_e64 v5, s[42:43], v7, v5, s[42:43]
	v_add_u32_e32 v7, -1, v6
	v_and_b32_e32 v8, 64, v6
	v_cmp_lt_i32_e64 s[42:43], v7, v8
	v_cndmask_b32_e64 v7, v7, v6, s[42:43]
	v_lshlrev_b32_e32 v7, 2, v7
	ds_bpermute_b32 v5, v7, v5
	ds_bpermute_b32 v4, v7, v4
	v_cmp_eq_u32_e64 s[42:43], 0, v6
	s_or_b64 s[42:43], s[0:1], s[42:43]
	v_mov_b32_e32 v8, 0
	s_waitcnt lgkmcnt(1)
	v_cndmask_b32_e64 v87, v5, v3, s[42:43]
	s_waitcnt lgkmcnt(0)
	v_cndmask_b32_e64 v86, v4, v2, s[42:43]
	v_cmp_eq_u16_sdwa s[42:43], v1, v8 src0_sel:BYTE_0 src1_sel:DWORD
	v_cndmask_b32_e64 v4, 0, v86, s[42:43]
	v_cndmask_b32_e64 v1, 0, v87, s[42:43]
	v_add_co_u32_e64 v4, s[42:43], v4, v44
	v_addc_co_u32_e64 v5, s[42:43], v1, v45, s[42:43]
	v_cndmask_b32_e64 v6, 0, v4, s[40:41]
	v_cndmask_b32_e64 v1, 0, v5, s[40:41]
	v_add_co_u32_e64 v6, s[40:41], v6, v48
	v_addc_co_u32_e64 v7, s[40:41], v1, v49, s[40:41]
	;; [unrolled: 4-line block ×19, first 2 shown]
	v_cndmask_b32_e32 v107, 0, v105, vcc
	v_cndmask_b32_e32 v106, 0, v104, vcc
	s_waitcnt lgkmcnt(0)
	; wave barrier
	s_and_saveexec_b64 s[4:5], s[0:1]
	s_cbranch_execz .LBB1493_220
; %bb.219:
	ds_read_u8 v1, v8 offset:8
	ds_read_b64 v[12:13], v8
	v_pk_mov_b32 v[86:87], v[2:3], v[2:3] op_sel:[0,1]
	s_waitcnt lgkmcnt(1)
	v_cmp_eq_u16_e32 vcc, 0, v1
	v_cndmask_b32_e32 v16, 0, v2, vcc
	v_cndmask_b32_e32 v9, 0, v3, vcc
	s_waitcnt lgkmcnt(0)
	v_add_co_u32_e32 v12, vcc, v16, v12
	v_addc_co_u32_e32 v13, vcc, v9, v13, vcc
	global_store_dwordx2 v8, v[12:13], s[50:51] offset:1024
	global_store_byte v8, v1, s[50:51] offset:1032
	v_mov_b32_e32 v1, 2
	s_waitcnt vmcnt(0)
	buffer_wbinvl1_vol
	global_store_byte v8, v1, s[52:53] offset:64
.LBB1493_220:
	s_or_b64 exec, exec, s[4:5]
.LBB1493_221:
	s_add_u32 s0, s62, s56
	v_add_co_u32_e32 v2, vcc, v106, v46
	s_addc_u32 s1, s63, s57
	v_addc_co_u32_e32 v3, vcc, v107, v47, vcc
	v_mov_b32_e32 v1, s1
	v_add_co_u32_e32 v12, vcc, s0, v42
	v_addc_co_u32_e32 v13, vcc, v1, v43, vcc
	s_and_b64 vcc, exec, s[2:3]
	v_lshlrev_b32_e32 v16, 3, v0
	s_cbranch_vccz .LBB1493_263
; %bb.222:
	s_movk_i32 s0, 0xa8
	v_mul_i32_i24_e32 v20, 0xffffff60, v0
	v_mul_u32_u24_e32 v17, 0xa8, v0
	v_mad_u32_u24 v8, v0, s0, v20
	s_waitcnt lgkmcnt(0)
	; wave barrier
	ds_write2_b64 v17, v[86:87], v[4:5] offset1:1
	ds_write2_b64 v17, v[6:7], v[88:89] offset0:2 offset1:3
	ds_write2_b64 v17, v[10:11], v[90:91] offset0:4 offset1:5
	;; [unrolled: 1-line block ×9, first 2 shown]
	ds_write_b64 v17, v[2:3] offset:160
	s_waitcnt lgkmcnt(0)
	; wave barrier
	s_waitcnt lgkmcnt(0)
	ds_read2st64_b64 v[76:79], v8 offset0:1 offset1:2
	ds_read2st64_b64 v[72:75], v8 offset0:3 offset1:4
	;; [unrolled: 1-line block ×10, first 2 shown]
	v_add_co_u32_e32 v8, vcc, v12, v16
	s_add_i32 s33, s33, s54
	v_addc_co_u32_e32 v9, vcc, 0, v13, vcc
	v_mov_b32_e32 v1, 0
	v_cmp_gt_u32_e32 vcc, s33, v0
	s_and_saveexec_b64 s[0:1], vcc
	s_cbranch_execz .LBB1493_224
; %bb.223:
	v_add_u32_e32 v17, v17, v20
	ds_read_b64 v[20:21], v17
	s_waitcnt lgkmcnt(0)
	flat_store_dwordx2 v[8:9], v[20:21]
.LBB1493_224:
	s_or_b64 exec, exec, s[0:1]
	v_or_b32_e32 v17, 64, v0
	v_cmp_gt_u32_e32 vcc, s33, v17
	s_and_saveexec_b64 s[0:1], vcc
	s_cbranch_execz .LBB1493_226
; %bb.225:
	s_waitcnt lgkmcnt(0)
	flat_store_dwordx2 v[8:9], v[76:77] offset:512
.LBB1493_226:
	s_or_b64 exec, exec, s[0:1]
	v_or_b32_e32 v17, 0x80, v0
	v_cmp_gt_u32_e32 vcc, s33, v17
	s_and_saveexec_b64 s[0:1], vcc
	s_cbranch_execz .LBB1493_228
; %bb.227:
	s_waitcnt lgkmcnt(0)
	flat_store_dwordx2 v[8:9], v[78:79] offset:1024
.LBB1493_228:
	;; [unrolled: 9-line block ×7, first 2 shown]
	s_or_b64 exec, exec, s[0:1]
	v_or_b32_e32 v17, 0x200, v0
	v_cmp_gt_u32_e32 vcc, s33, v17
	s_and_saveexec_b64 s[0:1], vcc
	s_cbranch_execz .LBB1493_240
; %bb.239:
	v_add_co_u32_e32 v20, vcc, 0x1000, v8
	v_addc_co_u32_e32 v21, vcc, 0, v9, vcc
	s_waitcnt lgkmcnt(0)
	flat_store_dwordx2 v[20:21], v[66:67]
.LBB1493_240:
	s_or_b64 exec, exec, s[0:1]
	v_or_b32_e32 v17, 0x240, v0
	v_cmp_gt_u32_e32 vcc, s33, v17
	s_and_saveexec_b64 s[0:1], vcc
	s_cbranch_execz .LBB1493_242
; %bb.241:
	v_add_co_u32_e32 v20, vcc, 0x1000, v8
	v_addc_co_u32_e32 v21, vcc, 0, v9, vcc
	s_waitcnt lgkmcnt(0)
	flat_store_dwordx2 v[20:21], v[60:61] offset:512
.LBB1493_242:
	s_or_b64 exec, exec, s[0:1]
	v_or_b32_e32 v17, 0x280, v0
	v_cmp_gt_u32_e32 vcc, s33, v17
	s_and_saveexec_b64 s[0:1], vcc
	s_cbranch_execz .LBB1493_244
; %bb.243:
	v_add_co_u32_e32 v20, vcc, 0x1000, v8
	v_addc_co_u32_e32 v21, vcc, 0, v9, vcc
	s_waitcnt lgkmcnt(0)
	flat_store_dwordx2 v[20:21], v[62:63] offset:1024
.LBB1493_244:
	;; [unrolled: 11-line block ×7, first 2 shown]
	s_or_b64 exec, exec, s[0:1]
	v_or_b32_e32 v17, 0x400, v0
	v_cmp_gt_u32_e32 vcc, s33, v17
	s_and_saveexec_b64 s[0:1], vcc
	s_cbranch_execz .LBB1493_256
; %bb.255:
	v_add_co_u32_e32 v20, vcc, 0x2000, v8
	v_addc_co_u32_e32 v21, vcc, 0, v9, vcc
	s_waitcnt lgkmcnt(0)
	flat_store_dwordx2 v[20:21], v[50:51]
.LBB1493_256:
	s_or_b64 exec, exec, s[0:1]
	v_or_b32_e32 v17, 0x440, v0
	v_cmp_gt_u32_e32 vcc, s33, v17
	s_and_saveexec_b64 s[0:1], vcc
	s_cbranch_execz .LBB1493_258
; %bb.257:
	v_add_co_u32_e32 v20, vcc, 0x2000, v8
	v_addc_co_u32_e32 v21, vcc, 0, v9, vcc
	s_waitcnt lgkmcnt(0)
	flat_store_dwordx2 v[20:21], v[44:45] offset:512
.LBB1493_258:
	s_or_b64 exec, exec, s[0:1]
	v_or_b32_e32 v17, 0x480, v0
	v_cmp_gt_u32_e32 vcc, s33, v17
	s_and_saveexec_b64 s[0:1], vcc
	s_cbranch_execz .LBB1493_260
; %bb.259:
	v_add_co_u32_e32 v20, vcc, 0x2000, v8
	v_addc_co_u32_e32 v21, vcc, 0, v9, vcc
	s_waitcnt lgkmcnt(0)
	flat_store_dwordx2 v[20:21], v[46:47] offset:1024
.LBB1493_260:
	;; [unrolled: 11-line block ×3, first 2 shown]
	s_or_b64 exec, exec, s[0:1]
	v_or_b32_e32 v8, 0x500, v0
	v_cmp_gt_u32_e64 s[0:1], s33, v8
	s_branch .LBB1493_265
.LBB1493_263:
	s_mov_b64 s[0:1], 0
                                        ; implicit-def: $vgpr42_vgpr43
	s_cbranch_execz .LBB1493_265
; %bb.264:
	v_mul_u32_u24_e32 v1, 0xa8, v0
	s_waitcnt lgkmcnt(0)
	; wave barrier
	s_waitcnt lgkmcnt(0)
	s_movk_i32 s2, 0xa8
	ds_write2_b64 v1, v[86:87], v[4:5] offset1:1
	ds_write2_b64 v1, v[6:7], v[88:89] offset0:2 offset1:3
	ds_write2_b64 v1, v[10:11], v[90:91] offset0:4 offset1:5
	;; [unrolled: 1-line block ×9, first 2 shown]
	ds_write_b64 v1, v[2:3] offset:160
	v_mul_i32_i24_e32 v2, 0xffffff60, v0
	v_mad_u32_u24 v10, v0, s2, v2
	s_waitcnt lgkmcnt(0)
	; wave barrier
	s_waitcnt lgkmcnt(0)
	ds_read2st64_b64 v[2:5], v10 offset1:1
	ds_read2st64_b64 v[6:9], v10 offset0:2 offset1:3
	ds_read2st64_b64 v[18:21], v10 offset0:4 offset1:5
	;; [unrolled: 1-line block ×9, first 2 shown]
	ds_read_b64 v[42:43], v10 offset:10240
	v_add_co_u32_e32 v10, vcc, v12, v16
	v_addc_co_u32_e32 v11, vcc, 0, v13, vcc
	s_movk_i32 s2, 0x1000
	s_waitcnt lgkmcnt(0)
	flat_store_dwordx2 v[10:11], v[2:3]
	flat_store_dwordx2 v[10:11], v[4:5] offset:512
	flat_store_dwordx2 v[10:11], v[6:7] offset:1024
	;; [unrolled: 1-line block ×7, first 2 shown]
	v_add_co_u32_e32 v2, vcc, s2, v10
	v_addc_co_u32_e32 v3, vcc, 0, v11, vcc
	flat_store_dwordx2 v[2:3], v[26:27]
	flat_store_dwordx2 v[2:3], v[28:29] offset:512
	flat_store_dwordx2 v[2:3], v[30:31] offset:1024
	;; [unrolled: 1-line block ×7, first 2 shown]
	v_add_co_u32_e32 v2, vcc, 0x2000, v10
	v_mov_b32_e32 v1, 0
	v_addc_co_u32_e32 v3, vcc, 0, v11, vcc
	s_or_b64 s[0:1], s[0:1], exec
	flat_store_dwordx2 v[2:3], v[44:45]
	flat_store_dwordx2 v[2:3], v[46:47] offset:512
	flat_store_dwordx2 v[2:3], v[48:49] offset:1024
	;; [unrolled: 1-line block ×3, first 2 shown]
.LBB1493_265:
	s_and_saveexec_b64 s[2:3], s[0:1]
	s_cbranch_execz .LBB1493_267
; %bb.266:
	v_lshlrev_b64 v[0:1], 3, v[0:1]
	v_add_co_u32_e32 v0, vcc, v12, v0
	v_addc_co_u32_e32 v1, vcc, v13, v1, vcc
	v_add_co_u32_e32 v0, vcc, 0x2000, v0
	v_addc_co_u32_e32 v1, vcc, 0, v1, vcc
	s_waitcnt lgkmcnt(0)
	flat_store_dwordx2 v[0:1], v[42:43] offset:2048
	s_endpgm
.LBB1493_267:
	s_endpgm
	.section	.rodata,"a",@progbits
	.p2align	6, 0x0
	.amdhsa_kernel _ZN7rocprim17ROCPRIM_400000_NS6detail17trampoline_kernelINS0_14default_configENS1_27scan_by_key_config_selectorIiyEEZZNS1_16scan_by_key_implILNS1_25lookback_scan_determinismE0ELb1ES3_N6thrust23THRUST_200600_302600_NS6detail15normal_iteratorINS9_10device_ptrIiEEEENSB_INSC_IyEEEESG_yNS9_4plusIvEENS9_8equal_toIvEEyEE10hipError_tPvRmT2_T3_T4_T5_mT6_T7_P12ihipStream_tbENKUlT_T0_E_clISt17integral_constantIbLb0EES10_IbLb1EEEEDaSW_SX_EUlSW_E_NS1_11comp_targetILNS1_3genE4ELNS1_11target_archE910ELNS1_3gpuE8ELNS1_3repE0EEENS1_30default_config_static_selectorELNS0_4arch9wavefront6targetE1EEEvT1_
		.amdhsa_group_segment_fixed_size 10752
		.amdhsa_private_segment_fixed_size 0
		.amdhsa_kernarg_size 136
		.amdhsa_user_sgpr_count 6
		.amdhsa_user_sgpr_private_segment_buffer 1
		.amdhsa_user_sgpr_dispatch_ptr 0
		.amdhsa_user_sgpr_queue_ptr 0
		.amdhsa_user_sgpr_kernarg_segment_ptr 1
		.amdhsa_user_sgpr_dispatch_id 0
		.amdhsa_user_sgpr_flat_scratch_init 0
		.amdhsa_user_sgpr_kernarg_preload_length 0
		.amdhsa_user_sgpr_kernarg_preload_offset 0
		.amdhsa_user_sgpr_private_segment_size 0
		.amdhsa_uses_dynamic_stack 0
		.amdhsa_system_sgpr_private_segment_wavefront_offset 0
		.amdhsa_system_sgpr_workgroup_id_x 1
		.amdhsa_system_sgpr_workgroup_id_y 0
		.amdhsa_system_sgpr_workgroup_id_z 0
		.amdhsa_system_sgpr_workgroup_info 0
		.amdhsa_system_vgpr_workitem_id 0
		.amdhsa_next_free_vgpr 130
		.amdhsa_next_free_sgpr 73
		.amdhsa_accum_offset 132
		.amdhsa_reserve_vcc 1
		.amdhsa_reserve_flat_scratch 0
		.amdhsa_float_round_mode_32 0
		.amdhsa_float_round_mode_16_64 0
		.amdhsa_float_denorm_mode_32 3
		.amdhsa_float_denorm_mode_16_64 3
		.amdhsa_dx10_clamp 1
		.amdhsa_ieee_mode 1
		.amdhsa_fp16_overflow 0
		.amdhsa_tg_split 0
		.amdhsa_exception_fp_ieee_invalid_op 0
		.amdhsa_exception_fp_denorm_src 0
		.amdhsa_exception_fp_ieee_div_zero 0
		.amdhsa_exception_fp_ieee_overflow 0
		.amdhsa_exception_fp_ieee_underflow 0
		.amdhsa_exception_fp_ieee_inexact 0
		.amdhsa_exception_int_div_zero 0
	.end_amdhsa_kernel
	.section	.text._ZN7rocprim17ROCPRIM_400000_NS6detail17trampoline_kernelINS0_14default_configENS1_27scan_by_key_config_selectorIiyEEZZNS1_16scan_by_key_implILNS1_25lookback_scan_determinismE0ELb1ES3_N6thrust23THRUST_200600_302600_NS6detail15normal_iteratorINS9_10device_ptrIiEEEENSB_INSC_IyEEEESG_yNS9_4plusIvEENS9_8equal_toIvEEyEE10hipError_tPvRmT2_T3_T4_T5_mT6_T7_P12ihipStream_tbENKUlT_T0_E_clISt17integral_constantIbLb0EES10_IbLb1EEEEDaSW_SX_EUlSW_E_NS1_11comp_targetILNS1_3genE4ELNS1_11target_archE910ELNS1_3gpuE8ELNS1_3repE0EEENS1_30default_config_static_selectorELNS0_4arch9wavefront6targetE1EEEvT1_,"axG",@progbits,_ZN7rocprim17ROCPRIM_400000_NS6detail17trampoline_kernelINS0_14default_configENS1_27scan_by_key_config_selectorIiyEEZZNS1_16scan_by_key_implILNS1_25lookback_scan_determinismE0ELb1ES3_N6thrust23THRUST_200600_302600_NS6detail15normal_iteratorINS9_10device_ptrIiEEEENSB_INSC_IyEEEESG_yNS9_4plusIvEENS9_8equal_toIvEEyEE10hipError_tPvRmT2_T3_T4_T5_mT6_T7_P12ihipStream_tbENKUlT_T0_E_clISt17integral_constantIbLb0EES10_IbLb1EEEEDaSW_SX_EUlSW_E_NS1_11comp_targetILNS1_3genE4ELNS1_11target_archE910ELNS1_3gpuE8ELNS1_3repE0EEENS1_30default_config_static_selectorELNS0_4arch9wavefront6targetE1EEEvT1_,comdat
.Lfunc_end1493:
	.size	_ZN7rocprim17ROCPRIM_400000_NS6detail17trampoline_kernelINS0_14default_configENS1_27scan_by_key_config_selectorIiyEEZZNS1_16scan_by_key_implILNS1_25lookback_scan_determinismE0ELb1ES3_N6thrust23THRUST_200600_302600_NS6detail15normal_iteratorINS9_10device_ptrIiEEEENSB_INSC_IyEEEESG_yNS9_4plusIvEENS9_8equal_toIvEEyEE10hipError_tPvRmT2_T3_T4_T5_mT6_T7_P12ihipStream_tbENKUlT_T0_E_clISt17integral_constantIbLb0EES10_IbLb1EEEEDaSW_SX_EUlSW_E_NS1_11comp_targetILNS1_3genE4ELNS1_11target_archE910ELNS1_3gpuE8ELNS1_3repE0EEENS1_30default_config_static_selectorELNS0_4arch9wavefront6targetE1EEEvT1_, .Lfunc_end1493-_ZN7rocprim17ROCPRIM_400000_NS6detail17trampoline_kernelINS0_14default_configENS1_27scan_by_key_config_selectorIiyEEZZNS1_16scan_by_key_implILNS1_25lookback_scan_determinismE0ELb1ES3_N6thrust23THRUST_200600_302600_NS6detail15normal_iteratorINS9_10device_ptrIiEEEENSB_INSC_IyEEEESG_yNS9_4plusIvEENS9_8equal_toIvEEyEE10hipError_tPvRmT2_T3_T4_T5_mT6_T7_P12ihipStream_tbENKUlT_T0_E_clISt17integral_constantIbLb0EES10_IbLb1EEEEDaSW_SX_EUlSW_E_NS1_11comp_targetILNS1_3genE4ELNS1_11target_archE910ELNS1_3gpuE8ELNS1_3repE0EEENS1_30default_config_static_selectorELNS0_4arch9wavefront6targetE1EEEvT1_
                                        ; -- End function
	.section	.AMDGPU.csdata,"",@progbits
; Kernel info:
; codeLenInByte = 16948
; NumSgprs: 77
; NumVgprs: 130
; NumAgprs: 0
; TotalNumVgprs: 130
; ScratchSize: 0
; MemoryBound: 0
; FloatMode: 240
; IeeeMode: 1
; LDSByteSize: 10752 bytes/workgroup (compile time only)
; SGPRBlocks: 9
; VGPRBlocks: 16
; NumSGPRsForWavesPerEU: 77
; NumVGPRsForWavesPerEU: 130
; AccumOffset: 132
; Occupancy: 2
; WaveLimiterHint : 1
; COMPUTE_PGM_RSRC2:SCRATCH_EN: 0
; COMPUTE_PGM_RSRC2:USER_SGPR: 6
; COMPUTE_PGM_RSRC2:TRAP_HANDLER: 0
; COMPUTE_PGM_RSRC2:TGID_X_EN: 1
; COMPUTE_PGM_RSRC2:TGID_Y_EN: 0
; COMPUTE_PGM_RSRC2:TGID_Z_EN: 0
; COMPUTE_PGM_RSRC2:TIDIG_COMP_CNT: 0
; COMPUTE_PGM_RSRC3_GFX90A:ACCUM_OFFSET: 32
; COMPUTE_PGM_RSRC3_GFX90A:TG_SPLIT: 0
	.section	.text._ZN7rocprim17ROCPRIM_400000_NS6detail17trampoline_kernelINS0_14default_configENS1_27scan_by_key_config_selectorIiyEEZZNS1_16scan_by_key_implILNS1_25lookback_scan_determinismE0ELb1ES3_N6thrust23THRUST_200600_302600_NS6detail15normal_iteratorINS9_10device_ptrIiEEEENSB_INSC_IyEEEESG_yNS9_4plusIvEENS9_8equal_toIvEEyEE10hipError_tPvRmT2_T3_T4_T5_mT6_T7_P12ihipStream_tbENKUlT_T0_E_clISt17integral_constantIbLb0EES10_IbLb1EEEEDaSW_SX_EUlSW_E_NS1_11comp_targetILNS1_3genE3ELNS1_11target_archE908ELNS1_3gpuE7ELNS1_3repE0EEENS1_30default_config_static_selectorELNS0_4arch9wavefront6targetE1EEEvT1_,"axG",@progbits,_ZN7rocprim17ROCPRIM_400000_NS6detail17trampoline_kernelINS0_14default_configENS1_27scan_by_key_config_selectorIiyEEZZNS1_16scan_by_key_implILNS1_25lookback_scan_determinismE0ELb1ES3_N6thrust23THRUST_200600_302600_NS6detail15normal_iteratorINS9_10device_ptrIiEEEENSB_INSC_IyEEEESG_yNS9_4plusIvEENS9_8equal_toIvEEyEE10hipError_tPvRmT2_T3_T4_T5_mT6_T7_P12ihipStream_tbENKUlT_T0_E_clISt17integral_constantIbLb0EES10_IbLb1EEEEDaSW_SX_EUlSW_E_NS1_11comp_targetILNS1_3genE3ELNS1_11target_archE908ELNS1_3gpuE7ELNS1_3repE0EEENS1_30default_config_static_selectorELNS0_4arch9wavefront6targetE1EEEvT1_,comdat
	.protected	_ZN7rocprim17ROCPRIM_400000_NS6detail17trampoline_kernelINS0_14default_configENS1_27scan_by_key_config_selectorIiyEEZZNS1_16scan_by_key_implILNS1_25lookback_scan_determinismE0ELb1ES3_N6thrust23THRUST_200600_302600_NS6detail15normal_iteratorINS9_10device_ptrIiEEEENSB_INSC_IyEEEESG_yNS9_4plusIvEENS9_8equal_toIvEEyEE10hipError_tPvRmT2_T3_T4_T5_mT6_T7_P12ihipStream_tbENKUlT_T0_E_clISt17integral_constantIbLb0EES10_IbLb1EEEEDaSW_SX_EUlSW_E_NS1_11comp_targetILNS1_3genE3ELNS1_11target_archE908ELNS1_3gpuE7ELNS1_3repE0EEENS1_30default_config_static_selectorELNS0_4arch9wavefront6targetE1EEEvT1_ ; -- Begin function _ZN7rocprim17ROCPRIM_400000_NS6detail17trampoline_kernelINS0_14default_configENS1_27scan_by_key_config_selectorIiyEEZZNS1_16scan_by_key_implILNS1_25lookback_scan_determinismE0ELb1ES3_N6thrust23THRUST_200600_302600_NS6detail15normal_iteratorINS9_10device_ptrIiEEEENSB_INSC_IyEEEESG_yNS9_4plusIvEENS9_8equal_toIvEEyEE10hipError_tPvRmT2_T3_T4_T5_mT6_T7_P12ihipStream_tbENKUlT_T0_E_clISt17integral_constantIbLb0EES10_IbLb1EEEEDaSW_SX_EUlSW_E_NS1_11comp_targetILNS1_3genE3ELNS1_11target_archE908ELNS1_3gpuE7ELNS1_3repE0EEENS1_30default_config_static_selectorELNS0_4arch9wavefront6targetE1EEEvT1_
	.globl	_ZN7rocprim17ROCPRIM_400000_NS6detail17trampoline_kernelINS0_14default_configENS1_27scan_by_key_config_selectorIiyEEZZNS1_16scan_by_key_implILNS1_25lookback_scan_determinismE0ELb1ES3_N6thrust23THRUST_200600_302600_NS6detail15normal_iteratorINS9_10device_ptrIiEEEENSB_INSC_IyEEEESG_yNS9_4plusIvEENS9_8equal_toIvEEyEE10hipError_tPvRmT2_T3_T4_T5_mT6_T7_P12ihipStream_tbENKUlT_T0_E_clISt17integral_constantIbLb0EES10_IbLb1EEEEDaSW_SX_EUlSW_E_NS1_11comp_targetILNS1_3genE3ELNS1_11target_archE908ELNS1_3gpuE7ELNS1_3repE0EEENS1_30default_config_static_selectorELNS0_4arch9wavefront6targetE1EEEvT1_
	.p2align	8
	.type	_ZN7rocprim17ROCPRIM_400000_NS6detail17trampoline_kernelINS0_14default_configENS1_27scan_by_key_config_selectorIiyEEZZNS1_16scan_by_key_implILNS1_25lookback_scan_determinismE0ELb1ES3_N6thrust23THRUST_200600_302600_NS6detail15normal_iteratorINS9_10device_ptrIiEEEENSB_INSC_IyEEEESG_yNS9_4plusIvEENS9_8equal_toIvEEyEE10hipError_tPvRmT2_T3_T4_T5_mT6_T7_P12ihipStream_tbENKUlT_T0_E_clISt17integral_constantIbLb0EES10_IbLb1EEEEDaSW_SX_EUlSW_E_NS1_11comp_targetILNS1_3genE3ELNS1_11target_archE908ELNS1_3gpuE7ELNS1_3repE0EEENS1_30default_config_static_selectorELNS0_4arch9wavefront6targetE1EEEvT1_,@function
_ZN7rocprim17ROCPRIM_400000_NS6detail17trampoline_kernelINS0_14default_configENS1_27scan_by_key_config_selectorIiyEEZZNS1_16scan_by_key_implILNS1_25lookback_scan_determinismE0ELb1ES3_N6thrust23THRUST_200600_302600_NS6detail15normal_iteratorINS9_10device_ptrIiEEEENSB_INSC_IyEEEESG_yNS9_4plusIvEENS9_8equal_toIvEEyEE10hipError_tPvRmT2_T3_T4_T5_mT6_T7_P12ihipStream_tbENKUlT_T0_E_clISt17integral_constantIbLb0EES10_IbLb1EEEEDaSW_SX_EUlSW_E_NS1_11comp_targetILNS1_3genE3ELNS1_11target_archE908ELNS1_3gpuE7ELNS1_3repE0EEENS1_30default_config_static_selectorELNS0_4arch9wavefront6targetE1EEEvT1_: ; @_ZN7rocprim17ROCPRIM_400000_NS6detail17trampoline_kernelINS0_14default_configENS1_27scan_by_key_config_selectorIiyEEZZNS1_16scan_by_key_implILNS1_25lookback_scan_determinismE0ELb1ES3_N6thrust23THRUST_200600_302600_NS6detail15normal_iteratorINS9_10device_ptrIiEEEENSB_INSC_IyEEEESG_yNS9_4plusIvEENS9_8equal_toIvEEyEE10hipError_tPvRmT2_T3_T4_T5_mT6_T7_P12ihipStream_tbENKUlT_T0_E_clISt17integral_constantIbLb0EES10_IbLb1EEEEDaSW_SX_EUlSW_E_NS1_11comp_targetILNS1_3genE3ELNS1_11target_archE908ELNS1_3gpuE7ELNS1_3repE0EEENS1_30default_config_static_selectorELNS0_4arch9wavefront6targetE1EEEvT1_
; %bb.0:
	.section	.rodata,"a",@progbits
	.p2align	6, 0x0
	.amdhsa_kernel _ZN7rocprim17ROCPRIM_400000_NS6detail17trampoline_kernelINS0_14default_configENS1_27scan_by_key_config_selectorIiyEEZZNS1_16scan_by_key_implILNS1_25lookback_scan_determinismE0ELb1ES3_N6thrust23THRUST_200600_302600_NS6detail15normal_iteratorINS9_10device_ptrIiEEEENSB_INSC_IyEEEESG_yNS9_4plusIvEENS9_8equal_toIvEEyEE10hipError_tPvRmT2_T3_T4_T5_mT6_T7_P12ihipStream_tbENKUlT_T0_E_clISt17integral_constantIbLb0EES10_IbLb1EEEEDaSW_SX_EUlSW_E_NS1_11comp_targetILNS1_3genE3ELNS1_11target_archE908ELNS1_3gpuE7ELNS1_3repE0EEENS1_30default_config_static_selectorELNS0_4arch9wavefront6targetE1EEEvT1_
		.amdhsa_group_segment_fixed_size 0
		.amdhsa_private_segment_fixed_size 0
		.amdhsa_kernarg_size 136
		.amdhsa_user_sgpr_count 6
		.amdhsa_user_sgpr_private_segment_buffer 1
		.amdhsa_user_sgpr_dispatch_ptr 0
		.amdhsa_user_sgpr_queue_ptr 0
		.amdhsa_user_sgpr_kernarg_segment_ptr 1
		.amdhsa_user_sgpr_dispatch_id 0
		.amdhsa_user_sgpr_flat_scratch_init 0
		.amdhsa_user_sgpr_kernarg_preload_length 0
		.amdhsa_user_sgpr_kernarg_preload_offset 0
		.amdhsa_user_sgpr_private_segment_size 0
		.amdhsa_uses_dynamic_stack 0
		.amdhsa_system_sgpr_private_segment_wavefront_offset 0
		.amdhsa_system_sgpr_workgroup_id_x 1
		.amdhsa_system_sgpr_workgroup_id_y 0
		.amdhsa_system_sgpr_workgroup_id_z 0
		.amdhsa_system_sgpr_workgroup_info 0
		.amdhsa_system_vgpr_workitem_id 0
		.amdhsa_next_free_vgpr 1
		.amdhsa_next_free_sgpr 0
		.amdhsa_accum_offset 4
		.amdhsa_reserve_vcc 0
		.amdhsa_reserve_flat_scratch 0
		.amdhsa_float_round_mode_32 0
		.amdhsa_float_round_mode_16_64 0
		.amdhsa_float_denorm_mode_32 3
		.amdhsa_float_denorm_mode_16_64 3
		.amdhsa_dx10_clamp 1
		.amdhsa_ieee_mode 1
		.amdhsa_fp16_overflow 0
		.amdhsa_tg_split 0
		.amdhsa_exception_fp_ieee_invalid_op 0
		.amdhsa_exception_fp_denorm_src 0
		.amdhsa_exception_fp_ieee_div_zero 0
		.amdhsa_exception_fp_ieee_overflow 0
		.amdhsa_exception_fp_ieee_underflow 0
		.amdhsa_exception_fp_ieee_inexact 0
		.amdhsa_exception_int_div_zero 0
	.end_amdhsa_kernel
	.section	.text._ZN7rocprim17ROCPRIM_400000_NS6detail17trampoline_kernelINS0_14default_configENS1_27scan_by_key_config_selectorIiyEEZZNS1_16scan_by_key_implILNS1_25lookback_scan_determinismE0ELb1ES3_N6thrust23THRUST_200600_302600_NS6detail15normal_iteratorINS9_10device_ptrIiEEEENSB_INSC_IyEEEESG_yNS9_4plusIvEENS9_8equal_toIvEEyEE10hipError_tPvRmT2_T3_T4_T5_mT6_T7_P12ihipStream_tbENKUlT_T0_E_clISt17integral_constantIbLb0EES10_IbLb1EEEEDaSW_SX_EUlSW_E_NS1_11comp_targetILNS1_3genE3ELNS1_11target_archE908ELNS1_3gpuE7ELNS1_3repE0EEENS1_30default_config_static_selectorELNS0_4arch9wavefront6targetE1EEEvT1_,"axG",@progbits,_ZN7rocprim17ROCPRIM_400000_NS6detail17trampoline_kernelINS0_14default_configENS1_27scan_by_key_config_selectorIiyEEZZNS1_16scan_by_key_implILNS1_25lookback_scan_determinismE0ELb1ES3_N6thrust23THRUST_200600_302600_NS6detail15normal_iteratorINS9_10device_ptrIiEEEENSB_INSC_IyEEEESG_yNS9_4plusIvEENS9_8equal_toIvEEyEE10hipError_tPvRmT2_T3_T4_T5_mT6_T7_P12ihipStream_tbENKUlT_T0_E_clISt17integral_constantIbLb0EES10_IbLb1EEEEDaSW_SX_EUlSW_E_NS1_11comp_targetILNS1_3genE3ELNS1_11target_archE908ELNS1_3gpuE7ELNS1_3repE0EEENS1_30default_config_static_selectorELNS0_4arch9wavefront6targetE1EEEvT1_,comdat
.Lfunc_end1494:
	.size	_ZN7rocprim17ROCPRIM_400000_NS6detail17trampoline_kernelINS0_14default_configENS1_27scan_by_key_config_selectorIiyEEZZNS1_16scan_by_key_implILNS1_25lookback_scan_determinismE0ELb1ES3_N6thrust23THRUST_200600_302600_NS6detail15normal_iteratorINS9_10device_ptrIiEEEENSB_INSC_IyEEEESG_yNS9_4plusIvEENS9_8equal_toIvEEyEE10hipError_tPvRmT2_T3_T4_T5_mT6_T7_P12ihipStream_tbENKUlT_T0_E_clISt17integral_constantIbLb0EES10_IbLb1EEEEDaSW_SX_EUlSW_E_NS1_11comp_targetILNS1_3genE3ELNS1_11target_archE908ELNS1_3gpuE7ELNS1_3repE0EEENS1_30default_config_static_selectorELNS0_4arch9wavefront6targetE1EEEvT1_, .Lfunc_end1494-_ZN7rocprim17ROCPRIM_400000_NS6detail17trampoline_kernelINS0_14default_configENS1_27scan_by_key_config_selectorIiyEEZZNS1_16scan_by_key_implILNS1_25lookback_scan_determinismE0ELb1ES3_N6thrust23THRUST_200600_302600_NS6detail15normal_iteratorINS9_10device_ptrIiEEEENSB_INSC_IyEEEESG_yNS9_4plusIvEENS9_8equal_toIvEEyEE10hipError_tPvRmT2_T3_T4_T5_mT6_T7_P12ihipStream_tbENKUlT_T0_E_clISt17integral_constantIbLb0EES10_IbLb1EEEEDaSW_SX_EUlSW_E_NS1_11comp_targetILNS1_3genE3ELNS1_11target_archE908ELNS1_3gpuE7ELNS1_3repE0EEENS1_30default_config_static_selectorELNS0_4arch9wavefront6targetE1EEEvT1_
                                        ; -- End function
	.section	.AMDGPU.csdata,"",@progbits
; Kernel info:
; codeLenInByte = 0
; NumSgprs: 4
; NumVgprs: 0
; NumAgprs: 0
; TotalNumVgprs: 0
; ScratchSize: 0
; MemoryBound: 0
; FloatMode: 240
; IeeeMode: 1
; LDSByteSize: 0 bytes/workgroup (compile time only)
; SGPRBlocks: 0
; VGPRBlocks: 0
; NumSGPRsForWavesPerEU: 4
; NumVGPRsForWavesPerEU: 1
; AccumOffset: 4
; Occupancy: 8
; WaveLimiterHint : 0
; COMPUTE_PGM_RSRC2:SCRATCH_EN: 0
; COMPUTE_PGM_RSRC2:USER_SGPR: 6
; COMPUTE_PGM_RSRC2:TRAP_HANDLER: 0
; COMPUTE_PGM_RSRC2:TGID_X_EN: 1
; COMPUTE_PGM_RSRC2:TGID_Y_EN: 0
; COMPUTE_PGM_RSRC2:TGID_Z_EN: 0
; COMPUTE_PGM_RSRC2:TIDIG_COMP_CNT: 0
; COMPUTE_PGM_RSRC3_GFX90A:ACCUM_OFFSET: 0
; COMPUTE_PGM_RSRC3_GFX90A:TG_SPLIT: 0
	.section	.text._ZN7rocprim17ROCPRIM_400000_NS6detail17trampoline_kernelINS0_14default_configENS1_27scan_by_key_config_selectorIiyEEZZNS1_16scan_by_key_implILNS1_25lookback_scan_determinismE0ELb1ES3_N6thrust23THRUST_200600_302600_NS6detail15normal_iteratorINS9_10device_ptrIiEEEENSB_INSC_IyEEEESG_yNS9_4plusIvEENS9_8equal_toIvEEyEE10hipError_tPvRmT2_T3_T4_T5_mT6_T7_P12ihipStream_tbENKUlT_T0_E_clISt17integral_constantIbLb0EES10_IbLb1EEEEDaSW_SX_EUlSW_E_NS1_11comp_targetILNS1_3genE2ELNS1_11target_archE906ELNS1_3gpuE6ELNS1_3repE0EEENS1_30default_config_static_selectorELNS0_4arch9wavefront6targetE1EEEvT1_,"axG",@progbits,_ZN7rocprim17ROCPRIM_400000_NS6detail17trampoline_kernelINS0_14default_configENS1_27scan_by_key_config_selectorIiyEEZZNS1_16scan_by_key_implILNS1_25lookback_scan_determinismE0ELb1ES3_N6thrust23THRUST_200600_302600_NS6detail15normal_iteratorINS9_10device_ptrIiEEEENSB_INSC_IyEEEESG_yNS9_4plusIvEENS9_8equal_toIvEEyEE10hipError_tPvRmT2_T3_T4_T5_mT6_T7_P12ihipStream_tbENKUlT_T0_E_clISt17integral_constantIbLb0EES10_IbLb1EEEEDaSW_SX_EUlSW_E_NS1_11comp_targetILNS1_3genE2ELNS1_11target_archE906ELNS1_3gpuE6ELNS1_3repE0EEENS1_30default_config_static_selectorELNS0_4arch9wavefront6targetE1EEEvT1_,comdat
	.protected	_ZN7rocprim17ROCPRIM_400000_NS6detail17trampoline_kernelINS0_14default_configENS1_27scan_by_key_config_selectorIiyEEZZNS1_16scan_by_key_implILNS1_25lookback_scan_determinismE0ELb1ES3_N6thrust23THRUST_200600_302600_NS6detail15normal_iteratorINS9_10device_ptrIiEEEENSB_INSC_IyEEEESG_yNS9_4plusIvEENS9_8equal_toIvEEyEE10hipError_tPvRmT2_T3_T4_T5_mT6_T7_P12ihipStream_tbENKUlT_T0_E_clISt17integral_constantIbLb0EES10_IbLb1EEEEDaSW_SX_EUlSW_E_NS1_11comp_targetILNS1_3genE2ELNS1_11target_archE906ELNS1_3gpuE6ELNS1_3repE0EEENS1_30default_config_static_selectorELNS0_4arch9wavefront6targetE1EEEvT1_ ; -- Begin function _ZN7rocprim17ROCPRIM_400000_NS6detail17trampoline_kernelINS0_14default_configENS1_27scan_by_key_config_selectorIiyEEZZNS1_16scan_by_key_implILNS1_25lookback_scan_determinismE0ELb1ES3_N6thrust23THRUST_200600_302600_NS6detail15normal_iteratorINS9_10device_ptrIiEEEENSB_INSC_IyEEEESG_yNS9_4plusIvEENS9_8equal_toIvEEyEE10hipError_tPvRmT2_T3_T4_T5_mT6_T7_P12ihipStream_tbENKUlT_T0_E_clISt17integral_constantIbLb0EES10_IbLb1EEEEDaSW_SX_EUlSW_E_NS1_11comp_targetILNS1_3genE2ELNS1_11target_archE906ELNS1_3gpuE6ELNS1_3repE0EEENS1_30default_config_static_selectorELNS0_4arch9wavefront6targetE1EEEvT1_
	.globl	_ZN7rocprim17ROCPRIM_400000_NS6detail17trampoline_kernelINS0_14default_configENS1_27scan_by_key_config_selectorIiyEEZZNS1_16scan_by_key_implILNS1_25lookback_scan_determinismE0ELb1ES3_N6thrust23THRUST_200600_302600_NS6detail15normal_iteratorINS9_10device_ptrIiEEEENSB_INSC_IyEEEESG_yNS9_4plusIvEENS9_8equal_toIvEEyEE10hipError_tPvRmT2_T3_T4_T5_mT6_T7_P12ihipStream_tbENKUlT_T0_E_clISt17integral_constantIbLb0EES10_IbLb1EEEEDaSW_SX_EUlSW_E_NS1_11comp_targetILNS1_3genE2ELNS1_11target_archE906ELNS1_3gpuE6ELNS1_3repE0EEENS1_30default_config_static_selectorELNS0_4arch9wavefront6targetE1EEEvT1_
	.p2align	8
	.type	_ZN7rocprim17ROCPRIM_400000_NS6detail17trampoline_kernelINS0_14default_configENS1_27scan_by_key_config_selectorIiyEEZZNS1_16scan_by_key_implILNS1_25lookback_scan_determinismE0ELb1ES3_N6thrust23THRUST_200600_302600_NS6detail15normal_iteratorINS9_10device_ptrIiEEEENSB_INSC_IyEEEESG_yNS9_4plusIvEENS9_8equal_toIvEEyEE10hipError_tPvRmT2_T3_T4_T5_mT6_T7_P12ihipStream_tbENKUlT_T0_E_clISt17integral_constantIbLb0EES10_IbLb1EEEEDaSW_SX_EUlSW_E_NS1_11comp_targetILNS1_3genE2ELNS1_11target_archE906ELNS1_3gpuE6ELNS1_3repE0EEENS1_30default_config_static_selectorELNS0_4arch9wavefront6targetE1EEEvT1_,@function
_ZN7rocprim17ROCPRIM_400000_NS6detail17trampoline_kernelINS0_14default_configENS1_27scan_by_key_config_selectorIiyEEZZNS1_16scan_by_key_implILNS1_25lookback_scan_determinismE0ELb1ES3_N6thrust23THRUST_200600_302600_NS6detail15normal_iteratorINS9_10device_ptrIiEEEENSB_INSC_IyEEEESG_yNS9_4plusIvEENS9_8equal_toIvEEyEE10hipError_tPvRmT2_T3_T4_T5_mT6_T7_P12ihipStream_tbENKUlT_T0_E_clISt17integral_constantIbLb0EES10_IbLb1EEEEDaSW_SX_EUlSW_E_NS1_11comp_targetILNS1_3genE2ELNS1_11target_archE906ELNS1_3gpuE6ELNS1_3repE0EEENS1_30default_config_static_selectorELNS0_4arch9wavefront6targetE1EEEvT1_: ; @_ZN7rocprim17ROCPRIM_400000_NS6detail17trampoline_kernelINS0_14default_configENS1_27scan_by_key_config_selectorIiyEEZZNS1_16scan_by_key_implILNS1_25lookback_scan_determinismE0ELb1ES3_N6thrust23THRUST_200600_302600_NS6detail15normal_iteratorINS9_10device_ptrIiEEEENSB_INSC_IyEEEESG_yNS9_4plusIvEENS9_8equal_toIvEEyEE10hipError_tPvRmT2_T3_T4_T5_mT6_T7_P12ihipStream_tbENKUlT_T0_E_clISt17integral_constantIbLb0EES10_IbLb1EEEEDaSW_SX_EUlSW_E_NS1_11comp_targetILNS1_3genE2ELNS1_11target_archE906ELNS1_3gpuE6ELNS1_3repE0EEENS1_30default_config_static_selectorELNS0_4arch9wavefront6targetE1EEEvT1_
; %bb.0:
	.section	.rodata,"a",@progbits
	.p2align	6, 0x0
	.amdhsa_kernel _ZN7rocprim17ROCPRIM_400000_NS6detail17trampoline_kernelINS0_14default_configENS1_27scan_by_key_config_selectorIiyEEZZNS1_16scan_by_key_implILNS1_25lookback_scan_determinismE0ELb1ES3_N6thrust23THRUST_200600_302600_NS6detail15normal_iteratorINS9_10device_ptrIiEEEENSB_INSC_IyEEEESG_yNS9_4plusIvEENS9_8equal_toIvEEyEE10hipError_tPvRmT2_T3_T4_T5_mT6_T7_P12ihipStream_tbENKUlT_T0_E_clISt17integral_constantIbLb0EES10_IbLb1EEEEDaSW_SX_EUlSW_E_NS1_11comp_targetILNS1_3genE2ELNS1_11target_archE906ELNS1_3gpuE6ELNS1_3repE0EEENS1_30default_config_static_selectorELNS0_4arch9wavefront6targetE1EEEvT1_
		.amdhsa_group_segment_fixed_size 0
		.amdhsa_private_segment_fixed_size 0
		.amdhsa_kernarg_size 136
		.amdhsa_user_sgpr_count 6
		.amdhsa_user_sgpr_private_segment_buffer 1
		.amdhsa_user_sgpr_dispatch_ptr 0
		.amdhsa_user_sgpr_queue_ptr 0
		.amdhsa_user_sgpr_kernarg_segment_ptr 1
		.amdhsa_user_sgpr_dispatch_id 0
		.amdhsa_user_sgpr_flat_scratch_init 0
		.amdhsa_user_sgpr_kernarg_preload_length 0
		.amdhsa_user_sgpr_kernarg_preload_offset 0
		.amdhsa_user_sgpr_private_segment_size 0
		.amdhsa_uses_dynamic_stack 0
		.amdhsa_system_sgpr_private_segment_wavefront_offset 0
		.amdhsa_system_sgpr_workgroup_id_x 1
		.amdhsa_system_sgpr_workgroup_id_y 0
		.amdhsa_system_sgpr_workgroup_id_z 0
		.amdhsa_system_sgpr_workgroup_info 0
		.amdhsa_system_vgpr_workitem_id 0
		.amdhsa_next_free_vgpr 1
		.amdhsa_next_free_sgpr 0
		.amdhsa_accum_offset 4
		.amdhsa_reserve_vcc 0
		.amdhsa_reserve_flat_scratch 0
		.amdhsa_float_round_mode_32 0
		.amdhsa_float_round_mode_16_64 0
		.amdhsa_float_denorm_mode_32 3
		.amdhsa_float_denorm_mode_16_64 3
		.amdhsa_dx10_clamp 1
		.amdhsa_ieee_mode 1
		.amdhsa_fp16_overflow 0
		.amdhsa_tg_split 0
		.amdhsa_exception_fp_ieee_invalid_op 0
		.amdhsa_exception_fp_denorm_src 0
		.amdhsa_exception_fp_ieee_div_zero 0
		.amdhsa_exception_fp_ieee_overflow 0
		.amdhsa_exception_fp_ieee_underflow 0
		.amdhsa_exception_fp_ieee_inexact 0
		.amdhsa_exception_int_div_zero 0
	.end_amdhsa_kernel
	.section	.text._ZN7rocprim17ROCPRIM_400000_NS6detail17trampoline_kernelINS0_14default_configENS1_27scan_by_key_config_selectorIiyEEZZNS1_16scan_by_key_implILNS1_25lookback_scan_determinismE0ELb1ES3_N6thrust23THRUST_200600_302600_NS6detail15normal_iteratorINS9_10device_ptrIiEEEENSB_INSC_IyEEEESG_yNS9_4plusIvEENS9_8equal_toIvEEyEE10hipError_tPvRmT2_T3_T4_T5_mT6_T7_P12ihipStream_tbENKUlT_T0_E_clISt17integral_constantIbLb0EES10_IbLb1EEEEDaSW_SX_EUlSW_E_NS1_11comp_targetILNS1_3genE2ELNS1_11target_archE906ELNS1_3gpuE6ELNS1_3repE0EEENS1_30default_config_static_selectorELNS0_4arch9wavefront6targetE1EEEvT1_,"axG",@progbits,_ZN7rocprim17ROCPRIM_400000_NS6detail17trampoline_kernelINS0_14default_configENS1_27scan_by_key_config_selectorIiyEEZZNS1_16scan_by_key_implILNS1_25lookback_scan_determinismE0ELb1ES3_N6thrust23THRUST_200600_302600_NS6detail15normal_iteratorINS9_10device_ptrIiEEEENSB_INSC_IyEEEESG_yNS9_4plusIvEENS9_8equal_toIvEEyEE10hipError_tPvRmT2_T3_T4_T5_mT6_T7_P12ihipStream_tbENKUlT_T0_E_clISt17integral_constantIbLb0EES10_IbLb1EEEEDaSW_SX_EUlSW_E_NS1_11comp_targetILNS1_3genE2ELNS1_11target_archE906ELNS1_3gpuE6ELNS1_3repE0EEENS1_30default_config_static_selectorELNS0_4arch9wavefront6targetE1EEEvT1_,comdat
.Lfunc_end1495:
	.size	_ZN7rocprim17ROCPRIM_400000_NS6detail17trampoline_kernelINS0_14default_configENS1_27scan_by_key_config_selectorIiyEEZZNS1_16scan_by_key_implILNS1_25lookback_scan_determinismE0ELb1ES3_N6thrust23THRUST_200600_302600_NS6detail15normal_iteratorINS9_10device_ptrIiEEEENSB_INSC_IyEEEESG_yNS9_4plusIvEENS9_8equal_toIvEEyEE10hipError_tPvRmT2_T3_T4_T5_mT6_T7_P12ihipStream_tbENKUlT_T0_E_clISt17integral_constantIbLb0EES10_IbLb1EEEEDaSW_SX_EUlSW_E_NS1_11comp_targetILNS1_3genE2ELNS1_11target_archE906ELNS1_3gpuE6ELNS1_3repE0EEENS1_30default_config_static_selectorELNS0_4arch9wavefront6targetE1EEEvT1_, .Lfunc_end1495-_ZN7rocprim17ROCPRIM_400000_NS6detail17trampoline_kernelINS0_14default_configENS1_27scan_by_key_config_selectorIiyEEZZNS1_16scan_by_key_implILNS1_25lookback_scan_determinismE0ELb1ES3_N6thrust23THRUST_200600_302600_NS6detail15normal_iteratorINS9_10device_ptrIiEEEENSB_INSC_IyEEEESG_yNS9_4plusIvEENS9_8equal_toIvEEyEE10hipError_tPvRmT2_T3_T4_T5_mT6_T7_P12ihipStream_tbENKUlT_T0_E_clISt17integral_constantIbLb0EES10_IbLb1EEEEDaSW_SX_EUlSW_E_NS1_11comp_targetILNS1_3genE2ELNS1_11target_archE906ELNS1_3gpuE6ELNS1_3repE0EEENS1_30default_config_static_selectorELNS0_4arch9wavefront6targetE1EEEvT1_
                                        ; -- End function
	.section	.AMDGPU.csdata,"",@progbits
; Kernel info:
; codeLenInByte = 0
; NumSgprs: 4
; NumVgprs: 0
; NumAgprs: 0
; TotalNumVgprs: 0
; ScratchSize: 0
; MemoryBound: 0
; FloatMode: 240
; IeeeMode: 1
; LDSByteSize: 0 bytes/workgroup (compile time only)
; SGPRBlocks: 0
; VGPRBlocks: 0
; NumSGPRsForWavesPerEU: 4
; NumVGPRsForWavesPerEU: 1
; AccumOffset: 4
; Occupancy: 8
; WaveLimiterHint : 0
; COMPUTE_PGM_RSRC2:SCRATCH_EN: 0
; COMPUTE_PGM_RSRC2:USER_SGPR: 6
; COMPUTE_PGM_RSRC2:TRAP_HANDLER: 0
; COMPUTE_PGM_RSRC2:TGID_X_EN: 1
; COMPUTE_PGM_RSRC2:TGID_Y_EN: 0
; COMPUTE_PGM_RSRC2:TGID_Z_EN: 0
; COMPUTE_PGM_RSRC2:TIDIG_COMP_CNT: 0
; COMPUTE_PGM_RSRC3_GFX90A:ACCUM_OFFSET: 0
; COMPUTE_PGM_RSRC3_GFX90A:TG_SPLIT: 0
	.section	.text._ZN7rocprim17ROCPRIM_400000_NS6detail17trampoline_kernelINS0_14default_configENS1_27scan_by_key_config_selectorIiyEEZZNS1_16scan_by_key_implILNS1_25lookback_scan_determinismE0ELb1ES3_N6thrust23THRUST_200600_302600_NS6detail15normal_iteratorINS9_10device_ptrIiEEEENSB_INSC_IyEEEESG_yNS9_4plusIvEENS9_8equal_toIvEEyEE10hipError_tPvRmT2_T3_T4_T5_mT6_T7_P12ihipStream_tbENKUlT_T0_E_clISt17integral_constantIbLb0EES10_IbLb1EEEEDaSW_SX_EUlSW_E_NS1_11comp_targetILNS1_3genE10ELNS1_11target_archE1200ELNS1_3gpuE4ELNS1_3repE0EEENS1_30default_config_static_selectorELNS0_4arch9wavefront6targetE1EEEvT1_,"axG",@progbits,_ZN7rocprim17ROCPRIM_400000_NS6detail17trampoline_kernelINS0_14default_configENS1_27scan_by_key_config_selectorIiyEEZZNS1_16scan_by_key_implILNS1_25lookback_scan_determinismE0ELb1ES3_N6thrust23THRUST_200600_302600_NS6detail15normal_iteratorINS9_10device_ptrIiEEEENSB_INSC_IyEEEESG_yNS9_4plusIvEENS9_8equal_toIvEEyEE10hipError_tPvRmT2_T3_T4_T5_mT6_T7_P12ihipStream_tbENKUlT_T0_E_clISt17integral_constantIbLb0EES10_IbLb1EEEEDaSW_SX_EUlSW_E_NS1_11comp_targetILNS1_3genE10ELNS1_11target_archE1200ELNS1_3gpuE4ELNS1_3repE0EEENS1_30default_config_static_selectorELNS0_4arch9wavefront6targetE1EEEvT1_,comdat
	.protected	_ZN7rocprim17ROCPRIM_400000_NS6detail17trampoline_kernelINS0_14default_configENS1_27scan_by_key_config_selectorIiyEEZZNS1_16scan_by_key_implILNS1_25lookback_scan_determinismE0ELb1ES3_N6thrust23THRUST_200600_302600_NS6detail15normal_iteratorINS9_10device_ptrIiEEEENSB_INSC_IyEEEESG_yNS9_4plusIvEENS9_8equal_toIvEEyEE10hipError_tPvRmT2_T3_T4_T5_mT6_T7_P12ihipStream_tbENKUlT_T0_E_clISt17integral_constantIbLb0EES10_IbLb1EEEEDaSW_SX_EUlSW_E_NS1_11comp_targetILNS1_3genE10ELNS1_11target_archE1200ELNS1_3gpuE4ELNS1_3repE0EEENS1_30default_config_static_selectorELNS0_4arch9wavefront6targetE1EEEvT1_ ; -- Begin function _ZN7rocprim17ROCPRIM_400000_NS6detail17trampoline_kernelINS0_14default_configENS1_27scan_by_key_config_selectorIiyEEZZNS1_16scan_by_key_implILNS1_25lookback_scan_determinismE0ELb1ES3_N6thrust23THRUST_200600_302600_NS6detail15normal_iteratorINS9_10device_ptrIiEEEENSB_INSC_IyEEEESG_yNS9_4plusIvEENS9_8equal_toIvEEyEE10hipError_tPvRmT2_T3_T4_T5_mT6_T7_P12ihipStream_tbENKUlT_T0_E_clISt17integral_constantIbLb0EES10_IbLb1EEEEDaSW_SX_EUlSW_E_NS1_11comp_targetILNS1_3genE10ELNS1_11target_archE1200ELNS1_3gpuE4ELNS1_3repE0EEENS1_30default_config_static_selectorELNS0_4arch9wavefront6targetE1EEEvT1_
	.globl	_ZN7rocprim17ROCPRIM_400000_NS6detail17trampoline_kernelINS0_14default_configENS1_27scan_by_key_config_selectorIiyEEZZNS1_16scan_by_key_implILNS1_25lookback_scan_determinismE0ELb1ES3_N6thrust23THRUST_200600_302600_NS6detail15normal_iteratorINS9_10device_ptrIiEEEENSB_INSC_IyEEEESG_yNS9_4plusIvEENS9_8equal_toIvEEyEE10hipError_tPvRmT2_T3_T4_T5_mT6_T7_P12ihipStream_tbENKUlT_T0_E_clISt17integral_constantIbLb0EES10_IbLb1EEEEDaSW_SX_EUlSW_E_NS1_11comp_targetILNS1_3genE10ELNS1_11target_archE1200ELNS1_3gpuE4ELNS1_3repE0EEENS1_30default_config_static_selectorELNS0_4arch9wavefront6targetE1EEEvT1_
	.p2align	8
	.type	_ZN7rocprim17ROCPRIM_400000_NS6detail17trampoline_kernelINS0_14default_configENS1_27scan_by_key_config_selectorIiyEEZZNS1_16scan_by_key_implILNS1_25lookback_scan_determinismE0ELb1ES3_N6thrust23THRUST_200600_302600_NS6detail15normal_iteratorINS9_10device_ptrIiEEEENSB_INSC_IyEEEESG_yNS9_4plusIvEENS9_8equal_toIvEEyEE10hipError_tPvRmT2_T3_T4_T5_mT6_T7_P12ihipStream_tbENKUlT_T0_E_clISt17integral_constantIbLb0EES10_IbLb1EEEEDaSW_SX_EUlSW_E_NS1_11comp_targetILNS1_3genE10ELNS1_11target_archE1200ELNS1_3gpuE4ELNS1_3repE0EEENS1_30default_config_static_selectorELNS0_4arch9wavefront6targetE1EEEvT1_,@function
_ZN7rocprim17ROCPRIM_400000_NS6detail17trampoline_kernelINS0_14default_configENS1_27scan_by_key_config_selectorIiyEEZZNS1_16scan_by_key_implILNS1_25lookback_scan_determinismE0ELb1ES3_N6thrust23THRUST_200600_302600_NS6detail15normal_iteratorINS9_10device_ptrIiEEEENSB_INSC_IyEEEESG_yNS9_4plusIvEENS9_8equal_toIvEEyEE10hipError_tPvRmT2_T3_T4_T5_mT6_T7_P12ihipStream_tbENKUlT_T0_E_clISt17integral_constantIbLb0EES10_IbLb1EEEEDaSW_SX_EUlSW_E_NS1_11comp_targetILNS1_3genE10ELNS1_11target_archE1200ELNS1_3gpuE4ELNS1_3repE0EEENS1_30default_config_static_selectorELNS0_4arch9wavefront6targetE1EEEvT1_: ; @_ZN7rocprim17ROCPRIM_400000_NS6detail17trampoline_kernelINS0_14default_configENS1_27scan_by_key_config_selectorIiyEEZZNS1_16scan_by_key_implILNS1_25lookback_scan_determinismE0ELb1ES3_N6thrust23THRUST_200600_302600_NS6detail15normal_iteratorINS9_10device_ptrIiEEEENSB_INSC_IyEEEESG_yNS9_4plusIvEENS9_8equal_toIvEEyEE10hipError_tPvRmT2_T3_T4_T5_mT6_T7_P12ihipStream_tbENKUlT_T0_E_clISt17integral_constantIbLb0EES10_IbLb1EEEEDaSW_SX_EUlSW_E_NS1_11comp_targetILNS1_3genE10ELNS1_11target_archE1200ELNS1_3gpuE4ELNS1_3repE0EEENS1_30default_config_static_selectorELNS0_4arch9wavefront6targetE1EEEvT1_
; %bb.0:
	.section	.rodata,"a",@progbits
	.p2align	6, 0x0
	.amdhsa_kernel _ZN7rocprim17ROCPRIM_400000_NS6detail17trampoline_kernelINS0_14default_configENS1_27scan_by_key_config_selectorIiyEEZZNS1_16scan_by_key_implILNS1_25lookback_scan_determinismE0ELb1ES3_N6thrust23THRUST_200600_302600_NS6detail15normal_iteratorINS9_10device_ptrIiEEEENSB_INSC_IyEEEESG_yNS9_4plusIvEENS9_8equal_toIvEEyEE10hipError_tPvRmT2_T3_T4_T5_mT6_T7_P12ihipStream_tbENKUlT_T0_E_clISt17integral_constantIbLb0EES10_IbLb1EEEEDaSW_SX_EUlSW_E_NS1_11comp_targetILNS1_3genE10ELNS1_11target_archE1200ELNS1_3gpuE4ELNS1_3repE0EEENS1_30default_config_static_selectorELNS0_4arch9wavefront6targetE1EEEvT1_
		.amdhsa_group_segment_fixed_size 0
		.amdhsa_private_segment_fixed_size 0
		.amdhsa_kernarg_size 136
		.amdhsa_user_sgpr_count 6
		.amdhsa_user_sgpr_private_segment_buffer 1
		.amdhsa_user_sgpr_dispatch_ptr 0
		.amdhsa_user_sgpr_queue_ptr 0
		.amdhsa_user_sgpr_kernarg_segment_ptr 1
		.amdhsa_user_sgpr_dispatch_id 0
		.amdhsa_user_sgpr_flat_scratch_init 0
		.amdhsa_user_sgpr_kernarg_preload_length 0
		.amdhsa_user_sgpr_kernarg_preload_offset 0
		.amdhsa_user_sgpr_private_segment_size 0
		.amdhsa_uses_dynamic_stack 0
		.amdhsa_system_sgpr_private_segment_wavefront_offset 0
		.amdhsa_system_sgpr_workgroup_id_x 1
		.amdhsa_system_sgpr_workgroup_id_y 0
		.amdhsa_system_sgpr_workgroup_id_z 0
		.amdhsa_system_sgpr_workgroup_info 0
		.amdhsa_system_vgpr_workitem_id 0
		.amdhsa_next_free_vgpr 1
		.amdhsa_next_free_sgpr 0
		.amdhsa_accum_offset 4
		.amdhsa_reserve_vcc 0
		.amdhsa_reserve_flat_scratch 0
		.amdhsa_float_round_mode_32 0
		.amdhsa_float_round_mode_16_64 0
		.amdhsa_float_denorm_mode_32 3
		.amdhsa_float_denorm_mode_16_64 3
		.amdhsa_dx10_clamp 1
		.amdhsa_ieee_mode 1
		.amdhsa_fp16_overflow 0
		.amdhsa_tg_split 0
		.amdhsa_exception_fp_ieee_invalid_op 0
		.amdhsa_exception_fp_denorm_src 0
		.amdhsa_exception_fp_ieee_div_zero 0
		.amdhsa_exception_fp_ieee_overflow 0
		.amdhsa_exception_fp_ieee_underflow 0
		.amdhsa_exception_fp_ieee_inexact 0
		.amdhsa_exception_int_div_zero 0
	.end_amdhsa_kernel
	.section	.text._ZN7rocprim17ROCPRIM_400000_NS6detail17trampoline_kernelINS0_14default_configENS1_27scan_by_key_config_selectorIiyEEZZNS1_16scan_by_key_implILNS1_25lookback_scan_determinismE0ELb1ES3_N6thrust23THRUST_200600_302600_NS6detail15normal_iteratorINS9_10device_ptrIiEEEENSB_INSC_IyEEEESG_yNS9_4plusIvEENS9_8equal_toIvEEyEE10hipError_tPvRmT2_T3_T4_T5_mT6_T7_P12ihipStream_tbENKUlT_T0_E_clISt17integral_constantIbLb0EES10_IbLb1EEEEDaSW_SX_EUlSW_E_NS1_11comp_targetILNS1_3genE10ELNS1_11target_archE1200ELNS1_3gpuE4ELNS1_3repE0EEENS1_30default_config_static_selectorELNS0_4arch9wavefront6targetE1EEEvT1_,"axG",@progbits,_ZN7rocprim17ROCPRIM_400000_NS6detail17trampoline_kernelINS0_14default_configENS1_27scan_by_key_config_selectorIiyEEZZNS1_16scan_by_key_implILNS1_25lookback_scan_determinismE0ELb1ES3_N6thrust23THRUST_200600_302600_NS6detail15normal_iteratorINS9_10device_ptrIiEEEENSB_INSC_IyEEEESG_yNS9_4plusIvEENS9_8equal_toIvEEyEE10hipError_tPvRmT2_T3_T4_T5_mT6_T7_P12ihipStream_tbENKUlT_T0_E_clISt17integral_constantIbLb0EES10_IbLb1EEEEDaSW_SX_EUlSW_E_NS1_11comp_targetILNS1_3genE10ELNS1_11target_archE1200ELNS1_3gpuE4ELNS1_3repE0EEENS1_30default_config_static_selectorELNS0_4arch9wavefront6targetE1EEEvT1_,comdat
.Lfunc_end1496:
	.size	_ZN7rocprim17ROCPRIM_400000_NS6detail17trampoline_kernelINS0_14default_configENS1_27scan_by_key_config_selectorIiyEEZZNS1_16scan_by_key_implILNS1_25lookback_scan_determinismE0ELb1ES3_N6thrust23THRUST_200600_302600_NS6detail15normal_iteratorINS9_10device_ptrIiEEEENSB_INSC_IyEEEESG_yNS9_4plusIvEENS9_8equal_toIvEEyEE10hipError_tPvRmT2_T3_T4_T5_mT6_T7_P12ihipStream_tbENKUlT_T0_E_clISt17integral_constantIbLb0EES10_IbLb1EEEEDaSW_SX_EUlSW_E_NS1_11comp_targetILNS1_3genE10ELNS1_11target_archE1200ELNS1_3gpuE4ELNS1_3repE0EEENS1_30default_config_static_selectorELNS0_4arch9wavefront6targetE1EEEvT1_, .Lfunc_end1496-_ZN7rocprim17ROCPRIM_400000_NS6detail17trampoline_kernelINS0_14default_configENS1_27scan_by_key_config_selectorIiyEEZZNS1_16scan_by_key_implILNS1_25lookback_scan_determinismE0ELb1ES3_N6thrust23THRUST_200600_302600_NS6detail15normal_iteratorINS9_10device_ptrIiEEEENSB_INSC_IyEEEESG_yNS9_4plusIvEENS9_8equal_toIvEEyEE10hipError_tPvRmT2_T3_T4_T5_mT6_T7_P12ihipStream_tbENKUlT_T0_E_clISt17integral_constantIbLb0EES10_IbLb1EEEEDaSW_SX_EUlSW_E_NS1_11comp_targetILNS1_3genE10ELNS1_11target_archE1200ELNS1_3gpuE4ELNS1_3repE0EEENS1_30default_config_static_selectorELNS0_4arch9wavefront6targetE1EEEvT1_
                                        ; -- End function
	.section	.AMDGPU.csdata,"",@progbits
; Kernel info:
; codeLenInByte = 0
; NumSgprs: 4
; NumVgprs: 0
; NumAgprs: 0
; TotalNumVgprs: 0
; ScratchSize: 0
; MemoryBound: 0
; FloatMode: 240
; IeeeMode: 1
; LDSByteSize: 0 bytes/workgroup (compile time only)
; SGPRBlocks: 0
; VGPRBlocks: 0
; NumSGPRsForWavesPerEU: 4
; NumVGPRsForWavesPerEU: 1
; AccumOffset: 4
; Occupancy: 8
; WaveLimiterHint : 0
; COMPUTE_PGM_RSRC2:SCRATCH_EN: 0
; COMPUTE_PGM_RSRC2:USER_SGPR: 6
; COMPUTE_PGM_RSRC2:TRAP_HANDLER: 0
; COMPUTE_PGM_RSRC2:TGID_X_EN: 1
; COMPUTE_PGM_RSRC2:TGID_Y_EN: 0
; COMPUTE_PGM_RSRC2:TGID_Z_EN: 0
; COMPUTE_PGM_RSRC2:TIDIG_COMP_CNT: 0
; COMPUTE_PGM_RSRC3_GFX90A:ACCUM_OFFSET: 0
; COMPUTE_PGM_RSRC3_GFX90A:TG_SPLIT: 0
	.section	.text._ZN7rocprim17ROCPRIM_400000_NS6detail17trampoline_kernelINS0_14default_configENS1_27scan_by_key_config_selectorIiyEEZZNS1_16scan_by_key_implILNS1_25lookback_scan_determinismE0ELb1ES3_N6thrust23THRUST_200600_302600_NS6detail15normal_iteratorINS9_10device_ptrIiEEEENSB_INSC_IyEEEESG_yNS9_4plusIvEENS9_8equal_toIvEEyEE10hipError_tPvRmT2_T3_T4_T5_mT6_T7_P12ihipStream_tbENKUlT_T0_E_clISt17integral_constantIbLb0EES10_IbLb1EEEEDaSW_SX_EUlSW_E_NS1_11comp_targetILNS1_3genE9ELNS1_11target_archE1100ELNS1_3gpuE3ELNS1_3repE0EEENS1_30default_config_static_selectorELNS0_4arch9wavefront6targetE1EEEvT1_,"axG",@progbits,_ZN7rocprim17ROCPRIM_400000_NS6detail17trampoline_kernelINS0_14default_configENS1_27scan_by_key_config_selectorIiyEEZZNS1_16scan_by_key_implILNS1_25lookback_scan_determinismE0ELb1ES3_N6thrust23THRUST_200600_302600_NS6detail15normal_iteratorINS9_10device_ptrIiEEEENSB_INSC_IyEEEESG_yNS9_4plusIvEENS9_8equal_toIvEEyEE10hipError_tPvRmT2_T3_T4_T5_mT6_T7_P12ihipStream_tbENKUlT_T0_E_clISt17integral_constantIbLb0EES10_IbLb1EEEEDaSW_SX_EUlSW_E_NS1_11comp_targetILNS1_3genE9ELNS1_11target_archE1100ELNS1_3gpuE3ELNS1_3repE0EEENS1_30default_config_static_selectorELNS0_4arch9wavefront6targetE1EEEvT1_,comdat
	.protected	_ZN7rocprim17ROCPRIM_400000_NS6detail17trampoline_kernelINS0_14default_configENS1_27scan_by_key_config_selectorIiyEEZZNS1_16scan_by_key_implILNS1_25lookback_scan_determinismE0ELb1ES3_N6thrust23THRUST_200600_302600_NS6detail15normal_iteratorINS9_10device_ptrIiEEEENSB_INSC_IyEEEESG_yNS9_4plusIvEENS9_8equal_toIvEEyEE10hipError_tPvRmT2_T3_T4_T5_mT6_T7_P12ihipStream_tbENKUlT_T0_E_clISt17integral_constantIbLb0EES10_IbLb1EEEEDaSW_SX_EUlSW_E_NS1_11comp_targetILNS1_3genE9ELNS1_11target_archE1100ELNS1_3gpuE3ELNS1_3repE0EEENS1_30default_config_static_selectorELNS0_4arch9wavefront6targetE1EEEvT1_ ; -- Begin function _ZN7rocprim17ROCPRIM_400000_NS6detail17trampoline_kernelINS0_14default_configENS1_27scan_by_key_config_selectorIiyEEZZNS1_16scan_by_key_implILNS1_25lookback_scan_determinismE0ELb1ES3_N6thrust23THRUST_200600_302600_NS6detail15normal_iteratorINS9_10device_ptrIiEEEENSB_INSC_IyEEEESG_yNS9_4plusIvEENS9_8equal_toIvEEyEE10hipError_tPvRmT2_T3_T4_T5_mT6_T7_P12ihipStream_tbENKUlT_T0_E_clISt17integral_constantIbLb0EES10_IbLb1EEEEDaSW_SX_EUlSW_E_NS1_11comp_targetILNS1_3genE9ELNS1_11target_archE1100ELNS1_3gpuE3ELNS1_3repE0EEENS1_30default_config_static_selectorELNS0_4arch9wavefront6targetE1EEEvT1_
	.globl	_ZN7rocprim17ROCPRIM_400000_NS6detail17trampoline_kernelINS0_14default_configENS1_27scan_by_key_config_selectorIiyEEZZNS1_16scan_by_key_implILNS1_25lookback_scan_determinismE0ELb1ES3_N6thrust23THRUST_200600_302600_NS6detail15normal_iteratorINS9_10device_ptrIiEEEENSB_INSC_IyEEEESG_yNS9_4plusIvEENS9_8equal_toIvEEyEE10hipError_tPvRmT2_T3_T4_T5_mT6_T7_P12ihipStream_tbENKUlT_T0_E_clISt17integral_constantIbLb0EES10_IbLb1EEEEDaSW_SX_EUlSW_E_NS1_11comp_targetILNS1_3genE9ELNS1_11target_archE1100ELNS1_3gpuE3ELNS1_3repE0EEENS1_30default_config_static_selectorELNS0_4arch9wavefront6targetE1EEEvT1_
	.p2align	8
	.type	_ZN7rocprim17ROCPRIM_400000_NS6detail17trampoline_kernelINS0_14default_configENS1_27scan_by_key_config_selectorIiyEEZZNS1_16scan_by_key_implILNS1_25lookback_scan_determinismE0ELb1ES3_N6thrust23THRUST_200600_302600_NS6detail15normal_iteratorINS9_10device_ptrIiEEEENSB_INSC_IyEEEESG_yNS9_4plusIvEENS9_8equal_toIvEEyEE10hipError_tPvRmT2_T3_T4_T5_mT6_T7_P12ihipStream_tbENKUlT_T0_E_clISt17integral_constantIbLb0EES10_IbLb1EEEEDaSW_SX_EUlSW_E_NS1_11comp_targetILNS1_3genE9ELNS1_11target_archE1100ELNS1_3gpuE3ELNS1_3repE0EEENS1_30default_config_static_selectorELNS0_4arch9wavefront6targetE1EEEvT1_,@function
_ZN7rocprim17ROCPRIM_400000_NS6detail17trampoline_kernelINS0_14default_configENS1_27scan_by_key_config_selectorIiyEEZZNS1_16scan_by_key_implILNS1_25lookback_scan_determinismE0ELb1ES3_N6thrust23THRUST_200600_302600_NS6detail15normal_iteratorINS9_10device_ptrIiEEEENSB_INSC_IyEEEESG_yNS9_4plusIvEENS9_8equal_toIvEEyEE10hipError_tPvRmT2_T3_T4_T5_mT6_T7_P12ihipStream_tbENKUlT_T0_E_clISt17integral_constantIbLb0EES10_IbLb1EEEEDaSW_SX_EUlSW_E_NS1_11comp_targetILNS1_3genE9ELNS1_11target_archE1100ELNS1_3gpuE3ELNS1_3repE0EEENS1_30default_config_static_selectorELNS0_4arch9wavefront6targetE1EEEvT1_: ; @_ZN7rocprim17ROCPRIM_400000_NS6detail17trampoline_kernelINS0_14default_configENS1_27scan_by_key_config_selectorIiyEEZZNS1_16scan_by_key_implILNS1_25lookback_scan_determinismE0ELb1ES3_N6thrust23THRUST_200600_302600_NS6detail15normal_iteratorINS9_10device_ptrIiEEEENSB_INSC_IyEEEESG_yNS9_4plusIvEENS9_8equal_toIvEEyEE10hipError_tPvRmT2_T3_T4_T5_mT6_T7_P12ihipStream_tbENKUlT_T0_E_clISt17integral_constantIbLb0EES10_IbLb1EEEEDaSW_SX_EUlSW_E_NS1_11comp_targetILNS1_3genE9ELNS1_11target_archE1100ELNS1_3gpuE3ELNS1_3repE0EEENS1_30default_config_static_selectorELNS0_4arch9wavefront6targetE1EEEvT1_
; %bb.0:
	.section	.rodata,"a",@progbits
	.p2align	6, 0x0
	.amdhsa_kernel _ZN7rocprim17ROCPRIM_400000_NS6detail17trampoline_kernelINS0_14default_configENS1_27scan_by_key_config_selectorIiyEEZZNS1_16scan_by_key_implILNS1_25lookback_scan_determinismE0ELb1ES3_N6thrust23THRUST_200600_302600_NS6detail15normal_iteratorINS9_10device_ptrIiEEEENSB_INSC_IyEEEESG_yNS9_4plusIvEENS9_8equal_toIvEEyEE10hipError_tPvRmT2_T3_T4_T5_mT6_T7_P12ihipStream_tbENKUlT_T0_E_clISt17integral_constantIbLb0EES10_IbLb1EEEEDaSW_SX_EUlSW_E_NS1_11comp_targetILNS1_3genE9ELNS1_11target_archE1100ELNS1_3gpuE3ELNS1_3repE0EEENS1_30default_config_static_selectorELNS0_4arch9wavefront6targetE1EEEvT1_
		.amdhsa_group_segment_fixed_size 0
		.amdhsa_private_segment_fixed_size 0
		.amdhsa_kernarg_size 136
		.amdhsa_user_sgpr_count 6
		.amdhsa_user_sgpr_private_segment_buffer 1
		.amdhsa_user_sgpr_dispatch_ptr 0
		.amdhsa_user_sgpr_queue_ptr 0
		.amdhsa_user_sgpr_kernarg_segment_ptr 1
		.amdhsa_user_sgpr_dispatch_id 0
		.amdhsa_user_sgpr_flat_scratch_init 0
		.amdhsa_user_sgpr_kernarg_preload_length 0
		.amdhsa_user_sgpr_kernarg_preload_offset 0
		.amdhsa_user_sgpr_private_segment_size 0
		.amdhsa_uses_dynamic_stack 0
		.amdhsa_system_sgpr_private_segment_wavefront_offset 0
		.amdhsa_system_sgpr_workgroup_id_x 1
		.amdhsa_system_sgpr_workgroup_id_y 0
		.amdhsa_system_sgpr_workgroup_id_z 0
		.amdhsa_system_sgpr_workgroup_info 0
		.amdhsa_system_vgpr_workitem_id 0
		.amdhsa_next_free_vgpr 1
		.amdhsa_next_free_sgpr 0
		.amdhsa_accum_offset 4
		.amdhsa_reserve_vcc 0
		.amdhsa_reserve_flat_scratch 0
		.amdhsa_float_round_mode_32 0
		.amdhsa_float_round_mode_16_64 0
		.amdhsa_float_denorm_mode_32 3
		.amdhsa_float_denorm_mode_16_64 3
		.amdhsa_dx10_clamp 1
		.amdhsa_ieee_mode 1
		.amdhsa_fp16_overflow 0
		.amdhsa_tg_split 0
		.amdhsa_exception_fp_ieee_invalid_op 0
		.amdhsa_exception_fp_denorm_src 0
		.amdhsa_exception_fp_ieee_div_zero 0
		.amdhsa_exception_fp_ieee_overflow 0
		.amdhsa_exception_fp_ieee_underflow 0
		.amdhsa_exception_fp_ieee_inexact 0
		.amdhsa_exception_int_div_zero 0
	.end_amdhsa_kernel
	.section	.text._ZN7rocprim17ROCPRIM_400000_NS6detail17trampoline_kernelINS0_14default_configENS1_27scan_by_key_config_selectorIiyEEZZNS1_16scan_by_key_implILNS1_25lookback_scan_determinismE0ELb1ES3_N6thrust23THRUST_200600_302600_NS6detail15normal_iteratorINS9_10device_ptrIiEEEENSB_INSC_IyEEEESG_yNS9_4plusIvEENS9_8equal_toIvEEyEE10hipError_tPvRmT2_T3_T4_T5_mT6_T7_P12ihipStream_tbENKUlT_T0_E_clISt17integral_constantIbLb0EES10_IbLb1EEEEDaSW_SX_EUlSW_E_NS1_11comp_targetILNS1_3genE9ELNS1_11target_archE1100ELNS1_3gpuE3ELNS1_3repE0EEENS1_30default_config_static_selectorELNS0_4arch9wavefront6targetE1EEEvT1_,"axG",@progbits,_ZN7rocprim17ROCPRIM_400000_NS6detail17trampoline_kernelINS0_14default_configENS1_27scan_by_key_config_selectorIiyEEZZNS1_16scan_by_key_implILNS1_25lookback_scan_determinismE0ELb1ES3_N6thrust23THRUST_200600_302600_NS6detail15normal_iteratorINS9_10device_ptrIiEEEENSB_INSC_IyEEEESG_yNS9_4plusIvEENS9_8equal_toIvEEyEE10hipError_tPvRmT2_T3_T4_T5_mT6_T7_P12ihipStream_tbENKUlT_T0_E_clISt17integral_constantIbLb0EES10_IbLb1EEEEDaSW_SX_EUlSW_E_NS1_11comp_targetILNS1_3genE9ELNS1_11target_archE1100ELNS1_3gpuE3ELNS1_3repE0EEENS1_30default_config_static_selectorELNS0_4arch9wavefront6targetE1EEEvT1_,comdat
.Lfunc_end1497:
	.size	_ZN7rocprim17ROCPRIM_400000_NS6detail17trampoline_kernelINS0_14default_configENS1_27scan_by_key_config_selectorIiyEEZZNS1_16scan_by_key_implILNS1_25lookback_scan_determinismE0ELb1ES3_N6thrust23THRUST_200600_302600_NS6detail15normal_iteratorINS9_10device_ptrIiEEEENSB_INSC_IyEEEESG_yNS9_4plusIvEENS9_8equal_toIvEEyEE10hipError_tPvRmT2_T3_T4_T5_mT6_T7_P12ihipStream_tbENKUlT_T0_E_clISt17integral_constantIbLb0EES10_IbLb1EEEEDaSW_SX_EUlSW_E_NS1_11comp_targetILNS1_3genE9ELNS1_11target_archE1100ELNS1_3gpuE3ELNS1_3repE0EEENS1_30default_config_static_selectorELNS0_4arch9wavefront6targetE1EEEvT1_, .Lfunc_end1497-_ZN7rocprim17ROCPRIM_400000_NS6detail17trampoline_kernelINS0_14default_configENS1_27scan_by_key_config_selectorIiyEEZZNS1_16scan_by_key_implILNS1_25lookback_scan_determinismE0ELb1ES3_N6thrust23THRUST_200600_302600_NS6detail15normal_iteratorINS9_10device_ptrIiEEEENSB_INSC_IyEEEESG_yNS9_4plusIvEENS9_8equal_toIvEEyEE10hipError_tPvRmT2_T3_T4_T5_mT6_T7_P12ihipStream_tbENKUlT_T0_E_clISt17integral_constantIbLb0EES10_IbLb1EEEEDaSW_SX_EUlSW_E_NS1_11comp_targetILNS1_3genE9ELNS1_11target_archE1100ELNS1_3gpuE3ELNS1_3repE0EEENS1_30default_config_static_selectorELNS0_4arch9wavefront6targetE1EEEvT1_
                                        ; -- End function
	.section	.AMDGPU.csdata,"",@progbits
; Kernel info:
; codeLenInByte = 0
; NumSgprs: 4
; NumVgprs: 0
; NumAgprs: 0
; TotalNumVgprs: 0
; ScratchSize: 0
; MemoryBound: 0
; FloatMode: 240
; IeeeMode: 1
; LDSByteSize: 0 bytes/workgroup (compile time only)
; SGPRBlocks: 0
; VGPRBlocks: 0
; NumSGPRsForWavesPerEU: 4
; NumVGPRsForWavesPerEU: 1
; AccumOffset: 4
; Occupancy: 8
; WaveLimiterHint : 0
; COMPUTE_PGM_RSRC2:SCRATCH_EN: 0
; COMPUTE_PGM_RSRC2:USER_SGPR: 6
; COMPUTE_PGM_RSRC2:TRAP_HANDLER: 0
; COMPUTE_PGM_RSRC2:TGID_X_EN: 1
; COMPUTE_PGM_RSRC2:TGID_Y_EN: 0
; COMPUTE_PGM_RSRC2:TGID_Z_EN: 0
; COMPUTE_PGM_RSRC2:TIDIG_COMP_CNT: 0
; COMPUTE_PGM_RSRC3_GFX90A:ACCUM_OFFSET: 0
; COMPUTE_PGM_RSRC3_GFX90A:TG_SPLIT: 0
	.section	.text._ZN7rocprim17ROCPRIM_400000_NS6detail17trampoline_kernelINS0_14default_configENS1_27scan_by_key_config_selectorIiyEEZZNS1_16scan_by_key_implILNS1_25lookback_scan_determinismE0ELb1ES3_N6thrust23THRUST_200600_302600_NS6detail15normal_iteratorINS9_10device_ptrIiEEEENSB_INSC_IyEEEESG_yNS9_4plusIvEENS9_8equal_toIvEEyEE10hipError_tPvRmT2_T3_T4_T5_mT6_T7_P12ihipStream_tbENKUlT_T0_E_clISt17integral_constantIbLb0EES10_IbLb1EEEEDaSW_SX_EUlSW_E_NS1_11comp_targetILNS1_3genE8ELNS1_11target_archE1030ELNS1_3gpuE2ELNS1_3repE0EEENS1_30default_config_static_selectorELNS0_4arch9wavefront6targetE1EEEvT1_,"axG",@progbits,_ZN7rocprim17ROCPRIM_400000_NS6detail17trampoline_kernelINS0_14default_configENS1_27scan_by_key_config_selectorIiyEEZZNS1_16scan_by_key_implILNS1_25lookback_scan_determinismE0ELb1ES3_N6thrust23THRUST_200600_302600_NS6detail15normal_iteratorINS9_10device_ptrIiEEEENSB_INSC_IyEEEESG_yNS9_4plusIvEENS9_8equal_toIvEEyEE10hipError_tPvRmT2_T3_T4_T5_mT6_T7_P12ihipStream_tbENKUlT_T0_E_clISt17integral_constantIbLb0EES10_IbLb1EEEEDaSW_SX_EUlSW_E_NS1_11comp_targetILNS1_3genE8ELNS1_11target_archE1030ELNS1_3gpuE2ELNS1_3repE0EEENS1_30default_config_static_selectorELNS0_4arch9wavefront6targetE1EEEvT1_,comdat
	.protected	_ZN7rocprim17ROCPRIM_400000_NS6detail17trampoline_kernelINS0_14default_configENS1_27scan_by_key_config_selectorIiyEEZZNS1_16scan_by_key_implILNS1_25lookback_scan_determinismE0ELb1ES3_N6thrust23THRUST_200600_302600_NS6detail15normal_iteratorINS9_10device_ptrIiEEEENSB_INSC_IyEEEESG_yNS9_4plusIvEENS9_8equal_toIvEEyEE10hipError_tPvRmT2_T3_T4_T5_mT6_T7_P12ihipStream_tbENKUlT_T0_E_clISt17integral_constantIbLb0EES10_IbLb1EEEEDaSW_SX_EUlSW_E_NS1_11comp_targetILNS1_3genE8ELNS1_11target_archE1030ELNS1_3gpuE2ELNS1_3repE0EEENS1_30default_config_static_selectorELNS0_4arch9wavefront6targetE1EEEvT1_ ; -- Begin function _ZN7rocprim17ROCPRIM_400000_NS6detail17trampoline_kernelINS0_14default_configENS1_27scan_by_key_config_selectorIiyEEZZNS1_16scan_by_key_implILNS1_25lookback_scan_determinismE0ELb1ES3_N6thrust23THRUST_200600_302600_NS6detail15normal_iteratorINS9_10device_ptrIiEEEENSB_INSC_IyEEEESG_yNS9_4plusIvEENS9_8equal_toIvEEyEE10hipError_tPvRmT2_T3_T4_T5_mT6_T7_P12ihipStream_tbENKUlT_T0_E_clISt17integral_constantIbLb0EES10_IbLb1EEEEDaSW_SX_EUlSW_E_NS1_11comp_targetILNS1_3genE8ELNS1_11target_archE1030ELNS1_3gpuE2ELNS1_3repE0EEENS1_30default_config_static_selectorELNS0_4arch9wavefront6targetE1EEEvT1_
	.globl	_ZN7rocprim17ROCPRIM_400000_NS6detail17trampoline_kernelINS0_14default_configENS1_27scan_by_key_config_selectorIiyEEZZNS1_16scan_by_key_implILNS1_25lookback_scan_determinismE0ELb1ES3_N6thrust23THRUST_200600_302600_NS6detail15normal_iteratorINS9_10device_ptrIiEEEENSB_INSC_IyEEEESG_yNS9_4plusIvEENS9_8equal_toIvEEyEE10hipError_tPvRmT2_T3_T4_T5_mT6_T7_P12ihipStream_tbENKUlT_T0_E_clISt17integral_constantIbLb0EES10_IbLb1EEEEDaSW_SX_EUlSW_E_NS1_11comp_targetILNS1_3genE8ELNS1_11target_archE1030ELNS1_3gpuE2ELNS1_3repE0EEENS1_30default_config_static_selectorELNS0_4arch9wavefront6targetE1EEEvT1_
	.p2align	8
	.type	_ZN7rocprim17ROCPRIM_400000_NS6detail17trampoline_kernelINS0_14default_configENS1_27scan_by_key_config_selectorIiyEEZZNS1_16scan_by_key_implILNS1_25lookback_scan_determinismE0ELb1ES3_N6thrust23THRUST_200600_302600_NS6detail15normal_iteratorINS9_10device_ptrIiEEEENSB_INSC_IyEEEESG_yNS9_4plusIvEENS9_8equal_toIvEEyEE10hipError_tPvRmT2_T3_T4_T5_mT6_T7_P12ihipStream_tbENKUlT_T0_E_clISt17integral_constantIbLb0EES10_IbLb1EEEEDaSW_SX_EUlSW_E_NS1_11comp_targetILNS1_3genE8ELNS1_11target_archE1030ELNS1_3gpuE2ELNS1_3repE0EEENS1_30default_config_static_selectorELNS0_4arch9wavefront6targetE1EEEvT1_,@function
_ZN7rocprim17ROCPRIM_400000_NS6detail17trampoline_kernelINS0_14default_configENS1_27scan_by_key_config_selectorIiyEEZZNS1_16scan_by_key_implILNS1_25lookback_scan_determinismE0ELb1ES3_N6thrust23THRUST_200600_302600_NS6detail15normal_iteratorINS9_10device_ptrIiEEEENSB_INSC_IyEEEESG_yNS9_4plusIvEENS9_8equal_toIvEEyEE10hipError_tPvRmT2_T3_T4_T5_mT6_T7_P12ihipStream_tbENKUlT_T0_E_clISt17integral_constantIbLb0EES10_IbLb1EEEEDaSW_SX_EUlSW_E_NS1_11comp_targetILNS1_3genE8ELNS1_11target_archE1030ELNS1_3gpuE2ELNS1_3repE0EEENS1_30default_config_static_selectorELNS0_4arch9wavefront6targetE1EEEvT1_: ; @_ZN7rocprim17ROCPRIM_400000_NS6detail17trampoline_kernelINS0_14default_configENS1_27scan_by_key_config_selectorIiyEEZZNS1_16scan_by_key_implILNS1_25lookback_scan_determinismE0ELb1ES3_N6thrust23THRUST_200600_302600_NS6detail15normal_iteratorINS9_10device_ptrIiEEEENSB_INSC_IyEEEESG_yNS9_4plusIvEENS9_8equal_toIvEEyEE10hipError_tPvRmT2_T3_T4_T5_mT6_T7_P12ihipStream_tbENKUlT_T0_E_clISt17integral_constantIbLb0EES10_IbLb1EEEEDaSW_SX_EUlSW_E_NS1_11comp_targetILNS1_3genE8ELNS1_11target_archE1030ELNS1_3gpuE2ELNS1_3repE0EEENS1_30default_config_static_selectorELNS0_4arch9wavefront6targetE1EEEvT1_
; %bb.0:
	.section	.rodata,"a",@progbits
	.p2align	6, 0x0
	.amdhsa_kernel _ZN7rocprim17ROCPRIM_400000_NS6detail17trampoline_kernelINS0_14default_configENS1_27scan_by_key_config_selectorIiyEEZZNS1_16scan_by_key_implILNS1_25lookback_scan_determinismE0ELb1ES3_N6thrust23THRUST_200600_302600_NS6detail15normal_iteratorINS9_10device_ptrIiEEEENSB_INSC_IyEEEESG_yNS9_4plusIvEENS9_8equal_toIvEEyEE10hipError_tPvRmT2_T3_T4_T5_mT6_T7_P12ihipStream_tbENKUlT_T0_E_clISt17integral_constantIbLb0EES10_IbLb1EEEEDaSW_SX_EUlSW_E_NS1_11comp_targetILNS1_3genE8ELNS1_11target_archE1030ELNS1_3gpuE2ELNS1_3repE0EEENS1_30default_config_static_selectorELNS0_4arch9wavefront6targetE1EEEvT1_
		.amdhsa_group_segment_fixed_size 0
		.amdhsa_private_segment_fixed_size 0
		.amdhsa_kernarg_size 136
		.amdhsa_user_sgpr_count 6
		.amdhsa_user_sgpr_private_segment_buffer 1
		.amdhsa_user_sgpr_dispatch_ptr 0
		.amdhsa_user_sgpr_queue_ptr 0
		.amdhsa_user_sgpr_kernarg_segment_ptr 1
		.amdhsa_user_sgpr_dispatch_id 0
		.amdhsa_user_sgpr_flat_scratch_init 0
		.amdhsa_user_sgpr_kernarg_preload_length 0
		.amdhsa_user_sgpr_kernarg_preload_offset 0
		.amdhsa_user_sgpr_private_segment_size 0
		.amdhsa_uses_dynamic_stack 0
		.amdhsa_system_sgpr_private_segment_wavefront_offset 0
		.amdhsa_system_sgpr_workgroup_id_x 1
		.amdhsa_system_sgpr_workgroup_id_y 0
		.amdhsa_system_sgpr_workgroup_id_z 0
		.amdhsa_system_sgpr_workgroup_info 0
		.amdhsa_system_vgpr_workitem_id 0
		.amdhsa_next_free_vgpr 1
		.amdhsa_next_free_sgpr 0
		.amdhsa_accum_offset 4
		.amdhsa_reserve_vcc 0
		.amdhsa_reserve_flat_scratch 0
		.amdhsa_float_round_mode_32 0
		.amdhsa_float_round_mode_16_64 0
		.amdhsa_float_denorm_mode_32 3
		.amdhsa_float_denorm_mode_16_64 3
		.amdhsa_dx10_clamp 1
		.amdhsa_ieee_mode 1
		.amdhsa_fp16_overflow 0
		.amdhsa_tg_split 0
		.amdhsa_exception_fp_ieee_invalid_op 0
		.amdhsa_exception_fp_denorm_src 0
		.amdhsa_exception_fp_ieee_div_zero 0
		.amdhsa_exception_fp_ieee_overflow 0
		.amdhsa_exception_fp_ieee_underflow 0
		.amdhsa_exception_fp_ieee_inexact 0
		.amdhsa_exception_int_div_zero 0
	.end_amdhsa_kernel
	.section	.text._ZN7rocprim17ROCPRIM_400000_NS6detail17trampoline_kernelINS0_14default_configENS1_27scan_by_key_config_selectorIiyEEZZNS1_16scan_by_key_implILNS1_25lookback_scan_determinismE0ELb1ES3_N6thrust23THRUST_200600_302600_NS6detail15normal_iteratorINS9_10device_ptrIiEEEENSB_INSC_IyEEEESG_yNS9_4plusIvEENS9_8equal_toIvEEyEE10hipError_tPvRmT2_T3_T4_T5_mT6_T7_P12ihipStream_tbENKUlT_T0_E_clISt17integral_constantIbLb0EES10_IbLb1EEEEDaSW_SX_EUlSW_E_NS1_11comp_targetILNS1_3genE8ELNS1_11target_archE1030ELNS1_3gpuE2ELNS1_3repE0EEENS1_30default_config_static_selectorELNS0_4arch9wavefront6targetE1EEEvT1_,"axG",@progbits,_ZN7rocprim17ROCPRIM_400000_NS6detail17trampoline_kernelINS0_14default_configENS1_27scan_by_key_config_selectorIiyEEZZNS1_16scan_by_key_implILNS1_25lookback_scan_determinismE0ELb1ES3_N6thrust23THRUST_200600_302600_NS6detail15normal_iteratorINS9_10device_ptrIiEEEENSB_INSC_IyEEEESG_yNS9_4plusIvEENS9_8equal_toIvEEyEE10hipError_tPvRmT2_T3_T4_T5_mT6_T7_P12ihipStream_tbENKUlT_T0_E_clISt17integral_constantIbLb0EES10_IbLb1EEEEDaSW_SX_EUlSW_E_NS1_11comp_targetILNS1_3genE8ELNS1_11target_archE1030ELNS1_3gpuE2ELNS1_3repE0EEENS1_30default_config_static_selectorELNS0_4arch9wavefront6targetE1EEEvT1_,comdat
.Lfunc_end1498:
	.size	_ZN7rocprim17ROCPRIM_400000_NS6detail17trampoline_kernelINS0_14default_configENS1_27scan_by_key_config_selectorIiyEEZZNS1_16scan_by_key_implILNS1_25lookback_scan_determinismE0ELb1ES3_N6thrust23THRUST_200600_302600_NS6detail15normal_iteratorINS9_10device_ptrIiEEEENSB_INSC_IyEEEESG_yNS9_4plusIvEENS9_8equal_toIvEEyEE10hipError_tPvRmT2_T3_T4_T5_mT6_T7_P12ihipStream_tbENKUlT_T0_E_clISt17integral_constantIbLb0EES10_IbLb1EEEEDaSW_SX_EUlSW_E_NS1_11comp_targetILNS1_3genE8ELNS1_11target_archE1030ELNS1_3gpuE2ELNS1_3repE0EEENS1_30default_config_static_selectorELNS0_4arch9wavefront6targetE1EEEvT1_, .Lfunc_end1498-_ZN7rocprim17ROCPRIM_400000_NS6detail17trampoline_kernelINS0_14default_configENS1_27scan_by_key_config_selectorIiyEEZZNS1_16scan_by_key_implILNS1_25lookback_scan_determinismE0ELb1ES3_N6thrust23THRUST_200600_302600_NS6detail15normal_iteratorINS9_10device_ptrIiEEEENSB_INSC_IyEEEESG_yNS9_4plusIvEENS9_8equal_toIvEEyEE10hipError_tPvRmT2_T3_T4_T5_mT6_T7_P12ihipStream_tbENKUlT_T0_E_clISt17integral_constantIbLb0EES10_IbLb1EEEEDaSW_SX_EUlSW_E_NS1_11comp_targetILNS1_3genE8ELNS1_11target_archE1030ELNS1_3gpuE2ELNS1_3repE0EEENS1_30default_config_static_selectorELNS0_4arch9wavefront6targetE1EEEvT1_
                                        ; -- End function
	.section	.AMDGPU.csdata,"",@progbits
; Kernel info:
; codeLenInByte = 0
; NumSgprs: 4
; NumVgprs: 0
; NumAgprs: 0
; TotalNumVgprs: 0
; ScratchSize: 0
; MemoryBound: 0
; FloatMode: 240
; IeeeMode: 1
; LDSByteSize: 0 bytes/workgroup (compile time only)
; SGPRBlocks: 0
; VGPRBlocks: 0
; NumSGPRsForWavesPerEU: 4
; NumVGPRsForWavesPerEU: 1
; AccumOffset: 4
; Occupancy: 8
; WaveLimiterHint : 0
; COMPUTE_PGM_RSRC2:SCRATCH_EN: 0
; COMPUTE_PGM_RSRC2:USER_SGPR: 6
; COMPUTE_PGM_RSRC2:TRAP_HANDLER: 0
; COMPUTE_PGM_RSRC2:TGID_X_EN: 1
; COMPUTE_PGM_RSRC2:TGID_Y_EN: 0
; COMPUTE_PGM_RSRC2:TGID_Z_EN: 0
; COMPUTE_PGM_RSRC2:TIDIG_COMP_CNT: 0
; COMPUTE_PGM_RSRC3_GFX90A:ACCUM_OFFSET: 0
; COMPUTE_PGM_RSRC3_GFX90A:TG_SPLIT: 0
	.section	.text._ZN7rocprim17ROCPRIM_400000_NS6detail17trampoline_kernelINS0_14default_configENS1_27scan_by_key_config_selectorIijEEZZNS1_16scan_by_key_implILNS1_25lookback_scan_determinismE0ELb1ES3_N6thrust23THRUST_200600_302600_NS6detail15normal_iteratorINS9_10device_ptrIiEEEENSB_INSC_IjEEEESG_jNS9_4plusIvEENS9_8equal_toIvEEjEE10hipError_tPvRmT2_T3_T4_T5_mT6_T7_P12ihipStream_tbENKUlT_T0_E_clISt17integral_constantIbLb0EES11_EEDaSW_SX_EUlSW_E_NS1_11comp_targetILNS1_3genE0ELNS1_11target_archE4294967295ELNS1_3gpuE0ELNS1_3repE0EEENS1_30default_config_static_selectorELNS0_4arch9wavefront6targetE1EEEvT1_,"axG",@progbits,_ZN7rocprim17ROCPRIM_400000_NS6detail17trampoline_kernelINS0_14default_configENS1_27scan_by_key_config_selectorIijEEZZNS1_16scan_by_key_implILNS1_25lookback_scan_determinismE0ELb1ES3_N6thrust23THRUST_200600_302600_NS6detail15normal_iteratorINS9_10device_ptrIiEEEENSB_INSC_IjEEEESG_jNS9_4plusIvEENS9_8equal_toIvEEjEE10hipError_tPvRmT2_T3_T4_T5_mT6_T7_P12ihipStream_tbENKUlT_T0_E_clISt17integral_constantIbLb0EES11_EEDaSW_SX_EUlSW_E_NS1_11comp_targetILNS1_3genE0ELNS1_11target_archE4294967295ELNS1_3gpuE0ELNS1_3repE0EEENS1_30default_config_static_selectorELNS0_4arch9wavefront6targetE1EEEvT1_,comdat
	.protected	_ZN7rocprim17ROCPRIM_400000_NS6detail17trampoline_kernelINS0_14default_configENS1_27scan_by_key_config_selectorIijEEZZNS1_16scan_by_key_implILNS1_25lookback_scan_determinismE0ELb1ES3_N6thrust23THRUST_200600_302600_NS6detail15normal_iteratorINS9_10device_ptrIiEEEENSB_INSC_IjEEEESG_jNS9_4plusIvEENS9_8equal_toIvEEjEE10hipError_tPvRmT2_T3_T4_T5_mT6_T7_P12ihipStream_tbENKUlT_T0_E_clISt17integral_constantIbLb0EES11_EEDaSW_SX_EUlSW_E_NS1_11comp_targetILNS1_3genE0ELNS1_11target_archE4294967295ELNS1_3gpuE0ELNS1_3repE0EEENS1_30default_config_static_selectorELNS0_4arch9wavefront6targetE1EEEvT1_ ; -- Begin function _ZN7rocprim17ROCPRIM_400000_NS6detail17trampoline_kernelINS0_14default_configENS1_27scan_by_key_config_selectorIijEEZZNS1_16scan_by_key_implILNS1_25lookback_scan_determinismE0ELb1ES3_N6thrust23THRUST_200600_302600_NS6detail15normal_iteratorINS9_10device_ptrIiEEEENSB_INSC_IjEEEESG_jNS9_4plusIvEENS9_8equal_toIvEEjEE10hipError_tPvRmT2_T3_T4_T5_mT6_T7_P12ihipStream_tbENKUlT_T0_E_clISt17integral_constantIbLb0EES11_EEDaSW_SX_EUlSW_E_NS1_11comp_targetILNS1_3genE0ELNS1_11target_archE4294967295ELNS1_3gpuE0ELNS1_3repE0EEENS1_30default_config_static_selectorELNS0_4arch9wavefront6targetE1EEEvT1_
	.globl	_ZN7rocprim17ROCPRIM_400000_NS6detail17trampoline_kernelINS0_14default_configENS1_27scan_by_key_config_selectorIijEEZZNS1_16scan_by_key_implILNS1_25lookback_scan_determinismE0ELb1ES3_N6thrust23THRUST_200600_302600_NS6detail15normal_iteratorINS9_10device_ptrIiEEEENSB_INSC_IjEEEESG_jNS9_4plusIvEENS9_8equal_toIvEEjEE10hipError_tPvRmT2_T3_T4_T5_mT6_T7_P12ihipStream_tbENKUlT_T0_E_clISt17integral_constantIbLb0EES11_EEDaSW_SX_EUlSW_E_NS1_11comp_targetILNS1_3genE0ELNS1_11target_archE4294967295ELNS1_3gpuE0ELNS1_3repE0EEENS1_30default_config_static_selectorELNS0_4arch9wavefront6targetE1EEEvT1_
	.p2align	8
	.type	_ZN7rocprim17ROCPRIM_400000_NS6detail17trampoline_kernelINS0_14default_configENS1_27scan_by_key_config_selectorIijEEZZNS1_16scan_by_key_implILNS1_25lookback_scan_determinismE0ELb1ES3_N6thrust23THRUST_200600_302600_NS6detail15normal_iteratorINS9_10device_ptrIiEEEENSB_INSC_IjEEEESG_jNS9_4plusIvEENS9_8equal_toIvEEjEE10hipError_tPvRmT2_T3_T4_T5_mT6_T7_P12ihipStream_tbENKUlT_T0_E_clISt17integral_constantIbLb0EES11_EEDaSW_SX_EUlSW_E_NS1_11comp_targetILNS1_3genE0ELNS1_11target_archE4294967295ELNS1_3gpuE0ELNS1_3repE0EEENS1_30default_config_static_selectorELNS0_4arch9wavefront6targetE1EEEvT1_,@function
_ZN7rocprim17ROCPRIM_400000_NS6detail17trampoline_kernelINS0_14default_configENS1_27scan_by_key_config_selectorIijEEZZNS1_16scan_by_key_implILNS1_25lookback_scan_determinismE0ELb1ES3_N6thrust23THRUST_200600_302600_NS6detail15normal_iteratorINS9_10device_ptrIiEEEENSB_INSC_IjEEEESG_jNS9_4plusIvEENS9_8equal_toIvEEjEE10hipError_tPvRmT2_T3_T4_T5_mT6_T7_P12ihipStream_tbENKUlT_T0_E_clISt17integral_constantIbLb0EES11_EEDaSW_SX_EUlSW_E_NS1_11comp_targetILNS1_3genE0ELNS1_11target_archE4294967295ELNS1_3gpuE0ELNS1_3repE0EEENS1_30default_config_static_selectorELNS0_4arch9wavefront6targetE1EEEvT1_: ; @_ZN7rocprim17ROCPRIM_400000_NS6detail17trampoline_kernelINS0_14default_configENS1_27scan_by_key_config_selectorIijEEZZNS1_16scan_by_key_implILNS1_25lookback_scan_determinismE0ELb1ES3_N6thrust23THRUST_200600_302600_NS6detail15normal_iteratorINS9_10device_ptrIiEEEENSB_INSC_IjEEEESG_jNS9_4plusIvEENS9_8equal_toIvEEjEE10hipError_tPvRmT2_T3_T4_T5_mT6_T7_P12ihipStream_tbENKUlT_T0_E_clISt17integral_constantIbLb0EES11_EEDaSW_SX_EUlSW_E_NS1_11comp_targetILNS1_3genE0ELNS1_11target_archE4294967295ELNS1_3gpuE0ELNS1_3repE0EEENS1_30default_config_static_selectorELNS0_4arch9wavefront6targetE1EEEvT1_
; %bb.0:
	.section	.rodata,"a",@progbits
	.p2align	6, 0x0
	.amdhsa_kernel _ZN7rocprim17ROCPRIM_400000_NS6detail17trampoline_kernelINS0_14default_configENS1_27scan_by_key_config_selectorIijEEZZNS1_16scan_by_key_implILNS1_25lookback_scan_determinismE0ELb1ES3_N6thrust23THRUST_200600_302600_NS6detail15normal_iteratorINS9_10device_ptrIiEEEENSB_INSC_IjEEEESG_jNS9_4plusIvEENS9_8equal_toIvEEjEE10hipError_tPvRmT2_T3_T4_T5_mT6_T7_P12ihipStream_tbENKUlT_T0_E_clISt17integral_constantIbLb0EES11_EEDaSW_SX_EUlSW_E_NS1_11comp_targetILNS1_3genE0ELNS1_11target_archE4294967295ELNS1_3gpuE0ELNS1_3repE0EEENS1_30default_config_static_selectorELNS0_4arch9wavefront6targetE1EEEvT1_
		.amdhsa_group_segment_fixed_size 0
		.amdhsa_private_segment_fixed_size 0
		.amdhsa_kernarg_size 112
		.amdhsa_user_sgpr_count 6
		.amdhsa_user_sgpr_private_segment_buffer 1
		.amdhsa_user_sgpr_dispatch_ptr 0
		.amdhsa_user_sgpr_queue_ptr 0
		.amdhsa_user_sgpr_kernarg_segment_ptr 1
		.amdhsa_user_sgpr_dispatch_id 0
		.amdhsa_user_sgpr_flat_scratch_init 0
		.amdhsa_user_sgpr_kernarg_preload_length 0
		.amdhsa_user_sgpr_kernarg_preload_offset 0
		.amdhsa_user_sgpr_private_segment_size 0
		.amdhsa_uses_dynamic_stack 0
		.amdhsa_system_sgpr_private_segment_wavefront_offset 0
		.amdhsa_system_sgpr_workgroup_id_x 1
		.amdhsa_system_sgpr_workgroup_id_y 0
		.amdhsa_system_sgpr_workgroup_id_z 0
		.amdhsa_system_sgpr_workgroup_info 0
		.amdhsa_system_vgpr_workitem_id 0
		.amdhsa_next_free_vgpr 1
		.amdhsa_next_free_sgpr 0
		.amdhsa_accum_offset 4
		.amdhsa_reserve_vcc 0
		.amdhsa_reserve_flat_scratch 0
		.amdhsa_float_round_mode_32 0
		.amdhsa_float_round_mode_16_64 0
		.amdhsa_float_denorm_mode_32 3
		.amdhsa_float_denorm_mode_16_64 3
		.amdhsa_dx10_clamp 1
		.amdhsa_ieee_mode 1
		.amdhsa_fp16_overflow 0
		.amdhsa_tg_split 0
		.amdhsa_exception_fp_ieee_invalid_op 0
		.amdhsa_exception_fp_denorm_src 0
		.amdhsa_exception_fp_ieee_div_zero 0
		.amdhsa_exception_fp_ieee_overflow 0
		.amdhsa_exception_fp_ieee_underflow 0
		.amdhsa_exception_fp_ieee_inexact 0
		.amdhsa_exception_int_div_zero 0
	.end_amdhsa_kernel
	.section	.text._ZN7rocprim17ROCPRIM_400000_NS6detail17trampoline_kernelINS0_14default_configENS1_27scan_by_key_config_selectorIijEEZZNS1_16scan_by_key_implILNS1_25lookback_scan_determinismE0ELb1ES3_N6thrust23THRUST_200600_302600_NS6detail15normal_iteratorINS9_10device_ptrIiEEEENSB_INSC_IjEEEESG_jNS9_4plusIvEENS9_8equal_toIvEEjEE10hipError_tPvRmT2_T3_T4_T5_mT6_T7_P12ihipStream_tbENKUlT_T0_E_clISt17integral_constantIbLb0EES11_EEDaSW_SX_EUlSW_E_NS1_11comp_targetILNS1_3genE0ELNS1_11target_archE4294967295ELNS1_3gpuE0ELNS1_3repE0EEENS1_30default_config_static_selectorELNS0_4arch9wavefront6targetE1EEEvT1_,"axG",@progbits,_ZN7rocprim17ROCPRIM_400000_NS6detail17trampoline_kernelINS0_14default_configENS1_27scan_by_key_config_selectorIijEEZZNS1_16scan_by_key_implILNS1_25lookback_scan_determinismE0ELb1ES3_N6thrust23THRUST_200600_302600_NS6detail15normal_iteratorINS9_10device_ptrIiEEEENSB_INSC_IjEEEESG_jNS9_4plusIvEENS9_8equal_toIvEEjEE10hipError_tPvRmT2_T3_T4_T5_mT6_T7_P12ihipStream_tbENKUlT_T0_E_clISt17integral_constantIbLb0EES11_EEDaSW_SX_EUlSW_E_NS1_11comp_targetILNS1_3genE0ELNS1_11target_archE4294967295ELNS1_3gpuE0ELNS1_3repE0EEENS1_30default_config_static_selectorELNS0_4arch9wavefront6targetE1EEEvT1_,comdat
.Lfunc_end1499:
	.size	_ZN7rocprim17ROCPRIM_400000_NS6detail17trampoline_kernelINS0_14default_configENS1_27scan_by_key_config_selectorIijEEZZNS1_16scan_by_key_implILNS1_25lookback_scan_determinismE0ELb1ES3_N6thrust23THRUST_200600_302600_NS6detail15normal_iteratorINS9_10device_ptrIiEEEENSB_INSC_IjEEEESG_jNS9_4plusIvEENS9_8equal_toIvEEjEE10hipError_tPvRmT2_T3_T4_T5_mT6_T7_P12ihipStream_tbENKUlT_T0_E_clISt17integral_constantIbLb0EES11_EEDaSW_SX_EUlSW_E_NS1_11comp_targetILNS1_3genE0ELNS1_11target_archE4294967295ELNS1_3gpuE0ELNS1_3repE0EEENS1_30default_config_static_selectorELNS0_4arch9wavefront6targetE1EEEvT1_, .Lfunc_end1499-_ZN7rocprim17ROCPRIM_400000_NS6detail17trampoline_kernelINS0_14default_configENS1_27scan_by_key_config_selectorIijEEZZNS1_16scan_by_key_implILNS1_25lookback_scan_determinismE0ELb1ES3_N6thrust23THRUST_200600_302600_NS6detail15normal_iteratorINS9_10device_ptrIiEEEENSB_INSC_IjEEEESG_jNS9_4plusIvEENS9_8equal_toIvEEjEE10hipError_tPvRmT2_T3_T4_T5_mT6_T7_P12ihipStream_tbENKUlT_T0_E_clISt17integral_constantIbLb0EES11_EEDaSW_SX_EUlSW_E_NS1_11comp_targetILNS1_3genE0ELNS1_11target_archE4294967295ELNS1_3gpuE0ELNS1_3repE0EEENS1_30default_config_static_selectorELNS0_4arch9wavefront6targetE1EEEvT1_
                                        ; -- End function
	.section	.AMDGPU.csdata,"",@progbits
; Kernel info:
; codeLenInByte = 0
; NumSgprs: 4
; NumVgprs: 0
; NumAgprs: 0
; TotalNumVgprs: 0
; ScratchSize: 0
; MemoryBound: 0
; FloatMode: 240
; IeeeMode: 1
; LDSByteSize: 0 bytes/workgroup (compile time only)
; SGPRBlocks: 0
; VGPRBlocks: 0
; NumSGPRsForWavesPerEU: 4
; NumVGPRsForWavesPerEU: 1
; AccumOffset: 4
; Occupancy: 8
; WaveLimiterHint : 0
; COMPUTE_PGM_RSRC2:SCRATCH_EN: 0
; COMPUTE_PGM_RSRC2:USER_SGPR: 6
; COMPUTE_PGM_RSRC2:TRAP_HANDLER: 0
; COMPUTE_PGM_RSRC2:TGID_X_EN: 1
; COMPUTE_PGM_RSRC2:TGID_Y_EN: 0
; COMPUTE_PGM_RSRC2:TGID_Z_EN: 0
; COMPUTE_PGM_RSRC2:TIDIG_COMP_CNT: 0
; COMPUTE_PGM_RSRC3_GFX90A:ACCUM_OFFSET: 0
; COMPUTE_PGM_RSRC3_GFX90A:TG_SPLIT: 0
	.section	.text._ZN7rocprim17ROCPRIM_400000_NS6detail17trampoline_kernelINS0_14default_configENS1_27scan_by_key_config_selectorIijEEZZNS1_16scan_by_key_implILNS1_25lookback_scan_determinismE0ELb1ES3_N6thrust23THRUST_200600_302600_NS6detail15normal_iteratorINS9_10device_ptrIiEEEENSB_INSC_IjEEEESG_jNS9_4plusIvEENS9_8equal_toIvEEjEE10hipError_tPvRmT2_T3_T4_T5_mT6_T7_P12ihipStream_tbENKUlT_T0_E_clISt17integral_constantIbLb0EES11_EEDaSW_SX_EUlSW_E_NS1_11comp_targetILNS1_3genE10ELNS1_11target_archE1201ELNS1_3gpuE5ELNS1_3repE0EEENS1_30default_config_static_selectorELNS0_4arch9wavefront6targetE1EEEvT1_,"axG",@progbits,_ZN7rocprim17ROCPRIM_400000_NS6detail17trampoline_kernelINS0_14default_configENS1_27scan_by_key_config_selectorIijEEZZNS1_16scan_by_key_implILNS1_25lookback_scan_determinismE0ELb1ES3_N6thrust23THRUST_200600_302600_NS6detail15normal_iteratorINS9_10device_ptrIiEEEENSB_INSC_IjEEEESG_jNS9_4plusIvEENS9_8equal_toIvEEjEE10hipError_tPvRmT2_T3_T4_T5_mT6_T7_P12ihipStream_tbENKUlT_T0_E_clISt17integral_constantIbLb0EES11_EEDaSW_SX_EUlSW_E_NS1_11comp_targetILNS1_3genE10ELNS1_11target_archE1201ELNS1_3gpuE5ELNS1_3repE0EEENS1_30default_config_static_selectorELNS0_4arch9wavefront6targetE1EEEvT1_,comdat
	.protected	_ZN7rocprim17ROCPRIM_400000_NS6detail17trampoline_kernelINS0_14default_configENS1_27scan_by_key_config_selectorIijEEZZNS1_16scan_by_key_implILNS1_25lookback_scan_determinismE0ELb1ES3_N6thrust23THRUST_200600_302600_NS6detail15normal_iteratorINS9_10device_ptrIiEEEENSB_INSC_IjEEEESG_jNS9_4plusIvEENS9_8equal_toIvEEjEE10hipError_tPvRmT2_T3_T4_T5_mT6_T7_P12ihipStream_tbENKUlT_T0_E_clISt17integral_constantIbLb0EES11_EEDaSW_SX_EUlSW_E_NS1_11comp_targetILNS1_3genE10ELNS1_11target_archE1201ELNS1_3gpuE5ELNS1_3repE0EEENS1_30default_config_static_selectorELNS0_4arch9wavefront6targetE1EEEvT1_ ; -- Begin function _ZN7rocprim17ROCPRIM_400000_NS6detail17trampoline_kernelINS0_14default_configENS1_27scan_by_key_config_selectorIijEEZZNS1_16scan_by_key_implILNS1_25lookback_scan_determinismE0ELb1ES3_N6thrust23THRUST_200600_302600_NS6detail15normal_iteratorINS9_10device_ptrIiEEEENSB_INSC_IjEEEESG_jNS9_4plusIvEENS9_8equal_toIvEEjEE10hipError_tPvRmT2_T3_T4_T5_mT6_T7_P12ihipStream_tbENKUlT_T0_E_clISt17integral_constantIbLb0EES11_EEDaSW_SX_EUlSW_E_NS1_11comp_targetILNS1_3genE10ELNS1_11target_archE1201ELNS1_3gpuE5ELNS1_3repE0EEENS1_30default_config_static_selectorELNS0_4arch9wavefront6targetE1EEEvT1_
	.globl	_ZN7rocprim17ROCPRIM_400000_NS6detail17trampoline_kernelINS0_14default_configENS1_27scan_by_key_config_selectorIijEEZZNS1_16scan_by_key_implILNS1_25lookback_scan_determinismE0ELb1ES3_N6thrust23THRUST_200600_302600_NS6detail15normal_iteratorINS9_10device_ptrIiEEEENSB_INSC_IjEEEESG_jNS9_4plusIvEENS9_8equal_toIvEEjEE10hipError_tPvRmT2_T3_T4_T5_mT6_T7_P12ihipStream_tbENKUlT_T0_E_clISt17integral_constantIbLb0EES11_EEDaSW_SX_EUlSW_E_NS1_11comp_targetILNS1_3genE10ELNS1_11target_archE1201ELNS1_3gpuE5ELNS1_3repE0EEENS1_30default_config_static_selectorELNS0_4arch9wavefront6targetE1EEEvT1_
	.p2align	8
	.type	_ZN7rocprim17ROCPRIM_400000_NS6detail17trampoline_kernelINS0_14default_configENS1_27scan_by_key_config_selectorIijEEZZNS1_16scan_by_key_implILNS1_25lookback_scan_determinismE0ELb1ES3_N6thrust23THRUST_200600_302600_NS6detail15normal_iteratorINS9_10device_ptrIiEEEENSB_INSC_IjEEEESG_jNS9_4plusIvEENS9_8equal_toIvEEjEE10hipError_tPvRmT2_T3_T4_T5_mT6_T7_P12ihipStream_tbENKUlT_T0_E_clISt17integral_constantIbLb0EES11_EEDaSW_SX_EUlSW_E_NS1_11comp_targetILNS1_3genE10ELNS1_11target_archE1201ELNS1_3gpuE5ELNS1_3repE0EEENS1_30default_config_static_selectorELNS0_4arch9wavefront6targetE1EEEvT1_,@function
_ZN7rocprim17ROCPRIM_400000_NS6detail17trampoline_kernelINS0_14default_configENS1_27scan_by_key_config_selectorIijEEZZNS1_16scan_by_key_implILNS1_25lookback_scan_determinismE0ELb1ES3_N6thrust23THRUST_200600_302600_NS6detail15normal_iteratorINS9_10device_ptrIiEEEENSB_INSC_IjEEEESG_jNS9_4plusIvEENS9_8equal_toIvEEjEE10hipError_tPvRmT2_T3_T4_T5_mT6_T7_P12ihipStream_tbENKUlT_T0_E_clISt17integral_constantIbLb0EES11_EEDaSW_SX_EUlSW_E_NS1_11comp_targetILNS1_3genE10ELNS1_11target_archE1201ELNS1_3gpuE5ELNS1_3repE0EEENS1_30default_config_static_selectorELNS0_4arch9wavefront6targetE1EEEvT1_: ; @_ZN7rocprim17ROCPRIM_400000_NS6detail17trampoline_kernelINS0_14default_configENS1_27scan_by_key_config_selectorIijEEZZNS1_16scan_by_key_implILNS1_25lookback_scan_determinismE0ELb1ES3_N6thrust23THRUST_200600_302600_NS6detail15normal_iteratorINS9_10device_ptrIiEEEENSB_INSC_IjEEEESG_jNS9_4plusIvEENS9_8equal_toIvEEjEE10hipError_tPvRmT2_T3_T4_T5_mT6_T7_P12ihipStream_tbENKUlT_T0_E_clISt17integral_constantIbLb0EES11_EEDaSW_SX_EUlSW_E_NS1_11comp_targetILNS1_3genE10ELNS1_11target_archE1201ELNS1_3gpuE5ELNS1_3repE0EEENS1_30default_config_static_selectorELNS0_4arch9wavefront6targetE1EEEvT1_
; %bb.0:
	.section	.rodata,"a",@progbits
	.p2align	6, 0x0
	.amdhsa_kernel _ZN7rocprim17ROCPRIM_400000_NS6detail17trampoline_kernelINS0_14default_configENS1_27scan_by_key_config_selectorIijEEZZNS1_16scan_by_key_implILNS1_25lookback_scan_determinismE0ELb1ES3_N6thrust23THRUST_200600_302600_NS6detail15normal_iteratorINS9_10device_ptrIiEEEENSB_INSC_IjEEEESG_jNS9_4plusIvEENS9_8equal_toIvEEjEE10hipError_tPvRmT2_T3_T4_T5_mT6_T7_P12ihipStream_tbENKUlT_T0_E_clISt17integral_constantIbLb0EES11_EEDaSW_SX_EUlSW_E_NS1_11comp_targetILNS1_3genE10ELNS1_11target_archE1201ELNS1_3gpuE5ELNS1_3repE0EEENS1_30default_config_static_selectorELNS0_4arch9wavefront6targetE1EEEvT1_
		.amdhsa_group_segment_fixed_size 0
		.amdhsa_private_segment_fixed_size 0
		.amdhsa_kernarg_size 112
		.amdhsa_user_sgpr_count 6
		.amdhsa_user_sgpr_private_segment_buffer 1
		.amdhsa_user_sgpr_dispatch_ptr 0
		.amdhsa_user_sgpr_queue_ptr 0
		.amdhsa_user_sgpr_kernarg_segment_ptr 1
		.amdhsa_user_sgpr_dispatch_id 0
		.amdhsa_user_sgpr_flat_scratch_init 0
		.amdhsa_user_sgpr_kernarg_preload_length 0
		.amdhsa_user_sgpr_kernarg_preload_offset 0
		.amdhsa_user_sgpr_private_segment_size 0
		.amdhsa_uses_dynamic_stack 0
		.amdhsa_system_sgpr_private_segment_wavefront_offset 0
		.amdhsa_system_sgpr_workgroup_id_x 1
		.amdhsa_system_sgpr_workgroup_id_y 0
		.amdhsa_system_sgpr_workgroup_id_z 0
		.amdhsa_system_sgpr_workgroup_info 0
		.amdhsa_system_vgpr_workitem_id 0
		.amdhsa_next_free_vgpr 1
		.amdhsa_next_free_sgpr 0
		.amdhsa_accum_offset 4
		.amdhsa_reserve_vcc 0
		.amdhsa_reserve_flat_scratch 0
		.amdhsa_float_round_mode_32 0
		.amdhsa_float_round_mode_16_64 0
		.amdhsa_float_denorm_mode_32 3
		.amdhsa_float_denorm_mode_16_64 3
		.amdhsa_dx10_clamp 1
		.amdhsa_ieee_mode 1
		.amdhsa_fp16_overflow 0
		.amdhsa_tg_split 0
		.amdhsa_exception_fp_ieee_invalid_op 0
		.amdhsa_exception_fp_denorm_src 0
		.amdhsa_exception_fp_ieee_div_zero 0
		.amdhsa_exception_fp_ieee_overflow 0
		.amdhsa_exception_fp_ieee_underflow 0
		.amdhsa_exception_fp_ieee_inexact 0
		.amdhsa_exception_int_div_zero 0
	.end_amdhsa_kernel
	.section	.text._ZN7rocprim17ROCPRIM_400000_NS6detail17trampoline_kernelINS0_14default_configENS1_27scan_by_key_config_selectorIijEEZZNS1_16scan_by_key_implILNS1_25lookback_scan_determinismE0ELb1ES3_N6thrust23THRUST_200600_302600_NS6detail15normal_iteratorINS9_10device_ptrIiEEEENSB_INSC_IjEEEESG_jNS9_4plusIvEENS9_8equal_toIvEEjEE10hipError_tPvRmT2_T3_T4_T5_mT6_T7_P12ihipStream_tbENKUlT_T0_E_clISt17integral_constantIbLb0EES11_EEDaSW_SX_EUlSW_E_NS1_11comp_targetILNS1_3genE10ELNS1_11target_archE1201ELNS1_3gpuE5ELNS1_3repE0EEENS1_30default_config_static_selectorELNS0_4arch9wavefront6targetE1EEEvT1_,"axG",@progbits,_ZN7rocprim17ROCPRIM_400000_NS6detail17trampoline_kernelINS0_14default_configENS1_27scan_by_key_config_selectorIijEEZZNS1_16scan_by_key_implILNS1_25lookback_scan_determinismE0ELb1ES3_N6thrust23THRUST_200600_302600_NS6detail15normal_iteratorINS9_10device_ptrIiEEEENSB_INSC_IjEEEESG_jNS9_4plusIvEENS9_8equal_toIvEEjEE10hipError_tPvRmT2_T3_T4_T5_mT6_T7_P12ihipStream_tbENKUlT_T0_E_clISt17integral_constantIbLb0EES11_EEDaSW_SX_EUlSW_E_NS1_11comp_targetILNS1_3genE10ELNS1_11target_archE1201ELNS1_3gpuE5ELNS1_3repE0EEENS1_30default_config_static_selectorELNS0_4arch9wavefront6targetE1EEEvT1_,comdat
.Lfunc_end1500:
	.size	_ZN7rocprim17ROCPRIM_400000_NS6detail17trampoline_kernelINS0_14default_configENS1_27scan_by_key_config_selectorIijEEZZNS1_16scan_by_key_implILNS1_25lookback_scan_determinismE0ELb1ES3_N6thrust23THRUST_200600_302600_NS6detail15normal_iteratorINS9_10device_ptrIiEEEENSB_INSC_IjEEEESG_jNS9_4plusIvEENS9_8equal_toIvEEjEE10hipError_tPvRmT2_T3_T4_T5_mT6_T7_P12ihipStream_tbENKUlT_T0_E_clISt17integral_constantIbLb0EES11_EEDaSW_SX_EUlSW_E_NS1_11comp_targetILNS1_3genE10ELNS1_11target_archE1201ELNS1_3gpuE5ELNS1_3repE0EEENS1_30default_config_static_selectorELNS0_4arch9wavefront6targetE1EEEvT1_, .Lfunc_end1500-_ZN7rocprim17ROCPRIM_400000_NS6detail17trampoline_kernelINS0_14default_configENS1_27scan_by_key_config_selectorIijEEZZNS1_16scan_by_key_implILNS1_25lookback_scan_determinismE0ELb1ES3_N6thrust23THRUST_200600_302600_NS6detail15normal_iteratorINS9_10device_ptrIiEEEENSB_INSC_IjEEEESG_jNS9_4plusIvEENS9_8equal_toIvEEjEE10hipError_tPvRmT2_T3_T4_T5_mT6_T7_P12ihipStream_tbENKUlT_T0_E_clISt17integral_constantIbLb0EES11_EEDaSW_SX_EUlSW_E_NS1_11comp_targetILNS1_3genE10ELNS1_11target_archE1201ELNS1_3gpuE5ELNS1_3repE0EEENS1_30default_config_static_selectorELNS0_4arch9wavefront6targetE1EEEvT1_
                                        ; -- End function
	.section	.AMDGPU.csdata,"",@progbits
; Kernel info:
; codeLenInByte = 0
; NumSgprs: 4
; NumVgprs: 0
; NumAgprs: 0
; TotalNumVgprs: 0
; ScratchSize: 0
; MemoryBound: 0
; FloatMode: 240
; IeeeMode: 1
; LDSByteSize: 0 bytes/workgroup (compile time only)
; SGPRBlocks: 0
; VGPRBlocks: 0
; NumSGPRsForWavesPerEU: 4
; NumVGPRsForWavesPerEU: 1
; AccumOffset: 4
; Occupancy: 8
; WaveLimiterHint : 0
; COMPUTE_PGM_RSRC2:SCRATCH_EN: 0
; COMPUTE_PGM_RSRC2:USER_SGPR: 6
; COMPUTE_PGM_RSRC2:TRAP_HANDLER: 0
; COMPUTE_PGM_RSRC2:TGID_X_EN: 1
; COMPUTE_PGM_RSRC2:TGID_Y_EN: 0
; COMPUTE_PGM_RSRC2:TGID_Z_EN: 0
; COMPUTE_PGM_RSRC2:TIDIG_COMP_CNT: 0
; COMPUTE_PGM_RSRC3_GFX90A:ACCUM_OFFSET: 0
; COMPUTE_PGM_RSRC3_GFX90A:TG_SPLIT: 0
	.section	.text._ZN7rocprim17ROCPRIM_400000_NS6detail17trampoline_kernelINS0_14default_configENS1_27scan_by_key_config_selectorIijEEZZNS1_16scan_by_key_implILNS1_25lookback_scan_determinismE0ELb1ES3_N6thrust23THRUST_200600_302600_NS6detail15normal_iteratorINS9_10device_ptrIiEEEENSB_INSC_IjEEEESG_jNS9_4plusIvEENS9_8equal_toIvEEjEE10hipError_tPvRmT2_T3_T4_T5_mT6_T7_P12ihipStream_tbENKUlT_T0_E_clISt17integral_constantIbLb0EES11_EEDaSW_SX_EUlSW_E_NS1_11comp_targetILNS1_3genE5ELNS1_11target_archE942ELNS1_3gpuE9ELNS1_3repE0EEENS1_30default_config_static_selectorELNS0_4arch9wavefront6targetE1EEEvT1_,"axG",@progbits,_ZN7rocprim17ROCPRIM_400000_NS6detail17trampoline_kernelINS0_14default_configENS1_27scan_by_key_config_selectorIijEEZZNS1_16scan_by_key_implILNS1_25lookback_scan_determinismE0ELb1ES3_N6thrust23THRUST_200600_302600_NS6detail15normal_iteratorINS9_10device_ptrIiEEEENSB_INSC_IjEEEESG_jNS9_4plusIvEENS9_8equal_toIvEEjEE10hipError_tPvRmT2_T3_T4_T5_mT6_T7_P12ihipStream_tbENKUlT_T0_E_clISt17integral_constantIbLb0EES11_EEDaSW_SX_EUlSW_E_NS1_11comp_targetILNS1_3genE5ELNS1_11target_archE942ELNS1_3gpuE9ELNS1_3repE0EEENS1_30default_config_static_selectorELNS0_4arch9wavefront6targetE1EEEvT1_,comdat
	.protected	_ZN7rocprim17ROCPRIM_400000_NS6detail17trampoline_kernelINS0_14default_configENS1_27scan_by_key_config_selectorIijEEZZNS1_16scan_by_key_implILNS1_25lookback_scan_determinismE0ELb1ES3_N6thrust23THRUST_200600_302600_NS6detail15normal_iteratorINS9_10device_ptrIiEEEENSB_INSC_IjEEEESG_jNS9_4plusIvEENS9_8equal_toIvEEjEE10hipError_tPvRmT2_T3_T4_T5_mT6_T7_P12ihipStream_tbENKUlT_T0_E_clISt17integral_constantIbLb0EES11_EEDaSW_SX_EUlSW_E_NS1_11comp_targetILNS1_3genE5ELNS1_11target_archE942ELNS1_3gpuE9ELNS1_3repE0EEENS1_30default_config_static_selectorELNS0_4arch9wavefront6targetE1EEEvT1_ ; -- Begin function _ZN7rocprim17ROCPRIM_400000_NS6detail17trampoline_kernelINS0_14default_configENS1_27scan_by_key_config_selectorIijEEZZNS1_16scan_by_key_implILNS1_25lookback_scan_determinismE0ELb1ES3_N6thrust23THRUST_200600_302600_NS6detail15normal_iteratorINS9_10device_ptrIiEEEENSB_INSC_IjEEEESG_jNS9_4plusIvEENS9_8equal_toIvEEjEE10hipError_tPvRmT2_T3_T4_T5_mT6_T7_P12ihipStream_tbENKUlT_T0_E_clISt17integral_constantIbLb0EES11_EEDaSW_SX_EUlSW_E_NS1_11comp_targetILNS1_3genE5ELNS1_11target_archE942ELNS1_3gpuE9ELNS1_3repE0EEENS1_30default_config_static_selectorELNS0_4arch9wavefront6targetE1EEEvT1_
	.globl	_ZN7rocprim17ROCPRIM_400000_NS6detail17trampoline_kernelINS0_14default_configENS1_27scan_by_key_config_selectorIijEEZZNS1_16scan_by_key_implILNS1_25lookback_scan_determinismE0ELb1ES3_N6thrust23THRUST_200600_302600_NS6detail15normal_iteratorINS9_10device_ptrIiEEEENSB_INSC_IjEEEESG_jNS9_4plusIvEENS9_8equal_toIvEEjEE10hipError_tPvRmT2_T3_T4_T5_mT6_T7_P12ihipStream_tbENKUlT_T0_E_clISt17integral_constantIbLb0EES11_EEDaSW_SX_EUlSW_E_NS1_11comp_targetILNS1_3genE5ELNS1_11target_archE942ELNS1_3gpuE9ELNS1_3repE0EEENS1_30default_config_static_selectorELNS0_4arch9wavefront6targetE1EEEvT1_
	.p2align	8
	.type	_ZN7rocprim17ROCPRIM_400000_NS6detail17trampoline_kernelINS0_14default_configENS1_27scan_by_key_config_selectorIijEEZZNS1_16scan_by_key_implILNS1_25lookback_scan_determinismE0ELb1ES3_N6thrust23THRUST_200600_302600_NS6detail15normal_iteratorINS9_10device_ptrIiEEEENSB_INSC_IjEEEESG_jNS9_4plusIvEENS9_8equal_toIvEEjEE10hipError_tPvRmT2_T3_T4_T5_mT6_T7_P12ihipStream_tbENKUlT_T0_E_clISt17integral_constantIbLb0EES11_EEDaSW_SX_EUlSW_E_NS1_11comp_targetILNS1_3genE5ELNS1_11target_archE942ELNS1_3gpuE9ELNS1_3repE0EEENS1_30default_config_static_selectorELNS0_4arch9wavefront6targetE1EEEvT1_,@function
_ZN7rocprim17ROCPRIM_400000_NS6detail17trampoline_kernelINS0_14default_configENS1_27scan_by_key_config_selectorIijEEZZNS1_16scan_by_key_implILNS1_25lookback_scan_determinismE0ELb1ES3_N6thrust23THRUST_200600_302600_NS6detail15normal_iteratorINS9_10device_ptrIiEEEENSB_INSC_IjEEEESG_jNS9_4plusIvEENS9_8equal_toIvEEjEE10hipError_tPvRmT2_T3_T4_T5_mT6_T7_P12ihipStream_tbENKUlT_T0_E_clISt17integral_constantIbLb0EES11_EEDaSW_SX_EUlSW_E_NS1_11comp_targetILNS1_3genE5ELNS1_11target_archE942ELNS1_3gpuE9ELNS1_3repE0EEENS1_30default_config_static_selectorELNS0_4arch9wavefront6targetE1EEEvT1_: ; @_ZN7rocprim17ROCPRIM_400000_NS6detail17trampoline_kernelINS0_14default_configENS1_27scan_by_key_config_selectorIijEEZZNS1_16scan_by_key_implILNS1_25lookback_scan_determinismE0ELb1ES3_N6thrust23THRUST_200600_302600_NS6detail15normal_iteratorINS9_10device_ptrIiEEEENSB_INSC_IjEEEESG_jNS9_4plusIvEENS9_8equal_toIvEEjEE10hipError_tPvRmT2_T3_T4_T5_mT6_T7_P12ihipStream_tbENKUlT_T0_E_clISt17integral_constantIbLb0EES11_EEDaSW_SX_EUlSW_E_NS1_11comp_targetILNS1_3genE5ELNS1_11target_archE942ELNS1_3gpuE9ELNS1_3repE0EEENS1_30default_config_static_selectorELNS0_4arch9wavefront6targetE1EEEvT1_
; %bb.0:
	.section	.rodata,"a",@progbits
	.p2align	6, 0x0
	.amdhsa_kernel _ZN7rocprim17ROCPRIM_400000_NS6detail17trampoline_kernelINS0_14default_configENS1_27scan_by_key_config_selectorIijEEZZNS1_16scan_by_key_implILNS1_25lookback_scan_determinismE0ELb1ES3_N6thrust23THRUST_200600_302600_NS6detail15normal_iteratorINS9_10device_ptrIiEEEENSB_INSC_IjEEEESG_jNS9_4plusIvEENS9_8equal_toIvEEjEE10hipError_tPvRmT2_T3_T4_T5_mT6_T7_P12ihipStream_tbENKUlT_T0_E_clISt17integral_constantIbLb0EES11_EEDaSW_SX_EUlSW_E_NS1_11comp_targetILNS1_3genE5ELNS1_11target_archE942ELNS1_3gpuE9ELNS1_3repE0EEENS1_30default_config_static_selectorELNS0_4arch9wavefront6targetE1EEEvT1_
		.amdhsa_group_segment_fixed_size 0
		.amdhsa_private_segment_fixed_size 0
		.amdhsa_kernarg_size 112
		.amdhsa_user_sgpr_count 6
		.amdhsa_user_sgpr_private_segment_buffer 1
		.amdhsa_user_sgpr_dispatch_ptr 0
		.amdhsa_user_sgpr_queue_ptr 0
		.amdhsa_user_sgpr_kernarg_segment_ptr 1
		.amdhsa_user_sgpr_dispatch_id 0
		.amdhsa_user_sgpr_flat_scratch_init 0
		.amdhsa_user_sgpr_kernarg_preload_length 0
		.amdhsa_user_sgpr_kernarg_preload_offset 0
		.amdhsa_user_sgpr_private_segment_size 0
		.amdhsa_uses_dynamic_stack 0
		.amdhsa_system_sgpr_private_segment_wavefront_offset 0
		.amdhsa_system_sgpr_workgroup_id_x 1
		.amdhsa_system_sgpr_workgroup_id_y 0
		.amdhsa_system_sgpr_workgroup_id_z 0
		.amdhsa_system_sgpr_workgroup_info 0
		.amdhsa_system_vgpr_workitem_id 0
		.amdhsa_next_free_vgpr 1
		.amdhsa_next_free_sgpr 0
		.amdhsa_accum_offset 4
		.amdhsa_reserve_vcc 0
		.amdhsa_reserve_flat_scratch 0
		.amdhsa_float_round_mode_32 0
		.amdhsa_float_round_mode_16_64 0
		.amdhsa_float_denorm_mode_32 3
		.amdhsa_float_denorm_mode_16_64 3
		.amdhsa_dx10_clamp 1
		.amdhsa_ieee_mode 1
		.amdhsa_fp16_overflow 0
		.amdhsa_tg_split 0
		.amdhsa_exception_fp_ieee_invalid_op 0
		.amdhsa_exception_fp_denorm_src 0
		.amdhsa_exception_fp_ieee_div_zero 0
		.amdhsa_exception_fp_ieee_overflow 0
		.amdhsa_exception_fp_ieee_underflow 0
		.amdhsa_exception_fp_ieee_inexact 0
		.amdhsa_exception_int_div_zero 0
	.end_amdhsa_kernel
	.section	.text._ZN7rocprim17ROCPRIM_400000_NS6detail17trampoline_kernelINS0_14default_configENS1_27scan_by_key_config_selectorIijEEZZNS1_16scan_by_key_implILNS1_25lookback_scan_determinismE0ELb1ES3_N6thrust23THRUST_200600_302600_NS6detail15normal_iteratorINS9_10device_ptrIiEEEENSB_INSC_IjEEEESG_jNS9_4plusIvEENS9_8equal_toIvEEjEE10hipError_tPvRmT2_T3_T4_T5_mT6_T7_P12ihipStream_tbENKUlT_T0_E_clISt17integral_constantIbLb0EES11_EEDaSW_SX_EUlSW_E_NS1_11comp_targetILNS1_3genE5ELNS1_11target_archE942ELNS1_3gpuE9ELNS1_3repE0EEENS1_30default_config_static_selectorELNS0_4arch9wavefront6targetE1EEEvT1_,"axG",@progbits,_ZN7rocprim17ROCPRIM_400000_NS6detail17trampoline_kernelINS0_14default_configENS1_27scan_by_key_config_selectorIijEEZZNS1_16scan_by_key_implILNS1_25lookback_scan_determinismE0ELb1ES3_N6thrust23THRUST_200600_302600_NS6detail15normal_iteratorINS9_10device_ptrIiEEEENSB_INSC_IjEEEESG_jNS9_4plusIvEENS9_8equal_toIvEEjEE10hipError_tPvRmT2_T3_T4_T5_mT6_T7_P12ihipStream_tbENKUlT_T0_E_clISt17integral_constantIbLb0EES11_EEDaSW_SX_EUlSW_E_NS1_11comp_targetILNS1_3genE5ELNS1_11target_archE942ELNS1_3gpuE9ELNS1_3repE0EEENS1_30default_config_static_selectorELNS0_4arch9wavefront6targetE1EEEvT1_,comdat
.Lfunc_end1501:
	.size	_ZN7rocprim17ROCPRIM_400000_NS6detail17trampoline_kernelINS0_14default_configENS1_27scan_by_key_config_selectorIijEEZZNS1_16scan_by_key_implILNS1_25lookback_scan_determinismE0ELb1ES3_N6thrust23THRUST_200600_302600_NS6detail15normal_iteratorINS9_10device_ptrIiEEEENSB_INSC_IjEEEESG_jNS9_4plusIvEENS9_8equal_toIvEEjEE10hipError_tPvRmT2_T3_T4_T5_mT6_T7_P12ihipStream_tbENKUlT_T0_E_clISt17integral_constantIbLb0EES11_EEDaSW_SX_EUlSW_E_NS1_11comp_targetILNS1_3genE5ELNS1_11target_archE942ELNS1_3gpuE9ELNS1_3repE0EEENS1_30default_config_static_selectorELNS0_4arch9wavefront6targetE1EEEvT1_, .Lfunc_end1501-_ZN7rocprim17ROCPRIM_400000_NS6detail17trampoline_kernelINS0_14default_configENS1_27scan_by_key_config_selectorIijEEZZNS1_16scan_by_key_implILNS1_25lookback_scan_determinismE0ELb1ES3_N6thrust23THRUST_200600_302600_NS6detail15normal_iteratorINS9_10device_ptrIiEEEENSB_INSC_IjEEEESG_jNS9_4plusIvEENS9_8equal_toIvEEjEE10hipError_tPvRmT2_T3_T4_T5_mT6_T7_P12ihipStream_tbENKUlT_T0_E_clISt17integral_constantIbLb0EES11_EEDaSW_SX_EUlSW_E_NS1_11comp_targetILNS1_3genE5ELNS1_11target_archE942ELNS1_3gpuE9ELNS1_3repE0EEENS1_30default_config_static_selectorELNS0_4arch9wavefront6targetE1EEEvT1_
                                        ; -- End function
	.section	.AMDGPU.csdata,"",@progbits
; Kernel info:
; codeLenInByte = 0
; NumSgprs: 4
; NumVgprs: 0
; NumAgprs: 0
; TotalNumVgprs: 0
; ScratchSize: 0
; MemoryBound: 0
; FloatMode: 240
; IeeeMode: 1
; LDSByteSize: 0 bytes/workgroup (compile time only)
; SGPRBlocks: 0
; VGPRBlocks: 0
; NumSGPRsForWavesPerEU: 4
; NumVGPRsForWavesPerEU: 1
; AccumOffset: 4
; Occupancy: 8
; WaveLimiterHint : 0
; COMPUTE_PGM_RSRC2:SCRATCH_EN: 0
; COMPUTE_PGM_RSRC2:USER_SGPR: 6
; COMPUTE_PGM_RSRC2:TRAP_HANDLER: 0
; COMPUTE_PGM_RSRC2:TGID_X_EN: 1
; COMPUTE_PGM_RSRC2:TGID_Y_EN: 0
; COMPUTE_PGM_RSRC2:TGID_Z_EN: 0
; COMPUTE_PGM_RSRC2:TIDIG_COMP_CNT: 0
; COMPUTE_PGM_RSRC3_GFX90A:ACCUM_OFFSET: 0
; COMPUTE_PGM_RSRC3_GFX90A:TG_SPLIT: 0
	.section	.text._ZN7rocprim17ROCPRIM_400000_NS6detail17trampoline_kernelINS0_14default_configENS1_27scan_by_key_config_selectorIijEEZZNS1_16scan_by_key_implILNS1_25lookback_scan_determinismE0ELb1ES3_N6thrust23THRUST_200600_302600_NS6detail15normal_iteratorINS9_10device_ptrIiEEEENSB_INSC_IjEEEESG_jNS9_4plusIvEENS9_8equal_toIvEEjEE10hipError_tPvRmT2_T3_T4_T5_mT6_T7_P12ihipStream_tbENKUlT_T0_E_clISt17integral_constantIbLb0EES11_EEDaSW_SX_EUlSW_E_NS1_11comp_targetILNS1_3genE4ELNS1_11target_archE910ELNS1_3gpuE8ELNS1_3repE0EEENS1_30default_config_static_selectorELNS0_4arch9wavefront6targetE1EEEvT1_,"axG",@progbits,_ZN7rocprim17ROCPRIM_400000_NS6detail17trampoline_kernelINS0_14default_configENS1_27scan_by_key_config_selectorIijEEZZNS1_16scan_by_key_implILNS1_25lookback_scan_determinismE0ELb1ES3_N6thrust23THRUST_200600_302600_NS6detail15normal_iteratorINS9_10device_ptrIiEEEENSB_INSC_IjEEEESG_jNS9_4plusIvEENS9_8equal_toIvEEjEE10hipError_tPvRmT2_T3_T4_T5_mT6_T7_P12ihipStream_tbENKUlT_T0_E_clISt17integral_constantIbLb0EES11_EEDaSW_SX_EUlSW_E_NS1_11comp_targetILNS1_3genE4ELNS1_11target_archE910ELNS1_3gpuE8ELNS1_3repE0EEENS1_30default_config_static_selectorELNS0_4arch9wavefront6targetE1EEEvT1_,comdat
	.protected	_ZN7rocprim17ROCPRIM_400000_NS6detail17trampoline_kernelINS0_14default_configENS1_27scan_by_key_config_selectorIijEEZZNS1_16scan_by_key_implILNS1_25lookback_scan_determinismE0ELb1ES3_N6thrust23THRUST_200600_302600_NS6detail15normal_iteratorINS9_10device_ptrIiEEEENSB_INSC_IjEEEESG_jNS9_4plusIvEENS9_8equal_toIvEEjEE10hipError_tPvRmT2_T3_T4_T5_mT6_T7_P12ihipStream_tbENKUlT_T0_E_clISt17integral_constantIbLb0EES11_EEDaSW_SX_EUlSW_E_NS1_11comp_targetILNS1_3genE4ELNS1_11target_archE910ELNS1_3gpuE8ELNS1_3repE0EEENS1_30default_config_static_selectorELNS0_4arch9wavefront6targetE1EEEvT1_ ; -- Begin function _ZN7rocprim17ROCPRIM_400000_NS6detail17trampoline_kernelINS0_14default_configENS1_27scan_by_key_config_selectorIijEEZZNS1_16scan_by_key_implILNS1_25lookback_scan_determinismE0ELb1ES3_N6thrust23THRUST_200600_302600_NS6detail15normal_iteratorINS9_10device_ptrIiEEEENSB_INSC_IjEEEESG_jNS9_4plusIvEENS9_8equal_toIvEEjEE10hipError_tPvRmT2_T3_T4_T5_mT6_T7_P12ihipStream_tbENKUlT_T0_E_clISt17integral_constantIbLb0EES11_EEDaSW_SX_EUlSW_E_NS1_11comp_targetILNS1_3genE4ELNS1_11target_archE910ELNS1_3gpuE8ELNS1_3repE0EEENS1_30default_config_static_selectorELNS0_4arch9wavefront6targetE1EEEvT1_
	.globl	_ZN7rocprim17ROCPRIM_400000_NS6detail17trampoline_kernelINS0_14default_configENS1_27scan_by_key_config_selectorIijEEZZNS1_16scan_by_key_implILNS1_25lookback_scan_determinismE0ELb1ES3_N6thrust23THRUST_200600_302600_NS6detail15normal_iteratorINS9_10device_ptrIiEEEENSB_INSC_IjEEEESG_jNS9_4plusIvEENS9_8equal_toIvEEjEE10hipError_tPvRmT2_T3_T4_T5_mT6_T7_P12ihipStream_tbENKUlT_T0_E_clISt17integral_constantIbLb0EES11_EEDaSW_SX_EUlSW_E_NS1_11comp_targetILNS1_3genE4ELNS1_11target_archE910ELNS1_3gpuE8ELNS1_3repE0EEENS1_30default_config_static_selectorELNS0_4arch9wavefront6targetE1EEEvT1_
	.p2align	8
	.type	_ZN7rocprim17ROCPRIM_400000_NS6detail17trampoline_kernelINS0_14default_configENS1_27scan_by_key_config_selectorIijEEZZNS1_16scan_by_key_implILNS1_25lookback_scan_determinismE0ELb1ES3_N6thrust23THRUST_200600_302600_NS6detail15normal_iteratorINS9_10device_ptrIiEEEENSB_INSC_IjEEEESG_jNS9_4plusIvEENS9_8equal_toIvEEjEE10hipError_tPvRmT2_T3_T4_T5_mT6_T7_P12ihipStream_tbENKUlT_T0_E_clISt17integral_constantIbLb0EES11_EEDaSW_SX_EUlSW_E_NS1_11comp_targetILNS1_3genE4ELNS1_11target_archE910ELNS1_3gpuE8ELNS1_3repE0EEENS1_30default_config_static_selectorELNS0_4arch9wavefront6targetE1EEEvT1_,@function
_ZN7rocprim17ROCPRIM_400000_NS6detail17trampoline_kernelINS0_14default_configENS1_27scan_by_key_config_selectorIijEEZZNS1_16scan_by_key_implILNS1_25lookback_scan_determinismE0ELb1ES3_N6thrust23THRUST_200600_302600_NS6detail15normal_iteratorINS9_10device_ptrIiEEEENSB_INSC_IjEEEESG_jNS9_4plusIvEENS9_8equal_toIvEEjEE10hipError_tPvRmT2_T3_T4_T5_mT6_T7_P12ihipStream_tbENKUlT_T0_E_clISt17integral_constantIbLb0EES11_EEDaSW_SX_EUlSW_E_NS1_11comp_targetILNS1_3genE4ELNS1_11target_archE910ELNS1_3gpuE8ELNS1_3repE0EEENS1_30default_config_static_selectorELNS0_4arch9wavefront6targetE1EEEvT1_: ; @_ZN7rocprim17ROCPRIM_400000_NS6detail17trampoline_kernelINS0_14default_configENS1_27scan_by_key_config_selectorIijEEZZNS1_16scan_by_key_implILNS1_25lookback_scan_determinismE0ELb1ES3_N6thrust23THRUST_200600_302600_NS6detail15normal_iteratorINS9_10device_ptrIiEEEENSB_INSC_IjEEEESG_jNS9_4plusIvEENS9_8equal_toIvEEjEE10hipError_tPvRmT2_T3_T4_T5_mT6_T7_P12ihipStream_tbENKUlT_T0_E_clISt17integral_constantIbLb0EES11_EEDaSW_SX_EUlSW_E_NS1_11comp_targetILNS1_3genE4ELNS1_11target_archE910ELNS1_3gpuE8ELNS1_3repE0EEENS1_30default_config_static_selectorELNS0_4arch9wavefront6targetE1EEEvT1_
; %bb.0:
	s_load_dwordx8 s[36:43], s[4:5], 0x0
	s_load_dword s56, s[4:5], 0x20
	s_load_dwordx4 s[44:47], s[4:5], 0x28
	s_load_dwordx2 s[52:53], s[4:5], 0x38
	s_load_dword s0, s[4:5], 0x40
	s_load_dwordx4 s[48:51], s[4:5], 0x48
	s_waitcnt lgkmcnt(0)
	s_lshl_b64 s[34:35], s[38:39], 2
	s_add_u32 s2, s36, s34
	s_addc_u32 s3, s37, s35
	s_add_u32 s4, s40, s34
	s_mul_i32 s1, s53, s0
	s_mul_hi_u32 s7, s52, s0
	s_addc_u32 s5, s41, s35
	s_add_i32 s8, s7, s1
	s_mul_i32 s9, s52, s0
	s_mul_i32 s0, s6, 0xe00
	s_mov_b32 s1, 0
	s_lshl_b64 s[36:37], s[0:1], 2
	s_add_u32 s38, s2, s36
	s_addc_u32 s39, s3, s37
	s_add_u32 s7, s4, s36
	s_addc_u32 s47, s5, s37
	;; [unrolled: 2-line block ×3, first 2 shown]
	s_add_u32 s4, s48, -1
	s_addc_u32 s5, s49, -1
	v_pk_mov_b32 v[2:3], s[4:5], s[4:5] op_sel:[0,1]
	v_cmp_ge_u64_e64 s[0:1], s[0:1], v[2:3]
	s_mov_b64 s[2:3], -1
	s_and_b64 vcc, exec, s[0:1]
	s_mul_i32 s33, s4, 0xfffff200
	s_barrier
	s_cbranch_vccz .LBB1502_76
; %bb.1:
	v_pk_mov_b32 v[2:3], s[38:39], s[38:39] op_sel:[0,1]
	flat_load_dword v1, v[2:3]
	s_add_i32 s54, s33, s46
	v_cmp_gt_u32_e32 vcc, s54, v0
	s_waitcnt vmcnt(0) lgkmcnt(0)
	v_mov_b32_e32 v13, v1
	s_and_saveexec_b64 s[4:5], vcc
	s_cbranch_execz .LBB1502_3
; %bb.2:
	v_lshlrev_b32_e32 v2, 2, v0
	v_mov_b32_e32 v3, s39
	v_add_co_u32_e64 v2, s[2:3], s38, v2
	v_addc_co_u32_e64 v3, s[2:3], 0, v3, s[2:3]
	flat_load_dword v13, v[2:3]
.LBB1502_3:
	s_or_b64 exec, exec, s[4:5]
	v_or_b32_e32 v2, 0x100, v0
	v_cmp_gt_u32_e64 s[2:3], s54, v2
	v_mov_b32_e32 v14, v1
	s_and_saveexec_b64 s[8:9], s[2:3]
	s_cbranch_execz .LBB1502_5
; %bb.4:
	v_lshlrev_b32_e32 v2, 2, v0
	v_mov_b32_e32 v3, s39
	v_add_co_u32_e64 v2, s[4:5], s38, v2
	v_addc_co_u32_e64 v3, s[4:5], 0, v3, s[4:5]
	flat_load_dword v14, v[2:3] offset:1024
.LBB1502_5:
	s_or_b64 exec, exec, s[8:9]
	v_or_b32_e32 v2, 0x200, v0
	v_cmp_gt_u32_e64 s[4:5], s54, v2
	v_mov_b32_e32 v15, v1
	s_and_saveexec_b64 s[10:11], s[4:5]
	s_cbranch_execz .LBB1502_7
; %bb.6:
	v_lshlrev_b32_e32 v2, 2, v0
	v_mov_b32_e32 v3, s39
	v_add_co_u32_e64 v2, s[8:9], s38, v2
	v_addc_co_u32_e64 v3, s[8:9], 0, v3, s[8:9]
	flat_load_dword v15, v[2:3] offset:2048
.LBB1502_7:
	;; [unrolled: 13-line block ×3, first 2 shown]
	s_or_b64 exec, exec, s[10:11]
	v_or_b32_e32 v2, 0x400, v0
	v_cmp_gt_u32_e64 s[8:9], s54, v2
	v_lshlrev_b32_e32 v2, 2, v2
	v_mov_b32_e32 v17, v1
	s_and_saveexec_b64 s[12:13], s[8:9]
	s_cbranch_execz .LBB1502_11
; %bb.10:
	v_mov_b32_e32 v3, s39
	v_add_co_u32_e64 v4, s[10:11], s38, v2
	v_addc_co_u32_e64 v5, s[10:11], 0, v3, s[10:11]
	flat_load_dword v17, v[4:5]
.LBB1502_11:
	s_or_b64 exec, exec, s[12:13]
	v_or_b32_e32 v3, 0x500, v0
	v_cmp_gt_u32_e64 s[10:11], s54, v3
	v_lshlrev_b32_e32 v3, 2, v3
	v_mov_b32_e32 v18, v1
	s_and_saveexec_b64 s[14:15], s[10:11]
	s_cbranch_execz .LBB1502_13
; %bb.12:
	v_mov_b32_e32 v5, s39
	v_add_co_u32_e64 v4, s[12:13], s38, v3
	v_addc_co_u32_e64 v5, s[12:13], 0, v5, s[12:13]
	flat_load_dword v18, v[4:5]
.LBB1502_13:
	;; [unrolled: 13-line block ×9, first 2 shown]
	s_or_b64 exec, exec, s[30:31]
	v_or_b32_e32 v11, 0xd00, v0
	v_cmp_gt_u32_e64 s[26:27], s54, v11
	v_lshlrev_b32_e32 v11, 2, v11
	s_and_saveexec_b64 s[40:41], s[26:27]
	s_cbranch_execz .LBB1502_29
; %bb.28:
	v_mov_b32_e32 v1, s39
	v_add_co_u32_e64 v26, s[30:31], s38, v11
	v_addc_co_u32_e64 v27, s[30:31], 0, v1, s[30:31]
	flat_load_dword v1, v[26:27]
.LBB1502_29:
	s_or_b64 exec, exec, s[40:41]
	v_lshlrev_b32_e32 v12, 2, v0
	s_waitcnt vmcnt(0) lgkmcnt(0)
	ds_write2st64_b32 v12, v13, v14 offset1:4
	ds_write2st64_b32 v12, v15, v16 offset0:8 offset1:12
	ds_write2st64_b32 v12, v17, v18 offset0:16 offset1:20
	;; [unrolled: 1-line block ×6, first 2 shown]
	v_pk_mov_b32 v[14:15], s[38:39], s[38:39] op_sel:[0,1]
	s_waitcnt lgkmcnt(0)
	s_barrier
	flat_load_dword v1, v[14:15]
	v_mad_u32_u24 v44, v0, 52, v12
	s_movk_i32 s30, 0xffcc
	ds_read2_b64 v[34:37], v44 offset1:1
	ds_read2_b64 v[30:33], v44 offset0:2 offset1:3
	ds_read2_b64 v[26:29], v44 offset0:4 offset1:5
	ds_read_b64 v[40:41], v44 offset:48
	v_mad_i32_i24 v13, v0, s30, v44
	s_movk_i32 s30, 0xff
	v_cmp_ne_u32_e64 s[30:31], s30, v0
	s_waitcnt lgkmcnt(0)
	ds_write_b32 v13, v34 offset:15360
	s_waitcnt lgkmcnt(0)
	s_barrier
	s_and_saveexec_b64 s[40:41], s[30:31]
	s_cbranch_execz .LBB1502_31
; %bb.30:
	s_waitcnt vmcnt(0)
	ds_read_b32 v1, v12 offset:15364
.LBB1502_31:
	s_or_b64 exec, exec, s[40:41]
	s_waitcnt lgkmcnt(0)
	s_barrier
	s_waitcnt lgkmcnt(0)
                                        ; implicit-def: $vgpr13
	s_and_saveexec_b64 s[30:31], vcc
	s_cbranch_execz .LBB1502_113
; %bb.32:
	v_mov_b32_e32 v13, s47
	v_add_co_u32_e32 v14, vcc, s7, v12
	v_addc_co_u32_e32 v15, vcc, 0, v13, vcc
	flat_load_dword v13, v[14:15]
	s_or_b64 exec, exec, s[30:31]
                                        ; implicit-def: $vgpr14
	s_and_saveexec_b64 s[30:31], s[2:3]
	s_cbranch_execnz .LBB1502_114
.LBB1502_33:
	s_or_b64 exec, exec, s[30:31]
                                        ; implicit-def: $vgpr15
	s_and_saveexec_b64 s[2:3], s[4:5]
	s_cbranch_execz .LBB1502_115
.LBB1502_34:
	v_mov_b32_e32 v15, s47
	v_add_co_u32_e32 v16, vcc, s7, v12
	v_addc_co_u32_e32 v17, vcc, 0, v15, vcc
	flat_load_dword v15, v[16:17] offset:2048
	s_or_b64 exec, exec, s[2:3]
                                        ; implicit-def: $vgpr16
	s_and_saveexec_b64 s[2:3], s[28:29]
	s_cbranch_execnz .LBB1502_116
.LBB1502_35:
	s_or_b64 exec, exec, s[2:3]
                                        ; implicit-def: $vgpr17
	s_and_saveexec_b64 s[2:3], s[8:9]
	s_cbranch_execz .LBB1502_117
.LBB1502_36:
	v_mov_b32_e32 v17, s47
	v_add_co_u32_e32 v18, vcc, s7, v2
	v_addc_co_u32_e32 v19, vcc, 0, v17, vcc
	flat_load_dword v17, v[18:19]
	s_or_b64 exec, exec, s[2:3]
                                        ; implicit-def: $vgpr2
	s_and_saveexec_b64 s[2:3], s[10:11]
	s_cbranch_execnz .LBB1502_118
.LBB1502_37:
	s_or_b64 exec, exec, s[2:3]
                                        ; implicit-def: $vgpr3
	s_and_saveexec_b64 s[2:3], s[12:13]
	s_cbranch_execz .LBB1502_119
.LBB1502_38:
	v_mov_b32_e32 v3, s47
	v_add_co_u32_e32 v18, vcc, s7, v4
	v_addc_co_u32_e32 v19, vcc, 0, v3, vcc
	flat_load_dword v3, v[18:19]
	s_or_b64 exec, exec, s[2:3]
                                        ; implicit-def: $vgpr4
	s_and_saveexec_b64 s[2:3], s[14:15]
	s_cbranch_execnz .LBB1502_120
.LBB1502_39:
	s_or_b64 exec, exec, s[2:3]
                                        ; implicit-def: $vgpr5
	s_and_saveexec_b64 s[2:3], s[16:17]
	s_cbranch_execz .LBB1502_121
.LBB1502_40:
	v_mov_b32_e32 v5, s47
	v_add_co_u32_e32 v18, vcc, s7, v6
	v_addc_co_u32_e32 v19, vcc, 0, v5, vcc
	flat_load_dword v5, v[18:19]
	s_or_b64 exec, exec, s[2:3]
                                        ; implicit-def: $vgpr6
	s_and_saveexec_b64 s[2:3], s[18:19]
	s_cbranch_execnz .LBB1502_122
.LBB1502_41:
	s_or_b64 exec, exec, s[2:3]
                                        ; implicit-def: $vgpr7
	s_and_saveexec_b64 s[2:3], s[20:21]
	s_cbranch_execz .LBB1502_123
.LBB1502_42:
	v_mov_b32_e32 v7, s47
	v_add_co_u32_e32 v18, vcc, s7, v8
	v_addc_co_u32_e32 v19, vcc, 0, v7, vcc
	flat_load_dword v7, v[18:19]
	s_or_b64 exec, exec, s[2:3]
                                        ; implicit-def: $vgpr8
	s_and_saveexec_b64 s[2:3], s[22:23]
	s_cbranch_execnz .LBB1502_124
.LBB1502_43:
	s_or_b64 exec, exec, s[2:3]
                                        ; implicit-def: $vgpr9
	s_and_saveexec_b64 s[2:3], s[24:25]
	s_cbranch_execz .LBB1502_45
.LBB1502_44:
	v_mov_b32_e32 v9, s47
	v_add_co_u32_e32 v18, vcc, s7, v10
	v_addc_co_u32_e32 v19, vcc, 0, v9, vcc
	flat_load_dword v9, v[18:19]
.LBB1502_45:
	s_or_b64 exec, exec, s[2:3]
	v_mul_u32_u24_e32 v45, 14, v0
                                        ; implicit-def: $vgpr10
	s_and_saveexec_b64 s[2:3], s[26:27]
	s_cbranch_execz .LBB1502_47
; %bb.46:
	v_mov_b32_e32 v18, s47
	v_add_co_u32_e32 v10, vcc, s7, v11
	v_addc_co_u32_e32 v11, vcc, 0, v18, vcc
	flat_load_dword v10, v[10:11]
.LBB1502_47:
	s_or_b64 exec, exec, s[2:3]
	s_mov_b32 s8, 0
	s_mov_b32 s9, s8
	s_waitcnt vmcnt(0) lgkmcnt(0)
	ds_write2st64_b32 v12, v13, v14 offset1:4
	ds_write2st64_b32 v12, v15, v16 offset0:8 offset1:12
	ds_write2st64_b32 v12, v17, v2 offset0:16 offset1:20
	;; [unrolled: 1-line block ×6, first 2 shown]
	s_mov_b32 s10, s8
	s_mov_b32 s11, s8
	;; [unrolled: 1-line block ×6, first 2 shown]
	v_pk_mov_b32 v[2:3], s[8:9], s[8:9] op_sel:[0,1]
	v_pk_mov_b32 v[8:9], s[14:15], s[14:15] op_sel:[0,1]
	;; [unrolled: 1-line block ×6, first 2 shown]
	v_cmp_gt_u32_e32 vcc, s54, v45
	s_mov_b64 s[2:3], 0
	v_pk_mov_b32 v[38:39], 0, 0
	s_mov_b64 s[18:19], 0
	v_pk_mov_b32 v[14:15], v[6:7], v[6:7] op_sel:[0,1]
	v_pk_mov_b32 v[12:13], v[4:5], v[4:5] op_sel:[0,1]
	;; [unrolled: 1-line block ×6, first 2 shown]
	s_waitcnt lgkmcnt(0)
	s_barrier
	s_waitcnt lgkmcnt(0)
                                        ; implicit-def: $sgpr16_sgpr17
                                        ; implicit-def: $vgpr42
	s_and_saveexec_b64 s[4:5], vcc
	s_cbranch_execz .LBB1502_75
; %bb.48:
	ds_read_b32 v2, v44
	v_mov_b32_e32 v4, s56
	v_cmp_eq_u32_e32 vcc, v34, v35
	v_or_b32_e32 v3, 1, v45
                                        ; implicit-def: $vgpr42
	s_waitcnt lgkmcnt(0)
	v_cndmask_b32_e32 v38, v4, v2, vcc
	v_cmp_ne_u32_e32 vcc, v34, v35
	v_cndmask_b32_e64 v39, 0, 1, vcc
	v_cmp_gt_u32_e32 vcc, s54, v3
	v_pk_mov_b32 v[2:3], s[8:9], s[8:9] op_sel:[0,1]
	v_pk_mov_b32 v[8:9], s[14:15], s[14:15] op_sel:[0,1]
	;; [unrolled: 1-line block ×12, first 2 shown]
                                        ; implicit-def: $sgpr8_sgpr9
	s_and_saveexec_b64 s[16:17], vcc
	s_cbranch_execz .LBB1502_74
; %bb.49:
	ds_read2_b32 v[42:43], v44 offset0:1 offset1:2
	s_mov_b32 s8, 0
	v_mov_b32_e32 v3, s56
	v_cmp_eq_u32_e32 vcc, v35, v36
	s_mov_b32 s14, s8
	s_mov_b32 s15, s8
	v_add_u32_e32 v2, 2, v45
	s_waitcnt lgkmcnt(0)
	v_cndmask_b32_e32 v8, v3, v42, vcc
	v_cmp_ne_u32_e32 vcc, v35, v36
	s_mov_b32 s9, s8
	s_mov_b32 s10, s8
	;; [unrolled: 1-line block ×5, first 2 shown]
	v_pk_mov_b32 v[16:17], s[14:15], s[14:15] op_sel:[0,1]
	v_cndmask_b32_e64 v9, 0, 1, vcc
	v_cmp_gt_u32_e32 vcc, s54, v2
	v_mov_b32_e32 v2, 0
	v_pk_mov_b32 v[14:15], s[12:13], s[12:13] op_sel:[0,1]
	v_pk_mov_b32 v[12:13], s[10:11], s[10:11] op_sel:[0,1]
	;; [unrolled: 1-line block ×4, first 2 shown]
	v_mov_b32_e32 v3, v2
	v_mov_b32_e32 v4, v2
	;; [unrolled: 1-line block ×5, first 2 shown]
	s_mov_b64 s[20:21], 0
	v_pk_mov_b32 v[22:23], v[14:15], v[14:15] op_sel:[0,1]
	v_pk_mov_b32 v[20:21], v[12:13], v[12:13] op_sel:[0,1]
	;; [unrolled: 1-line block ×3, first 2 shown]
                                        ; implicit-def: $sgpr24_sgpr25
                                        ; implicit-def: $vgpr42
	s_and_saveexec_b64 s[18:19], vcc
	s_cbranch_execz .LBB1502_73
; %bb.50:
	v_mov_b32_e32 v4, s56
	v_cmp_eq_u32_e32 vcc, v36, v37
	v_pk_mov_b32 v[16:17], s[14:15], s[14:15] op_sel:[0,1]
	v_add_u32_e32 v3, 3, v45
	v_cndmask_b32_e32 v6, v4, v43, vcc
	v_cmp_ne_u32_e32 vcc, v36, v37
	v_pk_mov_b32 v[14:15], s[12:13], s[12:13] op_sel:[0,1]
	v_pk_mov_b32 v[12:13], s[10:11], s[10:11] op_sel:[0,1]
	;; [unrolled: 1-line block ×4, first 2 shown]
	v_cndmask_b32_e64 v7, 0, 1, vcc
	v_cmp_gt_u32_e32 vcc, s54, v3
	v_mov_b32_e32 v3, v2
	v_mov_b32_e32 v4, v2
	;; [unrolled: 1-line block ×3, first 2 shown]
	s_mov_b64 s[22:23], 0
	v_pk_mov_b32 v[22:23], v[14:15], v[14:15] op_sel:[0,1]
	v_pk_mov_b32 v[20:21], v[12:13], v[12:13] op_sel:[0,1]
	;; [unrolled: 1-line block ×3, first 2 shown]
                                        ; implicit-def: $sgpr8_sgpr9
                                        ; implicit-def: $vgpr42
	s_and_saveexec_b64 s[20:21], vcc
	s_cbranch_execz .LBB1502_72
; %bb.51:
	ds_read2_b32 v[34:35], v44 offset0:3 offset1:4
	s_mov_b32 s8, 0
	s_mov_b32 s14, s8
	;; [unrolled: 1-line block ×3, first 2 shown]
	v_mov_b32_e32 v3, s56
	v_cmp_eq_u32_e32 vcc, v37, v30
	s_mov_b32 s9, s8
	s_mov_b32 s10, s8
	;; [unrolled: 1-line block ×5, first 2 shown]
	v_pk_mov_b32 v[16:17], s[14:15], s[14:15] op_sel:[0,1]
	v_add_u32_e32 v2, 4, v45
	s_waitcnt lgkmcnt(0)
	v_cndmask_b32_e32 v4, v3, v34, vcc
	v_cmp_ne_u32_e32 vcc, v37, v30
	v_pk_mov_b32 v[14:15], s[12:13], s[12:13] op_sel:[0,1]
	v_pk_mov_b32 v[12:13], s[10:11], s[10:11] op_sel:[0,1]
	;; [unrolled: 1-line block ×4, first 2 shown]
	v_cndmask_b32_e64 v5, 0, 1, vcc
	v_cmp_gt_u32_e32 vcc, s54, v2
	v_mov_b32_e32 v2, s8
	v_mov_b32_e32 v3, s8
	s_mov_b64 s[24:25], 0
	v_pk_mov_b32 v[22:23], v[14:15], v[14:15] op_sel:[0,1]
	v_pk_mov_b32 v[20:21], v[12:13], v[12:13] op_sel:[0,1]
	;; [unrolled: 1-line block ×3, first 2 shown]
                                        ; implicit-def: $sgpr26_sgpr27
                                        ; implicit-def: $vgpr42
	s_and_saveexec_b64 s[22:23], vcc
	s_cbranch_execz .LBB1502_71
; %bb.52:
	v_mov_b32_e32 v2, s56
	v_cmp_eq_u32_e32 vcc, v30, v31
	v_add_u32_e32 v10, 5, v45
	v_cndmask_b32_e32 v2, v2, v35, vcc
	v_cmp_ne_u32_e32 vcc, v30, v31
	v_cndmask_b32_e64 v3, 0, 1, vcc
	v_cmp_gt_u32_e32 vcc, s54, v10
	v_pk_mov_b32 v[16:17], s[14:15], s[14:15] op_sel:[0,1]
	v_pk_mov_b32 v[14:15], s[12:13], s[12:13] op_sel:[0,1]
	;; [unrolled: 1-line block ×5, first 2 shown]
	s_mov_b64 s[28:29], 0
	v_pk_mov_b32 v[22:23], v[14:15], v[14:15] op_sel:[0,1]
	v_pk_mov_b32 v[20:21], v[12:13], v[12:13] op_sel:[0,1]
	v_pk_mov_b32 v[18:19], v[10:11], v[10:11] op_sel:[0,1]
                                        ; implicit-def: $sgpr8_sgpr9
                                        ; implicit-def: $vgpr42
	s_and_saveexec_b64 s[24:25], vcc
	s_cbranch_execz .LBB1502_70
; %bb.53:
	ds_read2_b32 v[34:35], v44 offset0:5 offset1:6
	v_mov_b32_e32 v11, s56
	v_cmp_eq_u32_e32 vcc, v31, v32
	s_mov_b32 s8, 0
	v_add_u32_e32 v10, 6, v45
	s_waitcnt lgkmcnt(0)
	v_cndmask_b32_e32 v16, v11, v34, vcc
	v_cmp_ne_u32_e32 vcc, v31, v32
	s_mov_b32 s14, s8
	s_mov_b32 s15, s8
	v_cndmask_b32_e64 v17, 0, 1, vcc
	v_cmp_gt_u32_e32 vcc, s54, v10
	v_mov_b32_e32 v10, 0
	s_mov_b32 s9, s8
	s_mov_b32 s10, s8
	;; [unrolled: 1-line block ×5, first 2 shown]
	v_pk_mov_b32 v[24:25], s[14:15], s[14:15] op_sel:[0,1]
	v_mov_b32_e32 v11, v10
	v_mov_b32_e32 v12, v10
	;; [unrolled: 1-line block ×5, first 2 shown]
	v_pk_mov_b32 v[22:23], s[12:13], s[12:13] op_sel:[0,1]
	v_pk_mov_b32 v[20:21], s[10:11], s[10:11] op_sel:[0,1]
	;; [unrolled: 1-line block ×3, first 2 shown]
                                        ; implicit-def: $sgpr40_sgpr41
                                        ; implicit-def: $vgpr42
	s_and_saveexec_b64 s[26:27], vcc
	s_cbranch_execz .LBB1502_69
; %bb.54:
	v_mov_b32_e32 v12, s56
	v_cmp_eq_u32_e32 vcc, v32, v33
	v_add_u32_e32 v11, 7, v45
	v_cndmask_b32_e32 v14, v12, v35, vcc
	v_cmp_ne_u32_e32 vcc, v32, v33
	v_pk_mov_b32 v[24:25], s[14:15], s[14:15] op_sel:[0,1]
	v_cndmask_b32_e64 v15, 0, 1, vcc
	v_cmp_gt_u32_e32 vcc, s54, v11
	v_mov_b32_e32 v11, v10
	v_mov_b32_e32 v12, v10
	;; [unrolled: 1-line block ×3, first 2 shown]
	s_mov_b64 s[30:31], 0
	v_pk_mov_b32 v[22:23], s[12:13], s[12:13] op_sel:[0,1]
	v_pk_mov_b32 v[20:21], s[10:11], s[10:11] op_sel:[0,1]
	;; [unrolled: 1-line block ×3, first 2 shown]
                                        ; implicit-def: $sgpr8_sgpr9
                                        ; implicit-def: $vgpr42
	s_and_saveexec_b64 s[28:29], vcc
	s_cbranch_execz .LBB1502_68
; %bb.55:
	ds_read2_b32 v[30:31], v44 offset0:7 offset1:8
	s_mov_b32 s8, 0
	v_mov_b32_e32 v11, s56
	v_cmp_eq_u32_e32 vcc, v33, v26
	s_mov_b32 s14, s8
	s_mov_b32 s15, s8
	v_add_u32_e32 v10, 8, v45
	s_waitcnt lgkmcnt(0)
	v_cndmask_b32_e32 v12, v11, v30, vcc
	v_cmp_ne_u32_e32 vcc, v33, v26
	s_mov_b32 s9, s8
	s_mov_b32 s10, s8
	;; [unrolled: 1-line block ×5, first 2 shown]
	v_pk_mov_b32 v[24:25], s[14:15], s[14:15] op_sel:[0,1]
	v_cndmask_b32_e64 v13, 0, 1, vcc
	v_cmp_gt_u32_e32 vcc, s54, v10
	v_mov_b32_e32 v10, s8
	v_mov_b32_e32 v11, s8
	s_mov_b64 s[40:41], 0
	v_pk_mov_b32 v[22:23], s[12:13], s[12:13] op_sel:[0,1]
	v_pk_mov_b32 v[20:21], s[10:11], s[10:11] op_sel:[0,1]
	;; [unrolled: 1-line block ×3, first 2 shown]
                                        ; implicit-def: $sgpr48_sgpr49
                                        ; implicit-def: $vgpr42
	s_and_saveexec_b64 s[30:31], vcc
	s_cbranch_execz .LBB1502_67
; %bb.56:
	v_mov_b32_e32 v10, s56
	v_cmp_eq_u32_e32 vcc, v26, v27
	v_add_u32_e32 v18, 9, v45
	v_cndmask_b32_e32 v10, v10, v31, vcc
	v_cmp_ne_u32_e32 vcc, v26, v27
	v_cndmask_b32_e64 v11, 0, 1, vcc
	v_cmp_gt_u32_e32 vcc, s54, v18
	v_pk_mov_b32 v[24:25], s[14:15], s[14:15] op_sel:[0,1]
	v_pk_mov_b32 v[22:23], s[12:13], s[12:13] op_sel:[0,1]
	;; [unrolled: 1-line block ×4, first 2 shown]
                                        ; implicit-def: $sgpr10_sgpr11
                                        ; implicit-def: $vgpr42
	s_and_saveexec_b64 s[8:9], vcc
	s_cbranch_execz .LBB1502_66
; %bb.57:
	ds_read2_b32 v[30:31], v44 offset0:9 offset1:10
	v_mov_b32_e32 v18, s56
	v_cmp_eq_u32_e32 vcc, v27, v28
	v_add_u32_e32 v20, 10, v45
	v_mov_b32_e32 v22, 0
	s_waitcnt lgkmcnt(0)
	v_cndmask_b32_e32 v18, v18, v30, vcc
	v_cmp_ne_u32_e32 vcc, v27, v28
	v_cndmask_b32_e64 v19, 0, 1, vcc
	v_cmp_gt_u32_e32 vcc, s54, v20
	v_mov_b32_e32 v20, v22
	v_mov_b32_e32 v21, v22
	;; [unrolled: 1-line block ×5, first 2 shown]
	s_mov_b64 s[12:13], 0
                                        ; implicit-def: $sgpr40_sgpr41
                                        ; implicit-def: $vgpr42
	s_and_saveexec_b64 s[10:11], vcc
	s_cbranch_execz .LBB1502_65
; %bb.58:
	v_mov_b32_e32 v20, s56
	v_cmp_eq_u32_e32 vcc, v28, v29
	v_add_u32_e32 v23, 11, v45
	v_cndmask_b32_e32 v20, v20, v31, vcc
	v_cmp_ne_u32_e32 vcc, v28, v29
	v_cndmask_b32_e64 v21, 0, 1, vcc
	v_cmp_gt_u32_e32 vcc, s54, v23
	s_mov_b32 s40, 0
	v_mov_b32_e32 v23, v22
	v_mov_b32_e32 v24, v22
	;; [unrolled: 1-line block ×3, first 2 shown]
	s_mov_b64 s[14:15], 0
                                        ; implicit-def: $sgpr48_sgpr49
                                        ; implicit-def: $vgpr42
	s_and_saveexec_b64 s[12:13], vcc
	s_cbranch_execz .LBB1502_64
; %bb.59:
	ds_read2_b32 v[26:27], v44 offset0:11 offset1:12
	v_mov_b32_e32 v22, s56
	v_cmp_eq_u32_e32 vcc, v29, v40
	v_add_u32_e32 v24, 12, v45
	v_mov_b32_e32 v25, s40
	s_waitcnt lgkmcnt(0)
	v_cndmask_b32_e32 v22, v22, v26, vcc
	v_cmp_ne_u32_e32 vcc, v29, v40
	v_cndmask_b32_e64 v23, 0, 1, vcc
	v_cmp_gt_u32_e32 vcc, s54, v24
	v_mov_b32_e32 v24, s40
	s_mov_b64 s[40:41], 0
                                        ; implicit-def: $sgpr48_sgpr49
                                        ; implicit-def: $vgpr42
	s_and_saveexec_b64 s[14:15], vcc
	s_cbranch_execz .LBB1502_63
; %bb.60:
	v_mov_b32_e32 v24, s56
	v_cmp_eq_u32_e32 vcc, v40, v41
	v_add_u32_e32 v26, 13, v45
	v_cndmask_b32_e32 v24, v24, v27, vcc
	v_cmp_ne_u32_e32 vcc, v40, v41
	v_cndmask_b32_e64 v25, 0, 1, vcc
	v_cmp_gt_u32_e32 vcc, s54, v26
                                        ; implicit-def: $sgpr48_sgpr49
                                        ; implicit-def: $vgpr42
	s_and_saveexec_b64 s[54:55], vcc
	s_xor_b64 s[54:55], exec, s[54:55]
	s_cbranch_execz .LBB1502_62
; %bb.61:
	ds_read_b32 v26, v44 offset:52
	v_mov_b32_e32 v27, s56
	v_cmp_ne_u32_e32 vcc, v41, v1
	s_mov_b64 s[40:41], exec
	s_and_b64 s[48:49], vcc, exec
	s_waitcnt lgkmcnt(0)
	v_cndmask_b32_e32 v42, v26, v27, vcc
.LBB1502_62:
	s_or_b64 exec, exec, s[54:55]
	s_and_b64 s[48:49], s[48:49], exec
	s_and_b64 s[40:41], s[40:41], exec
.LBB1502_63:
	s_or_b64 exec, exec, s[14:15]
	s_and_b64 s[48:49], s[48:49], exec
	s_and_b64 s[14:15], s[40:41], exec
.LBB1502_64:
	s_or_b64 exec, exec, s[12:13]
	s_and_b64 s[40:41], s[48:49], exec
	s_and_b64 s[12:13], s[14:15], exec
.LBB1502_65:
	s_or_b64 exec, exec, s[10:11]
	s_and_b64 s[10:11], s[40:41], exec
	s_and_b64 s[40:41], s[12:13], exec
.LBB1502_66:
	s_or_b64 exec, exec, s[8:9]
	s_and_b64 s[48:49], s[10:11], exec
	s_and_b64 s[40:41], s[40:41], exec
.LBB1502_67:
	s_or_b64 exec, exec, s[30:31]
	s_and_b64 s[8:9], s[48:49], exec
	s_and_b64 s[30:31], s[40:41], exec
.LBB1502_68:
	s_or_b64 exec, exec, s[28:29]
	s_and_b64 s[40:41], s[8:9], exec
	s_and_b64 s[28:29], s[30:31], exec
.LBB1502_69:
	s_or_b64 exec, exec, s[26:27]
	s_and_b64 s[8:9], s[40:41], exec
	s_and_b64 s[28:29], s[28:29], exec
.LBB1502_70:
	s_or_b64 exec, exec, s[24:25]
	s_and_b64 s[26:27], s[8:9], exec
	s_and_b64 s[24:25], s[28:29], exec
.LBB1502_71:
	s_or_b64 exec, exec, s[22:23]
	s_and_b64 s[8:9], s[26:27], exec
	s_and_b64 s[22:23], s[24:25], exec
.LBB1502_72:
	s_or_b64 exec, exec, s[20:21]
	s_and_b64 s[24:25], s[8:9], exec
	s_and_b64 s[20:21], s[22:23], exec
.LBB1502_73:
	s_or_b64 exec, exec, s[18:19]
	s_and_b64 s[8:9], s[24:25], exec
	s_and_b64 s[18:19], s[20:21], exec
.LBB1502_74:
	s_or_b64 exec, exec, s[16:17]
	s_and_b64 s[16:17], s[8:9], exec
	s_and_b64 s[18:19], s[18:19], exec
.LBB1502_75:
	s_or_b64 exec, exec, s[4:5]
	s_and_b64 vcc, exec, s[2:3]
	v_lshlrev_b32_e32 v50, 2, v0
	s_cbranch_vccnz .LBB1502_77
	s_branch .LBB1502_82
.LBB1502_76:
	s_mov_b64 s[18:19], 0
                                        ; implicit-def: $sgpr16_sgpr17
                                        ; implicit-def: $vgpr2_vgpr3_vgpr4_vgpr5_vgpr6_vgpr7_vgpr8_vgpr9
                                        ; implicit-def: $vgpr10_vgpr11_vgpr12_vgpr13_vgpr14_vgpr15_vgpr16_vgpr17
                                        ; implicit-def: $vgpr18_vgpr19_vgpr20_vgpr21_vgpr22_vgpr23_vgpr24_vgpr25
                                        ; implicit-def: $vgpr42
                                        ; implicit-def: $vgpr38_vgpr39
	s_and_b64 vcc, exec, s[2:3]
	v_lshlrev_b32_e32 v50, 2, v0
	s_cbranch_vccz .LBB1502_82
.LBB1502_77:
	v_mov_b32_e32 v1, s39
	v_add_co_u32_e32 v2, vcc, s38, v50
	v_addc_co_u32_e32 v3, vcc, 0, v1, vcc
	v_add_co_u32_e32 v4, vcc, 0x1000, v2
	v_addc_co_u32_e32 v5, vcc, 0, v3, vcc
	flat_load_dword v1, v[2:3]
	flat_load_dword v6, v[2:3] offset:1024
	flat_load_dword v7, v[2:3] offset:2048
	;; [unrolled: 1-line block ×3, first 2 shown]
	flat_load_dword v9, v[4:5]
	flat_load_dword v10, v[4:5] offset:1024
	flat_load_dword v11, v[4:5] offset:2048
	;; [unrolled: 1-line block ×3, first 2 shown]
	v_add_co_u32_e32 v4, vcc, 0x2000, v2
	v_addc_co_u32_e32 v5, vcc, 0, v3, vcc
	v_add_co_u32_e32 v2, vcc, 0x3000, v2
	v_addc_co_u32_e32 v3, vcc, 0, v3, vcc
	flat_load_dword v13, v[4:5]
	flat_load_dword v14, v[4:5] offset:1024
	flat_load_dword v15, v[4:5] offset:2048
	;; [unrolled: 1-line block ×3, first 2 shown]
	flat_load_dword v17, v[2:3]
	flat_load_dword v18, v[2:3] offset:1024
	v_mov_b32_e32 v2, s38
	v_mov_b32_e32 v3, s39
	v_add_co_u32_e32 v2, vcc, 0x3000, v2
	v_addc_co_u32_e32 v3, vcc, 0, v3, vcc
	s_movk_i32 s4, 0xffcc
	s_movk_i32 s9, 0x1000
	s_mov_b32 s2, 0
	s_movk_i32 s8, 0x2000
	s_movk_i32 s3, 0x3000
	s_waitcnt vmcnt(0) lgkmcnt(0)
	ds_write2st64_b32 v50, v1, v6 offset1:4
	ds_write2st64_b32 v50, v7, v8 offset0:8 offset1:12
	ds_write2st64_b32 v50, v9, v10 offset0:16 offset1:20
	;; [unrolled: 1-line block ×6, first 2 shown]
	s_waitcnt lgkmcnt(0)
	s_barrier
	flat_load_dword v1, v[2:3] offset:2048
	v_mad_u32_u24 v6, v0, 52, v50
	v_mad_i32_i24 v2, v0, s4, v6
	s_movk_i32 s4, 0xff
	v_cmp_ne_u32_e32 vcc, s4, v0
	ds_read2_b32 v[26:27], v6 offset1:13
	ds_read2_b32 v[18:19], v6 offset0:7 offset1:8
	ds_read2_b32 v[20:21], v6 offset0:5 offset1:6
	ds_read2_b32 v[10:11], v6 offset0:3 offset1:4
	ds_read2_b32 v[12:13], v6 offset0:1 offset1:2
	ds_read2_b32 v[30:31], v6 offset0:11 offset1:12
	ds_read2_b32 v[28:29], v6 offset0:9 offset1:10
	s_waitcnt lgkmcnt(0)
	ds_write_b32 v2, v26 offset:15360
	s_waitcnt lgkmcnt(0)
	s_barrier
	s_and_saveexec_b64 s[4:5], vcc
	s_cbranch_execz .LBB1502_79
; %bb.78:
	s_waitcnt vmcnt(0)
	ds_read_b32 v1, v50 offset:15364
.LBB1502_79:
	s_or_b64 exec, exec, s[4:5]
	v_mov_b32_e32 v3, s47
	v_add_co_u32_e32 v2, vcc, s7, v50
	v_addc_co_u32_e32 v3, vcc, 0, v3, vcc
	v_add_co_u32_e32 v4, vcc, s9, v2
	v_addc_co_u32_e32 v5, vcc, 0, v3, vcc
	s_waitcnt lgkmcnt(0)
	s_barrier
	flat_load_dword v7, v[2:3]
	flat_load_dword v8, v[2:3] offset:1024
	flat_load_dword v9, v[2:3] offset:2048
	;; [unrolled: 1-line block ×3, first 2 shown]
	flat_load_dword v15, v[4:5]
	flat_load_dword v16, v[4:5] offset:1024
	flat_load_dword v17, v[4:5] offset:2048
	;; [unrolled: 1-line block ×3, first 2 shown]
	v_add_co_u32_e32 v4, vcc, s8, v2
	v_addc_co_u32_e32 v5, vcc, 0, v3, vcc
	v_add_co_u32_e32 v2, vcc, s3, v2
	v_addc_co_u32_e32 v3, vcc, 0, v3, vcc
	flat_load_dword v23, v[4:5]
	flat_load_dword v24, v[4:5] offset:1024
	flat_load_dword v25, v[4:5] offset:2048
	;; [unrolled: 1-line block ×3, first 2 shown]
	flat_load_dword v33, v[2:3]
	flat_load_dword v34, v[2:3] offset:1024
	s_mov_b32 s3, 1
	v_cmp_eq_u32_e32 vcc, v26, v12
	v_pk_mov_b32 v[38:39], s[2:3], s[2:3] op_sel:[0,1]
	s_waitcnt vmcnt(0) lgkmcnt(0)
	ds_write2st64_b32 v50, v7, v8 offset1:4
	ds_write2st64_b32 v50, v9, v14 offset0:8 offset1:12
	ds_write2st64_b32 v50, v15, v16 offset0:16 offset1:20
	;; [unrolled: 1-line block ×6, first 2 shown]
	s_waitcnt lgkmcnt(0)
	s_barrier
	ds_read2_b32 v[24:25], v6 offset0:7 offset1:8
	ds_read2_b32 v[14:15], v6 offset0:5 offset1:6
	;; [unrolled: 1-line block ×4, first 2 shown]
	ds_read_b32 v34, v6 offset:52
	ds_read2_b32 v[22:23], v6 offset0:11 offset1:12
	ds_read2_b32 v[32:33], v6 offset0:9 offset1:10
	v_mov_b32_e32 v7, s56
	s_and_saveexec_b64 s[2:3], vcc
	s_cbranch_execz .LBB1502_81
; %bb.80:
	ds_read_b32 v7, v6
	v_pk_mov_b32 v[38:39], 0, 0
.LBB1502_81:
	s_or_b64 exec, exec, s[2:3]
	v_mov_b32_e32 v26, s56
	v_cmp_eq_u32_e32 vcc, v12, v13
	s_waitcnt lgkmcnt(3)
	v_cndmask_b32_e32 v8, v26, v4, vcc
	v_cmp_eq_u32_e32 vcc, v13, v10
	v_cndmask_b32_e32 v6, v26, v5, vcc
	v_cmp_eq_u32_e32 vcc, v10, v11
	;; [unrolled: 2-line block ×3, first 2 shown]
	v_cndmask_b32_e32 v2, v26, v3, vcc
	v_cmp_ne_u32_e32 vcc, v12, v13
	v_cndmask_b32_e64 v9, 0, 1, vcc
	v_cmp_ne_u32_e32 vcc, v13, v10
	s_waitcnt lgkmcnt(0)
	v_or_b32_e32 v38, v38, v7
	v_cndmask_b32_e64 v7, 0, 1, vcc
	v_cmp_ne_u32_e32 vcc, v10, v11
	v_cndmask_b32_e64 v5, 0, 1, vcc
	v_cmp_ne_u32_e32 vcc, v11, v20
	v_cndmask_b32_e64 v3, 0, 1, vcc
	v_cmp_eq_u32_e32 vcc, v20, v21
	v_cndmask_b32_e32 v16, v26, v14, vcc
	v_cmp_eq_u32_e32 vcc, v21, v18
	v_cndmask_b32_e32 v14, v26, v15, vcc
	;; [unrolled: 2-line block ×4, first 2 shown]
	v_cmp_ne_u32_e32 vcc, v20, v21
	v_cndmask_b32_e64 v17, 0, 1, vcc
	v_cmp_ne_u32_e32 vcc, v21, v18
	v_cndmask_b32_e64 v15, 0, 1, vcc
	;; [unrolled: 2-line block ×4, first 2 shown]
	v_cmp_eq_u32_e32 vcc, v31, v27
	v_cndmask_b32_e32 v24, v26, v23, vcc
	v_cmp_eq_u32_e32 vcc, v30, v31
	v_cndmask_b32_e32 v22, v26, v22, vcc
	;; [unrolled: 2-line block ×4, first 2 shown]
	v_cmp_ne_u32_e32 vcc, v31, v27
	v_cndmask_b32_e64 v25, 0, 1, vcc
	v_cmp_ne_u32_e32 vcc, v30, v31
	v_cndmask_b32_e64 v23, 0, 1, vcc
	;; [unrolled: 2-line block ×3, first 2 shown]
	v_cmp_ne_u32_e32 vcc, v28, v29
	v_cmp_ne_u32_e64 s[16:17], v27, v1
	v_cndmask_b32_e64 v19, 0, 1, vcc
	v_cndmask_b32_e64 v42, v34, v26, s[16:17]
	s_mov_b64 s[18:19], -1
                                        ; implicit-def: $sgpr2_sgpr3
.LBB1502_82:
	v_pk_mov_b32 v[40:41], s[2:3], s[2:3] op_sel:[0,1]
	s_and_saveexec_b64 s[2:3], s[18:19]
; %bb.83:
	v_cndmask_b32_e64 v43, 0, 1, s[16:17]
	v_pk_mov_b32 v[40:41], v[42:43], v[42:43] op_sel:[0,1]
; %bb.84:
	s_or_b64 exec, exec, s[2:3]
	s_mov_b32 s26, 0
	s_cmp_lg_u32 s6, 0
	v_mbcnt_lo_u32_b32 v52, -1, 0
	v_lshrrev_b32_e32 v1, 6, v0
	v_or_b32_e32 v51, 63, v0
	s_barrier
	s_cbranch_scc0 .LBB1502_125
; %bb.85:
	s_mov_b32 s27, 1
	v_cmp_gt_u64_e64 s[2:3], s[26:27], v[8:9]
	v_cndmask_b32_e64 v27, 0, v38, s[2:3]
	v_add_u32_e32 v27, v27, v8
	v_cmp_gt_u64_e64 s[4:5], s[26:27], v[6:7]
	v_cndmask_b32_e64 v27, 0, v27, s[4:5]
	v_add_u32_e32 v27, v27, v6
	;; [unrolled: 3-line block ×12, first 2 shown]
	v_cmp_gt_u64_e32 vcc, s[26:27], v[40:41]
	v_cndmask_b32_e32 v27, 0, v27, vcc
	v_add_u32_e32 v28, v27, v40
	v_or3_b32 v27, v41, v25, v23
	v_or3_b32 v27, v27, v21, v19
	;; [unrolled: 1-line block ×6, first 2 shown]
	v_mov_b32_e32 v26, 0
	v_and_b32_e32 v27, 1, v27
	v_cmp_eq_u64_e32 vcc, 0, v[26:27]
	v_cndmask_b32_e32 v27, 1, v39, vcc
	v_and_b32_e32 v29, 0xff, v27
	v_mov_b32_dpp v31, v28 row_shr:1 row_mask:0xf bank_mask:0xf
	v_cmp_eq_u16_e32 vcc, 0, v29
	v_mov_b32_dpp v32, v29 row_shr:1 row_mask:0xf bank_mask:0xf
	v_and_b32_e32 v33, 1, v27
	v_mbcnt_hi_u32_b32 v46, -1, v52
	v_cndmask_b32_e32 v31, 0, v31, vcc
	v_and_b32_e32 v32, 1, v32
	v_cmp_eq_u32_e32 vcc, 1, v33
	v_and_b32_e32 v30, 15, v46
	v_cndmask_b32_e64 v32, v32, 1, vcc
	v_and_b32_e32 v33, 0xffff, v32
	v_cmp_eq_u32_e32 vcc, 0, v30
	v_cndmask_b32_e32 v27, v32, v27, vcc
	v_cndmask_b32_e32 v29, v33, v29, vcc
	v_and_b32_e32 v33, 1, v27
	v_cndmask_b32_e64 v31, v31, 0, vcc
	v_mov_b32_dpp v32, v29 row_shr:2 row_mask:0xf bank_mask:0xf
	v_and_b32_e32 v32, 1, v32
	v_cmp_eq_u32_e32 vcc, 1, v33
	v_cndmask_b32_e64 v32, v32, 1, vcc
	v_and_b32_e32 v33, 0xffff, v32
	v_cmp_lt_u32_e32 vcc, 1, v30
	v_add_u32_e32 v28, v31, v28
	v_cmp_eq_u16_sdwa s[26:27], v27, v26 src0_sel:BYTE_0 src1_sel:DWORD
	v_cndmask_b32_e32 v27, v27, v32, vcc
	v_cndmask_b32_e32 v29, v29, v33, vcc
	v_mov_b32_dpp v31, v28 row_shr:2 row_mask:0xf bank_mask:0xf
	s_and_b64 vcc, vcc, s[26:27]
	v_mov_b32_dpp v32, v29 row_shr:4 row_mask:0xf bank_mask:0xf
	v_and_b32_e32 v33, 1, v27
	v_cndmask_b32_e32 v31, 0, v31, vcc
	v_and_b32_e32 v32, 1, v32
	v_cmp_eq_u32_e32 vcc, 1, v33
	v_cndmask_b32_e64 v32, v32, 1, vcc
	v_and_b32_e32 v33, 0xffff, v32
	v_cmp_lt_u32_e32 vcc, 3, v30
	v_add_u32_e32 v28, v31, v28
	v_cmp_eq_u16_sdwa s[26:27], v27, v26 src0_sel:BYTE_0 src1_sel:DWORD
	v_cndmask_b32_e32 v27, v27, v32, vcc
	v_cndmask_b32_e32 v29, v29, v33, vcc
	v_mov_b32_dpp v31, v28 row_shr:4 row_mask:0xf bank_mask:0xf
	s_and_b64 vcc, vcc, s[26:27]
	v_mov_b32_dpp v32, v29 row_shr:8 row_mask:0xf bank_mask:0xf
	v_and_b32_e32 v33, 1, v27
	v_cndmask_b32_e32 v31, 0, v31, vcc
	v_and_b32_e32 v32, 1, v32
	v_cmp_eq_u32_e32 vcc, 1, v33
	v_cndmask_b32_e64 v32, v32, 1, vcc
	v_add_u32_e32 v28, v31, v28
	v_cmp_eq_u16_sdwa s[26:27], v27, v26 src0_sel:BYTE_0 src1_sel:DWORD
	v_and_b32_e32 v33, 0xffff, v32
	v_cmp_lt_u32_e32 vcc, 7, v30
	v_mov_b32_dpp v31, v28 row_shr:8 row_mask:0xf bank_mask:0xf
	v_cndmask_b32_e32 v27, v27, v32, vcc
	v_cndmask_b32_e32 v29, v29, v33, vcc
	s_and_b64 vcc, vcc, s[26:27]
	v_cndmask_b32_e32 v30, 0, v31, vcc
	v_add_u32_e32 v28, v30, v28
	v_mov_b32_dpp v31, v29 row_bcast:15 row_mask:0xf bank_mask:0xf
	v_cmp_eq_u16_sdwa vcc, v27, v26 src0_sel:BYTE_0 src1_sel:DWORD
	v_mov_b32_dpp v30, v28 row_bcast:15 row_mask:0xf bank_mask:0xf
	v_and_b32_e32 v34, 1, v27
	v_cndmask_b32_e32 v30, 0, v30, vcc
	v_and_b32_e32 v31, 1, v31
	v_cmp_eq_u32_e32 vcc, 1, v34
	v_and_b32_e32 v33, 16, v46
	v_cndmask_b32_e64 v31, v31, 1, vcc
	v_and_b32_e32 v34, 0xffff, v31
	v_cmp_eq_u32_e32 vcc, 0, v33
	v_cndmask_b32_e32 v27, v31, v27, vcc
	v_cndmask_b32_e32 v29, v34, v29, vcc
	v_bfe_i32 v32, v46, 4, 1
	v_cmp_eq_u16_sdwa s[26:27], v27, v26 src0_sel:BYTE_0 src1_sel:DWORD
	v_mov_b32_dpp v29, v29 row_bcast:31 row_mask:0xf bank_mask:0xf
	v_and_b32_e32 v26, 1, v27
	v_and_b32_e32 v30, v32, v30
	;; [unrolled: 1-line block ×3, first 2 shown]
	v_cmp_eq_u32_e32 vcc, 1, v26
	v_add_u32_e32 v28, v30, v28
	v_cndmask_b32_e64 v26, v29, 1, vcc
	v_cmp_lt_u32_e32 vcc, 31, v46
	v_mov_b32_dpp v30, v28 row_bcast:31 row_mask:0xf bank_mask:0xf
	v_cndmask_b32_e32 v29, v27, v26, vcc
	s_and_b64 vcc, vcc, s[26:27]
	v_cndmask_b32_e32 v26, 0, v30, vcc
	v_add_u32_e32 v28, v26, v28
	v_cmp_eq_u32_e32 vcc, v51, v0
	s_and_saveexec_b64 s[26:27], vcc
	s_cbranch_execz .LBB1502_87
; %bb.86:
	v_lshlrev_b32_e32 v26, 3, v1
	ds_write_b32 v26, v28
	ds_write_b8 v26, v29 offset:4
.LBB1502_87:
	s_or_b64 exec, exec, s[26:27]
	v_cmp_gt_u32_e32 vcc, 4, v0
	s_waitcnt lgkmcnt(0)
	s_barrier
	s_and_saveexec_b64 s[26:27], vcc
	s_cbranch_execz .LBB1502_91
; %bb.88:
	v_lshlrev_b32_e32 v30, 3, v0
	ds_read_b64 v[26:27], v30
	v_and_b32_e32 v31, 3, v46
	v_cmp_ne_u32_e32 vcc, 0, v31
	s_waitcnt lgkmcnt(0)
	v_mov_b32_dpp v32, v26 row_shr:1 row_mask:0xf bank_mask:0xf
	v_mov_b32_dpp v34, v27 row_shr:1 row_mask:0xf bank_mask:0xf
	v_mov_b32_e32 v33, v27
	s_and_saveexec_b64 s[30:31], vcc
	s_cbranch_execz .LBB1502_90
; %bb.89:
	v_and_b32_e32 v33, 1, v27
	v_and_b32_e32 v34, 1, v34
	v_cmp_eq_u32_e32 vcc, 1, v33
	v_mov_b32_e32 v33, 0
	v_cndmask_b32_e64 v34, v34, 1, vcc
	v_cmp_eq_u16_sdwa vcc, v27, v33 src0_sel:BYTE_0 src1_sel:DWORD
	v_cndmask_b32_e32 v32, 0, v32, vcc
	v_add_u32_e32 v26, v32, v26
	v_and_b32_e32 v32, 0xffff, v34
	s_movk_i32 s7, 0xff00
	v_and_or_b32 v33, v27, s7, v32
	v_mov_b32_e32 v27, v34
.LBB1502_90:
	s_or_b64 exec, exec, s[30:31]
	v_mov_b32_dpp v33, v33 row_shr:2 row_mask:0xf bank_mask:0xf
	v_and_b32_e32 v34, 1, v27
	v_and_b32_e32 v33, 1, v33
	v_cmp_eq_u32_e32 vcc, 1, v34
	v_mov_b32_e32 v34, 0
	v_cndmask_b32_e64 v33, v33, 1, vcc
	v_cmp_eq_u16_sdwa s[30:31], v27, v34 src0_sel:BYTE_0 src1_sel:DWORD
	v_cmp_lt_u32_e32 vcc, 1, v31
	v_mov_b32_dpp v32, v26 row_shr:2 row_mask:0xf bank_mask:0xf
	v_cndmask_b32_e32 v27, v27, v33, vcc
	s_and_b64 vcc, vcc, s[30:31]
	v_cndmask_b32_e32 v31, 0, v32, vcc
	v_add_u32_e32 v26, v31, v26
	ds_write_b32 v30, v26
	ds_write_b8 v30, v27 offset:4
.LBB1502_91:
	s_or_b64 exec, exec, s[26:27]
	v_cmp_gt_u32_e32 vcc, 64, v0
	v_cmp_lt_u32_e64 s[26:27], 63, v0
	v_mov_b32_e32 v42, 0
	v_mov_b32_e32 v43, 0
	s_waitcnt lgkmcnt(0)
	s_barrier
	s_and_saveexec_b64 s[30:31], s[26:27]
	s_cbranch_execz .LBB1502_93
; %bb.92:
	v_lshl_add_u32 v26, v1, 3, -8
	ds_read_b32 v42, v26
	ds_read_u8 v43, v26 offset:4
	v_mov_b32_e32 v27, 0
	v_and_b32_e32 v30, 1, v29
	v_cmp_eq_u16_sdwa s[26:27], v29, v27 src0_sel:BYTE_0 src1_sel:DWORD
	s_waitcnt lgkmcnt(1)
	v_cndmask_b32_e64 v26, 0, v42, s[26:27]
	v_cmp_eq_u32_e64 s[26:27], 1, v30
	v_add_u32_e32 v28, v26, v28
	s_waitcnt lgkmcnt(0)
	v_cndmask_b32_e64 v29, v43, 1, s[26:27]
.LBB1502_93:
	s_or_b64 exec, exec, s[30:31]
	v_and_b32_e32 v26, 0xff, v29
	v_add_u32_e32 v27, -1, v46
	v_and_b32_e32 v29, 64, v46
	v_cmp_lt_i32_e64 s[26:27], v27, v29
	v_cndmask_b32_e64 v27, v27, v46, s[26:27]
	v_lshlrev_b32_e32 v27, 2, v27
	ds_bpermute_b32 v44, v27, v28
	ds_bpermute_b32 v45, v27, v26
	v_cmp_eq_u32_e64 s[26:27], 0, v46
	s_and_saveexec_b64 s[38:39], vcc
	s_cbranch_execz .LBB1502_112
; %bb.94:
	v_mov_b32_e32 v29, 0
	ds_read_b64 v[26:27], v29 offset:24
	s_waitcnt lgkmcnt(0)
	v_readfirstlane_b32 s7, v27
	s_and_saveexec_b64 s[30:31], s[26:27]
	s_cbranch_execz .LBB1502_96
; %bb.95:
	s_add_i32 s40, s6, 64
	s_mov_b32 s41, 0
	s_lshl_b64 s[48:49], s[40:41], 4
	s_add_u32 s48, s44, s48
	s_addc_u32 s49, s45, s49
	s_and_b32 s55, s7, 0xff000000
	s_mov_b32 s54, s41
	s_and_b32 s59, s7, 0xff0000
	s_mov_b32 s58, s41
	s_or_b64 s[54:55], s[58:59], s[54:55]
	s_and_b32 s59, s7, 0xff00
	s_or_b64 s[54:55], s[54:55], s[58:59]
	s_and_b32 s59, s7, 0xff
	s_or_b64 s[40:41], s[54:55], s[58:59]
	v_mov_b32_e32 v27, s41
	v_mov_b32_e32 v28, 1
	v_pk_mov_b32 v[30:31], s[48:49], s[48:49] op_sel:[0,1]
	;;#ASMSTART
	global_store_dwordx4 v[30:31], v[26:29] off	
s_waitcnt vmcnt(0)
	;;#ASMEND
.LBB1502_96:
	s_or_b64 exec, exec, s[30:31]
	v_xad_u32 v34, v46, -1, s6
	v_add_u32_e32 v28, 64, v34
	v_lshlrev_b64 v[30:31], 4, v[28:29]
	v_mov_b32_e32 v27, s45
	v_add_co_u32_e32 v36, vcc, s44, v30
	v_addc_co_u32_e32 v37, vcc, v27, v31, vcc
	;;#ASMSTART
	global_load_dwordx4 v[30:33], v[36:37] off glc	
s_waitcnt vmcnt(0)
	;;#ASMEND
	v_and_b32_e32 v27, 0xff0000, v30
	v_or_b32_sdwa v27, v30, v27 dst_sel:DWORD dst_unused:UNUSED_PAD src0_sel:WORD_0 src1_sel:DWORD
	v_and_b32_e32 v28, 0xff000000, v30
	v_and_b32_e32 v30, 0xff, v31
	v_or3_b32 v31, 0, 0, v30
	v_or3_b32 v30, v27, v28, 0
	v_cmp_eq_u16_sdwa s[40:41], v32, v29 src0_sel:BYTE_0 src1_sel:DWORD
	s_and_saveexec_b64 s[30:31], s[40:41]
	s_cbranch_execz .LBB1502_100
; %bb.97:
	s_mov_b64 s[40:41], 0
	v_mov_b32_e32 v27, 0
.LBB1502_98:                            ; =>This Inner Loop Header: Depth=1
	;;#ASMSTART
	global_load_dwordx4 v[30:33], v[36:37] off glc	
s_waitcnt vmcnt(0)
	;;#ASMEND
	v_cmp_ne_u16_sdwa s[48:49], v32, v27 src0_sel:BYTE_0 src1_sel:DWORD
	s_or_b64 s[40:41], s[48:49], s[40:41]
	s_andn2_b64 exec, exec, s[40:41]
	s_cbranch_execnz .LBB1502_98
; %bb.99:
	s_or_b64 exec, exec, s[40:41]
	v_and_b32_e32 v31, 0xff, v31
.LBB1502_100:
	s_or_b64 exec, exec, s[30:31]
	v_mov_b32_e32 v27, 2
	v_cmp_eq_u16_sdwa s[30:31], v32, v27 src0_sel:BYTE_0 src1_sel:DWORD
	v_lshlrev_b64 v[28:29], v46, -1
	v_and_b32_e32 v33, s31, v29
	v_or_b32_e32 v33, 0x80000000, v33
	v_and_b32_e32 v35, s30, v28
	v_ffbl_b32_e32 v33, v33
	v_and_b32_e32 v47, 63, v46
	v_add_u32_e32 v33, 32, v33
	v_ffbl_b32_e32 v35, v35
	v_cmp_ne_u32_e32 vcc, 63, v47
	v_min_u32_e32 v33, v35, v33
	v_addc_co_u32_e32 v35, vcc, 0, v46, vcc
	v_lshlrev_b32_e32 v48, 2, v35
	ds_bpermute_b32 v35, v48, v31
	ds_bpermute_b32 v36, v48, v30
	s_mov_b32 s40, 0
	v_and_b32_e32 v37, 1, v31
	s_mov_b32 s41, 1
	s_waitcnt lgkmcnt(1)
	v_and_b32_e32 v35, 1, v35
	v_cmp_eq_u32_e32 vcc, 1, v37
	v_cndmask_b32_e64 v35, v35, 1, vcc
	v_cmp_gt_u64_e32 vcc, s[40:41], v[30:31]
	v_cmp_lt_u32_e64 s[30:31], v47, v33
	s_and_b64 vcc, s[30:31], vcc
	v_and_b32_e32 v37, 0xffff, v35
	v_cndmask_b32_e64 v54, v31, v35, s[30:31]
	s_waitcnt lgkmcnt(0)
	v_cndmask_b32_e32 v35, 0, v36, vcc
	v_cmp_gt_u32_e32 vcc, 62, v47
	v_cndmask_b32_e64 v36, 0, 1, vcc
	v_lshlrev_b32_e32 v36, 1, v36
	v_cndmask_b32_e64 v31, v31, v37, s[30:31]
	v_add_lshl_u32 v49, v36, v46, 2
	ds_bpermute_b32 v36, v49, v31
	v_add_u32_e32 v30, v35, v30
	ds_bpermute_b32 v37, v49, v30
	v_and_b32_e32 v35, 1, v54
	v_cmp_eq_u32_e32 vcc, 1, v35
	s_waitcnt lgkmcnt(1)
	v_and_b32_e32 v36, 1, v36
	v_mov_b32_e32 v35, 0
	v_add_u32_e32 v53, 2, v47
	v_cndmask_b32_e64 v36, v36, 1, vcc
	v_cmp_eq_u16_sdwa vcc, v54, v35 src0_sel:BYTE_0 src1_sel:DWORD
	v_and_b32_e32 v55, 0xffff, v36
	s_waitcnt lgkmcnt(0)
	v_cndmask_b32_e32 v37, 0, v37, vcc
	v_cmp_gt_u32_e32 vcc, v53, v33
	v_cndmask_b32_e32 v36, v36, v54, vcc
	v_cndmask_b32_e64 v37, v37, 0, vcc
	v_cndmask_b32_e32 v31, v55, v31, vcc
	v_cmp_gt_u32_e32 vcc, 60, v47
	v_cndmask_b32_e64 v54, 0, 1, vcc
	v_lshlrev_b32_e32 v54, 2, v54
	v_add_lshl_u32 v54, v54, v46, 2
	ds_bpermute_b32 v56, v54, v31
	v_add_u32_e32 v30, v37, v30
	ds_bpermute_b32 v37, v54, v30
	v_and_b32_e32 v57, 1, v36
	v_cmp_eq_u32_e32 vcc, 1, v57
	s_waitcnt lgkmcnt(1)
	v_and_b32_e32 v56, 1, v56
	v_add_u32_e32 v55, 4, v47
	v_cndmask_b32_e64 v56, v56, 1, vcc
	v_cmp_eq_u16_sdwa vcc, v36, v35 src0_sel:BYTE_0 src1_sel:DWORD
	v_and_b32_e32 v57, 0xffff, v56
	s_waitcnt lgkmcnt(0)
	v_cndmask_b32_e32 v37, 0, v37, vcc
	v_cmp_gt_u32_e32 vcc, v55, v33
	v_cndmask_b32_e32 v36, v56, v36, vcc
	v_cndmask_b32_e64 v37, v37, 0, vcc
	v_cndmask_b32_e32 v31, v57, v31, vcc
	v_cmp_gt_u32_e32 vcc, 56, v47
	v_cndmask_b32_e64 v56, 0, 1, vcc
	v_lshlrev_b32_e32 v56, 3, v56
	v_add_lshl_u32 v56, v56, v46, 2
	ds_bpermute_b32 v58, v56, v31
	v_add_u32_e32 v30, v37, v30
	ds_bpermute_b32 v37, v56, v30
	v_and_b32_e32 v59, 1, v36
	v_cmp_eq_u32_e32 vcc, 1, v59
	s_waitcnt lgkmcnt(1)
	v_and_b32_e32 v58, 1, v58
	;; [unrolled: 21-line block ×4, first 2 shown]
	v_add_u32_e32 v62, 32, v47
	v_cndmask_b32_e64 v31, v31, 1, vcc
	v_cmp_eq_u16_sdwa vcc, v36, v35 src0_sel:BYTE_0 src1_sel:DWORD
	s_waitcnt lgkmcnt(0)
	v_cndmask_b32_e32 v37, 0, v37, vcc
	v_cmp_gt_u32_e32 vcc, v62, v33
	v_cndmask_b32_e64 v33, v37, 0, vcc
	v_cndmask_b32_e32 v31, v31, v36, vcc
	v_add_u32_e32 v30, v33, v30
	s_branch .LBB1502_102
.LBB1502_101:                           ;   in Loop: Header=BB1502_102 Depth=1
	s_or_b64 exec, exec, s[30:31]
	v_cmp_eq_u16_sdwa s[30:31], v32, v27 src0_sel:BYTE_0 src1_sel:DWORD
	v_and_b32_e32 v33, s31, v29
	ds_bpermute_b32 v37, v48, v31
	v_or_b32_e32 v33, 0x80000000, v33
	v_and_b32_e32 v36, s30, v28
	v_ffbl_b32_e32 v33, v33
	v_add_u32_e32 v33, 32, v33
	v_ffbl_b32_e32 v36, v36
	v_min_u32_e32 v33, v36, v33
	ds_bpermute_b32 v36, v48, v30
	v_and_b32_e32 v63, 1, v31
	s_waitcnt lgkmcnt(1)
	v_and_b32_e32 v37, 1, v37
	v_cmp_eq_u32_e32 vcc, 1, v63
	v_cndmask_b32_e64 v37, v37, 1, vcc
	v_cmp_gt_u64_e32 vcc, s[40:41], v[30:31]
	v_and_b32_e32 v63, 0xffff, v37
	v_cmp_lt_u32_e64 s[30:31], v47, v33
	v_cndmask_b32_e64 v37, v31, v37, s[30:31]
	v_cndmask_b32_e64 v31, v31, v63, s[30:31]
	s_and_b64 vcc, s[30:31], vcc
	ds_bpermute_b32 v63, v49, v31
	s_waitcnt lgkmcnt(1)
	v_cndmask_b32_e32 v36, 0, v36, vcc
	v_add_u32_e32 v30, v36, v30
	ds_bpermute_b32 v36, v49, v30
	v_and_b32_e32 v64, 1, v37
	s_waitcnt lgkmcnt(1)
	v_and_b32_e32 v63, 1, v63
	v_cmp_eq_u32_e32 vcc, 1, v64
	v_cndmask_b32_e64 v63, v63, 1, vcc
	v_cmp_eq_u16_sdwa vcc, v37, v35 src0_sel:BYTE_0 src1_sel:DWORD
	v_and_b32_e32 v64, 0xffff, v63
	s_waitcnt lgkmcnt(0)
	v_cndmask_b32_e32 v36, 0, v36, vcc
	v_cmp_gt_u32_e32 vcc, v53, v33
	v_cndmask_b32_e32 v31, v64, v31, vcc
	v_cndmask_b32_e32 v37, v63, v37, vcc
	ds_bpermute_b32 v63, v54, v31
	v_cndmask_b32_e64 v36, v36, 0, vcc
	v_add_u32_e32 v30, v36, v30
	ds_bpermute_b32 v36, v54, v30
	v_and_b32_e32 v64, 1, v37
	s_waitcnt lgkmcnt(1)
	v_and_b32_e32 v63, 1, v63
	v_cmp_eq_u32_e32 vcc, 1, v64
	v_cndmask_b32_e64 v63, v63, 1, vcc
	v_cmp_eq_u16_sdwa vcc, v37, v35 src0_sel:BYTE_0 src1_sel:DWORD
	v_and_b32_e32 v64, 0xffff, v63
	s_waitcnt lgkmcnt(0)
	v_cndmask_b32_e32 v36, 0, v36, vcc
	v_cmp_gt_u32_e32 vcc, v55, v33
	v_cndmask_b32_e32 v31, v64, v31, vcc
	v_cndmask_b32_e32 v37, v63, v37, vcc
	ds_bpermute_b32 v63, v56, v31
	v_cndmask_b32_e64 v36, v36, 0, vcc
	v_add_u32_e32 v30, v36, v30
	ds_bpermute_b32 v36, v56, v30
	v_and_b32_e32 v64, 1, v37
	s_waitcnt lgkmcnt(1)
	v_and_b32_e32 v63, 1, v63
	v_cmp_eq_u32_e32 vcc, 1, v64
	v_cndmask_b32_e64 v63, v63, 1, vcc
	v_cmp_eq_u16_sdwa vcc, v37, v35 src0_sel:BYTE_0 src1_sel:DWORD
	v_and_b32_e32 v64, 0xffff, v63
	s_waitcnt lgkmcnt(0)
	v_cndmask_b32_e32 v36, 0, v36, vcc
	v_cmp_gt_u32_e32 vcc, v57, v33
	v_cndmask_b32_e32 v31, v64, v31, vcc
	v_cndmask_b32_e32 v37, v63, v37, vcc
	ds_bpermute_b32 v63, v58, v31
	v_cndmask_b32_e64 v36, v36, 0, vcc
	v_add_u32_e32 v30, v36, v30
	ds_bpermute_b32 v36, v58, v30
	v_and_b32_e32 v64, 1, v37
	s_waitcnt lgkmcnt(1)
	v_and_b32_e32 v63, 1, v63
	v_cmp_eq_u32_e32 vcc, 1, v64
	v_cndmask_b32_e64 v63, v63, 1, vcc
	v_cmp_eq_u16_sdwa vcc, v37, v35 src0_sel:BYTE_0 src1_sel:DWORD
	v_and_b32_e32 v64, 0xffff, v63
	s_waitcnt lgkmcnt(0)
	v_cndmask_b32_e32 v36, 0, v36, vcc
	v_cmp_gt_u32_e32 vcc, v59, v33
	v_cndmask_b32_e64 v36, v36, 0, vcc
	v_cndmask_b32_e32 v31, v64, v31, vcc
	ds_bpermute_b32 v31, v61, v31
	v_add_u32_e32 v30, v36, v30
	ds_bpermute_b32 v36, v61, v30
	v_cndmask_b32_e32 v37, v63, v37, vcc
	v_and_b32_e32 v63, 1, v37
	v_cmp_eq_u32_e32 vcc, 1, v63
	s_waitcnt lgkmcnt(1)
	v_cndmask_b32_e64 v31, v31, 1, vcc
	v_cmp_eq_u16_sdwa vcc, v37, v35 src0_sel:BYTE_0 src1_sel:DWORD
	s_waitcnt lgkmcnt(0)
	v_cndmask_b32_e32 v36, 0, v36, vcc
	v_cmp_gt_u32_e32 vcc, v62, v33
	v_cndmask_b32_e64 v33, v36, 0, vcc
	v_cndmask_b32_e32 v31, v31, v37, vcc
	v_add_u32_e32 v30, v33, v30
	v_cmp_eq_u16_sdwa vcc, v46, v35 src0_sel:BYTE_0 src1_sel:DWORD
	v_and_b32_e32 v33, 1, v46
	v_cndmask_b32_e32 v30, 0, v30, vcc
	v_and_b32_e32 v31, 1, v31
	v_cmp_eq_u32_e32 vcc, 1, v33
	v_subrev_u32_e32 v34, 64, v34
	v_add_u32_e32 v30, v30, v60
	v_cndmask_b32_e64 v31, v31, 1, vcc
.LBB1502_102:                           ; =>This Loop Header: Depth=1
                                        ;     Child Loop BB1502_105 Depth 2
	v_cmp_ne_u16_sdwa s[30:31], v32, v27 src0_sel:BYTE_0 src1_sel:DWORD
	v_mov_b32_e32 v46, v31
	v_cndmask_b32_e64 v31, 0, 1, s[30:31]
	;;#ASMSTART
	;;#ASMEND
	v_cmp_ne_u32_e32 vcc, 0, v31
	s_cmp_lg_u64 vcc, exec
	v_mov_b32_e32 v60, v30
	s_cbranch_scc1 .LBB1502_107
; %bb.103:                              ;   in Loop: Header=BB1502_102 Depth=1
	v_lshlrev_b64 v[30:31], 4, v[34:35]
	v_mov_b32_e32 v32, s45
	v_add_co_u32_e32 v36, vcc, s44, v30
	v_addc_co_u32_e32 v37, vcc, v32, v31, vcc
	;;#ASMSTART
	global_load_dwordx4 v[30:33], v[36:37] off glc	
s_waitcnt vmcnt(0)
	;;#ASMEND
	v_and_b32_e32 v33, 0xff0000, v30
	v_or_b32_sdwa v33, v30, v33 dst_sel:DWORD dst_unused:UNUSED_PAD src0_sel:WORD_0 src1_sel:DWORD
	v_and_b32_e32 v30, 0xff000000, v30
	v_and_b32_e32 v31, 0xff, v31
	v_or3_b32 v31, 0, 0, v31
	v_or3_b32 v30, v33, v30, 0
	v_cmp_eq_u16_sdwa s[48:49], v32, v35 src0_sel:BYTE_0 src1_sel:DWORD
	s_and_saveexec_b64 s[30:31], s[48:49]
	s_cbranch_execz .LBB1502_101
; %bb.104:                              ;   in Loop: Header=BB1502_102 Depth=1
	s_mov_b64 s[48:49], 0
.LBB1502_105:                           ;   Parent Loop BB1502_102 Depth=1
                                        ; =>  This Inner Loop Header: Depth=2
	;;#ASMSTART
	global_load_dwordx4 v[30:33], v[36:37] off glc	
s_waitcnt vmcnt(0)
	;;#ASMEND
	v_cmp_ne_u16_sdwa s[54:55], v32, v35 src0_sel:BYTE_0 src1_sel:DWORD
	s_or_b64 s[48:49], s[54:55], s[48:49]
	s_andn2_b64 exec, exec, s[48:49]
	s_cbranch_execnz .LBB1502_105
; %bb.106:                              ;   in Loop: Header=BB1502_102 Depth=1
	s_or_b64 exec, exec, s[48:49]
	v_and_b32_e32 v31, 0xff, v31
	s_branch .LBB1502_101
.LBB1502_107:                           ;   in Loop: Header=BB1502_102 Depth=1
                                        ; implicit-def: $vgpr31
                                        ; implicit-def: $vgpr30
                                        ; implicit-def: $vgpr32
	s_cbranch_execz .LBB1502_102
; %bb.108:
	s_and_saveexec_b64 s[30:31], s[26:27]
	s_cbranch_execz .LBB1502_110
; %bb.109:
	s_and_b32 s40, s7, 0xff
	s_cmp_eq_u32 s40, 0
	s_cselect_b64 vcc, -1, 0
	s_bitcmp1_b32 s7, 0
	s_mov_b32 s41, 0
	s_cselect_b64 s[48:49], -1, 0
	s_add_i32 s40, s6, 64
	s_lshl_b64 s[6:7], s[40:41], 4
	v_cndmask_b32_e32 v27, 0, v60, vcc
	s_add_u32 s6, s44, s6
	v_add_u32_e32 v26, v27, v26
	v_and_b32_e32 v27, 1, v46
	s_addc_u32 s7, s45, s7
	v_mov_b32_e32 v29, 0
	v_cndmask_b32_e64 v27, v27, 1, s[48:49]
	v_mov_b32_e32 v28, 2
	v_pk_mov_b32 v[30:31], s[6:7], s[6:7] op_sel:[0,1]
	;;#ASMSTART
	global_store_dwordx4 v[30:31], v[26:29] off	
s_waitcnt vmcnt(0)
	;;#ASMEND
.LBB1502_110:
	s_or_b64 exec, exec, s[30:31]
	v_cmp_eq_u32_e32 vcc, 0, v0
	s_and_b64 exec, exec, vcc
	s_cbranch_execz .LBB1502_112
; %bb.111:
	v_mov_b32_e32 v26, 0
	ds_write_b32 v26, v60 offset:24
	ds_write_b8 v26, v46 offset:28
.LBB1502_112:
	s_or_b64 exec, exec, s[38:39]
	v_mov_b32_e32 v28, 0
	s_waitcnt lgkmcnt(0)
	s_barrier
	ds_read_b32 v26, v28 offset:24
	v_cndmask_b32_e64 v27, v45, v43, s[26:27]
	v_cmp_eq_u16_sdwa vcc, v27, v28 src0_sel:BYTE_0 src1_sel:DWORD
	v_cndmask_b32_e64 v29, v44, v42, s[26:27]
	s_waitcnt lgkmcnt(0)
	v_cndmask_b32_e32 v27, 0, v26, vcc
	v_add_u32_e32 v27, v27, v29
	v_cmp_eq_u32_e32 vcc, 0, v0
	v_and_b32_e32 v29, 0xff, v39
	v_cndmask_b32_e32 v26, v27, v26, vcc
	v_cmp_eq_u64_e32 vcc, 0, v[28:29]
	v_cndmask_b32_e32 v27, 0, v26, vcc
	v_add_u32_e32 v27, v27, v38
	v_cndmask_b32_e64 v28, 0, v27, s[2:3]
	v_add_u32_e32 v42, v28, v8
	v_cndmask_b32_e64 v28, 0, v42, s[4:5]
	v_add_u32_e32 v43, v28, v6
	v_cndmask_b32_e64 v28, 0, v43, s[28:29]
	v_add_u32_e32 v30, v28, v4
	v_cndmask_b32_e64 v28, 0, v30, s[8:9]
	v_add_u32_e32 v31, v28, v2
	v_cndmask_b32_e64 v28, 0, v31, s[10:11]
	v_add_u32_e32 v44, v28, v16
	v_cndmask_b32_e64 v28, 0, v44, s[12:13]
	v_add_u32_e32 v45, v28, v14
	v_cndmask_b32_e64 v28, 0, v45, s[14:15]
	v_add_u32_e32 v34, v28, v12
	v_cndmask_b32_e64 v28, 0, v34, s[16:17]
	v_add_u32_e32 v35, v28, v10
	v_cndmask_b32_e64 v28, 0, v35, s[18:19]
	v_add_u32_e32 v46, v28, v18
	v_cndmask_b32_e64 v28, 0, v46, s[20:21]
	v_add_u32_e32 v47, v28, v20
	v_cndmask_b32_e64 v28, 0, v47, s[22:23]
	v_add_u32_e32 v48, v28, v22
	v_cndmask_b32_e64 v28, 0, v48, s[24:25]
	v_add_u32_e32 v49, v28, v24
	s_branch .LBB1502_139
.LBB1502_113:
	s_or_b64 exec, exec, s[30:31]
                                        ; implicit-def: $vgpr14
	s_and_saveexec_b64 s[30:31], s[2:3]
	s_cbranch_execz .LBB1502_33
.LBB1502_114:
	v_mov_b32_e32 v15, s47
	v_add_co_u32_e32 v14, vcc, s7, v12
	v_addc_co_u32_e32 v15, vcc, 0, v15, vcc
	flat_load_dword v14, v[14:15] offset:1024
	s_or_b64 exec, exec, s[30:31]
                                        ; implicit-def: $vgpr15
	s_and_saveexec_b64 s[2:3], s[4:5]
	s_cbranch_execnz .LBB1502_34
.LBB1502_115:
	s_or_b64 exec, exec, s[2:3]
                                        ; implicit-def: $vgpr16
	s_and_saveexec_b64 s[2:3], s[28:29]
	s_cbranch_execz .LBB1502_35
.LBB1502_116:
	v_mov_b32_e32 v17, s47
	v_add_co_u32_e32 v16, vcc, s7, v12
	v_addc_co_u32_e32 v17, vcc, 0, v17, vcc
	flat_load_dword v16, v[16:17] offset:3072
	s_or_b64 exec, exec, s[2:3]
                                        ; implicit-def: $vgpr17
	s_and_saveexec_b64 s[2:3], s[8:9]
	s_cbranch_execnz .LBB1502_36
.LBB1502_117:
	s_or_b64 exec, exec, s[2:3]
                                        ; implicit-def: $vgpr2
	s_and_saveexec_b64 s[2:3], s[10:11]
	s_cbranch_execz .LBB1502_37
.LBB1502_118:
	v_mov_b32_e32 v18, s47
	v_add_co_u32_e32 v2, vcc, s7, v3
	v_addc_co_u32_e32 v3, vcc, 0, v18, vcc
	flat_load_dword v2, v[2:3]
	s_or_b64 exec, exec, s[2:3]
                                        ; implicit-def: $vgpr3
	s_and_saveexec_b64 s[2:3], s[12:13]
	s_cbranch_execnz .LBB1502_38
.LBB1502_119:
	s_or_b64 exec, exec, s[2:3]
                                        ; implicit-def: $vgpr4
	s_and_saveexec_b64 s[2:3], s[14:15]
	s_cbranch_execz .LBB1502_39
.LBB1502_120:
	v_mov_b32_e32 v18, s47
	v_add_co_u32_e32 v4, vcc, s7, v5
	v_addc_co_u32_e32 v5, vcc, 0, v18, vcc
	flat_load_dword v4, v[4:5]
	s_or_b64 exec, exec, s[2:3]
                                        ; implicit-def: $vgpr5
	s_and_saveexec_b64 s[2:3], s[16:17]
	s_cbranch_execnz .LBB1502_40
.LBB1502_121:
	s_or_b64 exec, exec, s[2:3]
                                        ; implicit-def: $vgpr6
	s_and_saveexec_b64 s[2:3], s[18:19]
	s_cbranch_execz .LBB1502_41
.LBB1502_122:
	v_mov_b32_e32 v18, s47
	v_add_co_u32_e32 v6, vcc, s7, v7
	v_addc_co_u32_e32 v7, vcc, 0, v18, vcc
	flat_load_dword v6, v[6:7]
	s_or_b64 exec, exec, s[2:3]
                                        ; implicit-def: $vgpr7
	s_and_saveexec_b64 s[2:3], s[20:21]
	s_cbranch_execnz .LBB1502_42
.LBB1502_123:
	s_or_b64 exec, exec, s[2:3]
                                        ; implicit-def: $vgpr8
	s_and_saveexec_b64 s[2:3], s[22:23]
	s_cbranch_execz .LBB1502_43
.LBB1502_124:
	v_mov_b32_e32 v18, s47
	v_add_co_u32_e32 v8, vcc, s7, v9
	v_addc_co_u32_e32 v9, vcc, 0, v18, vcc
	flat_load_dword v8, v[8:9]
	s_or_b64 exec, exec, s[2:3]
                                        ; implicit-def: $vgpr9
	s_and_saveexec_b64 s[2:3], s[24:25]
	s_cbranch_execz .LBB1502_45
	s_branch .LBB1502_44
.LBB1502_125:
                                        ; implicit-def: $vgpr49
                                        ; implicit-def: $vgpr47
                                        ; implicit-def: $vgpr45
                                        ; implicit-def: $vgpr43
                                        ; implicit-def: $vgpr34_vgpr35_vgpr36_vgpr37
                                        ; implicit-def: $vgpr30_vgpr31_vgpr32_vgpr33
                                        ; implicit-def: $vgpr26_vgpr27_vgpr28_vgpr29
	s_cbranch_execz .LBB1502_139
; %bb.126:
	s_cmp_lg_u64 s[52:53], 0
	s_cselect_b32 s3, s51, 0
	s_cselect_b32 s2, s50, 0
	s_mov_b32 s24, 0
	s_cmp_eq_u64 s[2:3], 0
	v_mov_b32_e32 v32, s56
	s_cbranch_scc1 .LBB1502_128
; %bb.127:
	v_mov_b32_e32 v26, 0
	global_load_dword v32, v26, s[2:3]
.LBB1502_128:
	s_mov_b32 s25, 1
	v_cmp_gt_u64_e32 vcc, s[24:25], v[8:9]
	v_cndmask_b32_e32 v27, 0, v38, vcc
	v_add_u32_e32 v27, v27, v8
	v_cmp_gt_u64_e64 s[2:3], s[24:25], v[6:7]
	v_cndmask_b32_e64 v27, 0, v27, s[2:3]
	v_add_u32_e32 v27, v27, v6
	v_cmp_gt_u64_e64 s[4:5], s[24:25], v[4:5]
	v_cndmask_b32_e64 v27, 0, v27, s[4:5]
	;; [unrolled: 3-line block ×11, first 2 shown]
	v_mov_b32_e32 v26, 0
	v_add_u32_e32 v27, v27, v24
	v_cmp_gt_u64_e64 s[24:25], s[24:25], v[40:41]
	v_or3_b32 v7, v23, v15, v7
	v_cndmask_b32_e64 v27, 0, v27, s[24:25]
	v_or3_b32 v9, v25, v17, v9
	v_and_b32_e32 v35, 1, v7
	v_mov_b32_e32 v34, v26
	v_add_u32_e32 v33, v27, v40
	v_and_b32_e32 v27, 1, v41
	v_or3_b32 v3, v19, v11, v3
	v_and_b32_e32 v31, 1, v9
	v_mov_b32_e32 v30, v26
	v_cmp_ne_u64_e64 s[26:27], 0, v[34:35]
	v_cmp_eq_u32_e64 s[24:25], 1, v27
	v_or3_b32 v5, v21, v13, v5
	v_and_b32_e32 v27, 1, v3
	v_cndmask_b32_e64 v3, 0, 1, s[26:27]
	v_cmp_ne_u64_e64 s[26:27], 0, v[30:31]
	v_and_b32_e32 v29, 1, v5
	v_mov_b32_e32 v28, v26
	v_cndmask_b32_e64 v5, 0, 1, s[26:27]
	v_lshlrev_b16_e32 v3, 2, v3
	v_lshlrev_b16_e32 v5, 3, v5
	v_cmp_ne_u64_e64 s[26:27], 0, v[28:29]
	v_or_b32_e32 v3, v5, v3
	v_cndmask_b32_e64 v5, 0, 1, s[26:27]
	v_cmp_ne_u64_e64 s[26:27], 0, v[26:27]
	v_lshlrev_b16_e32 v5, 1, v5
	v_cndmask_b32_e64 v7, 0, 1, s[26:27]
	v_or_b32_e32 v5, v7, v5
	v_and_b32_e32 v5, 3, v5
	v_or_b32_e32 v3, v5, v3
	v_and_b32_e32 v3, 15, v3
	v_cmp_ne_u16_e64 s[26:27], 0, v3
	s_or_b64 s[24:25], s[24:25], s[26:27]
	v_cndmask_b32_e64 v5, v39, 1, s[24:25]
	v_and_b32_e32 v7, 0xff, v5
	v_mov_b32_dpp v11, v33 row_shr:1 row_mask:0xf bank_mask:0xf
	v_cmp_eq_u16_e64 s[24:25], 0, v7
	v_mov_b32_dpp v13, v7 row_shr:1 row_mask:0xf bank_mask:0xf
	v_and_b32_e32 v15, 1, v5
	v_mbcnt_hi_u32_b32 v3, -1, v52
	v_cndmask_b32_e64 v11, 0, v11, s[24:25]
	v_and_b32_e32 v13, 1, v13
	v_cmp_eq_u32_e64 s[24:25], 1, v15
	v_and_b32_e32 v9, 15, v3
	v_cndmask_b32_e64 v13, v13, 1, s[24:25]
	v_and_b32_e32 v15, 0xffff, v13
	v_cmp_eq_u32_e64 s[24:25], 0, v9
	v_cndmask_b32_e64 v5, v13, v5, s[24:25]
	v_cndmask_b32_e64 v7, v15, v7, s[24:25]
	v_and_b32_e32 v17, 1, v5
	v_cndmask_b32_e64 v11, v11, 0, s[24:25]
	v_mov_b32_dpp v15, v7 row_shr:2 row_mask:0xf bank_mask:0xf
	v_and_b32_e32 v15, 1, v15
	v_cmp_eq_u32_e64 s[24:25], 1, v17
	v_cndmask_b32_e64 v15, v15, 1, s[24:25]
	v_and_b32_e32 v17, 0xffff, v15
	v_cmp_lt_u32_e64 s[24:25], 1, v9
	v_add_u32_e32 v11, v11, v33
	v_cmp_eq_u16_sdwa s[26:27], v5, v26 src0_sel:BYTE_0 src1_sel:DWORD
	v_cndmask_b32_e64 v5, v5, v15, s[24:25]
	v_cndmask_b32_e64 v7, v7, v17, s[24:25]
	v_mov_b32_dpp v13, v11 row_shr:2 row_mask:0xf bank_mask:0xf
	s_and_b64 s[24:25], s[24:25], s[26:27]
	v_mov_b32_dpp v15, v7 row_shr:4 row_mask:0xf bank_mask:0xf
	v_and_b32_e32 v17, 1, v5
	v_cndmask_b32_e64 v13, 0, v13, s[24:25]
	v_and_b32_e32 v15, 1, v15
	v_cmp_eq_u32_e64 s[24:25], 1, v17
	v_cndmask_b32_e64 v15, v15, 1, s[24:25]
	v_and_b32_e32 v17, 0xffff, v15
	v_cmp_lt_u32_e64 s[24:25], 3, v9
	v_add_u32_e32 v11, v13, v11
	v_cmp_eq_u16_sdwa s[26:27], v5, v26 src0_sel:BYTE_0 src1_sel:DWORD
	v_cndmask_b32_e64 v5, v5, v15, s[24:25]
	v_cndmask_b32_e64 v7, v7, v17, s[24:25]
	v_mov_b32_dpp v13, v11 row_shr:4 row_mask:0xf bank_mask:0xf
	s_and_b64 s[24:25], s[24:25], s[26:27]
	v_mov_b32_dpp v15, v7 row_shr:8 row_mask:0xf bank_mask:0xf
	v_and_b32_e32 v17, 1, v5
	v_cndmask_b32_e64 v13, 0, v13, s[24:25]
	v_and_b32_e32 v15, 1, v15
	v_cmp_eq_u32_e64 s[24:25], 1, v17
	v_cndmask_b32_e64 v15, v15, 1, s[24:25]
	v_add_u32_e32 v11, v13, v11
	v_cmp_eq_u16_sdwa s[26:27], v5, v26 src0_sel:BYTE_0 src1_sel:DWORD
	v_and_b32_e32 v17, 0xffff, v15
	v_cmp_lt_u32_e64 s[24:25], 7, v9
	v_mov_b32_dpp v13, v11 row_shr:8 row_mask:0xf bank_mask:0xf
	v_cndmask_b32_e64 v5, v5, v15, s[24:25]
	v_cndmask_b32_e64 v7, v7, v17, s[24:25]
	s_and_b64 s[24:25], s[24:25], s[26:27]
	v_cndmask_b32_e64 v9, 0, v13, s[24:25]
	v_add_u32_e32 v9, v9, v11
	v_mov_b32_dpp v13, v7 row_bcast:15 row_mask:0xf bank_mask:0xf
	v_cmp_eq_u16_sdwa s[24:25], v5, v26 src0_sel:BYTE_0 src1_sel:DWORD
	v_mov_b32_dpp v11, v9 row_bcast:15 row_mask:0xf bank_mask:0xf
	v_and_b32_e32 v19, 1, v5
	v_cndmask_b32_e64 v11, 0, v11, s[24:25]
	v_and_b32_e32 v13, 1, v13
	v_cmp_eq_u32_e64 s[24:25], 1, v19
	v_and_b32_e32 v17, 16, v3
	v_cndmask_b32_e64 v13, v13, 1, s[24:25]
	v_and_b32_e32 v19, 0xffff, v13
	v_cmp_eq_u32_e64 s[24:25], 0, v17
	v_cndmask_b32_e64 v5, v13, v5, s[24:25]
	v_cndmask_b32_e64 v7, v19, v7, s[24:25]
	v_bfe_i32 v15, v3, 4, 1
	v_and_b32_e32 v13, 1, v5
	v_mov_b32_dpp v7, v7 row_bcast:31 row_mask:0xf bank_mask:0xf
	v_and_b32_e32 v11, v15, v11
	v_and_b32_e32 v7, 1, v7
	v_cmp_eq_u32_e64 s[24:25], 1, v13
	v_add_u32_e32 v9, v11, v9
	v_cmp_eq_u16_sdwa s[26:27], v5, v26 src0_sel:BYTE_0 src1_sel:DWORD
	v_cndmask_b32_e64 v7, v7, 1, s[24:25]
	v_cmp_lt_u32_e64 s[24:25], 31, v3
	v_mov_b32_dpp v11, v9 row_bcast:31 row_mask:0xf bank_mask:0xf
	v_cndmask_b32_e64 v5, v5, v7, s[24:25]
	s_and_b64 s[24:25], s[24:25], s[26:27]
	v_cndmask_b32_e64 v7, 0, v11, s[24:25]
	v_add_u32_e32 v7, v7, v9
	v_cmp_eq_u32_e64 s[24:25], v51, v0
	s_and_saveexec_b64 s[26:27], s[24:25]
	s_cbranch_execz .LBB1502_130
; %bb.129:
	v_lshlrev_b32_e32 v9, 3, v1
	ds_write_b32 v9, v7
	ds_write_b8 v9, v5 offset:4
.LBB1502_130:
	s_or_b64 exec, exec, s[26:27]
	v_cmp_gt_u32_e64 s[24:25], 4, v0
	s_waitcnt lgkmcnt(0)
	s_barrier
	s_and_saveexec_b64 s[26:27], s[24:25]
	s_cbranch_execz .LBB1502_134
; %bb.131:
	v_lshlrev_b32_e32 v9, 3, v0
	ds_read_b64 v[26:27], v9
	v_and_b32_e32 v11, 3, v3
	v_cmp_ne_u32_e64 s[24:25], 0, v11
	s_waitcnt lgkmcnt(0)
	v_mov_b32_dpp v13, v26 row_shr:1 row_mask:0xf bank_mask:0xf
	v_mov_b32_dpp v17, v27 row_shr:1 row_mask:0xf bank_mask:0xf
	v_mov_b32_e32 v15, v27
	s_and_saveexec_b64 s[28:29], s[24:25]
	s_cbranch_execz .LBB1502_133
; %bb.132:
	v_and_b32_e32 v15, 1, v27
	v_and_b32_e32 v17, 1, v17
	v_cmp_eq_u32_e64 s[24:25], 1, v15
	v_mov_b32_e32 v15, 0
	v_cndmask_b32_e64 v17, v17, 1, s[24:25]
	v_cmp_eq_u16_sdwa s[24:25], v27, v15 src0_sel:BYTE_0 src1_sel:DWORD
	v_cndmask_b32_e64 v13, 0, v13, s[24:25]
	v_add_u32_e32 v26, v13, v26
	v_and_b32_e32 v13, 0xffff, v17
	s_movk_i32 s24, 0xff00
	v_and_or_b32 v15, v27, s24, v13
	v_mov_b32_e32 v27, v17
.LBB1502_133:
	s_or_b64 exec, exec, s[28:29]
	v_mov_b32_dpp v15, v15 row_shr:2 row_mask:0xf bank_mask:0xf
	v_and_b32_e32 v17, 1, v27
	v_and_b32_e32 v15, 1, v15
	v_cmp_eq_u32_e64 s[24:25], 1, v17
	v_mov_b32_e32 v17, 0
	v_cndmask_b32_e64 v15, v15, 1, s[24:25]
	v_cmp_eq_u16_sdwa s[28:29], v27, v17 src0_sel:BYTE_0 src1_sel:DWORD
	v_cmp_lt_u32_e64 s[24:25], 1, v11
	v_mov_b32_dpp v13, v26 row_shr:2 row_mask:0xf bank_mask:0xf
	v_cndmask_b32_e64 v11, v27, v15, s[24:25]
	s_and_b64 s[24:25], s[24:25], s[28:29]
	v_cndmask_b32_e64 v13, 0, v13, s[24:25]
	v_add_u32_e32 v13, v13, v26
	ds_write_b32 v9, v13
	ds_write_b8 v9, v11 offset:4
.LBB1502_134:
	s_or_b64 exec, exec, s[26:27]
	v_cmp_lt_u32_e64 s[24:25], 63, v0
	s_waitcnt vmcnt(0)
	v_mov_b32_e32 v9, v32
	s_waitcnt lgkmcnt(0)
	s_barrier
	s_and_saveexec_b64 s[26:27], s[24:25]
	s_cbranch_execz .LBB1502_136
; %bb.135:
	v_lshl_add_u32 v1, v1, 3, -8
	ds_read_u8 v9, v1 offset:4
	ds_read_b32 v1, v1
	s_waitcnt lgkmcnt(1)
	v_cmp_eq_u16_e64 s[24:25], 0, v9
	v_cndmask_b32_e64 v9, 0, v32, s[24:25]
	s_waitcnt lgkmcnt(0)
	v_add_u32_e32 v9, v9, v1
.LBB1502_136:
	s_or_b64 exec, exec, s[26:27]
	v_mov_b32_e32 v28, 0
	v_cmp_eq_u16_sdwa s[24:25], v5, v28 src0_sel:BYTE_0 src1_sel:DWORD
	v_cndmask_b32_e64 v1, 0, v9, s[24:25]
	v_add_u32_e32 v1, v1, v7
	v_add_u32_e32 v5, -1, v3
	v_and_b32_e32 v7, 64, v3
	v_cmp_lt_i32_e64 s[24:25], v5, v7
	v_cndmask_b32_e64 v5, v5, v3, s[24:25]
	v_lshlrev_b32_e32 v5, 2, v5
	ds_bpermute_b32 v1, v5, v1
	v_cmp_eq_u32_e64 s[24:25], 0, v3
	v_and_b32_e32 v29, 0xff, v39
	v_cmp_eq_u64_e64 s[26:27], 0, v[28:29]
	s_waitcnt lgkmcnt(0)
	v_cndmask_b32_e64 v26, v1, v9, s[24:25]
	v_cmp_eq_u32_e64 s[24:25], 0, v0
	v_cndmask_b32_e64 v1, v26, v32, s[24:25]
	v_cndmask_b32_e64 v1, 0, v1, s[26:27]
	v_add_u32_e32 v27, v1, v38
	v_cndmask_b32_e32 v1, 0, v27, vcc
	v_add_u32_e32 v42, v1, v8
	v_cndmask_b32_e64 v1, 0, v42, s[2:3]
	v_add_u32_e32 v43, v1, v6
	v_cndmask_b32_e64 v1, 0, v43, s[4:5]
	;; [unrolled: 2-line block ×11, first 2 shown]
	s_and_saveexec_b64 s[2:3], s[24:25]
	s_cbranch_execz .LBB1502_138
; %bb.137:
	ds_read_u8 v3, v28 offset:28
	ds_read_b32 v2, v28 offset:24
	s_add_u32 s4, s44, 0x400
	s_addc_u32 s5, s45, 0
	v_mov_b32_e32 v5, v28
	s_waitcnt lgkmcnt(1)
	v_cmp_eq_u16_e32 vcc, 0, v3
	v_cndmask_b32_e32 v4, 0, v32, vcc
	s_waitcnt lgkmcnt(0)
	v_add_u32_e32 v2, v4, v2
	v_and_b32_e32 v3, 0xffff, v3
	v_mov_b32_e32 v4, 2
	v_pk_mov_b32 v[6:7], s[4:5], s[4:5] op_sel:[0,1]
	;;#ASMSTART
	global_store_dwordx4 v[6:7], v[2:5] off	
s_waitcnt vmcnt(0)
	;;#ASMEND
	v_mov_b32_e32 v26, v32
.LBB1502_138:
	s_or_b64 exec, exec, s[2:3]
	v_add_u32_e32 v49, v1, v24
.LBB1502_139:
	s_add_u32 s2, s42, s34
	s_addc_u32 s3, s43, s35
	s_add_u32 s4, s2, s36
	v_mul_u32_u24_e32 v1, 14, v0
	s_addc_u32 s5, s3, s37
	s_and_b64 vcc, exec, s[0:1]
	v_lshlrev_b32_e32 v2, 2, v1
	s_cbranch_vccz .LBB1502_167
; %bb.140:
	s_movk_i32 s0, 0xffcc
	v_mad_i32_i24 v3, v0, s0, v2
	s_barrier
	ds_write2_b64 v2, v[26:27], v[42:43] offset1:1
	ds_write2_b64 v2, v[30:31], v[44:45] offset0:2 offset1:3
	ds_write2_b64 v2, v[34:35], v[46:47] offset0:4 offset1:5
	ds_write_b64 v2, v[48:49] offset:48
	s_waitcnt lgkmcnt(0)
	s_barrier
	ds_read2st64_b32 v[16:17], v3 offset0:4 offset1:8
	ds_read2st64_b32 v[14:15], v3 offset0:12 offset1:16
	;; [unrolled: 1-line block ×6, first 2 shown]
	ds_read_b32 v3, v3 offset:13312
	v_mov_b32_e32 v7, s5
	v_add_co_u32_e32 v6, vcc, s4, v50
	s_add_i32 s33, s33, s46
	v_addc_co_u32_e32 v7, vcc, 0, v7, vcc
	v_mov_b32_e32 v1, 0
	v_cmp_gt_u32_e32 vcc, s33, v0
	s_and_saveexec_b64 s[0:1], vcc
	s_cbranch_execz .LBB1502_142
; %bb.141:
	v_mul_i32_i24_e32 v18, 0xffffffcc, v0
	v_add_u32_e32 v18, v2, v18
	ds_read_b32 v18, v18
	s_waitcnt lgkmcnt(0)
	flat_store_dword v[6:7], v18
.LBB1502_142:
	s_or_b64 exec, exec, s[0:1]
	v_or_b32_e32 v18, 0x100, v0
	v_cmp_gt_u32_e32 vcc, s33, v18
	s_and_saveexec_b64 s[0:1], vcc
	s_cbranch_execz .LBB1502_144
; %bb.143:
	s_waitcnt lgkmcnt(0)
	flat_store_dword v[6:7], v16 offset:1024
.LBB1502_144:
	s_or_b64 exec, exec, s[0:1]
	s_waitcnt lgkmcnt(0)
	v_or_b32_e32 v16, 0x200, v0
	v_cmp_gt_u32_e32 vcc, s33, v16
	s_and_saveexec_b64 s[0:1], vcc
	s_cbranch_execz .LBB1502_146
; %bb.145:
	flat_store_dword v[6:7], v17 offset:2048
.LBB1502_146:
	s_or_b64 exec, exec, s[0:1]
	v_or_b32_e32 v16, 0x300, v0
	v_cmp_gt_u32_e32 vcc, s33, v16
	s_and_saveexec_b64 s[0:1], vcc
	s_cbranch_execz .LBB1502_148
; %bb.147:
	flat_store_dword v[6:7], v14 offset:3072
.LBB1502_148:
	s_or_b64 exec, exec, s[0:1]
	v_or_b32_e32 v14, 0x400, v0
	v_cmp_gt_u32_e32 vcc, s33, v14
	s_and_saveexec_b64 s[0:1], vcc
	s_cbranch_execz .LBB1502_150
; %bb.149:
	v_add_co_u32_e32 v16, vcc, 0x1000, v6
	v_addc_co_u32_e32 v17, vcc, 0, v7, vcc
	flat_store_dword v[16:17], v15
.LBB1502_150:
	s_or_b64 exec, exec, s[0:1]
	v_or_b32_e32 v14, 0x500, v0
	v_cmp_gt_u32_e32 vcc, s33, v14
	s_and_saveexec_b64 s[0:1], vcc
	s_cbranch_execz .LBB1502_152
; %bb.151:
	v_add_co_u32_e32 v14, vcc, 0x1000, v6
	v_addc_co_u32_e32 v15, vcc, 0, v7, vcc
	flat_store_dword v[14:15], v12 offset:1024
.LBB1502_152:
	s_or_b64 exec, exec, s[0:1]
	v_or_b32_e32 v12, 0x600, v0
	v_cmp_gt_u32_e32 vcc, s33, v12
	s_and_saveexec_b64 s[0:1], vcc
	s_cbranch_execz .LBB1502_154
; %bb.153:
	v_add_co_u32_e32 v14, vcc, 0x1000, v6
	v_addc_co_u32_e32 v15, vcc, 0, v7, vcc
	flat_store_dword v[14:15], v13 offset:2048
.LBB1502_154:
	;; [unrolled: 10-line block ×3, first 2 shown]
	s_or_b64 exec, exec, s[0:1]
	v_or_b32_e32 v10, 0x800, v0
	v_cmp_gt_u32_e32 vcc, s33, v10
	s_and_saveexec_b64 s[0:1], vcc
	s_cbranch_execz .LBB1502_158
; %bb.157:
	v_add_co_u32_e32 v12, vcc, 0x2000, v6
	v_addc_co_u32_e32 v13, vcc, 0, v7, vcc
	flat_store_dword v[12:13], v11
.LBB1502_158:
	s_or_b64 exec, exec, s[0:1]
	v_or_b32_e32 v10, 0x900, v0
	v_cmp_gt_u32_e32 vcc, s33, v10
	s_and_saveexec_b64 s[0:1], vcc
	s_cbranch_execz .LBB1502_160
; %bb.159:
	v_add_co_u32_e32 v10, vcc, 0x2000, v6
	v_addc_co_u32_e32 v11, vcc, 0, v7, vcc
	flat_store_dword v[10:11], v8 offset:1024
.LBB1502_160:
	s_or_b64 exec, exec, s[0:1]
	v_or_b32_e32 v8, 0xa00, v0
	v_cmp_gt_u32_e32 vcc, s33, v8
	s_and_saveexec_b64 s[0:1], vcc
	s_cbranch_execz .LBB1502_162
; %bb.161:
	v_add_co_u32_e32 v10, vcc, 0x2000, v6
	v_addc_co_u32_e32 v11, vcc, 0, v7, vcc
	flat_store_dword v[10:11], v9 offset:2048
.LBB1502_162:
	;; [unrolled: 10-line block ×3, first 2 shown]
	s_or_b64 exec, exec, s[0:1]
	v_or_b32_e32 v4, 0xc00, v0
	v_cmp_gt_u32_e32 vcc, s33, v4
	s_and_saveexec_b64 s[0:1], vcc
	s_cbranch_execz .LBB1502_166
; %bb.165:
	v_add_co_u32_e32 v6, vcc, 0x3000, v6
	v_addc_co_u32_e32 v7, vcc, 0, v7, vcc
	flat_store_dword v[6:7], v5
.LBB1502_166:
	s_or_b64 exec, exec, s[0:1]
	v_or_b32_e32 v4, 0xd00, v0
	v_cmp_gt_u32_e64 s[0:1], s33, v4
	s_branch .LBB1502_169
.LBB1502_167:
	s_mov_b64 s[0:1], 0
                                        ; implicit-def: $vgpr3
	s_cbranch_execz .LBB1502_169
; %bb.168:
	s_movk_i32 s2, 0xffcc
	s_waitcnt lgkmcnt(0)
	s_barrier
	ds_write2_b64 v2, v[26:27], v[42:43] offset1:1
	ds_write2_b64 v2, v[30:31], v[44:45] offset0:2 offset1:3
	ds_write2_b64 v2, v[34:35], v[46:47] offset0:4 offset1:5
	ds_write_b64 v2, v[48:49] offset:48
	v_mad_i32_i24 v2, v0, s2, v2
	v_mov_b32_e32 v17, s5
	v_add_co_u32_e32 v16, vcc, s4, v50
	s_waitcnt lgkmcnt(0)
	s_barrier
	ds_read2st64_b32 v[4:5], v2 offset1:4
	ds_read2st64_b32 v[6:7], v2 offset0:8 offset1:12
	ds_read2st64_b32 v[8:9], v2 offset0:16 offset1:20
	;; [unrolled: 1-line block ×6, first 2 shown]
	v_addc_co_u32_e32 v17, vcc, 0, v17, vcc
	s_movk_i32 s2, 0x1000
	s_waitcnt lgkmcnt(0)
	flat_store_dword v[16:17], v4
	flat_store_dword v[16:17], v5 offset:1024
	flat_store_dword v[16:17], v6 offset:2048
	;; [unrolled: 1-line block ×3, first 2 shown]
	v_add_co_u32_e32 v4, vcc, s2, v16
	v_addc_co_u32_e32 v5, vcc, 0, v17, vcc
	flat_store_dword v[4:5], v8
	flat_store_dword v[4:5], v9 offset:1024
	flat_store_dword v[4:5], v10 offset:2048
	;; [unrolled: 1-line block ×3, first 2 shown]
	v_add_co_u32_e32 v4, vcc, 0x2000, v16
	v_addc_co_u32_e32 v5, vcc, 0, v17, vcc
	flat_store_dword v[4:5], v12
	flat_store_dword v[4:5], v13 offset:1024
	flat_store_dword v[4:5], v14 offset:2048
	;; [unrolled: 1-line block ×3, first 2 shown]
	v_add_co_u32_e32 v4, vcc, 0x3000, v16
	v_mov_b32_e32 v1, 0
	v_addc_co_u32_e32 v5, vcc, 0, v17, vcc
	s_or_b64 s[0:1], s[0:1], exec
	flat_store_dword v[4:5], v2
.LBB1502_169:
	s_and_saveexec_b64 s[2:3], s[0:1]
	s_cbranch_execz .LBB1502_171
; %bb.170:
	v_lshlrev_b64 v[0:1], 2, v[0:1]
	v_mov_b32_e32 v2, s5
	v_add_co_u32_e32 v0, vcc, s4, v0
	v_addc_co_u32_e32 v1, vcc, v2, v1, vcc
	v_add_co_u32_e32 v0, vcc, 0x3000, v0
	v_addc_co_u32_e32 v1, vcc, 0, v1, vcc
	flat_store_dword v[0:1], v3 offset:1024
	s_endpgm
.LBB1502_171:
	s_endpgm
	.section	.rodata,"a",@progbits
	.p2align	6, 0x0
	.amdhsa_kernel _ZN7rocprim17ROCPRIM_400000_NS6detail17trampoline_kernelINS0_14default_configENS1_27scan_by_key_config_selectorIijEEZZNS1_16scan_by_key_implILNS1_25lookback_scan_determinismE0ELb1ES3_N6thrust23THRUST_200600_302600_NS6detail15normal_iteratorINS9_10device_ptrIiEEEENSB_INSC_IjEEEESG_jNS9_4plusIvEENS9_8equal_toIvEEjEE10hipError_tPvRmT2_T3_T4_T5_mT6_T7_P12ihipStream_tbENKUlT_T0_E_clISt17integral_constantIbLb0EES11_EEDaSW_SX_EUlSW_E_NS1_11comp_targetILNS1_3genE4ELNS1_11target_archE910ELNS1_3gpuE8ELNS1_3repE0EEENS1_30default_config_static_selectorELNS0_4arch9wavefront6targetE1EEEvT1_
		.amdhsa_group_segment_fixed_size 16384
		.amdhsa_private_segment_fixed_size 0
		.amdhsa_kernarg_size 112
		.amdhsa_user_sgpr_count 6
		.amdhsa_user_sgpr_private_segment_buffer 1
		.amdhsa_user_sgpr_dispatch_ptr 0
		.amdhsa_user_sgpr_queue_ptr 0
		.amdhsa_user_sgpr_kernarg_segment_ptr 1
		.amdhsa_user_sgpr_dispatch_id 0
		.amdhsa_user_sgpr_flat_scratch_init 0
		.amdhsa_user_sgpr_kernarg_preload_length 0
		.amdhsa_user_sgpr_kernarg_preload_offset 0
		.amdhsa_user_sgpr_private_segment_size 0
		.amdhsa_uses_dynamic_stack 0
		.amdhsa_system_sgpr_private_segment_wavefront_offset 0
		.amdhsa_system_sgpr_workgroup_id_x 1
		.amdhsa_system_sgpr_workgroup_id_y 0
		.amdhsa_system_sgpr_workgroup_id_z 0
		.amdhsa_system_sgpr_workgroup_info 0
		.amdhsa_system_vgpr_workitem_id 0
		.amdhsa_next_free_vgpr 65
		.amdhsa_next_free_sgpr 60
		.amdhsa_accum_offset 68
		.amdhsa_reserve_vcc 1
		.amdhsa_reserve_flat_scratch 0
		.amdhsa_float_round_mode_32 0
		.amdhsa_float_round_mode_16_64 0
		.amdhsa_float_denorm_mode_32 3
		.amdhsa_float_denorm_mode_16_64 3
		.amdhsa_dx10_clamp 1
		.amdhsa_ieee_mode 1
		.amdhsa_fp16_overflow 0
		.amdhsa_tg_split 0
		.amdhsa_exception_fp_ieee_invalid_op 0
		.amdhsa_exception_fp_denorm_src 0
		.amdhsa_exception_fp_ieee_div_zero 0
		.amdhsa_exception_fp_ieee_overflow 0
		.amdhsa_exception_fp_ieee_underflow 0
		.amdhsa_exception_fp_ieee_inexact 0
		.amdhsa_exception_int_div_zero 0
	.end_amdhsa_kernel
	.section	.text._ZN7rocprim17ROCPRIM_400000_NS6detail17trampoline_kernelINS0_14default_configENS1_27scan_by_key_config_selectorIijEEZZNS1_16scan_by_key_implILNS1_25lookback_scan_determinismE0ELb1ES3_N6thrust23THRUST_200600_302600_NS6detail15normal_iteratorINS9_10device_ptrIiEEEENSB_INSC_IjEEEESG_jNS9_4plusIvEENS9_8equal_toIvEEjEE10hipError_tPvRmT2_T3_T4_T5_mT6_T7_P12ihipStream_tbENKUlT_T0_E_clISt17integral_constantIbLb0EES11_EEDaSW_SX_EUlSW_E_NS1_11comp_targetILNS1_3genE4ELNS1_11target_archE910ELNS1_3gpuE8ELNS1_3repE0EEENS1_30default_config_static_selectorELNS0_4arch9wavefront6targetE1EEEvT1_,"axG",@progbits,_ZN7rocprim17ROCPRIM_400000_NS6detail17trampoline_kernelINS0_14default_configENS1_27scan_by_key_config_selectorIijEEZZNS1_16scan_by_key_implILNS1_25lookback_scan_determinismE0ELb1ES3_N6thrust23THRUST_200600_302600_NS6detail15normal_iteratorINS9_10device_ptrIiEEEENSB_INSC_IjEEEESG_jNS9_4plusIvEENS9_8equal_toIvEEjEE10hipError_tPvRmT2_T3_T4_T5_mT6_T7_P12ihipStream_tbENKUlT_T0_E_clISt17integral_constantIbLb0EES11_EEDaSW_SX_EUlSW_E_NS1_11comp_targetILNS1_3genE4ELNS1_11target_archE910ELNS1_3gpuE8ELNS1_3repE0EEENS1_30default_config_static_selectorELNS0_4arch9wavefront6targetE1EEEvT1_,comdat
.Lfunc_end1502:
	.size	_ZN7rocprim17ROCPRIM_400000_NS6detail17trampoline_kernelINS0_14default_configENS1_27scan_by_key_config_selectorIijEEZZNS1_16scan_by_key_implILNS1_25lookback_scan_determinismE0ELb1ES3_N6thrust23THRUST_200600_302600_NS6detail15normal_iteratorINS9_10device_ptrIiEEEENSB_INSC_IjEEEESG_jNS9_4plusIvEENS9_8equal_toIvEEjEE10hipError_tPvRmT2_T3_T4_T5_mT6_T7_P12ihipStream_tbENKUlT_T0_E_clISt17integral_constantIbLb0EES11_EEDaSW_SX_EUlSW_E_NS1_11comp_targetILNS1_3genE4ELNS1_11target_archE910ELNS1_3gpuE8ELNS1_3repE0EEENS1_30default_config_static_selectorELNS0_4arch9wavefront6targetE1EEEvT1_, .Lfunc_end1502-_ZN7rocprim17ROCPRIM_400000_NS6detail17trampoline_kernelINS0_14default_configENS1_27scan_by_key_config_selectorIijEEZZNS1_16scan_by_key_implILNS1_25lookback_scan_determinismE0ELb1ES3_N6thrust23THRUST_200600_302600_NS6detail15normal_iteratorINS9_10device_ptrIiEEEENSB_INSC_IjEEEESG_jNS9_4plusIvEENS9_8equal_toIvEEjEE10hipError_tPvRmT2_T3_T4_T5_mT6_T7_P12ihipStream_tbENKUlT_T0_E_clISt17integral_constantIbLb0EES11_EEDaSW_SX_EUlSW_E_NS1_11comp_targetILNS1_3genE4ELNS1_11target_archE910ELNS1_3gpuE8ELNS1_3repE0EEENS1_30default_config_static_selectorELNS0_4arch9wavefront6targetE1EEEvT1_
                                        ; -- End function
	.section	.AMDGPU.csdata,"",@progbits
; Kernel info:
; codeLenInByte = 11184
; NumSgprs: 64
; NumVgprs: 65
; NumAgprs: 0
; TotalNumVgprs: 65
; ScratchSize: 0
; MemoryBound: 0
; FloatMode: 240
; IeeeMode: 1
; LDSByteSize: 16384 bytes/workgroup (compile time only)
; SGPRBlocks: 7
; VGPRBlocks: 8
; NumSGPRsForWavesPerEU: 64
; NumVGPRsForWavesPerEU: 65
; AccumOffset: 68
; Occupancy: 4
; WaveLimiterHint : 1
; COMPUTE_PGM_RSRC2:SCRATCH_EN: 0
; COMPUTE_PGM_RSRC2:USER_SGPR: 6
; COMPUTE_PGM_RSRC2:TRAP_HANDLER: 0
; COMPUTE_PGM_RSRC2:TGID_X_EN: 1
; COMPUTE_PGM_RSRC2:TGID_Y_EN: 0
; COMPUTE_PGM_RSRC2:TGID_Z_EN: 0
; COMPUTE_PGM_RSRC2:TIDIG_COMP_CNT: 0
; COMPUTE_PGM_RSRC3_GFX90A:ACCUM_OFFSET: 16
; COMPUTE_PGM_RSRC3_GFX90A:TG_SPLIT: 0
	.section	.text._ZN7rocprim17ROCPRIM_400000_NS6detail17trampoline_kernelINS0_14default_configENS1_27scan_by_key_config_selectorIijEEZZNS1_16scan_by_key_implILNS1_25lookback_scan_determinismE0ELb1ES3_N6thrust23THRUST_200600_302600_NS6detail15normal_iteratorINS9_10device_ptrIiEEEENSB_INSC_IjEEEESG_jNS9_4plusIvEENS9_8equal_toIvEEjEE10hipError_tPvRmT2_T3_T4_T5_mT6_T7_P12ihipStream_tbENKUlT_T0_E_clISt17integral_constantIbLb0EES11_EEDaSW_SX_EUlSW_E_NS1_11comp_targetILNS1_3genE3ELNS1_11target_archE908ELNS1_3gpuE7ELNS1_3repE0EEENS1_30default_config_static_selectorELNS0_4arch9wavefront6targetE1EEEvT1_,"axG",@progbits,_ZN7rocprim17ROCPRIM_400000_NS6detail17trampoline_kernelINS0_14default_configENS1_27scan_by_key_config_selectorIijEEZZNS1_16scan_by_key_implILNS1_25lookback_scan_determinismE0ELb1ES3_N6thrust23THRUST_200600_302600_NS6detail15normal_iteratorINS9_10device_ptrIiEEEENSB_INSC_IjEEEESG_jNS9_4plusIvEENS9_8equal_toIvEEjEE10hipError_tPvRmT2_T3_T4_T5_mT6_T7_P12ihipStream_tbENKUlT_T0_E_clISt17integral_constantIbLb0EES11_EEDaSW_SX_EUlSW_E_NS1_11comp_targetILNS1_3genE3ELNS1_11target_archE908ELNS1_3gpuE7ELNS1_3repE0EEENS1_30default_config_static_selectorELNS0_4arch9wavefront6targetE1EEEvT1_,comdat
	.protected	_ZN7rocprim17ROCPRIM_400000_NS6detail17trampoline_kernelINS0_14default_configENS1_27scan_by_key_config_selectorIijEEZZNS1_16scan_by_key_implILNS1_25lookback_scan_determinismE0ELb1ES3_N6thrust23THRUST_200600_302600_NS6detail15normal_iteratorINS9_10device_ptrIiEEEENSB_INSC_IjEEEESG_jNS9_4plusIvEENS9_8equal_toIvEEjEE10hipError_tPvRmT2_T3_T4_T5_mT6_T7_P12ihipStream_tbENKUlT_T0_E_clISt17integral_constantIbLb0EES11_EEDaSW_SX_EUlSW_E_NS1_11comp_targetILNS1_3genE3ELNS1_11target_archE908ELNS1_3gpuE7ELNS1_3repE0EEENS1_30default_config_static_selectorELNS0_4arch9wavefront6targetE1EEEvT1_ ; -- Begin function _ZN7rocprim17ROCPRIM_400000_NS6detail17trampoline_kernelINS0_14default_configENS1_27scan_by_key_config_selectorIijEEZZNS1_16scan_by_key_implILNS1_25lookback_scan_determinismE0ELb1ES3_N6thrust23THRUST_200600_302600_NS6detail15normal_iteratorINS9_10device_ptrIiEEEENSB_INSC_IjEEEESG_jNS9_4plusIvEENS9_8equal_toIvEEjEE10hipError_tPvRmT2_T3_T4_T5_mT6_T7_P12ihipStream_tbENKUlT_T0_E_clISt17integral_constantIbLb0EES11_EEDaSW_SX_EUlSW_E_NS1_11comp_targetILNS1_3genE3ELNS1_11target_archE908ELNS1_3gpuE7ELNS1_3repE0EEENS1_30default_config_static_selectorELNS0_4arch9wavefront6targetE1EEEvT1_
	.globl	_ZN7rocprim17ROCPRIM_400000_NS6detail17trampoline_kernelINS0_14default_configENS1_27scan_by_key_config_selectorIijEEZZNS1_16scan_by_key_implILNS1_25lookback_scan_determinismE0ELb1ES3_N6thrust23THRUST_200600_302600_NS6detail15normal_iteratorINS9_10device_ptrIiEEEENSB_INSC_IjEEEESG_jNS9_4plusIvEENS9_8equal_toIvEEjEE10hipError_tPvRmT2_T3_T4_T5_mT6_T7_P12ihipStream_tbENKUlT_T0_E_clISt17integral_constantIbLb0EES11_EEDaSW_SX_EUlSW_E_NS1_11comp_targetILNS1_3genE3ELNS1_11target_archE908ELNS1_3gpuE7ELNS1_3repE0EEENS1_30default_config_static_selectorELNS0_4arch9wavefront6targetE1EEEvT1_
	.p2align	8
	.type	_ZN7rocprim17ROCPRIM_400000_NS6detail17trampoline_kernelINS0_14default_configENS1_27scan_by_key_config_selectorIijEEZZNS1_16scan_by_key_implILNS1_25lookback_scan_determinismE0ELb1ES3_N6thrust23THRUST_200600_302600_NS6detail15normal_iteratorINS9_10device_ptrIiEEEENSB_INSC_IjEEEESG_jNS9_4plusIvEENS9_8equal_toIvEEjEE10hipError_tPvRmT2_T3_T4_T5_mT6_T7_P12ihipStream_tbENKUlT_T0_E_clISt17integral_constantIbLb0EES11_EEDaSW_SX_EUlSW_E_NS1_11comp_targetILNS1_3genE3ELNS1_11target_archE908ELNS1_3gpuE7ELNS1_3repE0EEENS1_30default_config_static_selectorELNS0_4arch9wavefront6targetE1EEEvT1_,@function
_ZN7rocprim17ROCPRIM_400000_NS6detail17trampoline_kernelINS0_14default_configENS1_27scan_by_key_config_selectorIijEEZZNS1_16scan_by_key_implILNS1_25lookback_scan_determinismE0ELb1ES3_N6thrust23THRUST_200600_302600_NS6detail15normal_iteratorINS9_10device_ptrIiEEEENSB_INSC_IjEEEESG_jNS9_4plusIvEENS9_8equal_toIvEEjEE10hipError_tPvRmT2_T3_T4_T5_mT6_T7_P12ihipStream_tbENKUlT_T0_E_clISt17integral_constantIbLb0EES11_EEDaSW_SX_EUlSW_E_NS1_11comp_targetILNS1_3genE3ELNS1_11target_archE908ELNS1_3gpuE7ELNS1_3repE0EEENS1_30default_config_static_selectorELNS0_4arch9wavefront6targetE1EEEvT1_: ; @_ZN7rocprim17ROCPRIM_400000_NS6detail17trampoline_kernelINS0_14default_configENS1_27scan_by_key_config_selectorIijEEZZNS1_16scan_by_key_implILNS1_25lookback_scan_determinismE0ELb1ES3_N6thrust23THRUST_200600_302600_NS6detail15normal_iteratorINS9_10device_ptrIiEEEENSB_INSC_IjEEEESG_jNS9_4plusIvEENS9_8equal_toIvEEjEE10hipError_tPvRmT2_T3_T4_T5_mT6_T7_P12ihipStream_tbENKUlT_T0_E_clISt17integral_constantIbLb0EES11_EEDaSW_SX_EUlSW_E_NS1_11comp_targetILNS1_3genE3ELNS1_11target_archE908ELNS1_3gpuE7ELNS1_3repE0EEENS1_30default_config_static_selectorELNS0_4arch9wavefront6targetE1EEEvT1_
; %bb.0:
	.section	.rodata,"a",@progbits
	.p2align	6, 0x0
	.amdhsa_kernel _ZN7rocprim17ROCPRIM_400000_NS6detail17trampoline_kernelINS0_14default_configENS1_27scan_by_key_config_selectorIijEEZZNS1_16scan_by_key_implILNS1_25lookback_scan_determinismE0ELb1ES3_N6thrust23THRUST_200600_302600_NS6detail15normal_iteratorINS9_10device_ptrIiEEEENSB_INSC_IjEEEESG_jNS9_4plusIvEENS9_8equal_toIvEEjEE10hipError_tPvRmT2_T3_T4_T5_mT6_T7_P12ihipStream_tbENKUlT_T0_E_clISt17integral_constantIbLb0EES11_EEDaSW_SX_EUlSW_E_NS1_11comp_targetILNS1_3genE3ELNS1_11target_archE908ELNS1_3gpuE7ELNS1_3repE0EEENS1_30default_config_static_selectorELNS0_4arch9wavefront6targetE1EEEvT1_
		.amdhsa_group_segment_fixed_size 0
		.amdhsa_private_segment_fixed_size 0
		.amdhsa_kernarg_size 112
		.amdhsa_user_sgpr_count 6
		.amdhsa_user_sgpr_private_segment_buffer 1
		.amdhsa_user_sgpr_dispatch_ptr 0
		.amdhsa_user_sgpr_queue_ptr 0
		.amdhsa_user_sgpr_kernarg_segment_ptr 1
		.amdhsa_user_sgpr_dispatch_id 0
		.amdhsa_user_sgpr_flat_scratch_init 0
		.amdhsa_user_sgpr_kernarg_preload_length 0
		.amdhsa_user_sgpr_kernarg_preload_offset 0
		.amdhsa_user_sgpr_private_segment_size 0
		.amdhsa_uses_dynamic_stack 0
		.amdhsa_system_sgpr_private_segment_wavefront_offset 0
		.amdhsa_system_sgpr_workgroup_id_x 1
		.amdhsa_system_sgpr_workgroup_id_y 0
		.amdhsa_system_sgpr_workgroup_id_z 0
		.amdhsa_system_sgpr_workgroup_info 0
		.amdhsa_system_vgpr_workitem_id 0
		.amdhsa_next_free_vgpr 1
		.amdhsa_next_free_sgpr 0
		.amdhsa_accum_offset 4
		.amdhsa_reserve_vcc 0
		.amdhsa_reserve_flat_scratch 0
		.amdhsa_float_round_mode_32 0
		.amdhsa_float_round_mode_16_64 0
		.amdhsa_float_denorm_mode_32 3
		.amdhsa_float_denorm_mode_16_64 3
		.amdhsa_dx10_clamp 1
		.amdhsa_ieee_mode 1
		.amdhsa_fp16_overflow 0
		.amdhsa_tg_split 0
		.amdhsa_exception_fp_ieee_invalid_op 0
		.amdhsa_exception_fp_denorm_src 0
		.amdhsa_exception_fp_ieee_div_zero 0
		.amdhsa_exception_fp_ieee_overflow 0
		.amdhsa_exception_fp_ieee_underflow 0
		.amdhsa_exception_fp_ieee_inexact 0
		.amdhsa_exception_int_div_zero 0
	.end_amdhsa_kernel
	.section	.text._ZN7rocprim17ROCPRIM_400000_NS6detail17trampoline_kernelINS0_14default_configENS1_27scan_by_key_config_selectorIijEEZZNS1_16scan_by_key_implILNS1_25lookback_scan_determinismE0ELb1ES3_N6thrust23THRUST_200600_302600_NS6detail15normal_iteratorINS9_10device_ptrIiEEEENSB_INSC_IjEEEESG_jNS9_4plusIvEENS9_8equal_toIvEEjEE10hipError_tPvRmT2_T3_T4_T5_mT6_T7_P12ihipStream_tbENKUlT_T0_E_clISt17integral_constantIbLb0EES11_EEDaSW_SX_EUlSW_E_NS1_11comp_targetILNS1_3genE3ELNS1_11target_archE908ELNS1_3gpuE7ELNS1_3repE0EEENS1_30default_config_static_selectorELNS0_4arch9wavefront6targetE1EEEvT1_,"axG",@progbits,_ZN7rocprim17ROCPRIM_400000_NS6detail17trampoline_kernelINS0_14default_configENS1_27scan_by_key_config_selectorIijEEZZNS1_16scan_by_key_implILNS1_25lookback_scan_determinismE0ELb1ES3_N6thrust23THRUST_200600_302600_NS6detail15normal_iteratorINS9_10device_ptrIiEEEENSB_INSC_IjEEEESG_jNS9_4plusIvEENS9_8equal_toIvEEjEE10hipError_tPvRmT2_T3_T4_T5_mT6_T7_P12ihipStream_tbENKUlT_T0_E_clISt17integral_constantIbLb0EES11_EEDaSW_SX_EUlSW_E_NS1_11comp_targetILNS1_3genE3ELNS1_11target_archE908ELNS1_3gpuE7ELNS1_3repE0EEENS1_30default_config_static_selectorELNS0_4arch9wavefront6targetE1EEEvT1_,comdat
.Lfunc_end1503:
	.size	_ZN7rocprim17ROCPRIM_400000_NS6detail17trampoline_kernelINS0_14default_configENS1_27scan_by_key_config_selectorIijEEZZNS1_16scan_by_key_implILNS1_25lookback_scan_determinismE0ELb1ES3_N6thrust23THRUST_200600_302600_NS6detail15normal_iteratorINS9_10device_ptrIiEEEENSB_INSC_IjEEEESG_jNS9_4plusIvEENS9_8equal_toIvEEjEE10hipError_tPvRmT2_T3_T4_T5_mT6_T7_P12ihipStream_tbENKUlT_T0_E_clISt17integral_constantIbLb0EES11_EEDaSW_SX_EUlSW_E_NS1_11comp_targetILNS1_3genE3ELNS1_11target_archE908ELNS1_3gpuE7ELNS1_3repE0EEENS1_30default_config_static_selectorELNS0_4arch9wavefront6targetE1EEEvT1_, .Lfunc_end1503-_ZN7rocprim17ROCPRIM_400000_NS6detail17trampoline_kernelINS0_14default_configENS1_27scan_by_key_config_selectorIijEEZZNS1_16scan_by_key_implILNS1_25lookback_scan_determinismE0ELb1ES3_N6thrust23THRUST_200600_302600_NS6detail15normal_iteratorINS9_10device_ptrIiEEEENSB_INSC_IjEEEESG_jNS9_4plusIvEENS9_8equal_toIvEEjEE10hipError_tPvRmT2_T3_T4_T5_mT6_T7_P12ihipStream_tbENKUlT_T0_E_clISt17integral_constantIbLb0EES11_EEDaSW_SX_EUlSW_E_NS1_11comp_targetILNS1_3genE3ELNS1_11target_archE908ELNS1_3gpuE7ELNS1_3repE0EEENS1_30default_config_static_selectorELNS0_4arch9wavefront6targetE1EEEvT1_
                                        ; -- End function
	.section	.AMDGPU.csdata,"",@progbits
; Kernel info:
; codeLenInByte = 0
; NumSgprs: 4
; NumVgprs: 0
; NumAgprs: 0
; TotalNumVgprs: 0
; ScratchSize: 0
; MemoryBound: 0
; FloatMode: 240
; IeeeMode: 1
; LDSByteSize: 0 bytes/workgroup (compile time only)
; SGPRBlocks: 0
; VGPRBlocks: 0
; NumSGPRsForWavesPerEU: 4
; NumVGPRsForWavesPerEU: 1
; AccumOffset: 4
; Occupancy: 8
; WaveLimiterHint : 0
; COMPUTE_PGM_RSRC2:SCRATCH_EN: 0
; COMPUTE_PGM_RSRC2:USER_SGPR: 6
; COMPUTE_PGM_RSRC2:TRAP_HANDLER: 0
; COMPUTE_PGM_RSRC2:TGID_X_EN: 1
; COMPUTE_PGM_RSRC2:TGID_Y_EN: 0
; COMPUTE_PGM_RSRC2:TGID_Z_EN: 0
; COMPUTE_PGM_RSRC2:TIDIG_COMP_CNT: 0
; COMPUTE_PGM_RSRC3_GFX90A:ACCUM_OFFSET: 0
; COMPUTE_PGM_RSRC3_GFX90A:TG_SPLIT: 0
	.section	.text._ZN7rocprim17ROCPRIM_400000_NS6detail17trampoline_kernelINS0_14default_configENS1_27scan_by_key_config_selectorIijEEZZNS1_16scan_by_key_implILNS1_25lookback_scan_determinismE0ELb1ES3_N6thrust23THRUST_200600_302600_NS6detail15normal_iteratorINS9_10device_ptrIiEEEENSB_INSC_IjEEEESG_jNS9_4plusIvEENS9_8equal_toIvEEjEE10hipError_tPvRmT2_T3_T4_T5_mT6_T7_P12ihipStream_tbENKUlT_T0_E_clISt17integral_constantIbLb0EES11_EEDaSW_SX_EUlSW_E_NS1_11comp_targetILNS1_3genE2ELNS1_11target_archE906ELNS1_3gpuE6ELNS1_3repE0EEENS1_30default_config_static_selectorELNS0_4arch9wavefront6targetE1EEEvT1_,"axG",@progbits,_ZN7rocprim17ROCPRIM_400000_NS6detail17trampoline_kernelINS0_14default_configENS1_27scan_by_key_config_selectorIijEEZZNS1_16scan_by_key_implILNS1_25lookback_scan_determinismE0ELb1ES3_N6thrust23THRUST_200600_302600_NS6detail15normal_iteratorINS9_10device_ptrIiEEEENSB_INSC_IjEEEESG_jNS9_4plusIvEENS9_8equal_toIvEEjEE10hipError_tPvRmT2_T3_T4_T5_mT6_T7_P12ihipStream_tbENKUlT_T0_E_clISt17integral_constantIbLb0EES11_EEDaSW_SX_EUlSW_E_NS1_11comp_targetILNS1_3genE2ELNS1_11target_archE906ELNS1_3gpuE6ELNS1_3repE0EEENS1_30default_config_static_selectorELNS0_4arch9wavefront6targetE1EEEvT1_,comdat
	.protected	_ZN7rocprim17ROCPRIM_400000_NS6detail17trampoline_kernelINS0_14default_configENS1_27scan_by_key_config_selectorIijEEZZNS1_16scan_by_key_implILNS1_25lookback_scan_determinismE0ELb1ES3_N6thrust23THRUST_200600_302600_NS6detail15normal_iteratorINS9_10device_ptrIiEEEENSB_INSC_IjEEEESG_jNS9_4plusIvEENS9_8equal_toIvEEjEE10hipError_tPvRmT2_T3_T4_T5_mT6_T7_P12ihipStream_tbENKUlT_T0_E_clISt17integral_constantIbLb0EES11_EEDaSW_SX_EUlSW_E_NS1_11comp_targetILNS1_3genE2ELNS1_11target_archE906ELNS1_3gpuE6ELNS1_3repE0EEENS1_30default_config_static_selectorELNS0_4arch9wavefront6targetE1EEEvT1_ ; -- Begin function _ZN7rocprim17ROCPRIM_400000_NS6detail17trampoline_kernelINS0_14default_configENS1_27scan_by_key_config_selectorIijEEZZNS1_16scan_by_key_implILNS1_25lookback_scan_determinismE0ELb1ES3_N6thrust23THRUST_200600_302600_NS6detail15normal_iteratorINS9_10device_ptrIiEEEENSB_INSC_IjEEEESG_jNS9_4plusIvEENS9_8equal_toIvEEjEE10hipError_tPvRmT2_T3_T4_T5_mT6_T7_P12ihipStream_tbENKUlT_T0_E_clISt17integral_constantIbLb0EES11_EEDaSW_SX_EUlSW_E_NS1_11comp_targetILNS1_3genE2ELNS1_11target_archE906ELNS1_3gpuE6ELNS1_3repE0EEENS1_30default_config_static_selectorELNS0_4arch9wavefront6targetE1EEEvT1_
	.globl	_ZN7rocprim17ROCPRIM_400000_NS6detail17trampoline_kernelINS0_14default_configENS1_27scan_by_key_config_selectorIijEEZZNS1_16scan_by_key_implILNS1_25lookback_scan_determinismE0ELb1ES3_N6thrust23THRUST_200600_302600_NS6detail15normal_iteratorINS9_10device_ptrIiEEEENSB_INSC_IjEEEESG_jNS9_4plusIvEENS9_8equal_toIvEEjEE10hipError_tPvRmT2_T3_T4_T5_mT6_T7_P12ihipStream_tbENKUlT_T0_E_clISt17integral_constantIbLb0EES11_EEDaSW_SX_EUlSW_E_NS1_11comp_targetILNS1_3genE2ELNS1_11target_archE906ELNS1_3gpuE6ELNS1_3repE0EEENS1_30default_config_static_selectorELNS0_4arch9wavefront6targetE1EEEvT1_
	.p2align	8
	.type	_ZN7rocprim17ROCPRIM_400000_NS6detail17trampoline_kernelINS0_14default_configENS1_27scan_by_key_config_selectorIijEEZZNS1_16scan_by_key_implILNS1_25lookback_scan_determinismE0ELb1ES3_N6thrust23THRUST_200600_302600_NS6detail15normal_iteratorINS9_10device_ptrIiEEEENSB_INSC_IjEEEESG_jNS9_4plusIvEENS9_8equal_toIvEEjEE10hipError_tPvRmT2_T3_T4_T5_mT6_T7_P12ihipStream_tbENKUlT_T0_E_clISt17integral_constantIbLb0EES11_EEDaSW_SX_EUlSW_E_NS1_11comp_targetILNS1_3genE2ELNS1_11target_archE906ELNS1_3gpuE6ELNS1_3repE0EEENS1_30default_config_static_selectorELNS0_4arch9wavefront6targetE1EEEvT1_,@function
_ZN7rocprim17ROCPRIM_400000_NS6detail17trampoline_kernelINS0_14default_configENS1_27scan_by_key_config_selectorIijEEZZNS1_16scan_by_key_implILNS1_25lookback_scan_determinismE0ELb1ES3_N6thrust23THRUST_200600_302600_NS6detail15normal_iteratorINS9_10device_ptrIiEEEENSB_INSC_IjEEEESG_jNS9_4plusIvEENS9_8equal_toIvEEjEE10hipError_tPvRmT2_T3_T4_T5_mT6_T7_P12ihipStream_tbENKUlT_T0_E_clISt17integral_constantIbLb0EES11_EEDaSW_SX_EUlSW_E_NS1_11comp_targetILNS1_3genE2ELNS1_11target_archE906ELNS1_3gpuE6ELNS1_3repE0EEENS1_30default_config_static_selectorELNS0_4arch9wavefront6targetE1EEEvT1_: ; @_ZN7rocprim17ROCPRIM_400000_NS6detail17trampoline_kernelINS0_14default_configENS1_27scan_by_key_config_selectorIijEEZZNS1_16scan_by_key_implILNS1_25lookback_scan_determinismE0ELb1ES3_N6thrust23THRUST_200600_302600_NS6detail15normal_iteratorINS9_10device_ptrIiEEEENSB_INSC_IjEEEESG_jNS9_4plusIvEENS9_8equal_toIvEEjEE10hipError_tPvRmT2_T3_T4_T5_mT6_T7_P12ihipStream_tbENKUlT_T0_E_clISt17integral_constantIbLb0EES11_EEDaSW_SX_EUlSW_E_NS1_11comp_targetILNS1_3genE2ELNS1_11target_archE906ELNS1_3gpuE6ELNS1_3repE0EEENS1_30default_config_static_selectorELNS0_4arch9wavefront6targetE1EEEvT1_
; %bb.0:
	.section	.rodata,"a",@progbits
	.p2align	6, 0x0
	.amdhsa_kernel _ZN7rocprim17ROCPRIM_400000_NS6detail17trampoline_kernelINS0_14default_configENS1_27scan_by_key_config_selectorIijEEZZNS1_16scan_by_key_implILNS1_25lookback_scan_determinismE0ELb1ES3_N6thrust23THRUST_200600_302600_NS6detail15normal_iteratorINS9_10device_ptrIiEEEENSB_INSC_IjEEEESG_jNS9_4plusIvEENS9_8equal_toIvEEjEE10hipError_tPvRmT2_T3_T4_T5_mT6_T7_P12ihipStream_tbENKUlT_T0_E_clISt17integral_constantIbLb0EES11_EEDaSW_SX_EUlSW_E_NS1_11comp_targetILNS1_3genE2ELNS1_11target_archE906ELNS1_3gpuE6ELNS1_3repE0EEENS1_30default_config_static_selectorELNS0_4arch9wavefront6targetE1EEEvT1_
		.amdhsa_group_segment_fixed_size 0
		.amdhsa_private_segment_fixed_size 0
		.amdhsa_kernarg_size 112
		.amdhsa_user_sgpr_count 6
		.amdhsa_user_sgpr_private_segment_buffer 1
		.amdhsa_user_sgpr_dispatch_ptr 0
		.amdhsa_user_sgpr_queue_ptr 0
		.amdhsa_user_sgpr_kernarg_segment_ptr 1
		.amdhsa_user_sgpr_dispatch_id 0
		.amdhsa_user_sgpr_flat_scratch_init 0
		.amdhsa_user_sgpr_kernarg_preload_length 0
		.amdhsa_user_sgpr_kernarg_preload_offset 0
		.amdhsa_user_sgpr_private_segment_size 0
		.amdhsa_uses_dynamic_stack 0
		.amdhsa_system_sgpr_private_segment_wavefront_offset 0
		.amdhsa_system_sgpr_workgroup_id_x 1
		.amdhsa_system_sgpr_workgroup_id_y 0
		.amdhsa_system_sgpr_workgroup_id_z 0
		.amdhsa_system_sgpr_workgroup_info 0
		.amdhsa_system_vgpr_workitem_id 0
		.amdhsa_next_free_vgpr 1
		.amdhsa_next_free_sgpr 0
		.amdhsa_accum_offset 4
		.amdhsa_reserve_vcc 0
		.amdhsa_reserve_flat_scratch 0
		.amdhsa_float_round_mode_32 0
		.amdhsa_float_round_mode_16_64 0
		.amdhsa_float_denorm_mode_32 3
		.amdhsa_float_denorm_mode_16_64 3
		.amdhsa_dx10_clamp 1
		.amdhsa_ieee_mode 1
		.amdhsa_fp16_overflow 0
		.amdhsa_tg_split 0
		.amdhsa_exception_fp_ieee_invalid_op 0
		.amdhsa_exception_fp_denorm_src 0
		.amdhsa_exception_fp_ieee_div_zero 0
		.amdhsa_exception_fp_ieee_overflow 0
		.amdhsa_exception_fp_ieee_underflow 0
		.amdhsa_exception_fp_ieee_inexact 0
		.amdhsa_exception_int_div_zero 0
	.end_amdhsa_kernel
	.section	.text._ZN7rocprim17ROCPRIM_400000_NS6detail17trampoline_kernelINS0_14default_configENS1_27scan_by_key_config_selectorIijEEZZNS1_16scan_by_key_implILNS1_25lookback_scan_determinismE0ELb1ES3_N6thrust23THRUST_200600_302600_NS6detail15normal_iteratorINS9_10device_ptrIiEEEENSB_INSC_IjEEEESG_jNS9_4plusIvEENS9_8equal_toIvEEjEE10hipError_tPvRmT2_T3_T4_T5_mT6_T7_P12ihipStream_tbENKUlT_T0_E_clISt17integral_constantIbLb0EES11_EEDaSW_SX_EUlSW_E_NS1_11comp_targetILNS1_3genE2ELNS1_11target_archE906ELNS1_3gpuE6ELNS1_3repE0EEENS1_30default_config_static_selectorELNS0_4arch9wavefront6targetE1EEEvT1_,"axG",@progbits,_ZN7rocprim17ROCPRIM_400000_NS6detail17trampoline_kernelINS0_14default_configENS1_27scan_by_key_config_selectorIijEEZZNS1_16scan_by_key_implILNS1_25lookback_scan_determinismE0ELb1ES3_N6thrust23THRUST_200600_302600_NS6detail15normal_iteratorINS9_10device_ptrIiEEEENSB_INSC_IjEEEESG_jNS9_4plusIvEENS9_8equal_toIvEEjEE10hipError_tPvRmT2_T3_T4_T5_mT6_T7_P12ihipStream_tbENKUlT_T0_E_clISt17integral_constantIbLb0EES11_EEDaSW_SX_EUlSW_E_NS1_11comp_targetILNS1_3genE2ELNS1_11target_archE906ELNS1_3gpuE6ELNS1_3repE0EEENS1_30default_config_static_selectorELNS0_4arch9wavefront6targetE1EEEvT1_,comdat
.Lfunc_end1504:
	.size	_ZN7rocprim17ROCPRIM_400000_NS6detail17trampoline_kernelINS0_14default_configENS1_27scan_by_key_config_selectorIijEEZZNS1_16scan_by_key_implILNS1_25lookback_scan_determinismE0ELb1ES3_N6thrust23THRUST_200600_302600_NS6detail15normal_iteratorINS9_10device_ptrIiEEEENSB_INSC_IjEEEESG_jNS9_4plusIvEENS9_8equal_toIvEEjEE10hipError_tPvRmT2_T3_T4_T5_mT6_T7_P12ihipStream_tbENKUlT_T0_E_clISt17integral_constantIbLb0EES11_EEDaSW_SX_EUlSW_E_NS1_11comp_targetILNS1_3genE2ELNS1_11target_archE906ELNS1_3gpuE6ELNS1_3repE0EEENS1_30default_config_static_selectorELNS0_4arch9wavefront6targetE1EEEvT1_, .Lfunc_end1504-_ZN7rocprim17ROCPRIM_400000_NS6detail17trampoline_kernelINS0_14default_configENS1_27scan_by_key_config_selectorIijEEZZNS1_16scan_by_key_implILNS1_25lookback_scan_determinismE0ELb1ES3_N6thrust23THRUST_200600_302600_NS6detail15normal_iteratorINS9_10device_ptrIiEEEENSB_INSC_IjEEEESG_jNS9_4plusIvEENS9_8equal_toIvEEjEE10hipError_tPvRmT2_T3_T4_T5_mT6_T7_P12ihipStream_tbENKUlT_T0_E_clISt17integral_constantIbLb0EES11_EEDaSW_SX_EUlSW_E_NS1_11comp_targetILNS1_3genE2ELNS1_11target_archE906ELNS1_3gpuE6ELNS1_3repE0EEENS1_30default_config_static_selectorELNS0_4arch9wavefront6targetE1EEEvT1_
                                        ; -- End function
	.section	.AMDGPU.csdata,"",@progbits
; Kernel info:
; codeLenInByte = 0
; NumSgprs: 4
; NumVgprs: 0
; NumAgprs: 0
; TotalNumVgprs: 0
; ScratchSize: 0
; MemoryBound: 0
; FloatMode: 240
; IeeeMode: 1
; LDSByteSize: 0 bytes/workgroup (compile time only)
; SGPRBlocks: 0
; VGPRBlocks: 0
; NumSGPRsForWavesPerEU: 4
; NumVGPRsForWavesPerEU: 1
; AccumOffset: 4
; Occupancy: 8
; WaveLimiterHint : 0
; COMPUTE_PGM_RSRC2:SCRATCH_EN: 0
; COMPUTE_PGM_RSRC2:USER_SGPR: 6
; COMPUTE_PGM_RSRC2:TRAP_HANDLER: 0
; COMPUTE_PGM_RSRC2:TGID_X_EN: 1
; COMPUTE_PGM_RSRC2:TGID_Y_EN: 0
; COMPUTE_PGM_RSRC2:TGID_Z_EN: 0
; COMPUTE_PGM_RSRC2:TIDIG_COMP_CNT: 0
; COMPUTE_PGM_RSRC3_GFX90A:ACCUM_OFFSET: 0
; COMPUTE_PGM_RSRC3_GFX90A:TG_SPLIT: 0
	.section	.text._ZN7rocprim17ROCPRIM_400000_NS6detail17trampoline_kernelINS0_14default_configENS1_27scan_by_key_config_selectorIijEEZZNS1_16scan_by_key_implILNS1_25lookback_scan_determinismE0ELb1ES3_N6thrust23THRUST_200600_302600_NS6detail15normal_iteratorINS9_10device_ptrIiEEEENSB_INSC_IjEEEESG_jNS9_4plusIvEENS9_8equal_toIvEEjEE10hipError_tPvRmT2_T3_T4_T5_mT6_T7_P12ihipStream_tbENKUlT_T0_E_clISt17integral_constantIbLb0EES11_EEDaSW_SX_EUlSW_E_NS1_11comp_targetILNS1_3genE10ELNS1_11target_archE1200ELNS1_3gpuE4ELNS1_3repE0EEENS1_30default_config_static_selectorELNS0_4arch9wavefront6targetE1EEEvT1_,"axG",@progbits,_ZN7rocprim17ROCPRIM_400000_NS6detail17trampoline_kernelINS0_14default_configENS1_27scan_by_key_config_selectorIijEEZZNS1_16scan_by_key_implILNS1_25lookback_scan_determinismE0ELb1ES3_N6thrust23THRUST_200600_302600_NS6detail15normal_iteratorINS9_10device_ptrIiEEEENSB_INSC_IjEEEESG_jNS9_4plusIvEENS9_8equal_toIvEEjEE10hipError_tPvRmT2_T3_T4_T5_mT6_T7_P12ihipStream_tbENKUlT_T0_E_clISt17integral_constantIbLb0EES11_EEDaSW_SX_EUlSW_E_NS1_11comp_targetILNS1_3genE10ELNS1_11target_archE1200ELNS1_3gpuE4ELNS1_3repE0EEENS1_30default_config_static_selectorELNS0_4arch9wavefront6targetE1EEEvT1_,comdat
	.protected	_ZN7rocprim17ROCPRIM_400000_NS6detail17trampoline_kernelINS0_14default_configENS1_27scan_by_key_config_selectorIijEEZZNS1_16scan_by_key_implILNS1_25lookback_scan_determinismE0ELb1ES3_N6thrust23THRUST_200600_302600_NS6detail15normal_iteratorINS9_10device_ptrIiEEEENSB_INSC_IjEEEESG_jNS9_4plusIvEENS9_8equal_toIvEEjEE10hipError_tPvRmT2_T3_T4_T5_mT6_T7_P12ihipStream_tbENKUlT_T0_E_clISt17integral_constantIbLb0EES11_EEDaSW_SX_EUlSW_E_NS1_11comp_targetILNS1_3genE10ELNS1_11target_archE1200ELNS1_3gpuE4ELNS1_3repE0EEENS1_30default_config_static_selectorELNS0_4arch9wavefront6targetE1EEEvT1_ ; -- Begin function _ZN7rocprim17ROCPRIM_400000_NS6detail17trampoline_kernelINS0_14default_configENS1_27scan_by_key_config_selectorIijEEZZNS1_16scan_by_key_implILNS1_25lookback_scan_determinismE0ELb1ES3_N6thrust23THRUST_200600_302600_NS6detail15normal_iteratorINS9_10device_ptrIiEEEENSB_INSC_IjEEEESG_jNS9_4plusIvEENS9_8equal_toIvEEjEE10hipError_tPvRmT2_T3_T4_T5_mT6_T7_P12ihipStream_tbENKUlT_T0_E_clISt17integral_constantIbLb0EES11_EEDaSW_SX_EUlSW_E_NS1_11comp_targetILNS1_3genE10ELNS1_11target_archE1200ELNS1_3gpuE4ELNS1_3repE0EEENS1_30default_config_static_selectorELNS0_4arch9wavefront6targetE1EEEvT1_
	.globl	_ZN7rocprim17ROCPRIM_400000_NS6detail17trampoline_kernelINS0_14default_configENS1_27scan_by_key_config_selectorIijEEZZNS1_16scan_by_key_implILNS1_25lookback_scan_determinismE0ELb1ES3_N6thrust23THRUST_200600_302600_NS6detail15normal_iteratorINS9_10device_ptrIiEEEENSB_INSC_IjEEEESG_jNS9_4plusIvEENS9_8equal_toIvEEjEE10hipError_tPvRmT2_T3_T4_T5_mT6_T7_P12ihipStream_tbENKUlT_T0_E_clISt17integral_constantIbLb0EES11_EEDaSW_SX_EUlSW_E_NS1_11comp_targetILNS1_3genE10ELNS1_11target_archE1200ELNS1_3gpuE4ELNS1_3repE0EEENS1_30default_config_static_selectorELNS0_4arch9wavefront6targetE1EEEvT1_
	.p2align	8
	.type	_ZN7rocprim17ROCPRIM_400000_NS6detail17trampoline_kernelINS0_14default_configENS1_27scan_by_key_config_selectorIijEEZZNS1_16scan_by_key_implILNS1_25lookback_scan_determinismE0ELb1ES3_N6thrust23THRUST_200600_302600_NS6detail15normal_iteratorINS9_10device_ptrIiEEEENSB_INSC_IjEEEESG_jNS9_4plusIvEENS9_8equal_toIvEEjEE10hipError_tPvRmT2_T3_T4_T5_mT6_T7_P12ihipStream_tbENKUlT_T0_E_clISt17integral_constantIbLb0EES11_EEDaSW_SX_EUlSW_E_NS1_11comp_targetILNS1_3genE10ELNS1_11target_archE1200ELNS1_3gpuE4ELNS1_3repE0EEENS1_30default_config_static_selectorELNS0_4arch9wavefront6targetE1EEEvT1_,@function
_ZN7rocprim17ROCPRIM_400000_NS6detail17trampoline_kernelINS0_14default_configENS1_27scan_by_key_config_selectorIijEEZZNS1_16scan_by_key_implILNS1_25lookback_scan_determinismE0ELb1ES3_N6thrust23THRUST_200600_302600_NS6detail15normal_iteratorINS9_10device_ptrIiEEEENSB_INSC_IjEEEESG_jNS9_4plusIvEENS9_8equal_toIvEEjEE10hipError_tPvRmT2_T3_T4_T5_mT6_T7_P12ihipStream_tbENKUlT_T0_E_clISt17integral_constantIbLb0EES11_EEDaSW_SX_EUlSW_E_NS1_11comp_targetILNS1_3genE10ELNS1_11target_archE1200ELNS1_3gpuE4ELNS1_3repE0EEENS1_30default_config_static_selectorELNS0_4arch9wavefront6targetE1EEEvT1_: ; @_ZN7rocprim17ROCPRIM_400000_NS6detail17trampoline_kernelINS0_14default_configENS1_27scan_by_key_config_selectorIijEEZZNS1_16scan_by_key_implILNS1_25lookback_scan_determinismE0ELb1ES3_N6thrust23THRUST_200600_302600_NS6detail15normal_iteratorINS9_10device_ptrIiEEEENSB_INSC_IjEEEESG_jNS9_4plusIvEENS9_8equal_toIvEEjEE10hipError_tPvRmT2_T3_T4_T5_mT6_T7_P12ihipStream_tbENKUlT_T0_E_clISt17integral_constantIbLb0EES11_EEDaSW_SX_EUlSW_E_NS1_11comp_targetILNS1_3genE10ELNS1_11target_archE1200ELNS1_3gpuE4ELNS1_3repE0EEENS1_30default_config_static_selectorELNS0_4arch9wavefront6targetE1EEEvT1_
; %bb.0:
	.section	.rodata,"a",@progbits
	.p2align	6, 0x0
	.amdhsa_kernel _ZN7rocprim17ROCPRIM_400000_NS6detail17trampoline_kernelINS0_14default_configENS1_27scan_by_key_config_selectorIijEEZZNS1_16scan_by_key_implILNS1_25lookback_scan_determinismE0ELb1ES3_N6thrust23THRUST_200600_302600_NS6detail15normal_iteratorINS9_10device_ptrIiEEEENSB_INSC_IjEEEESG_jNS9_4plusIvEENS9_8equal_toIvEEjEE10hipError_tPvRmT2_T3_T4_T5_mT6_T7_P12ihipStream_tbENKUlT_T0_E_clISt17integral_constantIbLb0EES11_EEDaSW_SX_EUlSW_E_NS1_11comp_targetILNS1_3genE10ELNS1_11target_archE1200ELNS1_3gpuE4ELNS1_3repE0EEENS1_30default_config_static_selectorELNS0_4arch9wavefront6targetE1EEEvT1_
		.amdhsa_group_segment_fixed_size 0
		.amdhsa_private_segment_fixed_size 0
		.amdhsa_kernarg_size 112
		.amdhsa_user_sgpr_count 6
		.amdhsa_user_sgpr_private_segment_buffer 1
		.amdhsa_user_sgpr_dispatch_ptr 0
		.amdhsa_user_sgpr_queue_ptr 0
		.amdhsa_user_sgpr_kernarg_segment_ptr 1
		.amdhsa_user_sgpr_dispatch_id 0
		.amdhsa_user_sgpr_flat_scratch_init 0
		.amdhsa_user_sgpr_kernarg_preload_length 0
		.amdhsa_user_sgpr_kernarg_preload_offset 0
		.amdhsa_user_sgpr_private_segment_size 0
		.amdhsa_uses_dynamic_stack 0
		.amdhsa_system_sgpr_private_segment_wavefront_offset 0
		.amdhsa_system_sgpr_workgroup_id_x 1
		.amdhsa_system_sgpr_workgroup_id_y 0
		.amdhsa_system_sgpr_workgroup_id_z 0
		.amdhsa_system_sgpr_workgroup_info 0
		.amdhsa_system_vgpr_workitem_id 0
		.amdhsa_next_free_vgpr 1
		.amdhsa_next_free_sgpr 0
		.amdhsa_accum_offset 4
		.amdhsa_reserve_vcc 0
		.amdhsa_reserve_flat_scratch 0
		.amdhsa_float_round_mode_32 0
		.amdhsa_float_round_mode_16_64 0
		.amdhsa_float_denorm_mode_32 3
		.amdhsa_float_denorm_mode_16_64 3
		.amdhsa_dx10_clamp 1
		.amdhsa_ieee_mode 1
		.amdhsa_fp16_overflow 0
		.amdhsa_tg_split 0
		.amdhsa_exception_fp_ieee_invalid_op 0
		.amdhsa_exception_fp_denorm_src 0
		.amdhsa_exception_fp_ieee_div_zero 0
		.amdhsa_exception_fp_ieee_overflow 0
		.amdhsa_exception_fp_ieee_underflow 0
		.amdhsa_exception_fp_ieee_inexact 0
		.amdhsa_exception_int_div_zero 0
	.end_amdhsa_kernel
	.section	.text._ZN7rocprim17ROCPRIM_400000_NS6detail17trampoline_kernelINS0_14default_configENS1_27scan_by_key_config_selectorIijEEZZNS1_16scan_by_key_implILNS1_25lookback_scan_determinismE0ELb1ES3_N6thrust23THRUST_200600_302600_NS6detail15normal_iteratorINS9_10device_ptrIiEEEENSB_INSC_IjEEEESG_jNS9_4plusIvEENS9_8equal_toIvEEjEE10hipError_tPvRmT2_T3_T4_T5_mT6_T7_P12ihipStream_tbENKUlT_T0_E_clISt17integral_constantIbLb0EES11_EEDaSW_SX_EUlSW_E_NS1_11comp_targetILNS1_3genE10ELNS1_11target_archE1200ELNS1_3gpuE4ELNS1_3repE0EEENS1_30default_config_static_selectorELNS0_4arch9wavefront6targetE1EEEvT1_,"axG",@progbits,_ZN7rocprim17ROCPRIM_400000_NS6detail17trampoline_kernelINS0_14default_configENS1_27scan_by_key_config_selectorIijEEZZNS1_16scan_by_key_implILNS1_25lookback_scan_determinismE0ELb1ES3_N6thrust23THRUST_200600_302600_NS6detail15normal_iteratorINS9_10device_ptrIiEEEENSB_INSC_IjEEEESG_jNS9_4plusIvEENS9_8equal_toIvEEjEE10hipError_tPvRmT2_T3_T4_T5_mT6_T7_P12ihipStream_tbENKUlT_T0_E_clISt17integral_constantIbLb0EES11_EEDaSW_SX_EUlSW_E_NS1_11comp_targetILNS1_3genE10ELNS1_11target_archE1200ELNS1_3gpuE4ELNS1_3repE0EEENS1_30default_config_static_selectorELNS0_4arch9wavefront6targetE1EEEvT1_,comdat
.Lfunc_end1505:
	.size	_ZN7rocprim17ROCPRIM_400000_NS6detail17trampoline_kernelINS0_14default_configENS1_27scan_by_key_config_selectorIijEEZZNS1_16scan_by_key_implILNS1_25lookback_scan_determinismE0ELb1ES3_N6thrust23THRUST_200600_302600_NS6detail15normal_iteratorINS9_10device_ptrIiEEEENSB_INSC_IjEEEESG_jNS9_4plusIvEENS9_8equal_toIvEEjEE10hipError_tPvRmT2_T3_T4_T5_mT6_T7_P12ihipStream_tbENKUlT_T0_E_clISt17integral_constantIbLb0EES11_EEDaSW_SX_EUlSW_E_NS1_11comp_targetILNS1_3genE10ELNS1_11target_archE1200ELNS1_3gpuE4ELNS1_3repE0EEENS1_30default_config_static_selectorELNS0_4arch9wavefront6targetE1EEEvT1_, .Lfunc_end1505-_ZN7rocprim17ROCPRIM_400000_NS6detail17trampoline_kernelINS0_14default_configENS1_27scan_by_key_config_selectorIijEEZZNS1_16scan_by_key_implILNS1_25lookback_scan_determinismE0ELb1ES3_N6thrust23THRUST_200600_302600_NS6detail15normal_iteratorINS9_10device_ptrIiEEEENSB_INSC_IjEEEESG_jNS9_4plusIvEENS9_8equal_toIvEEjEE10hipError_tPvRmT2_T3_T4_T5_mT6_T7_P12ihipStream_tbENKUlT_T0_E_clISt17integral_constantIbLb0EES11_EEDaSW_SX_EUlSW_E_NS1_11comp_targetILNS1_3genE10ELNS1_11target_archE1200ELNS1_3gpuE4ELNS1_3repE0EEENS1_30default_config_static_selectorELNS0_4arch9wavefront6targetE1EEEvT1_
                                        ; -- End function
	.section	.AMDGPU.csdata,"",@progbits
; Kernel info:
; codeLenInByte = 0
; NumSgprs: 4
; NumVgprs: 0
; NumAgprs: 0
; TotalNumVgprs: 0
; ScratchSize: 0
; MemoryBound: 0
; FloatMode: 240
; IeeeMode: 1
; LDSByteSize: 0 bytes/workgroup (compile time only)
; SGPRBlocks: 0
; VGPRBlocks: 0
; NumSGPRsForWavesPerEU: 4
; NumVGPRsForWavesPerEU: 1
; AccumOffset: 4
; Occupancy: 8
; WaveLimiterHint : 0
; COMPUTE_PGM_RSRC2:SCRATCH_EN: 0
; COMPUTE_PGM_RSRC2:USER_SGPR: 6
; COMPUTE_PGM_RSRC2:TRAP_HANDLER: 0
; COMPUTE_PGM_RSRC2:TGID_X_EN: 1
; COMPUTE_PGM_RSRC2:TGID_Y_EN: 0
; COMPUTE_PGM_RSRC2:TGID_Z_EN: 0
; COMPUTE_PGM_RSRC2:TIDIG_COMP_CNT: 0
; COMPUTE_PGM_RSRC3_GFX90A:ACCUM_OFFSET: 0
; COMPUTE_PGM_RSRC3_GFX90A:TG_SPLIT: 0
	.section	.text._ZN7rocprim17ROCPRIM_400000_NS6detail17trampoline_kernelINS0_14default_configENS1_27scan_by_key_config_selectorIijEEZZNS1_16scan_by_key_implILNS1_25lookback_scan_determinismE0ELb1ES3_N6thrust23THRUST_200600_302600_NS6detail15normal_iteratorINS9_10device_ptrIiEEEENSB_INSC_IjEEEESG_jNS9_4plusIvEENS9_8equal_toIvEEjEE10hipError_tPvRmT2_T3_T4_T5_mT6_T7_P12ihipStream_tbENKUlT_T0_E_clISt17integral_constantIbLb0EES11_EEDaSW_SX_EUlSW_E_NS1_11comp_targetILNS1_3genE9ELNS1_11target_archE1100ELNS1_3gpuE3ELNS1_3repE0EEENS1_30default_config_static_selectorELNS0_4arch9wavefront6targetE1EEEvT1_,"axG",@progbits,_ZN7rocprim17ROCPRIM_400000_NS6detail17trampoline_kernelINS0_14default_configENS1_27scan_by_key_config_selectorIijEEZZNS1_16scan_by_key_implILNS1_25lookback_scan_determinismE0ELb1ES3_N6thrust23THRUST_200600_302600_NS6detail15normal_iteratorINS9_10device_ptrIiEEEENSB_INSC_IjEEEESG_jNS9_4plusIvEENS9_8equal_toIvEEjEE10hipError_tPvRmT2_T3_T4_T5_mT6_T7_P12ihipStream_tbENKUlT_T0_E_clISt17integral_constantIbLb0EES11_EEDaSW_SX_EUlSW_E_NS1_11comp_targetILNS1_3genE9ELNS1_11target_archE1100ELNS1_3gpuE3ELNS1_3repE0EEENS1_30default_config_static_selectorELNS0_4arch9wavefront6targetE1EEEvT1_,comdat
	.protected	_ZN7rocprim17ROCPRIM_400000_NS6detail17trampoline_kernelINS0_14default_configENS1_27scan_by_key_config_selectorIijEEZZNS1_16scan_by_key_implILNS1_25lookback_scan_determinismE0ELb1ES3_N6thrust23THRUST_200600_302600_NS6detail15normal_iteratorINS9_10device_ptrIiEEEENSB_INSC_IjEEEESG_jNS9_4plusIvEENS9_8equal_toIvEEjEE10hipError_tPvRmT2_T3_T4_T5_mT6_T7_P12ihipStream_tbENKUlT_T0_E_clISt17integral_constantIbLb0EES11_EEDaSW_SX_EUlSW_E_NS1_11comp_targetILNS1_3genE9ELNS1_11target_archE1100ELNS1_3gpuE3ELNS1_3repE0EEENS1_30default_config_static_selectorELNS0_4arch9wavefront6targetE1EEEvT1_ ; -- Begin function _ZN7rocprim17ROCPRIM_400000_NS6detail17trampoline_kernelINS0_14default_configENS1_27scan_by_key_config_selectorIijEEZZNS1_16scan_by_key_implILNS1_25lookback_scan_determinismE0ELb1ES3_N6thrust23THRUST_200600_302600_NS6detail15normal_iteratorINS9_10device_ptrIiEEEENSB_INSC_IjEEEESG_jNS9_4plusIvEENS9_8equal_toIvEEjEE10hipError_tPvRmT2_T3_T4_T5_mT6_T7_P12ihipStream_tbENKUlT_T0_E_clISt17integral_constantIbLb0EES11_EEDaSW_SX_EUlSW_E_NS1_11comp_targetILNS1_3genE9ELNS1_11target_archE1100ELNS1_3gpuE3ELNS1_3repE0EEENS1_30default_config_static_selectorELNS0_4arch9wavefront6targetE1EEEvT1_
	.globl	_ZN7rocprim17ROCPRIM_400000_NS6detail17trampoline_kernelINS0_14default_configENS1_27scan_by_key_config_selectorIijEEZZNS1_16scan_by_key_implILNS1_25lookback_scan_determinismE0ELb1ES3_N6thrust23THRUST_200600_302600_NS6detail15normal_iteratorINS9_10device_ptrIiEEEENSB_INSC_IjEEEESG_jNS9_4plusIvEENS9_8equal_toIvEEjEE10hipError_tPvRmT2_T3_T4_T5_mT6_T7_P12ihipStream_tbENKUlT_T0_E_clISt17integral_constantIbLb0EES11_EEDaSW_SX_EUlSW_E_NS1_11comp_targetILNS1_3genE9ELNS1_11target_archE1100ELNS1_3gpuE3ELNS1_3repE0EEENS1_30default_config_static_selectorELNS0_4arch9wavefront6targetE1EEEvT1_
	.p2align	8
	.type	_ZN7rocprim17ROCPRIM_400000_NS6detail17trampoline_kernelINS0_14default_configENS1_27scan_by_key_config_selectorIijEEZZNS1_16scan_by_key_implILNS1_25lookback_scan_determinismE0ELb1ES3_N6thrust23THRUST_200600_302600_NS6detail15normal_iteratorINS9_10device_ptrIiEEEENSB_INSC_IjEEEESG_jNS9_4plusIvEENS9_8equal_toIvEEjEE10hipError_tPvRmT2_T3_T4_T5_mT6_T7_P12ihipStream_tbENKUlT_T0_E_clISt17integral_constantIbLb0EES11_EEDaSW_SX_EUlSW_E_NS1_11comp_targetILNS1_3genE9ELNS1_11target_archE1100ELNS1_3gpuE3ELNS1_3repE0EEENS1_30default_config_static_selectorELNS0_4arch9wavefront6targetE1EEEvT1_,@function
_ZN7rocprim17ROCPRIM_400000_NS6detail17trampoline_kernelINS0_14default_configENS1_27scan_by_key_config_selectorIijEEZZNS1_16scan_by_key_implILNS1_25lookback_scan_determinismE0ELb1ES3_N6thrust23THRUST_200600_302600_NS6detail15normal_iteratorINS9_10device_ptrIiEEEENSB_INSC_IjEEEESG_jNS9_4plusIvEENS9_8equal_toIvEEjEE10hipError_tPvRmT2_T3_T4_T5_mT6_T7_P12ihipStream_tbENKUlT_T0_E_clISt17integral_constantIbLb0EES11_EEDaSW_SX_EUlSW_E_NS1_11comp_targetILNS1_3genE9ELNS1_11target_archE1100ELNS1_3gpuE3ELNS1_3repE0EEENS1_30default_config_static_selectorELNS0_4arch9wavefront6targetE1EEEvT1_: ; @_ZN7rocprim17ROCPRIM_400000_NS6detail17trampoline_kernelINS0_14default_configENS1_27scan_by_key_config_selectorIijEEZZNS1_16scan_by_key_implILNS1_25lookback_scan_determinismE0ELb1ES3_N6thrust23THRUST_200600_302600_NS6detail15normal_iteratorINS9_10device_ptrIiEEEENSB_INSC_IjEEEESG_jNS9_4plusIvEENS9_8equal_toIvEEjEE10hipError_tPvRmT2_T3_T4_T5_mT6_T7_P12ihipStream_tbENKUlT_T0_E_clISt17integral_constantIbLb0EES11_EEDaSW_SX_EUlSW_E_NS1_11comp_targetILNS1_3genE9ELNS1_11target_archE1100ELNS1_3gpuE3ELNS1_3repE0EEENS1_30default_config_static_selectorELNS0_4arch9wavefront6targetE1EEEvT1_
; %bb.0:
	.section	.rodata,"a",@progbits
	.p2align	6, 0x0
	.amdhsa_kernel _ZN7rocprim17ROCPRIM_400000_NS6detail17trampoline_kernelINS0_14default_configENS1_27scan_by_key_config_selectorIijEEZZNS1_16scan_by_key_implILNS1_25lookback_scan_determinismE0ELb1ES3_N6thrust23THRUST_200600_302600_NS6detail15normal_iteratorINS9_10device_ptrIiEEEENSB_INSC_IjEEEESG_jNS9_4plusIvEENS9_8equal_toIvEEjEE10hipError_tPvRmT2_T3_T4_T5_mT6_T7_P12ihipStream_tbENKUlT_T0_E_clISt17integral_constantIbLb0EES11_EEDaSW_SX_EUlSW_E_NS1_11comp_targetILNS1_3genE9ELNS1_11target_archE1100ELNS1_3gpuE3ELNS1_3repE0EEENS1_30default_config_static_selectorELNS0_4arch9wavefront6targetE1EEEvT1_
		.amdhsa_group_segment_fixed_size 0
		.amdhsa_private_segment_fixed_size 0
		.amdhsa_kernarg_size 112
		.amdhsa_user_sgpr_count 6
		.amdhsa_user_sgpr_private_segment_buffer 1
		.amdhsa_user_sgpr_dispatch_ptr 0
		.amdhsa_user_sgpr_queue_ptr 0
		.amdhsa_user_sgpr_kernarg_segment_ptr 1
		.amdhsa_user_sgpr_dispatch_id 0
		.amdhsa_user_sgpr_flat_scratch_init 0
		.amdhsa_user_sgpr_kernarg_preload_length 0
		.amdhsa_user_sgpr_kernarg_preload_offset 0
		.amdhsa_user_sgpr_private_segment_size 0
		.amdhsa_uses_dynamic_stack 0
		.amdhsa_system_sgpr_private_segment_wavefront_offset 0
		.amdhsa_system_sgpr_workgroup_id_x 1
		.amdhsa_system_sgpr_workgroup_id_y 0
		.amdhsa_system_sgpr_workgroup_id_z 0
		.amdhsa_system_sgpr_workgroup_info 0
		.amdhsa_system_vgpr_workitem_id 0
		.amdhsa_next_free_vgpr 1
		.amdhsa_next_free_sgpr 0
		.amdhsa_accum_offset 4
		.amdhsa_reserve_vcc 0
		.amdhsa_reserve_flat_scratch 0
		.amdhsa_float_round_mode_32 0
		.amdhsa_float_round_mode_16_64 0
		.amdhsa_float_denorm_mode_32 3
		.amdhsa_float_denorm_mode_16_64 3
		.amdhsa_dx10_clamp 1
		.amdhsa_ieee_mode 1
		.amdhsa_fp16_overflow 0
		.amdhsa_tg_split 0
		.amdhsa_exception_fp_ieee_invalid_op 0
		.amdhsa_exception_fp_denorm_src 0
		.amdhsa_exception_fp_ieee_div_zero 0
		.amdhsa_exception_fp_ieee_overflow 0
		.amdhsa_exception_fp_ieee_underflow 0
		.amdhsa_exception_fp_ieee_inexact 0
		.amdhsa_exception_int_div_zero 0
	.end_amdhsa_kernel
	.section	.text._ZN7rocprim17ROCPRIM_400000_NS6detail17trampoline_kernelINS0_14default_configENS1_27scan_by_key_config_selectorIijEEZZNS1_16scan_by_key_implILNS1_25lookback_scan_determinismE0ELb1ES3_N6thrust23THRUST_200600_302600_NS6detail15normal_iteratorINS9_10device_ptrIiEEEENSB_INSC_IjEEEESG_jNS9_4plusIvEENS9_8equal_toIvEEjEE10hipError_tPvRmT2_T3_T4_T5_mT6_T7_P12ihipStream_tbENKUlT_T0_E_clISt17integral_constantIbLb0EES11_EEDaSW_SX_EUlSW_E_NS1_11comp_targetILNS1_3genE9ELNS1_11target_archE1100ELNS1_3gpuE3ELNS1_3repE0EEENS1_30default_config_static_selectorELNS0_4arch9wavefront6targetE1EEEvT1_,"axG",@progbits,_ZN7rocprim17ROCPRIM_400000_NS6detail17trampoline_kernelINS0_14default_configENS1_27scan_by_key_config_selectorIijEEZZNS1_16scan_by_key_implILNS1_25lookback_scan_determinismE0ELb1ES3_N6thrust23THRUST_200600_302600_NS6detail15normal_iteratorINS9_10device_ptrIiEEEENSB_INSC_IjEEEESG_jNS9_4plusIvEENS9_8equal_toIvEEjEE10hipError_tPvRmT2_T3_T4_T5_mT6_T7_P12ihipStream_tbENKUlT_T0_E_clISt17integral_constantIbLb0EES11_EEDaSW_SX_EUlSW_E_NS1_11comp_targetILNS1_3genE9ELNS1_11target_archE1100ELNS1_3gpuE3ELNS1_3repE0EEENS1_30default_config_static_selectorELNS0_4arch9wavefront6targetE1EEEvT1_,comdat
.Lfunc_end1506:
	.size	_ZN7rocprim17ROCPRIM_400000_NS6detail17trampoline_kernelINS0_14default_configENS1_27scan_by_key_config_selectorIijEEZZNS1_16scan_by_key_implILNS1_25lookback_scan_determinismE0ELb1ES3_N6thrust23THRUST_200600_302600_NS6detail15normal_iteratorINS9_10device_ptrIiEEEENSB_INSC_IjEEEESG_jNS9_4plusIvEENS9_8equal_toIvEEjEE10hipError_tPvRmT2_T3_T4_T5_mT6_T7_P12ihipStream_tbENKUlT_T0_E_clISt17integral_constantIbLb0EES11_EEDaSW_SX_EUlSW_E_NS1_11comp_targetILNS1_3genE9ELNS1_11target_archE1100ELNS1_3gpuE3ELNS1_3repE0EEENS1_30default_config_static_selectorELNS0_4arch9wavefront6targetE1EEEvT1_, .Lfunc_end1506-_ZN7rocprim17ROCPRIM_400000_NS6detail17trampoline_kernelINS0_14default_configENS1_27scan_by_key_config_selectorIijEEZZNS1_16scan_by_key_implILNS1_25lookback_scan_determinismE0ELb1ES3_N6thrust23THRUST_200600_302600_NS6detail15normal_iteratorINS9_10device_ptrIiEEEENSB_INSC_IjEEEESG_jNS9_4plusIvEENS9_8equal_toIvEEjEE10hipError_tPvRmT2_T3_T4_T5_mT6_T7_P12ihipStream_tbENKUlT_T0_E_clISt17integral_constantIbLb0EES11_EEDaSW_SX_EUlSW_E_NS1_11comp_targetILNS1_3genE9ELNS1_11target_archE1100ELNS1_3gpuE3ELNS1_3repE0EEENS1_30default_config_static_selectorELNS0_4arch9wavefront6targetE1EEEvT1_
                                        ; -- End function
	.section	.AMDGPU.csdata,"",@progbits
; Kernel info:
; codeLenInByte = 0
; NumSgprs: 4
; NumVgprs: 0
; NumAgprs: 0
; TotalNumVgprs: 0
; ScratchSize: 0
; MemoryBound: 0
; FloatMode: 240
; IeeeMode: 1
; LDSByteSize: 0 bytes/workgroup (compile time only)
; SGPRBlocks: 0
; VGPRBlocks: 0
; NumSGPRsForWavesPerEU: 4
; NumVGPRsForWavesPerEU: 1
; AccumOffset: 4
; Occupancy: 8
; WaveLimiterHint : 0
; COMPUTE_PGM_RSRC2:SCRATCH_EN: 0
; COMPUTE_PGM_RSRC2:USER_SGPR: 6
; COMPUTE_PGM_RSRC2:TRAP_HANDLER: 0
; COMPUTE_PGM_RSRC2:TGID_X_EN: 1
; COMPUTE_PGM_RSRC2:TGID_Y_EN: 0
; COMPUTE_PGM_RSRC2:TGID_Z_EN: 0
; COMPUTE_PGM_RSRC2:TIDIG_COMP_CNT: 0
; COMPUTE_PGM_RSRC3_GFX90A:ACCUM_OFFSET: 0
; COMPUTE_PGM_RSRC3_GFX90A:TG_SPLIT: 0
	.section	.text._ZN7rocprim17ROCPRIM_400000_NS6detail17trampoline_kernelINS0_14default_configENS1_27scan_by_key_config_selectorIijEEZZNS1_16scan_by_key_implILNS1_25lookback_scan_determinismE0ELb1ES3_N6thrust23THRUST_200600_302600_NS6detail15normal_iteratorINS9_10device_ptrIiEEEENSB_INSC_IjEEEESG_jNS9_4plusIvEENS9_8equal_toIvEEjEE10hipError_tPvRmT2_T3_T4_T5_mT6_T7_P12ihipStream_tbENKUlT_T0_E_clISt17integral_constantIbLb0EES11_EEDaSW_SX_EUlSW_E_NS1_11comp_targetILNS1_3genE8ELNS1_11target_archE1030ELNS1_3gpuE2ELNS1_3repE0EEENS1_30default_config_static_selectorELNS0_4arch9wavefront6targetE1EEEvT1_,"axG",@progbits,_ZN7rocprim17ROCPRIM_400000_NS6detail17trampoline_kernelINS0_14default_configENS1_27scan_by_key_config_selectorIijEEZZNS1_16scan_by_key_implILNS1_25lookback_scan_determinismE0ELb1ES3_N6thrust23THRUST_200600_302600_NS6detail15normal_iteratorINS9_10device_ptrIiEEEENSB_INSC_IjEEEESG_jNS9_4plusIvEENS9_8equal_toIvEEjEE10hipError_tPvRmT2_T3_T4_T5_mT6_T7_P12ihipStream_tbENKUlT_T0_E_clISt17integral_constantIbLb0EES11_EEDaSW_SX_EUlSW_E_NS1_11comp_targetILNS1_3genE8ELNS1_11target_archE1030ELNS1_3gpuE2ELNS1_3repE0EEENS1_30default_config_static_selectorELNS0_4arch9wavefront6targetE1EEEvT1_,comdat
	.protected	_ZN7rocprim17ROCPRIM_400000_NS6detail17trampoline_kernelINS0_14default_configENS1_27scan_by_key_config_selectorIijEEZZNS1_16scan_by_key_implILNS1_25lookback_scan_determinismE0ELb1ES3_N6thrust23THRUST_200600_302600_NS6detail15normal_iteratorINS9_10device_ptrIiEEEENSB_INSC_IjEEEESG_jNS9_4plusIvEENS9_8equal_toIvEEjEE10hipError_tPvRmT2_T3_T4_T5_mT6_T7_P12ihipStream_tbENKUlT_T0_E_clISt17integral_constantIbLb0EES11_EEDaSW_SX_EUlSW_E_NS1_11comp_targetILNS1_3genE8ELNS1_11target_archE1030ELNS1_3gpuE2ELNS1_3repE0EEENS1_30default_config_static_selectorELNS0_4arch9wavefront6targetE1EEEvT1_ ; -- Begin function _ZN7rocprim17ROCPRIM_400000_NS6detail17trampoline_kernelINS0_14default_configENS1_27scan_by_key_config_selectorIijEEZZNS1_16scan_by_key_implILNS1_25lookback_scan_determinismE0ELb1ES3_N6thrust23THRUST_200600_302600_NS6detail15normal_iteratorINS9_10device_ptrIiEEEENSB_INSC_IjEEEESG_jNS9_4plusIvEENS9_8equal_toIvEEjEE10hipError_tPvRmT2_T3_T4_T5_mT6_T7_P12ihipStream_tbENKUlT_T0_E_clISt17integral_constantIbLb0EES11_EEDaSW_SX_EUlSW_E_NS1_11comp_targetILNS1_3genE8ELNS1_11target_archE1030ELNS1_3gpuE2ELNS1_3repE0EEENS1_30default_config_static_selectorELNS0_4arch9wavefront6targetE1EEEvT1_
	.globl	_ZN7rocprim17ROCPRIM_400000_NS6detail17trampoline_kernelINS0_14default_configENS1_27scan_by_key_config_selectorIijEEZZNS1_16scan_by_key_implILNS1_25lookback_scan_determinismE0ELb1ES3_N6thrust23THRUST_200600_302600_NS6detail15normal_iteratorINS9_10device_ptrIiEEEENSB_INSC_IjEEEESG_jNS9_4plusIvEENS9_8equal_toIvEEjEE10hipError_tPvRmT2_T3_T4_T5_mT6_T7_P12ihipStream_tbENKUlT_T0_E_clISt17integral_constantIbLb0EES11_EEDaSW_SX_EUlSW_E_NS1_11comp_targetILNS1_3genE8ELNS1_11target_archE1030ELNS1_3gpuE2ELNS1_3repE0EEENS1_30default_config_static_selectorELNS0_4arch9wavefront6targetE1EEEvT1_
	.p2align	8
	.type	_ZN7rocprim17ROCPRIM_400000_NS6detail17trampoline_kernelINS0_14default_configENS1_27scan_by_key_config_selectorIijEEZZNS1_16scan_by_key_implILNS1_25lookback_scan_determinismE0ELb1ES3_N6thrust23THRUST_200600_302600_NS6detail15normal_iteratorINS9_10device_ptrIiEEEENSB_INSC_IjEEEESG_jNS9_4plusIvEENS9_8equal_toIvEEjEE10hipError_tPvRmT2_T3_T4_T5_mT6_T7_P12ihipStream_tbENKUlT_T0_E_clISt17integral_constantIbLb0EES11_EEDaSW_SX_EUlSW_E_NS1_11comp_targetILNS1_3genE8ELNS1_11target_archE1030ELNS1_3gpuE2ELNS1_3repE0EEENS1_30default_config_static_selectorELNS0_4arch9wavefront6targetE1EEEvT1_,@function
_ZN7rocprim17ROCPRIM_400000_NS6detail17trampoline_kernelINS0_14default_configENS1_27scan_by_key_config_selectorIijEEZZNS1_16scan_by_key_implILNS1_25lookback_scan_determinismE0ELb1ES3_N6thrust23THRUST_200600_302600_NS6detail15normal_iteratorINS9_10device_ptrIiEEEENSB_INSC_IjEEEESG_jNS9_4plusIvEENS9_8equal_toIvEEjEE10hipError_tPvRmT2_T3_T4_T5_mT6_T7_P12ihipStream_tbENKUlT_T0_E_clISt17integral_constantIbLb0EES11_EEDaSW_SX_EUlSW_E_NS1_11comp_targetILNS1_3genE8ELNS1_11target_archE1030ELNS1_3gpuE2ELNS1_3repE0EEENS1_30default_config_static_selectorELNS0_4arch9wavefront6targetE1EEEvT1_: ; @_ZN7rocprim17ROCPRIM_400000_NS6detail17trampoline_kernelINS0_14default_configENS1_27scan_by_key_config_selectorIijEEZZNS1_16scan_by_key_implILNS1_25lookback_scan_determinismE0ELb1ES3_N6thrust23THRUST_200600_302600_NS6detail15normal_iteratorINS9_10device_ptrIiEEEENSB_INSC_IjEEEESG_jNS9_4plusIvEENS9_8equal_toIvEEjEE10hipError_tPvRmT2_T3_T4_T5_mT6_T7_P12ihipStream_tbENKUlT_T0_E_clISt17integral_constantIbLb0EES11_EEDaSW_SX_EUlSW_E_NS1_11comp_targetILNS1_3genE8ELNS1_11target_archE1030ELNS1_3gpuE2ELNS1_3repE0EEENS1_30default_config_static_selectorELNS0_4arch9wavefront6targetE1EEEvT1_
; %bb.0:
	.section	.rodata,"a",@progbits
	.p2align	6, 0x0
	.amdhsa_kernel _ZN7rocprim17ROCPRIM_400000_NS6detail17trampoline_kernelINS0_14default_configENS1_27scan_by_key_config_selectorIijEEZZNS1_16scan_by_key_implILNS1_25lookback_scan_determinismE0ELb1ES3_N6thrust23THRUST_200600_302600_NS6detail15normal_iteratorINS9_10device_ptrIiEEEENSB_INSC_IjEEEESG_jNS9_4plusIvEENS9_8equal_toIvEEjEE10hipError_tPvRmT2_T3_T4_T5_mT6_T7_P12ihipStream_tbENKUlT_T0_E_clISt17integral_constantIbLb0EES11_EEDaSW_SX_EUlSW_E_NS1_11comp_targetILNS1_3genE8ELNS1_11target_archE1030ELNS1_3gpuE2ELNS1_3repE0EEENS1_30default_config_static_selectorELNS0_4arch9wavefront6targetE1EEEvT1_
		.amdhsa_group_segment_fixed_size 0
		.amdhsa_private_segment_fixed_size 0
		.amdhsa_kernarg_size 112
		.amdhsa_user_sgpr_count 6
		.amdhsa_user_sgpr_private_segment_buffer 1
		.amdhsa_user_sgpr_dispatch_ptr 0
		.amdhsa_user_sgpr_queue_ptr 0
		.amdhsa_user_sgpr_kernarg_segment_ptr 1
		.amdhsa_user_sgpr_dispatch_id 0
		.amdhsa_user_sgpr_flat_scratch_init 0
		.amdhsa_user_sgpr_kernarg_preload_length 0
		.amdhsa_user_sgpr_kernarg_preload_offset 0
		.amdhsa_user_sgpr_private_segment_size 0
		.amdhsa_uses_dynamic_stack 0
		.amdhsa_system_sgpr_private_segment_wavefront_offset 0
		.amdhsa_system_sgpr_workgroup_id_x 1
		.amdhsa_system_sgpr_workgroup_id_y 0
		.amdhsa_system_sgpr_workgroup_id_z 0
		.amdhsa_system_sgpr_workgroup_info 0
		.amdhsa_system_vgpr_workitem_id 0
		.amdhsa_next_free_vgpr 1
		.amdhsa_next_free_sgpr 0
		.amdhsa_accum_offset 4
		.amdhsa_reserve_vcc 0
		.amdhsa_reserve_flat_scratch 0
		.amdhsa_float_round_mode_32 0
		.amdhsa_float_round_mode_16_64 0
		.amdhsa_float_denorm_mode_32 3
		.amdhsa_float_denorm_mode_16_64 3
		.amdhsa_dx10_clamp 1
		.amdhsa_ieee_mode 1
		.amdhsa_fp16_overflow 0
		.amdhsa_tg_split 0
		.amdhsa_exception_fp_ieee_invalid_op 0
		.amdhsa_exception_fp_denorm_src 0
		.amdhsa_exception_fp_ieee_div_zero 0
		.amdhsa_exception_fp_ieee_overflow 0
		.amdhsa_exception_fp_ieee_underflow 0
		.amdhsa_exception_fp_ieee_inexact 0
		.amdhsa_exception_int_div_zero 0
	.end_amdhsa_kernel
	.section	.text._ZN7rocprim17ROCPRIM_400000_NS6detail17trampoline_kernelINS0_14default_configENS1_27scan_by_key_config_selectorIijEEZZNS1_16scan_by_key_implILNS1_25lookback_scan_determinismE0ELb1ES3_N6thrust23THRUST_200600_302600_NS6detail15normal_iteratorINS9_10device_ptrIiEEEENSB_INSC_IjEEEESG_jNS9_4plusIvEENS9_8equal_toIvEEjEE10hipError_tPvRmT2_T3_T4_T5_mT6_T7_P12ihipStream_tbENKUlT_T0_E_clISt17integral_constantIbLb0EES11_EEDaSW_SX_EUlSW_E_NS1_11comp_targetILNS1_3genE8ELNS1_11target_archE1030ELNS1_3gpuE2ELNS1_3repE0EEENS1_30default_config_static_selectorELNS0_4arch9wavefront6targetE1EEEvT1_,"axG",@progbits,_ZN7rocprim17ROCPRIM_400000_NS6detail17trampoline_kernelINS0_14default_configENS1_27scan_by_key_config_selectorIijEEZZNS1_16scan_by_key_implILNS1_25lookback_scan_determinismE0ELb1ES3_N6thrust23THRUST_200600_302600_NS6detail15normal_iteratorINS9_10device_ptrIiEEEENSB_INSC_IjEEEESG_jNS9_4plusIvEENS9_8equal_toIvEEjEE10hipError_tPvRmT2_T3_T4_T5_mT6_T7_P12ihipStream_tbENKUlT_T0_E_clISt17integral_constantIbLb0EES11_EEDaSW_SX_EUlSW_E_NS1_11comp_targetILNS1_3genE8ELNS1_11target_archE1030ELNS1_3gpuE2ELNS1_3repE0EEENS1_30default_config_static_selectorELNS0_4arch9wavefront6targetE1EEEvT1_,comdat
.Lfunc_end1507:
	.size	_ZN7rocprim17ROCPRIM_400000_NS6detail17trampoline_kernelINS0_14default_configENS1_27scan_by_key_config_selectorIijEEZZNS1_16scan_by_key_implILNS1_25lookback_scan_determinismE0ELb1ES3_N6thrust23THRUST_200600_302600_NS6detail15normal_iteratorINS9_10device_ptrIiEEEENSB_INSC_IjEEEESG_jNS9_4plusIvEENS9_8equal_toIvEEjEE10hipError_tPvRmT2_T3_T4_T5_mT6_T7_P12ihipStream_tbENKUlT_T0_E_clISt17integral_constantIbLb0EES11_EEDaSW_SX_EUlSW_E_NS1_11comp_targetILNS1_3genE8ELNS1_11target_archE1030ELNS1_3gpuE2ELNS1_3repE0EEENS1_30default_config_static_selectorELNS0_4arch9wavefront6targetE1EEEvT1_, .Lfunc_end1507-_ZN7rocprim17ROCPRIM_400000_NS6detail17trampoline_kernelINS0_14default_configENS1_27scan_by_key_config_selectorIijEEZZNS1_16scan_by_key_implILNS1_25lookback_scan_determinismE0ELb1ES3_N6thrust23THRUST_200600_302600_NS6detail15normal_iteratorINS9_10device_ptrIiEEEENSB_INSC_IjEEEESG_jNS9_4plusIvEENS9_8equal_toIvEEjEE10hipError_tPvRmT2_T3_T4_T5_mT6_T7_P12ihipStream_tbENKUlT_T0_E_clISt17integral_constantIbLb0EES11_EEDaSW_SX_EUlSW_E_NS1_11comp_targetILNS1_3genE8ELNS1_11target_archE1030ELNS1_3gpuE2ELNS1_3repE0EEENS1_30default_config_static_selectorELNS0_4arch9wavefront6targetE1EEEvT1_
                                        ; -- End function
	.section	.AMDGPU.csdata,"",@progbits
; Kernel info:
; codeLenInByte = 0
; NumSgprs: 4
; NumVgprs: 0
; NumAgprs: 0
; TotalNumVgprs: 0
; ScratchSize: 0
; MemoryBound: 0
; FloatMode: 240
; IeeeMode: 1
; LDSByteSize: 0 bytes/workgroup (compile time only)
; SGPRBlocks: 0
; VGPRBlocks: 0
; NumSGPRsForWavesPerEU: 4
; NumVGPRsForWavesPerEU: 1
; AccumOffset: 4
; Occupancy: 8
; WaveLimiterHint : 0
; COMPUTE_PGM_RSRC2:SCRATCH_EN: 0
; COMPUTE_PGM_RSRC2:USER_SGPR: 6
; COMPUTE_PGM_RSRC2:TRAP_HANDLER: 0
; COMPUTE_PGM_RSRC2:TGID_X_EN: 1
; COMPUTE_PGM_RSRC2:TGID_Y_EN: 0
; COMPUTE_PGM_RSRC2:TGID_Z_EN: 0
; COMPUTE_PGM_RSRC2:TIDIG_COMP_CNT: 0
; COMPUTE_PGM_RSRC3_GFX90A:ACCUM_OFFSET: 0
; COMPUTE_PGM_RSRC3_GFX90A:TG_SPLIT: 0
	.section	.text._ZN7rocprim17ROCPRIM_400000_NS6detail17trampoline_kernelINS0_14default_configENS1_27scan_by_key_config_selectorIijEEZZNS1_16scan_by_key_implILNS1_25lookback_scan_determinismE0ELb1ES3_N6thrust23THRUST_200600_302600_NS6detail15normal_iteratorINS9_10device_ptrIiEEEENSB_INSC_IjEEEESG_jNS9_4plusIvEENS9_8equal_toIvEEjEE10hipError_tPvRmT2_T3_T4_T5_mT6_T7_P12ihipStream_tbENKUlT_T0_E_clISt17integral_constantIbLb1EES11_EEDaSW_SX_EUlSW_E_NS1_11comp_targetILNS1_3genE0ELNS1_11target_archE4294967295ELNS1_3gpuE0ELNS1_3repE0EEENS1_30default_config_static_selectorELNS0_4arch9wavefront6targetE1EEEvT1_,"axG",@progbits,_ZN7rocprim17ROCPRIM_400000_NS6detail17trampoline_kernelINS0_14default_configENS1_27scan_by_key_config_selectorIijEEZZNS1_16scan_by_key_implILNS1_25lookback_scan_determinismE0ELb1ES3_N6thrust23THRUST_200600_302600_NS6detail15normal_iteratorINS9_10device_ptrIiEEEENSB_INSC_IjEEEESG_jNS9_4plusIvEENS9_8equal_toIvEEjEE10hipError_tPvRmT2_T3_T4_T5_mT6_T7_P12ihipStream_tbENKUlT_T0_E_clISt17integral_constantIbLb1EES11_EEDaSW_SX_EUlSW_E_NS1_11comp_targetILNS1_3genE0ELNS1_11target_archE4294967295ELNS1_3gpuE0ELNS1_3repE0EEENS1_30default_config_static_selectorELNS0_4arch9wavefront6targetE1EEEvT1_,comdat
	.protected	_ZN7rocprim17ROCPRIM_400000_NS6detail17trampoline_kernelINS0_14default_configENS1_27scan_by_key_config_selectorIijEEZZNS1_16scan_by_key_implILNS1_25lookback_scan_determinismE0ELb1ES3_N6thrust23THRUST_200600_302600_NS6detail15normal_iteratorINS9_10device_ptrIiEEEENSB_INSC_IjEEEESG_jNS9_4plusIvEENS9_8equal_toIvEEjEE10hipError_tPvRmT2_T3_T4_T5_mT6_T7_P12ihipStream_tbENKUlT_T0_E_clISt17integral_constantIbLb1EES11_EEDaSW_SX_EUlSW_E_NS1_11comp_targetILNS1_3genE0ELNS1_11target_archE4294967295ELNS1_3gpuE0ELNS1_3repE0EEENS1_30default_config_static_selectorELNS0_4arch9wavefront6targetE1EEEvT1_ ; -- Begin function _ZN7rocprim17ROCPRIM_400000_NS6detail17trampoline_kernelINS0_14default_configENS1_27scan_by_key_config_selectorIijEEZZNS1_16scan_by_key_implILNS1_25lookback_scan_determinismE0ELb1ES3_N6thrust23THRUST_200600_302600_NS6detail15normal_iteratorINS9_10device_ptrIiEEEENSB_INSC_IjEEEESG_jNS9_4plusIvEENS9_8equal_toIvEEjEE10hipError_tPvRmT2_T3_T4_T5_mT6_T7_P12ihipStream_tbENKUlT_T0_E_clISt17integral_constantIbLb1EES11_EEDaSW_SX_EUlSW_E_NS1_11comp_targetILNS1_3genE0ELNS1_11target_archE4294967295ELNS1_3gpuE0ELNS1_3repE0EEENS1_30default_config_static_selectorELNS0_4arch9wavefront6targetE1EEEvT1_
	.globl	_ZN7rocprim17ROCPRIM_400000_NS6detail17trampoline_kernelINS0_14default_configENS1_27scan_by_key_config_selectorIijEEZZNS1_16scan_by_key_implILNS1_25lookback_scan_determinismE0ELb1ES3_N6thrust23THRUST_200600_302600_NS6detail15normal_iteratorINS9_10device_ptrIiEEEENSB_INSC_IjEEEESG_jNS9_4plusIvEENS9_8equal_toIvEEjEE10hipError_tPvRmT2_T3_T4_T5_mT6_T7_P12ihipStream_tbENKUlT_T0_E_clISt17integral_constantIbLb1EES11_EEDaSW_SX_EUlSW_E_NS1_11comp_targetILNS1_3genE0ELNS1_11target_archE4294967295ELNS1_3gpuE0ELNS1_3repE0EEENS1_30default_config_static_selectorELNS0_4arch9wavefront6targetE1EEEvT1_
	.p2align	8
	.type	_ZN7rocprim17ROCPRIM_400000_NS6detail17trampoline_kernelINS0_14default_configENS1_27scan_by_key_config_selectorIijEEZZNS1_16scan_by_key_implILNS1_25lookback_scan_determinismE0ELb1ES3_N6thrust23THRUST_200600_302600_NS6detail15normal_iteratorINS9_10device_ptrIiEEEENSB_INSC_IjEEEESG_jNS9_4plusIvEENS9_8equal_toIvEEjEE10hipError_tPvRmT2_T3_T4_T5_mT6_T7_P12ihipStream_tbENKUlT_T0_E_clISt17integral_constantIbLb1EES11_EEDaSW_SX_EUlSW_E_NS1_11comp_targetILNS1_3genE0ELNS1_11target_archE4294967295ELNS1_3gpuE0ELNS1_3repE0EEENS1_30default_config_static_selectorELNS0_4arch9wavefront6targetE1EEEvT1_,@function
_ZN7rocprim17ROCPRIM_400000_NS6detail17trampoline_kernelINS0_14default_configENS1_27scan_by_key_config_selectorIijEEZZNS1_16scan_by_key_implILNS1_25lookback_scan_determinismE0ELb1ES3_N6thrust23THRUST_200600_302600_NS6detail15normal_iteratorINS9_10device_ptrIiEEEENSB_INSC_IjEEEESG_jNS9_4plusIvEENS9_8equal_toIvEEjEE10hipError_tPvRmT2_T3_T4_T5_mT6_T7_P12ihipStream_tbENKUlT_T0_E_clISt17integral_constantIbLb1EES11_EEDaSW_SX_EUlSW_E_NS1_11comp_targetILNS1_3genE0ELNS1_11target_archE4294967295ELNS1_3gpuE0ELNS1_3repE0EEENS1_30default_config_static_selectorELNS0_4arch9wavefront6targetE1EEEvT1_: ; @_ZN7rocprim17ROCPRIM_400000_NS6detail17trampoline_kernelINS0_14default_configENS1_27scan_by_key_config_selectorIijEEZZNS1_16scan_by_key_implILNS1_25lookback_scan_determinismE0ELb1ES3_N6thrust23THRUST_200600_302600_NS6detail15normal_iteratorINS9_10device_ptrIiEEEENSB_INSC_IjEEEESG_jNS9_4plusIvEENS9_8equal_toIvEEjEE10hipError_tPvRmT2_T3_T4_T5_mT6_T7_P12ihipStream_tbENKUlT_T0_E_clISt17integral_constantIbLb1EES11_EEDaSW_SX_EUlSW_E_NS1_11comp_targetILNS1_3genE0ELNS1_11target_archE4294967295ELNS1_3gpuE0ELNS1_3repE0EEENS1_30default_config_static_selectorELNS0_4arch9wavefront6targetE1EEEvT1_
; %bb.0:
	.section	.rodata,"a",@progbits
	.p2align	6, 0x0
	.amdhsa_kernel _ZN7rocprim17ROCPRIM_400000_NS6detail17trampoline_kernelINS0_14default_configENS1_27scan_by_key_config_selectorIijEEZZNS1_16scan_by_key_implILNS1_25lookback_scan_determinismE0ELb1ES3_N6thrust23THRUST_200600_302600_NS6detail15normal_iteratorINS9_10device_ptrIiEEEENSB_INSC_IjEEEESG_jNS9_4plusIvEENS9_8equal_toIvEEjEE10hipError_tPvRmT2_T3_T4_T5_mT6_T7_P12ihipStream_tbENKUlT_T0_E_clISt17integral_constantIbLb1EES11_EEDaSW_SX_EUlSW_E_NS1_11comp_targetILNS1_3genE0ELNS1_11target_archE4294967295ELNS1_3gpuE0ELNS1_3repE0EEENS1_30default_config_static_selectorELNS0_4arch9wavefront6targetE1EEEvT1_
		.amdhsa_group_segment_fixed_size 0
		.amdhsa_private_segment_fixed_size 0
		.amdhsa_kernarg_size 112
		.amdhsa_user_sgpr_count 6
		.amdhsa_user_sgpr_private_segment_buffer 1
		.amdhsa_user_sgpr_dispatch_ptr 0
		.amdhsa_user_sgpr_queue_ptr 0
		.amdhsa_user_sgpr_kernarg_segment_ptr 1
		.amdhsa_user_sgpr_dispatch_id 0
		.amdhsa_user_sgpr_flat_scratch_init 0
		.amdhsa_user_sgpr_kernarg_preload_length 0
		.amdhsa_user_sgpr_kernarg_preload_offset 0
		.amdhsa_user_sgpr_private_segment_size 0
		.amdhsa_uses_dynamic_stack 0
		.amdhsa_system_sgpr_private_segment_wavefront_offset 0
		.amdhsa_system_sgpr_workgroup_id_x 1
		.amdhsa_system_sgpr_workgroup_id_y 0
		.amdhsa_system_sgpr_workgroup_id_z 0
		.amdhsa_system_sgpr_workgroup_info 0
		.amdhsa_system_vgpr_workitem_id 0
		.amdhsa_next_free_vgpr 1
		.amdhsa_next_free_sgpr 0
		.amdhsa_accum_offset 4
		.amdhsa_reserve_vcc 0
		.amdhsa_reserve_flat_scratch 0
		.amdhsa_float_round_mode_32 0
		.amdhsa_float_round_mode_16_64 0
		.amdhsa_float_denorm_mode_32 3
		.amdhsa_float_denorm_mode_16_64 3
		.amdhsa_dx10_clamp 1
		.amdhsa_ieee_mode 1
		.amdhsa_fp16_overflow 0
		.amdhsa_tg_split 0
		.amdhsa_exception_fp_ieee_invalid_op 0
		.amdhsa_exception_fp_denorm_src 0
		.amdhsa_exception_fp_ieee_div_zero 0
		.amdhsa_exception_fp_ieee_overflow 0
		.amdhsa_exception_fp_ieee_underflow 0
		.amdhsa_exception_fp_ieee_inexact 0
		.amdhsa_exception_int_div_zero 0
	.end_amdhsa_kernel
	.section	.text._ZN7rocprim17ROCPRIM_400000_NS6detail17trampoline_kernelINS0_14default_configENS1_27scan_by_key_config_selectorIijEEZZNS1_16scan_by_key_implILNS1_25lookback_scan_determinismE0ELb1ES3_N6thrust23THRUST_200600_302600_NS6detail15normal_iteratorINS9_10device_ptrIiEEEENSB_INSC_IjEEEESG_jNS9_4plusIvEENS9_8equal_toIvEEjEE10hipError_tPvRmT2_T3_T4_T5_mT6_T7_P12ihipStream_tbENKUlT_T0_E_clISt17integral_constantIbLb1EES11_EEDaSW_SX_EUlSW_E_NS1_11comp_targetILNS1_3genE0ELNS1_11target_archE4294967295ELNS1_3gpuE0ELNS1_3repE0EEENS1_30default_config_static_selectorELNS0_4arch9wavefront6targetE1EEEvT1_,"axG",@progbits,_ZN7rocprim17ROCPRIM_400000_NS6detail17trampoline_kernelINS0_14default_configENS1_27scan_by_key_config_selectorIijEEZZNS1_16scan_by_key_implILNS1_25lookback_scan_determinismE0ELb1ES3_N6thrust23THRUST_200600_302600_NS6detail15normal_iteratorINS9_10device_ptrIiEEEENSB_INSC_IjEEEESG_jNS9_4plusIvEENS9_8equal_toIvEEjEE10hipError_tPvRmT2_T3_T4_T5_mT6_T7_P12ihipStream_tbENKUlT_T0_E_clISt17integral_constantIbLb1EES11_EEDaSW_SX_EUlSW_E_NS1_11comp_targetILNS1_3genE0ELNS1_11target_archE4294967295ELNS1_3gpuE0ELNS1_3repE0EEENS1_30default_config_static_selectorELNS0_4arch9wavefront6targetE1EEEvT1_,comdat
.Lfunc_end1508:
	.size	_ZN7rocprim17ROCPRIM_400000_NS6detail17trampoline_kernelINS0_14default_configENS1_27scan_by_key_config_selectorIijEEZZNS1_16scan_by_key_implILNS1_25lookback_scan_determinismE0ELb1ES3_N6thrust23THRUST_200600_302600_NS6detail15normal_iteratorINS9_10device_ptrIiEEEENSB_INSC_IjEEEESG_jNS9_4plusIvEENS9_8equal_toIvEEjEE10hipError_tPvRmT2_T3_T4_T5_mT6_T7_P12ihipStream_tbENKUlT_T0_E_clISt17integral_constantIbLb1EES11_EEDaSW_SX_EUlSW_E_NS1_11comp_targetILNS1_3genE0ELNS1_11target_archE4294967295ELNS1_3gpuE0ELNS1_3repE0EEENS1_30default_config_static_selectorELNS0_4arch9wavefront6targetE1EEEvT1_, .Lfunc_end1508-_ZN7rocprim17ROCPRIM_400000_NS6detail17trampoline_kernelINS0_14default_configENS1_27scan_by_key_config_selectorIijEEZZNS1_16scan_by_key_implILNS1_25lookback_scan_determinismE0ELb1ES3_N6thrust23THRUST_200600_302600_NS6detail15normal_iteratorINS9_10device_ptrIiEEEENSB_INSC_IjEEEESG_jNS9_4plusIvEENS9_8equal_toIvEEjEE10hipError_tPvRmT2_T3_T4_T5_mT6_T7_P12ihipStream_tbENKUlT_T0_E_clISt17integral_constantIbLb1EES11_EEDaSW_SX_EUlSW_E_NS1_11comp_targetILNS1_3genE0ELNS1_11target_archE4294967295ELNS1_3gpuE0ELNS1_3repE0EEENS1_30default_config_static_selectorELNS0_4arch9wavefront6targetE1EEEvT1_
                                        ; -- End function
	.section	.AMDGPU.csdata,"",@progbits
; Kernel info:
; codeLenInByte = 0
; NumSgprs: 4
; NumVgprs: 0
; NumAgprs: 0
; TotalNumVgprs: 0
; ScratchSize: 0
; MemoryBound: 0
; FloatMode: 240
; IeeeMode: 1
; LDSByteSize: 0 bytes/workgroup (compile time only)
; SGPRBlocks: 0
; VGPRBlocks: 0
; NumSGPRsForWavesPerEU: 4
; NumVGPRsForWavesPerEU: 1
; AccumOffset: 4
; Occupancy: 8
; WaveLimiterHint : 0
; COMPUTE_PGM_RSRC2:SCRATCH_EN: 0
; COMPUTE_PGM_RSRC2:USER_SGPR: 6
; COMPUTE_PGM_RSRC2:TRAP_HANDLER: 0
; COMPUTE_PGM_RSRC2:TGID_X_EN: 1
; COMPUTE_PGM_RSRC2:TGID_Y_EN: 0
; COMPUTE_PGM_RSRC2:TGID_Z_EN: 0
; COMPUTE_PGM_RSRC2:TIDIG_COMP_CNT: 0
; COMPUTE_PGM_RSRC3_GFX90A:ACCUM_OFFSET: 0
; COMPUTE_PGM_RSRC3_GFX90A:TG_SPLIT: 0
	.section	.text._ZN7rocprim17ROCPRIM_400000_NS6detail17trampoline_kernelINS0_14default_configENS1_27scan_by_key_config_selectorIijEEZZNS1_16scan_by_key_implILNS1_25lookback_scan_determinismE0ELb1ES3_N6thrust23THRUST_200600_302600_NS6detail15normal_iteratorINS9_10device_ptrIiEEEENSB_INSC_IjEEEESG_jNS9_4plusIvEENS9_8equal_toIvEEjEE10hipError_tPvRmT2_T3_T4_T5_mT6_T7_P12ihipStream_tbENKUlT_T0_E_clISt17integral_constantIbLb1EES11_EEDaSW_SX_EUlSW_E_NS1_11comp_targetILNS1_3genE10ELNS1_11target_archE1201ELNS1_3gpuE5ELNS1_3repE0EEENS1_30default_config_static_selectorELNS0_4arch9wavefront6targetE1EEEvT1_,"axG",@progbits,_ZN7rocprim17ROCPRIM_400000_NS6detail17trampoline_kernelINS0_14default_configENS1_27scan_by_key_config_selectorIijEEZZNS1_16scan_by_key_implILNS1_25lookback_scan_determinismE0ELb1ES3_N6thrust23THRUST_200600_302600_NS6detail15normal_iteratorINS9_10device_ptrIiEEEENSB_INSC_IjEEEESG_jNS9_4plusIvEENS9_8equal_toIvEEjEE10hipError_tPvRmT2_T3_T4_T5_mT6_T7_P12ihipStream_tbENKUlT_T0_E_clISt17integral_constantIbLb1EES11_EEDaSW_SX_EUlSW_E_NS1_11comp_targetILNS1_3genE10ELNS1_11target_archE1201ELNS1_3gpuE5ELNS1_3repE0EEENS1_30default_config_static_selectorELNS0_4arch9wavefront6targetE1EEEvT1_,comdat
	.protected	_ZN7rocprim17ROCPRIM_400000_NS6detail17trampoline_kernelINS0_14default_configENS1_27scan_by_key_config_selectorIijEEZZNS1_16scan_by_key_implILNS1_25lookback_scan_determinismE0ELb1ES3_N6thrust23THRUST_200600_302600_NS6detail15normal_iteratorINS9_10device_ptrIiEEEENSB_INSC_IjEEEESG_jNS9_4plusIvEENS9_8equal_toIvEEjEE10hipError_tPvRmT2_T3_T4_T5_mT6_T7_P12ihipStream_tbENKUlT_T0_E_clISt17integral_constantIbLb1EES11_EEDaSW_SX_EUlSW_E_NS1_11comp_targetILNS1_3genE10ELNS1_11target_archE1201ELNS1_3gpuE5ELNS1_3repE0EEENS1_30default_config_static_selectorELNS0_4arch9wavefront6targetE1EEEvT1_ ; -- Begin function _ZN7rocprim17ROCPRIM_400000_NS6detail17trampoline_kernelINS0_14default_configENS1_27scan_by_key_config_selectorIijEEZZNS1_16scan_by_key_implILNS1_25lookback_scan_determinismE0ELb1ES3_N6thrust23THRUST_200600_302600_NS6detail15normal_iteratorINS9_10device_ptrIiEEEENSB_INSC_IjEEEESG_jNS9_4plusIvEENS9_8equal_toIvEEjEE10hipError_tPvRmT2_T3_T4_T5_mT6_T7_P12ihipStream_tbENKUlT_T0_E_clISt17integral_constantIbLb1EES11_EEDaSW_SX_EUlSW_E_NS1_11comp_targetILNS1_3genE10ELNS1_11target_archE1201ELNS1_3gpuE5ELNS1_3repE0EEENS1_30default_config_static_selectorELNS0_4arch9wavefront6targetE1EEEvT1_
	.globl	_ZN7rocprim17ROCPRIM_400000_NS6detail17trampoline_kernelINS0_14default_configENS1_27scan_by_key_config_selectorIijEEZZNS1_16scan_by_key_implILNS1_25lookback_scan_determinismE0ELb1ES3_N6thrust23THRUST_200600_302600_NS6detail15normal_iteratorINS9_10device_ptrIiEEEENSB_INSC_IjEEEESG_jNS9_4plusIvEENS9_8equal_toIvEEjEE10hipError_tPvRmT2_T3_T4_T5_mT6_T7_P12ihipStream_tbENKUlT_T0_E_clISt17integral_constantIbLb1EES11_EEDaSW_SX_EUlSW_E_NS1_11comp_targetILNS1_3genE10ELNS1_11target_archE1201ELNS1_3gpuE5ELNS1_3repE0EEENS1_30default_config_static_selectorELNS0_4arch9wavefront6targetE1EEEvT1_
	.p2align	8
	.type	_ZN7rocprim17ROCPRIM_400000_NS6detail17trampoline_kernelINS0_14default_configENS1_27scan_by_key_config_selectorIijEEZZNS1_16scan_by_key_implILNS1_25lookback_scan_determinismE0ELb1ES3_N6thrust23THRUST_200600_302600_NS6detail15normal_iteratorINS9_10device_ptrIiEEEENSB_INSC_IjEEEESG_jNS9_4plusIvEENS9_8equal_toIvEEjEE10hipError_tPvRmT2_T3_T4_T5_mT6_T7_P12ihipStream_tbENKUlT_T0_E_clISt17integral_constantIbLb1EES11_EEDaSW_SX_EUlSW_E_NS1_11comp_targetILNS1_3genE10ELNS1_11target_archE1201ELNS1_3gpuE5ELNS1_3repE0EEENS1_30default_config_static_selectorELNS0_4arch9wavefront6targetE1EEEvT1_,@function
_ZN7rocprim17ROCPRIM_400000_NS6detail17trampoline_kernelINS0_14default_configENS1_27scan_by_key_config_selectorIijEEZZNS1_16scan_by_key_implILNS1_25lookback_scan_determinismE0ELb1ES3_N6thrust23THRUST_200600_302600_NS6detail15normal_iteratorINS9_10device_ptrIiEEEENSB_INSC_IjEEEESG_jNS9_4plusIvEENS9_8equal_toIvEEjEE10hipError_tPvRmT2_T3_T4_T5_mT6_T7_P12ihipStream_tbENKUlT_T0_E_clISt17integral_constantIbLb1EES11_EEDaSW_SX_EUlSW_E_NS1_11comp_targetILNS1_3genE10ELNS1_11target_archE1201ELNS1_3gpuE5ELNS1_3repE0EEENS1_30default_config_static_selectorELNS0_4arch9wavefront6targetE1EEEvT1_: ; @_ZN7rocprim17ROCPRIM_400000_NS6detail17trampoline_kernelINS0_14default_configENS1_27scan_by_key_config_selectorIijEEZZNS1_16scan_by_key_implILNS1_25lookback_scan_determinismE0ELb1ES3_N6thrust23THRUST_200600_302600_NS6detail15normal_iteratorINS9_10device_ptrIiEEEENSB_INSC_IjEEEESG_jNS9_4plusIvEENS9_8equal_toIvEEjEE10hipError_tPvRmT2_T3_T4_T5_mT6_T7_P12ihipStream_tbENKUlT_T0_E_clISt17integral_constantIbLb1EES11_EEDaSW_SX_EUlSW_E_NS1_11comp_targetILNS1_3genE10ELNS1_11target_archE1201ELNS1_3gpuE5ELNS1_3repE0EEENS1_30default_config_static_selectorELNS0_4arch9wavefront6targetE1EEEvT1_
; %bb.0:
	.section	.rodata,"a",@progbits
	.p2align	6, 0x0
	.amdhsa_kernel _ZN7rocprim17ROCPRIM_400000_NS6detail17trampoline_kernelINS0_14default_configENS1_27scan_by_key_config_selectorIijEEZZNS1_16scan_by_key_implILNS1_25lookback_scan_determinismE0ELb1ES3_N6thrust23THRUST_200600_302600_NS6detail15normal_iteratorINS9_10device_ptrIiEEEENSB_INSC_IjEEEESG_jNS9_4plusIvEENS9_8equal_toIvEEjEE10hipError_tPvRmT2_T3_T4_T5_mT6_T7_P12ihipStream_tbENKUlT_T0_E_clISt17integral_constantIbLb1EES11_EEDaSW_SX_EUlSW_E_NS1_11comp_targetILNS1_3genE10ELNS1_11target_archE1201ELNS1_3gpuE5ELNS1_3repE0EEENS1_30default_config_static_selectorELNS0_4arch9wavefront6targetE1EEEvT1_
		.amdhsa_group_segment_fixed_size 0
		.amdhsa_private_segment_fixed_size 0
		.amdhsa_kernarg_size 112
		.amdhsa_user_sgpr_count 6
		.amdhsa_user_sgpr_private_segment_buffer 1
		.amdhsa_user_sgpr_dispatch_ptr 0
		.amdhsa_user_sgpr_queue_ptr 0
		.amdhsa_user_sgpr_kernarg_segment_ptr 1
		.amdhsa_user_sgpr_dispatch_id 0
		.amdhsa_user_sgpr_flat_scratch_init 0
		.amdhsa_user_sgpr_kernarg_preload_length 0
		.amdhsa_user_sgpr_kernarg_preload_offset 0
		.amdhsa_user_sgpr_private_segment_size 0
		.amdhsa_uses_dynamic_stack 0
		.amdhsa_system_sgpr_private_segment_wavefront_offset 0
		.amdhsa_system_sgpr_workgroup_id_x 1
		.amdhsa_system_sgpr_workgroup_id_y 0
		.amdhsa_system_sgpr_workgroup_id_z 0
		.amdhsa_system_sgpr_workgroup_info 0
		.amdhsa_system_vgpr_workitem_id 0
		.amdhsa_next_free_vgpr 1
		.amdhsa_next_free_sgpr 0
		.amdhsa_accum_offset 4
		.amdhsa_reserve_vcc 0
		.amdhsa_reserve_flat_scratch 0
		.amdhsa_float_round_mode_32 0
		.amdhsa_float_round_mode_16_64 0
		.amdhsa_float_denorm_mode_32 3
		.amdhsa_float_denorm_mode_16_64 3
		.amdhsa_dx10_clamp 1
		.amdhsa_ieee_mode 1
		.amdhsa_fp16_overflow 0
		.amdhsa_tg_split 0
		.amdhsa_exception_fp_ieee_invalid_op 0
		.amdhsa_exception_fp_denorm_src 0
		.amdhsa_exception_fp_ieee_div_zero 0
		.amdhsa_exception_fp_ieee_overflow 0
		.amdhsa_exception_fp_ieee_underflow 0
		.amdhsa_exception_fp_ieee_inexact 0
		.amdhsa_exception_int_div_zero 0
	.end_amdhsa_kernel
	.section	.text._ZN7rocprim17ROCPRIM_400000_NS6detail17trampoline_kernelINS0_14default_configENS1_27scan_by_key_config_selectorIijEEZZNS1_16scan_by_key_implILNS1_25lookback_scan_determinismE0ELb1ES3_N6thrust23THRUST_200600_302600_NS6detail15normal_iteratorINS9_10device_ptrIiEEEENSB_INSC_IjEEEESG_jNS9_4plusIvEENS9_8equal_toIvEEjEE10hipError_tPvRmT2_T3_T4_T5_mT6_T7_P12ihipStream_tbENKUlT_T0_E_clISt17integral_constantIbLb1EES11_EEDaSW_SX_EUlSW_E_NS1_11comp_targetILNS1_3genE10ELNS1_11target_archE1201ELNS1_3gpuE5ELNS1_3repE0EEENS1_30default_config_static_selectorELNS0_4arch9wavefront6targetE1EEEvT1_,"axG",@progbits,_ZN7rocprim17ROCPRIM_400000_NS6detail17trampoline_kernelINS0_14default_configENS1_27scan_by_key_config_selectorIijEEZZNS1_16scan_by_key_implILNS1_25lookback_scan_determinismE0ELb1ES3_N6thrust23THRUST_200600_302600_NS6detail15normal_iteratorINS9_10device_ptrIiEEEENSB_INSC_IjEEEESG_jNS9_4plusIvEENS9_8equal_toIvEEjEE10hipError_tPvRmT2_T3_T4_T5_mT6_T7_P12ihipStream_tbENKUlT_T0_E_clISt17integral_constantIbLb1EES11_EEDaSW_SX_EUlSW_E_NS1_11comp_targetILNS1_3genE10ELNS1_11target_archE1201ELNS1_3gpuE5ELNS1_3repE0EEENS1_30default_config_static_selectorELNS0_4arch9wavefront6targetE1EEEvT1_,comdat
.Lfunc_end1509:
	.size	_ZN7rocprim17ROCPRIM_400000_NS6detail17trampoline_kernelINS0_14default_configENS1_27scan_by_key_config_selectorIijEEZZNS1_16scan_by_key_implILNS1_25lookback_scan_determinismE0ELb1ES3_N6thrust23THRUST_200600_302600_NS6detail15normal_iteratorINS9_10device_ptrIiEEEENSB_INSC_IjEEEESG_jNS9_4plusIvEENS9_8equal_toIvEEjEE10hipError_tPvRmT2_T3_T4_T5_mT6_T7_P12ihipStream_tbENKUlT_T0_E_clISt17integral_constantIbLb1EES11_EEDaSW_SX_EUlSW_E_NS1_11comp_targetILNS1_3genE10ELNS1_11target_archE1201ELNS1_3gpuE5ELNS1_3repE0EEENS1_30default_config_static_selectorELNS0_4arch9wavefront6targetE1EEEvT1_, .Lfunc_end1509-_ZN7rocprim17ROCPRIM_400000_NS6detail17trampoline_kernelINS0_14default_configENS1_27scan_by_key_config_selectorIijEEZZNS1_16scan_by_key_implILNS1_25lookback_scan_determinismE0ELb1ES3_N6thrust23THRUST_200600_302600_NS6detail15normal_iteratorINS9_10device_ptrIiEEEENSB_INSC_IjEEEESG_jNS9_4plusIvEENS9_8equal_toIvEEjEE10hipError_tPvRmT2_T3_T4_T5_mT6_T7_P12ihipStream_tbENKUlT_T0_E_clISt17integral_constantIbLb1EES11_EEDaSW_SX_EUlSW_E_NS1_11comp_targetILNS1_3genE10ELNS1_11target_archE1201ELNS1_3gpuE5ELNS1_3repE0EEENS1_30default_config_static_selectorELNS0_4arch9wavefront6targetE1EEEvT1_
                                        ; -- End function
	.section	.AMDGPU.csdata,"",@progbits
; Kernel info:
; codeLenInByte = 0
; NumSgprs: 4
; NumVgprs: 0
; NumAgprs: 0
; TotalNumVgprs: 0
; ScratchSize: 0
; MemoryBound: 0
; FloatMode: 240
; IeeeMode: 1
; LDSByteSize: 0 bytes/workgroup (compile time only)
; SGPRBlocks: 0
; VGPRBlocks: 0
; NumSGPRsForWavesPerEU: 4
; NumVGPRsForWavesPerEU: 1
; AccumOffset: 4
; Occupancy: 8
; WaveLimiterHint : 0
; COMPUTE_PGM_RSRC2:SCRATCH_EN: 0
; COMPUTE_PGM_RSRC2:USER_SGPR: 6
; COMPUTE_PGM_RSRC2:TRAP_HANDLER: 0
; COMPUTE_PGM_RSRC2:TGID_X_EN: 1
; COMPUTE_PGM_RSRC2:TGID_Y_EN: 0
; COMPUTE_PGM_RSRC2:TGID_Z_EN: 0
; COMPUTE_PGM_RSRC2:TIDIG_COMP_CNT: 0
; COMPUTE_PGM_RSRC3_GFX90A:ACCUM_OFFSET: 0
; COMPUTE_PGM_RSRC3_GFX90A:TG_SPLIT: 0
	.section	.text._ZN7rocprim17ROCPRIM_400000_NS6detail17trampoline_kernelINS0_14default_configENS1_27scan_by_key_config_selectorIijEEZZNS1_16scan_by_key_implILNS1_25lookback_scan_determinismE0ELb1ES3_N6thrust23THRUST_200600_302600_NS6detail15normal_iteratorINS9_10device_ptrIiEEEENSB_INSC_IjEEEESG_jNS9_4plusIvEENS9_8equal_toIvEEjEE10hipError_tPvRmT2_T3_T4_T5_mT6_T7_P12ihipStream_tbENKUlT_T0_E_clISt17integral_constantIbLb1EES11_EEDaSW_SX_EUlSW_E_NS1_11comp_targetILNS1_3genE5ELNS1_11target_archE942ELNS1_3gpuE9ELNS1_3repE0EEENS1_30default_config_static_selectorELNS0_4arch9wavefront6targetE1EEEvT1_,"axG",@progbits,_ZN7rocprim17ROCPRIM_400000_NS6detail17trampoline_kernelINS0_14default_configENS1_27scan_by_key_config_selectorIijEEZZNS1_16scan_by_key_implILNS1_25lookback_scan_determinismE0ELb1ES3_N6thrust23THRUST_200600_302600_NS6detail15normal_iteratorINS9_10device_ptrIiEEEENSB_INSC_IjEEEESG_jNS9_4plusIvEENS9_8equal_toIvEEjEE10hipError_tPvRmT2_T3_T4_T5_mT6_T7_P12ihipStream_tbENKUlT_T0_E_clISt17integral_constantIbLb1EES11_EEDaSW_SX_EUlSW_E_NS1_11comp_targetILNS1_3genE5ELNS1_11target_archE942ELNS1_3gpuE9ELNS1_3repE0EEENS1_30default_config_static_selectorELNS0_4arch9wavefront6targetE1EEEvT1_,comdat
	.protected	_ZN7rocprim17ROCPRIM_400000_NS6detail17trampoline_kernelINS0_14default_configENS1_27scan_by_key_config_selectorIijEEZZNS1_16scan_by_key_implILNS1_25lookback_scan_determinismE0ELb1ES3_N6thrust23THRUST_200600_302600_NS6detail15normal_iteratorINS9_10device_ptrIiEEEENSB_INSC_IjEEEESG_jNS9_4plusIvEENS9_8equal_toIvEEjEE10hipError_tPvRmT2_T3_T4_T5_mT6_T7_P12ihipStream_tbENKUlT_T0_E_clISt17integral_constantIbLb1EES11_EEDaSW_SX_EUlSW_E_NS1_11comp_targetILNS1_3genE5ELNS1_11target_archE942ELNS1_3gpuE9ELNS1_3repE0EEENS1_30default_config_static_selectorELNS0_4arch9wavefront6targetE1EEEvT1_ ; -- Begin function _ZN7rocprim17ROCPRIM_400000_NS6detail17trampoline_kernelINS0_14default_configENS1_27scan_by_key_config_selectorIijEEZZNS1_16scan_by_key_implILNS1_25lookback_scan_determinismE0ELb1ES3_N6thrust23THRUST_200600_302600_NS6detail15normal_iteratorINS9_10device_ptrIiEEEENSB_INSC_IjEEEESG_jNS9_4plusIvEENS9_8equal_toIvEEjEE10hipError_tPvRmT2_T3_T4_T5_mT6_T7_P12ihipStream_tbENKUlT_T0_E_clISt17integral_constantIbLb1EES11_EEDaSW_SX_EUlSW_E_NS1_11comp_targetILNS1_3genE5ELNS1_11target_archE942ELNS1_3gpuE9ELNS1_3repE0EEENS1_30default_config_static_selectorELNS0_4arch9wavefront6targetE1EEEvT1_
	.globl	_ZN7rocprim17ROCPRIM_400000_NS6detail17trampoline_kernelINS0_14default_configENS1_27scan_by_key_config_selectorIijEEZZNS1_16scan_by_key_implILNS1_25lookback_scan_determinismE0ELb1ES3_N6thrust23THRUST_200600_302600_NS6detail15normal_iteratorINS9_10device_ptrIiEEEENSB_INSC_IjEEEESG_jNS9_4plusIvEENS9_8equal_toIvEEjEE10hipError_tPvRmT2_T3_T4_T5_mT6_T7_P12ihipStream_tbENKUlT_T0_E_clISt17integral_constantIbLb1EES11_EEDaSW_SX_EUlSW_E_NS1_11comp_targetILNS1_3genE5ELNS1_11target_archE942ELNS1_3gpuE9ELNS1_3repE0EEENS1_30default_config_static_selectorELNS0_4arch9wavefront6targetE1EEEvT1_
	.p2align	8
	.type	_ZN7rocprim17ROCPRIM_400000_NS6detail17trampoline_kernelINS0_14default_configENS1_27scan_by_key_config_selectorIijEEZZNS1_16scan_by_key_implILNS1_25lookback_scan_determinismE0ELb1ES3_N6thrust23THRUST_200600_302600_NS6detail15normal_iteratorINS9_10device_ptrIiEEEENSB_INSC_IjEEEESG_jNS9_4plusIvEENS9_8equal_toIvEEjEE10hipError_tPvRmT2_T3_T4_T5_mT6_T7_P12ihipStream_tbENKUlT_T0_E_clISt17integral_constantIbLb1EES11_EEDaSW_SX_EUlSW_E_NS1_11comp_targetILNS1_3genE5ELNS1_11target_archE942ELNS1_3gpuE9ELNS1_3repE0EEENS1_30default_config_static_selectorELNS0_4arch9wavefront6targetE1EEEvT1_,@function
_ZN7rocprim17ROCPRIM_400000_NS6detail17trampoline_kernelINS0_14default_configENS1_27scan_by_key_config_selectorIijEEZZNS1_16scan_by_key_implILNS1_25lookback_scan_determinismE0ELb1ES3_N6thrust23THRUST_200600_302600_NS6detail15normal_iteratorINS9_10device_ptrIiEEEENSB_INSC_IjEEEESG_jNS9_4plusIvEENS9_8equal_toIvEEjEE10hipError_tPvRmT2_T3_T4_T5_mT6_T7_P12ihipStream_tbENKUlT_T0_E_clISt17integral_constantIbLb1EES11_EEDaSW_SX_EUlSW_E_NS1_11comp_targetILNS1_3genE5ELNS1_11target_archE942ELNS1_3gpuE9ELNS1_3repE0EEENS1_30default_config_static_selectorELNS0_4arch9wavefront6targetE1EEEvT1_: ; @_ZN7rocprim17ROCPRIM_400000_NS6detail17trampoline_kernelINS0_14default_configENS1_27scan_by_key_config_selectorIijEEZZNS1_16scan_by_key_implILNS1_25lookback_scan_determinismE0ELb1ES3_N6thrust23THRUST_200600_302600_NS6detail15normal_iteratorINS9_10device_ptrIiEEEENSB_INSC_IjEEEESG_jNS9_4plusIvEENS9_8equal_toIvEEjEE10hipError_tPvRmT2_T3_T4_T5_mT6_T7_P12ihipStream_tbENKUlT_T0_E_clISt17integral_constantIbLb1EES11_EEDaSW_SX_EUlSW_E_NS1_11comp_targetILNS1_3genE5ELNS1_11target_archE942ELNS1_3gpuE9ELNS1_3repE0EEENS1_30default_config_static_selectorELNS0_4arch9wavefront6targetE1EEEvT1_
; %bb.0:
	.section	.rodata,"a",@progbits
	.p2align	6, 0x0
	.amdhsa_kernel _ZN7rocprim17ROCPRIM_400000_NS6detail17trampoline_kernelINS0_14default_configENS1_27scan_by_key_config_selectorIijEEZZNS1_16scan_by_key_implILNS1_25lookback_scan_determinismE0ELb1ES3_N6thrust23THRUST_200600_302600_NS6detail15normal_iteratorINS9_10device_ptrIiEEEENSB_INSC_IjEEEESG_jNS9_4plusIvEENS9_8equal_toIvEEjEE10hipError_tPvRmT2_T3_T4_T5_mT6_T7_P12ihipStream_tbENKUlT_T0_E_clISt17integral_constantIbLb1EES11_EEDaSW_SX_EUlSW_E_NS1_11comp_targetILNS1_3genE5ELNS1_11target_archE942ELNS1_3gpuE9ELNS1_3repE0EEENS1_30default_config_static_selectorELNS0_4arch9wavefront6targetE1EEEvT1_
		.amdhsa_group_segment_fixed_size 0
		.amdhsa_private_segment_fixed_size 0
		.amdhsa_kernarg_size 112
		.amdhsa_user_sgpr_count 6
		.amdhsa_user_sgpr_private_segment_buffer 1
		.amdhsa_user_sgpr_dispatch_ptr 0
		.amdhsa_user_sgpr_queue_ptr 0
		.amdhsa_user_sgpr_kernarg_segment_ptr 1
		.amdhsa_user_sgpr_dispatch_id 0
		.amdhsa_user_sgpr_flat_scratch_init 0
		.amdhsa_user_sgpr_kernarg_preload_length 0
		.amdhsa_user_sgpr_kernarg_preload_offset 0
		.amdhsa_user_sgpr_private_segment_size 0
		.amdhsa_uses_dynamic_stack 0
		.amdhsa_system_sgpr_private_segment_wavefront_offset 0
		.amdhsa_system_sgpr_workgroup_id_x 1
		.amdhsa_system_sgpr_workgroup_id_y 0
		.amdhsa_system_sgpr_workgroup_id_z 0
		.amdhsa_system_sgpr_workgroup_info 0
		.amdhsa_system_vgpr_workitem_id 0
		.amdhsa_next_free_vgpr 1
		.amdhsa_next_free_sgpr 0
		.amdhsa_accum_offset 4
		.amdhsa_reserve_vcc 0
		.amdhsa_reserve_flat_scratch 0
		.amdhsa_float_round_mode_32 0
		.amdhsa_float_round_mode_16_64 0
		.amdhsa_float_denorm_mode_32 3
		.amdhsa_float_denorm_mode_16_64 3
		.amdhsa_dx10_clamp 1
		.amdhsa_ieee_mode 1
		.amdhsa_fp16_overflow 0
		.amdhsa_tg_split 0
		.amdhsa_exception_fp_ieee_invalid_op 0
		.amdhsa_exception_fp_denorm_src 0
		.amdhsa_exception_fp_ieee_div_zero 0
		.amdhsa_exception_fp_ieee_overflow 0
		.amdhsa_exception_fp_ieee_underflow 0
		.amdhsa_exception_fp_ieee_inexact 0
		.amdhsa_exception_int_div_zero 0
	.end_amdhsa_kernel
	.section	.text._ZN7rocprim17ROCPRIM_400000_NS6detail17trampoline_kernelINS0_14default_configENS1_27scan_by_key_config_selectorIijEEZZNS1_16scan_by_key_implILNS1_25lookback_scan_determinismE0ELb1ES3_N6thrust23THRUST_200600_302600_NS6detail15normal_iteratorINS9_10device_ptrIiEEEENSB_INSC_IjEEEESG_jNS9_4plusIvEENS9_8equal_toIvEEjEE10hipError_tPvRmT2_T3_T4_T5_mT6_T7_P12ihipStream_tbENKUlT_T0_E_clISt17integral_constantIbLb1EES11_EEDaSW_SX_EUlSW_E_NS1_11comp_targetILNS1_3genE5ELNS1_11target_archE942ELNS1_3gpuE9ELNS1_3repE0EEENS1_30default_config_static_selectorELNS0_4arch9wavefront6targetE1EEEvT1_,"axG",@progbits,_ZN7rocprim17ROCPRIM_400000_NS6detail17trampoline_kernelINS0_14default_configENS1_27scan_by_key_config_selectorIijEEZZNS1_16scan_by_key_implILNS1_25lookback_scan_determinismE0ELb1ES3_N6thrust23THRUST_200600_302600_NS6detail15normal_iteratorINS9_10device_ptrIiEEEENSB_INSC_IjEEEESG_jNS9_4plusIvEENS9_8equal_toIvEEjEE10hipError_tPvRmT2_T3_T4_T5_mT6_T7_P12ihipStream_tbENKUlT_T0_E_clISt17integral_constantIbLb1EES11_EEDaSW_SX_EUlSW_E_NS1_11comp_targetILNS1_3genE5ELNS1_11target_archE942ELNS1_3gpuE9ELNS1_3repE0EEENS1_30default_config_static_selectorELNS0_4arch9wavefront6targetE1EEEvT1_,comdat
.Lfunc_end1510:
	.size	_ZN7rocprim17ROCPRIM_400000_NS6detail17trampoline_kernelINS0_14default_configENS1_27scan_by_key_config_selectorIijEEZZNS1_16scan_by_key_implILNS1_25lookback_scan_determinismE0ELb1ES3_N6thrust23THRUST_200600_302600_NS6detail15normal_iteratorINS9_10device_ptrIiEEEENSB_INSC_IjEEEESG_jNS9_4plusIvEENS9_8equal_toIvEEjEE10hipError_tPvRmT2_T3_T4_T5_mT6_T7_P12ihipStream_tbENKUlT_T0_E_clISt17integral_constantIbLb1EES11_EEDaSW_SX_EUlSW_E_NS1_11comp_targetILNS1_3genE5ELNS1_11target_archE942ELNS1_3gpuE9ELNS1_3repE0EEENS1_30default_config_static_selectorELNS0_4arch9wavefront6targetE1EEEvT1_, .Lfunc_end1510-_ZN7rocprim17ROCPRIM_400000_NS6detail17trampoline_kernelINS0_14default_configENS1_27scan_by_key_config_selectorIijEEZZNS1_16scan_by_key_implILNS1_25lookback_scan_determinismE0ELb1ES3_N6thrust23THRUST_200600_302600_NS6detail15normal_iteratorINS9_10device_ptrIiEEEENSB_INSC_IjEEEESG_jNS9_4plusIvEENS9_8equal_toIvEEjEE10hipError_tPvRmT2_T3_T4_T5_mT6_T7_P12ihipStream_tbENKUlT_T0_E_clISt17integral_constantIbLb1EES11_EEDaSW_SX_EUlSW_E_NS1_11comp_targetILNS1_3genE5ELNS1_11target_archE942ELNS1_3gpuE9ELNS1_3repE0EEENS1_30default_config_static_selectorELNS0_4arch9wavefront6targetE1EEEvT1_
                                        ; -- End function
	.section	.AMDGPU.csdata,"",@progbits
; Kernel info:
; codeLenInByte = 0
; NumSgprs: 4
; NumVgprs: 0
; NumAgprs: 0
; TotalNumVgprs: 0
; ScratchSize: 0
; MemoryBound: 0
; FloatMode: 240
; IeeeMode: 1
; LDSByteSize: 0 bytes/workgroup (compile time only)
; SGPRBlocks: 0
; VGPRBlocks: 0
; NumSGPRsForWavesPerEU: 4
; NumVGPRsForWavesPerEU: 1
; AccumOffset: 4
; Occupancy: 8
; WaveLimiterHint : 0
; COMPUTE_PGM_RSRC2:SCRATCH_EN: 0
; COMPUTE_PGM_RSRC2:USER_SGPR: 6
; COMPUTE_PGM_RSRC2:TRAP_HANDLER: 0
; COMPUTE_PGM_RSRC2:TGID_X_EN: 1
; COMPUTE_PGM_RSRC2:TGID_Y_EN: 0
; COMPUTE_PGM_RSRC2:TGID_Z_EN: 0
; COMPUTE_PGM_RSRC2:TIDIG_COMP_CNT: 0
; COMPUTE_PGM_RSRC3_GFX90A:ACCUM_OFFSET: 0
; COMPUTE_PGM_RSRC3_GFX90A:TG_SPLIT: 0
	.section	.text._ZN7rocprim17ROCPRIM_400000_NS6detail17trampoline_kernelINS0_14default_configENS1_27scan_by_key_config_selectorIijEEZZNS1_16scan_by_key_implILNS1_25lookback_scan_determinismE0ELb1ES3_N6thrust23THRUST_200600_302600_NS6detail15normal_iteratorINS9_10device_ptrIiEEEENSB_INSC_IjEEEESG_jNS9_4plusIvEENS9_8equal_toIvEEjEE10hipError_tPvRmT2_T3_T4_T5_mT6_T7_P12ihipStream_tbENKUlT_T0_E_clISt17integral_constantIbLb1EES11_EEDaSW_SX_EUlSW_E_NS1_11comp_targetILNS1_3genE4ELNS1_11target_archE910ELNS1_3gpuE8ELNS1_3repE0EEENS1_30default_config_static_selectorELNS0_4arch9wavefront6targetE1EEEvT1_,"axG",@progbits,_ZN7rocprim17ROCPRIM_400000_NS6detail17trampoline_kernelINS0_14default_configENS1_27scan_by_key_config_selectorIijEEZZNS1_16scan_by_key_implILNS1_25lookback_scan_determinismE0ELb1ES3_N6thrust23THRUST_200600_302600_NS6detail15normal_iteratorINS9_10device_ptrIiEEEENSB_INSC_IjEEEESG_jNS9_4plusIvEENS9_8equal_toIvEEjEE10hipError_tPvRmT2_T3_T4_T5_mT6_T7_P12ihipStream_tbENKUlT_T0_E_clISt17integral_constantIbLb1EES11_EEDaSW_SX_EUlSW_E_NS1_11comp_targetILNS1_3genE4ELNS1_11target_archE910ELNS1_3gpuE8ELNS1_3repE0EEENS1_30default_config_static_selectorELNS0_4arch9wavefront6targetE1EEEvT1_,comdat
	.protected	_ZN7rocprim17ROCPRIM_400000_NS6detail17trampoline_kernelINS0_14default_configENS1_27scan_by_key_config_selectorIijEEZZNS1_16scan_by_key_implILNS1_25lookback_scan_determinismE0ELb1ES3_N6thrust23THRUST_200600_302600_NS6detail15normal_iteratorINS9_10device_ptrIiEEEENSB_INSC_IjEEEESG_jNS9_4plusIvEENS9_8equal_toIvEEjEE10hipError_tPvRmT2_T3_T4_T5_mT6_T7_P12ihipStream_tbENKUlT_T0_E_clISt17integral_constantIbLb1EES11_EEDaSW_SX_EUlSW_E_NS1_11comp_targetILNS1_3genE4ELNS1_11target_archE910ELNS1_3gpuE8ELNS1_3repE0EEENS1_30default_config_static_selectorELNS0_4arch9wavefront6targetE1EEEvT1_ ; -- Begin function _ZN7rocprim17ROCPRIM_400000_NS6detail17trampoline_kernelINS0_14default_configENS1_27scan_by_key_config_selectorIijEEZZNS1_16scan_by_key_implILNS1_25lookback_scan_determinismE0ELb1ES3_N6thrust23THRUST_200600_302600_NS6detail15normal_iteratorINS9_10device_ptrIiEEEENSB_INSC_IjEEEESG_jNS9_4plusIvEENS9_8equal_toIvEEjEE10hipError_tPvRmT2_T3_T4_T5_mT6_T7_P12ihipStream_tbENKUlT_T0_E_clISt17integral_constantIbLb1EES11_EEDaSW_SX_EUlSW_E_NS1_11comp_targetILNS1_3genE4ELNS1_11target_archE910ELNS1_3gpuE8ELNS1_3repE0EEENS1_30default_config_static_selectorELNS0_4arch9wavefront6targetE1EEEvT1_
	.globl	_ZN7rocprim17ROCPRIM_400000_NS6detail17trampoline_kernelINS0_14default_configENS1_27scan_by_key_config_selectorIijEEZZNS1_16scan_by_key_implILNS1_25lookback_scan_determinismE0ELb1ES3_N6thrust23THRUST_200600_302600_NS6detail15normal_iteratorINS9_10device_ptrIiEEEENSB_INSC_IjEEEESG_jNS9_4plusIvEENS9_8equal_toIvEEjEE10hipError_tPvRmT2_T3_T4_T5_mT6_T7_P12ihipStream_tbENKUlT_T0_E_clISt17integral_constantIbLb1EES11_EEDaSW_SX_EUlSW_E_NS1_11comp_targetILNS1_3genE4ELNS1_11target_archE910ELNS1_3gpuE8ELNS1_3repE0EEENS1_30default_config_static_selectorELNS0_4arch9wavefront6targetE1EEEvT1_
	.p2align	8
	.type	_ZN7rocprim17ROCPRIM_400000_NS6detail17trampoline_kernelINS0_14default_configENS1_27scan_by_key_config_selectorIijEEZZNS1_16scan_by_key_implILNS1_25lookback_scan_determinismE0ELb1ES3_N6thrust23THRUST_200600_302600_NS6detail15normal_iteratorINS9_10device_ptrIiEEEENSB_INSC_IjEEEESG_jNS9_4plusIvEENS9_8equal_toIvEEjEE10hipError_tPvRmT2_T3_T4_T5_mT6_T7_P12ihipStream_tbENKUlT_T0_E_clISt17integral_constantIbLb1EES11_EEDaSW_SX_EUlSW_E_NS1_11comp_targetILNS1_3genE4ELNS1_11target_archE910ELNS1_3gpuE8ELNS1_3repE0EEENS1_30default_config_static_selectorELNS0_4arch9wavefront6targetE1EEEvT1_,@function
_ZN7rocprim17ROCPRIM_400000_NS6detail17trampoline_kernelINS0_14default_configENS1_27scan_by_key_config_selectorIijEEZZNS1_16scan_by_key_implILNS1_25lookback_scan_determinismE0ELb1ES3_N6thrust23THRUST_200600_302600_NS6detail15normal_iteratorINS9_10device_ptrIiEEEENSB_INSC_IjEEEESG_jNS9_4plusIvEENS9_8equal_toIvEEjEE10hipError_tPvRmT2_T3_T4_T5_mT6_T7_P12ihipStream_tbENKUlT_T0_E_clISt17integral_constantIbLb1EES11_EEDaSW_SX_EUlSW_E_NS1_11comp_targetILNS1_3genE4ELNS1_11target_archE910ELNS1_3gpuE8ELNS1_3repE0EEENS1_30default_config_static_selectorELNS0_4arch9wavefront6targetE1EEEvT1_: ; @_ZN7rocprim17ROCPRIM_400000_NS6detail17trampoline_kernelINS0_14default_configENS1_27scan_by_key_config_selectorIijEEZZNS1_16scan_by_key_implILNS1_25lookback_scan_determinismE0ELb1ES3_N6thrust23THRUST_200600_302600_NS6detail15normal_iteratorINS9_10device_ptrIiEEEENSB_INSC_IjEEEESG_jNS9_4plusIvEENS9_8equal_toIvEEjEE10hipError_tPvRmT2_T3_T4_T5_mT6_T7_P12ihipStream_tbENKUlT_T0_E_clISt17integral_constantIbLb1EES11_EEDaSW_SX_EUlSW_E_NS1_11comp_targetILNS1_3genE4ELNS1_11target_archE910ELNS1_3gpuE8ELNS1_3repE0EEENS1_30default_config_static_selectorELNS0_4arch9wavefront6targetE1EEEvT1_
; %bb.0:
	s_load_dword s54, s[4:5], 0x20
	s_load_dwordx4 s[44:47], s[4:5], 0x28
	s_load_dwordx2 s[52:53], s[4:5], 0x38
	v_cmp_eq_u32_e64 s[0:1], 0, v0
	s_and_saveexec_b64 s[2:3], s[0:1]
	s_cbranch_execz .LBB1511_4
; %bb.1:
	s_mov_b64 s[8:9], exec
	v_mbcnt_lo_u32_b32 v1, s8, 0
	v_mbcnt_hi_u32_b32 v1, s9, v1
	v_cmp_eq_u32_e32 vcc, 0, v1
                                        ; implicit-def: $vgpr2
	s_and_saveexec_b64 s[6:7], vcc
	s_cbranch_execz .LBB1511_3
; %bb.2:
	s_load_dwordx2 s[10:11], s[4:5], 0x68
	s_bcnt1_i32_b64 s8, s[8:9]
	v_mov_b32_e32 v2, 0
	v_mov_b32_e32 v3, s8
	s_waitcnt lgkmcnt(0)
	global_atomic_add v2, v2, v3, s[10:11] glc
.LBB1511_3:
	s_or_b64 exec, exec, s[6:7]
	s_waitcnt vmcnt(0)
	v_readfirstlane_b32 s6, v2
	v_add_u32_e32 v1, s6, v1
	v_mov_b32_e32 v2, 0
	ds_write_b32 v2, v1
.LBB1511_4:
	s_or_b64 exec, exec, s[2:3]
	s_load_dwordx8 s[36:43], s[4:5], 0x0
	s_load_dword s2, s[4:5], 0x40
	s_load_dwordx4 s[48:51], s[4:5], 0x48
	v_mov_b32_e32 v3, 0
	s_waitcnt lgkmcnt(0)
	s_lshl_b64 s[34:35], s[38:39], 2
	s_barrier
	ds_read_b32 v4, v3
	s_add_u32 s3, s36, s34
	s_addc_u32 s4, s37, s35
	s_add_u32 s5, s40, s34
	s_mul_i32 s7, s53, s2
	s_mul_hi_u32 s8, s52, s2
	s_addc_u32 s6, s41, s35
	s_add_i32 s7, s8, s7
	s_movk_i32 s8, 0xe00
	s_waitcnt lgkmcnt(0)
	v_mul_lo_u32 v2, v4, s8
	v_lshlrev_b64 v[38:39], 2, v[2:3]
	v_mov_b32_e32 v1, s4
	v_add_co_u32_e32 v42, vcc, s3, v38
	v_addc_co_u32_e32 v43, vcc, v1, v39, vcc
	v_mov_b32_e32 v2, s6
	v_add_co_u32_e32 v1, vcc, s5, v38
	s_mul_i32 s2, s52, s2
	v_addc_co_u32_e32 v48, vcc, v2, v39, vcc
	v_mov_b32_e32 v3, s7
	v_add_co_u32_e32 v2, vcc, s2, v4
	s_add_u32 s4, s48, -1
	v_addc_co_u32_e32 v3, vcc, 0, v3, vcc
	s_addc_u32 s5, s49, -1
	v_cmp_le_u64_e64 s[2:3], s[4:5], v[2:3]
	v_readfirstlane_b32 s47, v4
	s_mov_b64 s[12:13], -1
	s_and_b64 vcc, exec, s[2:3]
	s_mul_i32 s33, s4, 0xfffff200
	s_barrier
	s_barrier
	s_cbranch_vccz .LBB1511_80
; %bb.5:
	flat_load_dword v13, v[42:43]
	s_add_i32 s40, s33, s46
	v_cmp_gt_u32_e32 vcc, s40, v0
	s_waitcnt vmcnt(0) lgkmcnt(0)
	v_mov_b32_e32 v14, v13
	s_and_saveexec_b64 s[6:7], vcc
	s_cbranch_execz .LBB1511_7
; %bb.6:
	v_lshlrev_b32_e32 v2, 2, v0
	v_add_co_u32_e64 v2, s[4:5], v42, v2
	v_addc_co_u32_e64 v3, s[4:5], 0, v43, s[4:5]
	flat_load_dword v14, v[2:3]
.LBB1511_7:
	s_or_b64 exec, exec, s[6:7]
	v_or_b32_e32 v2, 0x100, v0
	v_cmp_gt_u32_e64 s[4:5], s40, v2
	v_mov_b32_e32 v15, v13
	s_and_saveexec_b64 s[8:9], s[4:5]
	s_cbranch_execz .LBB1511_9
; %bb.8:
	v_lshlrev_b32_e32 v2, 2, v0
	v_add_co_u32_e64 v2, s[6:7], v42, v2
	v_addc_co_u32_e64 v3, s[6:7], 0, v43, s[6:7]
	flat_load_dword v15, v[2:3] offset:1024
.LBB1511_9:
	s_or_b64 exec, exec, s[8:9]
	v_or_b32_e32 v2, 0x200, v0
	v_cmp_gt_u32_e64 s[6:7], s40, v2
	v_mov_b32_e32 v16, v13
	s_and_saveexec_b64 s[10:11], s[6:7]
	s_cbranch_execz .LBB1511_11
; %bb.10:
	v_lshlrev_b32_e32 v2, 2, v0
	v_add_co_u32_e64 v2, s[8:9], v42, v2
	v_addc_co_u32_e64 v3, s[8:9], 0, v43, s[8:9]
	flat_load_dword v16, v[2:3] offset:2048
.LBB1511_11:
	;; [unrolled: 12-line block ×3, first 2 shown]
	s_or_b64 exec, exec, s[12:13]
	v_or_b32_e32 v2, 0x400, v0
	v_cmp_gt_u32_e64 s[10:11], s40, v2
	v_mov_b32_e32 v18, v13
	s_and_saveexec_b64 s[14:15], s[10:11]
	s_cbranch_execz .LBB1511_15
; %bb.14:
	v_lshlrev_b32_e32 v3, 2, v2
	v_add_co_u32_e64 v4, s[12:13], v42, v3
	v_addc_co_u32_e64 v5, s[12:13], 0, v43, s[12:13]
	flat_load_dword v18, v[4:5]
.LBB1511_15:
	s_or_b64 exec, exec, s[14:15]
	v_or_b32_e32 v3, 0x500, v0
	v_cmp_gt_u32_e64 s[12:13], s40, v3
	v_mov_b32_e32 v19, v13
	s_and_saveexec_b64 s[16:17], s[12:13]
	s_cbranch_execz .LBB1511_17
; %bb.16:
	v_lshlrev_b32_e32 v4, 2, v3
	v_add_co_u32_e64 v4, s[14:15], v42, v4
	v_addc_co_u32_e64 v5, s[14:15], 0, v43, s[14:15]
	flat_load_dword v19, v[4:5]
.LBB1511_17:
	;; [unrolled: 12-line block ×9, first 2 shown]
	s_or_b64 exec, exec, s[30:31]
	v_or_b32_e32 v11, 0xd00, v0
	v_cmp_gt_u32_e64 s[28:29], s40, v11
	s_and_saveexec_b64 s[36:37], s[28:29]
	s_cbranch_execz .LBB1511_33
; %bb.32:
	v_lshlrev_b32_e32 v12, 2, v11
	v_add_co_u32_e64 v12, s[30:31], v42, v12
	v_addc_co_u32_e64 v13, s[30:31], 0, v43, s[30:31]
	flat_load_dword v13, v[12:13]
.LBB1511_33:
	s_or_b64 exec, exec, s[36:37]
	v_lshlrev_b32_e32 v12, 2, v0
	s_waitcnt vmcnt(0) lgkmcnt(0)
	ds_write2st64_b32 v12, v14, v15 offset1:4
	ds_write2st64_b32 v12, v16, v17 offset0:8 offset1:12
	ds_write2st64_b32 v12, v18, v19 offset0:16 offset1:20
	;; [unrolled: 1-line block ×6, first 2 shown]
	s_waitcnt lgkmcnt(0)
	s_barrier
	flat_load_dword v49, v[42:43]
	v_mad_u32_u24 v50, v0, 52, v12
	s_movk_i32 s30, 0xffcc
	ds_read2_b64 v[34:37], v50 offset1:1
	ds_read2_b64 v[30:33], v50 offset0:2 offset1:3
	ds_read2_b64 v[26:29], v50 offset0:4 offset1:5
	ds_read_b64 v[44:45], v50 offset:48
	v_mad_i32_i24 v13, v0, s30, v50
	s_movk_i32 s30, 0xff
	v_cmp_ne_u32_e64 s[30:31], s30, v0
	s_waitcnt lgkmcnt(0)
	ds_write_b32 v13, v34 offset:15360
	s_waitcnt lgkmcnt(0)
	s_barrier
	s_and_saveexec_b64 s[36:37], s[30:31]
	s_cbranch_execz .LBB1511_35
; %bb.34:
	s_waitcnt vmcnt(0)
	ds_read_b32 v49, v12 offset:15364
.LBB1511_35:
	s_or_b64 exec, exec, s[36:37]
	s_waitcnt lgkmcnt(0)
	s_barrier
	s_waitcnt lgkmcnt(0)
                                        ; implicit-def: $vgpr13
	s_and_saveexec_b64 s[30:31], vcc
	s_cbranch_execz .LBB1511_121
; %bb.36:
	v_add_co_u32_e32 v14, vcc, v1, v12
	v_addc_co_u32_e32 v15, vcc, 0, v48, vcc
	flat_load_dword v13, v[14:15]
	s_or_b64 exec, exec, s[30:31]
                                        ; implicit-def: $vgpr14
	s_and_saveexec_b64 s[30:31], s[4:5]
	s_cbranch_execnz .LBB1511_122
.LBB1511_37:
	s_or_b64 exec, exec, s[30:31]
                                        ; implicit-def: $vgpr15
	s_and_saveexec_b64 s[4:5], s[6:7]
	s_cbranch_execz .LBB1511_123
.LBB1511_38:
	v_add_co_u32_e32 v16, vcc, v1, v12
	v_addc_co_u32_e32 v17, vcc, 0, v48, vcc
	flat_load_dword v15, v[16:17] offset:2048
	s_or_b64 exec, exec, s[4:5]
                                        ; implicit-def: $vgpr16
	s_and_saveexec_b64 s[4:5], s[8:9]
	s_cbranch_execnz .LBB1511_124
.LBB1511_39:
	s_or_b64 exec, exec, s[4:5]
                                        ; implicit-def: $vgpr17
	s_and_saveexec_b64 s[4:5], s[10:11]
	s_cbranch_execz .LBB1511_125
.LBB1511_40:
	v_lshlrev_b32_e32 v2, 2, v2
	v_add_co_u32_e32 v18, vcc, v1, v2
	v_addc_co_u32_e32 v19, vcc, 0, v48, vcc
	flat_load_dword v17, v[18:19]
	s_or_b64 exec, exec, s[4:5]
                                        ; implicit-def: $vgpr2
	s_and_saveexec_b64 s[4:5], s[12:13]
	s_cbranch_execnz .LBB1511_126
.LBB1511_41:
	s_or_b64 exec, exec, s[4:5]
                                        ; implicit-def: $vgpr3
	s_and_saveexec_b64 s[4:5], s[14:15]
	s_cbranch_execz .LBB1511_127
.LBB1511_42:
	v_lshlrev_b32_e32 v3, 2, v4
	v_add_co_u32_e32 v18, vcc, v1, v3
	v_addc_co_u32_e32 v19, vcc, 0, v48, vcc
	flat_load_dword v3, v[18:19]
	s_or_b64 exec, exec, s[4:5]
                                        ; implicit-def: $vgpr4
	s_and_saveexec_b64 s[4:5], s[16:17]
	s_cbranch_execnz .LBB1511_128
.LBB1511_43:
	s_or_b64 exec, exec, s[4:5]
                                        ; implicit-def: $vgpr5
	s_and_saveexec_b64 s[4:5], s[18:19]
	s_cbranch_execz .LBB1511_129
.LBB1511_44:
	v_lshlrev_b32_e32 v5, 2, v6
	v_add_co_u32_e32 v18, vcc, v1, v5
	v_addc_co_u32_e32 v19, vcc, 0, v48, vcc
	flat_load_dword v5, v[18:19]
	s_or_b64 exec, exec, s[4:5]
                                        ; implicit-def: $vgpr6
	s_and_saveexec_b64 s[4:5], s[20:21]
	s_cbranch_execnz .LBB1511_130
.LBB1511_45:
	s_or_b64 exec, exec, s[4:5]
                                        ; implicit-def: $vgpr7
	s_and_saveexec_b64 s[4:5], s[22:23]
	s_cbranch_execz .LBB1511_131
.LBB1511_46:
	v_lshlrev_b32_e32 v7, 2, v8
	v_add_co_u32_e32 v18, vcc, v1, v7
	v_addc_co_u32_e32 v19, vcc, 0, v48, vcc
	flat_load_dword v7, v[18:19]
	s_or_b64 exec, exec, s[4:5]
                                        ; implicit-def: $vgpr8
	s_and_saveexec_b64 s[4:5], s[24:25]
	s_cbranch_execnz .LBB1511_132
.LBB1511_47:
	s_or_b64 exec, exec, s[4:5]
                                        ; implicit-def: $vgpr9
	s_and_saveexec_b64 s[4:5], s[26:27]
	s_cbranch_execz .LBB1511_49
.LBB1511_48:
	v_lshlrev_b32_e32 v9, 2, v10
	v_add_co_u32_e32 v18, vcc, v1, v9
	v_addc_co_u32_e32 v19, vcc, 0, v48, vcc
	flat_load_dword v9, v[18:19]
.LBB1511_49:
	s_or_b64 exec, exec, s[4:5]
	v_mul_u32_u24_e32 v51, 14, v0
                                        ; implicit-def: $vgpr10
	s_and_saveexec_b64 s[4:5], s[28:29]
	s_cbranch_execz .LBB1511_51
; %bb.50:
	v_lshlrev_b32_e32 v10, 2, v11
	v_add_co_u32_e32 v10, vcc, v1, v10
	v_addc_co_u32_e32 v11, vcc, 0, v48, vcc
	flat_load_dword v10, v[10:11]
.LBB1511_51:
	s_or_b64 exec, exec, s[4:5]
	s_mov_b32 s4, 0
	s_mov_b32 s5, s4
	s_waitcnt vmcnt(0) lgkmcnt(0)
	ds_write2st64_b32 v12, v13, v14 offset1:4
	ds_write2st64_b32 v12, v15, v16 offset0:8 offset1:12
	ds_write2st64_b32 v12, v17, v2 offset0:16 offset1:20
	ds_write2st64_b32 v12, v3, v4 offset0:24 offset1:28
	ds_write2st64_b32 v12, v5, v6 offset0:32 offset1:36
	ds_write2st64_b32 v12, v7, v8 offset0:40 offset1:44
	ds_write2st64_b32 v12, v9, v10 offset0:48 offset1:52
	s_mov_b32 s6, s4
	s_mov_b32 s7, s4
	;; [unrolled: 1-line block ×6, first 2 shown]
	v_pk_mov_b32 v[2:3], s[4:5], s[4:5] op_sel:[0,1]
	v_pk_mov_b32 v[8:9], s[10:11], s[10:11] op_sel:[0,1]
	;; [unrolled: 1-line block ×6, first 2 shown]
	v_cmp_gt_u32_e32 vcc, s40, v51
	s_mov_b64 s[12:13], 0
	v_pk_mov_b32 v[40:41], 0, 0
	s_mov_b64 s[18:19], 0
	v_pk_mov_b32 v[14:15], v[6:7], v[6:7] op_sel:[0,1]
	v_pk_mov_b32 v[12:13], v[4:5], v[4:5] op_sel:[0,1]
	;; [unrolled: 1-line block ×6, first 2 shown]
	s_waitcnt lgkmcnt(0)
	s_barrier
	s_waitcnt lgkmcnt(0)
                                        ; implicit-def: $sgpr16_sgpr17
                                        ; implicit-def: $vgpr46
	s_and_saveexec_b64 s[14:15], vcc
	s_cbranch_execz .LBB1511_79
; %bb.52:
	ds_read_b32 v2, v50
	v_mov_b32_e32 v4, s54
	v_cmp_eq_u32_e32 vcc, v34, v35
	v_or_b32_e32 v3, 1, v51
                                        ; implicit-def: $vgpr46
	s_waitcnt lgkmcnt(0)
	v_cndmask_b32_e32 v40, v4, v2, vcc
	v_cmp_ne_u32_e32 vcc, v34, v35
	v_cndmask_b32_e64 v41, 0, 1, vcc
	v_cmp_gt_u32_e32 vcc, s40, v3
	v_pk_mov_b32 v[2:3], s[4:5], s[4:5] op_sel:[0,1]
	v_pk_mov_b32 v[8:9], s[10:11], s[10:11] op_sel:[0,1]
	;; [unrolled: 1-line block ×12, first 2 shown]
                                        ; implicit-def: $sgpr4_sgpr5
	s_and_saveexec_b64 s[16:17], vcc
	s_cbranch_execz .LBB1511_78
; %bb.53:
	ds_read2_b32 v[46:47], v50 offset0:1 offset1:2
	s_mov_b32 s4, 0
	v_mov_b32_e32 v3, s54
	v_cmp_eq_u32_e32 vcc, v35, v36
	s_mov_b32 s10, s4
	s_mov_b32 s11, s4
	v_add_u32_e32 v2, 2, v51
	s_waitcnt lgkmcnt(0)
	v_cndmask_b32_e32 v8, v3, v46, vcc
	v_cmp_ne_u32_e32 vcc, v35, v36
	s_mov_b32 s5, s4
	s_mov_b32 s6, s4
	;; [unrolled: 1-line block ×5, first 2 shown]
	v_pk_mov_b32 v[16:17], s[10:11], s[10:11] op_sel:[0,1]
	v_cndmask_b32_e64 v9, 0, 1, vcc
	v_cmp_gt_u32_e32 vcc, s40, v2
	v_mov_b32_e32 v2, 0
	v_pk_mov_b32 v[14:15], s[8:9], s[8:9] op_sel:[0,1]
	v_pk_mov_b32 v[12:13], s[6:7], s[6:7] op_sel:[0,1]
	;; [unrolled: 1-line block ×4, first 2 shown]
	v_mov_b32_e32 v3, v2
	v_mov_b32_e32 v4, v2
	;; [unrolled: 1-line block ×5, first 2 shown]
	s_mov_b64 s[20:21], 0
	v_pk_mov_b32 v[22:23], v[14:15], v[14:15] op_sel:[0,1]
	v_pk_mov_b32 v[20:21], v[12:13], v[12:13] op_sel:[0,1]
	;; [unrolled: 1-line block ×3, first 2 shown]
                                        ; implicit-def: $sgpr24_sgpr25
                                        ; implicit-def: $vgpr46
	s_and_saveexec_b64 s[18:19], vcc
	s_cbranch_execz .LBB1511_77
; %bb.54:
	v_mov_b32_e32 v4, s54
	v_cmp_eq_u32_e32 vcc, v36, v37
	v_pk_mov_b32 v[16:17], s[10:11], s[10:11] op_sel:[0,1]
	v_add_u32_e32 v3, 3, v51
	v_cndmask_b32_e32 v6, v4, v47, vcc
	v_cmp_ne_u32_e32 vcc, v36, v37
	v_pk_mov_b32 v[14:15], s[8:9], s[8:9] op_sel:[0,1]
	v_pk_mov_b32 v[12:13], s[6:7], s[6:7] op_sel:[0,1]
	;; [unrolled: 1-line block ×4, first 2 shown]
	v_cndmask_b32_e64 v7, 0, 1, vcc
	v_cmp_gt_u32_e32 vcc, s40, v3
	v_mov_b32_e32 v3, v2
	v_mov_b32_e32 v4, v2
	;; [unrolled: 1-line block ×3, first 2 shown]
	s_mov_b64 s[22:23], 0
	v_pk_mov_b32 v[22:23], v[14:15], v[14:15] op_sel:[0,1]
	v_pk_mov_b32 v[20:21], v[12:13], v[12:13] op_sel:[0,1]
	;; [unrolled: 1-line block ×3, first 2 shown]
                                        ; implicit-def: $sgpr4_sgpr5
                                        ; implicit-def: $vgpr46
	s_and_saveexec_b64 s[20:21], vcc
	s_cbranch_execz .LBB1511_76
; %bb.55:
	ds_read2_b32 v[34:35], v50 offset0:3 offset1:4
	s_mov_b32 s4, 0
	s_mov_b32 s10, s4
	;; [unrolled: 1-line block ×3, first 2 shown]
	v_mov_b32_e32 v3, s54
	v_cmp_eq_u32_e32 vcc, v37, v30
	s_mov_b32 s5, s4
	s_mov_b32 s6, s4
	;; [unrolled: 1-line block ×5, first 2 shown]
	v_pk_mov_b32 v[16:17], s[10:11], s[10:11] op_sel:[0,1]
	v_add_u32_e32 v2, 4, v51
	s_waitcnt lgkmcnt(0)
	v_cndmask_b32_e32 v4, v3, v34, vcc
	v_cmp_ne_u32_e32 vcc, v37, v30
	v_pk_mov_b32 v[14:15], s[8:9], s[8:9] op_sel:[0,1]
	v_pk_mov_b32 v[12:13], s[6:7], s[6:7] op_sel:[0,1]
	;; [unrolled: 1-line block ×4, first 2 shown]
	v_cndmask_b32_e64 v5, 0, 1, vcc
	v_cmp_gt_u32_e32 vcc, s40, v2
	v_mov_b32_e32 v2, s4
	v_mov_b32_e32 v3, s4
	s_mov_b64 s[24:25], 0
	v_pk_mov_b32 v[22:23], v[14:15], v[14:15] op_sel:[0,1]
	v_pk_mov_b32 v[20:21], v[12:13], v[12:13] op_sel:[0,1]
	v_pk_mov_b32 v[18:19], v[10:11], v[10:11] op_sel:[0,1]
                                        ; implicit-def: $sgpr26_sgpr27
                                        ; implicit-def: $vgpr46
	s_and_saveexec_b64 s[22:23], vcc
	s_cbranch_execz .LBB1511_75
; %bb.56:
	v_mov_b32_e32 v2, s54
	v_cmp_eq_u32_e32 vcc, v30, v31
	v_add_u32_e32 v10, 5, v51
	v_cndmask_b32_e32 v2, v2, v35, vcc
	v_cmp_ne_u32_e32 vcc, v30, v31
	v_cndmask_b32_e64 v3, 0, 1, vcc
	v_cmp_gt_u32_e32 vcc, s40, v10
	v_pk_mov_b32 v[16:17], s[10:11], s[10:11] op_sel:[0,1]
	v_pk_mov_b32 v[14:15], s[8:9], s[8:9] op_sel:[0,1]
	;; [unrolled: 1-line block ×5, first 2 shown]
	s_mov_b64 s[28:29], 0
	v_pk_mov_b32 v[22:23], v[14:15], v[14:15] op_sel:[0,1]
	v_pk_mov_b32 v[20:21], v[12:13], v[12:13] op_sel:[0,1]
	;; [unrolled: 1-line block ×3, first 2 shown]
                                        ; implicit-def: $sgpr4_sgpr5
                                        ; implicit-def: $vgpr46
	s_and_saveexec_b64 s[24:25], vcc
	s_cbranch_execz .LBB1511_74
; %bb.57:
	ds_read2_b32 v[34:35], v50 offset0:5 offset1:6
	v_mov_b32_e32 v11, s54
	v_cmp_eq_u32_e32 vcc, v31, v32
	s_mov_b32 s4, 0
	v_add_u32_e32 v10, 6, v51
	s_waitcnt lgkmcnt(0)
	v_cndmask_b32_e32 v16, v11, v34, vcc
	v_cmp_ne_u32_e32 vcc, v31, v32
	s_mov_b32 s10, s4
	s_mov_b32 s11, s4
	v_cndmask_b32_e64 v17, 0, 1, vcc
	v_cmp_gt_u32_e32 vcc, s40, v10
	v_mov_b32_e32 v10, 0
	s_mov_b32 s5, s4
	s_mov_b32 s6, s4
	;; [unrolled: 1-line block ×5, first 2 shown]
	v_pk_mov_b32 v[24:25], s[10:11], s[10:11] op_sel:[0,1]
	v_mov_b32_e32 v11, v10
	v_mov_b32_e32 v12, v10
	;; [unrolled: 1-line block ×5, first 2 shown]
	v_pk_mov_b32 v[22:23], s[8:9], s[8:9] op_sel:[0,1]
	v_pk_mov_b32 v[20:21], s[6:7], s[6:7] op_sel:[0,1]
	;; [unrolled: 1-line block ×3, first 2 shown]
                                        ; implicit-def: $sgpr36_sgpr37
                                        ; implicit-def: $vgpr46
	s_and_saveexec_b64 s[26:27], vcc
	s_cbranch_execz .LBB1511_73
; %bb.58:
	v_mov_b32_e32 v12, s54
	v_cmp_eq_u32_e32 vcc, v32, v33
	v_add_u32_e32 v11, 7, v51
	v_cndmask_b32_e32 v14, v12, v35, vcc
	v_cmp_ne_u32_e32 vcc, v32, v33
	v_pk_mov_b32 v[24:25], s[10:11], s[10:11] op_sel:[0,1]
	v_cndmask_b32_e64 v15, 0, 1, vcc
	v_cmp_gt_u32_e32 vcc, s40, v11
	v_mov_b32_e32 v11, v10
	v_mov_b32_e32 v12, v10
	;; [unrolled: 1-line block ×3, first 2 shown]
	s_mov_b64 s[30:31], 0
	v_pk_mov_b32 v[22:23], s[8:9], s[8:9] op_sel:[0,1]
	v_pk_mov_b32 v[20:21], s[6:7], s[6:7] op_sel:[0,1]
	;; [unrolled: 1-line block ×3, first 2 shown]
                                        ; implicit-def: $sgpr4_sgpr5
                                        ; implicit-def: $vgpr46
	s_and_saveexec_b64 s[28:29], vcc
	s_cbranch_execz .LBB1511_72
; %bb.59:
	ds_read2_b32 v[30:31], v50 offset0:7 offset1:8
	s_mov_b32 s4, 0
	v_mov_b32_e32 v11, s54
	v_cmp_eq_u32_e32 vcc, v33, v26
	s_mov_b32 s10, s4
	s_mov_b32 s11, s4
	v_add_u32_e32 v10, 8, v51
	s_waitcnt lgkmcnt(0)
	v_cndmask_b32_e32 v12, v11, v30, vcc
	v_cmp_ne_u32_e32 vcc, v33, v26
	s_mov_b32 s5, s4
	s_mov_b32 s6, s4
	;; [unrolled: 1-line block ×5, first 2 shown]
	v_pk_mov_b32 v[24:25], s[10:11], s[10:11] op_sel:[0,1]
	v_cndmask_b32_e64 v13, 0, 1, vcc
	v_cmp_gt_u32_e32 vcc, s40, v10
	v_mov_b32_e32 v10, s4
	v_mov_b32_e32 v11, s4
	s_mov_b64 s[36:37], 0
	v_pk_mov_b32 v[22:23], s[8:9], s[8:9] op_sel:[0,1]
	v_pk_mov_b32 v[20:21], s[6:7], s[6:7] op_sel:[0,1]
	;; [unrolled: 1-line block ×3, first 2 shown]
                                        ; implicit-def: $sgpr38_sgpr39
                                        ; implicit-def: $vgpr46
	s_and_saveexec_b64 s[30:31], vcc
	s_cbranch_execz .LBB1511_71
; %bb.60:
	v_mov_b32_e32 v10, s54
	v_cmp_eq_u32_e32 vcc, v26, v27
	v_add_u32_e32 v18, 9, v51
	v_cndmask_b32_e32 v10, v10, v31, vcc
	v_cmp_ne_u32_e32 vcc, v26, v27
	v_cndmask_b32_e64 v11, 0, 1, vcc
	v_cmp_gt_u32_e32 vcc, s40, v18
	v_pk_mov_b32 v[24:25], s[10:11], s[10:11] op_sel:[0,1]
	v_pk_mov_b32 v[22:23], s[8:9], s[8:9] op_sel:[0,1]
	;; [unrolled: 1-line block ×4, first 2 shown]
                                        ; implicit-def: $sgpr6_sgpr7
                                        ; implicit-def: $vgpr46
	s_and_saveexec_b64 s[4:5], vcc
	s_cbranch_execz .LBB1511_70
; %bb.61:
	ds_read2_b32 v[30:31], v50 offset0:9 offset1:10
	v_mov_b32_e32 v18, s54
	v_cmp_eq_u32_e32 vcc, v27, v28
	v_add_u32_e32 v20, 10, v51
	v_mov_b32_e32 v22, 0
	s_waitcnt lgkmcnt(0)
	v_cndmask_b32_e32 v18, v18, v30, vcc
	v_cmp_ne_u32_e32 vcc, v27, v28
	v_cndmask_b32_e64 v19, 0, 1, vcc
	v_cmp_gt_u32_e32 vcc, s40, v20
	v_mov_b32_e32 v20, v22
	v_mov_b32_e32 v21, v22
	;; [unrolled: 1-line block ×5, first 2 shown]
	s_mov_b64 s[8:9], 0
                                        ; implicit-def: $sgpr36_sgpr37
                                        ; implicit-def: $vgpr46
	s_and_saveexec_b64 s[6:7], vcc
	s_cbranch_execz .LBB1511_69
; %bb.62:
	v_mov_b32_e32 v20, s54
	v_cmp_eq_u32_e32 vcc, v28, v29
	v_add_u32_e32 v23, 11, v51
	v_cndmask_b32_e32 v20, v20, v31, vcc
	v_cmp_ne_u32_e32 vcc, v28, v29
	v_cndmask_b32_e64 v21, 0, 1, vcc
	v_cmp_gt_u32_e32 vcc, s40, v23
	s_mov_b32 s36, 0
	v_mov_b32_e32 v23, v22
	v_mov_b32_e32 v24, v22
	;; [unrolled: 1-line block ×3, first 2 shown]
	s_mov_b64 s[10:11], 0
                                        ; implicit-def: $sgpr38_sgpr39
                                        ; implicit-def: $vgpr46
	s_and_saveexec_b64 s[8:9], vcc
	s_cbranch_execz .LBB1511_68
; %bb.63:
	ds_read2_b32 v[26:27], v50 offset0:11 offset1:12
	v_mov_b32_e32 v22, s54
	v_cmp_eq_u32_e32 vcc, v29, v44
	v_add_u32_e32 v24, 12, v51
	v_mov_b32_e32 v25, s36
	s_waitcnt lgkmcnt(0)
	v_cndmask_b32_e32 v22, v22, v26, vcc
	v_cmp_ne_u32_e32 vcc, v29, v44
	v_cndmask_b32_e64 v23, 0, 1, vcc
	v_cmp_gt_u32_e32 vcc, s40, v24
	v_mov_b32_e32 v24, s36
	s_mov_b64 s[36:37], 0
                                        ; implicit-def: $sgpr38_sgpr39
                                        ; implicit-def: $vgpr46
	s_and_saveexec_b64 s[10:11], vcc
	s_cbranch_execz .LBB1511_67
; %bb.64:
	v_mov_b32_e32 v24, s54
	v_cmp_eq_u32_e32 vcc, v44, v45
	v_add_u32_e32 v26, 13, v51
	v_cndmask_b32_e32 v24, v24, v27, vcc
	v_cmp_ne_u32_e32 vcc, v44, v45
	v_cndmask_b32_e64 v25, 0, 1, vcc
	v_cmp_gt_u32_e32 vcc, s40, v26
                                        ; implicit-def: $sgpr38_sgpr39
                                        ; implicit-def: $vgpr46
	s_and_saveexec_b64 s[40:41], vcc
	s_xor_b64 s[40:41], exec, s[40:41]
	s_cbranch_execz .LBB1511_66
; %bb.65:
	ds_read_b32 v26, v50 offset:52
	v_mov_b32_e32 v27, s54
	v_cmp_ne_u32_e32 vcc, v45, v49
	s_mov_b64 s[36:37], exec
	s_and_b64 s[38:39], vcc, exec
	s_waitcnt lgkmcnt(0)
	v_cndmask_b32_e32 v46, v26, v27, vcc
.LBB1511_66:
	s_or_b64 exec, exec, s[40:41]
	s_and_b64 s[38:39], s[38:39], exec
	s_and_b64 s[36:37], s[36:37], exec
.LBB1511_67:
	s_or_b64 exec, exec, s[10:11]
	s_and_b64 s[38:39], s[38:39], exec
	s_and_b64 s[10:11], s[36:37], exec
.LBB1511_68:
	s_or_b64 exec, exec, s[8:9]
	s_and_b64 s[36:37], s[38:39], exec
	s_and_b64 s[8:9], s[10:11], exec
.LBB1511_69:
	s_or_b64 exec, exec, s[6:7]
	s_and_b64 s[6:7], s[36:37], exec
	s_and_b64 s[36:37], s[8:9], exec
.LBB1511_70:
	s_or_b64 exec, exec, s[4:5]
	s_and_b64 s[38:39], s[6:7], exec
	s_and_b64 s[36:37], s[36:37], exec
.LBB1511_71:
	s_or_b64 exec, exec, s[30:31]
	s_and_b64 s[4:5], s[38:39], exec
	s_and_b64 s[30:31], s[36:37], exec
.LBB1511_72:
	s_or_b64 exec, exec, s[28:29]
	s_and_b64 s[36:37], s[4:5], exec
	s_and_b64 s[28:29], s[30:31], exec
.LBB1511_73:
	s_or_b64 exec, exec, s[26:27]
	s_and_b64 s[4:5], s[36:37], exec
	s_and_b64 s[28:29], s[28:29], exec
.LBB1511_74:
	s_or_b64 exec, exec, s[24:25]
	s_and_b64 s[26:27], s[4:5], exec
	s_and_b64 s[24:25], s[28:29], exec
.LBB1511_75:
	s_or_b64 exec, exec, s[22:23]
	s_and_b64 s[4:5], s[26:27], exec
	s_and_b64 s[22:23], s[24:25], exec
.LBB1511_76:
	s_or_b64 exec, exec, s[20:21]
	s_and_b64 s[24:25], s[4:5], exec
	s_and_b64 s[20:21], s[22:23], exec
.LBB1511_77:
	s_or_b64 exec, exec, s[18:19]
	s_and_b64 s[4:5], s[24:25], exec
	s_and_b64 s[18:19], s[20:21], exec
.LBB1511_78:
	s_or_b64 exec, exec, s[16:17]
	s_and_b64 s[16:17], s[4:5], exec
	s_and_b64 s[18:19], s[18:19], exec
.LBB1511_79:
	s_or_b64 exec, exec, s[14:15]
	s_and_b64 vcc, exec, s[12:13]
	v_lshlrev_b32_e32 v52, 2, v0
	s_cbranch_vccnz .LBB1511_81
	s_branch .LBB1511_86
.LBB1511_80:
	s_mov_b64 s[18:19], 0
                                        ; implicit-def: $sgpr16_sgpr17
                                        ; implicit-def: $vgpr2_vgpr3_vgpr4_vgpr5_vgpr6_vgpr7_vgpr8_vgpr9
                                        ; implicit-def: $vgpr10_vgpr11_vgpr12_vgpr13_vgpr14_vgpr15_vgpr16_vgpr17
                                        ; implicit-def: $vgpr18_vgpr19_vgpr20_vgpr21_vgpr22_vgpr23_vgpr24_vgpr25
                                        ; implicit-def: $vgpr46
                                        ; implicit-def: $vgpr40_vgpr41
	s_and_b64 vcc, exec, s[12:13]
	v_lshlrev_b32_e32 v52, 2, v0
	s_cbranch_vccz .LBB1511_86
.LBB1511_81:
	v_add_co_u32_e32 v2, vcc, v42, v52
	v_addc_co_u32_e32 v3, vcc, 0, v43, vcc
	v_add_co_u32_e32 v4, vcc, 0x1000, v2
	v_addc_co_u32_e32 v5, vcc, 0, v3, vcc
	flat_load_dword v6, v[2:3]
	flat_load_dword v7, v[2:3] offset:1024
	flat_load_dword v8, v[2:3] offset:2048
	;; [unrolled: 1-line block ×3, first 2 shown]
	flat_load_dword v10, v[4:5]
	flat_load_dword v11, v[4:5] offset:1024
	flat_load_dword v12, v[4:5] offset:2048
	;; [unrolled: 1-line block ×3, first 2 shown]
	v_add_co_u32_e32 v4, vcc, 0x2000, v2
	v_addc_co_u32_e32 v5, vcc, 0, v3, vcc
	v_add_co_u32_e32 v2, vcc, 0x3000, v2
	v_addc_co_u32_e32 v3, vcc, 0, v3, vcc
	flat_load_dword v14, v[4:5]
	flat_load_dword v15, v[4:5] offset:1024
	flat_load_dword v16, v[4:5] offset:2048
	;; [unrolled: 1-line block ×3, first 2 shown]
	flat_load_dword v18, v[2:3]
	flat_load_dword v19, v[2:3] offset:1024
	v_add_co_u32_e32 v2, vcc, 0x3000, v42
	v_addc_co_u32_e32 v3, vcc, 0, v43, vcc
	s_movk_i32 s6, 0xffcc
	s_movk_i32 s9, 0x1000
	s_mov_b32 s4, 0
	s_movk_i32 s8, 0x2000
	s_movk_i32 s5, 0x3000
	s_waitcnt vmcnt(0) lgkmcnt(0)
	ds_write2st64_b32 v52, v6, v7 offset1:4
	ds_write2st64_b32 v52, v8, v9 offset0:8 offset1:12
	ds_write2st64_b32 v52, v10, v11 offset0:16 offset1:20
	;; [unrolled: 1-line block ×6, first 2 shown]
	s_waitcnt lgkmcnt(0)
	s_barrier
	flat_load_dword v34, v[2:3] offset:2048
	v_mad_u32_u24 v6, v0, 52, v52
	v_mad_i32_i24 v2, v0, s6, v6
	s_movk_i32 s6, 0xff
	v_cmp_ne_u32_e32 vcc, s6, v0
	ds_read2_b32 v[26:27], v6 offset1:13
	ds_read2_b32 v[18:19], v6 offset0:7 offset1:8
	ds_read2_b32 v[20:21], v6 offset0:5 offset1:6
	;; [unrolled: 1-line block ×6, first 2 shown]
	s_waitcnt lgkmcnt(0)
	ds_write_b32 v2, v26 offset:15360
	s_waitcnt lgkmcnt(0)
	s_barrier
	s_and_saveexec_b64 s[6:7], vcc
	s_cbranch_execz .LBB1511_83
; %bb.82:
	s_waitcnt vmcnt(0)
	ds_read_b32 v34, v52 offset:15364
.LBB1511_83:
	s_or_b64 exec, exec, s[6:7]
	v_add_co_u32_e32 v2, vcc, v1, v52
	v_addc_co_u32_e32 v3, vcc, 0, v48, vcc
	v_add_co_u32_e32 v4, vcc, s9, v2
	v_addc_co_u32_e32 v5, vcc, 0, v3, vcc
	s_waitcnt lgkmcnt(0)
	s_barrier
	flat_load_dword v1, v[2:3]
	flat_load_dword v7, v[2:3] offset:1024
	flat_load_dword v8, v[2:3] offset:2048
	;; [unrolled: 1-line block ×3, first 2 shown]
	flat_load_dword v14, v[4:5]
	flat_load_dword v15, v[4:5] offset:1024
	flat_load_dword v16, v[4:5] offset:2048
	;; [unrolled: 1-line block ×3, first 2 shown]
	v_add_co_u32_e32 v4, vcc, s8, v2
	v_addc_co_u32_e32 v5, vcc, 0, v3, vcc
	v_add_co_u32_e32 v2, vcc, s5, v2
	v_addc_co_u32_e32 v3, vcc, 0, v3, vcc
	flat_load_dword v22, v[4:5]
	flat_load_dword v23, v[4:5] offset:1024
	flat_load_dword v24, v[4:5] offset:2048
	;; [unrolled: 1-line block ×3, first 2 shown]
	flat_load_dword v32, v[2:3]
	flat_load_dword v33, v[2:3] offset:1024
	s_mov_b32 s5, 1
	v_cmp_eq_u32_e32 vcc, v26, v12
	v_pk_mov_b32 v[40:41], s[4:5], s[4:5] op_sel:[0,1]
	s_waitcnt vmcnt(0) lgkmcnt(0)
	ds_write2st64_b32 v52, v1, v7 offset1:4
	ds_write2st64_b32 v52, v8, v9 offset0:8 offset1:12
	ds_write2st64_b32 v52, v14, v15 offset0:16 offset1:20
	ds_write2st64_b32 v52, v16, v17 offset0:24 offset1:28
	ds_write2st64_b32 v52, v22, v23 offset0:32 offset1:36
	ds_write2st64_b32 v52, v24, v25 offset0:40 offset1:44
	ds_write2st64_b32 v52, v32, v33 offset0:48 offset1:52
	s_waitcnt lgkmcnt(0)
	s_barrier
	ds_read2_b32 v[24:25], v6 offset0:7 offset1:8
	ds_read2_b32 v[14:15], v6 offset0:5 offset1:6
	;; [unrolled: 1-line block ×4, first 2 shown]
	ds_read_b32 v1, v6 offset:52
	ds_read2_b32 v[22:23], v6 offset0:11 offset1:12
	ds_read2_b32 v[32:33], v6 offset0:9 offset1:10
	v_mov_b32_e32 v7, s54
	s_and_saveexec_b64 s[4:5], vcc
	s_cbranch_execz .LBB1511_85
; %bb.84:
	ds_read_b32 v7, v6
	v_pk_mov_b32 v[40:41], 0, 0
.LBB1511_85:
	s_or_b64 exec, exec, s[4:5]
	v_mov_b32_e32 v26, s54
	v_cmp_eq_u32_e32 vcc, v12, v13
	s_waitcnt lgkmcnt(3)
	v_cndmask_b32_e32 v8, v26, v4, vcc
	v_cmp_eq_u32_e32 vcc, v13, v10
	v_cndmask_b32_e32 v6, v26, v5, vcc
	v_cmp_eq_u32_e32 vcc, v10, v11
	;; [unrolled: 2-line block ×3, first 2 shown]
	v_cndmask_b32_e32 v2, v26, v3, vcc
	v_cmp_ne_u32_e32 vcc, v12, v13
	v_cndmask_b32_e64 v9, 0, 1, vcc
	v_cmp_ne_u32_e32 vcc, v13, v10
	s_waitcnt lgkmcnt(0)
	v_or_b32_e32 v40, v40, v7
	v_cndmask_b32_e64 v7, 0, 1, vcc
	v_cmp_ne_u32_e32 vcc, v10, v11
	v_cndmask_b32_e64 v5, 0, 1, vcc
	v_cmp_ne_u32_e32 vcc, v11, v20
	v_cndmask_b32_e64 v3, 0, 1, vcc
	v_cmp_eq_u32_e32 vcc, v20, v21
	v_cndmask_b32_e32 v16, v26, v14, vcc
	v_cmp_eq_u32_e32 vcc, v21, v18
	v_cndmask_b32_e32 v14, v26, v15, vcc
	;; [unrolled: 2-line block ×4, first 2 shown]
	v_cmp_ne_u32_e32 vcc, v20, v21
	v_cndmask_b32_e64 v17, 0, 1, vcc
	v_cmp_ne_u32_e32 vcc, v21, v18
	v_cndmask_b32_e64 v15, 0, 1, vcc
	;; [unrolled: 2-line block ×4, first 2 shown]
	v_cmp_eq_u32_e32 vcc, v31, v27
	v_cndmask_b32_e32 v24, v26, v23, vcc
	v_cmp_eq_u32_e32 vcc, v30, v31
	v_cndmask_b32_e32 v22, v26, v22, vcc
	;; [unrolled: 2-line block ×4, first 2 shown]
	v_cmp_ne_u32_e32 vcc, v31, v27
	v_cndmask_b32_e64 v25, 0, 1, vcc
	v_cmp_ne_u32_e32 vcc, v30, v31
	v_cndmask_b32_e64 v23, 0, 1, vcc
	;; [unrolled: 2-line block ×3, first 2 shown]
	v_cmp_ne_u32_e32 vcc, v28, v29
	v_cmp_ne_u32_e64 s[16:17], v27, v34
	v_cndmask_b32_e64 v19, 0, 1, vcc
	v_cndmask_b32_e64 v46, v1, v26, s[16:17]
	s_mov_b64 s[18:19], -1
                                        ; implicit-def: $sgpr12_sgpr13
.LBB1511_86:
	v_pk_mov_b32 v[42:43], s[12:13], s[12:13] op_sel:[0,1]
	s_and_saveexec_b64 s[4:5], s[18:19]
; %bb.87:
	v_cndmask_b32_e64 v47, 0, 1, s[16:17]
	v_pk_mov_b32 v[42:43], v[46:47], v[46:47] op_sel:[0,1]
; %bb.88:
	s_or_b64 exec, exec, s[4:5]
	s_mov_b32 s28, 0
	s_cmp_lg_u32 s47, 0
	v_mbcnt_lo_u32_b32 v54, -1, 0
	v_lshrrev_b32_e32 v1, 6, v0
	v_or_b32_e32 v53, 63, v0
	s_barrier
	s_cbranch_scc0 .LBB1511_133
; %bb.89:
	s_mov_b32 s29, 1
	v_cmp_gt_u64_e64 s[4:5], s[28:29], v[8:9]
	v_cndmask_b32_e64 v27, 0, v40, s[4:5]
	v_add_u32_e32 v27, v27, v8
	v_cmp_gt_u64_e64 s[6:7], s[28:29], v[6:7]
	v_cndmask_b32_e64 v27, 0, v27, s[6:7]
	v_add_u32_e32 v27, v27, v6
	;; [unrolled: 3-line block ×12, first 2 shown]
	v_cmp_gt_u64_e32 vcc, s[28:29], v[42:43]
	v_cndmask_b32_e32 v27, 0, v27, vcc
	v_add_u32_e32 v28, v27, v42
	v_or3_b32 v27, v43, v25, v23
	v_or3_b32 v27, v27, v21, v19
	;; [unrolled: 1-line block ×6, first 2 shown]
	v_mov_b32_e32 v26, 0
	v_and_b32_e32 v27, 1, v27
	v_cmp_eq_u64_e32 vcc, 0, v[26:27]
	v_cndmask_b32_e32 v27, 1, v41, vcc
	v_and_b32_e32 v29, 0xff, v27
	v_mov_b32_dpp v31, v28 row_shr:1 row_mask:0xf bank_mask:0xf
	v_cmp_eq_u16_e32 vcc, 0, v29
	v_mov_b32_dpp v32, v29 row_shr:1 row_mask:0xf bank_mask:0xf
	v_and_b32_e32 v33, 1, v27
	v_mbcnt_hi_u32_b32 v48, -1, v54
	v_cndmask_b32_e32 v31, 0, v31, vcc
	v_and_b32_e32 v32, 1, v32
	v_cmp_eq_u32_e32 vcc, 1, v33
	v_and_b32_e32 v30, 15, v48
	v_cndmask_b32_e64 v32, v32, 1, vcc
	v_and_b32_e32 v33, 0xffff, v32
	v_cmp_eq_u32_e32 vcc, 0, v30
	v_cndmask_b32_e32 v27, v32, v27, vcc
	v_cndmask_b32_e32 v29, v33, v29, vcc
	v_and_b32_e32 v33, 1, v27
	v_cndmask_b32_e64 v31, v31, 0, vcc
	v_mov_b32_dpp v32, v29 row_shr:2 row_mask:0xf bank_mask:0xf
	v_and_b32_e32 v32, 1, v32
	v_cmp_eq_u32_e32 vcc, 1, v33
	v_cndmask_b32_e64 v32, v32, 1, vcc
	v_and_b32_e32 v33, 0xffff, v32
	v_cmp_lt_u32_e32 vcc, 1, v30
	v_add_u32_e32 v28, v31, v28
	v_cmp_eq_u16_sdwa s[28:29], v27, v26 src0_sel:BYTE_0 src1_sel:DWORD
	v_cndmask_b32_e32 v27, v27, v32, vcc
	v_cndmask_b32_e32 v29, v29, v33, vcc
	v_mov_b32_dpp v31, v28 row_shr:2 row_mask:0xf bank_mask:0xf
	s_and_b64 vcc, vcc, s[28:29]
	v_mov_b32_dpp v32, v29 row_shr:4 row_mask:0xf bank_mask:0xf
	v_and_b32_e32 v33, 1, v27
	v_cndmask_b32_e32 v31, 0, v31, vcc
	v_and_b32_e32 v32, 1, v32
	v_cmp_eq_u32_e32 vcc, 1, v33
	v_cndmask_b32_e64 v32, v32, 1, vcc
	v_and_b32_e32 v33, 0xffff, v32
	v_cmp_lt_u32_e32 vcc, 3, v30
	v_add_u32_e32 v28, v31, v28
	v_cmp_eq_u16_sdwa s[28:29], v27, v26 src0_sel:BYTE_0 src1_sel:DWORD
	v_cndmask_b32_e32 v27, v27, v32, vcc
	v_cndmask_b32_e32 v29, v29, v33, vcc
	v_mov_b32_dpp v31, v28 row_shr:4 row_mask:0xf bank_mask:0xf
	s_and_b64 vcc, vcc, s[28:29]
	v_mov_b32_dpp v32, v29 row_shr:8 row_mask:0xf bank_mask:0xf
	v_and_b32_e32 v33, 1, v27
	v_cndmask_b32_e32 v31, 0, v31, vcc
	v_and_b32_e32 v32, 1, v32
	v_cmp_eq_u32_e32 vcc, 1, v33
	v_cndmask_b32_e64 v32, v32, 1, vcc
	v_add_u32_e32 v28, v31, v28
	v_cmp_eq_u16_sdwa s[28:29], v27, v26 src0_sel:BYTE_0 src1_sel:DWORD
	v_and_b32_e32 v33, 0xffff, v32
	v_cmp_lt_u32_e32 vcc, 7, v30
	v_mov_b32_dpp v31, v28 row_shr:8 row_mask:0xf bank_mask:0xf
	v_cndmask_b32_e32 v27, v27, v32, vcc
	v_cndmask_b32_e32 v29, v29, v33, vcc
	s_and_b64 vcc, vcc, s[28:29]
	v_cndmask_b32_e32 v30, 0, v31, vcc
	v_add_u32_e32 v28, v30, v28
	v_mov_b32_dpp v31, v29 row_bcast:15 row_mask:0xf bank_mask:0xf
	v_cmp_eq_u16_sdwa vcc, v27, v26 src0_sel:BYTE_0 src1_sel:DWORD
	v_mov_b32_dpp v30, v28 row_bcast:15 row_mask:0xf bank_mask:0xf
	v_and_b32_e32 v34, 1, v27
	v_cndmask_b32_e32 v30, 0, v30, vcc
	v_and_b32_e32 v31, 1, v31
	v_cmp_eq_u32_e32 vcc, 1, v34
	v_and_b32_e32 v33, 16, v48
	v_cndmask_b32_e64 v31, v31, 1, vcc
	v_and_b32_e32 v34, 0xffff, v31
	v_cmp_eq_u32_e32 vcc, 0, v33
	v_cndmask_b32_e32 v27, v31, v27, vcc
	v_cndmask_b32_e32 v29, v34, v29, vcc
	v_bfe_i32 v32, v48, 4, 1
	v_cmp_eq_u16_sdwa s[28:29], v27, v26 src0_sel:BYTE_0 src1_sel:DWORD
	v_mov_b32_dpp v29, v29 row_bcast:31 row_mask:0xf bank_mask:0xf
	v_and_b32_e32 v26, 1, v27
	v_and_b32_e32 v30, v32, v30
	;; [unrolled: 1-line block ×3, first 2 shown]
	v_cmp_eq_u32_e32 vcc, 1, v26
	v_add_u32_e32 v28, v30, v28
	v_cndmask_b32_e64 v26, v29, 1, vcc
	v_cmp_lt_u32_e32 vcc, 31, v48
	v_mov_b32_dpp v30, v28 row_bcast:31 row_mask:0xf bank_mask:0xf
	v_cndmask_b32_e32 v29, v27, v26, vcc
	s_and_b64 vcc, vcc, s[28:29]
	v_cndmask_b32_e32 v26, 0, v30, vcc
	v_add_u32_e32 v28, v26, v28
	v_cmp_eq_u32_e32 vcc, v53, v0
	s_and_saveexec_b64 s[28:29], vcc
	s_cbranch_execz .LBB1511_91
; %bb.90:
	v_lshlrev_b32_e32 v26, 3, v1
	ds_write_b32 v26, v28
	ds_write_b8 v26, v29 offset:4
.LBB1511_91:
	s_or_b64 exec, exec, s[28:29]
	v_cmp_gt_u32_e32 vcc, 4, v0
	s_waitcnt lgkmcnt(0)
	s_barrier
	s_and_saveexec_b64 s[28:29], vcc
	s_cbranch_execz .LBB1511_95
; %bb.92:
	v_lshlrev_b32_e32 v30, 3, v0
	ds_read_b64 v[26:27], v30
	v_and_b32_e32 v31, 3, v48
	v_cmp_ne_u32_e32 vcc, 0, v31
	s_waitcnt lgkmcnt(0)
	v_mov_b32_dpp v32, v26 row_shr:1 row_mask:0xf bank_mask:0xf
	v_mov_b32_dpp v34, v27 row_shr:1 row_mask:0xf bank_mask:0xf
	v_mov_b32_e32 v33, v27
	s_and_saveexec_b64 s[30:31], vcc
	s_cbranch_execz .LBB1511_94
; %bb.93:
	v_and_b32_e32 v33, 1, v27
	v_and_b32_e32 v34, 1, v34
	v_cmp_eq_u32_e32 vcc, 1, v33
	v_mov_b32_e32 v33, 0
	v_cndmask_b32_e64 v34, v34, 1, vcc
	v_cmp_eq_u16_sdwa vcc, v27, v33 src0_sel:BYTE_0 src1_sel:DWORD
	v_cndmask_b32_e32 v32, 0, v32, vcc
	v_add_u32_e32 v26, v32, v26
	v_and_b32_e32 v32, 0xffff, v34
	s_movk_i32 s36, 0xff00
	v_and_or_b32 v33, v27, s36, v32
	v_mov_b32_e32 v27, v34
.LBB1511_94:
	s_or_b64 exec, exec, s[30:31]
	v_mov_b32_dpp v33, v33 row_shr:2 row_mask:0xf bank_mask:0xf
	v_and_b32_e32 v34, 1, v27
	v_and_b32_e32 v33, 1, v33
	v_cmp_eq_u32_e32 vcc, 1, v34
	v_mov_b32_e32 v34, 0
	v_cndmask_b32_e64 v33, v33, 1, vcc
	v_cmp_eq_u16_sdwa s[30:31], v27, v34 src0_sel:BYTE_0 src1_sel:DWORD
	v_cmp_lt_u32_e32 vcc, 1, v31
	v_mov_b32_dpp v32, v26 row_shr:2 row_mask:0xf bank_mask:0xf
	v_cndmask_b32_e32 v27, v27, v33, vcc
	s_and_b64 vcc, vcc, s[30:31]
	v_cndmask_b32_e32 v31, 0, v32, vcc
	v_add_u32_e32 v26, v31, v26
	ds_write_b32 v30, v26
	ds_write_b8 v30, v27 offset:4
.LBB1511_95:
	s_or_b64 exec, exec, s[28:29]
	v_cmp_gt_u32_e32 vcc, 64, v0
	v_cmp_lt_u32_e64 s[28:29], 63, v0
	v_mov_b32_e32 v44, 0
	v_mov_b32_e32 v45, 0
	s_waitcnt lgkmcnt(0)
	s_barrier
	s_and_saveexec_b64 s[30:31], s[28:29]
	s_cbranch_execz .LBB1511_97
; %bb.96:
	v_lshl_add_u32 v26, v1, 3, -8
	ds_read_b32 v44, v26
	ds_read_u8 v45, v26 offset:4
	v_mov_b32_e32 v27, 0
	v_and_b32_e32 v30, 1, v29
	v_cmp_eq_u16_sdwa s[28:29], v29, v27 src0_sel:BYTE_0 src1_sel:DWORD
	s_waitcnt lgkmcnt(1)
	v_cndmask_b32_e64 v26, 0, v44, s[28:29]
	v_cmp_eq_u32_e64 s[28:29], 1, v30
	v_add_u32_e32 v28, v26, v28
	s_waitcnt lgkmcnt(0)
	v_cndmask_b32_e64 v29, v45, 1, s[28:29]
.LBB1511_97:
	s_or_b64 exec, exec, s[30:31]
	v_and_b32_e32 v26, 0xff, v29
	v_add_u32_e32 v27, -1, v48
	v_and_b32_e32 v29, 64, v48
	v_cmp_lt_i32_e64 s[28:29], v27, v29
	v_cndmask_b32_e64 v27, v27, v48, s[28:29]
	v_lshlrev_b32_e32 v27, 2, v27
	ds_bpermute_b32 v46, v27, v28
	ds_bpermute_b32 v47, v27, v26
	v_cmp_eq_u32_e64 s[28:29], 0, v48
	s_and_saveexec_b64 s[36:37], vcc
	s_cbranch_execz .LBB1511_120
; %bb.98:
	v_mov_b32_e32 v29, 0
	ds_read_b64 v[26:27], v29 offset:24
	s_waitcnt lgkmcnt(0)
	v_readfirstlane_b32 s48, v27
	s_and_saveexec_b64 s[30:31], s[28:29]
	s_cbranch_execz .LBB1511_100
; %bb.99:
	s_add_i32 s38, s47, 64
	s_mov_b32 s39, 0
	s_lshl_b64 s[40:41], s[38:39], 4
	s_add_u32 s40, s44, s40
	s_addc_u32 s41, s45, s41
	s_and_b32 s57, s48, 0xff000000
	s_mov_b32 s56, s39
	s_and_b32 s59, s48, 0xff0000
	s_mov_b32 s58, s39
	s_or_b64 s[56:57], s[58:59], s[56:57]
	s_and_b32 s59, s48, 0xff00
	s_or_b64 s[56:57], s[56:57], s[58:59]
	s_and_b32 s59, s48, 0xff
	s_or_b64 s[38:39], s[56:57], s[58:59]
	v_mov_b32_e32 v27, s39
	v_mov_b32_e32 v28, 1
	v_pk_mov_b32 v[30:31], s[40:41], s[40:41] op_sel:[0,1]
	;;#ASMSTART
	global_store_dwordx4 v[30:31], v[26:29] off	
s_waitcnt vmcnt(0)
	;;#ASMEND
.LBB1511_100:
	s_or_b64 exec, exec, s[30:31]
	v_xad_u32 v34, v48, -1, s47
	v_add_u32_e32 v28, 64, v34
	v_lshlrev_b64 v[30:31], 4, v[28:29]
	v_mov_b32_e32 v27, s45
	v_add_co_u32_e32 v36, vcc, s44, v30
	v_addc_co_u32_e32 v37, vcc, v27, v31, vcc
	;;#ASMSTART
	global_load_dwordx4 v[30:33], v[36:37] off glc	
s_waitcnt vmcnt(0)
	;;#ASMEND
	v_and_b32_e32 v27, 0xff0000, v30
	v_or_b32_sdwa v27, v30, v27 dst_sel:DWORD dst_unused:UNUSED_PAD src0_sel:WORD_0 src1_sel:DWORD
	v_and_b32_e32 v28, 0xff000000, v30
	v_and_b32_e32 v30, 0xff, v31
	v_or3_b32 v31, 0, 0, v30
	v_or3_b32 v30, v27, v28, 0
	v_cmp_eq_u16_sdwa s[38:39], v32, v29 src0_sel:BYTE_0 src1_sel:DWORD
	s_and_saveexec_b64 s[30:31], s[38:39]
	s_cbranch_execz .LBB1511_106
; %bb.101:
	s_mov_b32 s40, 1
	s_mov_b64 s[38:39], 0
	v_mov_b32_e32 v27, 0
.LBB1511_102:                           ; =>This Loop Header: Depth=1
                                        ;     Child Loop BB1511_103 Depth 2
	s_max_u32 s41, s40, 1
.LBB1511_103:                           ;   Parent Loop BB1511_102 Depth=1
                                        ; =>  This Inner Loop Header: Depth=2
	s_add_i32 s41, s41, -1
	s_cmp_eq_u32 s41, 0
	s_sleep 1
	s_cbranch_scc0 .LBB1511_103
; %bb.104:                              ;   in Loop: Header=BB1511_102 Depth=1
	s_cmp_lt_u32 s40, 32
	s_cselect_b64 s[56:57], -1, 0
	s_cmp_lg_u64 s[56:57], 0
	s_addc_u32 s40, s40, 0
	;;#ASMSTART
	global_load_dwordx4 v[30:33], v[36:37] off glc	
s_waitcnt vmcnt(0)
	;;#ASMEND
	v_cmp_ne_u16_sdwa s[56:57], v32, v27 src0_sel:BYTE_0 src1_sel:DWORD
	s_or_b64 s[38:39], s[56:57], s[38:39]
	s_andn2_b64 exec, exec, s[38:39]
	s_cbranch_execnz .LBB1511_102
; %bb.105:
	s_or_b64 exec, exec, s[38:39]
	v_and_b32_e32 v31, 0xff, v31
.LBB1511_106:
	s_or_b64 exec, exec, s[30:31]
	v_mov_b32_e32 v27, 2
	v_cmp_eq_u16_sdwa s[30:31], v32, v27 src0_sel:BYTE_0 src1_sel:DWORD
	v_lshlrev_b64 v[28:29], v48, -1
	v_and_b32_e32 v33, s31, v29
	v_or_b32_e32 v33, 0x80000000, v33
	v_and_b32_e32 v35, s30, v28
	v_ffbl_b32_e32 v33, v33
	v_and_b32_e32 v49, 63, v48
	v_add_u32_e32 v33, 32, v33
	v_ffbl_b32_e32 v35, v35
	v_cmp_ne_u32_e32 vcc, 63, v49
	v_min_u32_e32 v33, v35, v33
	v_addc_co_u32_e32 v35, vcc, 0, v48, vcc
	v_lshlrev_b32_e32 v50, 2, v35
	ds_bpermute_b32 v35, v50, v31
	ds_bpermute_b32 v36, v50, v30
	s_mov_b32 s38, 0
	v_and_b32_e32 v37, 1, v31
	s_mov_b32 s39, 1
	s_waitcnt lgkmcnt(1)
	v_and_b32_e32 v35, 1, v35
	v_cmp_eq_u32_e32 vcc, 1, v37
	v_cndmask_b32_e64 v35, v35, 1, vcc
	v_cmp_gt_u64_e32 vcc, s[38:39], v[30:31]
	v_cmp_lt_u32_e64 s[30:31], v49, v33
	s_and_b64 vcc, s[30:31], vcc
	v_and_b32_e32 v37, 0xffff, v35
	v_cndmask_b32_e64 v56, v31, v35, s[30:31]
	s_waitcnt lgkmcnt(0)
	v_cndmask_b32_e32 v35, 0, v36, vcc
	v_cmp_gt_u32_e32 vcc, 62, v49
	v_cndmask_b32_e64 v36, 0, 1, vcc
	v_lshlrev_b32_e32 v36, 1, v36
	v_cndmask_b32_e64 v31, v31, v37, s[30:31]
	v_add_lshl_u32 v51, v36, v48, 2
	ds_bpermute_b32 v36, v51, v31
	v_add_u32_e32 v30, v35, v30
	ds_bpermute_b32 v37, v51, v30
	v_and_b32_e32 v35, 1, v56
	v_cmp_eq_u32_e32 vcc, 1, v35
	s_waitcnt lgkmcnt(1)
	v_and_b32_e32 v36, 1, v36
	v_mov_b32_e32 v35, 0
	v_add_u32_e32 v55, 2, v49
	v_cndmask_b32_e64 v36, v36, 1, vcc
	v_cmp_eq_u16_sdwa vcc, v56, v35 src0_sel:BYTE_0 src1_sel:DWORD
	v_and_b32_e32 v57, 0xffff, v36
	s_waitcnt lgkmcnt(0)
	v_cndmask_b32_e32 v37, 0, v37, vcc
	v_cmp_gt_u32_e32 vcc, v55, v33
	v_cndmask_b32_e32 v36, v36, v56, vcc
	v_cndmask_b32_e64 v37, v37, 0, vcc
	v_cndmask_b32_e32 v31, v57, v31, vcc
	v_cmp_gt_u32_e32 vcc, 60, v49
	v_cndmask_b32_e64 v56, 0, 1, vcc
	v_lshlrev_b32_e32 v56, 2, v56
	v_add_lshl_u32 v56, v56, v48, 2
	ds_bpermute_b32 v58, v56, v31
	v_add_u32_e32 v30, v37, v30
	ds_bpermute_b32 v37, v56, v30
	v_and_b32_e32 v59, 1, v36
	v_cmp_eq_u32_e32 vcc, 1, v59
	s_waitcnt lgkmcnt(1)
	v_and_b32_e32 v58, 1, v58
	v_add_u32_e32 v57, 4, v49
	v_cndmask_b32_e64 v58, v58, 1, vcc
	v_cmp_eq_u16_sdwa vcc, v36, v35 src0_sel:BYTE_0 src1_sel:DWORD
	v_and_b32_e32 v59, 0xffff, v58
	s_waitcnt lgkmcnt(0)
	v_cndmask_b32_e32 v37, 0, v37, vcc
	v_cmp_gt_u32_e32 vcc, v57, v33
	v_cndmask_b32_e32 v36, v58, v36, vcc
	v_cndmask_b32_e64 v37, v37, 0, vcc
	v_cndmask_b32_e32 v31, v59, v31, vcc
	v_cmp_gt_u32_e32 vcc, 56, v49
	v_cndmask_b32_e64 v58, 0, 1, vcc
	v_lshlrev_b32_e32 v58, 3, v58
	v_add_lshl_u32 v58, v58, v48, 2
	ds_bpermute_b32 v60, v58, v31
	v_add_u32_e32 v30, v37, v30
	ds_bpermute_b32 v37, v58, v30
	v_and_b32_e32 v61, 1, v36
	v_cmp_eq_u32_e32 vcc, 1, v61
	s_waitcnt lgkmcnt(1)
	v_and_b32_e32 v60, 1, v60
	;; [unrolled: 21-line block ×4, first 2 shown]
	v_add_u32_e32 v64, 32, v49
	v_cndmask_b32_e64 v31, v31, 1, vcc
	v_cmp_eq_u16_sdwa vcc, v36, v35 src0_sel:BYTE_0 src1_sel:DWORD
	s_waitcnt lgkmcnt(0)
	v_cndmask_b32_e32 v37, 0, v37, vcc
	v_cmp_gt_u32_e32 vcc, v64, v33
	v_cndmask_b32_e64 v33, v37, 0, vcc
	v_cndmask_b32_e32 v31, v31, v36, vcc
	v_add_u32_e32 v30, v33, v30
	s_branch .LBB1511_108
.LBB1511_107:                           ;   in Loop: Header=BB1511_108 Depth=1
	s_or_b64 exec, exec, s[30:31]
	v_cmp_eq_u16_sdwa s[30:31], v32, v27 src0_sel:BYTE_0 src1_sel:DWORD
	v_and_b32_e32 v33, s31, v29
	ds_bpermute_b32 v37, v50, v31
	v_or_b32_e32 v33, 0x80000000, v33
	v_and_b32_e32 v36, s30, v28
	v_ffbl_b32_e32 v33, v33
	v_add_u32_e32 v33, 32, v33
	v_ffbl_b32_e32 v36, v36
	v_min_u32_e32 v33, v36, v33
	ds_bpermute_b32 v36, v50, v30
	v_and_b32_e32 v65, 1, v31
	s_waitcnt lgkmcnt(1)
	v_and_b32_e32 v37, 1, v37
	v_cmp_eq_u32_e32 vcc, 1, v65
	v_cndmask_b32_e64 v37, v37, 1, vcc
	v_cmp_gt_u64_e32 vcc, s[38:39], v[30:31]
	v_and_b32_e32 v65, 0xffff, v37
	v_cmp_lt_u32_e64 s[30:31], v49, v33
	v_cndmask_b32_e64 v37, v31, v37, s[30:31]
	v_cndmask_b32_e64 v31, v31, v65, s[30:31]
	s_and_b64 vcc, s[30:31], vcc
	ds_bpermute_b32 v65, v51, v31
	s_waitcnt lgkmcnt(1)
	v_cndmask_b32_e32 v36, 0, v36, vcc
	v_add_u32_e32 v30, v36, v30
	ds_bpermute_b32 v36, v51, v30
	v_and_b32_e32 v66, 1, v37
	s_waitcnt lgkmcnt(1)
	v_and_b32_e32 v65, 1, v65
	v_cmp_eq_u32_e32 vcc, 1, v66
	v_cndmask_b32_e64 v65, v65, 1, vcc
	v_cmp_eq_u16_sdwa vcc, v37, v35 src0_sel:BYTE_0 src1_sel:DWORD
	v_and_b32_e32 v66, 0xffff, v65
	s_waitcnt lgkmcnt(0)
	v_cndmask_b32_e32 v36, 0, v36, vcc
	v_cmp_gt_u32_e32 vcc, v55, v33
	v_cndmask_b32_e32 v31, v66, v31, vcc
	v_cndmask_b32_e32 v37, v65, v37, vcc
	ds_bpermute_b32 v65, v56, v31
	v_cndmask_b32_e64 v36, v36, 0, vcc
	v_add_u32_e32 v30, v36, v30
	ds_bpermute_b32 v36, v56, v30
	v_and_b32_e32 v66, 1, v37
	s_waitcnt lgkmcnt(1)
	v_and_b32_e32 v65, 1, v65
	v_cmp_eq_u32_e32 vcc, 1, v66
	v_cndmask_b32_e64 v65, v65, 1, vcc
	v_cmp_eq_u16_sdwa vcc, v37, v35 src0_sel:BYTE_0 src1_sel:DWORD
	v_and_b32_e32 v66, 0xffff, v65
	s_waitcnt lgkmcnt(0)
	v_cndmask_b32_e32 v36, 0, v36, vcc
	v_cmp_gt_u32_e32 vcc, v57, v33
	v_cndmask_b32_e32 v31, v66, v31, vcc
	v_cndmask_b32_e32 v37, v65, v37, vcc
	ds_bpermute_b32 v65, v58, v31
	v_cndmask_b32_e64 v36, v36, 0, vcc
	;; [unrolled: 16-line block ×3, first 2 shown]
	v_add_u32_e32 v30, v36, v30
	ds_bpermute_b32 v36, v60, v30
	v_and_b32_e32 v66, 1, v37
	s_waitcnt lgkmcnt(1)
	v_and_b32_e32 v65, 1, v65
	v_cmp_eq_u32_e32 vcc, 1, v66
	v_cndmask_b32_e64 v65, v65, 1, vcc
	v_cmp_eq_u16_sdwa vcc, v37, v35 src0_sel:BYTE_0 src1_sel:DWORD
	v_and_b32_e32 v66, 0xffff, v65
	s_waitcnt lgkmcnt(0)
	v_cndmask_b32_e32 v36, 0, v36, vcc
	v_cmp_gt_u32_e32 vcc, v61, v33
	v_cndmask_b32_e64 v36, v36, 0, vcc
	v_cndmask_b32_e32 v31, v66, v31, vcc
	ds_bpermute_b32 v31, v63, v31
	v_add_u32_e32 v30, v36, v30
	ds_bpermute_b32 v36, v63, v30
	v_cndmask_b32_e32 v37, v65, v37, vcc
	v_and_b32_e32 v65, 1, v37
	v_cmp_eq_u32_e32 vcc, 1, v65
	s_waitcnt lgkmcnt(1)
	v_cndmask_b32_e64 v31, v31, 1, vcc
	v_cmp_eq_u16_sdwa vcc, v37, v35 src0_sel:BYTE_0 src1_sel:DWORD
	s_waitcnt lgkmcnt(0)
	v_cndmask_b32_e32 v36, 0, v36, vcc
	v_cmp_gt_u32_e32 vcc, v64, v33
	v_cndmask_b32_e64 v33, v36, 0, vcc
	v_cndmask_b32_e32 v31, v31, v37, vcc
	v_add_u32_e32 v30, v33, v30
	v_cmp_eq_u16_sdwa vcc, v48, v35 src0_sel:BYTE_0 src1_sel:DWORD
	v_and_b32_e32 v33, 1, v48
	v_cndmask_b32_e32 v30, 0, v30, vcc
	v_and_b32_e32 v31, 1, v31
	v_cmp_eq_u32_e32 vcc, 1, v33
	v_subrev_u32_e32 v34, 64, v34
	v_add_u32_e32 v30, v30, v62
	v_cndmask_b32_e64 v31, v31, 1, vcc
.LBB1511_108:                           ; =>This Loop Header: Depth=1
                                        ;     Child Loop BB1511_111 Depth 2
                                        ;       Child Loop BB1511_112 Depth 3
	v_cmp_ne_u16_sdwa s[30:31], v32, v27 src0_sel:BYTE_0 src1_sel:DWORD
	v_mov_b32_e32 v48, v31
	v_cndmask_b32_e64 v31, 0, 1, s[30:31]
	;;#ASMSTART
	;;#ASMEND
	v_cmp_ne_u32_e32 vcc, 0, v31
	s_cmp_lg_u64 vcc, exec
	v_mov_b32_e32 v62, v30
	s_cbranch_scc1 .LBB1511_115
; %bb.109:                              ;   in Loop: Header=BB1511_108 Depth=1
	v_lshlrev_b64 v[30:31], 4, v[34:35]
	v_mov_b32_e32 v32, s45
	v_add_co_u32_e32 v36, vcc, s44, v30
	v_addc_co_u32_e32 v37, vcc, v32, v31, vcc
	;;#ASMSTART
	global_load_dwordx4 v[30:33], v[36:37] off glc	
s_waitcnt vmcnt(0)
	;;#ASMEND
	v_and_b32_e32 v33, 0xff0000, v30
	v_or_b32_sdwa v33, v30, v33 dst_sel:DWORD dst_unused:UNUSED_PAD src0_sel:WORD_0 src1_sel:DWORD
	v_and_b32_e32 v30, 0xff000000, v30
	v_and_b32_e32 v31, 0xff, v31
	v_or3_b32 v31, 0, 0, v31
	v_or3_b32 v30, v33, v30, 0
	v_cmp_eq_u16_sdwa s[40:41], v32, v35 src0_sel:BYTE_0 src1_sel:DWORD
	s_and_saveexec_b64 s[30:31], s[40:41]
	s_cbranch_execz .LBB1511_107
; %bb.110:                              ;   in Loop: Header=BB1511_108 Depth=1
	s_mov_b32 s49, 1
	s_mov_b64 s[40:41], 0
.LBB1511_111:                           ;   Parent Loop BB1511_108 Depth=1
                                        ; =>  This Loop Header: Depth=2
                                        ;       Child Loop BB1511_112 Depth 3
	s_max_u32 s55, s49, 1
.LBB1511_112:                           ;   Parent Loop BB1511_108 Depth=1
                                        ;     Parent Loop BB1511_111 Depth=2
                                        ; =>    This Inner Loop Header: Depth=3
	s_add_i32 s55, s55, -1
	s_cmp_eq_u32 s55, 0
	s_sleep 1
	s_cbranch_scc0 .LBB1511_112
; %bb.113:                              ;   in Loop: Header=BB1511_111 Depth=2
	s_cmp_lt_u32 s49, 32
	s_cselect_b64 s[56:57], -1, 0
	s_cmp_lg_u64 s[56:57], 0
	s_addc_u32 s49, s49, 0
	;;#ASMSTART
	global_load_dwordx4 v[30:33], v[36:37] off glc	
s_waitcnt vmcnt(0)
	;;#ASMEND
	v_cmp_ne_u16_sdwa s[56:57], v32, v35 src0_sel:BYTE_0 src1_sel:DWORD
	s_or_b64 s[40:41], s[56:57], s[40:41]
	s_andn2_b64 exec, exec, s[40:41]
	s_cbranch_execnz .LBB1511_111
; %bb.114:                              ;   in Loop: Header=BB1511_108 Depth=1
	s_or_b64 exec, exec, s[40:41]
	v_and_b32_e32 v31, 0xff, v31
	s_branch .LBB1511_107
.LBB1511_115:                           ;   in Loop: Header=BB1511_108 Depth=1
                                        ; implicit-def: $vgpr31
                                        ; implicit-def: $vgpr30
                                        ; implicit-def: $vgpr32
	s_cbranch_execz .LBB1511_108
; %bb.116:
	s_and_saveexec_b64 s[30:31], s[28:29]
	s_cbranch_execz .LBB1511_118
; %bb.117:
	s_and_b32 s38, s48, 0xff
	s_cmp_eq_u32 s38, 0
	s_cselect_b64 vcc, -1, 0
	s_bitcmp1_b32 s48, 0
	s_mov_b32 s39, 0
	s_cselect_b64 s[40:41], -1, 0
	s_add_i32 s38, s47, 64
	s_lshl_b64 s[38:39], s[38:39], 4
	v_cndmask_b32_e32 v27, 0, v62, vcc
	s_add_u32 s38, s44, s38
	v_add_u32_e32 v26, v27, v26
	v_and_b32_e32 v27, 1, v48
	s_addc_u32 s39, s45, s39
	v_mov_b32_e32 v29, 0
	v_cndmask_b32_e64 v27, v27, 1, s[40:41]
	v_mov_b32_e32 v28, 2
	v_pk_mov_b32 v[30:31], s[38:39], s[38:39] op_sel:[0,1]
	;;#ASMSTART
	global_store_dwordx4 v[30:31], v[26:29] off	
s_waitcnt vmcnt(0)
	;;#ASMEND
.LBB1511_118:
	s_or_b64 exec, exec, s[30:31]
	s_and_b64 exec, exec, s[0:1]
	s_cbranch_execz .LBB1511_120
; %bb.119:
	v_mov_b32_e32 v26, 0
	ds_write_b32 v26, v62 offset:24
	ds_write_b8 v26, v48 offset:28
.LBB1511_120:
	s_or_b64 exec, exec, s[36:37]
	v_mov_b32_e32 v28, 0
	s_waitcnt lgkmcnt(0)
	s_barrier
	ds_read_b32 v26, v28 offset:24
	v_cndmask_b32_e64 v27, v47, v45, s[28:29]
	v_cmp_eq_u16_sdwa vcc, v27, v28 src0_sel:BYTE_0 src1_sel:DWORD
	v_cndmask_b32_e64 v29, v46, v44, s[28:29]
	s_waitcnt lgkmcnt(0)
	v_cndmask_b32_e32 v27, 0, v26, vcc
	v_add_u32_e32 v27, v27, v29
	v_and_b32_e32 v29, 0xff, v41
	v_cndmask_b32_e64 v26, v27, v26, s[0:1]
	v_cmp_eq_u64_e32 vcc, 0, v[28:29]
	v_cndmask_b32_e32 v27, 0, v26, vcc
	v_add_u32_e32 v27, v27, v40
	v_cndmask_b32_e64 v28, 0, v27, s[4:5]
	v_add_u32_e32 v44, v28, v8
	v_cndmask_b32_e64 v28, 0, v44, s[6:7]
	;; [unrolled: 2-line block ×12, first 2 shown]
	v_add_u32_e32 v51, v28, v24
	s_branch .LBB1511_147
.LBB1511_121:
	s_or_b64 exec, exec, s[30:31]
                                        ; implicit-def: $vgpr14
	s_and_saveexec_b64 s[30:31], s[4:5]
	s_cbranch_execz .LBB1511_37
.LBB1511_122:
	v_add_co_u32_e32 v14, vcc, v1, v12
	v_addc_co_u32_e32 v15, vcc, 0, v48, vcc
	flat_load_dword v14, v[14:15] offset:1024
	s_or_b64 exec, exec, s[30:31]
                                        ; implicit-def: $vgpr15
	s_and_saveexec_b64 s[4:5], s[6:7]
	s_cbranch_execnz .LBB1511_38
.LBB1511_123:
	s_or_b64 exec, exec, s[4:5]
                                        ; implicit-def: $vgpr16
	s_and_saveexec_b64 s[4:5], s[8:9]
	s_cbranch_execz .LBB1511_39
.LBB1511_124:
	v_add_co_u32_e32 v16, vcc, v1, v12
	v_addc_co_u32_e32 v17, vcc, 0, v48, vcc
	flat_load_dword v16, v[16:17] offset:3072
	s_or_b64 exec, exec, s[4:5]
                                        ; implicit-def: $vgpr17
	s_and_saveexec_b64 s[4:5], s[10:11]
	s_cbranch_execnz .LBB1511_40
.LBB1511_125:
	s_or_b64 exec, exec, s[4:5]
                                        ; implicit-def: $vgpr2
	s_and_saveexec_b64 s[4:5], s[12:13]
	s_cbranch_execz .LBB1511_41
.LBB1511_126:
	v_lshlrev_b32_e32 v2, 2, v3
	v_add_co_u32_e32 v2, vcc, v1, v2
	v_addc_co_u32_e32 v3, vcc, 0, v48, vcc
	flat_load_dword v2, v[2:3]
	s_or_b64 exec, exec, s[4:5]
                                        ; implicit-def: $vgpr3
	s_and_saveexec_b64 s[4:5], s[14:15]
	s_cbranch_execnz .LBB1511_42
.LBB1511_127:
	s_or_b64 exec, exec, s[4:5]
                                        ; implicit-def: $vgpr4
	s_and_saveexec_b64 s[4:5], s[16:17]
	s_cbranch_execz .LBB1511_43
.LBB1511_128:
	v_lshlrev_b32_e32 v4, 2, v5
	v_add_co_u32_e32 v4, vcc, v1, v4
	v_addc_co_u32_e32 v5, vcc, 0, v48, vcc
	flat_load_dword v4, v[4:5]
	s_or_b64 exec, exec, s[4:5]
                                        ; implicit-def: $vgpr5
	s_and_saveexec_b64 s[4:5], s[18:19]
	s_cbranch_execnz .LBB1511_44
.LBB1511_129:
	s_or_b64 exec, exec, s[4:5]
                                        ; implicit-def: $vgpr6
	s_and_saveexec_b64 s[4:5], s[20:21]
	s_cbranch_execz .LBB1511_45
.LBB1511_130:
	v_lshlrev_b32_e32 v6, 2, v7
	v_add_co_u32_e32 v6, vcc, v1, v6
	v_addc_co_u32_e32 v7, vcc, 0, v48, vcc
	flat_load_dword v6, v[6:7]
	s_or_b64 exec, exec, s[4:5]
                                        ; implicit-def: $vgpr7
	s_and_saveexec_b64 s[4:5], s[22:23]
	s_cbranch_execnz .LBB1511_46
.LBB1511_131:
	s_or_b64 exec, exec, s[4:5]
                                        ; implicit-def: $vgpr8
	s_and_saveexec_b64 s[4:5], s[24:25]
	s_cbranch_execz .LBB1511_47
.LBB1511_132:
	v_lshlrev_b32_e32 v8, 2, v9
	v_add_co_u32_e32 v8, vcc, v1, v8
	v_addc_co_u32_e32 v9, vcc, 0, v48, vcc
	flat_load_dword v8, v[8:9]
	s_or_b64 exec, exec, s[4:5]
                                        ; implicit-def: $vgpr9
	s_and_saveexec_b64 s[4:5], s[26:27]
	s_cbranch_execz .LBB1511_49
	s_branch .LBB1511_48
.LBB1511_133:
                                        ; implicit-def: $vgpr51
                                        ; implicit-def: $vgpr49
                                        ; implicit-def: $vgpr47
                                        ; implicit-def: $vgpr45
                                        ; implicit-def: $vgpr34_vgpr35_vgpr36_vgpr37
                                        ; implicit-def: $vgpr30_vgpr31_vgpr32_vgpr33
                                        ; implicit-def: $vgpr26_vgpr27_vgpr28_vgpr29
	s_cbranch_execz .LBB1511_147
; %bb.134:
	s_cmp_lg_u64 s[52:53], 0
	s_cselect_b32 s5, s51, 0
	s_cselect_b32 s4, s50, 0
	s_mov_b32 s26, 0
	s_cmp_eq_u64 s[4:5], 0
	v_mov_b32_e32 v32, s54
	s_cbranch_scc1 .LBB1511_136
; %bb.135:
	v_mov_b32_e32 v26, 0
	global_load_dword v32, v26, s[4:5]
.LBB1511_136:
	s_mov_b32 s27, 1
	v_cmp_gt_u64_e32 vcc, s[26:27], v[8:9]
	v_cndmask_b32_e32 v27, 0, v40, vcc
	v_add_u32_e32 v27, v27, v8
	v_cmp_gt_u64_e64 s[4:5], s[26:27], v[6:7]
	v_cndmask_b32_e64 v27, 0, v27, s[4:5]
	v_add_u32_e32 v27, v27, v6
	v_cmp_gt_u64_e64 s[6:7], s[26:27], v[4:5]
	v_cndmask_b32_e64 v27, 0, v27, s[6:7]
	;; [unrolled: 3-line block ×11, first 2 shown]
	v_mov_b32_e32 v26, 0
	v_add_u32_e32 v27, v27, v24
	v_cmp_gt_u64_e64 s[26:27], s[26:27], v[42:43]
	v_or3_b32 v7, v23, v15, v7
	v_cndmask_b32_e64 v27, 0, v27, s[26:27]
	v_or3_b32 v9, v25, v17, v9
	v_and_b32_e32 v35, 1, v7
	v_mov_b32_e32 v34, v26
	v_add_u32_e32 v33, v27, v42
	v_and_b32_e32 v27, 1, v43
	v_or3_b32 v3, v19, v11, v3
	v_and_b32_e32 v31, 1, v9
	v_mov_b32_e32 v30, v26
	v_cmp_ne_u64_e64 s[28:29], 0, v[34:35]
	v_cmp_eq_u32_e64 s[26:27], 1, v27
	v_or3_b32 v5, v21, v13, v5
	v_and_b32_e32 v27, 1, v3
	v_cndmask_b32_e64 v3, 0, 1, s[28:29]
	v_cmp_ne_u64_e64 s[28:29], 0, v[30:31]
	v_and_b32_e32 v29, 1, v5
	v_mov_b32_e32 v28, v26
	v_cndmask_b32_e64 v5, 0, 1, s[28:29]
	v_lshlrev_b16_e32 v3, 2, v3
	v_lshlrev_b16_e32 v5, 3, v5
	v_cmp_ne_u64_e64 s[28:29], 0, v[28:29]
	v_or_b32_e32 v3, v5, v3
	v_cndmask_b32_e64 v5, 0, 1, s[28:29]
	v_cmp_ne_u64_e64 s[28:29], 0, v[26:27]
	v_lshlrev_b16_e32 v5, 1, v5
	v_cndmask_b32_e64 v7, 0, 1, s[28:29]
	v_or_b32_e32 v5, v7, v5
	v_and_b32_e32 v5, 3, v5
	v_or_b32_e32 v3, v5, v3
	v_and_b32_e32 v3, 15, v3
	v_cmp_ne_u16_e64 s[28:29], 0, v3
	s_or_b64 s[26:27], s[26:27], s[28:29]
	v_cndmask_b32_e64 v5, v41, 1, s[26:27]
	v_and_b32_e32 v7, 0xff, v5
	v_mov_b32_dpp v11, v33 row_shr:1 row_mask:0xf bank_mask:0xf
	v_cmp_eq_u16_e64 s[26:27], 0, v7
	v_mov_b32_dpp v13, v7 row_shr:1 row_mask:0xf bank_mask:0xf
	v_and_b32_e32 v15, 1, v5
	v_mbcnt_hi_u32_b32 v3, -1, v54
	v_cndmask_b32_e64 v11, 0, v11, s[26:27]
	v_and_b32_e32 v13, 1, v13
	v_cmp_eq_u32_e64 s[26:27], 1, v15
	v_and_b32_e32 v9, 15, v3
	v_cndmask_b32_e64 v13, v13, 1, s[26:27]
	v_and_b32_e32 v15, 0xffff, v13
	v_cmp_eq_u32_e64 s[26:27], 0, v9
	v_cndmask_b32_e64 v5, v13, v5, s[26:27]
	v_cndmask_b32_e64 v7, v15, v7, s[26:27]
	v_and_b32_e32 v17, 1, v5
	v_cndmask_b32_e64 v11, v11, 0, s[26:27]
	v_mov_b32_dpp v15, v7 row_shr:2 row_mask:0xf bank_mask:0xf
	v_and_b32_e32 v15, 1, v15
	v_cmp_eq_u32_e64 s[26:27], 1, v17
	v_cndmask_b32_e64 v15, v15, 1, s[26:27]
	v_and_b32_e32 v17, 0xffff, v15
	v_cmp_lt_u32_e64 s[26:27], 1, v9
	v_add_u32_e32 v11, v11, v33
	v_cmp_eq_u16_sdwa s[28:29], v5, v26 src0_sel:BYTE_0 src1_sel:DWORD
	v_cndmask_b32_e64 v5, v5, v15, s[26:27]
	v_cndmask_b32_e64 v7, v7, v17, s[26:27]
	v_mov_b32_dpp v13, v11 row_shr:2 row_mask:0xf bank_mask:0xf
	s_and_b64 s[26:27], s[26:27], s[28:29]
	v_mov_b32_dpp v15, v7 row_shr:4 row_mask:0xf bank_mask:0xf
	v_and_b32_e32 v17, 1, v5
	v_cndmask_b32_e64 v13, 0, v13, s[26:27]
	v_and_b32_e32 v15, 1, v15
	v_cmp_eq_u32_e64 s[26:27], 1, v17
	v_cndmask_b32_e64 v15, v15, 1, s[26:27]
	v_and_b32_e32 v17, 0xffff, v15
	v_cmp_lt_u32_e64 s[26:27], 3, v9
	v_add_u32_e32 v11, v13, v11
	v_cmp_eq_u16_sdwa s[28:29], v5, v26 src0_sel:BYTE_0 src1_sel:DWORD
	v_cndmask_b32_e64 v5, v5, v15, s[26:27]
	v_cndmask_b32_e64 v7, v7, v17, s[26:27]
	v_mov_b32_dpp v13, v11 row_shr:4 row_mask:0xf bank_mask:0xf
	s_and_b64 s[26:27], s[26:27], s[28:29]
	v_mov_b32_dpp v15, v7 row_shr:8 row_mask:0xf bank_mask:0xf
	v_and_b32_e32 v17, 1, v5
	v_cndmask_b32_e64 v13, 0, v13, s[26:27]
	v_and_b32_e32 v15, 1, v15
	v_cmp_eq_u32_e64 s[26:27], 1, v17
	v_cndmask_b32_e64 v15, v15, 1, s[26:27]
	v_add_u32_e32 v11, v13, v11
	v_cmp_eq_u16_sdwa s[28:29], v5, v26 src0_sel:BYTE_0 src1_sel:DWORD
	v_and_b32_e32 v17, 0xffff, v15
	v_cmp_lt_u32_e64 s[26:27], 7, v9
	v_mov_b32_dpp v13, v11 row_shr:8 row_mask:0xf bank_mask:0xf
	v_cndmask_b32_e64 v5, v5, v15, s[26:27]
	v_cndmask_b32_e64 v7, v7, v17, s[26:27]
	s_and_b64 s[26:27], s[26:27], s[28:29]
	v_cndmask_b32_e64 v9, 0, v13, s[26:27]
	v_add_u32_e32 v9, v9, v11
	v_mov_b32_dpp v13, v7 row_bcast:15 row_mask:0xf bank_mask:0xf
	v_cmp_eq_u16_sdwa s[26:27], v5, v26 src0_sel:BYTE_0 src1_sel:DWORD
	v_mov_b32_dpp v11, v9 row_bcast:15 row_mask:0xf bank_mask:0xf
	v_and_b32_e32 v19, 1, v5
	v_cndmask_b32_e64 v11, 0, v11, s[26:27]
	v_and_b32_e32 v13, 1, v13
	v_cmp_eq_u32_e64 s[26:27], 1, v19
	v_and_b32_e32 v17, 16, v3
	v_cndmask_b32_e64 v13, v13, 1, s[26:27]
	v_and_b32_e32 v19, 0xffff, v13
	v_cmp_eq_u32_e64 s[26:27], 0, v17
	v_cndmask_b32_e64 v5, v13, v5, s[26:27]
	v_cndmask_b32_e64 v7, v19, v7, s[26:27]
	v_bfe_i32 v15, v3, 4, 1
	v_and_b32_e32 v13, 1, v5
	v_mov_b32_dpp v7, v7 row_bcast:31 row_mask:0xf bank_mask:0xf
	v_and_b32_e32 v11, v15, v11
	v_and_b32_e32 v7, 1, v7
	v_cmp_eq_u32_e64 s[26:27], 1, v13
	v_add_u32_e32 v9, v11, v9
	v_cmp_eq_u16_sdwa s[28:29], v5, v26 src0_sel:BYTE_0 src1_sel:DWORD
	v_cndmask_b32_e64 v7, v7, 1, s[26:27]
	v_cmp_lt_u32_e64 s[26:27], 31, v3
	v_mov_b32_dpp v11, v9 row_bcast:31 row_mask:0xf bank_mask:0xf
	v_cndmask_b32_e64 v5, v5, v7, s[26:27]
	s_and_b64 s[26:27], s[26:27], s[28:29]
	v_cndmask_b32_e64 v7, 0, v11, s[26:27]
	v_add_u32_e32 v7, v7, v9
	v_cmp_eq_u32_e64 s[26:27], v53, v0
	s_and_saveexec_b64 s[28:29], s[26:27]
	s_cbranch_execz .LBB1511_138
; %bb.137:
	v_lshlrev_b32_e32 v9, 3, v1
	ds_write_b32 v9, v7
	ds_write_b8 v9, v5 offset:4
.LBB1511_138:
	s_or_b64 exec, exec, s[28:29]
	v_cmp_gt_u32_e64 s[26:27], 4, v0
	s_waitcnt lgkmcnt(0)
	s_barrier
	s_and_saveexec_b64 s[28:29], s[26:27]
	s_cbranch_execz .LBB1511_142
; %bb.139:
	v_lshlrev_b32_e32 v9, 3, v0
	ds_read_b64 v[26:27], v9
	v_and_b32_e32 v11, 3, v3
	v_cmp_ne_u32_e64 s[26:27], 0, v11
	s_waitcnt lgkmcnt(0)
	v_mov_b32_dpp v13, v26 row_shr:1 row_mask:0xf bank_mask:0xf
	v_mov_b32_dpp v17, v27 row_shr:1 row_mask:0xf bank_mask:0xf
	v_mov_b32_e32 v15, v27
	s_and_saveexec_b64 s[30:31], s[26:27]
	s_cbranch_execz .LBB1511_141
; %bb.140:
	v_and_b32_e32 v15, 1, v27
	v_and_b32_e32 v17, 1, v17
	v_cmp_eq_u32_e64 s[26:27], 1, v15
	v_mov_b32_e32 v15, 0
	v_cndmask_b32_e64 v17, v17, 1, s[26:27]
	v_cmp_eq_u16_sdwa s[26:27], v27, v15 src0_sel:BYTE_0 src1_sel:DWORD
	v_cndmask_b32_e64 v13, 0, v13, s[26:27]
	v_add_u32_e32 v26, v13, v26
	v_and_b32_e32 v13, 0xffff, v17
	s_movk_i32 s26, 0xff00
	v_and_or_b32 v15, v27, s26, v13
	v_mov_b32_e32 v27, v17
.LBB1511_141:
	s_or_b64 exec, exec, s[30:31]
	v_mov_b32_dpp v15, v15 row_shr:2 row_mask:0xf bank_mask:0xf
	v_and_b32_e32 v17, 1, v27
	v_and_b32_e32 v15, 1, v15
	v_cmp_eq_u32_e64 s[26:27], 1, v17
	v_mov_b32_e32 v17, 0
	v_cndmask_b32_e64 v15, v15, 1, s[26:27]
	v_cmp_eq_u16_sdwa s[30:31], v27, v17 src0_sel:BYTE_0 src1_sel:DWORD
	v_cmp_lt_u32_e64 s[26:27], 1, v11
	v_mov_b32_dpp v13, v26 row_shr:2 row_mask:0xf bank_mask:0xf
	v_cndmask_b32_e64 v11, v27, v15, s[26:27]
	s_and_b64 s[26:27], s[26:27], s[30:31]
	v_cndmask_b32_e64 v13, 0, v13, s[26:27]
	v_add_u32_e32 v13, v13, v26
	ds_write_b32 v9, v13
	ds_write_b8 v9, v11 offset:4
.LBB1511_142:
	s_or_b64 exec, exec, s[28:29]
	v_cmp_lt_u32_e64 s[26:27], 63, v0
	s_waitcnt vmcnt(0)
	v_mov_b32_e32 v9, v32
	s_waitcnt lgkmcnt(0)
	s_barrier
	s_and_saveexec_b64 s[28:29], s[26:27]
	s_cbranch_execz .LBB1511_144
; %bb.143:
	v_lshl_add_u32 v1, v1, 3, -8
	ds_read_u8 v9, v1 offset:4
	ds_read_b32 v1, v1
	s_waitcnt lgkmcnt(1)
	v_cmp_eq_u16_e64 s[26:27], 0, v9
	v_cndmask_b32_e64 v9, 0, v32, s[26:27]
	s_waitcnt lgkmcnt(0)
	v_add_u32_e32 v9, v9, v1
.LBB1511_144:
	s_or_b64 exec, exec, s[28:29]
	v_mov_b32_e32 v28, 0
	v_cmp_eq_u16_sdwa s[26:27], v5, v28 src0_sel:BYTE_0 src1_sel:DWORD
	v_cndmask_b32_e64 v1, 0, v9, s[26:27]
	v_add_u32_e32 v1, v1, v7
	v_add_u32_e32 v5, -1, v3
	v_and_b32_e32 v7, 64, v3
	v_cmp_lt_i32_e64 s[26:27], v5, v7
	v_cndmask_b32_e64 v5, v5, v3, s[26:27]
	v_lshlrev_b32_e32 v5, 2, v5
	ds_bpermute_b32 v1, v5, v1
	v_cmp_eq_u32_e64 s[26:27], 0, v3
	v_and_b32_e32 v29, 0xff, v41
	s_waitcnt lgkmcnt(0)
	v_cndmask_b32_e64 v26, v1, v9, s[26:27]
	v_cndmask_b32_e64 v1, v26, v32, s[0:1]
	v_cmp_eq_u64_e64 s[26:27], 0, v[28:29]
	v_cndmask_b32_e64 v1, 0, v1, s[26:27]
	v_add_u32_e32 v27, v1, v40
	v_cndmask_b32_e32 v1, 0, v27, vcc
	v_add_u32_e32 v44, v1, v8
	v_cndmask_b32_e64 v1, 0, v44, s[4:5]
	v_add_u32_e32 v45, v1, v6
	v_cndmask_b32_e64 v1, 0, v45, s[6:7]
	;; [unrolled: 2-line block ×11, first 2 shown]
	s_and_saveexec_b64 s[4:5], s[0:1]
	s_cbranch_execz .LBB1511_146
; %bb.145:
	ds_read_u8 v3, v28 offset:28
	ds_read_b32 v2, v28 offset:24
	s_add_u32 s0, s44, 0x400
	s_addc_u32 s1, s45, 0
	v_mov_b32_e32 v5, v28
	s_waitcnt lgkmcnt(1)
	v_cmp_eq_u16_e32 vcc, 0, v3
	v_cndmask_b32_e32 v4, 0, v32, vcc
	s_waitcnt lgkmcnt(0)
	v_add_u32_e32 v2, v4, v2
	v_and_b32_e32 v3, 0xffff, v3
	v_mov_b32_e32 v4, 2
	v_pk_mov_b32 v[6:7], s[0:1], s[0:1] op_sel:[0,1]
	;;#ASMSTART
	global_store_dwordx4 v[6:7], v[2:5] off	
s_waitcnt vmcnt(0)
	;;#ASMEND
	v_mov_b32_e32 v26, v32
.LBB1511_146:
	s_or_b64 exec, exec, s[4:5]
	v_add_u32_e32 v51, v1, v24
.LBB1511_147:
	s_add_u32 s0, s42, s34
	s_addc_u32 s1, s43, s35
	v_mov_b32_e32 v1, s1
	v_add_co_u32_e32 v18, vcc, s0, v38
	v_addc_co_u32_e32 v19, vcc, v1, v39, vcc
	v_mul_u32_u24_e32 v1, 14, v0
	s_and_b64 vcc, exec, s[2:3]
	v_lshlrev_b32_e32 v2, 2, v1
	s_cbranch_vccz .LBB1511_175
; %bb.148:
	s_movk_i32 s0, 0xffcc
	v_mad_i32_i24 v3, v0, s0, v2
	s_barrier
	ds_write2_b64 v2, v[26:27], v[44:45] offset1:1
	ds_write2_b64 v2, v[30:31], v[46:47] offset0:2 offset1:3
	ds_write2_b64 v2, v[34:35], v[48:49] offset0:4 offset1:5
	ds_write_b64 v2, v[50:51] offset:48
	s_waitcnt lgkmcnt(0)
	s_barrier
	ds_read2st64_b32 v[16:17], v3 offset0:4 offset1:8
	ds_read2st64_b32 v[14:15], v3 offset0:12 offset1:16
	ds_read2st64_b32 v[12:13], v3 offset0:20 offset1:24
	ds_read2st64_b32 v[10:11], v3 offset0:28 offset1:32
	ds_read2st64_b32 v[8:9], v3 offset0:36 offset1:40
	ds_read2st64_b32 v[4:5], v3 offset0:44 offset1:48
	ds_read_b32 v3, v3 offset:13312
	v_add_co_u32_e32 v6, vcc, v18, v52
	s_add_i32 s33, s33, s46
	v_addc_co_u32_e32 v7, vcc, 0, v19, vcc
	v_mov_b32_e32 v1, 0
	v_cmp_gt_u32_e32 vcc, s33, v0
	s_and_saveexec_b64 s[0:1], vcc
	s_cbranch_execz .LBB1511_150
; %bb.149:
	v_mul_i32_i24_e32 v20, 0xffffffcc, v0
	v_add_u32_e32 v20, v2, v20
	ds_read_b32 v20, v20
	s_waitcnt lgkmcnt(0)
	flat_store_dword v[6:7], v20
.LBB1511_150:
	s_or_b64 exec, exec, s[0:1]
	v_or_b32_e32 v20, 0x100, v0
	v_cmp_gt_u32_e32 vcc, s33, v20
	s_and_saveexec_b64 s[0:1], vcc
	s_cbranch_execz .LBB1511_152
; %bb.151:
	s_waitcnt lgkmcnt(0)
	flat_store_dword v[6:7], v16 offset:1024
.LBB1511_152:
	s_or_b64 exec, exec, s[0:1]
	s_waitcnt lgkmcnt(0)
	v_or_b32_e32 v16, 0x200, v0
	v_cmp_gt_u32_e32 vcc, s33, v16
	s_and_saveexec_b64 s[0:1], vcc
	s_cbranch_execz .LBB1511_154
; %bb.153:
	flat_store_dword v[6:7], v17 offset:2048
.LBB1511_154:
	s_or_b64 exec, exec, s[0:1]
	v_or_b32_e32 v16, 0x300, v0
	v_cmp_gt_u32_e32 vcc, s33, v16
	s_and_saveexec_b64 s[0:1], vcc
	s_cbranch_execz .LBB1511_156
; %bb.155:
	flat_store_dword v[6:7], v14 offset:3072
.LBB1511_156:
	s_or_b64 exec, exec, s[0:1]
	v_or_b32_e32 v14, 0x400, v0
	v_cmp_gt_u32_e32 vcc, s33, v14
	s_and_saveexec_b64 s[0:1], vcc
	s_cbranch_execz .LBB1511_158
; %bb.157:
	v_add_co_u32_e32 v16, vcc, 0x1000, v6
	v_addc_co_u32_e32 v17, vcc, 0, v7, vcc
	flat_store_dword v[16:17], v15
.LBB1511_158:
	s_or_b64 exec, exec, s[0:1]
	v_or_b32_e32 v14, 0x500, v0
	v_cmp_gt_u32_e32 vcc, s33, v14
	s_and_saveexec_b64 s[0:1], vcc
	s_cbranch_execz .LBB1511_160
; %bb.159:
	v_add_co_u32_e32 v14, vcc, 0x1000, v6
	v_addc_co_u32_e32 v15, vcc, 0, v7, vcc
	flat_store_dword v[14:15], v12 offset:1024
.LBB1511_160:
	s_or_b64 exec, exec, s[0:1]
	v_or_b32_e32 v12, 0x600, v0
	v_cmp_gt_u32_e32 vcc, s33, v12
	s_and_saveexec_b64 s[0:1], vcc
	s_cbranch_execz .LBB1511_162
; %bb.161:
	v_add_co_u32_e32 v14, vcc, 0x1000, v6
	v_addc_co_u32_e32 v15, vcc, 0, v7, vcc
	flat_store_dword v[14:15], v13 offset:2048
.LBB1511_162:
	;; [unrolled: 10-line block ×3, first 2 shown]
	s_or_b64 exec, exec, s[0:1]
	v_or_b32_e32 v10, 0x800, v0
	v_cmp_gt_u32_e32 vcc, s33, v10
	s_and_saveexec_b64 s[0:1], vcc
	s_cbranch_execz .LBB1511_166
; %bb.165:
	v_add_co_u32_e32 v12, vcc, 0x2000, v6
	v_addc_co_u32_e32 v13, vcc, 0, v7, vcc
	flat_store_dword v[12:13], v11
.LBB1511_166:
	s_or_b64 exec, exec, s[0:1]
	v_or_b32_e32 v10, 0x900, v0
	v_cmp_gt_u32_e32 vcc, s33, v10
	s_and_saveexec_b64 s[0:1], vcc
	s_cbranch_execz .LBB1511_168
; %bb.167:
	v_add_co_u32_e32 v10, vcc, 0x2000, v6
	v_addc_co_u32_e32 v11, vcc, 0, v7, vcc
	flat_store_dword v[10:11], v8 offset:1024
.LBB1511_168:
	s_or_b64 exec, exec, s[0:1]
	v_or_b32_e32 v8, 0xa00, v0
	v_cmp_gt_u32_e32 vcc, s33, v8
	s_and_saveexec_b64 s[0:1], vcc
	s_cbranch_execz .LBB1511_170
; %bb.169:
	v_add_co_u32_e32 v10, vcc, 0x2000, v6
	v_addc_co_u32_e32 v11, vcc, 0, v7, vcc
	flat_store_dword v[10:11], v9 offset:2048
.LBB1511_170:
	;; [unrolled: 10-line block ×3, first 2 shown]
	s_or_b64 exec, exec, s[0:1]
	v_or_b32_e32 v4, 0xc00, v0
	v_cmp_gt_u32_e32 vcc, s33, v4
	s_and_saveexec_b64 s[0:1], vcc
	s_cbranch_execz .LBB1511_174
; %bb.173:
	v_add_co_u32_e32 v6, vcc, 0x3000, v6
	v_addc_co_u32_e32 v7, vcc, 0, v7, vcc
	flat_store_dword v[6:7], v5
.LBB1511_174:
	s_or_b64 exec, exec, s[0:1]
	v_or_b32_e32 v4, 0xd00, v0
	v_cmp_gt_u32_e64 s[0:1], s33, v4
	s_branch .LBB1511_177
.LBB1511_175:
	s_mov_b64 s[0:1], 0
                                        ; implicit-def: $vgpr3
	s_cbranch_execz .LBB1511_177
; %bb.176:
	s_movk_i32 s2, 0xffcc
	s_waitcnt lgkmcnt(0)
	s_barrier
	ds_write2_b64 v2, v[26:27], v[44:45] offset1:1
	ds_write2_b64 v2, v[30:31], v[46:47] offset0:2 offset1:3
	ds_write2_b64 v2, v[34:35], v[48:49] offset0:4 offset1:5
	ds_write_b64 v2, v[50:51] offset:48
	v_mad_i32_i24 v2, v0, s2, v2
	v_add_co_u32_e32 v16, vcc, v18, v52
	s_waitcnt lgkmcnt(0)
	s_barrier
	ds_read2st64_b32 v[4:5], v2 offset1:4
	ds_read2st64_b32 v[6:7], v2 offset0:8 offset1:12
	ds_read2st64_b32 v[8:9], v2 offset0:16 offset1:20
	;; [unrolled: 1-line block ×6, first 2 shown]
	v_addc_co_u32_e32 v17, vcc, 0, v19, vcc
	s_movk_i32 s2, 0x1000
	s_waitcnt lgkmcnt(0)
	flat_store_dword v[16:17], v4
	flat_store_dword v[16:17], v5 offset:1024
	flat_store_dword v[16:17], v6 offset:2048
	;; [unrolled: 1-line block ×3, first 2 shown]
	v_add_co_u32_e32 v4, vcc, s2, v16
	v_addc_co_u32_e32 v5, vcc, 0, v17, vcc
	flat_store_dword v[4:5], v8
	flat_store_dword v[4:5], v9 offset:1024
	flat_store_dword v[4:5], v10 offset:2048
	;; [unrolled: 1-line block ×3, first 2 shown]
	v_add_co_u32_e32 v4, vcc, 0x2000, v16
	v_addc_co_u32_e32 v5, vcc, 0, v17, vcc
	flat_store_dword v[4:5], v12
	flat_store_dword v[4:5], v13 offset:1024
	flat_store_dword v[4:5], v14 offset:2048
	;; [unrolled: 1-line block ×3, first 2 shown]
	v_add_co_u32_e32 v4, vcc, 0x3000, v16
	v_mov_b32_e32 v1, 0
	v_addc_co_u32_e32 v5, vcc, 0, v17, vcc
	s_or_b64 s[0:1], s[0:1], exec
	flat_store_dword v[4:5], v2
.LBB1511_177:
	s_and_saveexec_b64 s[2:3], s[0:1]
	s_cbranch_execz .LBB1511_179
; %bb.178:
	v_lshlrev_b64 v[0:1], 2, v[0:1]
	v_add_co_u32_e32 v0, vcc, v18, v0
	v_addc_co_u32_e32 v1, vcc, v19, v1, vcc
	v_add_co_u32_e32 v0, vcc, 0x3000, v0
	v_addc_co_u32_e32 v1, vcc, 0, v1, vcc
	flat_store_dword v[0:1], v3 offset:1024
	s_endpgm
.LBB1511_179:
	s_endpgm
	.section	.rodata,"a",@progbits
	.p2align	6, 0x0
	.amdhsa_kernel _ZN7rocprim17ROCPRIM_400000_NS6detail17trampoline_kernelINS0_14default_configENS1_27scan_by_key_config_selectorIijEEZZNS1_16scan_by_key_implILNS1_25lookback_scan_determinismE0ELb1ES3_N6thrust23THRUST_200600_302600_NS6detail15normal_iteratorINS9_10device_ptrIiEEEENSB_INSC_IjEEEESG_jNS9_4plusIvEENS9_8equal_toIvEEjEE10hipError_tPvRmT2_T3_T4_T5_mT6_T7_P12ihipStream_tbENKUlT_T0_E_clISt17integral_constantIbLb1EES11_EEDaSW_SX_EUlSW_E_NS1_11comp_targetILNS1_3genE4ELNS1_11target_archE910ELNS1_3gpuE8ELNS1_3repE0EEENS1_30default_config_static_selectorELNS0_4arch9wavefront6targetE1EEEvT1_
		.amdhsa_group_segment_fixed_size 16384
		.amdhsa_private_segment_fixed_size 0
		.amdhsa_kernarg_size 112
		.amdhsa_user_sgpr_count 6
		.amdhsa_user_sgpr_private_segment_buffer 1
		.amdhsa_user_sgpr_dispatch_ptr 0
		.amdhsa_user_sgpr_queue_ptr 0
		.amdhsa_user_sgpr_kernarg_segment_ptr 1
		.amdhsa_user_sgpr_dispatch_id 0
		.amdhsa_user_sgpr_flat_scratch_init 0
		.amdhsa_user_sgpr_kernarg_preload_length 0
		.amdhsa_user_sgpr_kernarg_preload_offset 0
		.amdhsa_user_sgpr_private_segment_size 0
		.amdhsa_uses_dynamic_stack 0
		.amdhsa_system_sgpr_private_segment_wavefront_offset 0
		.amdhsa_system_sgpr_workgroup_id_x 1
		.amdhsa_system_sgpr_workgroup_id_y 0
		.amdhsa_system_sgpr_workgroup_id_z 0
		.amdhsa_system_sgpr_workgroup_info 0
		.amdhsa_system_vgpr_workitem_id 0
		.amdhsa_next_free_vgpr 67
		.amdhsa_next_free_sgpr 60
		.amdhsa_accum_offset 68
		.amdhsa_reserve_vcc 1
		.amdhsa_reserve_flat_scratch 0
		.amdhsa_float_round_mode_32 0
		.amdhsa_float_round_mode_16_64 0
		.amdhsa_float_denorm_mode_32 3
		.amdhsa_float_denorm_mode_16_64 3
		.amdhsa_dx10_clamp 1
		.amdhsa_ieee_mode 1
		.amdhsa_fp16_overflow 0
		.amdhsa_tg_split 0
		.amdhsa_exception_fp_ieee_invalid_op 0
		.amdhsa_exception_fp_denorm_src 0
		.amdhsa_exception_fp_ieee_div_zero 0
		.amdhsa_exception_fp_ieee_overflow 0
		.amdhsa_exception_fp_ieee_underflow 0
		.amdhsa_exception_fp_ieee_inexact 0
		.amdhsa_exception_int_div_zero 0
	.end_amdhsa_kernel
	.section	.text._ZN7rocprim17ROCPRIM_400000_NS6detail17trampoline_kernelINS0_14default_configENS1_27scan_by_key_config_selectorIijEEZZNS1_16scan_by_key_implILNS1_25lookback_scan_determinismE0ELb1ES3_N6thrust23THRUST_200600_302600_NS6detail15normal_iteratorINS9_10device_ptrIiEEEENSB_INSC_IjEEEESG_jNS9_4plusIvEENS9_8equal_toIvEEjEE10hipError_tPvRmT2_T3_T4_T5_mT6_T7_P12ihipStream_tbENKUlT_T0_E_clISt17integral_constantIbLb1EES11_EEDaSW_SX_EUlSW_E_NS1_11comp_targetILNS1_3genE4ELNS1_11target_archE910ELNS1_3gpuE8ELNS1_3repE0EEENS1_30default_config_static_selectorELNS0_4arch9wavefront6targetE1EEEvT1_,"axG",@progbits,_ZN7rocprim17ROCPRIM_400000_NS6detail17trampoline_kernelINS0_14default_configENS1_27scan_by_key_config_selectorIijEEZZNS1_16scan_by_key_implILNS1_25lookback_scan_determinismE0ELb1ES3_N6thrust23THRUST_200600_302600_NS6detail15normal_iteratorINS9_10device_ptrIiEEEENSB_INSC_IjEEEESG_jNS9_4plusIvEENS9_8equal_toIvEEjEE10hipError_tPvRmT2_T3_T4_T5_mT6_T7_P12ihipStream_tbENKUlT_T0_E_clISt17integral_constantIbLb1EES11_EEDaSW_SX_EUlSW_E_NS1_11comp_targetILNS1_3genE4ELNS1_11target_archE910ELNS1_3gpuE8ELNS1_3repE0EEENS1_30default_config_static_selectorELNS0_4arch9wavefront6targetE1EEEvT1_,comdat
.Lfunc_end1511:
	.size	_ZN7rocprim17ROCPRIM_400000_NS6detail17trampoline_kernelINS0_14default_configENS1_27scan_by_key_config_selectorIijEEZZNS1_16scan_by_key_implILNS1_25lookback_scan_determinismE0ELb1ES3_N6thrust23THRUST_200600_302600_NS6detail15normal_iteratorINS9_10device_ptrIiEEEENSB_INSC_IjEEEESG_jNS9_4plusIvEENS9_8equal_toIvEEjEE10hipError_tPvRmT2_T3_T4_T5_mT6_T7_P12ihipStream_tbENKUlT_T0_E_clISt17integral_constantIbLb1EES11_EEDaSW_SX_EUlSW_E_NS1_11comp_targetILNS1_3genE4ELNS1_11target_archE910ELNS1_3gpuE8ELNS1_3repE0EEENS1_30default_config_static_selectorELNS0_4arch9wavefront6targetE1EEEvT1_, .Lfunc_end1511-_ZN7rocprim17ROCPRIM_400000_NS6detail17trampoline_kernelINS0_14default_configENS1_27scan_by_key_config_selectorIijEEZZNS1_16scan_by_key_implILNS1_25lookback_scan_determinismE0ELb1ES3_N6thrust23THRUST_200600_302600_NS6detail15normal_iteratorINS9_10device_ptrIiEEEENSB_INSC_IjEEEESG_jNS9_4plusIvEENS9_8equal_toIvEEjEE10hipError_tPvRmT2_T3_T4_T5_mT6_T7_P12ihipStream_tbENKUlT_T0_E_clISt17integral_constantIbLb1EES11_EEDaSW_SX_EUlSW_E_NS1_11comp_targetILNS1_3genE4ELNS1_11target_archE910ELNS1_3gpuE8ELNS1_3repE0EEENS1_30default_config_static_selectorELNS0_4arch9wavefront6targetE1EEEvT1_
                                        ; -- End function
	.section	.AMDGPU.csdata,"",@progbits
; Kernel info:
; codeLenInByte = 11288
; NumSgprs: 64
; NumVgprs: 67
; NumAgprs: 0
; TotalNumVgprs: 67
; ScratchSize: 0
; MemoryBound: 0
; FloatMode: 240
; IeeeMode: 1
; LDSByteSize: 16384 bytes/workgroup (compile time only)
; SGPRBlocks: 7
; VGPRBlocks: 8
; NumSGPRsForWavesPerEU: 64
; NumVGPRsForWavesPerEU: 67
; AccumOffset: 68
; Occupancy: 4
; WaveLimiterHint : 1
; COMPUTE_PGM_RSRC2:SCRATCH_EN: 0
; COMPUTE_PGM_RSRC2:USER_SGPR: 6
; COMPUTE_PGM_RSRC2:TRAP_HANDLER: 0
; COMPUTE_PGM_RSRC2:TGID_X_EN: 1
; COMPUTE_PGM_RSRC2:TGID_Y_EN: 0
; COMPUTE_PGM_RSRC2:TGID_Z_EN: 0
; COMPUTE_PGM_RSRC2:TIDIG_COMP_CNT: 0
; COMPUTE_PGM_RSRC3_GFX90A:ACCUM_OFFSET: 16
; COMPUTE_PGM_RSRC3_GFX90A:TG_SPLIT: 0
	.section	.text._ZN7rocprim17ROCPRIM_400000_NS6detail17trampoline_kernelINS0_14default_configENS1_27scan_by_key_config_selectorIijEEZZNS1_16scan_by_key_implILNS1_25lookback_scan_determinismE0ELb1ES3_N6thrust23THRUST_200600_302600_NS6detail15normal_iteratorINS9_10device_ptrIiEEEENSB_INSC_IjEEEESG_jNS9_4plusIvEENS9_8equal_toIvEEjEE10hipError_tPvRmT2_T3_T4_T5_mT6_T7_P12ihipStream_tbENKUlT_T0_E_clISt17integral_constantIbLb1EES11_EEDaSW_SX_EUlSW_E_NS1_11comp_targetILNS1_3genE3ELNS1_11target_archE908ELNS1_3gpuE7ELNS1_3repE0EEENS1_30default_config_static_selectorELNS0_4arch9wavefront6targetE1EEEvT1_,"axG",@progbits,_ZN7rocprim17ROCPRIM_400000_NS6detail17trampoline_kernelINS0_14default_configENS1_27scan_by_key_config_selectorIijEEZZNS1_16scan_by_key_implILNS1_25lookback_scan_determinismE0ELb1ES3_N6thrust23THRUST_200600_302600_NS6detail15normal_iteratorINS9_10device_ptrIiEEEENSB_INSC_IjEEEESG_jNS9_4plusIvEENS9_8equal_toIvEEjEE10hipError_tPvRmT2_T3_T4_T5_mT6_T7_P12ihipStream_tbENKUlT_T0_E_clISt17integral_constantIbLb1EES11_EEDaSW_SX_EUlSW_E_NS1_11comp_targetILNS1_3genE3ELNS1_11target_archE908ELNS1_3gpuE7ELNS1_3repE0EEENS1_30default_config_static_selectorELNS0_4arch9wavefront6targetE1EEEvT1_,comdat
	.protected	_ZN7rocprim17ROCPRIM_400000_NS6detail17trampoline_kernelINS0_14default_configENS1_27scan_by_key_config_selectorIijEEZZNS1_16scan_by_key_implILNS1_25lookback_scan_determinismE0ELb1ES3_N6thrust23THRUST_200600_302600_NS6detail15normal_iteratorINS9_10device_ptrIiEEEENSB_INSC_IjEEEESG_jNS9_4plusIvEENS9_8equal_toIvEEjEE10hipError_tPvRmT2_T3_T4_T5_mT6_T7_P12ihipStream_tbENKUlT_T0_E_clISt17integral_constantIbLb1EES11_EEDaSW_SX_EUlSW_E_NS1_11comp_targetILNS1_3genE3ELNS1_11target_archE908ELNS1_3gpuE7ELNS1_3repE0EEENS1_30default_config_static_selectorELNS0_4arch9wavefront6targetE1EEEvT1_ ; -- Begin function _ZN7rocprim17ROCPRIM_400000_NS6detail17trampoline_kernelINS0_14default_configENS1_27scan_by_key_config_selectorIijEEZZNS1_16scan_by_key_implILNS1_25lookback_scan_determinismE0ELb1ES3_N6thrust23THRUST_200600_302600_NS6detail15normal_iteratorINS9_10device_ptrIiEEEENSB_INSC_IjEEEESG_jNS9_4plusIvEENS9_8equal_toIvEEjEE10hipError_tPvRmT2_T3_T4_T5_mT6_T7_P12ihipStream_tbENKUlT_T0_E_clISt17integral_constantIbLb1EES11_EEDaSW_SX_EUlSW_E_NS1_11comp_targetILNS1_3genE3ELNS1_11target_archE908ELNS1_3gpuE7ELNS1_3repE0EEENS1_30default_config_static_selectorELNS0_4arch9wavefront6targetE1EEEvT1_
	.globl	_ZN7rocprim17ROCPRIM_400000_NS6detail17trampoline_kernelINS0_14default_configENS1_27scan_by_key_config_selectorIijEEZZNS1_16scan_by_key_implILNS1_25lookback_scan_determinismE0ELb1ES3_N6thrust23THRUST_200600_302600_NS6detail15normal_iteratorINS9_10device_ptrIiEEEENSB_INSC_IjEEEESG_jNS9_4plusIvEENS9_8equal_toIvEEjEE10hipError_tPvRmT2_T3_T4_T5_mT6_T7_P12ihipStream_tbENKUlT_T0_E_clISt17integral_constantIbLb1EES11_EEDaSW_SX_EUlSW_E_NS1_11comp_targetILNS1_3genE3ELNS1_11target_archE908ELNS1_3gpuE7ELNS1_3repE0EEENS1_30default_config_static_selectorELNS0_4arch9wavefront6targetE1EEEvT1_
	.p2align	8
	.type	_ZN7rocprim17ROCPRIM_400000_NS6detail17trampoline_kernelINS0_14default_configENS1_27scan_by_key_config_selectorIijEEZZNS1_16scan_by_key_implILNS1_25lookback_scan_determinismE0ELb1ES3_N6thrust23THRUST_200600_302600_NS6detail15normal_iteratorINS9_10device_ptrIiEEEENSB_INSC_IjEEEESG_jNS9_4plusIvEENS9_8equal_toIvEEjEE10hipError_tPvRmT2_T3_T4_T5_mT6_T7_P12ihipStream_tbENKUlT_T0_E_clISt17integral_constantIbLb1EES11_EEDaSW_SX_EUlSW_E_NS1_11comp_targetILNS1_3genE3ELNS1_11target_archE908ELNS1_3gpuE7ELNS1_3repE0EEENS1_30default_config_static_selectorELNS0_4arch9wavefront6targetE1EEEvT1_,@function
_ZN7rocprim17ROCPRIM_400000_NS6detail17trampoline_kernelINS0_14default_configENS1_27scan_by_key_config_selectorIijEEZZNS1_16scan_by_key_implILNS1_25lookback_scan_determinismE0ELb1ES3_N6thrust23THRUST_200600_302600_NS6detail15normal_iteratorINS9_10device_ptrIiEEEENSB_INSC_IjEEEESG_jNS9_4plusIvEENS9_8equal_toIvEEjEE10hipError_tPvRmT2_T3_T4_T5_mT6_T7_P12ihipStream_tbENKUlT_T0_E_clISt17integral_constantIbLb1EES11_EEDaSW_SX_EUlSW_E_NS1_11comp_targetILNS1_3genE3ELNS1_11target_archE908ELNS1_3gpuE7ELNS1_3repE0EEENS1_30default_config_static_selectorELNS0_4arch9wavefront6targetE1EEEvT1_: ; @_ZN7rocprim17ROCPRIM_400000_NS6detail17trampoline_kernelINS0_14default_configENS1_27scan_by_key_config_selectorIijEEZZNS1_16scan_by_key_implILNS1_25lookback_scan_determinismE0ELb1ES3_N6thrust23THRUST_200600_302600_NS6detail15normal_iteratorINS9_10device_ptrIiEEEENSB_INSC_IjEEEESG_jNS9_4plusIvEENS9_8equal_toIvEEjEE10hipError_tPvRmT2_T3_T4_T5_mT6_T7_P12ihipStream_tbENKUlT_T0_E_clISt17integral_constantIbLb1EES11_EEDaSW_SX_EUlSW_E_NS1_11comp_targetILNS1_3genE3ELNS1_11target_archE908ELNS1_3gpuE7ELNS1_3repE0EEENS1_30default_config_static_selectorELNS0_4arch9wavefront6targetE1EEEvT1_
; %bb.0:
	.section	.rodata,"a",@progbits
	.p2align	6, 0x0
	.amdhsa_kernel _ZN7rocprim17ROCPRIM_400000_NS6detail17trampoline_kernelINS0_14default_configENS1_27scan_by_key_config_selectorIijEEZZNS1_16scan_by_key_implILNS1_25lookback_scan_determinismE0ELb1ES3_N6thrust23THRUST_200600_302600_NS6detail15normal_iteratorINS9_10device_ptrIiEEEENSB_INSC_IjEEEESG_jNS9_4plusIvEENS9_8equal_toIvEEjEE10hipError_tPvRmT2_T3_T4_T5_mT6_T7_P12ihipStream_tbENKUlT_T0_E_clISt17integral_constantIbLb1EES11_EEDaSW_SX_EUlSW_E_NS1_11comp_targetILNS1_3genE3ELNS1_11target_archE908ELNS1_3gpuE7ELNS1_3repE0EEENS1_30default_config_static_selectorELNS0_4arch9wavefront6targetE1EEEvT1_
		.amdhsa_group_segment_fixed_size 0
		.amdhsa_private_segment_fixed_size 0
		.amdhsa_kernarg_size 112
		.amdhsa_user_sgpr_count 6
		.amdhsa_user_sgpr_private_segment_buffer 1
		.amdhsa_user_sgpr_dispatch_ptr 0
		.amdhsa_user_sgpr_queue_ptr 0
		.amdhsa_user_sgpr_kernarg_segment_ptr 1
		.amdhsa_user_sgpr_dispatch_id 0
		.amdhsa_user_sgpr_flat_scratch_init 0
		.amdhsa_user_sgpr_kernarg_preload_length 0
		.amdhsa_user_sgpr_kernarg_preload_offset 0
		.amdhsa_user_sgpr_private_segment_size 0
		.amdhsa_uses_dynamic_stack 0
		.amdhsa_system_sgpr_private_segment_wavefront_offset 0
		.amdhsa_system_sgpr_workgroup_id_x 1
		.amdhsa_system_sgpr_workgroup_id_y 0
		.amdhsa_system_sgpr_workgroup_id_z 0
		.amdhsa_system_sgpr_workgroup_info 0
		.amdhsa_system_vgpr_workitem_id 0
		.amdhsa_next_free_vgpr 1
		.amdhsa_next_free_sgpr 0
		.amdhsa_accum_offset 4
		.amdhsa_reserve_vcc 0
		.amdhsa_reserve_flat_scratch 0
		.amdhsa_float_round_mode_32 0
		.amdhsa_float_round_mode_16_64 0
		.amdhsa_float_denorm_mode_32 3
		.amdhsa_float_denorm_mode_16_64 3
		.amdhsa_dx10_clamp 1
		.amdhsa_ieee_mode 1
		.amdhsa_fp16_overflow 0
		.amdhsa_tg_split 0
		.amdhsa_exception_fp_ieee_invalid_op 0
		.amdhsa_exception_fp_denorm_src 0
		.amdhsa_exception_fp_ieee_div_zero 0
		.amdhsa_exception_fp_ieee_overflow 0
		.amdhsa_exception_fp_ieee_underflow 0
		.amdhsa_exception_fp_ieee_inexact 0
		.amdhsa_exception_int_div_zero 0
	.end_amdhsa_kernel
	.section	.text._ZN7rocprim17ROCPRIM_400000_NS6detail17trampoline_kernelINS0_14default_configENS1_27scan_by_key_config_selectorIijEEZZNS1_16scan_by_key_implILNS1_25lookback_scan_determinismE0ELb1ES3_N6thrust23THRUST_200600_302600_NS6detail15normal_iteratorINS9_10device_ptrIiEEEENSB_INSC_IjEEEESG_jNS9_4plusIvEENS9_8equal_toIvEEjEE10hipError_tPvRmT2_T3_T4_T5_mT6_T7_P12ihipStream_tbENKUlT_T0_E_clISt17integral_constantIbLb1EES11_EEDaSW_SX_EUlSW_E_NS1_11comp_targetILNS1_3genE3ELNS1_11target_archE908ELNS1_3gpuE7ELNS1_3repE0EEENS1_30default_config_static_selectorELNS0_4arch9wavefront6targetE1EEEvT1_,"axG",@progbits,_ZN7rocprim17ROCPRIM_400000_NS6detail17trampoline_kernelINS0_14default_configENS1_27scan_by_key_config_selectorIijEEZZNS1_16scan_by_key_implILNS1_25lookback_scan_determinismE0ELb1ES3_N6thrust23THRUST_200600_302600_NS6detail15normal_iteratorINS9_10device_ptrIiEEEENSB_INSC_IjEEEESG_jNS9_4plusIvEENS9_8equal_toIvEEjEE10hipError_tPvRmT2_T3_T4_T5_mT6_T7_P12ihipStream_tbENKUlT_T0_E_clISt17integral_constantIbLb1EES11_EEDaSW_SX_EUlSW_E_NS1_11comp_targetILNS1_3genE3ELNS1_11target_archE908ELNS1_3gpuE7ELNS1_3repE0EEENS1_30default_config_static_selectorELNS0_4arch9wavefront6targetE1EEEvT1_,comdat
.Lfunc_end1512:
	.size	_ZN7rocprim17ROCPRIM_400000_NS6detail17trampoline_kernelINS0_14default_configENS1_27scan_by_key_config_selectorIijEEZZNS1_16scan_by_key_implILNS1_25lookback_scan_determinismE0ELb1ES3_N6thrust23THRUST_200600_302600_NS6detail15normal_iteratorINS9_10device_ptrIiEEEENSB_INSC_IjEEEESG_jNS9_4plusIvEENS9_8equal_toIvEEjEE10hipError_tPvRmT2_T3_T4_T5_mT6_T7_P12ihipStream_tbENKUlT_T0_E_clISt17integral_constantIbLb1EES11_EEDaSW_SX_EUlSW_E_NS1_11comp_targetILNS1_3genE3ELNS1_11target_archE908ELNS1_3gpuE7ELNS1_3repE0EEENS1_30default_config_static_selectorELNS0_4arch9wavefront6targetE1EEEvT1_, .Lfunc_end1512-_ZN7rocprim17ROCPRIM_400000_NS6detail17trampoline_kernelINS0_14default_configENS1_27scan_by_key_config_selectorIijEEZZNS1_16scan_by_key_implILNS1_25lookback_scan_determinismE0ELb1ES3_N6thrust23THRUST_200600_302600_NS6detail15normal_iteratorINS9_10device_ptrIiEEEENSB_INSC_IjEEEESG_jNS9_4plusIvEENS9_8equal_toIvEEjEE10hipError_tPvRmT2_T3_T4_T5_mT6_T7_P12ihipStream_tbENKUlT_T0_E_clISt17integral_constantIbLb1EES11_EEDaSW_SX_EUlSW_E_NS1_11comp_targetILNS1_3genE3ELNS1_11target_archE908ELNS1_3gpuE7ELNS1_3repE0EEENS1_30default_config_static_selectorELNS0_4arch9wavefront6targetE1EEEvT1_
                                        ; -- End function
	.section	.AMDGPU.csdata,"",@progbits
; Kernel info:
; codeLenInByte = 0
; NumSgprs: 4
; NumVgprs: 0
; NumAgprs: 0
; TotalNumVgprs: 0
; ScratchSize: 0
; MemoryBound: 0
; FloatMode: 240
; IeeeMode: 1
; LDSByteSize: 0 bytes/workgroup (compile time only)
; SGPRBlocks: 0
; VGPRBlocks: 0
; NumSGPRsForWavesPerEU: 4
; NumVGPRsForWavesPerEU: 1
; AccumOffset: 4
; Occupancy: 8
; WaveLimiterHint : 0
; COMPUTE_PGM_RSRC2:SCRATCH_EN: 0
; COMPUTE_PGM_RSRC2:USER_SGPR: 6
; COMPUTE_PGM_RSRC2:TRAP_HANDLER: 0
; COMPUTE_PGM_RSRC2:TGID_X_EN: 1
; COMPUTE_PGM_RSRC2:TGID_Y_EN: 0
; COMPUTE_PGM_RSRC2:TGID_Z_EN: 0
; COMPUTE_PGM_RSRC2:TIDIG_COMP_CNT: 0
; COMPUTE_PGM_RSRC3_GFX90A:ACCUM_OFFSET: 0
; COMPUTE_PGM_RSRC3_GFX90A:TG_SPLIT: 0
	.section	.text._ZN7rocprim17ROCPRIM_400000_NS6detail17trampoline_kernelINS0_14default_configENS1_27scan_by_key_config_selectorIijEEZZNS1_16scan_by_key_implILNS1_25lookback_scan_determinismE0ELb1ES3_N6thrust23THRUST_200600_302600_NS6detail15normal_iteratorINS9_10device_ptrIiEEEENSB_INSC_IjEEEESG_jNS9_4plusIvEENS9_8equal_toIvEEjEE10hipError_tPvRmT2_T3_T4_T5_mT6_T7_P12ihipStream_tbENKUlT_T0_E_clISt17integral_constantIbLb1EES11_EEDaSW_SX_EUlSW_E_NS1_11comp_targetILNS1_3genE2ELNS1_11target_archE906ELNS1_3gpuE6ELNS1_3repE0EEENS1_30default_config_static_selectorELNS0_4arch9wavefront6targetE1EEEvT1_,"axG",@progbits,_ZN7rocprim17ROCPRIM_400000_NS6detail17trampoline_kernelINS0_14default_configENS1_27scan_by_key_config_selectorIijEEZZNS1_16scan_by_key_implILNS1_25lookback_scan_determinismE0ELb1ES3_N6thrust23THRUST_200600_302600_NS6detail15normal_iteratorINS9_10device_ptrIiEEEENSB_INSC_IjEEEESG_jNS9_4plusIvEENS9_8equal_toIvEEjEE10hipError_tPvRmT2_T3_T4_T5_mT6_T7_P12ihipStream_tbENKUlT_T0_E_clISt17integral_constantIbLb1EES11_EEDaSW_SX_EUlSW_E_NS1_11comp_targetILNS1_3genE2ELNS1_11target_archE906ELNS1_3gpuE6ELNS1_3repE0EEENS1_30default_config_static_selectorELNS0_4arch9wavefront6targetE1EEEvT1_,comdat
	.protected	_ZN7rocprim17ROCPRIM_400000_NS6detail17trampoline_kernelINS0_14default_configENS1_27scan_by_key_config_selectorIijEEZZNS1_16scan_by_key_implILNS1_25lookback_scan_determinismE0ELb1ES3_N6thrust23THRUST_200600_302600_NS6detail15normal_iteratorINS9_10device_ptrIiEEEENSB_INSC_IjEEEESG_jNS9_4plusIvEENS9_8equal_toIvEEjEE10hipError_tPvRmT2_T3_T4_T5_mT6_T7_P12ihipStream_tbENKUlT_T0_E_clISt17integral_constantIbLb1EES11_EEDaSW_SX_EUlSW_E_NS1_11comp_targetILNS1_3genE2ELNS1_11target_archE906ELNS1_3gpuE6ELNS1_3repE0EEENS1_30default_config_static_selectorELNS0_4arch9wavefront6targetE1EEEvT1_ ; -- Begin function _ZN7rocprim17ROCPRIM_400000_NS6detail17trampoline_kernelINS0_14default_configENS1_27scan_by_key_config_selectorIijEEZZNS1_16scan_by_key_implILNS1_25lookback_scan_determinismE0ELb1ES3_N6thrust23THRUST_200600_302600_NS6detail15normal_iteratorINS9_10device_ptrIiEEEENSB_INSC_IjEEEESG_jNS9_4plusIvEENS9_8equal_toIvEEjEE10hipError_tPvRmT2_T3_T4_T5_mT6_T7_P12ihipStream_tbENKUlT_T0_E_clISt17integral_constantIbLb1EES11_EEDaSW_SX_EUlSW_E_NS1_11comp_targetILNS1_3genE2ELNS1_11target_archE906ELNS1_3gpuE6ELNS1_3repE0EEENS1_30default_config_static_selectorELNS0_4arch9wavefront6targetE1EEEvT1_
	.globl	_ZN7rocprim17ROCPRIM_400000_NS6detail17trampoline_kernelINS0_14default_configENS1_27scan_by_key_config_selectorIijEEZZNS1_16scan_by_key_implILNS1_25lookback_scan_determinismE0ELb1ES3_N6thrust23THRUST_200600_302600_NS6detail15normal_iteratorINS9_10device_ptrIiEEEENSB_INSC_IjEEEESG_jNS9_4plusIvEENS9_8equal_toIvEEjEE10hipError_tPvRmT2_T3_T4_T5_mT6_T7_P12ihipStream_tbENKUlT_T0_E_clISt17integral_constantIbLb1EES11_EEDaSW_SX_EUlSW_E_NS1_11comp_targetILNS1_3genE2ELNS1_11target_archE906ELNS1_3gpuE6ELNS1_3repE0EEENS1_30default_config_static_selectorELNS0_4arch9wavefront6targetE1EEEvT1_
	.p2align	8
	.type	_ZN7rocprim17ROCPRIM_400000_NS6detail17trampoline_kernelINS0_14default_configENS1_27scan_by_key_config_selectorIijEEZZNS1_16scan_by_key_implILNS1_25lookback_scan_determinismE0ELb1ES3_N6thrust23THRUST_200600_302600_NS6detail15normal_iteratorINS9_10device_ptrIiEEEENSB_INSC_IjEEEESG_jNS9_4plusIvEENS9_8equal_toIvEEjEE10hipError_tPvRmT2_T3_T4_T5_mT6_T7_P12ihipStream_tbENKUlT_T0_E_clISt17integral_constantIbLb1EES11_EEDaSW_SX_EUlSW_E_NS1_11comp_targetILNS1_3genE2ELNS1_11target_archE906ELNS1_3gpuE6ELNS1_3repE0EEENS1_30default_config_static_selectorELNS0_4arch9wavefront6targetE1EEEvT1_,@function
_ZN7rocprim17ROCPRIM_400000_NS6detail17trampoline_kernelINS0_14default_configENS1_27scan_by_key_config_selectorIijEEZZNS1_16scan_by_key_implILNS1_25lookback_scan_determinismE0ELb1ES3_N6thrust23THRUST_200600_302600_NS6detail15normal_iteratorINS9_10device_ptrIiEEEENSB_INSC_IjEEEESG_jNS9_4plusIvEENS9_8equal_toIvEEjEE10hipError_tPvRmT2_T3_T4_T5_mT6_T7_P12ihipStream_tbENKUlT_T0_E_clISt17integral_constantIbLb1EES11_EEDaSW_SX_EUlSW_E_NS1_11comp_targetILNS1_3genE2ELNS1_11target_archE906ELNS1_3gpuE6ELNS1_3repE0EEENS1_30default_config_static_selectorELNS0_4arch9wavefront6targetE1EEEvT1_: ; @_ZN7rocprim17ROCPRIM_400000_NS6detail17trampoline_kernelINS0_14default_configENS1_27scan_by_key_config_selectorIijEEZZNS1_16scan_by_key_implILNS1_25lookback_scan_determinismE0ELb1ES3_N6thrust23THRUST_200600_302600_NS6detail15normal_iteratorINS9_10device_ptrIiEEEENSB_INSC_IjEEEESG_jNS9_4plusIvEENS9_8equal_toIvEEjEE10hipError_tPvRmT2_T3_T4_T5_mT6_T7_P12ihipStream_tbENKUlT_T0_E_clISt17integral_constantIbLb1EES11_EEDaSW_SX_EUlSW_E_NS1_11comp_targetILNS1_3genE2ELNS1_11target_archE906ELNS1_3gpuE6ELNS1_3repE0EEENS1_30default_config_static_selectorELNS0_4arch9wavefront6targetE1EEEvT1_
; %bb.0:
	.section	.rodata,"a",@progbits
	.p2align	6, 0x0
	.amdhsa_kernel _ZN7rocprim17ROCPRIM_400000_NS6detail17trampoline_kernelINS0_14default_configENS1_27scan_by_key_config_selectorIijEEZZNS1_16scan_by_key_implILNS1_25lookback_scan_determinismE0ELb1ES3_N6thrust23THRUST_200600_302600_NS6detail15normal_iteratorINS9_10device_ptrIiEEEENSB_INSC_IjEEEESG_jNS9_4plusIvEENS9_8equal_toIvEEjEE10hipError_tPvRmT2_T3_T4_T5_mT6_T7_P12ihipStream_tbENKUlT_T0_E_clISt17integral_constantIbLb1EES11_EEDaSW_SX_EUlSW_E_NS1_11comp_targetILNS1_3genE2ELNS1_11target_archE906ELNS1_3gpuE6ELNS1_3repE0EEENS1_30default_config_static_selectorELNS0_4arch9wavefront6targetE1EEEvT1_
		.amdhsa_group_segment_fixed_size 0
		.amdhsa_private_segment_fixed_size 0
		.amdhsa_kernarg_size 112
		.amdhsa_user_sgpr_count 6
		.amdhsa_user_sgpr_private_segment_buffer 1
		.amdhsa_user_sgpr_dispatch_ptr 0
		.amdhsa_user_sgpr_queue_ptr 0
		.amdhsa_user_sgpr_kernarg_segment_ptr 1
		.amdhsa_user_sgpr_dispatch_id 0
		.amdhsa_user_sgpr_flat_scratch_init 0
		.amdhsa_user_sgpr_kernarg_preload_length 0
		.amdhsa_user_sgpr_kernarg_preload_offset 0
		.amdhsa_user_sgpr_private_segment_size 0
		.amdhsa_uses_dynamic_stack 0
		.amdhsa_system_sgpr_private_segment_wavefront_offset 0
		.amdhsa_system_sgpr_workgroup_id_x 1
		.amdhsa_system_sgpr_workgroup_id_y 0
		.amdhsa_system_sgpr_workgroup_id_z 0
		.amdhsa_system_sgpr_workgroup_info 0
		.amdhsa_system_vgpr_workitem_id 0
		.amdhsa_next_free_vgpr 1
		.amdhsa_next_free_sgpr 0
		.amdhsa_accum_offset 4
		.amdhsa_reserve_vcc 0
		.amdhsa_reserve_flat_scratch 0
		.amdhsa_float_round_mode_32 0
		.amdhsa_float_round_mode_16_64 0
		.amdhsa_float_denorm_mode_32 3
		.amdhsa_float_denorm_mode_16_64 3
		.amdhsa_dx10_clamp 1
		.amdhsa_ieee_mode 1
		.amdhsa_fp16_overflow 0
		.amdhsa_tg_split 0
		.amdhsa_exception_fp_ieee_invalid_op 0
		.amdhsa_exception_fp_denorm_src 0
		.amdhsa_exception_fp_ieee_div_zero 0
		.amdhsa_exception_fp_ieee_overflow 0
		.amdhsa_exception_fp_ieee_underflow 0
		.amdhsa_exception_fp_ieee_inexact 0
		.amdhsa_exception_int_div_zero 0
	.end_amdhsa_kernel
	.section	.text._ZN7rocprim17ROCPRIM_400000_NS6detail17trampoline_kernelINS0_14default_configENS1_27scan_by_key_config_selectorIijEEZZNS1_16scan_by_key_implILNS1_25lookback_scan_determinismE0ELb1ES3_N6thrust23THRUST_200600_302600_NS6detail15normal_iteratorINS9_10device_ptrIiEEEENSB_INSC_IjEEEESG_jNS9_4plusIvEENS9_8equal_toIvEEjEE10hipError_tPvRmT2_T3_T4_T5_mT6_T7_P12ihipStream_tbENKUlT_T0_E_clISt17integral_constantIbLb1EES11_EEDaSW_SX_EUlSW_E_NS1_11comp_targetILNS1_3genE2ELNS1_11target_archE906ELNS1_3gpuE6ELNS1_3repE0EEENS1_30default_config_static_selectorELNS0_4arch9wavefront6targetE1EEEvT1_,"axG",@progbits,_ZN7rocprim17ROCPRIM_400000_NS6detail17trampoline_kernelINS0_14default_configENS1_27scan_by_key_config_selectorIijEEZZNS1_16scan_by_key_implILNS1_25lookback_scan_determinismE0ELb1ES3_N6thrust23THRUST_200600_302600_NS6detail15normal_iteratorINS9_10device_ptrIiEEEENSB_INSC_IjEEEESG_jNS9_4plusIvEENS9_8equal_toIvEEjEE10hipError_tPvRmT2_T3_T4_T5_mT6_T7_P12ihipStream_tbENKUlT_T0_E_clISt17integral_constantIbLb1EES11_EEDaSW_SX_EUlSW_E_NS1_11comp_targetILNS1_3genE2ELNS1_11target_archE906ELNS1_3gpuE6ELNS1_3repE0EEENS1_30default_config_static_selectorELNS0_4arch9wavefront6targetE1EEEvT1_,comdat
.Lfunc_end1513:
	.size	_ZN7rocprim17ROCPRIM_400000_NS6detail17trampoline_kernelINS0_14default_configENS1_27scan_by_key_config_selectorIijEEZZNS1_16scan_by_key_implILNS1_25lookback_scan_determinismE0ELb1ES3_N6thrust23THRUST_200600_302600_NS6detail15normal_iteratorINS9_10device_ptrIiEEEENSB_INSC_IjEEEESG_jNS9_4plusIvEENS9_8equal_toIvEEjEE10hipError_tPvRmT2_T3_T4_T5_mT6_T7_P12ihipStream_tbENKUlT_T0_E_clISt17integral_constantIbLb1EES11_EEDaSW_SX_EUlSW_E_NS1_11comp_targetILNS1_3genE2ELNS1_11target_archE906ELNS1_3gpuE6ELNS1_3repE0EEENS1_30default_config_static_selectorELNS0_4arch9wavefront6targetE1EEEvT1_, .Lfunc_end1513-_ZN7rocprim17ROCPRIM_400000_NS6detail17trampoline_kernelINS0_14default_configENS1_27scan_by_key_config_selectorIijEEZZNS1_16scan_by_key_implILNS1_25lookback_scan_determinismE0ELb1ES3_N6thrust23THRUST_200600_302600_NS6detail15normal_iteratorINS9_10device_ptrIiEEEENSB_INSC_IjEEEESG_jNS9_4plusIvEENS9_8equal_toIvEEjEE10hipError_tPvRmT2_T3_T4_T5_mT6_T7_P12ihipStream_tbENKUlT_T0_E_clISt17integral_constantIbLb1EES11_EEDaSW_SX_EUlSW_E_NS1_11comp_targetILNS1_3genE2ELNS1_11target_archE906ELNS1_3gpuE6ELNS1_3repE0EEENS1_30default_config_static_selectorELNS0_4arch9wavefront6targetE1EEEvT1_
                                        ; -- End function
	.section	.AMDGPU.csdata,"",@progbits
; Kernel info:
; codeLenInByte = 0
; NumSgprs: 4
; NumVgprs: 0
; NumAgprs: 0
; TotalNumVgprs: 0
; ScratchSize: 0
; MemoryBound: 0
; FloatMode: 240
; IeeeMode: 1
; LDSByteSize: 0 bytes/workgroup (compile time only)
; SGPRBlocks: 0
; VGPRBlocks: 0
; NumSGPRsForWavesPerEU: 4
; NumVGPRsForWavesPerEU: 1
; AccumOffset: 4
; Occupancy: 8
; WaveLimiterHint : 0
; COMPUTE_PGM_RSRC2:SCRATCH_EN: 0
; COMPUTE_PGM_RSRC2:USER_SGPR: 6
; COMPUTE_PGM_RSRC2:TRAP_HANDLER: 0
; COMPUTE_PGM_RSRC2:TGID_X_EN: 1
; COMPUTE_PGM_RSRC2:TGID_Y_EN: 0
; COMPUTE_PGM_RSRC2:TGID_Z_EN: 0
; COMPUTE_PGM_RSRC2:TIDIG_COMP_CNT: 0
; COMPUTE_PGM_RSRC3_GFX90A:ACCUM_OFFSET: 0
; COMPUTE_PGM_RSRC3_GFX90A:TG_SPLIT: 0
	.section	.text._ZN7rocprim17ROCPRIM_400000_NS6detail17trampoline_kernelINS0_14default_configENS1_27scan_by_key_config_selectorIijEEZZNS1_16scan_by_key_implILNS1_25lookback_scan_determinismE0ELb1ES3_N6thrust23THRUST_200600_302600_NS6detail15normal_iteratorINS9_10device_ptrIiEEEENSB_INSC_IjEEEESG_jNS9_4plusIvEENS9_8equal_toIvEEjEE10hipError_tPvRmT2_T3_T4_T5_mT6_T7_P12ihipStream_tbENKUlT_T0_E_clISt17integral_constantIbLb1EES11_EEDaSW_SX_EUlSW_E_NS1_11comp_targetILNS1_3genE10ELNS1_11target_archE1200ELNS1_3gpuE4ELNS1_3repE0EEENS1_30default_config_static_selectorELNS0_4arch9wavefront6targetE1EEEvT1_,"axG",@progbits,_ZN7rocprim17ROCPRIM_400000_NS6detail17trampoline_kernelINS0_14default_configENS1_27scan_by_key_config_selectorIijEEZZNS1_16scan_by_key_implILNS1_25lookback_scan_determinismE0ELb1ES3_N6thrust23THRUST_200600_302600_NS6detail15normal_iteratorINS9_10device_ptrIiEEEENSB_INSC_IjEEEESG_jNS9_4plusIvEENS9_8equal_toIvEEjEE10hipError_tPvRmT2_T3_T4_T5_mT6_T7_P12ihipStream_tbENKUlT_T0_E_clISt17integral_constantIbLb1EES11_EEDaSW_SX_EUlSW_E_NS1_11comp_targetILNS1_3genE10ELNS1_11target_archE1200ELNS1_3gpuE4ELNS1_3repE0EEENS1_30default_config_static_selectorELNS0_4arch9wavefront6targetE1EEEvT1_,comdat
	.protected	_ZN7rocprim17ROCPRIM_400000_NS6detail17trampoline_kernelINS0_14default_configENS1_27scan_by_key_config_selectorIijEEZZNS1_16scan_by_key_implILNS1_25lookback_scan_determinismE0ELb1ES3_N6thrust23THRUST_200600_302600_NS6detail15normal_iteratorINS9_10device_ptrIiEEEENSB_INSC_IjEEEESG_jNS9_4plusIvEENS9_8equal_toIvEEjEE10hipError_tPvRmT2_T3_T4_T5_mT6_T7_P12ihipStream_tbENKUlT_T0_E_clISt17integral_constantIbLb1EES11_EEDaSW_SX_EUlSW_E_NS1_11comp_targetILNS1_3genE10ELNS1_11target_archE1200ELNS1_3gpuE4ELNS1_3repE0EEENS1_30default_config_static_selectorELNS0_4arch9wavefront6targetE1EEEvT1_ ; -- Begin function _ZN7rocprim17ROCPRIM_400000_NS6detail17trampoline_kernelINS0_14default_configENS1_27scan_by_key_config_selectorIijEEZZNS1_16scan_by_key_implILNS1_25lookback_scan_determinismE0ELb1ES3_N6thrust23THRUST_200600_302600_NS6detail15normal_iteratorINS9_10device_ptrIiEEEENSB_INSC_IjEEEESG_jNS9_4plusIvEENS9_8equal_toIvEEjEE10hipError_tPvRmT2_T3_T4_T5_mT6_T7_P12ihipStream_tbENKUlT_T0_E_clISt17integral_constantIbLb1EES11_EEDaSW_SX_EUlSW_E_NS1_11comp_targetILNS1_3genE10ELNS1_11target_archE1200ELNS1_3gpuE4ELNS1_3repE0EEENS1_30default_config_static_selectorELNS0_4arch9wavefront6targetE1EEEvT1_
	.globl	_ZN7rocprim17ROCPRIM_400000_NS6detail17trampoline_kernelINS0_14default_configENS1_27scan_by_key_config_selectorIijEEZZNS1_16scan_by_key_implILNS1_25lookback_scan_determinismE0ELb1ES3_N6thrust23THRUST_200600_302600_NS6detail15normal_iteratorINS9_10device_ptrIiEEEENSB_INSC_IjEEEESG_jNS9_4plusIvEENS9_8equal_toIvEEjEE10hipError_tPvRmT2_T3_T4_T5_mT6_T7_P12ihipStream_tbENKUlT_T0_E_clISt17integral_constantIbLb1EES11_EEDaSW_SX_EUlSW_E_NS1_11comp_targetILNS1_3genE10ELNS1_11target_archE1200ELNS1_3gpuE4ELNS1_3repE0EEENS1_30default_config_static_selectorELNS0_4arch9wavefront6targetE1EEEvT1_
	.p2align	8
	.type	_ZN7rocprim17ROCPRIM_400000_NS6detail17trampoline_kernelINS0_14default_configENS1_27scan_by_key_config_selectorIijEEZZNS1_16scan_by_key_implILNS1_25lookback_scan_determinismE0ELb1ES3_N6thrust23THRUST_200600_302600_NS6detail15normal_iteratorINS9_10device_ptrIiEEEENSB_INSC_IjEEEESG_jNS9_4plusIvEENS9_8equal_toIvEEjEE10hipError_tPvRmT2_T3_T4_T5_mT6_T7_P12ihipStream_tbENKUlT_T0_E_clISt17integral_constantIbLb1EES11_EEDaSW_SX_EUlSW_E_NS1_11comp_targetILNS1_3genE10ELNS1_11target_archE1200ELNS1_3gpuE4ELNS1_3repE0EEENS1_30default_config_static_selectorELNS0_4arch9wavefront6targetE1EEEvT1_,@function
_ZN7rocprim17ROCPRIM_400000_NS6detail17trampoline_kernelINS0_14default_configENS1_27scan_by_key_config_selectorIijEEZZNS1_16scan_by_key_implILNS1_25lookback_scan_determinismE0ELb1ES3_N6thrust23THRUST_200600_302600_NS6detail15normal_iteratorINS9_10device_ptrIiEEEENSB_INSC_IjEEEESG_jNS9_4plusIvEENS9_8equal_toIvEEjEE10hipError_tPvRmT2_T3_T4_T5_mT6_T7_P12ihipStream_tbENKUlT_T0_E_clISt17integral_constantIbLb1EES11_EEDaSW_SX_EUlSW_E_NS1_11comp_targetILNS1_3genE10ELNS1_11target_archE1200ELNS1_3gpuE4ELNS1_3repE0EEENS1_30default_config_static_selectorELNS0_4arch9wavefront6targetE1EEEvT1_: ; @_ZN7rocprim17ROCPRIM_400000_NS6detail17trampoline_kernelINS0_14default_configENS1_27scan_by_key_config_selectorIijEEZZNS1_16scan_by_key_implILNS1_25lookback_scan_determinismE0ELb1ES3_N6thrust23THRUST_200600_302600_NS6detail15normal_iteratorINS9_10device_ptrIiEEEENSB_INSC_IjEEEESG_jNS9_4plusIvEENS9_8equal_toIvEEjEE10hipError_tPvRmT2_T3_T4_T5_mT6_T7_P12ihipStream_tbENKUlT_T0_E_clISt17integral_constantIbLb1EES11_EEDaSW_SX_EUlSW_E_NS1_11comp_targetILNS1_3genE10ELNS1_11target_archE1200ELNS1_3gpuE4ELNS1_3repE0EEENS1_30default_config_static_selectorELNS0_4arch9wavefront6targetE1EEEvT1_
; %bb.0:
	.section	.rodata,"a",@progbits
	.p2align	6, 0x0
	.amdhsa_kernel _ZN7rocprim17ROCPRIM_400000_NS6detail17trampoline_kernelINS0_14default_configENS1_27scan_by_key_config_selectorIijEEZZNS1_16scan_by_key_implILNS1_25lookback_scan_determinismE0ELb1ES3_N6thrust23THRUST_200600_302600_NS6detail15normal_iteratorINS9_10device_ptrIiEEEENSB_INSC_IjEEEESG_jNS9_4plusIvEENS9_8equal_toIvEEjEE10hipError_tPvRmT2_T3_T4_T5_mT6_T7_P12ihipStream_tbENKUlT_T0_E_clISt17integral_constantIbLb1EES11_EEDaSW_SX_EUlSW_E_NS1_11comp_targetILNS1_3genE10ELNS1_11target_archE1200ELNS1_3gpuE4ELNS1_3repE0EEENS1_30default_config_static_selectorELNS0_4arch9wavefront6targetE1EEEvT1_
		.amdhsa_group_segment_fixed_size 0
		.amdhsa_private_segment_fixed_size 0
		.amdhsa_kernarg_size 112
		.amdhsa_user_sgpr_count 6
		.amdhsa_user_sgpr_private_segment_buffer 1
		.amdhsa_user_sgpr_dispatch_ptr 0
		.amdhsa_user_sgpr_queue_ptr 0
		.amdhsa_user_sgpr_kernarg_segment_ptr 1
		.amdhsa_user_sgpr_dispatch_id 0
		.amdhsa_user_sgpr_flat_scratch_init 0
		.amdhsa_user_sgpr_kernarg_preload_length 0
		.amdhsa_user_sgpr_kernarg_preload_offset 0
		.amdhsa_user_sgpr_private_segment_size 0
		.amdhsa_uses_dynamic_stack 0
		.amdhsa_system_sgpr_private_segment_wavefront_offset 0
		.amdhsa_system_sgpr_workgroup_id_x 1
		.amdhsa_system_sgpr_workgroup_id_y 0
		.amdhsa_system_sgpr_workgroup_id_z 0
		.amdhsa_system_sgpr_workgroup_info 0
		.amdhsa_system_vgpr_workitem_id 0
		.amdhsa_next_free_vgpr 1
		.amdhsa_next_free_sgpr 0
		.amdhsa_accum_offset 4
		.amdhsa_reserve_vcc 0
		.amdhsa_reserve_flat_scratch 0
		.amdhsa_float_round_mode_32 0
		.amdhsa_float_round_mode_16_64 0
		.amdhsa_float_denorm_mode_32 3
		.amdhsa_float_denorm_mode_16_64 3
		.amdhsa_dx10_clamp 1
		.amdhsa_ieee_mode 1
		.amdhsa_fp16_overflow 0
		.amdhsa_tg_split 0
		.amdhsa_exception_fp_ieee_invalid_op 0
		.amdhsa_exception_fp_denorm_src 0
		.amdhsa_exception_fp_ieee_div_zero 0
		.amdhsa_exception_fp_ieee_overflow 0
		.amdhsa_exception_fp_ieee_underflow 0
		.amdhsa_exception_fp_ieee_inexact 0
		.amdhsa_exception_int_div_zero 0
	.end_amdhsa_kernel
	.section	.text._ZN7rocprim17ROCPRIM_400000_NS6detail17trampoline_kernelINS0_14default_configENS1_27scan_by_key_config_selectorIijEEZZNS1_16scan_by_key_implILNS1_25lookback_scan_determinismE0ELb1ES3_N6thrust23THRUST_200600_302600_NS6detail15normal_iteratorINS9_10device_ptrIiEEEENSB_INSC_IjEEEESG_jNS9_4plusIvEENS9_8equal_toIvEEjEE10hipError_tPvRmT2_T3_T4_T5_mT6_T7_P12ihipStream_tbENKUlT_T0_E_clISt17integral_constantIbLb1EES11_EEDaSW_SX_EUlSW_E_NS1_11comp_targetILNS1_3genE10ELNS1_11target_archE1200ELNS1_3gpuE4ELNS1_3repE0EEENS1_30default_config_static_selectorELNS0_4arch9wavefront6targetE1EEEvT1_,"axG",@progbits,_ZN7rocprim17ROCPRIM_400000_NS6detail17trampoline_kernelINS0_14default_configENS1_27scan_by_key_config_selectorIijEEZZNS1_16scan_by_key_implILNS1_25lookback_scan_determinismE0ELb1ES3_N6thrust23THRUST_200600_302600_NS6detail15normal_iteratorINS9_10device_ptrIiEEEENSB_INSC_IjEEEESG_jNS9_4plusIvEENS9_8equal_toIvEEjEE10hipError_tPvRmT2_T3_T4_T5_mT6_T7_P12ihipStream_tbENKUlT_T0_E_clISt17integral_constantIbLb1EES11_EEDaSW_SX_EUlSW_E_NS1_11comp_targetILNS1_3genE10ELNS1_11target_archE1200ELNS1_3gpuE4ELNS1_3repE0EEENS1_30default_config_static_selectorELNS0_4arch9wavefront6targetE1EEEvT1_,comdat
.Lfunc_end1514:
	.size	_ZN7rocprim17ROCPRIM_400000_NS6detail17trampoline_kernelINS0_14default_configENS1_27scan_by_key_config_selectorIijEEZZNS1_16scan_by_key_implILNS1_25lookback_scan_determinismE0ELb1ES3_N6thrust23THRUST_200600_302600_NS6detail15normal_iteratorINS9_10device_ptrIiEEEENSB_INSC_IjEEEESG_jNS9_4plusIvEENS9_8equal_toIvEEjEE10hipError_tPvRmT2_T3_T4_T5_mT6_T7_P12ihipStream_tbENKUlT_T0_E_clISt17integral_constantIbLb1EES11_EEDaSW_SX_EUlSW_E_NS1_11comp_targetILNS1_3genE10ELNS1_11target_archE1200ELNS1_3gpuE4ELNS1_3repE0EEENS1_30default_config_static_selectorELNS0_4arch9wavefront6targetE1EEEvT1_, .Lfunc_end1514-_ZN7rocprim17ROCPRIM_400000_NS6detail17trampoline_kernelINS0_14default_configENS1_27scan_by_key_config_selectorIijEEZZNS1_16scan_by_key_implILNS1_25lookback_scan_determinismE0ELb1ES3_N6thrust23THRUST_200600_302600_NS6detail15normal_iteratorINS9_10device_ptrIiEEEENSB_INSC_IjEEEESG_jNS9_4plusIvEENS9_8equal_toIvEEjEE10hipError_tPvRmT2_T3_T4_T5_mT6_T7_P12ihipStream_tbENKUlT_T0_E_clISt17integral_constantIbLb1EES11_EEDaSW_SX_EUlSW_E_NS1_11comp_targetILNS1_3genE10ELNS1_11target_archE1200ELNS1_3gpuE4ELNS1_3repE0EEENS1_30default_config_static_selectorELNS0_4arch9wavefront6targetE1EEEvT1_
                                        ; -- End function
	.section	.AMDGPU.csdata,"",@progbits
; Kernel info:
; codeLenInByte = 0
; NumSgprs: 4
; NumVgprs: 0
; NumAgprs: 0
; TotalNumVgprs: 0
; ScratchSize: 0
; MemoryBound: 0
; FloatMode: 240
; IeeeMode: 1
; LDSByteSize: 0 bytes/workgroup (compile time only)
; SGPRBlocks: 0
; VGPRBlocks: 0
; NumSGPRsForWavesPerEU: 4
; NumVGPRsForWavesPerEU: 1
; AccumOffset: 4
; Occupancy: 8
; WaveLimiterHint : 0
; COMPUTE_PGM_RSRC2:SCRATCH_EN: 0
; COMPUTE_PGM_RSRC2:USER_SGPR: 6
; COMPUTE_PGM_RSRC2:TRAP_HANDLER: 0
; COMPUTE_PGM_RSRC2:TGID_X_EN: 1
; COMPUTE_PGM_RSRC2:TGID_Y_EN: 0
; COMPUTE_PGM_RSRC2:TGID_Z_EN: 0
; COMPUTE_PGM_RSRC2:TIDIG_COMP_CNT: 0
; COMPUTE_PGM_RSRC3_GFX90A:ACCUM_OFFSET: 0
; COMPUTE_PGM_RSRC3_GFX90A:TG_SPLIT: 0
	.section	.text._ZN7rocprim17ROCPRIM_400000_NS6detail17trampoline_kernelINS0_14default_configENS1_27scan_by_key_config_selectorIijEEZZNS1_16scan_by_key_implILNS1_25lookback_scan_determinismE0ELb1ES3_N6thrust23THRUST_200600_302600_NS6detail15normal_iteratorINS9_10device_ptrIiEEEENSB_INSC_IjEEEESG_jNS9_4plusIvEENS9_8equal_toIvEEjEE10hipError_tPvRmT2_T3_T4_T5_mT6_T7_P12ihipStream_tbENKUlT_T0_E_clISt17integral_constantIbLb1EES11_EEDaSW_SX_EUlSW_E_NS1_11comp_targetILNS1_3genE9ELNS1_11target_archE1100ELNS1_3gpuE3ELNS1_3repE0EEENS1_30default_config_static_selectorELNS0_4arch9wavefront6targetE1EEEvT1_,"axG",@progbits,_ZN7rocprim17ROCPRIM_400000_NS6detail17trampoline_kernelINS0_14default_configENS1_27scan_by_key_config_selectorIijEEZZNS1_16scan_by_key_implILNS1_25lookback_scan_determinismE0ELb1ES3_N6thrust23THRUST_200600_302600_NS6detail15normal_iteratorINS9_10device_ptrIiEEEENSB_INSC_IjEEEESG_jNS9_4plusIvEENS9_8equal_toIvEEjEE10hipError_tPvRmT2_T3_T4_T5_mT6_T7_P12ihipStream_tbENKUlT_T0_E_clISt17integral_constantIbLb1EES11_EEDaSW_SX_EUlSW_E_NS1_11comp_targetILNS1_3genE9ELNS1_11target_archE1100ELNS1_3gpuE3ELNS1_3repE0EEENS1_30default_config_static_selectorELNS0_4arch9wavefront6targetE1EEEvT1_,comdat
	.protected	_ZN7rocprim17ROCPRIM_400000_NS6detail17trampoline_kernelINS0_14default_configENS1_27scan_by_key_config_selectorIijEEZZNS1_16scan_by_key_implILNS1_25lookback_scan_determinismE0ELb1ES3_N6thrust23THRUST_200600_302600_NS6detail15normal_iteratorINS9_10device_ptrIiEEEENSB_INSC_IjEEEESG_jNS9_4plusIvEENS9_8equal_toIvEEjEE10hipError_tPvRmT2_T3_T4_T5_mT6_T7_P12ihipStream_tbENKUlT_T0_E_clISt17integral_constantIbLb1EES11_EEDaSW_SX_EUlSW_E_NS1_11comp_targetILNS1_3genE9ELNS1_11target_archE1100ELNS1_3gpuE3ELNS1_3repE0EEENS1_30default_config_static_selectorELNS0_4arch9wavefront6targetE1EEEvT1_ ; -- Begin function _ZN7rocprim17ROCPRIM_400000_NS6detail17trampoline_kernelINS0_14default_configENS1_27scan_by_key_config_selectorIijEEZZNS1_16scan_by_key_implILNS1_25lookback_scan_determinismE0ELb1ES3_N6thrust23THRUST_200600_302600_NS6detail15normal_iteratorINS9_10device_ptrIiEEEENSB_INSC_IjEEEESG_jNS9_4plusIvEENS9_8equal_toIvEEjEE10hipError_tPvRmT2_T3_T4_T5_mT6_T7_P12ihipStream_tbENKUlT_T0_E_clISt17integral_constantIbLb1EES11_EEDaSW_SX_EUlSW_E_NS1_11comp_targetILNS1_3genE9ELNS1_11target_archE1100ELNS1_3gpuE3ELNS1_3repE0EEENS1_30default_config_static_selectorELNS0_4arch9wavefront6targetE1EEEvT1_
	.globl	_ZN7rocprim17ROCPRIM_400000_NS6detail17trampoline_kernelINS0_14default_configENS1_27scan_by_key_config_selectorIijEEZZNS1_16scan_by_key_implILNS1_25lookback_scan_determinismE0ELb1ES3_N6thrust23THRUST_200600_302600_NS6detail15normal_iteratorINS9_10device_ptrIiEEEENSB_INSC_IjEEEESG_jNS9_4plusIvEENS9_8equal_toIvEEjEE10hipError_tPvRmT2_T3_T4_T5_mT6_T7_P12ihipStream_tbENKUlT_T0_E_clISt17integral_constantIbLb1EES11_EEDaSW_SX_EUlSW_E_NS1_11comp_targetILNS1_3genE9ELNS1_11target_archE1100ELNS1_3gpuE3ELNS1_3repE0EEENS1_30default_config_static_selectorELNS0_4arch9wavefront6targetE1EEEvT1_
	.p2align	8
	.type	_ZN7rocprim17ROCPRIM_400000_NS6detail17trampoline_kernelINS0_14default_configENS1_27scan_by_key_config_selectorIijEEZZNS1_16scan_by_key_implILNS1_25lookback_scan_determinismE0ELb1ES3_N6thrust23THRUST_200600_302600_NS6detail15normal_iteratorINS9_10device_ptrIiEEEENSB_INSC_IjEEEESG_jNS9_4plusIvEENS9_8equal_toIvEEjEE10hipError_tPvRmT2_T3_T4_T5_mT6_T7_P12ihipStream_tbENKUlT_T0_E_clISt17integral_constantIbLb1EES11_EEDaSW_SX_EUlSW_E_NS1_11comp_targetILNS1_3genE9ELNS1_11target_archE1100ELNS1_3gpuE3ELNS1_3repE0EEENS1_30default_config_static_selectorELNS0_4arch9wavefront6targetE1EEEvT1_,@function
_ZN7rocprim17ROCPRIM_400000_NS6detail17trampoline_kernelINS0_14default_configENS1_27scan_by_key_config_selectorIijEEZZNS1_16scan_by_key_implILNS1_25lookback_scan_determinismE0ELb1ES3_N6thrust23THRUST_200600_302600_NS6detail15normal_iteratorINS9_10device_ptrIiEEEENSB_INSC_IjEEEESG_jNS9_4plusIvEENS9_8equal_toIvEEjEE10hipError_tPvRmT2_T3_T4_T5_mT6_T7_P12ihipStream_tbENKUlT_T0_E_clISt17integral_constantIbLb1EES11_EEDaSW_SX_EUlSW_E_NS1_11comp_targetILNS1_3genE9ELNS1_11target_archE1100ELNS1_3gpuE3ELNS1_3repE0EEENS1_30default_config_static_selectorELNS0_4arch9wavefront6targetE1EEEvT1_: ; @_ZN7rocprim17ROCPRIM_400000_NS6detail17trampoline_kernelINS0_14default_configENS1_27scan_by_key_config_selectorIijEEZZNS1_16scan_by_key_implILNS1_25lookback_scan_determinismE0ELb1ES3_N6thrust23THRUST_200600_302600_NS6detail15normal_iteratorINS9_10device_ptrIiEEEENSB_INSC_IjEEEESG_jNS9_4plusIvEENS9_8equal_toIvEEjEE10hipError_tPvRmT2_T3_T4_T5_mT6_T7_P12ihipStream_tbENKUlT_T0_E_clISt17integral_constantIbLb1EES11_EEDaSW_SX_EUlSW_E_NS1_11comp_targetILNS1_3genE9ELNS1_11target_archE1100ELNS1_3gpuE3ELNS1_3repE0EEENS1_30default_config_static_selectorELNS0_4arch9wavefront6targetE1EEEvT1_
; %bb.0:
	.section	.rodata,"a",@progbits
	.p2align	6, 0x0
	.amdhsa_kernel _ZN7rocprim17ROCPRIM_400000_NS6detail17trampoline_kernelINS0_14default_configENS1_27scan_by_key_config_selectorIijEEZZNS1_16scan_by_key_implILNS1_25lookback_scan_determinismE0ELb1ES3_N6thrust23THRUST_200600_302600_NS6detail15normal_iteratorINS9_10device_ptrIiEEEENSB_INSC_IjEEEESG_jNS9_4plusIvEENS9_8equal_toIvEEjEE10hipError_tPvRmT2_T3_T4_T5_mT6_T7_P12ihipStream_tbENKUlT_T0_E_clISt17integral_constantIbLb1EES11_EEDaSW_SX_EUlSW_E_NS1_11comp_targetILNS1_3genE9ELNS1_11target_archE1100ELNS1_3gpuE3ELNS1_3repE0EEENS1_30default_config_static_selectorELNS0_4arch9wavefront6targetE1EEEvT1_
		.amdhsa_group_segment_fixed_size 0
		.amdhsa_private_segment_fixed_size 0
		.amdhsa_kernarg_size 112
		.amdhsa_user_sgpr_count 6
		.amdhsa_user_sgpr_private_segment_buffer 1
		.amdhsa_user_sgpr_dispatch_ptr 0
		.amdhsa_user_sgpr_queue_ptr 0
		.amdhsa_user_sgpr_kernarg_segment_ptr 1
		.amdhsa_user_sgpr_dispatch_id 0
		.amdhsa_user_sgpr_flat_scratch_init 0
		.amdhsa_user_sgpr_kernarg_preload_length 0
		.amdhsa_user_sgpr_kernarg_preload_offset 0
		.amdhsa_user_sgpr_private_segment_size 0
		.amdhsa_uses_dynamic_stack 0
		.amdhsa_system_sgpr_private_segment_wavefront_offset 0
		.amdhsa_system_sgpr_workgroup_id_x 1
		.amdhsa_system_sgpr_workgroup_id_y 0
		.amdhsa_system_sgpr_workgroup_id_z 0
		.amdhsa_system_sgpr_workgroup_info 0
		.amdhsa_system_vgpr_workitem_id 0
		.amdhsa_next_free_vgpr 1
		.amdhsa_next_free_sgpr 0
		.amdhsa_accum_offset 4
		.amdhsa_reserve_vcc 0
		.amdhsa_reserve_flat_scratch 0
		.amdhsa_float_round_mode_32 0
		.amdhsa_float_round_mode_16_64 0
		.amdhsa_float_denorm_mode_32 3
		.amdhsa_float_denorm_mode_16_64 3
		.amdhsa_dx10_clamp 1
		.amdhsa_ieee_mode 1
		.amdhsa_fp16_overflow 0
		.amdhsa_tg_split 0
		.amdhsa_exception_fp_ieee_invalid_op 0
		.amdhsa_exception_fp_denorm_src 0
		.amdhsa_exception_fp_ieee_div_zero 0
		.amdhsa_exception_fp_ieee_overflow 0
		.amdhsa_exception_fp_ieee_underflow 0
		.amdhsa_exception_fp_ieee_inexact 0
		.amdhsa_exception_int_div_zero 0
	.end_amdhsa_kernel
	.section	.text._ZN7rocprim17ROCPRIM_400000_NS6detail17trampoline_kernelINS0_14default_configENS1_27scan_by_key_config_selectorIijEEZZNS1_16scan_by_key_implILNS1_25lookback_scan_determinismE0ELb1ES3_N6thrust23THRUST_200600_302600_NS6detail15normal_iteratorINS9_10device_ptrIiEEEENSB_INSC_IjEEEESG_jNS9_4plusIvEENS9_8equal_toIvEEjEE10hipError_tPvRmT2_T3_T4_T5_mT6_T7_P12ihipStream_tbENKUlT_T0_E_clISt17integral_constantIbLb1EES11_EEDaSW_SX_EUlSW_E_NS1_11comp_targetILNS1_3genE9ELNS1_11target_archE1100ELNS1_3gpuE3ELNS1_3repE0EEENS1_30default_config_static_selectorELNS0_4arch9wavefront6targetE1EEEvT1_,"axG",@progbits,_ZN7rocprim17ROCPRIM_400000_NS6detail17trampoline_kernelINS0_14default_configENS1_27scan_by_key_config_selectorIijEEZZNS1_16scan_by_key_implILNS1_25lookback_scan_determinismE0ELb1ES3_N6thrust23THRUST_200600_302600_NS6detail15normal_iteratorINS9_10device_ptrIiEEEENSB_INSC_IjEEEESG_jNS9_4plusIvEENS9_8equal_toIvEEjEE10hipError_tPvRmT2_T3_T4_T5_mT6_T7_P12ihipStream_tbENKUlT_T0_E_clISt17integral_constantIbLb1EES11_EEDaSW_SX_EUlSW_E_NS1_11comp_targetILNS1_3genE9ELNS1_11target_archE1100ELNS1_3gpuE3ELNS1_3repE0EEENS1_30default_config_static_selectorELNS0_4arch9wavefront6targetE1EEEvT1_,comdat
.Lfunc_end1515:
	.size	_ZN7rocprim17ROCPRIM_400000_NS6detail17trampoline_kernelINS0_14default_configENS1_27scan_by_key_config_selectorIijEEZZNS1_16scan_by_key_implILNS1_25lookback_scan_determinismE0ELb1ES3_N6thrust23THRUST_200600_302600_NS6detail15normal_iteratorINS9_10device_ptrIiEEEENSB_INSC_IjEEEESG_jNS9_4plusIvEENS9_8equal_toIvEEjEE10hipError_tPvRmT2_T3_T4_T5_mT6_T7_P12ihipStream_tbENKUlT_T0_E_clISt17integral_constantIbLb1EES11_EEDaSW_SX_EUlSW_E_NS1_11comp_targetILNS1_3genE9ELNS1_11target_archE1100ELNS1_3gpuE3ELNS1_3repE0EEENS1_30default_config_static_selectorELNS0_4arch9wavefront6targetE1EEEvT1_, .Lfunc_end1515-_ZN7rocprim17ROCPRIM_400000_NS6detail17trampoline_kernelINS0_14default_configENS1_27scan_by_key_config_selectorIijEEZZNS1_16scan_by_key_implILNS1_25lookback_scan_determinismE0ELb1ES3_N6thrust23THRUST_200600_302600_NS6detail15normal_iteratorINS9_10device_ptrIiEEEENSB_INSC_IjEEEESG_jNS9_4plusIvEENS9_8equal_toIvEEjEE10hipError_tPvRmT2_T3_T4_T5_mT6_T7_P12ihipStream_tbENKUlT_T0_E_clISt17integral_constantIbLb1EES11_EEDaSW_SX_EUlSW_E_NS1_11comp_targetILNS1_3genE9ELNS1_11target_archE1100ELNS1_3gpuE3ELNS1_3repE0EEENS1_30default_config_static_selectorELNS0_4arch9wavefront6targetE1EEEvT1_
                                        ; -- End function
	.section	.AMDGPU.csdata,"",@progbits
; Kernel info:
; codeLenInByte = 0
; NumSgprs: 4
; NumVgprs: 0
; NumAgprs: 0
; TotalNumVgprs: 0
; ScratchSize: 0
; MemoryBound: 0
; FloatMode: 240
; IeeeMode: 1
; LDSByteSize: 0 bytes/workgroup (compile time only)
; SGPRBlocks: 0
; VGPRBlocks: 0
; NumSGPRsForWavesPerEU: 4
; NumVGPRsForWavesPerEU: 1
; AccumOffset: 4
; Occupancy: 8
; WaveLimiterHint : 0
; COMPUTE_PGM_RSRC2:SCRATCH_EN: 0
; COMPUTE_PGM_RSRC2:USER_SGPR: 6
; COMPUTE_PGM_RSRC2:TRAP_HANDLER: 0
; COMPUTE_PGM_RSRC2:TGID_X_EN: 1
; COMPUTE_PGM_RSRC2:TGID_Y_EN: 0
; COMPUTE_PGM_RSRC2:TGID_Z_EN: 0
; COMPUTE_PGM_RSRC2:TIDIG_COMP_CNT: 0
; COMPUTE_PGM_RSRC3_GFX90A:ACCUM_OFFSET: 0
; COMPUTE_PGM_RSRC3_GFX90A:TG_SPLIT: 0
	.section	.text._ZN7rocprim17ROCPRIM_400000_NS6detail17trampoline_kernelINS0_14default_configENS1_27scan_by_key_config_selectorIijEEZZNS1_16scan_by_key_implILNS1_25lookback_scan_determinismE0ELb1ES3_N6thrust23THRUST_200600_302600_NS6detail15normal_iteratorINS9_10device_ptrIiEEEENSB_INSC_IjEEEESG_jNS9_4plusIvEENS9_8equal_toIvEEjEE10hipError_tPvRmT2_T3_T4_T5_mT6_T7_P12ihipStream_tbENKUlT_T0_E_clISt17integral_constantIbLb1EES11_EEDaSW_SX_EUlSW_E_NS1_11comp_targetILNS1_3genE8ELNS1_11target_archE1030ELNS1_3gpuE2ELNS1_3repE0EEENS1_30default_config_static_selectorELNS0_4arch9wavefront6targetE1EEEvT1_,"axG",@progbits,_ZN7rocprim17ROCPRIM_400000_NS6detail17trampoline_kernelINS0_14default_configENS1_27scan_by_key_config_selectorIijEEZZNS1_16scan_by_key_implILNS1_25lookback_scan_determinismE0ELb1ES3_N6thrust23THRUST_200600_302600_NS6detail15normal_iteratorINS9_10device_ptrIiEEEENSB_INSC_IjEEEESG_jNS9_4plusIvEENS9_8equal_toIvEEjEE10hipError_tPvRmT2_T3_T4_T5_mT6_T7_P12ihipStream_tbENKUlT_T0_E_clISt17integral_constantIbLb1EES11_EEDaSW_SX_EUlSW_E_NS1_11comp_targetILNS1_3genE8ELNS1_11target_archE1030ELNS1_3gpuE2ELNS1_3repE0EEENS1_30default_config_static_selectorELNS0_4arch9wavefront6targetE1EEEvT1_,comdat
	.protected	_ZN7rocprim17ROCPRIM_400000_NS6detail17trampoline_kernelINS0_14default_configENS1_27scan_by_key_config_selectorIijEEZZNS1_16scan_by_key_implILNS1_25lookback_scan_determinismE0ELb1ES3_N6thrust23THRUST_200600_302600_NS6detail15normal_iteratorINS9_10device_ptrIiEEEENSB_INSC_IjEEEESG_jNS9_4plusIvEENS9_8equal_toIvEEjEE10hipError_tPvRmT2_T3_T4_T5_mT6_T7_P12ihipStream_tbENKUlT_T0_E_clISt17integral_constantIbLb1EES11_EEDaSW_SX_EUlSW_E_NS1_11comp_targetILNS1_3genE8ELNS1_11target_archE1030ELNS1_3gpuE2ELNS1_3repE0EEENS1_30default_config_static_selectorELNS0_4arch9wavefront6targetE1EEEvT1_ ; -- Begin function _ZN7rocprim17ROCPRIM_400000_NS6detail17trampoline_kernelINS0_14default_configENS1_27scan_by_key_config_selectorIijEEZZNS1_16scan_by_key_implILNS1_25lookback_scan_determinismE0ELb1ES3_N6thrust23THRUST_200600_302600_NS6detail15normal_iteratorINS9_10device_ptrIiEEEENSB_INSC_IjEEEESG_jNS9_4plusIvEENS9_8equal_toIvEEjEE10hipError_tPvRmT2_T3_T4_T5_mT6_T7_P12ihipStream_tbENKUlT_T0_E_clISt17integral_constantIbLb1EES11_EEDaSW_SX_EUlSW_E_NS1_11comp_targetILNS1_3genE8ELNS1_11target_archE1030ELNS1_3gpuE2ELNS1_3repE0EEENS1_30default_config_static_selectorELNS0_4arch9wavefront6targetE1EEEvT1_
	.globl	_ZN7rocprim17ROCPRIM_400000_NS6detail17trampoline_kernelINS0_14default_configENS1_27scan_by_key_config_selectorIijEEZZNS1_16scan_by_key_implILNS1_25lookback_scan_determinismE0ELb1ES3_N6thrust23THRUST_200600_302600_NS6detail15normal_iteratorINS9_10device_ptrIiEEEENSB_INSC_IjEEEESG_jNS9_4plusIvEENS9_8equal_toIvEEjEE10hipError_tPvRmT2_T3_T4_T5_mT6_T7_P12ihipStream_tbENKUlT_T0_E_clISt17integral_constantIbLb1EES11_EEDaSW_SX_EUlSW_E_NS1_11comp_targetILNS1_3genE8ELNS1_11target_archE1030ELNS1_3gpuE2ELNS1_3repE0EEENS1_30default_config_static_selectorELNS0_4arch9wavefront6targetE1EEEvT1_
	.p2align	8
	.type	_ZN7rocprim17ROCPRIM_400000_NS6detail17trampoline_kernelINS0_14default_configENS1_27scan_by_key_config_selectorIijEEZZNS1_16scan_by_key_implILNS1_25lookback_scan_determinismE0ELb1ES3_N6thrust23THRUST_200600_302600_NS6detail15normal_iteratorINS9_10device_ptrIiEEEENSB_INSC_IjEEEESG_jNS9_4plusIvEENS9_8equal_toIvEEjEE10hipError_tPvRmT2_T3_T4_T5_mT6_T7_P12ihipStream_tbENKUlT_T0_E_clISt17integral_constantIbLb1EES11_EEDaSW_SX_EUlSW_E_NS1_11comp_targetILNS1_3genE8ELNS1_11target_archE1030ELNS1_3gpuE2ELNS1_3repE0EEENS1_30default_config_static_selectorELNS0_4arch9wavefront6targetE1EEEvT1_,@function
_ZN7rocprim17ROCPRIM_400000_NS6detail17trampoline_kernelINS0_14default_configENS1_27scan_by_key_config_selectorIijEEZZNS1_16scan_by_key_implILNS1_25lookback_scan_determinismE0ELb1ES3_N6thrust23THRUST_200600_302600_NS6detail15normal_iteratorINS9_10device_ptrIiEEEENSB_INSC_IjEEEESG_jNS9_4plusIvEENS9_8equal_toIvEEjEE10hipError_tPvRmT2_T3_T4_T5_mT6_T7_P12ihipStream_tbENKUlT_T0_E_clISt17integral_constantIbLb1EES11_EEDaSW_SX_EUlSW_E_NS1_11comp_targetILNS1_3genE8ELNS1_11target_archE1030ELNS1_3gpuE2ELNS1_3repE0EEENS1_30default_config_static_selectorELNS0_4arch9wavefront6targetE1EEEvT1_: ; @_ZN7rocprim17ROCPRIM_400000_NS6detail17trampoline_kernelINS0_14default_configENS1_27scan_by_key_config_selectorIijEEZZNS1_16scan_by_key_implILNS1_25lookback_scan_determinismE0ELb1ES3_N6thrust23THRUST_200600_302600_NS6detail15normal_iteratorINS9_10device_ptrIiEEEENSB_INSC_IjEEEESG_jNS9_4plusIvEENS9_8equal_toIvEEjEE10hipError_tPvRmT2_T3_T4_T5_mT6_T7_P12ihipStream_tbENKUlT_T0_E_clISt17integral_constantIbLb1EES11_EEDaSW_SX_EUlSW_E_NS1_11comp_targetILNS1_3genE8ELNS1_11target_archE1030ELNS1_3gpuE2ELNS1_3repE0EEENS1_30default_config_static_selectorELNS0_4arch9wavefront6targetE1EEEvT1_
; %bb.0:
	.section	.rodata,"a",@progbits
	.p2align	6, 0x0
	.amdhsa_kernel _ZN7rocprim17ROCPRIM_400000_NS6detail17trampoline_kernelINS0_14default_configENS1_27scan_by_key_config_selectorIijEEZZNS1_16scan_by_key_implILNS1_25lookback_scan_determinismE0ELb1ES3_N6thrust23THRUST_200600_302600_NS6detail15normal_iteratorINS9_10device_ptrIiEEEENSB_INSC_IjEEEESG_jNS9_4plusIvEENS9_8equal_toIvEEjEE10hipError_tPvRmT2_T3_T4_T5_mT6_T7_P12ihipStream_tbENKUlT_T0_E_clISt17integral_constantIbLb1EES11_EEDaSW_SX_EUlSW_E_NS1_11comp_targetILNS1_3genE8ELNS1_11target_archE1030ELNS1_3gpuE2ELNS1_3repE0EEENS1_30default_config_static_selectorELNS0_4arch9wavefront6targetE1EEEvT1_
		.amdhsa_group_segment_fixed_size 0
		.amdhsa_private_segment_fixed_size 0
		.amdhsa_kernarg_size 112
		.amdhsa_user_sgpr_count 6
		.amdhsa_user_sgpr_private_segment_buffer 1
		.amdhsa_user_sgpr_dispatch_ptr 0
		.amdhsa_user_sgpr_queue_ptr 0
		.amdhsa_user_sgpr_kernarg_segment_ptr 1
		.amdhsa_user_sgpr_dispatch_id 0
		.amdhsa_user_sgpr_flat_scratch_init 0
		.amdhsa_user_sgpr_kernarg_preload_length 0
		.amdhsa_user_sgpr_kernarg_preload_offset 0
		.amdhsa_user_sgpr_private_segment_size 0
		.amdhsa_uses_dynamic_stack 0
		.amdhsa_system_sgpr_private_segment_wavefront_offset 0
		.amdhsa_system_sgpr_workgroup_id_x 1
		.amdhsa_system_sgpr_workgroup_id_y 0
		.amdhsa_system_sgpr_workgroup_id_z 0
		.amdhsa_system_sgpr_workgroup_info 0
		.amdhsa_system_vgpr_workitem_id 0
		.amdhsa_next_free_vgpr 1
		.amdhsa_next_free_sgpr 0
		.amdhsa_accum_offset 4
		.amdhsa_reserve_vcc 0
		.amdhsa_reserve_flat_scratch 0
		.amdhsa_float_round_mode_32 0
		.amdhsa_float_round_mode_16_64 0
		.amdhsa_float_denorm_mode_32 3
		.amdhsa_float_denorm_mode_16_64 3
		.amdhsa_dx10_clamp 1
		.amdhsa_ieee_mode 1
		.amdhsa_fp16_overflow 0
		.amdhsa_tg_split 0
		.amdhsa_exception_fp_ieee_invalid_op 0
		.amdhsa_exception_fp_denorm_src 0
		.amdhsa_exception_fp_ieee_div_zero 0
		.amdhsa_exception_fp_ieee_overflow 0
		.amdhsa_exception_fp_ieee_underflow 0
		.amdhsa_exception_fp_ieee_inexact 0
		.amdhsa_exception_int_div_zero 0
	.end_amdhsa_kernel
	.section	.text._ZN7rocprim17ROCPRIM_400000_NS6detail17trampoline_kernelINS0_14default_configENS1_27scan_by_key_config_selectorIijEEZZNS1_16scan_by_key_implILNS1_25lookback_scan_determinismE0ELb1ES3_N6thrust23THRUST_200600_302600_NS6detail15normal_iteratorINS9_10device_ptrIiEEEENSB_INSC_IjEEEESG_jNS9_4plusIvEENS9_8equal_toIvEEjEE10hipError_tPvRmT2_T3_T4_T5_mT6_T7_P12ihipStream_tbENKUlT_T0_E_clISt17integral_constantIbLb1EES11_EEDaSW_SX_EUlSW_E_NS1_11comp_targetILNS1_3genE8ELNS1_11target_archE1030ELNS1_3gpuE2ELNS1_3repE0EEENS1_30default_config_static_selectorELNS0_4arch9wavefront6targetE1EEEvT1_,"axG",@progbits,_ZN7rocprim17ROCPRIM_400000_NS6detail17trampoline_kernelINS0_14default_configENS1_27scan_by_key_config_selectorIijEEZZNS1_16scan_by_key_implILNS1_25lookback_scan_determinismE0ELb1ES3_N6thrust23THRUST_200600_302600_NS6detail15normal_iteratorINS9_10device_ptrIiEEEENSB_INSC_IjEEEESG_jNS9_4plusIvEENS9_8equal_toIvEEjEE10hipError_tPvRmT2_T3_T4_T5_mT6_T7_P12ihipStream_tbENKUlT_T0_E_clISt17integral_constantIbLb1EES11_EEDaSW_SX_EUlSW_E_NS1_11comp_targetILNS1_3genE8ELNS1_11target_archE1030ELNS1_3gpuE2ELNS1_3repE0EEENS1_30default_config_static_selectorELNS0_4arch9wavefront6targetE1EEEvT1_,comdat
.Lfunc_end1516:
	.size	_ZN7rocprim17ROCPRIM_400000_NS6detail17trampoline_kernelINS0_14default_configENS1_27scan_by_key_config_selectorIijEEZZNS1_16scan_by_key_implILNS1_25lookback_scan_determinismE0ELb1ES3_N6thrust23THRUST_200600_302600_NS6detail15normal_iteratorINS9_10device_ptrIiEEEENSB_INSC_IjEEEESG_jNS9_4plusIvEENS9_8equal_toIvEEjEE10hipError_tPvRmT2_T3_T4_T5_mT6_T7_P12ihipStream_tbENKUlT_T0_E_clISt17integral_constantIbLb1EES11_EEDaSW_SX_EUlSW_E_NS1_11comp_targetILNS1_3genE8ELNS1_11target_archE1030ELNS1_3gpuE2ELNS1_3repE0EEENS1_30default_config_static_selectorELNS0_4arch9wavefront6targetE1EEEvT1_, .Lfunc_end1516-_ZN7rocprim17ROCPRIM_400000_NS6detail17trampoline_kernelINS0_14default_configENS1_27scan_by_key_config_selectorIijEEZZNS1_16scan_by_key_implILNS1_25lookback_scan_determinismE0ELb1ES3_N6thrust23THRUST_200600_302600_NS6detail15normal_iteratorINS9_10device_ptrIiEEEENSB_INSC_IjEEEESG_jNS9_4plusIvEENS9_8equal_toIvEEjEE10hipError_tPvRmT2_T3_T4_T5_mT6_T7_P12ihipStream_tbENKUlT_T0_E_clISt17integral_constantIbLb1EES11_EEDaSW_SX_EUlSW_E_NS1_11comp_targetILNS1_3genE8ELNS1_11target_archE1030ELNS1_3gpuE2ELNS1_3repE0EEENS1_30default_config_static_selectorELNS0_4arch9wavefront6targetE1EEEvT1_
                                        ; -- End function
	.section	.AMDGPU.csdata,"",@progbits
; Kernel info:
; codeLenInByte = 0
; NumSgprs: 4
; NumVgprs: 0
; NumAgprs: 0
; TotalNumVgprs: 0
; ScratchSize: 0
; MemoryBound: 0
; FloatMode: 240
; IeeeMode: 1
; LDSByteSize: 0 bytes/workgroup (compile time only)
; SGPRBlocks: 0
; VGPRBlocks: 0
; NumSGPRsForWavesPerEU: 4
; NumVGPRsForWavesPerEU: 1
; AccumOffset: 4
; Occupancy: 8
; WaveLimiterHint : 0
; COMPUTE_PGM_RSRC2:SCRATCH_EN: 0
; COMPUTE_PGM_RSRC2:USER_SGPR: 6
; COMPUTE_PGM_RSRC2:TRAP_HANDLER: 0
; COMPUTE_PGM_RSRC2:TGID_X_EN: 1
; COMPUTE_PGM_RSRC2:TGID_Y_EN: 0
; COMPUTE_PGM_RSRC2:TGID_Z_EN: 0
; COMPUTE_PGM_RSRC2:TIDIG_COMP_CNT: 0
; COMPUTE_PGM_RSRC3_GFX90A:ACCUM_OFFSET: 0
; COMPUTE_PGM_RSRC3_GFX90A:TG_SPLIT: 0
	.section	.text._ZN7rocprim17ROCPRIM_400000_NS6detail17trampoline_kernelINS0_14default_configENS1_27scan_by_key_config_selectorIijEEZZNS1_16scan_by_key_implILNS1_25lookback_scan_determinismE0ELb1ES3_N6thrust23THRUST_200600_302600_NS6detail15normal_iteratorINS9_10device_ptrIiEEEENSB_INSC_IjEEEESG_jNS9_4plusIvEENS9_8equal_toIvEEjEE10hipError_tPvRmT2_T3_T4_T5_mT6_T7_P12ihipStream_tbENKUlT_T0_E_clISt17integral_constantIbLb1EES10_IbLb0EEEEDaSW_SX_EUlSW_E_NS1_11comp_targetILNS1_3genE0ELNS1_11target_archE4294967295ELNS1_3gpuE0ELNS1_3repE0EEENS1_30default_config_static_selectorELNS0_4arch9wavefront6targetE1EEEvT1_,"axG",@progbits,_ZN7rocprim17ROCPRIM_400000_NS6detail17trampoline_kernelINS0_14default_configENS1_27scan_by_key_config_selectorIijEEZZNS1_16scan_by_key_implILNS1_25lookback_scan_determinismE0ELb1ES3_N6thrust23THRUST_200600_302600_NS6detail15normal_iteratorINS9_10device_ptrIiEEEENSB_INSC_IjEEEESG_jNS9_4plusIvEENS9_8equal_toIvEEjEE10hipError_tPvRmT2_T3_T4_T5_mT6_T7_P12ihipStream_tbENKUlT_T0_E_clISt17integral_constantIbLb1EES10_IbLb0EEEEDaSW_SX_EUlSW_E_NS1_11comp_targetILNS1_3genE0ELNS1_11target_archE4294967295ELNS1_3gpuE0ELNS1_3repE0EEENS1_30default_config_static_selectorELNS0_4arch9wavefront6targetE1EEEvT1_,comdat
	.protected	_ZN7rocprim17ROCPRIM_400000_NS6detail17trampoline_kernelINS0_14default_configENS1_27scan_by_key_config_selectorIijEEZZNS1_16scan_by_key_implILNS1_25lookback_scan_determinismE0ELb1ES3_N6thrust23THRUST_200600_302600_NS6detail15normal_iteratorINS9_10device_ptrIiEEEENSB_INSC_IjEEEESG_jNS9_4plusIvEENS9_8equal_toIvEEjEE10hipError_tPvRmT2_T3_T4_T5_mT6_T7_P12ihipStream_tbENKUlT_T0_E_clISt17integral_constantIbLb1EES10_IbLb0EEEEDaSW_SX_EUlSW_E_NS1_11comp_targetILNS1_3genE0ELNS1_11target_archE4294967295ELNS1_3gpuE0ELNS1_3repE0EEENS1_30default_config_static_selectorELNS0_4arch9wavefront6targetE1EEEvT1_ ; -- Begin function _ZN7rocprim17ROCPRIM_400000_NS6detail17trampoline_kernelINS0_14default_configENS1_27scan_by_key_config_selectorIijEEZZNS1_16scan_by_key_implILNS1_25lookback_scan_determinismE0ELb1ES3_N6thrust23THRUST_200600_302600_NS6detail15normal_iteratorINS9_10device_ptrIiEEEENSB_INSC_IjEEEESG_jNS9_4plusIvEENS9_8equal_toIvEEjEE10hipError_tPvRmT2_T3_T4_T5_mT6_T7_P12ihipStream_tbENKUlT_T0_E_clISt17integral_constantIbLb1EES10_IbLb0EEEEDaSW_SX_EUlSW_E_NS1_11comp_targetILNS1_3genE0ELNS1_11target_archE4294967295ELNS1_3gpuE0ELNS1_3repE0EEENS1_30default_config_static_selectorELNS0_4arch9wavefront6targetE1EEEvT1_
	.globl	_ZN7rocprim17ROCPRIM_400000_NS6detail17trampoline_kernelINS0_14default_configENS1_27scan_by_key_config_selectorIijEEZZNS1_16scan_by_key_implILNS1_25lookback_scan_determinismE0ELb1ES3_N6thrust23THRUST_200600_302600_NS6detail15normal_iteratorINS9_10device_ptrIiEEEENSB_INSC_IjEEEESG_jNS9_4plusIvEENS9_8equal_toIvEEjEE10hipError_tPvRmT2_T3_T4_T5_mT6_T7_P12ihipStream_tbENKUlT_T0_E_clISt17integral_constantIbLb1EES10_IbLb0EEEEDaSW_SX_EUlSW_E_NS1_11comp_targetILNS1_3genE0ELNS1_11target_archE4294967295ELNS1_3gpuE0ELNS1_3repE0EEENS1_30default_config_static_selectorELNS0_4arch9wavefront6targetE1EEEvT1_
	.p2align	8
	.type	_ZN7rocprim17ROCPRIM_400000_NS6detail17trampoline_kernelINS0_14default_configENS1_27scan_by_key_config_selectorIijEEZZNS1_16scan_by_key_implILNS1_25lookback_scan_determinismE0ELb1ES3_N6thrust23THRUST_200600_302600_NS6detail15normal_iteratorINS9_10device_ptrIiEEEENSB_INSC_IjEEEESG_jNS9_4plusIvEENS9_8equal_toIvEEjEE10hipError_tPvRmT2_T3_T4_T5_mT6_T7_P12ihipStream_tbENKUlT_T0_E_clISt17integral_constantIbLb1EES10_IbLb0EEEEDaSW_SX_EUlSW_E_NS1_11comp_targetILNS1_3genE0ELNS1_11target_archE4294967295ELNS1_3gpuE0ELNS1_3repE0EEENS1_30default_config_static_selectorELNS0_4arch9wavefront6targetE1EEEvT1_,@function
_ZN7rocprim17ROCPRIM_400000_NS6detail17trampoline_kernelINS0_14default_configENS1_27scan_by_key_config_selectorIijEEZZNS1_16scan_by_key_implILNS1_25lookback_scan_determinismE0ELb1ES3_N6thrust23THRUST_200600_302600_NS6detail15normal_iteratorINS9_10device_ptrIiEEEENSB_INSC_IjEEEESG_jNS9_4plusIvEENS9_8equal_toIvEEjEE10hipError_tPvRmT2_T3_T4_T5_mT6_T7_P12ihipStream_tbENKUlT_T0_E_clISt17integral_constantIbLb1EES10_IbLb0EEEEDaSW_SX_EUlSW_E_NS1_11comp_targetILNS1_3genE0ELNS1_11target_archE4294967295ELNS1_3gpuE0ELNS1_3repE0EEENS1_30default_config_static_selectorELNS0_4arch9wavefront6targetE1EEEvT1_: ; @_ZN7rocprim17ROCPRIM_400000_NS6detail17trampoline_kernelINS0_14default_configENS1_27scan_by_key_config_selectorIijEEZZNS1_16scan_by_key_implILNS1_25lookback_scan_determinismE0ELb1ES3_N6thrust23THRUST_200600_302600_NS6detail15normal_iteratorINS9_10device_ptrIiEEEENSB_INSC_IjEEEESG_jNS9_4plusIvEENS9_8equal_toIvEEjEE10hipError_tPvRmT2_T3_T4_T5_mT6_T7_P12ihipStream_tbENKUlT_T0_E_clISt17integral_constantIbLb1EES10_IbLb0EEEEDaSW_SX_EUlSW_E_NS1_11comp_targetILNS1_3genE0ELNS1_11target_archE4294967295ELNS1_3gpuE0ELNS1_3repE0EEENS1_30default_config_static_selectorELNS0_4arch9wavefront6targetE1EEEvT1_
; %bb.0:
	.section	.rodata,"a",@progbits
	.p2align	6, 0x0
	.amdhsa_kernel _ZN7rocprim17ROCPRIM_400000_NS6detail17trampoline_kernelINS0_14default_configENS1_27scan_by_key_config_selectorIijEEZZNS1_16scan_by_key_implILNS1_25lookback_scan_determinismE0ELb1ES3_N6thrust23THRUST_200600_302600_NS6detail15normal_iteratorINS9_10device_ptrIiEEEENSB_INSC_IjEEEESG_jNS9_4plusIvEENS9_8equal_toIvEEjEE10hipError_tPvRmT2_T3_T4_T5_mT6_T7_P12ihipStream_tbENKUlT_T0_E_clISt17integral_constantIbLb1EES10_IbLb0EEEEDaSW_SX_EUlSW_E_NS1_11comp_targetILNS1_3genE0ELNS1_11target_archE4294967295ELNS1_3gpuE0ELNS1_3repE0EEENS1_30default_config_static_selectorELNS0_4arch9wavefront6targetE1EEEvT1_
		.amdhsa_group_segment_fixed_size 0
		.amdhsa_private_segment_fixed_size 0
		.amdhsa_kernarg_size 112
		.amdhsa_user_sgpr_count 6
		.amdhsa_user_sgpr_private_segment_buffer 1
		.amdhsa_user_sgpr_dispatch_ptr 0
		.amdhsa_user_sgpr_queue_ptr 0
		.amdhsa_user_sgpr_kernarg_segment_ptr 1
		.amdhsa_user_sgpr_dispatch_id 0
		.amdhsa_user_sgpr_flat_scratch_init 0
		.amdhsa_user_sgpr_kernarg_preload_length 0
		.amdhsa_user_sgpr_kernarg_preload_offset 0
		.amdhsa_user_sgpr_private_segment_size 0
		.amdhsa_uses_dynamic_stack 0
		.amdhsa_system_sgpr_private_segment_wavefront_offset 0
		.amdhsa_system_sgpr_workgroup_id_x 1
		.amdhsa_system_sgpr_workgroup_id_y 0
		.amdhsa_system_sgpr_workgroup_id_z 0
		.amdhsa_system_sgpr_workgroup_info 0
		.amdhsa_system_vgpr_workitem_id 0
		.amdhsa_next_free_vgpr 1
		.amdhsa_next_free_sgpr 0
		.amdhsa_accum_offset 4
		.amdhsa_reserve_vcc 0
		.amdhsa_reserve_flat_scratch 0
		.amdhsa_float_round_mode_32 0
		.amdhsa_float_round_mode_16_64 0
		.amdhsa_float_denorm_mode_32 3
		.amdhsa_float_denorm_mode_16_64 3
		.amdhsa_dx10_clamp 1
		.amdhsa_ieee_mode 1
		.amdhsa_fp16_overflow 0
		.amdhsa_tg_split 0
		.amdhsa_exception_fp_ieee_invalid_op 0
		.amdhsa_exception_fp_denorm_src 0
		.amdhsa_exception_fp_ieee_div_zero 0
		.amdhsa_exception_fp_ieee_overflow 0
		.amdhsa_exception_fp_ieee_underflow 0
		.amdhsa_exception_fp_ieee_inexact 0
		.amdhsa_exception_int_div_zero 0
	.end_amdhsa_kernel
	.section	.text._ZN7rocprim17ROCPRIM_400000_NS6detail17trampoline_kernelINS0_14default_configENS1_27scan_by_key_config_selectorIijEEZZNS1_16scan_by_key_implILNS1_25lookback_scan_determinismE0ELb1ES3_N6thrust23THRUST_200600_302600_NS6detail15normal_iteratorINS9_10device_ptrIiEEEENSB_INSC_IjEEEESG_jNS9_4plusIvEENS9_8equal_toIvEEjEE10hipError_tPvRmT2_T3_T4_T5_mT6_T7_P12ihipStream_tbENKUlT_T0_E_clISt17integral_constantIbLb1EES10_IbLb0EEEEDaSW_SX_EUlSW_E_NS1_11comp_targetILNS1_3genE0ELNS1_11target_archE4294967295ELNS1_3gpuE0ELNS1_3repE0EEENS1_30default_config_static_selectorELNS0_4arch9wavefront6targetE1EEEvT1_,"axG",@progbits,_ZN7rocprim17ROCPRIM_400000_NS6detail17trampoline_kernelINS0_14default_configENS1_27scan_by_key_config_selectorIijEEZZNS1_16scan_by_key_implILNS1_25lookback_scan_determinismE0ELb1ES3_N6thrust23THRUST_200600_302600_NS6detail15normal_iteratorINS9_10device_ptrIiEEEENSB_INSC_IjEEEESG_jNS9_4plusIvEENS9_8equal_toIvEEjEE10hipError_tPvRmT2_T3_T4_T5_mT6_T7_P12ihipStream_tbENKUlT_T0_E_clISt17integral_constantIbLb1EES10_IbLb0EEEEDaSW_SX_EUlSW_E_NS1_11comp_targetILNS1_3genE0ELNS1_11target_archE4294967295ELNS1_3gpuE0ELNS1_3repE0EEENS1_30default_config_static_selectorELNS0_4arch9wavefront6targetE1EEEvT1_,comdat
.Lfunc_end1517:
	.size	_ZN7rocprim17ROCPRIM_400000_NS6detail17trampoline_kernelINS0_14default_configENS1_27scan_by_key_config_selectorIijEEZZNS1_16scan_by_key_implILNS1_25lookback_scan_determinismE0ELb1ES3_N6thrust23THRUST_200600_302600_NS6detail15normal_iteratorINS9_10device_ptrIiEEEENSB_INSC_IjEEEESG_jNS9_4plusIvEENS9_8equal_toIvEEjEE10hipError_tPvRmT2_T3_T4_T5_mT6_T7_P12ihipStream_tbENKUlT_T0_E_clISt17integral_constantIbLb1EES10_IbLb0EEEEDaSW_SX_EUlSW_E_NS1_11comp_targetILNS1_3genE0ELNS1_11target_archE4294967295ELNS1_3gpuE0ELNS1_3repE0EEENS1_30default_config_static_selectorELNS0_4arch9wavefront6targetE1EEEvT1_, .Lfunc_end1517-_ZN7rocprim17ROCPRIM_400000_NS6detail17trampoline_kernelINS0_14default_configENS1_27scan_by_key_config_selectorIijEEZZNS1_16scan_by_key_implILNS1_25lookback_scan_determinismE0ELb1ES3_N6thrust23THRUST_200600_302600_NS6detail15normal_iteratorINS9_10device_ptrIiEEEENSB_INSC_IjEEEESG_jNS9_4plusIvEENS9_8equal_toIvEEjEE10hipError_tPvRmT2_T3_T4_T5_mT6_T7_P12ihipStream_tbENKUlT_T0_E_clISt17integral_constantIbLb1EES10_IbLb0EEEEDaSW_SX_EUlSW_E_NS1_11comp_targetILNS1_3genE0ELNS1_11target_archE4294967295ELNS1_3gpuE0ELNS1_3repE0EEENS1_30default_config_static_selectorELNS0_4arch9wavefront6targetE1EEEvT1_
                                        ; -- End function
	.section	.AMDGPU.csdata,"",@progbits
; Kernel info:
; codeLenInByte = 0
; NumSgprs: 4
; NumVgprs: 0
; NumAgprs: 0
; TotalNumVgprs: 0
; ScratchSize: 0
; MemoryBound: 0
; FloatMode: 240
; IeeeMode: 1
; LDSByteSize: 0 bytes/workgroup (compile time only)
; SGPRBlocks: 0
; VGPRBlocks: 0
; NumSGPRsForWavesPerEU: 4
; NumVGPRsForWavesPerEU: 1
; AccumOffset: 4
; Occupancy: 8
; WaveLimiterHint : 0
; COMPUTE_PGM_RSRC2:SCRATCH_EN: 0
; COMPUTE_PGM_RSRC2:USER_SGPR: 6
; COMPUTE_PGM_RSRC2:TRAP_HANDLER: 0
; COMPUTE_PGM_RSRC2:TGID_X_EN: 1
; COMPUTE_PGM_RSRC2:TGID_Y_EN: 0
; COMPUTE_PGM_RSRC2:TGID_Z_EN: 0
; COMPUTE_PGM_RSRC2:TIDIG_COMP_CNT: 0
; COMPUTE_PGM_RSRC3_GFX90A:ACCUM_OFFSET: 0
; COMPUTE_PGM_RSRC3_GFX90A:TG_SPLIT: 0
	.section	.text._ZN7rocprim17ROCPRIM_400000_NS6detail17trampoline_kernelINS0_14default_configENS1_27scan_by_key_config_selectorIijEEZZNS1_16scan_by_key_implILNS1_25lookback_scan_determinismE0ELb1ES3_N6thrust23THRUST_200600_302600_NS6detail15normal_iteratorINS9_10device_ptrIiEEEENSB_INSC_IjEEEESG_jNS9_4plusIvEENS9_8equal_toIvEEjEE10hipError_tPvRmT2_T3_T4_T5_mT6_T7_P12ihipStream_tbENKUlT_T0_E_clISt17integral_constantIbLb1EES10_IbLb0EEEEDaSW_SX_EUlSW_E_NS1_11comp_targetILNS1_3genE10ELNS1_11target_archE1201ELNS1_3gpuE5ELNS1_3repE0EEENS1_30default_config_static_selectorELNS0_4arch9wavefront6targetE1EEEvT1_,"axG",@progbits,_ZN7rocprim17ROCPRIM_400000_NS6detail17trampoline_kernelINS0_14default_configENS1_27scan_by_key_config_selectorIijEEZZNS1_16scan_by_key_implILNS1_25lookback_scan_determinismE0ELb1ES3_N6thrust23THRUST_200600_302600_NS6detail15normal_iteratorINS9_10device_ptrIiEEEENSB_INSC_IjEEEESG_jNS9_4plusIvEENS9_8equal_toIvEEjEE10hipError_tPvRmT2_T3_T4_T5_mT6_T7_P12ihipStream_tbENKUlT_T0_E_clISt17integral_constantIbLb1EES10_IbLb0EEEEDaSW_SX_EUlSW_E_NS1_11comp_targetILNS1_3genE10ELNS1_11target_archE1201ELNS1_3gpuE5ELNS1_3repE0EEENS1_30default_config_static_selectorELNS0_4arch9wavefront6targetE1EEEvT1_,comdat
	.protected	_ZN7rocprim17ROCPRIM_400000_NS6detail17trampoline_kernelINS0_14default_configENS1_27scan_by_key_config_selectorIijEEZZNS1_16scan_by_key_implILNS1_25lookback_scan_determinismE0ELb1ES3_N6thrust23THRUST_200600_302600_NS6detail15normal_iteratorINS9_10device_ptrIiEEEENSB_INSC_IjEEEESG_jNS9_4plusIvEENS9_8equal_toIvEEjEE10hipError_tPvRmT2_T3_T4_T5_mT6_T7_P12ihipStream_tbENKUlT_T0_E_clISt17integral_constantIbLb1EES10_IbLb0EEEEDaSW_SX_EUlSW_E_NS1_11comp_targetILNS1_3genE10ELNS1_11target_archE1201ELNS1_3gpuE5ELNS1_3repE0EEENS1_30default_config_static_selectorELNS0_4arch9wavefront6targetE1EEEvT1_ ; -- Begin function _ZN7rocprim17ROCPRIM_400000_NS6detail17trampoline_kernelINS0_14default_configENS1_27scan_by_key_config_selectorIijEEZZNS1_16scan_by_key_implILNS1_25lookback_scan_determinismE0ELb1ES3_N6thrust23THRUST_200600_302600_NS6detail15normal_iteratorINS9_10device_ptrIiEEEENSB_INSC_IjEEEESG_jNS9_4plusIvEENS9_8equal_toIvEEjEE10hipError_tPvRmT2_T3_T4_T5_mT6_T7_P12ihipStream_tbENKUlT_T0_E_clISt17integral_constantIbLb1EES10_IbLb0EEEEDaSW_SX_EUlSW_E_NS1_11comp_targetILNS1_3genE10ELNS1_11target_archE1201ELNS1_3gpuE5ELNS1_3repE0EEENS1_30default_config_static_selectorELNS0_4arch9wavefront6targetE1EEEvT1_
	.globl	_ZN7rocprim17ROCPRIM_400000_NS6detail17trampoline_kernelINS0_14default_configENS1_27scan_by_key_config_selectorIijEEZZNS1_16scan_by_key_implILNS1_25lookback_scan_determinismE0ELb1ES3_N6thrust23THRUST_200600_302600_NS6detail15normal_iteratorINS9_10device_ptrIiEEEENSB_INSC_IjEEEESG_jNS9_4plusIvEENS9_8equal_toIvEEjEE10hipError_tPvRmT2_T3_T4_T5_mT6_T7_P12ihipStream_tbENKUlT_T0_E_clISt17integral_constantIbLb1EES10_IbLb0EEEEDaSW_SX_EUlSW_E_NS1_11comp_targetILNS1_3genE10ELNS1_11target_archE1201ELNS1_3gpuE5ELNS1_3repE0EEENS1_30default_config_static_selectorELNS0_4arch9wavefront6targetE1EEEvT1_
	.p2align	8
	.type	_ZN7rocprim17ROCPRIM_400000_NS6detail17trampoline_kernelINS0_14default_configENS1_27scan_by_key_config_selectorIijEEZZNS1_16scan_by_key_implILNS1_25lookback_scan_determinismE0ELb1ES3_N6thrust23THRUST_200600_302600_NS6detail15normal_iteratorINS9_10device_ptrIiEEEENSB_INSC_IjEEEESG_jNS9_4plusIvEENS9_8equal_toIvEEjEE10hipError_tPvRmT2_T3_T4_T5_mT6_T7_P12ihipStream_tbENKUlT_T0_E_clISt17integral_constantIbLb1EES10_IbLb0EEEEDaSW_SX_EUlSW_E_NS1_11comp_targetILNS1_3genE10ELNS1_11target_archE1201ELNS1_3gpuE5ELNS1_3repE0EEENS1_30default_config_static_selectorELNS0_4arch9wavefront6targetE1EEEvT1_,@function
_ZN7rocprim17ROCPRIM_400000_NS6detail17trampoline_kernelINS0_14default_configENS1_27scan_by_key_config_selectorIijEEZZNS1_16scan_by_key_implILNS1_25lookback_scan_determinismE0ELb1ES3_N6thrust23THRUST_200600_302600_NS6detail15normal_iteratorINS9_10device_ptrIiEEEENSB_INSC_IjEEEESG_jNS9_4plusIvEENS9_8equal_toIvEEjEE10hipError_tPvRmT2_T3_T4_T5_mT6_T7_P12ihipStream_tbENKUlT_T0_E_clISt17integral_constantIbLb1EES10_IbLb0EEEEDaSW_SX_EUlSW_E_NS1_11comp_targetILNS1_3genE10ELNS1_11target_archE1201ELNS1_3gpuE5ELNS1_3repE0EEENS1_30default_config_static_selectorELNS0_4arch9wavefront6targetE1EEEvT1_: ; @_ZN7rocprim17ROCPRIM_400000_NS6detail17trampoline_kernelINS0_14default_configENS1_27scan_by_key_config_selectorIijEEZZNS1_16scan_by_key_implILNS1_25lookback_scan_determinismE0ELb1ES3_N6thrust23THRUST_200600_302600_NS6detail15normal_iteratorINS9_10device_ptrIiEEEENSB_INSC_IjEEEESG_jNS9_4plusIvEENS9_8equal_toIvEEjEE10hipError_tPvRmT2_T3_T4_T5_mT6_T7_P12ihipStream_tbENKUlT_T0_E_clISt17integral_constantIbLb1EES10_IbLb0EEEEDaSW_SX_EUlSW_E_NS1_11comp_targetILNS1_3genE10ELNS1_11target_archE1201ELNS1_3gpuE5ELNS1_3repE0EEENS1_30default_config_static_selectorELNS0_4arch9wavefront6targetE1EEEvT1_
; %bb.0:
	.section	.rodata,"a",@progbits
	.p2align	6, 0x0
	.amdhsa_kernel _ZN7rocprim17ROCPRIM_400000_NS6detail17trampoline_kernelINS0_14default_configENS1_27scan_by_key_config_selectorIijEEZZNS1_16scan_by_key_implILNS1_25lookback_scan_determinismE0ELb1ES3_N6thrust23THRUST_200600_302600_NS6detail15normal_iteratorINS9_10device_ptrIiEEEENSB_INSC_IjEEEESG_jNS9_4plusIvEENS9_8equal_toIvEEjEE10hipError_tPvRmT2_T3_T4_T5_mT6_T7_P12ihipStream_tbENKUlT_T0_E_clISt17integral_constantIbLb1EES10_IbLb0EEEEDaSW_SX_EUlSW_E_NS1_11comp_targetILNS1_3genE10ELNS1_11target_archE1201ELNS1_3gpuE5ELNS1_3repE0EEENS1_30default_config_static_selectorELNS0_4arch9wavefront6targetE1EEEvT1_
		.amdhsa_group_segment_fixed_size 0
		.amdhsa_private_segment_fixed_size 0
		.amdhsa_kernarg_size 112
		.amdhsa_user_sgpr_count 6
		.amdhsa_user_sgpr_private_segment_buffer 1
		.amdhsa_user_sgpr_dispatch_ptr 0
		.amdhsa_user_sgpr_queue_ptr 0
		.amdhsa_user_sgpr_kernarg_segment_ptr 1
		.amdhsa_user_sgpr_dispatch_id 0
		.amdhsa_user_sgpr_flat_scratch_init 0
		.amdhsa_user_sgpr_kernarg_preload_length 0
		.amdhsa_user_sgpr_kernarg_preload_offset 0
		.amdhsa_user_sgpr_private_segment_size 0
		.amdhsa_uses_dynamic_stack 0
		.amdhsa_system_sgpr_private_segment_wavefront_offset 0
		.amdhsa_system_sgpr_workgroup_id_x 1
		.amdhsa_system_sgpr_workgroup_id_y 0
		.amdhsa_system_sgpr_workgroup_id_z 0
		.amdhsa_system_sgpr_workgroup_info 0
		.amdhsa_system_vgpr_workitem_id 0
		.amdhsa_next_free_vgpr 1
		.amdhsa_next_free_sgpr 0
		.amdhsa_accum_offset 4
		.amdhsa_reserve_vcc 0
		.amdhsa_reserve_flat_scratch 0
		.amdhsa_float_round_mode_32 0
		.amdhsa_float_round_mode_16_64 0
		.amdhsa_float_denorm_mode_32 3
		.amdhsa_float_denorm_mode_16_64 3
		.amdhsa_dx10_clamp 1
		.amdhsa_ieee_mode 1
		.amdhsa_fp16_overflow 0
		.amdhsa_tg_split 0
		.amdhsa_exception_fp_ieee_invalid_op 0
		.amdhsa_exception_fp_denorm_src 0
		.amdhsa_exception_fp_ieee_div_zero 0
		.amdhsa_exception_fp_ieee_overflow 0
		.amdhsa_exception_fp_ieee_underflow 0
		.amdhsa_exception_fp_ieee_inexact 0
		.amdhsa_exception_int_div_zero 0
	.end_amdhsa_kernel
	.section	.text._ZN7rocprim17ROCPRIM_400000_NS6detail17trampoline_kernelINS0_14default_configENS1_27scan_by_key_config_selectorIijEEZZNS1_16scan_by_key_implILNS1_25lookback_scan_determinismE0ELb1ES3_N6thrust23THRUST_200600_302600_NS6detail15normal_iteratorINS9_10device_ptrIiEEEENSB_INSC_IjEEEESG_jNS9_4plusIvEENS9_8equal_toIvEEjEE10hipError_tPvRmT2_T3_T4_T5_mT6_T7_P12ihipStream_tbENKUlT_T0_E_clISt17integral_constantIbLb1EES10_IbLb0EEEEDaSW_SX_EUlSW_E_NS1_11comp_targetILNS1_3genE10ELNS1_11target_archE1201ELNS1_3gpuE5ELNS1_3repE0EEENS1_30default_config_static_selectorELNS0_4arch9wavefront6targetE1EEEvT1_,"axG",@progbits,_ZN7rocprim17ROCPRIM_400000_NS6detail17trampoline_kernelINS0_14default_configENS1_27scan_by_key_config_selectorIijEEZZNS1_16scan_by_key_implILNS1_25lookback_scan_determinismE0ELb1ES3_N6thrust23THRUST_200600_302600_NS6detail15normal_iteratorINS9_10device_ptrIiEEEENSB_INSC_IjEEEESG_jNS9_4plusIvEENS9_8equal_toIvEEjEE10hipError_tPvRmT2_T3_T4_T5_mT6_T7_P12ihipStream_tbENKUlT_T0_E_clISt17integral_constantIbLb1EES10_IbLb0EEEEDaSW_SX_EUlSW_E_NS1_11comp_targetILNS1_3genE10ELNS1_11target_archE1201ELNS1_3gpuE5ELNS1_3repE0EEENS1_30default_config_static_selectorELNS0_4arch9wavefront6targetE1EEEvT1_,comdat
.Lfunc_end1518:
	.size	_ZN7rocprim17ROCPRIM_400000_NS6detail17trampoline_kernelINS0_14default_configENS1_27scan_by_key_config_selectorIijEEZZNS1_16scan_by_key_implILNS1_25lookback_scan_determinismE0ELb1ES3_N6thrust23THRUST_200600_302600_NS6detail15normal_iteratorINS9_10device_ptrIiEEEENSB_INSC_IjEEEESG_jNS9_4plusIvEENS9_8equal_toIvEEjEE10hipError_tPvRmT2_T3_T4_T5_mT6_T7_P12ihipStream_tbENKUlT_T0_E_clISt17integral_constantIbLb1EES10_IbLb0EEEEDaSW_SX_EUlSW_E_NS1_11comp_targetILNS1_3genE10ELNS1_11target_archE1201ELNS1_3gpuE5ELNS1_3repE0EEENS1_30default_config_static_selectorELNS0_4arch9wavefront6targetE1EEEvT1_, .Lfunc_end1518-_ZN7rocprim17ROCPRIM_400000_NS6detail17trampoline_kernelINS0_14default_configENS1_27scan_by_key_config_selectorIijEEZZNS1_16scan_by_key_implILNS1_25lookback_scan_determinismE0ELb1ES3_N6thrust23THRUST_200600_302600_NS6detail15normal_iteratorINS9_10device_ptrIiEEEENSB_INSC_IjEEEESG_jNS9_4plusIvEENS9_8equal_toIvEEjEE10hipError_tPvRmT2_T3_T4_T5_mT6_T7_P12ihipStream_tbENKUlT_T0_E_clISt17integral_constantIbLb1EES10_IbLb0EEEEDaSW_SX_EUlSW_E_NS1_11comp_targetILNS1_3genE10ELNS1_11target_archE1201ELNS1_3gpuE5ELNS1_3repE0EEENS1_30default_config_static_selectorELNS0_4arch9wavefront6targetE1EEEvT1_
                                        ; -- End function
	.section	.AMDGPU.csdata,"",@progbits
; Kernel info:
; codeLenInByte = 0
; NumSgprs: 4
; NumVgprs: 0
; NumAgprs: 0
; TotalNumVgprs: 0
; ScratchSize: 0
; MemoryBound: 0
; FloatMode: 240
; IeeeMode: 1
; LDSByteSize: 0 bytes/workgroup (compile time only)
; SGPRBlocks: 0
; VGPRBlocks: 0
; NumSGPRsForWavesPerEU: 4
; NumVGPRsForWavesPerEU: 1
; AccumOffset: 4
; Occupancy: 8
; WaveLimiterHint : 0
; COMPUTE_PGM_RSRC2:SCRATCH_EN: 0
; COMPUTE_PGM_RSRC2:USER_SGPR: 6
; COMPUTE_PGM_RSRC2:TRAP_HANDLER: 0
; COMPUTE_PGM_RSRC2:TGID_X_EN: 1
; COMPUTE_PGM_RSRC2:TGID_Y_EN: 0
; COMPUTE_PGM_RSRC2:TGID_Z_EN: 0
; COMPUTE_PGM_RSRC2:TIDIG_COMP_CNT: 0
; COMPUTE_PGM_RSRC3_GFX90A:ACCUM_OFFSET: 0
; COMPUTE_PGM_RSRC3_GFX90A:TG_SPLIT: 0
	.section	.text._ZN7rocprim17ROCPRIM_400000_NS6detail17trampoline_kernelINS0_14default_configENS1_27scan_by_key_config_selectorIijEEZZNS1_16scan_by_key_implILNS1_25lookback_scan_determinismE0ELb1ES3_N6thrust23THRUST_200600_302600_NS6detail15normal_iteratorINS9_10device_ptrIiEEEENSB_INSC_IjEEEESG_jNS9_4plusIvEENS9_8equal_toIvEEjEE10hipError_tPvRmT2_T3_T4_T5_mT6_T7_P12ihipStream_tbENKUlT_T0_E_clISt17integral_constantIbLb1EES10_IbLb0EEEEDaSW_SX_EUlSW_E_NS1_11comp_targetILNS1_3genE5ELNS1_11target_archE942ELNS1_3gpuE9ELNS1_3repE0EEENS1_30default_config_static_selectorELNS0_4arch9wavefront6targetE1EEEvT1_,"axG",@progbits,_ZN7rocprim17ROCPRIM_400000_NS6detail17trampoline_kernelINS0_14default_configENS1_27scan_by_key_config_selectorIijEEZZNS1_16scan_by_key_implILNS1_25lookback_scan_determinismE0ELb1ES3_N6thrust23THRUST_200600_302600_NS6detail15normal_iteratorINS9_10device_ptrIiEEEENSB_INSC_IjEEEESG_jNS9_4plusIvEENS9_8equal_toIvEEjEE10hipError_tPvRmT2_T3_T4_T5_mT6_T7_P12ihipStream_tbENKUlT_T0_E_clISt17integral_constantIbLb1EES10_IbLb0EEEEDaSW_SX_EUlSW_E_NS1_11comp_targetILNS1_3genE5ELNS1_11target_archE942ELNS1_3gpuE9ELNS1_3repE0EEENS1_30default_config_static_selectorELNS0_4arch9wavefront6targetE1EEEvT1_,comdat
	.protected	_ZN7rocprim17ROCPRIM_400000_NS6detail17trampoline_kernelINS0_14default_configENS1_27scan_by_key_config_selectorIijEEZZNS1_16scan_by_key_implILNS1_25lookback_scan_determinismE0ELb1ES3_N6thrust23THRUST_200600_302600_NS6detail15normal_iteratorINS9_10device_ptrIiEEEENSB_INSC_IjEEEESG_jNS9_4plusIvEENS9_8equal_toIvEEjEE10hipError_tPvRmT2_T3_T4_T5_mT6_T7_P12ihipStream_tbENKUlT_T0_E_clISt17integral_constantIbLb1EES10_IbLb0EEEEDaSW_SX_EUlSW_E_NS1_11comp_targetILNS1_3genE5ELNS1_11target_archE942ELNS1_3gpuE9ELNS1_3repE0EEENS1_30default_config_static_selectorELNS0_4arch9wavefront6targetE1EEEvT1_ ; -- Begin function _ZN7rocprim17ROCPRIM_400000_NS6detail17trampoline_kernelINS0_14default_configENS1_27scan_by_key_config_selectorIijEEZZNS1_16scan_by_key_implILNS1_25lookback_scan_determinismE0ELb1ES3_N6thrust23THRUST_200600_302600_NS6detail15normal_iteratorINS9_10device_ptrIiEEEENSB_INSC_IjEEEESG_jNS9_4plusIvEENS9_8equal_toIvEEjEE10hipError_tPvRmT2_T3_T4_T5_mT6_T7_P12ihipStream_tbENKUlT_T0_E_clISt17integral_constantIbLb1EES10_IbLb0EEEEDaSW_SX_EUlSW_E_NS1_11comp_targetILNS1_3genE5ELNS1_11target_archE942ELNS1_3gpuE9ELNS1_3repE0EEENS1_30default_config_static_selectorELNS0_4arch9wavefront6targetE1EEEvT1_
	.globl	_ZN7rocprim17ROCPRIM_400000_NS6detail17trampoline_kernelINS0_14default_configENS1_27scan_by_key_config_selectorIijEEZZNS1_16scan_by_key_implILNS1_25lookback_scan_determinismE0ELb1ES3_N6thrust23THRUST_200600_302600_NS6detail15normal_iteratorINS9_10device_ptrIiEEEENSB_INSC_IjEEEESG_jNS9_4plusIvEENS9_8equal_toIvEEjEE10hipError_tPvRmT2_T3_T4_T5_mT6_T7_P12ihipStream_tbENKUlT_T0_E_clISt17integral_constantIbLb1EES10_IbLb0EEEEDaSW_SX_EUlSW_E_NS1_11comp_targetILNS1_3genE5ELNS1_11target_archE942ELNS1_3gpuE9ELNS1_3repE0EEENS1_30default_config_static_selectorELNS0_4arch9wavefront6targetE1EEEvT1_
	.p2align	8
	.type	_ZN7rocprim17ROCPRIM_400000_NS6detail17trampoline_kernelINS0_14default_configENS1_27scan_by_key_config_selectorIijEEZZNS1_16scan_by_key_implILNS1_25lookback_scan_determinismE0ELb1ES3_N6thrust23THRUST_200600_302600_NS6detail15normal_iteratorINS9_10device_ptrIiEEEENSB_INSC_IjEEEESG_jNS9_4plusIvEENS9_8equal_toIvEEjEE10hipError_tPvRmT2_T3_T4_T5_mT6_T7_P12ihipStream_tbENKUlT_T0_E_clISt17integral_constantIbLb1EES10_IbLb0EEEEDaSW_SX_EUlSW_E_NS1_11comp_targetILNS1_3genE5ELNS1_11target_archE942ELNS1_3gpuE9ELNS1_3repE0EEENS1_30default_config_static_selectorELNS0_4arch9wavefront6targetE1EEEvT1_,@function
_ZN7rocprim17ROCPRIM_400000_NS6detail17trampoline_kernelINS0_14default_configENS1_27scan_by_key_config_selectorIijEEZZNS1_16scan_by_key_implILNS1_25lookback_scan_determinismE0ELb1ES3_N6thrust23THRUST_200600_302600_NS6detail15normal_iteratorINS9_10device_ptrIiEEEENSB_INSC_IjEEEESG_jNS9_4plusIvEENS9_8equal_toIvEEjEE10hipError_tPvRmT2_T3_T4_T5_mT6_T7_P12ihipStream_tbENKUlT_T0_E_clISt17integral_constantIbLb1EES10_IbLb0EEEEDaSW_SX_EUlSW_E_NS1_11comp_targetILNS1_3genE5ELNS1_11target_archE942ELNS1_3gpuE9ELNS1_3repE0EEENS1_30default_config_static_selectorELNS0_4arch9wavefront6targetE1EEEvT1_: ; @_ZN7rocprim17ROCPRIM_400000_NS6detail17trampoline_kernelINS0_14default_configENS1_27scan_by_key_config_selectorIijEEZZNS1_16scan_by_key_implILNS1_25lookback_scan_determinismE0ELb1ES3_N6thrust23THRUST_200600_302600_NS6detail15normal_iteratorINS9_10device_ptrIiEEEENSB_INSC_IjEEEESG_jNS9_4plusIvEENS9_8equal_toIvEEjEE10hipError_tPvRmT2_T3_T4_T5_mT6_T7_P12ihipStream_tbENKUlT_T0_E_clISt17integral_constantIbLb1EES10_IbLb0EEEEDaSW_SX_EUlSW_E_NS1_11comp_targetILNS1_3genE5ELNS1_11target_archE942ELNS1_3gpuE9ELNS1_3repE0EEENS1_30default_config_static_selectorELNS0_4arch9wavefront6targetE1EEEvT1_
; %bb.0:
	.section	.rodata,"a",@progbits
	.p2align	6, 0x0
	.amdhsa_kernel _ZN7rocprim17ROCPRIM_400000_NS6detail17trampoline_kernelINS0_14default_configENS1_27scan_by_key_config_selectorIijEEZZNS1_16scan_by_key_implILNS1_25lookback_scan_determinismE0ELb1ES3_N6thrust23THRUST_200600_302600_NS6detail15normal_iteratorINS9_10device_ptrIiEEEENSB_INSC_IjEEEESG_jNS9_4plusIvEENS9_8equal_toIvEEjEE10hipError_tPvRmT2_T3_T4_T5_mT6_T7_P12ihipStream_tbENKUlT_T0_E_clISt17integral_constantIbLb1EES10_IbLb0EEEEDaSW_SX_EUlSW_E_NS1_11comp_targetILNS1_3genE5ELNS1_11target_archE942ELNS1_3gpuE9ELNS1_3repE0EEENS1_30default_config_static_selectorELNS0_4arch9wavefront6targetE1EEEvT1_
		.amdhsa_group_segment_fixed_size 0
		.amdhsa_private_segment_fixed_size 0
		.amdhsa_kernarg_size 112
		.amdhsa_user_sgpr_count 6
		.amdhsa_user_sgpr_private_segment_buffer 1
		.amdhsa_user_sgpr_dispatch_ptr 0
		.amdhsa_user_sgpr_queue_ptr 0
		.amdhsa_user_sgpr_kernarg_segment_ptr 1
		.amdhsa_user_sgpr_dispatch_id 0
		.amdhsa_user_sgpr_flat_scratch_init 0
		.amdhsa_user_sgpr_kernarg_preload_length 0
		.amdhsa_user_sgpr_kernarg_preload_offset 0
		.amdhsa_user_sgpr_private_segment_size 0
		.amdhsa_uses_dynamic_stack 0
		.amdhsa_system_sgpr_private_segment_wavefront_offset 0
		.amdhsa_system_sgpr_workgroup_id_x 1
		.amdhsa_system_sgpr_workgroup_id_y 0
		.amdhsa_system_sgpr_workgroup_id_z 0
		.amdhsa_system_sgpr_workgroup_info 0
		.amdhsa_system_vgpr_workitem_id 0
		.amdhsa_next_free_vgpr 1
		.amdhsa_next_free_sgpr 0
		.amdhsa_accum_offset 4
		.amdhsa_reserve_vcc 0
		.amdhsa_reserve_flat_scratch 0
		.amdhsa_float_round_mode_32 0
		.amdhsa_float_round_mode_16_64 0
		.amdhsa_float_denorm_mode_32 3
		.amdhsa_float_denorm_mode_16_64 3
		.amdhsa_dx10_clamp 1
		.amdhsa_ieee_mode 1
		.amdhsa_fp16_overflow 0
		.amdhsa_tg_split 0
		.amdhsa_exception_fp_ieee_invalid_op 0
		.amdhsa_exception_fp_denorm_src 0
		.amdhsa_exception_fp_ieee_div_zero 0
		.amdhsa_exception_fp_ieee_overflow 0
		.amdhsa_exception_fp_ieee_underflow 0
		.amdhsa_exception_fp_ieee_inexact 0
		.amdhsa_exception_int_div_zero 0
	.end_amdhsa_kernel
	.section	.text._ZN7rocprim17ROCPRIM_400000_NS6detail17trampoline_kernelINS0_14default_configENS1_27scan_by_key_config_selectorIijEEZZNS1_16scan_by_key_implILNS1_25lookback_scan_determinismE0ELb1ES3_N6thrust23THRUST_200600_302600_NS6detail15normal_iteratorINS9_10device_ptrIiEEEENSB_INSC_IjEEEESG_jNS9_4plusIvEENS9_8equal_toIvEEjEE10hipError_tPvRmT2_T3_T4_T5_mT6_T7_P12ihipStream_tbENKUlT_T0_E_clISt17integral_constantIbLb1EES10_IbLb0EEEEDaSW_SX_EUlSW_E_NS1_11comp_targetILNS1_3genE5ELNS1_11target_archE942ELNS1_3gpuE9ELNS1_3repE0EEENS1_30default_config_static_selectorELNS0_4arch9wavefront6targetE1EEEvT1_,"axG",@progbits,_ZN7rocprim17ROCPRIM_400000_NS6detail17trampoline_kernelINS0_14default_configENS1_27scan_by_key_config_selectorIijEEZZNS1_16scan_by_key_implILNS1_25lookback_scan_determinismE0ELb1ES3_N6thrust23THRUST_200600_302600_NS6detail15normal_iteratorINS9_10device_ptrIiEEEENSB_INSC_IjEEEESG_jNS9_4plusIvEENS9_8equal_toIvEEjEE10hipError_tPvRmT2_T3_T4_T5_mT6_T7_P12ihipStream_tbENKUlT_T0_E_clISt17integral_constantIbLb1EES10_IbLb0EEEEDaSW_SX_EUlSW_E_NS1_11comp_targetILNS1_3genE5ELNS1_11target_archE942ELNS1_3gpuE9ELNS1_3repE0EEENS1_30default_config_static_selectorELNS0_4arch9wavefront6targetE1EEEvT1_,comdat
.Lfunc_end1519:
	.size	_ZN7rocprim17ROCPRIM_400000_NS6detail17trampoline_kernelINS0_14default_configENS1_27scan_by_key_config_selectorIijEEZZNS1_16scan_by_key_implILNS1_25lookback_scan_determinismE0ELb1ES3_N6thrust23THRUST_200600_302600_NS6detail15normal_iteratorINS9_10device_ptrIiEEEENSB_INSC_IjEEEESG_jNS9_4plusIvEENS9_8equal_toIvEEjEE10hipError_tPvRmT2_T3_T4_T5_mT6_T7_P12ihipStream_tbENKUlT_T0_E_clISt17integral_constantIbLb1EES10_IbLb0EEEEDaSW_SX_EUlSW_E_NS1_11comp_targetILNS1_3genE5ELNS1_11target_archE942ELNS1_3gpuE9ELNS1_3repE0EEENS1_30default_config_static_selectorELNS0_4arch9wavefront6targetE1EEEvT1_, .Lfunc_end1519-_ZN7rocprim17ROCPRIM_400000_NS6detail17trampoline_kernelINS0_14default_configENS1_27scan_by_key_config_selectorIijEEZZNS1_16scan_by_key_implILNS1_25lookback_scan_determinismE0ELb1ES3_N6thrust23THRUST_200600_302600_NS6detail15normal_iteratorINS9_10device_ptrIiEEEENSB_INSC_IjEEEESG_jNS9_4plusIvEENS9_8equal_toIvEEjEE10hipError_tPvRmT2_T3_T4_T5_mT6_T7_P12ihipStream_tbENKUlT_T0_E_clISt17integral_constantIbLb1EES10_IbLb0EEEEDaSW_SX_EUlSW_E_NS1_11comp_targetILNS1_3genE5ELNS1_11target_archE942ELNS1_3gpuE9ELNS1_3repE0EEENS1_30default_config_static_selectorELNS0_4arch9wavefront6targetE1EEEvT1_
                                        ; -- End function
	.section	.AMDGPU.csdata,"",@progbits
; Kernel info:
; codeLenInByte = 0
; NumSgprs: 4
; NumVgprs: 0
; NumAgprs: 0
; TotalNumVgprs: 0
; ScratchSize: 0
; MemoryBound: 0
; FloatMode: 240
; IeeeMode: 1
; LDSByteSize: 0 bytes/workgroup (compile time only)
; SGPRBlocks: 0
; VGPRBlocks: 0
; NumSGPRsForWavesPerEU: 4
; NumVGPRsForWavesPerEU: 1
; AccumOffset: 4
; Occupancy: 8
; WaveLimiterHint : 0
; COMPUTE_PGM_RSRC2:SCRATCH_EN: 0
; COMPUTE_PGM_RSRC2:USER_SGPR: 6
; COMPUTE_PGM_RSRC2:TRAP_HANDLER: 0
; COMPUTE_PGM_RSRC2:TGID_X_EN: 1
; COMPUTE_PGM_RSRC2:TGID_Y_EN: 0
; COMPUTE_PGM_RSRC2:TGID_Z_EN: 0
; COMPUTE_PGM_RSRC2:TIDIG_COMP_CNT: 0
; COMPUTE_PGM_RSRC3_GFX90A:ACCUM_OFFSET: 0
; COMPUTE_PGM_RSRC3_GFX90A:TG_SPLIT: 0
	.section	.text._ZN7rocprim17ROCPRIM_400000_NS6detail17trampoline_kernelINS0_14default_configENS1_27scan_by_key_config_selectorIijEEZZNS1_16scan_by_key_implILNS1_25lookback_scan_determinismE0ELb1ES3_N6thrust23THRUST_200600_302600_NS6detail15normal_iteratorINS9_10device_ptrIiEEEENSB_INSC_IjEEEESG_jNS9_4plusIvEENS9_8equal_toIvEEjEE10hipError_tPvRmT2_T3_T4_T5_mT6_T7_P12ihipStream_tbENKUlT_T0_E_clISt17integral_constantIbLb1EES10_IbLb0EEEEDaSW_SX_EUlSW_E_NS1_11comp_targetILNS1_3genE4ELNS1_11target_archE910ELNS1_3gpuE8ELNS1_3repE0EEENS1_30default_config_static_selectorELNS0_4arch9wavefront6targetE1EEEvT1_,"axG",@progbits,_ZN7rocprim17ROCPRIM_400000_NS6detail17trampoline_kernelINS0_14default_configENS1_27scan_by_key_config_selectorIijEEZZNS1_16scan_by_key_implILNS1_25lookback_scan_determinismE0ELb1ES3_N6thrust23THRUST_200600_302600_NS6detail15normal_iteratorINS9_10device_ptrIiEEEENSB_INSC_IjEEEESG_jNS9_4plusIvEENS9_8equal_toIvEEjEE10hipError_tPvRmT2_T3_T4_T5_mT6_T7_P12ihipStream_tbENKUlT_T0_E_clISt17integral_constantIbLb1EES10_IbLb0EEEEDaSW_SX_EUlSW_E_NS1_11comp_targetILNS1_3genE4ELNS1_11target_archE910ELNS1_3gpuE8ELNS1_3repE0EEENS1_30default_config_static_selectorELNS0_4arch9wavefront6targetE1EEEvT1_,comdat
	.protected	_ZN7rocprim17ROCPRIM_400000_NS6detail17trampoline_kernelINS0_14default_configENS1_27scan_by_key_config_selectorIijEEZZNS1_16scan_by_key_implILNS1_25lookback_scan_determinismE0ELb1ES3_N6thrust23THRUST_200600_302600_NS6detail15normal_iteratorINS9_10device_ptrIiEEEENSB_INSC_IjEEEESG_jNS9_4plusIvEENS9_8equal_toIvEEjEE10hipError_tPvRmT2_T3_T4_T5_mT6_T7_P12ihipStream_tbENKUlT_T0_E_clISt17integral_constantIbLb1EES10_IbLb0EEEEDaSW_SX_EUlSW_E_NS1_11comp_targetILNS1_3genE4ELNS1_11target_archE910ELNS1_3gpuE8ELNS1_3repE0EEENS1_30default_config_static_selectorELNS0_4arch9wavefront6targetE1EEEvT1_ ; -- Begin function _ZN7rocprim17ROCPRIM_400000_NS6detail17trampoline_kernelINS0_14default_configENS1_27scan_by_key_config_selectorIijEEZZNS1_16scan_by_key_implILNS1_25lookback_scan_determinismE0ELb1ES3_N6thrust23THRUST_200600_302600_NS6detail15normal_iteratorINS9_10device_ptrIiEEEENSB_INSC_IjEEEESG_jNS9_4plusIvEENS9_8equal_toIvEEjEE10hipError_tPvRmT2_T3_T4_T5_mT6_T7_P12ihipStream_tbENKUlT_T0_E_clISt17integral_constantIbLb1EES10_IbLb0EEEEDaSW_SX_EUlSW_E_NS1_11comp_targetILNS1_3genE4ELNS1_11target_archE910ELNS1_3gpuE8ELNS1_3repE0EEENS1_30default_config_static_selectorELNS0_4arch9wavefront6targetE1EEEvT1_
	.globl	_ZN7rocprim17ROCPRIM_400000_NS6detail17trampoline_kernelINS0_14default_configENS1_27scan_by_key_config_selectorIijEEZZNS1_16scan_by_key_implILNS1_25lookback_scan_determinismE0ELb1ES3_N6thrust23THRUST_200600_302600_NS6detail15normal_iteratorINS9_10device_ptrIiEEEENSB_INSC_IjEEEESG_jNS9_4plusIvEENS9_8equal_toIvEEjEE10hipError_tPvRmT2_T3_T4_T5_mT6_T7_P12ihipStream_tbENKUlT_T0_E_clISt17integral_constantIbLb1EES10_IbLb0EEEEDaSW_SX_EUlSW_E_NS1_11comp_targetILNS1_3genE4ELNS1_11target_archE910ELNS1_3gpuE8ELNS1_3repE0EEENS1_30default_config_static_selectorELNS0_4arch9wavefront6targetE1EEEvT1_
	.p2align	8
	.type	_ZN7rocprim17ROCPRIM_400000_NS6detail17trampoline_kernelINS0_14default_configENS1_27scan_by_key_config_selectorIijEEZZNS1_16scan_by_key_implILNS1_25lookback_scan_determinismE0ELb1ES3_N6thrust23THRUST_200600_302600_NS6detail15normal_iteratorINS9_10device_ptrIiEEEENSB_INSC_IjEEEESG_jNS9_4plusIvEENS9_8equal_toIvEEjEE10hipError_tPvRmT2_T3_T4_T5_mT6_T7_P12ihipStream_tbENKUlT_T0_E_clISt17integral_constantIbLb1EES10_IbLb0EEEEDaSW_SX_EUlSW_E_NS1_11comp_targetILNS1_3genE4ELNS1_11target_archE910ELNS1_3gpuE8ELNS1_3repE0EEENS1_30default_config_static_selectorELNS0_4arch9wavefront6targetE1EEEvT1_,@function
_ZN7rocprim17ROCPRIM_400000_NS6detail17trampoline_kernelINS0_14default_configENS1_27scan_by_key_config_selectorIijEEZZNS1_16scan_by_key_implILNS1_25lookback_scan_determinismE0ELb1ES3_N6thrust23THRUST_200600_302600_NS6detail15normal_iteratorINS9_10device_ptrIiEEEENSB_INSC_IjEEEESG_jNS9_4plusIvEENS9_8equal_toIvEEjEE10hipError_tPvRmT2_T3_T4_T5_mT6_T7_P12ihipStream_tbENKUlT_T0_E_clISt17integral_constantIbLb1EES10_IbLb0EEEEDaSW_SX_EUlSW_E_NS1_11comp_targetILNS1_3genE4ELNS1_11target_archE910ELNS1_3gpuE8ELNS1_3repE0EEENS1_30default_config_static_selectorELNS0_4arch9wavefront6targetE1EEEvT1_: ; @_ZN7rocprim17ROCPRIM_400000_NS6detail17trampoline_kernelINS0_14default_configENS1_27scan_by_key_config_selectorIijEEZZNS1_16scan_by_key_implILNS1_25lookback_scan_determinismE0ELb1ES3_N6thrust23THRUST_200600_302600_NS6detail15normal_iteratorINS9_10device_ptrIiEEEENSB_INSC_IjEEEESG_jNS9_4plusIvEENS9_8equal_toIvEEjEE10hipError_tPvRmT2_T3_T4_T5_mT6_T7_P12ihipStream_tbENKUlT_T0_E_clISt17integral_constantIbLb1EES10_IbLb0EEEEDaSW_SX_EUlSW_E_NS1_11comp_targetILNS1_3genE4ELNS1_11target_archE910ELNS1_3gpuE8ELNS1_3repE0EEENS1_30default_config_static_selectorELNS0_4arch9wavefront6targetE1EEEvT1_
; %bb.0:
	s_load_dwordx8 s[36:43], s[4:5], 0x0
	s_load_dword s56, s[4:5], 0x20
	s_load_dwordx4 s[44:47], s[4:5], 0x28
	s_load_dwordx2 s[52:53], s[4:5], 0x38
	s_load_dword s0, s[4:5], 0x40
	s_load_dwordx4 s[48:51], s[4:5], 0x48
	s_waitcnt lgkmcnt(0)
	s_lshl_b64 s[34:35], s[38:39], 2
	s_add_u32 s2, s36, s34
	s_addc_u32 s3, s37, s35
	s_add_u32 s4, s40, s34
	s_mul_i32 s1, s53, s0
	s_mul_hi_u32 s7, s52, s0
	s_addc_u32 s5, s41, s35
	s_add_i32 s8, s7, s1
	s_mul_i32 s9, s52, s0
	s_mul_i32 s0, s6, 0xe00
	s_mov_b32 s1, 0
	s_lshl_b64 s[36:37], s[0:1], 2
	s_add_u32 s38, s2, s36
	s_addc_u32 s39, s3, s37
	s_add_u32 s7, s4, s36
	s_addc_u32 s47, s5, s37
	;; [unrolled: 2-line block ×3, first 2 shown]
	s_add_u32 s4, s48, -1
	s_addc_u32 s5, s49, -1
	v_pk_mov_b32 v[2:3], s[4:5], s[4:5] op_sel:[0,1]
	v_cmp_ge_u64_e64 s[0:1], s[0:1], v[2:3]
	s_mov_b64 s[2:3], -1
	s_and_b64 vcc, exec, s[0:1]
	s_mul_i32 s33, s4, 0xfffff200
	s_barrier
	s_cbranch_vccz .LBB1520_76
; %bb.1:
	v_pk_mov_b32 v[2:3], s[38:39], s[38:39] op_sel:[0,1]
	flat_load_dword v1, v[2:3]
	s_add_i32 s54, s33, s46
	v_cmp_gt_u32_e32 vcc, s54, v0
	s_waitcnt vmcnt(0) lgkmcnt(0)
	v_mov_b32_e32 v13, v1
	s_and_saveexec_b64 s[4:5], vcc
	s_cbranch_execz .LBB1520_3
; %bb.2:
	v_lshlrev_b32_e32 v2, 2, v0
	v_mov_b32_e32 v3, s39
	v_add_co_u32_e64 v2, s[2:3], s38, v2
	v_addc_co_u32_e64 v3, s[2:3], 0, v3, s[2:3]
	flat_load_dword v13, v[2:3]
.LBB1520_3:
	s_or_b64 exec, exec, s[4:5]
	v_or_b32_e32 v2, 0x100, v0
	v_cmp_gt_u32_e64 s[2:3], s54, v2
	v_mov_b32_e32 v14, v1
	s_and_saveexec_b64 s[8:9], s[2:3]
	s_cbranch_execz .LBB1520_5
; %bb.4:
	v_lshlrev_b32_e32 v2, 2, v0
	v_mov_b32_e32 v3, s39
	v_add_co_u32_e64 v2, s[4:5], s38, v2
	v_addc_co_u32_e64 v3, s[4:5], 0, v3, s[4:5]
	flat_load_dword v14, v[2:3] offset:1024
.LBB1520_5:
	s_or_b64 exec, exec, s[8:9]
	v_or_b32_e32 v2, 0x200, v0
	v_cmp_gt_u32_e64 s[4:5], s54, v2
	v_mov_b32_e32 v15, v1
	s_and_saveexec_b64 s[10:11], s[4:5]
	s_cbranch_execz .LBB1520_7
; %bb.6:
	v_lshlrev_b32_e32 v2, 2, v0
	v_mov_b32_e32 v3, s39
	v_add_co_u32_e64 v2, s[8:9], s38, v2
	v_addc_co_u32_e64 v3, s[8:9], 0, v3, s[8:9]
	flat_load_dword v15, v[2:3] offset:2048
.LBB1520_7:
	;; [unrolled: 13-line block ×3, first 2 shown]
	s_or_b64 exec, exec, s[10:11]
	v_or_b32_e32 v2, 0x400, v0
	v_cmp_gt_u32_e64 s[8:9], s54, v2
	v_mov_b32_e32 v17, v1
	s_and_saveexec_b64 s[12:13], s[8:9]
	s_cbranch_execz .LBB1520_11
; %bb.10:
	v_lshlrev_b32_e32 v3, 2, v2
	v_mov_b32_e32 v5, s39
	v_add_co_u32_e64 v4, s[10:11], s38, v3
	v_addc_co_u32_e64 v5, s[10:11], 0, v5, s[10:11]
	flat_load_dword v17, v[4:5]
.LBB1520_11:
	s_or_b64 exec, exec, s[12:13]
	v_or_b32_e32 v3, 0x500, v0
	v_cmp_gt_u32_e64 s[10:11], s54, v3
	v_mov_b32_e32 v18, v1
	s_and_saveexec_b64 s[14:15], s[10:11]
	s_cbranch_execz .LBB1520_13
; %bb.12:
	v_lshlrev_b32_e32 v4, 2, v3
	v_mov_b32_e32 v5, s39
	v_add_co_u32_e64 v4, s[12:13], s38, v4
	v_addc_co_u32_e64 v5, s[12:13], 0, v5, s[12:13]
	flat_load_dword v18, v[4:5]
.LBB1520_13:
	s_or_b64 exec, exec, s[14:15]
	v_or_b32_e32 v4, 0x600, v0
	v_cmp_gt_u32_e64 s[12:13], s54, v4
	v_mov_b32_e32 v19, v1
	s_and_saveexec_b64 s[16:17], s[12:13]
	s_cbranch_execz .LBB1520_15
; %bb.14:
	v_lshlrev_b32_e32 v5, 2, v4
	v_mov_b32_e32 v7, s39
	v_add_co_u32_e64 v6, s[14:15], s38, v5
	v_addc_co_u32_e64 v7, s[14:15], 0, v7, s[14:15]
	flat_load_dword v19, v[6:7]
.LBB1520_15:
	s_or_b64 exec, exec, s[16:17]
	v_or_b32_e32 v5, 0x700, v0
	v_cmp_gt_u32_e64 s[14:15], s54, v5
	v_mov_b32_e32 v20, v1
	s_and_saveexec_b64 s[18:19], s[14:15]
	s_cbranch_execz .LBB1520_17
; %bb.16:
	v_lshlrev_b32_e32 v6, 2, v5
	v_mov_b32_e32 v7, s39
	v_add_co_u32_e64 v6, s[16:17], s38, v6
	v_addc_co_u32_e64 v7, s[16:17], 0, v7, s[16:17]
	flat_load_dword v20, v[6:7]
.LBB1520_17:
	s_or_b64 exec, exec, s[18:19]
	v_or_b32_e32 v6, 0x800, v0
	v_cmp_gt_u32_e64 s[16:17], s54, v6
	v_mov_b32_e32 v21, v1
	s_and_saveexec_b64 s[20:21], s[16:17]
	s_cbranch_execz .LBB1520_19
; %bb.18:
	v_lshlrev_b32_e32 v7, 2, v6
	v_mov_b32_e32 v9, s39
	v_add_co_u32_e64 v8, s[18:19], s38, v7
	v_addc_co_u32_e64 v9, s[18:19], 0, v9, s[18:19]
	flat_load_dword v21, v[8:9]
.LBB1520_19:
	s_or_b64 exec, exec, s[20:21]
	v_or_b32_e32 v7, 0x900, v0
	v_cmp_gt_u32_e64 s[18:19], s54, v7
	v_mov_b32_e32 v22, v1
	s_and_saveexec_b64 s[22:23], s[18:19]
	s_cbranch_execz .LBB1520_21
; %bb.20:
	v_lshlrev_b32_e32 v8, 2, v7
	v_mov_b32_e32 v9, s39
	v_add_co_u32_e64 v8, s[20:21], s38, v8
	v_addc_co_u32_e64 v9, s[20:21], 0, v9, s[20:21]
	flat_load_dword v22, v[8:9]
.LBB1520_21:
	s_or_b64 exec, exec, s[22:23]
	v_or_b32_e32 v8, 0xa00, v0
	v_cmp_gt_u32_e64 s[20:21], s54, v8
	v_mov_b32_e32 v23, v1
	s_and_saveexec_b64 s[24:25], s[20:21]
	s_cbranch_execz .LBB1520_23
; %bb.22:
	v_lshlrev_b32_e32 v9, 2, v8
	v_mov_b32_e32 v11, s39
	v_add_co_u32_e64 v10, s[22:23], s38, v9
	v_addc_co_u32_e64 v11, s[22:23], 0, v11, s[22:23]
	flat_load_dword v23, v[10:11]
.LBB1520_23:
	s_or_b64 exec, exec, s[24:25]
	v_or_b32_e32 v9, 0xb00, v0
	v_cmp_gt_u32_e64 s[22:23], s54, v9
	v_mov_b32_e32 v24, v1
	s_and_saveexec_b64 s[26:27], s[22:23]
	s_cbranch_execz .LBB1520_25
; %bb.24:
	v_lshlrev_b32_e32 v10, 2, v9
	v_mov_b32_e32 v11, s39
	v_add_co_u32_e64 v10, s[24:25], s38, v10
	v_addc_co_u32_e64 v11, s[24:25], 0, v11, s[24:25]
	flat_load_dword v24, v[10:11]
.LBB1520_25:
	s_or_b64 exec, exec, s[26:27]
	v_or_b32_e32 v10, 0xc00, v0
	v_cmp_gt_u32_e64 s[24:25], s54, v10
	v_mov_b32_e32 v25, v1
	s_and_saveexec_b64 s[30:31], s[24:25]
	s_cbranch_execz .LBB1520_27
; %bb.26:
	v_lshlrev_b32_e32 v11, 2, v10
	v_mov_b32_e32 v12, s39
	v_add_co_u32_e64 v26, s[26:27], s38, v11
	v_addc_co_u32_e64 v27, s[26:27], 0, v12, s[26:27]
	flat_load_dword v25, v[26:27]
.LBB1520_27:
	s_or_b64 exec, exec, s[30:31]
	v_or_b32_e32 v11, 0xd00, v0
	v_cmp_gt_u32_e64 s[26:27], s54, v11
	s_and_saveexec_b64 s[40:41], s[26:27]
	s_cbranch_execz .LBB1520_29
; %bb.28:
	v_lshlrev_b32_e32 v1, 2, v11
	v_mov_b32_e32 v12, s39
	v_add_co_u32_e64 v26, s[30:31], s38, v1
	v_addc_co_u32_e64 v27, s[30:31], 0, v12, s[30:31]
	flat_load_dword v1, v[26:27]
.LBB1520_29:
	s_or_b64 exec, exec, s[40:41]
	v_lshlrev_b32_e32 v12, 2, v0
	s_waitcnt vmcnt(0) lgkmcnt(0)
	ds_write2st64_b32 v12, v13, v14 offset1:4
	ds_write2st64_b32 v12, v15, v16 offset0:8 offset1:12
	ds_write2st64_b32 v12, v17, v18 offset0:16 offset1:20
	;; [unrolled: 1-line block ×6, first 2 shown]
	v_pk_mov_b32 v[14:15], s[38:39], s[38:39] op_sel:[0,1]
	s_waitcnt lgkmcnt(0)
	s_barrier
	flat_load_dword v1, v[14:15]
	v_mad_u32_u24 v44, v0, 52, v12
	s_movk_i32 s30, 0xffcc
	ds_read2_b64 v[34:37], v44 offset1:1
	ds_read2_b64 v[30:33], v44 offset0:2 offset1:3
	ds_read2_b64 v[26:29], v44 offset0:4 offset1:5
	ds_read_b64 v[40:41], v44 offset:48
	v_mad_i32_i24 v13, v0, s30, v44
	s_movk_i32 s30, 0xff
	v_cmp_ne_u32_e64 s[30:31], s30, v0
	s_waitcnt lgkmcnt(0)
	ds_write_b32 v13, v34 offset:15360
	s_waitcnt lgkmcnt(0)
	s_barrier
	s_and_saveexec_b64 s[40:41], s[30:31]
	s_cbranch_execz .LBB1520_31
; %bb.30:
	s_waitcnt vmcnt(0)
	ds_read_b32 v1, v12 offset:15364
.LBB1520_31:
	s_or_b64 exec, exec, s[40:41]
	s_waitcnt lgkmcnt(0)
	s_barrier
	s_waitcnt lgkmcnt(0)
                                        ; implicit-def: $vgpr13
	s_and_saveexec_b64 s[30:31], vcc
	s_cbranch_execz .LBB1520_117
; %bb.32:
	v_mov_b32_e32 v13, s47
	v_add_co_u32_e32 v14, vcc, s7, v12
	v_addc_co_u32_e32 v15, vcc, 0, v13, vcc
	flat_load_dword v13, v[14:15]
	s_or_b64 exec, exec, s[30:31]
                                        ; implicit-def: $vgpr14
	s_and_saveexec_b64 s[30:31], s[2:3]
	s_cbranch_execnz .LBB1520_118
.LBB1520_33:
	s_or_b64 exec, exec, s[30:31]
                                        ; implicit-def: $vgpr15
	s_and_saveexec_b64 s[2:3], s[4:5]
	s_cbranch_execz .LBB1520_119
.LBB1520_34:
	v_mov_b32_e32 v15, s47
	v_add_co_u32_e32 v16, vcc, s7, v12
	v_addc_co_u32_e32 v17, vcc, 0, v15, vcc
	flat_load_dword v15, v[16:17] offset:2048
	s_or_b64 exec, exec, s[2:3]
                                        ; implicit-def: $vgpr16
	s_and_saveexec_b64 s[2:3], s[28:29]
	s_cbranch_execnz .LBB1520_120
.LBB1520_35:
	s_or_b64 exec, exec, s[2:3]
                                        ; implicit-def: $vgpr17
	s_and_saveexec_b64 s[2:3], s[8:9]
	s_cbranch_execz .LBB1520_121
.LBB1520_36:
	v_lshlrev_b32_e32 v2, 2, v2
	v_mov_b32_e32 v17, s47
	v_add_co_u32_e32 v18, vcc, s7, v2
	v_addc_co_u32_e32 v19, vcc, 0, v17, vcc
	flat_load_dword v17, v[18:19]
	s_or_b64 exec, exec, s[2:3]
                                        ; implicit-def: $vgpr2
	s_and_saveexec_b64 s[2:3], s[10:11]
	s_cbranch_execnz .LBB1520_122
.LBB1520_37:
	s_or_b64 exec, exec, s[2:3]
                                        ; implicit-def: $vgpr3
	s_and_saveexec_b64 s[2:3], s[12:13]
	s_cbranch_execz .LBB1520_123
.LBB1520_38:
	v_lshlrev_b32_e32 v3, 2, v4
	v_mov_b32_e32 v4, s47
	v_add_co_u32_e32 v18, vcc, s7, v3
	v_addc_co_u32_e32 v19, vcc, 0, v4, vcc
	flat_load_dword v3, v[18:19]
	s_or_b64 exec, exec, s[2:3]
                                        ; implicit-def: $vgpr4
	s_and_saveexec_b64 s[2:3], s[14:15]
	s_cbranch_execnz .LBB1520_124
.LBB1520_39:
	s_or_b64 exec, exec, s[2:3]
                                        ; implicit-def: $vgpr5
	s_and_saveexec_b64 s[2:3], s[16:17]
	s_cbranch_execz .LBB1520_125
.LBB1520_40:
	v_lshlrev_b32_e32 v5, 2, v6
	v_mov_b32_e32 v6, s47
	v_add_co_u32_e32 v18, vcc, s7, v5
	v_addc_co_u32_e32 v19, vcc, 0, v6, vcc
	flat_load_dword v5, v[18:19]
	s_or_b64 exec, exec, s[2:3]
                                        ; implicit-def: $vgpr6
	s_and_saveexec_b64 s[2:3], s[18:19]
	s_cbranch_execnz .LBB1520_126
.LBB1520_41:
	s_or_b64 exec, exec, s[2:3]
                                        ; implicit-def: $vgpr7
	s_and_saveexec_b64 s[2:3], s[20:21]
	s_cbranch_execz .LBB1520_127
.LBB1520_42:
	v_lshlrev_b32_e32 v7, 2, v8
	v_mov_b32_e32 v8, s47
	v_add_co_u32_e32 v18, vcc, s7, v7
	v_addc_co_u32_e32 v19, vcc, 0, v8, vcc
	flat_load_dword v7, v[18:19]
	s_or_b64 exec, exec, s[2:3]
                                        ; implicit-def: $vgpr8
	s_and_saveexec_b64 s[2:3], s[22:23]
	s_cbranch_execnz .LBB1520_128
.LBB1520_43:
	s_or_b64 exec, exec, s[2:3]
                                        ; implicit-def: $vgpr9
	s_and_saveexec_b64 s[2:3], s[24:25]
	s_cbranch_execz .LBB1520_45
.LBB1520_44:
	v_lshlrev_b32_e32 v9, 2, v10
	v_mov_b32_e32 v10, s47
	v_add_co_u32_e32 v18, vcc, s7, v9
	v_addc_co_u32_e32 v19, vcc, 0, v10, vcc
	flat_load_dword v9, v[18:19]
.LBB1520_45:
	s_or_b64 exec, exec, s[2:3]
	v_mul_u32_u24_e32 v45, 14, v0
                                        ; implicit-def: $vgpr10
	s_and_saveexec_b64 s[2:3], s[26:27]
	s_cbranch_execz .LBB1520_47
; %bb.46:
	v_lshlrev_b32_e32 v10, 2, v11
	v_mov_b32_e32 v11, s47
	v_add_co_u32_e32 v10, vcc, s7, v10
	v_addc_co_u32_e32 v11, vcc, 0, v11, vcc
	flat_load_dword v10, v[10:11]
.LBB1520_47:
	s_or_b64 exec, exec, s[2:3]
	s_mov_b32 s8, 0
	s_mov_b32 s9, s8
	s_waitcnt vmcnt(0) lgkmcnt(0)
	ds_write2st64_b32 v12, v13, v14 offset1:4
	ds_write2st64_b32 v12, v15, v16 offset0:8 offset1:12
	ds_write2st64_b32 v12, v17, v2 offset0:16 offset1:20
	;; [unrolled: 1-line block ×6, first 2 shown]
	s_mov_b32 s10, s8
	s_mov_b32 s11, s8
	s_mov_b32 s12, s8
	s_mov_b32 s13, s8
	s_mov_b32 s14, s8
	s_mov_b32 s15, s8
	v_pk_mov_b32 v[2:3], s[8:9], s[8:9] op_sel:[0,1]
	v_pk_mov_b32 v[8:9], s[14:15], s[14:15] op_sel:[0,1]
	;; [unrolled: 1-line block ×6, first 2 shown]
	v_cmp_gt_u32_e32 vcc, s54, v45
	s_mov_b64 s[2:3], 0
	v_pk_mov_b32 v[38:39], 0, 0
	s_mov_b64 s[18:19], 0
	v_pk_mov_b32 v[14:15], v[6:7], v[6:7] op_sel:[0,1]
	v_pk_mov_b32 v[12:13], v[4:5], v[4:5] op_sel:[0,1]
	;; [unrolled: 1-line block ×6, first 2 shown]
	s_waitcnt lgkmcnt(0)
	s_barrier
	s_waitcnt lgkmcnt(0)
                                        ; implicit-def: $sgpr16_sgpr17
                                        ; implicit-def: $vgpr42
	s_and_saveexec_b64 s[4:5], vcc
	s_cbranch_execz .LBB1520_75
; %bb.48:
	ds_read_b32 v2, v44
	v_mov_b32_e32 v4, s56
	v_cmp_eq_u32_e32 vcc, v34, v35
	v_or_b32_e32 v3, 1, v45
                                        ; implicit-def: $vgpr42
	s_waitcnt lgkmcnt(0)
	v_cndmask_b32_e32 v38, v4, v2, vcc
	v_cmp_ne_u32_e32 vcc, v34, v35
	v_cndmask_b32_e64 v39, 0, 1, vcc
	v_cmp_gt_u32_e32 vcc, s54, v3
	v_pk_mov_b32 v[2:3], s[8:9], s[8:9] op_sel:[0,1]
	v_pk_mov_b32 v[8:9], s[14:15], s[14:15] op_sel:[0,1]
	;; [unrolled: 1-line block ×12, first 2 shown]
                                        ; implicit-def: $sgpr8_sgpr9
	s_and_saveexec_b64 s[16:17], vcc
	s_cbranch_execz .LBB1520_74
; %bb.49:
	ds_read2_b32 v[42:43], v44 offset0:1 offset1:2
	s_mov_b32 s8, 0
	v_mov_b32_e32 v3, s56
	v_cmp_eq_u32_e32 vcc, v35, v36
	s_mov_b32 s14, s8
	s_mov_b32 s15, s8
	v_add_u32_e32 v2, 2, v45
	s_waitcnt lgkmcnt(0)
	v_cndmask_b32_e32 v8, v3, v42, vcc
	v_cmp_ne_u32_e32 vcc, v35, v36
	s_mov_b32 s9, s8
	s_mov_b32 s10, s8
	;; [unrolled: 1-line block ×5, first 2 shown]
	v_pk_mov_b32 v[16:17], s[14:15], s[14:15] op_sel:[0,1]
	v_cndmask_b32_e64 v9, 0, 1, vcc
	v_cmp_gt_u32_e32 vcc, s54, v2
	v_mov_b32_e32 v2, 0
	v_pk_mov_b32 v[14:15], s[12:13], s[12:13] op_sel:[0,1]
	v_pk_mov_b32 v[12:13], s[10:11], s[10:11] op_sel:[0,1]
	;; [unrolled: 1-line block ×4, first 2 shown]
	v_mov_b32_e32 v3, v2
	v_mov_b32_e32 v4, v2
	;; [unrolled: 1-line block ×5, first 2 shown]
	s_mov_b64 s[20:21], 0
	v_pk_mov_b32 v[22:23], v[14:15], v[14:15] op_sel:[0,1]
	v_pk_mov_b32 v[20:21], v[12:13], v[12:13] op_sel:[0,1]
	v_pk_mov_b32 v[18:19], v[10:11], v[10:11] op_sel:[0,1]
                                        ; implicit-def: $sgpr24_sgpr25
                                        ; implicit-def: $vgpr42
	s_and_saveexec_b64 s[18:19], vcc
	s_cbranch_execz .LBB1520_73
; %bb.50:
	v_mov_b32_e32 v4, s56
	v_cmp_eq_u32_e32 vcc, v36, v37
	v_pk_mov_b32 v[16:17], s[14:15], s[14:15] op_sel:[0,1]
	v_add_u32_e32 v3, 3, v45
	v_cndmask_b32_e32 v6, v4, v43, vcc
	v_cmp_ne_u32_e32 vcc, v36, v37
	v_pk_mov_b32 v[14:15], s[12:13], s[12:13] op_sel:[0,1]
	v_pk_mov_b32 v[12:13], s[10:11], s[10:11] op_sel:[0,1]
	;; [unrolled: 1-line block ×4, first 2 shown]
	v_cndmask_b32_e64 v7, 0, 1, vcc
	v_cmp_gt_u32_e32 vcc, s54, v3
	v_mov_b32_e32 v3, v2
	v_mov_b32_e32 v4, v2
	;; [unrolled: 1-line block ×3, first 2 shown]
	s_mov_b64 s[22:23], 0
	v_pk_mov_b32 v[22:23], v[14:15], v[14:15] op_sel:[0,1]
	v_pk_mov_b32 v[20:21], v[12:13], v[12:13] op_sel:[0,1]
	;; [unrolled: 1-line block ×3, first 2 shown]
                                        ; implicit-def: $sgpr8_sgpr9
                                        ; implicit-def: $vgpr42
	s_and_saveexec_b64 s[20:21], vcc
	s_cbranch_execz .LBB1520_72
; %bb.51:
	ds_read2_b32 v[34:35], v44 offset0:3 offset1:4
	s_mov_b32 s8, 0
	s_mov_b32 s14, s8
	;; [unrolled: 1-line block ×3, first 2 shown]
	v_mov_b32_e32 v3, s56
	v_cmp_eq_u32_e32 vcc, v37, v30
	s_mov_b32 s9, s8
	s_mov_b32 s10, s8
	;; [unrolled: 1-line block ×5, first 2 shown]
	v_pk_mov_b32 v[16:17], s[14:15], s[14:15] op_sel:[0,1]
	v_add_u32_e32 v2, 4, v45
	s_waitcnt lgkmcnt(0)
	v_cndmask_b32_e32 v4, v3, v34, vcc
	v_cmp_ne_u32_e32 vcc, v37, v30
	v_pk_mov_b32 v[14:15], s[12:13], s[12:13] op_sel:[0,1]
	v_pk_mov_b32 v[12:13], s[10:11], s[10:11] op_sel:[0,1]
	;; [unrolled: 1-line block ×4, first 2 shown]
	v_cndmask_b32_e64 v5, 0, 1, vcc
	v_cmp_gt_u32_e32 vcc, s54, v2
	v_mov_b32_e32 v2, s8
	v_mov_b32_e32 v3, s8
	s_mov_b64 s[24:25], 0
	v_pk_mov_b32 v[22:23], v[14:15], v[14:15] op_sel:[0,1]
	v_pk_mov_b32 v[20:21], v[12:13], v[12:13] op_sel:[0,1]
	;; [unrolled: 1-line block ×3, first 2 shown]
                                        ; implicit-def: $sgpr26_sgpr27
                                        ; implicit-def: $vgpr42
	s_and_saveexec_b64 s[22:23], vcc
	s_cbranch_execz .LBB1520_71
; %bb.52:
	v_mov_b32_e32 v2, s56
	v_cmp_eq_u32_e32 vcc, v30, v31
	v_add_u32_e32 v10, 5, v45
	v_cndmask_b32_e32 v2, v2, v35, vcc
	v_cmp_ne_u32_e32 vcc, v30, v31
	v_cndmask_b32_e64 v3, 0, 1, vcc
	v_cmp_gt_u32_e32 vcc, s54, v10
	v_pk_mov_b32 v[16:17], s[14:15], s[14:15] op_sel:[0,1]
	v_pk_mov_b32 v[14:15], s[12:13], s[12:13] op_sel:[0,1]
	;; [unrolled: 1-line block ×5, first 2 shown]
	s_mov_b64 s[28:29], 0
	v_pk_mov_b32 v[22:23], v[14:15], v[14:15] op_sel:[0,1]
	v_pk_mov_b32 v[20:21], v[12:13], v[12:13] op_sel:[0,1]
	;; [unrolled: 1-line block ×3, first 2 shown]
                                        ; implicit-def: $sgpr8_sgpr9
                                        ; implicit-def: $vgpr42
	s_and_saveexec_b64 s[24:25], vcc
	s_cbranch_execz .LBB1520_70
; %bb.53:
	ds_read2_b32 v[34:35], v44 offset0:5 offset1:6
	v_mov_b32_e32 v11, s56
	v_cmp_eq_u32_e32 vcc, v31, v32
	s_mov_b32 s8, 0
	v_add_u32_e32 v10, 6, v45
	s_waitcnt lgkmcnt(0)
	v_cndmask_b32_e32 v16, v11, v34, vcc
	v_cmp_ne_u32_e32 vcc, v31, v32
	s_mov_b32 s14, s8
	s_mov_b32 s15, s8
	v_cndmask_b32_e64 v17, 0, 1, vcc
	v_cmp_gt_u32_e32 vcc, s54, v10
	v_mov_b32_e32 v10, 0
	s_mov_b32 s9, s8
	s_mov_b32 s10, s8
	;; [unrolled: 1-line block ×5, first 2 shown]
	v_pk_mov_b32 v[24:25], s[14:15], s[14:15] op_sel:[0,1]
	v_mov_b32_e32 v11, v10
	v_mov_b32_e32 v12, v10
	;; [unrolled: 1-line block ×5, first 2 shown]
	v_pk_mov_b32 v[22:23], s[12:13], s[12:13] op_sel:[0,1]
	v_pk_mov_b32 v[20:21], s[10:11], s[10:11] op_sel:[0,1]
	;; [unrolled: 1-line block ×3, first 2 shown]
                                        ; implicit-def: $sgpr40_sgpr41
                                        ; implicit-def: $vgpr42
	s_and_saveexec_b64 s[26:27], vcc
	s_cbranch_execz .LBB1520_69
; %bb.54:
	v_mov_b32_e32 v12, s56
	v_cmp_eq_u32_e32 vcc, v32, v33
	v_add_u32_e32 v11, 7, v45
	v_cndmask_b32_e32 v14, v12, v35, vcc
	v_cmp_ne_u32_e32 vcc, v32, v33
	v_pk_mov_b32 v[24:25], s[14:15], s[14:15] op_sel:[0,1]
	v_cndmask_b32_e64 v15, 0, 1, vcc
	v_cmp_gt_u32_e32 vcc, s54, v11
	v_mov_b32_e32 v11, v10
	v_mov_b32_e32 v12, v10
	;; [unrolled: 1-line block ×3, first 2 shown]
	s_mov_b64 s[30:31], 0
	v_pk_mov_b32 v[22:23], s[12:13], s[12:13] op_sel:[0,1]
	v_pk_mov_b32 v[20:21], s[10:11], s[10:11] op_sel:[0,1]
	;; [unrolled: 1-line block ×3, first 2 shown]
                                        ; implicit-def: $sgpr8_sgpr9
                                        ; implicit-def: $vgpr42
	s_and_saveexec_b64 s[28:29], vcc
	s_cbranch_execz .LBB1520_68
; %bb.55:
	ds_read2_b32 v[30:31], v44 offset0:7 offset1:8
	s_mov_b32 s8, 0
	v_mov_b32_e32 v11, s56
	v_cmp_eq_u32_e32 vcc, v33, v26
	s_mov_b32 s14, s8
	s_mov_b32 s15, s8
	v_add_u32_e32 v10, 8, v45
	s_waitcnt lgkmcnt(0)
	v_cndmask_b32_e32 v12, v11, v30, vcc
	v_cmp_ne_u32_e32 vcc, v33, v26
	s_mov_b32 s9, s8
	s_mov_b32 s10, s8
	;; [unrolled: 1-line block ×5, first 2 shown]
	v_pk_mov_b32 v[24:25], s[14:15], s[14:15] op_sel:[0,1]
	v_cndmask_b32_e64 v13, 0, 1, vcc
	v_cmp_gt_u32_e32 vcc, s54, v10
	v_mov_b32_e32 v10, s8
	v_mov_b32_e32 v11, s8
	s_mov_b64 s[40:41], 0
	v_pk_mov_b32 v[22:23], s[12:13], s[12:13] op_sel:[0,1]
	v_pk_mov_b32 v[20:21], s[10:11], s[10:11] op_sel:[0,1]
	;; [unrolled: 1-line block ×3, first 2 shown]
                                        ; implicit-def: $sgpr48_sgpr49
                                        ; implicit-def: $vgpr42
	s_and_saveexec_b64 s[30:31], vcc
	s_cbranch_execz .LBB1520_67
; %bb.56:
	v_mov_b32_e32 v10, s56
	v_cmp_eq_u32_e32 vcc, v26, v27
	v_add_u32_e32 v18, 9, v45
	v_cndmask_b32_e32 v10, v10, v31, vcc
	v_cmp_ne_u32_e32 vcc, v26, v27
	v_cndmask_b32_e64 v11, 0, 1, vcc
	v_cmp_gt_u32_e32 vcc, s54, v18
	v_pk_mov_b32 v[24:25], s[14:15], s[14:15] op_sel:[0,1]
	v_pk_mov_b32 v[22:23], s[12:13], s[12:13] op_sel:[0,1]
	;; [unrolled: 1-line block ×4, first 2 shown]
                                        ; implicit-def: $sgpr10_sgpr11
                                        ; implicit-def: $vgpr42
	s_and_saveexec_b64 s[8:9], vcc
	s_cbranch_execz .LBB1520_66
; %bb.57:
	ds_read2_b32 v[30:31], v44 offset0:9 offset1:10
	v_mov_b32_e32 v18, s56
	v_cmp_eq_u32_e32 vcc, v27, v28
	v_add_u32_e32 v20, 10, v45
	v_mov_b32_e32 v22, 0
	s_waitcnt lgkmcnt(0)
	v_cndmask_b32_e32 v18, v18, v30, vcc
	v_cmp_ne_u32_e32 vcc, v27, v28
	v_cndmask_b32_e64 v19, 0, 1, vcc
	v_cmp_gt_u32_e32 vcc, s54, v20
	v_mov_b32_e32 v20, v22
	v_mov_b32_e32 v21, v22
	;; [unrolled: 1-line block ×5, first 2 shown]
	s_mov_b64 s[12:13], 0
                                        ; implicit-def: $sgpr40_sgpr41
                                        ; implicit-def: $vgpr42
	s_and_saveexec_b64 s[10:11], vcc
	s_cbranch_execz .LBB1520_65
; %bb.58:
	v_mov_b32_e32 v20, s56
	v_cmp_eq_u32_e32 vcc, v28, v29
	v_add_u32_e32 v23, 11, v45
	v_cndmask_b32_e32 v20, v20, v31, vcc
	v_cmp_ne_u32_e32 vcc, v28, v29
	v_cndmask_b32_e64 v21, 0, 1, vcc
	v_cmp_gt_u32_e32 vcc, s54, v23
	s_mov_b32 s40, 0
	v_mov_b32_e32 v23, v22
	v_mov_b32_e32 v24, v22
	;; [unrolled: 1-line block ×3, first 2 shown]
	s_mov_b64 s[14:15], 0
                                        ; implicit-def: $sgpr48_sgpr49
                                        ; implicit-def: $vgpr42
	s_and_saveexec_b64 s[12:13], vcc
	s_cbranch_execz .LBB1520_64
; %bb.59:
	ds_read2_b32 v[26:27], v44 offset0:11 offset1:12
	v_mov_b32_e32 v22, s56
	v_cmp_eq_u32_e32 vcc, v29, v40
	v_add_u32_e32 v24, 12, v45
	v_mov_b32_e32 v25, s40
	s_waitcnt lgkmcnt(0)
	v_cndmask_b32_e32 v22, v22, v26, vcc
	v_cmp_ne_u32_e32 vcc, v29, v40
	v_cndmask_b32_e64 v23, 0, 1, vcc
	v_cmp_gt_u32_e32 vcc, s54, v24
	v_mov_b32_e32 v24, s40
	s_mov_b64 s[40:41], 0
                                        ; implicit-def: $sgpr48_sgpr49
                                        ; implicit-def: $vgpr42
	s_and_saveexec_b64 s[14:15], vcc
	s_cbranch_execz .LBB1520_63
; %bb.60:
	v_mov_b32_e32 v24, s56
	v_cmp_eq_u32_e32 vcc, v40, v41
	v_add_u32_e32 v26, 13, v45
	v_cndmask_b32_e32 v24, v24, v27, vcc
	v_cmp_ne_u32_e32 vcc, v40, v41
	v_cndmask_b32_e64 v25, 0, 1, vcc
	v_cmp_gt_u32_e32 vcc, s54, v26
                                        ; implicit-def: $sgpr48_sgpr49
                                        ; implicit-def: $vgpr42
	s_and_saveexec_b64 s[54:55], vcc
	s_xor_b64 s[54:55], exec, s[54:55]
	s_cbranch_execz .LBB1520_62
; %bb.61:
	ds_read_b32 v26, v44 offset:52
	v_mov_b32_e32 v27, s56
	v_cmp_ne_u32_e32 vcc, v41, v1
	s_mov_b64 s[40:41], exec
	s_and_b64 s[48:49], vcc, exec
	s_waitcnt lgkmcnt(0)
	v_cndmask_b32_e32 v42, v26, v27, vcc
.LBB1520_62:
	s_or_b64 exec, exec, s[54:55]
	s_and_b64 s[48:49], s[48:49], exec
	s_and_b64 s[40:41], s[40:41], exec
.LBB1520_63:
	s_or_b64 exec, exec, s[14:15]
	s_and_b64 s[48:49], s[48:49], exec
	s_and_b64 s[14:15], s[40:41], exec
.LBB1520_64:
	s_or_b64 exec, exec, s[12:13]
	s_and_b64 s[40:41], s[48:49], exec
	s_and_b64 s[12:13], s[14:15], exec
.LBB1520_65:
	s_or_b64 exec, exec, s[10:11]
	s_and_b64 s[10:11], s[40:41], exec
	s_and_b64 s[40:41], s[12:13], exec
.LBB1520_66:
	s_or_b64 exec, exec, s[8:9]
	s_and_b64 s[48:49], s[10:11], exec
	s_and_b64 s[40:41], s[40:41], exec
.LBB1520_67:
	s_or_b64 exec, exec, s[30:31]
	s_and_b64 s[8:9], s[48:49], exec
	s_and_b64 s[30:31], s[40:41], exec
.LBB1520_68:
	s_or_b64 exec, exec, s[28:29]
	s_and_b64 s[40:41], s[8:9], exec
	s_and_b64 s[28:29], s[30:31], exec
.LBB1520_69:
	s_or_b64 exec, exec, s[26:27]
	s_and_b64 s[8:9], s[40:41], exec
	s_and_b64 s[28:29], s[28:29], exec
.LBB1520_70:
	s_or_b64 exec, exec, s[24:25]
	s_and_b64 s[26:27], s[8:9], exec
	s_and_b64 s[24:25], s[28:29], exec
.LBB1520_71:
	s_or_b64 exec, exec, s[22:23]
	s_and_b64 s[8:9], s[26:27], exec
	s_and_b64 s[22:23], s[24:25], exec
.LBB1520_72:
	s_or_b64 exec, exec, s[20:21]
	s_and_b64 s[24:25], s[8:9], exec
	s_and_b64 s[20:21], s[22:23], exec
.LBB1520_73:
	s_or_b64 exec, exec, s[18:19]
	s_and_b64 s[8:9], s[24:25], exec
	s_and_b64 s[18:19], s[20:21], exec
.LBB1520_74:
	s_or_b64 exec, exec, s[16:17]
	s_and_b64 s[16:17], s[8:9], exec
	s_and_b64 s[18:19], s[18:19], exec
.LBB1520_75:
	s_or_b64 exec, exec, s[4:5]
	s_and_b64 vcc, exec, s[2:3]
	v_lshlrev_b32_e32 v50, 2, v0
	s_cbranch_vccnz .LBB1520_77
	s_branch .LBB1520_82
.LBB1520_76:
	s_mov_b64 s[18:19], 0
                                        ; implicit-def: $sgpr16_sgpr17
                                        ; implicit-def: $vgpr2_vgpr3_vgpr4_vgpr5_vgpr6_vgpr7_vgpr8_vgpr9
                                        ; implicit-def: $vgpr10_vgpr11_vgpr12_vgpr13_vgpr14_vgpr15_vgpr16_vgpr17
                                        ; implicit-def: $vgpr18_vgpr19_vgpr20_vgpr21_vgpr22_vgpr23_vgpr24_vgpr25
                                        ; implicit-def: $vgpr42
                                        ; implicit-def: $vgpr38_vgpr39
	s_and_b64 vcc, exec, s[2:3]
	v_lshlrev_b32_e32 v50, 2, v0
	s_cbranch_vccz .LBB1520_82
.LBB1520_77:
	v_mov_b32_e32 v1, s39
	v_add_co_u32_e32 v2, vcc, s38, v50
	v_addc_co_u32_e32 v3, vcc, 0, v1, vcc
	v_add_co_u32_e32 v4, vcc, 0x1000, v2
	v_addc_co_u32_e32 v5, vcc, 0, v3, vcc
	flat_load_dword v1, v[2:3]
	flat_load_dword v6, v[2:3] offset:1024
	flat_load_dword v7, v[2:3] offset:2048
	;; [unrolled: 1-line block ×3, first 2 shown]
	flat_load_dword v9, v[4:5]
	flat_load_dword v10, v[4:5] offset:1024
	flat_load_dword v11, v[4:5] offset:2048
	;; [unrolled: 1-line block ×3, first 2 shown]
	v_add_co_u32_e32 v4, vcc, 0x2000, v2
	v_addc_co_u32_e32 v5, vcc, 0, v3, vcc
	v_add_co_u32_e32 v2, vcc, 0x3000, v2
	v_addc_co_u32_e32 v3, vcc, 0, v3, vcc
	flat_load_dword v13, v[4:5]
	flat_load_dword v14, v[4:5] offset:1024
	flat_load_dword v15, v[4:5] offset:2048
	;; [unrolled: 1-line block ×3, first 2 shown]
	flat_load_dword v17, v[2:3]
	flat_load_dword v18, v[2:3] offset:1024
	v_mov_b32_e32 v2, s38
	v_mov_b32_e32 v3, s39
	v_add_co_u32_e32 v2, vcc, 0x3000, v2
	v_addc_co_u32_e32 v3, vcc, 0, v3, vcc
	s_movk_i32 s4, 0xffcc
	s_movk_i32 s9, 0x1000
	s_mov_b32 s2, 0
	s_movk_i32 s8, 0x2000
	s_movk_i32 s3, 0x3000
	s_waitcnt vmcnt(0) lgkmcnt(0)
	ds_write2st64_b32 v50, v1, v6 offset1:4
	ds_write2st64_b32 v50, v7, v8 offset0:8 offset1:12
	ds_write2st64_b32 v50, v9, v10 offset0:16 offset1:20
	;; [unrolled: 1-line block ×6, first 2 shown]
	s_waitcnt lgkmcnt(0)
	s_barrier
	flat_load_dword v1, v[2:3] offset:2048
	v_mad_u32_u24 v6, v0, 52, v50
	v_mad_i32_i24 v2, v0, s4, v6
	s_movk_i32 s4, 0xff
	v_cmp_ne_u32_e32 vcc, s4, v0
	ds_read2_b32 v[26:27], v6 offset1:13
	ds_read2_b32 v[18:19], v6 offset0:7 offset1:8
	ds_read2_b32 v[20:21], v6 offset0:5 offset1:6
	;; [unrolled: 1-line block ×6, first 2 shown]
	s_waitcnt lgkmcnt(0)
	ds_write_b32 v2, v26 offset:15360
	s_waitcnt lgkmcnt(0)
	s_barrier
	s_and_saveexec_b64 s[4:5], vcc
	s_cbranch_execz .LBB1520_79
; %bb.78:
	s_waitcnt vmcnt(0)
	ds_read_b32 v1, v50 offset:15364
.LBB1520_79:
	s_or_b64 exec, exec, s[4:5]
	v_mov_b32_e32 v3, s47
	v_add_co_u32_e32 v2, vcc, s7, v50
	v_addc_co_u32_e32 v3, vcc, 0, v3, vcc
	v_add_co_u32_e32 v4, vcc, s9, v2
	v_addc_co_u32_e32 v5, vcc, 0, v3, vcc
	s_waitcnt lgkmcnt(0)
	s_barrier
	flat_load_dword v7, v[2:3]
	flat_load_dword v8, v[2:3] offset:1024
	flat_load_dword v9, v[2:3] offset:2048
	;; [unrolled: 1-line block ×3, first 2 shown]
	flat_load_dword v15, v[4:5]
	flat_load_dword v16, v[4:5] offset:1024
	flat_load_dword v17, v[4:5] offset:2048
	;; [unrolled: 1-line block ×3, first 2 shown]
	v_add_co_u32_e32 v4, vcc, s8, v2
	v_addc_co_u32_e32 v5, vcc, 0, v3, vcc
	v_add_co_u32_e32 v2, vcc, s3, v2
	v_addc_co_u32_e32 v3, vcc, 0, v3, vcc
	flat_load_dword v23, v[4:5]
	flat_load_dword v24, v[4:5] offset:1024
	flat_load_dword v25, v[4:5] offset:2048
	;; [unrolled: 1-line block ×3, first 2 shown]
	flat_load_dword v33, v[2:3]
	flat_load_dword v34, v[2:3] offset:1024
	s_mov_b32 s3, 1
	v_cmp_eq_u32_e32 vcc, v26, v12
	v_pk_mov_b32 v[38:39], s[2:3], s[2:3] op_sel:[0,1]
	s_waitcnt vmcnt(0) lgkmcnt(0)
	ds_write2st64_b32 v50, v7, v8 offset1:4
	ds_write2st64_b32 v50, v9, v14 offset0:8 offset1:12
	ds_write2st64_b32 v50, v15, v16 offset0:16 offset1:20
	ds_write2st64_b32 v50, v17, v22 offset0:24 offset1:28
	ds_write2st64_b32 v50, v23, v24 offset0:32 offset1:36
	ds_write2st64_b32 v50, v25, v32 offset0:40 offset1:44
	ds_write2st64_b32 v50, v33, v34 offset0:48 offset1:52
	s_waitcnt lgkmcnt(0)
	s_barrier
	ds_read2_b32 v[24:25], v6 offset0:7 offset1:8
	ds_read2_b32 v[14:15], v6 offset0:5 offset1:6
	;; [unrolled: 1-line block ×4, first 2 shown]
	ds_read_b32 v34, v6 offset:52
	ds_read2_b32 v[22:23], v6 offset0:11 offset1:12
	ds_read2_b32 v[32:33], v6 offset0:9 offset1:10
	v_mov_b32_e32 v7, s56
	s_and_saveexec_b64 s[2:3], vcc
	s_cbranch_execz .LBB1520_81
; %bb.80:
	ds_read_b32 v7, v6
	v_pk_mov_b32 v[38:39], 0, 0
.LBB1520_81:
	s_or_b64 exec, exec, s[2:3]
	v_mov_b32_e32 v26, s56
	v_cmp_eq_u32_e32 vcc, v12, v13
	s_waitcnt lgkmcnt(3)
	v_cndmask_b32_e32 v8, v26, v4, vcc
	v_cmp_eq_u32_e32 vcc, v13, v10
	v_cndmask_b32_e32 v6, v26, v5, vcc
	v_cmp_eq_u32_e32 vcc, v10, v11
	;; [unrolled: 2-line block ×3, first 2 shown]
	v_cndmask_b32_e32 v2, v26, v3, vcc
	v_cmp_ne_u32_e32 vcc, v12, v13
	v_cndmask_b32_e64 v9, 0, 1, vcc
	v_cmp_ne_u32_e32 vcc, v13, v10
	s_waitcnt lgkmcnt(0)
	v_or_b32_e32 v38, v38, v7
	v_cndmask_b32_e64 v7, 0, 1, vcc
	v_cmp_ne_u32_e32 vcc, v10, v11
	v_cndmask_b32_e64 v5, 0, 1, vcc
	v_cmp_ne_u32_e32 vcc, v11, v20
	v_cndmask_b32_e64 v3, 0, 1, vcc
	v_cmp_eq_u32_e32 vcc, v20, v21
	v_cndmask_b32_e32 v16, v26, v14, vcc
	v_cmp_eq_u32_e32 vcc, v21, v18
	v_cndmask_b32_e32 v14, v26, v15, vcc
	v_cmp_eq_u32_e32 vcc, v18, v19
	v_cndmask_b32_e32 v12, v26, v24, vcc
	v_cmp_eq_u32_e32 vcc, v19, v28
	v_cndmask_b32_e32 v10, v26, v25, vcc
	v_cmp_ne_u32_e32 vcc, v20, v21
	v_cndmask_b32_e64 v17, 0, 1, vcc
	v_cmp_ne_u32_e32 vcc, v21, v18
	v_cndmask_b32_e64 v15, 0, 1, vcc
	v_cmp_ne_u32_e32 vcc, v18, v19
	v_cndmask_b32_e64 v13, 0, 1, vcc
	v_cmp_ne_u32_e32 vcc, v19, v28
	v_cndmask_b32_e64 v11, 0, 1, vcc
	v_cmp_eq_u32_e32 vcc, v31, v27
	v_cndmask_b32_e32 v24, v26, v23, vcc
	v_cmp_eq_u32_e32 vcc, v30, v31
	v_cndmask_b32_e32 v22, v26, v22, vcc
	;; [unrolled: 2-line block ×4, first 2 shown]
	v_cmp_ne_u32_e32 vcc, v31, v27
	v_cndmask_b32_e64 v25, 0, 1, vcc
	v_cmp_ne_u32_e32 vcc, v30, v31
	v_cndmask_b32_e64 v23, 0, 1, vcc
	;; [unrolled: 2-line block ×3, first 2 shown]
	v_cmp_ne_u32_e32 vcc, v28, v29
	v_cmp_ne_u32_e64 s[16:17], v27, v1
	v_cndmask_b32_e64 v19, 0, 1, vcc
	v_cndmask_b32_e64 v42, v34, v26, s[16:17]
	s_mov_b64 s[18:19], -1
                                        ; implicit-def: $sgpr2_sgpr3
.LBB1520_82:
	v_pk_mov_b32 v[40:41], s[2:3], s[2:3] op_sel:[0,1]
	s_and_saveexec_b64 s[2:3], s[18:19]
; %bb.83:
	v_cndmask_b32_e64 v43, 0, 1, s[16:17]
	v_pk_mov_b32 v[40:41], v[42:43], v[42:43] op_sel:[0,1]
; %bb.84:
	s_or_b64 exec, exec, s[2:3]
	s_mov_b32 s26, 0
	s_cmp_lg_u32 s6, 0
	v_mbcnt_lo_u32_b32 v52, -1, 0
	v_lshrrev_b32_e32 v1, 6, v0
	v_or_b32_e32 v51, 63, v0
	s_barrier
	s_cbranch_scc0 .LBB1520_129
; %bb.85:
	s_mov_b32 s27, 1
	v_cmp_gt_u64_e64 s[2:3], s[26:27], v[8:9]
	v_cndmask_b32_e64 v27, 0, v38, s[2:3]
	v_add_u32_e32 v27, v27, v8
	v_cmp_gt_u64_e64 s[4:5], s[26:27], v[6:7]
	v_cndmask_b32_e64 v27, 0, v27, s[4:5]
	v_add_u32_e32 v27, v27, v6
	;; [unrolled: 3-line block ×12, first 2 shown]
	v_cmp_gt_u64_e32 vcc, s[26:27], v[40:41]
	v_cndmask_b32_e32 v27, 0, v27, vcc
	v_add_u32_e32 v28, v27, v40
	v_or3_b32 v27, v41, v25, v23
	v_or3_b32 v27, v27, v21, v19
	;; [unrolled: 1-line block ×6, first 2 shown]
	v_mov_b32_e32 v26, 0
	v_and_b32_e32 v27, 1, v27
	v_cmp_eq_u64_e32 vcc, 0, v[26:27]
	v_cndmask_b32_e32 v27, 1, v39, vcc
	v_and_b32_e32 v29, 0xff, v27
	v_mov_b32_dpp v31, v28 row_shr:1 row_mask:0xf bank_mask:0xf
	v_cmp_eq_u16_e32 vcc, 0, v29
	v_mov_b32_dpp v32, v29 row_shr:1 row_mask:0xf bank_mask:0xf
	v_and_b32_e32 v33, 1, v27
	v_mbcnt_hi_u32_b32 v46, -1, v52
	v_cndmask_b32_e32 v31, 0, v31, vcc
	v_and_b32_e32 v32, 1, v32
	v_cmp_eq_u32_e32 vcc, 1, v33
	v_and_b32_e32 v30, 15, v46
	v_cndmask_b32_e64 v32, v32, 1, vcc
	v_and_b32_e32 v33, 0xffff, v32
	v_cmp_eq_u32_e32 vcc, 0, v30
	v_cndmask_b32_e32 v27, v32, v27, vcc
	v_cndmask_b32_e32 v29, v33, v29, vcc
	v_and_b32_e32 v33, 1, v27
	v_cndmask_b32_e64 v31, v31, 0, vcc
	v_mov_b32_dpp v32, v29 row_shr:2 row_mask:0xf bank_mask:0xf
	v_and_b32_e32 v32, 1, v32
	v_cmp_eq_u32_e32 vcc, 1, v33
	v_cndmask_b32_e64 v32, v32, 1, vcc
	v_and_b32_e32 v33, 0xffff, v32
	v_cmp_lt_u32_e32 vcc, 1, v30
	v_add_u32_e32 v28, v31, v28
	v_cmp_eq_u16_sdwa s[26:27], v27, v26 src0_sel:BYTE_0 src1_sel:DWORD
	v_cndmask_b32_e32 v27, v27, v32, vcc
	v_cndmask_b32_e32 v29, v29, v33, vcc
	v_mov_b32_dpp v31, v28 row_shr:2 row_mask:0xf bank_mask:0xf
	s_and_b64 vcc, vcc, s[26:27]
	v_mov_b32_dpp v32, v29 row_shr:4 row_mask:0xf bank_mask:0xf
	v_and_b32_e32 v33, 1, v27
	v_cndmask_b32_e32 v31, 0, v31, vcc
	v_and_b32_e32 v32, 1, v32
	v_cmp_eq_u32_e32 vcc, 1, v33
	v_cndmask_b32_e64 v32, v32, 1, vcc
	v_and_b32_e32 v33, 0xffff, v32
	v_cmp_lt_u32_e32 vcc, 3, v30
	v_add_u32_e32 v28, v31, v28
	v_cmp_eq_u16_sdwa s[26:27], v27, v26 src0_sel:BYTE_0 src1_sel:DWORD
	v_cndmask_b32_e32 v27, v27, v32, vcc
	v_cndmask_b32_e32 v29, v29, v33, vcc
	v_mov_b32_dpp v31, v28 row_shr:4 row_mask:0xf bank_mask:0xf
	s_and_b64 vcc, vcc, s[26:27]
	v_mov_b32_dpp v32, v29 row_shr:8 row_mask:0xf bank_mask:0xf
	v_and_b32_e32 v33, 1, v27
	v_cndmask_b32_e32 v31, 0, v31, vcc
	v_and_b32_e32 v32, 1, v32
	v_cmp_eq_u32_e32 vcc, 1, v33
	v_cndmask_b32_e64 v32, v32, 1, vcc
	v_add_u32_e32 v28, v31, v28
	v_cmp_eq_u16_sdwa s[26:27], v27, v26 src0_sel:BYTE_0 src1_sel:DWORD
	v_and_b32_e32 v33, 0xffff, v32
	v_cmp_lt_u32_e32 vcc, 7, v30
	v_mov_b32_dpp v31, v28 row_shr:8 row_mask:0xf bank_mask:0xf
	v_cndmask_b32_e32 v27, v27, v32, vcc
	v_cndmask_b32_e32 v29, v29, v33, vcc
	s_and_b64 vcc, vcc, s[26:27]
	v_cndmask_b32_e32 v30, 0, v31, vcc
	v_add_u32_e32 v28, v30, v28
	v_mov_b32_dpp v31, v29 row_bcast:15 row_mask:0xf bank_mask:0xf
	v_cmp_eq_u16_sdwa vcc, v27, v26 src0_sel:BYTE_0 src1_sel:DWORD
	v_mov_b32_dpp v30, v28 row_bcast:15 row_mask:0xf bank_mask:0xf
	v_and_b32_e32 v34, 1, v27
	v_cndmask_b32_e32 v30, 0, v30, vcc
	v_and_b32_e32 v31, 1, v31
	v_cmp_eq_u32_e32 vcc, 1, v34
	v_and_b32_e32 v33, 16, v46
	v_cndmask_b32_e64 v31, v31, 1, vcc
	v_and_b32_e32 v34, 0xffff, v31
	v_cmp_eq_u32_e32 vcc, 0, v33
	v_cndmask_b32_e32 v27, v31, v27, vcc
	v_cndmask_b32_e32 v29, v34, v29, vcc
	v_bfe_i32 v32, v46, 4, 1
	v_cmp_eq_u16_sdwa s[26:27], v27, v26 src0_sel:BYTE_0 src1_sel:DWORD
	v_mov_b32_dpp v29, v29 row_bcast:31 row_mask:0xf bank_mask:0xf
	v_and_b32_e32 v26, 1, v27
	v_and_b32_e32 v30, v32, v30
	;; [unrolled: 1-line block ×3, first 2 shown]
	v_cmp_eq_u32_e32 vcc, 1, v26
	v_add_u32_e32 v28, v30, v28
	v_cndmask_b32_e64 v26, v29, 1, vcc
	v_cmp_lt_u32_e32 vcc, 31, v46
	v_mov_b32_dpp v30, v28 row_bcast:31 row_mask:0xf bank_mask:0xf
	v_cndmask_b32_e32 v29, v27, v26, vcc
	s_and_b64 vcc, vcc, s[26:27]
	v_cndmask_b32_e32 v26, 0, v30, vcc
	v_add_u32_e32 v28, v26, v28
	v_cmp_eq_u32_e32 vcc, v51, v0
	s_and_saveexec_b64 s[26:27], vcc
	s_cbranch_execz .LBB1520_87
; %bb.86:
	v_lshlrev_b32_e32 v26, 3, v1
	ds_write_b32 v26, v28
	ds_write_b8 v26, v29 offset:4
.LBB1520_87:
	s_or_b64 exec, exec, s[26:27]
	v_cmp_gt_u32_e32 vcc, 4, v0
	s_waitcnt lgkmcnt(0)
	s_barrier
	s_and_saveexec_b64 s[26:27], vcc
	s_cbranch_execz .LBB1520_91
; %bb.88:
	v_lshlrev_b32_e32 v30, 3, v0
	ds_read_b64 v[26:27], v30
	v_and_b32_e32 v31, 3, v46
	v_cmp_ne_u32_e32 vcc, 0, v31
	s_waitcnt lgkmcnt(0)
	v_mov_b32_dpp v32, v26 row_shr:1 row_mask:0xf bank_mask:0xf
	v_mov_b32_dpp v34, v27 row_shr:1 row_mask:0xf bank_mask:0xf
	v_mov_b32_e32 v33, v27
	s_and_saveexec_b64 s[30:31], vcc
	s_cbranch_execz .LBB1520_90
; %bb.89:
	v_and_b32_e32 v33, 1, v27
	v_and_b32_e32 v34, 1, v34
	v_cmp_eq_u32_e32 vcc, 1, v33
	v_mov_b32_e32 v33, 0
	v_cndmask_b32_e64 v34, v34, 1, vcc
	v_cmp_eq_u16_sdwa vcc, v27, v33 src0_sel:BYTE_0 src1_sel:DWORD
	v_cndmask_b32_e32 v32, 0, v32, vcc
	v_add_u32_e32 v26, v32, v26
	v_and_b32_e32 v32, 0xffff, v34
	s_movk_i32 s7, 0xff00
	v_and_or_b32 v33, v27, s7, v32
	v_mov_b32_e32 v27, v34
.LBB1520_90:
	s_or_b64 exec, exec, s[30:31]
	v_mov_b32_dpp v33, v33 row_shr:2 row_mask:0xf bank_mask:0xf
	v_and_b32_e32 v34, 1, v27
	v_and_b32_e32 v33, 1, v33
	v_cmp_eq_u32_e32 vcc, 1, v34
	v_mov_b32_e32 v34, 0
	v_cndmask_b32_e64 v33, v33, 1, vcc
	v_cmp_eq_u16_sdwa s[30:31], v27, v34 src0_sel:BYTE_0 src1_sel:DWORD
	v_cmp_lt_u32_e32 vcc, 1, v31
	v_mov_b32_dpp v32, v26 row_shr:2 row_mask:0xf bank_mask:0xf
	v_cndmask_b32_e32 v27, v27, v33, vcc
	s_and_b64 vcc, vcc, s[30:31]
	v_cndmask_b32_e32 v31, 0, v32, vcc
	v_add_u32_e32 v26, v31, v26
	ds_write_b32 v30, v26
	ds_write_b8 v30, v27 offset:4
.LBB1520_91:
	s_or_b64 exec, exec, s[26:27]
	v_cmp_gt_u32_e32 vcc, 64, v0
	v_cmp_lt_u32_e64 s[26:27], 63, v0
	v_mov_b32_e32 v42, 0
	v_mov_b32_e32 v43, 0
	s_waitcnt lgkmcnt(0)
	s_barrier
	s_and_saveexec_b64 s[30:31], s[26:27]
	s_cbranch_execz .LBB1520_93
; %bb.92:
	v_lshl_add_u32 v26, v1, 3, -8
	ds_read_b32 v42, v26
	ds_read_u8 v43, v26 offset:4
	v_mov_b32_e32 v27, 0
	v_and_b32_e32 v30, 1, v29
	v_cmp_eq_u16_sdwa s[26:27], v29, v27 src0_sel:BYTE_0 src1_sel:DWORD
	s_waitcnt lgkmcnt(1)
	v_cndmask_b32_e64 v26, 0, v42, s[26:27]
	v_cmp_eq_u32_e64 s[26:27], 1, v30
	v_add_u32_e32 v28, v26, v28
	s_waitcnt lgkmcnt(0)
	v_cndmask_b32_e64 v29, v43, 1, s[26:27]
.LBB1520_93:
	s_or_b64 exec, exec, s[30:31]
	v_and_b32_e32 v26, 0xff, v29
	v_add_u32_e32 v27, -1, v46
	v_and_b32_e32 v29, 64, v46
	v_cmp_lt_i32_e64 s[26:27], v27, v29
	v_cndmask_b32_e64 v27, v27, v46, s[26:27]
	v_lshlrev_b32_e32 v27, 2, v27
	ds_bpermute_b32 v44, v27, v28
	ds_bpermute_b32 v45, v27, v26
	v_cmp_eq_u32_e64 s[26:27], 0, v46
	s_and_saveexec_b64 s[38:39], vcc
	s_cbranch_execz .LBB1520_116
; %bb.94:
	v_mov_b32_e32 v29, 0
	ds_read_b64 v[26:27], v29 offset:24
	s_waitcnt lgkmcnt(0)
	v_readfirstlane_b32 s7, v27
	s_and_saveexec_b64 s[30:31], s[26:27]
	s_cbranch_execz .LBB1520_96
; %bb.95:
	s_add_i32 s40, s6, 64
	s_mov_b32 s41, 0
	s_lshl_b64 s[48:49], s[40:41], 4
	s_add_u32 s48, s44, s48
	s_addc_u32 s49, s45, s49
	s_and_b32 s55, s7, 0xff000000
	s_mov_b32 s54, s41
	s_and_b32 s59, s7, 0xff0000
	s_mov_b32 s58, s41
	s_or_b64 s[54:55], s[58:59], s[54:55]
	s_and_b32 s59, s7, 0xff00
	s_or_b64 s[54:55], s[54:55], s[58:59]
	s_and_b32 s59, s7, 0xff
	s_or_b64 s[40:41], s[54:55], s[58:59]
	v_mov_b32_e32 v27, s41
	v_mov_b32_e32 v28, 1
	v_pk_mov_b32 v[30:31], s[48:49], s[48:49] op_sel:[0,1]
	;;#ASMSTART
	global_store_dwordx4 v[30:31], v[26:29] off	
s_waitcnt vmcnt(0)
	;;#ASMEND
.LBB1520_96:
	s_or_b64 exec, exec, s[30:31]
	v_xad_u32 v34, v46, -1, s6
	v_add_u32_e32 v28, 64, v34
	v_lshlrev_b64 v[30:31], 4, v[28:29]
	v_mov_b32_e32 v27, s45
	v_add_co_u32_e32 v36, vcc, s44, v30
	v_addc_co_u32_e32 v37, vcc, v27, v31, vcc
	;;#ASMSTART
	global_load_dwordx4 v[30:33], v[36:37] off glc	
s_waitcnt vmcnt(0)
	;;#ASMEND
	v_and_b32_e32 v27, 0xff0000, v30
	v_or_b32_sdwa v27, v30, v27 dst_sel:DWORD dst_unused:UNUSED_PAD src0_sel:WORD_0 src1_sel:DWORD
	v_and_b32_e32 v28, 0xff000000, v30
	v_and_b32_e32 v30, 0xff, v31
	v_or3_b32 v31, 0, 0, v30
	v_or3_b32 v30, v27, v28, 0
	v_cmp_eq_u16_sdwa s[40:41], v32, v29 src0_sel:BYTE_0 src1_sel:DWORD
	s_and_saveexec_b64 s[30:31], s[40:41]
	s_cbranch_execz .LBB1520_102
; %bb.97:
	s_mov_b32 s47, 1
	s_mov_b64 s[40:41], 0
	v_mov_b32_e32 v27, 0
.LBB1520_98:                            ; =>This Loop Header: Depth=1
                                        ;     Child Loop BB1520_99 Depth 2
	s_max_u32 s48, s47, 1
.LBB1520_99:                            ;   Parent Loop BB1520_98 Depth=1
                                        ; =>  This Inner Loop Header: Depth=2
	s_add_i32 s48, s48, -1
	s_cmp_eq_u32 s48, 0
	s_sleep 1
	s_cbranch_scc0 .LBB1520_99
; %bb.100:                              ;   in Loop: Header=BB1520_98 Depth=1
	s_cmp_lt_u32 s47, 32
	s_cselect_b64 s[48:49], -1, 0
	s_cmp_lg_u64 s[48:49], 0
	s_addc_u32 s47, s47, 0
	;;#ASMSTART
	global_load_dwordx4 v[30:33], v[36:37] off glc	
s_waitcnt vmcnt(0)
	;;#ASMEND
	v_cmp_ne_u16_sdwa s[48:49], v32, v27 src0_sel:BYTE_0 src1_sel:DWORD
	s_or_b64 s[40:41], s[48:49], s[40:41]
	s_andn2_b64 exec, exec, s[40:41]
	s_cbranch_execnz .LBB1520_98
; %bb.101:
	s_or_b64 exec, exec, s[40:41]
	v_and_b32_e32 v31, 0xff, v31
.LBB1520_102:
	s_or_b64 exec, exec, s[30:31]
	v_mov_b32_e32 v27, 2
	v_cmp_eq_u16_sdwa s[30:31], v32, v27 src0_sel:BYTE_0 src1_sel:DWORD
	v_lshlrev_b64 v[28:29], v46, -1
	v_and_b32_e32 v33, s31, v29
	v_or_b32_e32 v33, 0x80000000, v33
	v_and_b32_e32 v35, s30, v28
	v_ffbl_b32_e32 v33, v33
	v_and_b32_e32 v47, 63, v46
	v_add_u32_e32 v33, 32, v33
	v_ffbl_b32_e32 v35, v35
	v_cmp_ne_u32_e32 vcc, 63, v47
	v_min_u32_e32 v33, v35, v33
	v_addc_co_u32_e32 v35, vcc, 0, v46, vcc
	v_lshlrev_b32_e32 v48, 2, v35
	ds_bpermute_b32 v35, v48, v31
	ds_bpermute_b32 v36, v48, v30
	s_mov_b32 s40, 0
	v_and_b32_e32 v37, 1, v31
	s_mov_b32 s41, 1
	s_waitcnt lgkmcnt(1)
	v_and_b32_e32 v35, 1, v35
	v_cmp_eq_u32_e32 vcc, 1, v37
	v_cndmask_b32_e64 v35, v35, 1, vcc
	v_cmp_gt_u64_e32 vcc, s[40:41], v[30:31]
	v_cmp_lt_u32_e64 s[30:31], v47, v33
	s_and_b64 vcc, s[30:31], vcc
	v_and_b32_e32 v37, 0xffff, v35
	v_cndmask_b32_e64 v54, v31, v35, s[30:31]
	s_waitcnt lgkmcnt(0)
	v_cndmask_b32_e32 v35, 0, v36, vcc
	v_cmp_gt_u32_e32 vcc, 62, v47
	v_cndmask_b32_e64 v36, 0, 1, vcc
	v_lshlrev_b32_e32 v36, 1, v36
	v_cndmask_b32_e64 v31, v31, v37, s[30:31]
	v_add_lshl_u32 v49, v36, v46, 2
	ds_bpermute_b32 v36, v49, v31
	v_add_u32_e32 v30, v35, v30
	ds_bpermute_b32 v37, v49, v30
	v_and_b32_e32 v35, 1, v54
	v_cmp_eq_u32_e32 vcc, 1, v35
	s_waitcnt lgkmcnt(1)
	v_and_b32_e32 v36, 1, v36
	v_mov_b32_e32 v35, 0
	v_add_u32_e32 v53, 2, v47
	v_cndmask_b32_e64 v36, v36, 1, vcc
	v_cmp_eq_u16_sdwa vcc, v54, v35 src0_sel:BYTE_0 src1_sel:DWORD
	v_and_b32_e32 v55, 0xffff, v36
	s_waitcnt lgkmcnt(0)
	v_cndmask_b32_e32 v37, 0, v37, vcc
	v_cmp_gt_u32_e32 vcc, v53, v33
	v_cndmask_b32_e32 v36, v36, v54, vcc
	v_cndmask_b32_e64 v37, v37, 0, vcc
	v_cndmask_b32_e32 v31, v55, v31, vcc
	v_cmp_gt_u32_e32 vcc, 60, v47
	v_cndmask_b32_e64 v54, 0, 1, vcc
	v_lshlrev_b32_e32 v54, 2, v54
	v_add_lshl_u32 v54, v54, v46, 2
	ds_bpermute_b32 v56, v54, v31
	v_add_u32_e32 v30, v37, v30
	ds_bpermute_b32 v37, v54, v30
	v_and_b32_e32 v57, 1, v36
	v_cmp_eq_u32_e32 vcc, 1, v57
	s_waitcnt lgkmcnt(1)
	v_and_b32_e32 v56, 1, v56
	v_add_u32_e32 v55, 4, v47
	v_cndmask_b32_e64 v56, v56, 1, vcc
	v_cmp_eq_u16_sdwa vcc, v36, v35 src0_sel:BYTE_0 src1_sel:DWORD
	v_and_b32_e32 v57, 0xffff, v56
	s_waitcnt lgkmcnt(0)
	v_cndmask_b32_e32 v37, 0, v37, vcc
	v_cmp_gt_u32_e32 vcc, v55, v33
	v_cndmask_b32_e32 v36, v56, v36, vcc
	v_cndmask_b32_e64 v37, v37, 0, vcc
	v_cndmask_b32_e32 v31, v57, v31, vcc
	v_cmp_gt_u32_e32 vcc, 56, v47
	v_cndmask_b32_e64 v56, 0, 1, vcc
	v_lshlrev_b32_e32 v56, 3, v56
	v_add_lshl_u32 v56, v56, v46, 2
	ds_bpermute_b32 v58, v56, v31
	v_add_u32_e32 v30, v37, v30
	ds_bpermute_b32 v37, v56, v30
	v_and_b32_e32 v59, 1, v36
	v_cmp_eq_u32_e32 vcc, 1, v59
	s_waitcnt lgkmcnt(1)
	v_and_b32_e32 v58, 1, v58
	;; [unrolled: 21-line block ×4, first 2 shown]
	v_add_u32_e32 v62, 32, v47
	v_cndmask_b32_e64 v31, v31, 1, vcc
	v_cmp_eq_u16_sdwa vcc, v36, v35 src0_sel:BYTE_0 src1_sel:DWORD
	s_waitcnt lgkmcnt(0)
	v_cndmask_b32_e32 v37, 0, v37, vcc
	v_cmp_gt_u32_e32 vcc, v62, v33
	v_cndmask_b32_e64 v33, v37, 0, vcc
	v_cndmask_b32_e32 v31, v31, v36, vcc
	v_add_u32_e32 v30, v33, v30
	s_branch .LBB1520_104
.LBB1520_103:                           ;   in Loop: Header=BB1520_104 Depth=1
	s_or_b64 exec, exec, s[30:31]
	v_cmp_eq_u16_sdwa s[30:31], v32, v27 src0_sel:BYTE_0 src1_sel:DWORD
	v_and_b32_e32 v33, s31, v29
	ds_bpermute_b32 v37, v48, v31
	v_or_b32_e32 v33, 0x80000000, v33
	v_and_b32_e32 v36, s30, v28
	v_ffbl_b32_e32 v33, v33
	v_add_u32_e32 v33, 32, v33
	v_ffbl_b32_e32 v36, v36
	v_min_u32_e32 v33, v36, v33
	ds_bpermute_b32 v36, v48, v30
	v_and_b32_e32 v63, 1, v31
	s_waitcnt lgkmcnt(1)
	v_and_b32_e32 v37, 1, v37
	v_cmp_eq_u32_e32 vcc, 1, v63
	v_cndmask_b32_e64 v37, v37, 1, vcc
	v_cmp_gt_u64_e32 vcc, s[40:41], v[30:31]
	v_and_b32_e32 v63, 0xffff, v37
	v_cmp_lt_u32_e64 s[30:31], v47, v33
	v_cndmask_b32_e64 v37, v31, v37, s[30:31]
	v_cndmask_b32_e64 v31, v31, v63, s[30:31]
	s_and_b64 vcc, s[30:31], vcc
	ds_bpermute_b32 v63, v49, v31
	s_waitcnt lgkmcnt(1)
	v_cndmask_b32_e32 v36, 0, v36, vcc
	v_add_u32_e32 v30, v36, v30
	ds_bpermute_b32 v36, v49, v30
	v_and_b32_e32 v64, 1, v37
	s_waitcnt lgkmcnt(1)
	v_and_b32_e32 v63, 1, v63
	v_cmp_eq_u32_e32 vcc, 1, v64
	v_cndmask_b32_e64 v63, v63, 1, vcc
	v_cmp_eq_u16_sdwa vcc, v37, v35 src0_sel:BYTE_0 src1_sel:DWORD
	v_and_b32_e32 v64, 0xffff, v63
	s_waitcnt lgkmcnt(0)
	v_cndmask_b32_e32 v36, 0, v36, vcc
	v_cmp_gt_u32_e32 vcc, v53, v33
	v_cndmask_b32_e32 v31, v64, v31, vcc
	v_cndmask_b32_e32 v37, v63, v37, vcc
	ds_bpermute_b32 v63, v54, v31
	v_cndmask_b32_e64 v36, v36, 0, vcc
	v_add_u32_e32 v30, v36, v30
	ds_bpermute_b32 v36, v54, v30
	v_and_b32_e32 v64, 1, v37
	s_waitcnt lgkmcnt(1)
	v_and_b32_e32 v63, 1, v63
	v_cmp_eq_u32_e32 vcc, 1, v64
	v_cndmask_b32_e64 v63, v63, 1, vcc
	v_cmp_eq_u16_sdwa vcc, v37, v35 src0_sel:BYTE_0 src1_sel:DWORD
	v_and_b32_e32 v64, 0xffff, v63
	s_waitcnt lgkmcnt(0)
	v_cndmask_b32_e32 v36, 0, v36, vcc
	v_cmp_gt_u32_e32 vcc, v55, v33
	v_cndmask_b32_e32 v31, v64, v31, vcc
	v_cndmask_b32_e32 v37, v63, v37, vcc
	ds_bpermute_b32 v63, v56, v31
	v_cndmask_b32_e64 v36, v36, 0, vcc
	v_add_u32_e32 v30, v36, v30
	ds_bpermute_b32 v36, v56, v30
	v_and_b32_e32 v64, 1, v37
	s_waitcnt lgkmcnt(1)
	v_and_b32_e32 v63, 1, v63
	v_cmp_eq_u32_e32 vcc, 1, v64
	v_cndmask_b32_e64 v63, v63, 1, vcc
	v_cmp_eq_u16_sdwa vcc, v37, v35 src0_sel:BYTE_0 src1_sel:DWORD
	v_and_b32_e32 v64, 0xffff, v63
	s_waitcnt lgkmcnt(0)
	v_cndmask_b32_e32 v36, 0, v36, vcc
	v_cmp_gt_u32_e32 vcc, v57, v33
	v_cndmask_b32_e32 v31, v64, v31, vcc
	v_cndmask_b32_e32 v37, v63, v37, vcc
	ds_bpermute_b32 v63, v58, v31
	v_cndmask_b32_e64 v36, v36, 0, vcc
	v_add_u32_e32 v30, v36, v30
	ds_bpermute_b32 v36, v58, v30
	v_and_b32_e32 v64, 1, v37
	s_waitcnt lgkmcnt(1)
	v_and_b32_e32 v63, 1, v63
	v_cmp_eq_u32_e32 vcc, 1, v64
	v_cndmask_b32_e64 v63, v63, 1, vcc
	v_cmp_eq_u16_sdwa vcc, v37, v35 src0_sel:BYTE_0 src1_sel:DWORD
	v_and_b32_e32 v64, 0xffff, v63
	s_waitcnt lgkmcnt(0)
	v_cndmask_b32_e32 v36, 0, v36, vcc
	v_cmp_gt_u32_e32 vcc, v59, v33
	v_cndmask_b32_e64 v36, v36, 0, vcc
	v_cndmask_b32_e32 v31, v64, v31, vcc
	ds_bpermute_b32 v31, v61, v31
	v_add_u32_e32 v30, v36, v30
	ds_bpermute_b32 v36, v61, v30
	v_cndmask_b32_e32 v37, v63, v37, vcc
	v_and_b32_e32 v63, 1, v37
	v_cmp_eq_u32_e32 vcc, 1, v63
	s_waitcnt lgkmcnt(1)
	v_cndmask_b32_e64 v31, v31, 1, vcc
	v_cmp_eq_u16_sdwa vcc, v37, v35 src0_sel:BYTE_0 src1_sel:DWORD
	s_waitcnt lgkmcnt(0)
	v_cndmask_b32_e32 v36, 0, v36, vcc
	v_cmp_gt_u32_e32 vcc, v62, v33
	v_cndmask_b32_e64 v33, v36, 0, vcc
	v_cndmask_b32_e32 v31, v31, v37, vcc
	v_add_u32_e32 v30, v33, v30
	v_cmp_eq_u16_sdwa vcc, v46, v35 src0_sel:BYTE_0 src1_sel:DWORD
	v_and_b32_e32 v33, 1, v46
	v_cndmask_b32_e32 v30, 0, v30, vcc
	v_and_b32_e32 v31, 1, v31
	v_cmp_eq_u32_e32 vcc, 1, v33
	v_subrev_u32_e32 v34, 64, v34
	v_add_u32_e32 v30, v30, v60
	v_cndmask_b32_e64 v31, v31, 1, vcc
.LBB1520_104:                           ; =>This Loop Header: Depth=1
                                        ;     Child Loop BB1520_107 Depth 2
                                        ;       Child Loop BB1520_108 Depth 3
	v_cmp_ne_u16_sdwa s[30:31], v32, v27 src0_sel:BYTE_0 src1_sel:DWORD
	v_mov_b32_e32 v46, v31
	v_cndmask_b32_e64 v31, 0, 1, s[30:31]
	;;#ASMSTART
	;;#ASMEND
	v_cmp_ne_u32_e32 vcc, 0, v31
	s_cmp_lg_u64 vcc, exec
	v_mov_b32_e32 v60, v30
	s_cbranch_scc1 .LBB1520_111
; %bb.105:                              ;   in Loop: Header=BB1520_104 Depth=1
	v_lshlrev_b64 v[30:31], 4, v[34:35]
	v_mov_b32_e32 v32, s45
	v_add_co_u32_e32 v36, vcc, s44, v30
	v_addc_co_u32_e32 v37, vcc, v32, v31, vcc
	;;#ASMSTART
	global_load_dwordx4 v[30:33], v[36:37] off glc	
s_waitcnt vmcnt(0)
	;;#ASMEND
	v_and_b32_e32 v33, 0xff0000, v30
	v_or_b32_sdwa v33, v30, v33 dst_sel:DWORD dst_unused:UNUSED_PAD src0_sel:WORD_0 src1_sel:DWORD
	v_and_b32_e32 v30, 0xff000000, v30
	v_and_b32_e32 v31, 0xff, v31
	v_or3_b32 v31, 0, 0, v31
	v_or3_b32 v30, v33, v30, 0
	v_cmp_eq_u16_sdwa s[48:49], v32, v35 src0_sel:BYTE_0 src1_sel:DWORD
	s_and_saveexec_b64 s[30:31], s[48:49]
	s_cbranch_execz .LBB1520_103
; %bb.106:                              ;   in Loop: Header=BB1520_104 Depth=1
	s_mov_b32 s47, 1
	s_mov_b64 s[48:49], 0
.LBB1520_107:                           ;   Parent Loop BB1520_104 Depth=1
                                        ; =>  This Loop Header: Depth=2
                                        ;       Child Loop BB1520_108 Depth 3
	s_max_u32 s54, s47, 1
.LBB1520_108:                           ;   Parent Loop BB1520_104 Depth=1
                                        ;     Parent Loop BB1520_107 Depth=2
                                        ; =>    This Inner Loop Header: Depth=3
	s_add_i32 s54, s54, -1
	s_cmp_eq_u32 s54, 0
	s_sleep 1
	s_cbranch_scc0 .LBB1520_108
; %bb.109:                              ;   in Loop: Header=BB1520_107 Depth=2
	s_cmp_lt_u32 s47, 32
	s_cselect_b64 s[54:55], -1, 0
	s_cmp_lg_u64 s[54:55], 0
	s_addc_u32 s47, s47, 0
	;;#ASMSTART
	global_load_dwordx4 v[30:33], v[36:37] off glc	
s_waitcnt vmcnt(0)
	;;#ASMEND
	v_cmp_ne_u16_sdwa s[54:55], v32, v35 src0_sel:BYTE_0 src1_sel:DWORD
	s_or_b64 s[48:49], s[54:55], s[48:49]
	s_andn2_b64 exec, exec, s[48:49]
	s_cbranch_execnz .LBB1520_107
; %bb.110:                              ;   in Loop: Header=BB1520_104 Depth=1
	s_or_b64 exec, exec, s[48:49]
	v_and_b32_e32 v31, 0xff, v31
	s_branch .LBB1520_103
.LBB1520_111:                           ;   in Loop: Header=BB1520_104 Depth=1
                                        ; implicit-def: $vgpr31
                                        ; implicit-def: $vgpr30
                                        ; implicit-def: $vgpr32
	s_cbranch_execz .LBB1520_104
; %bb.112:
	s_and_saveexec_b64 s[30:31], s[26:27]
	s_cbranch_execz .LBB1520_114
; %bb.113:
	s_and_b32 s40, s7, 0xff
	s_cmp_eq_u32 s40, 0
	s_cselect_b64 vcc, -1, 0
	s_bitcmp1_b32 s7, 0
	s_mov_b32 s41, 0
	s_cselect_b64 s[48:49], -1, 0
	s_add_i32 s40, s6, 64
	s_lshl_b64 s[6:7], s[40:41], 4
	v_cndmask_b32_e32 v27, 0, v60, vcc
	s_add_u32 s6, s44, s6
	v_add_u32_e32 v26, v27, v26
	v_and_b32_e32 v27, 1, v46
	s_addc_u32 s7, s45, s7
	v_mov_b32_e32 v29, 0
	v_cndmask_b32_e64 v27, v27, 1, s[48:49]
	v_mov_b32_e32 v28, 2
	v_pk_mov_b32 v[30:31], s[6:7], s[6:7] op_sel:[0,1]
	;;#ASMSTART
	global_store_dwordx4 v[30:31], v[26:29] off	
s_waitcnt vmcnt(0)
	;;#ASMEND
.LBB1520_114:
	s_or_b64 exec, exec, s[30:31]
	v_cmp_eq_u32_e32 vcc, 0, v0
	s_and_b64 exec, exec, vcc
	s_cbranch_execz .LBB1520_116
; %bb.115:
	v_mov_b32_e32 v26, 0
	ds_write_b32 v26, v60 offset:24
	ds_write_b8 v26, v46 offset:28
.LBB1520_116:
	s_or_b64 exec, exec, s[38:39]
	v_mov_b32_e32 v28, 0
	s_waitcnt lgkmcnt(0)
	s_barrier
	ds_read_b32 v26, v28 offset:24
	v_cndmask_b32_e64 v27, v45, v43, s[26:27]
	v_cmp_eq_u16_sdwa vcc, v27, v28 src0_sel:BYTE_0 src1_sel:DWORD
	v_cndmask_b32_e64 v29, v44, v42, s[26:27]
	s_waitcnt lgkmcnt(0)
	v_cndmask_b32_e32 v27, 0, v26, vcc
	v_add_u32_e32 v27, v27, v29
	v_cmp_eq_u32_e32 vcc, 0, v0
	v_and_b32_e32 v29, 0xff, v39
	v_cndmask_b32_e32 v26, v27, v26, vcc
	v_cmp_eq_u64_e32 vcc, 0, v[28:29]
	v_cndmask_b32_e32 v27, 0, v26, vcc
	v_add_u32_e32 v27, v27, v38
	v_cndmask_b32_e64 v28, 0, v27, s[2:3]
	v_add_u32_e32 v42, v28, v8
	v_cndmask_b32_e64 v28, 0, v42, s[4:5]
	;; [unrolled: 2-line block ×12, first 2 shown]
	v_add_u32_e32 v49, v28, v24
	s_branch .LBB1520_143
.LBB1520_117:
	s_or_b64 exec, exec, s[30:31]
                                        ; implicit-def: $vgpr14
	s_and_saveexec_b64 s[30:31], s[2:3]
	s_cbranch_execz .LBB1520_33
.LBB1520_118:
	v_mov_b32_e32 v15, s47
	v_add_co_u32_e32 v14, vcc, s7, v12
	v_addc_co_u32_e32 v15, vcc, 0, v15, vcc
	flat_load_dword v14, v[14:15] offset:1024
	s_or_b64 exec, exec, s[30:31]
                                        ; implicit-def: $vgpr15
	s_and_saveexec_b64 s[2:3], s[4:5]
	s_cbranch_execnz .LBB1520_34
.LBB1520_119:
	s_or_b64 exec, exec, s[2:3]
                                        ; implicit-def: $vgpr16
	s_and_saveexec_b64 s[2:3], s[28:29]
	s_cbranch_execz .LBB1520_35
.LBB1520_120:
	v_mov_b32_e32 v17, s47
	v_add_co_u32_e32 v16, vcc, s7, v12
	v_addc_co_u32_e32 v17, vcc, 0, v17, vcc
	flat_load_dword v16, v[16:17] offset:3072
	s_or_b64 exec, exec, s[2:3]
                                        ; implicit-def: $vgpr17
	s_and_saveexec_b64 s[2:3], s[8:9]
	s_cbranch_execnz .LBB1520_36
.LBB1520_121:
	s_or_b64 exec, exec, s[2:3]
                                        ; implicit-def: $vgpr2
	s_and_saveexec_b64 s[2:3], s[10:11]
	s_cbranch_execz .LBB1520_37
.LBB1520_122:
	v_lshlrev_b32_e32 v2, 2, v3
	v_mov_b32_e32 v3, s47
	v_add_co_u32_e32 v2, vcc, s7, v2
	v_addc_co_u32_e32 v3, vcc, 0, v3, vcc
	flat_load_dword v2, v[2:3]
	s_or_b64 exec, exec, s[2:3]
                                        ; implicit-def: $vgpr3
	s_and_saveexec_b64 s[2:3], s[12:13]
	s_cbranch_execnz .LBB1520_38
.LBB1520_123:
	s_or_b64 exec, exec, s[2:3]
                                        ; implicit-def: $vgpr4
	s_and_saveexec_b64 s[2:3], s[14:15]
	s_cbranch_execz .LBB1520_39
.LBB1520_124:
	v_lshlrev_b32_e32 v4, 2, v5
	v_mov_b32_e32 v5, s47
	v_add_co_u32_e32 v4, vcc, s7, v4
	v_addc_co_u32_e32 v5, vcc, 0, v5, vcc
	flat_load_dword v4, v[4:5]
	s_or_b64 exec, exec, s[2:3]
                                        ; implicit-def: $vgpr5
	s_and_saveexec_b64 s[2:3], s[16:17]
	s_cbranch_execnz .LBB1520_40
.LBB1520_125:
	s_or_b64 exec, exec, s[2:3]
                                        ; implicit-def: $vgpr6
	s_and_saveexec_b64 s[2:3], s[18:19]
	s_cbranch_execz .LBB1520_41
.LBB1520_126:
	v_lshlrev_b32_e32 v6, 2, v7
	v_mov_b32_e32 v7, s47
	v_add_co_u32_e32 v6, vcc, s7, v6
	v_addc_co_u32_e32 v7, vcc, 0, v7, vcc
	flat_load_dword v6, v[6:7]
	s_or_b64 exec, exec, s[2:3]
                                        ; implicit-def: $vgpr7
	s_and_saveexec_b64 s[2:3], s[20:21]
	s_cbranch_execnz .LBB1520_42
.LBB1520_127:
	s_or_b64 exec, exec, s[2:3]
                                        ; implicit-def: $vgpr8
	s_and_saveexec_b64 s[2:3], s[22:23]
	s_cbranch_execz .LBB1520_43
.LBB1520_128:
	v_lshlrev_b32_e32 v8, 2, v9
	v_mov_b32_e32 v9, s47
	v_add_co_u32_e32 v8, vcc, s7, v8
	v_addc_co_u32_e32 v9, vcc, 0, v9, vcc
	flat_load_dword v8, v[8:9]
	s_or_b64 exec, exec, s[2:3]
                                        ; implicit-def: $vgpr9
	s_and_saveexec_b64 s[2:3], s[24:25]
	s_cbranch_execz .LBB1520_45
	s_branch .LBB1520_44
.LBB1520_129:
                                        ; implicit-def: $vgpr49
                                        ; implicit-def: $vgpr47
                                        ; implicit-def: $vgpr45
                                        ; implicit-def: $vgpr43
                                        ; implicit-def: $vgpr34_vgpr35_vgpr36_vgpr37
                                        ; implicit-def: $vgpr30_vgpr31_vgpr32_vgpr33
                                        ; implicit-def: $vgpr26_vgpr27_vgpr28_vgpr29
	s_cbranch_execz .LBB1520_143
; %bb.130:
	s_cmp_lg_u64 s[52:53], 0
	s_cselect_b32 s3, s51, 0
	s_cselect_b32 s2, s50, 0
	s_mov_b32 s24, 0
	s_cmp_eq_u64 s[2:3], 0
	v_mov_b32_e32 v32, s56
	s_cbranch_scc1 .LBB1520_132
; %bb.131:
	v_mov_b32_e32 v26, 0
	global_load_dword v32, v26, s[2:3]
.LBB1520_132:
	s_mov_b32 s25, 1
	v_cmp_gt_u64_e32 vcc, s[24:25], v[8:9]
	v_cndmask_b32_e32 v27, 0, v38, vcc
	v_add_u32_e32 v27, v27, v8
	v_cmp_gt_u64_e64 s[2:3], s[24:25], v[6:7]
	v_cndmask_b32_e64 v27, 0, v27, s[2:3]
	v_add_u32_e32 v27, v27, v6
	v_cmp_gt_u64_e64 s[4:5], s[24:25], v[4:5]
	v_cndmask_b32_e64 v27, 0, v27, s[4:5]
	;; [unrolled: 3-line block ×11, first 2 shown]
	v_mov_b32_e32 v26, 0
	v_add_u32_e32 v27, v27, v24
	v_cmp_gt_u64_e64 s[24:25], s[24:25], v[40:41]
	v_or3_b32 v7, v23, v15, v7
	v_cndmask_b32_e64 v27, 0, v27, s[24:25]
	v_or3_b32 v9, v25, v17, v9
	v_and_b32_e32 v35, 1, v7
	v_mov_b32_e32 v34, v26
	v_add_u32_e32 v33, v27, v40
	v_and_b32_e32 v27, 1, v41
	v_or3_b32 v3, v19, v11, v3
	v_and_b32_e32 v31, 1, v9
	v_mov_b32_e32 v30, v26
	v_cmp_ne_u64_e64 s[26:27], 0, v[34:35]
	v_cmp_eq_u32_e64 s[24:25], 1, v27
	v_or3_b32 v5, v21, v13, v5
	v_and_b32_e32 v27, 1, v3
	v_cndmask_b32_e64 v3, 0, 1, s[26:27]
	v_cmp_ne_u64_e64 s[26:27], 0, v[30:31]
	v_and_b32_e32 v29, 1, v5
	v_mov_b32_e32 v28, v26
	v_cndmask_b32_e64 v5, 0, 1, s[26:27]
	v_lshlrev_b16_e32 v3, 2, v3
	v_lshlrev_b16_e32 v5, 3, v5
	v_cmp_ne_u64_e64 s[26:27], 0, v[28:29]
	v_or_b32_e32 v3, v5, v3
	v_cndmask_b32_e64 v5, 0, 1, s[26:27]
	v_cmp_ne_u64_e64 s[26:27], 0, v[26:27]
	v_lshlrev_b16_e32 v5, 1, v5
	v_cndmask_b32_e64 v7, 0, 1, s[26:27]
	v_or_b32_e32 v5, v7, v5
	v_and_b32_e32 v5, 3, v5
	v_or_b32_e32 v3, v5, v3
	v_and_b32_e32 v3, 15, v3
	v_cmp_ne_u16_e64 s[26:27], 0, v3
	s_or_b64 s[24:25], s[24:25], s[26:27]
	v_cndmask_b32_e64 v5, v39, 1, s[24:25]
	v_and_b32_e32 v7, 0xff, v5
	v_mov_b32_dpp v11, v33 row_shr:1 row_mask:0xf bank_mask:0xf
	v_cmp_eq_u16_e64 s[24:25], 0, v7
	v_mov_b32_dpp v13, v7 row_shr:1 row_mask:0xf bank_mask:0xf
	v_and_b32_e32 v15, 1, v5
	v_mbcnt_hi_u32_b32 v3, -1, v52
	v_cndmask_b32_e64 v11, 0, v11, s[24:25]
	v_and_b32_e32 v13, 1, v13
	v_cmp_eq_u32_e64 s[24:25], 1, v15
	v_and_b32_e32 v9, 15, v3
	v_cndmask_b32_e64 v13, v13, 1, s[24:25]
	v_and_b32_e32 v15, 0xffff, v13
	v_cmp_eq_u32_e64 s[24:25], 0, v9
	v_cndmask_b32_e64 v5, v13, v5, s[24:25]
	v_cndmask_b32_e64 v7, v15, v7, s[24:25]
	v_and_b32_e32 v17, 1, v5
	v_cndmask_b32_e64 v11, v11, 0, s[24:25]
	v_mov_b32_dpp v15, v7 row_shr:2 row_mask:0xf bank_mask:0xf
	v_and_b32_e32 v15, 1, v15
	v_cmp_eq_u32_e64 s[24:25], 1, v17
	v_cndmask_b32_e64 v15, v15, 1, s[24:25]
	v_and_b32_e32 v17, 0xffff, v15
	v_cmp_lt_u32_e64 s[24:25], 1, v9
	v_add_u32_e32 v11, v11, v33
	v_cmp_eq_u16_sdwa s[26:27], v5, v26 src0_sel:BYTE_0 src1_sel:DWORD
	v_cndmask_b32_e64 v5, v5, v15, s[24:25]
	v_cndmask_b32_e64 v7, v7, v17, s[24:25]
	v_mov_b32_dpp v13, v11 row_shr:2 row_mask:0xf bank_mask:0xf
	s_and_b64 s[24:25], s[24:25], s[26:27]
	v_mov_b32_dpp v15, v7 row_shr:4 row_mask:0xf bank_mask:0xf
	v_and_b32_e32 v17, 1, v5
	v_cndmask_b32_e64 v13, 0, v13, s[24:25]
	v_and_b32_e32 v15, 1, v15
	v_cmp_eq_u32_e64 s[24:25], 1, v17
	v_cndmask_b32_e64 v15, v15, 1, s[24:25]
	v_and_b32_e32 v17, 0xffff, v15
	v_cmp_lt_u32_e64 s[24:25], 3, v9
	v_add_u32_e32 v11, v13, v11
	v_cmp_eq_u16_sdwa s[26:27], v5, v26 src0_sel:BYTE_0 src1_sel:DWORD
	v_cndmask_b32_e64 v5, v5, v15, s[24:25]
	v_cndmask_b32_e64 v7, v7, v17, s[24:25]
	v_mov_b32_dpp v13, v11 row_shr:4 row_mask:0xf bank_mask:0xf
	s_and_b64 s[24:25], s[24:25], s[26:27]
	v_mov_b32_dpp v15, v7 row_shr:8 row_mask:0xf bank_mask:0xf
	v_and_b32_e32 v17, 1, v5
	v_cndmask_b32_e64 v13, 0, v13, s[24:25]
	v_and_b32_e32 v15, 1, v15
	v_cmp_eq_u32_e64 s[24:25], 1, v17
	v_cndmask_b32_e64 v15, v15, 1, s[24:25]
	v_add_u32_e32 v11, v13, v11
	v_cmp_eq_u16_sdwa s[26:27], v5, v26 src0_sel:BYTE_0 src1_sel:DWORD
	v_and_b32_e32 v17, 0xffff, v15
	v_cmp_lt_u32_e64 s[24:25], 7, v9
	v_mov_b32_dpp v13, v11 row_shr:8 row_mask:0xf bank_mask:0xf
	v_cndmask_b32_e64 v5, v5, v15, s[24:25]
	v_cndmask_b32_e64 v7, v7, v17, s[24:25]
	s_and_b64 s[24:25], s[24:25], s[26:27]
	v_cndmask_b32_e64 v9, 0, v13, s[24:25]
	v_add_u32_e32 v9, v9, v11
	v_mov_b32_dpp v13, v7 row_bcast:15 row_mask:0xf bank_mask:0xf
	v_cmp_eq_u16_sdwa s[24:25], v5, v26 src0_sel:BYTE_0 src1_sel:DWORD
	v_mov_b32_dpp v11, v9 row_bcast:15 row_mask:0xf bank_mask:0xf
	v_and_b32_e32 v19, 1, v5
	v_cndmask_b32_e64 v11, 0, v11, s[24:25]
	v_and_b32_e32 v13, 1, v13
	v_cmp_eq_u32_e64 s[24:25], 1, v19
	v_and_b32_e32 v17, 16, v3
	v_cndmask_b32_e64 v13, v13, 1, s[24:25]
	v_and_b32_e32 v19, 0xffff, v13
	v_cmp_eq_u32_e64 s[24:25], 0, v17
	v_cndmask_b32_e64 v5, v13, v5, s[24:25]
	v_cndmask_b32_e64 v7, v19, v7, s[24:25]
	v_bfe_i32 v15, v3, 4, 1
	v_and_b32_e32 v13, 1, v5
	v_mov_b32_dpp v7, v7 row_bcast:31 row_mask:0xf bank_mask:0xf
	v_and_b32_e32 v11, v15, v11
	v_and_b32_e32 v7, 1, v7
	v_cmp_eq_u32_e64 s[24:25], 1, v13
	v_add_u32_e32 v9, v11, v9
	v_cmp_eq_u16_sdwa s[26:27], v5, v26 src0_sel:BYTE_0 src1_sel:DWORD
	v_cndmask_b32_e64 v7, v7, 1, s[24:25]
	v_cmp_lt_u32_e64 s[24:25], 31, v3
	v_mov_b32_dpp v11, v9 row_bcast:31 row_mask:0xf bank_mask:0xf
	v_cndmask_b32_e64 v5, v5, v7, s[24:25]
	s_and_b64 s[24:25], s[24:25], s[26:27]
	v_cndmask_b32_e64 v7, 0, v11, s[24:25]
	v_add_u32_e32 v7, v7, v9
	v_cmp_eq_u32_e64 s[24:25], v51, v0
	s_and_saveexec_b64 s[26:27], s[24:25]
	s_cbranch_execz .LBB1520_134
; %bb.133:
	v_lshlrev_b32_e32 v9, 3, v1
	ds_write_b32 v9, v7
	ds_write_b8 v9, v5 offset:4
.LBB1520_134:
	s_or_b64 exec, exec, s[26:27]
	v_cmp_gt_u32_e64 s[24:25], 4, v0
	s_waitcnt lgkmcnt(0)
	s_barrier
	s_and_saveexec_b64 s[26:27], s[24:25]
	s_cbranch_execz .LBB1520_138
; %bb.135:
	v_lshlrev_b32_e32 v9, 3, v0
	ds_read_b64 v[26:27], v9
	v_and_b32_e32 v11, 3, v3
	v_cmp_ne_u32_e64 s[24:25], 0, v11
	s_waitcnt lgkmcnt(0)
	v_mov_b32_dpp v13, v26 row_shr:1 row_mask:0xf bank_mask:0xf
	v_mov_b32_dpp v17, v27 row_shr:1 row_mask:0xf bank_mask:0xf
	v_mov_b32_e32 v15, v27
	s_and_saveexec_b64 s[28:29], s[24:25]
	s_cbranch_execz .LBB1520_137
; %bb.136:
	v_and_b32_e32 v15, 1, v27
	v_and_b32_e32 v17, 1, v17
	v_cmp_eq_u32_e64 s[24:25], 1, v15
	v_mov_b32_e32 v15, 0
	v_cndmask_b32_e64 v17, v17, 1, s[24:25]
	v_cmp_eq_u16_sdwa s[24:25], v27, v15 src0_sel:BYTE_0 src1_sel:DWORD
	v_cndmask_b32_e64 v13, 0, v13, s[24:25]
	v_add_u32_e32 v26, v13, v26
	v_and_b32_e32 v13, 0xffff, v17
	s_movk_i32 s24, 0xff00
	v_and_or_b32 v15, v27, s24, v13
	v_mov_b32_e32 v27, v17
.LBB1520_137:
	s_or_b64 exec, exec, s[28:29]
	v_mov_b32_dpp v15, v15 row_shr:2 row_mask:0xf bank_mask:0xf
	v_and_b32_e32 v17, 1, v27
	v_and_b32_e32 v15, 1, v15
	v_cmp_eq_u32_e64 s[24:25], 1, v17
	v_mov_b32_e32 v17, 0
	v_cndmask_b32_e64 v15, v15, 1, s[24:25]
	v_cmp_eq_u16_sdwa s[28:29], v27, v17 src0_sel:BYTE_0 src1_sel:DWORD
	v_cmp_lt_u32_e64 s[24:25], 1, v11
	v_mov_b32_dpp v13, v26 row_shr:2 row_mask:0xf bank_mask:0xf
	v_cndmask_b32_e64 v11, v27, v15, s[24:25]
	s_and_b64 s[24:25], s[24:25], s[28:29]
	v_cndmask_b32_e64 v13, 0, v13, s[24:25]
	v_add_u32_e32 v13, v13, v26
	ds_write_b32 v9, v13
	ds_write_b8 v9, v11 offset:4
.LBB1520_138:
	s_or_b64 exec, exec, s[26:27]
	v_cmp_lt_u32_e64 s[24:25], 63, v0
	s_waitcnt vmcnt(0)
	v_mov_b32_e32 v9, v32
	s_waitcnt lgkmcnt(0)
	s_barrier
	s_and_saveexec_b64 s[26:27], s[24:25]
	s_cbranch_execz .LBB1520_140
; %bb.139:
	v_lshl_add_u32 v1, v1, 3, -8
	ds_read_u8 v9, v1 offset:4
	ds_read_b32 v1, v1
	s_waitcnt lgkmcnt(1)
	v_cmp_eq_u16_e64 s[24:25], 0, v9
	v_cndmask_b32_e64 v9, 0, v32, s[24:25]
	s_waitcnt lgkmcnt(0)
	v_add_u32_e32 v9, v9, v1
.LBB1520_140:
	s_or_b64 exec, exec, s[26:27]
	v_mov_b32_e32 v28, 0
	v_cmp_eq_u16_sdwa s[24:25], v5, v28 src0_sel:BYTE_0 src1_sel:DWORD
	v_cndmask_b32_e64 v1, 0, v9, s[24:25]
	v_add_u32_e32 v1, v1, v7
	v_add_u32_e32 v5, -1, v3
	v_and_b32_e32 v7, 64, v3
	v_cmp_lt_i32_e64 s[24:25], v5, v7
	v_cndmask_b32_e64 v5, v5, v3, s[24:25]
	v_lshlrev_b32_e32 v5, 2, v5
	ds_bpermute_b32 v1, v5, v1
	v_cmp_eq_u32_e64 s[24:25], 0, v3
	v_and_b32_e32 v29, 0xff, v39
	v_cmp_eq_u64_e64 s[26:27], 0, v[28:29]
	s_waitcnt lgkmcnt(0)
	v_cndmask_b32_e64 v26, v1, v9, s[24:25]
	v_cmp_eq_u32_e64 s[24:25], 0, v0
	v_cndmask_b32_e64 v1, v26, v32, s[24:25]
	v_cndmask_b32_e64 v1, 0, v1, s[26:27]
	v_add_u32_e32 v27, v1, v38
	v_cndmask_b32_e32 v1, 0, v27, vcc
	v_add_u32_e32 v42, v1, v8
	v_cndmask_b32_e64 v1, 0, v42, s[2:3]
	v_add_u32_e32 v43, v1, v6
	v_cndmask_b32_e64 v1, 0, v43, s[4:5]
	v_add_u32_e32 v30, v1, v4
	v_cndmask_b32_e64 v1, 0, v30, s[6:7]
	v_add_u32_e32 v31, v1, v2
	v_cndmask_b32_e64 v1, 0, v31, s[8:9]
	v_add_u32_e32 v44, v1, v16
	v_cndmask_b32_e64 v1, 0, v44, s[10:11]
	v_add_u32_e32 v45, v1, v14
	v_cndmask_b32_e64 v1, 0, v45, s[12:13]
	v_add_u32_e32 v34, v1, v12
	v_cndmask_b32_e64 v1, 0, v34, s[14:15]
	v_add_u32_e32 v35, v1, v10
	v_cndmask_b32_e64 v1, 0, v35, s[16:17]
	v_add_u32_e32 v46, v1, v18
	v_cndmask_b32_e64 v1, 0, v46, s[18:19]
	v_add_u32_e32 v47, v1, v20
	v_cndmask_b32_e64 v1, 0, v47, s[20:21]
	v_add_u32_e32 v48, v1, v22
	v_cndmask_b32_e64 v1, 0, v48, s[22:23]
	s_and_saveexec_b64 s[2:3], s[24:25]
	s_cbranch_execz .LBB1520_142
; %bb.141:
	ds_read_u8 v3, v28 offset:28
	ds_read_b32 v2, v28 offset:24
	s_add_u32 s4, s44, 0x400
	s_addc_u32 s5, s45, 0
	v_mov_b32_e32 v5, v28
	s_waitcnt lgkmcnt(1)
	v_cmp_eq_u16_e32 vcc, 0, v3
	v_cndmask_b32_e32 v4, 0, v32, vcc
	s_waitcnt lgkmcnt(0)
	v_add_u32_e32 v2, v4, v2
	v_and_b32_e32 v3, 0xffff, v3
	v_mov_b32_e32 v4, 2
	v_pk_mov_b32 v[6:7], s[4:5], s[4:5] op_sel:[0,1]
	;;#ASMSTART
	global_store_dwordx4 v[6:7], v[2:5] off	
s_waitcnt vmcnt(0)
	;;#ASMEND
	v_mov_b32_e32 v26, v32
.LBB1520_142:
	s_or_b64 exec, exec, s[2:3]
	v_add_u32_e32 v49, v1, v24
.LBB1520_143:
	s_add_u32 s2, s42, s34
	s_addc_u32 s3, s43, s35
	s_add_u32 s4, s2, s36
	v_mul_u32_u24_e32 v1, 14, v0
	s_addc_u32 s5, s3, s37
	s_and_b64 vcc, exec, s[0:1]
	v_lshlrev_b32_e32 v2, 2, v1
	s_cbranch_vccz .LBB1520_171
; %bb.144:
	s_movk_i32 s0, 0xffcc
	v_mad_i32_i24 v3, v0, s0, v2
	s_barrier
	ds_write2_b64 v2, v[26:27], v[42:43] offset1:1
	ds_write2_b64 v2, v[30:31], v[44:45] offset0:2 offset1:3
	ds_write2_b64 v2, v[34:35], v[46:47] offset0:4 offset1:5
	ds_write_b64 v2, v[48:49] offset:48
	s_waitcnt lgkmcnt(0)
	s_barrier
	ds_read2st64_b32 v[16:17], v3 offset0:4 offset1:8
	ds_read2st64_b32 v[14:15], v3 offset0:12 offset1:16
	;; [unrolled: 1-line block ×6, first 2 shown]
	ds_read_b32 v3, v3 offset:13312
	v_mov_b32_e32 v7, s5
	v_add_co_u32_e32 v6, vcc, s4, v50
	s_add_i32 s33, s33, s46
	v_addc_co_u32_e32 v7, vcc, 0, v7, vcc
	v_mov_b32_e32 v1, 0
	v_cmp_gt_u32_e32 vcc, s33, v0
	s_and_saveexec_b64 s[0:1], vcc
	s_cbranch_execz .LBB1520_146
; %bb.145:
	v_mul_i32_i24_e32 v18, 0xffffffcc, v0
	v_add_u32_e32 v18, v2, v18
	ds_read_b32 v18, v18
	s_waitcnt lgkmcnt(0)
	flat_store_dword v[6:7], v18
.LBB1520_146:
	s_or_b64 exec, exec, s[0:1]
	v_or_b32_e32 v18, 0x100, v0
	v_cmp_gt_u32_e32 vcc, s33, v18
	s_and_saveexec_b64 s[0:1], vcc
	s_cbranch_execz .LBB1520_148
; %bb.147:
	s_waitcnt lgkmcnt(0)
	flat_store_dword v[6:7], v16 offset:1024
.LBB1520_148:
	s_or_b64 exec, exec, s[0:1]
	s_waitcnt lgkmcnt(0)
	v_or_b32_e32 v16, 0x200, v0
	v_cmp_gt_u32_e32 vcc, s33, v16
	s_and_saveexec_b64 s[0:1], vcc
	s_cbranch_execz .LBB1520_150
; %bb.149:
	flat_store_dword v[6:7], v17 offset:2048
.LBB1520_150:
	s_or_b64 exec, exec, s[0:1]
	v_or_b32_e32 v16, 0x300, v0
	v_cmp_gt_u32_e32 vcc, s33, v16
	s_and_saveexec_b64 s[0:1], vcc
	s_cbranch_execz .LBB1520_152
; %bb.151:
	flat_store_dword v[6:7], v14 offset:3072
.LBB1520_152:
	s_or_b64 exec, exec, s[0:1]
	v_or_b32_e32 v14, 0x400, v0
	v_cmp_gt_u32_e32 vcc, s33, v14
	s_and_saveexec_b64 s[0:1], vcc
	s_cbranch_execz .LBB1520_154
; %bb.153:
	v_add_co_u32_e32 v16, vcc, 0x1000, v6
	v_addc_co_u32_e32 v17, vcc, 0, v7, vcc
	flat_store_dword v[16:17], v15
.LBB1520_154:
	s_or_b64 exec, exec, s[0:1]
	v_or_b32_e32 v14, 0x500, v0
	v_cmp_gt_u32_e32 vcc, s33, v14
	s_and_saveexec_b64 s[0:1], vcc
	s_cbranch_execz .LBB1520_156
; %bb.155:
	v_add_co_u32_e32 v14, vcc, 0x1000, v6
	v_addc_co_u32_e32 v15, vcc, 0, v7, vcc
	flat_store_dword v[14:15], v12 offset:1024
.LBB1520_156:
	s_or_b64 exec, exec, s[0:1]
	v_or_b32_e32 v12, 0x600, v0
	v_cmp_gt_u32_e32 vcc, s33, v12
	s_and_saveexec_b64 s[0:1], vcc
	s_cbranch_execz .LBB1520_158
; %bb.157:
	v_add_co_u32_e32 v14, vcc, 0x1000, v6
	v_addc_co_u32_e32 v15, vcc, 0, v7, vcc
	flat_store_dword v[14:15], v13 offset:2048
.LBB1520_158:
	;; [unrolled: 10-line block ×3, first 2 shown]
	s_or_b64 exec, exec, s[0:1]
	v_or_b32_e32 v10, 0x800, v0
	v_cmp_gt_u32_e32 vcc, s33, v10
	s_and_saveexec_b64 s[0:1], vcc
	s_cbranch_execz .LBB1520_162
; %bb.161:
	v_add_co_u32_e32 v12, vcc, 0x2000, v6
	v_addc_co_u32_e32 v13, vcc, 0, v7, vcc
	flat_store_dword v[12:13], v11
.LBB1520_162:
	s_or_b64 exec, exec, s[0:1]
	v_or_b32_e32 v10, 0x900, v0
	v_cmp_gt_u32_e32 vcc, s33, v10
	s_and_saveexec_b64 s[0:1], vcc
	s_cbranch_execz .LBB1520_164
; %bb.163:
	v_add_co_u32_e32 v10, vcc, 0x2000, v6
	v_addc_co_u32_e32 v11, vcc, 0, v7, vcc
	flat_store_dword v[10:11], v8 offset:1024
.LBB1520_164:
	s_or_b64 exec, exec, s[0:1]
	v_or_b32_e32 v8, 0xa00, v0
	v_cmp_gt_u32_e32 vcc, s33, v8
	s_and_saveexec_b64 s[0:1], vcc
	s_cbranch_execz .LBB1520_166
; %bb.165:
	v_add_co_u32_e32 v10, vcc, 0x2000, v6
	v_addc_co_u32_e32 v11, vcc, 0, v7, vcc
	flat_store_dword v[10:11], v9 offset:2048
.LBB1520_166:
	;; [unrolled: 10-line block ×3, first 2 shown]
	s_or_b64 exec, exec, s[0:1]
	v_or_b32_e32 v4, 0xc00, v0
	v_cmp_gt_u32_e32 vcc, s33, v4
	s_and_saveexec_b64 s[0:1], vcc
	s_cbranch_execz .LBB1520_170
; %bb.169:
	v_add_co_u32_e32 v6, vcc, 0x3000, v6
	v_addc_co_u32_e32 v7, vcc, 0, v7, vcc
	flat_store_dword v[6:7], v5
.LBB1520_170:
	s_or_b64 exec, exec, s[0:1]
	v_or_b32_e32 v4, 0xd00, v0
	v_cmp_gt_u32_e64 s[0:1], s33, v4
	s_branch .LBB1520_173
.LBB1520_171:
	s_mov_b64 s[0:1], 0
                                        ; implicit-def: $vgpr3
	s_cbranch_execz .LBB1520_173
; %bb.172:
	s_movk_i32 s2, 0xffcc
	s_waitcnt lgkmcnt(0)
	s_barrier
	ds_write2_b64 v2, v[26:27], v[42:43] offset1:1
	ds_write2_b64 v2, v[30:31], v[44:45] offset0:2 offset1:3
	ds_write2_b64 v2, v[34:35], v[46:47] offset0:4 offset1:5
	ds_write_b64 v2, v[48:49] offset:48
	v_mad_i32_i24 v2, v0, s2, v2
	v_mov_b32_e32 v17, s5
	v_add_co_u32_e32 v16, vcc, s4, v50
	s_waitcnt lgkmcnt(0)
	s_barrier
	ds_read2st64_b32 v[4:5], v2 offset1:4
	ds_read2st64_b32 v[6:7], v2 offset0:8 offset1:12
	ds_read2st64_b32 v[8:9], v2 offset0:16 offset1:20
	;; [unrolled: 1-line block ×6, first 2 shown]
	v_addc_co_u32_e32 v17, vcc, 0, v17, vcc
	s_movk_i32 s2, 0x1000
	s_waitcnt lgkmcnt(0)
	flat_store_dword v[16:17], v4
	flat_store_dword v[16:17], v5 offset:1024
	flat_store_dword v[16:17], v6 offset:2048
	;; [unrolled: 1-line block ×3, first 2 shown]
	v_add_co_u32_e32 v4, vcc, s2, v16
	v_addc_co_u32_e32 v5, vcc, 0, v17, vcc
	flat_store_dword v[4:5], v8
	flat_store_dword v[4:5], v9 offset:1024
	flat_store_dword v[4:5], v10 offset:2048
	;; [unrolled: 1-line block ×3, first 2 shown]
	v_add_co_u32_e32 v4, vcc, 0x2000, v16
	v_addc_co_u32_e32 v5, vcc, 0, v17, vcc
	flat_store_dword v[4:5], v12
	flat_store_dword v[4:5], v13 offset:1024
	flat_store_dword v[4:5], v14 offset:2048
	;; [unrolled: 1-line block ×3, first 2 shown]
	v_add_co_u32_e32 v4, vcc, 0x3000, v16
	v_mov_b32_e32 v1, 0
	v_addc_co_u32_e32 v5, vcc, 0, v17, vcc
	s_or_b64 s[0:1], s[0:1], exec
	flat_store_dword v[4:5], v2
.LBB1520_173:
	s_and_saveexec_b64 s[2:3], s[0:1]
	s_cbranch_execz .LBB1520_175
; %bb.174:
	v_lshlrev_b64 v[0:1], 2, v[0:1]
	v_mov_b32_e32 v2, s5
	v_add_co_u32_e32 v0, vcc, s4, v0
	v_addc_co_u32_e32 v1, vcc, v2, v1, vcc
	v_add_co_u32_e32 v0, vcc, 0x3000, v0
	v_addc_co_u32_e32 v1, vcc, 0, v1, vcc
	flat_store_dword v[0:1], v3 offset:1024
	s_endpgm
.LBB1520_175:
	s_endpgm
	.section	.rodata,"a",@progbits
	.p2align	6, 0x0
	.amdhsa_kernel _ZN7rocprim17ROCPRIM_400000_NS6detail17trampoline_kernelINS0_14default_configENS1_27scan_by_key_config_selectorIijEEZZNS1_16scan_by_key_implILNS1_25lookback_scan_determinismE0ELb1ES3_N6thrust23THRUST_200600_302600_NS6detail15normal_iteratorINS9_10device_ptrIiEEEENSB_INSC_IjEEEESG_jNS9_4plusIvEENS9_8equal_toIvEEjEE10hipError_tPvRmT2_T3_T4_T5_mT6_T7_P12ihipStream_tbENKUlT_T0_E_clISt17integral_constantIbLb1EES10_IbLb0EEEEDaSW_SX_EUlSW_E_NS1_11comp_targetILNS1_3genE4ELNS1_11target_archE910ELNS1_3gpuE8ELNS1_3repE0EEENS1_30default_config_static_selectorELNS0_4arch9wavefront6targetE1EEEvT1_
		.amdhsa_group_segment_fixed_size 16384
		.amdhsa_private_segment_fixed_size 0
		.amdhsa_kernarg_size 112
		.amdhsa_user_sgpr_count 6
		.amdhsa_user_sgpr_private_segment_buffer 1
		.amdhsa_user_sgpr_dispatch_ptr 0
		.amdhsa_user_sgpr_queue_ptr 0
		.amdhsa_user_sgpr_kernarg_segment_ptr 1
		.amdhsa_user_sgpr_dispatch_id 0
		.amdhsa_user_sgpr_flat_scratch_init 0
		.amdhsa_user_sgpr_kernarg_preload_length 0
		.amdhsa_user_sgpr_kernarg_preload_offset 0
		.amdhsa_user_sgpr_private_segment_size 0
		.amdhsa_uses_dynamic_stack 0
		.amdhsa_system_sgpr_private_segment_wavefront_offset 0
		.amdhsa_system_sgpr_workgroup_id_x 1
		.amdhsa_system_sgpr_workgroup_id_y 0
		.amdhsa_system_sgpr_workgroup_id_z 0
		.amdhsa_system_sgpr_workgroup_info 0
		.amdhsa_system_vgpr_workitem_id 0
		.amdhsa_next_free_vgpr 65
		.amdhsa_next_free_sgpr 60
		.amdhsa_accum_offset 68
		.amdhsa_reserve_vcc 1
		.amdhsa_reserve_flat_scratch 0
		.amdhsa_float_round_mode_32 0
		.amdhsa_float_round_mode_16_64 0
		.amdhsa_float_denorm_mode_32 3
		.amdhsa_float_denorm_mode_16_64 3
		.amdhsa_dx10_clamp 1
		.amdhsa_ieee_mode 1
		.amdhsa_fp16_overflow 0
		.amdhsa_tg_split 0
		.amdhsa_exception_fp_ieee_invalid_op 0
		.amdhsa_exception_fp_denorm_src 0
		.amdhsa_exception_fp_ieee_div_zero 0
		.amdhsa_exception_fp_ieee_overflow 0
		.amdhsa_exception_fp_ieee_underflow 0
		.amdhsa_exception_fp_ieee_inexact 0
		.amdhsa_exception_int_div_zero 0
	.end_amdhsa_kernel
	.section	.text._ZN7rocprim17ROCPRIM_400000_NS6detail17trampoline_kernelINS0_14default_configENS1_27scan_by_key_config_selectorIijEEZZNS1_16scan_by_key_implILNS1_25lookback_scan_determinismE0ELb1ES3_N6thrust23THRUST_200600_302600_NS6detail15normal_iteratorINS9_10device_ptrIiEEEENSB_INSC_IjEEEESG_jNS9_4plusIvEENS9_8equal_toIvEEjEE10hipError_tPvRmT2_T3_T4_T5_mT6_T7_P12ihipStream_tbENKUlT_T0_E_clISt17integral_constantIbLb1EES10_IbLb0EEEEDaSW_SX_EUlSW_E_NS1_11comp_targetILNS1_3genE4ELNS1_11target_archE910ELNS1_3gpuE8ELNS1_3repE0EEENS1_30default_config_static_selectorELNS0_4arch9wavefront6targetE1EEEvT1_,"axG",@progbits,_ZN7rocprim17ROCPRIM_400000_NS6detail17trampoline_kernelINS0_14default_configENS1_27scan_by_key_config_selectorIijEEZZNS1_16scan_by_key_implILNS1_25lookback_scan_determinismE0ELb1ES3_N6thrust23THRUST_200600_302600_NS6detail15normal_iteratorINS9_10device_ptrIiEEEENSB_INSC_IjEEEESG_jNS9_4plusIvEENS9_8equal_toIvEEjEE10hipError_tPvRmT2_T3_T4_T5_mT6_T7_P12ihipStream_tbENKUlT_T0_E_clISt17integral_constantIbLb1EES10_IbLb0EEEEDaSW_SX_EUlSW_E_NS1_11comp_targetILNS1_3genE4ELNS1_11target_archE910ELNS1_3gpuE8ELNS1_3repE0EEENS1_30default_config_static_selectorELNS0_4arch9wavefront6targetE1EEEvT1_,comdat
.Lfunc_end1520:
	.size	_ZN7rocprim17ROCPRIM_400000_NS6detail17trampoline_kernelINS0_14default_configENS1_27scan_by_key_config_selectorIijEEZZNS1_16scan_by_key_implILNS1_25lookback_scan_determinismE0ELb1ES3_N6thrust23THRUST_200600_302600_NS6detail15normal_iteratorINS9_10device_ptrIiEEEENSB_INSC_IjEEEESG_jNS9_4plusIvEENS9_8equal_toIvEEjEE10hipError_tPvRmT2_T3_T4_T5_mT6_T7_P12ihipStream_tbENKUlT_T0_E_clISt17integral_constantIbLb1EES10_IbLb0EEEEDaSW_SX_EUlSW_E_NS1_11comp_targetILNS1_3genE4ELNS1_11target_archE910ELNS1_3gpuE8ELNS1_3repE0EEENS1_30default_config_static_selectorELNS0_4arch9wavefront6targetE1EEEvT1_, .Lfunc_end1520-_ZN7rocprim17ROCPRIM_400000_NS6detail17trampoline_kernelINS0_14default_configENS1_27scan_by_key_config_selectorIijEEZZNS1_16scan_by_key_implILNS1_25lookback_scan_determinismE0ELb1ES3_N6thrust23THRUST_200600_302600_NS6detail15normal_iteratorINS9_10device_ptrIiEEEENSB_INSC_IjEEEESG_jNS9_4plusIvEENS9_8equal_toIvEEjEE10hipError_tPvRmT2_T3_T4_T5_mT6_T7_P12ihipStream_tbENKUlT_T0_E_clISt17integral_constantIbLb1EES10_IbLb0EEEEDaSW_SX_EUlSW_E_NS1_11comp_targetILNS1_3genE4ELNS1_11target_archE910ELNS1_3gpuE8ELNS1_3repE0EEENS1_30default_config_static_selectorELNS0_4arch9wavefront6targetE1EEEvT1_
                                        ; -- End function
	.section	.AMDGPU.csdata,"",@progbits
; Kernel info:
; codeLenInByte = 11304
; NumSgprs: 64
; NumVgprs: 65
; NumAgprs: 0
; TotalNumVgprs: 65
; ScratchSize: 0
; MemoryBound: 0
; FloatMode: 240
; IeeeMode: 1
; LDSByteSize: 16384 bytes/workgroup (compile time only)
; SGPRBlocks: 7
; VGPRBlocks: 8
; NumSGPRsForWavesPerEU: 64
; NumVGPRsForWavesPerEU: 65
; AccumOffset: 68
; Occupancy: 4
; WaveLimiterHint : 1
; COMPUTE_PGM_RSRC2:SCRATCH_EN: 0
; COMPUTE_PGM_RSRC2:USER_SGPR: 6
; COMPUTE_PGM_RSRC2:TRAP_HANDLER: 0
; COMPUTE_PGM_RSRC2:TGID_X_EN: 1
; COMPUTE_PGM_RSRC2:TGID_Y_EN: 0
; COMPUTE_PGM_RSRC2:TGID_Z_EN: 0
; COMPUTE_PGM_RSRC2:TIDIG_COMP_CNT: 0
; COMPUTE_PGM_RSRC3_GFX90A:ACCUM_OFFSET: 16
; COMPUTE_PGM_RSRC3_GFX90A:TG_SPLIT: 0
	.section	.text._ZN7rocprim17ROCPRIM_400000_NS6detail17trampoline_kernelINS0_14default_configENS1_27scan_by_key_config_selectorIijEEZZNS1_16scan_by_key_implILNS1_25lookback_scan_determinismE0ELb1ES3_N6thrust23THRUST_200600_302600_NS6detail15normal_iteratorINS9_10device_ptrIiEEEENSB_INSC_IjEEEESG_jNS9_4plusIvEENS9_8equal_toIvEEjEE10hipError_tPvRmT2_T3_T4_T5_mT6_T7_P12ihipStream_tbENKUlT_T0_E_clISt17integral_constantIbLb1EES10_IbLb0EEEEDaSW_SX_EUlSW_E_NS1_11comp_targetILNS1_3genE3ELNS1_11target_archE908ELNS1_3gpuE7ELNS1_3repE0EEENS1_30default_config_static_selectorELNS0_4arch9wavefront6targetE1EEEvT1_,"axG",@progbits,_ZN7rocprim17ROCPRIM_400000_NS6detail17trampoline_kernelINS0_14default_configENS1_27scan_by_key_config_selectorIijEEZZNS1_16scan_by_key_implILNS1_25lookback_scan_determinismE0ELb1ES3_N6thrust23THRUST_200600_302600_NS6detail15normal_iteratorINS9_10device_ptrIiEEEENSB_INSC_IjEEEESG_jNS9_4plusIvEENS9_8equal_toIvEEjEE10hipError_tPvRmT2_T3_T4_T5_mT6_T7_P12ihipStream_tbENKUlT_T0_E_clISt17integral_constantIbLb1EES10_IbLb0EEEEDaSW_SX_EUlSW_E_NS1_11comp_targetILNS1_3genE3ELNS1_11target_archE908ELNS1_3gpuE7ELNS1_3repE0EEENS1_30default_config_static_selectorELNS0_4arch9wavefront6targetE1EEEvT1_,comdat
	.protected	_ZN7rocprim17ROCPRIM_400000_NS6detail17trampoline_kernelINS0_14default_configENS1_27scan_by_key_config_selectorIijEEZZNS1_16scan_by_key_implILNS1_25lookback_scan_determinismE0ELb1ES3_N6thrust23THRUST_200600_302600_NS6detail15normal_iteratorINS9_10device_ptrIiEEEENSB_INSC_IjEEEESG_jNS9_4plusIvEENS9_8equal_toIvEEjEE10hipError_tPvRmT2_T3_T4_T5_mT6_T7_P12ihipStream_tbENKUlT_T0_E_clISt17integral_constantIbLb1EES10_IbLb0EEEEDaSW_SX_EUlSW_E_NS1_11comp_targetILNS1_3genE3ELNS1_11target_archE908ELNS1_3gpuE7ELNS1_3repE0EEENS1_30default_config_static_selectorELNS0_4arch9wavefront6targetE1EEEvT1_ ; -- Begin function _ZN7rocprim17ROCPRIM_400000_NS6detail17trampoline_kernelINS0_14default_configENS1_27scan_by_key_config_selectorIijEEZZNS1_16scan_by_key_implILNS1_25lookback_scan_determinismE0ELb1ES3_N6thrust23THRUST_200600_302600_NS6detail15normal_iteratorINS9_10device_ptrIiEEEENSB_INSC_IjEEEESG_jNS9_4plusIvEENS9_8equal_toIvEEjEE10hipError_tPvRmT2_T3_T4_T5_mT6_T7_P12ihipStream_tbENKUlT_T0_E_clISt17integral_constantIbLb1EES10_IbLb0EEEEDaSW_SX_EUlSW_E_NS1_11comp_targetILNS1_3genE3ELNS1_11target_archE908ELNS1_3gpuE7ELNS1_3repE0EEENS1_30default_config_static_selectorELNS0_4arch9wavefront6targetE1EEEvT1_
	.globl	_ZN7rocprim17ROCPRIM_400000_NS6detail17trampoline_kernelINS0_14default_configENS1_27scan_by_key_config_selectorIijEEZZNS1_16scan_by_key_implILNS1_25lookback_scan_determinismE0ELb1ES3_N6thrust23THRUST_200600_302600_NS6detail15normal_iteratorINS9_10device_ptrIiEEEENSB_INSC_IjEEEESG_jNS9_4plusIvEENS9_8equal_toIvEEjEE10hipError_tPvRmT2_T3_T4_T5_mT6_T7_P12ihipStream_tbENKUlT_T0_E_clISt17integral_constantIbLb1EES10_IbLb0EEEEDaSW_SX_EUlSW_E_NS1_11comp_targetILNS1_3genE3ELNS1_11target_archE908ELNS1_3gpuE7ELNS1_3repE0EEENS1_30default_config_static_selectorELNS0_4arch9wavefront6targetE1EEEvT1_
	.p2align	8
	.type	_ZN7rocprim17ROCPRIM_400000_NS6detail17trampoline_kernelINS0_14default_configENS1_27scan_by_key_config_selectorIijEEZZNS1_16scan_by_key_implILNS1_25lookback_scan_determinismE0ELb1ES3_N6thrust23THRUST_200600_302600_NS6detail15normal_iteratorINS9_10device_ptrIiEEEENSB_INSC_IjEEEESG_jNS9_4plusIvEENS9_8equal_toIvEEjEE10hipError_tPvRmT2_T3_T4_T5_mT6_T7_P12ihipStream_tbENKUlT_T0_E_clISt17integral_constantIbLb1EES10_IbLb0EEEEDaSW_SX_EUlSW_E_NS1_11comp_targetILNS1_3genE3ELNS1_11target_archE908ELNS1_3gpuE7ELNS1_3repE0EEENS1_30default_config_static_selectorELNS0_4arch9wavefront6targetE1EEEvT1_,@function
_ZN7rocprim17ROCPRIM_400000_NS6detail17trampoline_kernelINS0_14default_configENS1_27scan_by_key_config_selectorIijEEZZNS1_16scan_by_key_implILNS1_25lookback_scan_determinismE0ELb1ES3_N6thrust23THRUST_200600_302600_NS6detail15normal_iteratorINS9_10device_ptrIiEEEENSB_INSC_IjEEEESG_jNS9_4plusIvEENS9_8equal_toIvEEjEE10hipError_tPvRmT2_T3_T4_T5_mT6_T7_P12ihipStream_tbENKUlT_T0_E_clISt17integral_constantIbLb1EES10_IbLb0EEEEDaSW_SX_EUlSW_E_NS1_11comp_targetILNS1_3genE3ELNS1_11target_archE908ELNS1_3gpuE7ELNS1_3repE0EEENS1_30default_config_static_selectorELNS0_4arch9wavefront6targetE1EEEvT1_: ; @_ZN7rocprim17ROCPRIM_400000_NS6detail17trampoline_kernelINS0_14default_configENS1_27scan_by_key_config_selectorIijEEZZNS1_16scan_by_key_implILNS1_25lookback_scan_determinismE0ELb1ES3_N6thrust23THRUST_200600_302600_NS6detail15normal_iteratorINS9_10device_ptrIiEEEENSB_INSC_IjEEEESG_jNS9_4plusIvEENS9_8equal_toIvEEjEE10hipError_tPvRmT2_T3_T4_T5_mT6_T7_P12ihipStream_tbENKUlT_T0_E_clISt17integral_constantIbLb1EES10_IbLb0EEEEDaSW_SX_EUlSW_E_NS1_11comp_targetILNS1_3genE3ELNS1_11target_archE908ELNS1_3gpuE7ELNS1_3repE0EEENS1_30default_config_static_selectorELNS0_4arch9wavefront6targetE1EEEvT1_
; %bb.0:
	.section	.rodata,"a",@progbits
	.p2align	6, 0x0
	.amdhsa_kernel _ZN7rocprim17ROCPRIM_400000_NS6detail17trampoline_kernelINS0_14default_configENS1_27scan_by_key_config_selectorIijEEZZNS1_16scan_by_key_implILNS1_25lookback_scan_determinismE0ELb1ES3_N6thrust23THRUST_200600_302600_NS6detail15normal_iteratorINS9_10device_ptrIiEEEENSB_INSC_IjEEEESG_jNS9_4plusIvEENS9_8equal_toIvEEjEE10hipError_tPvRmT2_T3_T4_T5_mT6_T7_P12ihipStream_tbENKUlT_T0_E_clISt17integral_constantIbLb1EES10_IbLb0EEEEDaSW_SX_EUlSW_E_NS1_11comp_targetILNS1_3genE3ELNS1_11target_archE908ELNS1_3gpuE7ELNS1_3repE0EEENS1_30default_config_static_selectorELNS0_4arch9wavefront6targetE1EEEvT1_
		.amdhsa_group_segment_fixed_size 0
		.amdhsa_private_segment_fixed_size 0
		.amdhsa_kernarg_size 112
		.amdhsa_user_sgpr_count 6
		.amdhsa_user_sgpr_private_segment_buffer 1
		.amdhsa_user_sgpr_dispatch_ptr 0
		.amdhsa_user_sgpr_queue_ptr 0
		.amdhsa_user_sgpr_kernarg_segment_ptr 1
		.amdhsa_user_sgpr_dispatch_id 0
		.amdhsa_user_sgpr_flat_scratch_init 0
		.amdhsa_user_sgpr_kernarg_preload_length 0
		.amdhsa_user_sgpr_kernarg_preload_offset 0
		.amdhsa_user_sgpr_private_segment_size 0
		.amdhsa_uses_dynamic_stack 0
		.amdhsa_system_sgpr_private_segment_wavefront_offset 0
		.amdhsa_system_sgpr_workgroup_id_x 1
		.amdhsa_system_sgpr_workgroup_id_y 0
		.amdhsa_system_sgpr_workgroup_id_z 0
		.amdhsa_system_sgpr_workgroup_info 0
		.amdhsa_system_vgpr_workitem_id 0
		.amdhsa_next_free_vgpr 1
		.amdhsa_next_free_sgpr 0
		.amdhsa_accum_offset 4
		.amdhsa_reserve_vcc 0
		.amdhsa_reserve_flat_scratch 0
		.amdhsa_float_round_mode_32 0
		.amdhsa_float_round_mode_16_64 0
		.amdhsa_float_denorm_mode_32 3
		.amdhsa_float_denorm_mode_16_64 3
		.amdhsa_dx10_clamp 1
		.amdhsa_ieee_mode 1
		.amdhsa_fp16_overflow 0
		.amdhsa_tg_split 0
		.amdhsa_exception_fp_ieee_invalid_op 0
		.amdhsa_exception_fp_denorm_src 0
		.amdhsa_exception_fp_ieee_div_zero 0
		.amdhsa_exception_fp_ieee_overflow 0
		.amdhsa_exception_fp_ieee_underflow 0
		.amdhsa_exception_fp_ieee_inexact 0
		.amdhsa_exception_int_div_zero 0
	.end_amdhsa_kernel
	.section	.text._ZN7rocprim17ROCPRIM_400000_NS6detail17trampoline_kernelINS0_14default_configENS1_27scan_by_key_config_selectorIijEEZZNS1_16scan_by_key_implILNS1_25lookback_scan_determinismE0ELb1ES3_N6thrust23THRUST_200600_302600_NS6detail15normal_iteratorINS9_10device_ptrIiEEEENSB_INSC_IjEEEESG_jNS9_4plusIvEENS9_8equal_toIvEEjEE10hipError_tPvRmT2_T3_T4_T5_mT6_T7_P12ihipStream_tbENKUlT_T0_E_clISt17integral_constantIbLb1EES10_IbLb0EEEEDaSW_SX_EUlSW_E_NS1_11comp_targetILNS1_3genE3ELNS1_11target_archE908ELNS1_3gpuE7ELNS1_3repE0EEENS1_30default_config_static_selectorELNS0_4arch9wavefront6targetE1EEEvT1_,"axG",@progbits,_ZN7rocprim17ROCPRIM_400000_NS6detail17trampoline_kernelINS0_14default_configENS1_27scan_by_key_config_selectorIijEEZZNS1_16scan_by_key_implILNS1_25lookback_scan_determinismE0ELb1ES3_N6thrust23THRUST_200600_302600_NS6detail15normal_iteratorINS9_10device_ptrIiEEEENSB_INSC_IjEEEESG_jNS9_4plusIvEENS9_8equal_toIvEEjEE10hipError_tPvRmT2_T3_T4_T5_mT6_T7_P12ihipStream_tbENKUlT_T0_E_clISt17integral_constantIbLb1EES10_IbLb0EEEEDaSW_SX_EUlSW_E_NS1_11comp_targetILNS1_3genE3ELNS1_11target_archE908ELNS1_3gpuE7ELNS1_3repE0EEENS1_30default_config_static_selectorELNS0_4arch9wavefront6targetE1EEEvT1_,comdat
.Lfunc_end1521:
	.size	_ZN7rocprim17ROCPRIM_400000_NS6detail17trampoline_kernelINS0_14default_configENS1_27scan_by_key_config_selectorIijEEZZNS1_16scan_by_key_implILNS1_25lookback_scan_determinismE0ELb1ES3_N6thrust23THRUST_200600_302600_NS6detail15normal_iteratorINS9_10device_ptrIiEEEENSB_INSC_IjEEEESG_jNS9_4plusIvEENS9_8equal_toIvEEjEE10hipError_tPvRmT2_T3_T4_T5_mT6_T7_P12ihipStream_tbENKUlT_T0_E_clISt17integral_constantIbLb1EES10_IbLb0EEEEDaSW_SX_EUlSW_E_NS1_11comp_targetILNS1_3genE3ELNS1_11target_archE908ELNS1_3gpuE7ELNS1_3repE0EEENS1_30default_config_static_selectorELNS0_4arch9wavefront6targetE1EEEvT1_, .Lfunc_end1521-_ZN7rocprim17ROCPRIM_400000_NS6detail17trampoline_kernelINS0_14default_configENS1_27scan_by_key_config_selectorIijEEZZNS1_16scan_by_key_implILNS1_25lookback_scan_determinismE0ELb1ES3_N6thrust23THRUST_200600_302600_NS6detail15normal_iteratorINS9_10device_ptrIiEEEENSB_INSC_IjEEEESG_jNS9_4plusIvEENS9_8equal_toIvEEjEE10hipError_tPvRmT2_T3_T4_T5_mT6_T7_P12ihipStream_tbENKUlT_T0_E_clISt17integral_constantIbLb1EES10_IbLb0EEEEDaSW_SX_EUlSW_E_NS1_11comp_targetILNS1_3genE3ELNS1_11target_archE908ELNS1_3gpuE7ELNS1_3repE0EEENS1_30default_config_static_selectorELNS0_4arch9wavefront6targetE1EEEvT1_
                                        ; -- End function
	.section	.AMDGPU.csdata,"",@progbits
; Kernel info:
; codeLenInByte = 0
; NumSgprs: 4
; NumVgprs: 0
; NumAgprs: 0
; TotalNumVgprs: 0
; ScratchSize: 0
; MemoryBound: 0
; FloatMode: 240
; IeeeMode: 1
; LDSByteSize: 0 bytes/workgroup (compile time only)
; SGPRBlocks: 0
; VGPRBlocks: 0
; NumSGPRsForWavesPerEU: 4
; NumVGPRsForWavesPerEU: 1
; AccumOffset: 4
; Occupancy: 8
; WaveLimiterHint : 0
; COMPUTE_PGM_RSRC2:SCRATCH_EN: 0
; COMPUTE_PGM_RSRC2:USER_SGPR: 6
; COMPUTE_PGM_RSRC2:TRAP_HANDLER: 0
; COMPUTE_PGM_RSRC2:TGID_X_EN: 1
; COMPUTE_PGM_RSRC2:TGID_Y_EN: 0
; COMPUTE_PGM_RSRC2:TGID_Z_EN: 0
; COMPUTE_PGM_RSRC2:TIDIG_COMP_CNT: 0
; COMPUTE_PGM_RSRC3_GFX90A:ACCUM_OFFSET: 0
; COMPUTE_PGM_RSRC3_GFX90A:TG_SPLIT: 0
	.section	.text._ZN7rocprim17ROCPRIM_400000_NS6detail17trampoline_kernelINS0_14default_configENS1_27scan_by_key_config_selectorIijEEZZNS1_16scan_by_key_implILNS1_25lookback_scan_determinismE0ELb1ES3_N6thrust23THRUST_200600_302600_NS6detail15normal_iteratorINS9_10device_ptrIiEEEENSB_INSC_IjEEEESG_jNS9_4plusIvEENS9_8equal_toIvEEjEE10hipError_tPvRmT2_T3_T4_T5_mT6_T7_P12ihipStream_tbENKUlT_T0_E_clISt17integral_constantIbLb1EES10_IbLb0EEEEDaSW_SX_EUlSW_E_NS1_11comp_targetILNS1_3genE2ELNS1_11target_archE906ELNS1_3gpuE6ELNS1_3repE0EEENS1_30default_config_static_selectorELNS0_4arch9wavefront6targetE1EEEvT1_,"axG",@progbits,_ZN7rocprim17ROCPRIM_400000_NS6detail17trampoline_kernelINS0_14default_configENS1_27scan_by_key_config_selectorIijEEZZNS1_16scan_by_key_implILNS1_25lookback_scan_determinismE0ELb1ES3_N6thrust23THRUST_200600_302600_NS6detail15normal_iteratorINS9_10device_ptrIiEEEENSB_INSC_IjEEEESG_jNS9_4plusIvEENS9_8equal_toIvEEjEE10hipError_tPvRmT2_T3_T4_T5_mT6_T7_P12ihipStream_tbENKUlT_T0_E_clISt17integral_constantIbLb1EES10_IbLb0EEEEDaSW_SX_EUlSW_E_NS1_11comp_targetILNS1_3genE2ELNS1_11target_archE906ELNS1_3gpuE6ELNS1_3repE0EEENS1_30default_config_static_selectorELNS0_4arch9wavefront6targetE1EEEvT1_,comdat
	.protected	_ZN7rocprim17ROCPRIM_400000_NS6detail17trampoline_kernelINS0_14default_configENS1_27scan_by_key_config_selectorIijEEZZNS1_16scan_by_key_implILNS1_25lookback_scan_determinismE0ELb1ES3_N6thrust23THRUST_200600_302600_NS6detail15normal_iteratorINS9_10device_ptrIiEEEENSB_INSC_IjEEEESG_jNS9_4plusIvEENS9_8equal_toIvEEjEE10hipError_tPvRmT2_T3_T4_T5_mT6_T7_P12ihipStream_tbENKUlT_T0_E_clISt17integral_constantIbLb1EES10_IbLb0EEEEDaSW_SX_EUlSW_E_NS1_11comp_targetILNS1_3genE2ELNS1_11target_archE906ELNS1_3gpuE6ELNS1_3repE0EEENS1_30default_config_static_selectorELNS0_4arch9wavefront6targetE1EEEvT1_ ; -- Begin function _ZN7rocprim17ROCPRIM_400000_NS6detail17trampoline_kernelINS0_14default_configENS1_27scan_by_key_config_selectorIijEEZZNS1_16scan_by_key_implILNS1_25lookback_scan_determinismE0ELb1ES3_N6thrust23THRUST_200600_302600_NS6detail15normal_iteratorINS9_10device_ptrIiEEEENSB_INSC_IjEEEESG_jNS9_4plusIvEENS9_8equal_toIvEEjEE10hipError_tPvRmT2_T3_T4_T5_mT6_T7_P12ihipStream_tbENKUlT_T0_E_clISt17integral_constantIbLb1EES10_IbLb0EEEEDaSW_SX_EUlSW_E_NS1_11comp_targetILNS1_3genE2ELNS1_11target_archE906ELNS1_3gpuE6ELNS1_3repE0EEENS1_30default_config_static_selectorELNS0_4arch9wavefront6targetE1EEEvT1_
	.globl	_ZN7rocprim17ROCPRIM_400000_NS6detail17trampoline_kernelINS0_14default_configENS1_27scan_by_key_config_selectorIijEEZZNS1_16scan_by_key_implILNS1_25lookback_scan_determinismE0ELb1ES3_N6thrust23THRUST_200600_302600_NS6detail15normal_iteratorINS9_10device_ptrIiEEEENSB_INSC_IjEEEESG_jNS9_4plusIvEENS9_8equal_toIvEEjEE10hipError_tPvRmT2_T3_T4_T5_mT6_T7_P12ihipStream_tbENKUlT_T0_E_clISt17integral_constantIbLb1EES10_IbLb0EEEEDaSW_SX_EUlSW_E_NS1_11comp_targetILNS1_3genE2ELNS1_11target_archE906ELNS1_3gpuE6ELNS1_3repE0EEENS1_30default_config_static_selectorELNS0_4arch9wavefront6targetE1EEEvT1_
	.p2align	8
	.type	_ZN7rocprim17ROCPRIM_400000_NS6detail17trampoline_kernelINS0_14default_configENS1_27scan_by_key_config_selectorIijEEZZNS1_16scan_by_key_implILNS1_25lookback_scan_determinismE0ELb1ES3_N6thrust23THRUST_200600_302600_NS6detail15normal_iteratorINS9_10device_ptrIiEEEENSB_INSC_IjEEEESG_jNS9_4plusIvEENS9_8equal_toIvEEjEE10hipError_tPvRmT2_T3_T4_T5_mT6_T7_P12ihipStream_tbENKUlT_T0_E_clISt17integral_constantIbLb1EES10_IbLb0EEEEDaSW_SX_EUlSW_E_NS1_11comp_targetILNS1_3genE2ELNS1_11target_archE906ELNS1_3gpuE6ELNS1_3repE0EEENS1_30default_config_static_selectorELNS0_4arch9wavefront6targetE1EEEvT1_,@function
_ZN7rocprim17ROCPRIM_400000_NS6detail17trampoline_kernelINS0_14default_configENS1_27scan_by_key_config_selectorIijEEZZNS1_16scan_by_key_implILNS1_25lookback_scan_determinismE0ELb1ES3_N6thrust23THRUST_200600_302600_NS6detail15normal_iteratorINS9_10device_ptrIiEEEENSB_INSC_IjEEEESG_jNS9_4plusIvEENS9_8equal_toIvEEjEE10hipError_tPvRmT2_T3_T4_T5_mT6_T7_P12ihipStream_tbENKUlT_T0_E_clISt17integral_constantIbLb1EES10_IbLb0EEEEDaSW_SX_EUlSW_E_NS1_11comp_targetILNS1_3genE2ELNS1_11target_archE906ELNS1_3gpuE6ELNS1_3repE0EEENS1_30default_config_static_selectorELNS0_4arch9wavefront6targetE1EEEvT1_: ; @_ZN7rocprim17ROCPRIM_400000_NS6detail17trampoline_kernelINS0_14default_configENS1_27scan_by_key_config_selectorIijEEZZNS1_16scan_by_key_implILNS1_25lookback_scan_determinismE0ELb1ES3_N6thrust23THRUST_200600_302600_NS6detail15normal_iteratorINS9_10device_ptrIiEEEENSB_INSC_IjEEEESG_jNS9_4plusIvEENS9_8equal_toIvEEjEE10hipError_tPvRmT2_T3_T4_T5_mT6_T7_P12ihipStream_tbENKUlT_T0_E_clISt17integral_constantIbLb1EES10_IbLb0EEEEDaSW_SX_EUlSW_E_NS1_11comp_targetILNS1_3genE2ELNS1_11target_archE906ELNS1_3gpuE6ELNS1_3repE0EEENS1_30default_config_static_selectorELNS0_4arch9wavefront6targetE1EEEvT1_
; %bb.0:
	.section	.rodata,"a",@progbits
	.p2align	6, 0x0
	.amdhsa_kernel _ZN7rocprim17ROCPRIM_400000_NS6detail17trampoline_kernelINS0_14default_configENS1_27scan_by_key_config_selectorIijEEZZNS1_16scan_by_key_implILNS1_25lookback_scan_determinismE0ELb1ES3_N6thrust23THRUST_200600_302600_NS6detail15normal_iteratorINS9_10device_ptrIiEEEENSB_INSC_IjEEEESG_jNS9_4plusIvEENS9_8equal_toIvEEjEE10hipError_tPvRmT2_T3_T4_T5_mT6_T7_P12ihipStream_tbENKUlT_T0_E_clISt17integral_constantIbLb1EES10_IbLb0EEEEDaSW_SX_EUlSW_E_NS1_11comp_targetILNS1_3genE2ELNS1_11target_archE906ELNS1_3gpuE6ELNS1_3repE0EEENS1_30default_config_static_selectorELNS0_4arch9wavefront6targetE1EEEvT1_
		.amdhsa_group_segment_fixed_size 0
		.amdhsa_private_segment_fixed_size 0
		.amdhsa_kernarg_size 112
		.amdhsa_user_sgpr_count 6
		.amdhsa_user_sgpr_private_segment_buffer 1
		.amdhsa_user_sgpr_dispatch_ptr 0
		.amdhsa_user_sgpr_queue_ptr 0
		.amdhsa_user_sgpr_kernarg_segment_ptr 1
		.amdhsa_user_sgpr_dispatch_id 0
		.amdhsa_user_sgpr_flat_scratch_init 0
		.amdhsa_user_sgpr_kernarg_preload_length 0
		.amdhsa_user_sgpr_kernarg_preload_offset 0
		.amdhsa_user_sgpr_private_segment_size 0
		.amdhsa_uses_dynamic_stack 0
		.amdhsa_system_sgpr_private_segment_wavefront_offset 0
		.amdhsa_system_sgpr_workgroup_id_x 1
		.amdhsa_system_sgpr_workgroup_id_y 0
		.amdhsa_system_sgpr_workgroup_id_z 0
		.amdhsa_system_sgpr_workgroup_info 0
		.amdhsa_system_vgpr_workitem_id 0
		.amdhsa_next_free_vgpr 1
		.amdhsa_next_free_sgpr 0
		.amdhsa_accum_offset 4
		.amdhsa_reserve_vcc 0
		.amdhsa_reserve_flat_scratch 0
		.amdhsa_float_round_mode_32 0
		.amdhsa_float_round_mode_16_64 0
		.amdhsa_float_denorm_mode_32 3
		.amdhsa_float_denorm_mode_16_64 3
		.amdhsa_dx10_clamp 1
		.amdhsa_ieee_mode 1
		.amdhsa_fp16_overflow 0
		.amdhsa_tg_split 0
		.amdhsa_exception_fp_ieee_invalid_op 0
		.amdhsa_exception_fp_denorm_src 0
		.amdhsa_exception_fp_ieee_div_zero 0
		.amdhsa_exception_fp_ieee_overflow 0
		.amdhsa_exception_fp_ieee_underflow 0
		.amdhsa_exception_fp_ieee_inexact 0
		.amdhsa_exception_int_div_zero 0
	.end_amdhsa_kernel
	.section	.text._ZN7rocprim17ROCPRIM_400000_NS6detail17trampoline_kernelINS0_14default_configENS1_27scan_by_key_config_selectorIijEEZZNS1_16scan_by_key_implILNS1_25lookback_scan_determinismE0ELb1ES3_N6thrust23THRUST_200600_302600_NS6detail15normal_iteratorINS9_10device_ptrIiEEEENSB_INSC_IjEEEESG_jNS9_4plusIvEENS9_8equal_toIvEEjEE10hipError_tPvRmT2_T3_T4_T5_mT6_T7_P12ihipStream_tbENKUlT_T0_E_clISt17integral_constantIbLb1EES10_IbLb0EEEEDaSW_SX_EUlSW_E_NS1_11comp_targetILNS1_3genE2ELNS1_11target_archE906ELNS1_3gpuE6ELNS1_3repE0EEENS1_30default_config_static_selectorELNS0_4arch9wavefront6targetE1EEEvT1_,"axG",@progbits,_ZN7rocprim17ROCPRIM_400000_NS6detail17trampoline_kernelINS0_14default_configENS1_27scan_by_key_config_selectorIijEEZZNS1_16scan_by_key_implILNS1_25lookback_scan_determinismE0ELb1ES3_N6thrust23THRUST_200600_302600_NS6detail15normal_iteratorINS9_10device_ptrIiEEEENSB_INSC_IjEEEESG_jNS9_4plusIvEENS9_8equal_toIvEEjEE10hipError_tPvRmT2_T3_T4_T5_mT6_T7_P12ihipStream_tbENKUlT_T0_E_clISt17integral_constantIbLb1EES10_IbLb0EEEEDaSW_SX_EUlSW_E_NS1_11comp_targetILNS1_3genE2ELNS1_11target_archE906ELNS1_3gpuE6ELNS1_3repE0EEENS1_30default_config_static_selectorELNS0_4arch9wavefront6targetE1EEEvT1_,comdat
.Lfunc_end1522:
	.size	_ZN7rocprim17ROCPRIM_400000_NS6detail17trampoline_kernelINS0_14default_configENS1_27scan_by_key_config_selectorIijEEZZNS1_16scan_by_key_implILNS1_25lookback_scan_determinismE0ELb1ES3_N6thrust23THRUST_200600_302600_NS6detail15normal_iteratorINS9_10device_ptrIiEEEENSB_INSC_IjEEEESG_jNS9_4plusIvEENS9_8equal_toIvEEjEE10hipError_tPvRmT2_T3_T4_T5_mT6_T7_P12ihipStream_tbENKUlT_T0_E_clISt17integral_constantIbLb1EES10_IbLb0EEEEDaSW_SX_EUlSW_E_NS1_11comp_targetILNS1_3genE2ELNS1_11target_archE906ELNS1_3gpuE6ELNS1_3repE0EEENS1_30default_config_static_selectorELNS0_4arch9wavefront6targetE1EEEvT1_, .Lfunc_end1522-_ZN7rocprim17ROCPRIM_400000_NS6detail17trampoline_kernelINS0_14default_configENS1_27scan_by_key_config_selectorIijEEZZNS1_16scan_by_key_implILNS1_25lookback_scan_determinismE0ELb1ES3_N6thrust23THRUST_200600_302600_NS6detail15normal_iteratorINS9_10device_ptrIiEEEENSB_INSC_IjEEEESG_jNS9_4plusIvEENS9_8equal_toIvEEjEE10hipError_tPvRmT2_T3_T4_T5_mT6_T7_P12ihipStream_tbENKUlT_T0_E_clISt17integral_constantIbLb1EES10_IbLb0EEEEDaSW_SX_EUlSW_E_NS1_11comp_targetILNS1_3genE2ELNS1_11target_archE906ELNS1_3gpuE6ELNS1_3repE0EEENS1_30default_config_static_selectorELNS0_4arch9wavefront6targetE1EEEvT1_
                                        ; -- End function
	.section	.AMDGPU.csdata,"",@progbits
; Kernel info:
; codeLenInByte = 0
; NumSgprs: 4
; NumVgprs: 0
; NumAgprs: 0
; TotalNumVgprs: 0
; ScratchSize: 0
; MemoryBound: 0
; FloatMode: 240
; IeeeMode: 1
; LDSByteSize: 0 bytes/workgroup (compile time only)
; SGPRBlocks: 0
; VGPRBlocks: 0
; NumSGPRsForWavesPerEU: 4
; NumVGPRsForWavesPerEU: 1
; AccumOffset: 4
; Occupancy: 8
; WaveLimiterHint : 0
; COMPUTE_PGM_RSRC2:SCRATCH_EN: 0
; COMPUTE_PGM_RSRC2:USER_SGPR: 6
; COMPUTE_PGM_RSRC2:TRAP_HANDLER: 0
; COMPUTE_PGM_RSRC2:TGID_X_EN: 1
; COMPUTE_PGM_RSRC2:TGID_Y_EN: 0
; COMPUTE_PGM_RSRC2:TGID_Z_EN: 0
; COMPUTE_PGM_RSRC2:TIDIG_COMP_CNT: 0
; COMPUTE_PGM_RSRC3_GFX90A:ACCUM_OFFSET: 0
; COMPUTE_PGM_RSRC3_GFX90A:TG_SPLIT: 0
	.section	.text._ZN7rocprim17ROCPRIM_400000_NS6detail17trampoline_kernelINS0_14default_configENS1_27scan_by_key_config_selectorIijEEZZNS1_16scan_by_key_implILNS1_25lookback_scan_determinismE0ELb1ES3_N6thrust23THRUST_200600_302600_NS6detail15normal_iteratorINS9_10device_ptrIiEEEENSB_INSC_IjEEEESG_jNS9_4plusIvEENS9_8equal_toIvEEjEE10hipError_tPvRmT2_T3_T4_T5_mT6_T7_P12ihipStream_tbENKUlT_T0_E_clISt17integral_constantIbLb1EES10_IbLb0EEEEDaSW_SX_EUlSW_E_NS1_11comp_targetILNS1_3genE10ELNS1_11target_archE1200ELNS1_3gpuE4ELNS1_3repE0EEENS1_30default_config_static_selectorELNS0_4arch9wavefront6targetE1EEEvT1_,"axG",@progbits,_ZN7rocprim17ROCPRIM_400000_NS6detail17trampoline_kernelINS0_14default_configENS1_27scan_by_key_config_selectorIijEEZZNS1_16scan_by_key_implILNS1_25lookback_scan_determinismE0ELb1ES3_N6thrust23THRUST_200600_302600_NS6detail15normal_iteratorINS9_10device_ptrIiEEEENSB_INSC_IjEEEESG_jNS9_4plusIvEENS9_8equal_toIvEEjEE10hipError_tPvRmT2_T3_T4_T5_mT6_T7_P12ihipStream_tbENKUlT_T0_E_clISt17integral_constantIbLb1EES10_IbLb0EEEEDaSW_SX_EUlSW_E_NS1_11comp_targetILNS1_3genE10ELNS1_11target_archE1200ELNS1_3gpuE4ELNS1_3repE0EEENS1_30default_config_static_selectorELNS0_4arch9wavefront6targetE1EEEvT1_,comdat
	.protected	_ZN7rocprim17ROCPRIM_400000_NS6detail17trampoline_kernelINS0_14default_configENS1_27scan_by_key_config_selectorIijEEZZNS1_16scan_by_key_implILNS1_25lookback_scan_determinismE0ELb1ES3_N6thrust23THRUST_200600_302600_NS6detail15normal_iteratorINS9_10device_ptrIiEEEENSB_INSC_IjEEEESG_jNS9_4plusIvEENS9_8equal_toIvEEjEE10hipError_tPvRmT2_T3_T4_T5_mT6_T7_P12ihipStream_tbENKUlT_T0_E_clISt17integral_constantIbLb1EES10_IbLb0EEEEDaSW_SX_EUlSW_E_NS1_11comp_targetILNS1_3genE10ELNS1_11target_archE1200ELNS1_3gpuE4ELNS1_3repE0EEENS1_30default_config_static_selectorELNS0_4arch9wavefront6targetE1EEEvT1_ ; -- Begin function _ZN7rocprim17ROCPRIM_400000_NS6detail17trampoline_kernelINS0_14default_configENS1_27scan_by_key_config_selectorIijEEZZNS1_16scan_by_key_implILNS1_25lookback_scan_determinismE0ELb1ES3_N6thrust23THRUST_200600_302600_NS6detail15normal_iteratorINS9_10device_ptrIiEEEENSB_INSC_IjEEEESG_jNS9_4plusIvEENS9_8equal_toIvEEjEE10hipError_tPvRmT2_T3_T4_T5_mT6_T7_P12ihipStream_tbENKUlT_T0_E_clISt17integral_constantIbLb1EES10_IbLb0EEEEDaSW_SX_EUlSW_E_NS1_11comp_targetILNS1_3genE10ELNS1_11target_archE1200ELNS1_3gpuE4ELNS1_3repE0EEENS1_30default_config_static_selectorELNS0_4arch9wavefront6targetE1EEEvT1_
	.globl	_ZN7rocprim17ROCPRIM_400000_NS6detail17trampoline_kernelINS0_14default_configENS1_27scan_by_key_config_selectorIijEEZZNS1_16scan_by_key_implILNS1_25lookback_scan_determinismE0ELb1ES3_N6thrust23THRUST_200600_302600_NS6detail15normal_iteratorINS9_10device_ptrIiEEEENSB_INSC_IjEEEESG_jNS9_4plusIvEENS9_8equal_toIvEEjEE10hipError_tPvRmT2_T3_T4_T5_mT6_T7_P12ihipStream_tbENKUlT_T0_E_clISt17integral_constantIbLb1EES10_IbLb0EEEEDaSW_SX_EUlSW_E_NS1_11comp_targetILNS1_3genE10ELNS1_11target_archE1200ELNS1_3gpuE4ELNS1_3repE0EEENS1_30default_config_static_selectorELNS0_4arch9wavefront6targetE1EEEvT1_
	.p2align	8
	.type	_ZN7rocprim17ROCPRIM_400000_NS6detail17trampoline_kernelINS0_14default_configENS1_27scan_by_key_config_selectorIijEEZZNS1_16scan_by_key_implILNS1_25lookback_scan_determinismE0ELb1ES3_N6thrust23THRUST_200600_302600_NS6detail15normal_iteratorINS9_10device_ptrIiEEEENSB_INSC_IjEEEESG_jNS9_4plusIvEENS9_8equal_toIvEEjEE10hipError_tPvRmT2_T3_T4_T5_mT6_T7_P12ihipStream_tbENKUlT_T0_E_clISt17integral_constantIbLb1EES10_IbLb0EEEEDaSW_SX_EUlSW_E_NS1_11comp_targetILNS1_3genE10ELNS1_11target_archE1200ELNS1_3gpuE4ELNS1_3repE0EEENS1_30default_config_static_selectorELNS0_4arch9wavefront6targetE1EEEvT1_,@function
_ZN7rocprim17ROCPRIM_400000_NS6detail17trampoline_kernelINS0_14default_configENS1_27scan_by_key_config_selectorIijEEZZNS1_16scan_by_key_implILNS1_25lookback_scan_determinismE0ELb1ES3_N6thrust23THRUST_200600_302600_NS6detail15normal_iteratorINS9_10device_ptrIiEEEENSB_INSC_IjEEEESG_jNS9_4plusIvEENS9_8equal_toIvEEjEE10hipError_tPvRmT2_T3_T4_T5_mT6_T7_P12ihipStream_tbENKUlT_T0_E_clISt17integral_constantIbLb1EES10_IbLb0EEEEDaSW_SX_EUlSW_E_NS1_11comp_targetILNS1_3genE10ELNS1_11target_archE1200ELNS1_3gpuE4ELNS1_3repE0EEENS1_30default_config_static_selectorELNS0_4arch9wavefront6targetE1EEEvT1_: ; @_ZN7rocprim17ROCPRIM_400000_NS6detail17trampoline_kernelINS0_14default_configENS1_27scan_by_key_config_selectorIijEEZZNS1_16scan_by_key_implILNS1_25lookback_scan_determinismE0ELb1ES3_N6thrust23THRUST_200600_302600_NS6detail15normal_iteratorINS9_10device_ptrIiEEEENSB_INSC_IjEEEESG_jNS9_4plusIvEENS9_8equal_toIvEEjEE10hipError_tPvRmT2_T3_T4_T5_mT6_T7_P12ihipStream_tbENKUlT_T0_E_clISt17integral_constantIbLb1EES10_IbLb0EEEEDaSW_SX_EUlSW_E_NS1_11comp_targetILNS1_3genE10ELNS1_11target_archE1200ELNS1_3gpuE4ELNS1_3repE0EEENS1_30default_config_static_selectorELNS0_4arch9wavefront6targetE1EEEvT1_
; %bb.0:
	.section	.rodata,"a",@progbits
	.p2align	6, 0x0
	.amdhsa_kernel _ZN7rocprim17ROCPRIM_400000_NS6detail17trampoline_kernelINS0_14default_configENS1_27scan_by_key_config_selectorIijEEZZNS1_16scan_by_key_implILNS1_25lookback_scan_determinismE0ELb1ES3_N6thrust23THRUST_200600_302600_NS6detail15normal_iteratorINS9_10device_ptrIiEEEENSB_INSC_IjEEEESG_jNS9_4plusIvEENS9_8equal_toIvEEjEE10hipError_tPvRmT2_T3_T4_T5_mT6_T7_P12ihipStream_tbENKUlT_T0_E_clISt17integral_constantIbLb1EES10_IbLb0EEEEDaSW_SX_EUlSW_E_NS1_11comp_targetILNS1_3genE10ELNS1_11target_archE1200ELNS1_3gpuE4ELNS1_3repE0EEENS1_30default_config_static_selectorELNS0_4arch9wavefront6targetE1EEEvT1_
		.amdhsa_group_segment_fixed_size 0
		.amdhsa_private_segment_fixed_size 0
		.amdhsa_kernarg_size 112
		.amdhsa_user_sgpr_count 6
		.amdhsa_user_sgpr_private_segment_buffer 1
		.amdhsa_user_sgpr_dispatch_ptr 0
		.amdhsa_user_sgpr_queue_ptr 0
		.amdhsa_user_sgpr_kernarg_segment_ptr 1
		.amdhsa_user_sgpr_dispatch_id 0
		.amdhsa_user_sgpr_flat_scratch_init 0
		.amdhsa_user_sgpr_kernarg_preload_length 0
		.amdhsa_user_sgpr_kernarg_preload_offset 0
		.amdhsa_user_sgpr_private_segment_size 0
		.amdhsa_uses_dynamic_stack 0
		.amdhsa_system_sgpr_private_segment_wavefront_offset 0
		.amdhsa_system_sgpr_workgroup_id_x 1
		.amdhsa_system_sgpr_workgroup_id_y 0
		.amdhsa_system_sgpr_workgroup_id_z 0
		.amdhsa_system_sgpr_workgroup_info 0
		.amdhsa_system_vgpr_workitem_id 0
		.amdhsa_next_free_vgpr 1
		.amdhsa_next_free_sgpr 0
		.amdhsa_accum_offset 4
		.amdhsa_reserve_vcc 0
		.amdhsa_reserve_flat_scratch 0
		.amdhsa_float_round_mode_32 0
		.amdhsa_float_round_mode_16_64 0
		.amdhsa_float_denorm_mode_32 3
		.amdhsa_float_denorm_mode_16_64 3
		.amdhsa_dx10_clamp 1
		.amdhsa_ieee_mode 1
		.amdhsa_fp16_overflow 0
		.amdhsa_tg_split 0
		.amdhsa_exception_fp_ieee_invalid_op 0
		.amdhsa_exception_fp_denorm_src 0
		.amdhsa_exception_fp_ieee_div_zero 0
		.amdhsa_exception_fp_ieee_overflow 0
		.amdhsa_exception_fp_ieee_underflow 0
		.amdhsa_exception_fp_ieee_inexact 0
		.amdhsa_exception_int_div_zero 0
	.end_amdhsa_kernel
	.section	.text._ZN7rocprim17ROCPRIM_400000_NS6detail17trampoline_kernelINS0_14default_configENS1_27scan_by_key_config_selectorIijEEZZNS1_16scan_by_key_implILNS1_25lookback_scan_determinismE0ELb1ES3_N6thrust23THRUST_200600_302600_NS6detail15normal_iteratorINS9_10device_ptrIiEEEENSB_INSC_IjEEEESG_jNS9_4plusIvEENS9_8equal_toIvEEjEE10hipError_tPvRmT2_T3_T4_T5_mT6_T7_P12ihipStream_tbENKUlT_T0_E_clISt17integral_constantIbLb1EES10_IbLb0EEEEDaSW_SX_EUlSW_E_NS1_11comp_targetILNS1_3genE10ELNS1_11target_archE1200ELNS1_3gpuE4ELNS1_3repE0EEENS1_30default_config_static_selectorELNS0_4arch9wavefront6targetE1EEEvT1_,"axG",@progbits,_ZN7rocprim17ROCPRIM_400000_NS6detail17trampoline_kernelINS0_14default_configENS1_27scan_by_key_config_selectorIijEEZZNS1_16scan_by_key_implILNS1_25lookback_scan_determinismE0ELb1ES3_N6thrust23THRUST_200600_302600_NS6detail15normal_iteratorINS9_10device_ptrIiEEEENSB_INSC_IjEEEESG_jNS9_4plusIvEENS9_8equal_toIvEEjEE10hipError_tPvRmT2_T3_T4_T5_mT6_T7_P12ihipStream_tbENKUlT_T0_E_clISt17integral_constantIbLb1EES10_IbLb0EEEEDaSW_SX_EUlSW_E_NS1_11comp_targetILNS1_3genE10ELNS1_11target_archE1200ELNS1_3gpuE4ELNS1_3repE0EEENS1_30default_config_static_selectorELNS0_4arch9wavefront6targetE1EEEvT1_,comdat
.Lfunc_end1523:
	.size	_ZN7rocprim17ROCPRIM_400000_NS6detail17trampoline_kernelINS0_14default_configENS1_27scan_by_key_config_selectorIijEEZZNS1_16scan_by_key_implILNS1_25lookback_scan_determinismE0ELb1ES3_N6thrust23THRUST_200600_302600_NS6detail15normal_iteratorINS9_10device_ptrIiEEEENSB_INSC_IjEEEESG_jNS9_4plusIvEENS9_8equal_toIvEEjEE10hipError_tPvRmT2_T3_T4_T5_mT6_T7_P12ihipStream_tbENKUlT_T0_E_clISt17integral_constantIbLb1EES10_IbLb0EEEEDaSW_SX_EUlSW_E_NS1_11comp_targetILNS1_3genE10ELNS1_11target_archE1200ELNS1_3gpuE4ELNS1_3repE0EEENS1_30default_config_static_selectorELNS0_4arch9wavefront6targetE1EEEvT1_, .Lfunc_end1523-_ZN7rocprim17ROCPRIM_400000_NS6detail17trampoline_kernelINS0_14default_configENS1_27scan_by_key_config_selectorIijEEZZNS1_16scan_by_key_implILNS1_25lookback_scan_determinismE0ELb1ES3_N6thrust23THRUST_200600_302600_NS6detail15normal_iteratorINS9_10device_ptrIiEEEENSB_INSC_IjEEEESG_jNS9_4plusIvEENS9_8equal_toIvEEjEE10hipError_tPvRmT2_T3_T4_T5_mT6_T7_P12ihipStream_tbENKUlT_T0_E_clISt17integral_constantIbLb1EES10_IbLb0EEEEDaSW_SX_EUlSW_E_NS1_11comp_targetILNS1_3genE10ELNS1_11target_archE1200ELNS1_3gpuE4ELNS1_3repE0EEENS1_30default_config_static_selectorELNS0_4arch9wavefront6targetE1EEEvT1_
                                        ; -- End function
	.section	.AMDGPU.csdata,"",@progbits
; Kernel info:
; codeLenInByte = 0
; NumSgprs: 4
; NumVgprs: 0
; NumAgprs: 0
; TotalNumVgprs: 0
; ScratchSize: 0
; MemoryBound: 0
; FloatMode: 240
; IeeeMode: 1
; LDSByteSize: 0 bytes/workgroup (compile time only)
; SGPRBlocks: 0
; VGPRBlocks: 0
; NumSGPRsForWavesPerEU: 4
; NumVGPRsForWavesPerEU: 1
; AccumOffset: 4
; Occupancy: 8
; WaveLimiterHint : 0
; COMPUTE_PGM_RSRC2:SCRATCH_EN: 0
; COMPUTE_PGM_RSRC2:USER_SGPR: 6
; COMPUTE_PGM_RSRC2:TRAP_HANDLER: 0
; COMPUTE_PGM_RSRC2:TGID_X_EN: 1
; COMPUTE_PGM_RSRC2:TGID_Y_EN: 0
; COMPUTE_PGM_RSRC2:TGID_Z_EN: 0
; COMPUTE_PGM_RSRC2:TIDIG_COMP_CNT: 0
; COMPUTE_PGM_RSRC3_GFX90A:ACCUM_OFFSET: 0
; COMPUTE_PGM_RSRC3_GFX90A:TG_SPLIT: 0
	.section	.text._ZN7rocprim17ROCPRIM_400000_NS6detail17trampoline_kernelINS0_14default_configENS1_27scan_by_key_config_selectorIijEEZZNS1_16scan_by_key_implILNS1_25lookback_scan_determinismE0ELb1ES3_N6thrust23THRUST_200600_302600_NS6detail15normal_iteratorINS9_10device_ptrIiEEEENSB_INSC_IjEEEESG_jNS9_4plusIvEENS9_8equal_toIvEEjEE10hipError_tPvRmT2_T3_T4_T5_mT6_T7_P12ihipStream_tbENKUlT_T0_E_clISt17integral_constantIbLb1EES10_IbLb0EEEEDaSW_SX_EUlSW_E_NS1_11comp_targetILNS1_3genE9ELNS1_11target_archE1100ELNS1_3gpuE3ELNS1_3repE0EEENS1_30default_config_static_selectorELNS0_4arch9wavefront6targetE1EEEvT1_,"axG",@progbits,_ZN7rocprim17ROCPRIM_400000_NS6detail17trampoline_kernelINS0_14default_configENS1_27scan_by_key_config_selectorIijEEZZNS1_16scan_by_key_implILNS1_25lookback_scan_determinismE0ELb1ES3_N6thrust23THRUST_200600_302600_NS6detail15normal_iteratorINS9_10device_ptrIiEEEENSB_INSC_IjEEEESG_jNS9_4plusIvEENS9_8equal_toIvEEjEE10hipError_tPvRmT2_T3_T4_T5_mT6_T7_P12ihipStream_tbENKUlT_T0_E_clISt17integral_constantIbLb1EES10_IbLb0EEEEDaSW_SX_EUlSW_E_NS1_11comp_targetILNS1_3genE9ELNS1_11target_archE1100ELNS1_3gpuE3ELNS1_3repE0EEENS1_30default_config_static_selectorELNS0_4arch9wavefront6targetE1EEEvT1_,comdat
	.protected	_ZN7rocprim17ROCPRIM_400000_NS6detail17trampoline_kernelINS0_14default_configENS1_27scan_by_key_config_selectorIijEEZZNS1_16scan_by_key_implILNS1_25lookback_scan_determinismE0ELb1ES3_N6thrust23THRUST_200600_302600_NS6detail15normal_iteratorINS9_10device_ptrIiEEEENSB_INSC_IjEEEESG_jNS9_4plusIvEENS9_8equal_toIvEEjEE10hipError_tPvRmT2_T3_T4_T5_mT6_T7_P12ihipStream_tbENKUlT_T0_E_clISt17integral_constantIbLb1EES10_IbLb0EEEEDaSW_SX_EUlSW_E_NS1_11comp_targetILNS1_3genE9ELNS1_11target_archE1100ELNS1_3gpuE3ELNS1_3repE0EEENS1_30default_config_static_selectorELNS0_4arch9wavefront6targetE1EEEvT1_ ; -- Begin function _ZN7rocprim17ROCPRIM_400000_NS6detail17trampoline_kernelINS0_14default_configENS1_27scan_by_key_config_selectorIijEEZZNS1_16scan_by_key_implILNS1_25lookback_scan_determinismE0ELb1ES3_N6thrust23THRUST_200600_302600_NS6detail15normal_iteratorINS9_10device_ptrIiEEEENSB_INSC_IjEEEESG_jNS9_4plusIvEENS9_8equal_toIvEEjEE10hipError_tPvRmT2_T3_T4_T5_mT6_T7_P12ihipStream_tbENKUlT_T0_E_clISt17integral_constantIbLb1EES10_IbLb0EEEEDaSW_SX_EUlSW_E_NS1_11comp_targetILNS1_3genE9ELNS1_11target_archE1100ELNS1_3gpuE3ELNS1_3repE0EEENS1_30default_config_static_selectorELNS0_4arch9wavefront6targetE1EEEvT1_
	.globl	_ZN7rocprim17ROCPRIM_400000_NS6detail17trampoline_kernelINS0_14default_configENS1_27scan_by_key_config_selectorIijEEZZNS1_16scan_by_key_implILNS1_25lookback_scan_determinismE0ELb1ES3_N6thrust23THRUST_200600_302600_NS6detail15normal_iteratorINS9_10device_ptrIiEEEENSB_INSC_IjEEEESG_jNS9_4plusIvEENS9_8equal_toIvEEjEE10hipError_tPvRmT2_T3_T4_T5_mT6_T7_P12ihipStream_tbENKUlT_T0_E_clISt17integral_constantIbLb1EES10_IbLb0EEEEDaSW_SX_EUlSW_E_NS1_11comp_targetILNS1_3genE9ELNS1_11target_archE1100ELNS1_3gpuE3ELNS1_3repE0EEENS1_30default_config_static_selectorELNS0_4arch9wavefront6targetE1EEEvT1_
	.p2align	8
	.type	_ZN7rocprim17ROCPRIM_400000_NS6detail17trampoline_kernelINS0_14default_configENS1_27scan_by_key_config_selectorIijEEZZNS1_16scan_by_key_implILNS1_25lookback_scan_determinismE0ELb1ES3_N6thrust23THRUST_200600_302600_NS6detail15normal_iteratorINS9_10device_ptrIiEEEENSB_INSC_IjEEEESG_jNS9_4plusIvEENS9_8equal_toIvEEjEE10hipError_tPvRmT2_T3_T4_T5_mT6_T7_P12ihipStream_tbENKUlT_T0_E_clISt17integral_constantIbLb1EES10_IbLb0EEEEDaSW_SX_EUlSW_E_NS1_11comp_targetILNS1_3genE9ELNS1_11target_archE1100ELNS1_3gpuE3ELNS1_3repE0EEENS1_30default_config_static_selectorELNS0_4arch9wavefront6targetE1EEEvT1_,@function
_ZN7rocprim17ROCPRIM_400000_NS6detail17trampoline_kernelINS0_14default_configENS1_27scan_by_key_config_selectorIijEEZZNS1_16scan_by_key_implILNS1_25lookback_scan_determinismE0ELb1ES3_N6thrust23THRUST_200600_302600_NS6detail15normal_iteratorINS9_10device_ptrIiEEEENSB_INSC_IjEEEESG_jNS9_4plusIvEENS9_8equal_toIvEEjEE10hipError_tPvRmT2_T3_T4_T5_mT6_T7_P12ihipStream_tbENKUlT_T0_E_clISt17integral_constantIbLb1EES10_IbLb0EEEEDaSW_SX_EUlSW_E_NS1_11comp_targetILNS1_3genE9ELNS1_11target_archE1100ELNS1_3gpuE3ELNS1_3repE0EEENS1_30default_config_static_selectorELNS0_4arch9wavefront6targetE1EEEvT1_: ; @_ZN7rocprim17ROCPRIM_400000_NS6detail17trampoline_kernelINS0_14default_configENS1_27scan_by_key_config_selectorIijEEZZNS1_16scan_by_key_implILNS1_25lookback_scan_determinismE0ELb1ES3_N6thrust23THRUST_200600_302600_NS6detail15normal_iteratorINS9_10device_ptrIiEEEENSB_INSC_IjEEEESG_jNS9_4plusIvEENS9_8equal_toIvEEjEE10hipError_tPvRmT2_T3_T4_T5_mT6_T7_P12ihipStream_tbENKUlT_T0_E_clISt17integral_constantIbLb1EES10_IbLb0EEEEDaSW_SX_EUlSW_E_NS1_11comp_targetILNS1_3genE9ELNS1_11target_archE1100ELNS1_3gpuE3ELNS1_3repE0EEENS1_30default_config_static_selectorELNS0_4arch9wavefront6targetE1EEEvT1_
; %bb.0:
	.section	.rodata,"a",@progbits
	.p2align	6, 0x0
	.amdhsa_kernel _ZN7rocprim17ROCPRIM_400000_NS6detail17trampoline_kernelINS0_14default_configENS1_27scan_by_key_config_selectorIijEEZZNS1_16scan_by_key_implILNS1_25lookback_scan_determinismE0ELb1ES3_N6thrust23THRUST_200600_302600_NS6detail15normal_iteratorINS9_10device_ptrIiEEEENSB_INSC_IjEEEESG_jNS9_4plusIvEENS9_8equal_toIvEEjEE10hipError_tPvRmT2_T3_T4_T5_mT6_T7_P12ihipStream_tbENKUlT_T0_E_clISt17integral_constantIbLb1EES10_IbLb0EEEEDaSW_SX_EUlSW_E_NS1_11comp_targetILNS1_3genE9ELNS1_11target_archE1100ELNS1_3gpuE3ELNS1_3repE0EEENS1_30default_config_static_selectorELNS0_4arch9wavefront6targetE1EEEvT1_
		.amdhsa_group_segment_fixed_size 0
		.amdhsa_private_segment_fixed_size 0
		.amdhsa_kernarg_size 112
		.amdhsa_user_sgpr_count 6
		.amdhsa_user_sgpr_private_segment_buffer 1
		.amdhsa_user_sgpr_dispatch_ptr 0
		.amdhsa_user_sgpr_queue_ptr 0
		.amdhsa_user_sgpr_kernarg_segment_ptr 1
		.amdhsa_user_sgpr_dispatch_id 0
		.amdhsa_user_sgpr_flat_scratch_init 0
		.amdhsa_user_sgpr_kernarg_preload_length 0
		.amdhsa_user_sgpr_kernarg_preload_offset 0
		.amdhsa_user_sgpr_private_segment_size 0
		.amdhsa_uses_dynamic_stack 0
		.amdhsa_system_sgpr_private_segment_wavefront_offset 0
		.amdhsa_system_sgpr_workgroup_id_x 1
		.amdhsa_system_sgpr_workgroup_id_y 0
		.amdhsa_system_sgpr_workgroup_id_z 0
		.amdhsa_system_sgpr_workgroup_info 0
		.amdhsa_system_vgpr_workitem_id 0
		.amdhsa_next_free_vgpr 1
		.amdhsa_next_free_sgpr 0
		.amdhsa_accum_offset 4
		.amdhsa_reserve_vcc 0
		.amdhsa_reserve_flat_scratch 0
		.amdhsa_float_round_mode_32 0
		.amdhsa_float_round_mode_16_64 0
		.amdhsa_float_denorm_mode_32 3
		.amdhsa_float_denorm_mode_16_64 3
		.amdhsa_dx10_clamp 1
		.amdhsa_ieee_mode 1
		.amdhsa_fp16_overflow 0
		.amdhsa_tg_split 0
		.amdhsa_exception_fp_ieee_invalid_op 0
		.amdhsa_exception_fp_denorm_src 0
		.amdhsa_exception_fp_ieee_div_zero 0
		.amdhsa_exception_fp_ieee_overflow 0
		.amdhsa_exception_fp_ieee_underflow 0
		.amdhsa_exception_fp_ieee_inexact 0
		.amdhsa_exception_int_div_zero 0
	.end_amdhsa_kernel
	.section	.text._ZN7rocprim17ROCPRIM_400000_NS6detail17trampoline_kernelINS0_14default_configENS1_27scan_by_key_config_selectorIijEEZZNS1_16scan_by_key_implILNS1_25lookback_scan_determinismE0ELb1ES3_N6thrust23THRUST_200600_302600_NS6detail15normal_iteratorINS9_10device_ptrIiEEEENSB_INSC_IjEEEESG_jNS9_4plusIvEENS9_8equal_toIvEEjEE10hipError_tPvRmT2_T3_T4_T5_mT6_T7_P12ihipStream_tbENKUlT_T0_E_clISt17integral_constantIbLb1EES10_IbLb0EEEEDaSW_SX_EUlSW_E_NS1_11comp_targetILNS1_3genE9ELNS1_11target_archE1100ELNS1_3gpuE3ELNS1_3repE0EEENS1_30default_config_static_selectorELNS0_4arch9wavefront6targetE1EEEvT1_,"axG",@progbits,_ZN7rocprim17ROCPRIM_400000_NS6detail17trampoline_kernelINS0_14default_configENS1_27scan_by_key_config_selectorIijEEZZNS1_16scan_by_key_implILNS1_25lookback_scan_determinismE0ELb1ES3_N6thrust23THRUST_200600_302600_NS6detail15normal_iteratorINS9_10device_ptrIiEEEENSB_INSC_IjEEEESG_jNS9_4plusIvEENS9_8equal_toIvEEjEE10hipError_tPvRmT2_T3_T4_T5_mT6_T7_P12ihipStream_tbENKUlT_T0_E_clISt17integral_constantIbLb1EES10_IbLb0EEEEDaSW_SX_EUlSW_E_NS1_11comp_targetILNS1_3genE9ELNS1_11target_archE1100ELNS1_3gpuE3ELNS1_3repE0EEENS1_30default_config_static_selectorELNS0_4arch9wavefront6targetE1EEEvT1_,comdat
.Lfunc_end1524:
	.size	_ZN7rocprim17ROCPRIM_400000_NS6detail17trampoline_kernelINS0_14default_configENS1_27scan_by_key_config_selectorIijEEZZNS1_16scan_by_key_implILNS1_25lookback_scan_determinismE0ELb1ES3_N6thrust23THRUST_200600_302600_NS6detail15normal_iteratorINS9_10device_ptrIiEEEENSB_INSC_IjEEEESG_jNS9_4plusIvEENS9_8equal_toIvEEjEE10hipError_tPvRmT2_T3_T4_T5_mT6_T7_P12ihipStream_tbENKUlT_T0_E_clISt17integral_constantIbLb1EES10_IbLb0EEEEDaSW_SX_EUlSW_E_NS1_11comp_targetILNS1_3genE9ELNS1_11target_archE1100ELNS1_3gpuE3ELNS1_3repE0EEENS1_30default_config_static_selectorELNS0_4arch9wavefront6targetE1EEEvT1_, .Lfunc_end1524-_ZN7rocprim17ROCPRIM_400000_NS6detail17trampoline_kernelINS0_14default_configENS1_27scan_by_key_config_selectorIijEEZZNS1_16scan_by_key_implILNS1_25lookback_scan_determinismE0ELb1ES3_N6thrust23THRUST_200600_302600_NS6detail15normal_iteratorINS9_10device_ptrIiEEEENSB_INSC_IjEEEESG_jNS9_4plusIvEENS9_8equal_toIvEEjEE10hipError_tPvRmT2_T3_T4_T5_mT6_T7_P12ihipStream_tbENKUlT_T0_E_clISt17integral_constantIbLb1EES10_IbLb0EEEEDaSW_SX_EUlSW_E_NS1_11comp_targetILNS1_3genE9ELNS1_11target_archE1100ELNS1_3gpuE3ELNS1_3repE0EEENS1_30default_config_static_selectorELNS0_4arch9wavefront6targetE1EEEvT1_
                                        ; -- End function
	.section	.AMDGPU.csdata,"",@progbits
; Kernel info:
; codeLenInByte = 0
; NumSgprs: 4
; NumVgprs: 0
; NumAgprs: 0
; TotalNumVgprs: 0
; ScratchSize: 0
; MemoryBound: 0
; FloatMode: 240
; IeeeMode: 1
; LDSByteSize: 0 bytes/workgroup (compile time only)
; SGPRBlocks: 0
; VGPRBlocks: 0
; NumSGPRsForWavesPerEU: 4
; NumVGPRsForWavesPerEU: 1
; AccumOffset: 4
; Occupancy: 8
; WaveLimiterHint : 0
; COMPUTE_PGM_RSRC2:SCRATCH_EN: 0
; COMPUTE_PGM_RSRC2:USER_SGPR: 6
; COMPUTE_PGM_RSRC2:TRAP_HANDLER: 0
; COMPUTE_PGM_RSRC2:TGID_X_EN: 1
; COMPUTE_PGM_RSRC2:TGID_Y_EN: 0
; COMPUTE_PGM_RSRC2:TGID_Z_EN: 0
; COMPUTE_PGM_RSRC2:TIDIG_COMP_CNT: 0
; COMPUTE_PGM_RSRC3_GFX90A:ACCUM_OFFSET: 0
; COMPUTE_PGM_RSRC3_GFX90A:TG_SPLIT: 0
	.section	.text._ZN7rocprim17ROCPRIM_400000_NS6detail17trampoline_kernelINS0_14default_configENS1_27scan_by_key_config_selectorIijEEZZNS1_16scan_by_key_implILNS1_25lookback_scan_determinismE0ELb1ES3_N6thrust23THRUST_200600_302600_NS6detail15normal_iteratorINS9_10device_ptrIiEEEENSB_INSC_IjEEEESG_jNS9_4plusIvEENS9_8equal_toIvEEjEE10hipError_tPvRmT2_T3_T4_T5_mT6_T7_P12ihipStream_tbENKUlT_T0_E_clISt17integral_constantIbLb1EES10_IbLb0EEEEDaSW_SX_EUlSW_E_NS1_11comp_targetILNS1_3genE8ELNS1_11target_archE1030ELNS1_3gpuE2ELNS1_3repE0EEENS1_30default_config_static_selectorELNS0_4arch9wavefront6targetE1EEEvT1_,"axG",@progbits,_ZN7rocprim17ROCPRIM_400000_NS6detail17trampoline_kernelINS0_14default_configENS1_27scan_by_key_config_selectorIijEEZZNS1_16scan_by_key_implILNS1_25lookback_scan_determinismE0ELb1ES3_N6thrust23THRUST_200600_302600_NS6detail15normal_iteratorINS9_10device_ptrIiEEEENSB_INSC_IjEEEESG_jNS9_4plusIvEENS9_8equal_toIvEEjEE10hipError_tPvRmT2_T3_T4_T5_mT6_T7_P12ihipStream_tbENKUlT_T0_E_clISt17integral_constantIbLb1EES10_IbLb0EEEEDaSW_SX_EUlSW_E_NS1_11comp_targetILNS1_3genE8ELNS1_11target_archE1030ELNS1_3gpuE2ELNS1_3repE0EEENS1_30default_config_static_selectorELNS0_4arch9wavefront6targetE1EEEvT1_,comdat
	.protected	_ZN7rocprim17ROCPRIM_400000_NS6detail17trampoline_kernelINS0_14default_configENS1_27scan_by_key_config_selectorIijEEZZNS1_16scan_by_key_implILNS1_25lookback_scan_determinismE0ELb1ES3_N6thrust23THRUST_200600_302600_NS6detail15normal_iteratorINS9_10device_ptrIiEEEENSB_INSC_IjEEEESG_jNS9_4plusIvEENS9_8equal_toIvEEjEE10hipError_tPvRmT2_T3_T4_T5_mT6_T7_P12ihipStream_tbENKUlT_T0_E_clISt17integral_constantIbLb1EES10_IbLb0EEEEDaSW_SX_EUlSW_E_NS1_11comp_targetILNS1_3genE8ELNS1_11target_archE1030ELNS1_3gpuE2ELNS1_3repE0EEENS1_30default_config_static_selectorELNS0_4arch9wavefront6targetE1EEEvT1_ ; -- Begin function _ZN7rocprim17ROCPRIM_400000_NS6detail17trampoline_kernelINS0_14default_configENS1_27scan_by_key_config_selectorIijEEZZNS1_16scan_by_key_implILNS1_25lookback_scan_determinismE0ELb1ES3_N6thrust23THRUST_200600_302600_NS6detail15normal_iteratorINS9_10device_ptrIiEEEENSB_INSC_IjEEEESG_jNS9_4plusIvEENS9_8equal_toIvEEjEE10hipError_tPvRmT2_T3_T4_T5_mT6_T7_P12ihipStream_tbENKUlT_T0_E_clISt17integral_constantIbLb1EES10_IbLb0EEEEDaSW_SX_EUlSW_E_NS1_11comp_targetILNS1_3genE8ELNS1_11target_archE1030ELNS1_3gpuE2ELNS1_3repE0EEENS1_30default_config_static_selectorELNS0_4arch9wavefront6targetE1EEEvT1_
	.globl	_ZN7rocprim17ROCPRIM_400000_NS6detail17trampoline_kernelINS0_14default_configENS1_27scan_by_key_config_selectorIijEEZZNS1_16scan_by_key_implILNS1_25lookback_scan_determinismE0ELb1ES3_N6thrust23THRUST_200600_302600_NS6detail15normal_iteratorINS9_10device_ptrIiEEEENSB_INSC_IjEEEESG_jNS9_4plusIvEENS9_8equal_toIvEEjEE10hipError_tPvRmT2_T3_T4_T5_mT6_T7_P12ihipStream_tbENKUlT_T0_E_clISt17integral_constantIbLb1EES10_IbLb0EEEEDaSW_SX_EUlSW_E_NS1_11comp_targetILNS1_3genE8ELNS1_11target_archE1030ELNS1_3gpuE2ELNS1_3repE0EEENS1_30default_config_static_selectorELNS0_4arch9wavefront6targetE1EEEvT1_
	.p2align	8
	.type	_ZN7rocprim17ROCPRIM_400000_NS6detail17trampoline_kernelINS0_14default_configENS1_27scan_by_key_config_selectorIijEEZZNS1_16scan_by_key_implILNS1_25lookback_scan_determinismE0ELb1ES3_N6thrust23THRUST_200600_302600_NS6detail15normal_iteratorINS9_10device_ptrIiEEEENSB_INSC_IjEEEESG_jNS9_4plusIvEENS9_8equal_toIvEEjEE10hipError_tPvRmT2_T3_T4_T5_mT6_T7_P12ihipStream_tbENKUlT_T0_E_clISt17integral_constantIbLb1EES10_IbLb0EEEEDaSW_SX_EUlSW_E_NS1_11comp_targetILNS1_3genE8ELNS1_11target_archE1030ELNS1_3gpuE2ELNS1_3repE0EEENS1_30default_config_static_selectorELNS0_4arch9wavefront6targetE1EEEvT1_,@function
_ZN7rocprim17ROCPRIM_400000_NS6detail17trampoline_kernelINS0_14default_configENS1_27scan_by_key_config_selectorIijEEZZNS1_16scan_by_key_implILNS1_25lookback_scan_determinismE0ELb1ES3_N6thrust23THRUST_200600_302600_NS6detail15normal_iteratorINS9_10device_ptrIiEEEENSB_INSC_IjEEEESG_jNS9_4plusIvEENS9_8equal_toIvEEjEE10hipError_tPvRmT2_T3_T4_T5_mT6_T7_P12ihipStream_tbENKUlT_T0_E_clISt17integral_constantIbLb1EES10_IbLb0EEEEDaSW_SX_EUlSW_E_NS1_11comp_targetILNS1_3genE8ELNS1_11target_archE1030ELNS1_3gpuE2ELNS1_3repE0EEENS1_30default_config_static_selectorELNS0_4arch9wavefront6targetE1EEEvT1_: ; @_ZN7rocprim17ROCPRIM_400000_NS6detail17trampoline_kernelINS0_14default_configENS1_27scan_by_key_config_selectorIijEEZZNS1_16scan_by_key_implILNS1_25lookback_scan_determinismE0ELb1ES3_N6thrust23THRUST_200600_302600_NS6detail15normal_iteratorINS9_10device_ptrIiEEEENSB_INSC_IjEEEESG_jNS9_4plusIvEENS9_8equal_toIvEEjEE10hipError_tPvRmT2_T3_T4_T5_mT6_T7_P12ihipStream_tbENKUlT_T0_E_clISt17integral_constantIbLb1EES10_IbLb0EEEEDaSW_SX_EUlSW_E_NS1_11comp_targetILNS1_3genE8ELNS1_11target_archE1030ELNS1_3gpuE2ELNS1_3repE0EEENS1_30default_config_static_selectorELNS0_4arch9wavefront6targetE1EEEvT1_
; %bb.0:
	.section	.rodata,"a",@progbits
	.p2align	6, 0x0
	.amdhsa_kernel _ZN7rocprim17ROCPRIM_400000_NS6detail17trampoline_kernelINS0_14default_configENS1_27scan_by_key_config_selectorIijEEZZNS1_16scan_by_key_implILNS1_25lookback_scan_determinismE0ELb1ES3_N6thrust23THRUST_200600_302600_NS6detail15normal_iteratorINS9_10device_ptrIiEEEENSB_INSC_IjEEEESG_jNS9_4plusIvEENS9_8equal_toIvEEjEE10hipError_tPvRmT2_T3_T4_T5_mT6_T7_P12ihipStream_tbENKUlT_T0_E_clISt17integral_constantIbLb1EES10_IbLb0EEEEDaSW_SX_EUlSW_E_NS1_11comp_targetILNS1_3genE8ELNS1_11target_archE1030ELNS1_3gpuE2ELNS1_3repE0EEENS1_30default_config_static_selectorELNS0_4arch9wavefront6targetE1EEEvT1_
		.amdhsa_group_segment_fixed_size 0
		.amdhsa_private_segment_fixed_size 0
		.amdhsa_kernarg_size 112
		.amdhsa_user_sgpr_count 6
		.amdhsa_user_sgpr_private_segment_buffer 1
		.amdhsa_user_sgpr_dispatch_ptr 0
		.amdhsa_user_sgpr_queue_ptr 0
		.amdhsa_user_sgpr_kernarg_segment_ptr 1
		.amdhsa_user_sgpr_dispatch_id 0
		.amdhsa_user_sgpr_flat_scratch_init 0
		.amdhsa_user_sgpr_kernarg_preload_length 0
		.amdhsa_user_sgpr_kernarg_preload_offset 0
		.amdhsa_user_sgpr_private_segment_size 0
		.amdhsa_uses_dynamic_stack 0
		.amdhsa_system_sgpr_private_segment_wavefront_offset 0
		.amdhsa_system_sgpr_workgroup_id_x 1
		.amdhsa_system_sgpr_workgroup_id_y 0
		.amdhsa_system_sgpr_workgroup_id_z 0
		.amdhsa_system_sgpr_workgroup_info 0
		.amdhsa_system_vgpr_workitem_id 0
		.amdhsa_next_free_vgpr 1
		.amdhsa_next_free_sgpr 0
		.amdhsa_accum_offset 4
		.amdhsa_reserve_vcc 0
		.amdhsa_reserve_flat_scratch 0
		.amdhsa_float_round_mode_32 0
		.amdhsa_float_round_mode_16_64 0
		.amdhsa_float_denorm_mode_32 3
		.amdhsa_float_denorm_mode_16_64 3
		.amdhsa_dx10_clamp 1
		.amdhsa_ieee_mode 1
		.amdhsa_fp16_overflow 0
		.amdhsa_tg_split 0
		.amdhsa_exception_fp_ieee_invalid_op 0
		.amdhsa_exception_fp_denorm_src 0
		.amdhsa_exception_fp_ieee_div_zero 0
		.amdhsa_exception_fp_ieee_overflow 0
		.amdhsa_exception_fp_ieee_underflow 0
		.amdhsa_exception_fp_ieee_inexact 0
		.amdhsa_exception_int_div_zero 0
	.end_amdhsa_kernel
	.section	.text._ZN7rocprim17ROCPRIM_400000_NS6detail17trampoline_kernelINS0_14default_configENS1_27scan_by_key_config_selectorIijEEZZNS1_16scan_by_key_implILNS1_25lookback_scan_determinismE0ELb1ES3_N6thrust23THRUST_200600_302600_NS6detail15normal_iteratorINS9_10device_ptrIiEEEENSB_INSC_IjEEEESG_jNS9_4plusIvEENS9_8equal_toIvEEjEE10hipError_tPvRmT2_T3_T4_T5_mT6_T7_P12ihipStream_tbENKUlT_T0_E_clISt17integral_constantIbLb1EES10_IbLb0EEEEDaSW_SX_EUlSW_E_NS1_11comp_targetILNS1_3genE8ELNS1_11target_archE1030ELNS1_3gpuE2ELNS1_3repE0EEENS1_30default_config_static_selectorELNS0_4arch9wavefront6targetE1EEEvT1_,"axG",@progbits,_ZN7rocprim17ROCPRIM_400000_NS6detail17trampoline_kernelINS0_14default_configENS1_27scan_by_key_config_selectorIijEEZZNS1_16scan_by_key_implILNS1_25lookback_scan_determinismE0ELb1ES3_N6thrust23THRUST_200600_302600_NS6detail15normal_iteratorINS9_10device_ptrIiEEEENSB_INSC_IjEEEESG_jNS9_4plusIvEENS9_8equal_toIvEEjEE10hipError_tPvRmT2_T3_T4_T5_mT6_T7_P12ihipStream_tbENKUlT_T0_E_clISt17integral_constantIbLb1EES10_IbLb0EEEEDaSW_SX_EUlSW_E_NS1_11comp_targetILNS1_3genE8ELNS1_11target_archE1030ELNS1_3gpuE2ELNS1_3repE0EEENS1_30default_config_static_selectorELNS0_4arch9wavefront6targetE1EEEvT1_,comdat
.Lfunc_end1525:
	.size	_ZN7rocprim17ROCPRIM_400000_NS6detail17trampoline_kernelINS0_14default_configENS1_27scan_by_key_config_selectorIijEEZZNS1_16scan_by_key_implILNS1_25lookback_scan_determinismE0ELb1ES3_N6thrust23THRUST_200600_302600_NS6detail15normal_iteratorINS9_10device_ptrIiEEEENSB_INSC_IjEEEESG_jNS9_4plusIvEENS9_8equal_toIvEEjEE10hipError_tPvRmT2_T3_T4_T5_mT6_T7_P12ihipStream_tbENKUlT_T0_E_clISt17integral_constantIbLb1EES10_IbLb0EEEEDaSW_SX_EUlSW_E_NS1_11comp_targetILNS1_3genE8ELNS1_11target_archE1030ELNS1_3gpuE2ELNS1_3repE0EEENS1_30default_config_static_selectorELNS0_4arch9wavefront6targetE1EEEvT1_, .Lfunc_end1525-_ZN7rocprim17ROCPRIM_400000_NS6detail17trampoline_kernelINS0_14default_configENS1_27scan_by_key_config_selectorIijEEZZNS1_16scan_by_key_implILNS1_25lookback_scan_determinismE0ELb1ES3_N6thrust23THRUST_200600_302600_NS6detail15normal_iteratorINS9_10device_ptrIiEEEENSB_INSC_IjEEEESG_jNS9_4plusIvEENS9_8equal_toIvEEjEE10hipError_tPvRmT2_T3_T4_T5_mT6_T7_P12ihipStream_tbENKUlT_T0_E_clISt17integral_constantIbLb1EES10_IbLb0EEEEDaSW_SX_EUlSW_E_NS1_11comp_targetILNS1_3genE8ELNS1_11target_archE1030ELNS1_3gpuE2ELNS1_3repE0EEENS1_30default_config_static_selectorELNS0_4arch9wavefront6targetE1EEEvT1_
                                        ; -- End function
	.section	.AMDGPU.csdata,"",@progbits
; Kernel info:
; codeLenInByte = 0
; NumSgprs: 4
; NumVgprs: 0
; NumAgprs: 0
; TotalNumVgprs: 0
; ScratchSize: 0
; MemoryBound: 0
; FloatMode: 240
; IeeeMode: 1
; LDSByteSize: 0 bytes/workgroup (compile time only)
; SGPRBlocks: 0
; VGPRBlocks: 0
; NumSGPRsForWavesPerEU: 4
; NumVGPRsForWavesPerEU: 1
; AccumOffset: 4
; Occupancy: 8
; WaveLimiterHint : 0
; COMPUTE_PGM_RSRC2:SCRATCH_EN: 0
; COMPUTE_PGM_RSRC2:USER_SGPR: 6
; COMPUTE_PGM_RSRC2:TRAP_HANDLER: 0
; COMPUTE_PGM_RSRC2:TGID_X_EN: 1
; COMPUTE_PGM_RSRC2:TGID_Y_EN: 0
; COMPUTE_PGM_RSRC2:TGID_Z_EN: 0
; COMPUTE_PGM_RSRC2:TIDIG_COMP_CNT: 0
; COMPUTE_PGM_RSRC3_GFX90A:ACCUM_OFFSET: 0
; COMPUTE_PGM_RSRC3_GFX90A:TG_SPLIT: 0
	.section	.text._ZN7rocprim17ROCPRIM_400000_NS6detail17trampoline_kernelINS0_14default_configENS1_27scan_by_key_config_selectorIijEEZZNS1_16scan_by_key_implILNS1_25lookback_scan_determinismE0ELb1ES3_N6thrust23THRUST_200600_302600_NS6detail15normal_iteratorINS9_10device_ptrIiEEEENSB_INSC_IjEEEESG_jNS9_4plusIvEENS9_8equal_toIvEEjEE10hipError_tPvRmT2_T3_T4_T5_mT6_T7_P12ihipStream_tbENKUlT_T0_E_clISt17integral_constantIbLb0EES10_IbLb1EEEEDaSW_SX_EUlSW_E_NS1_11comp_targetILNS1_3genE0ELNS1_11target_archE4294967295ELNS1_3gpuE0ELNS1_3repE0EEENS1_30default_config_static_selectorELNS0_4arch9wavefront6targetE1EEEvT1_,"axG",@progbits,_ZN7rocprim17ROCPRIM_400000_NS6detail17trampoline_kernelINS0_14default_configENS1_27scan_by_key_config_selectorIijEEZZNS1_16scan_by_key_implILNS1_25lookback_scan_determinismE0ELb1ES3_N6thrust23THRUST_200600_302600_NS6detail15normal_iteratorINS9_10device_ptrIiEEEENSB_INSC_IjEEEESG_jNS9_4plusIvEENS9_8equal_toIvEEjEE10hipError_tPvRmT2_T3_T4_T5_mT6_T7_P12ihipStream_tbENKUlT_T0_E_clISt17integral_constantIbLb0EES10_IbLb1EEEEDaSW_SX_EUlSW_E_NS1_11comp_targetILNS1_3genE0ELNS1_11target_archE4294967295ELNS1_3gpuE0ELNS1_3repE0EEENS1_30default_config_static_selectorELNS0_4arch9wavefront6targetE1EEEvT1_,comdat
	.protected	_ZN7rocprim17ROCPRIM_400000_NS6detail17trampoline_kernelINS0_14default_configENS1_27scan_by_key_config_selectorIijEEZZNS1_16scan_by_key_implILNS1_25lookback_scan_determinismE0ELb1ES3_N6thrust23THRUST_200600_302600_NS6detail15normal_iteratorINS9_10device_ptrIiEEEENSB_INSC_IjEEEESG_jNS9_4plusIvEENS9_8equal_toIvEEjEE10hipError_tPvRmT2_T3_T4_T5_mT6_T7_P12ihipStream_tbENKUlT_T0_E_clISt17integral_constantIbLb0EES10_IbLb1EEEEDaSW_SX_EUlSW_E_NS1_11comp_targetILNS1_3genE0ELNS1_11target_archE4294967295ELNS1_3gpuE0ELNS1_3repE0EEENS1_30default_config_static_selectorELNS0_4arch9wavefront6targetE1EEEvT1_ ; -- Begin function _ZN7rocprim17ROCPRIM_400000_NS6detail17trampoline_kernelINS0_14default_configENS1_27scan_by_key_config_selectorIijEEZZNS1_16scan_by_key_implILNS1_25lookback_scan_determinismE0ELb1ES3_N6thrust23THRUST_200600_302600_NS6detail15normal_iteratorINS9_10device_ptrIiEEEENSB_INSC_IjEEEESG_jNS9_4plusIvEENS9_8equal_toIvEEjEE10hipError_tPvRmT2_T3_T4_T5_mT6_T7_P12ihipStream_tbENKUlT_T0_E_clISt17integral_constantIbLb0EES10_IbLb1EEEEDaSW_SX_EUlSW_E_NS1_11comp_targetILNS1_3genE0ELNS1_11target_archE4294967295ELNS1_3gpuE0ELNS1_3repE0EEENS1_30default_config_static_selectorELNS0_4arch9wavefront6targetE1EEEvT1_
	.globl	_ZN7rocprim17ROCPRIM_400000_NS6detail17trampoline_kernelINS0_14default_configENS1_27scan_by_key_config_selectorIijEEZZNS1_16scan_by_key_implILNS1_25lookback_scan_determinismE0ELb1ES3_N6thrust23THRUST_200600_302600_NS6detail15normal_iteratorINS9_10device_ptrIiEEEENSB_INSC_IjEEEESG_jNS9_4plusIvEENS9_8equal_toIvEEjEE10hipError_tPvRmT2_T3_T4_T5_mT6_T7_P12ihipStream_tbENKUlT_T0_E_clISt17integral_constantIbLb0EES10_IbLb1EEEEDaSW_SX_EUlSW_E_NS1_11comp_targetILNS1_3genE0ELNS1_11target_archE4294967295ELNS1_3gpuE0ELNS1_3repE0EEENS1_30default_config_static_selectorELNS0_4arch9wavefront6targetE1EEEvT1_
	.p2align	8
	.type	_ZN7rocprim17ROCPRIM_400000_NS6detail17trampoline_kernelINS0_14default_configENS1_27scan_by_key_config_selectorIijEEZZNS1_16scan_by_key_implILNS1_25lookback_scan_determinismE0ELb1ES3_N6thrust23THRUST_200600_302600_NS6detail15normal_iteratorINS9_10device_ptrIiEEEENSB_INSC_IjEEEESG_jNS9_4plusIvEENS9_8equal_toIvEEjEE10hipError_tPvRmT2_T3_T4_T5_mT6_T7_P12ihipStream_tbENKUlT_T0_E_clISt17integral_constantIbLb0EES10_IbLb1EEEEDaSW_SX_EUlSW_E_NS1_11comp_targetILNS1_3genE0ELNS1_11target_archE4294967295ELNS1_3gpuE0ELNS1_3repE0EEENS1_30default_config_static_selectorELNS0_4arch9wavefront6targetE1EEEvT1_,@function
_ZN7rocprim17ROCPRIM_400000_NS6detail17trampoline_kernelINS0_14default_configENS1_27scan_by_key_config_selectorIijEEZZNS1_16scan_by_key_implILNS1_25lookback_scan_determinismE0ELb1ES3_N6thrust23THRUST_200600_302600_NS6detail15normal_iteratorINS9_10device_ptrIiEEEENSB_INSC_IjEEEESG_jNS9_4plusIvEENS9_8equal_toIvEEjEE10hipError_tPvRmT2_T3_T4_T5_mT6_T7_P12ihipStream_tbENKUlT_T0_E_clISt17integral_constantIbLb0EES10_IbLb1EEEEDaSW_SX_EUlSW_E_NS1_11comp_targetILNS1_3genE0ELNS1_11target_archE4294967295ELNS1_3gpuE0ELNS1_3repE0EEENS1_30default_config_static_selectorELNS0_4arch9wavefront6targetE1EEEvT1_: ; @_ZN7rocprim17ROCPRIM_400000_NS6detail17trampoline_kernelINS0_14default_configENS1_27scan_by_key_config_selectorIijEEZZNS1_16scan_by_key_implILNS1_25lookback_scan_determinismE0ELb1ES3_N6thrust23THRUST_200600_302600_NS6detail15normal_iteratorINS9_10device_ptrIiEEEENSB_INSC_IjEEEESG_jNS9_4plusIvEENS9_8equal_toIvEEjEE10hipError_tPvRmT2_T3_T4_T5_mT6_T7_P12ihipStream_tbENKUlT_T0_E_clISt17integral_constantIbLb0EES10_IbLb1EEEEDaSW_SX_EUlSW_E_NS1_11comp_targetILNS1_3genE0ELNS1_11target_archE4294967295ELNS1_3gpuE0ELNS1_3repE0EEENS1_30default_config_static_selectorELNS0_4arch9wavefront6targetE1EEEvT1_
; %bb.0:
	.section	.rodata,"a",@progbits
	.p2align	6, 0x0
	.amdhsa_kernel _ZN7rocprim17ROCPRIM_400000_NS6detail17trampoline_kernelINS0_14default_configENS1_27scan_by_key_config_selectorIijEEZZNS1_16scan_by_key_implILNS1_25lookback_scan_determinismE0ELb1ES3_N6thrust23THRUST_200600_302600_NS6detail15normal_iteratorINS9_10device_ptrIiEEEENSB_INSC_IjEEEESG_jNS9_4plusIvEENS9_8equal_toIvEEjEE10hipError_tPvRmT2_T3_T4_T5_mT6_T7_P12ihipStream_tbENKUlT_T0_E_clISt17integral_constantIbLb0EES10_IbLb1EEEEDaSW_SX_EUlSW_E_NS1_11comp_targetILNS1_3genE0ELNS1_11target_archE4294967295ELNS1_3gpuE0ELNS1_3repE0EEENS1_30default_config_static_selectorELNS0_4arch9wavefront6targetE1EEEvT1_
		.amdhsa_group_segment_fixed_size 0
		.amdhsa_private_segment_fixed_size 0
		.amdhsa_kernarg_size 112
		.amdhsa_user_sgpr_count 6
		.amdhsa_user_sgpr_private_segment_buffer 1
		.amdhsa_user_sgpr_dispatch_ptr 0
		.amdhsa_user_sgpr_queue_ptr 0
		.amdhsa_user_sgpr_kernarg_segment_ptr 1
		.amdhsa_user_sgpr_dispatch_id 0
		.amdhsa_user_sgpr_flat_scratch_init 0
		.amdhsa_user_sgpr_kernarg_preload_length 0
		.amdhsa_user_sgpr_kernarg_preload_offset 0
		.amdhsa_user_sgpr_private_segment_size 0
		.amdhsa_uses_dynamic_stack 0
		.amdhsa_system_sgpr_private_segment_wavefront_offset 0
		.amdhsa_system_sgpr_workgroup_id_x 1
		.amdhsa_system_sgpr_workgroup_id_y 0
		.amdhsa_system_sgpr_workgroup_id_z 0
		.amdhsa_system_sgpr_workgroup_info 0
		.amdhsa_system_vgpr_workitem_id 0
		.amdhsa_next_free_vgpr 1
		.amdhsa_next_free_sgpr 0
		.amdhsa_accum_offset 4
		.amdhsa_reserve_vcc 0
		.amdhsa_reserve_flat_scratch 0
		.amdhsa_float_round_mode_32 0
		.amdhsa_float_round_mode_16_64 0
		.amdhsa_float_denorm_mode_32 3
		.amdhsa_float_denorm_mode_16_64 3
		.amdhsa_dx10_clamp 1
		.amdhsa_ieee_mode 1
		.amdhsa_fp16_overflow 0
		.amdhsa_tg_split 0
		.amdhsa_exception_fp_ieee_invalid_op 0
		.amdhsa_exception_fp_denorm_src 0
		.amdhsa_exception_fp_ieee_div_zero 0
		.amdhsa_exception_fp_ieee_overflow 0
		.amdhsa_exception_fp_ieee_underflow 0
		.amdhsa_exception_fp_ieee_inexact 0
		.amdhsa_exception_int_div_zero 0
	.end_amdhsa_kernel
	.section	.text._ZN7rocprim17ROCPRIM_400000_NS6detail17trampoline_kernelINS0_14default_configENS1_27scan_by_key_config_selectorIijEEZZNS1_16scan_by_key_implILNS1_25lookback_scan_determinismE0ELb1ES3_N6thrust23THRUST_200600_302600_NS6detail15normal_iteratorINS9_10device_ptrIiEEEENSB_INSC_IjEEEESG_jNS9_4plusIvEENS9_8equal_toIvEEjEE10hipError_tPvRmT2_T3_T4_T5_mT6_T7_P12ihipStream_tbENKUlT_T0_E_clISt17integral_constantIbLb0EES10_IbLb1EEEEDaSW_SX_EUlSW_E_NS1_11comp_targetILNS1_3genE0ELNS1_11target_archE4294967295ELNS1_3gpuE0ELNS1_3repE0EEENS1_30default_config_static_selectorELNS0_4arch9wavefront6targetE1EEEvT1_,"axG",@progbits,_ZN7rocprim17ROCPRIM_400000_NS6detail17trampoline_kernelINS0_14default_configENS1_27scan_by_key_config_selectorIijEEZZNS1_16scan_by_key_implILNS1_25lookback_scan_determinismE0ELb1ES3_N6thrust23THRUST_200600_302600_NS6detail15normal_iteratorINS9_10device_ptrIiEEEENSB_INSC_IjEEEESG_jNS9_4plusIvEENS9_8equal_toIvEEjEE10hipError_tPvRmT2_T3_T4_T5_mT6_T7_P12ihipStream_tbENKUlT_T0_E_clISt17integral_constantIbLb0EES10_IbLb1EEEEDaSW_SX_EUlSW_E_NS1_11comp_targetILNS1_3genE0ELNS1_11target_archE4294967295ELNS1_3gpuE0ELNS1_3repE0EEENS1_30default_config_static_selectorELNS0_4arch9wavefront6targetE1EEEvT1_,comdat
.Lfunc_end1526:
	.size	_ZN7rocprim17ROCPRIM_400000_NS6detail17trampoline_kernelINS0_14default_configENS1_27scan_by_key_config_selectorIijEEZZNS1_16scan_by_key_implILNS1_25lookback_scan_determinismE0ELb1ES3_N6thrust23THRUST_200600_302600_NS6detail15normal_iteratorINS9_10device_ptrIiEEEENSB_INSC_IjEEEESG_jNS9_4plusIvEENS9_8equal_toIvEEjEE10hipError_tPvRmT2_T3_T4_T5_mT6_T7_P12ihipStream_tbENKUlT_T0_E_clISt17integral_constantIbLb0EES10_IbLb1EEEEDaSW_SX_EUlSW_E_NS1_11comp_targetILNS1_3genE0ELNS1_11target_archE4294967295ELNS1_3gpuE0ELNS1_3repE0EEENS1_30default_config_static_selectorELNS0_4arch9wavefront6targetE1EEEvT1_, .Lfunc_end1526-_ZN7rocprim17ROCPRIM_400000_NS6detail17trampoline_kernelINS0_14default_configENS1_27scan_by_key_config_selectorIijEEZZNS1_16scan_by_key_implILNS1_25lookback_scan_determinismE0ELb1ES3_N6thrust23THRUST_200600_302600_NS6detail15normal_iteratorINS9_10device_ptrIiEEEENSB_INSC_IjEEEESG_jNS9_4plusIvEENS9_8equal_toIvEEjEE10hipError_tPvRmT2_T3_T4_T5_mT6_T7_P12ihipStream_tbENKUlT_T0_E_clISt17integral_constantIbLb0EES10_IbLb1EEEEDaSW_SX_EUlSW_E_NS1_11comp_targetILNS1_3genE0ELNS1_11target_archE4294967295ELNS1_3gpuE0ELNS1_3repE0EEENS1_30default_config_static_selectorELNS0_4arch9wavefront6targetE1EEEvT1_
                                        ; -- End function
	.section	.AMDGPU.csdata,"",@progbits
; Kernel info:
; codeLenInByte = 0
; NumSgprs: 4
; NumVgprs: 0
; NumAgprs: 0
; TotalNumVgprs: 0
; ScratchSize: 0
; MemoryBound: 0
; FloatMode: 240
; IeeeMode: 1
; LDSByteSize: 0 bytes/workgroup (compile time only)
; SGPRBlocks: 0
; VGPRBlocks: 0
; NumSGPRsForWavesPerEU: 4
; NumVGPRsForWavesPerEU: 1
; AccumOffset: 4
; Occupancy: 8
; WaveLimiterHint : 0
; COMPUTE_PGM_RSRC2:SCRATCH_EN: 0
; COMPUTE_PGM_RSRC2:USER_SGPR: 6
; COMPUTE_PGM_RSRC2:TRAP_HANDLER: 0
; COMPUTE_PGM_RSRC2:TGID_X_EN: 1
; COMPUTE_PGM_RSRC2:TGID_Y_EN: 0
; COMPUTE_PGM_RSRC2:TGID_Z_EN: 0
; COMPUTE_PGM_RSRC2:TIDIG_COMP_CNT: 0
; COMPUTE_PGM_RSRC3_GFX90A:ACCUM_OFFSET: 0
; COMPUTE_PGM_RSRC3_GFX90A:TG_SPLIT: 0
	.section	.text._ZN7rocprim17ROCPRIM_400000_NS6detail17trampoline_kernelINS0_14default_configENS1_27scan_by_key_config_selectorIijEEZZNS1_16scan_by_key_implILNS1_25lookback_scan_determinismE0ELb1ES3_N6thrust23THRUST_200600_302600_NS6detail15normal_iteratorINS9_10device_ptrIiEEEENSB_INSC_IjEEEESG_jNS9_4plusIvEENS9_8equal_toIvEEjEE10hipError_tPvRmT2_T3_T4_T5_mT6_T7_P12ihipStream_tbENKUlT_T0_E_clISt17integral_constantIbLb0EES10_IbLb1EEEEDaSW_SX_EUlSW_E_NS1_11comp_targetILNS1_3genE10ELNS1_11target_archE1201ELNS1_3gpuE5ELNS1_3repE0EEENS1_30default_config_static_selectorELNS0_4arch9wavefront6targetE1EEEvT1_,"axG",@progbits,_ZN7rocprim17ROCPRIM_400000_NS6detail17trampoline_kernelINS0_14default_configENS1_27scan_by_key_config_selectorIijEEZZNS1_16scan_by_key_implILNS1_25lookback_scan_determinismE0ELb1ES3_N6thrust23THRUST_200600_302600_NS6detail15normal_iteratorINS9_10device_ptrIiEEEENSB_INSC_IjEEEESG_jNS9_4plusIvEENS9_8equal_toIvEEjEE10hipError_tPvRmT2_T3_T4_T5_mT6_T7_P12ihipStream_tbENKUlT_T0_E_clISt17integral_constantIbLb0EES10_IbLb1EEEEDaSW_SX_EUlSW_E_NS1_11comp_targetILNS1_3genE10ELNS1_11target_archE1201ELNS1_3gpuE5ELNS1_3repE0EEENS1_30default_config_static_selectorELNS0_4arch9wavefront6targetE1EEEvT1_,comdat
	.protected	_ZN7rocprim17ROCPRIM_400000_NS6detail17trampoline_kernelINS0_14default_configENS1_27scan_by_key_config_selectorIijEEZZNS1_16scan_by_key_implILNS1_25lookback_scan_determinismE0ELb1ES3_N6thrust23THRUST_200600_302600_NS6detail15normal_iteratorINS9_10device_ptrIiEEEENSB_INSC_IjEEEESG_jNS9_4plusIvEENS9_8equal_toIvEEjEE10hipError_tPvRmT2_T3_T4_T5_mT6_T7_P12ihipStream_tbENKUlT_T0_E_clISt17integral_constantIbLb0EES10_IbLb1EEEEDaSW_SX_EUlSW_E_NS1_11comp_targetILNS1_3genE10ELNS1_11target_archE1201ELNS1_3gpuE5ELNS1_3repE0EEENS1_30default_config_static_selectorELNS0_4arch9wavefront6targetE1EEEvT1_ ; -- Begin function _ZN7rocprim17ROCPRIM_400000_NS6detail17trampoline_kernelINS0_14default_configENS1_27scan_by_key_config_selectorIijEEZZNS1_16scan_by_key_implILNS1_25lookback_scan_determinismE0ELb1ES3_N6thrust23THRUST_200600_302600_NS6detail15normal_iteratorINS9_10device_ptrIiEEEENSB_INSC_IjEEEESG_jNS9_4plusIvEENS9_8equal_toIvEEjEE10hipError_tPvRmT2_T3_T4_T5_mT6_T7_P12ihipStream_tbENKUlT_T0_E_clISt17integral_constantIbLb0EES10_IbLb1EEEEDaSW_SX_EUlSW_E_NS1_11comp_targetILNS1_3genE10ELNS1_11target_archE1201ELNS1_3gpuE5ELNS1_3repE0EEENS1_30default_config_static_selectorELNS0_4arch9wavefront6targetE1EEEvT1_
	.globl	_ZN7rocprim17ROCPRIM_400000_NS6detail17trampoline_kernelINS0_14default_configENS1_27scan_by_key_config_selectorIijEEZZNS1_16scan_by_key_implILNS1_25lookback_scan_determinismE0ELb1ES3_N6thrust23THRUST_200600_302600_NS6detail15normal_iteratorINS9_10device_ptrIiEEEENSB_INSC_IjEEEESG_jNS9_4plusIvEENS9_8equal_toIvEEjEE10hipError_tPvRmT2_T3_T4_T5_mT6_T7_P12ihipStream_tbENKUlT_T0_E_clISt17integral_constantIbLb0EES10_IbLb1EEEEDaSW_SX_EUlSW_E_NS1_11comp_targetILNS1_3genE10ELNS1_11target_archE1201ELNS1_3gpuE5ELNS1_3repE0EEENS1_30default_config_static_selectorELNS0_4arch9wavefront6targetE1EEEvT1_
	.p2align	8
	.type	_ZN7rocprim17ROCPRIM_400000_NS6detail17trampoline_kernelINS0_14default_configENS1_27scan_by_key_config_selectorIijEEZZNS1_16scan_by_key_implILNS1_25lookback_scan_determinismE0ELb1ES3_N6thrust23THRUST_200600_302600_NS6detail15normal_iteratorINS9_10device_ptrIiEEEENSB_INSC_IjEEEESG_jNS9_4plusIvEENS9_8equal_toIvEEjEE10hipError_tPvRmT2_T3_T4_T5_mT6_T7_P12ihipStream_tbENKUlT_T0_E_clISt17integral_constantIbLb0EES10_IbLb1EEEEDaSW_SX_EUlSW_E_NS1_11comp_targetILNS1_3genE10ELNS1_11target_archE1201ELNS1_3gpuE5ELNS1_3repE0EEENS1_30default_config_static_selectorELNS0_4arch9wavefront6targetE1EEEvT1_,@function
_ZN7rocprim17ROCPRIM_400000_NS6detail17trampoline_kernelINS0_14default_configENS1_27scan_by_key_config_selectorIijEEZZNS1_16scan_by_key_implILNS1_25lookback_scan_determinismE0ELb1ES3_N6thrust23THRUST_200600_302600_NS6detail15normal_iteratorINS9_10device_ptrIiEEEENSB_INSC_IjEEEESG_jNS9_4plusIvEENS9_8equal_toIvEEjEE10hipError_tPvRmT2_T3_T4_T5_mT6_T7_P12ihipStream_tbENKUlT_T0_E_clISt17integral_constantIbLb0EES10_IbLb1EEEEDaSW_SX_EUlSW_E_NS1_11comp_targetILNS1_3genE10ELNS1_11target_archE1201ELNS1_3gpuE5ELNS1_3repE0EEENS1_30default_config_static_selectorELNS0_4arch9wavefront6targetE1EEEvT1_: ; @_ZN7rocprim17ROCPRIM_400000_NS6detail17trampoline_kernelINS0_14default_configENS1_27scan_by_key_config_selectorIijEEZZNS1_16scan_by_key_implILNS1_25lookback_scan_determinismE0ELb1ES3_N6thrust23THRUST_200600_302600_NS6detail15normal_iteratorINS9_10device_ptrIiEEEENSB_INSC_IjEEEESG_jNS9_4plusIvEENS9_8equal_toIvEEjEE10hipError_tPvRmT2_T3_T4_T5_mT6_T7_P12ihipStream_tbENKUlT_T0_E_clISt17integral_constantIbLb0EES10_IbLb1EEEEDaSW_SX_EUlSW_E_NS1_11comp_targetILNS1_3genE10ELNS1_11target_archE1201ELNS1_3gpuE5ELNS1_3repE0EEENS1_30default_config_static_selectorELNS0_4arch9wavefront6targetE1EEEvT1_
; %bb.0:
	.section	.rodata,"a",@progbits
	.p2align	6, 0x0
	.amdhsa_kernel _ZN7rocprim17ROCPRIM_400000_NS6detail17trampoline_kernelINS0_14default_configENS1_27scan_by_key_config_selectorIijEEZZNS1_16scan_by_key_implILNS1_25lookback_scan_determinismE0ELb1ES3_N6thrust23THRUST_200600_302600_NS6detail15normal_iteratorINS9_10device_ptrIiEEEENSB_INSC_IjEEEESG_jNS9_4plusIvEENS9_8equal_toIvEEjEE10hipError_tPvRmT2_T3_T4_T5_mT6_T7_P12ihipStream_tbENKUlT_T0_E_clISt17integral_constantIbLb0EES10_IbLb1EEEEDaSW_SX_EUlSW_E_NS1_11comp_targetILNS1_3genE10ELNS1_11target_archE1201ELNS1_3gpuE5ELNS1_3repE0EEENS1_30default_config_static_selectorELNS0_4arch9wavefront6targetE1EEEvT1_
		.amdhsa_group_segment_fixed_size 0
		.amdhsa_private_segment_fixed_size 0
		.amdhsa_kernarg_size 112
		.amdhsa_user_sgpr_count 6
		.amdhsa_user_sgpr_private_segment_buffer 1
		.amdhsa_user_sgpr_dispatch_ptr 0
		.amdhsa_user_sgpr_queue_ptr 0
		.amdhsa_user_sgpr_kernarg_segment_ptr 1
		.amdhsa_user_sgpr_dispatch_id 0
		.amdhsa_user_sgpr_flat_scratch_init 0
		.amdhsa_user_sgpr_kernarg_preload_length 0
		.amdhsa_user_sgpr_kernarg_preload_offset 0
		.amdhsa_user_sgpr_private_segment_size 0
		.amdhsa_uses_dynamic_stack 0
		.amdhsa_system_sgpr_private_segment_wavefront_offset 0
		.amdhsa_system_sgpr_workgroup_id_x 1
		.amdhsa_system_sgpr_workgroup_id_y 0
		.amdhsa_system_sgpr_workgroup_id_z 0
		.amdhsa_system_sgpr_workgroup_info 0
		.amdhsa_system_vgpr_workitem_id 0
		.amdhsa_next_free_vgpr 1
		.amdhsa_next_free_sgpr 0
		.amdhsa_accum_offset 4
		.amdhsa_reserve_vcc 0
		.amdhsa_reserve_flat_scratch 0
		.amdhsa_float_round_mode_32 0
		.amdhsa_float_round_mode_16_64 0
		.amdhsa_float_denorm_mode_32 3
		.amdhsa_float_denorm_mode_16_64 3
		.amdhsa_dx10_clamp 1
		.amdhsa_ieee_mode 1
		.amdhsa_fp16_overflow 0
		.amdhsa_tg_split 0
		.amdhsa_exception_fp_ieee_invalid_op 0
		.amdhsa_exception_fp_denorm_src 0
		.amdhsa_exception_fp_ieee_div_zero 0
		.amdhsa_exception_fp_ieee_overflow 0
		.amdhsa_exception_fp_ieee_underflow 0
		.amdhsa_exception_fp_ieee_inexact 0
		.amdhsa_exception_int_div_zero 0
	.end_amdhsa_kernel
	.section	.text._ZN7rocprim17ROCPRIM_400000_NS6detail17trampoline_kernelINS0_14default_configENS1_27scan_by_key_config_selectorIijEEZZNS1_16scan_by_key_implILNS1_25lookback_scan_determinismE0ELb1ES3_N6thrust23THRUST_200600_302600_NS6detail15normal_iteratorINS9_10device_ptrIiEEEENSB_INSC_IjEEEESG_jNS9_4plusIvEENS9_8equal_toIvEEjEE10hipError_tPvRmT2_T3_T4_T5_mT6_T7_P12ihipStream_tbENKUlT_T0_E_clISt17integral_constantIbLb0EES10_IbLb1EEEEDaSW_SX_EUlSW_E_NS1_11comp_targetILNS1_3genE10ELNS1_11target_archE1201ELNS1_3gpuE5ELNS1_3repE0EEENS1_30default_config_static_selectorELNS0_4arch9wavefront6targetE1EEEvT1_,"axG",@progbits,_ZN7rocprim17ROCPRIM_400000_NS6detail17trampoline_kernelINS0_14default_configENS1_27scan_by_key_config_selectorIijEEZZNS1_16scan_by_key_implILNS1_25lookback_scan_determinismE0ELb1ES3_N6thrust23THRUST_200600_302600_NS6detail15normal_iteratorINS9_10device_ptrIiEEEENSB_INSC_IjEEEESG_jNS9_4plusIvEENS9_8equal_toIvEEjEE10hipError_tPvRmT2_T3_T4_T5_mT6_T7_P12ihipStream_tbENKUlT_T0_E_clISt17integral_constantIbLb0EES10_IbLb1EEEEDaSW_SX_EUlSW_E_NS1_11comp_targetILNS1_3genE10ELNS1_11target_archE1201ELNS1_3gpuE5ELNS1_3repE0EEENS1_30default_config_static_selectorELNS0_4arch9wavefront6targetE1EEEvT1_,comdat
.Lfunc_end1527:
	.size	_ZN7rocprim17ROCPRIM_400000_NS6detail17trampoline_kernelINS0_14default_configENS1_27scan_by_key_config_selectorIijEEZZNS1_16scan_by_key_implILNS1_25lookback_scan_determinismE0ELb1ES3_N6thrust23THRUST_200600_302600_NS6detail15normal_iteratorINS9_10device_ptrIiEEEENSB_INSC_IjEEEESG_jNS9_4plusIvEENS9_8equal_toIvEEjEE10hipError_tPvRmT2_T3_T4_T5_mT6_T7_P12ihipStream_tbENKUlT_T0_E_clISt17integral_constantIbLb0EES10_IbLb1EEEEDaSW_SX_EUlSW_E_NS1_11comp_targetILNS1_3genE10ELNS1_11target_archE1201ELNS1_3gpuE5ELNS1_3repE0EEENS1_30default_config_static_selectorELNS0_4arch9wavefront6targetE1EEEvT1_, .Lfunc_end1527-_ZN7rocprim17ROCPRIM_400000_NS6detail17trampoline_kernelINS0_14default_configENS1_27scan_by_key_config_selectorIijEEZZNS1_16scan_by_key_implILNS1_25lookback_scan_determinismE0ELb1ES3_N6thrust23THRUST_200600_302600_NS6detail15normal_iteratorINS9_10device_ptrIiEEEENSB_INSC_IjEEEESG_jNS9_4plusIvEENS9_8equal_toIvEEjEE10hipError_tPvRmT2_T3_T4_T5_mT6_T7_P12ihipStream_tbENKUlT_T0_E_clISt17integral_constantIbLb0EES10_IbLb1EEEEDaSW_SX_EUlSW_E_NS1_11comp_targetILNS1_3genE10ELNS1_11target_archE1201ELNS1_3gpuE5ELNS1_3repE0EEENS1_30default_config_static_selectorELNS0_4arch9wavefront6targetE1EEEvT1_
                                        ; -- End function
	.section	.AMDGPU.csdata,"",@progbits
; Kernel info:
; codeLenInByte = 0
; NumSgprs: 4
; NumVgprs: 0
; NumAgprs: 0
; TotalNumVgprs: 0
; ScratchSize: 0
; MemoryBound: 0
; FloatMode: 240
; IeeeMode: 1
; LDSByteSize: 0 bytes/workgroup (compile time only)
; SGPRBlocks: 0
; VGPRBlocks: 0
; NumSGPRsForWavesPerEU: 4
; NumVGPRsForWavesPerEU: 1
; AccumOffset: 4
; Occupancy: 8
; WaveLimiterHint : 0
; COMPUTE_PGM_RSRC2:SCRATCH_EN: 0
; COMPUTE_PGM_RSRC2:USER_SGPR: 6
; COMPUTE_PGM_RSRC2:TRAP_HANDLER: 0
; COMPUTE_PGM_RSRC2:TGID_X_EN: 1
; COMPUTE_PGM_RSRC2:TGID_Y_EN: 0
; COMPUTE_PGM_RSRC2:TGID_Z_EN: 0
; COMPUTE_PGM_RSRC2:TIDIG_COMP_CNT: 0
; COMPUTE_PGM_RSRC3_GFX90A:ACCUM_OFFSET: 0
; COMPUTE_PGM_RSRC3_GFX90A:TG_SPLIT: 0
	.section	.text._ZN7rocprim17ROCPRIM_400000_NS6detail17trampoline_kernelINS0_14default_configENS1_27scan_by_key_config_selectorIijEEZZNS1_16scan_by_key_implILNS1_25lookback_scan_determinismE0ELb1ES3_N6thrust23THRUST_200600_302600_NS6detail15normal_iteratorINS9_10device_ptrIiEEEENSB_INSC_IjEEEESG_jNS9_4plusIvEENS9_8equal_toIvEEjEE10hipError_tPvRmT2_T3_T4_T5_mT6_T7_P12ihipStream_tbENKUlT_T0_E_clISt17integral_constantIbLb0EES10_IbLb1EEEEDaSW_SX_EUlSW_E_NS1_11comp_targetILNS1_3genE5ELNS1_11target_archE942ELNS1_3gpuE9ELNS1_3repE0EEENS1_30default_config_static_selectorELNS0_4arch9wavefront6targetE1EEEvT1_,"axG",@progbits,_ZN7rocprim17ROCPRIM_400000_NS6detail17trampoline_kernelINS0_14default_configENS1_27scan_by_key_config_selectorIijEEZZNS1_16scan_by_key_implILNS1_25lookback_scan_determinismE0ELb1ES3_N6thrust23THRUST_200600_302600_NS6detail15normal_iteratorINS9_10device_ptrIiEEEENSB_INSC_IjEEEESG_jNS9_4plusIvEENS9_8equal_toIvEEjEE10hipError_tPvRmT2_T3_T4_T5_mT6_T7_P12ihipStream_tbENKUlT_T0_E_clISt17integral_constantIbLb0EES10_IbLb1EEEEDaSW_SX_EUlSW_E_NS1_11comp_targetILNS1_3genE5ELNS1_11target_archE942ELNS1_3gpuE9ELNS1_3repE0EEENS1_30default_config_static_selectorELNS0_4arch9wavefront6targetE1EEEvT1_,comdat
	.protected	_ZN7rocprim17ROCPRIM_400000_NS6detail17trampoline_kernelINS0_14default_configENS1_27scan_by_key_config_selectorIijEEZZNS1_16scan_by_key_implILNS1_25lookback_scan_determinismE0ELb1ES3_N6thrust23THRUST_200600_302600_NS6detail15normal_iteratorINS9_10device_ptrIiEEEENSB_INSC_IjEEEESG_jNS9_4plusIvEENS9_8equal_toIvEEjEE10hipError_tPvRmT2_T3_T4_T5_mT6_T7_P12ihipStream_tbENKUlT_T0_E_clISt17integral_constantIbLb0EES10_IbLb1EEEEDaSW_SX_EUlSW_E_NS1_11comp_targetILNS1_3genE5ELNS1_11target_archE942ELNS1_3gpuE9ELNS1_3repE0EEENS1_30default_config_static_selectorELNS0_4arch9wavefront6targetE1EEEvT1_ ; -- Begin function _ZN7rocprim17ROCPRIM_400000_NS6detail17trampoline_kernelINS0_14default_configENS1_27scan_by_key_config_selectorIijEEZZNS1_16scan_by_key_implILNS1_25lookback_scan_determinismE0ELb1ES3_N6thrust23THRUST_200600_302600_NS6detail15normal_iteratorINS9_10device_ptrIiEEEENSB_INSC_IjEEEESG_jNS9_4plusIvEENS9_8equal_toIvEEjEE10hipError_tPvRmT2_T3_T4_T5_mT6_T7_P12ihipStream_tbENKUlT_T0_E_clISt17integral_constantIbLb0EES10_IbLb1EEEEDaSW_SX_EUlSW_E_NS1_11comp_targetILNS1_3genE5ELNS1_11target_archE942ELNS1_3gpuE9ELNS1_3repE0EEENS1_30default_config_static_selectorELNS0_4arch9wavefront6targetE1EEEvT1_
	.globl	_ZN7rocprim17ROCPRIM_400000_NS6detail17trampoline_kernelINS0_14default_configENS1_27scan_by_key_config_selectorIijEEZZNS1_16scan_by_key_implILNS1_25lookback_scan_determinismE0ELb1ES3_N6thrust23THRUST_200600_302600_NS6detail15normal_iteratorINS9_10device_ptrIiEEEENSB_INSC_IjEEEESG_jNS9_4plusIvEENS9_8equal_toIvEEjEE10hipError_tPvRmT2_T3_T4_T5_mT6_T7_P12ihipStream_tbENKUlT_T0_E_clISt17integral_constantIbLb0EES10_IbLb1EEEEDaSW_SX_EUlSW_E_NS1_11comp_targetILNS1_3genE5ELNS1_11target_archE942ELNS1_3gpuE9ELNS1_3repE0EEENS1_30default_config_static_selectorELNS0_4arch9wavefront6targetE1EEEvT1_
	.p2align	8
	.type	_ZN7rocprim17ROCPRIM_400000_NS6detail17trampoline_kernelINS0_14default_configENS1_27scan_by_key_config_selectorIijEEZZNS1_16scan_by_key_implILNS1_25lookback_scan_determinismE0ELb1ES3_N6thrust23THRUST_200600_302600_NS6detail15normal_iteratorINS9_10device_ptrIiEEEENSB_INSC_IjEEEESG_jNS9_4plusIvEENS9_8equal_toIvEEjEE10hipError_tPvRmT2_T3_T4_T5_mT6_T7_P12ihipStream_tbENKUlT_T0_E_clISt17integral_constantIbLb0EES10_IbLb1EEEEDaSW_SX_EUlSW_E_NS1_11comp_targetILNS1_3genE5ELNS1_11target_archE942ELNS1_3gpuE9ELNS1_3repE0EEENS1_30default_config_static_selectorELNS0_4arch9wavefront6targetE1EEEvT1_,@function
_ZN7rocprim17ROCPRIM_400000_NS6detail17trampoline_kernelINS0_14default_configENS1_27scan_by_key_config_selectorIijEEZZNS1_16scan_by_key_implILNS1_25lookback_scan_determinismE0ELb1ES3_N6thrust23THRUST_200600_302600_NS6detail15normal_iteratorINS9_10device_ptrIiEEEENSB_INSC_IjEEEESG_jNS9_4plusIvEENS9_8equal_toIvEEjEE10hipError_tPvRmT2_T3_T4_T5_mT6_T7_P12ihipStream_tbENKUlT_T0_E_clISt17integral_constantIbLb0EES10_IbLb1EEEEDaSW_SX_EUlSW_E_NS1_11comp_targetILNS1_3genE5ELNS1_11target_archE942ELNS1_3gpuE9ELNS1_3repE0EEENS1_30default_config_static_selectorELNS0_4arch9wavefront6targetE1EEEvT1_: ; @_ZN7rocprim17ROCPRIM_400000_NS6detail17trampoline_kernelINS0_14default_configENS1_27scan_by_key_config_selectorIijEEZZNS1_16scan_by_key_implILNS1_25lookback_scan_determinismE0ELb1ES3_N6thrust23THRUST_200600_302600_NS6detail15normal_iteratorINS9_10device_ptrIiEEEENSB_INSC_IjEEEESG_jNS9_4plusIvEENS9_8equal_toIvEEjEE10hipError_tPvRmT2_T3_T4_T5_mT6_T7_P12ihipStream_tbENKUlT_T0_E_clISt17integral_constantIbLb0EES10_IbLb1EEEEDaSW_SX_EUlSW_E_NS1_11comp_targetILNS1_3genE5ELNS1_11target_archE942ELNS1_3gpuE9ELNS1_3repE0EEENS1_30default_config_static_selectorELNS0_4arch9wavefront6targetE1EEEvT1_
; %bb.0:
	.section	.rodata,"a",@progbits
	.p2align	6, 0x0
	.amdhsa_kernel _ZN7rocprim17ROCPRIM_400000_NS6detail17trampoline_kernelINS0_14default_configENS1_27scan_by_key_config_selectorIijEEZZNS1_16scan_by_key_implILNS1_25lookback_scan_determinismE0ELb1ES3_N6thrust23THRUST_200600_302600_NS6detail15normal_iteratorINS9_10device_ptrIiEEEENSB_INSC_IjEEEESG_jNS9_4plusIvEENS9_8equal_toIvEEjEE10hipError_tPvRmT2_T3_T4_T5_mT6_T7_P12ihipStream_tbENKUlT_T0_E_clISt17integral_constantIbLb0EES10_IbLb1EEEEDaSW_SX_EUlSW_E_NS1_11comp_targetILNS1_3genE5ELNS1_11target_archE942ELNS1_3gpuE9ELNS1_3repE0EEENS1_30default_config_static_selectorELNS0_4arch9wavefront6targetE1EEEvT1_
		.amdhsa_group_segment_fixed_size 0
		.amdhsa_private_segment_fixed_size 0
		.amdhsa_kernarg_size 112
		.amdhsa_user_sgpr_count 6
		.amdhsa_user_sgpr_private_segment_buffer 1
		.amdhsa_user_sgpr_dispatch_ptr 0
		.amdhsa_user_sgpr_queue_ptr 0
		.amdhsa_user_sgpr_kernarg_segment_ptr 1
		.amdhsa_user_sgpr_dispatch_id 0
		.amdhsa_user_sgpr_flat_scratch_init 0
		.amdhsa_user_sgpr_kernarg_preload_length 0
		.amdhsa_user_sgpr_kernarg_preload_offset 0
		.amdhsa_user_sgpr_private_segment_size 0
		.amdhsa_uses_dynamic_stack 0
		.amdhsa_system_sgpr_private_segment_wavefront_offset 0
		.amdhsa_system_sgpr_workgroup_id_x 1
		.amdhsa_system_sgpr_workgroup_id_y 0
		.amdhsa_system_sgpr_workgroup_id_z 0
		.amdhsa_system_sgpr_workgroup_info 0
		.amdhsa_system_vgpr_workitem_id 0
		.amdhsa_next_free_vgpr 1
		.amdhsa_next_free_sgpr 0
		.amdhsa_accum_offset 4
		.amdhsa_reserve_vcc 0
		.amdhsa_reserve_flat_scratch 0
		.amdhsa_float_round_mode_32 0
		.amdhsa_float_round_mode_16_64 0
		.amdhsa_float_denorm_mode_32 3
		.amdhsa_float_denorm_mode_16_64 3
		.amdhsa_dx10_clamp 1
		.amdhsa_ieee_mode 1
		.amdhsa_fp16_overflow 0
		.amdhsa_tg_split 0
		.amdhsa_exception_fp_ieee_invalid_op 0
		.amdhsa_exception_fp_denorm_src 0
		.amdhsa_exception_fp_ieee_div_zero 0
		.amdhsa_exception_fp_ieee_overflow 0
		.amdhsa_exception_fp_ieee_underflow 0
		.amdhsa_exception_fp_ieee_inexact 0
		.amdhsa_exception_int_div_zero 0
	.end_amdhsa_kernel
	.section	.text._ZN7rocprim17ROCPRIM_400000_NS6detail17trampoline_kernelINS0_14default_configENS1_27scan_by_key_config_selectorIijEEZZNS1_16scan_by_key_implILNS1_25lookback_scan_determinismE0ELb1ES3_N6thrust23THRUST_200600_302600_NS6detail15normal_iteratorINS9_10device_ptrIiEEEENSB_INSC_IjEEEESG_jNS9_4plusIvEENS9_8equal_toIvEEjEE10hipError_tPvRmT2_T3_T4_T5_mT6_T7_P12ihipStream_tbENKUlT_T0_E_clISt17integral_constantIbLb0EES10_IbLb1EEEEDaSW_SX_EUlSW_E_NS1_11comp_targetILNS1_3genE5ELNS1_11target_archE942ELNS1_3gpuE9ELNS1_3repE0EEENS1_30default_config_static_selectorELNS0_4arch9wavefront6targetE1EEEvT1_,"axG",@progbits,_ZN7rocprim17ROCPRIM_400000_NS6detail17trampoline_kernelINS0_14default_configENS1_27scan_by_key_config_selectorIijEEZZNS1_16scan_by_key_implILNS1_25lookback_scan_determinismE0ELb1ES3_N6thrust23THRUST_200600_302600_NS6detail15normal_iteratorINS9_10device_ptrIiEEEENSB_INSC_IjEEEESG_jNS9_4plusIvEENS9_8equal_toIvEEjEE10hipError_tPvRmT2_T3_T4_T5_mT6_T7_P12ihipStream_tbENKUlT_T0_E_clISt17integral_constantIbLb0EES10_IbLb1EEEEDaSW_SX_EUlSW_E_NS1_11comp_targetILNS1_3genE5ELNS1_11target_archE942ELNS1_3gpuE9ELNS1_3repE0EEENS1_30default_config_static_selectorELNS0_4arch9wavefront6targetE1EEEvT1_,comdat
.Lfunc_end1528:
	.size	_ZN7rocprim17ROCPRIM_400000_NS6detail17trampoline_kernelINS0_14default_configENS1_27scan_by_key_config_selectorIijEEZZNS1_16scan_by_key_implILNS1_25lookback_scan_determinismE0ELb1ES3_N6thrust23THRUST_200600_302600_NS6detail15normal_iteratorINS9_10device_ptrIiEEEENSB_INSC_IjEEEESG_jNS9_4plusIvEENS9_8equal_toIvEEjEE10hipError_tPvRmT2_T3_T4_T5_mT6_T7_P12ihipStream_tbENKUlT_T0_E_clISt17integral_constantIbLb0EES10_IbLb1EEEEDaSW_SX_EUlSW_E_NS1_11comp_targetILNS1_3genE5ELNS1_11target_archE942ELNS1_3gpuE9ELNS1_3repE0EEENS1_30default_config_static_selectorELNS0_4arch9wavefront6targetE1EEEvT1_, .Lfunc_end1528-_ZN7rocprim17ROCPRIM_400000_NS6detail17trampoline_kernelINS0_14default_configENS1_27scan_by_key_config_selectorIijEEZZNS1_16scan_by_key_implILNS1_25lookback_scan_determinismE0ELb1ES3_N6thrust23THRUST_200600_302600_NS6detail15normal_iteratorINS9_10device_ptrIiEEEENSB_INSC_IjEEEESG_jNS9_4plusIvEENS9_8equal_toIvEEjEE10hipError_tPvRmT2_T3_T4_T5_mT6_T7_P12ihipStream_tbENKUlT_T0_E_clISt17integral_constantIbLb0EES10_IbLb1EEEEDaSW_SX_EUlSW_E_NS1_11comp_targetILNS1_3genE5ELNS1_11target_archE942ELNS1_3gpuE9ELNS1_3repE0EEENS1_30default_config_static_selectorELNS0_4arch9wavefront6targetE1EEEvT1_
                                        ; -- End function
	.section	.AMDGPU.csdata,"",@progbits
; Kernel info:
; codeLenInByte = 0
; NumSgprs: 4
; NumVgprs: 0
; NumAgprs: 0
; TotalNumVgprs: 0
; ScratchSize: 0
; MemoryBound: 0
; FloatMode: 240
; IeeeMode: 1
; LDSByteSize: 0 bytes/workgroup (compile time only)
; SGPRBlocks: 0
; VGPRBlocks: 0
; NumSGPRsForWavesPerEU: 4
; NumVGPRsForWavesPerEU: 1
; AccumOffset: 4
; Occupancy: 8
; WaveLimiterHint : 0
; COMPUTE_PGM_RSRC2:SCRATCH_EN: 0
; COMPUTE_PGM_RSRC2:USER_SGPR: 6
; COMPUTE_PGM_RSRC2:TRAP_HANDLER: 0
; COMPUTE_PGM_RSRC2:TGID_X_EN: 1
; COMPUTE_PGM_RSRC2:TGID_Y_EN: 0
; COMPUTE_PGM_RSRC2:TGID_Z_EN: 0
; COMPUTE_PGM_RSRC2:TIDIG_COMP_CNT: 0
; COMPUTE_PGM_RSRC3_GFX90A:ACCUM_OFFSET: 0
; COMPUTE_PGM_RSRC3_GFX90A:TG_SPLIT: 0
	.section	.text._ZN7rocprim17ROCPRIM_400000_NS6detail17trampoline_kernelINS0_14default_configENS1_27scan_by_key_config_selectorIijEEZZNS1_16scan_by_key_implILNS1_25lookback_scan_determinismE0ELb1ES3_N6thrust23THRUST_200600_302600_NS6detail15normal_iteratorINS9_10device_ptrIiEEEENSB_INSC_IjEEEESG_jNS9_4plusIvEENS9_8equal_toIvEEjEE10hipError_tPvRmT2_T3_T4_T5_mT6_T7_P12ihipStream_tbENKUlT_T0_E_clISt17integral_constantIbLb0EES10_IbLb1EEEEDaSW_SX_EUlSW_E_NS1_11comp_targetILNS1_3genE4ELNS1_11target_archE910ELNS1_3gpuE8ELNS1_3repE0EEENS1_30default_config_static_selectorELNS0_4arch9wavefront6targetE1EEEvT1_,"axG",@progbits,_ZN7rocprim17ROCPRIM_400000_NS6detail17trampoline_kernelINS0_14default_configENS1_27scan_by_key_config_selectorIijEEZZNS1_16scan_by_key_implILNS1_25lookback_scan_determinismE0ELb1ES3_N6thrust23THRUST_200600_302600_NS6detail15normal_iteratorINS9_10device_ptrIiEEEENSB_INSC_IjEEEESG_jNS9_4plusIvEENS9_8equal_toIvEEjEE10hipError_tPvRmT2_T3_T4_T5_mT6_T7_P12ihipStream_tbENKUlT_T0_E_clISt17integral_constantIbLb0EES10_IbLb1EEEEDaSW_SX_EUlSW_E_NS1_11comp_targetILNS1_3genE4ELNS1_11target_archE910ELNS1_3gpuE8ELNS1_3repE0EEENS1_30default_config_static_selectorELNS0_4arch9wavefront6targetE1EEEvT1_,comdat
	.protected	_ZN7rocprim17ROCPRIM_400000_NS6detail17trampoline_kernelINS0_14default_configENS1_27scan_by_key_config_selectorIijEEZZNS1_16scan_by_key_implILNS1_25lookback_scan_determinismE0ELb1ES3_N6thrust23THRUST_200600_302600_NS6detail15normal_iteratorINS9_10device_ptrIiEEEENSB_INSC_IjEEEESG_jNS9_4plusIvEENS9_8equal_toIvEEjEE10hipError_tPvRmT2_T3_T4_T5_mT6_T7_P12ihipStream_tbENKUlT_T0_E_clISt17integral_constantIbLb0EES10_IbLb1EEEEDaSW_SX_EUlSW_E_NS1_11comp_targetILNS1_3genE4ELNS1_11target_archE910ELNS1_3gpuE8ELNS1_3repE0EEENS1_30default_config_static_selectorELNS0_4arch9wavefront6targetE1EEEvT1_ ; -- Begin function _ZN7rocprim17ROCPRIM_400000_NS6detail17trampoline_kernelINS0_14default_configENS1_27scan_by_key_config_selectorIijEEZZNS1_16scan_by_key_implILNS1_25lookback_scan_determinismE0ELb1ES3_N6thrust23THRUST_200600_302600_NS6detail15normal_iteratorINS9_10device_ptrIiEEEENSB_INSC_IjEEEESG_jNS9_4plusIvEENS9_8equal_toIvEEjEE10hipError_tPvRmT2_T3_T4_T5_mT6_T7_P12ihipStream_tbENKUlT_T0_E_clISt17integral_constantIbLb0EES10_IbLb1EEEEDaSW_SX_EUlSW_E_NS1_11comp_targetILNS1_3genE4ELNS1_11target_archE910ELNS1_3gpuE8ELNS1_3repE0EEENS1_30default_config_static_selectorELNS0_4arch9wavefront6targetE1EEEvT1_
	.globl	_ZN7rocprim17ROCPRIM_400000_NS6detail17trampoline_kernelINS0_14default_configENS1_27scan_by_key_config_selectorIijEEZZNS1_16scan_by_key_implILNS1_25lookback_scan_determinismE0ELb1ES3_N6thrust23THRUST_200600_302600_NS6detail15normal_iteratorINS9_10device_ptrIiEEEENSB_INSC_IjEEEESG_jNS9_4plusIvEENS9_8equal_toIvEEjEE10hipError_tPvRmT2_T3_T4_T5_mT6_T7_P12ihipStream_tbENKUlT_T0_E_clISt17integral_constantIbLb0EES10_IbLb1EEEEDaSW_SX_EUlSW_E_NS1_11comp_targetILNS1_3genE4ELNS1_11target_archE910ELNS1_3gpuE8ELNS1_3repE0EEENS1_30default_config_static_selectorELNS0_4arch9wavefront6targetE1EEEvT1_
	.p2align	8
	.type	_ZN7rocprim17ROCPRIM_400000_NS6detail17trampoline_kernelINS0_14default_configENS1_27scan_by_key_config_selectorIijEEZZNS1_16scan_by_key_implILNS1_25lookback_scan_determinismE0ELb1ES3_N6thrust23THRUST_200600_302600_NS6detail15normal_iteratorINS9_10device_ptrIiEEEENSB_INSC_IjEEEESG_jNS9_4plusIvEENS9_8equal_toIvEEjEE10hipError_tPvRmT2_T3_T4_T5_mT6_T7_P12ihipStream_tbENKUlT_T0_E_clISt17integral_constantIbLb0EES10_IbLb1EEEEDaSW_SX_EUlSW_E_NS1_11comp_targetILNS1_3genE4ELNS1_11target_archE910ELNS1_3gpuE8ELNS1_3repE0EEENS1_30default_config_static_selectorELNS0_4arch9wavefront6targetE1EEEvT1_,@function
_ZN7rocprim17ROCPRIM_400000_NS6detail17trampoline_kernelINS0_14default_configENS1_27scan_by_key_config_selectorIijEEZZNS1_16scan_by_key_implILNS1_25lookback_scan_determinismE0ELb1ES3_N6thrust23THRUST_200600_302600_NS6detail15normal_iteratorINS9_10device_ptrIiEEEENSB_INSC_IjEEEESG_jNS9_4plusIvEENS9_8equal_toIvEEjEE10hipError_tPvRmT2_T3_T4_T5_mT6_T7_P12ihipStream_tbENKUlT_T0_E_clISt17integral_constantIbLb0EES10_IbLb1EEEEDaSW_SX_EUlSW_E_NS1_11comp_targetILNS1_3genE4ELNS1_11target_archE910ELNS1_3gpuE8ELNS1_3repE0EEENS1_30default_config_static_selectorELNS0_4arch9wavefront6targetE1EEEvT1_: ; @_ZN7rocprim17ROCPRIM_400000_NS6detail17trampoline_kernelINS0_14default_configENS1_27scan_by_key_config_selectorIijEEZZNS1_16scan_by_key_implILNS1_25lookback_scan_determinismE0ELb1ES3_N6thrust23THRUST_200600_302600_NS6detail15normal_iteratorINS9_10device_ptrIiEEEENSB_INSC_IjEEEESG_jNS9_4plusIvEENS9_8equal_toIvEEjEE10hipError_tPvRmT2_T3_T4_T5_mT6_T7_P12ihipStream_tbENKUlT_T0_E_clISt17integral_constantIbLb0EES10_IbLb1EEEEDaSW_SX_EUlSW_E_NS1_11comp_targetILNS1_3genE4ELNS1_11target_archE910ELNS1_3gpuE8ELNS1_3repE0EEENS1_30default_config_static_selectorELNS0_4arch9wavefront6targetE1EEEvT1_
; %bb.0:
	s_load_dword s54, s[4:5], 0x20
	s_load_dwordx4 s[44:47], s[4:5], 0x28
	s_load_dwordx2 s[52:53], s[4:5], 0x38
	v_cmp_eq_u32_e64 s[0:1], 0, v0
	s_and_saveexec_b64 s[2:3], s[0:1]
	s_cbranch_execz .LBB1529_4
; %bb.1:
	s_mov_b64 s[8:9], exec
	v_mbcnt_lo_u32_b32 v1, s8, 0
	v_mbcnt_hi_u32_b32 v1, s9, v1
	v_cmp_eq_u32_e32 vcc, 0, v1
                                        ; implicit-def: $vgpr2
	s_and_saveexec_b64 s[6:7], vcc
	s_cbranch_execz .LBB1529_3
; %bb.2:
	s_load_dwordx2 s[10:11], s[4:5], 0x68
	s_bcnt1_i32_b64 s8, s[8:9]
	v_mov_b32_e32 v2, 0
	v_mov_b32_e32 v3, s8
	s_waitcnt lgkmcnt(0)
	global_atomic_add v2, v2, v3, s[10:11] glc
.LBB1529_3:
	s_or_b64 exec, exec, s[6:7]
	s_waitcnt vmcnt(0)
	v_readfirstlane_b32 s6, v2
	v_add_u32_e32 v1, s6, v1
	v_mov_b32_e32 v2, 0
	ds_write_b32 v2, v1
.LBB1529_4:
	s_or_b64 exec, exec, s[2:3]
	s_load_dwordx8 s[36:43], s[4:5], 0x0
	s_load_dword s2, s[4:5], 0x40
	s_load_dwordx4 s[48:51], s[4:5], 0x48
	v_mov_b32_e32 v3, 0
	s_waitcnt lgkmcnt(0)
	s_lshl_b64 s[34:35], s[38:39], 2
	s_barrier
	ds_read_b32 v4, v3
	s_add_u32 s3, s36, s34
	s_addc_u32 s4, s37, s35
	s_add_u32 s5, s40, s34
	s_mul_i32 s7, s53, s2
	s_mul_hi_u32 s8, s52, s2
	s_addc_u32 s6, s41, s35
	s_add_i32 s7, s8, s7
	s_movk_i32 s8, 0xe00
	s_waitcnt lgkmcnt(0)
	v_mul_lo_u32 v2, v4, s8
	v_lshlrev_b64 v[38:39], 2, v[2:3]
	v_mov_b32_e32 v1, s4
	v_add_co_u32_e32 v42, vcc, s3, v38
	v_addc_co_u32_e32 v43, vcc, v1, v39, vcc
	v_mov_b32_e32 v2, s6
	v_add_co_u32_e32 v1, vcc, s5, v38
	s_mul_i32 s2, s52, s2
	v_addc_co_u32_e32 v48, vcc, v2, v39, vcc
	v_mov_b32_e32 v3, s7
	v_add_co_u32_e32 v2, vcc, s2, v4
	s_add_u32 s4, s48, -1
	v_addc_co_u32_e32 v3, vcc, 0, v3, vcc
	s_addc_u32 s5, s49, -1
	v_cmp_le_u64_e64 s[2:3], s[4:5], v[2:3]
	v_readfirstlane_b32 s47, v4
	s_mov_b64 s[12:13], -1
	s_and_b64 vcc, exec, s[2:3]
	s_mul_i32 s33, s4, 0xfffff200
	s_barrier
	s_barrier
	s_cbranch_vccz .LBB1529_80
; %bb.5:
	flat_load_dword v13, v[42:43]
	s_add_i32 s40, s33, s46
	v_cmp_gt_u32_e32 vcc, s40, v0
	s_waitcnt vmcnt(0) lgkmcnt(0)
	v_mov_b32_e32 v14, v13
	s_and_saveexec_b64 s[6:7], vcc
	s_cbranch_execz .LBB1529_7
; %bb.6:
	v_lshlrev_b32_e32 v2, 2, v0
	v_add_co_u32_e64 v2, s[4:5], v42, v2
	v_addc_co_u32_e64 v3, s[4:5], 0, v43, s[4:5]
	flat_load_dword v14, v[2:3]
.LBB1529_7:
	s_or_b64 exec, exec, s[6:7]
	v_or_b32_e32 v2, 0x100, v0
	v_cmp_gt_u32_e64 s[4:5], s40, v2
	v_mov_b32_e32 v15, v13
	s_and_saveexec_b64 s[8:9], s[4:5]
	s_cbranch_execz .LBB1529_9
; %bb.8:
	v_lshlrev_b32_e32 v2, 2, v0
	v_add_co_u32_e64 v2, s[6:7], v42, v2
	v_addc_co_u32_e64 v3, s[6:7], 0, v43, s[6:7]
	flat_load_dword v15, v[2:3] offset:1024
.LBB1529_9:
	s_or_b64 exec, exec, s[8:9]
	v_or_b32_e32 v2, 0x200, v0
	v_cmp_gt_u32_e64 s[6:7], s40, v2
	v_mov_b32_e32 v16, v13
	s_and_saveexec_b64 s[10:11], s[6:7]
	s_cbranch_execz .LBB1529_11
; %bb.10:
	v_lshlrev_b32_e32 v2, 2, v0
	v_add_co_u32_e64 v2, s[8:9], v42, v2
	v_addc_co_u32_e64 v3, s[8:9], 0, v43, s[8:9]
	flat_load_dword v16, v[2:3] offset:2048
.LBB1529_11:
	;; [unrolled: 12-line block ×3, first 2 shown]
	s_or_b64 exec, exec, s[12:13]
	v_or_b32_e32 v2, 0x400, v0
	v_cmp_gt_u32_e64 s[10:11], s40, v2
	v_lshlrev_b32_e32 v2, 2, v2
	v_mov_b32_e32 v18, v13
	s_and_saveexec_b64 s[14:15], s[10:11]
	s_cbranch_execz .LBB1529_15
; %bb.14:
	v_add_co_u32_e64 v4, s[12:13], v42, v2
	v_addc_co_u32_e64 v5, s[12:13], 0, v43, s[12:13]
	flat_load_dword v18, v[4:5]
.LBB1529_15:
	s_or_b64 exec, exec, s[14:15]
	v_or_b32_e32 v3, 0x500, v0
	v_cmp_gt_u32_e64 s[12:13], s40, v3
	v_lshlrev_b32_e32 v3, 2, v3
	v_mov_b32_e32 v19, v13
	s_and_saveexec_b64 s[16:17], s[12:13]
	s_cbranch_execz .LBB1529_17
; %bb.16:
	v_add_co_u32_e64 v4, s[14:15], v42, v3
	v_addc_co_u32_e64 v5, s[14:15], 0, v43, s[14:15]
	flat_load_dword v19, v[4:5]
.LBB1529_17:
	;; [unrolled: 12-line block ×9, first 2 shown]
	s_or_b64 exec, exec, s[30:31]
	v_or_b32_e32 v11, 0xd00, v0
	v_cmp_gt_u32_e64 s[28:29], s40, v11
	v_lshlrev_b32_e32 v11, 2, v11
	s_and_saveexec_b64 s[36:37], s[28:29]
	s_cbranch_execz .LBB1529_33
; %bb.32:
	v_add_co_u32_e64 v12, s[30:31], v42, v11
	v_addc_co_u32_e64 v13, s[30:31], 0, v43, s[30:31]
	flat_load_dword v13, v[12:13]
.LBB1529_33:
	s_or_b64 exec, exec, s[36:37]
	v_lshlrev_b32_e32 v12, 2, v0
	s_waitcnt vmcnt(0) lgkmcnt(0)
	ds_write2st64_b32 v12, v14, v15 offset1:4
	ds_write2st64_b32 v12, v16, v17 offset0:8 offset1:12
	ds_write2st64_b32 v12, v18, v19 offset0:16 offset1:20
	;; [unrolled: 1-line block ×6, first 2 shown]
	s_waitcnt lgkmcnt(0)
	s_barrier
	flat_load_dword v49, v[42:43]
	v_mad_u32_u24 v50, v0, 52, v12
	s_movk_i32 s30, 0xffcc
	ds_read2_b64 v[34:37], v50 offset1:1
	ds_read2_b64 v[30:33], v50 offset0:2 offset1:3
	ds_read2_b64 v[26:29], v50 offset0:4 offset1:5
	ds_read_b64 v[44:45], v50 offset:48
	v_mad_i32_i24 v13, v0, s30, v50
	s_movk_i32 s30, 0xff
	v_cmp_ne_u32_e64 s[30:31], s30, v0
	s_waitcnt lgkmcnt(0)
	ds_write_b32 v13, v34 offset:15360
	s_waitcnt lgkmcnt(0)
	s_barrier
	s_and_saveexec_b64 s[36:37], s[30:31]
	s_cbranch_execz .LBB1529_35
; %bb.34:
	s_waitcnt vmcnt(0)
	ds_read_b32 v49, v12 offset:15364
.LBB1529_35:
	s_or_b64 exec, exec, s[36:37]
	s_waitcnt lgkmcnt(0)
	s_barrier
	s_waitcnt lgkmcnt(0)
                                        ; implicit-def: $vgpr13
	s_and_saveexec_b64 s[30:31], vcc
	s_cbranch_execz .LBB1529_117
; %bb.36:
	v_add_co_u32_e32 v14, vcc, v1, v12
	v_addc_co_u32_e32 v15, vcc, 0, v48, vcc
	flat_load_dword v13, v[14:15]
	s_or_b64 exec, exec, s[30:31]
                                        ; implicit-def: $vgpr14
	s_and_saveexec_b64 s[30:31], s[4:5]
	s_cbranch_execnz .LBB1529_118
.LBB1529_37:
	s_or_b64 exec, exec, s[30:31]
                                        ; implicit-def: $vgpr15
	s_and_saveexec_b64 s[4:5], s[6:7]
	s_cbranch_execz .LBB1529_119
.LBB1529_38:
	v_add_co_u32_e32 v16, vcc, v1, v12
	v_addc_co_u32_e32 v17, vcc, 0, v48, vcc
	flat_load_dword v15, v[16:17] offset:2048
	s_or_b64 exec, exec, s[4:5]
                                        ; implicit-def: $vgpr16
	s_and_saveexec_b64 s[4:5], s[8:9]
	s_cbranch_execnz .LBB1529_120
.LBB1529_39:
	s_or_b64 exec, exec, s[4:5]
                                        ; implicit-def: $vgpr17
	s_and_saveexec_b64 s[4:5], s[10:11]
	s_cbranch_execz .LBB1529_121
.LBB1529_40:
	v_add_co_u32_e32 v18, vcc, v1, v2
	v_addc_co_u32_e32 v19, vcc, 0, v48, vcc
	flat_load_dword v17, v[18:19]
	s_or_b64 exec, exec, s[4:5]
                                        ; implicit-def: $vgpr2
	s_and_saveexec_b64 s[4:5], s[12:13]
	s_cbranch_execnz .LBB1529_122
.LBB1529_41:
	s_or_b64 exec, exec, s[4:5]
                                        ; implicit-def: $vgpr3
	s_and_saveexec_b64 s[4:5], s[14:15]
	s_cbranch_execz .LBB1529_123
.LBB1529_42:
	v_add_co_u32_e32 v18, vcc, v1, v4
	v_addc_co_u32_e32 v19, vcc, 0, v48, vcc
	flat_load_dword v3, v[18:19]
	s_or_b64 exec, exec, s[4:5]
                                        ; implicit-def: $vgpr4
	s_and_saveexec_b64 s[4:5], s[16:17]
	s_cbranch_execnz .LBB1529_124
.LBB1529_43:
	s_or_b64 exec, exec, s[4:5]
                                        ; implicit-def: $vgpr5
	s_and_saveexec_b64 s[4:5], s[18:19]
	s_cbranch_execz .LBB1529_125
.LBB1529_44:
	v_add_co_u32_e32 v18, vcc, v1, v6
	v_addc_co_u32_e32 v19, vcc, 0, v48, vcc
	flat_load_dword v5, v[18:19]
	s_or_b64 exec, exec, s[4:5]
                                        ; implicit-def: $vgpr6
	s_and_saveexec_b64 s[4:5], s[20:21]
	s_cbranch_execnz .LBB1529_126
.LBB1529_45:
	s_or_b64 exec, exec, s[4:5]
                                        ; implicit-def: $vgpr7
	s_and_saveexec_b64 s[4:5], s[22:23]
	s_cbranch_execz .LBB1529_127
.LBB1529_46:
	v_add_co_u32_e32 v18, vcc, v1, v8
	v_addc_co_u32_e32 v19, vcc, 0, v48, vcc
	flat_load_dword v7, v[18:19]
	s_or_b64 exec, exec, s[4:5]
                                        ; implicit-def: $vgpr8
	s_and_saveexec_b64 s[4:5], s[24:25]
	s_cbranch_execnz .LBB1529_128
.LBB1529_47:
	s_or_b64 exec, exec, s[4:5]
                                        ; implicit-def: $vgpr9
	s_and_saveexec_b64 s[4:5], s[26:27]
	s_cbranch_execz .LBB1529_49
.LBB1529_48:
	v_add_co_u32_e32 v18, vcc, v1, v10
	v_addc_co_u32_e32 v19, vcc, 0, v48, vcc
	flat_load_dword v9, v[18:19]
.LBB1529_49:
	s_or_b64 exec, exec, s[4:5]
	v_mul_u32_u24_e32 v51, 14, v0
                                        ; implicit-def: $vgpr10
	s_and_saveexec_b64 s[4:5], s[28:29]
	s_cbranch_execz .LBB1529_51
; %bb.50:
	v_add_co_u32_e32 v10, vcc, v1, v11
	v_addc_co_u32_e32 v11, vcc, 0, v48, vcc
	flat_load_dword v10, v[10:11]
.LBB1529_51:
	s_or_b64 exec, exec, s[4:5]
	s_mov_b32 s4, 0
	s_mov_b32 s5, s4
	s_waitcnt vmcnt(0) lgkmcnt(0)
	ds_write2st64_b32 v12, v13, v14 offset1:4
	ds_write2st64_b32 v12, v15, v16 offset0:8 offset1:12
	ds_write2st64_b32 v12, v17, v2 offset0:16 offset1:20
	;; [unrolled: 1-line block ×6, first 2 shown]
	s_mov_b32 s6, s4
	s_mov_b32 s7, s4
	;; [unrolled: 1-line block ×6, first 2 shown]
	v_pk_mov_b32 v[2:3], s[4:5], s[4:5] op_sel:[0,1]
	v_pk_mov_b32 v[8:9], s[10:11], s[10:11] op_sel:[0,1]
	;; [unrolled: 1-line block ×6, first 2 shown]
	v_cmp_gt_u32_e32 vcc, s40, v51
	s_mov_b64 s[12:13], 0
	v_pk_mov_b32 v[40:41], 0, 0
	s_mov_b64 s[18:19], 0
	v_pk_mov_b32 v[14:15], v[6:7], v[6:7] op_sel:[0,1]
	v_pk_mov_b32 v[12:13], v[4:5], v[4:5] op_sel:[0,1]
	;; [unrolled: 1-line block ×6, first 2 shown]
	s_waitcnt lgkmcnt(0)
	s_barrier
	s_waitcnt lgkmcnt(0)
                                        ; implicit-def: $sgpr16_sgpr17
                                        ; implicit-def: $vgpr46
	s_and_saveexec_b64 s[14:15], vcc
	s_cbranch_execz .LBB1529_79
; %bb.52:
	ds_read_b32 v2, v50
	v_mov_b32_e32 v4, s54
	v_cmp_eq_u32_e32 vcc, v34, v35
	v_or_b32_e32 v3, 1, v51
                                        ; implicit-def: $vgpr46
	s_waitcnt lgkmcnt(0)
	v_cndmask_b32_e32 v40, v4, v2, vcc
	v_cmp_ne_u32_e32 vcc, v34, v35
	v_cndmask_b32_e64 v41, 0, 1, vcc
	v_cmp_gt_u32_e32 vcc, s40, v3
	v_pk_mov_b32 v[2:3], s[4:5], s[4:5] op_sel:[0,1]
	v_pk_mov_b32 v[8:9], s[10:11], s[10:11] op_sel:[0,1]
	;; [unrolled: 1-line block ×12, first 2 shown]
                                        ; implicit-def: $sgpr4_sgpr5
	s_and_saveexec_b64 s[16:17], vcc
	s_cbranch_execz .LBB1529_78
; %bb.53:
	ds_read2_b32 v[46:47], v50 offset0:1 offset1:2
	s_mov_b32 s4, 0
	v_mov_b32_e32 v3, s54
	v_cmp_eq_u32_e32 vcc, v35, v36
	s_mov_b32 s10, s4
	s_mov_b32 s11, s4
	v_add_u32_e32 v2, 2, v51
	s_waitcnt lgkmcnt(0)
	v_cndmask_b32_e32 v8, v3, v46, vcc
	v_cmp_ne_u32_e32 vcc, v35, v36
	s_mov_b32 s5, s4
	s_mov_b32 s6, s4
	;; [unrolled: 1-line block ×5, first 2 shown]
	v_pk_mov_b32 v[16:17], s[10:11], s[10:11] op_sel:[0,1]
	v_cndmask_b32_e64 v9, 0, 1, vcc
	v_cmp_gt_u32_e32 vcc, s40, v2
	v_mov_b32_e32 v2, 0
	v_pk_mov_b32 v[14:15], s[8:9], s[8:9] op_sel:[0,1]
	v_pk_mov_b32 v[12:13], s[6:7], s[6:7] op_sel:[0,1]
	;; [unrolled: 1-line block ×4, first 2 shown]
	v_mov_b32_e32 v3, v2
	v_mov_b32_e32 v4, v2
	;; [unrolled: 1-line block ×5, first 2 shown]
	s_mov_b64 s[20:21], 0
	v_pk_mov_b32 v[22:23], v[14:15], v[14:15] op_sel:[0,1]
	v_pk_mov_b32 v[20:21], v[12:13], v[12:13] op_sel:[0,1]
	;; [unrolled: 1-line block ×3, first 2 shown]
                                        ; implicit-def: $sgpr24_sgpr25
                                        ; implicit-def: $vgpr46
	s_and_saveexec_b64 s[18:19], vcc
	s_cbranch_execz .LBB1529_77
; %bb.54:
	v_mov_b32_e32 v4, s54
	v_cmp_eq_u32_e32 vcc, v36, v37
	v_pk_mov_b32 v[16:17], s[10:11], s[10:11] op_sel:[0,1]
	v_add_u32_e32 v3, 3, v51
	v_cndmask_b32_e32 v6, v4, v47, vcc
	v_cmp_ne_u32_e32 vcc, v36, v37
	v_pk_mov_b32 v[14:15], s[8:9], s[8:9] op_sel:[0,1]
	v_pk_mov_b32 v[12:13], s[6:7], s[6:7] op_sel:[0,1]
	;; [unrolled: 1-line block ×4, first 2 shown]
	v_cndmask_b32_e64 v7, 0, 1, vcc
	v_cmp_gt_u32_e32 vcc, s40, v3
	v_mov_b32_e32 v3, v2
	v_mov_b32_e32 v4, v2
	;; [unrolled: 1-line block ×3, first 2 shown]
	s_mov_b64 s[22:23], 0
	v_pk_mov_b32 v[22:23], v[14:15], v[14:15] op_sel:[0,1]
	v_pk_mov_b32 v[20:21], v[12:13], v[12:13] op_sel:[0,1]
	v_pk_mov_b32 v[18:19], v[10:11], v[10:11] op_sel:[0,1]
                                        ; implicit-def: $sgpr4_sgpr5
                                        ; implicit-def: $vgpr46
	s_and_saveexec_b64 s[20:21], vcc
	s_cbranch_execz .LBB1529_76
; %bb.55:
	ds_read2_b32 v[34:35], v50 offset0:3 offset1:4
	s_mov_b32 s4, 0
	s_mov_b32 s10, s4
	;; [unrolled: 1-line block ×3, first 2 shown]
	v_mov_b32_e32 v3, s54
	v_cmp_eq_u32_e32 vcc, v37, v30
	s_mov_b32 s5, s4
	s_mov_b32 s6, s4
	;; [unrolled: 1-line block ×5, first 2 shown]
	v_pk_mov_b32 v[16:17], s[10:11], s[10:11] op_sel:[0,1]
	v_add_u32_e32 v2, 4, v51
	s_waitcnt lgkmcnt(0)
	v_cndmask_b32_e32 v4, v3, v34, vcc
	v_cmp_ne_u32_e32 vcc, v37, v30
	v_pk_mov_b32 v[14:15], s[8:9], s[8:9] op_sel:[0,1]
	v_pk_mov_b32 v[12:13], s[6:7], s[6:7] op_sel:[0,1]
	;; [unrolled: 1-line block ×4, first 2 shown]
	v_cndmask_b32_e64 v5, 0, 1, vcc
	v_cmp_gt_u32_e32 vcc, s40, v2
	v_mov_b32_e32 v2, s4
	v_mov_b32_e32 v3, s4
	s_mov_b64 s[24:25], 0
	v_pk_mov_b32 v[22:23], v[14:15], v[14:15] op_sel:[0,1]
	v_pk_mov_b32 v[20:21], v[12:13], v[12:13] op_sel:[0,1]
	;; [unrolled: 1-line block ×3, first 2 shown]
                                        ; implicit-def: $sgpr26_sgpr27
                                        ; implicit-def: $vgpr46
	s_and_saveexec_b64 s[22:23], vcc
	s_cbranch_execz .LBB1529_75
; %bb.56:
	v_mov_b32_e32 v2, s54
	v_cmp_eq_u32_e32 vcc, v30, v31
	v_add_u32_e32 v10, 5, v51
	v_cndmask_b32_e32 v2, v2, v35, vcc
	v_cmp_ne_u32_e32 vcc, v30, v31
	v_cndmask_b32_e64 v3, 0, 1, vcc
	v_cmp_gt_u32_e32 vcc, s40, v10
	v_pk_mov_b32 v[16:17], s[10:11], s[10:11] op_sel:[0,1]
	v_pk_mov_b32 v[14:15], s[8:9], s[8:9] op_sel:[0,1]
	;; [unrolled: 1-line block ×5, first 2 shown]
	s_mov_b64 s[28:29], 0
	v_pk_mov_b32 v[22:23], v[14:15], v[14:15] op_sel:[0,1]
	v_pk_mov_b32 v[20:21], v[12:13], v[12:13] op_sel:[0,1]
	;; [unrolled: 1-line block ×3, first 2 shown]
                                        ; implicit-def: $sgpr4_sgpr5
                                        ; implicit-def: $vgpr46
	s_and_saveexec_b64 s[24:25], vcc
	s_cbranch_execz .LBB1529_74
; %bb.57:
	ds_read2_b32 v[34:35], v50 offset0:5 offset1:6
	v_mov_b32_e32 v11, s54
	v_cmp_eq_u32_e32 vcc, v31, v32
	s_mov_b32 s4, 0
	v_add_u32_e32 v10, 6, v51
	s_waitcnt lgkmcnt(0)
	v_cndmask_b32_e32 v16, v11, v34, vcc
	v_cmp_ne_u32_e32 vcc, v31, v32
	s_mov_b32 s10, s4
	s_mov_b32 s11, s4
	v_cndmask_b32_e64 v17, 0, 1, vcc
	v_cmp_gt_u32_e32 vcc, s40, v10
	v_mov_b32_e32 v10, 0
	s_mov_b32 s5, s4
	s_mov_b32 s6, s4
	;; [unrolled: 1-line block ×5, first 2 shown]
	v_pk_mov_b32 v[24:25], s[10:11], s[10:11] op_sel:[0,1]
	v_mov_b32_e32 v11, v10
	v_mov_b32_e32 v12, v10
	;; [unrolled: 1-line block ×5, first 2 shown]
	v_pk_mov_b32 v[22:23], s[8:9], s[8:9] op_sel:[0,1]
	v_pk_mov_b32 v[20:21], s[6:7], s[6:7] op_sel:[0,1]
	;; [unrolled: 1-line block ×3, first 2 shown]
                                        ; implicit-def: $sgpr36_sgpr37
                                        ; implicit-def: $vgpr46
	s_and_saveexec_b64 s[26:27], vcc
	s_cbranch_execz .LBB1529_73
; %bb.58:
	v_mov_b32_e32 v12, s54
	v_cmp_eq_u32_e32 vcc, v32, v33
	v_add_u32_e32 v11, 7, v51
	v_cndmask_b32_e32 v14, v12, v35, vcc
	v_cmp_ne_u32_e32 vcc, v32, v33
	v_pk_mov_b32 v[24:25], s[10:11], s[10:11] op_sel:[0,1]
	v_cndmask_b32_e64 v15, 0, 1, vcc
	v_cmp_gt_u32_e32 vcc, s40, v11
	v_mov_b32_e32 v11, v10
	v_mov_b32_e32 v12, v10
	;; [unrolled: 1-line block ×3, first 2 shown]
	s_mov_b64 s[30:31], 0
	v_pk_mov_b32 v[22:23], s[8:9], s[8:9] op_sel:[0,1]
	v_pk_mov_b32 v[20:21], s[6:7], s[6:7] op_sel:[0,1]
	;; [unrolled: 1-line block ×3, first 2 shown]
                                        ; implicit-def: $sgpr4_sgpr5
                                        ; implicit-def: $vgpr46
	s_and_saveexec_b64 s[28:29], vcc
	s_cbranch_execz .LBB1529_72
; %bb.59:
	ds_read2_b32 v[30:31], v50 offset0:7 offset1:8
	s_mov_b32 s4, 0
	v_mov_b32_e32 v11, s54
	v_cmp_eq_u32_e32 vcc, v33, v26
	s_mov_b32 s10, s4
	s_mov_b32 s11, s4
	v_add_u32_e32 v10, 8, v51
	s_waitcnt lgkmcnt(0)
	v_cndmask_b32_e32 v12, v11, v30, vcc
	v_cmp_ne_u32_e32 vcc, v33, v26
	s_mov_b32 s5, s4
	s_mov_b32 s6, s4
	;; [unrolled: 1-line block ×5, first 2 shown]
	v_pk_mov_b32 v[24:25], s[10:11], s[10:11] op_sel:[0,1]
	v_cndmask_b32_e64 v13, 0, 1, vcc
	v_cmp_gt_u32_e32 vcc, s40, v10
	v_mov_b32_e32 v10, s4
	v_mov_b32_e32 v11, s4
	s_mov_b64 s[36:37], 0
	v_pk_mov_b32 v[22:23], s[8:9], s[8:9] op_sel:[0,1]
	v_pk_mov_b32 v[20:21], s[6:7], s[6:7] op_sel:[0,1]
	;; [unrolled: 1-line block ×3, first 2 shown]
                                        ; implicit-def: $sgpr38_sgpr39
                                        ; implicit-def: $vgpr46
	s_and_saveexec_b64 s[30:31], vcc
	s_cbranch_execz .LBB1529_71
; %bb.60:
	v_mov_b32_e32 v10, s54
	v_cmp_eq_u32_e32 vcc, v26, v27
	v_add_u32_e32 v18, 9, v51
	v_cndmask_b32_e32 v10, v10, v31, vcc
	v_cmp_ne_u32_e32 vcc, v26, v27
	v_cndmask_b32_e64 v11, 0, 1, vcc
	v_cmp_gt_u32_e32 vcc, s40, v18
	v_pk_mov_b32 v[24:25], s[10:11], s[10:11] op_sel:[0,1]
	v_pk_mov_b32 v[22:23], s[8:9], s[8:9] op_sel:[0,1]
	;; [unrolled: 1-line block ×4, first 2 shown]
                                        ; implicit-def: $sgpr6_sgpr7
                                        ; implicit-def: $vgpr46
	s_and_saveexec_b64 s[4:5], vcc
	s_cbranch_execz .LBB1529_70
; %bb.61:
	ds_read2_b32 v[30:31], v50 offset0:9 offset1:10
	v_mov_b32_e32 v18, s54
	v_cmp_eq_u32_e32 vcc, v27, v28
	v_add_u32_e32 v20, 10, v51
	v_mov_b32_e32 v22, 0
	s_waitcnt lgkmcnt(0)
	v_cndmask_b32_e32 v18, v18, v30, vcc
	v_cmp_ne_u32_e32 vcc, v27, v28
	v_cndmask_b32_e64 v19, 0, 1, vcc
	v_cmp_gt_u32_e32 vcc, s40, v20
	v_mov_b32_e32 v20, v22
	v_mov_b32_e32 v21, v22
	;; [unrolled: 1-line block ×5, first 2 shown]
	s_mov_b64 s[8:9], 0
                                        ; implicit-def: $sgpr36_sgpr37
                                        ; implicit-def: $vgpr46
	s_and_saveexec_b64 s[6:7], vcc
	s_cbranch_execz .LBB1529_69
; %bb.62:
	v_mov_b32_e32 v20, s54
	v_cmp_eq_u32_e32 vcc, v28, v29
	v_add_u32_e32 v23, 11, v51
	v_cndmask_b32_e32 v20, v20, v31, vcc
	v_cmp_ne_u32_e32 vcc, v28, v29
	v_cndmask_b32_e64 v21, 0, 1, vcc
	v_cmp_gt_u32_e32 vcc, s40, v23
	s_mov_b32 s36, 0
	v_mov_b32_e32 v23, v22
	v_mov_b32_e32 v24, v22
	;; [unrolled: 1-line block ×3, first 2 shown]
	s_mov_b64 s[10:11], 0
                                        ; implicit-def: $sgpr38_sgpr39
                                        ; implicit-def: $vgpr46
	s_and_saveexec_b64 s[8:9], vcc
	s_cbranch_execz .LBB1529_68
; %bb.63:
	ds_read2_b32 v[26:27], v50 offset0:11 offset1:12
	v_mov_b32_e32 v22, s54
	v_cmp_eq_u32_e32 vcc, v29, v44
	v_add_u32_e32 v24, 12, v51
	v_mov_b32_e32 v25, s36
	s_waitcnt lgkmcnt(0)
	v_cndmask_b32_e32 v22, v22, v26, vcc
	v_cmp_ne_u32_e32 vcc, v29, v44
	v_cndmask_b32_e64 v23, 0, 1, vcc
	v_cmp_gt_u32_e32 vcc, s40, v24
	v_mov_b32_e32 v24, s36
	s_mov_b64 s[36:37], 0
                                        ; implicit-def: $sgpr38_sgpr39
                                        ; implicit-def: $vgpr46
	s_and_saveexec_b64 s[10:11], vcc
	s_cbranch_execz .LBB1529_67
; %bb.64:
	v_mov_b32_e32 v24, s54
	v_cmp_eq_u32_e32 vcc, v44, v45
	v_add_u32_e32 v26, 13, v51
	v_cndmask_b32_e32 v24, v24, v27, vcc
	v_cmp_ne_u32_e32 vcc, v44, v45
	v_cndmask_b32_e64 v25, 0, 1, vcc
	v_cmp_gt_u32_e32 vcc, s40, v26
                                        ; implicit-def: $sgpr38_sgpr39
                                        ; implicit-def: $vgpr46
	s_and_saveexec_b64 s[40:41], vcc
	s_xor_b64 s[40:41], exec, s[40:41]
	s_cbranch_execz .LBB1529_66
; %bb.65:
	ds_read_b32 v26, v50 offset:52
	v_mov_b32_e32 v27, s54
	v_cmp_ne_u32_e32 vcc, v45, v49
	s_mov_b64 s[36:37], exec
	s_and_b64 s[38:39], vcc, exec
	s_waitcnt lgkmcnt(0)
	v_cndmask_b32_e32 v46, v26, v27, vcc
.LBB1529_66:
	s_or_b64 exec, exec, s[40:41]
	s_and_b64 s[38:39], s[38:39], exec
	s_and_b64 s[36:37], s[36:37], exec
.LBB1529_67:
	s_or_b64 exec, exec, s[10:11]
	s_and_b64 s[38:39], s[38:39], exec
	s_and_b64 s[10:11], s[36:37], exec
.LBB1529_68:
	s_or_b64 exec, exec, s[8:9]
	s_and_b64 s[36:37], s[38:39], exec
	s_and_b64 s[8:9], s[10:11], exec
.LBB1529_69:
	s_or_b64 exec, exec, s[6:7]
	s_and_b64 s[6:7], s[36:37], exec
	s_and_b64 s[36:37], s[8:9], exec
.LBB1529_70:
	s_or_b64 exec, exec, s[4:5]
	s_and_b64 s[38:39], s[6:7], exec
	s_and_b64 s[36:37], s[36:37], exec
.LBB1529_71:
	s_or_b64 exec, exec, s[30:31]
	s_and_b64 s[4:5], s[38:39], exec
	s_and_b64 s[30:31], s[36:37], exec
.LBB1529_72:
	s_or_b64 exec, exec, s[28:29]
	s_and_b64 s[36:37], s[4:5], exec
	s_and_b64 s[28:29], s[30:31], exec
.LBB1529_73:
	s_or_b64 exec, exec, s[26:27]
	s_and_b64 s[4:5], s[36:37], exec
	s_and_b64 s[28:29], s[28:29], exec
.LBB1529_74:
	s_or_b64 exec, exec, s[24:25]
	s_and_b64 s[26:27], s[4:5], exec
	s_and_b64 s[24:25], s[28:29], exec
.LBB1529_75:
	s_or_b64 exec, exec, s[22:23]
	s_and_b64 s[4:5], s[26:27], exec
	s_and_b64 s[22:23], s[24:25], exec
.LBB1529_76:
	s_or_b64 exec, exec, s[20:21]
	s_and_b64 s[24:25], s[4:5], exec
	s_and_b64 s[20:21], s[22:23], exec
.LBB1529_77:
	s_or_b64 exec, exec, s[18:19]
	s_and_b64 s[4:5], s[24:25], exec
	s_and_b64 s[18:19], s[20:21], exec
.LBB1529_78:
	s_or_b64 exec, exec, s[16:17]
	s_and_b64 s[16:17], s[4:5], exec
	s_and_b64 s[18:19], s[18:19], exec
.LBB1529_79:
	s_or_b64 exec, exec, s[14:15]
	s_and_b64 vcc, exec, s[12:13]
	v_lshlrev_b32_e32 v52, 2, v0
	s_cbranch_vccnz .LBB1529_81
	s_branch .LBB1529_86
.LBB1529_80:
	s_mov_b64 s[18:19], 0
                                        ; implicit-def: $sgpr16_sgpr17
                                        ; implicit-def: $vgpr2_vgpr3_vgpr4_vgpr5_vgpr6_vgpr7_vgpr8_vgpr9
                                        ; implicit-def: $vgpr10_vgpr11_vgpr12_vgpr13_vgpr14_vgpr15_vgpr16_vgpr17
                                        ; implicit-def: $vgpr18_vgpr19_vgpr20_vgpr21_vgpr22_vgpr23_vgpr24_vgpr25
                                        ; implicit-def: $vgpr46
                                        ; implicit-def: $vgpr40_vgpr41
	s_and_b64 vcc, exec, s[12:13]
	v_lshlrev_b32_e32 v52, 2, v0
	s_cbranch_vccz .LBB1529_86
.LBB1529_81:
	v_add_co_u32_e32 v2, vcc, v42, v52
	v_addc_co_u32_e32 v3, vcc, 0, v43, vcc
	v_add_co_u32_e32 v4, vcc, 0x1000, v2
	v_addc_co_u32_e32 v5, vcc, 0, v3, vcc
	flat_load_dword v6, v[2:3]
	flat_load_dword v7, v[2:3] offset:1024
	flat_load_dword v8, v[2:3] offset:2048
	;; [unrolled: 1-line block ×3, first 2 shown]
	flat_load_dword v10, v[4:5]
	flat_load_dword v11, v[4:5] offset:1024
	flat_load_dword v12, v[4:5] offset:2048
	;; [unrolled: 1-line block ×3, first 2 shown]
	v_add_co_u32_e32 v4, vcc, 0x2000, v2
	v_addc_co_u32_e32 v5, vcc, 0, v3, vcc
	v_add_co_u32_e32 v2, vcc, 0x3000, v2
	v_addc_co_u32_e32 v3, vcc, 0, v3, vcc
	flat_load_dword v14, v[4:5]
	flat_load_dword v15, v[4:5] offset:1024
	flat_load_dword v16, v[4:5] offset:2048
	;; [unrolled: 1-line block ×3, first 2 shown]
	flat_load_dword v18, v[2:3]
	flat_load_dword v19, v[2:3] offset:1024
	v_add_co_u32_e32 v2, vcc, 0x3000, v42
	v_addc_co_u32_e32 v3, vcc, 0, v43, vcc
	s_movk_i32 s6, 0xffcc
	s_movk_i32 s9, 0x1000
	s_mov_b32 s4, 0
	s_movk_i32 s8, 0x2000
	s_movk_i32 s5, 0x3000
	s_waitcnt vmcnt(0) lgkmcnt(0)
	ds_write2st64_b32 v52, v6, v7 offset1:4
	ds_write2st64_b32 v52, v8, v9 offset0:8 offset1:12
	ds_write2st64_b32 v52, v10, v11 offset0:16 offset1:20
	;; [unrolled: 1-line block ×6, first 2 shown]
	s_waitcnt lgkmcnt(0)
	s_barrier
	flat_load_dword v34, v[2:3] offset:2048
	v_mad_u32_u24 v6, v0, 52, v52
	v_mad_i32_i24 v2, v0, s6, v6
	s_movk_i32 s6, 0xff
	v_cmp_ne_u32_e32 vcc, s6, v0
	ds_read2_b32 v[26:27], v6 offset1:13
	ds_read2_b32 v[18:19], v6 offset0:7 offset1:8
	ds_read2_b32 v[20:21], v6 offset0:5 offset1:6
	;; [unrolled: 1-line block ×6, first 2 shown]
	s_waitcnt lgkmcnt(0)
	ds_write_b32 v2, v26 offset:15360
	s_waitcnt lgkmcnt(0)
	s_barrier
	s_and_saveexec_b64 s[6:7], vcc
	s_cbranch_execz .LBB1529_83
; %bb.82:
	s_waitcnt vmcnt(0)
	ds_read_b32 v34, v52 offset:15364
.LBB1529_83:
	s_or_b64 exec, exec, s[6:7]
	v_add_co_u32_e32 v2, vcc, v1, v52
	v_addc_co_u32_e32 v3, vcc, 0, v48, vcc
	v_add_co_u32_e32 v4, vcc, s9, v2
	v_addc_co_u32_e32 v5, vcc, 0, v3, vcc
	s_waitcnt lgkmcnt(0)
	s_barrier
	flat_load_dword v1, v[2:3]
	flat_load_dword v7, v[2:3] offset:1024
	flat_load_dword v8, v[2:3] offset:2048
	;; [unrolled: 1-line block ×3, first 2 shown]
	flat_load_dword v14, v[4:5]
	flat_load_dword v15, v[4:5] offset:1024
	flat_load_dword v16, v[4:5] offset:2048
	;; [unrolled: 1-line block ×3, first 2 shown]
	v_add_co_u32_e32 v4, vcc, s8, v2
	v_addc_co_u32_e32 v5, vcc, 0, v3, vcc
	v_add_co_u32_e32 v2, vcc, s5, v2
	v_addc_co_u32_e32 v3, vcc, 0, v3, vcc
	flat_load_dword v22, v[4:5]
	flat_load_dword v23, v[4:5] offset:1024
	flat_load_dword v24, v[4:5] offset:2048
	;; [unrolled: 1-line block ×3, first 2 shown]
	flat_load_dword v32, v[2:3]
	flat_load_dword v33, v[2:3] offset:1024
	s_mov_b32 s5, 1
	v_cmp_eq_u32_e32 vcc, v26, v12
	v_pk_mov_b32 v[40:41], s[4:5], s[4:5] op_sel:[0,1]
	s_waitcnt vmcnt(0) lgkmcnt(0)
	ds_write2st64_b32 v52, v1, v7 offset1:4
	ds_write2st64_b32 v52, v8, v9 offset0:8 offset1:12
	ds_write2st64_b32 v52, v14, v15 offset0:16 offset1:20
	;; [unrolled: 1-line block ×6, first 2 shown]
	s_waitcnt lgkmcnt(0)
	s_barrier
	ds_read2_b32 v[24:25], v6 offset0:7 offset1:8
	ds_read2_b32 v[14:15], v6 offset0:5 offset1:6
	;; [unrolled: 1-line block ×4, first 2 shown]
	ds_read_b32 v1, v6 offset:52
	ds_read2_b32 v[22:23], v6 offset0:11 offset1:12
	ds_read2_b32 v[32:33], v6 offset0:9 offset1:10
	v_mov_b32_e32 v7, s54
	s_and_saveexec_b64 s[4:5], vcc
	s_cbranch_execz .LBB1529_85
; %bb.84:
	ds_read_b32 v7, v6
	v_pk_mov_b32 v[40:41], 0, 0
.LBB1529_85:
	s_or_b64 exec, exec, s[4:5]
	v_mov_b32_e32 v26, s54
	v_cmp_eq_u32_e32 vcc, v12, v13
	s_waitcnt lgkmcnt(3)
	v_cndmask_b32_e32 v8, v26, v4, vcc
	v_cmp_eq_u32_e32 vcc, v13, v10
	v_cndmask_b32_e32 v6, v26, v5, vcc
	v_cmp_eq_u32_e32 vcc, v10, v11
	;; [unrolled: 2-line block ×3, first 2 shown]
	v_cndmask_b32_e32 v2, v26, v3, vcc
	v_cmp_ne_u32_e32 vcc, v12, v13
	v_cndmask_b32_e64 v9, 0, 1, vcc
	v_cmp_ne_u32_e32 vcc, v13, v10
	s_waitcnt lgkmcnt(0)
	v_or_b32_e32 v40, v40, v7
	v_cndmask_b32_e64 v7, 0, 1, vcc
	v_cmp_ne_u32_e32 vcc, v10, v11
	v_cndmask_b32_e64 v5, 0, 1, vcc
	v_cmp_ne_u32_e32 vcc, v11, v20
	v_cndmask_b32_e64 v3, 0, 1, vcc
	v_cmp_eq_u32_e32 vcc, v20, v21
	v_cndmask_b32_e32 v16, v26, v14, vcc
	v_cmp_eq_u32_e32 vcc, v21, v18
	v_cndmask_b32_e32 v14, v26, v15, vcc
	;; [unrolled: 2-line block ×4, first 2 shown]
	v_cmp_ne_u32_e32 vcc, v20, v21
	v_cndmask_b32_e64 v17, 0, 1, vcc
	v_cmp_ne_u32_e32 vcc, v21, v18
	v_cndmask_b32_e64 v15, 0, 1, vcc
	;; [unrolled: 2-line block ×4, first 2 shown]
	v_cmp_eq_u32_e32 vcc, v31, v27
	v_cndmask_b32_e32 v24, v26, v23, vcc
	v_cmp_eq_u32_e32 vcc, v30, v31
	v_cndmask_b32_e32 v22, v26, v22, vcc
	;; [unrolled: 2-line block ×4, first 2 shown]
	v_cmp_ne_u32_e32 vcc, v31, v27
	v_cndmask_b32_e64 v25, 0, 1, vcc
	v_cmp_ne_u32_e32 vcc, v30, v31
	v_cndmask_b32_e64 v23, 0, 1, vcc
	;; [unrolled: 2-line block ×3, first 2 shown]
	v_cmp_ne_u32_e32 vcc, v28, v29
	v_cmp_ne_u32_e64 s[16:17], v27, v34
	v_cndmask_b32_e64 v19, 0, 1, vcc
	v_cndmask_b32_e64 v46, v1, v26, s[16:17]
	s_mov_b64 s[18:19], -1
                                        ; implicit-def: $sgpr12_sgpr13
.LBB1529_86:
	v_pk_mov_b32 v[42:43], s[12:13], s[12:13] op_sel:[0,1]
	s_and_saveexec_b64 s[4:5], s[18:19]
; %bb.87:
	v_cndmask_b32_e64 v47, 0, 1, s[16:17]
	v_pk_mov_b32 v[42:43], v[46:47], v[46:47] op_sel:[0,1]
; %bb.88:
	s_or_b64 exec, exec, s[4:5]
	s_mov_b32 s28, 0
	s_cmp_lg_u32 s47, 0
	v_mbcnt_lo_u32_b32 v54, -1, 0
	v_lshrrev_b32_e32 v1, 6, v0
	v_or_b32_e32 v53, 63, v0
	s_barrier
	s_cbranch_scc0 .LBB1529_129
; %bb.89:
	s_mov_b32 s29, 1
	v_cmp_gt_u64_e64 s[4:5], s[28:29], v[8:9]
	v_cndmask_b32_e64 v27, 0, v40, s[4:5]
	v_add_u32_e32 v27, v27, v8
	v_cmp_gt_u64_e64 s[6:7], s[28:29], v[6:7]
	v_cndmask_b32_e64 v27, 0, v27, s[6:7]
	v_add_u32_e32 v27, v27, v6
	;; [unrolled: 3-line block ×12, first 2 shown]
	v_cmp_gt_u64_e32 vcc, s[28:29], v[42:43]
	v_cndmask_b32_e32 v27, 0, v27, vcc
	v_add_u32_e32 v28, v27, v42
	v_or3_b32 v27, v43, v25, v23
	v_or3_b32 v27, v27, v21, v19
	;; [unrolled: 1-line block ×6, first 2 shown]
	v_mov_b32_e32 v26, 0
	v_and_b32_e32 v27, 1, v27
	v_cmp_eq_u64_e32 vcc, 0, v[26:27]
	v_cndmask_b32_e32 v27, 1, v41, vcc
	v_and_b32_e32 v29, 0xff, v27
	v_mov_b32_dpp v31, v28 row_shr:1 row_mask:0xf bank_mask:0xf
	v_cmp_eq_u16_e32 vcc, 0, v29
	v_mov_b32_dpp v32, v29 row_shr:1 row_mask:0xf bank_mask:0xf
	v_and_b32_e32 v33, 1, v27
	v_mbcnt_hi_u32_b32 v48, -1, v54
	v_cndmask_b32_e32 v31, 0, v31, vcc
	v_and_b32_e32 v32, 1, v32
	v_cmp_eq_u32_e32 vcc, 1, v33
	v_and_b32_e32 v30, 15, v48
	v_cndmask_b32_e64 v32, v32, 1, vcc
	v_and_b32_e32 v33, 0xffff, v32
	v_cmp_eq_u32_e32 vcc, 0, v30
	v_cndmask_b32_e32 v27, v32, v27, vcc
	v_cndmask_b32_e32 v29, v33, v29, vcc
	v_and_b32_e32 v33, 1, v27
	v_cndmask_b32_e64 v31, v31, 0, vcc
	v_mov_b32_dpp v32, v29 row_shr:2 row_mask:0xf bank_mask:0xf
	v_and_b32_e32 v32, 1, v32
	v_cmp_eq_u32_e32 vcc, 1, v33
	v_cndmask_b32_e64 v32, v32, 1, vcc
	v_and_b32_e32 v33, 0xffff, v32
	v_cmp_lt_u32_e32 vcc, 1, v30
	v_add_u32_e32 v28, v31, v28
	v_cmp_eq_u16_sdwa s[28:29], v27, v26 src0_sel:BYTE_0 src1_sel:DWORD
	v_cndmask_b32_e32 v27, v27, v32, vcc
	v_cndmask_b32_e32 v29, v29, v33, vcc
	v_mov_b32_dpp v31, v28 row_shr:2 row_mask:0xf bank_mask:0xf
	s_and_b64 vcc, vcc, s[28:29]
	v_mov_b32_dpp v32, v29 row_shr:4 row_mask:0xf bank_mask:0xf
	v_and_b32_e32 v33, 1, v27
	v_cndmask_b32_e32 v31, 0, v31, vcc
	v_and_b32_e32 v32, 1, v32
	v_cmp_eq_u32_e32 vcc, 1, v33
	v_cndmask_b32_e64 v32, v32, 1, vcc
	v_and_b32_e32 v33, 0xffff, v32
	v_cmp_lt_u32_e32 vcc, 3, v30
	v_add_u32_e32 v28, v31, v28
	v_cmp_eq_u16_sdwa s[28:29], v27, v26 src0_sel:BYTE_0 src1_sel:DWORD
	v_cndmask_b32_e32 v27, v27, v32, vcc
	v_cndmask_b32_e32 v29, v29, v33, vcc
	v_mov_b32_dpp v31, v28 row_shr:4 row_mask:0xf bank_mask:0xf
	s_and_b64 vcc, vcc, s[28:29]
	v_mov_b32_dpp v32, v29 row_shr:8 row_mask:0xf bank_mask:0xf
	v_and_b32_e32 v33, 1, v27
	v_cndmask_b32_e32 v31, 0, v31, vcc
	v_and_b32_e32 v32, 1, v32
	v_cmp_eq_u32_e32 vcc, 1, v33
	v_cndmask_b32_e64 v32, v32, 1, vcc
	v_add_u32_e32 v28, v31, v28
	v_cmp_eq_u16_sdwa s[28:29], v27, v26 src0_sel:BYTE_0 src1_sel:DWORD
	v_and_b32_e32 v33, 0xffff, v32
	v_cmp_lt_u32_e32 vcc, 7, v30
	v_mov_b32_dpp v31, v28 row_shr:8 row_mask:0xf bank_mask:0xf
	v_cndmask_b32_e32 v27, v27, v32, vcc
	v_cndmask_b32_e32 v29, v29, v33, vcc
	s_and_b64 vcc, vcc, s[28:29]
	v_cndmask_b32_e32 v30, 0, v31, vcc
	v_add_u32_e32 v28, v30, v28
	v_mov_b32_dpp v31, v29 row_bcast:15 row_mask:0xf bank_mask:0xf
	v_cmp_eq_u16_sdwa vcc, v27, v26 src0_sel:BYTE_0 src1_sel:DWORD
	v_mov_b32_dpp v30, v28 row_bcast:15 row_mask:0xf bank_mask:0xf
	v_and_b32_e32 v34, 1, v27
	v_cndmask_b32_e32 v30, 0, v30, vcc
	v_and_b32_e32 v31, 1, v31
	v_cmp_eq_u32_e32 vcc, 1, v34
	v_and_b32_e32 v33, 16, v48
	v_cndmask_b32_e64 v31, v31, 1, vcc
	v_and_b32_e32 v34, 0xffff, v31
	v_cmp_eq_u32_e32 vcc, 0, v33
	v_cndmask_b32_e32 v27, v31, v27, vcc
	v_cndmask_b32_e32 v29, v34, v29, vcc
	v_bfe_i32 v32, v48, 4, 1
	v_cmp_eq_u16_sdwa s[28:29], v27, v26 src0_sel:BYTE_0 src1_sel:DWORD
	v_mov_b32_dpp v29, v29 row_bcast:31 row_mask:0xf bank_mask:0xf
	v_and_b32_e32 v26, 1, v27
	v_and_b32_e32 v30, v32, v30
	;; [unrolled: 1-line block ×3, first 2 shown]
	v_cmp_eq_u32_e32 vcc, 1, v26
	v_add_u32_e32 v28, v30, v28
	v_cndmask_b32_e64 v26, v29, 1, vcc
	v_cmp_lt_u32_e32 vcc, 31, v48
	v_mov_b32_dpp v30, v28 row_bcast:31 row_mask:0xf bank_mask:0xf
	v_cndmask_b32_e32 v29, v27, v26, vcc
	s_and_b64 vcc, vcc, s[28:29]
	v_cndmask_b32_e32 v26, 0, v30, vcc
	v_add_u32_e32 v28, v26, v28
	v_cmp_eq_u32_e32 vcc, v53, v0
	s_and_saveexec_b64 s[28:29], vcc
	s_cbranch_execz .LBB1529_91
; %bb.90:
	v_lshlrev_b32_e32 v26, 3, v1
	ds_write_b32 v26, v28
	ds_write_b8 v26, v29 offset:4
.LBB1529_91:
	s_or_b64 exec, exec, s[28:29]
	v_cmp_gt_u32_e32 vcc, 4, v0
	s_waitcnt lgkmcnt(0)
	s_barrier
	s_and_saveexec_b64 s[28:29], vcc
	s_cbranch_execz .LBB1529_95
; %bb.92:
	v_lshlrev_b32_e32 v30, 3, v0
	ds_read_b64 v[26:27], v30
	v_and_b32_e32 v31, 3, v48
	v_cmp_ne_u32_e32 vcc, 0, v31
	s_waitcnt lgkmcnt(0)
	v_mov_b32_dpp v32, v26 row_shr:1 row_mask:0xf bank_mask:0xf
	v_mov_b32_dpp v34, v27 row_shr:1 row_mask:0xf bank_mask:0xf
	v_mov_b32_e32 v33, v27
	s_and_saveexec_b64 s[30:31], vcc
	s_cbranch_execz .LBB1529_94
; %bb.93:
	v_and_b32_e32 v33, 1, v27
	v_and_b32_e32 v34, 1, v34
	v_cmp_eq_u32_e32 vcc, 1, v33
	v_mov_b32_e32 v33, 0
	v_cndmask_b32_e64 v34, v34, 1, vcc
	v_cmp_eq_u16_sdwa vcc, v27, v33 src0_sel:BYTE_0 src1_sel:DWORD
	v_cndmask_b32_e32 v32, 0, v32, vcc
	v_add_u32_e32 v26, v32, v26
	v_and_b32_e32 v32, 0xffff, v34
	s_movk_i32 s36, 0xff00
	v_and_or_b32 v33, v27, s36, v32
	v_mov_b32_e32 v27, v34
.LBB1529_94:
	s_or_b64 exec, exec, s[30:31]
	v_mov_b32_dpp v33, v33 row_shr:2 row_mask:0xf bank_mask:0xf
	v_and_b32_e32 v34, 1, v27
	v_and_b32_e32 v33, 1, v33
	v_cmp_eq_u32_e32 vcc, 1, v34
	v_mov_b32_e32 v34, 0
	v_cndmask_b32_e64 v33, v33, 1, vcc
	v_cmp_eq_u16_sdwa s[30:31], v27, v34 src0_sel:BYTE_0 src1_sel:DWORD
	v_cmp_lt_u32_e32 vcc, 1, v31
	v_mov_b32_dpp v32, v26 row_shr:2 row_mask:0xf bank_mask:0xf
	v_cndmask_b32_e32 v27, v27, v33, vcc
	s_and_b64 vcc, vcc, s[30:31]
	v_cndmask_b32_e32 v31, 0, v32, vcc
	v_add_u32_e32 v26, v31, v26
	ds_write_b32 v30, v26
	ds_write_b8 v30, v27 offset:4
.LBB1529_95:
	s_or_b64 exec, exec, s[28:29]
	v_cmp_gt_u32_e32 vcc, 64, v0
	v_cmp_lt_u32_e64 s[28:29], 63, v0
	v_mov_b32_e32 v44, 0
	v_mov_b32_e32 v45, 0
	s_waitcnt lgkmcnt(0)
	s_barrier
	s_and_saveexec_b64 s[30:31], s[28:29]
	s_cbranch_execz .LBB1529_97
; %bb.96:
	v_lshl_add_u32 v26, v1, 3, -8
	ds_read_b32 v44, v26
	ds_read_u8 v45, v26 offset:4
	v_mov_b32_e32 v27, 0
	v_and_b32_e32 v30, 1, v29
	v_cmp_eq_u16_sdwa s[28:29], v29, v27 src0_sel:BYTE_0 src1_sel:DWORD
	s_waitcnt lgkmcnt(1)
	v_cndmask_b32_e64 v26, 0, v44, s[28:29]
	v_cmp_eq_u32_e64 s[28:29], 1, v30
	v_add_u32_e32 v28, v26, v28
	s_waitcnt lgkmcnt(0)
	v_cndmask_b32_e64 v29, v45, 1, s[28:29]
.LBB1529_97:
	s_or_b64 exec, exec, s[30:31]
	v_and_b32_e32 v26, 0xff, v29
	v_add_u32_e32 v27, -1, v48
	v_and_b32_e32 v29, 64, v48
	v_cmp_lt_i32_e64 s[28:29], v27, v29
	v_cndmask_b32_e64 v27, v27, v48, s[28:29]
	v_lshlrev_b32_e32 v27, 2, v27
	ds_bpermute_b32 v46, v27, v28
	ds_bpermute_b32 v47, v27, v26
	v_cmp_eq_u32_e64 s[28:29], 0, v48
	s_and_saveexec_b64 s[36:37], vcc
	s_cbranch_execz .LBB1529_116
; %bb.98:
	v_mov_b32_e32 v29, 0
	ds_read_b64 v[26:27], v29 offset:24
	s_waitcnt lgkmcnt(0)
	v_readfirstlane_b32 s48, v27
	s_and_saveexec_b64 s[30:31], s[28:29]
	s_cbranch_execz .LBB1529_100
; %bb.99:
	s_add_i32 s38, s47, 64
	s_mov_b32 s39, 0
	s_lshl_b64 s[40:41], s[38:39], 4
	s_add_u32 s40, s44, s40
	s_addc_u32 s41, s45, s41
	s_and_b32 s57, s48, 0xff000000
	s_mov_b32 s56, s39
	s_and_b32 s59, s48, 0xff0000
	s_mov_b32 s58, s39
	s_or_b64 s[56:57], s[58:59], s[56:57]
	s_and_b32 s59, s48, 0xff00
	s_or_b64 s[56:57], s[56:57], s[58:59]
	s_and_b32 s59, s48, 0xff
	s_or_b64 s[38:39], s[56:57], s[58:59]
	v_mov_b32_e32 v27, s39
	v_mov_b32_e32 v28, 1
	v_pk_mov_b32 v[30:31], s[40:41], s[40:41] op_sel:[0,1]
	;;#ASMSTART
	global_store_dwordx4 v[30:31], v[26:29] off	
s_waitcnt vmcnt(0)
	;;#ASMEND
.LBB1529_100:
	s_or_b64 exec, exec, s[30:31]
	v_xad_u32 v34, v48, -1, s47
	v_add_u32_e32 v28, 64, v34
	v_lshlrev_b64 v[30:31], 4, v[28:29]
	v_mov_b32_e32 v27, s45
	v_add_co_u32_e32 v36, vcc, s44, v30
	v_addc_co_u32_e32 v37, vcc, v27, v31, vcc
	;;#ASMSTART
	global_load_dwordx4 v[30:33], v[36:37] off glc	
s_waitcnt vmcnt(0)
	;;#ASMEND
	v_and_b32_e32 v27, 0xff0000, v30
	v_or_b32_sdwa v27, v30, v27 dst_sel:DWORD dst_unused:UNUSED_PAD src0_sel:WORD_0 src1_sel:DWORD
	v_and_b32_e32 v28, 0xff000000, v30
	v_and_b32_e32 v30, 0xff, v31
	v_or3_b32 v31, 0, 0, v30
	v_or3_b32 v30, v27, v28, 0
	v_cmp_eq_u16_sdwa s[38:39], v32, v29 src0_sel:BYTE_0 src1_sel:DWORD
	s_and_saveexec_b64 s[30:31], s[38:39]
	s_cbranch_execz .LBB1529_104
; %bb.101:
	s_mov_b64 s[38:39], 0
	v_mov_b32_e32 v27, 0
.LBB1529_102:                           ; =>This Inner Loop Header: Depth=1
	;;#ASMSTART
	global_load_dwordx4 v[30:33], v[36:37] off glc	
s_waitcnt vmcnt(0)
	;;#ASMEND
	v_cmp_ne_u16_sdwa s[40:41], v32, v27 src0_sel:BYTE_0 src1_sel:DWORD
	s_or_b64 s[38:39], s[40:41], s[38:39]
	s_andn2_b64 exec, exec, s[38:39]
	s_cbranch_execnz .LBB1529_102
; %bb.103:
	s_or_b64 exec, exec, s[38:39]
	v_and_b32_e32 v31, 0xff, v31
.LBB1529_104:
	s_or_b64 exec, exec, s[30:31]
	v_mov_b32_e32 v27, 2
	v_cmp_eq_u16_sdwa s[30:31], v32, v27 src0_sel:BYTE_0 src1_sel:DWORD
	v_lshlrev_b64 v[28:29], v48, -1
	v_and_b32_e32 v33, s31, v29
	v_or_b32_e32 v33, 0x80000000, v33
	v_and_b32_e32 v35, s30, v28
	v_ffbl_b32_e32 v33, v33
	v_and_b32_e32 v49, 63, v48
	v_add_u32_e32 v33, 32, v33
	v_ffbl_b32_e32 v35, v35
	v_cmp_ne_u32_e32 vcc, 63, v49
	v_min_u32_e32 v33, v35, v33
	v_addc_co_u32_e32 v35, vcc, 0, v48, vcc
	v_lshlrev_b32_e32 v50, 2, v35
	ds_bpermute_b32 v35, v50, v31
	ds_bpermute_b32 v36, v50, v30
	s_mov_b32 s38, 0
	v_and_b32_e32 v37, 1, v31
	s_mov_b32 s39, 1
	s_waitcnt lgkmcnt(1)
	v_and_b32_e32 v35, 1, v35
	v_cmp_eq_u32_e32 vcc, 1, v37
	v_cndmask_b32_e64 v35, v35, 1, vcc
	v_cmp_gt_u64_e32 vcc, s[38:39], v[30:31]
	v_cmp_lt_u32_e64 s[30:31], v49, v33
	s_and_b64 vcc, s[30:31], vcc
	v_and_b32_e32 v37, 0xffff, v35
	v_cndmask_b32_e64 v56, v31, v35, s[30:31]
	s_waitcnt lgkmcnt(0)
	v_cndmask_b32_e32 v35, 0, v36, vcc
	v_cmp_gt_u32_e32 vcc, 62, v49
	v_cndmask_b32_e64 v36, 0, 1, vcc
	v_lshlrev_b32_e32 v36, 1, v36
	v_cndmask_b32_e64 v31, v31, v37, s[30:31]
	v_add_lshl_u32 v51, v36, v48, 2
	ds_bpermute_b32 v36, v51, v31
	v_add_u32_e32 v30, v35, v30
	ds_bpermute_b32 v37, v51, v30
	v_and_b32_e32 v35, 1, v56
	v_cmp_eq_u32_e32 vcc, 1, v35
	s_waitcnt lgkmcnt(1)
	v_and_b32_e32 v36, 1, v36
	v_mov_b32_e32 v35, 0
	v_add_u32_e32 v55, 2, v49
	v_cndmask_b32_e64 v36, v36, 1, vcc
	v_cmp_eq_u16_sdwa vcc, v56, v35 src0_sel:BYTE_0 src1_sel:DWORD
	v_and_b32_e32 v57, 0xffff, v36
	s_waitcnt lgkmcnt(0)
	v_cndmask_b32_e32 v37, 0, v37, vcc
	v_cmp_gt_u32_e32 vcc, v55, v33
	v_cndmask_b32_e32 v36, v36, v56, vcc
	v_cndmask_b32_e64 v37, v37, 0, vcc
	v_cndmask_b32_e32 v31, v57, v31, vcc
	v_cmp_gt_u32_e32 vcc, 60, v49
	v_cndmask_b32_e64 v56, 0, 1, vcc
	v_lshlrev_b32_e32 v56, 2, v56
	v_add_lshl_u32 v56, v56, v48, 2
	ds_bpermute_b32 v58, v56, v31
	v_add_u32_e32 v30, v37, v30
	ds_bpermute_b32 v37, v56, v30
	v_and_b32_e32 v59, 1, v36
	v_cmp_eq_u32_e32 vcc, 1, v59
	s_waitcnt lgkmcnt(1)
	v_and_b32_e32 v58, 1, v58
	v_add_u32_e32 v57, 4, v49
	v_cndmask_b32_e64 v58, v58, 1, vcc
	v_cmp_eq_u16_sdwa vcc, v36, v35 src0_sel:BYTE_0 src1_sel:DWORD
	v_and_b32_e32 v59, 0xffff, v58
	s_waitcnt lgkmcnt(0)
	v_cndmask_b32_e32 v37, 0, v37, vcc
	v_cmp_gt_u32_e32 vcc, v57, v33
	v_cndmask_b32_e32 v36, v58, v36, vcc
	v_cndmask_b32_e64 v37, v37, 0, vcc
	v_cndmask_b32_e32 v31, v59, v31, vcc
	v_cmp_gt_u32_e32 vcc, 56, v49
	v_cndmask_b32_e64 v58, 0, 1, vcc
	v_lshlrev_b32_e32 v58, 3, v58
	v_add_lshl_u32 v58, v58, v48, 2
	ds_bpermute_b32 v60, v58, v31
	v_add_u32_e32 v30, v37, v30
	ds_bpermute_b32 v37, v58, v30
	v_and_b32_e32 v61, 1, v36
	v_cmp_eq_u32_e32 vcc, 1, v61
	s_waitcnt lgkmcnt(1)
	v_and_b32_e32 v60, 1, v60
	;; [unrolled: 21-line block ×4, first 2 shown]
	v_add_u32_e32 v64, 32, v49
	v_cndmask_b32_e64 v31, v31, 1, vcc
	v_cmp_eq_u16_sdwa vcc, v36, v35 src0_sel:BYTE_0 src1_sel:DWORD
	s_waitcnt lgkmcnt(0)
	v_cndmask_b32_e32 v37, 0, v37, vcc
	v_cmp_gt_u32_e32 vcc, v64, v33
	v_cndmask_b32_e64 v33, v37, 0, vcc
	v_cndmask_b32_e32 v31, v31, v36, vcc
	v_add_u32_e32 v30, v33, v30
	s_branch .LBB1529_106
.LBB1529_105:                           ;   in Loop: Header=BB1529_106 Depth=1
	s_or_b64 exec, exec, s[30:31]
	v_cmp_eq_u16_sdwa s[30:31], v32, v27 src0_sel:BYTE_0 src1_sel:DWORD
	v_and_b32_e32 v33, s31, v29
	ds_bpermute_b32 v37, v50, v31
	v_or_b32_e32 v33, 0x80000000, v33
	v_and_b32_e32 v36, s30, v28
	v_ffbl_b32_e32 v33, v33
	v_add_u32_e32 v33, 32, v33
	v_ffbl_b32_e32 v36, v36
	v_min_u32_e32 v33, v36, v33
	ds_bpermute_b32 v36, v50, v30
	v_and_b32_e32 v65, 1, v31
	s_waitcnt lgkmcnt(1)
	v_and_b32_e32 v37, 1, v37
	v_cmp_eq_u32_e32 vcc, 1, v65
	v_cndmask_b32_e64 v37, v37, 1, vcc
	v_cmp_gt_u64_e32 vcc, s[38:39], v[30:31]
	v_and_b32_e32 v65, 0xffff, v37
	v_cmp_lt_u32_e64 s[30:31], v49, v33
	v_cndmask_b32_e64 v37, v31, v37, s[30:31]
	v_cndmask_b32_e64 v31, v31, v65, s[30:31]
	s_and_b64 vcc, s[30:31], vcc
	ds_bpermute_b32 v65, v51, v31
	s_waitcnt lgkmcnt(1)
	v_cndmask_b32_e32 v36, 0, v36, vcc
	v_add_u32_e32 v30, v36, v30
	ds_bpermute_b32 v36, v51, v30
	v_and_b32_e32 v66, 1, v37
	s_waitcnt lgkmcnt(1)
	v_and_b32_e32 v65, 1, v65
	v_cmp_eq_u32_e32 vcc, 1, v66
	v_cndmask_b32_e64 v65, v65, 1, vcc
	v_cmp_eq_u16_sdwa vcc, v37, v35 src0_sel:BYTE_0 src1_sel:DWORD
	v_and_b32_e32 v66, 0xffff, v65
	s_waitcnt lgkmcnt(0)
	v_cndmask_b32_e32 v36, 0, v36, vcc
	v_cmp_gt_u32_e32 vcc, v55, v33
	v_cndmask_b32_e32 v31, v66, v31, vcc
	v_cndmask_b32_e32 v37, v65, v37, vcc
	ds_bpermute_b32 v65, v56, v31
	v_cndmask_b32_e64 v36, v36, 0, vcc
	v_add_u32_e32 v30, v36, v30
	ds_bpermute_b32 v36, v56, v30
	v_and_b32_e32 v66, 1, v37
	s_waitcnt lgkmcnt(1)
	v_and_b32_e32 v65, 1, v65
	v_cmp_eq_u32_e32 vcc, 1, v66
	v_cndmask_b32_e64 v65, v65, 1, vcc
	v_cmp_eq_u16_sdwa vcc, v37, v35 src0_sel:BYTE_0 src1_sel:DWORD
	v_and_b32_e32 v66, 0xffff, v65
	s_waitcnt lgkmcnt(0)
	v_cndmask_b32_e32 v36, 0, v36, vcc
	v_cmp_gt_u32_e32 vcc, v57, v33
	v_cndmask_b32_e32 v31, v66, v31, vcc
	v_cndmask_b32_e32 v37, v65, v37, vcc
	ds_bpermute_b32 v65, v58, v31
	v_cndmask_b32_e64 v36, v36, 0, vcc
	;; [unrolled: 16-line block ×3, first 2 shown]
	v_add_u32_e32 v30, v36, v30
	ds_bpermute_b32 v36, v60, v30
	v_and_b32_e32 v66, 1, v37
	s_waitcnt lgkmcnt(1)
	v_and_b32_e32 v65, 1, v65
	v_cmp_eq_u32_e32 vcc, 1, v66
	v_cndmask_b32_e64 v65, v65, 1, vcc
	v_cmp_eq_u16_sdwa vcc, v37, v35 src0_sel:BYTE_0 src1_sel:DWORD
	v_and_b32_e32 v66, 0xffff, v65
	s_waitcnt lgkmcnt(0)
	v_cndmask_b32_e32 v36, 0, v36, vcc
	v_cmp_gt_u32_e32 vcc, v61, v33
	v_cndmask_b32_e64 v36, v36, 0, vcc
	v_cndmask_b32_e32 v31, v66, v31, vcc
	ds_bpermute_b32 v31, v63, v31
	v_add_u32_e32 v30, v36, v30
	ds_bpermute_b32 v36, v63, v30
	v_cndmask_b32_e32 v37, v65, v37, vcc
	v_and_b32_e32 v65, 1, v37
	v_cmp_eq_u32_e32 vcc, 1, v65
	s_waitcnt lgkmcnt(1)
	v_cndmask_b32_e64 v31, v31, 1, vcc
	v_cmp_eq_u16_sdwa vcc, v37, v35 src0_sel:BYTE_0 src1_sel:DWORD
	s_waitcnt lgkmcnt(0)
	v_cndmask_b32_e32 v36, 0, v36, vcc
	v_cmp_gt_u32_e32 vcc, v64, v33
	v_cndmask_b32_e64 v33, v36, 0, vcc
	v_cndmask_b32_e32 v31, v31, v37, vcc
	v_add_u32_e32 v30, v33, v30
	v_cmp_eq_u16_sdwa vcc, v48, v35 src0_sel:BYTE_0 src1_sel:DWORD
	v_and_b32_e32 v33, 1, v48
	v_cndmask_b32_e32 v30, 0, v30, vcc
	v_and_b32_e32 v31, 1, v31
	v_cmp_eq_u32_e32 vcc, 1, v33
	v_subrev_u32_e32 v34, 64, v34
	v_add_u32_e32 v30, v30, v62
	v_cndmask_b32_e64 v31, v31, 1, vcc
.LBB1529_106:                           ; =>This Loop Header: Depth=1
                                        ;     Child Loop BB1529_109 Depth 2
	v_cmp_ne_u16_sdwa s[30:31], v32, v27 src0_sel:BYTE_0 src1_sel:DWORD
	v_mov_b32_e32 v48, v31
	v_cndmask_b32_e64 v31, 0, 1, s[30:31]
	;;#ASMSTART
	;;#ASMEND
	v_cmp_ne_u32_e32 vcc, 0, v31
	s_cmp_lg_u64 vcc, exec
	v_mov_b32_e32 v62, v30
	s_cbranch_scc1 .LBB1529_111
; %bb.107:                              ;   in Loop: Header=BB1529_106 Depth=1
	v_lshlrev_b64 v[30:31], 4, v[34:35]
	v_mov_b32_e32 v32, s45
	v_add_co_u32_e32 v36, vcc, s44, v30
	v_addc_co_u32_e32 v37, vcc, v32, v31, vcc
	;;#ASMSTART
	global_load_dwordx4 v[30:33], v[36:37] off glc	
s_waitcnt vmcnt(0)
	;;#ASMEND
	v_and_b32_e32 v33, 0xff0000, v30
	v_or_b32_sdwa v33, v30, v33 dst_sel:DWORD dst_unused:UNUSED_PAD src0_sel:WORD_0 src1_sel:DWORD
	v_and_b32_e32 v30, 0xff000000, v30
	v_and_b32_e32 v31, 0xff, v31
	v_or3_b32 v31, 0, 0, v31
	v_or3_b32 v30, v33, v30, 0
	v_cmp_eq_u16_sdwa s[40:41], v32, v35 src0_sel:BYTE_0 src1_sel:DWORD
	s_and_saveexec_b64 s[30:31], s[40:41]
	s_cbranch_execz .LBB1529_105
; %bb.108:                              ;   in Loop: Header=BB1529_106 Depth=1
	s_mov_b64 s[40:41], 0
.LBB1529_109:                           ;   Parent Loop BB1529_106 Depth=1
                                        ; =>  This Inner Loop Header: Depth=2
	;;#ASMSTART
	global_load_dwordx4 v[30:33], v[36:37] off glc	
s_waitcnt vmcnt(0)
	;;#ASMEND
	v_cmp_ne_u16_sdwa s[56:57], v32, v35 src0_sel:BYTE_0 src1_sel:DWORD
	s_or_b64 s[40:41], s[56:57], s[40:41]
	s_andn2_b64 exec, exec, s[40:41]
	s_cbranch_execnz .LBB1529_109
; %bb.110:                              ;   in Loop: Header=BB1529_106 Depth=1
	s_or_b64 exec, exec, s[40:41]
	v_and_b32_e32 v31, 0xff, v31
	s_branch .LBB1529_105
.LBB1529_111:                           ;   in Loop: Header=BB1529_106 Depth=1
                                        ; implicit-def: $vgpr31
                                        ; implicit-def: $vgpr30
                                        ; implicit-def: $vgpr32
	s_cbranch_execz .LBB1529_106
; %bb.112:
	s_and_saveexec_b64 s[30:31], s[28:29]
	s_cbranch_execz .LBB1529_114
; %bb.113:
	s_and_b32 s38, s48, 0xff
	s_cmp_eq_u32 s38, 0
	s_cselect_b64 vcc, -1, 0
	s_bitcmp1_b32 s48, 0
	s_mov_b32 s39, 0
	s_cselect_b64 s[40:41], -1, 0
	s_add_i32 s38, s47, 64
	s_lshl_b64 s[38:39], s[38:39], 4
	v_cndmask_b32_e32 v27, 0, v62, vcc
	s_add_u32 s38, s44, s38
	v_add_u32_e32 v26, v27, v26
	v_and_b32_e32 v27, 1, v48
	s_addc_u32 s39, s45, s39
	v_mov_b32_e32 v29, 0
	v_cndmask_b32_e64 v27, v27, 1, s[40:41]
	v_mov_b32_e32 v28, 2
	v_pk_mov_b32 v[30:31], s[38:39], s[38:39] op_sel:[0,1]
	;;#ASMSTART
	global_store_dwordx4 v[30:31], v[26:29] off	
s_waitcnt vmcnt(0)
	;;#ASMEND
.LBB1529_114:
	s_or_b64 exec, exec, s[30:31]
	s_and_b64 exec, exec, s[0:1]
	s_cbranch_execz .LBB1529_116
; %bb.115:
	v_mov_b32_e32 v26, 0
	ds_write_b32 v26, v62 offset:24
	ds_write_b8 v26, v48 offset:28
.LBB1529_116:
	s_or_b64 exec, exec, s[36:37]
	v_mov_b32_e32 v28, 0
	s_waitcnt lgkmcnt(0)
	s_barrier
	ds_read_b32 v26, v28 offset:24
	v_cndmask_b32_e64 v27, v47, v45, s[28:29]
	v_cmp_eq_u16_sdwa vcc, v27, v28 src0_sel:BYTE_0 src1_sel:DWORD
	v_cndmask_b32_e64 v29, v46, v44, s[28:29]
	s_waitcnt lgkmcnt(0)
	v_cndmask_b32_e32 v27, 0, v26, vcc
	v_add_u32_e32 v27, v27, v29
	v_and_b32_e32 v29, 0xff, v41
	v_cndmask_b32_e64 v26, v27, v26, s[0:1]
	v_cmp_eq_u64_e32 vcc, 0, v[28:29]
	v_cndmask_b32_e32 v27, 0, v26, vcc
	v_add_u32_e32 v27, v27, v40
	v_cndmask_b32_e64 v28, 0, v27, s[4:5]
	v_add_u32_e32 v44, v28, v8
	v_cndmask_b32_e64 v28, 0, v44, s[6:7]
	;; [unrolled: 2-line block ×12, first 2 shown]
	v_add_u32_e32 v51, v28, v24
	s_branch .LBB1529_143
.LBB1529_117:
	s_or_b64 exec, exec, s[30:31]
                                        ; implicit-def: $vgpr14
	s_and_saveexec_b64 s[30:31], s[4:5]
	s_cbranch_execz .LBB1529_37
.LBB1529_118:
	v_add_co_u32_e32 v14, vcc, v1, v12
	v_addc_co_u32_e32 v15, vcc, 0, v48, vcc
	flat_load_dword v14, v[14:15] offset:1024
	s_or_b64 exec, exec, s[30:31]
                                        ; implicit-def: $vgpr15
	s_and_saveexec_b64 s[4:5], s[6:7]
	s_cbranch_execnz .LBB1529_38
.LBB1529_119:
	s_or_b64 exec, exec, s[4:5]
                                        ; implicit-def: $vgpr16
	s_and_saveexec_b64 s[4:5], s[8:9]
	s_cbranch_execz .LBB1529_39
.LBB1529_120:
	v_add_co_u32_e32 v16, vcc, v1, v12
	v_addc_co_u32_e32 v17, vcc, 0, v48, vcc
	flat_load_dword v16, v[16:17] offset:3072
	s_or_b64 exec, exec, s[4:5]
                                        ; implicit-def: $vgpr17
	s_and_saveexec_b64 s[4:5], s[10:11]
	s_cbranch_execnz .LBB1529_40
.LBB1529_121:
	s_or_b64 exec, exec, s[4:5]
                                        ; implicit-def: $vgpr2
	s_and_saveexec_b64 s[4:5], s[12:13]
	s_cbranch_execz .LBB1529_41
.LBB1529_122:
	v_add_co_u32_e32 v2, vcc, v1, v3
	v_addc_co_u32_e32 v3, vcc, 0, v48, vcc
	flat_load_dword v2, v[2:3]
	s_or_b64 exec, exec, s[4:5]
                                        ; implicit-def: $vgpr3
	s_and_saveexec_b64 s[4:5], s[14:15]
	s_cbranch_execnz .LBB1529_42
.LBB1529_123:
	s_or_b64 exec, exec, s[4:5]
                                        ; implicit-def: $vgpr4
	s_and_saveexec_b64 s[4:5], s[16:17]
	s_cbranch_execz .LBB1529_43
.LBB1529_124:
	v_add_co_u32_e32 v4, vcc, v1, v5
	v_addc_co_u32_e32 v5, vcc, 0, v48, vcc
	flat_load_dword v4, v[4:5]
	s_or_b64 exec, exec, s[4:5]
                                        ; implicit-def: $vgpr5
	s_and_saveexec_b64 s[4:5], s[18:19]
	s_cbranch_execnz .LBB1529_44
.LBB1529_125:
	s_or_b64 exec, exec, s[4:5]
                                        ; implicit-def: $vgpr6
	s_and_saveexec_b64 s[4:5], s[20:21]
	s_cbranch_execz .LBB1529_45
.LBB1529_126:
	v_add_co_u32_e32 v6, vcc, v1, v7
	v_addc_co_u32_e32 v7, vcc, 0, v48, vcc
	flat_load_dword v6, v[6:7]
	s_or_b64 exec, exec, s[4:5]
                                        ; implicit-def: $vgpr7
	s_and_saveexec_b64 s[4:5], s[22:23]
	s_cbranch_execnz .LBB1529_46
.LBB1529_127:
	s_or_b64 exec, exec, s[4:5]
                                        ; implicit-def: $vgpr8
	s_and_saveexec_b64 s[4:5], s[24:25]
	s_cbranch_execz .LBB1529_47
.LBB1529_128:
	v_add_co_u32_e32 v8, vcc, v1, v9
	v_addc_co_u32_e32 v9, vcc, 0, v48, vcc
	flat_load_dword v8, v[8:9]
	s_or_b64 exec, exec, s[4:5]
                                        ; implicit-def: $vgpr9
	s_and_saveexec_b64 s[4:5], s[26:27]
	s_cbranch_execz .LBB1529_49
	s_branch .LBB1529_48
.LBB1529_129:
                                        ; implicit-def: $vgpr51
                                        ; implicit-def: $vgpr49
                                        ; implicit-def: $vgpr47
                                        ; implicit-def: $vgpr45
                                        ; implicit-def: $vgpr34_vgpr35_vgpr36_vgpr37
                                        ; implicit-def: $vgpr30_vgpr31_vgpr32_vgpr33
                                        ; implicit-def: $vgpr26_vgpr27_vgpr28_vgpr29
	s_cbranch_execz .LBB1529_143
; %bb.130:
	s_cmp_lg_u64 s[52:53], 0
	s_cselect_b32 s5, s51, 0
	s_cselect_b32 s4, s50, 0
	s_mov_b32 s26, 0
	s_cmp_eq_u64 s[4:5], 0
	v_mov_b32_e32 v32, s54
	s_cbranch_scc1 .LBB1529_132
; %bb.131:
	v_mov_b32_e32 v26, 0
	global_load_dword v32, v26, s[4:5]
.LBB1529_132:
	s_mov_b32 s27, 1
	v_cmp_gt_u64_e32 vcc, s[26:27], v[8:9]
	v_cndmask_b32_e32 v27, 0, v40, vcc
	v_add_u32_e32 v27, v27, v8
	v_cmp_gt_u64_e64 s[4:5], s[26:27], v[6:7]
	v_cndmask_b32_e64 v27, 0, v27, s[4:5]
	v_add_u32_e32 v27, v27, v6
	v_cmp_gt_u64_e64 s[6:7], s[26:27], v[4:5]
	v_cndmask_b32_e64 v27, 0, v27, s[6:7]
	;; [unrolled: 3-line block ×11, first 2 shown]
	v_mov_b32_e32 v26, 0
	v_add_u32_e32 v27, v27, v24
	v_cmp_gt_u64_e64 s[26:27], s[26:27], v[42:43]
	v_or3_b32 v7, v23, v15, v7
	v_cndmask_b32_e64 v27, 0, v27, s[26:27]
	v_or3_b32 v9, v25, v17, v9
	v_and_b32_e32 v35, 1, v7
	v_mov_b32_e32 v34, v26
	v_add_u32_e32 v33, v27, v42
	v_and_b32_e32 v27, 1, v43
	v_or3_b32 v3, v19, v11, v3
	v_and_b32_e32 v31, 1, v9
	v_mov_b32_e32 v30, v26
	v_cmp_ne_u64_e64 s[28:29], 0, v[34:35]
	v_cmp_eq_u32_e64 s[26:27], 1, v27
	v_or3_b32 v5, v21, v13, v5
	v_and_b32_e32 v27, 1, v3
	v_cndmask_b32_e64 v3, 0, 1, s[28:29]
	v_cmp_ne_u64_e64 s[28:29], 0, v[30:31]
	v_and_b32_e32 v29, 1, v5
	v_mov_b32_e32 v28, v26
	v_cndmask_b32_e64 v5, 0, 1, s[28:29]
	v_lshlrev_b16_e32 v3, 2, v3
	v_lshlrev_b16_e32 v5, 3, v5
	v_cmp_ne_u64_e64 s[28:29], 0, v[28:29]
	v_or_b32_e32 v3, v5, v3
	v_cndmask_b32_e64 v5, 0, 1, s[28:29]
	v_cmp_ne_u64_e64 s[28:29], 0, v[26:27]
	v_lshlrev_b16_e32 v5, 1, v5
	v_cndmask_b32_e64 v7, 0, 1, s[28:29]
	v_or_b32_e32 v5, v7, v5
	v_and_b32_e32 v5, 3, v5
	v_or_b32_e32 v3, v5, v3
	v_and_b32_e32 v3, 15, v3
	v_cmp_ne_u16_e64 s[28:29], 0, v3
	s_or_b64 s[26:27], s[26:27], s[28:29]
	v_cndmask_b32_e64 v5, v41, 1, s[26:27]
	v_and_b32_e32 v7, 0xff, v5
	v_mov_b32_dpp v11, v33 row_shr:1 row_mask:0xf bank_mask:0xf
	v_cmp_eq_u16_e64 s[26:27], 0, v7
	v_mov_b32_dpp v13, v7 row_shr:1 row_mask:0xf bank_mask:0xf
	v_and_b32_e32 v15, 1, v5
	v_mbcnt_hi_u32_b32 v3, -1, v54
	v_cndmask_b32_e64 v11, 0, v11, s[26:27]
	v_and_b32_e32 v13, 1, v13
	v_cmp_eq_u32_e64 s[26:27], 1, v15
	v_and_b32_e32 v9, 15, v3
	v_cndmask_b32_e64 v13, v13, 1, s[26:27]
	v_and_b32_e32 v15, 0xffff, v13
	v_cmp_eq_u32_e64 s[26:27], 0, v9
	v_cndmask_b32_e64 v5, v13, v5, s[26:27]
	v_cndmask_b32_e64 v7, v15, v7, s[26:27]
	v_and_b32_e32 v17, 1, v5
	v_cndmask_b32_e64 v11, v11, 0, s[26:27]
	v_mov_b32_dpp v15, v7 row_shr:2 row_mask:0xf bank_mask:0xf
	v_and_b32_e32 v15, 1, v15
	v_cmp_eq_u32_e64 s[26:27], 1, v17
	v_cndmask_b32_e64 v15, v15, 1, s[26:27]
	v_and_b32_e32 v17, 0xffff, v15
	v_cmp_lt_u32_e64 s[26:27], 1, v9
	v_add_u32_e32 v11, v11, v33
	v_cmp_eq_u16_sdwa s[28:29], v5, v26 src0_sel:BYTE_0 src1_sel:DWORD
	v_cndmask_b32_e64 v5, v5, v15, s[26:27]
	v_cndmask_b32_e64 v7, v7, v17, s[26:27]
	v_mov_b32_dpp v13, v11 row_shr:2 row_mask:0xf bank_mask:0xf
	s_and_b64 s[26:27], s[26:27], s[28:29]
	v_mov_b32_dpp v15, v7 row_shr:4 row_mask:0xf bank_mask:0xf
	v_and_b32_e32 v17, 1, v5
	v_cndmask_b32_e64 v13, 0, v13, s[26:27]
	v_and_b32_e32 v15, 1, v15
	v_cmp_eq_u32_e64 s[26:27], 1, v17
	v_cndmask_b32_e64 v15, v15, 1, s[26:27]
	v_and_b32_e32 v17, 0xffff, v15
	v_cmp_lt_u32_e64 s[26:27], 3, v9
	v_add_u32_e32 v11, v13, v11
	v_cmp_eq_u16_sdwa s[28:29], v5, v26 src0_sel:BYTE_0 src1_sel:DWORD
	v_cndmask_b32_e64 v5, v5, v15, s[26:27]
	v_cndmask_b32_e64 v7, v7, v17, s[26:27]
	v_mov_b32_dpp v13, v11 row_shr:4 row_mask:0xf bank_mask:0xf
	s_and_b64 s[26:27], s[26:27], s[28:29]
	v_mov_b32_dpp v15, v7 row_shr:8 row_mask:0xf bank_mask:0xf
	v_and_b32_e32 v17, 1, v5
	v_cndmask_b32_e64 v13, 0, v13, s[26:27]
	v_and_b32_e32 v15, 1, v15
	v_cmp_eq_u32_e64 s[26:27], 1, v17
	v_cndmask_b32_e64 v15, v15, 1, s[26:27]
	v_add_u32_e32 v11, v13, v11
	v_cmp_eq_u16_sdwa s[28:29], v5, v26 src0_sel:BYTE_0 src1_sel:DWORD
	v_and_b32_e32 v17, 0xffff, v15
	v_cmp_lt_u32_e64 s[26:27], 7, v9
	v_mov_b32_dpp v13, v11 row_shr:8 row_mask:0xf bank_mask:0xf
	v_cndmask_b32_e64 v5, v5, v15, s[26:27]
	v_cndmask_b32_e64 v7, v7, v17, s[26:27]
	s_and_b64 s[26:27], s[26:27], s[28:29]
	v_cndmask_b32_e64 v9, 0, v13, s[26:27]
	v_add_u32_e32 v9, v9, v11
	v_mov_b32_dpp v13, v7 row_bcast:15 row_mask:0xf bank_mask:0xf
	v_cmp_eq_u16_sdwa s[26:27], v5, v26 src0_sel:BYTE_0 src1_sel:DWORD
	v_mov_b32_dpp v11, v9 row_bcast:15 row_mask:0xf bank_mask:0xf
	v_and_b32_e32 v19, 1, v5
	v_cndmask_b32_e64 v11, 0, v11, s[26:27]
	v_and_b32_e32 v13, 1, v13
	v_cmp_eq_u32_e64 s[26:27], 1, v19
	v_and_b32_e32 v17, 16, v3
	v_cndmask_b32_e64 v13, v13, 1, s[26:27]
	v_and_b32_e32 v19, 0xffff, v13
	v_cmp_eq_u32_e64 s[26:27], 0, v17
	v_cndmask_b32_e64 v5, v13, v5, s[26:27]
	v_cndmask_b32_e64 v7, v19, v7, s[26:27]
	v_bfe_i32 v15, v3, 4, 1
	v_and_b32_e32 v13, 1, v5
	v_mov_b32_dpp v7, v7 row_bcast:31 row_mask:0xf bank_mask:0xf
	v_and_b32_e32 v11, v15, v11
	v_and_b32_e32 v7, 1, v7
	v_cmp_eq_u32_e64 s[26:27], 1, v13
	v_add_u32_e32 v9, v11, v9
	v_cmp_eq_u16_sdwa s[28:29], v5, v26 src0_sel:BYTE_0 src1_sel:DWORD
	v_cndmask_b32_e64 v7, v7, 1, s[26:27]
	v_cmp_lt_u32_e64 s[26:27], 31, v3
	v_mov_b32_dpp v11, v9 row_bcast:31 row_mask:0xf bank_mask:0xf
	v_cndmask_b32_e64 v5, v5, v7, s[26:27]
	s_and_b64 s[26:27], s[26:27], s[28:29]
	v_cndmask_b32_e64 v7, 0, v11, s[26:27]
	v_add_u32_e32 v7, v7, v9
	v_cmp_eq_u32_e64 s[26:27], v53, v0
	s_and_saveexec_b64 s[28:29], s[26:27]
	s_cbranch_execz .LBB1529_134
; %bb.133:
	v_lshlrev_b32_e32 v9, 3, v1
	ds_write_b32 v9, v7
	ds_write_b8 v9, v5 offset:4
.LBB1529_134:
	s_or_b64 exec, exec, s[28:29]
	v_cmp_gt_u32_e64 s[26:27], 4, v0
	s_waitcnt lgkmcnt(0)
	s_barrier
	s_and_saveexec_b64 s[28:29], s[26:27]
	s_cbranch_execz .LBB1529_138
; %bb.135:
	v_lshlrev_b32_e32 v9, 3, v0
	ds_read_b64 v[26:27], v9
	v_and_b32_e32 v11, 3, v3
	v_cmp_ne_u32_e64 s[26:27], 0, v11
	s_waitcnt lgkmcnt(0)
	v_mov_b32_dpp v13, v26 row_shr:1 row_mask:0xf bank_mask:0xf
	v_mov_b32_dpp v17, v27 row_shr:1 row_mask:0xf bank_mask:0xf
	v_mov_b32_e32 v15, v27
	s_and_saveexec_b64 s[30:31], s[26:27]
	s_cbranch_execz .LBB1529_137
; %bb.136:
	v_and_b32_e32 v15, 1, v27
	v_and_b32_e32 v17, 1, v17
	v_cmp_eq_u32_e64 s[26:27], 1, v15
	v_mov_b32_e32 v15, 0
	v_cndmask_b32_e64 v17, v17, 1, s[26:27]
	v_cmp_eq_u16_sdwa s[26:27], v27, v15 src0_sel:BYTE_0 src1_sel:DWORD
	v_cndmask_b32_e64 v13, 0, v13, s[26:27]
	v_add_u32_e32 v26, v13, v26
	v_and_b32_e32 v13, 0xffff, v17
	s_movk_i32 s26, 0xff00
	v_and_or_b32 v15, v27, s26, v13
	v_mov_b32_e32 v27, v17
.LBB1529_137:
	s_or_b64 exec, exec, s[30:31]
	v_mov_b32_dpp v15, v15 row_shr:2 row_mask:0xf bank_mask:0xf
	v_and_b32_e32 v17, 1, v27
	v_and_b32_e32 v15, 1, v15
	v_cmp_eq_u32_e64 s[26:27], 1, v17
	v_mov_b32_e32 v17, 0
	v_cndmask_b32_e64 v15, v15, 1, s[26:27]
	v_cmp_eq_u16_sdwa s[30:31], v27, v17 src0_sel:BYTE_0 src1_sel:DWORD
	v_cmp_lt_u32_e64 s[26:27], 1, v11
	v_mov_b32_dpp v13, v26 row_shr:2 row_mask:0xf bank_mask:0xf
	v_cndmask_b32_e64 v11, v27, v15, s[26:27]
	s_and_b64 s[26:27], s[26:27], s[30:31]
	v_cndmask_b32_e64 v13, 0, v13, s[26:27]
	v_add_u32_e32 v13, v13, v26
	ds_write_b32 v9, v13
	ds_write_b8 v9, v11 offset:4
.LBB1529_138:
	s_or_b64 exec, exec, s[28:29]
	v_cmp_lt_u32_e64 s[26:27], 63, v0
	s_waitcnt vmcnt(0)
	v_mov_b32_e32 v9, v32
	s_waitcnt lgkmcnt(0)
	s_barrier
	s_and_saveexec_b64 s[28:29], s[26:27]
	s_cbranch_execz .LBB1529_140
; %bb.139:
	v_lshl_add_u32 v1, v1, 3, -8
	ds_read_u8 v9, v1 offset:4
	ds_read_b32 v1, v1
	s_waitcnt lgkmcnt(1)
	v_cmp_eq_u16_e64 s[26:27], 0, v9
	v_cndmask_b32_e64 v9, 0, v32, s[26:27]
	s_waitcnt lgkmcnt(0)
	v_add_u32_e32 v9, v9, v1
.LBB1529_140:
	s_or_b64 exec, exec, s[28:29]
	v_mov_b32_e32 v28, 0
	v_cmp_eq_u16_sdwa s[26:27], v5, v28 src0_sel:BYTE_0 src1_sel:DWORD
	v_cndmask_b32_e64 v1, 0, v9, s[26:27]
	v_add_u32_e32 v1, v1, v7
	v_add_u32_e32 v5, -1, v3
	v_and_b32_e32 v7, 64, v3
	v_cmp_lt_i32_e64 s[26:27], v5, v7
	v_cndmask_b32_e64 v5, v5, v3, s[26:27]
	v_lshlrev_b32_e32 v5, 2, v5
	ds_bpermute_b32 v1, v5, v1
	v_cmp_eq_u32_e64 s[26:27], 0, v3
	v_and_b32_e32 v29, 0xff, v41
	s_waitcnt lgkmcnt(0)
	v_cndmask_b32_e64 v26, v1, v9, s[26:27]
	v_cndmask_b32_e64 v1, v26, v32, s[0:1]
	v_cmp_eq_u64_e64 s[26:27], 0, v[28:29]
	v_cndmask_b32_e64 v1, 0, v1, s[26:27]
	v_add_u32_e32 v27, v1, v40
	v_cndmask_b32_e32 v1, 0, v27, vcc
	v_add_u32_e32 v44, v1, v8
	v_cndmask_b32_e64 v1, 0, v44, s[4:5]
	v_add_u32_e32 v45, v1, v6
	v_cndmask_b32_e64 v1, 0, v45, s[6:7]
	;; [unrolled: 2-line block ×11, first 2 shown]
	s_and_saveexec_b64 s[4:5], s[0:1]
	s_cbranch_execz .LBB1529_142
; %bb.141:
	ds_read_u8 v3, v28 offset:28
	ds_read_b32 v2, v28 offset:24
	s_add_u32 s0, s44, 0x400
	s_addc_u32 s1, s45, 0
	v_mov_b32_e32 v5, v28
	s_waitcnt lgkmcnt(1)
	v_cmp_eq_u16_e32 vcc, 0, v3
	v_cndmask_b32_e32 v4, 0, v32, vcc
	s_waitcnt lgkmcnt(0)
	v_add_u32_e32 v2, v4, v2
	v_and_b32_e32 v3, 0xffff, v3
	v_mov_b32_e32 v4, 2
	v_pk_mov_b32 v[6:7], s[0:1], s[0:1] op_sel:[0,1]
	;;#ASMSTART
	global_store_dwordx4 v[6:7], v[2:5] off	
s_waitcnt vmcnt(0)
	;;#ASMEND
	v_mov_b32_e32 v26, v32
.LBB1529_142:
	s_or_b64 exec, exec, s[4:5]
	v_add_u32_e32 v51, v1, v24
.LBB1529_143:
	s_add_u32 s0, s42, s34
	s_addc_u32 s1, s43, s35
	v_mov_b32_e32 v1, s1
	v_add_co_u32_e32 v18, vcc, s0, v38
	v_addc_co_u32_e32 v19, vcc, v1, v39, vcc
	v_mul_u32_u24_e32 v1, 14, v0
	s_and_b64 vcc, exec, s[2:3]
	v_lshlrev_b32_e32 v2, 2, v1
	s_cbranch_vccz .LBB1529_171
; %bb.144:
	s_movk_i32 s0, 0xffcc
	v_mad_i32_i24 v3, v0, s0, v2
	s_barrier
	ds_write2_b64 v2, v[26:27], v[44:45] offset1:1
	ds_write2_b64 v2, v[30:31], v[46:47] offset0:2 offset1:3
	ds_write2_b64 v2, v[34:35], v[48:49] offset0:4 offset1:5
	ds_write_b64 v2, v[50:51] offset:48
	s_waitcnt lgkmcnt(0)
	s_barrier
	ds_read2st64_b32 v[16:17], v3 offset0:4 offset1:8
	ds_read2st64_b32 v[14:15], v3 offset0:12 offset1:16
	;; [unrolled: 1-line block ×6, first 2 shown]
	ds_read_b32 v3, v3 offset:13312
	v_add_co_u32_e32 v6, vcc, v18, v52
	s_add_i32 s33, s33, s46
	v_addc_co_u32_e32 v7, vcc, 0, v19, vcc
	v_mov_b32_e32 v1, 0
	v_cmp_gt_u32_e32 vcc, s33, v0
	s_and_saveexec_b64 s[0:1], vcc
	s_cbranch_execz .LBB1529_146
; %bb.145:
	v_mul_i32_i24_e32 v20, 0xffffffcc, v0
	v_add_u32_e32 v20, v2, v20
	ds_read_b32 v20, v20
	s_waitcnt lgkmcnt(0)
	flat_store_dword v[6:7], v20
.LBB1529_146:
	s_or_b64 exec, exec, s[0:1]
	v_or_b32_e32 v20, 0x100, v0
	v_cmp_gt_u32_e32 vcc, s33, v20
	s_and_saveexec_b64 s[0:1], vcc
	s_cbranch_execz .LBB1529_148
; %bb.147:
	s_waitcnt lgkmcnt(0)
	flat_store_dword v[6:7], v16 offset:1024
.LBB1529_148:
	s_or_b64 exec, exec, s[0:1]
	s_waitcnt lgkmcnt(0)
	v_or_b32_e32 v16, 0x200, v0
	v_cmp_gt_u32_e32 vcc, s33, v16
	s_and_saveexec_b64 s[0:1], vcc
	s_cbranch_execz .LBB1529_150
; %bb.149:
	flat_store_dword v[6:7], v17 offset:2048
.LBB1529_150:
	s_or_b64 exec, exec, s[0:1]
	v_or_b32_e32 v16, 0x300, v0
	v_cmp_gt_u32_e32 vcc, s33, v16
	s_and_saveexec_b64 s[0:1], vcc
	s_cbranch_execz .LBB1529_152
; %bb.151:
	flat_store_dword v[6:7], v14 offset:3072
.LBB1529_152:
	s_or_b64 exec, exec, s[0:1]
	v_or_b32_e32 v14, 0x400, v0
	v_cmp_gt_u32_e32 vcc, s33, v14
	s_and_saveexec_b64 s[0:1], vcc
	s_cbranch_execz .LBB1529_154
; %bb.153:
	v_add_co_u32_e32 v16, vcc, 0x1000, v6
	v_addc_co_u32_e32 v17, vcc, 0, v7, vcc
	flat_store_dword v[16:17], v15
.LBB1529_154:
	s_or_b64 exec, exec, s[0:1]
	v_or_b32_e32 v14, 0x500, v0
	v_cmp_gt_u32_e32 vcc, s33, v14
	s_and_saveexec_b64 s[0:1], vcc
	s_cbranch_execz .LBB1529_156
; %bb.155:
	v_add_co_u32_e32 v14, vcc, 0x1000, v6
	v_addc_co_u32_e32 v15, vcc, 0, v7, vcc
	flat_store_dword v[14:15], v12 offset:1024
.LBB1529_156:
	s_or_b64 exec, exec, s[0:1]
	v_or_b32_e32 v12, 0x600, v0
	v_cmp_gt_u32_e32 vcc, s33, v12
	s_and_saveexec_b64 s[0:1], vcc
	s_cbranch_execz .LBB1529_158
; %bb.157:
	v_add_co_u32_e32 v14, vcc, 0x1000, v6
	v_addc_co_u32_e32 v15, vcc, 0, v7, vcc
	flat_store_dword v[14:15], v13 offset:2048
.LBB1529_158:
	;; [unrolled: 10-line block ×3, first 2 shown]
	s_or_b64 exec, exec, s[0:1]
	v_or_b32_e32 v10, 0x800, v0
	v_cmp_gt_u32_e32 vcc, s33, v10
	s_and_saveexec_b64 s[0:1], vcc
	s_cbranch_execz .LBB1529_162
; %bb.161:
	v_add_co_u32_e32 v12, vcc, 0x2000, v6
	v_addc_co_u32_e32 v13, vcc, 0, v7, vcc
	flat_store_dword v[12:13], v11
.LBB1529_162:
	s_or_b64 exec, exec, s[0:1]
	v_or_b32_e32 v10, 0x900, v0
	v_cmp_gt_u32_e32 vcc, s33, v10
	s_and_saveexec_b64 s[0:1], vcc
	s_cbranch_execz .LBB1529_164
; %bb.163:
	v_add_co_u32_e32 v10, vcc, 0x2000, v6
	v_addc_co_u32_e32 v11, vcc, 0, v7, vcc
	flat_store_dword v[10:11], v8 offset:1024
.LBB1529_164:
	s_or_b64 exec, exec, s[0:1]
	v_or_b32_e32 v8, 0xa00, v0
	v_cmp_gt_u32_e32 vcc, s33, v8
	s_and_saveexec_b64 s[0:1], vcc
	s_cbranch_execz .LBB1529_166
; %bb.165:
	v_add_co_u32_e32 v10, vcc, 0x2000, v6
	v_addc_co_u32_e32 v11, vcc, 0, v7, vcc
	flat_store_dword v[10:11], v9 offset:2048
.LBB1529_166:
	;; [unrolled: 10-line block ×3, first 2 shown]
	s_or_b64 exec, exec, s[0:1]
	v_or_b32_e32 v4, 0xc00, v0
	v_cmp_gt_u32_e32 vcc, s33, v4
	s_and_saveexec_b64 s[0:1], vcc
	s_cbranch_execz .LBB1529_170
; %bb.169:
	v_add_co_u32_e32 v6, vcc, 0x3000, v6
	v_addc_co_u32_e32 v7, vcc, 0, v7, vcc
	flat_store_dword v[6:7], v5
.LBB1529_170:
	s_or_b64 exec, exec, s[0:1]
	v_or_b32_e32 v4, 0xd00, v0
	v_cmp_gt_u32_e64 s[0:1], s33, v4
	s_branch .LBB1529_173
.LBB1529_171:
	s_mov_b64 s[0:1], 0
                                        ; implicit-def: $vgpr3
	s_cbranch_execz .LBB1529_173
; %bb.172:
	s_movk_i32 s2, 0xffcc
	s_waitcnt lgkmcnt(0)
	s_barrier
	ds_write2_b64 v2, v[26:27], v[44:45] offset1:1
	ds_write2_b64 v2, v[30:31], v[46:47] offset0:2 offset1:3
	ds_write2_b64 v2, v[34:35], v[48:49] offset0:4 offset1:5
	ds_write_b64 v2, v[50:51] offset:48
	v_mad_i32_i24 v2, v0, s2, v2
	v_add_co_u32_e32 v16, vcc, v18, v52
	s_waitcnt lgkmcnt(0)
	s_barrier
	ds_read2st64_b32 v[4:5], v2 offset1:4
	ds_read2st64_b32 v[6:7], v2 offset0:8 offset1:12
	ds_read2st64_b32 v[8:9], v2 offset0:16 offset1:20
	ds_read2st64_b32 v[10:11], v2 offset0:24 offset1:28
	ds_read2st64_b32 v[12:13], v2 offset0:32 offset1:36
	ds_read2st64_b32 v[14:15], v2 offset0:40 offset1:44
	ds_read2st64_b32 v[2:3], v2 offset0:48 offset1:52
	v_addc_co_u32_e32 v17, vcc, 0, v19, vcc
	s_movk_i32 s2, 0x1000
	s_waitcnt lgkmcnt(0)
	flat_store_dword v[16:17], v4
	flat_store_dword v[16:17], v5 offset:1024
	flat_store_dword v[16:17], v6 offset:2048
	;; [unrolled: 1-line block ×3, first 2 shown]
	v_add_co_u32_e32 v4, vcc, s2, v16
	v_addc_co_u32_e32 v5, vcc, 0, v17, vcc
	flat_store_dword v[4:5], v8
	flat_store_dword v[4:5], v9 offset:1024
	flat_store_dword v[4:5], v10 offset:2048
	;; [unrolled: 1-line block ×3, first 2 shown]
	v_add_co_u32_e32 v4, vcc, 0x2000, v16
	v_addc_co_u32_e32 v5, vcc, 0, v17, vcc
	flat_store_dword v[4:5], v12
	flat_store_dword v[4:5], v13 offset:1024
	flat_store_dword v[4:5], v14 offset:2048
	;; [unrolled: 1-line block ×3, first 2 shown]
	v_add_co_u32_e32 v4, vcc, 0x3000, v16
	v_mov_b32_e32 v1, 0
	v_addc_co_u32_e32 v5, vcc, 0, v17, vcc
	s_or_b64 s[0:1], s[0:1], exec
	flat_store_dword v[4:5], v2
.LBB1529_173:
	s_and_saveexec_b64 s[2:3], s[0:1]
	s_cbranch_execz .LBB1529_175
; %bb.174:
	v_lshlrev_b64 v[0:1], 2, v[0:1]
	v_add_co_u32_e32 v0, vcc, v18, v0
	v_addc_co_u32_e32 v1, vcc, v19, v1, vcc
	v_add_co_u32_e32 v0, vcc, 0x3000, v0
	v_addc_co_u32_e32 v1, vcc, 0, v1, vcc
	flat_store_dword v[0:1], v3 offset:1024
	s_endpgm
.LBB1529_175:
	s_endpgm
	.section	.rodata,"a",@progbits
	.p2align	6, 0x0
	.amdhsa_kernel _ZN7rocprim17ROCPRIM_400000_NS6detail17trampoline_kernelINS0_14default_configENS1_27scan_by_key_config_selectorIijEEZZNS1_16scan_by_key_implILNS1_25lookback_scan_determinismE0ELb1ES3_N6thrust23THRUST_200600_302600_NS6detail15normal_iteratorINS9_10device_ptrIiEEEENSB_INSC_IjEEEESG_jNS9_4plusIvEENS9_8equal_toIvEEjEE10hipError_tPvRmT2_T3_T4_T5_mT6_T7_P12ihipStream_tbENKUlT_T0_E_clISt17integral_constantIbLb0EES10_IbLb1EEEEDaSW_SX_EUlSW_E_NS1_11comp_targetILNS1_3genE4ELNS1_11target_archE910ELNS1_3gpuE8ELNS1_3repE0EEENS1_30default_config_static_selectorELNS0_4arch9wavefront6targetE1EEEvT1_
		.amdhsa_group_segment_fixed_size 16384
		.amdhsa_private_segment_fixed_size 0
		.amdhsa_kernarg_size 112
		.amdhsa_user_sgpr_count 6
		.amdhsa_user_sgpr_private_segment_buffer 1
		.amdhsa_user_sgpr_dispatch_ptr 0
		.amdhsa_user_sgpr_queue_ptr 0
		.amdhsa_user_sgpr_kernarg_segment_ptr 1
		.amdhsa_user_sgpr_dispatch_id 0
		.amdhsa_user_sgpr_flat_scratch_init 0
		.amdhsa_user_sgpr_kernarg_preload_length 0
		.amdhsa_user_sgpr_kernarg_preload_offset 0
		.amdhsa_user_sgpr_private_segment_size 0
		.amdhsa_uses_dynamic_stack 0
		.amdhsa_system_sgpr_private_segment_wavefront_offset 0
		.amdhsa_system_sgpr_workgroup_id_x 1
		.amdhsa_system_sgpr_workgroup_id_y 0
		.amdhsa_system_sgpr_workgroup_id_z 0
		.amdhsa_system_sgpr_workgroup_info 0
		.amdhsa_system_vgpr_workitem_id 0
		.amdhsa_next_free_vgpr 67
		.amdhsa_next_free_sgpr 60
		.amdhsa_accum_offset 68
		.amdhsa_reserve_vcc 1
		.amdhsa_reserve_flat_scratch 0
		.amdhsa_float_round_mode_32 0
		.amdhsa_float_round_mode_16_64 0
		.amdhsa_float_denorm_mode_32 3
		.amdhsa_float_denorm_mode_16_64 3
		.amdhsa_dx10_clamp 1
		.amdhsa_ieee_mode 1
		.amdhsa_fp16_overflow 0
		.amdhsa_tg_split 0
		.amdhsa_exception_fp_ieee_invalid_op 0
		.amdhsa_exception_fp_denorm_src 0
		.amdhsa_exception_fp_ieee_div_zero 0
		.amdhsa_exception_fp_ieee_overflow 0
		.amdhsa_exception_fp_ieee_underflow 0
		.amdhsa_exception_fp_ieee_inexact 0
		.amdhsa_exception_int_div_zero 0
	.end_amdhsa_kernel
	.section	.text._ZN7rocprim17ROCPRIM_400000_NS6detail17trampoline_kernelINS0_14default_configENS1_27scan_by_key_config_selectorIijEEZZNS1_16scan_by_key_implILNS1_25lookback_scan_determinismE0ELb1ES3_N6thrust23THRUST_200600_302600_NS6detail15normal_iteratorINS9_10device_ptrIiEEEENSB_INSC_IjEEEESG_jNS9_4plusIvEENS9_8equal_toIvEEjEE10hipError_tPvRmT2_T3_T4_T5_mT6_T7_P12ihipStream_tbENKUlT_T0_E_clISt17integral_constantIbLb0EES10_IbLb1EEEEDaSW_SX_EUlSW_E_NS1_11comp_targetILNS1_3genE4ELNS1_11target_archE910ELNS1_3gpuE8ELNS1_3repE0EEENS1_30default_config_static_selectorELNS0_4arch9wavefront6targetE1EEEvT1_,"axG",@progbits,_ZN7rocprim17ROCPRIM_400000_NS6detail17trampoline_kernelINS0_14default_configENS1_27scan_by_key_config_selectorIijEEZZNS1_16scan_by_key_implILNS1_25lookback_scan_determinismE0ELb1ES3_N6thrust23THRUST_200600_302600_NS6detail15normal_iteratorINS9_10device_ptrIiEEEENSB_INSC_IjEEEESG_jNS9_4plusIvEENS9_8equal_toIvEEjEE10hipError_tPvRmT2_T3_T4_T5_mT6_T7_P12ihipStream_tbENKUlT_T0_E_clISt17integral_constantIbLb0EES10_IbLb1EEEEDaSW_SX_EUlSW_E_NS1_11comp_targetILNS1_3genE4ELNS1_11target_archE910ELNS1_3gpuE8ELNS1_3repE0EEENS1_30default_config_static_selectorELNS0_4arch9wavefront6targetE1EEEvT1_,comdat
.Lfunc_end1529:
	.size	_ZN7rocprim17ROCPRIM_400000_NS6detail17trampoline_kernelINS0_14default_configENS1_27scan_by_key_config_selectorIijEEZZNS1_16scan_by_key_implILNS1_25lookback_scan_determinismE0ELb1ES3_N6thrust23THRUST_200600_302600_NS6detail15normal_iteratorINS9_10device_ptrIiEEEENSB_INSC_IjEEEESG_jNS9_4plusIvEENS9_8equal_toIvEEjEE10hipError_tPvRmT2_T3_T4_T5_mT6_T7_P12ihipStream_tbENKUlT_T0_E_clISt17integral_constantIbLb0EES10_IbLb1EEEEDaSW_SX_EUlSW_E_NS1_11comp_targetILNS1_3genE4ELNS1_11target_archE910ELNS1_3gpuE8ELNS1_3repE0EEENS1_30default_config_static_selectorELNS0_4arch9wavefront6targetE1EEEvT1_, .Lfunc_end1529-_ZN7rocprim17ROCPRIM_400000_NS6detail17trampoline_kernelINS0_14default_configENS1_27scan_by_key_config_selectorIijEEZZNS1_16scan_by_key_implILNS1_25lookback_scan_determinismE0ELb1ES3_N6thrust23THRUST_200600_302600_NS6detail15normal_iteratorINS9_10device_ptrIiEEEENSB_INSC_IjEEEESG_jNS9_4plusIvEENS9_8equal_toIvEEjEE10hipError_tPvRmT2_T3_T4_T5_mT6_T7_P12ihipStream_tbENKUlT_T0_E_clISt17integral_constantIbLb0EES10_IbLb1EEEEDaSW_SX_EUlSW_E_NS1_11comp_targetILNS1_3genE4ELNS1_11target_archE910ELNS1_3gpuE8ELNS1_3repE0EEENS1_30default_config_static_selectorELNS0_4arch9wavefront6targetE1EEEvT1_
                                        ; -- End function
	.section	.AMDGPU.csdata,"",@progbits
; Kernel info:
; codeLenInByte = 11168
; NumSgprs: 64
; NumVgprs: 67
; NumAgprs: 0
; TotalNumVgprs: 67
; ScratchSize: 0
; MemoryBound: 0
; FloatMode: 240
; IeeeMode: 1
; LDSByteSize: 16384 bytes/workgroup (compile time only)
; SGPRBlocks: 7
; VGPRBlocks: 8
; NumSGPRsForWavesPerEU: 64
; NumVGPRsForWavesPerEU: 67
; AccumOffset: 68
; Occupancy: 4
; WaveLimiterHint : 1
; COMPUTE_PGM_RSRC2:SCRATCH_EN: 0
; COMPUTE_PGM_RSRC2:USER_SGPR: 6
; COMPUTE_PGM_RSRC2:TRAP_HANDLER: 0
; COMPUTE_PGM_RSRC2:TGID_X_EN: 1
; COMPUTE_PGM_RSRC2:TGID_Y_EN: 0
; COMPUTE_PGM_RSRC2:TGID_Z_EN: 0
; COMPUTE_PGM_RSRC2:TIDIG_COMP_CNT: 0
; COMPUTE_PGM_RSRC3_GFX90A:ACCUM_OFFSET: 16
; COMPUTE_PGM_RSRC3_GFX90A:TG_SPLIT: 0
	.section	.text._ZN7rocprim17ROCPRIM_400000_NS6detail17trampoline_kernelINS0_14default_configENS1_27scan_by_key_config_selectorIijEEZZNS1_16scan_by_key_implILNS1_25lookback_scan_determinismE0ELb1ES3_N6thrust23THRUST_200600_302600_NS6detail15normal_iteratorINS9_10device_ptrIiEEEENSB_INSC_IjEEEESG_jNS9_4plusIvEENS9_8equal_toIvEEjEE10hipError_tPvRmT2_T3_T4_T5_mT6_T7_P12ihipStream_tbENKUlT_T0_E_clISt17integral_constantIbLb0EES10_IbLb1EEEEDaSW_SX_EUlSW_E_NS1_11comp_targetILNS1_3genE3ELNS1_11target_archE908ELNS1_3gpuE7ELNS1_3repE0EEENS1_30default_config_static_selectorELNS0_4arch9wavefront6targetE1EEEvT1_,"axG",@progbits,_ZN7rocprim17ROCPRIM_400000_NS6detail17trampoline_kernelINS0_14default_configENS1_27scan_by_key_config_selectorIijEEZZNS1_16scan_by_key_implILNS1_25lookback_scan_determinismE0ELb1ES3_N6thrust23THRUST_200600_302600_NS6detail15normal_iteratorINS9_10device_ptrIiEEEENSB_INSC_IjEEEESG_jNS9_4plusIvEENS9_8equal_toIvEEjEE10hipError_tPvRmT2_T3_T4_T5_mT6_T7_P12ihipStream_tbENKUlT_T0_E_clISt17integral_constantIbLb0EES10_IbLb1EEEEDaSW_SX_EUlSW_E_NS1_11comp_targetILNS1_3genE3ELNS1_11target_archE908ELNS1_3gpuE7ELNS1_3repE0EEENS1_30default_config_static_selectorELNS0_4arch9wavefront6targetE1EEEvT1_,comdat
	.protected	_ZN7rocprim17ROCPRIM_400000_NS6detail17trampoline_kernelINS0_14default_configENS1_27scan_by_key_config_selectorIijEEZZNS1_16scan_by_key_implILNS1_25lookback_scan_determinismE0ELb1ES3_N6thrust23THRUST_200600_302600_NS6detail15normal_iteratorINS9_10device_ptrIiEEEENSB_INSC_IjEEEESG_jNS9_4plusIvEENS9_8equal_toIvEEjEE10hipError_tPvRmT2_T3_T4_T5_mT6_T7_P12ihipStream_tbENKUlT_T0_E_clISt17integral_constantIbLb0EES10_IbLb1EEEEDaSW_SX_EUlSW_E_NS1_11comp_targetILNS1_3genE3ELNS1_11target_archE908ELNS1_3gpuE7ELNS1_3repE0EEENS1_30default_config_static_selectorELNS0_4arch9wavefront6targetE1EEEvT1_ ; -- Begin function _ZN7rocprim17ROCPRIM_400000_NS6detail17trampoline_kernelINS0_14default_configENS1_27scan_by_key_config_selectorIijEEZZNS1_16scan_by_key_implILNS1_25lookback_scan_determinismE0ELb1ES3_N6thrust23THRUST_200600_302600_NS6detail15normal_iteratorINS9_10device_ptrIiEEEENSB_INSC_IjEEEESG_jNS9_4plusIvEENS9_8equal_toIvEEjEE10hipError_tPvRmT2_T3_T4_T5_mT6_T7_P12ihipStream_tbENKUlT_T0_E_clISt17integral_constantIbLb0EES10_IbLb1EEEEDaSW_SX_EUlSW_E_NS1_11comp_targetILNS1_3genE3ELNS1_11target_archE908ELNS1_3gpuE7ELNS1_3repE0EEENS1_30default_config_static_selectorELNS0_4arch9wavefront6targetE1EEEvT1_
	.globl	_ZN7rocprim17ROCPRIM_400000_NS6detail17trampoline_kernelINS0_14default_configENS1_27scan_by_key_config_selectorIijEEZZNS1_16scan_by_key_implILNS1_25lookback_scan_determinismE0ELb1ES3_N6thrust23THRUST_200600_302600_NS6detail15normal_iteratorINS9_10device_ptrIiEEEENSB_INSC_IjEEEESG_jNS9_4plusIvEENS9_8equal_toIvEEjEE10hipError_tPvRmT2_T3_T4_T5_mT6_T7_P12ihipStream_tbENKUlT_T0_E_clISt17integral_constantIbLb0EES10_IbLb1EEEEDaSW_SX_EUlSW_E_NS1_11comp_targetILNS1_3genE3ELNS1_11target_archE908ELNS1_3gpuE7ELNS1_3repE0EEENS1_30default_config_static_selectorELNS0_4arch9wavefront6targetE1EEEvT1_
	.p2align	8
	.type	_ZN7rocprim17ROCPRIM_400000_NS6detail17trampoline_kernelINS0_14default_configENS1_27scan_by_key_config_selectorIijEEZZNS1_16scan_by_key_implILNS1_25lookback_scan_determinismE0ELb1ES3_N6thrust23THRUST_200600_302600_NS6detail15normal_iteratorINS9_10device_ptrIiEEEENSB_INSC_IjEEEESG_jNS9_4plusIvEENS9_8equal_toIvEEjEE10hipError_tPvRmT2_T3_T4_T5_mT6_T7_P12ihipStream_tbENKUlT_T0_E_clISt17integral_constantIbLb0EES10_IbLb1EEEEDaSW_SX_EUlSW_E_NS1_11comp_targetILNS1_3genE3ELNS1_11target_archE908ELNS1_3gpuE7ELNS1_3repE0EEENS1_30default_config_static_selectorELNS0_4arch9wavefront6targetE1EEEvT1_,@function
_ZN7rocprim17ROCPRIM_400000_NS6detail17trampoline_kernelINS0_14default_configENS1_27scan_by_key_config_selectorIijEEZZNS1_16scan_by_key_implILNS1_25lookback_scan_determinismE0ELb1ES3_N6thrust23THRUST_200600_302600_NS6detail15normal_iteratorINS9_10device_ptrIiEEEENSB_INSC_IjEEEESG_jNS9_4plusIvEENS9_8equal_toIvEEjEE10hipError_tPvRmT2_T3_T4_T5_mT6_T7_P12ihipStream_tbENKUlT_T0_E_clISt17integral_constantIbLb0EES10_IbLb1EEEEDaSW_SX_EUlSW_E_NS1_11comp_targetILNS1_3genE3ELNS1_11target_archE908ELNS1_3gpuE7ELNS1_3repE0EEENS1_30default_config_static_selectorELNS0_4arch9wavefront6targetE1EEEvT1_: ; @_ZN7rocprim17ROCPRIM_400000_NS6detail17trampoline_kernelINS0_14default_configENS1_27scan_by_key_config_selectorIijEEZZNS1_16scan_by_key_implILNS1_25lookback_scan_determinismE0ELb1ES3_N6thrust23THRUST_200600_302600_NS6detail15normal_iteratorINS9_10device_ptrIiEEEENSB_INSC_IjEEEESG_jNS9_4plusIvEENS9_8equal_toIvEEjEE10hipError_tPvRmT2_T3_T4_T5_mT6_T7_P12ihipStream_tbENKUlT_T0_E_clISt17integral_constantIbLb0EES10_IbLb1EEEEDaSW_SX_EUlSW_E_NS1_11comp_targetILNS1_3genE3ELNS1_11target_archE908ELNS1_3gpuE7ELNS1_3repE0EEENS1_30default_config_static_selectorELNS0_4arch9wavefront6targetE1EEEvT1_
; %bb.0:
	.section	.rodata,"a",@progbits
	.p2align	6, 0x0
	.amdhsa_kernel _ZN7rocprim17ROCPRIM_400000_NS6detail17trampoline_kernelINS0_14default_configENS1_27scan_by_key_config_selectorIijEEZZNS1_16scan_by_key_implILNS1_25lookback_scan_determinismE0ELb1ES3_N6thrust23THRUST_200600_302600_NS6detail15normal_iteratorINS9_10device_ptrIiEEEENSB_INSC_IjEEEESG_jNS9_4plusIvEENS9_8equal_toIvEEjEE10hipError_tPvRmT2_T3_T4_T5_mT6_T7_P12ihipStream_tbENKUlT_T0_E_clISt17integral_constantIbLb0EES10_IbLb1EEEEDaSW_SX_EUlSW_E_NS1_11comp_targetILNS1_3genE3ELNS1_11target_archE908ELNS1_3gpuE7ELNS1_3repE0EEENS1_30default_config_static_selectorELNS0_4arch9wavefront6targetE1EEEvT1_
		.amdhsa_group_segment_fixed_size 0
		.amdhsa_private_segment_fixed_size 0
		.amdhsa_kernarg_size 112
		.amdhsa_user_sgpr_count 6
		.amdhsa_user_sgpr_private_segment_buffer 1
		.amdhsa_user_sgpr_dispatch_ptr 0
		.amdhsa_user_sgpr_queue_ptr 0
		.amdhsa_user_sgpr_kernarg_segment_ptr 1
		.amdhsa_user_sgpr_dispatch_id 0
		.amdhsa_user_sgpr_flat_scratch_init 0
		.amdhsa_user_sgpr_kernarg_preload_length 0
		.amdhsa_user_sgpr_kernarg_preload_offset 0
		.amdhsa_user_sgpr_private_segment_size 0
		.amdhsa_uses_dynamic_stack 0
		.amdhsa_system_sgpr_private_segment_wavefront_offset 0
		.amdhsa_system_sgpr_workgroup_id_x 1
		.amdhsa_system_sgpr_workgroup_id_y 0
		.amdhsa_system_sgpr_workgroup_id_z 0
		.amdhsa_system_sgpr_workgroup_info 0
		.amdhsa_system_vgpr_workitem_id 0
		.amdhsa_next_free_vgpr 1
		.amdhsa_next_free_sgpr 0
		.amdhsa_accum_offset 4
		.amdhsa_reserve_vcc 0
		.amdhsa_reserve_flat_scratch 0
		.amdhsa_float_round_mode_32 0
		.amdhsa_float_round_mode_16_64 0
		.amdhsa_float_denorm_mode_32 3
		.amdhsa_float_denorm_mode_16_64 3
		.amdhsa_dx10_clamp 1
		.amdhsa_ieee_mode 1
		.amdhsa_fp16_overflow 0
		.amdhsa_tg_split 0
		.amdhsa_exception_fp_ieee_invalid_op 0
		.amdhsa_exception_fp_denorm_src 0
		.amdhsa_exception_fp_ieee_div_zero 0
		.amdhsa_exception_fp_ieee_overflow 0
		.amdhsa_exception_fp_ieee_underflow 0
		.amdhsa_exception_fp_ieee_inexact 0
		.amdhsa_exception_int_div_zero 0
	.end_amdhsa_kernel
	.section	.text._ZN7rocprim17ROCPRIM_400000_NS6detail17trampoline_kernelINS0_14default_configENS1_27scan_by_key_config_selectorIijEEZZNS1_16scan_by_key_implILNS1_25lookback_scan_determinismE0ELb1ES3_N6thrust23THRUST_200600_302600_NS6detail15normal_iteratorINS9_10device_ptrIiEEEENSB_INSC_IjEEEESG_jNS9_4plusIvEENS9_8equal_toIvEEjEE10hipError_tPvRmT2_T3_T4_T5_mT6_T7_P12ihipStream_tbENKUlT_T0_E_clISt17integral_constantIbLb0EES10_IbLb1EEEEDaSW_SX_EUlSW_E_NS1_11comp_targetILNS1_3genE3ELNS1_11target_archE908ELNS1_3gpuE7ELNS1_3repE0EEENS1_30default_config_static_selectorELNS0_4arch9wavefront6targetE1EEEvT1_,"axG",@progbits,_ZN7rocprim17ROCPRIM_400000_NS6detail17trampoline_kernelINS0_14default_configENS1_27scan_by_key_config_selectorIijEEZZNS1_16scan_by_key_implILNS1_25lookback_scan_determinismE0ELb1ES3_N6thrust23THRUST_200600_302600_NS6detail15normal_iteratorINS9_10device_ptrIiEEEENSB_INSC_IjEEEESG_jNS9_4plusIvEENS9_8equal_toIvEEjEE10hipError_tPvRmT2_T3_T4_T5_mT6_T7_P12ihipStream_tbENKUlT_T0_E_clISt17integral_constantIbLb0EES10_IbLb1EEEEDaSW_SX_EUlSW_E_NS1_11comp_targetILNS1_3genE3ELNS1_11target_archE908ELNS1_3gpuE7ELNS1_3repE0EEENS1_30default_config_static_selectorELNS0_4arch9wavefront6targetE1EEEvT1_,comdat
.Lfunc_end1530:
	.size	_ZN7rocprim17ROCPRIM_400000_NS6detail17trampoline_kernelINS0_14default_configENS1_27scan_by_key_config_selectorIijEEZZNS1_16scan_by_key_implILNS1_25lookback_scan_determinismE0ELb1ES3_N6thrust23THRUST_200600_302600_NS6detail15normal_iteratorINS9_10device_ptrIiEEEENSB_INSC_IjEEEESG_jNS9_4plusIvEENS9_8equal_toIvEEjEE10hipError_tPvRmT2_T3_T4_T5_mT6_T7_P12ihipStream_tbENKUlT_T0_E_clISt17integral_constantIbLb0EES10_IbLb1EEEEDaSW_SX_EUlSW_E_NS1_11comp_targetILNS1_3genE3ELNS1_11target_archE908ELNS1_3gpuE7ELNS1_3repE0EEENS1_30default_config_static_selectorELNS0_4arch9wavefront6targetE1EEEvT1_, .Lfunc_end1530-_ZN7rocprim17ROCPRIM_400000_NS6detail17trampoline_kernelINS0_14default_configENS1_27scan_by_key_config_selectorIijEEZZNS1_16scan_by_key_implILNS1_25lookback_scan_determinismE0ELb1ES3_N6thrust23THRUST_200600_302600_NS6detail15normal_iteratorINS9_10device_ptrIiEEEENSB_INSC_IjEEEESG_jNS9_4plusIvEENS9_8equal_toIvEEjEE10hipError_tPvRmT2_T3_T4_T5_mT6_T7_P12ihipStream_tbENKUlT_T0_E_clISt17integral_constantIbLb0EES10_IbLb1EEEEDaSW_SX_EUlSW_E_NS1_11comp_targetILNS1_3genE3ELNS1_11target_archE908ELNS1_3gpuE7ELNS1_3repE0EEENS1_30default_config_static_selectorELNS0_4arch9wavefront6targetE1EEEvT1_
                                        ; -- End function
	.section	.AMDGPU.csdata,"",@progbits
; Kernel info:
; codeLenInByte = 0
; NumSgprs: 4
; NumVgprs: 0
; NumAgprs: 0
; TotalNumVgprs: 0
; ScratchSize: 0
; MemoryBound: 0
; FloatMode: 240
; IeeeMode: 1
; LDSByteSize: 0 bytes/workgroup (compile time only)
; SGPRBlocks: 0
; VGPRBlocks: 0
; NumSGPRsForWavesPerEU: 4
; NumVGPRsForWavesPerEU: 1
; AccumOffset: 4
; Occupancy: 8
; WaveLimiterHint : 0
; COMPUTE_PGM_RSRC2:SCRATCH_EN: 0
; COMPUTE_PGM_RSRC2:USER_SGPR: 6
; COMPUTE_PGM_RSRC2:TRAP_HANDLER: 0
; COMPUTE_PGM_RSRC2:TGID_X_EN: 1
; COMPUTE_PGM_RSRC2:TGID_Y_EN: 0
; COMPUTE_PGM_RSRC2:TGID_Z_EN: 0
; COMPUTE_PGM_RSRC2:TIDIG_COMP_CNT: 0
; COMPUTE_PGM_RSRC3_GFX90A:ACCUM_OFFSET: 0
; COMPUTE_PGM_RSRC3_GFX90A:TG_SPLIT: 0
	.section	.text._ZN7rocprim17ROCPRIM_400000_NS6detail17trampoline_kernelINS0_14default_configENS1_27scan_by_key_config_selectorIijEEZZNS1_16scan_by_key_implILNS1_25lookback_scan_determinismE0ELb1ES3_N6thrust23THRUST_200600_302600_NS6detail15normal_iteratorINS9_10device_ptrIiEEEENSB_INSC_IjEEEESG_jNS9_4plusIvEENS9_8equal_toIvEEjEE10hipError_tPvRmT2_T3_T4_T5_mT6_T7_P12ihipStream_tbENKUlT_T0_E_clISt17integral_constantIbLb0EES10_IbLb1EEEEDaSW_SX_EUlSW_E_NS1_11comp_targetILNS1_3genE2ELNS1_11target_archE906ELNS1_3gpuE6ELNS1_3repE0EEENS1_30default_config_static_selectorELNS0_4arch9wavefront6targetE1EEEvT1_,"axG",@progbits,_ZN7rocprim17ROCPRIM_400000_NS6detail17trampoline_kernelINS0_14default_configENS1_27scan_by_key_config_selectorIijEEZZNS1_16scan_by_key_implILNS1_25lookback_scan_determinismE0ELb1ES3_N6thrust23THRUST_200600_302600_NS6detail15normal_iteratorINS9_10device_ptrIiEEEENSB_INSC_IjEEEESG_jNS9_4plusIvEENS9_8equal_toIvEEjEE10hipError_tPvRmT2_T3_T4_T5_mT6_T7_P12ihipStream_tbENKUlT_T0_E_clISt17integral_constantIbLb0EES10_IbLb1EEEEDaSW_SX_EUlSW_E_NS1_11comp_targetILNS1_3genE2ELNS1_11target_archE906ELNS1_3gpuE6ELNS1_3repE0EEENS1_30default_config_static_selectorELNS0_4arch9wavefront6targetE1EEEvT1_,comdat
	.protected	_ZN7rocprim17ROCPRIM_400000_NS6detail17trampoline_kernelINS0_14default_configENS1_27scan_by_key_config_selectorIijEEZZNS1_16scan_by_key_implILNS1_25lookback_scan_determinismE0ELb1ES3_N6thrust23THRUST_200600_302600_NS6detail15normal_iteratorINS9_10device_ptrIiEEEENSB_INSC_IjEEEESG_jNS9_4plusIvEENS9_8equal_toIvEEjEE10hipError_tPvRmT2_T3_T4_T5_mT6_T7_P12ihipStream_tbENKUlT_T0_E_clISt17integral_constantIbLb0EES10_IbLb1EEEEDaSW_SX_EUlSW_E_NS1_11comp_targetILNS1_3genE2ELNS1_11target_archE906ELNS1_3gpuE6ELNS1_3repE0EEENS1_30default_config_static_selectorELNS0_4arch9wavefront6targetE1EEEvT1_ ; -- Begin function _ZN7rocprim17ROCPRIM_400000_NS6detail17trampoline_kernelINS0_14default_configENS1_27scan_by_key_config_selectorIijEEZZNS1_16scan_by_key_implILNS1_25lookback_scan_determinismE0ELb1ES3_N6thrust23THRUST_200600_302600_NS6detail15normal_iteratorINS9_10device_ptrIiEEEENSB_INSC_IjEEEESG_jNS9_4plusIvEENS9_8equal_toIvEEjEE10hipError_tPvRmT2_T3_T4_T5_mT6_T7_P12ihipStream_tbENKUlT_T0_E_clISt17integral_constantIbLb0EES10_IbLb1EEEEDaSW_SX_EUlSW_E_NS1_11comp_targetILNS1_3genE2ELNS1_11target_archE906ELNS1_3gpuE6ELNS1_3repE0EEENS1_30default_config_static_selectorELNS0_4arch9wavefront6targetE1EEEvT1_
	.globl	_ZN7rocprim17ROCPRIM_400000_NS6detail17trampoline_kernelINS0_14default_configENS1_27scan_by_key_config_selectorIijEEZZNS1_16scan_by_key_implILNS1_25lookback_scan_determinismE0ELb1ES3_N6thrust23THRUST_200600_302600_NS6detail15normal_iteratorINS9_10device_ptrIiEEEENSB_INSC_IjEEEESG_jNS9_4plusIvEENS9_8equal_toIvEEjEE10hipError_tPvRmT2_T3_T4_T5_mT6_T7_P12ihipStream_tbENKUlT_T0_E_clISt17integral_constantIbLb0EES10_IbLb1EEEEDaSW_SX_EUlSW_E_NS1_11comp_targetILNS1_3genE2ELNS1_11target_archE906ELNS1_3gpuE6ELNS1_3repE0EEENS1_30default_config_static_selectorELNS0_4arch9wavefront6targetE1EEEvT1_
	.p2align	8
	.type	_ZN7rocprim17ROCPRIM_400000_NS6detail17trampoline_kernelINS0_14default_configENS1_27scan_by_key_config_selectorIijEEZZNS1_16scan_by_key_implILNS1_25lookback_scan_determinismE0ELb1ES3_N6thrust23THRUST_200600_302600_NS6detail15normal_iteratorINS9_10device_ptrIiEEEENSB_INSC_IjEEEESG_jNS9_4plusIvEENS9_8equal_toIvEEjEE10hipError_tPvRmT2_T3_T4_T5_mT6_T7_P12ihipStream_tbENKUlT_T0_E_clISt17integral_constantIbLb0EES10_IbLb1EEEEDaSW_SX_EUlSW_E_NS1_11comp_targetILNS1_3genE2ELNS1_11target_archE906ELNS1_3gpuE6ELNS1_3repE0EEENS1_30default_config_static_selectorELNS0_4arch9wavefront6targetE1EEEvT1_,@function
_ZN7rocprim17ROCPRIM_400000_NS6detail17trampoline_kernelINS0_14default_configENS1_27scan_by_key_config_selectorIijEEZZNS1_16scan_by_key_implILNS1_25lookback_scan_determinismE0ELb1ES3_N6thrust23THRUST_200600_302600_NS6detail15normal_iteratorINS9_10device_ptrIiEEEENSB_INSC_IjEEEESG_jNS9_4plusIvEENS9_8equal_toIvEEjEE10hipError_tPvRmT2_T3_T4_T5_mT6_T7_P12ihipStream_tbENKUlT_T0_E_clISt17integral_constantIbLb0EES10_IbLb1EEEEDaSW_SX_EUlSW_E_NS1_11comp_targetILNS1_3genE2ELNS1_11target_archE906ELNS1_3gpuE6ELNS1_3repE0EEENS1_30default_config_static_selectorELNS0_4arch9wavefront6targetE1EEEvT1_: ; @_ZN7rocprim17ROCPRIM_400000_NS6detail17trampoline_kernelINS0_14default_configENS1_27scan_by_key_config_selectorIijEEZZNS1_16scan_by_key_implILNS1_25lookback_scan_determinismE0ELb1ES3_N6thrust23THRUST_200600_302600_NS6detail15normal_iteratorINS9_10device_ptrIiEEEENSB_INSC_IjEEEESG_jNS9_4plusIvEENS9_8equal_toIvEEjEE10hipError_tPvRmT2_T3_T4_T5_mT6_T7_P12ihipStream_tbENKUlT_T0_E_clISt17integral_constantIbLb0EES10_IbLb1EEEEDaSW_SX_EUlSW_E_NS1_11comp_targetILNS1_3genE2ELNS1_11target_archE906ELNS1_3gpuE6ELNS1_3repE0EEENS1_30default_config_static_selectorELNS0_4arch9wavefront6targetE1EEEvT1_
; %bb.0:
	.section	.rodata,"a",@progbits
	.p2align	6, 0x0
	.amdhsa_kernel _ZN7rocprim17ROCPRIM_400000_NS6detail17trampoline_kernelINS0_14default_configENS1_27scan_by_key_config_selectorIijEEZZNS1_16scan_by_key_implILNS1_25lookback_scan_determinismE0ELb1ES3_N6thrust23THRUST_200600_302600_NS6detail15normal_iteratorINS9_10device_ptrIiEEEENSB_INSC_IjEEEESG_jNS9_4plusIvEENS9_8equal_toIvEEjEE10hipError_tPvRmT2_T3_T4_T5_mT6_T7_P12ihipStream_tbENKUlT_T0_E_clISt17integral_constantIbLb0EES10_IbLb1EEEEDaSW_SX_EUlSW_E_NS1_11comp_targetILNS1_3genE2ELNS1_11target_archE906ELNS1_3gpuE6ELNS1_3repE0EEENS1_30default_config_static_selectorELNS0_4arch9wavefront6targetE1EEEvT1_
		.amdhsa_group_segment_fixed_size 0
		.amdhsa_private_segment_fixed_size 0
		.amdhsa_kernarg_size 112
		.amdhsa_user_sgpr_count 6
		.amdhsa_user_sgpr_private_segment_buffer 1
		.amdhsa_user_sgpr_dispatch_ptr 0
		.amdhsa_user_sgpr_queue_ptr 0
		.amdhsa_user_sgpr_kernarg_segment_ptr 1
		.amdhsa_user_sgpr_dispatch_id 0
		.amdhsa_user_sgpr_flat_scratch_init 0
		.amdhsa_user_sgpr_kernarg_preload_length 0
		.amdhsa_user_sgpr_kernarg_preload_offset 0
		.amdhsa_user_sgpr_private_segment_size 0
		.amdhsa_uses_dynamic_stack 0
		.amdhsa_system_sgpr_private_segment_wavefront_offset 0
		.amdhsa_system_sgpr_workgroup_id_x 1
		.amdhsa_system_sgpr_workgroup_id_y 0
		.amdhsa_system_sgpr_workgroup_id_z 0
		.amdhsa_system_sgpr_workgroup_info 0
		.amdhsa_system_vgpr_workitem_id 0
		.amdhsa_next_free_vgpr 1
		.amdhsa_next_free_sgpr 0
		.amdhsa_accum_offset 4
		.amdhsa_reserve_vcc 0
		.amdhsa_reserve_flat_scratch 0
		.amdhsa_float_round_mode_32 0
		.amdhsa_float_round_mode_16_64 0
		.amdhsa_float_denorm_mode_32 3
		.amdhsa_float_denorm_mode_16_64 3
		.amdhsa_dx10_clamp 1
		.amdhsa_ieee_mode 1
		.amdhsa_fp16_overflow 0
		.amdhsa_tg_split 0
		.amdhsa_exception_fp_ieee_invalid_op 0
		.amdhsa_exception_fp_denorm_src 0
		.amdhsa_exception_fp_ieee_div_zero 0
		.amdhsa_exception_fp_ieee_overflow 0
		.amdhsa_exception_fp_ieee_underflow 0
		.amdhsa_exception_fp_ieee_inexact 0
		.amdhsa_exception_int_div_zero 0
	.end_amdhsa_kernel
	.section	.text._ZN7rocprim17ROCPRIM_400000_NS6detail17trampoline_kernelINS0_14default_configENS1_27scan_by_key_config_selectorIijEEZZNS1_16scan_by_key_implILNS1_25lookback_scan_determinismE0ELb1ES3_N6thrust23THRUST_200600_302600_NS6detail15normal_iteratorINS9_10device_ptrIiEEEENSB_INSC_IjEEEESG_jNS9_4plusIvEENS9_8equal_toIvEEjEE10hipError_tPvRmT2_T3_T4_T5_mT6_T7_P12ihipStream_tbENKUlT_T0_E_clISt17integral_constantIbLb0EES10_IbLb1EEEEDaSW_SX_EUlSW_E_NS1_11comp_targetILNS1_3genE2ELNS1_11target_archE906ELNS1_3gpuE6ELNS1_3repE0EEENS1_30default_config_static_selectorELNS0_4arch9wavefront6targetE1EEEvT1_,"axG",@progbits,_ZN7rocprim17ROCPRIM_400000_NS6detail17trampoline_kernelINS0_14default_configENS1_27scan_by_key_config_selectorIijEEZZNS1_16scan_by_key_implILNS1_25lookback_scan_determinismE0ELb1ES3_N6thrust23THRUST_200600_302600_NS6detail15normal_iteratorINS9_10device_ptrIiEEEENSB_INSC_IjEEEESG_jNS9_4plusIvEENS9_8equal_toIvEEjEE10hipError_tPvRmT2_T3_T4_T5_mT6_T7_P12ihipStream_tbENKUlT_T0_E_clISt17integral_constantIbLb0EES10_IbLb1EEEEDaSW_SX_EUlSW_E_NS1_11comp_targetILNS1_3genE2ELNS1_11target_archE906ELNS1_3gpuE6ELNS1_3repE0EEENS1_30default_config_static_selectorELNS0_4arch9wavefront6targetE1EEEvT1_,comdat
.Lfunc_end1531:
	.size	_ZN7rocprim17ROCPRIM_400000_NS6detail17trampoline_kernelINS0_14default_configENS1_27scan_by_key_config_selectorIijEEZZNS1_16scan_by_key_implILNS1_25lookback_scan_determinismE0ELb1ES3_N6thrust23THRUST_200600_302600_NS6detail15normal_iteratorINS9_10device_ptrIiEEEENSB_INSC_IjEEEESG_jNS9_4plusIvEENS9_8equal_toIvEEjEE10hipError_tPvRmT2_T3_T4_T5_mT6_T7_P12ihipStream_tbENKUlT_T0_E_clISt17integral_constantIbLb0EES10_IbLb1EEEEDaSW_SX_EUlSW_E_NS1_11comp_targetILNS1_3genE2ELNS1_11target_archE906ELNS1_3gpuE6ELNS1_3repE0EEENS1_30default_config_static_selectorELNS0_4arch9wavefront6targetE1EEEvT1_, .Lfunc_end1531-_ZN7rocprim17ROCPRIM_400000_NS6detail17trampoline_kernelINS0_14default_configENS1_27scan_by_key_config_selectorIijEEZZNS1_16scan_by_key_implILNS1_25lookback_scan_determinismE0ELb1ES3_N6thrust23THRUST_200600_302600_NS6detail15normal_iteratorINS9_10device_ptrIiEEEENSB_INSC_IjEEEESG_jNS9_4plusIvEENS9_8equal_toIvEEjEE10hipError_tPvRmT2_T3_T4_T5_mT6_T7_P12ihipStream_tbENKUlT_T0_E_clISt17integral_constantIbLb0EES10_IbLb1EEEEDaSW_SX_EUlSW_E_NS1_11comp_targetILNS1_3genE2ELNS1_11target_archE906ELNS1_3gpuE6ELNS1_3repE0EEENS1_30default_config_static_selectorELNS0_4arch9wavefront6targetE1EEEvT1_
                                        ; -- End function
	.section	.AMDGPU.csdata,"",@progbits
; Kernel info:
; codeLenInByte = 0
; NumSgprs: 4
; NumVgprs: 0
; NumAgprs: 0
; TotalNumVgprs: 0
; ScratchSize: 0
; MemoryBound: 0
; FloatMode: 240
; IeeeMode: 1
; LDSByteSize: 0 bytes/workgroup (compile time only)
; SGPRBlocks: 0
; VGPRBlocks: 0
; NumSGPRsForWavesPerEU: 4
; NumVGPRsForWavesPerEU: 1
; AccumOffset: 4
; Occupancy: 8
; WaveLimiterHint : 0
; COMPUTE_PGM_RSRC2:SCRATCH_EN: 0
; COMPUTE_PGM_RSRC2:USER_SGPR: 6
; COMPUTE_PGM_RSRC2:TRAP_HANDLER: 0
; COMPUTE_PGM_RSRC2:TGID_X_EN: 1
; COMPUTE_PGM_RSRC2:TGID_Y_EN: 0
; COMPUTE_PGM_RSRC2:TGID_Z_EN: 0
; COMPUTE_PGM_RSRC2:TIDIG_COMP_CNT: 0
; COMPUTE_PGM_RSRC3_GFX90A:ACCUM_OFFSET: 0
; COMPUTE_PGM_RSRC3_GFX90A:TG_SPLIT: 0
	.section	.text._ZN7rocprim17ROCPRIM_400000_NS6detail17trampoline_kernelINS0_14default_configENS1_27scan_by_key_config_selectorIijEEZZNS1_16scan_by_key_implILNS1_25lookback_scan_determinismE0ELb1ES3_N6thrust23THRUST_200600_302600_NS6detail15normal_iteratorINS9_10device_ptrIiEEEENSB_INSC_IjEEEESG_jNS9_4plusIvEENS9_8equal_toIvEEjEE10hipError_tPvRmT2_T3_T4_T5_mT6_T7_P12ihipStream_tbENKUlT_T0_E_clISt17integral_constantIbLb0EES10_IbLb1EEEEDaSW_SX_EUlSW_E_NS1_11comp_targetILNS1_3genE10ELNS1_11target_archE1200ELNS1_3gpuE4ELNS1_3repE0EEENS1_30default_config_static_selectorELNS0_4arch9wavefront6targetE1EEEvT1_,"axG",@progbits,_ZN7rocprim17ROCPRIM_400000_NS6detail17trampoline_kernelINS0_14default_configENS1_27scan_by_key_config_selectorIijEEZZNS1_16scan_by_key_implILNS1_25lookback_scan_determinismE0ELb1ES3_N6thrust23THRUST_200600_302600_NS6detail15normal_iteratorINS9_10device_ptrIiEEEENSB_INSC_IjEEEESG_jNS9_4plusIvEENS9_8equal_toIvEEjEE10hipError_tPvRmT2_T3_T4_T5_mT6_T7_P12ihipStream_tbENKUlT_T0_E_clISt17integral_constantIbLb0EES10_IbLb1EEEEDaSW_SX_EUlSW_E_NS1_11comp_targetILNS1_3genE10ELNS1_11target_archE1200ELNS1_3gpuE4ELNS1_3repE0EEENS1_30default_config_static_selectorELNS0_4arch9wavefront6targetE1EEEvT1_,comdat
	.protected	_ZN7rocprim17ROCPRIM_400000_NS6detail17trampoline_kernelINS0_14default_configENS1_27scan_by_key_config_selectorIijEEZZNS1_16scan_by_key_implILNS1_25lookback_scan_determinismE0ELb1ES3_N6thrust23THRUST_200600_302600_NS6detail15normal_iteratorINS9_10device_ptrIiEEEENSB_INSC_IjEEEESG_jNS9_4plusIvEENS9_8equal_toIvEEjEE10hipError_tPvRmT2_T3_T4_T5_mT6_T7_P12ihipStream_tbENKUlT_T0_E_clISt17integral_constantIbLb0EES10_IbLb1EEEEDaSW_SX_EUlSW_E_NS1_11comp_targetILNS1_3genE10ELNS1_11target_archE1200ELNS1_3gpuE4ELNS1_3repE0EEENS1_30default_config_static_selectorELNS0_4arch9wavefront6targetE1EEEvT1_ ; -- Begin function _ZN7rocprim17ROCPRIM_400000_NS6detail17trampoline_kernelINS0_14default_configENS1_27scan_by_key_config_selectorIijEEZZNS1_16scan_by_key_implILNS1_25lookback_scan_determinismE0ELb1ES3_N6thrust23THRUST_200600_302600_NS6detail15normal_iteratorINS9_10device_ptrIiEEEENSB_INSC_IjEEEESG_jNS9_4plusIvEENS9_8equal_toIvEEjEE10hipError_tPvRmT2_T3_T4_T5_mT6_T7_P12ihipStream_tbENKUlT_T0_E_clISt17integral_constantIbLb0EES10_IbLb1EEEEDaSW_SX_EUlSW_E_NS1_11comp_targetILNS1_3genE10ELNS1_11target_archE1200ELNS1_3gpuE4ELNS1_3repE0EEENS1_30default_config_static_selectorELNS0_4arch9wavefront6targetE1EEEvT1_
	.globl	_ZN7rocprim17ROCPRIM_400000_NS6detail17trampoline_kernelINS0_14default_configENS1_27scan_by_key_config_selectorIijEEZZNS1_16scan_by_key_implILNS1_25lookback_scan_determinismE0ELb1ES3_N6thrust23THRUST_200600_302600_NS6detail15normal_iteratorINS9_10device_ptrIiEEEENSB_INSC_IjEEEESG_jNS9_4plusIvEENS9_8equal_toIvEEjEE10hipError_tPvRmT2_T3_T4_T5_mT6_T7_P12ihipStream_tbENKUlT_T0_E_clISt17integral_constantIbLb0EES10_IbLb1EEEEDaSW_SX_EUlSW_E_NS1_11comp_targetILNS1_3genE10ELNS1_11target_archE1200ELNS1_3gpuE4ELNS1_3repE0EEENS1_30default_config_static_selectorELNS0_4arch9wavefront6targetE1EEEvT1_
	.p2align	8
	.type	_ZN7rocprim17ROCPRIM_400000_NS6detail17trampoline_kernelINS0_14default_configENS1_27scan_by_key_config_selectorIijEEZZNS1_16scan_by_key_implILNS1_25lookback_scan_determinismE0ELb1ES3_N6thrust23THRUST_200600_302600_NS6detail15normal_iteratorINS9_10device_ptrIiEEEENSB_INSC_IjEEEESG_jNS9_4plusIvEENS9_8equal_toIvEEjEE10hipError_tPvRmT2_T3_T4_T5_mT6_T7_P12ihipStream_tbENKUlT_T0_E_clISt17integral_constantIbLb0EES10_IbLb1EEEEDaSW_SX_EUlSW_E_NS1_11comp_targetILNS1_3genE10ELNS1_11target_archE1200ELNS1_3gpuE4ELNS1_3repE0EEENS1_30default_config_static_selectorELNS0_4arch9wavefront6targetE1EEEvT1_,@function
_ZN7rocprim17ROCPRIM_400000_NS6detail17trampoline_kernelINS0_14default_configENS1_27scan_by_key_config_selectorIijEEZZNS1_16scan_by_key_implILNS1_25lookback_scan_determinismE0ELb1ES3_N6thrust23THRUST_200600_302600_NS6detail15normal_iteratorINS9_10device_ptrIiEEEENSB_INSC_IjEEEESG_jNS9_4plusIvEENS9_8equal_toIvEEjEE10hipError_tPvRmT2_T3_T4_T5_mT6_T7_P12ihipStream_tbENKUlT_T0_E_clISt17integral_constantIbLb0EES10_IbLb1EEEEDaSW_SX_EUlSW_E_NS1_11comp_targetILNS1_3genE10ELNS1_11target_archE1200ELNS1_3gpuE4ELNS1_3repE0EEENS1_30default_config_static_selectorELNS0_4arch9wavefront6targetE1EEEvT1_: ; @_ZN7rocprim17ROCPRIM_400000_NS6detail17trampoline_kernelINS0_14default_configENS1_27scan_by_key_config_selectorIijEEZZNS1_16scan_by_key_implILNS1_25lookback_scan_determinismE0ELb1ES3_N6thrust23THRUST_200600_302600_NS6detail15normal_iteratorINS9_10device_ptrIiEEEENSB_INSC_IjEEEESG_jNS9_4plusIvEENS9_8equal_toIvEEjEE10hipError_tPvRmT2_T3_T4_T5_mT6_T7_P12ihipStream_tbENKUlT_T0_E_clISt17integral_constantIbLb0EES10_IbLb1EEEEDaSW_SX_EUlSW_E_NS1_11comp_targetILNS1_3genE10ELNS1_11target_archE1200ELNS1_3gpuE4ELNS1_3repE0EEENS1_30default_config_static_selectorELNS0_4arch9wavefront6targetE1EEEvT1_
; %bb.0:
	.section	.rodata,"a",@progbits
	.p2align	6, 0x0
	.amdhsa_kernel _ZN7rocprim17ROCPRIM_400000_NS6detail17trampoline_kernelINS0_14default_configENS1_27scan_by_key_config_selectorIijEEZZNS1_16scan_by_key_implILNS1_25lookback_scan_determinismE0ELb1ES3_N6thrust23THRUST_200600_302600_NS6detail15normal_iteratorINS9_10device_ptrIiEEEENSB_INSC_IjEEEESG_jNS9_4plusIvEENS9_8equal_toIvEEjEE10hipError_tPvRmT2_T3_T4_T5_mT6_T7_P12ihipStream_tbENKUlT_T0_E_clISt17integral_constantIbLb0EES10_IbLb1EEEEDaSW_SX_EUlSW_E_NS1_11comp_targetILNS1_3genE10ELNS1_11target_archE1200ELNS1_3gpuE4ELNS1_3repE0EEENS1_30default_config_static_selectorELNS0_4arch9wavefront6targetE1EEEvT1_
		.amdhsa_group_segment_fixed_size 0
		.amdhsa_private_segment_fixed_size 0
		.amdhsa_kernarg_size 112
		.amdhsa_user_sgpr_count 6
		.amdhsa_user_sgpr_private_segment_buffer 1
		.amdhsa_user_sgpr_dispatch_ptr 0
		.amdhsa_user_sgpr_queue_ptr 0
		.amdhsa_user_sgpr_kernarg_segment_ptr 1
		.amdhsa_user_sgpr_dispatch_id 0
		.amdhsa_user_sgpr_flat_scratch_init 0
		.amdhsa_user_sgpr_kernarg_preload_length 0
		.amdhsa_user_sgpr_kernarg_preload_offset 0
		.amdhsa_user_sgpr_private_segment_size 0
		.amdhsa_uses_dynamic_stack 0
		.amdhsa_system_sgpr_private_segment_wavefront_offset 0
		.amdhsa_system_sgpr_workgroup_id_x 1
		.amdhsa_system_sgpr_workgroup_id_y 0
		.amdhsa_system_sgpr_workgroup_id_z 0
		.amdhsa_system_sgpr_workgroup_info 0
		.amdhsa_system_vgpr_workitem_id 0
		.amdhsa_next_free_vgpr 1
		.amdhsa_next_free_sgpr 0
		.amdhsa_accum_offset 4
		.amdhsa_reserve_vcc 0
		.amdhsa_reserve_flat_scratch 0
		.amdhsa_float_round_mode_32 0
		.amdhsa_float_round_mode_16_64 0
		.amdhsa_float_denorm_mode_32 3
		.amdhsa_float_denorm_mode_16_64 3
		.amdhsa_dx10_clamp 1
		.amdhsa_ieee_mode 1
		.amdhsa_fp16_overflow 0
		.amdhsa_tg_split 0
		.amdhsa_exception_fp_ieee_invalid_op 0
		.amdhsa_exception_fp_denorm_src 0
		.amdhsa_exception_fp_ieee_div_zero 0
		.amdhsa_exception_fp_ieee_overflow 0
		.amdhsa_exception_fp_ieee_underflow 0
		.amdhsa_exception_fp_ieee_inexact 0
		.amdhsa_exception_int_div_zero 0
	.end_amdhsa_kernel
	.section	.text._ZN7rocprim17ROCPRIM_400000_NS6detail17trampoline_kernelINS0_14default_configENS1_27scan_by_key_config_selectorIijEEZZNS1_16scan_by_key_implILNS1_25lookback_scan_determinismE0ELb1ES3_N6thrust23THRUST_200600_302600_NS6detail15normal_iteratorINS9_10device_ptrIiEEEENSB_INSC_IjEEEESG_jNS9_4plusIvEENS9_8equal_toIvEEjEE10hipError_tPvRmT2_T3_T4_T5_mT6_T7_P12ihipStream_tbENKUlT_T0_E_clISt17integral_constantIbLb0EES10_IbLb1EEEEDaSW_SX_EUlSW_E_NS1_11comp_targetILNS1_3genE10ELNS1_11target_archE1200ELNS1_3gpuE4ELNS1_3repE0EEENS1_30default_config_static_selectorELNS0_4arch9wavefront6targetE1EEEvT1_,"axG",@progbits,_ZN7rocprim17ROCPRIM_400000_NS6detail17trampoline_kernelINS0_14default_configENS1_27scan_by_key_config_selectorIijEEZZNS1_16scan_by_key_implILNS1_25lookback_scan_determinismE0ELb1ES3_N6thrust23THRUST_200600_302600_NS6detail15normal_iteratorINS9_10device_ptrIiEEEENSB_INSC_IjEEEESG_jNS9_4plusIvEENS9_8equal_toIvEEjEE10hipError_tPvRmT2_T3_T4_T5_mT6_T7_P12ihipStream_tbENKUlT_T0_E_clISt17integral_constantIbLb0EES10_IbLb1EEEEDaSW_SX_EUlSW_E_NS1_11comp_targetILNS1_3genE10ELNS1_11target_archE1200ELNS1_3gpuE4ELNS1_3repE0EEENS1_30default_config_static_selectorELNS0_4arch9wavefront6targetE1EEEvT1_,comdat
.Lfunc_end1532:
	.size	_ZN7rocprim17ROCPRIM_400000_NS6detail17trampoline_kernelINS0_14default_configENS1_27scan_by_key_config_selectorIijEEZZNS1_16scan_by_key_implILNS1_25lookback_scan_determinismE0ELb1ES3_N6thrust23THRUST_200600_302600_NS6detail15normal_iteratorINS9_10device_ptrIiEEEENSB_INSC_IjEEEESG_jNS9_4plusIvEENS9_8equal_toIvEEjEE10hipError_tPvRmT2_T3_T4_T5_mT6_T7_P12ihipStream_tbENKUlT_T0_E_clISt17integral_constantIbLb0EES10_IbLb1EEEEDaSW_SX_EUlSW_E_NS1_11comp_targetILNS1_3genE10ELNS1_11target_archE1200ELNS1_3gpuE4ELNS1_3repE0EEENS1_30default_config_static_selectorELNS0_4arch9wavefront6targetE1EEEvT1_, .Lfunc_end1532-_ZN7rocprim17ROCPRIM_400000_NS6detail17trampoline_kernelINS0_14default_configENS1_27scan_by_key_config_selectorIijEEZZNS1_16scan_by_key_implILNS1_25lookback_scan_determinismE0ELb1ES3_N6thrust23THRUST_200600_302600_NS6detail15normal_iteratorINS9_10device_ptrIiEEEENSB_INSC_IjEEEESG_jNS9_4plusIvEENS9_8equal_toIvEEjEE10hipError_tPvRmT2_T3_T4_T5_mT6_T7_P12ihipStream_tbENKUlT_T0_E_clISt17integral_constantIbLb0EES10_IbLb1EEEEDaSW_SX_EUlSW_E_NS1_11comp_targetILNS1_3genE10ELNS1_11target_archE1200ELNS1_3gpuE4ELNS1_3repE0EEENS1_30default_config_static_selectorELNS0_4arch9wavefront6targetE1EEEvT1_
                                        ; -- End function
	.section	.AMDGPU.csdata,"",@progbits
; Kernel info:
; codeLenInByte = 0
; NumSgprs: 4
; NumVgprs: 0
; NumAgprs: 0
; TotalNumVgprs: 0
; ScratchSize: 0
; MemoryBound: 0
; FloatMode: 240
; IeeeMode: 1
; LDSByteSize: 0 bytes/workgroup (compile time only)
; SGPRBlocks: 0
; VGPRBlocks: 0
; NumSGPRsForWavesPerEU: 4
; NumVGPRsForWavesPerEU: 1
; AccumOffset: 4
; Occupancy: 8
; WaveLimiterHint : 0
; COMPUTE_PGM_RSRC2:SCRATCH_EN: 0
; COMPUTE_PGM_RSRC2:USER_SGPR: 6
; COMPUTE_PGM_RSRC2:TRAP_HANDLER: 0
; COMPUTE_PGM_RSRC2:TGID_X_EN: 1
; COMPUTE_PGM_RSRC2:TGID_Y_EN: 0
; COMPUTE_PGM_RSRC2:TGID_Z_EN: 0
; COMPUTE_PGM_RSRC2:TIDIG_COMP_CNT: 0
; COMPUTE_PGM_RSRC3_GFX90A:ACCUM_OFFSET: 0
; COMPUTE_PGM_RSRC3_GFX90A:TG_SPLIT: 0
	.section	.text._ZN7rocprim17ROCPRIM_400000_NS6detail17trampoline_kernelINS0_14default_configENS1_27scan_by_key_config_selectorIijEEZZNS1_16scan_by_key_implILNS1_25lookback_scan_determinismE0ELb1ES3_N6thrust23THRUST_200600_302600_NS6detail15normal_iteratorINS9_10device_ptrIiEEEENSB_INSC_IjEEEESG_jNS9_4plusIvEENS9_8equal_toIvEEjEE10hipError_tPvRmT2_T3_T4_T5_mT6_T7_P12ihipStream_tbENKUlT_T0_E_clISt17integral_constantIbLb0EES10_IbLb1EEEEDaSW_SX_EUlSW_E_NS1_11comp_targetILNS1_3genE9ELNS1_11target_archE1100ELNS1_3gpuE3ELNS1_3repE0EEENS1_30default_config_static_selectorELNS0_4arch9wavefront6targetE1EEEvT1_,"axG",@progbits,_ZN7rocprim17ROCPRIM_400000_NS6detail17trampoline_kernelINS0_14default_configENS1_27scan_by_key_config_selectorIijEEZZNS1_16scan_by_key_implILNS1_25lookback_scan_determinismE0ELb1ES3_N6thrust23THRUST_200600_302600_NS6detail15normal_iteratorINS9_10device_ptrIiEEEENSB_INSC_IjEEEESG_jNS9_4plusIvEENS9_8equal_toIvEEjEE10hipError_tPvRmT2_T3_T4_T5_mT6_T7_P12ihipStream_tbENKUlT_T0_E_clISt17integral_constantIbLb0EES10_IbLb1EEEEDaSW_SX_EUlSW_E_NS1_11comp_targetILNS1_3genE9ELNS1_11target_archE1100ELNS1_3gpuE3ELNS1_3repE0EEENS1_30default_config_static_selectorELNS0_4arch9wavefront6targetE1EEEvT1_,comdat
	.protected	_ZN7rocprim17ROCPRIM_400000_NS6detail17trampoline_kernelINS0_14default_configENS1_27scan_by_key_config_selectorIijEEZZNS1_16scan_by_key_implILNS1_25lookback_scan_determinismE0ELb1ES3_N6thrust23THRUST_200600_302600_NS6detail15normal_iteratorINS9_10device_ptrIiEEEENSB_INSC_IjEEEESG_jNS9_4plusIvEENS9_8equal_toIvEEjEE10hipError_tPvRmT2_T3_T4_T5_mT6_T7_P12ihipStream_tbENKUlT_T0_E_clISt17integral_constantIbLb0EES10_IbLb1EEEEDaSW_SX_EUlSW_E_NS1_11comp_targetILNS1_3genE9ELNS1_11target_archE1100ELNS1_3gpuE3ELNS1_3repE0EEENS1_30default_config_static_selectorELNS0_4arch9wavefront6targetE1EEEvT1_ ; -- Begin function _ZN7rocprim17ROCPRIM_400000_NS6detail17trampoline_kernelINS0_14default_configENS1_27scan_by_key_config_selectorIijEEZZNS1_16scan_by_key_implILNS1_25lookback_scan_determinismE0ELb1ES3_N6thrust23THRUST_200600_302600_NS6detail15normal_iteratorINS9_10device_ptrIiEEEENSB_INSC_IjEEEESG_jNS9_4plusIvEENS9_8equal_toIvEEjEE10hipError_tPvRmT2_T3_T4_T5_mT6_T7_P12ihipStream_tbENKUlT_T0_E_clISt17integral_constantIbLb0EES10_IbLb1EEEEDaSW_SX_EUlSW_E_NS1_11comp_targetILNS1_3genE9ELNS1_11target_archE1100ELNS1_3gpuE3ELNS1_3repE0EEENS1_30default_config_static_selectorELNS0_4arch9wavefront6targetE1EEEvT1_
	.globl	_ZN7rocprim17ROCPRIM_400000_NS6detail17trampoline_kernelINS0_14default_configENS1_27scan_by_key_config_selectorIijEEZZNS1_16scan_by_key_implILNS1_25lookback_scan_determinismE0ELb1ES3_N6thrust23THRUST_200600_302600_NS6detail15normal_iteratorINS9_10device_ptrIiEEEENSB_INSC_IjEEEESG_jNS9_4plusIvEENS9_8equal_toIvEEjEE10hipError_tPvRmT2_T3_T4_T5_mT6_T7_P12ihipStream_tbENKUlT_T0_E_clISt17integral_constantIbLb0EES10_IbLb1EEEEDaSW_SX_EUlSW_E_NS1_11comp_targetILNS1_3genE9ELNS1_11target_archE1100ELNS1_3gpuE3ELNS1_3repE0EEENS1_30default_config_static_selectorELNS0_4arch9wavefront6targetE1EEEvT1_
	.p2align	8
	.type	_ZN7rocprim17ROCPRIM_400000_NS6detail17trampoline_kernelINS0_14default_configENS1_27scan_by_key_config_selectorIijEEZZNS1_16scan_by_key_implILNS1_25lookback_scan_determinismE0ELb1ES3_N6thrust23THRUST_200600_302600_NS6detail15normal_iteratorINS9_10device_ptrIiEEEENSB_INSC_IjEEEESG_jNS9_4plusIvEENS9_8equal_toIvEEjEE10hipError_tPvRmT2_T3_T4_T5_mT6_T7_P12ihipStream_tbENKUlT_T0_E_clISt17integral_constantIbLb0EES10_IbLb1EEEEDaSW_SX_EUlSW_E_NS1_11comp_targetILNS1_3genE9ELNS1_11target_archE1100ELNS1_3gpuE3ELNS1_3repE0EEENS1_30default_config_static_selectorELNS0_4arch9wavefront6targetE1EEEvT1_,@function
_ZN7rocprim17ROCPRIM_400000_NS6detail17trampoline_kernelINS0_14default_configENS1_27scan_by_key_config_selectorIijEEZZNS1_16scan_by_key_implILNS1_25lookback_scan_determinismE0ELb1ES3_N6thrust23THRUST_200600_302600_NS6detail15normal_iteratorINS9_10device_ptrIiEEEENSB_INSC_IjEEEESG_jNS9_4plusIvEENS9_8equal_toIvEEjEE10hipError_tPvRmT2_T3_T4_T5_mT6_T7_P12ihipStream_tbENKUlT_T0_E_clISt17integral_constantIbLb0EES10_IbLb1EEEEDaSW_SX_EUlSW_E_NS1_11comp_targetILNS1_3genE9ELNS1_11target_archE1100ELNS1_3gpuE3ELNS1_3repE0EEENS1_30default_config_static_selectorELNS0_4arch9wavefront6targetE1EEEvT1_: ; @_ZN7rocprim17ROCPRIM_400000_NS6detail17trampoline_kernelINS0_14default_configENS1_27scan_by_key_config_selectorIijEEZZNS1_16scan_by_key_implILNS1_25lookback_scan_determinismE0ELb1ES3_N6thrust23THRUST_200600_302600_NS6detail15normal_iteratorINS9_10device_ptrIiEEEENSB_INSC_IjEEEESG_jNS9_4plusIvEENS9_8equal_toIvEEjEE10hipError_tPvRmT2_T3_T4_T5_mT6_T7_P12ihipStream_tbENKUlT_T0_E_clISt17integral_constantIbLb0EES10_IbLb1EEEEDaSW_SX_EUlSW_E_NS1_11comp_targetILNS1_3genE9ELNS1_11target_archE1100ELNS1_3gpuE3ELNS1_3repE0EEENS1_30default_config_static_selectorELNS0_4arch9wavefront6targetE1EEEvT1_
; %bb.0:
	.section	.rodata,"a",@progbits
	.p2align	6, 0x0
	.amdhsa_kernel _ZN7rocprim17ROCPRIM_400000_NS6detail17trampoline_kernelINS0_14default_configENS1_27scan_by_key_config_selectorIijEEZZNS1_16scan_by_key_implILNS1_25lookback_scan_determinismE0ELb1ES3_N6thrust23THRUST_200600_302600_NS6detail15normal_iteratorINS9_10device_ptrIiEEEENSB_INSC_IjEEEESG_jNS9_4plusIvEENS9_8equal_toIvEEjEE10hipError_tPvRmT2_T3_T4_T5_mT6_T7_P12ihipStream_tbENKUlT_T0_E_clISt17integral_constantIbLb0EES10_IbLb1EEEEDaSW_SX_EUlSW_E_NS1_11comp_targetILNS1_3genE9ELNS1_11target_archE1100ELNS1_3gpuE3ELNS1_3repE0EEENS1_30default_config_static_selectorELNS0_4arch9wavefront6targetE1EEEvT1_
		.amdhsa_group_segment_fixed_size 0
		.amdhsa_private_segment_fixed_size 0
		.amdhsa_kernarg_size 112
		.amdhsa_user_sgpr_count 6
		.amdhsa_user_sgpr_private_segment_buffer 1
		.amdhsa_user_sgpr_dispatch_ptr 0
		.amdhsa_user_sgpr_queue_ptr 0
		.amdhsa_user_sgpr_kernarg_segment_ptr 1
		.amdhsa_user_sgpr_dispatch_id 0
		.amdhsa_user_sgpr_flat_scratch_init 0
		.amdhsa_user_sgpr_kernarg_preload_length 0
		.amdhsa_user_sgpr_kernarg_preload_offset 0
		.amdhsa_user_sgpr_private_segment_size 0
		.amdhsa_uses_dynamic_stack 0
		.amdhsa_system_sgpr_private_segment_wavefront_offset 0
		.amdhsa_system_sgpr_workgroup_id_x 1
		.amdhsa_system_sgpr_workgroup_id_y 0
		.amdhsa_system_sgpr_workgroup_id_z 0
		.amdhsa_system_sgpr_workgroup_info 0
		.amdhsa_system_vgpr_workitem_id 0
		.amdhsa_next_free_vgpr 1
		.amdhsa_next_free_sgpr 0
		.amdhsa_accum_offset 4
		.amdhsa_reserve_vcc 0
		.amdhsa_reserve_flat_scratch 0
		.amdhsa_float_round_mode_32 0
		.amdhsa_float_round_mode_16_64 0
		.amdhsa_float_denorm_mode_32 3
		.amdhsa_float_denorm_mode_16_64 3
		.amdhsa_dx10_clamp 1
		.amdhsa_ieee_mode 1
		.amdhsa_fp16_overflow 0
		.amdhsa_tg_split 0
		.amdhsa_exception_fp_ieee_invalid_op 0
		.amdhsa_exception_fp_denorm_src 0
		.amdhsa_exception_fp_ieee_div_zero 0
		.amdhsa_exception_fp_ieee_overflow 0
		.amdhsa_exception_fp_ieee_underflow 0
		.amdhsa_exception_fp_ieee_inexact 0
		.amdhsa_exception_int_div_zero 0
	.end_amdhsa_kernel
	.section	.text._ZN7rocprim17ROCPRIM_400000_NS6detail17trampoline_kernelINS0_14default_configENS1_27scan_by_key_config_selectorIijEEZZNS1_16scan_by_key_implILNS1_25lookback_scan_determinismE0ELb1ES3_N6thrust23THRUST_200600_302600_NS6detail15normal_iteratorINS9_10device_ptrIiEEEENSB_INSC_IjEEEESG_jNS9_4plusIvEENS9_8equal_toIvEEjEE10hipError_tPvRmT2_T3_T4_T5_mT6_T7_P12ihipStream_tbENKUlT_T0_E_clISt17integral_constantIbLb0EES10_IbLb1EEEEDaSW_SX_EUlSW_E_NS1_11comp_targetILNS1_3genE9ELNS1_11target_archE1100ELNS1_3gpuE3ELNS1_3repE0EEENS1_30default_config_static_selectorELNS0_4arch9wavefront6targetE1EEEvT1_,"axG",@progbits,_ZN7rocprim17ROCPRIM_400000_NS6detail17trampoline_kernelINS0_14default_configENS1_27scan_by_key_config_selectorIijEEZZNS1_16scan_by_key_implILNS1_25lookback_scan_determinismE0ELb1ES3_N6thrust23THRUST_200600_302600_NS6detail15normal_iteratorINS9_10device_ptrIiEEEENSB_INSC_IjEEEESG_jNS9_4plusIvEENS9_8equal_toIvEEjEE10hipError_tPvRmT2_T3_T4_T5_mT6_T7_P12ihipStream_tbENKUlT_T0_E_clISt17integral_constantIbLb0EES10_IbLb1EEEEDaSW_SX_EUlSW_E_NS1_11comp_targetILNS1_3genE9ELNS1_11target_archE1100ELNS1_3gpuE3ELNS1_3repE0EEENS1_30default_config_static_selectorELNS0_4arch9wavefront6targetE1EEEvT1_,comdat
.Lfunc_end1533:
	.size	_ZN7rocprim17ROCPRIM_400000_NS6detail17trampoline_kernelINS0_14default_configENS1_27scan_by_key_config_selectorIijEEZZNS1_16scan_by_key_implILNS1_25lookback_scan_determinismE0ELb1ES3_N6thrust23THRUST_200600_302600_NS6detail15normal_iteratorINS9_10device_ptrIiEEEENSB_INSC_IjEEEESG_jNS9_4plusIvEENS9_8equal_toIvEEjEE10hipError_tPvRmT2_T3_T4_T5_mT6_T7_P12ihipStream_tbENKUlT_T0_E_clISt17integral_constantIbLb0EES10_IbLb1EEEEDaSW_SX_EUlSW_E_NS1_11comp_targetILNS1_3genE9ELNS1_11target_archE1100ELNS1_3gpuE3ELNS1_3repE0EEENS1_30default_config_static_selectorELNS0_4arch9wavefront6targetE1EEEvT1_, .Lfunc_end1533-_ZN7rocprim17ROCPRIM_400000_NS6detail17trampoline_kernelINS0_14default_configENS1_27scan_by_key_config_selectorIijEEZZNS1_16scan_by_key_implILNS1_25lookback_scan_determinismE0ELb1ES3_N6thrust23THRUST_200600_302600_NS6detail15normal_iteratorINS9_10device_ptrIiEEEENSB_INSC_IjEEEESG_jNS9_4plusIvEENS9_8equal_toIvEEjEE10hipError_tPvRmT2_T3_T4_T5_mT6_T7_P12ihipStream_tbENKUlT_T0_E_clISt17integral_constantIbLb0EES10_IbLb1EEEEDaSW_SX_EUlSW_E_NS1_11comp_targetILNS1_3genE9ELNS1_11target_archE1100ELNS1_3gpuE3ELNS1_3repE0EEENS1_30default_config_static_selectorELNS0_4arch9wavefront6targetE1EEEvT1_
                                        ; -- End function
	.section	.AMDGPU.csdata,"",@progbits
; Kernel info:
; codeLenInByte = 0
; NumSgprs: 4
; NumVgprs: 0
; NumAgprs: 0
; TotalNumVgprs: 0
; ScratchSize: 0
; MemoryBound: 0
; FloatMode: 240
; IeeeMode: 1
; LDSByteSize: 0 bytes/workgroup (compile time only)
; SGPRBlocks: 0
; VGPRBlocks: 0
; NumSGPRsForWavesPerEU: 4
; NumVGPRsForWavesPerEU: 1
; AccumOffset: 4
; Occupancy: 8
; WaveLimiterHint : 0
; COMPUTE_PGM_RSRC2:SCRATCH_EN: 0
; COMPUTE_PGM_RSRC2:USER_SGPR: 6
; COMPUTE_PGM_RSRC2:TRAP_HANDLER: 0
; COMPUTE_PGM_RSRC2:TGID_X_EN: 1
; COMPUTE_PGM_RSRC2:TGID_Y_EN: 0
; COMPUTE_PGM_RSRC2:TGID_Z_EN: 0
; COMPUTE_PGM_RSRC2:TIDIG_COMP_CNT: 0
; COMPUTE_PGM_RSRC3_GFX90A:ACCUM_OFFSET: 0
; COMPUTE_PGM_RSRC3_GFX90A:TG_SPLIT: 0
	.section	.text._ZN7rocprim17ROCPRIM_400000_NS6detail17trampoline_kernelINS0_14default_configENS1_27scan_by_key_config_selectorIijEEZZNS1_16scan_by_key_implILNS1_25lookback_scan_determinismE0ELb1ES3_N6thrust23THRUST_200600_302600_NS6detail15normal_iteratorINS9_10device_ptrIiEEEENSB_INSC_IjEEEESG_jNS9_4plusIvEENS9_8equal_toIvEEjEE10hipError_tPvRmT2_T3_T4_T5_mT6_T7_P12ihipStream_tbENKUlT_T0_E_clISt17integral_constantIbLb0EES10_IbLb1EEEEDaSW_SX_EUlSW_E_NS1_11comp_targetILNS1_3genE8ELNS1_11target_archE1030ELNS1_3gpuE2ELNS1_3repE0EEENS1_30default_config_static_selectorELNS0_4arch9wavefront6targetE1EEEvT1_,"axG",@progbits,_ZN7rocprim17ROCPRIM_400000_NS6detail17trampoline_kernelINS0_14default_configENS1_27scan_by_key_config_selectorIijEEZZNS1_16scan_by_key_implILNS1_25lookback_scan_determinismE0ELb1ES3_N6thrust23THRUST_200600_302600_NS6detail15normal_iteratorINS9_10device_ptrIiEEEENSB_INSC_IjEEEESG_jNS9_4plusIvEENS9_8equal_toIvEEjEE10hipError_tPvRmT2_T3_T4_T5_mT6_T7_P12ihipStream_tbENKUlT_T0_E_clISt17integral_constantIbLb0EES10_IbLb1EEEEDaSW_SX_EUlSW_E_NS1_11comp_targetILNS1_3genE8ELNS1_11target_archE1030ELNS1_3gpuE2ELNS1_3repE0EEENS1_30default_config_static_selectorELNS0_4arch9wavefront6targetE1EEEvT1_,comdat
	.protected	_ZN7rocprim17ROCPRIM_400000_NS6detail17trampoline_kernelINS0_14default_configENS1_27scan_by_key_config_selectorIijEEZZNS1_16scan_by_key_implILNS1_25lookback_scan_determinismE0ELb1ES3_N6thrust23THRUST_200600_302600_NS6detail15normal_iteratorINS9_10device_ptrIiEEEENSB_INSC_IjEEEESG_jNS9_4plusIvEENS9_8equal_toIvEEjEE10hipError_tPvRmT2_T3_T4_T5_mT6_T7_P12ihipStream_tbENKUlT_T0_E_clISt17integral_constantIbLb0EES10_IbLb1EEEEDaSW_SX_EUlSW_E_NS1_11comp_targetILNS1_3genE8ELNS1_11target_archE1030ELNS1_3gpuE2ELNS1_3repE0EEENS1_30default_config_static_selectorELNS0_4arch9wavefront6targetE1EEEvT1_ ; -- Begin function _ZN7rocprim17ROCPRIM_400000_NS6detail17trampoline_kernelINS0_14default_configENS1_27scan_by_key_config_selectorIijEEZZNS1_16scan_by_key_implILNS1_25lookback_scan_determinismE0ELb1ES3_N6thrust23THRUST_200600_302600_NS6detail15normal_iteratorINS9_10device_ptrIiEEEENSB_INSC_IjEEEESG_jNS9_4plusIvEENS9_8equal_toIvEEjEE10hipError_tPvRmT2_T3_T4_T5_mT6_T7_P12ihipStream_tbENKUlT_T0_E_clISt17integral_constantIbLb0EES10_IbLb1EEEEDaSW_SX_EUlSW_E_NS1_11comp_targetILNS1_3genE8ELNS1_11target_archE1030ELNS1_3gpuE2ELNS1_3repE0EEENS1_30default_config_static_selectorELNS0_4arch9wavefront6targetE1EEEvT1_
	.globl	_ZN7rocprim17ROCPRIM_400000_NS6detail17trampoline_kernelINS0_14default_configENS1_27scan_by_key_config_selectorIijEEZZNS1_16scan_by_key_implILNS1_25lookback_scan_determinismE0ELb1ES3_N6thrust23THRUST_200600_302600_NS6detail15normal_iteratorINS9_10device_ptrIiEEEENSB_INSC_IjEEEESG_jNS9_4plusIvEENS9_8equal_toIvEEjEE10hipError_tPvRmT2_T3_T4_T5_mT6_T7_P12ihipStream_tbENKUlT_T0_E_clISt17integral_constantIbLb0EES10_IbLb1EEEEDaSW_SX_EUlSW_E_NS1_11comp_targetILNS1_3genE8ELNS1_11target_archE1030ELNS1_3gpuE2ELNS1_3repE0EEENS1_30default_config_static_selectorELNS0_4arch9wavefront6targetE1EEEvT1_
	.p2align	8
	.type	_ZN7rocprim17ROCPRIM_400000_NS6detail17trampoline_kernelINS0_14default_configENS1_27scan_by_key_config_selectorIijEEZZNS1_16scan_by_key_implILNS1_25lookback_scan_determinismE0ELb1ES3_N6thrust23THRUST_200600_302600_NS6detail15normal_iteratorINS9_10device_ptrIiEEEENSB_INSC_IjEEEESG_jNS9_4plusIvEENS9_8equal_toIvEEjEE10hipError_tPvRmT2_T3_T4_T5_mT6_T7_P12ihipStream_tbENKUlT_T0_E_clISt17integral_constantIbLb0EES10_IbLb1EEEEDaSW_SX_EUlSW_E_NS1_11comp_targetILNS1_3genE8ELNS1_11target_archE1030ELNS1_3gpuE2ELNS1_3repE0EEENS1_30default_config_static_selectorELNS0_4arch9wavefront6targetE1EEEvT1_,@function
_ZN7rocprim17ROCPRIM_400000_NS6detail17trampoline_kernelINS0_14default_configENS1_27scan_by_key_config_selectorIijEEZZNS1_16scan_by_key_implILNS1_25lookback_scan_determinismE0ELb1ES3_N6thrust23THRUST_200600_302600_NS6detail15normal_iteratorINS9_10device_ptrIiEEEENSB_INSC_IjEEEESG_jNS9_4plusIvEENS9_8equal_toIvEEjEE10hipError_tPvRmT2_T3_T4_T5_mT6_T7_P12ihipStream_tbENKUlT_T0_E_clISt17integral_constantIbLb0EES10_IbLb1EEEEDaSW_SX_EUlSW_E_NS1_11comp_targetILNS1_3genE8ELNS1_11target_archE1030ELNS1_3gpuE2ELNS1_3repE0EEENS1_30default_config_static_selectorELNS0_4arch9wavefront6targetE1EEEvT1_: ; @_ZN7rocprim17ROCPRIM_400000_NS6detail17trampoline_kernelINS0_14default_configENS1_27scan_by_key_config_selectorIijEEZZNS1_16scan_by_key_implILNS1_25lookback_scan_determinismE0ELb1ES3_N6thrust23THRUST_200600_302600_NS6detail15normal_iteratorINS9_10device_ptrIiEEEENSB_INSC_IjEEEESG_jNS9_4plusIvEENS9_8equal_toIvEEjEE10hipError_tPvRmT2_T3_T4_T5_mT6_T7_P12ihipStream_tbENKUlT_T0_E_clISt17integral_constantIbLb0EES10_IbLb1EEEEDaSW_SX_EUlSW_E_NS1_11comp_targetILNS1_3genE8ELNS1_11target_archE1030ELNS1_3gpuE2ELNS1_3repE0EEENS1_30default_config_static_selectorELNS0_4arch9wavefront6targetE1EEEvT1_
; %bb.0:
	.section	.rodata,"a",@progbits
	.p2align	6, 0x0
	.amdhsa_kernel _ZN7rocprim17ROCPRIM_400000_NS6detail17trampoline_kernelINS0_14default_configENS1_27scan_by_key_config_selectorIijEEZZNS1_16scan_by_key_implILNS1_25lookback_scan_determinismE0ELb1ES3_N6thrust23THRUST_200600_302600_NS6detail15normal_iteratorINS9_10device_ptrIiEEEENSB_INSC_IjEEEESG_jNS9_4plusIvEENS9_8equal_toIvEEjEE10hipError_tPvRmT2_T3_T4_T5_mT6_T7_P12ihipStream_tbENKUlT_T0_E_clISt17integral_constantIbLb0EES10_IbLb1EEEEDaSW_SX_EUlSW_E_NS1_11comp_targetILNS1_3genE8ELNS1_11target_archE1030ELNS1_3gpuE2ELNS1_3repE0EEENS1_30default_config_static_selectorELNS0_4arch9wavefront6targetE1EEEvT1_
		.amdhsa_group_segment_fixed_size 0
		.amdhsa_private_segment_fixed_size 0
		.amdhsa_kernarg_size 112
		.amdhsa_user_sgpr_count 6
		.amdhsa_user_sgpr_private_segment_buffer 1
		.amdhsa_user_sgpr_dispatch_ptr 0
		.amdhsa_user_sgpr_queue_ptr 0
		.amdhsa_user_sgpr_kernarg_segment_ptr 1
		.amdhsa_user_sgpr_dispatch_id 0
		.amdhsa_user_sgpr_flat_scratch_init 0
		.amdhsa_user_sgpr_kernarg_preload_length 0
		.amdhsa_user_sgpr_kernarg_preload_offset 0
		.amdhsa_user_sgpr_private_segment_size 0
		.amdhsa_uses_dynamic_stack 0
		.amdhsa_system_sgpr_private_segment_wavefront_offset 0
		.amdhsa_system_sgpr_workgroup_id_x 1
		.amdhsa_system_sgpr_workgroup_id_y 0
		.amdhsa_system_sgpr_workgroup_id_z 0
		.amdhsa_system_sgpr_workgroup_info 0
		.amdhsa_system_vgpr_workitem_id 0
		.amdhsa_next_free_vgpr 1
		.amdhsa_next_free_sgpr 0
		.amdhsa_accum_offset 4
		.amdhsa_reserve_vcc 0
		.amdhsa_reserve_flat_scratch 0
		.amdhsa_float_round_mode_32 0
		.amdhsa_float_round_mode_16_64 0
		.amdhsa_float_denorm_mode_32 3
		.amdhsa_float_denorm_mode_16_64 3
		.amdhsa_dx10_clamp 1
		.amdhsa_ieee_mode 1
		.amdhsa_fp16_overflow 0
		.amdhsa_tg_split 0
		.amdhsa_exception_fp_ieee_invalid_op 0
		.amdhsa_exception_fp_denorm_src 0
		.amdhsa_exception_fp_ieee_div_zero 0
		.amdhsa_exception_fp_ieee_overflow 0
		.amdhsa_exception_fp_ieee_underflow 0
		.amdhsa_exception_fp_ieee_inexact 0
		.amdhsa_exception_int_div_zero 0
	.end_amdhsa_kernel
	.section	.text._ZN7rocprim17ROCPRIM_400000_NS6detail17trampoline_kernelINS0_14default_configENS1_27scan_by_key_config_selectorIijEEZZNS1_16scan_by_key_implILNS1_25lookback_scan_determinismE0ELb1ES3_N6thrust23THRUST_200600_302600_NS6detail15normal_iteratorINS9_10device_ptrIiEEEENSB_INSC_IjEEEESG_jNS9_4plusIvEENS9_8equal_toIvEEjEE10hipError_tPvRmT2_T3_T4_T5_mT6_T7_P12ihipStream_tbENKUlT_T0_E_clISt17integral_constantIbLb0EES10_IbLb1EEEEDaSW_SX_EUlSW_E_NS1_11comp_targetILNS1_3genE8ELNS1_11target_archE1030ELNS1_3gpuE2ELNS1_3repE0EEENS1_30default_config_static_selectorELNS0_4arch9wavefront6targetE1EEEvT1_,"axG",@progbits,_ZN7rocprim17ROCPRIM_400000_NS6detail17trampoline_kernelINS0_14default_configENS1_27scan_by_key_config_selectorIijEEZZNS1_16scan_by_key_implILNS1_25lookback_scan_determinismE0ELb1ES3_N6thrust23THRUST_200600_302600_NS6detail15normal_iteratorINS9_10device_ptrIiEEEENSB_INSC_IjEEEESG_jNS9_4plusIvEENS9_8equal_toIvEEjEE10hipError_tPvRmT2_T3_T4_T5_mT6_T7_P12ihipStream_tbENKUlT_T0_E_clISt17integral_constantIbLb0EES10_IbLb1EEEEDaSW_SX_EUlSW_E_NS1_11comp_targetILNS1_3genE8ELNS1_11target_archE1030ELNS1_3gpuE2ELNS1_3repE0EEENS1_30default_config_static_selectorELNS0_4arch9wavefront6targetE1EEEvT1_,comdat
.Lfunc_end1534:
	.size	_ZN7rocprim17ROCPRIM_400000_NS6detail17trampoline_kernelINS0_14default_configENS1_27scan_by_key_config_selectorIijEEZZNS1_16scan_by_key_implILNS1_25lookback_scan_determinismE0ELb1ES3_N6thrust23THRUST_200600_302600_NS6detail15normal_iteratorINS9_10device_ptrIiEEEENSB_INSC_IjEEEESG_jNS9_4plusIvEENS9_8equal_toIvEEjEE10hipError_tPvRmT2_T3_T4_T5_mT6_T7_P12ihipStream_tbENKUlT_T0_E_clISt17integral_constantIbLb0EES10_IbLb1EEEEDaSW_SX_EUlSW_E_NS1_11comp_targetILNS1_3genE8ELNS1_11target_archE1030ELNS1_3gpuE2ELNS1_3repE0EEENS1_30default_config_static_selectorELNS0_4arch9wavefront6targetE1EEEvT1_, .Lfunc_end1534-_ZN7rocprim17ROCPRIM_400000_NS6detail17trampoline_kernelINS0_14default_configENS1_27scan_by_key_config_selectorIijEEZZNS1_16scan_by_key_implILNS1_25lookback_scan_determinismE0ELb1ES3_N6thrust23THRUST_200600_302600_NS6detail15normal_iteratorINS9_10device_ptrIiEEEENSB_INSC_IjEEEESG_jNS9_4plusIvEENS9_8equal_toIvEEjEE10hipError_tPvRmT2_T3_T4_T5_mT6_T7_P12ihipStream_tbENKUlT_T0_E_clISt17integral_constantIbLb0EES10_IbLb1EEEEDaSW_SX_EUlSW_E_NS1_11comp_targetILNS1_3genE8ELNS1_11target_archE1030ELNS1_3gpuE2ELNS1_3repE0EEENS1_30default_config_static_selectorELNS0_4arch9wavefront6targetE1EEEvT1_
                                        ; -- End function
	.section	.AMDGPU.csdata,"",@progbits
; Kernel info:
; codeLenInByte = 0
; NumSgprs: 4
; NumVgprs: 0
; NumAgprs: 0
; TotalNumVgprs: 0
; ScratchSize: 0
; MemoryBound: 0
; FloatMode: 240
; IeeeMode: 1
; LDSByteSize: 0 bytes/workgroup (compile time only)
; SGPRBlocks: 0
; VGPRBlocks: 0
; NumSGPRsForWavesPerEU: 4
; NumVGPRsForWavesPerEU: 1
; AccumOffset: 4
; Occupancy: 8
; WaveLimiterHint : 0
; COMPUTE_PGM_RSRC2:SCRATCH_EN: 0
; COMPUTE_PGM_RSRC2:USER_SGPR: 6
; COMPUTE_PGM_RSRC2:TRAP_HANDLER: 0
; COMPUTE_PGM_RSRC2:TGID_X_EN: 1
; COMPUTE_PGM_RSRC2:TGID_Y_EN: 0
; COMPUTE_PGM_RSRC2:TGID_Z_EN: 0
; COMPUTE_PGM_RSRC2:TIDIG_COMP_CNT: 0
; COMPUTE_PGM_RSRC3_GFX90A:ACCUM_OFFSET: 0
; COMPUTE_PGM_RSRC3_GFX90A:TG_SPLIT: 0
	.section	.text._ZN7rocprim17ROCPRIM_400000_NS6detail17trampoline_kernelINS0_14default_configENS1_27scan_by_key_config_selectorIitEEZZNS1_16scan_by_key_implILNS1_25lookback_scan_determinismE0ELb1ES3_N6thrust23THRUST_200600_302600_NS6detail15normal_iteratorINS9_10device_ptrIiEEEENSB_INSC_ItEEEESG_tNS9_4plusIvEENS9_8equal_toIvEEtEE10hipError_tPvRmT2_T3_T4_T5_mT6_T7_P12ihipStream_tbENKUlT_T0_E_clISt17integral_constantIbLb0EES11_EEDaSW_SX_EUlSW_E_NS1_11comp_targetILNS1_3genE0ELNS1_11target_archE4294967295ELNS1_3gpuE0ELNS1_3repE0EEENS1_30default_config_static_selectorELNS0_4arch9wavefront6targetE1EEEvT1_,"axG",@progbits,_ZN7rocprim17ROCPRIM_400000_NS6detail17trampoline_kernelINS0_14default_configENS1_27scan_by_key_config_selectorIitEEZZNS1_16scan_by_key_implILNS1_25lookback_scan_determinismE0ELb1ES3_N6thrust23THRUST_200600_302600_NS6detail15normal_iteratorINS9_10device_ptrIiEEEENSB_INSC_ItEEEESG_tNS9_4plusIvEENS9_8equal_toIvEEtEE10hipError_tPvRmT2_T3_T4_T5_mT6_T7_P12ihipStream_tbENKUlT_T0_E_clISt17integral_constantIbLb0EES11_EEDaSW_SX_EUlSW_E_NS1_11comp_targetILNS1_3genE0ELNS1_11target_archE4294967295ELNS1_3gpuE0ELNS1_3repE0EEENS1_30default_config_static_selectorELNS0_4arch9wavefront6targetE1EEEvT1_,comdat
	.protected	_ZN7rocprim17ROCPRIM_400000_NS6detail17trampoline_kernelINS0_14default_configENS1_27scan_by_key_config_selectorIitEEZZNS1_16scan_by_key_implILNS1_25lookback_scan_determinismE0ELb1ES3_N6thrust23THRUST_200600_302600_NS6detail15normal_iteratorINS9_10device_ptrIiEEEENSB_INSC_ItEEEESG_tNS9_4plusIvEENS9_8equal_toIvEEtEE10hipError_tPvRmT2_T3_T4_T5_mT6_T7_P12ihipStream_tbENKUlT_T0_E_clISt17integral_constantIbLb0EES11_EEDaSW_SX_EUlSW_E_NS1_11comp_targetILNS1_3genE0ELNS1_11target_archE4294967295ELNS1_3gpuE0ELNS1_3repE0EEENS1_30default_config_static_selectorELNS0_4arch9wavefront6targetE1EEEvT1_ ; -- Begin function _ZN7rocprim17ROCPRIM_400000_NS6detail17trampoline_kernelINS0_14default_configENS1_27scan_by_key_config_selectorIitEEZZNS1_16scan_by_key_implILNS1_25lookback_scan_determinismE0ELb1ES3_N6thrust23THRUST_200600_302600_NS6detail15normal_iteratorINS9_10device_ptrIiEEEENSB_INSC_ItEEEESG_tNS9_4plusIvEENS9_8equal_toIvEEtEE10hipError_tPvRmT2_T3_T4_T5_mT6_T7_P12ihipStream_tbENKUlT_T0_E_clISt17integral_constantIbLb0EES11_EEDaSW_SX_EUlSW_E_NS1_11comp_targetILNS1_3genE0ELNS1_11target_archE4294967295ELNS1_3gpuE0ELNS1_3repE0EEENS1_30default_config_static_selectorELNS0_4arch9wavefront6targetE1EEEvT1_
	.globl	_ZN7rocprim17ROCPRIM_400000_NS6detail17trampoline_kernelINS0_14default_configENS1_27scan_by_key_config_selectorIitEEZZNS1_16scan_by_key_implILNS1_25lookback_scan_determinismE0ELb1ES3_N6thrust23THRUST_200600_302600_NS6detail15normal_iteratorINS9_10device_ptrIiEEEENSB_INSC_ItEEEESG_tNS9_4plusIvEENS9_8equal_toIvEEtEE10hipError_tPvRmT2_T3_T4_T5_mT6_T7_P12ihipStream_tbENKUlT_T0_E_clISt17integral_constantIbLb0EES11_EEDaSW_SX_EUlSW_E_NS1_11comp_targetILNS1_3genE0ELNS1_11target_archE4294967295ELNS1_3gpuE0ELNS1_3repE0EEENS1_30default_config_static_selectorELNS0_4arch9wavefront6targetE1EEEvT1_
	.p2align	8
	.type	_ZN7rocprim17ROCPRIM_400000_NS6detail17trampoline_kernelINS0_14default_configENS1_27scan_by_key_config_selectorIitEEZZNS1_16scan_by_key_implILNS1_25lookback_scan_determinismE0ELb1ES3_N6thrust23THRUST_200600_302600_NS6detail15normal_iteratorINS9_10device_ptrIiEEEENSB_INSC_ItEEEESG_tNS9_4plusIvEENS9_8equal_toIvEEtEE10hipError_tPvRmT2_T3_T4_T5_mT6_T7_P12ihipStream_tbENKUlT_T0_E_clISt17integral_constantIbLb0EES11_EEDaSW_SX_EUlSW_E_NS1_11comp_targetILNS1_3genE0ELNS1_11target_archE4294967295ELNS1_3gpuE0ELNS1_3repE0EEENS1_30default_config_static_selectorELNS0_4arch9wavefront6targetE1EEEvT1_,@function
_ZN7rocprim17ROCPRIM_400000_NS6detail17trampoline_kernelINS0_14default_configENS1_27scan_by_key_config_selectorIitEEZZNS1_16scan_by_key_implILNS1_25lookback_scan_determinismE0ELb1ES3_N6thrust23THRUST_200600_302600_NS6detail15normal_iteratorINS9_10device_ptrIiEEEENSB_INSC_ItEEEESG_tNS9_4plusIvEENS9_8equal_toIvEEtEE10hipError_tPvRmT2_T3_T4_T5_mT6_T7_P12ihipStream_tbENKUlT_T0_E_clISt17integral_constantIbLb0EES11_EEDaSW_SX_EUlSW_E_NS1_11comp_targetILNS1_3genE0ELNS1_11target_archE4294967295ELNS1_3gpuE0ELNS1_3repE0EEENS1_30default_config_static_selectorELNS0_4arch9wavefront6targetE1EEEvT1_: ; @_ZN7rocprim17ROCPRIM_400000_NS6detail17trampoline_kernelINS0_14default_configENS1_27scan_by_key_config_selectorIitEEZZNS1_16scan_by_key_implILNS1_25lookback_scan_determinismE0ELb1ES3_N6thrust23THRUST_200600_302600_NS6detail15normal_iteratorINS9_10device_ptrIiEEEENSB_INSC_ItEEEESG_tNS9_4plusIvEENS9_8equal_toIvEEtEE10hipError_tPvRmT2_T3_T4_T5_mT6_T7_P12ihipStream_tbENKUlT_T0_E_clISt17integral_constantIbLb0EES11_EEDaSW_SX_EUlSW_E_NS1_11comp_targetILNS1_3genE0ELNS1_11target_archE4294967295ELNS1_3gpuE0ELNS1_3repE0EEENS1_30default_config_static_selectorELNS0_4arch9wavefront6targetE1EEEvT1_
; %bb.0:
	.section	.rodata,"a",@progbits
	.p2align	6, 0x0
	.amdhsa_kernel _ZN7rocprim17ROCPRIM_400000_NS6detail17trampoline_kernelINS0_14default_configENS1_27scan_by_key_config_selectorIitEEZZNS1_16scan_by_key_implILNS1_25lookback_scan_determinismE0ELb1ES3_N6thrust23THRUST_200600_302600_NS6detail15normal_iteratorINS9_10device_ptrIiEEEENSB_INSC_ItEEEESG_tNS9_4plusIvEENS9_8equal_toIvEEtEE10hipError_tPvRmT2_T3_T4_T5_mT6_T7_P12ihipStream_tbENKUlT_T0_E_clISt17integral_constantIbLb0EES11_EEDaSW_SX_EUlSW_E_NS1_11comp_targetILNS1_3genE0ELNS1_11target_archE4294967295ELNS1_3gpuE0ELNS1_3repE0EEENS1_30default_config_static_selectorELNS0_4arch9wavefront6targetE1EEEvT1_
		.amdhsa_group_segment_fixed_size 0
		.amdhsa_private_segment_fixed_size 0
		.amdhsa_kernarg_size 112
		.amdhsa_user_sgpr_count 6
		.amdhsa_user_sgpr_private_segment_buffer 1
		.amdhsa_user_sgpr_dispatch_ptr 0
		.amdhsa_user_sgpr_queue_ptr 0
		.amdhsa_user_sgpr_kernarg_segment_ptr 1
		.amdhsa_user_sgpr_dispatch_id 0
		.amdhsa_user_sgpr_flat_scratch_init 0
		.amdhsa_user_sgpr_kernarg_preload_length 0
		.amdhsa_user_sgpr_kernarg_preload_offset 0
		.amdhsa_user_sgpr_private_segment_size 0
		.amdhsa_uses_dynamic_stack 0
		.amdhsa_system_sgpr_private_segment_wavefront_offset 0
		.amdhsa_system_sgpr_workgroup_id_x 1
		.amdhsa_system_sgpr_workgroup_id_y 0
		.amdhsa_system_sgpr_workgroup_id_z 0
		.amdhsa_system_sgpr_workgroup_info 0
		.amdhsa_system_vgpr_workitem_id 0
		.amdhsa_next_free_vgpr 1
		.amdhsa_next_free_sgpr 0
		.amdhsa_accum_offset 4
		.amdhsa_reserve_vcc 0
		.amdhsa_reserve_flat_scratch 0
		.amdhsa_float_round_mode_32 0
		.amdhsa_float_round_mode_16_64 0
		.amdhsa_float_denorm_mode_32 3
		.amdhsa_float_denorm_mode_16_64 3
		.amdhsa_dx10_clamp 1
		.amdhsa_ieee_mode 1
		.amdhsa_fp16_overflow 0
		.amdhsa_tg_split 0
		.amdhsa_exception_fp_ieee_invalid_op 0
		.amdhsa_exception_fp_denorm_src 0
		.amdhsa_exception_fp_ieee_div_zero 0
		.amdhsa_exception_fp_ieee_overflow 0
		.amdhsa_exception_fp_ieee_underflow 0
		.amdhsa_exception_fp_ieee_inexact 0
		.amdhsa_exception_int_div_zero 0
	.end_amdhsa_kernel
	.section	.text._ZN7rocprim17ROCPRIM_400000_NS6detail17trampoline_kernelINS0_14default_configENS1_27scan_by_key_config_selectorIitEEZZNS1_16scan_by_key_implILNS1_25lookback_scan_determinismE0ELb1ES3_N6thrust23THRUST_200600_302600_NS6detail15normal_iteratorINS9_10device_ptrIiEEEENSB_INSC_ItEEEESG_tNS9_4plusIvEENS9_8equal_toIvEEtEE10hipError_tPvRmT2_T3_T4_T5_mT6_T7_P12ihipStream_tbENKUlT_T0_E_clISt17integral_constantIbLb0EES11_EEDaSW_SX_EUlSW_E_NS1_11comp_targetILNS1_3genE0ELNS1_11target_archE4294967295ELNS1_3gpuE0ELNS1_3repE0EEENS1_30default_config_static_selectorELNS0_4arch9wavefront6targetE1EEEvT1_,"axG",@progbits,_ZN7rocprim17ROCPRIM_400000_NS6detail17trampoline_kernelINS0_14default_configENS1_27scan_by_key_config_selectorIitEEZZNS1_16scan_by_key_implILNS1_25lookback_scan_determinismE0ELb1ES3_N6thrust23THRUST_200600_302600_NS6detail15normal_iteratorINS9_10device_ptrIiEEEENSB_INSC_ItEEEESG_tNS9_4plusIvEENS9_8equal_toIvEEtEE10hipError_tPvRmT2_T3_T4_T5_mT6_T7_P12ihipStream_tbENKUlT_T0_E_clISt17integral_constantIbLb0EES11_EEDaSW_SX_EUlSW_E_NS1_11comp_targetILNS1_3genE0ELNS1_11target_archE4294967295ELNS1_3gpuE0ELNS1_3repE0EEENS1_30default_config_static_selectorELNS0_4arch9wavefront6targetE1EEEvT1_,comdat
.Lfunc_end1535:
	.size	_ZN7rocprim17ROCPRIM_400000_NS6detail17trampoline_kernelINS0_14default_configENS1_27scan_by_key_config_selectorIitEEZZNS1_16scan_by_key_implILNS1_25lookback_scan_determinismE0ELb1ES3_N6thrust23THRUST_200600_302600_NS6detail15normal_iteratorINS9_10device_ptrIiEEEENSB_INSC_ItEEEESG_tNS9_4plusIvEENS9_8equal_toIvEEtEE10hipError_tPvRmT2_T3_T4_T5_mT6_T7_P12ihipStream_tbENKUlT_T0_E_clISt17integral_constantIbLb0EES11_EEDaSW_SX_EUlSW_E_NS1_11comp_targetILNS1_3genE0ELNS1_11target_archE4294967295ELNS1_3gpuE0ELNS1_3repE0EEENS1_30default_config_static_selectorELNS0_4arch9wavefront6targetE1EEEvT1_, .Lfunc_end1535-_ZN7rocprim17ROCPRIM_400000_NS6detail17trampoline_kernelINS0_14default_configENS1_27scan_by_key_config_selectorIitEEZZNS1_16scan_by_key_implILNS1_25lookback_scan_determinismE0ELb1ES3_N6thrust23THRUST_200600_302600_NS6detail15normal_iteratorINS9_10device_ptrIiEEEENSB_INSC_ItEEEESG_tNS9_4plusIvEENS9_8equal_toIvEEtEE10hipError_tPvRmT2_T3_T4_T5_mT6_T7_P12ihipStream_tbENKUlT_T0_E_clISt17integral_constantIbLb0EES11_EEDaSW_SX_EUlSW_E_NS1_11comp_targetILNS1_3genE0ELNS1_11target_archE4294967295ELNS1_3gpuE0ELNS1_3repE0EEENS1_30default_config_static_selectorELNS0_4arch9wavefront6targetE1EEEvT1_
                                        ; -- End function
	.section	.AMDGPU.csdata,"",@progbits
; Kernel info:
; codeLenInByte = 0
; NumSgprs: 4
; NumVgprs: 0
; NumAgprs: 0
; TotalNumVgprs: 0
; ScratchSize: 0
; MemoryBound: 0
; FloatMode: 240
; IeeeMode: 1
; LDSByteSize: 0 bytes/workgroup (compile time only)
; SGPRBlocks: 0
; VGPRBlocks: 0
; NumSGPRsForWavesPerEU: 4
; NumVGPRsForWavesPerEU: 1
; AccumOffset: 4
; Occupancy: 8
; WaveLimiterHint : 0
; COMPUTE_PGM_RSRC2:SCRATCH_EN: 0
; COMPUTE_PGM_RSRC2:USER_SGPR: 6
; COMPUTE_PGM_RSRC2:TRAP_HANDLER: 0
; COMPUTE_PGM_RSRC2:TGID_X_EN: 1
; COMPUTE_PGM_RSRC2:TGID_Y_EN: 0
; COMPUTE_PGM_RSRC2:TGID_Z_EN: 0
; COMPUTE_PGM_RSRC2:TIDIG_COMP_CNT: 0
; COMPUTE_PGM_RSRC3_GFX90A:ACCUM_OFFSET: 0
; COMPUTE_PGM_RSRC3_GFX90A:TG_SPLIT: 0
	.section	.text._ZN7rocprim17ROCPRIM_400000_NS6detail17trampoline_kernelINS0_14default_configENS1_27scan_by_key_config_selectorIitEEZZNS1_16scan_by_key_implILNS1_25lookback_scan_determinismE0ELb1ES3_N6thrust23THRUST_200600_302600_NS6detail15normal_iteratorINS9_10device_ptrIiEEEENSB_INSC_ItEEEESG_tNS9_4plusIvEENS9_8equal_toIvEEtEE10hipError_tPvRmT2_T3_T4_T5_mT6_T7_P12ihipStream_tbENKUlT_T0_E_clISt17integral_constantIbLb0EES11_EEDaSW_SX_EUlSW_E_NS1_11comp_targetILNS1_3genE10ELNS1_11target_archE1201ELNS1_3gpuE5ELNS1_3repE0EEENS1_30default_config_static_selectorELNS0_4arch9wavefront6targetE1EEEvT1_,"axG",@progbits,_ZN7rocprim17ROCPRIM_400000_NS6detail17trampoline_kernelINS0_14default_configENS1_27scan_by_key_config_selectorIitEEZZNS1_16scan_by_key_implILNS1_25lookback_scan_determinismE0ELb1ES3_N6thrust23THRUST_200600_302600_NS6detail15normal_iteratorINS9_10device_ptrIiEEEENSB_INSC_ItEEEESG_tNS9_4plusIvEENS9_8equal_toIvEEtEE10hipError_tPvRmT2_T3_T4_T5_mT6_T7_P12ihipStream_tbENKUlT_T0_E_clISt17integral_constantIbLb0EES11_EEDaSW_SX_EUlSW_E_NS1_11comp_targetILNS1_3genE10ELNS1_11target_archE1201ELNS1_3gpuE5ELNS1_3repE0EEENS1_30default_config_static_selectorELNS0_4arch9wavefront6targetE1EEEvT1_,comdat
	.protected	_ZN7rocprim17ROCPRIM_400000_NS6detail17trampoline_kernelINS0_14default_configENS1_27scan_by_key_config_selectorIitEEZZNS1_16scan_by_key_implILNS1_25lookback_scan_determinismE0ELb1ES3_N6thrust23THRUST_200600_302600_NS6detail15normal_iteratorINS9_10device_ptrIiEEEENSB_INSC_ItEEEESG_tNS9_4plusIvEENS9_8equal_toIvEEtEE10hipError_tPvRmT2_T3_T4_T5_mT6_T7_P12ihipStream_tbENKUlT_T0_E_clISt17integral_constantIbLb0EES11_EEDaSW_SX_EUlSW_E_NS1_11comp_targetILNS1_3genE10ELNS1_11target_archE1201ELNS1_3gpuE5ELNS1_3repE0EEENS1_30default_config_static_selectorELNS0_4arch9wavefront6targetE1EEEvT1_ ; -- Begin function _ZN7rocprim17ROCPRIM_400000_NS6detail17trampoline_kernelINS0_14default_configENS1_27scan_by_key_config_selectorIitEEZZNS1_16scan_by_key_implILNS1_25lookback_scan_determinismE0ELb1ES3_N6thrust23THRUST_200600_302600_NS6detail15normal_iteratorINS9_10device_ptrIiEEEENSB_INSC_ItEEEESG_tNS9_4plusIvEENS9_8equal_toIvEEtEE10hipError_tPvRmT2_T3_T4_T5_mT6_T7_P12ihipStream_tbENKUlT_T0_E_clISt17integral_constantIbLb0EES11_EEDaSW_SX_EUlSW_E_NS1_11comp_targetILNS1_3genE10ELNS1_11target_archE1201ELNS1_3gpuE5ELNS1_3repE0EEENS1_30default_config_static_selectorELNS0_4arch9wavefront6targetE1EEEvT1_
	.globl	_ZN7rocprim17ROCPRIM_400000_NS6detail17trampoline_kernelINS0_14default_configENS1_27scan_by_key_config_selectorIitEEZZNS1_16scan_by_key_implILNS1_25lookback_scan_determinismE0ELb1ES3_N6thrust23THRUST_200600_302600_NS6detail15normal_iteratorINS9_10device_ptrIiEEEENSB_INSC_ItEEEESG_tNS9_4plusIvEENS9_8equal_toIvEEtEE10hipError_tPvRmT2_T3_T4_T5_mT6_T7_P12ihipStream_tbENKUlT_T0_E_clISt17integral_constantIbLb0EES11_EEDaSW_SX_EUlSW_E_NS1_11comp_targetILNS1_3genE10ELNS1_11target_archE1201ELNS1_3gpuE5ELNS1_3repE0EEENS1_30default_config_static_selectorELNS0_4arch9wavefront6targetE1EEEvT1_
	.p2align	8
	.type	_ZN7rocprim17ROCPRIM_400000_NS6detail17trampoline_kernelINS0_14default_configENS1_27scan_by_key_config_selectorIitEEZZNS1_16scan_by_key_implILNS1_25lookback_scan_determinismE0ELb1ES3_N6thrust23THRUST_200600_302600_NS6detail15normal_iteratorINS9_10device_ptrIiEEEENSB_INSC_ItEEEESG_tNS9_4plusIvEENS9_8equal_toIvEEtEE10hipError_tPvRmT2_T3_T4_T5_mT6_T7_P12ihipStream_tbENKUlT_T0_E_clISt17integral_constantIbLb0EES11_EEDaSW_SX_EUlSW_E_NS1_11comp_targetILNS1_3genE10ELNS1_11target_archE1201ELNS1_3gpuE5ELNS1_3repE0EEENS1_30default_config_static_selectorELNS0_4arch9wavefront6targetE1EEEvT1_,@function
_ZN7rocprim17ROCPRIM_400000_NS6detail17trampoline_kernelINS0_14default_configENS1_27scan_by_key_config_selectorIitEEZZNS1_16scan_by_key_implILNS1_25lookback_scan_determinismE0ELb1ES3_N6thrust23THRUST_200600_302600_NS6detail15normal_iteratorINS9_10device_ptrIiEEEENSB_INSC_ItEEEESG_tNS9_4plusIvEENS9_8equal_toIvEEtEE10hipError_tPvRmT2_T3_T4_T5_mT6_T7_P12ihipStream_tbENKUlT_T0_E_clISt17integral_constantIbLb0EES11_EEDaSW_SX_EUlSW_E_NS1_11comp_targetILNS1_3genE10ELNS1_11target_archE1201ELNS1_3gpuE5ELNS1_3repE0EEENS1_30default_config_static_selectorELNS0_4arch9wavefront6targetE1EEEvT1_: ; @_ZN7rocprim17ROCPRIM_400000_NS6detail17trampoline_kernelINS0_14default_configENS1_27scan_by_key_config_selectorIitEEZZNS1_16scan_by_key_implILNS1_25lookback_scan_determinismE0ELb1ES3_N6thrust23THRUST_200600_302600_NS6detail15normal_iteratorINS9_10device_ptrIiEEEENSB_INSC_ItEEEESG_tNS9_4plusIvEENS9_8equal_toIvEEtEE10hipError_tPvRmT2_T3_T4_T5_mT6_T7_P12ihipStream_tbENKUlT_T0_E_clISt17integral_constantIbLb0EES11_EEDaSW_SX_EUlSW_E_NS1_11comp_targetILNS1_3genE10ELNS1_11target_archE1201ELNS1_3gpuE5ELNS1_3repE0EEENS1_30default_config_static_selectorELNS0_4arch9wavefront6targetE1EEEvT1_
; %bb.0:
	.section	.rodata,"a",@progbits
	.p2align	6, 0x0
	.amdhsa_kernel _ZN7rocprim17ROCPRIM_400000_NS6detail17trampoline_kernelINS0_14default_configENS1_27scan_by_key_config_selectorIitEEZZNS1_16scan_by_key_implILNS1_25lookback_scan_determinismE0ELb1ES3_N6thrust23THRUST_200600_302600_NS6detail15normal_iteratorINS9_10device_ptrIiEEEENSB_INSC_ItEEEESG_tNS9_4plusIvEENS9_8equal_toIvEEtEE10hipError_tPvRmT2_T3_T4_T5_mT6_T7_P12ihipStream_tbENKUlT_T0_E_clISt17integral_constantIbLb0EES11_EEDaSW_SX_EUlSW_E_NS1_11comp_targetILNS1_3genE10ELNS1_11target_archE1201ELNS1_3gpuE5ELNS1_3repE0EEENS1_30default_config_static_selectorELNS0_4arch9wavefront6targetE1EEEvT1_
		.amdhsa_group_segment_fixed_size 0
		.amdhsa_private_segment_fixed_size 0
		.amdhsa_kernarg_size 112
		.amdhsa_user_sgpr_count 6
		.amdhsa_user_sgpr_private_segment_buffer 1
		.amdhsa_user_sgpr_dispatch_ptr 0
		.amdhsa_user_sgpr_queue_ptr 0
		.amdhsa_user_sgpr_kernarg_segment_ptr 1
		.amdhsa_user_sgpr_dispatch_id 0
		.amdhsa_user_sgpr_flat_scratch_init 0
		.amdhsa_user_sgpr_kernarg_preload_length 0
		.amdhsa_user_sgpr_kernarg_preload_offset 0
		.amdhsa_user_sgpr_private_segment_size 0
		.amdhsa_uses_dynamic_stack 0
		.amdhsa_system_sgpr_private_segment_wavefront_offset 0
		.amdhsa_system_sgpr_workgroup_id_x 1
		.amdhsa_system_sgpr_workgroup_id_y 0
		.amdhsa_system_sgpr_workgroup_id_z 0
		.amdhsa_system_sgpr_workgroup_info 0
		.amdhsa_system_vgpr_workitem_id 0
		.amdhsa_next_free_vgpr 1
		.amdhsa_next_free_sgpr 0
		.amdhsa_accum_offset 4
		.amdhsa_reserve_vcc 0
		.amdhsa_reserve_flat_scratch 0
		.amdhsa_float_round_mode_32 0
		.amdhsa_float_round_mode_16_64 0
		.amdhsa_float_denorm_mode_32 3
		.amdhsa_float_denorm_mode_16_64 3
		.amdhsa_dx10_clamp 1
		.amdhsa_ieee_mode 1
		.amdhsa_fp16_overflow 0
		.amdhsa_tg_split 0
		.amdhsa_exception_fp_ieee_invalid_op 0
		.amdhsa_exception_fp_denorm_src 0
		.amdhsa_exception_fp_ieee_div_zero 0
		.amdhsa_exception_fp_ieee_overflow 0
		.amdhsa_exception_fp_ieee_underflow 0
		.amdhsa_exception_fp_ieee_inexact 0
		.amdhsa_exception_int_div_zero 0
	.end_amdhsa_kernel
	.section	.text._ZN7rocprim17ROCPRIM_400000_NS6detail17trampoline_kernelINS0_14default_configENS1_27scan_by_key_config_selectorIitEEZZNS1_16scan_by_key_implILNS1_25lookback_scan_determinismE0ELb1ES3_N6thrust23THRUST_200600_302600_NS6detail15normal_iteratorINS9_10device_ptrIiEEEENSB_INSC_ItEEEESG_tNS9_4plusIvEENS9_8equal_toIvEEtEE10hipError_tPvRmT2_T3_T4_T5_mT6_T7_P12ihipStream_tbENKUlT_T0_E_clISt17integral_constantIbLb0EES11_EEDaSW_SX_EUlSW_E_NS1_11comp_targetILNS1_3genE10ELNS1_11target_archE1201ELNS1_3gpuE5ELNS1_3repE0EEENS1_30default_config_static_selectorELNS0_4arch9wavefront6targetE1EEEvT1_,"axG",@progbits,_ZN7rocprim17ROCPRIM_400000_NS6detail17trampoline_kernelINS0_14default_configENS1_27scan_by_key_config_selectorIitEEZZNS1_16scan_by_key_implILNS1_25lookback_scan_determinismE0ELb1ES3_N6thrust23THRUST_200600_302600_NS6detail15normal_iteratorINS9_10device_ptrIiEEEENSB_INSC_ItEEEESG_tNS9_4plusIvEENS9_8equal_toIvEEtEE10hipError_tPvRmT2_T3_T4_T5_mT6_T7_P12ihipStream_tbENKUlT_T0_E_clISt17integral_constantIbLb0EES11_EEDaSW_SX_EUlSW_E_NS1_11comp_targetILNS1_3genE10ELNS1_11target_archE1201ELNS1_3gpuE5ELNS1_3repE0EEENS1_30default_config_static_selectorELNS0_4arch9wavefront6targetE1EEEvT1_,comdat
.Lfunc_end1536:
	.size	_ZN7rocprim17ROCPRIM_400000_NS6detail17trampoline_kernelINS0_14default_configENS1_27scan_by_key_config_selectorIitEEZZNS1_16scan_by_key_implILNS1_25lookback_scan_determinismE0ELb1ES3_N6thrust23THRUST_200600_302600_NS6detail15normal_iteratorINS9_10device_ptrIiEEEENSB_INSC_ItEEEESG_tNS9_4plusIvEENS9_8equal_toIvEEtEE10hipError_tPvRmT2_T3_T4_T5_mT6_T7_P12ihipStream_tbENKUlT_T0_E_clISt17integral_constantIbLb0EES11_EEDaSW_SX_EUlSW_E_NS1_11comp_targetILNS1_3genE10ELNS1_11target_archE1201ELNS1_3gpuE5ELNS1_3repE0EEENS1_30default_config_static_selectorELNS0_4arch9wavefront6targetE1EEEvT1_, .Lfunc_end1536-_ZN7rocprim17ROCPRIM_400000_NS6detail17trampoline_kernelINS0_14default_configENS1_27scan_by_key_config_selectorIitEEZZNS1_16scan_by_key_implILNS1_25lookback_scan_determinismE0ELb1ES3_N6thrust23THRUST_200600_302600_NS6detail15normal_iteratorINS9_10device_ptrIiEEEENSB_INSC_ItEEEESG_tNS9_4plusIvEENS9_8equal_toIvEEtEE10hipError_tPvRmT2_T3_T4_T5_mT6_T7_P12ihipStream_tbENKUlT_T0_E_clISt17integral_constantIbLb0EES11_EEDaSW_SX_EUlSW_E_NS1_11comp_targetILNS1_3genE10ELNS1_11target_archE1201ELNS1_3gpuE5ELNS1_3repE0EEENS1_30default_config_static_selectorELNS0_4arch9wavefront6targetE1EEEvT1_
                                        ; -- End function
	.section	.AMDGPU.csdata,"",@progbits
; Kernel info:
; codeLenInByte = 0
; NumSgprs: 4
; NumVgprs: 0
; NumAgprs: 0
; TotalNumVgprs: 0
; ScratchSize: 0
; MemoryBound: 0
; FloatMode: 240
; IeeeMode: 1
; LDSByteSize: 0 bytes/workgroup (compile time only)
; SGPRBlocks: 0
; VGPRBlocks: 0
; NumSGPRsForWavesPerEU: 4
; NumVGPRsForWavesPerEU: 1
; AccumOffset: 4
; Occupancy: 8
; WaveLimiterHint : 0
; COMPUTE_PGM_RSRC2:SCRATCH_EN: 0
; COMPUTE_PGM_RSRC2:USER_SGPR: 6
; COMPUTE_PGM_RSRC2:TRAP_HANDLER: 0
; COMPUTE_PGM_RSRC2:TGID_X_EN: 1
; COMPUTE_PGM_RSRC2:TGID_Y_EN: 0
; COMPUTE_PGM_RSRC2:TGID_Z_EN: 0
; COMPUTE_PGM_RSRC2:TIDIG_COMP_CNT: 0
; COMPUTE_PGM_RSRC3_GFX90A:ACCUM_OFFSET: 0
; COMPUTE_PGM_RSRC3_GFX90A:TG_SPLIT: 0
	.section	.text._ZN7rocprim17ROCPRIM_400000_NS6detail17trampoline_kernelINS0_14default_configENS1_27scan_by_key_config_selectorIitEEZZNS1_16scan_by_key_implILNS1_25lookback_scan_determinismE0ELb1ES3_N6thrust23THRUST_200600_302600_NS6detail15normal_iteratorINS9_10device_ptrIiEEEENSB_INSC_ItEEEESG_tNS9_4plusIvEENS9_8equal_toIvEEtEE10hipError_tPvRmT2_T3_T4_T5_mT6_T7_P12ihipStream_tbENKUlT_T0_E_clISt17integral_constantIbLb0EES11_EEDaSW_SX_EUlSW_E_NS1_11comp_targetILNS1_3genE5ELNS1_11target_archE942ELNS1_3gpuE9ELNS1_3repE0EEENS1_30default_config_static_selectorELNS0_4arch9wavefront6targetE1EEEvT1_,"axG",@progbits,_ZN7rocprim17ROCPRIM_400000_NS6detail17trampoline_kernelINS0_14default_configENS1_27scan_by_key_config_selectorIitEEZZNS1_16scan_by_key_implILNS1_25lookback_scan_determinismE0ELb1ES3_N6thrust23THRUST_200600_302600_NS6detail15normal_iteratorINS9_10device_ptrIiEEEENSB_INSC_ItEEEESG_tNS9_4plusIvEENS9_8equal_toIvEEtEE10hipError_tPvRmT2_T3_T4_T5_mT6_T7_P12ihipStream_tbENKUlT_T0_E_clISt17integral_constantIbLb0EES11_EEDaSW_SX_EUlSW_E_NS1_11comp_targetILNS1_3genE5ELNS1_11target_archE942ELNS1_3gpuE9ELNS1_3repE0EEENS1_30default_config_static_selectorELNS0_4arch9wavefront6targetE1EEEvT1_,comdat
	.protected	_ZN7rocprim17ROCPRIM_400000_NS6detail17trampoline_kernelINS0_14default_configENS1_27scan_by_key_config_selectorIitEEZZNS1_16scan_by_key_implILNS1_25lookback_scan_determinismE0ELb1ES3_N6thrust23THRUST_200600_302600_NS6detail15normal_iteratorINS9_10device_ptrIiEEEENSB_INSC_ItEEEESG_tNS9_4plusIvEENS9_8equal_toIvEEtEE10hipError_tPvRmT2_T3_T4_T5_mT6_T7_P12ihipStream_tbENKUlT_T0_E_clISt17integral_constantIbLb0EES11_EEDaSW_SX_EUlSW_E_NS1_11comp_targetILNS1_3genE5ELNS1_11target_archE942ELNS1_3gpuE9ELNS1_3repE0EEENS1_30default_config_static_selectorELNS0_4arch9wavefront6targetE1EEEvT1_ ; -- Begin function _ZN7rocprim17ROCPRIM_400000_NS6detail17trampoline_kernelINS0_14default_configENS1_27scan_by_key_config_selectorIitEEZZNS1_16scan_by_key_implILNS1_25lookback_scan_determinismE0ELb1ES3_N6thrust23THRUST_200600_302600_NS6detail15normal_iteratorINS9_10device_ptrIiEEEENSB_INSC_ItEEEESG_tNS9_4plusIvEENS9_8equal_toIvEEtEE10hipError_tPvRmT2_T3_T4_T5_mT6_T7_P12ihipStream_tbENKUlT_T0_E_clISt17integral_constantIbLb0EES11_EEDaSW_SX_EUlSW_E_NS1_11comp_targetILNS1_3genE5ELNS1_11target_archE942ELNS1_3gpuE9ELNS1_3repE0EEENS1_30default_config_static_selectorELNS0_4arch9wavefront6targetE1EEEvT1_
	.globl	_ZN7rocprim17ROCPRIM_400000_NS6detail17trampoline_kernelINS0_14default_configENS1_27scan_by_key_config_selectorIitEEZZNS1_16scan_by_key_implILNS1_25lookback_scan_determinismE0ELb1ES3_N6thrust23THRUST_200600_302600_NS6detail15normal_iteratorINS9_10device_ptrIiEEEENSB_INSC_ItEEEESG_tNS9_4plusIvEENS9_8equal_toIvEEtEE10hipError_tPvRmT2_T3_T4_T5_mT6_T7_P12ihipStream_tbENKUlT_T0_E_clISt17integral_constantIbLb0EES11_EEDaSW_SX_EUlSW_E_NS1_11comp_targetILNS1_3genE5ELNS1_11target_archE942ELNS1_3gpuE9ELNS1_3repE0EEENS1_30default_config_static_selectorELNS0_4arch9wavefront6targetE1EEEvT1_
	.p2align	8
	.type	_ZN7rocprim17ROCPRIM_400000_NS6detail17trampoline_kernelINS0_14default_configENS1_27scan_by_key_config_selectorIitEEZZNS1_16scan_by_key_implILNS1_25lookback_scan_determinismE0ELb1ES3_N6thrust23THRUST_200600_302600_NS6detail15normal_iteratorINS9_10device_ptrIiEEEENSB_INSC_ItEEEESG_tNS9_4plusIvEENS9_8equal_toIvEEtEE10hipError_tPvRmT2_T3_T4_T5_mT6_T7_P12ihipStream_tbENKUlT_T0_E_clISt17integral_constantIbLb0EES11_EEDaSW_SX_EUlSW_E_NS1_11comp_targetILNS1_3genE5ELNS1_11target_archE942ELNS1_3gpuE9ELNS1_3repE0EEENS1_30default_config_static_selectorELNS0_4arch9wavefront6targetE1EEEvT1_,@function
_ZN7rocprim17ROCPRIM_400000_NS6detail17trampoline_kernelINS0_14default_configENS1_27scan_by_key_config_selectorIitEEZZNS1_16scan_by_key_implILNS1_25lookback_scan_determinismE0ELb1ES3_N6thrust23THRUST_200600_302600_NS6detail15normal_iteratorINS9_10device_ptrIiEEEENSB_INSC_ItEEEESG_tNS9_4plusIvEENS9_8equal_toIvEEtEE10hipError_tPvRmT2_T3_T4_T5_mT6_T7_P12ihipStream_tbENKUlT_T0_E_clISt17integral_constantIbLb0EES11_EEDaSW_SX_EUlSW_E_NS1_11comp_targetILNS1_3genE5ELNS1_11target_archE942ELNS1_3gpuE9ELNS1_3repE0EEENS1_30default_config_static_selectorELNS0_4arch9wavefront6targetE1EEEvT1_: ; @_ZN7rocprim17ROCPRIM_400000_NS6detail17trampoline_kernelINS0_14default_configENS1_27scan_by_key_config_selectorIitEEZZNS1_16scan_by_key_implILNS1_25lookback_scan_determinismE0ELb1ES3_N6thrust23THRUST_200600_302600_NS6detail15normal_iteratorINS9_10device_ptrIiEEEENSB_INSC_ItEEEESG_tNS9_4plusIvEENS9_8equal_toIvEEtEE10hipError_tPvRmT2_T3_T4_T5_mT6_T7_P12ihipStream_tbENKUlT_T0_E_clISt17integral_constantIbLb0EES11_EEDaSW_SX_EUlSW_E_NS1_11comp_targetILNS1_3genE5ELNS1_11target_archE942ELNS1_3gpuE9ELNS1_3repE0EEENS1_30default_config_static_selectorELNS0_4arch9wavefront6targetE1EEEvT1_
; %bb.0:
	.section	.rodata,"a",@progbits
	.p2align	6, 0x0
	.amdhsa_kernel _ZN7rocprim17ROCPRIM_400000_NS6detail17trampoline_kernelINS0_14default_configENS1_27scan_by_key_config_selectorIitEEZZNS1_16scan_by_key_implILNS1_25lookback_scan_determinismE0ELb1ES3_N6thrust23THRUST_200600_302600_NS6detail15normal_iteratorINS9_10device_ptrIiEEEENSB_INSC_ItEEEESG_tNS9_4plusIvEENS9_8equal_toIvEEtEE10hipError_tPvRmT2_T3_T4_T5_mT6_T7_P12ihipStream_tbENKUlT_T0_E_clISt17integral_constantIbLb0EES11_EEDaSW_SX_EUlSW_E_NS1_11comp_targetILNS1_3genE5ELNS1_11target_archE942ELNS1_3gpuE9ELNS1_3repE0EEENS1_30default_config_static_selectorELNS0_4arch9wavefront6targetE1EEEvT1_
		.amdhsa_group_segment_fixed_size 0
		.amdhsa_private_segment_fixed_size 0
		.amdhsa_kernarg_size 112
		.amdhsa_user_sgpr_count 6
		.amdhsa_user_sgpr_private_segment_buffer 1
		.amdhsa_user_sgpr_dispatch_ptr 0
		.amdhsa_user_sgpr_queue_ptr 0
		.amdhsa_user_sgpr_kernarg_segment_ptr 1
		.amdhsa_user_sgpr_dispatch_id 0
		.amdhsa_user_sgpr_flat_scratch_init 0
		.amdhsa_user_sgpr_kernarg_preload_length 0
		.amdhsa_user_sgpr_kernarg_preload_offset 0
		.amdhsa_user_sgpr_private_segment_size 0
		.amdhsa_uses_dynamic_stack 0
		.amdhsa_system_sgpr_private_segment_wavefront_offset 0
		.amdhsa_system_sgpr_workgroup_id_x 1
		.amdhsa_system_sgpr_workgroup_id_y 0
		.amdhsa_system_sgpr_workgroup_id_z 0
		.amdhsa_system_sgpr_workgroup_info 0
		.amdhsa_system_vgpr_workitem_id 0
		.amdhsa_next_free_vgpr 1
		.amdhsa_next_free_sgpr 0
		.amdhsa_accum_offset 4
		.amdhsa_reserve_vcc 0
		.amdhsa_reserve_flat_scratch 0
		.amdhsa_float_round_mode_32 0
		.amdhsa_float_round_mode_16_64 0
		.amdhsa_float_denorm_mode_32 3
		.amdhsa_float_denorm_mode_16_64 3
		.amdhsa_dx10_clamp 1
		.amdhsa_ieee_mode 1
		.amdhsa_fp16_overflow 0
		.amdhsa_tg_split 0
		.amdhsa_exception_fp_ieee_invalid_op 0
		.amdhsa_exception_fp_denorm_src 0
		.amdhsa_exception_fp_ieee_div_zero 0
		.amdhsa_exception_fp_ieee_overflow 0
		.amdhsa_exception_fp_ieee_underflow 0
		.amdhsa_exception_fp_ieee_inexact 0
		.amdhsa_exception_int_div_zero 0
	.end_amdhsa_kernel
	.section	.text._ZN7rocprim17ROCPRIM_400000_NS6detail17trampoline_kernelINS0_14default_configENS1_27scan_by_key_config_selectorIitEEZZNS1_16scan_by_key_implILNS1_25lookback_scan_determinismE0ELb1ES3_N6thrust23THRUST_200600_302600_NS6detail15normal_iteratorINS9_10device_ptrIiEEEENSB_INSC_ItEEEESG_tNS9_4plusIvEENS9_8equal_toIvEEtEE10hipError_tPvRmT2_T3_T4_T5_mT6_T7_P12ihipStream_tbENKUlT_T0_E_clISt17integral_constantIbLb0EES11_EEDaSW_SX_EUlSW_E_NS1_11comp_targetILNS1_3genE5ELNS1_11target_archE942ELNS1_3gpuE9ELNS1_3repE0EEENS1_30default_config_static_selectorELNS0_4arch9wavefront6targetE1EEEvT1_,"axG",@progbits,_ZN7rocprim17ROCPRIM_400000_NS6detail17trampoline_kernelINS0_14default_configENS1_27scan_by_key_config_selectorIitEEZZNS1_16scan_by_key_implILNS1_25lookback_scan_determinismE0ELb1ES3_N6thrust23THRUST_200600_302600_NS6detail15normal_iteratorINS9_10device_ptrIiEEEENSB_INSC_ItEEEESG_tNS9_4plusIvEENS9_8equal_toIvEEtEE10hipError_tPvRmT2_T3_T4_T5_mT6_T7_P12ihipStream_tbENKUlT_T0_E_clISt17integral_constantIbLb0EES11_EEDaSW_SX_EUlSW_E_NS1_11comp_targetILNS1_3genE5ELNS1_11target_archE942ELNS1_3gpuE9ELNS1_3repE0EEENS1_30default_config_static_selectorELNS0_4arch9wavefront6targetE1EEEvT1_,comdat
.Lfunc_end1537:
	.size	_ZN7rocprim17ROCPRIM_400000_NS6detail17trampoline_kernelINS0_14default_configENS1_27scan_by_key_config_selectorIitEEZZNS1_16scan_by_key_implILNS1_25lookback_scan_determinismE0ELb1ES3_N6thrust23THRUST_200600_302600_NS6detail15normal_iteratorINS9_10device_ptrIiEEEENSB_INSC_ItEEEESG_tNS9_4plusIvEENS9_8equal_toIvEEtEE10hipError_tPvRmT2_T3_T4_T5_mT6_T7_P12ihipStream_tbENKUlT_T0_E_clISt17integral_constantIbLb0EES11_EEDaSW_SX_EUlSW_E_NS1_11comp_targetILNS1_3genE5ELNS1_11target_archE942ELNS1_3gpuE9ELNS1_3repE0EEENS1_30default_config_static_selectorELNS0_4arch9wavefront6targetE1EEEvT1_, .Lfunc_end1537-_ZN7rocprim17ROCPRIM_400000_NS6detail17trampoline_kernelINS0_14default_configENS1_27scan_by_key_config_selectorIitEEZZNS1_16scan_by_key_implILNS1_25lookback_scan_determinismE0ELb1ES3_N6thrust23THRUST_200600_302600_NS6detail15normal_iteratorINS9_10device_ptrIiEEEENSB_INSC_ItEEEESG_tNS9_4plusIvEENS9_8equal_toIvEEtEE10hipError_tPvRmT2_T3_T4_T5_mT6_T7_P12ihipStream_tbENKUlT_T0_E_clISt17integral_constantIbLb0EES11_EEDaSW_SX_EUlSW_E_NS1_11comp_targetILNS1_3genE5ELNS1_11target_archE942ELNS1_3gpuE9ELNS1_3repE0EEENS1_30default_config_static_selectorELNS0_4arch9wavefront6targetE1EEEvT1_
                                        ; -- End function
	.section	.AMDGPU.csdata,"",@progbits
; Kernel info:
; codeLenInByte = 0
; NumSgprs: 4
; NumVgprs: 0
; NumAgprs: 0
; TotalNumVgprs: 0
; ScratchSize: 0
; MemoryBound: 0
; FloatMode: 240
; IeeeMode: 1
; LDSByteSize: 0 bytes/workgroup (compile time only)
; SGPRBlocks: 0
; VGPRBlocks: 0
; NumSGPRsForWavesPerEU: 4
; NumVGPRsForWavesPerEU: 1
; AccumOffset: 4
; Occupancy: 8
; WaveLimiterHint : 0
; COMPUTE_PGM_RSRC2:SCRATCH_EN: 0
; COMPUTE_PGM_RSRC2:USER_SGPR: 6
; COMPUTE_PGM_RSRC2:TRAP_HANDLER: 0
; COMPUTE_PGM_RSRC2:TGID_X_EN: 1
; COMPUTE_PGM_RSRC2:TGID_Y_EN: 0
; COMPUTE_PGM_RSRC2:TGID_Z_EN: 0
; COMPUTE_PGM_RSRC2:TIDIG_COMP_CNT: 0
; COMPUTE_PGM_RSRC3_GFX90A:ACCUM_OFFSET: 0
; COMPUTE_PGM_RSRC3_GFX90A:TG_SPLIT: 0
	.section	.text._ZN7rocprim17ROCPRIM_400000_NS6detail17trampoline_kernelINS0_14default_configENS1_27scan_by_key_config_selectorIitEEZZNS1_16scan_by_key_implILNS1_25lookback_scan_determinismE0ELb1ES3_N6thrust23THRUST_200600_302600_NS6detail15normal_iteratorINS9_10device_ptrIiEEEENSB_INSC_ItEEEESG_tNS9_4plusIvEENS9_8equal_toIvEEtEE10hipError_tPvRmT2_T3_T4_T5_mT6_T7_P12ihipStream_tbENKUlT_T0_E_clISt17integral_constantIbLb0EES11_EEDaSW_SX_EUlSW_E_NS1_11comp_targetILNS1_3genE4ELNS1_11target_archE910ELNS1_3gpuE8ELNS1_3repE0EEENS1_30default_config_static_selectorELNS0_4arch9wavefront6targetE1EEEvT1_,"axG",@progbits,_ZN7rocprim17ROCPRIM_400000_NS6detail17trampoline_kernelINS0_14default_configENS1_27scan_by_key_config_selectorIitEEZZNS1_16scan_by_key_implILNS1_25lookback_scan_determinismE0ELb1ES3_N6thrust23THRUST_200600_302600_NS6detail15normal_iteratorINS9_10device_ptrIiEEEENSB_INSC_ItEEEESG_tNS9_4plusIvEENS9_8equal_toIvEEtEE10hipError_tPvRmT2_T3_T4_T5_mT6_T7_P12ihipStream_tbENKUlT_T0_E_clISt17integral_constantIbLb0EES11_EEDaSW_SX_EUlSW_E_NS1_11comp_targetILNS1_3genE4ELNS1_11target_archE910ELNS1_3gpuE8ELNS1_3repE0EEENS1_30default_config_static_selectorELNS0_4arch9wavefront6targetE1EEEvT1_,comdat
	.protected	_ZN7rocprim17ROCPRIM_400000_NS6detail17trampoline_kernelINS0_14default_configENS1_27scan_by_key_config_selectorIitEEZZNS1_16scan_by_key_implILNS1_25lookback_scan_determinismE0ELb1ES3_N6thrust23THRUST_200600_302600_NS6detail15normal_iteratorINS9_10device_ptrIiEEEENSB_INSC_ItEEEESG_tNS9_4plusIvEENS9_8equal_toIvEEtEE10hipError_tPvRmT2_T3_T4_T5_mT6_T7_P12ihipStream_tbENKUlT_T0_E_clISt17integral_constantIbLb0EES11_EEDaSW_SX_EUlSW_E_NS1_11comp_targetILNS1_3genE4ELNS1_11target_archE910ELNS1_3gpuE8ELNS1_3repE0EEENS1_30default_config_static_selectorELNS0_4arch9wavefront6targetE1EEEvT1_ ; -- Begin function _ZN7rocprim17ROCPRIM_400000_NS6detail17trampoline_kernelINS0_14default_configENS1_27scan_by_key_config_selectorIitEEZZNS1_16scan_by_key_implILNS1_25lookback_scan_determinismE0ELb1ES3_N6thrust23THRUST_200600_302600_NS6detail15normal_iteratorINS9_10device_ptrIiEEEENSB_INSC_ItEEEESG_tNS9_4plusIvEENS9_8equal_toIvEEtEE10hipError_tPvRmT2_T3_T4_T5_mT6_T7_P12ihipStream_tbENKUlT_T0_E_clISt17integral_constantIbLb0EES11_EEDaSW_SX_EUlSW_E_NS1_11comp_targetILNS1_3genE4ELNS1_11target_archE910ELNS1_3gpuE8ELNS1_3repE0EEENS1_30default_config_static_selectorELNS0_4arch9wavefront6targetE1EEEvT1_
	.globl	_ZN7rocprim17ROCPRIM_400000_NS6detail17trampoline_kernelINS0_14default_configENS1_27scan_by_key_config_selectorIitEEZZNS1_16scan_by_key_implILNS1_25lookback_scan_determinismE0ELb1ES3_N6thrust23THRUST_200600_302600_NS6detail15normal_iteratorINS9_10device_ptrIiEEEENSB_INSC_ItEEEESG_tNS9_4plusIvEENS9_8equal_toIvEEtEE10hipError_tPvRmT2_T3_T4_T5_mT6_T7_P12ihipStream_tbENKUlT_T0_E_clISt17integral_constantIbLb0EES11_EEDaSW_SX_EUlSW_E_NS1_11comp_targetILNS1_3genE4ELNS1_11target_archE910ELNS1_3gpuE8ELNS1_3repE0EEENS1_30default_config_static_selectorELNS0_4arch9wavefront6targetE1EEEvT1_
	.p2align	8
	.type	_ZN7rocprim17ROCPRIM_400000_NS6detail17trampoline_kernelINS0_14default_configENS1_27scan_by_key_config_selectorIitEEZZNS1_16scan_by_key_implILNS1_25lookback_scan_determinismE0ELb1ES3_N6thrust23THRUST_200600_302600_NS6detail15normal_iteratorINS9_10device_ptrIiEEEENSB_INSC_ItEEEESG_tNS9_4plusIvEENS9_8equal_toIvEEtEE10hipError_tPvRmT2_T3_T4_T5_mT6_T7_P12ihipStream_tbENKUlT_T0_E_clISt17integral_constantIbLb0EES11_EEDaSW_SX_EUlSW_E_NS1_11comp_targetILNS1_3genE4ELNS1_11target_archE910ELNS1_3gpuE8ELNS1_3repE0EEENS1_30default_config_static_selectorELNS0_4arch9wavefront6targetE1EEEvT1_,@function
_ZN7rocprim17ROCPRIM_400000_NS6detail17trampoline_kernelINS0_14default_configENS1_27scan_by_key_config_selectorIitEEZZNS1_16scan_by_key_implILNS1_25lookback_scan_determinismE0ELb1ES3_N6thrust23THRUST_200600_302600_NS6detail15normal_iteratorINS9_10device_ptrIiEEEENSB_INSC_ItEEEESG_tNS9_4plusIvEENS9_8equal_toIvEEtEE10hipError_tPvRmT2_T3_T4_T5_mT6_T7_P12ihipStream_tbENKUlT_T0_E_clISt17integral_constantIbLb0EES11_EEDaSW_SX_EUlSW_E_NS1_11comp_targetILNS1_3genE4ELNS1_11target_archE910ELNS1_3gpuE8ELNS1_3repE0EEENS1_30default_config_static_selectorELNS0_4arch9wavefront6targetE1EEEvT1_: ; @_ZN7rocprim17ROCPRIM_400000_NS6detail17trampoline_kernelINS0_14default_configENS1_27scan_by_key_config_selectorIitEEZZNS1_16scan_by_key_implILNS1_25lookback_scan_determinismE0ELb1ES3_N6thrust23THRUST_200600_302600_NS6detail15normal_iteratorINS9_10device_ptrIiEEEENSB_INSC_ItEEEESG_tNS9_4plusIvEENS9_8equal_toIvEEtEE10hipError_tPvRmT2_T3_T4_T5_mT6_T7_P12ihipStream_tbENKUlT_T0_E_clISt17integral_constantIbLb0EES11_EEDaSW_SX_EUlSW_E_NS1_11comp_targetILNS1_3genE4ELNS1_11target_archE910ELNS1_3gpuE8ELNS1_3repE0EEENS1_30default_config_static_selectorELNS0_4arch9wavefront6targetE1EEEvT1_
; %bb.0:
	s_load_dwordx8 s[48:55], s[4:5], 0x0
	s_load_dword s7, s[4:5], 0x20
	s_load_dwordx4 s[56:59], s[4:5], 0x28
	s_load_dwordx2 s[68:69], s[4:5], 0x38
	s_load_dword s2, s[4:5], 0x40
	s_load_dwordx4 s[60:63], s[4:5], 0x48
	s_waitcnt lgkmcnt(0)
	s_lshl_b64 s[0:1], s[50:51], 2
	s_add_u32 s4, s48, s0
	s_addc_u32 s5, s49, s1
	s_lshl_b64 s[64:65], s[50:51], 1
	s_add_u32 s8, s52, s64
	s_mul_i32 s0, s69, s2
	s_mul_hi_u32 s1, s68, s2
	s_addc_u32 s9, s53, s65
	s_add_i32 s10, s1, s0
	s_mul_i32 s0, s6, 0x600
	s_mov_b32 s1, 0
	s_mul_i32 s11, s68, s2
	s_lshl_b64 s[2:3], s[0:1], 2
	s_add_u32 s70, s4, s2
	s_addc_u32 s71, s5, s3
	s_lshl_b64 s[66:67], s[0:1], 1
	s_add_u32 s59, s8, s66
	s_addc_u32 s78, s9, s67
	s_add_u32 s0, s11, s6
	s_addc_u32 s1, s10, 0
	s_add_u32 s4, s60, -1
	s_addc_u32 s5, s61, -1
	v_pk_mov_b32 v[2:3], s[4:5], s[4:5] op_sel:[0,1]
	v_cmp_ge_u64_e64 s[0:1], s[0:1], v[2:3]
	s_mov_b64 s[2:3], -1
	s_and_b64 vcc, exec, s[0:1]
	s_mul_i32 s33, s4, 0xfffffa00
	s_waitcnt lgkmcnt(0)
	; wave barrier
	s_cbranch_vccz .LBB1538_126
; %bb.1:
	v_pk_mov_b32 v[2:3], s[70:71], s[70:71] op_sel:[0,1]
	flat_load_dword v1, v[2:3]
	s_add_i32 s76, s33, s58
	v_cmp_gt_u32_e32 vcc, s76, v0
	s_waitcnt vmcnt(0) lgkmcnt(0)
	v_mov_b32_e32 v2, v1
	s_and_saveexec_b64 s[4:5], vcc
	s_cbranch_execz .LBB1538_3
; %bb.2:
	v_lshlrev_b32_e32 v2, 2, v0
	v_mov_b32_e32 v3, s71
	v_add_co_u32_e64 v2, s[2:3], s70, v2
	v_addc_co_u32_e64 v3, s[2:3], 0, v3, s[2:3]
	flat_load_dword v2, v[2:3]
.LBB1538_3:
	s_or_b64 exec, exec, s[4:5]
	v_or_b32_e32 v3, 64, v0
	v_cmp_gt_u32_e64 s[2:3], s76, v3
	v_mov_b32_e32 v3, v1
	s_and_saveexec_b64 s[8:9], s[2:3]
	s_cbranch_execz .LBB1538_5
; %bb.4:
	v_lshlrev_b32_e32 v3, 2, v0
	v_mov_b32_e32 v5, s71
	v_add_co_u32_e64 v4, s[4:5], s70, v3
	v_addc_co_u32_e64 v5, s[4:5], 0, v5, s[4:5]
	flat_load_dword v3, v[4:5] offset:256
.LBB1538_5:
	s_or_b64 exec, exec, s[8:9]
	v_or_b32_e32 v4, 0x80, v0
	v_cmp_gt_u32_e64 s[4:5], s76, v4
	v_mov_b32_e32 v4, v1
	s_and_saveexec_b64 s[10:11], s[4:5]
	s_cbranch_execz .LBB1538_7
; %bb.6:
	v_lshlrev_b32_e32 v4, 2, v0
	v_mov_b32_e32 v5, s71
	v_add_co_u32_e64 v4, s[8:9], s70, v4
	v_addc_co_u32_e64 v5, s[8:9], 0, v5, s[8:9]
	flat_load_dword v4, v[4:5] offset:512
.LBB1538_7:
	;; [unrolled: 13-line block ×15, first 2 shown]
	s_or_b64 exec, exec, s[36:37]
	v_or_b32_e32 v19, 0x400, v0
	v_cmp_gt_u32_e64 s[34:35], s76, v19
	v_mov_b32_e32 v18, v1
	s_and_saveexec_b64 s[38:39], s[34:35]
	s_cbranch_execz .LBB1538_35
; %bb.34:
	v_lshlrev_b32_e32 v18, 2, v19
	v_mov_b32_e32 v19, s71
	v_add_co_u32_e64 v18, s[36:37], s70, v18
	v_addc_co_u32_e64 v19, s[36:37], 0, v19, s[36:37]
	flat_load_dword v18, v[18:19]
.LBB1538_35:
	s_or_b64 exec, exec, s[38:39]
	v_or_b32_e32 v20, 0x440, v0
	v_cmp_gt_u32_e64 s[36:37], s76, v20
	v_mov_b32_e32 v19, v1
	s_and_saveexec_b64 s[40:41], s[36:37]
	s_cbranch_execz .LBB1538_37
; %bb.36:
	v_lshlrev_b32_e32 v19, 2, v20
	v_mov_b32_e32 v21, s71
	v_add_co_u32_e64 v20, s[38:39], s70, v19
	v_addc_co_u32_e64 v21, s[38:39], 0, v21, s[38:39]
	flat_load_dword v19, v[20:21]
.LBB1538_37:
	;; [unrolled: 13-line block ×7, first 2 shown]
	s_or_b64 exec, exec, s[52:53]
	v_or_b32_e32 v25, 0x5c0, v0
	v_cmp_gt_u32_e64 s[48:49], s76, v25
	s_and_saveexec_b64 s[60:61], s[48:49]
	s_cbranch_execz .LBB1538_49
; %bb.48:
	v_lshlrev_b32_e32 v1, 2, v25
	v_mov_b32_e32 v25, s71
	v_add_co_u32_e64 v26, s[52:53], s70, v1
	v_addc_co_u32_e64 v27, s[52:53], 0, v25, s[52:53]
	flat_load_dword v1, v[26:27]
.LBB1538_49:
	s_or_b64 exec, exec, s[60:61]
	v_lshlrev_b32_e32 v46, 2, v0
	s_waitcnt vmcnt(0) lgkmcnt(0)
	ds_write2st64_b32 v46, v2, v3 offset1:1
	ds_write2st64_b32 v46, v4, v5 offset0:2 offset1:3
	ds_write2st64_b32 v46, v6, v7 offset0:4 offset1:5
	;; [unrolled: 1-line block ×11, first 2 shown]
	v_pk_mov_b32 v[2:3], s[70:71], s[70:71] op_sel:[0,1]
	s_waitcnt lgkmcnt(0)
	; wave barrier
	s_waitcnt lgkmcnt(0)
	flat_load_dword v52, v[2:3]
	s_movk_i32 s52, 0x5c
	v_mad_u32_u24 v1, v0, s52, v46
	s_movk_i32 s52, 0xffa4
	ds_read_b128 v[42:45], v1
	ds_read_b128 v[38:41], v1 offset:16
	ds_read_b128 v[34:37], v1 offset:32
	;; [unrolled: 1-line block ×5, first 2 shown]
	v_mad_i32_i24 v1, v0, s52, v1
	v_cmp_ne_u32_e64 s[52:53], 63, v0
	s_waitcnt lgkmcnt(0)
	ds_write_b32 v1, v42 offset:6400
	s_waitcnt lgkmcnt(0)
	; wave barrier
	s_waitcnt lgkmcnt(0)
	s_and_saveexec_b64 s[60:61], s[52:53]
	s_cbranch_execz .LBB1538_51
; %bb.50:
	s_waitcnt vmcnt(0)
	ds_read_b32 v52, v46 offset:6404
.LBB1538_51:
	s_or_b64 exec, exec, s[60:61]
	s_waitcnt lgkmcnt(0)
	; wave barrier
	s_waitcnt lgkmcnt(0)
                                        ; implicit-def: $vgpr2
	s_and_saveexec_b64 s[52:53], vcc
	s_cbranch_execz .LBB1538_193
; %bb.52:
	v_lshlrev_b32_e32 v2, 1, v0
	v_mov_b32_e32 v3, s78
	v_add_co_u32_e32 v2, vcc, s59, v2
	v_addc_co_u32_e32 v3, vcc, 0, v3, vcc
	flat_load_ushort v2, v[2:3]
	s_or_b64 exec, exec, s[52:53]
                                        ; implicit-def: $vgpr3
	s_and_saveexec_b64 s[52:53], s[2:3]
	s_cbranch_execnz .LBB1538_194
.LBB1538_53:
	s_or_b64 exec, exec, s[52:53]
                                        ; implicit-def: $vgpr4
	s_and_saveexec_b64 s[2:3], s[4:5]
	s_cbranch_execz .LBB1538_195
.LBB1538_54:
	v_lshlrev_b32_e32 v4, 1, v0
	v_mov_b32_e32 v5, s78
	v_add_co_u32_e32 v4, vcc, s59, v4
	v_addc_co_u32_e32 v5, vcc, 0, v5, vcc
	flat_load_ushort v4, v[4:5] offset:256
	s_or_b64 exec, exec, s[2:3]
                                        ; implicit-def: $vgpr5
	s_and_saveexec_b64 s[2:3], s[50:51]
	s_cbranch_execnz .LBB1538_196
.LBB1538_55:
	s_or_b64 exec, exec, s[2:3]
                                        ; implicit-def: $vgpr6
	s_and_saveexec_b64 s[2:3], s[8:9]
	s_cbranch_execz .LBB1538_197
.LBB1538_56:
	v_lshlrev_b32_e32 v6, 1, v0
	v_mov_b32_e32 v7, s78
	v_add_co_u32_e32 v6, vcc, s59, v6
	v_addc_co_u32_e32 v7, vcc, 0, v7, vcc
	flat_load_ushort v6, v[6:7] offset:512
	s_or_b64 exec, exec, s[2:3]
                                        ; implicit-def: $vgpr7
	s_and_saveexec_b64 s[2:3], s[10:11]
	s_cbranch_execnz .LBB1538_198
.LBB1538_57:
	s_or_b64 exec, exec, s[2:3]
                                        ; implicit-def: $vgpr8
	s_and_saveexec_b64 s[2:3], s[12:13]
	s_cbranch_execz .LBB1538_199
.LBB1538_58:
	v_lshlrev_b32_e32 v8, 1, v0
	v_mov_b32_e32 v9, s78
	v_add_co_u32_e32 v8, vcc, s59, v8
	v_addc_co_u32_e32 v9, vcc, 0, v9, vcc
	flat_load_ushort v8, v[8:9] offset:768
	s_or_b64 exec, exec, s[2:3]
                                        ; implicit-def: $vgpr9
	s_and_saveexec_b64 s[2:3], s[14:15]
	s_cbranch_execnz .LBB1538_200
.LBB1538_59:
	s_or_b64 exec, exec, s[2:3]
                                        ; implicit-def: $vgpr10
	s_and_saveexec_b64 s[2:3], s[16:17]
	s_cbranch_execz .LBB1538_201
.LBB1538_60:
	v_lshlrev_b32_e32 v10, 1, v0
	v_mov_b32_e32 v11, s78
	v_add_co_u32_e32 v10, vcc, s59, v10
	v_addc_co_u32_e32 v11, vcc, 0, v11, vcc
	flat_load_ushort v10, v[10:11] offset:1024
	s_or_b64 exec, exec, s[2:3]
                                        ; implicit-def: $vgpr11
	s_and_saveexec_b64 s[2:3], s[18:19]
	s_cbranch_execnz .LBB1538_202
.LBB1538_61:
	s_or_b64 exec, exec, s[2:3]
                                        ; implicit-def: $vgpr12
	s_and_saveexec_b64 s[2:3], s[20:21]
	s_cbranch_execz .LBB1538_203
.LBB1538_62:
	v_lshlrev_b32_e32 v12, 1, v0
	v_mov_b32_e32 v13, s78
	v_add_co_u32_e32 v12, vcc, s59, v12
	v_addc_co_u32_e32 v13, vcc, 0, v13, vcc
	flat_load_ushort v12, v[12:13] offset:1280
	s_or_b64 exec, exec, s[2:3]
                                        ; implicit-def: $vgpr13
	s_and_saveexec_b64 s[2:3], s[22:23]
	s_cbranch_execnz .LBB1538_204
.LBB1538_63:
	s_or_b64 exec, exec, s[2:3]
                                        ; implicit-def: $vgpr14
	s_and_saveexec_b64 s[2:3], s[24:25]
	s_cbranch_execz .LBB1538_205
.LBB1538_64:
	v_lshlrev_b32_e32 v14, 1, v0
	v_mov_b32_e32 v15, s78
	v_add_co_u32_e32 v14, vcc, s59, v14
	v_addc_co_u32_e32 v15, vcc, 0, v15, vcc
	flat_load_ushort v14, v[14:15] offset:1536
	s_or_b64 exec, exec, s[2:3]
                                        ; implicit-def: $vgpr15
	s_and_saveexec_b64 s[2:3], s[26:27]
	s_cbranch_execnz .LBB1538_206
.LBB1538_65:
	s_or_b64 exec, exec, s[2:3]
                                        ; implicit-def: $vgpr16
	s_and_saveexec_b64 s[2:3], s[28:29]
	s_cbranch_execz .LBB1538_207
.LBB1538_66:
	v_lshlrev_b32_e32 v16, 1, v0
	v_mov_b32_e32 v17, s78
	v_add_co_u32_e32 v16, vcc, s59, v16
	v_addc_co_u32_e32 v17, vcc, 0, v17, vcc
	flat_load_ushort v16, v[16:17] offset:1792
	s_or_b64 exec, exec, s[2:3]
                                        ; implicit-def: $vgpr17
	s_and_saveexec_b64 s[2:3], s[30:31]
	s_cbranch_execnz .LBB1538_208
.LBB1538_67:
	s_or_b64 exec, exec, s[2:3]
                                        ; implicit-def: $vgpr18
	s_and_saveexec_b64 s[2:3], s[34:35]
	s_cbranch_execz .LBB1538_209
.LBB1538_68:
	v_lshlrev_b32_e32 v18, 1, v0
	v_mov_b32_e32 v19, s78
	v_add_co_u32_e32 v18, vcc, s59, v18
	v_addc_co_u32_e32 v19, vcc, 0, v19, vcc
	flat_load_ushort v18, v[18:19] offset:2048
	s_or_b64 exec, exec, s[2:3]
                                        ; implicit-def: $vgpr19
	s_and_saveexec_b64 s[2:3], s[36:37]
	s_cbranch_execnz .LBB1538_210
.LBB1538_69:
	s_or_b64 exec, exec, s[2:3]
                                        ; implicit-def: $vgpr20
	s_and_saveexec_b64 s[2:3], s[38:39]
	s_cbranch_execz .LBB1538_211
.LBB1538_70:
	v_lshlrev_b32_e32 v20, 1, v0
	v_mov_b32_e32 v21, s78
	v_add_co_u32_e32 v20, vcc, s59, v20
	v_addc_co_u32_e32 v21, vcc, 0, v21, vcc
	flat_load_ushort v20, v[20:21] offset:2304
	s_or_b64 exec, exec, s[2:3]
                                        ; implicit-def: $vgpr21
	s_and_saveexec_b64 s[2:3], s[40:41]
	s_cbranch_execnz .LBB1538_212
.LBB1538_71:
	s_or_b64 exec, exec, s[2:3]
                                        ; implicit-def: $vgpr47
	s_and_saveexec_b64 s[2:3], s[42:43]
	s_cbranch_execz .LBB1538_213
.LBB1538_72:
	v_lshlrev_b32_e32 v46, 1, v0
	v_mov_b32_e32 v47, s78
	v_add_co_u32_e32 v46, vcc, s59, v46
	v_addc_co_u32_e32 v47, vcc, 0, v47, vcc
	flat_load_ushort v47, v[46:47] offset:2560
	s_or_b64 exec, exec, s[2:3]
                                        ; implicit-def: $vgpr48
	s_and_saveexec_b64 s[2:3], s[44:45]
	s_cbranch_execnz .LBB1538_214
.LBB1538_73:
	s_or_b64 exec, exec, s[2:3]
                                        ; implicit-def: $vgpr49
	s_and_saveexec_b64 s[2:3], s[46:47]
	s_cbranch_execz .LBB1538_75
.LBB1538_74:
	v_lshlrev_b32_e32 v46, 1, v0
	v_mov_b32_e32 v49, s78
	v_add_co_u32_e32 v50, vcc, s59, v46
	v_addc_co_u32_e32 v51, vcc, 0, v49, vcc
	flat_load_ushort v49, v[50:51] offset:2816
.LBB1538_75:
	s_or_b64 exec, exec, s[2:3]
	v_mul_u32_u24_e32 v54, 24, v0
                                        ; implicit-def: $vgpr50
	s_and_saveexec_b64 s[2:3], s[48:49]
	s_cbranch_execz .LBB1538_77
; %bb.76:
	v_lshlrev_b32_e32 v46, 1, v0
	v_mov_b32_e32 v51, s78
	v_add_co_u32_e32 v50, vcc, s59, v46
	v_addc_co_u32_e32 v51, vcc, 0, v51, vcc
	flat_load_ushort v50, v[50:51] offset:2944
.LBB1538_77:
	s_or_b64 exec, exec, s[2:3]
	v_lshlrev_b32_e32 v46, 1, v0
	s_mov_b32 s8, 0
	v_sub_u32_e32 v46, v1, v46
	s_mov_b32 s9, s8
	s_waitcnt vmcnt(0) lgkmcnt(0)
	ds_write_b16 v46, v2
	ds_write_b16 v46, v3 offset:128
	ds_write_b16 v46, v4 offset:256
	;; [unrolled: 1-line block ×23, first 2 shown]
	s_mov_b32 s10, s8
	s_mov_b32 s11, s8
	;; [unrolled: 1-line block ×6, first 2 shown]
	v_pk_mov_b32 v[2:3], s[8:9], s[8:9] op_sel:[0,1]
	s_mov_b32 s18, s8
	s_mov_b32 s19, s8
	v_pk_mov_b32 v[8:9], s[14:15], s[14:15] op_sel:[0,1]
	s_mov_b32 s16, s8
	s_mov_b32 s17, s8
	v_pk_mov_b32 v[20:21], s[18:19], s[18:19] op_sel:[0,1]
	v_pk_mov_b32 v[4:5], s[10:11], s[10:11] op_sel:[0,1]
	;; [unrolled: 1-line block ×4, first 2 shown]
	v_cmp_gt_u32_e32 vcc, s76, v54
	s_mov_b64 s[2:3], 0
	v_pk_mov_b32 v[18:19], s[16:17], s[16:17] op_sel:[0,1]
	v_mov_b32_e32 v1, 0
	s_mov_b64 s[12:13], 0
	v_pk_mov_b32 v[14:15], v[6:7], v[6:7] op_sel:[0,1]
	v_pk_mov_b32 v[12:13], v[4:5], v[4:5] op_sel:[0,1]
	v_pk_mov_b32 v[10:11], v[2:3], v[2:3] op_sel:[0,1]
	v_mov_b32_e32 v50, 0
	v_mov_b32_e32 v51, 0
	s_waitcnt lgkmcnt(0)
	; wave barrier
	s_waitcnt lgkmcnt(0)
                                        ; implicit-def: $sgpr10_sgpr11
                                        ; implicit-def: $vgpr53
	s_and_saveexec_b64 s[4:5], vcc
	s_cbranch_execz .LBB1538_125
; %bb.78:
	v_mad_u32_u24 v1, v0, 46, v46
	ds_read_u16 v1, v1
	v_mov_b32_e32 v3, s7
	v_cmp_eq_u32_e32 vcc, v42, v43
	s_mov_b32 s12, 0
	v_or_b32_e32 v2, 1, v54
	s_waitcnt lgkmcnt(0)
	v_cndmask_b32_e32 v1, v3, v1, vcc
	v_cmp_ne_u32_e32 vcc, v42, v43
	v_and_b32_e32 v1, 0xffff, v1
	v_cndmask_b32_e64 v3, 0, 1, vcc
	s_mov_b32 s13, s12
	v_lshl_or_b32 v1, v3, 16, v1
	v_cmp_gt_u32_e32 vcc, s76, v2
	s_mov_b32 s14, s12
	s_mov_b32 s15, s12
	;; [unrolled: 1-line block ×6, first 2 shown]
	v_pk_mov_b32 v[2:3], s[12:13], s[12:13] op_sel:[0,1]
	s_mov_b32 s20, s12
	s_mov_b32 s21, s12
	v_pk_mov_b32 v[8:9], s[18:19], s[18:19] op_sel:[0,1]
	s_mov_b32 s22, s12
	s_mov_b32 s23, s12
	v_pk_mov_b32 v[18:19], s[20:21], s[20:21] op_sel:[0,1]
	v_pk_mov_b32 v[4:5], s[14:15], s[14:15] op_sel:[0,1]
	;; [unrolled: 1-line block ×4, first 2 shown]
	s_mov_b64 s[24:25], 0
	v_pk_mov_b32 v[20:21], s[22:23], s[22:23] op_sel:[0,1]
	v_mov_b32_e32 v50, 0
	v_pk_mov_b32 v[14:15], v[6:7], v[6:7] op_sel:[0,1]
	v_pk_mov_b32 v[12:13], v[4:5], v[4:5] op_sel:[0,1]
	;; [unrolled: 1-line block ×3, first 2 shown]
	v_mov_b32_e32 v51, 0
                                        ; implicit-def: $sgpr26_sgpr27
                                        ; implicit-def: $vgpr53
	s_and_saveexec_b64 s[10:11], vcc
	s_cbranch_execz .LBB1538_124
; %bb.79:
	v_mul_u32_u24_e32 v2, 46, v0
	v_add_u32_e32 v42, v46, v2
	ds_read_b128 v[46:49], v42 offset:2
	v_mov_b32_e32 v3, s7
	v_cmp_eq_u32_e32 vcc, v43, v44
	v_or_b32_e32 v2, 2, v54
	v_pk_mov_b32 v[18:19], s[20:21], s[20:21] op_sel:[0,1]
	s_waitcnt lgkmcnt(0)
	v_cndmask_b32_e32 v3, v3, v46, vcc
	v_cmp_ne_u32_e32 vcc, v43, v44
	v_and_b32_e32 v3, 0xffff, v3
	v_cndmask_b32_e64 v4, 0, 1, vcc
	v_lshl_or_b32 v50, v4, 16, v3
	v_cmp_gt_u32_e32 vcc, s76, v2
	v_pk_mov_b32 v[2:3], s[12:13], s[12:13] op_sel:[0,1]
	v_pk_mov_b32 v[8:9], s[18:19], s[18:19] op_sel:[0,1]
	;; [unrolled: 1-line block ×6, first 2 shown]
	v_mov_b32_e32 v51, 0
	v_pk_mov_b32 v[14:15], v[6:7], v[6:7] op_sel:[0,1]
	v_pk_mov_b32 v[12:13], v[4:5], v[4:5] op_sel:[0,1]
	;; [unrolled: 1-line block ×3, first 2 shown]
                                        ; implicit-def: $sgpr12_sgpr13
                                        ; implicit-def: $vgpr53
	s_and_saveexec_b64 s[20:21], vcc
	s_cbranch_execz .LBB1538_123
; %bb.80:
	v_lshrrev_b32_e32 v2, 16, v46
	v_mov_b32_e32 v4, s7
	v_cmp_eq_u32_e32 vcc, v44, v45
	v_cndmask_b32_e32 v2, v4, v2, vcc
	v_cmp_ne_u32_e32 vcc, v44, v45
	s_mov_b32 s12, 0
	v_or_b32_e32 v3, 3, v54
	v_and_b32_e32 v2, 0xffff, v2
	v_cndmask_b32_e64 v4, 0, 1, vcc
	s_mov_b32 s13, s12
	v_lshl_or_b32 v21, v4, 16, v2
	v_cmp_gt_u32_e32 vcc, s76, v3
	s_mov_b32 s14, s12
	s_mov_b32 s15, s12
	;; [unrolled: 1-line block ×6, first 2 shown]
	v_pk_mov_b32 v[2:3], s[12:13], s[12:13] op_sel:[0,1]
	v_pk_mov_b32 v[8:9], s[18:19], s[18:19] op_sel:[0,1]
	v_mov_b32_e32 v18, 0
	v_pk_mov_b32 v[4:5], s[14:15], s[14:15] op_sel:[0,1]
	v_pk_mov_b32 v[6:7], s[16:17], s[16:17] op_sel:[0,1]
	;; [unrolled: 1-line block ×3, first 2 shown]
	v_mov_b32_e32 v19, v18
	v_mov_b32_e32 v20, v18
	v_pk_mov_b32 v[14:15], v[6:7], v[6:7] op_sel:[0,1]
	v_pk_mov_b32 v[12:13], v[4:5], v[4:5] op_sel:[0,1]
	;; [unrolled: 1-line block ×3, first 2 shown]
	v_mov_b32_e32 v51, v18
                                        ; implicit-def: $sgpr28_sgpr29
                                        ; implicit-def: $vgpr53
	s_and_saveexec_b64 s[22:23], vcc
	s_cbranch_execz .LBB1538_122
; %bb.81:
	v_mov_b32_e32 v3, s7
	v_cmp_eq_u32_e32 vcc, v45, v38
	v_cndmask_b32_e32 v3, v3, v47, vcc
	v_cmp_ne_u32_e32 vcc, v45, v38
	v_or_b32_e32 v2, 4, v54
	v_and_b32_e32 v3, 0xffff, v3
	v_cndmask_b32_e64 v4, 0, 1, vcc
	v_lshl_or_b32 v20, v4, 16, v3
	v_cmp_gt_u32_e32 vcc, s76, v2
	v_pk_mov_b32 v[2:3], s[12:13], s[12:13] op_sel:[0,1]
	v_pk_mov_b32 v[8:9], s[18:19], s[18:19] op_sel:[0,1]
	v_mov_b32_e32 v18, 0
	v_pk_mov_b32 v[4:5], s[14:15], s[14:15] op_sel:[0,1]
	v_pk_mov_b32 v[6:7], s[16:17], s[16:17] op_sel:[0,1]
	;; [unrolled: 1-line block ×3, first 2 shown]
	v_mov_b32_e32 v19, v18
	s_mov_b64 s[26:27], 0
	v_pk_mov_b32 v[14:15], v[6:7], v[6:7] op_sel:[0,1]
	v_pk_mov_b32 v[12:13], v[4:5], v[4:5] op_sel:[0,1]
	;; [unrolled: 1-line block ×3, first 2 shown]
	v_mov_b32_e32 v51, v18
                                        ; implicit-def: $sgpr12_sgpr13
                                        ; implicit-def: $vgpr53
	s_and_saveexec_b64 s[24:25], vcc
	s_cbranch_execz .LBB1538_121
; %bb.82:
	v_lshrrev_b32_e32 v2, 16, v47
	v_mov_b32_e32 v4, s7
	v_cmp_eq_u32_e32 vcc, v38, v39
	v_cndmask_b32_e32 v2, v4, v2, vcc
	v_cmp_ne_u32_e32 vcc, v38, v39
	s_mov_b32 s12, 0
	v_or_b32_e32 v3, 5, v54
	v_and_b32_e32 v2, 0xffff, v2
	v_cndmask_b32_e64 v4, 0, 1, vcc
	s_mov_b32 s13, s12
	v_lshl_or_b32 v19, v4, 16, v2
	v_cmp_gt_u32_e32 vcc, s76, v3
	s_mov_b32 s14, s12
	s_mov_b32 s15, s12
	;; [unrolled: 1-line block ×6, first 2 shown]
	v_pk_mov_b32 v[2:3], s[12:13], s[12:13] op_sel:[0,1]
	v_pk_mov_b32 v[8:9], s[18:19], s[18:19] op_sel:[0,1]
	;; [unrolled: 1-line block ×5, first 2 shown]
	v_mov_b32_e32 v18, s12
	s_mov_b64 s[28:29], 0
	v_mov_b32_e32 v51, 0
	v_pk_mov_b32 v[14:15], v[6:7], v[6:7] op_sel:[0,1]
	v_pk_mov_b32 v[12:13], v[4:5], v[4:5] op_sel:[0,1]
	;; [unrolled: 1-line block ×3, first 2 shown]
                                        ; implicit-def: $sgpr34_sgpr35
                                        ; implicit-def: $vgpr53
	s_and_saveexec_b64 s[26:27], vcc
	s_cbranch_execz .LBB1538_120
; %bb.83:
	v_mov_b32_e32 v3, s7
	v_cmp_eq_u32_e32 vcc, v39, v40
	v_cndmask_b32_e32 v3, v3, v48, vcc
	v_cmp_ne_u32_e32 vcc, v39, v40
	v_or_b32_e32 v2, 6, v54
	v_and_b32_e32 v3, 0xffff, v3
	v_cndmask_b32_e64 v4, 0, 1, vcc
	v_lshl_or_b32 v18, v4, 16, v3
	v_cmp_gt_u32_e32 vcc, s76, v2
	v_pk_mov_b32 v[2:3], s[12:13], s[12:13] op_sel:[0,1]
	v_pk_mov_b32 v[8:9], s[18:19], s[18:19] op_sel:[0,1]
	;; [unrolled: 1-line block ×5, first 2 shown]
	s_mov_b64 s[30:31], 0
	v_mov_b32_e32 v51, 0
	v_pk_mov_b32 v[14:15], v[6:7], v[6:7] op_sel:[0,1]
	v_pk_mov_b32 v[12:13], v[4:5], v[4:5] op_sel:[0,1]
	v_pk_mov_b32 v[10:11], v[2:3], v[2:3] op_sel:[0,1]
                                        ; implicit-def: $sgpr12_sgpr13
                                        ; implicit-def: $vgpr53
	s_and_saveexec_b64 s[28:29], vcc
	s_cbranch_execz .LBB1538_119
; %bb.84:
	v_lshrrev_b32_e32 v2, 16, v48
	v_mov_b32_e32 v4, s7
	v_cmp_eq_u32_e32 vcc, v40, v41
	v_cndmask_b32_e32 v2, v4, v2, vcc
	v_cmp_ne_u32_e32 vcc, v40, v41
	s_mov_b32 s12, 0
	v_or_b32_e32 v3, 7, v54
	v_and_b32_e32 v2, 0xffff, v2
	v_cndmask_b32_e64 v4, 0, 1, vcc
	s_mov_b32 s13, s12
	v_lshl_or_b32 v51, v4, 16, v2
	v_cmp_gt_u32_e32 vcc, s76, v3
	s_mov_b32 s14, s12
	s_mov_b32 s15, s12
	;; [unrolled: 1-line block ×6, first 2 shown]
	v_pk_mov_b32 v[2:3], s[12:13], s[12:13] op_sel:[0,1]
	v_pk_mov_b32 v[8:9], s[18:19], s[18:19] op_sel:[0,1]
	;; [unrolled: 1-line block ×5, first 2 shown]
	s_mov_b64 s[34:35], 0
	v_pk_mov_b32 v[14:15], v[6:7], v[6:7] op_sel:[0,1]
	v_pk_mov_b32 v[12:13], v[4:5], v[4:5] op_sel:[0,1]
	;; [unrolled: 1-line block ×3, first 2 shown]
                                        ; implicit-def: $sgpr38_sgpr39
                                        ; implicit-def: $vgpr53
	s_and_saveexec_b64 s[30:31], vcc
	s_cbranch_execz .LBB1538_118
; %bb.85:
	v_mov_b32_e32 v3, s7
	v_cmp_eq_u32_e32 vcc, v41, v34
	v_add_u32_e32 v2, 8, v54
	v_cndmask_b32_e32 v3, v3, v49, vcc
	v_cmp_ne_u32_e32 vcc, v41, v34
	v_and_b32_e32 v3, 0xffff, v3
	v_cndmask_b32_e64 v4, 0, 1, vcc
	v_cmp_gt_u32_e32 vcc, s76, v2
	v_mov_b32_e32 v2, 0
	v_pk_mov_b32 v[10:11], s[12:13], s[12:13] op_sel:[0,1]
	v_lshl_or_b32 v9, v4, 16, v3
	v_mov_b32_e32 v3, v2
	v_mov_b32_e32 v4, v2
	;; [unrolled: 1-line block ×6, first 2 shown]
	s_mov_b64 s[36:37], 0
	v_pk_mov_b32 v[12:13], s[14:15], s[14:15] op_sel:[0,1]
	v_pk_mov_b32 v[14:15], s[16:17], s[16:17] op_sel:[0,1]
	;; [unrolled: 1-line block ×3, first 2 shown]
                                        ; implicit-def: $sgpr12_sgpr13
                                        ; implicit-def: $vgpr53
	s_and_saveexec_b64 s[34:35], vcc
	s_cbranch_execz .LBB1538_117
; %bb.86:
	v_lshrrev_b32_e32 v3, 16, v49
	v_mov_b32_e32 v5, s7
	v_cmp_eq_u32_e32 vcc, v34, v35
	s_mov_b32 s12, 0
	v_cndmask_b32_e32 v3, v5, v3, vcc
	v_cmp_ne_u32_e32 vcc, v34, v35
	s_mov_b32 s13, s12
	v_add_u32_e32 v4, 9, v54
	v_and_b32_e32 v3, 0xffff, v3
	v_cndmask_b32_e64 v5, 0, 1, vcc
	s_mov_b32 s14, s12
	s_mov_b32 s15, s12
	;; [unrolled: 1-line block ×6, first 2 shown]
	v_pk_mov_b32 v[10:11], s[12:13], s[12:13] op_sel:[0,1]
	v_lshl_or_b32 v8, v5, 16, v3
	v_cmp_gt_u32_e32 vcc, s76, v4
	v_mov_b32_e32 v3, v2
	v_mov_b32_e32 v4, v2
	;; [unrolled: 1-line block ×5, first 2 shown]
	s_mov_b64 s[38:39], 0
	v_pk_mov_b32 v[12:13], s[14:15], s[14:15] op_sel:[0,1]
	v_pk_mov_b32 v[14:15], s[16:17], s[16:17] op_sel:[0,1]
	;; [unrolled: 1-line block ×3, first 2 shown]
                                        ; implicit-def: $sgpr42_sgpr43
                                        ; implicit-def: $vgpr53
	s_and_saveexec_b64 s[36:37], vcc
	s_cbranch_execz .LBB1538_116
; %bb.87:
	ds_read_b128 v[38:41], v42 offset:18
	v_mov_b32_e32 v3, s7
	v_cmp_eq_u32_e32 vcc, v35, v36
	v_add_u32_e32 v2, 10, v54
	v_pk_mov_b32 v[10:11], s[12:13], s[12:13] op_sel:[0,1]
	s_waitcnt lgkmcnt(0)
	v_cndmask_b32_e32 v3, v3, v38, vcc
	v_cmp_ne_u32_e32 vcc, v35, v36
	v_and_b32_e32 v3, 0xffff, v3
	v_cndmask_b32_e64 v4, 0, 1, vcc
	v_cmp_gt_u32_e32 vcc, s76, v2
	v_mov_b32_e32 v2, 0
	v_lshl_or_b32 v7, v4, 16, v3
	v_mov_b32_e32 v3, v2
	v_mov_b32_e32 v4, v2
	;; [unrolled: 1-line block ×4, first 2 shown]
	s_mov_b64 s[40:41], 0
	v_pk_mov_b32 v[12:13], s[14:15], s[14:15] op_sel:[0,1]
	v_pk_mov_b32 v[14:15], s[16:17], s[16:17] op_sel:[0,1]
	;; [unrolled: 1-line block ×3, first 2 shown]
                                        ; implicit-def: $sgpr12_sgpr13
                                        ; implicit-def: $vgpr53
	s_and_saveexec_b64 s[38:39], vcc
	s_cbranch_execz .LBB1538_115
; %bb.88:
	v_lshrrev_b32_e32 v3, 16, v38
	v_mov_b32_e32 v5, s7
	v_cmp_eq_u32_e32 vcc, v36, v37
	s_mov_b32 s12, 0
	v_cndmask_b32_e32 v3, v5, v3, vcc
	v_cmp_ne_u32_e32 vcc, v36, v37
	s_mov_b32 s13, s12
	v_add_u32_e32 v4, 11, v54
	v_and_b32_e32 v3, 0xffff, v3
	v_cndmask_b32_e64 v5, 0, 1, vcc
	s_mov_b32 s14, s12
	s_mov_b32 s15, s12
	;; [unrolled: 1-line block ×6, first 2 shown]
	v_pk_mov_b32 v[10:11], s[12:13], s[12:13] op_sel:[0,1]
	v_lshl_or_b32 v6, v5, 16, v3
	v_cmp_gt_u32_e32 vcc, s76, v4
	v_mov_b32_e32 v3, v2
	v_mov_b32_e32 v4, v2
	;; [unrolled: 1-line block ×3, first 2 shown]
	s_mov_b64 s[42:43], 0
	v_pk_mov_b32 v[12:13], s[14:15], s[14:15] op_sel:[0,1]
	v_pk_mov_b32 v[14:15], s[16:17], s[16:17] op_sel:[0,1]
	;; [unrolled: 1-line block ×3, first 2 shown]
                                        ; implicit-def: $sgpr46_sgpr47
                                        ; implicit-def: $vgpr53
	s_and_saveexec_b64 s[40:41], vcc
	s_cbranch_execz .LBB1538_114
; %bb.89:
	v_mov_b32_e32 v3, s7
	v_cmp_eq_u32_e32 vcc, v37, v30
	v_add_u32_e32 v2, 12, v54
	v_cndmask_b32_e32 v3, v3, v39, vcc
	v_cmp_ne_u32_e32 vcc, v37, v30
	v_and_b32_e32 v3, 0xffff, v3
	v_cndmask_b32_e64 v4, 0, 1, vcc
	v_cmp_gt_u32_e32 vcc, s76, v2
	v_mov_b32_e32 v2, 0
	v_pk_mov_b32 v[10:11], s[12:13], s[12:13] op_sel:[0,1]
	v_lshl_or_b32 v5, v4, 16, v3
	v_mov_b32_e32 v3, v2
	v_mov_b32_e32 v4, v2
	s_mov_b64 s[44:45], 0
	v_pk_mov_b32 v[12:13], s[14:15], s[14:15] op_sel:[0,1]
	v_pk_mov_b32 v[14:15], s[16:17], s[16:17] op_sel:[0,1]
	;; [unrolled: 1-line block ×3, first 2 shown]
                                        ; implicit-def: $sgpr12_sgpr13
                                        ; implicit-def: $vgpr53
	s_and_saveexec_b64 s[42:43], vcc
	s_cbranch_execz .LBB1538_113
; %bb.90:
	v_lshrrev_b32_e32 v3, 16, v39
	v_mov_b32_e32 v4, s7
	v_cmp_eq_u32_e32 vcc, v30, v31
	s_mov_b32 s12, 0
	v_add_u32_e32 v10, 13, v54
	v_cndmask_b32_e32 v3, v4, v3, vcc
	v_cmp_ne_u32_e32 vcc, v30, v31
	s_mov_b32 s13, s12
	v_and_b32_e32 v3, 0xffff, v3
	v_cndmask_b32_e64 v4, 0, 1, vcc
	v_cmp_gt_u32_e32 vcc, s76, v10
	s_mov_b32 s14, s12
	s_mov_b32 s15, s12
	;; [unrolled: 1-line block ×6, first 2 shown]
	v_pk_mov_b32 v[10:11], s[12:13], s[12:13] op_sel:[0,1]
	v_lshl_or_b32 v4, v4, 16, v3
	v_mov_b32_e32 v3, v2
	s_mov_b64 s[46:47], 0
	v_pk_mov_b32 v[12:13], s[14:15], s[14:15] op_sel:[0,1]
	v_pk_mov_b32 v[14:15], s[16:17], s[16:17] op_sel:[0,1]
	;; [unrolled: 1-line block ×3, first 2 shown]
                                        ; implicit-def: $sgpr48_sgpr49
                                        ; implicit-def: $vgpr53
	s_and_saveexec_b64 s[44:45], vcc
	s_cbranch_execz .LBB1538_112
; %bb.91:
	v_mov_b32_e32 v3, s7
	v_cmp_eq_u32_e32 vcc, v31, v32
	v_cndmask_b32_e32 v3, v3, v40, vcc
	v_cmp_ne_u32_e32 vcc, v31, v32
	v_and_b32_e32 v3, 0xffff, v3
	v_cndmask_b32_e64 v10, 0, 1, vcc
	v_add_u32_e32 v2, 14, v54
	v_lshl_or_b32 v3, v10, 16, v3
	v_pk_mov_b32 v[10:11], s[12:13], s[12:13] op_sel:[0,1]
	v_cmp_gt_u32_e32 vcc, s76, v2
	v_mov_b32_e32 v2, s12
	v_pk_mov_b32 v[12:13], s[14:15], s[14:15] op_sel:[0,1]
	v_pk_mov_b32 v[14:15], s[16:17], s[16:17] op_sel:[0,1]
	;; [unrolled: 1-line block ×3, first 2 shown]
                                        ; implicit-def: $sgpr14_sgpr15
                                        ; implicit-def: $vgpr53
	s_and_saveexec_b64 s[12:13], vcc
	s_cbranch_execz .LBB1538_111
; %bb.92:
	v_lshrrev_b32_e32 v2, 16, v40
	v_mov_b32_e32 v11, s7
	v_cmp_eq_u32_e32 vcc, v32, v33
	v_cndmask_b32_e32 v2, v11, v2, vcc
	v_cmp_ne_u32_e32 vcc, v32, v33
	s_mov_b32 s80, 0
	v_add_u32_e32 v10, 15, v54
	v_and_b32_e32 v2, 0xffff, v2
	v_cndmask_b32_e64 v11, 0, 1, vcc
	s_mov_b32 s81, s80
	v_lshl_or_b32 v2, v11, 16, v2
	v_cmp_gt_u32_e32 vcc, s76, v10
	s_mov_b32 s82, s80
	s_mov_b32 s83, s80
	;; [unrolled: 1-line block ×6, first 2 shown]
	v_pk_mov_b32 v[10:11], s[80:81], s[80:81] op_sel:[0,1]
	s_mov_b64 s[16:17], 0
	v_pk_mov_b32 v[12:13], s[82:83], s[82:83] op_sel:[0,1]
	v_pk_mov_b32 v[14:15], s[84:85], s[84:85] op_sel:[0,1]
	;; [unrolled: 1-line block ×3, first 2 shown]
                                        ; implicit-def: $sgpr46_sgpr47
                                        ; implicit-def: $vgpr53
	s_and_saveexec_b64 s[14:15], vcc
	s_cbranch_execz .LBB1538_110
; %bb.93:
	v_mov_b32_e32 v10, s7
	v_cmp_eq_u32_e32 vcc, v33, v26
	v_cndmask_b32_e32 v10, v10, v41, vcc
	v_cmp_ne_u32_e32 vcc, v33, v26
	v_and_b32_e32 v10, 0xffff, v10
	v_cndmask_b32_e64 v12, 0, 1, vcc
	v_add_u32_e32 v11, 16, v54
	v_lshl_or_b32 v10, v12, 16, v10
	v_mov_b32_e32 v12, 0
	v_cmp_gt_u32_e32 vcc, s76, v11
	v_mov_b32_e32 v11, v12
	v_mov_b32_e32 v13, v12
	;; [unrolled: 1-line block ×6, first 2 shown]
	s_mov_b64 s[18:19], 0
                                        ; implicit-def: $sgpr48_sgpr49
                                        ; implicit-def: $vgpr53
	s_and_saveexec_b64 s[16:17], vcc
	s_cbranch_execz .LBB1538_109
; %bb.94:
	v_lshrrev_b32_e32 v11, 16, v41
	v_mov_b32_e32 v14, s7
	v_cmp_eq_u32_e32 vcc, v26, v27
	v_cndmask_b32_e32 v11, v14, v11, vcc
	v_cmp_ne_u32_e32 vcc, v26, v27
	v_add_u32_e32 v13, 17, v54
	v_and_b32_e32 v11, 0xffff, v11
	v_cndmask_b32_e64 v14, 0, 1, vcc
	v_lshl_or_b32 v11, v14, 16, v11
	v_cmp_gt_u32_e32 vcc, s76, v13
	v_mov_b32_e32 v13, v12
	v_mov_b32_e32 v14, v12
	;; [unrolled: 1-line block ×5, first 2 shown]
	s_mov_b64 s[46:47], 0
                                        ; implicit-def: $sgpr50_sgpr51
                                        ; implicit-def: $vgpr53
	s_and_saveexec_b64 s[18:19], vcc
	s_cbranch_execz .LBB1538_108
; %bb.95:
	ds_read_b96 v[30:32], v42 offset:34
	v_mov_b32_e32 v12, s7
	v_cmp_eq_u32_e32 vcc, v27, v28
	v_add_u32_e32 v13, 18, v54
	s_mov_b64 s[48:49], 0
	s_waitcnt lgkmcnt(0)
	v_cndmask_b32_e32 v12, v12, v30, vcc
	v_cmp_ne_u32_e32 vcc, v27, v28
	v_and_b32_e32 v12, 0xffff, v12
	v_cndmask_b32_e64 v14, 0, 1, vcc
	v_lshl_or_b32 v12, v14, 16, v12
	v_mov_b32_e32 v14, 0
	v_cmp_gt_u32_e32 vcc, s76, v13
	v_mov_b32_e32 v13, v14
	v_mov_b32_e32 v15, v14
	;; [unrolled: 1-line block ×4, first 2 shown]
                                        ; implicit-def: $sgpr52_sgpr53
                                        ; implicit-def: $vgpr53
	s_and_saveexec_b64 s[46:47], vcc
	s_cbranch_execz .LBB1538_107
; %bb.96:
	v_lshrrev_b32_e32 v13, 16, v30
	v_mov_b32_e32 v16, s7
	v_cmp_eq_u32_e32 vcc, v28, v29
	v_cndmask_b32_e32 v13, v16, v13, vcc
	v_cmp_ne_u32_e32 vcc, v28, v29
	v_add_u32_e32 v15, 19, v54
	v_and_b32_e32 v13, 0xffff, v13
	v_cndmask_b32_e64 v16, 0, 1, vcc
	v_lshl_or_b32 v13, v16, 16, v13
	v_cmp_gt_u32_e32 vcc, s76, v15
	v_mov_b32_e32 v15, v14
	v_mov_b32_e32 v16, v14
	;; [unrolled: 1-line block ×3, first 2 shown]
	s_mov_b64 s[50:51], 0
                                        ; implicit-def: $sgpr60_sgpr61
                                        ; implicit-def: $vgpr53
	s_and_saveexec_b64 s[48:49], vcc
	s_cbranch_execz .LBB1538_106
; %bb.97:
	v_mov_b32_e32 v14, s7
	v_cmp_eq_u32_e32 vcc, v29, v22
	v_cndmask_b32_e32 v14, v14, v31, vcc
	v_cmp_ne_u32_e32 vcc, v29, v22
	v_and_b32_e32 v14, 0xffff, v14
	v_cndmask_b32_e64 v16, 0, 1, vcc
	v_add_u32_e32 v15, 20, v54
	v_lshl_or_b32 v14, v16, 16, v14
	v_mov_b32_e32 v16, 0
	v_cmp_gt_u32_e32 vcc, s76, v15
	v_mov_b32_e32 v15, v16
	v_mov_b32_e32 v17, v16
	s_mov_b64 s[52:53], 0
                                        ; implicit-def: $sgpr72_sgpr73
                                        ; implicit-def: $vgpr53
	s_and_saveexec_b64 s[50:51], vcc
	s_cbranch_execz .LBB1538_105
; %bb.98:
	v_lshrrev_b32_e32 v15, 16, v31
	v_mov_b32_e32 v26, s7
	v_cmp_eq_u32_e32 vcc, v22, v23
	v_cndmask_b32_e32 v15, v26, v15, vcc
	v_cmp_ne_u32_e32 vcc, v22, v23
	v_add_u32_e32 v17, 21, v54
	v_and_b32_e32 v15, 0xffff, v15
	v_cndmask_b32_e64 v22, 0, 1, vcc
	v_lshl_or_b32 v15, v22, 16, v15
	v_cmp_gt_u32_e32 vcc, s76, v17
	s_mov_b32 s9, 0
	v_mov_b32_e32 v17, v16
	s_mov_b64 s[60:61], 0
                                        ; implicit-def: $sgpr74_sgpr75
                                        ; implicit-def: $vgpr53
	s_and_saveexec_b64 s[52:53], vcc
	s_cbranch_execz .LBB1538_104
; %bb.99:
	v_mov_b32_e32 v16, s7
	v_cmp_eq_u32_e32 vcc, v23, v24
	v_cndmask_b32_e32 v16, v16, v32, vcc
	v_cmp_ne_u32_e32 vcc, v23, v24
	v_add_u32_e32 v17, 22, v54
	v_and_b32_e32 v16, 0xffff, v16
	v_cndmask_b32_e64 v22, 0, 1, vcc
	v_lshl_or_b32 v16, v22, 16, v16
	v_cmp_gt_u32_e32 vcc, s76, v17
	v_mov_b32_e32 v17, s9
	s_mov_b64 s[72:73], 0
                                        ; implicit-def: $sgpr74_sgpr75
                                        ; implicit-def: $vgpr53
	s_and_saveexec_b64 s[60:61], vcc
	s_cbranch_execz .LBB1538_103
; %bb.100:
	v_lshrrev_b32_e32 v17, 16, v32
	v_mov_b32_e32 v23, s7
	v_cmp_eq_u32_e32 vcc, v24, v25
	v_cndmask_b32_e32 v17, v23, v17, vcc
	v_cmp_ne_u32_e32 vcc, v24, v25
	v_add_u32_e32 v22, 23, v54
	v_and_b32_e32 v17, 0xffff, v17
	v_cndmask_b32_e64 v23, 0, 1, vcc
	v_lshl_or_b32 v17, v23, 16, v17
	v_cmp_gt_u32_e32 vcc, s76, v22
                                        ; implicit-def: $sgpr74_sgpr75
                                        ; implicit-def: $vgpr53
	s_and_saveexec_b64 s[76:77], vcc
	s_xor_b64 s[76:77], exec, s[76:77]
	s_cbranch_execz .LBB1538_102
; %bb.101:
	ds_read_u16 v22, v42 offset:46
	v_mov_b32_e32 v23, s7
	v_cmp_ne_u32_e32 vcc, v25, v52
	s_mov_b64 s[72:73], exec
	s_and_b64 s[74:75], vcc, exec
	s_waitcnt lgkmcnt(0)
	v_cndmask_b32_e32 v53, v22, v23, vcc
.LBB1538_102:
	s_or_b64 exec, exec, s[76:77]
	s_and_b64 s[74:75], s[74:75], exec
	s_and_b64 s[72:73], s[72:73], exec
.LBB1538_103:
	s_or_b64 exec, exec, s[60:61]
	s_and_b64 s[74:75], s[74:75], exec
	s_and_b64 s[60:61], s[72:73], exec
.LBB1538_104:
	s_or_b64 exec, exec, s[52:53]
	s_and_b64 s[72:73], s[74:75], exec
	s_and_b64 s[52:53], s[60:61], exec
.LBB1538_105:
	s_or_b64 exec, exec, s[50:51]
	s_and_b64 s[60:61], s[72:73], exec
	s_and_b64 s[50:51], s[52:53], exec
.LBB1538_106:
	s_or_b64 exec, exec, s[48:49]
	s_and_b64 s[52:53], s[60:61], exec
	s_and_b64 s[48:49], s[50:51], exec
.LBB1538_107:
	s_or_b64 exec, exec, s[46:47]
	s_and_b64 s[50:51], s[52:53], exec
	s_and_b64 s[46:47], s[48:49], exec
.LBB1538_108:
	s_or_b64 exec, exec, s[18:19]
	s_and_b64 s[48:49], s[50:51], exec
	s_and_b64 s[18:19], s[46:47], exec
.LBB1538_109:
	s_or_b64 exec, exec, s[16:17]
	s_and_b64 s[46:47], s[48:49], exec
	s_and_b64 s[16:17], s[18:19], exec
.LBB1538_110:
	s_or_b64 exec, exec, s[14:15]
	s_and_b64 s[14:15], s[46:47], exec
	s_and_b64 s[46:47], s[16:17], exec
.LBB1538_111:
	s_or_b64 exec, exec, s[12:13]
	s_and_b64 s[48:49], s[14:15], exec
	s_and_b64 s[46:47], s[46:47], exec
.LBB1538_112:
	s_or_b64 exec, exec, s[44:45]
	s_and_b64 s[12:13], s[48:49], exec
	s_and_b64 s[44:45], s[46:47], exec
.LBB1538_113:
	s_or_b64 exec, exec, s[42:43]
	s_and_b64 s[46:47], s[12:13], exec
	s_and_b64 s[42:43], s[44:45], exec
.LBB1538_114:
	s_or_b64 exec, exec, s[40:41]
	s_and_b64 s[12:13], s[46:47], exec
	s_and_b64 s[40:41], s[42:43], exec
.LBB1538_115:
	s_or_b64 exec, exec, s[38:39]
	s_and_b64 s[42:43], s[12:13], exec
	s_and_b64 s[38:39], s[40:41], exec
.LBB1538_116:
	s_or_b64 exec, exec, s[36:37]
	s_and_b64 s[12:13], s[42:43], exec
	s_and_b64 s[36:37], s[38:39], exec
.LBB1538_117:
	s_or_b64 exec, exec, s[34:35]
	s_and_b64 s[38:39], s[12:13], exec
	s_and_b64 s[34:35], s[36:37], exec
.LBB1538_118:
	s_or_b64 exec, exec, s[30:31]
	s_and_b64 s[12:13], s[38:39], exec
	s_and_b64 s[30:31], s[34:35], exec
.LBB1538_119:
	s_or_b64 exec, exec, s[28:29]
	s_and_b64 s[34:35], s[12:13], exec
	s_and_b64 s[28:29], s[30:31], exec
.LBB1538_120:
	s_or_b64 exec, exec, s[26:27]
	s_and_b64 s[12:13], s[34:35], exec
	s_and_b64 s[26:27], s[28:29], exec
.LBB1538_121:
	s_or_b64 exec, exec, s[24:25]
	s_and_b64 s[28:29], s[12:13], exec
	s_and_b64 s[24:25], s[26:27], exec
.LBB1538_122:
	s_or_b64 exec, exec, s[22:23]
	s_and_b64 s[12:13], s[28:29], exec
	s_and_b64 s[24:25], s[24:25], exec
.LBB1538_123:
	s_or_b64 exec, exec, s[20:21]
	s_and_b64 s[26:27], s[12:13], exec
	s_and_b64 s[24:25], s[24:25], exec
.LBB1538_124:
	s_or_b64 exec, exec, s[10:11]
	s_and_b64 s[10:11], s[26:27], exec
	s_and_b64 s[12:13], s[24:25], exec
.LBB1538_125:
	s_or_b64 exec, exec, s[4:5]
	s_and_b64 vcc, exec, s[2:3]
	s_cbranch_vccnz .LBB1538_127
	s_branch .LBB1538_132
.LBB1538_126:
	s_mov_b64 s[12:13], 0
                                        ; implicit-def: $sgpr10_sgpr11
                                        ; implicit-def: $vgpr18_vgpr19_vgpr20_vgpr21
                                        ; implicit-def: $vgpr2_vgpr3_vgpr4_vgpr5_vgpr6_vgpr7_vgpr8_vgpr9
                                        ; implicit-def: $vgpr10_vgpr11_vgpr12_vgpr13_vgpr14_vgpr15_vgpr16_vgpr17
                                        ; implicit-def: $vgpr53
                                        ; implicit-def: $vgpr1
                                        ; implicit-def: $vgpr50
                                        ; implicit-def: $vgpr51
                                        ; implicit-def: $sgpr8
	s_and_b64 vcc, exec, s[2:3]
	s_cbranch_vccz .LBB1538_132
.LBB1538_127:
	v_lshlrev_b32_e32 v1, 2, v0
	v_mov_b32_e32 v3, s71
	v_add_co_u32_e32 v2, vcc, s70, v1
	v_addc_co_u32_e32 v3, vcc, 0, v3, vcc
	s_movk_i32 s2, 0x1000
	flat_load_dword v4, v[2:3]
	flat_load_dword v5, v[2:3] offset:256
	flat_load_dword v6, v[2:3] offset:512
	;; [unrolled: 1-line block ×15, first 2 shown]
	v_add_co_u32_e32 v2, vcc, s2, v2
	v_addc_co_u32_e32 v3, vcc, 0, v3, vcc
	flat_load_dword v20, v[2:3]
	flat_load_dword v21, v[2:3] offset:256
	flat_load_dword v22, v[2:3] offset:512
	;; [unrolled: 1-line block ×7, first 2 shown]
	v_mov_b32_e32 v2, s70
	v_mov_b32_e32 v3, s71
	v_add_co_u32_e32 v2, vcc, s2, v2
	v_addc_co_u32_e32 v3, vcc, 0, v3, vcc
	s_movk_i32 s2, 0x5c
	v_cmp_ne_u32_e32 vcc, 63, v0
	s_waitcnt vmcnt(0) lgkmcnt(0)
	ds_write2st64_b32 v1, v4, v5 offset1:1
	ds_write2st64_b32 v1, v6, v7 offset0:2 offset1:3
	ds_write2st64_b32 v1, v8, v9 offset0:4 offset1:5
	;; [unrolled: 1-line block ×11, first 2 shown]
	s_waitcnt lgkmcnt(0)
	; wave barrier
	s_waitcnt lgkmcnt(0)
	flat_load_dword v40, v[2:3] offset:2048
	v_mad_u32_u24 v6, v0, s2, v1
	s_movk_i32 s2, 0xffa4
	ds_read2_b32 v[22:23], v6 offset0:6 offset1:23
	ds_read_b64 v[18:19], v6
	ds_read2_b64 v[2:5], v6 offset0:1 offset1:2
	ds_read2_b32 v[32:33], v6 offset0:13 offset1:14
	ds_read2_b32 v[34:35], v6 offset0:11 offset1:12
	;; [unrolled: 1-line block ×8, first 2 shown]
	v_mad_i32_i24 v6, v0, s2, v6
	s_waitcnt lgkmcnt(0)
	ds_write_b32 v6, v18 offset:6400
	s_waitcnt lgkmcnt(0)
	; wave barrier
	s_waitcnt lgkmcnt(0)
	s_and_saveexec_b64 s[2:3], vcc
	s_cbranch_execz .LBB1538_129
; %bb.128:
	s_waitcnt vmcnt(0)
	ds_read_b32 v40, v1 offset:6404
.LBB1538_129:
	s_or_b64 exec, exec, s[2:3]
	v_lshlrev_b32_e32 v1, 1, v0
	v_mov_b32_e32 v7, s78
	v_add_co_u32_e32 v8, vcc, s59, v1
	v_addc_co_u32_e32 v9, vcc, 0, v7, vcc
	s_waitcnt lgkmcnt(0)
	; wave barrier
	s_waitcnt lgkmcnt(0)
	flat_load_ushort v7, v[8:9]
	flat_load_ushort v10, v[8:9] offset:128
	flat_load_ushort v11, v[8:9] offset:256
	;; [unrolled: 1-line block ×23, first 2 shown]
	v_sub_u32_e32 v1, v6, v1
	v_mad_u32_u24 v54, v0, 46, v1
	v_cmp_eq_u32_e32 vcc, v18, v19
	v_mov_b32_e32 v18, s7
	s_waitcnt vmcnt(0) lgkmcnt(0)
	ds_write_b16 v1, v7
	ds_write_b16 v1, v10 offset:128
	ds_write_b16 v1, v11 offset:256
	;; [unrolled: 1-line block ×23, first 2 shown]
	s_waitcnt lgkmcnt(0)
	; wave barrier
	s_waitcnt lgkmcnt(0)
	ds_read_b96 v[14:16], v54 offset:2
	ds_read_b128 v[6:9], v54 offset:14
	ds_read_b128 v[10:13], v54 offset:30
	ds_read_u16 v41, v54 offset:46
	v_mov_b32_e32 v17, 0x10000
	s_and_saveexec_b64 s[2:3], vcc
	s_cbranch_execz .LBB1538_131
; %bb.130:
	v_mul_u32_u24_e32 v17, 46, v0
	v_add_u32_e32 v1, v1, v17
	ds_read_u16 v18, v1
	v_mov_b32_e32 v17, 0
.LBB1538_131:
	s_or_b64 exec, exec, s[2:3]
	v_mov_b32_e32 v47, s7
	v_cmp_eq_u32_e32 vcc, v19, v2
	s_waitcnt lgkmcnt(3)
	v_lshrrev_b32_e32 v21, 16, v14
	v_cndmask_b32_e32 v14, v47, v14, vcc
	v_cmp_ne_u32_e32 vcc, v19, v2
	s_waitcnt lgkmcnt(0)
	v_or_b32_sdwa v1, v17, v18 dst_sel:DWORD dst_unused:UNUSED_PAD src0_sel:DWORD src1_sel:WORD_0
	v_and_b32_e32 v14, 0xffff, v14
	v_cndmask_b32_e64 v17, 0, 1, vcc
	v_cmp_eq_u32_e32 vcc, v2, v3
	v_lshrrev_b32_e32 v20, 16, v15
	v_lshl_or_b32 v50, v17, 16, v14
	v_cndmask_b32_e32 v14, v47, v21, vcc
	v_cmp_eq_u32_e32 vcc, v4, v5
	v_cndmask_b32_e32 v17, v47, v20, vcc
	v_cmp_eq_u32_e32 vcc, v3, v4
	;; [unrolled: 2-line block ×3, first 2 shown]
	v_lshrrev_b32_e32 v42, 16, v16
	v_cndmask_b32_e32 v16, v47, v16, vcc
	v_cmp_ne_u32_e32 vcc, v3, v4
	v_and_b32_e32 v15, 0xffff, v15
	v_cndmask_b32_e64 v18, 0, 1, vcc
	v_cmp_ne_u32_e32 vcc, v5, v22
	v_lshl_or_b32 v20, v18, 16, v15
	v_cndmask_b32_e64 v15, 0, 1, vcc
	v_cmp_ne_u32_e32 vcc, v2, v3
	v_and_b32_e32 v14, 0xffff, v14
	v_cndmask_b32_e64 v2, 0, 1, vcc
	v_cmp_ne_u32_e32 vcc, v4, v5
	v_and_b32_e32 v17, 0xffff, v17
	v_lshl_or_b32 v21, v2, 16, v14
	v_cndmask_b32_e64 v2, 0, 1, vcc
	v_cmp_eq_u32_e32 vcc, v22, v38
	v_lshl_or_b32 v19, v2, 16, v17
	v_cndmask_b32_e32 v2, v47, v42, vcc
	v_cmp_ne_u32_e32 vcc, v22, v38
	v_lshrrev_b32_e32 v46, 16, v6
	v_and_b32_e32 v2, 0xffff, v2
	v_cndmask_b32_e64 v3, 0, 1, vcc
	v_cmp_eq_u32_e32 vcc, v39, v36
	v_lshrrev_b32_e32 v45, 16, v7
	v_lshl_or_b32 v51, v3, 16, v2
	v_cndmask_b32_e32 v2, v47, v46, vcc
	v_cmp_eq_u32_e32 vcc, v37, v34
	v_lshrrev_b32_e32 v44, 16, v8
	v_cndmask_b32_e32 v3, v47, v45, vcc
	v_cmp_eq_u32_e32 vcc, v35, v32
	v_lshrrev_b32_e32 v43, 16, v9
	v_cndmask_b32_e32 v4, v47, v44, vcc
	v_cmp_eq_u32_e32 vcc, v33, v26
	v_cndmask_b32_e32 v5, v47, v43, vcc
	v_cmp_eq_u32_e32 vcc, v38, v39
	;; [unrolled: 2-line block ×5, first 2 shown]
	v_cndmask_b32_e32 v9, v47, v9, vcc
	v_cmp_ne_u32_e32 vcc, v38, v39
	v_and_b32_e32 v16, 0xffff, v16
	v_and_b32_e32 v14, 0xffff, v5
	;; [unrolled: 1-line block ×4, first 2 shown]
	v_cndmask_b32_e64 v8, 0, 1, vcc
	v_cmp_ne_u32_e32 vcc, v36, v37
	v_lshl_or_b32 v18, v15, 16, v16
	v_and_b32_e32 v15, 0xffff, v3
	v_and_b32_e32 v3, 0xffff, v9
	v_and_b32_e32 v7, 0xffff, v7
	v_lshl_or_b32 v9, v8, 16, v6
	v_cndmask_b32_e64 v6, 0, 1, vcc
	v_cmp_ne_u32_e32 vcc, v34, v35
	v_lshl_or_b32 v7, v6, 16, v7
	v_cndmask_b32_e64 v6, 0, 1, vcc
	v_cmp_ne_u32_e32 vcc, v32, v33
	;; [unrolled: 3-line block ×3, first 2 shown]
	v_and_b32_e32 v2, 0xffff, v2
	v_lshl_or_b32 v3, v6, 16, v3
	v_cndmask_b32_e64 v6, 0, 1, vcc
	v_cmp_ne_u32_e32 vcc, v37, v34
	v_lshl_or_b32 v8, v6, 16, v2
	v_cndmask_b32_e64 v2, 0, 1, vcc
	v_cmp_ne_u32_e32 vcc, v35, v32
	v_and_b32_e32 v4, 0xffff, v4
	v_lshl_or_b32 v6, v2, 16, v15
	v_cndmask_b32_e64 v2, 0, 1, vcc
	v_cmp_ne_u32_e32 vcc, v33, v26
	v_lshl_or_b32 v4, v2, 16, v4
	v_cndmask_b32_e64 v2, 0, 1, vcc
	v_lshl_or_b32 v2, v2, 16, v14
	v_lshrrev_b32_e32 v14, 16, v13
	v_cmp_eq_u32_e32 vcc, v31, v23
	v_cndmask_b32_e32 v14, v47, v14, vcc
	v_lshrrev_b32_e32 v15, 16, v12
	v_cmp_eq_u32_e32 vcc, v29, v30
	v_cndmask_b32_e32 v15, v47, v15, vcc
	;; [unrolled: 3-line block ×4, first 2 shown]
	v_cmp_eq_u32_e32 vcc, v30, v31
	v_cndmask_b32_e32 v13, v47, v13, vcc
	v_cmp_eq_u32_e32 vcc, v28, v29
	v_cndmask_b32_e32 v12, v47, v12, vcc
	;; [unrolled: 2-line block ×4, first 2 shown]
	v_cmp_ne_u32_e32 vcc, v30, v31
	v_and_b32_e32 v22, 0xffff, v17
	v_and_b32_e32 v17, 0xffff, v14
	;; [unrolled: 1-line block ×3, first 2 shown]
	v_cndmask_b32_e64 v14, 0, 1, vcc
	v_cmp_ne_u32_e32 vcc, v28, v29
	v_and_b32_e32 v32, 0xffff, v16
	v_and_b32_e32 v12, 0xffff, v12
	v_lshl_or_b32 v16, v14, 16, v13
	v_cndmask_b32_e64 v13, 0, 1, vcc
	v_cmp_ne_u32_e32 vcc, v24, v25
	v_and_b32_e32 v11, 0xffff, v11
	v_lshl_or_b32 v14, v13, 16, v12
	v_cndmask_b32_e64 v12, 0, 1, vcc
	v_cmp_ne_u32_e32 vcc, v26, v27
	v_and_b32_e32 v10, 0xffff, v10
	v_lshl_or_b32 v12, v12, 16, v11
	v_cndmask_b32_e64 v11, 0, 1, vcc
	v_cmp_ne_u32_e32 vcc, v31, v23
	v_lshl_or_b32 v10, v11, 16, v10
	v_cndmask_b32_e64 v11, 0, 1, vcc
	v_cmp_ne_u32_e32 vcc, v29, v30
	v_and_b32_e32 v15, 0xffff, v15
	v_lshl_or_b32 v17, v11, 16, v17
	v_cndmask_b32_e64 v11, 0, 1, vcc
	v_cmp_ne_u32_e32 vcc, v25, v28
	v_lshl_or_b32 v15, v11, 16, v15
	v_cndmask_b32_e64 v11, 0, 1, vcc
	v_cmp_ne_u32_e32 vcc, v27, v24
	v_lshl_or_b32 v13, v11, 16, v32
	v_cndmask_b32_e64 v11, 0, 1, vcc
	v_cmp_ne_u32_e64 s[10:11], v23, v40
	v_lshl_or_b32 v11, v11, 16, v22
	v_cndmask_b32_e64 v53, v41, v47, s[10:11]
	s_mov_b64 s[12:13], -1
                                        ; implicit-def: $sgpr8
.LBB1538_132:
	v_mov_b32_e32 v32, s8
	s_and_saveexec_b64 s[2:3], s[12:13]
; %bb.133:
	v_mov_b32_e32 v22, 0x10000
	v_cndmask_b32_e64 v22, 0, v22, s[10:11]
	v_or_b32_sdwa v32, v22, v53 dst_sel:DWORD dst_unused:UNUSED_PAD src0_sel:DWORD src1_sel:WORD_0
; %bb.134:
	s_or_b64 exec, exec, s[2:3]
	s_cmp_lg_u32 s6, 0
	v_mbcnt_lo_u32_b32 v33, -1, 0
	s_waitcnt lgkmcnt(0)
	; wave barrier
	s_waitcnt lgkmcnt(0)
	s_cbranch_scc0 .LBB1538_215
; %bb.135:
	s_mov_b32 s48, 0x10000
	v_cmp_gt_u32_e64 s[2:3], s48, v50
	v_cndmask_b32_e64 v22, 0, v1, s[2:3]
	v_add_u16_e32 v22, v22, v50
	v_cmp_gt_u32_e64 s[4:5], s48, v21
	v_cndmask_b32_e64 v22, 0, v22, s[4:5]
	v_add_u16_e32 v22, v22, v21
	v_cmp_gt_u32_e64 s[50:51], s48, v20
	v_cndmask_b32_e64 v22, 0, v22, s[50:51]
	v_add_u16_e32 v22, v22, v20
	v_cmp_gt_u32_e64 s[8:9], s48, v19
	v_cndmask_b32_e64 v22, 0, v22, s[8:9]
	v_add_u16_e32 v22, v22, v19
	v_cmp_gt_u32_e64 s[10:11], s48, v18
	v_cndmask_b32_e64 v22, 0, v22, s[10:11]
	v_add_u16_e32 v22, v22, v18
	v_cmp_gt_u32_e64 s[12:13], s48, v51
	v_cndmask_b32_e64 v22, 0, v22, s[12:13]
	v_add_u16_e32 v22, v22, v51
	v_cmp_gt_u32_e64 s[14:15], s48, v9
	v_cndmask_b32_e64 v22, 0, v22, s[14:15]
	v_add_u16_e32 v22, v22, v9
	v_cmp_gt_u32_e64 s[16:17], s48, v8
	v_cndmask_b32_e64 v22, 0, v22, s[16:17]
	v_add_u16_e32 v22, v22, v8
	v_cmp_gt_u32_e64 s[18:19], s48, v7
	v_cndmask_b32_e64 v22, 0, v22, s[18:19]
	v_add_u16_e32 v22, v22, v7
	v_cmp_gt_u32_e64 s[20:21], s48, v6
	v_cndmask_b32_e64 v22, 0, v22, s[20:21]
	v_add_u16_e32 v22, v22, v6
	v_cmp_gt_u32_e64 s[22:23], s48, v5
	v_cndmask_b32_e64 v22, 0, v22, s[22:23]
	v_add_u16_e32 v22, v22, v5
	v_cmp_gt_u32_e64 s[24:25], s48, v4
	v_cndmask_b32_e64 v22, 0, v22, s[24:25]
	v_add_u16_e32 v22, v22, v4
	v_cmp_gt_u32_e64 s[26:27], s48, v3
	v_cndmask_b32_e64 v22, 0, v22, s[26:27]
	v_add_u16_e32 v22, v22, v3
	v_cmp_gt_u32_e64 s[28:29], s48, v2
	v_cndmask_b32_e64 v22, 0, v22, s[28:29]
	v_add_u16_e32 v22, v22, v2
	v_cmp_gt_u32_e64 s[30:31], s48, v10
	v_cndmask_b32_e64 v22, 0, v22, s[30:31]
	v_add_u16_e32 v22, v22, v10
	v_cmp_gt_u32_e64 s[34:35], s48, v11
	v_cndmask_b32_e64 v22, 0, v22, s[34:35]
	v_add_u16_e32 v22, v22, v11
	v_cmp_gt_u32_e64 s[36:37], s48, v12
	v_cndmask_b32_e64 v22, 0, v22, s[36:37]
	v_or3_b32 v24, v32, v17, v16
	v_add_u16_e32 v22, v22, v12
	v_cmp_gt_u32_e64 s[38:39], s48, v13
	v_or3_b32 v24, v24, v15, v14
	v_cndmask_b32_e64 v22, 0, v22, s[38:39]
	v_or3_b32 v24, v24, v13, v12
	v_add_u16_e32 v22, v22, v13
	v_cmp_gt_u32_e64 s[40:41], s48, v14
	v_or3_b32 v24, v24, v11, v10
	v_cndmask_b32_e64 v22, 0, v22, s[40:41]
	v_or3_b32 v24, v24, v2, v3
	v_add_u16_e32 v22, v22, v14
	v_cmp_gt_u32_e64 s[42:43], s48, v15
	v_or3_b32 v24, v24, v4, v5
	v_cndmask_b32_e64 v22, 0, v22, s[42:43]
	v_or3_b32 v24, v24, v6, v7
	v_add_u16_e32 v22, v22, v15
	v_cmp_gt_u32_e64 s[44:45], s48, v16
	v_or3_b32 v24, v24, v8, v9
	v_cndmask_b32_e64 v22, 0, v22, s[44:45]
	v_or3_b32 v24, v24, v51, v18
	v_add_u16_e32 v22, v22, v16
	v_cmp_gt_u32_e64 s[46:47], s48, v17
	v_or3_b32 v24, v24, v19, v20
	v_cndmask_b32_e64 v22, 0, v22, s[46:47]
	v_or3_b32 v24, v24, v21, v50
	v_add_u16_e32 v22, v22, v17
	v_cmp_gt_u32_e32 vcc, s48, v32
	v_and_b32_e32 v24, 0x10000, v24
	v_and_b32_e32 v23, 0x10000, v1
	v_cndmask_b32_e32 v25, 0, v22, vcc
	v_mov_b32_e32 v26, 0x10000
	v_cmp_ne_u32_e32 vcc, 0, v24
	v_add_u16_e32 v22, v25, v32
	v_cndmask_b32_e32 v24, v23, v26, vcc
	v_add_u16_e32 v26, v25, v32
	v_mbcnt_hi_u32_b32 v25, -1, v33
	v_and_b32_e32 v27, 15, v25
	v_or_b32_e32 v26, v24, v26
	v_lshrrev_b32_e32 v23, 16, v24
	v_cmp_ne_u32_e32 vcc, 0, v27
	v_mov_b32_dpp v28, v26 row_shr:1 row_mask:0xf bank_mask:0xf
	s_and_saveexec_b64 s[48:49], vcc
	s_cbranch_execz .LBB1538_137
; %bb.136:
	v_cmp_eq_u32_e32 vcc, 0, v24
	v_and_b32_e32 v23, 0x10000, v24
	v_mov_b32_e32 v24, 1
	v_cndmask_b32_e32 v26, 0, v28, vcc
	v_and_b32_sdwa v24, v28, v24 dst_sel:DWORD dst_unused:UNUSED_PAD src0_sel:WORD_1 src1_sel:DWORD
	v_cmp_ne_u32_e32 vcc, 0, v23
	v_cndmask_b32_e64 v23, v24, 1, vcc
	v_add_u16_e32 v29, v26, v22
	v_lshlrev_b32_e32 v24, 16, v23
	v_add_u16_e32 v22, v26, v22
	v_or_b32_e32 v26, v24, v22
	v_mov_b32_e32 v22, v29
.LBB1538_137:
	s_or_b64 exec, exec, s[48:49]
	v_lshrrev_b32_e32 v24, 16, v26
	v_mov_b32_dpp v28, v26 row_shr:2 row_mask:0xf bank_mask:0xf
	v_cmp_lt_u32_e32 vcc, 1, v27
	s_and_saveexec_b64 s[48:49], vcc
	s_cbranch_execz .LBB1538_139
; %bb.138:
	s_mov_b32 s52, 0x10000
	v_cmp_gt_u32_e32 vcc, s52, v26
	v_and_b32_e32 v23, 0x10000, v26
	v_mov_b32_e32 v26, 1
	v_cndmask_b32_e32 v24, 0, v28, vcc
	v_and_b32_sdwa v26, v28, v26 dst_sel:DWORD dst_unused:UNUSED_PAD src0_sel:WORD_1 src1_sel:DWORD
	v_cmp_ne_u32_e32 vcc, 0, v23
	v_cndmask_b32_e64 v23, v26, 1, vcc
	v_add_u16_e32 v29, v24, v22
	v_lshlrev_b32_e32 v26, 16, v23
	v_add_u16_e32 v22, v24, v22
	v_or_b32_e32 v26, v26, v22
	v_mov_b32_e32 v22, v29
	v_mov_b32_e32 v24, v23
.LBB1538_139:
	s_or_b64 exec, exec, s[48:49]
	v_mov_b32_dpp v28, v26 row_shr:4 row_mask:0xf bank_mask:0xf
	v_cmp_lt_u32_e32 vcc, 3, v27
	s_and_saveexec_b64 s[48:49], vcc
	s_cbranch_execz .LBB1538_141
; %bb.140:
	v_cmp_eq_u16_e32 vcc, 0, v24
	v_and_b32_e32 v23, 1, v24
	v_mov_b32_e32 v24, 1
	v_cndmask_b32_e32 v26, 0, v28, vcc
	v_and_b32_sdwa v24, v28, v24 dst_sel:DWORD dst_unused:UNUSED_PAD src0_sel:WORD_1 src1_sel:DWORD
	v_cmp_eq_u32_e32 vcc, 1, v23
	v_cndmask_b32_e64 v23, v24, 1, vcc
	v_add_u16_e32 v29, v26, v22
	v_lshlrev_b32_e32 v24, 16, v23
	v_add_u16_e32 v22, v26, v22
	v_or_b32_e32 v26, v24, v22
	v_mov_b32_e32 v22, v29
	v_mov_b32_e32 v24, v23
.LBB1538_141:
	s_or_b64 exec, exec, s[48:49]
	v_mov_b32_dpp v28, v26 row_shr:8 row_mask:0xf bank_mask:0xf
	v_cmp_lt_u32_e32 vcc, 7, v27
	s_and_saveexec_b64 s[48:49], vcc
	s_cbranch_execz .LBB1538_143
; %bb.142:
	v_cmp_eq_u16_e32 vcc, 0, v24
	v_and_b32_e32 v23, 1, v24
	v_mov_b32_e32 v24, 1
	v_cndmask_b32_e32 v26, 0, v28, vcc
	v_and_b32_sdwa v24, v28, v24 dst_sel:DWORD dst_unused:UNUSED_PAD src0_sel:WORD_1 src1_sel:DWORD
	v_cmp_eq_u32_e32 vcc, 1, v23
	v_cndmask_b32_e64 v23, v24, 1, vcc
	v_add_u16_e32 v27, v26, v22
	v_lshlrev_b32_e32 v24, 16, v23
	v_add_u16_e32 v22, v26, v22
	v_or_b32_e32 v26, v24, v22
	v_mov_b32_e32 v22, v27
	v_mov_b32_e32 v24, v23
.LBB1538_143:
	s_or_b64 exec, exec, s[48:49]
	v_and_b32_e32 v28, 16, v25
	v_mov_b32_dpp v27, v26 row_bcast:15 row_mask:0xf bank_mask:0xf
	v_cmp_ne_u32_e32 vcc, 0, v28
	s_and_saveexec_b64 s[48:49], vcc
	s_cbranch_execz .LBB1538_145
; %bb.144:
	v_cmp_eq_u16_e32 vcc, 0, v24
	v_and_b32_e32 v23, 1, v24
	v_mov_b32_e32 v24, 1
	v_cndmask_b32_e32 v26, 0, v27, vcc
	v_and_b32_sdwa v24, v27, v24 dst_sel:DWORD dst_unused:UNUSED_PAD src0_sel:WORD_1 src1_sel:DWORD
	v_cmp_eq_u32_e32 vcc, 1, v23
	v_cndmask_b32_e64 v23, v24, 1, vcc
	v_add_u16_e32 v28, v26, v22
	v_lshlrev_b32_e32 v24, 16, v23
	v_add_u16_e32 v22, v26, v22
	v_or_b32_e32 v26, v24, v22
	v_mov_b32_e32 v22, v28
	v_mov_b32_e32 v24, v23
.LBB1538_145:
	s_or_b64 exec, exec, s[48:49]
	v_mov_b32_dpp v26, v26 row_bcast:31 row_mask:0xf bank_mask:0xf
	v_cmp_lt_u32_e32 vcc, 31, v25
	s_and_saveexec_b64 s[48:49], vcc
; %bb.146:
	v_cmp_eq_u16_e32 vcc, 0, v24
	v_cndmask_b32_e32 v23, 0, v26, vcc
	v_add_u16_e32 v22, v23, v22
	v_and_b32_e32 v23, 1, v24
	v_mov_b32_e32 v24, 1
	v_and_b32_sdwa v24, v26, v24 dst_sel:DWORD dst_unused:UNUSED_PAD src0_sel:WORD_1 src1_sel:DWORD
	v_cmp_eq_u32_e32 vcc, 1, v23
	v_cndmask_b32_e64 v23, v24, 1, vcc
	v_mov_b32_e32 v24, v23
; %bb.147:
	s_or_b64 exec, exec, s[48:49]
	v_cmp_eq_u32_e32 vcc, 63, v0
	s_and_saveexec_b64 s[48:49], vcc
	s_cbranch_execz .LBB1538_149
; %bb.148:
	v_mov_b32_e32 v26, 0
	ds_write_b16 v26, v22
	ds_write_b8 v26, v24 offset:2
.LBB1538_149:
	s_or_b64 exec, exec, s[48:49]
	v_lshlrev_b32_e32 v23, 16, v23
	v_or_b32_sdwa v22, v23, v22 dst_sel:DWORD dst_unused:UNUSED_PAD src0_sel:DWORD src1_sel:WORD_0
	v_add_u32_e32 v23, -1, v25
	v_and_b32_e32 v24, 64, v25
	v_cmp_lt_i32_e32 vcc, v23, v24
	v_cndmask_b32_e32 v23, v23, v25, vcc
	v_lshlrev_b32_e32 v23, 2, v23
	ds_bpermute_b32 v34, v23, v22
	v_cmp_gt_u32_e32 vcc, 64, v0
	s_waitcnt lgkmcnt(0)
	; wave barrier
	s_waitcnt lgkmcnt(0)
	s_and_saveexec_b64 s[52:53], vcc
	s_cbranch_execz .LBB1538_192
; %bb.150:
	v_mov_b32_e32 v29, 0
	ds_read_b32 v22, v29
	s_mov_b32 s71, 0
	v_cmp_eq_u32_e64 s[48:49], 0, v25
	s_and_saveexec_b64 s[60:61], s[48:49]
	s_cbranch_execz .LBB1538_152
; %bb.151:
	s_add_i32 s70, s6, 64
	s_lshl_b64 s[70:71], s[70:71], 3
	s_add_u32 s70, s56, s70
	v_mov_b32_e32 v23, 1
	s_addc_u32 s71, s57, s71
	s_waitcnt lgkmcnt(0)
	global_store_dwordx2 v29, v[22:23], s[70:71]
.LBB1538_152:
	s_or_b64 exec, exec, s[60:61]
	v_xad_u32 v24, v25, -1, s6
	v_add_u32_e32 v28, 64, v24
	v_lshlrev_b64 v[26:27], 3, v[28:29]
	v_mov_b32_e32 v23, s57
	v_add_co_u32_e32 v30, vcc, s56, v26
	v_addc_co_u32_e32 v31, vcc, v23, v27, vcc
	global_load_dwordx2 v[26:27], v[30:31], off glc
	s_waitcnt vmcnt(0)
	v_cmp_eq_u16_sdwa s[70:71], v27, v29 src0_sel:BYTE_0 src1_sel:DWORD
	s_and_saveexec_b64 s[60:61], s[70:71]
	s_cbranch_execz .LBB1538_156
; %bb.153:
	s_mov_b64 s[70:71], 0
	v_mov_b32_e32 v23, 0
.LBB1538_154:                           ; =>This Inner Loop Header: Depth=1
	global_load_dwordx2 v[26:27], v[30:31], off glc
	s_waitcnt vmcnt(0)
	v_cmp_ne_u16_sdwa s[72:73], v27, v23 src0_sel:BYTE_0 src1_sel:DWORD
	s_or_b64 s[70:71], s[72:73], s[70:71]
	s_andn2_b64 exec, exec, s[70:71]
	s_cbranch_execnz .LBB1538_154
; %bb.155:
	s_or_b64 exec, exec, s[70:71]
.LBB1538_156:
	s_or_b64 exec, exec, s[60:61]
	v_mov_b32_e32 v23, 2
	v_cmp_eq_u16_sdwa s[60:61], v27, v23 src0_sel:BYTE_0 src1_sel:DWORD
	v_lshlrev_b64 v[28:29], v25, -1
	v_and_b32_e32 v23, s61, v29
	v_or_b32_e32 v23, 0x80000000, v23
	v_ffbl_b32_e32 v23, v23
	v_add_u32_e32 v31, 32, v23
	v_and_b32_e32 v23, 63, v25
	v_cmp_ne_u32_e32 vcc, 63, v23
	v_addc_co_u32_e32 v35, vcc, 0, v25, vcc
	v_and_b32_e32 v46, 0xffffff, v26
	v_lshlrev_b32_e32 v35, 2, v35
	ds_bpermute_b32 v36, v35, v46
	v_and_b32_e32 v30, s60, v28
	v_ffbl_b32_e32 v30, v30
	v_min_u32_e32 v31, v30, v31
	v_lshrrev_b32_e32 v30, 16, v26
	v_cmp_lt_u32_e32 vcc, v23, v31
	v_bfe_u32 v44, v26, 16, 8
	s_and_saveexec_b64 s[60:61], vcc
	s_cbranch_execz .LBB1538_158
; %bb.157:
	v_and_b32_e32 v30, 0xff0000, v26
	v_cmp_eq_u32_e32 vcc, 0, v30
	v_and_b32_e32 v30, 0x10000, v30
	v_mov_b32_e32 v39, 1
	s_waitcnt lgkmcnt(0)
	v_cndmask_b32_e32 v37, 0, v36, vcc
	v_and_b32_sdwa v36, v36, v39 dst_sel:DWORD dst_unused:UNUSED_PAD src0_sel:WORD_1 src1_sel:DWORD
	v_cmp_ne_u32_e32 vcc, 0, v30
	v_cndmask_b32_e64 v30, v36, 1, vcc
	v_add_u16_e32 v38, v37, v26
	v_lshlrev_b32_e32 v36, 16, v30
	v_add_u16_e32 v26, v37, v26
	v_or_b32_e32 v46, v36, v26
	v_mov_b32_e32 v26, v38
	v_mov_b32_e32 v44, v30
.LBB1538_158:
	s_or_b64 exec, exec, s[60:61]
	v_cmp_gt_u32_e32 vcc, 62, v23
	s_waitcnt lgkmcnt(0)
	v_cndmask_b32_e64 v36, 0, 1, vcc
	v_lshlrev_b32_e32 v36, 1, v36
	v_add_lshl_u32 v36, v36, v25, 2
	ds_bpermute_b32 v38, v36, v46
	v_add_u32_e32 v37, 2, v23
	v_cmp_le_u32_e32 vcc, v37, v31
	s_and_saveexec_b64 s[60:61], vcc
	s_cbranch_execz .LBB1538_160
; %bb.159:
	v_cmp_eq_u16_e32 vcc, 0, v44
	v_and_b32_e32 v30, 1, v44
	v_mov_b32_e32 v41, 1
	s_waitcnt lgkmcnt(0)
	v_cndmask_b32_e32 v39, 0, v38, vcc
	v_and_b32_sdwa v38, v38, v41 dst_sel:DWORD dst_unused:UNUSED_PAD src0_sel:WORD_1 src1_sel:DWORD
	v_cmp_eq_u32_e32 vcc, 1, v30
	v_cndmask_b32_e64 v30, v38, 1, vcc
	v_add_u16_e32 v40, v39, v26
	v_lshlrev_b32_e32 v38, 16, v30
	v_add_u16_e32 v26, v39, v26
	v_or_b32_e32 v46, v38, v26
	v_mov_b32_e32 v26, v40
	v_mov_b32_e32 v44, v30
.LBB1538_160:
	s_or_b64 exec, exec, s[60:61]
	v_cmp_gt_u32_e32 vcc, 60, v23
	s_waitcnt lgkmcnt(0)
	v_cndmask_b32_e64 v38, 0, 1, vcc
	v_lshlrev_b32_e32 v38, 2, v38
	v_add_lshl_u32 v38, v38, v25, 2
	ds_bpermute_b32 v40, v38, v46
	v_add_u32_e32 v39, 4, v23
	v_cmp_le_u32_e32 vcc, v39, v31
	s_and_saveexec_b64 s[60:61], vcc
	s_cbranch_execz .LBB1538_162
; %bb.161:
	v_cmp_eq_u16_e32 vcc, 0, v44
	v_and_b32_e32 v30, 1, v44
	v_mov_b32_e32 v43, 1
	s_waitcnt lgkmcnt(0)
	v_cndmask_b32_e32 v41, 0, v40, vcc
	v_and_b32_sdwa v40, v40, v43 dst_sel:DWORD dst_unused:UNUSED_PAD src0_sel:WORD_1 src1_sel:DWORD
	v_cmp_eq_u32_e32 vcc, 1, v30
	v_cndmask_b32_e64 v30, v40, 1, vcc
	v_add_u16_e32 v42, v41, v26
	v_lshlrev_b32_e32 v40, 16, v30
	v_add_u16_e32 v26, v41, v26
	v_or_b32_e32 v46, v40, v26
	v_mov_b32_e32 v26, v42
	v_mov_b32_e32 v44, v30
.LBB1538_162:
	;; [unrolled: 27-line block ×4, first 2 shown]
	s_or_b64 exec, exec, s[60:61]
	v_cmp_gt_u32_e32 vcc, 32, v23
	s_waitcnt lgkmcnt(0)
	v_cndmask_b32_e64 v45, 0, 1, vcc
	v_lshlrev_b32_e32 v45, 5, v45
	v_add_lshl_u32 v45, v45, v25, 2
	ds_bpermute_b32 v25, v45, v46
	v_add_u32_e32 v47, 32, v23
	v_cmp_le_u32_e32 vcc, v47, v31
	s_and_saveexec_b64 s[60:61], vcc
	s_cbranch_execz .LBB1538_168
; %bb.167:
	v_cmp_eq_u16_e32 vcc, 0, v44
	s_waitcnt lgkmcnt(0)
	v_cndmask_b32_e32 v30, 0, v25, vcc
	v_add_u16_e32 v26, v30, v26
	v_and_b32_e32 v30, 1, v44
	v_mov_b32_e32 v31, 1
	v_and_b32_sdwa v25, v25, v31 dst_sel:DWORD dst_unused:UNUSED_PAD src0_sel:WORD_1 src1_sel:DWORD
	v_cmp_eq_u32_e32 vcc, 1, v30
	v_cndmask_b32_e64 v30, v25, 1, vcc
.LBB1538_168:
	s_or_b64 exec, exec, s[60:61]
	s_waitcnt lgkmcnt(0)
	v_mov_b32_e32 v25, 0
	v_mov_b32_e32 v48, 2
	v_mov_b32_e32 v49, 1
	s_branch .LBB1538_170
.LBB1538_169:                           ;   in Loop: Header=BB1538_170 Depth=1
	s_or_b64 exec, exec, s[60:61]
	v_cmp_eq_u16_sdwa vcc, v44, v25 src0_sel:BYTE_0 src1_sel:DWORD
	v_and_b32_e32 v30, 1, v44
	v_cndmask_b32_e32 v26, 0, v26, vcc
	v_and_b32_e32 v31, 1, v31
	v_cmp_eq_u32_e32 vcc, 1, v30
	v_subrev_u32_e32 v24, 64, v24
	v_add_u16_e32 v26, v26, v46
	v_cndmask_b32_e64 v30, v31, 1, vcc
.LBB1538_170:                           ; =>This Loop Header: Depth=1
                                        ;     Child Loop BB1538_173 Depth 2
	v_cmp_ne_u16_sdwa s[60:61], v27, v48 src0_sel:BYTE_0 src1_sel:DWORD
	v_cndmask_b32_e64 v27, 0, 1, s[60:61]
	;;#ASMSTART
	;;#ASMEND
	v_cmp_ne_u32_e32 vcc, 0, v27
	v_mov_b32_e32 v44, v30
	s_cmp_lg_u64 vcc, exec
	v_mov_b32_e32 v46, v26
	s_cbranch_scc1 .LBB1538_187
; %bb.171:                              ;   in Loop: Header=BB1538_170 Depth=1
	v_lshlrev_b64 v[26:27], 3, v[24:25]
	v_mov_b32_e32 v31, s57
	v_add_co_u32_e32 v30, vcc, s56, v26
	v_addc_co_u32_e32 v31, vcc, v31, v27, vcc
	global_load_dwordx2 v[26:27], v[30:31], off glc
	s_waitcnt vmcnt(0)
	v_cmp_eq_u16_sdwa s[70:71], v27, v25 src0_sel:BYTE_0 src1_sel:DWORD
	s_and_saveexec_b64 s[60:61], s[70:71]
	s_cbranch_execz .LBB1538_175
; %bb.172:                              ;   in Loop: Header=BB1538_170 Depth=1
	s_mov_b64 s[70:71], 0
.LBB1538_173:                           ;   Parent Loop BB1538_170 Depth=1
                                        ; =>  This Inner Loop Header: Depth=2
	global_load_dwordx2 v[26:27], v[30:31], off glc
	s_waitcnt vmcnt(0)
	v_cmp_ne_u16_sdwa s[72:73], v27, v25 src0_sel:BYTE_0 src1_sel:DWORD
	s_or_b64 s[70:71], s[72:73], s[70:71]
	s_andn2_b64 exec, exec, s[70:71]
	s_cbranch_execnz .LBB1538_173
; %bb.174:                              ;   in Loop: Header=BB1538_170 Depth=1
	s_or_b64 exec, exec, s[70:71]
.LBB1538_175:                           ;   in Loop: Header=BB1538_170 Depth=1
	s_or_b64 exec, exec, s[60:61]
	v_cmp_eq_u16_sdwa s[60:61], v27, v48 src0_sel:BYTE_0 src1_sel:DWORD
	v_and_b32_e32 v30, s61, v29
	s_waitcnt lgkmcnt(0)
	v_and_b32_e32 v53, 0xffffff, v26
	v_or_b32_e32 v30, 0x80000000, v30
	ds_bpermute_b32 v54, v35, v53
	v_and_b32_e32 v31, s60, v28
	v_ffbl_b32_e32 v30, v30
	v_add_u32_e32 v30, 32, v30
	v_ffbl_b32_e32 v31, v31
	v_min_u32_e32 v30, v31, v30
	v_lshrrev_b32_e32 v31, 16, v26
	v_cmp_lt_u32_e32 vcc, v23, v30
	v_bfe_u32 v52, v26, 16, 8
	s_and_saveexec_b64 s[60:61], vcc
	s_cbranch_execz .LBB1538_177
; %bb.176:                              ;   in Loop: Header=BB1538_170 Depth=1
	v_and_b32_e32 v31, 0xff0000, v26
	v_cmp_eq_u32_e32 vcc, 0, v31
	v_and_b32_e32 v31, 0x10000, v31
	s_waitcnt lgkmcnt(0)
	v_cndmask_b32_e32 v52, 0, v54, vcc
	v_and_b32_sdwa v53, v54, v49 dst_sel:DWORD dst_unused:UNUSED_PAD src0_sel:WORD_1 src1_sel:DWORD
	v_cmp_ne_u32_e32 vcc, 0, v31
	v_cndmask_b32_e64 v31, v53, 1, vcc
	v_add_u16_e32 v55, v52, v26
	v_lshlrev_b32_e32 v53, 16, v31
	v_add_u16_e32 v26, v52, v26
	v_or_b32_e32 v53, v53, v26
	v_mov_b32_e32 v26, v55
	v_mov_b32_e32 v52, v31
.LBB1538_177:                           ;   in Loop: Header=BB1538_170 Depth=1
	s_or_b64 exec, exec, s[60:61]
	s_waitcnt lgkmcnt(0)
	ds_bpermute_b32 v54, v36, v53
	v_cmp_le_u32_e32 vcc, v37, v30
	s_and_saveexec_b64 s[60:61], vcc
	s_cbranch_execz .LBB1538_179
; %bb.178:                              ;   in Loop: Header=BB1538_170 Depth=1
	v_cmp_eq_u16_e32 vcc, 0, v52
	v_and_b32_e32 v31, 1, v52
	s_waitcnt lgkmcnt(0)
	v_cndmask_b32_e32 v53, 0, v54, vcc
	v_and_b32_sdwa v52, v54, v49 dst_sel:DWORD dst_unused:UNUSED_PAD src0_sel:WORD_1 src1_sel:DWORD
	v_cmp_eq_u32_e32 vcc, 1, v31
	v_cndmask_b32_e64 v31, v52, 1, vcc
	v_add_u16_e32 v55, v53, v26
	v_lshlrev_b32_e32 v52, 16, v31
	v_add_u16_e32 v26, v53, v26
	v_or_b32_e32 v53, v52, v26
	v_mov_b32_e32 v26, v55
	v_mov_b32_e32 v52, v31
.LBB1538_179:                           ;   in Loop: Header=BB1538_170 Depth=1
	s_or_b64 exec, exec, s[60:61]
	s_waitcnt lgkmcnt(0)
	ds_bpermute_b32 v54, v38, v53
	v_cmp_le_u32_e32 vcc, v39, v30
	s_and_saveexec_b64 s[60:61], vcc
	s_cbranch_execz .LBB1538_181
; %bb.180:                              ;   in Loop: Header=BB1538_170 Depth=1
	v_cmp_eq_u16_e32 vcc, 0, v52
	v_and_b32_e32 v31, 1, v52
	s_waitcnt lgkmcnt(0)
	v_cndmask_b32_e32 v53, 0, v54, vcc
	v_and_b32_sdwa v52, v54, v49 dst_sel:DWORD dst_unused:UNUSED_PAD src0_sel:WORD_1 src1_sel:DWORD
	v_cmp_eq_u32_e32 vcc, 1, v31
	v_cndmask_b32_e64 v31, v52, 1, vcc
	v_add_u16_e32 v55, v53, v26
	v_lshlrev_b32_e32 v52, 16, v31
	v_add_u16_e32 v26, v53, v26
	v_or_b32_e32 v53, v52, v26
	v_mov_b32_e32 v26, v55
	v_mov_b32_e32 v52, v31
.LBB1538_181:                           ;   in Loop: Header=BB1538_170 Depth=1
	;; [unrolled: 21-line block ×4, first 2 shown]
	s_or_b64 exec, exec, s[60:61]
	ds_bpermute_b32 v53, v45, v53
	v_cmp_le_u32_e32 vcc, v47, v30
	s_and_saveexec_b64 s[60:61], vcc
	s_cbranch_execz .LBB1538_169
; %bb.186:                              ;   in Loop: Header=BB1538_170 Depth=1
	v_cmp_eq_u16_e32 vcc, 0, v52
	s_waitcnt lgkmcnt(0)
	v_cndmask_b32_e32 v30, 0, v53, vcc
	v_add_u16_e32 v26, v30, v26
	v_and_b32_e32 v30, 1, v52
	v_lshrrev_b32_e32 v31, 16, v53
	v_cmp_eq_u32_e32 vcc, 1, v30
	v_cndmask_b32_e64 v31, v31, 1, vcc
	s_branch .LBB1538_169
.LBB1538_187:                           ;   in Loop: Header=BB1538_170 Depth=1
                                        ; implicit-def: $vgpr30
                                        ; implicit-def: $vgpr26
	s_cbranch_execz .LBB1538_170
; %bb.188:
	s_and_saveexec_b64 s[60:61], s[48:49]
	s_cbranch_execz .LBB1538_190
; %bb.189:
	v_and_b32_e32 v23, 0xff0000, v22
	s_mov_b32 s49, 0
	v_cmp_eq_u32_e32 vcc, 0, v23
	v_and_b32_e32 v24, 0x10000, v22
	v_mov_b32_e32 v25, 1
	s_add_i32 s48, s6, 64
	v_cndmask_b32_e32 v23, 0, v46, vcc
	v_and_b32_sdwa v25, v44, v25 dst_sel:WORD_1 dst_unused:UNUSED_PAD src0_sel:DWORD src1_sel:DWORD
	v_mov_b32_e32 v26, 0x10000
	v_cmp_eq_u32_e32 vcc, 0, v24
	s_lshl_b64 s[48:49], s[48:49], 3
	v_cndmask_b32_e32 v24, v26, v25, vcc
	s_add_u32 s48, s56, s48
	v_add_u16_e32 v22, v23, v22
	s_addc_u32 s49, s57, s49
	v_mov_b32_e32 v25, 0
	v_or_b32_e32 v22, v24, v22
	v_mov_b32_e32 v23, 2
	global_store_dwordx2 v25, v[22:23], s[48:49]
.LBB1538_190:
	s_or_b64 exec, exec, s[60:61]
	v_cmp_eq_u32_e32 vcc, 0, v0
	s_and_b64 exec, exec, vcc
	s_cbranch_execz .LBB1538_192
; %bb.191:
	v_mov_b32_e32 v22, 0
	ds_write_b16 v22, v46
	ds_write_b8 v22, v44 offset:2
.LBB1538_192:
	s_or_b64 exec, exec, s[52:53]
	v_mov_b32_e32 v22, 0
	s_waitcnt lgkmcnt(0)
	; wave barrier
	s_waitcnt lgkmcnt(0)
	ds_read_b32 v22, v22
	v_and_b32_e32 v23, 0xff0000, v34
	v_cmp_eq_u32_e32 vcc, 0, v23
	s_waitcnt lgkmcnt(0)
	v_cndmask_b32_e32 v23, 0, v22, vcc
	v_add_u32_e32 v23, v23, v34
	v_cmp_eq_u32_e32 vcc, 0, v0
	v_cndmask_b32_e32 v39, v23, v22, vcc
	v_and_b32_e32 v22, 0xff0000, v1
	v_cmp_eq_u32_e32 vcc, 0, v22
	v_cndmask_b32_e32 v22, 0, v39, vcc
	v_add_u16_e32 v22, v22, v1
	v_cndmask_b32_e64 v23, 0, v22, s[2:3]
	v_add_u16_e32 v23, v23, v50
	v_cndmask_b32_e64 v24, 0, v23, s[4:5]
	;; [unrolled: 2-line block ×22, first 2 shown]
	v_add_u16_e32 v47, v47, v17
	s_branch .LBB1538_235
.LBB1538_193:
	s_or_b64 exec, exec, s[52:53]
                                        ; implicit-def: $vgpr3
	s_and_saveexec_b64 s[52:53], s[2:3]
	s_cbranch_execz .LBB1538_53
.LBB1538_194:
	v_lshlrev_b32_e32 v3, 1, v0
	v_mov_b32_e32 v5, s78
	v_add_co_u32_e32 v4, vcc, s59, v3
	v_addc_co_u32_e32 v5, vcc, 0, v5, vcc
	flat_load_ushort v3, v[4:5] offset:128
	s_or_b64 exec, exec, s[52:53]
                                        ; implicit-def: $vgpr4
	s_and_saveexec_b64 s[2:3], s[4:5]
	s_cbranch_execnz .LBB1538_54
.LBB1538_195:
	s_or_b64 exec, exec, s[2:3]
                                        ; implicit-def: $vgpr5
	s_and_saveexec_b64 s[2:3], s[50:51]
	s_cbranch_execz .LBB1538_55
.LBB1538_196:
	v_lshlrev_b32_e32 v5, 1, v0
	v_mov_b32_e32 v7, s78
	v_add_co_u32_e32 v6, vcc, s59, v5
	v_addc_co_u32_e32 v7, vcc, 0, v7, vcc
	flat_load_ushort v5, v[6:7] offset:384
	s_or_b64 exec, exec, s[2:3]
                                        ; implicit-def: $vgpr6
	s_and_saveexec_b64 s[2:3], s[8:9]
	s_cbranch_execnz .LBB1538_56
.LBB1538_197:
	s_or_b64 exec, exec, s[2:3]
                                        ; implicit-def: $vgpr7
	s_and_saveexec_b64 s[2:3], s[10:11]
	s_cbranch_execz .LBB1538_57
.LBB1538_198:
	v_lshlrev_b32_e32 v7, 1, v0
	v_mov_b32_e32 v9, s78
	v_add_co_u32_e32 v8, vcc, s59, v7
	v_addc_co_u32_e32 v9, vcc, 0, v9, vcc
	flat_load_ushort v7, v[8:9] offset:640
	s_or_b64 exec, exec, s[2:3]
                                        ; implicit-def: $vgpr8
	s_and_saveexec_b64 s[2:3], s[12:13]
	s_cbranch_execnz .LBB1538_58
.LBB1538_199:
	s_or_b64 exec, exec, s[2:3]
                                        ; implicit-def: $vgpr9
	s_and_saveexec_b64 s[2:3], s[14:15]
	s_cbranch_execz .LBB1538_59
.LBB1538_200:
	v_lshlrev_b32_e32 v9, 1, v0
	v_mov_b32_e32 v11, s78
	v_add_co_u32_e32 v10, vcc, s59, v9
	v_addc_co_u32_e32 v11, vcc, 0, v11, vcc
	flat_load_ushort v9, v[10:11] offset:896
	s_or_b64 exec, exec, s[2:3]
                                        ; implicit-def: $vgpr10
	s_and_saveexec_b64 s[2:3], s[16:17]
	s_cbranch_execnz .LBB1538_60
.LBB1538_201:
	s_or_b64 exec, exec, s[2:3]
                                        ; implicit-def: $vgpr11
	s_and_saveexec_b64 s[2:3], s[18:19]
	s_cbranch_execz .LBB1538_61
.LBB1538_202:
	v_lshlrev_b32_e32 v11, 1, v0
	v_mov_b32_e32 v13, s78
	v_add_co_u32_e32 v12, vcc, s59, v11
	v_addc_co_u32_e32 v13, vcc, 0, v13, vcc
	flat_load_ushort v11, v[12:13] offset:1152
	s_or_b64 exec, exec, s[2:3]
                                        ; implicit-def: $vgpr12
	s_and_saveexec_b64 s[2:3], s[20:21]
	s_cbranch_execnz .LBB1538_62
.LBB1538_203:
	s_or_b64 exec, exec, s[2:3]
                                        ; implicit-def: $vgpr13
	s_and_saveexec_b64 s[2:3], s[22:23]
	s_cbranch_execz .LBB1538_63
.LBB1538_204:
	v_lshlrev_b32_e32 v13, 1, v0
	v_mov_b32_e32 v15, s78
	v_add_co_u32_e32 v14, vcc, s59, v13
	v_addc_co_u32_e32 v15, vcc, 0, v15, vcc
	flat_load_ushort v13, v[14:15] offset:1408
	s_or_b64 exec, exec, s[2:3]
                                        ; implicit-def: $vgpr14
	s_and_saveexec_b64 s[2:3], s[24:25]
	s_cbranch_execnz .LBB1538_64
.LBB1538_205:
	s_or_b64 exec, exec, s[2:3]
                                        ; implicit-def: $vgpr15
	s_and_saveexec_b64 s[2:3], s[26:27]
	s_cbranch_execz .LBB1538_65
.LBB1538_206:
	v_lshlrev_b32_e32 v15, 1, v0
	v_mov_b32_e32 v17, s78
	v_add_co_u32_e32 v16, vcc, s59, v15
	v_addc_co_u32_e32 v17, vcc, 0, v17, vcc
	flat_load_ushort v15, v[16:17] offset:1664
	s_or_b64 exec, exec, s[2:3]
                                        ; implicit-def: $vgpr16
	s_and_saveexec_b64 s[2:3], s[28:29]
	s_cbranch_execnz .LBB1538_66
.LBB1538_207:
	s_or_b64 exec, exec, s[2:3]
                                        ; implicit-def: $vgpr17
	s_and_saveexec_b64 s[2:3], s[30:31]
	s_cbranch_execz .LBB1538_67
.LBB1538_208:
	v_lshlrev_b32_e32 v17, 1, v0
	v_mov_b32_e32 v19, s78
	v_add_co_u32_e32 v18, vcc, s59, v17
	v_addc_co_u32_e32 v19, vcc, 0, v19, vcc
	flat_load_ushort v17, v[18:19] offset:1920
	s_or_b64 exec, exec, s[2:3]
                                        ; implicit-def: $vgpr18
	s_and_saveexec_b64 s[2:3], s[34:35]
	s_cbranch_execnz .LBB1538_68
.LBB1538_209:
	s_or_b64 exec, exec, s[2:3]
                                        ; implicit-def: $vgpr19
	s_and_saveexec_b64 s[2:3], s[36:37]
	s_cbranch_execz .LBB1538_69
.LBB1538_210:
	v_lshlrev_b32_e32 v19, 1, v0
	v_mov_b32_e32 v21, s78
	v_add_co_u32_e32 v20, vcc, s59, v19
	v_addc_co_u32_e32 v21, vcc, 0, v21, vcc
	flat_load_ushort v19, v[20:21] offset:2176
	s_or_b64 exec, exec, s[2:3]
                                        ; implicit-def: $vgpr20
	s_and_saveexec_b64 s[2:3], s[38:39]
	s_cbranch_execnz .LBB1538_70
.LBB1538_211:
	s_or_b64 exec, exec, s[2:3]
                                        ; implicit-def: $vgpr21
	s_and_saveexec_b64 s[2:3], s[40:41]
	s_cbranch_execz .LBB1538_71
.LBB1538_212:
	v_lshlrev_b32_e32 v21, 1, v0
	v_mov_b32_e32 v47, s78
	v_add_co_u32_e32 v46, vcc, s59, v21
	v_addc_co_u32_e32 v47, vcc, 0, v47, vcc
	flat_load_ushort v21, v[46:47] offset:2432
	s_or_b64 exec, exec, s[2:3]
                                        ; implicit-def: $vgpr47
	s_and_saveexec_b64 s[2:3], s[42:43]
	s_cbranch_execnz .LBB1538_72
.LBB1538_213:
	s_or_b64 exec, exec, s[2:3]
                                        ; implicit-def: $vgpr48
	s_and_saveexec_b64 s[2:3], s[44:45]
	s_cbranch_execz .LBB1538_73
.LBB1538_214:
	v_lshlrev_b32_e32 v46, 1, v0
	v_mov_b32_e32 v49, s78
	v_add_co_u32_e32 v48, vcc, s59, v46
	v_addc_co_u32_e32 v49, vcc, 0, v49, vcc
	flat_load_ushort v48, v[48:49] offset:2688
	s_or_b64 exec, exec, s[2:3]
                                        ; implicit-def: $vgpr49
	s_and_saveexec_b64 s[2:3], s[46:47]
	s_cbranch_execz .LBB1538_75
	s_branch .LBB1538_74
.LBB1538_215:
                                        ; implicit-def: $vgpr39
                                        ; implicit-def: $vgpr22
                                        ; implicit-def: $vgpr23
                                        ; implicit-def: $vgpr24
                                        ; implicit-def: $vgpr25
                                        ; implicit-def: $vgpr26
                                        ; implicit-def: $vgpr28
                                        ; implicit-def: $vgpr30
                                        ; implicit-def: $vgpr27
                                        ; implicit-def: $vgpr29
                                        ; implicit-def: $vgpr31
                                        ; implicit-def: $vgpr34
                                        ; implicit-def: $vgpr35
                                        ; implicit-def: $vgpr36
                                        ; implicit-def: $vgpr38
                                        ; implicit-def: $vgpr41
                                        ; implicit-def: $vgpr37
                                        ; implicit-def: $vgpr40
                                        ; implicit-def: $vgpr42
                                        ; implicit-def: $vgpr43
                                        ; implicit-def: $vgpr44
                                        ; implicit-def: $vgpr45
                                        ; implicit-def: $vgpr46
                                        ; implicit-def: $vgpr47
	s_cbranch_execz .LBB1538_235
; %bb.216:
	s_cmp_lg_u64 s[68:69], 0
	s_cselect_b32 s3, s63, 0
	s_cselect_b32 s2, s62, 0
	s_cmp_eq_u64 s[2:3], 0
	v_mov_b32_e32 v39, s7
	s_cbranch_scc1 .LBB1538_218
; %bb.217:
	v_mov_b32_e32 v22, 0
	global_load_ushort v39, v22, s[2:3]
.LBB1538_218:
	s_mov_b32 s50, 0x10000
	v_cmp_gt_u32_e32 vcc, s50, v50
	v_cndmask_b32_e32 v22, 0, v1, vcc
	v_add_u16_e32 v22, v22, v50
	v_cmp_gt_u32_e64 s[2:3], s50, v21
	v_cndmask_b32_e64 v22, 0, v22, s[2:3]
	v_add_u16_e32 v22, v22, v21
	v_cmp_gt_u32_e64 s[4:5], s50, v20
	v_cndmask_b32_e64 v22, 0, v22, s[4:5]
	;; [unrolled: 3-line block ×18, first 2 shown]
	v_bfe_u32 v25, v19, 16, 1
	v_add_u16_e32 v22, v22, v14
	v_cmp_gt_u32_e64 s[40:41], s50, v15
	v_lshlrev_b16_e32 v26, 1, v25
	v_mov_b32_e32 v25, 1
	v_cndmask_b32_e64 v22, 0, v22, s[40:41]
	v_and_b32_sdwa v27, v18, v25 dst_sel:DWORD dst_unused:UNUSED_PAD src0_sel:WORD_1 src1_sel:DWORD
	v_add_u16_e32 v22, v22, v15
	v_cmp_gt_u32_e64 s[42:43], s50, v16
	v_or_b32_e32 v26, v27, v26
	v_bfe_u32 v27, v21, 16, 1
	v_and_b32_sdwa v28, v20, v25 dst_sel:DWORD dst_unused:UNUSED_PAD src0_sel:WORD_1 src1_sel:DWORD
	v_cndmask_b32_e64 v22, 0, v22, s[42:43]
	v_lshlrev_b16_e32 v27, 3, v27
	v_lshlrev_b16_e32 v28, 2, v28
	v_add_u16_e32 v22, v22, v16
	v_cmp_gt_u32_e64 s[44:45], s50, v17
	v_or_b32_e32 v27, v27, v28
	v_cndmask_b32_e64 v22, 0, v22, s[44:45]
	v_or_b32_e32 v26, v26, v27
	v_and_b32_e32 v27, 0x10000, v51
	v_add_u16_e32 v22, v22, v17
	v_cmp_gt_u32_e64 s[50:51], s50, v32
	v_and_b32_e32 v28, 0x10000, v32
	v_cmp_ne_u32_e64 s[48:49], 0, v27
	v_cndmask_b32_e64 v27, 0, v22, s[50:51]
	v_cmp_ne_u32_e64 s[50:51], 0, v28
	v_or_b32_e32 v28, v16, v8
	v_or_b32_e32 v29, v17, v9
	;; [unrolled: 1-line block ×7, first 2 shown]
	v_bfe_u32 v31, v31, 16, 1
	v_bfe_u32 v29, v29, 16, 1
	v_and_b32_sdwa v28, v28, v25 dst_sel:DWORD dst_unused:UNUSED_PAD src0_sel:WORD_1 src1_sel:DWORD
	v_or_b32_e32 v36, v10, v2
	v_bfe_u32 v37, v37, 16, 1
	v_bfe_u32 v35, v35, 16, 1
	v_and_b32_sdwa v34, v34, v25 dst_sel:DWORD dst_unused:UNUSED_PAD src0_sel:WORD_1 src1_sel:DWORD
	v_lshlrev_b16_e32 v31, 1, v31
	v_and_b32_sdwa v30, v30, v25 dst_sel:DWORD dst_unused:UNUSED_PAD src0_sel:WORD_1 src1_sel:DWORD
	v_lshlrev_b16_e32 v29, 3, v29
	v_lshlrev_b16_e32 v28, 2, v28
	;; [unrolled: 1-line block ×3, first 2 shown]
	v_and_b32_sdwa v36, v36, v25 dst_sel:DWORD dst_unused:UNUSED_PAD src0_sel:WORD_1 src1_sel:DWORD
	v_lshlrev_b16_e32 v35, 3, v35
	v_lshlrev_b16_e32 v34, 2, v34
	v_or_b32_e32 v30, v30, v31
	v_or_b32_e32 v28, v29, v28
	;; [unrolled: 1-line block ×6, first 2 shown]
	v_lshlrev_b16_e32 v28, 4, v28
	v_or_b32_e32 v28, v34, v28
	v_or_b32_e32 v26, v28, v26
	v_mov_b32_e32 v28, 0
	v_cmp_ne_u16_sdwa s[52:53], v26, v28 src0_sel:BYTE_0 src1_sel:DWORD
	v_and_b32_e32 v24, 0x10000, v50
	s_or_b64 s[50:51], s[50:51], s[52:53]
	v_cmp_ne_u32_e64 s[46:47], 0, v24
	s_or_b64 s[48:49], s[50:51], s[48:49]
	v_mov_b32_e32 v23, 0x10000
	v_and_b32_e32 v24, 0x10000, v1
	s_or_b64 s[46:47], s[48:49], s[46:47]
	v_cndmask_b32_e64 v28, v24, v23, s[46:47]
	v_add_u16_e32 v26, v27, v32
	v_mbcnt_hi_u32_b32 v23, -1, v33
	v_add_u16_e32 v22, v27, v32
	v_and_b32_e32 v27, 15, v23
	v_or_b32_e32 v26, v28, v26
	v_lshrrev_b32_e32 v24, 16, v28
	v_cmp_ne_u32_e64 s[46:47], 0, v27
	v_mov_b32_dpp v29, v26 row_shr:1 row_mask:0xf bank_mask:0xf
	s_and_saveexec_b64 s[48:49], s[46:47]
; %bb.219:
	v_cmp_eq_u32_e64 s[46:47], 0, v28
	v_and_b32_e32 v24, 0x10000, v28
	v_cndmask_b32_e64 v26, 0, v29, s[46:47]
	v_and_b32_sdwa v25, v29, v25 dst_sel:DWORD dst_unused:UNUSED_PAD src0_sel:WORD_1 src1_sel:DWORD
	v_cmp_ne_u32_e64 s[46:47], 0, v24
	v_cndmask_b32_e64 v24, v25, 1, s[46:47]
	v_add_u16_e32 v30, v26, v22
	v_lshlrev_b32_e32 v25, 16, v24
	v_add_u16_e32 v22, v26, v22
	v_or_b32_e32 v26, v25, v22
	v_mov_b32_e32 v22, v30
; %bb.220:
	s_or_b64 exec, exec, s[48:49]
	v_lshrrev_b32_e32 v25, 16, v26
	v_mov_b32_dpp v28, v26 row_shr:2 row_mask:0xf bank_mask:0xf
	v_cmp_lt_u32_e64 s[46:47], 1, v27
	s_and_saveexec_b64 s[48:49], s[46:47]
	s_cbranch_execz .LBB1538_222
; %bb.221:
	s_mov_b32 s46, 0x10000
	v_cmp_gt_u32_e64 s[46:47], s46, v26
	v_and_b32_e32 v24, 0x10000, v26
	v_mov_b32_e32 v26, 1
	v_cndmask_b32_e64 v25, 0, v28, s[46:47]
	v_and_b32_sdwa v26, v28, v26 dst_sel:DWORD dst_unused:UNUSED_PAD src0_sel:WORD_1 src1_sel:DWORD
	v_cmp_ne_u32_e64 s[46:47], 0, v24
	v_cndmask_b32_e64 v24, v26, 1, s[46:47]
	v_add_u16_e32 v29, v25, v22
	v_lshlrev_b32_e32 v26, 16, v24
	v_add_u16_e32 v22, v25, v22
	v_or_b32_e32 v26, v26, v22
	v_mov_b32_e32 v22, v29
	v_mov_b32_e32 v25, v24
.LBB1538_222:
	s_or_b64 exec, exec, s[48:49]
	v_mov_b32_dpp v28, v26 row_shr:4 row_mask:0xf bank_mask:0xf
	v_cmp_lt_u32_e64 s[46:47], 3, v27
	s_and_saveexec_b64 s[48:49], s[46:47]
	s_cbranch_execz .LBB1538_224
; %bb.223:
	v_cmp_eq_u16_e64 s[46:47], 0, v25
	v_and_b32_e32 v24, 1, v25
	v_mov_b32_e32 v25, 1
	v_cndmask_b32_e64 v26, 0, v28, s[46:47]
	v_and_b32_sdwa v25, v28, v25 dst_sel:DWORD dst_unused:UNUSED_PAD src0_sel:WORD_1 src1_sel:DWORD
	v_cmp_eq_u32_e64 s[46:47], 1, v24
	v_cndmask_b32_e64 v24, v25, 1, s[46:47]
	v_add_u16_e32 v29, v26, v22
	v_lshlrev_b32_e32 v25, 16, v24
	v_add_u16_e32 v22, v26, v22
	v_or_b32_e32 v26, v25, v22
	v_mov_b32_e32 v22, v29
	v_mov_b32_e32 v25, v24
.LBB1538_224:
	s_or_b64 exec, exec, s[48:49]
	v_mov_b32_dpp v28, v26 row_shr:8 row_mask:0xf bank_mask:0xf
	v_cmp_lt_u32_e64 s[46:47], 7, v27
	s_and_saveexec_b64 s[48:49], s[46:47]
	s_cbranch_execz .LBB1538_226
; %bb.225:
	v_cmp_eq_u16_e64 s[46:47], 0, v25
	v_and_b32_e32 v24, 1, v25
	v_mov_b32_e32 v25, 1
	v_cndmask_b32_e64 v26, 0, v28, s[46:47]
	v_and_b32_sdwa v25, v28, v25 dst_sel:DWORD dst_unused:UNUSED_PAD src0_sel:WORD_1 src1_sel:DWORD
	v_cmp_eq_u32_e64 s[46:47], 1, v24
	v_cndmask_b32_e64 v24, v25, 1, s[46:47]
	v_add_u16_e32 v27, v26, v22
	v_lshlrev_b32_e32 v25, 16, v24
	v_add_u16_e32 v22, v26, v22
	v_or_b32_e32 v26, v25, v22
	v_mov_b32_e32 v22, v27
	v_mov_b32_e32 v25, v24
.LBB1538_226:
	s_or_b64 exec, exec, s[48:49]
	v_and_b32_e32 v28, 16, v23
	v_mov_b32_dpp v27, v26 row_bcast:15 row_mask:0xf bank_mask:0xf
	v_cmp_ne_u32_e64 s[46:47], 0, v28
	s_and_saveexec_b64 s[48:49], s[46:47]
	s_cbranch_execz .LBB1538_228
; %bb.227:
	v_cmp_eq_u16_e64 s[46:47], 0, v25
	v_and_b32_e32 v24, 1, v25
	v_mov_b32_e32 v25, 1
	v_cndmask_b32_e64 v26, 0, v27, s[46:47]
	v_and_b32_sdwa v25, v27, v25 dst_sel:DWORD dst_unused:UNUSED_PAD src0_sel:WORD_1 src1_sel:DWORD
	v_cmp_eq_u32_e64 s[46:47], 1, v24
	v_cndmask_b32_e64 v24, v25, 1, s[46:47]
	v_add_u16_e32 v28, v26, v22
	v_lshlrev_b32_e32 v25, 16, v24
	v_add_u16_e32 v22, v26, v22
	v_or_b32_e32 v26, v25, v22
	v_mov_b32_e32 v22, v28
	v_mov_b32_e32 v25, v24
.LBB1538_228:
	s_or_b64 exec, exec, s[48:49]
	v_mov_b32_dpp v26, v26 row_bcast:31 row_mask:0xf bank_mask:0xf
	v_cmp_lt_u32_e64 s[46:47], 31, v23
	s_and_saveexec_b64 s[48:49], s[46:47]
; %bb.229:
	v_cmp_eq_u16_e64 s[46:47], 0, v25
	v_cndmask_b32_e64 v24, 0, v26, s[46:47]
	v_add_u16_e32 v22, v24, v22
	v_and_b32_e32 v24, 1, v25
	v_mov_b32_e32 v25, 1
	v_and_b32_sdwa v25, v26, v25 dst_sel:DWORD dst_unused:UNUSED_PAD src0_sel:WORD_1 src1_sel:DWORD
	v_cmp_eq_u32_e64 s[46:47], 1, v24
	v_cndmask_b32_e64 v24, v25, 1, s[46:47]
	v_mov_b32_e32 v25, v24
; %bb.230:
	s_or_b64 exec, exec, s[48:49]
	v_cmp_eq_u32_e64 s[46:47], 63, v0
	s_and_saveexec_b64 s[48:49], s[46:47]
	s_cbranch_execz .LBB1538_232
; %bb.231:
	v_mov_b32_e32 v26, 0
	ds_write_b16 v26, v22
	ds_write_b8 v26, v25 offset:2
.LBB1538_232:
	s_or_b64 exec, exec, s[48:49]
	v_cmp_eq_u16_e64 s[46:47], 0, v24
	v_and_b32_e32 v24, 1, v24
	s_waitcnt vmcnt(0)
	v_cndmask_b32_e64 v25, 0, v39, s[46:47]
	v_mov_b32_e32 v26, 0x10000
	v_cmp_eq_u32_e64 s[46:47], 1, v24
	v_cndmask_b32_e64 v24, 0, v26, s[46:47]
	v_add_u16_e32 v22, v25, v22
	v_or_b32_e32 v22, v24, v22
	v_add_u32_e32 v24, -1, v23
	v_and_b32_e32 v25, 64, v23
	v_cmp_lt_i32_e64 s[46:47], v24, v25
	v_cndmask_b32_e64 v24, v24, v23, s[46:47]
	v_lshlrev_b32_e32 v24, 2, v24
	ds_bpermute_b32 v22, v24, v22
	v_cmp_eq_u32_e64 s[46:47], 0, v23
	v_cmp_eq_u32_e64 s[48:49], 0, v0
	s_or_b64 s[46:47], s[48:49], s[46:47]
	s_waitcnt lgkmcnt(0)
	v_cndmask_b32_e64 v32, v22, v39, s[46:47]
	v_and_b32_e32 v22, 0xff0000, v1
	v_cmp_eq_u32_e64 s[46:47], 0, v22
	v_cndmask_b32_e64 v22, 0, v32, s[46:47]
	v_add_u16_e32 v22, v22, v1
	v_cndmask_b32_e32 v1, 0, v22, vcc
	v_add_u16_e32 v23, v1, v50
	v_cndmask_b32_e64 v1, 0, v23, s[2:3]
	v_add_u16_e32 v24, v1, v21
	v_cndmask_b32_e64 v1, 0, v24, s[4:5]
	;; [unrolled: 2-line block ×21, first 2 shown]
	; wave barrier
	s_and_saveexec_b64 s[2:3], s[48:49]
	s_cbranch_execz .LBB1538_234
; %bb.233:
	v_mov_b32_e32 v4, 0
	ds_read_u8 v2, v4 offset:2
	ds_read_u16 v3, v4
	s_waitcnt lgkmcnt(1)
	v_cmp_eq_u32_e32 vcc, 0, v2
	v_lshlrev_b32_e32 v5, 16, v2
	v_cndmask_b32_e32 v2, 0, v39, vcc
	s_waitcnt lgkmcnt(0)
	v_add_u32_e32 v2, v2, v3
	v_or_b32_sdwa v2, v5, v2 dst_sel:DWORD dst_unused:UNUSED_PAD src0_sel:DWORD src1_sel:WORD_0
	v_mov_b32_e32 v3, 2
	global_store_dwordx2 v4, v[2:3], s[56:57] offset:512
.LBB1538_234:
	s_or_b64 exec, exec, s[2:3]
	v_and_b32_e32 v39, 0xffff, v32
	v_add_u16_e32 v47, v1, v17
.LBB1538_235:
	s_add_u32 s2, s54, s64
	s_addc_u32 s3, s55, s65
	s_add_u32 s4, s2, s66
	s_addc_u32 s5, s3, s67
	s_and_b64 vcc, exec, s[0:1]
	v_mul_u32_u24_e32 v5, 24, v0
	v_lshlrev_b32_e32 v4, 1, v0
	s_cbranch_vccz .LBB1538_283
; %bb.236:
	s_mov_b32 s0, 0x5040100
	v_lshlrev_b32_e32 v50, 1, v5
	v_perm_b32 v9, v30, v28, s0
	v_perm_b32 v8, v26, v25, s0
	;; [unrolled: 1-line block ×4, first 2 shown]
	s_waitcnt lgkmcnt(0)
	; wave barrier
	ds_write_b128 v50, v[6:9]
	v_perm_b32 v9, v41, v38, s0
	v_perm_b32 v8, v36, v35, s0
	;; [unrolled: 1-line block ×4, first 2 shown]
	ds_write_b128 v50, v[6:9] offset:16
	v_perm_b32 v9, v47, v46, s0
	v_perm_b32 v8, v45, v44, s0
	;; [unrolled: 1-line block ×4, first 2 shown]
	s_movk_i32 s0, 0xffd2
	v_mad_i32_i24 v2, v0, s0, v50
	ds_write_b128 v50, v[6:9] offset:32
	s_waitcnt lgkmcnt(0)
	; wave barrier
	s_waitcnt lgkmcnt(0)
	ds_read_u16 v53, v2 offset:128
	ds_read_u16 v52, v2 offset:256
	ds_read_u16 v51, v2 offset:384
	ds_read_u16 v49, v2 offset:512
	ds_read_u16 v48, v2 offset:640
	ds_read_u16 v33, v2 offset:768
	ds_read_u16 v32, v2 offset:896
	ds_read_u16 v21, v2 offset:1024
	ds_read_u16 v20, v2 offset:1152
	ds_read_u16 v19, v2 offset:1280
	ds_read_u16 v18, v2 offset:1408
	ds_read_u16 v17, v2 offset:1536
	ds_read_u16 v16, v2 offset:1664
	ds_read_u16 v15, v2 offset:1792
	ds_read_u16 v14, v2 offset:1920
	ds_read_u16 v13, v2 offset:2048
	ds_read_u16 v12, v2 offset:2176
	ds_read_u16 v11, v2 offset:2304
	ds_read_u16 v10, v2 offset:2432
	ds_read_u16 v9, v2 offset:2560
	ds_read_u16 v8, v2 offset:2688
	ds_read_u16 v7, v2 offset:2816
	ds_read_u16 v6, v2 offset:2944
	v_mov_b32_e32 v3, s5
	v_add_co_u32_e32 v2, vcc, s4, v4
	s_add_i32 s33, s33, s58
	v_addc_co_u32_e32 v3, vcc, 0, v3, vcc
	v_mov_b32_e32 v1, 0
	v_cmp_gt_u32_e32 vcc, s33, v0
	s_and_saveexec_b64 s[0:1], vcc
	s_cbranch_execz .LBB1538_238
; %bb.237:
	v_mul_i32_i24_e32 v54, 0xffffffd2, v0
	v_add_u32_e32 v50, v50, v54
	ds_read_u16 v50, v50
	s_waitcnt lgkmcnt(0)
	flat_store_short v[2:3], v50
.LBB1538_238:
	s_or_b64 exec, exec, s[0:1]
	v_or_b32_e32 v50, 64, v0
	v_cmp_gt_u32_e32 vcc, s33, v50
	s_and_saveexec_b64 s[0:1], vcc
	s_cbranch_execz .LBB1538_240
; %bb.239:
	s_waitcnt lgkmcnt(0)
	flat_store_short v[2:3], v53 offset:128
.LBB1538_240:
	s_or_b64 exec, exec, s[0:1]
	v_or_b32_e32 v50, 0x80, v0
	v_cmp_gt_u32_e32 vcc, s33, v50
	s_and_saveexec_b64 s[0:1], vcc
	s_cbranch_execz .LBB1538_242
; %bb.241:
	s_waitcnt lgkmcnt(0)
	flat_store_short v[2:3], v52 offset:256
.LBB1538_242:
	;; [unrolled: 9-line block ×4, first 2 shown]
	s_or_b64 exec, exec, s[0:1]
	s_waitcnt lgkmcnt(0)
	v_or_b32_e32 v49, 0x140, v0
	v_cmp_gt_u32_e32 vcc, s33, v49
	s_and_saveexec_b64 s[0:1], vcc
	s_cbranch_execz .LBB1538_248
; %bb.247:
	flat_store_short v[2:3], v48 offset:640
.LBB1538_248:
	s_or_b64 exec, exec, s[0:1]
	v_or_b32_e32 v48, 0x180, v0
	v_cmp_gt_u32_e32 vcc, s33, v48
	s_and_saveexec_b64 s[0:1], vcc
	s_cbranch_execz .LBB1538_250
; %bb.249:
	flat_store_short v[2:3], v33 offset:768
.LBB1538_250:
	s_or_b64 exec, exec, s[0:1]
	;; [unrolled: 8-line block ×18, first 2 shown]
	v_or_b32_e32 v2, 0x5c0, v0
	v_cmp_gt_u32_e64 s[0:1], s33, v2
	s_branch .LBB1538_285
.LBB1538_283:
	s_mov_b64 s[0:1], 0
                                        ; implicit-def: $vgpr6
	s_cbranch_execz .LBB1538_285
; %bb.284:
	s_mov_b32 s2, 0x5040100
	v_lshlrev_b32_e32 v2, 1, v5
	v_perm_b32 v9, v30, v28, s2
	v_perm_b32 v8, v26, v25, s2
	;; [unrolled: 1-line block ×4, first 2 shown]
	s_waitcnt lgkmcnt(0)
	; wave barrier
	s_waitcnt lgkmcnt(0)
	ds_write_b128 v2, v[6:9]
	v_perm_b32 v9, v41, v38, s2
	v_perm_b32 v8, v36, v35, s2
	v_perm_b32 v7, v34, v31, s2
	v_perm_b32 v6, v29, v27, s2
	ds_write_b128 v2, v[6:9] offset:16
	v_perm_b32 v9, v47, v46, s2
	v_perm_b32 v8, v45, v44, s2
	;; [unrolled: 1-line block ×4, first 2 shown]
	s_movk_i32 s2, 0xffd2
	ds_write_b128 v2, v[6:9] offset:32
	v_mad_i32_i24 v2, v0, s2, v2
	s_waitcnt lgkmcnt(0)
	; wave barrier
	s_waitcnt lgkmcnt(0)
	ds_read_u16 v5, v2
	ds_read_u16 v7, v2 offset:128
	ds_read_u16 v8, v2 offset:256
	;; [unrolled: 1-line block ×23, first 2 shown]
	v_mov_b32_e32 v3, s5
	v_add_co_u32_e32 v2, vcc, s4, v4
	v_mov_b32_e32 v1, 0
	v_addc_co_u32_e32 v3, vcc, 0, v3, vcc
	s_or_b64 s[0:1], s[0:1], exec
	s_waitcnt lgkmcnt(0)
	flat_store_short v[2:3], v5
	flat_store_short v[2:3], v7 offset:128
	flat_store_short v[2:3], v8 offset:256
	;; [unrolled: 1-line block ×22, first 2 shown]
.LBB1538_285:
	s_and_saveexec_b64 s[2:3], s[0:1]
	s_cbranch_execz .LBB1538_287
; %bb.286:
	v_lshlrev_b64 v[0:1], 1, v[0:1]
	v_mov_b32_e32 v2, s5
	v_add_co_u32_e32 v0, vcc, s4, v0
	v_addc_co_u32_e32 v1, vcc, v2, v1, vcc
	flat_store_short v[0:1], v6 offset:2944
	s_endpgm
.LBB1538_287:
	s_endpgm
	.section	.rodata,"a",@progbits
	.p2align	6, 0x0
	.amdhsa_kernel _ZN7rocprim17ROCPRIM_400000_NS6detail17trampoline_kernelINS0_14default_configENS1_27scan_by_key_config_selectorIitEEZZNS1_16scan_by_key_implILNS1_25lookback_scan_determinismE0ELb1ES3_N6thrust23THRUST_200600_302600_NS6detail15normal_iteratorINS9_10device_ptrIiEEEENSB_INSC_ItEEEESG_tNS9_4plusIvEENS9_8equal_toIvEEtEE10hipError_tPvRmT2_T3_T4_T5_mT6_T7_P12ihipStream_tbENKUlT_T0_E_clISt17integral_constantIbLb0EES11_EEDaSW_SX_EUlSW_E_NS1_11comp_targetILNS1_3genE4ELNS1_11target_archE910ELNS1_3gpuE8ELNS1_3repE0EEENS1_30default_config_static_selectorELNS0_4arch9wavefront6targetE1EEEvT1_
		.amdhsa_group_segment_fixed_size 6656
		.amdhsa_private_segment_fixed_size 0
		.amdhsa_kernarg_size 112
		.amdhsa_user_sgpr_count 6
		.amdhsa_user_sgpr_private_segment_buffer 1
		.amdhsa_user_sgpr_dispatch_ptr 0
		.amdhsa_user_sgpr_queue_ptr 0
		.amdhsa_user_sgpr_kernarg_segment_ptr 1
		.amdhsa_user_sgpr_dispatch_id 0
		.amdhsa_user_sgpr_flat_scratch_init 0
		.amdhsa_user_sgpr_kernarg_preload_length 0
		.amdhsa_user_sgpr_kernarg_preload_offset 0
		.amdhsa_user_sgpr_private_segment_size 0
		.amdhsa_uses_dynamic_stack 0
		.amdhsa_system_sgpr_private_segment_wavefront_offset 0
		.amdhsa_system_sgpr_workgroup_id_x 1
		.amdhsa_system_sgpr_workgroup_id_y 0
		.amdhsa_system_sgpr_workgroup_id_z 0
		.amdhsa_system_sgpr_workgroup_info 0
		.amdhsa_system_vgpr_workitem_id 0
		.amdhsa_next_free_vgpr 56
		.amdhsa_next_free_sgpr 88
		.amdhsa_accum_offset 56
		.amdhsa_reserve_vcc 1
		.amdhsa_reserve_flat_scratch 0
		.amdhsa_float_round_mode_32 0
		.amdhsa_float_round_mode_16_64 0
		.amdhsa_float_denorm_mode_32 3
		.amdhsa_float_denorm_mode_16_64 3
		.amdhsa_dx10_clamp 1
		.amdhsa_ieee_mode 1
		.amdhsa_fp16_overflow 0
		.amdhsa_tg_split 0
		.amdhsa_exception_fp_ieee_invalid_op 0
		.amdhsa_exception_fp_denorm_src 0
		.amdhsa_exception_fp_ieee_div_zero 0
		.amdhsa_exception_fp_ieee_overflow 0
		.amdhsa_exception_fp_ieee_underflow 0
		.amdhsa_exception_fp_ieee_inexact 0
		.amdhsa_exception_int_div_zero 0
	.end_amdhsa_kernel
	.section	.text._ZN7rocprim17ROCPRIM_400000_NS6detail17trampoline_kernelINS0_14default_configENS1_27scan_by_key_config_selectorIitEEZZNS1_16scan_by_key_implILNS1_25lookback_scan_determinismE0ELb1ES3_N6thrust23THRUST_200600_302600_NS6detail15normal_iteratorINS9_10device_ptrIiEEEENSB_INSC_ItEEEESG_tNS9_4plusIvEENS9_8equal_toIvEEtEE10hipError_tPvRmT2_T3_T4_T5_mT6_T7_P12ihipStream_tbENKUlT_T0_E_clISt17integral_constantIbLb0EES11_EEDaSW_SX_EUlSW_E_NS1_11comp_targetILNS1_3genE4ELNS1_11target_archE910ELNS1_3gpuE8ELNS1_3repE0EEENS1_30default_config_static_selectorELNS0_4arch9wavefront6targetE1EEEvT1_,"axG",@progbits,_ZN7rocprim17ROCPRIM_400000_NS6detail17trampoline_kernelINS0_14default_configENS1_27scan_by_key_config_selectorIitEEZZNS1_16scan_by_key_implILNS1_25lookback_scan_determinismE0ELb1ES3_N6thrust23THRUST_200600_302600_NS6detail15normal_iteratorINS9_10device_ptrIiEEEENSB_INSC_ItEEEESG_tNS9_4plusIvEENS9_8equal_toIvEEtEE10hipError_tPvRmT2_T3_T4_T5_mT6_T7_P12ihipStream_tbENKUlT_T0_E_clISt17integral_constantIbLb0EES11_EEDaSW_SX_EUlSW_E_NS1_11comp_targetILNS1_3genE4ELNS1_11target_archE910ELNS1_3gpuE8ELNS1_3repE0EEENS1_30default_config_static_selectorELNS0_4arch9wavefront6targetE1EEEvT1_,comdat
.Lfunc_end1538:
	.size	_ZN7rocprim17ROCPRIM_400000_NS6detail17trampoline_kernelINS0_14default_configENS1_27scan_by_key_config_selectorIitEEZZNS1_16scan_by_key_implILNS1_25lookback_scan_determinismE0ELb1ES3_N6thrust23THRUST_200600_302600_NS6detail15normal_iteratorINS9_10device_ptrIiEEEENSB_INSC_ItEEEESG_tNS9_4plusIvEENS9_8equal_toIvEEtEE10hipError_tPvRmT2_T3_T4_T5_mT6_T7_P12ihipStream_tbENKUlT_T0_E_clISt17integral_constantIbLb0EES11_EEDaSW_SX_EUlSW_E_NS1_11comp_targetILNS1_3genE4ELNS1_11target_archE910ELNS1_3gpuE8ELNS1_3repE0EEENS1_30default_config_static_selectorELNS0_4arch9wavefront6targetE1EEEvT1_, .Lfunc_end1538-_ZN7rocprim17ROCPRIM_400000_NS6detail17trampoline_kernelINS0_14default_configENS1_27scan_by_key_config_selectorIitEEZZNS1_16scan_by_key_implILNS1_25lookback_scan_determinismE0ELb1ES3_N6thrust23THRUST_200600_302600_NS6detail15normal_iteratorINS9_10device_ptrIiEEEENSB_INSC_ItEEEESG_tNS9_4plusIvEENS9_8equal_toIvEEtEE10hipError_tPvRmT2_T3_T4_T5_mT6_T7_P12ihipStream_tbENKUlT_T0_E_clISt17integral_constantIbLb0EES11_EEDaSW_SX_EUlSW_E_NS1_11comp_targetILNS1_3genE4ELNS1_11target_archE910ELNS1_3gpuE8ELNS1_3repE0EEENS1_30default_config_static_selectorELNS0_4arch9wavefront6targetE1EEEvT1_
                                        ; -- End function
	.section	.AMDGPU.csdata,"",@progbits
; Kernel info:
; codeLenInByte = 15684
; NumSgprs: 92
; NumVgprs: 56
; NumAgprs: 0
; TotalNumVgprs: 56
; ScratchSize: 0
; MemoryBound: 0
; FloatMode: 240
; IeeeMode: 1
; LDSByteSize: 6656 bytes/workgroup (compile time only)
; SGPRBlocks: 11
; VGPRBlocks: 6
; NumSGPRsForWavesPerEU: 92
; NumVGPRsForWavesPerEU: 56
; AccumOffset: 56
; Occupancy: 3
; WaveLimiterHint : 1
; COMPUTE_PGM_RSRC2:SCRATCH_EN: 0
; COMPUTE_PGM_RSRC2:USER_SGPR: 6
; COMPUTE_PGM_RSRC2:TRAP_HANDLER: 0
; COMPUTE_PGM_RSRC2:TGID_X_EN: 1
; COMPUTE_PGM_RSRC2:TGID_Y_EN: 0
; COMPUTE_PGM_RSRC2:TGID_Z_EN: 0
; COMPUTE_PGM_RSRC2:TIDIG_COMP_CNT: 0
; COMPUTE_PGM_RSRC3_GFX90A:ACCUM_OFFSET: 13
; COMPUTE_PGM_RSRC3_GFX90A:TG_SPLIT: 0
	.section	.text._ZN7rocprim17ROCPRIM_400000_NS6detail17trampoline_kernelINS0_14default_configENS1_27scan_by_key_config_selectorIitEEZZNS1_16scan_by_key_implILNS1_25lookback_scan_determinismE0ELb1ES3_N6thrust23THRUST_200600_302600_NS6detail15normal_iteratorINS9_10device_ptrIiEEEENSB_INSC_ItEEEESG_tNS9_4plusIvEENS9_8equal_toIvEEtEE10hipError_tPvRmT2_T3_T4_T5_mT6_T7_P12ihipStream_tbENKUlT_T0_E_clISt17integral_constantIbLb0EES11_EEDaSW_SX_EUlSW_E_NS1_11comp_targetILNS1_3genE3ELNS1_11target_archE908ELNS1_3gpuE7ELNS1_3repE0EEENS1_30default_config_static_selectorELNS0_4arch9wavefront6targetE1EEEvT1_,"axG",@progbits,_ZN7rocprim17ROCPRIM_400000_NS6detail17trampoline_kernelINS0_14default_configENS1_27scan_by_key_config_selectorIitEEZZNS1_16scan_by_key_implILNS1_25lookback_scan_determinismE0ELb1ES3_N6thrust23THRUST_200600_302600_NS6detail15normal_iteratorINS9_10device_ptrIiEEEENSB_INSC_ItEEEESG_tNS9_4plusIvEENS9_8equal_toIvEEtEE10hipError_tPvRmT2_T3_T4_T5_mT6_T7_P12ihipStream_tbENKUlT_T0_E_clISt17integral_constantIbLb0EES11_EEDaSW_SX_EUlSW_E_NS1_11comp_targetILNS1_3genE3ELNS1_11target_archE908ELNS1_3gpuE7ELNS1_3repE0EEENS1_30default_config_static_selectorELNS0_4arch9wavefront6targetE1EEEvT1_,comdat
	.protected	_ZN7rocprim17ROCPRIM_400000_NS6detail17trampoline_kernelINS0_14default_configENS1_27scan_by_key_config_selectorIitEEZZNS1_16scan_by_key_implILNS1_25lookback_scan_determinismE0ELb1ES3_N6thrust23THRUST_200600_302600_NS6detail15normal_iteratorINS9_10device_ptrIiEEEENSB_INSC_ItEEEESG_tNS9_4plusIvEENS9_8equal_toIvEEtEE10hipError_tPvRmT2_T3_T4_T5_mT6_T7_P12ihipStream_tbENKUlT_T0_E_clISt17integral_constantIbLb0EES11_EEDaSW_SX_EUlSW_E_NS1_11comp_targetILNS1_3genE3ELNS1_11target_archE908ELNS1_3gpuE7ELNS1_3repE0EEENS1_30default_config_static_selectorELNS0_4arch9wavefront6targetE1EEEvT1_ ; -- Begin function _ZN7rocprim17ROCPRIM_400000_NS6detail17trampoline_kernelINS0_14default_configENS1_27scan_by_key_config_selectorIitEEZZNS1_16scan_by_key_implILNS1_25lookback_scan_determinismE0ELb1ES3_N6thrust23THRUST_200600_302600_NS6detail15normal_iteratorINS9_10device_ptrIiEEEENSB_INSC_ItEEEESG_tNS9_4plusIvEENS9_8equal_toIvEEtEE10hipError_tPvRmT2_T3_T4_T5_mT6_T7_P12ihipStream_tbENKUlT_T0_E_clISt17integral_constantIbLb0EES11_EEDaSW_SX_EUlSW_E_NS1_11comp_targetILNS1_3genE3ELNS1_11target_archE908ELNS1_3gpuE7ELNS1_3repE0EEENS1_30default_config_static_selectorELNS0_4arch9wavefront6targetE1EEEvT1_
	.globl	_ZN7rocprim17ROCPRIM_400000_NS6detail17trampoline_kernelINS0_14default_configENS1_27scan_by_key_config_selectorIitEEZZNS1_16scan_by_key_implILNS1_25lookback_scan_determinismE0ELb1ES3_N6thrust23THRUST_200600_302600_NS6detail15normal_iteratorINS9_10device_ptrIiEEEENSB_INSC_ItEEEESG_tNS9_4plusIvEENS9_8equal_toIvEEtEE10hipError_tPvRmT2_T3_T4_T5_mT6_T7_P12ihipStream_tbENKUlT_T0_E_clISt17integral_constantIbLb0EES11_EEDaSW_SX_EUlSW_E_NS1_11comp_targetILNS1_3genE3ELNS1_11target_archE908ELNS1_3gpuE7ELNS1_3repE0EEENS1_30default_config_static_selectorELNS0_4arch9wavefront6targetE1EEEvT1_
	.p2align	8
	.type	_ZN7rocprim17ROCPRIM_400000_NS6detail17trampoline_kernelINS0_14default_configENS1_27scan_by_key_config_selectorIitEEZZNS1_16scan_by_key_implILNS1_25lookback_scan_determinismE0ELb1ES3_N6thrust23THRUST_200600_302600_NS6detail15normal_iteratorINS9_10device_ptrIiEEEENSB_INSC_ItEEEESG_tNS9_4plusIvEENS9_8equal_toIvEEtEE10hipError_tPvRmT2_T3_T4_T5_mT6_T7_P12ihipStream_tbENKUlT_T0_E_clISt17integral_constantIbLb0EES11_EEDaSW_SX_EUlSW_E_NS1_11comp_targetILNS1_3genE3ELNS1_11target_archE908ELNS1_3gpuE7ELNS1_3repE0EEENS1_30default_config_static_selectorELNS0_4arch9wavefront6targetE1EEEvT1_,@function
_ZN7rocprim17ROCPRIM_400000_NS6detail17trampoline_kernelINS0_14default_configENS1_27scan_by_key_config_selectorIitEEZZNS1_16scan_by_key_implILNS1_25lookback_scan_determinismE0ELb1ES3_N6thrust23THRUST_200600_302600_NS6detail15normal_iteratorINS9_10device_ptrIiEEEENSB_INSC_ItEEEESG_tNS9_4plusIvEENS9_8equal_toIvEEtEE10hipError_tPvRmT2_T3_T4_T5_mT6_T7_P12ihipStream_tbENKUlT_T0_E_clISt17integral_constantIbLb0EES11_EEDaSW_SX_EUlSW_E_NS1_11comp_targetILNS1_3genE3ELNS1_11target_archE908ELNS1_3gpuE7ELNS1_3repE0EEENS1_30default_config_static_selectorELNS0_4arch9wavefront6targetE1EEEvT1_: ; @_ZN7rocprim17ROCPRIM_400000_NS6detail17trampoline_kernelINS0_14default_configENS1_27scan_by_key_config_selectorIitEEZZNS1_16scan_by_key_implILNS1_25lookback_scan_determinismE0ELb1ES3_N6thrust23THRUST_200600_302600_NS6detail15normal_iteratorINS9_10device_ptrIiEEEENSB_INSC_ItEEEESG_tNS9_4plusIvEENS9_8equal_toIvEEtEE10hipError_tPvRmT2_T3_T4_T5_mT6_T7_P12ihipStream_tbENKUlT_T0_E_clISt17integral_constantIbLb0EES11_EEDaSW_SX_EUlSW_E_NS1_11comp_targetILNS1_3genE3ELNS1_11target_archE908ELNS1_3gpuE7ELNS1_3repE0EEENS1_30default_config_static_selectorELNS0_4arch9wavefront6targetE1EEEvT1_
; %bb.0:
	.section	.rodata,"a",@progbits
	.p2align	6, 0x0
	.amdhsa_kernel _ZN7rocprim17ROCPRIM_400000_NS6detail17trampoline_kernelINS0_14default_configENS1_27scan_by_key_config_selectorIitEEZZNS1_16scan_by_key_implILNS1_25lookback_scan_determinismE0ELb1ES3_N6thrust23THRUST_200600_302600_NS6detail15normal_iteratorINS9_10device_ptrIiEEEENSB_INSC_ItEEEESG_tNS9_4plusIvEENS9_8equal_toIvEEtEE10hipError_tPvRmT2_T3_T4_T5_mT6_T7_P12ihipStream_tbENKUlT_T0_E_clISt17integral_constantIbLb0EES11_EEDaSW_SX_EUlSW_E_NS1_11comp_targetILNS1_3genE3ELNS1_11target_archE908ELNS1_3gpuE7ELNS1_3repE0EEENS1_30default_config_static_selectorELNS0_4arch9wavefront6targetE1EEEvT1_
		.amdhsa_group_segment_fixed_size 0
		.amdhsa_private_segment_fixed_size 0
		.amdhsa_kernarg_size 112
		.amdhsa_user_sgpr_count 6
		.amdhsa_user_sgpr_private_segment_buffer 1
		.amdhsa_user_sgpr_dispatch_ptr 0
		.amdhsa_user_sgpr_queue_ptr 0
		.amdhsa_user_sgpr_kernarg_segment_ptr 1
		.amdhsa_user_sgpr_dispatch_id 0
		.amdhsa_user_sgpr_flat_scratch_init 0
		.amdhsa_user_sgpr_kernarg_preload_length 0
		.amdhsa_user_sgpr_kernarg_preload_offset 0
		.amdhsa_user_sgpr_private_segment_size 0
		.amdhsa_uses_dynamic_stack 0
		.amdhsa_system_sgpr_private_segment_wavefront_offset 0
		.amdhsa_system_sgpr_workgroup_id_x 1
		.amdhsa_system_sgpr_workgroup_id_y 0
		.amdhsa_system_sgpr_workgroup_id_z 0
		.amdhsa_system_sgpr_workgroup_info 0
		.amdhsa_system_vgpr_workitem_id 0
		.amdhsa_next_free_vgpr 1
		.amdhsa_next_free_sgpr 0
		.amdhsa_accum_offset 4
		.amdhsa_reserve_vcc 0
		.amdhsa_reserve_flat_scratch 0
		.amdhsa_float_round_mode_32 0
		.amdhsa_float_round_mode_16_64 0
		.amdhsa_float_denorm_mode_32 3
		.amdhsa_float_denorm_mode_16_64 3
		.amdhsa_dx10_clamp 1
		.amdhsa_ieee_mode 1
		.amdhsa_fp16_overflow 0
		.amdhsa_tg_split 0
		.amdhsa_exception_fp_ieee_invalid_op 0
		.amdhsa_exception_fp_denorm_src 0
		.amdhsa_exception_fp_ieee_div_zero 0
		.amdhsa_exception_fp_ieee_overflow 0
		.amdhsa_exception_fp_ieee_underflow 0
		.amdhsa_exception_fp_ieee_inexact 0
		.amdhsa_exception_int_div_zero 0
	.end_amdhsa_kernel
	.section	.text._ZN7rocprim17ROCPRIM_400000_NS6detail17trampoline_kernelINS0_14default_configENS1_27scan_by_key_config_selectorIitEEZZNS1_16scan_by_key_implILNS1_25lookback_scan_determinismE0ELb1ES3_N6thrust23THRUST_200600_302600_NS6detail15normal_iteratorINS9_10device_ptrIiEEEENSB_INSC_ItEEEESG_tNS9_4plusIvEENS9_8equal_toIvEEtEE10hipError_tPvRmT2_T3_T4_T5_mT6_T7_P12ihipStream_tbENKUlT_T0_E_clISt17integral_constantIbLb0EES11_EEDaSW_SX_EUlSW_E_NS1_11comp_targetILNS1_3genE3ELNS1_11target_archE908ELNS1_3gpuE7ELNS1_3repE0EEENS1_30default_config_static_selectorELNS0_4arch9wavefront6targetE1EEEvT1_,"axG",@progbits,_ZN7rocprim17ROCPRIM_400000_NS6detail17trampoline_kernelINS0_14default_configENS1_27scan_by_key_config_selectorIitEEZZNS1_16scan_by_key_implILNS1_25lookback_scan_determinismE0ELb1ES3_N6thrust23THRUST_200600_302600_NS6detail15normal_iteratorINS9_10device_ptrIiEEEENSB_INSC_ItEEEESG_tNS9_4plusIvEENS9_8equal_toIvEEtEE10hipError_tPvRmT2_T3_T4_T5_mT6_T7_P12ihipStream_tbENKUlT_T0_E_clISt17integral_constantIbLb0EES11_EEDaSW_SX_EUlSW_E_NS1_11comp_targetILNS1_3genE3ELNS1_11target_archE908ELNS1_3gpuE7ELNS1_3repE0EEENS1_30default_config_static_selectorELNS0_4arch9wavefront6targetE1EEEvT1_,comdat
.Lfunc_end1539:
	.size	_ZN7rocprim17ROCPRIM_400000_NS6detail17trampoline_kernelINS0_14default_configENS1_27scan_by_key_config_selectorIitEEZZNS1_16scan_by_key_implILNS1_25lookback_scan_determinismE0ELb1ES3_N6thrust23THRUST_200600_302600_NS6detail15normal_iteratorINS9_10device_ptrIiEEEENSB_INSC_ItEEEESG_tNS9_4plusIvEENS9_8equal_toIvEEtEE10hipError_tPvRmT2_T3_T4_T5_mT6_T7_P12ihipStream_tbENKUlT_T0_E_clISt17integral_constantIbLb0EES11_EEDaSW_SX_EUlSW_E_NS1_11comp_targetILNS1_3genE3ELNS1_11target_archE908ELNS1_3gpuE7ELNS1_3repE0EEENS1_30default_config_static_selectorELNS0_4arch9wavefront6targetE1EEEvT1_, .Lfunc_end1539-_ZN7rocprim17ROCPRIM_400000_NS6detail17trampoline_kernelINS0_14default_configENS1_27scan_by_key_config_selectorIitEEZZNS1_16scan_by_key_implILNS1_25lookback_scan_determinismE0ELb1ES3_N6thrust23THRUST_200600_302600_NS6detail15normal_iteratorINS9_10device_ptrIiEEEENSB_INSC_ItEEEESG_tNS9_4plusIvEENS9_8equal_toIvEEtEE10hipError_tPvRmT2_T3_T4_T5_mT6_T7_P12ihipStream_tbENKUlT_T0_E_clISt17integral_constantIbLb0EES11_EEDaSW_SX_EUlSW_E_NS1_11comp_targetILNS1_3genE3ELNS1_11target_archE908ELNS1_3gpuE7ELNS1_3repE0EEENS1_30default_config_static_selectorELNS0_4arch9wavefront6targetE1EEEvT1_
                                        ; -- End function
	.section	.AMDGPU.csdata,"",@progbits
; Kernel info:
; codeLenInByte = 0
; NumSgprs: 4
; NumVgprs: 0
; NumAgprs: 0
; TotalNumVgprs: 0
; ScratchSize: 0
; MemoryBound: 0
; FloatMode: 240
; IeeeMode: 1
; LDSByteSize: 0 bytes/workgroup (compile time only)
; SGPRBlocks: 0
; VGPRBlocks: 0
; NumSGPRsForWavesPerEU: 4
; NumVGPRsForWavesPerEU: 1
; AccumOffset: 4
; Occupancy: 8
; WaveLimiterHint : 0
; COMPUTE_PGM_RSRC2:SCRATCH_EN: 0
; COMPUTE_PGM_RSRC2:USER_SGPR: 6
; COMPUTE_PGM_RSRC2:TRAP_HANDLER: 0
; COMPUTE_PGM_RSRC2:TGID_X_EN: 1
; COMPUTE_PGM_RSRC2:TGID_Y_EN: 0
; COMPUTE_PGM_RSRC2:TGID_Z_EN: 0
; COMPUTE_PGM_RSRC2:TIDIG_COMP_CNT: 0
; COMPUTE_PGM_RSRC3_GFX90A:ACCUM_OFFSET: 0
; COMPUTE_PGM_RSRC3_GFX90A:TG_SPLIT: 0
	.section	.text._ZN7rocprim17ROCPRIM_400000_NS6detail17trampoline_kernelINS0_14default_configENS1_27scan_by_key_config_selectorIitEEZZNS1_16scan_by_key_implILNS1_25lookback_scan_determinismE0ELb1ES3_N6thrust23THRUST_200600_302600_NS6detail15normal_iteratorINS9_10device_ptrIiEEEENSB_INSC_ItEEEESG_tNS9_4plusIvEENS9_8equal_toIvEEtEE10hipError_tPvRmT2_T3_T4_T5_mT6_T7_P12ihipStream_tbENKUlT_T0_E_clISt17integral_constantIbLb0EES11_EEDaSW_SX_EUlSW_E_NS1_11comp_targetILNS1_3genE2ELNS1_11target_archE906ELNS1_3gpuE6ELNS1_3repE0EEENS1_30default_config_static_selectorELNS0_4arch9wavefront6targetE1EEEvT1_,"axG",@progbits,_ZN7rocprim17ROCPRIM_400000_NS6detail17trampoline_kernelINS0_14default_configENS1_27scan_by_key_config_selectorIitEEZZNS1_16scan_by_key_implILNS1_25lookback_scan_determinismE0ELb1ES3_N6thrust23THRUST_200600_302600_NS6detail15normal_iteratorINS9_10device_ptrIiEEEENSB_INSC_ItEEEESG_tNS9_4plusIvEENS9_8equal_toIvEEtEE10hipError_tPvRmT2_T3_T4_T5_mT6_T7_P12ihipStream_tbENKUlT_T0_E_clISt17integral_constantIbLb0EES11_EEDaSW_SX_EUlSW_E_NS1_11comp_targetILNS1_3genE2ELNS1_11target_archE906ELNS1_3gpuE6ELNS1_3repE0EEENS1_30default_config_static_selectorELNS0_4arch9wavefront6targetE1EEEvT1_,comdat
	.protected	_ZN7rocprim17ROCPRIM_400000_NS6detail17trampoline_kernelINS0_14default_configENS1_27scan_by_key_config_selectorIitEEZZNS1_16scan_by_key_implILNS1_25lookback_scan_determinismE0ELb1ES3_N6thrust23THRUST_200600_302600_NS6detail15normal_iteratorINS9_10device_ptrIiEEEENSB_INSC_ItEEEESG_tNS9_4plusIvEENS9_8equal_toIvEEtEE10hipError_tPvRmT2_T3_T4_T5_mT6_T7_P12ihipStream_tbENKUlT_T0_E_clISt17integral_constantIbLb0EES11_EEDaSW_SX_EUlSW_E_NS1_11comp_targetILNS1_3genE2ELNS1_11target_archE906ELNS1_3gpuE6ELNS1_3repE0EEENS1_30default_config_static_selectorELNS0_4arch9wavefront6targetE1EEEvT1_ ; -- Begin function _ZN7rocprim17ROCPRIM_400000_NS6detail17trampoline_kernelINS0_14default_configENS1_27scan_by_key_config_selectorIitEEZZNS1_16scan_by_key_implILNS1_25lookback_scan_determinismE0ELb1ES3_N6thrust23THRUST_200600_302600_NS6detail15normal_iteratorINS9_10device_ptrIiEEEENSB_INSC_ItEEEESG_tNS9_4plusIvEENS9_8equal_toIvEEtEE10hipError_tPvRmT2_T3_T4_T5_mT6_T7_P12ihipStream_tbENKUlT_T0_E_clISt17integral_constantIbLb0EES11_EEDaSW_SX_EUlSW_E_NS1_11comp_targetILNS1_3genE2ELNS1_11target_archE906ELNS1_3gpuE6ELNS1_3repE0EEENS1_30default_config_static_selectorELNS0_4arch9wavefront6targetE1EEEvT1_
	.globl	_ZN7rocprim17ROCPRIM_400000_NS6detail17trampoline_kernelINS0_14default_configENS1_27scan_by_key_config_selectorIitEEZZNS1_16scan_by_key_implILNS1_25lookback_scan_determinismE0ELb1ES3_N6thrust23THRUST_200600_302600_NS6detail15normal_iteratorINS9_10device_ptrIiEEEENSB_INSC_ItEEEESG_tNS9_4plusIvEENS9_8equal_toIvEEtEE10hipError_tPvRmT2_T3_T4_T5_mT6_T7_P12ihipStream_tbENKUlT_T0_E_clISt17integral_constantIbLb0EES11_EEDaSW_SX_EUlSW_E_NS1_11comp_targetILNS1_3genE2ELNS1_11target_archE906ELNS1_3gpuE6ELNS1_3repE0EEENS1_30default_config_static_selectorELNS0_4arch9wavefront6targetE1EEEvT1_
	.p2align	8
	.type	_ZN7rocprim17ROCPRIM_400000_NS6detail17trampoline_kernelINS0_14default_configENS1_27scan_by_key_config_selectorIitEEZZNS1_16scan_by_key_implILNS1_25lookback_scan_determinismE0ELb1ES3_N6thrust23THRUST_200600_302600_NS6detail15normal_iteratorINS9_10device_ptrIiEEEENSB_INSC_ItEEEESG_tNS9_4plusIvEENS9_8equal_toIvEEtEE10hipError_tPvRmT2_T3_T4_T5_mT6_T7_P12ihipStream_tbENKUlT_T0_E_clISt17integral_constantIbLb0EES11_EEDaSW_SX_EUlSW_E_NS1_11comp_targetILNS1_3genE2ELNS1_11target_archE906ELNS1_3gpuE6ELNS1_3repE0EEENS1_30default_config_static_selectorELNS0_4arch9wavefront6targetE1EEEvT1_,@function
_ZN7rocprim17ROCPRIM_400000_NS6detail17trampoline_kernelINS0_14default_configENS1_27scan_by_key_config_selectorIitEEZZNS1_16scan_by_key_implILNS1_25lookback_scan_determinismE0ELb1ES3_N6thrust23THRUST_200600_302600_NS6detail15normal_iteratorINS9_10device_ptrIiEEEENSB_INSC_ItEEEESG_tNS9_4plusIvEENS9_8equal_toIvEEtEE10hipError_tPvRmT2_T3_T4_T5_mT6_T7_P12ihipStream_tbENKUlT_T0_E_clISt17integral_constantIbLb0EES11_EEDaSW_SX_EUlSW_E_NS1_11comp_targetILNS1_3genE2ELNS1_11target_archE906ELNS1_3gpuE6ELNS1_3repE0EEENS1_30default_config_static_selectorELNS0_4arch9wavefront6targetE1EEEvT1_: ; @_ZN7rocprim17ROCPRIM_400000_NS6detail17trampoline_kernelINS0_14default_configENS1_27scan_by_key_config_selectorIitEEZZNS1_16scan_by_key_implILNS1_25lookback_scan_determinismE0ELb1ES3_N6thrust23THRUST_200600_302600_NS6detail15normal_iteratorINS9_10device_ptrIiEEEENSB_INSC_ItEEEESG_tNS9_4plusIvEENS9_8equal_toIvEEtEE10hipError_tPvRmT2_T3_T4_T5_mT6_T7_P12ihipStream_tbENKUlT_T0_E_clISt17integral_constantIbLb0EES11_EEDaSW_SX_EUlSW_E_NS1_11comp_targetILNS1_3genE2ELNS1_11target_archE906ELNS1_3gpuE6ELNS1_3repE0EEENS1_30default_config_static_selectorELNS0_4arch9wavefront6targetE1EEEvT1_
; %bb.0:
	.section	.rodata,"a",@progbits
	.p2align	6, 0x0
	.amdhsa_kernel _ZN7rocprim17ROCPRIM_400000_NS6detail17trampoline_kernelINS0_14default_configENS1_27scan_by_key_config_selectorIitEEZZNS1_16scan_by_key_implILNS1_25lookback_scan_determinismE0ELb1ES3_N6thrust23THRUST_200600_302600_NS6detail15normal_iteratorINS9_10device_ptrIiEEEENSB_INSC_ItEEEESG_tNS9_4plusIvEENS9_8equal_toIvEEtEE10hipError_tPvRmT2_T3_T4_T5_mT6_T7_P12ihipStream_tbENKUlT_T0_E_clISt17integral_constantIbLb0EES11_EEDaSW_SX_EUlSW_E_NS1_11comp_targetILNS1_3genE2ELNS1_11target_archE906ELNS1_3gpuE6ELNS1_3repE0EEENS1_30default_config_static_selectorELNS0_4arch9wavefront6targetE1EEEvT1_
		.amdhsa_group_segment_fixed_size 0
		.amdhsa_private_segment_fixed_size 0
		.amdhsa_kernarg_size 112
		.amdhsa_user_sgpr_count 6
		.amdhsa_user_sgpr_private_segment_buffer 1
		.amdhsa_user_sgpr_dispatch_ptr 0
		.amdhsa_user_sgpr_queue_ptr 0
		.amdhsa_user_sgpr_kernarg_segment_ptr 1
		.amdhsa_user_sgpr_dispatch_id 0
		.amdhsa_user_sgpr_flat_scratch_init 0
		.amdhsa_user_sgpr_kernarg_preload_length 0
		.amdhsa_user_sgpr_kernarg_preload_offset 0
		.amdhsa_user_sgpr_private_segment_size 0
		.amdhsa_uses_dynamic_stack 0
		.amdhsa_system_sgpr_private_segment_wavefront_offset 0
		.amdhsa_system_sgpr_workgroup_id_x 1
		.amdhsa_system_sgpr_workgroup_id_y 0
		.amdhsa_system_sgpr_workgroup_id_z 0
		.amdhsa_system_sgpr_workgroup_info 0
		.amdhsa_system_vgpr_workitem_id 0
		.amdhsa_next_free_vgpr 1
		.amdhsa_next_free_sgpr 0
		.amdhsa_accum_offset 4
		.amdhsa_reserve_vcc 0
		.amdhsa_reserve_flat_scratch 0
		.amdhsa_float_round_mode_32 0
		.amdhsa_float_round_mode_16_64 0
		.amdhsa_float_denorm_mode_32 3
		.amdhsa_float_denorm_mode_16_64 3
		.amdhsa_dx10_clamp 1
		.amdhsa_ieee_mode 1
		.amdhsa_fp16_overflow 0
		.amdhsa_tg_split 0
		.amdhsa_exception_fp_ieee_invalid_op 0
		.amdhsa_exception_fp_denorm_src 0
		.amdhsa_exception_fp_ieee_div_zero 0
		.amdhsa_exception_fp_ieee_overflow 0
		.amdhsa_exception_fp_ieee_underflow 0
		.amdhsa_exception_fp_ieee_inexact 0
		.amdhsa_exception_int_div_zero 0
	.end_amdhsa_kernel
	.section	.text._ZN7rocprim17ROCPRIM_400000_NS6detail17trampoline_kernelINS0_14default_configENS1_27scan_by_key_config_selectorIitEEZZNS1_16scan_by_key_implILNS1_25lookback_scan_determinismE0ELb1ES3_N6thrust23THRUST_200600_302600_NS6detail15normal_iteratorINS9_10device_ptrIiEEEENSB_INSC_ItEEEESG_tNS9_4plusIvEENS9_8equal_toIvEEtEE10hipError_tPvRmT2_T3_T4_T5_mT6_T7_P12ihipStream_tbENKUlT_T0_E_clISt17integral_constantIbLb0EES11_EEDaSW_SX_EUlSW_E_NS1_11comp_targetILNS1_3genE2ELNS1_11target_archE906ELNS1_3gpuE6ELNS1_3repE0EEENS1_30default_config_static_selectorELNS0_4arch9wavefront6targetE1EEEvT1_,"axG",@progbits,_ZN7rocprim17ROCPRIM_400000_NS6detail17trampoline_kernelINS0_14default_configENS1_27scan_by_key_config_selectorIitEEZZNS1_16scan_by_key_implILNS1_25lookback_scan_determinismE0ELb1ES3_N6thrust23THRUST_200600_302600_NS6detail15normal_iteratorINS9_10device_ptrIiEEEENSB_INSC_ItEEEESG_tNS9_4plusIvEENS9_8equal_toIvEEtEE10hipError_tPvRmT2_T3_T4_T5_mT6_T7_P12ihipStream_tbENKUlT_T0_E_clISt17integral_constantIbLb0EES11_EEDaSW_SX_EUlSW_E_NS1_11comp_targetILNS1_3genE2ELNS1_11target_archE906ELNS1_3gpuE6ELNS1_3repE0EEENS1_30default_config_static_selectorELNS0_4arch9wavefront6targetE1EEEvT1_,comdat
.Lfunc_end1540:
	.size	_ZN7rocprim17ROCPRIM_400000_NS6detail17trampoline_kernelINS0_14default_configENS1_27scan_by_key_config_selectorIitEEZZNS1_16scan_by_key_implILNS1_25lookback_scan_determinismE0ELb1ES3_N6thrust23THRUST_200600_302600_NS6detail15normal_iteratorINS9_10device_ptrIiEEEENSB_INSC_ItEEEESG_tNS9_4plusIvEENS9_8equal_toIvEEtEE10hipError_tPvRmT2_T3_T4_T5_mT6_T7_P12ihipStream_tbENKUlT_T0_E_clISt17integral_constantIbLb0EES11_EEDaSW_SX_EUlSW_E_NS1_11comp_targetILNS1_3genE2ELNS1_11target_archE906ELNS1_3gpuE6ELNS1_3repE0EEENS1_30default_config_static_selectorELNS0_4arch9wavefront6targetE1EEEvT1_, .Lfunc_end1540-_ZN7rocprim17ROCPRIM_400000_NS6detail17trampoline_kernelINS0_14default_configENS1_27scan_by_key_config_selectorIitEEZZNS1_16scan_by_key_implILNS1_25lookback_scan_determinismE0ELb1ES3_N6thrust23THRUST_200600_302600_NS6detail15normal_iteratorINS9_10device_ptrIiEEEENSB_INSC_ItEEEESG_tNS9_4plusIvEENS9_8equal_toIvEEtEE10hipError_tPvRmT2_T3_T4_T5_mT6_T7_P12ihipStream_tbENKUlT_T0_E_clISt17integral_constantIbLb0EES11_EEDaSW_SX_EUlSW_E_NS1_11comp_targetILNS1_3genE2ELNS1_11target_archE906ELNS1_3gpuE6ELNS1_3repE0EEENS1_30default_config_static_selectorELNS0_4arch9wavefront6targetE1EEEvT1_
                                        ; -- End function
	.section	.AMDGPU.csdata,"",@progbits
; Kernel info:
; codeLenInByte = 0
; NumSgprs: 4
; NumVgprs: 0
; NumAgprs: 0
; TotalNumVgprs: 0
; ScratchSize: 0
; MemoryBound: 0
; FloatMode: 240
; IeeeMode: 1
; LDSByteSize: 0 bytes/workgroup (compile time only)
; SGPRBlocks: 0
; VGPRBlocks: 0
; NumSGPRsForWavesPerEU: 4
; NumVGPRsForWavesPerEU: 1
; AccumOffset: 4
; Occupancy: 8
; WaveLimiterHint : 0
; COMPUTE_PGM_RSRC2:SCRATCH_EN: 0
; COMPUTE_PGM_RSRC2:USER_SGPR: 6
; COMPUTE_PGM_RSRC2:TRAP_HANDLER: 0
; COMPUTE_PGM_RSRC2:TGID_X_EN: 1
; COMPUTE_PGM_RSRC2:TGID_Y_EN: 0
; COMPUTE_PGM_RSRC2:TGID_Z_EN: 0
; COMPUTE_PGM_RSRC2:TIDIG_COMP_CNT: 0
; COMPUTE_PGM_RSRC3_GFX90A:ACCUM_OFFSET: 0
; COMPUTE_PGM_RSRC3_GFX90A:TG_SPLIT: 0
	.section	.text._ZN7rocprim17ROCPRIM_400000_NS6detail17trampoline_kernelINS0_14default_configENS1_27scan_by_key_config_selectorIitEEZZNS1_16scan_by_key_implILNS1_25lookback_scan_determinismE0ELb1ES3_N6thrust23THRUST_200600_302600_NS6detail15normal_iteratorINS9_10device_ptrIiEEEENSB_INSC_ItEEEESG_tNS9_4plusIvEENS9_8equal_toIvEEtEE10hipError_tPvRmT2_T3_T4_T5_mT6_T7_P12ihipStream_tbENKUlT_T0_E_clISt17integral_constantIbLb0EES11_EEDaSW_SX_EUlSW_E_NS1_11comp_targetILNS1_3genE10ELNS1_11target_archE1200ELNS1_3gpuE4ELNS1_3repE0EEENS1_30default_config_static_selectorELNS0_4arch9wavefront6targetE1EEEvT1_,"axG",@progbits,_ZN7rocprim17ROCPRIM_400000_NS6detail17trampoline_kernelINS0_14default_configENS1_27scan_by_key_config_selectorIitEEZZNS1_16scan_by_key_implILNS1_25lookback_scan_determinismE0ELb1ES3_N6thrust23THRUST_200600_302600_NS6detail15normal_iteratorINS9_10device_ptrIiEEEENSB_INSC_ItEEEESG_tNS9_4plusIvEENS9_8equal_toIvEEtEE10hipError_tPvRmT2_T3_T4_T5_mT6_T7_P12ihipStream_tbENKUlT_T0_E_clISt17integral_constantIbLb0EES11_EEDaSW_SX_EUlSW_E_NS1_11comp_targetILNS1_3genE10ELNS1_11target_archE1200ELNS1_3gpuE4ELNS1_3repE0EEENS1_30default_config_static_selectorELNS0_4arch9wavefront6targetE1EEEvT1_,comdat
	.protected	_ZN7rocprim17ROCPRIM_400000_NS6detail17trampoline_kernelINS0_14default_configENS1_27scan_by_key_config_selectorIitEEZZNS1_16scan_by_key_implILNS1_25lookback_scan_determinismE0ELb1ES3_N6thrust23THRUST_200600_302600_NS6detail15normal_iteratorINS9_10device_ptrIiEEEENSB_INSC_ItEEEESG_tNS9_4plusIvEENS9_8equal_toIvEEtEE10hipError_tPvRmT2_T3_T4_T5_mT6_T7_P12ihipStream_tbENKUlT_T0_E_clISt17integral_constantIbLb0EES11_EEDaSW_SX_EUlSW_E_NS1_11comp_targetILNS1_3genE10ELNS1_11target_archE1200ELNS1_3gpuE4ELNS1_3repE0EEENS1_30default_config_static_selectorELNS0_4arch9wavefront6targetE1EEEvT1_ ; -- Begin function _ZN7rocprim17ROCPRIM_400000_NS6detail17trampoline_kernelINS0_14default_configENS1_27scan_by_key_config_selectorIitEEZZNS1_16scan_by_key_implILNS1_25lookback_scan_determinismE0ELb1ES3_N6thrust23THRUST_200600_302600_NS6detail15normal_iteratorINS9_10device_ptrIiEEEENSB_INSC_ItEEEESG_tNS9_4plusIvEENS9_8equal_toIvEEtEE10hipError_tPvRmT2_T3_T4_T5_mT6_T7_P12ihipStream_tbENKUlT_T0_E_clISt17integral_constantIbLb0EES11_EEDaSW_SX_EUlSW_E_NS1_11comp_targetILNS1_3genE10ELNS1_11target_archE1200ELNS1_3gpuE4ELNS1_3repE0EEENS1_30default_config_static_selectorELNS0_4arch9wavefront6targetE1EEEvT1_
	.globl	_ZN7rocprim17ROCPRIM_400000_NS6detail17trampoline_kernelINS0_14default_configENS1_27scan_by_key_config_selectorIitEEZZNS1_16scan_by_key_implILNS1_25lookback_scan_determinismE0ELb1ES3_N6thrust23THRUST_200600_302600_NS6detail15normal_iteratorINS9_10device_ptrIiEEEENSB_INSC_ItEEEESG_tNS9_4plusIvEENS9_8equal_toIvEEtEE10hipError_tPvRmT2_T3_T4_T5_mT6_T7_P12ihipStream_tbENKUlT_T0_E_clISt17integral_constantIbLb0EES11_EEDaSW_SX_EUlSW_E_NS1_11comp_targetILNS1_3genE10ELNS1_11target_archE1200ELNS1_3gpuE4ELNS1_3repE0EEENS1_30default_config_static_selectorELNS0_4arch9wavefront6targetE1EEEvT1_
	.p2align	8
	.type	_ZN7rocprim17ROCPRIM_400000_NS6detail17trampoline_kernelINS0_14default_configENS1_27scan_by_key_config_selectorIitEEZZNS1_16scan_by_key_implILNS1_25lookback_scan_determinismE0ELb1ES3_N6thrust23THRUST_200600_302600_NS6detail15normal_iteratorINS9_10device_ptrIiEEEENSB_INSC_ItEEEESG_tNS9_4plusIvEENS9_8equal_toIvEEtEE10hipError_tPvRmT2_T3_T4_T5_mT6_T7_P12ihipStream_tbENKUlT_T0_E_clISt17integral_constantIbLb0EES11_EEDaSW_SX_EUlSW_E_NS1_11comp_targetILNS1_3genE10ELNS1_11target_archE1200ELNS1_3gpuE4ELNS1_3repE0EEENS1_30default_config_static_selectorELNS0_4arch9wavefront6targetE1EEEvT1_,@function
_ZN7rocprim17ROCPRIM_400000_NS6detail17trampoline_kernelINS0_14default_configENS1_27scan_by_key_config_selectorIitEEZZNS1_16scan_by_key_implILNS1_25lookback_scan_determinismE0ELb1ES3_N6thrust23THRUST_200600_302600_NS6detail15normal_iteratorINS9_10device_ptrIiEEEENSB_INSC_ItEEEESG_tNS9_4plusIvEENS9_8equal_toIvEEtEE10hipError_tPvRmT2_T3_T4_T5_mT6_T7_P12ihipStream_tbENKUlT_T0_E_clISt17integral_constantIbLb0EES11_EEDaSW_SX_EUlSW_E_NS1_11comp_targetILNS1_3genE10ELNS1_11target_archE1200ELNS1_3gpuE4ELNS1_3repE0EEENS1_30default_config_static_selectorELNS0_4arch9wavefront6targetE1EEEvT1_: ; @_ZN7rocprim17ROCPRIM_400000_NS6detail17trampoline_kernelINS0_14default_configENS1_27scan_by_key_config_selectorIitEEZZNS1_16scan_by_key_implILNS1_25lookback_scan_determinismE0ELb1ES3_N6thrust23THRUST_200600_302600_NS6detail15normal_iteratorINS9_10device_ptrIiEEEENSB_INSC_ItEEEESG_tNS9_4plusIvEENS9_8equal_toIvEEtEE10hipError_tPvRmT2_T3_T4_T5_mT6_T7_P12ihipStream_tbENKUlT_T0_E_clISt17integral_constantIbLb0EES11_EEDaSW_SX_EUlSW_E_NS1_11comp_targetILNS1_3genE10ELNS1_11target_archE1200ELNS1_3gpuE4ELNS1_3repE0EEENS1_30default_config_static_selectorELNS0_4arch9wavefront6targetE1EEEvT1_
; %bb.0:
	.section	.rodata,"a",@progbits
	.p2align	6, 0x0
	.amdhsa_kernel _ZN7rocprim17ROCPRIM_400000_NS6detail17trampoline_kernelINS0_14default_configENS1_27scan_by_key_config_selectorIitEEZZNS1_16scan_by_key_implILNS1_25lookback_scan_determinismE0ELb1ES3_N6thrust23THRUST_200600_302600_NS6detail15normal_iteratorINS9_10device_ptrIiEEEENSB_INSC_ItEEEESG_tNS9_4plusIvEENS9_8equal_toIvEEtEE10hipError_tPvRmT2_T3_T4_T5_mT6_T7_P12ihipStream_tbENKUlT_T0_E_clISt17integral_constantIbLb0EES11_EEDaSW_SX_EUlSW_E_NS1_11comp_targetILNS1_3genE10ELNS1_11target_archE1200ELNS1_3gpuE4ELNS1_3repE0EEENS1_30default_config_static_selectorELNS0_4arch9wavefront6targetE1EEEvT1_
		.amdhsa_group_segment_fixed_size 0
		.amdhsa_private_segment_fixed_size 0
		.amdhsa_kernarg_size 112
		.amdhsa_user_sgpr_count 6
		.amdhsa_user_sgpr_private_segment_buffer 1
		.amdhsa_user_sgpr_dispatch_ptr 0
		.amdhsa_user_sgpr_queue_ptr 0
		.amdhsa_user_sgpr_kernarg_segment_ptr 1
		.amdhsa_user_sgpr_dispatch_id 0
		.amdhsa_user_sgpr_flat_scratch_init 0
		.amdhsa_user_sgpr_kernarg_preload_length 0
		.amdhsa_user_sgpr_kernarg_preload_offset 0
		.amdhsa_user_sgpr_private_segment_size 0
		.amdhsa_uses_dynamic_stack 0
		.amdhsa_system_sgpr_private_segment_wavefront_offset 0
		.amdhsa_system_sgpr_workgroup_id_x 1
		.amdhsa_system_sgpr_workgroup_id_y 0
		.amdhsa_system_sgpr_workgroup_id_z 0
		.amdhsa_system_sgpr_workgroup_info 0
		.amdhsa_system_vgpr_workitem_id 0
		.amdhsa_next_free_vgpr 1
		.amdhsa_next_free_sgpr 0
		.amdhsa_accum_offset 4
		.amdhsa_reserve_vcc 0
		.amdhsa_reserve_flat_scratch 0
		.amdhsa_float_round_mode_32 0
		.amdhsa_float_round_mode_16_64 0
		.amdhsa_float_denorm_mode_32 3
		.amdhsa_float_denorm_mode_16_64 3
		.amdhsa_dx10_clamp 1
		.amdhsa_ieee_mode 1
		.amdhsa_fp16_overflow 0
		.amdhsa_tg_split 0
		.amdhsa_exception_fp_ieee_invalid_op 0
		.amdhsa_exception_fp_denorm_src 0
		.amdhsa_exception_fp_ieee_div_zero 0
		.amdhsa_exception_fp_ieee_overflow 0
		.amdhsa_exception_fp_ieee_underflow 0
		.amdhsa_exception_fp_ieee_inexact 0
		.amdhsa_exception_int_div_zero 0
	.end_amdhsa_kernel
	.section	.text._ZN7rocprim17ROCPRIM_400000_NS6detail17trampoline_kernelINS0_14default_configENS1_27scan_by_key_config_selectorIitEEZZNS1_16scan_by_key_implILNS1_25lookback_scan_determinismE0ELb1ES3_N6thrust23THRUST_200600_302600_NS6detail15normal_iteratorINS9_10device_ptrIiEEEENSB_INSC_ItEEEESG_tNS9_4plusIvEENS9_8equal_toIvEEtEE10hipError_tPvRmT2_T3_T4_T5_mT6_T7_P12ihipStream_tbENKUlT_T0_E_clISt17integral_constantIbLb0EES11_EEDaSW_SX_EUlSW_E_NS1_11comp_targetILNS1_3genE10ELNS1_11target_archE1200ELNS1_3gpuE4ELNS1_3repE0EEENS1_30default_config_static_selectorELNS0_4arch9wavefront6targetE1EEEvT1_,"axG",@progbits,_ZN7rocprim17ROCPRIM_400000_NS6detail17trampoline_kernelINS0_14default_configENS1_27scan_by_key_config_selectorIitEEZZNS1_16scan_by_key_implILNS1_25lookback_scan_determinismE0ELb1ES3_N6thrust23THRUST_200600_302600_NS6detail15normal_iteratorINS9_10device_ptrIiEEEENSB_INSC_ItEEEESG_tNS9_4plusIvEENS9_8equal_toIvEEtEE10hipError_tPvRmT2_T3_T4_T5_mT6_T7_P12ihipStream_tbENKUlT_T0_E_clISt17integral_constantIbLb0EES11_EEDaSW_SX_EUlSW_E_NS1_11comp_targetILNS1_3genE10ELNS1_11target_archE1200ELNS1_3gpuE4ELNS1_3repE0EEENS1_30default_config_static_selectorELNS0_4arch9wavefront6targetE1EEEvT1_,comdat
.Lfunc_end1541:
	.size	_ZN7rocprim17ROCPRIM_400000_NS6detail17trampoline_kernelINS0_14default_configENS1_27scan_by_key_config_selectorIitEEZZNS1_16scan_by_key_implILNS1_25lookback_scan_determinismE0ELb1ES3_N6thrust23THRUST_200600_302600_NS6detail15normal_iteratorINS9_10device_ptrIiEEEENSB_INSC_ItEEEESG_tNS9_4plusIvEENS9_8equal_toIvEEtEE10hipError_tPvRmT2_T3_T4_T5_mT6_T7_P12ihipStream_tbENKUlT_T0_E_clISt17integral_constantIbLb0EES11_EEDaSW_SX_EUlSW_E_NS1_11comp_targetILNS1_3genE10ELNS1_11target_archE1200ELNS1_3gpuE4ELNS1_3repE0EEENS1_30default_config_static_selectorELNS0_4arch9wavefront6targetE1EEEvT1_, .Lfunc_end1541-_ZN7rocprim17ROCPRIM_400000_NS6detail17trampoline_kernelINS0_14default_configENS1_27scan_by_key_config_selectorIitEEZZNS1_16scan_by_key_implILNS1_25lookback_scan_determinismE0ELb1ES3_N6thrust23THRUST_200600_302600_NS6detail15normal_iteratorINS9_10device_ptrIiEEEENSB_INSC_ItEEEESG_tNS9_4plusIvEENS9_8equal_toIvEEtEE10hipError_tPvRmT2_T3_T4_T5_mT6_T7_P12ihipStream_tbENKUlT_T0_E_clISt17integral_constantIbLb0EES11_EEDaSW_SX_EUlSW_E_NS1_11comp_targetILNS1_3genE10ELNS1_11target_archE1200ELNS1_3gpuE4ELNS1_3repE0EEENS1_30default_config_static_selectorELNS0_4arch9wavefront6targetE1EEEvT1_
                                        ; -- End function
	.section	.AMDGPU.csdata,"",@progbits
; Kernel info:
; codeLenInByte = 0
; NumSgprs: 4
; NumVgprs: 0
; NumAgprs: 0
; TotalNumVgprs: 0
; ScratchSize: 0
; MemoryBound: 0
; FloatMode: 240
; IeeeMode: 1
; LDSByteSize: 0 bytes/workgroup (compile time only)
; SGPRBlocks: 0
; VGPRBlocks: 0
; NumSGPRsForWavesPerEU: 4
; NumVGPRsForWavesPerEU: 1
; AccumOffset: 4
; Occupancy: 8
; WaveLimiterHint : 0
; COMPUTE_PGM_RSRC2:SCRATCH_EN: 0
; COMPUTE_PGM_RSRC2:USER_SGPR: 6
; COMPUTE_PGM_RSRC2:TRAP_HANDLER: 0
; COMPUTE_PGM_RSRC2:TGID_X_EN: 1
; COMPUTE_PGM_RSRC2:TGID_Y_EN: 0
; COMPUTE_PGM_RSRC2:TGID_Z_EN: 0
; COMPUTE_PGM_RSRC2:TIDIG_COMP_CNT: 0
; COMPUTE_PGM_RSRC3_GFX90A:ACCUM_OFFSET: 0
; COMPUTE_PGM_RSRC3_GFX90A:TG_SPLIT: 0
	.section	.text._ZN7rocprim17ROCPRIM_400000_NS6detail17trampoline_kernelINS0_14default_configENS1_27scan_by_key_config_selectorIitEEZZNS1_16scan_by_key_implILNS1_25lookback_scan_determinismE0ELb1ES3_N6thrust23THRUST_200600_302600_NS6detail15normal_iteratorINS9_10device_ptrIiEEEENSB_INSC_ItEEEESG_tNS9_4plusIvEENS9_8equal_toIvEEtEE10hipError_tPvRmT2_T3_T4_T5_mT6_T7_P12ihipStream_tbENKUlT_T0_E_clISt17integral_constantIbLb0EES11_EEDaSW_SX_EUlSW_E_NS1_11comp_targetILNS1_3genE9ELNS1_11target_archE1100ELNS1_3gpuE3ELNS1_3repE0EEENS1_30default_config_static_selectorELNS0_4arch9wavefront6targetE1EEEvT1_,"axG",@progbits,_ZN7rocprim17ROCPRIM_400000_NS6detail17trampoline_kernelINS0_14default_configENS1_27scan_by_key_config_selectorIitEEZZNS1_16scan_by_key_implILNS1_25lookback_scan_determinismE0ELb1ES3_N6thrust23THRUST_200600_302600_NS6detail15normal_iteratorINS9_10device_ptrIiEEEENSB_INSC_ItEEEESG_tNS9_4plusIvEENS9_8equal_toIvEEtEE10hipError_tPvRmT2_T3_T4_T5_mT6_T7_P12ihipStream_tbENKUlT_T0_E_clISt17integral_constantIbLb0EES11_EEDaSW_SX_EUlSW_E_NS1_11comp_targetILNS1_3genE9ELNS1_11target_archE1100ELNS1_3gpuE3ELNS1_3repE0EEENS1_30default_config_static_selectorELNS0_4arch9wavefront6targetE1EEEvT1_,comdat
	.protected	_ZN7rocprim17ROCPRIM_400000_NS6detail17trampoline_kernelINS0_14default_configENS1_27scan_by_key_config_selectorIitEEZZNS1_16scan_by_key_implILNS1_25lookback_scan_determinismE0ELb1ES3_N6thrust23THRUST_200600_302600_NS6detail15normal_iteratorINS9_10device_ptrIiEEEENSB_INSC_ItEEEESG_tNS9_4plusIvEENS9_8equal_toIvEEtEE10hipError_tPvRmT2_T3_T4_T5_mT6_T7_P12ihipStream_tbENKUlT_T0_E_clISt17integral_constantIbLb0EES11_EEDaSW_SX_EUlSW_E_NS1_11comp_targetILNS1_3genE9ELNS1_11target_archE1100ELNS1_3gpuE3ELNS1_3repE0EEENS1_30default_config_static_selectorELNS0_4arch9wavefront6targetE1EEEvT1_ ; -- Begin function _ZN7rocprim17ROCPRIM_400000_NS6detail17trampoline_kernelINS0_14default_configENS1_27scan_by_key_config_selectorIitEEZZNS1_16scan_by_key_implILNS1_25lookback_scan_determinismE0ELb1ES3_N6thrust23THRUST_200600_302600_NS6detail15normal_iteratorINS9_10device_ptrIiEEEENSB_INSC_ItEEEESG_tNS9_4plusIvEENS9_8equal_toIvEEtEE10hipError_tPvRmT2_T3_T4_T5_mT6_T7_P12ihipStream_tbENKUlT_T0_E_clISt17integral_constantIbLb0EES11_EEDaSW_SX_EUlSW_E_NS1_11comp_targetILNS1_3genE9ELNS1_11target_archE1100ELNS1_3gpuE3ELNS1_3repE0EEENS1_30default_config_static_selectorELNS0_4arch9wavefront6targetE1EEEvT1_
	.globl	_ZN7rocprim17ROCPRIM_400000_NS6detail17trampoline_kernelINS0_14default_configENS1_27scan_by_key_config_selectorIitEEZZNS1_16scan_by_key_implILNS1_25lookback_scan_determinismE0ELb1ES3_N6thrust23THRUST_200600_302600_NS6detail15normal_iteratorINS9_10device_ptrIiEEEENSB_INSC_ItEEEESG_tNS9_4plusIvEENS9_8equal_toIvEEtEE10hipError_tPvRmT2_T3_T4_T5_mT6_T7_P12ihipStream_tbENKUlT_T0_E_clISt17integral_constantIbLb0EES11_EEDaSW_SX_EUlSW_E_NS1_11comp_targetILNS1_3genE9ELNS1_11target_archE1100ELNS1_3gpuE3ELNS1_3repE0EEENS1_30default_config_static_selectorELNS0_4arch9wavefront6targetE1EEEvT1_
	.p2align	8
	.type	_ZN7rocprim17ROCPRIM_400000_NS6detail17trampoline_kernelINS0_14default_configENS1_27scan_by_key_config_selectorIitEEZZNS1_16scan_by_key_implILNS1_25lookback_scan_determinismE0ELb1ES3_N6thrust23THRUST_200600_302600_NS6detail15normal_iteratorINS9_10device_ptrIiEEEENSB_INSC_ItEEEESG_tNS9_4plusIvEENS9_8equal_toIvEEtEE10hipError_tPvRmT2_T3_T4_T5_mT6_T7_P12ihipStream_tbENKUlT_T0_E_clISt17integral_constantIbLb0EES11_EEDaSW_SX_EUlSW_E_NS1_11comp_targetILNS1_3genE9ELNS1_11target_archE1100ELNS1_3gpuE3ELNS1_3repE0EEENS1_30default_config_static_selectorELNS0_4arch9wavefront6targetE1EEEvT1_,@function
_ZN7rocprim17ROCPRIM_400000_NS6detail17trampoline_kernelINS0_14default_configENS1_27scan_by_key_config_selectorIitEEZZNS1_16scan_by_key_implILNS1_25lookback_scan_determinismE0ELb1ES3_N6thrust23THRUST_200600_302600_NS6detail15normal_iteratorINS9_10device_ptrIiEEEENSB_INSC_ItEEEESG_tNS9_4plusIvEENS9_8equal_toIvEEtEE10hipError_tPvRmT2_T3_T4_T5_mT6_T7_P12ihipStream_tbENKUlT_T0_E_clISt17integral_constantIbLb0EES11_EEDaSW_SX_EUlSW_E_NS1_11comp_targetILNS1_3genE9ELNS1_11target_archE1100ELNS1_3gpuE3ELNS1_3repE0EEENS1_30default_config_static_selectorELNS0_4arch9wavefront6targetE1EEEvT1_: ; @_ZN7rocprim17ROCPRIM_400000_NS6detail17trampoline_kernelINS0_14default_configENS1_27scan_by_key_config_selectorIitEEZZNS1_16scan_by_key_implILNS1_25lookback_scan_determinismE0ELb1ES3_N6thrust23THRUST_200600_302600_NS6detail15normal_iteratorINS9_10device_ptrIiEEEENSB_INSC_ItEEEESG_tNS9_4plusIvEENS9_8equal_toIvEEtEE10hipError_tPvRmT2_T3_T4_T5_mT6_T7_P12ihipStream_tbENKUlT_T0_E_clISt17integral_constantIbLb0EES11_EEDaSW_SX_EUlSW_E_NS1_11comp_targetILNS1_3genE9ELNS1_11target_archE1100ELNS1_3gpuE3ELNS1_3repE0EEENS1_30default_config_static_selectorELNS0_4arch9wavefront6targetE1EEEvT1_
; %bb.0:
	.section	.rodata,"a",@progbits
	.p2align	6, 0x0
	.amdhsa_kernel _ZN7rocprim17ROCPRIM_400000_NS6detail17trampoline_kernelINS0_14default_configENS1_27scan_by_key_config_selectorIitEEZZNS1_16scan_by_key_implILNS1_25lookback_scan_determinismE0ELb1ES3_N6thrust23THRUST_200600_302600_NS6detail15normal_iteratorINS9_10device_ptrIiEEEENSB_INSC_ItEEEESG_tNS9_4plusIvEENS9_8equal_toIvEEtEE10hipError_tPvRmT2_T3_T4_T5_mT6_T7_P12ihipStream_tbENKUlT_T0_E_clISt17integral_constantIbLb0EES11_EEDaSW_SX_EUlSW_E_NS1_11comp_targetILNS1_3genE9ELNS1_11target_archE1100ELNS1_3gpuE3ELNS1_3repE0EEENS1_30default_config_static_selectorELNS0_4arch9wavefront6targetE1EEEvT1_
		.amdhsa_group_segment_fixed_size 0
		.amdhsa_private_segment_fixed_size 0
		.amdhsa_kernarg_size 112
		.amdhsa_user_sgpr_count 6
		.amdhsa_user_sgpr_private_segment_buffer 1
		.amdhsa_user_sgpr_dispatch_ptr 0
		.amdhsa_user_sgpr_queue_ptr 0
		.amdhsa_user_sgpr_kernarg_segment_ptr 1
		.amdhsa_user_sgpr_dispatch_id 0
		.amdhsa_user_sgpr_flat_scratch_init 0
		.amdhsa_user_sgpr_kernarg_preload_length 0
		.amdhsa_user_sgpr_kernarg_preload_offset 0
		.amdhsa_user_sgpr_private_segment_size 0
		.amdhsa_uses_dynamic_stack 0
		.amdhsa_system_sgpr_private_segment_wavefront_offset 0
		.amdhsa_system_sgpr_workgroup_id_x 1
		.amdhsa_system_sgpr_workgroup_id_y 0
		.amdhsa_system_sgpr_workgroup_id_z 0
		.amdhsa_system_sgpr_workgroup_info 0
		.amdhsa_system_vgpr_workitem_id 0
		.amdhsa_next_free_vgpr 1
		.amdhsa_next_free_sgpr 0
		.amdhsa_accum_offset 4
		.amdhsa_reserve_vcc 0
		.amdhsa_reserve_flat_scratch 0
		.amdhsa_float_round_mode_32 0
		.amdhsa_float_round_mode_16_64 0
		.amdhsa_float_denorm_mode_32 3
		.amdhsa_float_denorm_mode_16_64 3
		.amdhsa_dx10_clamp 1
		.amdhsa_ieee_mode 1
		.amdhsa_fp16_overflow 0
		.amdhsa_tg_split 0
		.amdhsa_exception_fp_ieee_invalid_op 0
		.amdhsa_exception_fp_denorm_src 0
		.amdhsa_exception_fp_ieee_div_zero 0
		.amdhsa_exception_fp_ieee_overflow 0
		.amdhsa_exception_fp_ieee_underflow 0
		.amdhsa_exception_fp_ieee_inexact 0
		.amdhsa_exception_int_div_zero 0
	.end_amdhsa_kernel
	.section	.text._ZN7rocprim17ROCPRIM_400000_NS6detail17trampoline_kernelINS0_14default_configENS1_27scan_by_key_config_selectorIitEEZZNS1_16scan_by_key_implILNS1_25lookback_scan_determinismE0ELb1ES3_N6thrust23THRUST_200600_302600_NS6detail15normal_iteratorINS9_10device_ptrIiEEEENSB_INSC_ItEEEESG_tNS9_4plusIvEENS9_8equal_toIvEEtEE10hipError_tPvRmT2_T3_T4_T5_mT6_T7_P12ihipStream_tbENKUlT_T0_E_clISt17integral_constantIbLb0EES11_EEDaSW_SX_EUlSW_E_NS1_11comp_targetILNS1_3genE9ELNS1_11target_archE1100ELNS1_3gpuE3ELNS1_3repE0EEENS1_30default_config_static_selectorELNS0_4arch9wavefront6targetE1EEEvT1_,"axG",@progbits,_ZN7rocprim17ROCPRIM_400000_NS6detail17trampoline_kernelINS0_14default_configENS1_27scan_by_key_config_selectorIitEEZZNS1_16scan_by_key_implILNS1_25lookback_scan_determinismE0ELb1ES3_N6thrust23THRUST_200600_302600_NS6detail15normal_iteratorINS9_10device_ptrIiEEEENSB_INSC_ItEEEESG_tNS9_4plusIvEENS9_8equal_toIvEEtEE10hipError_tPvRmT2_T3_T4_T5_mT6_T7_P12ihipStream_tbENKUlT_T0_E_clISt17integral_constantIbLb0EES11_EEDaSW_SX_EUlSW_E_NS1_11comp_targetILNS1_3genE9ELNS1_11target_archE1100ELNS1_3gpuE3ELNS1_3repE0EEENS1_30default_config_static_selectorELNS0_4arch9wavefront6targetE1EEEvT1_,comdat
.Lfunc_end1542:
	.size	_ZN7rocprim17ROCPRIM_400000_NS6detail17trampoline_kernelINS0_14default_configENS1_27scan_by_key_config_selectorIitEEZZNS1_16scan_by_key_implILNS1_25lookback_scan_determinismE0ELb1ES3_N6thrust23THRUST_200600_302600_NS6detail15normal_iteratorINS9_10device_ptrIiEEEENSB_INSC_ItEEEESG_tNS9_4plusIvEENS9_8equal_toIvEEtEE10hipError_tPvRmT2_T3_T4_T5_mT6_T7_P12ihipStream_tbENKUlT_T0_E_clISt17integral_constantIbLb0EES11_EEDaSW_SX_EUlSW_E_NS1_11comp_targetILNS1_3genE9ELNS1_11target_archE1100ELNS1_3gpuE3ELNS1_3repE0EEENS1_30default_config_static_selectorELNS0_4arch9wavefront6targetE1EEEvT1_, .Lfunc_end1542-_ZN7rocprim17ROCPRIM_400000_NS6detail17trampoline_kernelINS0_14default_configENS1_27scan_by_key_config_selectorIitEEZZNS1_16scan_by_key_implILNS1_25lookback_scan_determinismE0ELb1ES3_N6thrust23THRUST_200600_302600_NS6detail15normal_iteratorINS9_10device_ptrIiEEEENSB_INSC_ItEEEESG_tNS9_4plusIvEENS9_8equal_toIvEEtEE10hipError_tPvRmT2_T3_T4_T5_mT6_T7_P12ihipStream_tbENKUlT_T0_E_clISt17integral_constantIbLb0EES11_EEDaSW_SX_EUlSW_E_NS1_11comp_targetILNS1_3genE9ELNS1_11target_archE1100ELNS1_3gpuE3ELNS1_3repE0EEENS1_30default_config_static_selectorELNS0_4arch9wavefront6targetE1EEEvT1_
                                        ; -- End function
	.section	.AMDGPU.csdata,"",@progbits
; Kernel info:
; codeLenInByte = 0
; NumSgprs: 4
; NumVgprs: 0
; NumAgprs: 0
; TotalNumVgprs: 0
; ScratchSize: 0
; MemoryBound: 0
; FloatMode: 240
; IeeeMode: 1
; LDSByteSize: 0 bytes/workgroup (compile time only)
; SGPRBlocks: 0
; VGPRBlocks: 0
; NumSGPRsForWavesPerEU: 4
; NumVGPRsForWavesPerEU: 1
; AccumOffset: 4
; Occupancy: 8
; WaveLimiterHint : 0
; COMPUTE_PGM_RSRC2:SCRATCH_EN: 0
; COMPUTE_PGM_RSRC2:USER_SGPR: 6
; COMPUTE_PGM_RSRC2:TRAP_HANDLER: 0
; COMPUTE_PGM_RSRC2:TGID_X_EN: 1
; COMPUTE_PGM_RSRC2:TGID_Y_EN: 0
; COMPUTE_PGM_RSRC2:TGID_Z_EN: 0
; COMPUTE_PGM_RSRC2:TIDIG_COMP_CNT: 0
; COMPUTE_PGM_RSRC3_GFX90A:ACCUM_OFFSET: 0
; COMPUTE_PGM_RSRC3_GFX90A:TG_SPLIT: 0
	.section	.text._ZN7rocprim17ROCPRIM_400000_NS6detail17trampoline_kernelINS0_14default_configENS1_27scan_by_key_config_selectorIitEEZZNS1_16scan_by_key_implILNS1_25lookback_scan_determinismE0ELb1ES3_N6thrust23THRUST_200600_302600_NS6detail15normal_iteratorINS9_10device_ptrIiEEEENSB_INSC_ItEEEESG_tNS9_4plusIvEENS9_8equal_toIvEEtEE10hipError_tPvRmT2_T3_T4_T5_mT6_T7_P12ihipStream_tbENKUlT_T0_E_clISt17integral_constantIbLb0EES11_EEDaSW_SX_EUlSW_E_NS1_11comp_targetILNS1_3genE8ELNS1_11target_archE1030ELNS1_3gpuE2ELNS1_3repE0EEENS1_30default_config_static_selectorELNS0_4arch9wavefront6targetE1EEEvT1_,"axG",@progbits,_ZN7rocprim17ROCPRIM_400000_NS6detail17trampoline_kernelINS0_14default_configENS1_27scan_by_key_config_selectorIitEEZZNS1_16scan_by_key_implILNS1_25lookback_scan_determinismE0ELb1ES3_N6thrust23THRUST_200600_302600_NS6detail15normal_iteratorINS9_10device_ptrIiEEEENSB_INSC_ItEEEESG_tNS9_4plusIvEENS9_8equal_toIvEEtEE10hipError_tPvRmT2_T3_T4_T5_mT6_T7_P12ihipStream_tbENKUlT_T0_E_clISt17integral_constantIbLb0EES11_EEDaSW_SX_EUlSW_E_NS1_11comp_targetILNS1_3genE8ELNS1_11target_archE1030ELNS1_3gpuE2ELNS1_3repE0EEENS1_30default_config_static_selectorELNS0_4arch9wavefront6targetE1EEEvT1_,comdat
	.protected	_ZN7rocprim17ROCPRIM_400000_NS6detail17trampoline_kernelINS0_14default_configENS1_27scan_by_key_config_selectorIitEEZZNS1_16scan_by_key_implILNS1_25lookback_scan_determinismE0ELb1ES3_N6thrust23THRUST_200600_302600_NS6detail15normal_iteratorINS9_10device_ptrIiEEEENSB_INSC_ItEEEESG_tNS9_4plusIvEENS9_8equal_toIvEEtEE10hipError_tPvRmT2_T3_T4_T5_mT6_T7_P12ihipStream_tbENKUlT_T0_E_clISt17integral_constantIbLb0EES11_EEDaSW_SX_EUlSW_E_NS1_11comp_targetILNS1_3genE8ELNS1_11target_archE1030ELNS1_3gpuE2ELNS1_3repE0EEENS1_30default_config_static_selectorELNS0_4arch9wavefront6targetE1EEEvT1_ ; -- Begin function _ZN7rocprim17ROCPRIM_400000_NS6detail17trampoline_kernelINS0_14default_configENS1_27scan_by_key_config_selectorIitEEZZNS1_16scan_by_key_implILNS1_25lookback_scan_determinismE0ELb1ES3_N6thrust23THRUST_200600_302600_NS6detail15normal_iteratorINS9_10device_ptrIiEEEENSB_INSC_ItEEEESG_tNS9_4plusIvEENS9_8equal_toIvEEtEE10hipError_tPvRmT2_T3_T4_T5_mT6_T7_P12ihipStream_tbENKUlT_T0_E_clISt17integral_constantIbLb0EES11_EEDaSW_SX_EUlSW_E_NS1_11comp_targetILNS1_3genE8ELNS1_11target_archE1030ELNS1_3gpuE2ELNS1_3repE0EEENS1_30default_config_static_selectorELNS0_4arch9wavefront6targetE1EEEvT1_
	.globl	_ZN7rocprim17ROCPRIM_400000_NS6detail17trampoline_kernelINS0_14default_configENS1_27scan_by_key_config_selectorIitEEZZNS1_16scan_by_key_implILNS1_25lookback_scan_determinismE0ELb1ES3_N6thrust23THRUST_200600_302600_NS6detail15normal_iteratorINS9_10device_ptrIiEEEENSB_INSC_ItEEEESG_tNS9_4plusIvEENS9_8equal_toIvEEtEE10hipError_tPvRmT2_T3_T4_T5_mT6_T7_P12ihipStream_tbENKUlT_T0_E_clISt17integral_constantIbLb0EES11_EEDaSW_SX_EUlSW_E_NS1_11comp_targetILNS1_3genE8ELNS1_11target_archE1030ELNS1_3gpuE2ELNS1_3repE0EEENS1_30default_config_static_selectorELNS0_4arch9wavefront6targetE1EEEvT1_
	.p2align	8
	.type	_ZN7rocprim17ROCPRIM_400000_NS6detail17trampoline_kernelINS0_14default_configENS1_27scan_by_key_config_selectorIitEEZZNS1_16scan_by_key_implILNS1_25lookback_scan_determinismE0ELb1ES3_N6thrust23THRUST_200600_302600_NS6detail15normal_iteratorINS9_10device_ptrIiEEEENSB_INSC_ItEEEESG_tNS9_4plusIvEENS9_8equal_toIvEEtEE10hipError_tPvRmT2_T3_T4_T5_mT6_T7_P12ihipStream_tbENKUlT_T0_E_clISt17integral_constantIbLb0EES11_EEDaSW_SX_EUlSW_E_NS1_11comp_targetILNS1_3genE8ELNS1_11target_archE1030ELNS1_3gpuE2ELNS1_3repE0EEENS1_30default_config_static_selectorELNS0_4arch9wavefront6targetE1EEEvT1_,@function
_ZN7rocprim17ROCPRIM_400000_NS6detail17trampoline_kernelINS0_14default_configENS1_27scan_by_key_config_selectorIitEEZZNS1_16scan_by_key_implILNS1_25lookback_scan_determinismE0ELb1ES3_N6thrust23THRUST_200600_302600_NS6detail15normal_iteratorINS9_10device_ptrIiEEEENSB_INSC_ItEEEESG_tNS9_4plusIvEENS9_8equal_toIvEEtEE10hipError_tPvRmT2_T3_T4_T5_mT6_T7_P12ihipStream_tbENKUlT_T0_E_clISt17integral_constantIbLb0EES11_EEDaSW_SX_EUlSW_E_NS1_11comp_targetILNS1_3genE8ELNS1_11target_archE1030ELNS1_3gpuE2ELNS1_3repE0EEENS1_30default_config_static_selectorELNS0_4arch9wavefront6targetE1EEEvT1_: ; @_ZN7rocprim17ROCPRIM_400000_NS6detail17trampoline_kernelINS0_14default_configENS1_27scan_by_key_config_selectorIitEEZZNS1_16scan_by_key_implILNS1_25lookback_scan_determinismE0ELb1ES3_N6thrust23THRUST_200600_302600_NS6detail15normal_iteratorINS9_10device_ptrIiEEEENSB_INSC_ItEEEESG_tNS9_4plusIvEENS9_8equal_toIvEEtEE10hipError_tPvRmT2_T3_T4_T5_mT6_T7_P12ihipStream_tbENKUlT_T0_E_clISt17integral_constantIbLb0EES11_EEDaSW_SX_EUlSW_E_NS1_11comp_targetILNS1_3genE8ELNS1_11target_archE1030ELNS1_3gpuE2ELNS1_3repE0EEENS1_30default_config_static_selectorELNS0_4arch9wavefront6targetE1EEEvT1_
; %bb.0:
	.section	.rodata,"a",@progbits
	.p2align	6, 0x0
	.amdhsa_kernel _ZN7rocprim17ROCPRIM_400000_NS6detail17trampoline_kernelINS0_14default_configENS1_27scan_by_key_config_selectorIitEEZZNS1_16scan_by_key_implILNS1_25lookback_scan_determinismE0ELb1ES3_N6thrust23THRUST_200600_302600_NS6detail15normal_iteratorINS9_10device_ptrIiEEEENSB_INSC_ItEEEESG_tNS9_4plusIvEENS9_8equal_toIvEEtEE10hipError_tPvRmT2_T3_T4_T5_mT6_T7_P12ihipStream_tbENKUlT_T0_E_clISt17integral_constantIbLb0EES11_EEDaSW_SX_EUlSW_E_NS1_11comp_targetILNS1_3genE8ELNS1_11target_archE1030ELNS1_3gpuE2ELNS1_3repE0EEENS1_30default_config_static_selectorELNS0_4arch9wavefront6targetE1EEEvT1_
		.amdhsa_group_segment_fixed_size 0
		.amdhsa_private_segment_fixed_size 0
		.amdhsa_kernarg_size 112
		.amdhsa_user_sgpr_count 6
		.amdhsa_user_sgpr_private_segment_buffer 1
		.amdhsa_user_sgpr_dispatch_ptr 0
		.amdhsa_user_sgpr_queue_ptr 0
		.amdhsa_user_sgpr_kernarg_segment_ptr 1
		.amdhsa_user_sgpr_dispatch_id 0
		.amdhsa_user_sgpr_flat_scratch_init 0
		.amdhsa_user_sgpr_kernarg_preload_length 0
		.amdhsa_user_sgpr_kernarg_preload_offset 0
		.amdhsa_user_sgpr_private_segment_size 0
		.amdhsa_uses_dynamic_stack 0
		.amdhsa_system_sgpr_private_segment_wavefront_offset 0
		.amdhsa_system_sgpr_workgroup_id_x 1
		.amdhsa_system_sgpr_workgroup_id_y 0
		.amdhsa_system_sgpr_workgroup_id_z 0
		.amdhsa_system_sgpr_workgroup_info 0
		.amdhsa_system_vgpr_workitem_id 0
		.amdhsa_next_free_vgpr 1
		.amdhsa_next_free_sgpr 0
		.amdhsa_accum_offset 4
		.amdhsa_reserve_vcc 0
		.amdhsa_reserve_flat_scratch 0
		.amdhsa_float_round_mode_32 0
		.amdhsa_float_round_mode_16_64 0
		.amdhsa_float_denorm_mode_32 3
		.amdhsa_float_denorm_mode_16_64 3
		.amdhsa_dx10_clamp 1
		.amdhsa_ieee_mode 1
		.amdhsa_fp16_overflow 0
		.amdhsa_tg_split 0
		.amdhsa_exception_fp_ieee_invalid_op 0
		.amdhsa_exception_fp_denorm_src 0
		.amdhsa_exception_fp_ieee_div_zero 0
		.amdhsa_exception_fp_ieee_overflow 0
		.amdhsa_exception_fp_ieee_underflow 0
		.amdhsa_exception_fp_ieee_inexact 0
		.amdhsa_exception_int_div_zero 0
	.end_amdhsa_kernel
	.section	.text._ZN7rocprim17ROCPRIM_400000_NS6detail17trampoline_kernelINS0_14default_configENS1_27scan_by_key_config_selectorIitEEZZNS1_16scan_by_key_implILNS1_25lookback_scan_determinismE0ELb1ES3_N6thrust23THRUST_200600_302600_NS6detail15normal_iteratorINS9_10device_ptrIiEEEENSB_INSC_ItEEEESG_tNS9_4plusIvEENS9_8equal_toIvEEtEE10hipError_tPvRmT2_T3_T4_T5_mT6_T7_P12ihipStream_tbENKUlT_T0_E_clISt17integral_constantIbLb0EES11_EEDaSW_SX_EUlSW_E_NS1_11comp_targetILNS1_3genE8ELNS1_11target_archE1030ELNS1_3gpuE2ELNS1_3repE0EEENS1_30default_config_static_selectorELNS0_4arch9wavefront6targetE1EEEvT1_,"axG",@progbits,_ZN7rocprim17ROCPRIM_400000_NS6detail17trampoline_kernelINS0_14default_configENS1_27scan_by_key_config_selectorIitEEZZNS1_16scan_by_key_implILNS1_25lookback_scan_determinismE0ELb1ES3_N6thrust23THRUST_200600_302600_NS6detail15normal_iteratorINS9_10device_ptrIiEEEENSB_INSC_ItEEEESG_tNS9_4plusIvEENS9_8equal_toIvEEtEE10hipError_tPvRmT2_T3_T4_T5_mT6_T7_P12ihipStream_tbENKUlT_T0_E_clISt17integral_constantIbLb0EES11_EEDaSW_SX_EUlSW_E_NS1_11comp_targetILNS1_3genE8ELNS1_11target_archE1030ELNS1_3gpuE2ELNS1_3repE0EEENS1_30default_config_static_selectorELNS0_4arch9wavefront6targetE1EEEvT1_,comdat
.Lfunc_end1543:
	.size	_ZN7rocprim17ROCPRIM_400000_NS6detail17trampoline_kernelINS0_14default_configENS1_27scan_by_key_config_selectorIitEEZZNS1_16scan_by_key_implILNS1_25lookback_scan_determinismE0ELb1ES3_N6thrust23THRUST_200600_302600_NS6detail15normal_iteratorINS9_10device_ptrIiEEEENSB_INSC_ItEEEESG_tNS9_4plusIvEENS9_8equal_toIvEEtEE10hipError_tPvRmT2_T3_T4_T5_mT6_T7_P12ihipStream_tbENKUlT_T0_E_clISt17integral_constantIbLb0EES11_EEDaSW_SX_EUlSW_E_NS1_11comp_targetILNS1_3genE8ELNS1_11target_archE1030ELNS1_3gpuE2ELNS1_3repE0EEENS1_30default_config_static_selectorELNS0_4arch9wavefront6targetE1EEEvT1_, .Lfunc_end1543-_ZN7rocprim17ROCPRIM_400000_NS6detail17trampoline_kernelINS0_14default_configENS1_27scan_by_key_config_selectorIitEEZZNS1_16scan_by_key_implILNS1_25lookback_scan_determinismE0ELb1ES3_N6thrust23THRUST_200600_302600_NS6detail15normal_iteratorINS9_10device_ptrIiEEEENSB_INSC_ItEEEESG_tNS9_4plusIvEENS9_8equal_toIvEEtEE10hipError_tPvRmT2_T3_T4_T5_mT6_T7_P12ihipStream_tbENKUlT_T0_E_clISt17integral_constantIbLb0EES11_EEDaSW_SX_EUlSW_E_NS1_11comp_targetILNS1_3genE8ELNS1_11target_archE1030ELNS1_3gpuE2ELNS1_3repE0EEENS1_30default_config_static_selectorELNS0_4arch9wavefront6targetE1EEEvT1_
                                        ; -- End function
	.section	.AMDGPU.csdata,"",@progbits
; Kernel info:
; codeLenInByte = 0
; NumSgprs: 4
; NumVgprs: 0
; NumAgprs: 0
; TotalNumVgprs: 0
; ScratchSize: 0
; MemoryBound: 0
; FloatMode: 240
; IeeeMode: 1
; LDSByteSize: 0 bytes/workgroup (compile time only)
; SGPRBlocks: 0
; VGPRBlocks: 0
; NumSGPRsForWavesPerEU: 4
; NumVGPRsForWavesPerEU: 1
; AccumOffset: 4
; Occupancy: 8
; WaveLimiterHint : 0
; COMPUTE_PGM_RSRC2:SCRATCH_EN: 0
; COMPUTE_PGM_RSRC2:USER_SGPR: 6
; COMPUTE_PGM_RSRC2:TRAP_HANDLER: 0
; COMPUTE_PGM_RSRC2:TGID_X_EN: 1
; COMPUTE_PGM_RSRC2:TGID_Y_EN: 0
; COMPUTE_PGM_RSRC2:TGID_Z_EN: 0
; COMPUTE_PGM_RSRC2:TIDIG_COMP_CNT: 0
; COMPUTE_PGM_RSRC3_GFX90A:ACCUM_OFFSET: 0
; COMPUTE_PGM_RSRC3_GFX90A:TG_SPLIT: 0
	.section	.text._ZN7rocprim17ROCPRIM_400000_NS6detail17trampoline_kernelINS0_14default_configENS1_27scan_by_key_config_selectorIitEEZZNS1_16scan_by_key_implILNS1_25lookback_scan_determinismE0ELb1ES3_N6thrust23THRUST_200600_302600_NS6detail15normal_iteratorINS9_10device_ptrIiEEEENSB_INSC_ItEEEESG_tNS9_4plusIvEENS9_8equal_toIvEEtEE10hipError_tPvRmT2_T3_T4_T5_mT6_T7_P12ihipStream_tbENKUlT_T0_E_clISt17integral_constantIbLb1EES11_EEDaSW_SX_EUlSW_E_NS1_11comp_targetILNS1_3genE0ELNS1_11target_archE4294967295ELNS1_3gpuE0ELNS1_3repE0EEENS1_30default_config_static_selectorELNS0_4arch9wavefront6targetE1EEEvT1_,"axG",@progbits,_ZN7rocprim17ROCPRIM_400000_NS6detail17trampoline_kernelINS0_14default_configENS1_27scan_by_key_config_selectorIitEEZZNS1_16scan_by_key_implILNS1_25lookback_scan_determinismE0ELb1ES3_N6thrust23THRUST_200600_302600_NS6detail15normal_iteratorINS9_10device_ptrIiEEEENSB_INSC_ItEEEESG_tNS9_4plusIvEENS9_8equal_toIvEEtEE10hipError_tPvRmT2_T3_T4_T5_mT6_T7_P12ihipStream_tbENKUlT_T0_E_clISt17integral_constantIbLb1EES11_EEDaSW_SX_EUlSW_E_NS1_11comp_targetILNS1_3genE0ELNS1_11target_archE4294967295ELNS1_3gpuE0ELNS1_3repE0EEENS1_30default_config_static_selectorELNS0_4arch9wavefront6targetE1EEEvT1_,comdat
	.protected	_ZN7rocprim17ROCPRIM_400000_NS6detail17trampoline_kernelINS0_14default_configENS1_27scan_by_key_config_selectorIitEEZZNS1_16scan_by_key_implILNS1_25lookback_scan_determinismE0ELb1ES3_N6thrust23THRUST_200600_302600_NS6detail15normal_iteratorINS9_10device_ptrIiEEEENSB_INSC_ItEEEESG_tNS9_4plusIvEENS9_8equal_toIvEEtEE10hipError_tPvRmT2_T3_T4_T5_mT6_T7_P12ihipStream_tbENKUlT_T0_E_clISt17integral_constantIbLb1EES11_EEDaSW_SX_EUlSW_E_NS1_11comp_targetILNS1_3genE0ELNS1_11target_archE4294967295ELNS1_3gpuE0ELNS1_3repE0EEENS1_30default_config_static_selectorELNS0_4arch9wavefront6targetE1EEEvT1_ ; -- Begin function _ZN7rocprim17ROCPRIM_400000_NS6detail17trampoline_kernelINS0_14default_configENS1_27scan_by_key_config_selectorIitEEZZNS1_16scan_by_key_implILNS1_25lookback_scan_determinismE0ELb1ES3_N6thrust23THRUST_200600_302600_NS6detail15normal_iteratorINS9_10device_ptrIiEEEENSB_INSC_ItEEEESG_tNS9_4plusIvEENS9_8equal_toIvEEtEE10hipError_tPvRmT2_T3_T4_T5_mT6_T7_P12ihipStream_tbENKUlT_T0_E_clISt17integral_constantIbLb1EES11_EEDaSW_SX_EUlSW_E_NS1_11comp_targetILNS1_3genE0ELNS1_11target_archE4294967295ELNS1_3gpuE0ELNS1_3repE0EEENS1_30default_config_static_selectorELNS0_4arch9wavefront6targetE1EEEvT1_
	.globl	_ZN7rocprim17ROCPRIM_400000_NS6detail17trampoline_kernelINS0_14default_configENS1_27scan_by_key_config_selectorIitEEZZNS1_16scan_by_key_implILNS1_25lookback_scan_determinismE0ELb1ES3_N6thrust23THRUST_200600_302600_NS6detail15normal_iteratorINS9_10device_ptrIiEEEENSB_INSC_ItEEEESG_tNS9_4plusIvEENS9_8equal_toIvEEtEE10hipError_tPvRmT2_T3_T4_T5_mT6_T7_P12ihipStream_tbENKUlT_T0_E_clISt17integral_constantIbLb1EES11_EEDaSW_SX_EUlSW_E_NS1_11comp_targetILNS1_3genE0ELNS1_11target_archE4294967295ELNS1_3gpuE0ELNS1_3repE0EEENS1_30default_config_static_selectorELNS0_4arch9wavefront6targetE1EEEvT1_
	.p2align	8
	.type	_ZN7rocprim17ROCPRIM_400000_NS6detail17trampoline_kernelINS0_14default_configENS1_27scan_by_key_config_selectorIitEEZZNS1_16scan_by_key_implILNS1_25lookback_scan_determinismE0ELb1ES3_N6thrust23THRUST_200600_302600_NS6detail15normal_iteratorINS9_10device_ptrIiEEEENSB_INSC_ItEEEESG_tNS9_4plusIvEENS9_8equal_toIvEEtEE10hipError_tPvRmT2_T3_T4_T5_mT6_T7_P12ihipStream_tbENKUlT_T0_E_clISt17integral_constantIbLb1EES11_EEDaSW_SX_EUlSW_E_NS1_11comp_targetILNS1_3genE0ELNS1_11target_archE4294967295ELNS1_3gpuE0ELNS1_3repE0EEENS1_30default_config_static_selectorELNS0_4arch9wavefront6targetE1EEEvT1_,@function
_ZN7rocprim17ROCPRIM_400000_NS6detail17trampoline_kernelINS0_14default_configENS1_27scan_by_key_config_selectorIitEEZZNS1_16scan_by_key_implILNS1_25lookback_scan_determinismE0ELb1ES3_N6thrust23THRUST_200600_302600_NS6detail15normal_iteratorINS9_10device_ptrIiEEEENSB_INSC_ItEEEESG_tNS9_4plusIvEENS9_8equal_toIvEEtEE10hipError_tPvRmT2_T3_T4_T5_mT6_T7_P12ihipStream_tbENKUlT_T0_E_clISt17integral_constantIbLb1EES11_EEDaSW_SX_EUlSW_E_NS1_11comp_targetILNS1_3genE0ELNS1_11target_archE4294967295ELNS1_3gpuE0ELNS1_3repE0EEENS1_30default_config_static_selectorELNS0_4arch9wavefront6targetE1EEEvT1_: ; @_ZN7rocprim17ROCPRIM_400000_NS6detail17trampoline_kernelINS0_14default_configENS1_27scan_by_key_config_selectorIitEEZZNS1_16scan_by_key_implILNS1_25lookback_scan_determinismE0ELb1ES3_N6thrust23THRUST_200600_302600_NS6detail15normal_iteratorINS9_10device_ptrIiEEEENSB_INSC_ItEEEESG_tNS9_4plusIvEENS9_8equal_toIvEEtEE10hipError_tPvRmT2_T3_T4_T5_mT6_T7_P12ihipStream_tbENKUlT_T0_E_clISt17integral_constantIbLb1EES11_EEDaSW_SX_EUlSW_E_NS1_11comp_targetILNS1_3genE0ELNS1_11target_archE4294967295ELNS1_3gpuE0ELNS1_3repE0EEENS1_30default_config_static_selectorELNS0_4arch9wavefront6targetE1EEEvT1_
; %bb.0:
	.section	.rodata,"a",@progbits
	.p2align	6, 0x0
	.amdhsa_kernel _ZN7rocprim17ROCPRIM_400000_NS6detail17trampoline_kernelINS0_14default_configENS1_27scan_by_key_config_selectorIitEEZZNS1_16scan_by_key_implILNS1_25lookback_scan_determinismE0ELb1ES3_N6thrust23THRUST_200600_302600_NS6detail15normal_iteratorINS9_10device_ptrIiEEEENSB_INSC_ItEEEESG_tNS9_4plusIvEENS9_8equal_toIvEEtEE10hipError_tPvRmT2_T3_T4_T5_mT6_T7_P12ihipStream_tbENKUlT_T0_E_clISt17integral_constantIbLb1EES11_EEDaSW_SX_EUlSW_E_NS1_11comp_targetILNS1_3genE0ELNS1_11target_archE4294967295ELNS1_3gpuE0ELNS1_3repE0EEENS1_30default_config_static_selectorELNS0_4arch9wavefront6targetE1EEEvT1_
		.amdhsa_group_segment_fixed_size 0
		.amdhsa_private_segment_fixed_size 0
		.amdhsa_kernarg_size 112
		.amdhsa_user_sgpr_count 6
		.amdhsa_user_sgpr_private_segment_buffer 1
		.amdhsa_user_sgpr_dispatch_ptr 0
		.amdhsa_user_sgpr_queue_ptr 0
		.amdhsa_user_sgpr_kernarg_segment_ptr 1
		.amdhsa_user_sgpr_dispatch_id 0
		.amdhsa_user_sgpr_flat_scratch_init 0
		.amdhsa_user_sgpr_kernarg_preload_length 0
		.amdhsa_user_sgpr_kernarg_preload_offset 0
		.amdhsa_user_sgpr_private_segment_size 0
		.amdhsa_uses_dynamic_stack 0
		.amdhsa_system_sgpr_private_segment_wavefront_offset 0
		.amdhsa_system_sgpr_workgroup_id_x 1
		.amdhsa_system_sgpr_workgroup_id_y 0
		.amdhsa_system_sgpr_workgroup_id_z 0
		.amdhsa_system_sgpr_workgroup_info 0
		.amdhsa_system_vgpr_workitem_id 0
		.amdhsa_next_free_vgpr 1
		.amdhsa_next_free_sgpr 0
		.amdhsa_accum_offset 4
		.amdhsa_reserve_vcc 0
		.amdhsa_reserve_flat_scratch 0
		.amdhsa_float_round_mode_32 0
		.amdhsa_float_round_mode_16_64 0
		.amdhsa_float_denorm_mode_32 3
		.amdhsa_float_denorm_mode_16_64 3
		.amdhsa_dx10_clamp 1
		.amdhsa_ieee_mode 1
		.amdhsa_fp16_overflow 0
		.amdhsa_tg_split 0
		.amdhsa_exception_fp_ieee_invalid_op 0
		.amdhsa_exception_fp_denorm_src 0
		.amdhsa_exception_fp_ieee_div_zero 0
		.amdhsa_exception_fp_ieee_overflow 0
		.amdhsa_exception_fp_ieee_underflow 0
		.amdhsa_exception_fp_ieee_inexact 0
		.amdhsa_exception_int_div_zero 0
	.end_amdhsa_kernel
	.section	.text._ZN7rocprim17ROCPRIM_400000_NS6detail17trampoline_kernelINS0_14default_configENS1_27scan_by_key_config_selectorIitEEZZNS1_16scan_by_key_implILNS1_25lookback_scan_determinismE0ELb1ES3_N6thrust23THRUST_200600_302600_NS6detail15normal_iteratorINS9_10device_ptrIiEEEENSB_INSC_ItEEEESG_tNS9_4plusIvEENS9_8equal_toIvEEtEE10hipError_tPvRmT2_T3_T4_T5_mT6_T7_P12ihipStream_tbENKUlT_T0_E_clISt17integral_constantIbLb1EES11_EEDaSW_SX_EUlSW_E_NS1_11comp_targetILNS1_3genE0ELNS1_11target_archE4294967295ELNS1_3gpuE0ELNS1_3repE0EEENS1_30default_config_static_selectorELNS0_4arch9wavefront6targetE1EEEvT1_,"axG",@progbits,_ZN7rocprim17ROCPRIM_400000_NS6detail17trampoline_kernelINS0_14default_configENS1_27scan_by_key_config_selectorIitEEZZNS1_16scan_by_key_implILNS1_25lookback_scan_determinismE0ELb1ES3_N6thrust23THRUST_200600_302600_NS6detail15normal_iteratorINS9_10device_ptrIiEEEENSB_INSC_ItEEEESG_tNS9_4plusIvEENS9_8equal_toIvEEtEE10hipError_tPvRmT2_T3_T4_T5_mT6_T7_P12ihipStream_tbENKUlT_T0_E_clISt17integral_constantIbLb1EES11_EEDaSW_SX_EUlSW_E_NS1_11comp_targetILNS1_3genE0ELNS1_11target_archE4294967295ELNS1_3gpuE0ELNS1_3repE0EEENS1_30default_config_static_selectorELNS0_4arch9wavefront6targetE1EEEvT1_,comdat
.Lfunc_end1544:
	.size	_ZN7rocprim17ROCPRIM_400000_NS6detail17trampoline_kernelINS0_14default_configENS1_27scan_by_key_config_selectorIitEEZZNS1_16scan_by_key_implILNS1_25lookback_scan_determinismE0ELb1ES3_N6thrust23THRUST_200600_302600_NS6detail15normal_iteratorINS9_10device_ptrIiEEEENSB_INSC_ItEEEESG_tNS9_4plusIvEENS9_8equal_toIvEEtEE10hipError_tPvRmT2_T3_T4_T5_mT6_T7_P12ihipStream_tbENKUlT_T0_E_clISt17integral_constantIbLb1EES11_EEDaSW_SX_EUlSW_E_NS1_11comp_targetILNS1_3genE0ELNS1_11target_archE4294967295ELNS1_3gpuE0ELNS1_3repE0EEENS1_30default_config_static_selectorELNS0_4arch9wavefront6targetE1EEEvT1_, .Lfunc_end1544-_ZN7rocprim17ROCPRIM_400000_NS6detail17trampoline_kernelINS0_14default_configENS1_27scan_by_key_config_selectorIitEEZZNS1_16scan_by_key_implILNS1_25lookback_scan_determinismE0ELb1ES3_N6thrust23THRUST_200600_302600_NS6detail15normal_iteratorINS9_10device_ptrIiEEEENSB_INSC_ItEEEESG_tNS9_4plusIvEENS9_8equal_toIvEEtEE10hipError_tPvRmT2_T3_T4_T5_mT6_T7_P12ihipStream_tbENKUlT_T0_E_clISt17integral_constantIbLb1EES11_EEDaSW_SX_EUlSW_E_NS1_11comp_targetILNS1_3genE0ELNS1_11target_archE4294967295ELNS1_3gpuE0ELNS1_3repE0EEENS1_30default_config_static_selectorELNS0_4arch9wavefront6targetE1EEEvT1_
                                        ; -- End function
	.section	.AMDGPU.csdata,"",@progbits
; Kernel info:
; codeLenInByte = 0
; NumSgprs: 4
; NumVgprs: 0
; NumAgprs: 0
; TotalNumVgprs: 0
; ScratchSize: 0
; MemoryBound: 0
; FloatMode: 240
; IeeeMode: 1
; LDSByteSize: 0 bytes/workgroup (compile time only)
; SGPRBlocks: 0
; VGPRBlocks: 0
; NumSGPRsForWavesPerEU: 4
; NumVGPRsForWavesPerEU: 1
; AccumOffset: 4
; Occupancy: 8
; WaveLimiterHint : 0
; COMPUTE_PGM_RSRC2:SCRATCH_EN: 0
; COMPUTE_PGM_RSRC2:USER_SGPR: 6
; COMPUTE_PGM_RSRC2:TRAP_HANDLER: 0
; COMPUTE_PGM_RSRC2:TGID_X_EN: 1
; COMPUTE_PGM_RSRC2:TGID_Y_EN: 0
; COMPUTE_PGM_RSRC2:TGID_Z_EN: 0
; COMPUTE_PGM_RSRC2:TIDIG_COMP_CNT: 0
; COMPUTE_PGM_RSRC3_GFX90A:ACCUM_OFFSET: 0
; COMPUTE_PGM_RSRC3_GFX90A:TG_SPLIT: 0
	.section	.text._ZN7rocprim17ROCPRIM_400000_NS6detail17trampoline_kernelINS0_14default_configENS1_27scan_by_key_config_selectorIitEEZZNS1_16scan_by_key_implILNS1_25lookback_scan_determinismE0ELb1ES3_N6thrust23THRUST_200600_302600_NS6detail15normal_iteratorINS9_10device_ptrIiEEEENSB_INSC_ItEEEESG_tNS9_4plusIvEENS9_8equal_toIvEEtEE10hipError_tPvRmT2_T3_T4_T5_mT6_T7_P12ihipStream_tbENKUlT_T0_E_clISt17integral_constantIbLb1EES11_EEDaSW_SX_EUlSW_E_NS1_11comp_targetILNS1_3genE10ELNS1_11target_archE1201ELNS1_3gpuE5ELNS1_3repE0EEENS1_30default_config_static_selectorELNS0_4arch9wavefront6targetE1EEEvT1_,"axG",@progbits,_ZN7rocprim17ROCPRIM_400000_NS6detail17trampoline_kernelINS0_14default_configENS1_27scan_by_key_config_selectorIitEEZZNS1_16scan_by_key_implILNS1_25lookback_scan_determinismE0ELb1ES3_N6thrust23THRUST_200600_302600_NS6detail15normal_iteratorINS9_10device_ptrIiEEEENSB_INSC_ItEEEESG_tNS9_4plusIvEENS9_8equal_toIvEEtEE10hipError_tPvRmT2_T3_T4_T5_mT6_T7_P12ihipStream_tbENKUlT_T0_E_clISt17integral_constantIbLb1EES11_EEDaSW_SX_EUlSW_E_NS1_11comp_targetILNS1_3genE10ELNS1_11target_archE1201ELNS1_3gpuE5ELNS1_3repE0EEENS1_30default_config_static_selectorELNS0_4arch9wavefront6targetE1EEEvT1_,comdat
	.protected	_ZN7rocprim17ROCPRIM_400000_NS6detail17trampoline_kernelINS0_14default_configENS1_27scan_by_key_config_selectorIitEEZZNS1_16scan_by_key_implILNS1_25lookback_scan_determinismE0ELb1ES3_N6thrust23THRUST_200600_302600_NS6detail15normal_iteratorINS9_10device_ptrIiEEEENSB_INSC_ItEEEESG_tNS9_4plusIvEENS9_8equal_toIvEEtEE10hipError_tPvRmT2_T3_T4_T5_mT6_T7_P12ihipStream_tbENKUlT_T0_E_clISt17integral_constantIbLb1EES11_EEDaSW_SX_EUlSW_E_NS1_11comp_targetILNS1_3genE10ELNS1_11target_archE1201ELNS1_3gpuE5ELNS1_3repE0EEENS1_30default_config_static_selectorELNS0_4arch9wavefront6targetE1EEEvT1_ ; -- Begin function _ZN7rocprim17ROCPRIM_400000_NS6detail17trampoline_kernelINS0_14default_configENS1_27scan_by_key_config_selectorIitEEZZNS1_16scan_by_key_implILNS1_25lookback_scan_determinismE0ELb1ES3_N6thrust23THRUST_200600_302600_NS6detail15normal_iteratorINS9_10device_ptrIiEEEENSB_INSC_ItEEEESG_tNS9_4plusIvEENS9_8equal_toIvEEtEE10hipError_tPvRmT2_T3_T4_T5_mT6_T7_P12ihipStream_tbENKUlT_T0_E_clISt17integral_constantIbLb1EES11_EEDaSW_SX_EUlSW_E_NS1_11comp_targetILNS1_3genE10ELNS1_11target_archE1201ELNS1_3gpuE5ELNS1_3repE0EEENS1_30default_config_static_selectorELNS0_4arch9wavefront6targetE1EEEvT1_
	.globl	_ZN7rocprim17ROCPRIM_400000_NS6detail17trampoline_kernelINS0_14default_configENS1_27scan_by_key_config_selectorIitEEZZNS1_16scan_by_key_implILNS1_25lookback_scan_determinismE0ELb1ES3_N6thrust23THRUST_200600_302600_NS6detail15normal_iteratorINS9_10device_ptrIiEEEENSB_INSC_ItEEEESG_tNS9_4plusIvEENS9_8equal_toIvEEtEE10hipError_tPvRmT2_T3_T4_T5_mT6_T7_P12ihipStream_tbENKUlT_T0_E_clISt17integral_constantIbLb1EES11_EEDaSW_SX_EUlSW_E_NS1_11comp_targetILNS1_3genE10ELNS1_11target_archE1201ELNS1_3gpuE5ELNS1_3repE0EEENS1_30default_config_static_selectorELNS0_4arch9wavefront6targetE1EEEvT1_
	.p2align	8
	.type	_ZN7rocprim17ROCPRIM_400000_NS6detail17trampoline_kernelINS0_14default_configENS1_27scan_by_key_config_selectorIitEEZZNS1_16scan_by_key_implILNS1_25lookback_scan_determinismE0ELb1ES3_N6thrust23THRUST_200600_302600_NS6detail15normal_iteratorINS9_10device_ptrIiEEEENSB_INSC_ItEEEESG_tNS9_4plusIvEENS9_8equal_toIvEEtEE10hipError_tPvRmT2_T3_T4_T5_mT6_T7_P12ihipStream_tbENKUlT_T0_E_clISt17integral_constantIbLb1EES11_EEDaSW_SX_EUlSW_E_NS1_11comp_targetILNS1_3genE10ELNS1_11target_archE1201ELNS1_3gpuE5ELNS1_3repE0EEENS1_30default_config_static_selectorELNS0_4arch9wavefront6targetE1EEEvT1_,@function
_ZN7rocprim17ROCPRIM_400000_NS6detail17trampoline_kernelINS0_14default_configENS1_27scan_by_key_config_selectorIitEEZZNS1_16scan_by_key_implILNS1_25lookback_scan_determinismE0ELb1ES3_N6thrust23THRUST_200600_302600_NS6detail15normal_iteratorINS9_10device_ptrIiEEEENSB_INSC_ItEEEESG_tNS9_4plusIvEENS9_8equal_toIvEEtEE10hipError_tPvRmT2_T3_T4_T5_mT6_T7_P12ihipStream_tbENKUlT_T0_E_clISt17integral_constantIbLb1EES11_EEDaSW_SX_EUlSW_E_NS1_11comp_targetILNS1_3genE10ELNS1_11target_archE1201ELNS1_3gpuE5ELNS1_3repE0EEENS1_30default_config_static_selectorELNS0_4arch9wavefront6targetE1EEEvT1_: ; @_ZN7rocprim17ROCPRIM_400000_NS6detail17trampoline_kernelINS0_14default_configENS1_27scan_by_key_config_selectorIitEEZZNS1_16scan_by_key_implILNS1_25lookback_scan_determinismE0ELb1ES3_N6thrust23THRUST_200600_302600_NS6detail15normal_iteratorINS9_10device_ptrIiEEEENSB_INSC_ItEEEESG_tNS9_4plusIvEENS9_8equal_toIvEEtEE10hipError_tPvRmT2_T3_T4_T5_mT6_T7_P12ihipStream_tbENKUlT_T0_E_clISt17integral_constantIbLb1EES11_EEDaSW_SX_EUlSW_E_NS1_11comp_targetILNS1_3genE10ELNS1_11target_archE1201ELNS1_3gpuE5ELNS1_3repE0EEENS1_30default_config_static_selectorELNS0_4arch9wavefront6targetE1EEEvT1_
; %bb.0:
	.section	.rodata,"a",@progbits
	.p2align	6, 0x0
	.amdhsa_kernel _ZN7rocprim17ROCPRIM_400000_NS6detail17trampoline_kernelINS0_14default_configENS1_27scan_by_key_config_selectorIitEEZZNS1_16scan_by_key_implILNS1_25lookback_scan_determinismE0ELb1ES3_N6thrust23THRUST_200600_302600_NS6detail15normal_iteratorINS9_10device_ptrIiEEEENSB_INSC_ItEEEESG_tNS9_4plusIvEENS9_8equal_toIvEEtEE10hipError_tPvRmT2_T3_T4_T5_mT6_T7_P12ihipStream_tbENKUlT_T0_E_clISt17integral_constantIbLb1EES11_EEDaSW_SX_EUlSW_E_NS1_11comp_targetILNS1_3genE10ELNS1_11target_archE1201ELNS1_3gpuE5ELNS1_3repE0EEENS1_30default_config_static_selectorELNS0_4arch9wavefront6targetE1EEEvT1_
		.amdhsa_group_segment_fixed_size 0
		.amdhsa_private_segment_fixed_size 0
		.amdhsa_kernarg_size 112
		.amdhsa_user_sgpr_count 6
		.amdhsa_user_sgpr_private_segment_buffer 1
		.amdhsa_user_sgpr_dispatch_ptr 0
		.amdhsa_user_sgpr_queue_ptr 0
		.amdhsa_user_sgpr_kernarg_segment_ptr 1
		.amdhsa_user_sgpr_dispatch_id 0
		.amdhsa_user_sgpr_flat_scratch_init 0
		.amdhsa_user_sgpr_kernarg_preload_length 0
		.amdhsa_user_sgpr_kernarg_preload_offset 0
		.amdhsa_user_sgpr_private_segment_size 0
		.amdhsa_uses_dynamic_stack 0
		.amdhsa_system_sgpr_private_segment_wavefront_offset 0
		.amdhsa_system_sgpr_workgroup_id_x 1
		.amdhsa_system_sgpr_workgroup_id_y 0
		.amdhsa_system_sgpr_workgroup_id_z 0
		.amdhsa_system_sgpr_workgroup_info 0
		.amdhsa_system_vgpr_workitem_id 0
		.amdhsa_next_free_vgpr 1
		.amdhsa_next_free_sgpr 0
		.amdhsa_accum_offset 4
		.amdhsa_reserve_vcc 0
		.amdhsa_reserve_flat_scratch 0
		.amdhsa_float_round_mode_32 0
		.amdhsa_float_round_mode_16_64 0
		.amdhsa_float_denorm_mode_32 3
		.amdhsa_float_denorm_mode_16_64 3
		.amdhsa_dx10_clamp 1
		.amdhsa_ieee_mode 1
		.amdhsa_fp16_overflow 0
		.amdhsa_tg_split 0
		.amdhsa_exception_fp_ieee_invalid_op 0
		.amdhsa_exception_fp_denorm_src 0
		.amdhsa_exception_fp_ieee_div_zero 0
		.amdhsa_exception_fp_ieee_overflow 0
		.amdhsa_exception_fp_ieee_underflow 0
		.amdhsa_exception_fp_ieee_inexact 0
		.amdhsa_exception_int_div_zero 0
	.end_amdhsa_kernel
	.section	.text._ZN7rocprim17ROCPRIM_400000_NS6detail17trampoline_kernelINS0_14default_configENS1_27scan_by_key_config_selectorIitEEZZNS1_16scan_by_key_implILNS1_25lookback_scan_determinismE0ELb1ES3_N6thrust23THRUST_200600_302600_NS6detail15normal_iteratorINS9_10device_ptrIiEEEENSB_INSC_ItEEEESG_tNS9_4plusIvEENS9_8equal_toIvEEtEE10hipError_tPvRmT2_T3_T4_T5_mT6_T7_P12ihipStream_tbENKUlT_T0_E_clISt17integral_constantIbLb1EES11_EEDaSW_SX_EUlSW_E_NS1_11comp_targetILNS1_3genE10ELNS1_11target_archE1201ELNS1_3gpuE5ELNS1_3repE0EEENS1_30default_config_static_selectorELNS0_4arch9wavefront6targetE1EEEvT1_,"axG",@progbits,_ZN7rocprim17ROCPRIM_400000_NS6detail17trampoline_kernelINS0_14default_configENS1_27scan_by_key_config_selectorIitEEZZNS1_16scan_by_key_implILNS1_25lookback_scan_determinismE0ELb1ES3_N6thrust23THRUST_200600_302600_NS6detail15normal_iteratorINS9_10device_ptrIiEEEENSB_INSC_ItEEEESG_tNS9_4plusIvEENS9_8equal_toIvEEtEE10hipError_tPvRmT2_T3_T4_T5_mT6_T7_P12ihipStream_tbENKUlT_T0_E_clISt17integral_constantIbLb1EES11_EEDaSW_SX_EUlSW_E_NS1_11comp_targetILNS1_3genE10ELNS1_11target_archE1201ELNS1_3gpuE5ELNS1_3repE0EEENS1_30default_config_static_selectorELNS0_4arch9wavefront6targetE1EEEvT1_,comdat
.Lfunc_end1545:
	.size	_ZN7rocprim17ROCPRIM_400000_NS6detail17trampoline_kernelINS0_14default_configENS1_27scan_by_key_config_selectorIitEEZZNS1_16scan_by_key_implILNS1_25lookback_scan_determinismE0ELb1ES3_N6thrust23THRUST_200600_302600_NS6detail15normal_iteratorINS9_10device_ptrIiEEEENSB_INSC_ItEEEESG_tNS9_4plusIvEENS9_8equal_toIvEEtEE10hipError_tPvRmT2_T3_T4_T5_mT6_T7_P12ihipStream_tbENKUlT_T0_E_clISt17integral_constantIbLb1EES11_EEDaSW_SX_EUlSW_E_NS1_11comp_targetILNS1_3genE10ELNS1_11target_archE1201ELNS1_3gpuE5ELNS1_3repE0EEENS1_30default_config_static_selectorELNS0_4arch9wavefront6targetE1EEEvT1_, .Lfunc_end1545-_ZN7rocprim17ROCPRIM_400000_NS6detail17trampoline_kernelINS0_14default_configENS1_27scan_by_key_config_selectorIitEEZZNS1_16scan_by_key_implILNS1_25lookback_scan_determinismE0ELb1ES3_N6thrust23THRUST_200600_302600_NS6detail15normal_iteratorINS9_10device_ptrIiEEEENSB_INSC_ItEEEESG_tNS9_4plusIvEENS9_8equal_toIvEEtEE10hipError_tPvRmT2_T3_T4_T5_mT6_T7_P12ihipStream_tbENKUlT_T0_E_clISt17integral_constantIbLb1EES11_EEDaSW_SX_EUlSW_E_NS1_11comp_targetILNS1_3genE10ELNS1_11target_archE1201ELNS1_3gpuE5ELNS1_3repE0EEENS1_30default_config_static_selectorELNS0_4arch9wavefront6targetE1EEEvT1_
                                        ; -- End function
	.section	.AMDGPU.csdata,"",@progbits
; Kernel info:
; codeLenInByte = 0
; NumSgprs: 4
; NumVgprs: 0
; NumAgprs: 0
; TotalNumVgprs: 0
; ScratchSize: 0
; MemoryBound: 0
; FloatMode: 240
; IeeeMode: 1
; LDSByteSize: 0 bytes/workgroup (compile time only)
; SGPRBlocks: 0
; VGPRBlocks: 0
; NumSGPRsForWavesPerEU: 4
; NumVGPRsForWavesPerEU: 1
; AccumOffset: 4
; Occupancy: 8
; WaveLimiterHint : 0
; COMPUTE_PGM_RSRC2:SCRATCH_EN: 0
; COMPUTE_PGM_RSRC2:USER_SGPR: 6
; COMPUTE_PGM_RSRC2:TRAP_HANDLER: 0
; COMPUTE_PGM_RSRC2:TGID_X_EN: 1
; COMPUTE_PGM_RSRC2:TGID_Y_EN: 0
; COMPUTE_PGM_RSRC2:TGID_Z_EN: 0
; COMPUTE_PGM_RSRC2:TIDIG_COMP_CNT: 0
; COMPUTE_PGM_RSRC3_GFX90A:ACCUM_OFFSET: 0
; COMPUTE_PGM_RSRC3_GFX90A:TG_SPLIT: 0
	.section	.text._ZN7rocprim17ROCPRIM_400000_NS6detail17trampoline_kernelINS0_14default_configENS1_27scan_by_key_config_selectorIitEEZZNS1_16scan_by_key_implILNS1_25lookback_scan_determinismE0ELb1ES3_N6thrust23THRUST_200600_302600_NS6detail15normal_iteratorINS9_10device_ptrIiEEEENSB_INSC_ItEEEESG_tNS9_4plusIvEENS9_8equal_toIvEEtEE10hipError_tPvRmT2_T3_T4_T5_mT6_T7_P12ihipStream_tbENKUlT_T0_E_clISt17integral_constantIbLb1EES11_EEDaSW_SX_EUlSW_E_NS1_11comp_targetILNS1_3genE5ELNS1_11target_archE942ELNS1_3gpuE9ELNS1_3repE0EEENS1_30default_config_static_selectorELNS0_4arch9wavefront6targetE1EEEvT1_,"axG",@progbits,_ZN7rocprim17ROCPRIM_400000_NS6detail17trampoline_kernelINS0_14default_configENS1_27scan_by_key_config_selectorIitEEZZNS1_16scan_by_key_implILNS1_25lookback_scan_determinismE0ELb1ES3_N6thrust23THRUST_200600_302600_NS6detail15normal_iteratorINS9_10device_ptrIiEEEENSB_INSC_ItEEEESG_tNS9_4plusIvEENS9_8equal_toIvEEtEE10hipError_tPvRmT2_T3_T4_T5_mT6_T7_P12ihipStream_tbENKUlT_T0_E_clISt17integral_constantIbLb1EES11_EEDaSW_SX_EUlSW_E_NS1_11comp_targetILNS1_3genE5ELNS1_11target_archE942ELNS1_3gpuE9ELNS1_3repE0EEENS1_30default_config_static_selectorELNS0_4arch9wavefront6targetE1EEEvT1_,comdat
	.protected	_ZN7rocprim17ROCPRIM_400000_NS6detail17trampoline_kernelINS0_14default_configENS1_27scan_by_key_config_selectorIitEEZZNS1_16scan_by_key_implILNS1_25lookback_scan_determinismE0ELb1ES3_N6thrust23THRUST_200600_302600_NS6detail15normal_iteratorINS9_10device_ptrIiEEEENSB_INSC_ItEEEESG_tNS9_4plusIvEENS9_8equal_toIvEEtEE10hipError_tPvRmT2_T3_T4_T5_mT6_T7_P12ihipStream_tbENKUlT_T0_E_clISt17integral_constantIbLb1EES11_EEDaSW_SX_EUlSW_E_NS1_11comp_targetILNS1_3genE5ELNS1_11target_archE942ELNS1_3gpuE9ELNS1_3repE0EEENS1_30default_config_static_selectorELNS0_4arch9wavefront6targetE1EEEvT1_ ; -- Begin function _ZN7rocprim17ROCPRIM_400000_NS6detail17trampoline_kernelINS0_14default_configENS1_27scan_by_key_config_selectorIitEEZZNS1_16scan_by_key_implILNS1_25lookback_scan_determinismE0ELb1ES3_N6thrust23THRUST_200600_302600_NS6detail15normal_iteratorINS9_10device_ptrIiEEEENSB_INSC_ItEEEESG_tNS9_4plusIvEENS9_8equal_toIvEEtEE10hipError_tPvRmT2_T3_T4_T5_mT6_T7_P12ihipStream_tbENKUlT_T0_E_clISt17integral_constantIbLb1EES11_EEDaSW_SX_EUlSW_E_NS1_11comp_targetILNS1_3genE5ELNS1_11target_archE942ELNS1_3gpuE9ELNS1_3repE0EEENS1_30default_config_static_selectorELNS0_4arch9wavefront6targetE1EEEvT1_
	.globl	_ZN7rocprim17ROCPRIM_400000_NS6detail17trampoline_kernelINS0_14default_configENS1_27scan_by_key_config_selectorIitEEZZNS1_16scan_by_key_implILNS1_25lookback_scan_determinismE0ELb1ES3_N6thrust23THRUST_200600_302600_NS6detail15normal_iteratorINS9_10device_ptrIiEEEENSB_INSC_ItEEEESG_tNS9_4plusIvEENS9_8equal_toIvEEtEE10hipError_tPvRmT2_T3_T4_T5_mT6_T7_P12ihipStream_tbENKUlT_T0_E_clISt17integral_constantIbLb1EES11_EEDaSW_SX_EUlSW_E_NS1_11comp_targetILNS1_3genE5ELNS1_11target_archE942ELNS1_3gpuE9ELNS1_3repE0EEENS1_30default_config_static_selectorELNS0_4arch9wavefront6targetE1EEEvT1_
	.p2align	8
	.type	_ZN7rocprim17ROCPRIM_400000_NS6detail17trampoline_kernelINS0_14default_configENS1_27scan_by_key_config_selectorIitEEZZNS1_16scan_by_key_implILNS1_25lookback_scan_determinismE0ELb1ES3_N6thrust23THRUST_200600_302600_NS6detail15normal_iteratorINS9_10device_ptrIiEEEENSB_INSC_ItEEEESG_tNS9_4plusIvEENS9_8equal_toIvEEtEE10hipError_tPvRmT2_T3_T4_T5_mT6_T7_P12ihipStream_tbENKUlT_T0_E_clISt17integral_constantIbLb1EES11_EEDaSW_SX_EUlSW_E_NS1_11comp_targetILNS1_3genE5ELNS1_11target_archE942ELNS1_3gpuE9ELNS1_3repE0EEENS1_30default_config_static_selectorELNS0_4arch9wavefront6targetE1EEEvT1_,@function
_ZN7rocprim17ROCPRIM_400000_NS6detail17trampoline_kernelINS0_14default_configENS1_27scan_by_key_config_selectorIitEEZZNS1_16scan_by_key_implILNS1_25lookback_scan_determinismE0ELb1ES3_N6thrust23THRUST_200600_302600_NS6detail15normal_iteratorINS9_10device_ptrIiEEEENSB_INSC_ItEEEESG_tNS9_4plusIvEENS9_8equal_toIvEEtEE10hipError_tPvRmT2_T3_T4_T5_mT6_T7_P12ihipStream_tbENKUlT_T0_E_clISt17integral_constantIbLb1EES11_EEDaSW_SX_EUlSW_E_NS1_11comp_targetILNS1_3genE5ELNS1_11target_archE942ELNS1_3gpuE9ELNS1_3repE0EEENS1_30default_config_static_selectorELNS0_4arch9wavefront6targetE1EEEvT1_: ; @_ZN7rocprim17ROCPRIM_400000_NS6detail17trampoline_kernelINS0_14default_configENS1_27scan_by_key_config_selectorIitEEZZNS1_16scan_by_key_implILNS1_25lookback_scan_determinismE0ELb1ES3_N6thrust23THRUST_200600_302600_NS6detail15normal_iteratorINS9_10device_ptrIiEEEENSB_INSC_ItEEEESG_tNS9_4plusIvEENS9_8equal_toIvEEtEE10hipError_tPvRmT2_T3_T4_T5_mT6_T7_P12ihipStream_tbENKUlT_T0_E_clISt17integral_constantIbLb1EES11_EEDaSW_SX_EUlSW_E_NS1_11comp_targetILNS1_3genE5ELNS1_11target_archE942ELNS1_3gpuE9ELNS1_3repE0EEENS1_30default_config_static_selectorELNS0_4arch9wavefront6targetE1EEEvT1_
; %bb.0:
	.section	.rodata,"a",@progbits
	.p2align	6, 0x0
	.amdhsa_kernel _ZN7rocprim17ROCPRIM_400000_NS6detail17trampoline_kernelINS0_14default_configENS1_27scan_by_key_config_selectorIitEEZZNS1_16scan_by_key_implILNS1_25lookback_scan_determinismE0ELb1ES3_N6thrust23THRUST_200600_302600_NS6detail15normal_iteratorINS9_10device_ptrIiEEEENSB_INSC_ItEEEESG_tNS9_4plusIvEENS9_8equal_toIvEEtEE10hipError_tPvRmT2_T3_T4_T5_mT6_T7_P12ihipStream_tbENKUlT_T0_E_clISt17integral_constantIbLb1EES11_EEDaSW_SX_EUlSW_E_NS1_11comp_targetILNS1_3genE5ELNS1_11target_archE942ELNS1_3gpuE9ELNS1_3repE0EEENS1_30default_config_static_selectorELNS0_4arch9wavefront6targetE1EEEvT1_
		.amdhsa_group_segment_fixed_size 0
		.amdhsa_private_segment_fixed_size 0
		.amdhsa_kernarg_size 112
		.amdhsa_user_sgpr_count 6
		.amdhsa_user_sgpr_private_segment_buffer 1
		.amdhsa_user_sgpr_dispatch_ptr 0
		.amdhsa_user_sgpr_queue_ptr 0
		.amdhsa_user_sgpr_kernarg_segment_ptr 1
		.amdhsa_user_sgpr_dispatch_id 0
		.amdhsa_user_sgpr_flat_scratch_init 0
		.amdhsa_user_sgpr_kernarg_preload_length 0
		.amdhsa_user_sgpr_kernarg_preload_offset 0
		.amdhsa_user_sgpr_private_segment_size 0
		.amdhsa_uses_dynamic_stack 0
		.amdhsa_system_sgpr_private_segment_wavefront_offset 0
		.amdhsa_system_sgpr_workgroup_id_x 1
		.amdhsa_system_sgpr_workgroup_id_y 0
		.amdhsa_system_sgpr_workgroup_id_z 0
		.amdhsa_system_sgpr_workgroup_info 0
		.amdhsa_system_vgpr_workitem_id 0
		.amdhsa_next_free_vgpr 1
		.amdhsa_next_free_sgpr 0
		.amdhsa_accum_offset 4
		.amdhsa_reserve_vcc 0
		.amdhsa_reserve_flat_scratch 0
		.amdhsa_float_round_mode_32 0
		.amdhsa_float_round_mode_16_64 0
		.amdhsa_float_denorm_mode_32 3
		.amdhsa_float_denorm_mode_16_64 3
		.amdhsa_dx10_clamp 1
		.amdhsa_ieee_mode 1
		.amdhsa_fp16_overflow 0
		.amdhsa_tg_split 0
		.amdhsa_exception_fp_ieee_invalid_op 0
		.amdhsa_exception_fp_denorm_src 0
		.amdhsa_exception_fp_ieee_div_zero 0
		.amdhsa_exception_fp_ieee_overflow 0
		.amdhsa_exception_fp_ieee_underflow 0
		.amdhsa_exception_fp_ieee_inexact 0
		.amdhsa_exception_int_div_zero 0
	.end_amdhsa_kernel
	.section	.text._ZN7rocprim17ROCPRIM_400000_NS6detail17trampoline_kernelINS0_14default_configENS1_27scan_by_key_config_selectorIitEEZZNS1_16scan_by_key_implILNS1_25lookback_scan_determinismE0ELb1ES3_N6thrust23THRUST_200600_302600_NS6detail15normal_iteratorINS9_10device_ptrIiEEEENSB_INSC_ItEEEESG_tNS9_4plusIvEENS9_8equal_toIvEEtEE10hipError_tPvRmT2_T3_T4_T5_mT6_T7_P12ihipStream_tbENKUlT_T0_E_clISt17integral_constantIbLb1EES11_EEDaSW_SX_EUlSW_E_NS1_11comp_targetILNS1_3genE5ELNS1_11target_archE942ELNS1_3gpuE9ELNS1_3repE0EEENS1_30default_config_static_selectorELNS0_4arch9wavefront6targetE1EEEvT1_,"axG",@progbits,_ZN7rocprim17ROCPRIM_400000_NS6detail17trampoline_kernelINS0_14default_configENS1_27scan_by_key_config_selectorIitEEZZNS1_16scan_by_key_implILNS1_25lookback_scan_determinismE0ELb1ES3_N6thrust23THRUST_200600_302600_NS6detail15normal_iteratorINS9_10device_ptrIiEEEENSB_INSC_ItEEEESG_tNS9_4plusIvEENS9_8equal_toIvEEtEE10hipError_tPvRmT2_T3_T4_T5_mT6_T7_P12ihipStream_tbENKUlT_T0_E_clISt17integral_constantIbLb1EES11_EEDaSW_SX_EUlSW_E_NS1_11comp_targetILNS1_3genE5ELNS1_11target_archE942ELNS1_3gpuE9ELNS1_3repE0EEENS1_30default_config_static_selectorELNS0_4arch9wavefront6targetE1EEEvT1_,comdat
.Lfunc_end1546:
	.size	_ZN7rocprim17ROCPRIM_400000_NS6detail17trampoline_kernelINS0_14default_configENS1_27scan_by_key_config_selectorIitEEZZNS1_16scan_by_key_implILNS1_25lookback_scan_determinismE0ELb1ES3_N6thrust23THRUST_200600_302600_NS6detail15normal_iteratorINS9_10device_ptrIiEEEENSB_INSC_ItEEEESG_tNS9_4plusIvEENS9_8equal_toIvEEtEE10hipError_tPvRmT2_T3_T4_T5_mT6_T7_P12ihipStream_tbENKUlT_T0_E_clISt17integral_constantIbLb1EES11_EEDaSW_SX_EUlSW_E_NS1_11comp_targetILNS1_3genE5ELNS1_11target_archE942ELNS1_3gpuE9ELNS1_3repE0EEENS1_30default_config_static_selectorELNS0_4arch9wavefront6targetE1EEEvT1_, .Lfunc_end1546-_ZN7rocprim17ROCPRIM_400000_NS6detail17trampoline_kernelINS0_14default_configENS1_27scan_by_key_config_selectorIitEEZZNS1_16scan_by_key_implILNS1_25lookback_scan_determinismE0ELb1ES3_N6thrust23THRUST_200600_302600_NS6detail15normal_iteratorINS9_10device_ptrIiEEEENSB_INSC_ItEEEESG_tNS9_4plusIvEENS9_8equal_toIvEEtEE10hipError_tPvRmT2_T3_T4_T5_mT6_T7_P12ihipStream_tbENKUlT_T0_E_clISt17integral_constantIbLb1EES11_EEDaSW_SX_EUlSW_E_NS1_11comp_targetILNS1_3genE5ELNS1_11target_archE942ELNS1_3gpuE9ELNS1_3repE0EEENS1_30default_config_static_selectorELNS0_4arch9wavefront6targetE1EEEvT1_
                                        ; -- End function
	.section	.AMDGPU.csdata,"",@progbits
; Kernel info:
; codeLenInByte = 0
; NumSgprs: 4
; NumVgprs: 0
; NumAgprs: 0
; TotalNumVgprs: 0
; ScratchSize: 0
; MemoryBound: 0
; FloatMode: 240
; IeeeMode: 1
; LDSByteSize: 0 bytes/workgroup (compile time only)
; SGPRBlocks: 0
; VGPRBlocks: 0
; NumSGPRsForWavesPerEU: 4
; NumVGPRsForWavesPerEU: 1
; AccumOffset: 4
; Occupancy: 8
; WaveLimiterHint : 0
; COMPUTE_PGM_RSRC2:SCRATCH_EN: 0
; COMPUTE_PGM_RSRC2:USER_SGPR: 6
; COMPUTE_PGM_RSRC2:TRAP_HANDLER: 0
; COMPUTE_PGM_RSRC2:TGID_X_EN: 1
; COMPUTE_PGM_RSRC2:TGID_Y_EN: 0
; COMPUTE_PGM_RSRC2:TGID_Z_EN: 0
; COMPUTE_PGM_RSRC2:TIDIG_COMP_CNT: 0
; COMPUTE_PGM_RSRC3_GFX90A:ACCUM_OFFSET: 0
; COMPUTE_PGM_RSRC3_GFX90A:TG_SPLIT: 0
	.section	.text._ZN7rocprim17ROCPRIM_400000_NS6detail17trampoline_kernelINS0_14default_configENS1_27scan_by_key_config_selectorIitEEZZNS1_16scan_by_key_implILNS1_25lookback_scan_determinismE0ELb1ES3_N6thrust23THRUST_200600_302600_NS6detail15normal_iteratorINS9_10device_ptrIiEEEENSB_INSC_ItEEEESG_tNS9_4plusIvEENS9_8equal_toIvEEtEE10hipError_tPvRmT2_T3_T4_T5_mT6_T7_P12ihipStream_tbENKUlT_T0_E_clISt17integral_constantIbLb1EES11_EEDaSW_SX_EUlSW_E_NS1_11comp_targetILNS1_3genE4ELNS1_11target_archE910ELNS1_3gpuE8ELNS1_3repE0EEENS1_30default_config_static_selectorELNS0_4arch9wavefront6targetE1EEEvT1_,"axG",@progbits,_ZN7rocprim17ROCPRIM_400000_NS6detail17trampoline_kernelINS0_14default_configENS1_27scan_by_key_config_selectorIitEEZZNS1_16scan_by_key_implILNS1_25lookback_scan_determinismE0ELb1ES3_N6thrust23THRUST_200600_302600_NS6detail15normal_iteratorINS9_10device_ptrIiEEEENSB_INSC_ItEEEESG_tNS9_4plusIvEENS9_8equal_toIvEEtEE10hipError_tPvRmT2_T3_T4_T5_mT6_T7_P12ihipStream_tbENKUlT_T0_E_clISt17integral_constantIbLb1EES11_EEDaSW_SX_EUlSW_E_NS1_11comp_targetILNS1_3genE4ELNS1_11target_archE910ELNS1_3gpuE8ELNS1_3repE0EEENS1_30default_config_static_selectorELNS0_4arch9wavefront6targetE1EEEvT1_,comdat
	.protected	_ZN7rocprim17ROCPRIM_400000_NS6detail17trampoline_kernelINS0_14default_configENS1_27scan_by_key_config_selectorIitEEZZNS1_16scan_by_key_implILNS1_25lookback_scan_determinismE0ELb1ES3_N6thrust23THRUST_200600_302600_NS6detail15normal_iteratorINS9_10device_ptrIiEEEENSB_INSC_ItEEEESG_tNS9_4plusIvEENS9_8equal_toIvEEtEE10hipError_tPvRmT2_T3_T4_T5_mT6_T7_P12ihipStream_tbENKUlT_T0_E_clISt17integral_constantIbLb1EES11_EEDaSW_SX_EUlSW_E_NS1_11comp_targetILNS1_3genE4ELNS1_11target_archE910ELNS1_3gpuE8ELNS1_3repE0EEENS1_30default_config_static_selectorELNS0_4arch9wavefront6targetE1EEEvT1_ ; -- Begin function _ZN7rocprim17ROCPRIM_400000_NS6detail17trampoline_kernelINS0_14default_configENS1_27scan_by_key_config_selectorIitEEZZNS1_16scan_by_key_implILNS1_25lookback_scan_determinismE0ELb1ES3_N6thrust23THRUST_200600_302600_NS6detail15normal_iteratorINS9_10device_ptrIiEEEENSB_INSC_ItEEEESG_tNS9_4plusIvEENS9_8equal_toIvEEtEE10hipError_tPvRmT2_T3_T4_T5_mT6_T7_P12ihipStream_tbENKUlT_T0_E_clISt17integral_constantIbLb1EES11_EEDaSW_SX_EUlSW_E_NS1_11comp_targetILNS1_3genE4ELNS1_11target_archE910ELNS1_3gpuE8ELNS1_3repE0EEENS1_30default_config_static_selectorELNS0_4arch9wavefront6targetE1EEEvT1_
	.globl	_ZN7rocprim17ROCPRIM_400000_NS6detail17trampoline_kernelINS0_14default_configENS1_27scan_by_key_config_selectorIitEEZZNS1_16scan_by_key_implILNS1_25lookback_scan_determinismE0ELb1ES3_N6thrust23THRUST_200600_302600_NS6detail15normal_iteratorINS9_10device_ptrIiEEEENSB_INSC_ItEEEESG_tNS9_4plusIvEENS9_8equal_toIvEEtEE10hipError_tPvRmT2_T3_T4_T5_mT6_T7_P12ihipStream_tbENKUlT_T0_E_clISt17integral_constantIbLb1EES11_EEDaSW_SX_EUlSW_E_NS1_11comp_targetILNS1_3genE4ELNS1_11target_archE910ELNS1_3gpuE8ELNS1_3repE0EEENS1_30default_config_static_selectorELNS0_4arch9wavefront6targetE1EEEvT1_
	.p2align	8
	.type	_ZN7rocprim17ROCPRIM_400000_NS6detail17trampoline_kernelINS0_14default_configENS1_27scan_by_key_config_selectorIitEEZZNS1_16scan_by_key_implILNS1_25lookback_scan_determinismE0ELb1ES3_N6thrust23THRUST_200600_302600_NS6detail15normal_iteratorINS9_10device_ptrIiEEEENSB_INSC_ItEEEESG_tNS9_4plusIvEENS9_8equal_toIvEEtEE10hipError_tPvRmT2_T3_T4_T5_mT6_T7_P12ihipStream_tbENKUlT_T0_E_clISt17integral_constantIbLb1EES11_EEDaSW_SX_EUlSW_E_NS1_11comp_targetILNS1_3genE4ELNS1_11target_archE910ELNS1_3gpuE8ELNS1_3repE0EEENS1_30default_config_static_selectorELNS0_4arch9wavefront6targetE1EEEvT1_,@function
_ZN7rocprim17ROCPRIM_400000_NS6detail17trampoline_kernelINS0_14default_configENS1_27scan_by_key_config_selectorIitEEZZNS1_16scan_by_key_implILNS1_25lookback_scan_determinismE0ELb1ES3_N6thrust23THRUST_200600_302600_NS6detail15normal_iteratorINS9_10device_ptrIiEEEENSB_INSC_ItEEEESG_tNS9_4plusIvEENS9_8equal_toIvEEtEE10hipError_tPvRmT2_T3_T4_T5_mT6_T7_P12ihipStream_tbENKUlT_T0_E_clISt17integral_constantIbLb1EES11_EEDaSW_SX_EUlSW_E_NS1_11comp_targetILNS1_3genE4ELNS1_11target_archE910ELNS1_3gpuE8ELNS1_3repE0EEENS1_30default_config_static_selectorELNS0_4arch9wavefront6targetE1EEEvT1_: ; @_ZN7rocprim17ROCPRIM_400000_NS6detail17trampoline_kernelINS0_14default_configENS1_27scan_by_key_config_selectorIitEEZZNS1_16scan_by_key_implILNS1_25lookback_scan_determinismE0ELb1ES3_N6thrust23THRUST_200600_302600_NS6detail15normal_iteratorINS9_10device_ptrIiEEEENSB_INSC_ItEEEESG_tNS9_4plusIvEENS9_8equal_toIvEEtEE10hipError_tPvRmT2_T3_T4_T5_mT6_T7_P12ihipStream_tbENKUlT_T0_E_clISt17integral_constantIbLb1EES11_EEDaSW_SX_EUlSW_E_NS1_11comp_targetILNS1_3genE4ELNS1_11target_archE910ELNS1_3gpuE8ELNS1_3repE0EEENS1_30default_config_static_selectorELNS0_4arch9wavefront6targetE1EEEvT1_
; %bb.0:
	s_load_dword s74, s[4:5], 0x20
	s_load_dwordx4 s[56:59], s[4:5], 0x28
	s_load_dwordx2 s[66:67], s[4:5], 0x38
	v_cmp_eq_u32_e64 s[0:1], 0, v0
	s_and_saveexec_b64 s[2:3], s[0:1]
	s_cbranch_execz .LBB1547_4
; %bb.1:
	s_mov_b64 s[8:9], exec
	v_mbcnt_lo_u32_b32 v1, s8, 0
	v_mbcnt_hi_u32_b32 v1, s9, v1
	v_cmp_eq_u32_e32 vcc, 0, v1
                                        ; implicit-def: $vgpr2
	s_and_saveexec_b64 s[6:7], vcc
	s_cbranch_execz .LBB1547_3
; %bb.2:
	s_load_dwordx2 s[10:11], s[4:5], 0x68
	s_bcnt1_i32_b64 s8, s[8:9]
	v_mov_b32_e32 v2, 0
	v_mov_b32_e32 v3, s8
	s_waitcnt lgkmcnt(0)
	global_atomic_add v2, v2, v3, s[10:11] glc
.LBB1547_3:
	s_or_b64 exec, exec, s[6:7]
	s_waitcnt vmcnt(0)
	v_readfirstlane_b32 s6, v2
	v_add_u32_e32 v1, s6, v1
	v_mov_b32_e32 v2, 0
	ds_write_b32 v2, v1
.LBB1547_4:
	s_or_b64 exec, exec, s[2:3]
	s_load_dwordx8 s[48:55], s[4:5], 0x0
	s_load_dword s2, s[4:5], 0x40
	s_load_dwordx4 s[60:63], s[4:5], 0x48
	v_mov_b32_e32 v3, 0
	s_waitcnt lgkmcnt(0)
	s_lshl_b64 s[4:5], s[50:51], 2
	; wave barrier
	ds_read_b32 v1, v3
	s_add_u32 s3, s48, s4
	s_addc_u32 s4, s49, s5
	s_lshl_b64 s[64:65], s[50:51], 1
	s_add_u32 s5, s52, s64
	s_mul_i32 s7, s67, s2
	s_mul_hi_u32 s8, s66, s2
	s_addc_u32 s6, s53, s65
	s_add_i32 s7, s8, s7
	s_movk_i32 s8, 0x600
	s_waitcnt lgkmcnt(0)
	v_mul_lo_u32 v2, v1, s8
	v_lshlrev_b64 v[4:5], 2, v[2:3]
	v_mov_b32_e32 v6, s4
	v_add_co_u32_e32 v52, vcc, s3, v4
	v_addc_co_u32_e32 v53, vcc, v6, v5, vcc
	v_lshlrev_b64 v[50:51], 1, v[2:3]
	v_mov_b32_e32 v2, s6
	v_add_co_u32_e32 v56, vcc, s5, v50
	s_mul_i32 s2, s66, s2
	v_addc_co_u32_e32 v57, vcc, v2, v51, vcc
	v_mov_b32_e32 v3, s7
	v_add_co_u32_e32 v2, vcc, s2, v1
	s_add_u32 s4, s60, -1
	v_addc_co_u32_e32 v3, vcc, 0, v3, vcc
	s_addc_u32 s5, s61, -1
	v_cmp_le_u64_e64 s[2:3], s[4:5], v[2:3]
	v_readfirstlane_b32 s59, v1
	s_mov_b64 s[20:21], -1
	s_and_b64 vcc, exec, s[2:3]
	s_mul_i32 s33, s4, 0xfffffa00
	s_waitcnt lgkmcnt(0)
	; wave barrier
	s_waitcnt lgkmcnt(0)
	s_waitcnt lgkmcnt(0)
	; wave barrier
	s_cbranch_vccz .LBB1547_130
; %bb.5:
	flat_load_dword v1, v[52:53]
	s_add_i32 s72, s33, s58
	v_cmp_gt_u32_e32 vcc, s72, v0
	s_waitcnt vmcnt(0) lgkmcnt(0)
	v_mov_b32_e32 v2, v1
	s_and_saveexec_b64 s[6:7], vcc
	s_cbranch_execz .LBB1547_7
; %bb.6:
	v_lshlrev_b32_e32 v2, 2, v0
	v_add_co_u32_e64 v2, s[4:5], v52, v2
	v_addc_co_u32_e64 v3, s[4:5], 0, v53, s[4:5]
	flat_load_dword v2, v[2:3]
.LBB1547_7:
	s_or_b64 exec, exec, s[6:7]
	v_or_b32_e32 v3, 64, v0
	v_cmp_gt_u32_e64 s[4:5], s72, v3
	v_mov_b32_e32 v3, v1
	s_and_saveexec_b64 s[8:9], s[4:5]
	s_cbranch_execz .LBB1547_9
; %bb.8:
	v_lshlrev_b32_e32 v3, 2, v0
	v_add_co_u32_e64 v4, s[6:7], v52, v3
	v_addc_co_u32_e64 v5, s[6:7], 0, v53, s[6:7]
	flat_load_dword v3, v[4:5] offset:256
.LBB1547_9:
	s_or_b64 exec, exec, s[8:9]
	v_or_b32_e32 v4, 0x80, v0
	v_cmp_gt_u32_e64 s[6:7], s72, v4
	v_mov_b32_e32 v4, v1
	s_and_saveexec_b64 s[10:11], s[6:7]
	s_cbranch_execz .LBB1547_11
; %bb.10:
	v_lshlrev_b32_e32 v4, 2, v0
	v_add_co_u32_e64 v4, s[8:9], v52, v4
	v_addc_co_u32_e64 v5, s[8:9], 0, v53, s[8:9]
	flat_load_dword v4, v[4:5] offset:512
.LBB1547_11:
	;; [unrolled: 12-line block ×15, first 2 shown]
	s_or_b64 exec, exec, s[38:39]
	v_or_b32_e32 v19, 0x400, v0
	v_cmp_gt_u32_e64 s[36:37], s72, v19
	v_mov_b32_e32 v18, v1
	s_and_saveexec_b64 s[40:41], s[36:37]
	s_cbranch_execz .LBB1547_39
; %bb.38:
	v_lshlrev_b32_e32 v18, 2, v19
	v_add_co_u32_e64 v18, s[38:39], v52, v18
	v_addc_co_u32_e64 v19, s[38:39], 0, v53, s[38:39]
	flat_load_dword v18, v[18:19]
.LBB1547_39:
	s_or_b64 exec, exec, s[40:41]
	v_or_b32_e32 v20, 0x440, v0
	v_cmp_gt_u32_e64 s[38:39], s72, v20
	v_mov_b32_e32 v19, v1
	s_and_saveexec_b64 s[42:43], s[38:39]
	s_cbranch_execz .LBB1547_41
; %bb.40:
	v_lshlrev_b32_e32 v19, 2, v20
	v_add_co_u32_e64 v20, s[40:41], v52, v19
	v_addc_co_u32_e64 v21, s[40:41], 0, v53, s[40:41]
	flat_load_dword v19, v[20:21]
.LBB1547_41:
	;; [unrolled: 12-line block ×7, first 2 shown]
	s_or_b64 exec, exec, s[52:53]
	v_or_b32_e32 v25, 0x5c0, v0
	v_cmp_gt_u32_e64 s[50:51], s72, v25
	s_and_saveexec_b64 s[60:61], s[50:51]
	s_cbranch_execz .LBB1547_53
; %bb.52:
	v_lshlrev_b32_e32 v1, 2, v25
	v_add_co_u32_e64 v26, s[52:53], v52, v1
	v_addc_co_u32_e64 v27, s[52:53], 0, v53, s[52:53]
	flat_load_dword v1, v[26:27]
.LBB1547_53:
	s_or_b64 exec, exec, s[60:61]
	v_lshlrev_b32_e32 v46, 2, v0
	s_waitcnt vmcnt(0) lgkmcnt(0)
	ds_write2st64_b32 v46, v2, v3 offset1:1
	ds_write2st64_b32 v46, v4, v5 offset0:2 offset1:3
	ds_write2st64_b32 v46, v6, v7 offset0:4 offset1:5
	;; [unrolled: 1-line block ×11, first 2 shown]
	s_waitcnt lgkmcnt(0)
	; wave barrier
	s_waitcnt lgkmcnt(0)
	flat_load_dword v58, v[52:53]
	s_movk_i32 s52, 0x5c
	v_mad_u32_u24 v1, v0, s52, v46
	s_movk_i32 s52, 0xffa4
	ds_read_b128 v[42:45], v1
	ds_read_b128 v[38:41], v1 offset:16
	ds_read_b128 v[34:37], v1 offset:32
	;; [unrolled: 1-line block ×5, first 2 shown]
	v_mad_i32_i24 v1, v0, s52, v1
	v_cmp_ne_u32_e64 s[52:53], 63, v0
	s_waitcnt lgkmcnt(0)
	ds_write_b32 v1, v42 offset:6400
	s_waitcnt lgkmcnt(0)
	; wave barrier
	s_waitcnt lgkmcnt(0)
	s_and_saveexec_b64 s[60:61], s[52:53]
	s_cbranch_execz .LBB1547_55
; %bb.54:
	s_waitcnt vmcnt(0)
	ds_read_b32 v58, v46 offset:6404
.LBB1547_55:
	s_or_b64 exec, exec, s[60:61]
	s_waitcnt lgkmcnt(0)
	; wave barrier
	s_waitcnt lgkmcnt(0)
                                        ; implicit-def: $vgpr2
	s_and_saveexec_b64 s[52:53], vcc
	s_cbranch_execz .LBB1547_201
; %bb.56:
	v_lshlrev_b32_e32 v2, 1, v0
	v_add_co_u32_e32 v2, vcc, v56, v2
	v_addc_co_u32_e32 v3, vcc, 0, v57, vcc
	flat_load_ushort v2, v[2:3]
	s_or_b64 exec, exec, s[52:53]
                                        ; implicit-def: $vgpr3
	s_and_saveexec_b64 s[52:53], s[4:5]
	s_cbranch_execnz .LBB1547_202
.LBB1547_57:
	s_or_b64 exec, exec, s[52:53]
                                        ; implicit-def: $vgpr4
	s_and_saveexec_b64 s[4:5], s[6:7]
	s_cbranch_execz .LBB1547_203
.LBB1547_58:
	v_lshlrev_b32_e32 v4, 1, v0
	v_add_co_u32_e32 v4, vcc, v56, v4
	v_addc_co_u32_e32 v5, vcc, 0, v57, vcc
	flat_load_ushort v4, v[4:5] offset:256
	s_or_b64 exec, exec, s[4:5]
                                        ; implicit-def: $vgpr5
	s_and_saveexec_b64 s[4:5], s[8:9]
	s_cbranch_execnz .LBB1547_204
.LBB1547_59:
	s_or_b64 exec, exec, s[4:5]
                                        ; implicit-def: $vgpr6
	s_and_saveexec_b64 s[4:5], s[10:11]
	s_cbranch_execz .LBB1547_205
.LBB1547_60:
	v_lshlrev_b32_e32 v6, 1, v0
	v_add_co_u32_e32 v6, vcc, v56, v6
	v_addc_co_u32_e32 v7, vcc, 0, v57, vcc
	flat_load_ushort v6, v[6:7] offset:512
	s_or_b64 exec, exec, s[4:5]
                                        ; implicit-def: $vgpr7
	s_and_saveexec_b64 s[4:5], s[12:13]
	s_cbranch_execnz .LBB1547_206
.LBB1547_61:
	s_or_b64 exec, exec, s[4:5]
                                        ; implicit-def: $vgpr8
	s_and_saveexec_b64 s[4:5], s[14:15]
	s_cbranch_execz .LBB1547_207
.LBB1547_62:
	v_lshlrev_b32_e32 v8, 1, v0
	v_add_co_u32_e32 v8, vcc, v56, v8
	v_addc_co_u32_e32 v9, vcc, 0, v57, vcc
	flat_load_ushort v8, v[8:9] offset:768
	s_or_b64 exec, exec, s[4:5]
                                        ; implicit-def: $vgpr9
	s_and_saveexec_b64 s[4:5], s[16:17]
	s_cbranch_execnz .LBB1547_208
.LBB1547_63:
	s_or_b64 exec, exec, s[4:5]
                                        ; implicit-def: $vgpr10
	s_and_saveexec_b64 s[4:5], s[18:19]
	s_cbranch_execz .LBB1547_209
.LBB1547_64:
	v_lshlrev_b32_e32 v10, 1, v0
	v_add_co_u32_e32 v10, vcc, v56, v10
	v_addc_co_u32_e32 v11, vcc, 0, v57, vcc
	flat_load_ushort v10, v[10:11] offset:1024
	s_or_b64 exec, exec, s[4:5]
                                        ; implicit-def: $vgpr11
	s_and_saveexec_b64 s[4:5], s[20:21]
	s_cbranch_execnz .LBB1547_210
.LBB1547_65:
	s_or_b64 exec, exec, s[4:5]
                                        ; implicit-def: $vgpr12
	s_and_saveexec_b64 s[4:5], s[22:23]
	s_cbranch_execz .LBB1547_211
.LBB1547_66:
	v_lshlrev_b32_e32 v12, 1, v0
	v_add_co_u32_e32 v12, vcc, v56, v12
	v_addc_co_u32_e32 v13, vcc, 0, v57, vcc
	flat_load_ushort v12, v[12:13] offset:1280
	s_or_b64 exec, exec, s[4:5]
                                        ; implicit-def: $vgpr13
	s_and_saveexec_b64 s[4:5], s[24:25]
	s_cbranch_execnz .LBB1547_212
.LBB1547_67:
	s_or_b64 exec, exec, s[4:5]
                                        ; implicit-def: $vgpr14
	s_and_saveexec_b64 s[4:5], s[26:27]
	s_cbranch_execz .LBB1547_213
.LBB1547_68:
	v_lshlrev_b32_e32 v14, 1, v0
	v_add_co_u32_e32 v14, vcc, v56, v14
	v_addc_co_u32_e32 v15, vcc, 0, v57, vcc
	flat_load_ushort v14, v[14:15] offset:1536
	s_or_b64 exec, exec, s[4:5]
                                        ; implicit-def: $vgpr15
	s_and_saveexec_b64 s[4:5], s[28:29]
	s_cbranch_execnz .LBB1547_214
.LBB1547_69:
	s_or_b64 exec, exec, s[4:5]
                                        ; implicit-def: $vgpr16
	s_and_saveexec_b64 s[4:5], s[30:31]
	s_cbranch_execz .LBB1547_215
.LBB1547_70:
	v_lshlrev_b32_e32 v16, 1, v0
	v_add_co_u32_e32 v16, vcc, v56, v16
	v_addc_co_u32_e32 v17, vcc, 0, v57, vcc
	flat_load_ushort v16, v[16:17] offset:1792
	s_or_b64 exec, exec, s[4:5]
                                        ; implicit-def: $vgpr17
	s_and_saveexec_b64 s[4:5], s[34:35]
	s_cbranch_execnz .LBB1547_216
.LBB1547_71:
	s_or_b64 exec, exec, s[4:5]
                                        ; implicit-def: $vgpr18
	s_and_saveexec_b64 s[4:5], s[36:37]
	s_cbranch_execz .LBB1547_217
.LBB1547_72:
	v_lshlrev_b32_e32 v18, 1, v0
	v_add_co_u32_e32 v18, vcc, v56, v18
	v_addc_co_u32_e32 v19, vcc, 0, v57, vcc
	flat_load_ushort v18, v[18:19] offset:2048
	s_or_b64 exec, exec, s[4:5]
                                        ; implicit-def: $vgpr19
	s_and_saveexec_b64 s[4:5], s[38:39]
	s_cbranch_execnz .LBB1547_218
.LBB1547_73:
	s_or_b64 exec, exec, s[4:5]
                                        ; implicit-def: $vgpr20
	s_and_saveexec_b64 s[4:5], s[40:41]
	s_cbranch_execz .LBB1547_219
.LBB1547_74:
	v_lshlrev_b32_e32 v20, 1, v0
	v_add_co_u32_e32 v20, vcc, v56, v20
	v_addc_co_u32_e32 v21, vcc, 0, v57, vcc
	flat_load_ushort v20, v[20:21] offset:2304
	s_or_b64 exec, exec, s[4:5]
                                        ; implicit-def: $vgpr21
	s_and_saveexec_b64 s[4:5], s[42:43]
	s_cbranch_execnz .LBB1547_220
.LBB1547_75:
	s_or_b64 exec, exec, s[4:5]
                                        ; implicit-def: $vgpr47
	s_and_saveexec_b64 s[4:5], s[44:45]
	s_cbranch_execz .LBB1547_221
.LBB1547_76:
	v_lshlrev_b32_e32 v46, 1, v0
	v_add_co_u32_e32 v46, vcc, v56, v46
	v_addc_co_u32_e32 v47, vcc, 0, v57, vcc
	flat_load_ushort v47, v[46:47] offset:2560
	s_or_b64 exec, exec, s[4:5]
                                        ; implicit-def: $vgpr48
	s_and_saveexec_b64 s[4:5], s[46:47]
	s_cbranch_execnz .LBB1547_222
.LBB1547_77:
	s_or_b64 exec, exec, s[4:5]
                                        ; implicit-def: $vgpr49
	s_and_saveexec_b64 s[4:5], s[48:49]
	s_cbranch_execz .LBB1547_79
.LBB1547_78:
	v_lshlrev_b32_e32 v46, 1, v0
	v_add_co_u32_e32 v54, vcc, v56, v46
	v_addc_co_u32_e32 v55, vcc, 0, v57, vcc
	flat_load_ushort v49, v[54:55] offset:2816
.LBB1547_79:
	s_or_b64 exec, exec, s[4:5]
	v_mul_u32_u24_e32 v60, 24, v0
                                        ; implicit-def: $vgpr54
	s_and_saveexec_b64 s[4:5], s[50:51]
	s_cbranch_execz .LBB1547_81
; %bb.80:
	v_lshlrev_b32_e32 v46, 1, v0
	v_add_co_u32_e32 v54, vcc, v56, v46
	v_addc_co_u32_e32 v55, vcc, 0, v57, vcc
	flat_load_ushort v54, v[54:55] offset:2944
.LBB1547_81:
	s_or_b64 exec, exec, s[4:5]
	v_lshlrev_b32_e32 v46, 1, v0
	s_mov_b32 s4, 0
	v_sub_u32_e32 v46, v1, v46
	s_mov_b32 s5, s4
	s_waitcnt vmcnt(0) lgkmcnt(0)
	ds_write_b16 v46, v2
	ds_write_b16 v46, v3 offset:128
	ds_write_b16 v46, v4 offset:256
	;; [unrolled: 1-line block ×23, first 2 shown]
	s_mov_b32 s6, s4
	s_mov_b32 s7, s4
	;; [unrolled: 1-line block ×6, first 2 shown]
	v_pk_mov_b32 v[2:3], s[4:5], s[4:5] op_sel:[0,1]
	s_mov_b32 s14, s4
	s_mov_b32 s15, s4
	v_pk_mov_b32 v[8:9], s[10:11], s[10:11] op_sel:[0,1]
	s_mov_b32 s12, s4
	s_mov_b32 s13, s4
	v_pk_mov_b32 v[20:21], s[14:15], s[14:15] op_sel:[0,1]
	v_pk_mov_b32 v[4:5], s[6:7], s[6:7] op_sel:[0,1]
	;; [unrolled: 1-line block ×4, first 2 shown]
	v_cmp_gt_u32_e32 vcc, s72, v60
	s_mov_b64 s[20:21], 0
	v_pk_mov_b32 v[18:19], s[12:13], s[12:13] op_sel:[0,1]
	v_mov_b32_e32 v1, 0
	s_mov_b64 s[10:11], 0
	v_pk_mov_b32 v[14:15], v[6:7], v[6:7] op_sel:[0,1]
	v_pk_mov_b32 v[12:13], v[4:5], v[4:5] op_sel:[0,1]
	;; [unrolled: 1-line block ×3, first 2 shown]
	v_mov_b32_e32 v54, 0
	v_mov_b32_e32 v55, 0
	s_waitcnt lgkmcnt(0)
	; wave barrier
	s_waitcnt lgkmcnt(0)
                                        ; implicit-def: $sgpr8_sgpr9
                                        ; implicit-def: $vgpr59
	s_and_saveexec_b64 s[6:7], vcc
	s_cbranch_execz .LBB1547_129
; %bb.82:
	v_mad_u32_u24 v1, v0, 46, v46
	ds_read_u16 v1, v1
	v_mov_b32_e32 v3, s74
	v_cmp_eq_u32_e32 vcc, v42, v43
	s_mov_b32 s8, 0
	v_or_b32_e32 v2, 1, v60
	s_waitcnt lgkmcnt(0)
	v_cndmask_b32_e32 v1, v3, v1, vcc
	v_cmp_ne_u32_e32 vcc, v42, v43
	v_and_b32_e32 v1, 0xffff, v1
	v_cndmask_b32_e64 v3, 0, 1, vcc
	s_mov_b32 s9, s8
	v_lshl_or_b32 v1, v3, 16, v1
	v_cmp_gt_u32_e32 vcc, s72, v2
	s_mov_b32 s10, s8
	s_mov_b32 s11, s8
	;; [unrolled: 1-line block ×6, first 2 shown]
	v_pk_mov_b32 v[2:3], s[8:9], s[8:9] op_sel:[0,1]
	s_mov_b32 s18, s8
	s_mov_b32 s19, s8
	v_pk_mov_b32 v[8:9], s[14:15], s[14:15] op_sel:[0,1]
	s_mov_b32 s16, s8
	s_mov_b32 s17, s8
	v_pk_mov_b32 v[20:21], s[18:19], s[18:19] op_sel:[0,1]
	v_pk_mov_b32 v[4:5], s[10:11], s[10:11] op_sel:[0,1]
	;; [unrolled: 1-line block ×4, first 2 shown]
	s_mov_b64 s[24:25], 0
	v_pk_mov_b32 v[18:19], s[16:17], s[16:17] op_sel:[0,1]
	v_mov_b32_e32 v54, 0
	v_pk_mov_b32 v[14:15], v[6:7], v[6:7] op_sel:[0,1]
	v_pk_mov_b32 v[12:13], v[4:5], v[4:5] op_sel:[0,1]
	;; [unrolled: 1-line block ×3, first 2 shown]
	v_mov_b32_e32 v55, 0
                                        ; implicit-def: $sgpr26_sgpr27
                                        ; implicit-def: $vgpr59
	s_and_saveexec_b64 s[22:23], vcc
	s_cbranch_execz .LBB1547_128
; %bb.83:
	v_mul_u32_u24_e32 v2, 46, v0
	v_add_u32_e32 v42, v46, v2
	ds_read_b128 v[46:49], v42 offset:2
	v_mov_b32_e32 v3, s74
	v_cmp_eq_u32_e32 vcc, v43, v44
	v_or_b32_e32 v2, 2, v60
	v_pk_mov_b32 v[20:21], s[18:19], s[18:19] op_sel:[0,1]
	s_waitcnt lgkmcnt(0)
	v_cndmask_b32_e32 v3, v3, v46, vcc
	v_cmp_ne_u32_e32 vcc, v43, v44
	v_and_b32_e32 v3, 0xffff, v3
	v_cndmask_b32_e64 v4, 0, 1, vcc
	v_lshl_or_b32 v54, v4, 16, v3
	v_cmp_gt_u32_e32 vcc, s72, v2
	v_pk_mov_b32 v[2:3], s[8:9], s[8:9] op_sel:[0,1]
	v_pk_mov_b32 v[8:9], s[14:15], s[14:15] op_sel:[0,1]
	;; [unrolled: 1-line block ×6, first 2 shown]
	v_mov_b32_e32 v55, 0
	v_pk_mov_b32 v[14:15], v[6:7], v[6:7] op_sel:[0,1]
	v_pk_mov_b32 v[12:13], v[4:5], v[4:5] op_sel:[0,1]
	;; [unrolled: 1-line block ×3, first 2 shown]
                                        ; implicit-def: $sgpr8_sgpr9
                                        ; implicit-def: $vgpr59
	s_and_saveexec_b64 s[16:17], vcc
	s_cbranch_execz .LBB1547_127
; %bb.84:
	v_lshrrev_b32_e32 v2, 16, v46
	v_mov_b32_e32 v4, s74
	v_cmp_eq_u32_e32 vcc, v44, v45
	v_cndmask_b32_e32 v2, v4, v2, vcc
	v_cmp_ne_u32_e32 vcc, v44, v45
	s_mov_b32 s8, 0
	v_or_b32_e32 v3, 3, v60
	v_and_b32_e32 v2, 0xffff, v2
	v_cndmask_b32_e64 v4, 0, 1, vcc
	s_mov_b32 s9, s8
	v_lshl_or_b32 v21, v4, 16, v2
	v_cmp_gt_u32_e32 vcc, s72, v3
	s_mov_b32 s10, s8
	s_mov_b32 s11, s8
	;; [unrolled: 1-line block ×6, first 2 shown]
	v_pk_mov_b32 v[2:3], s[8:9], s[8:9] op_sel:[0,1]
	v_pk_mov_b32 v[8:9], s[14:15], s[14:15] op_sel:[0,1]
	v_mov_b32_e32 v18, 0
	v_pk_mov_b32 v[4:5], s[10:11], s[10:11] op_sel:[0,1]
	v_pk_mov_b32 v[6:7], s[12:13], s[12:13] op_sel:[0,1]
	;; [unrolled: 1-line block ×3, first 2 shown]
	v_mov_b32_e32 v19, v18
	v_mov_b32_e32 v20, v18
	v_pk_mov_b32 v[14:15], v[6:7], v[6:7] op_sel:[0,1]
	v_pk_mov_b32 v[12:13], v[4:5], v[4:5] op_sel:[0,1]
	;; [unrolled: 1-line block ×3, first 2 shown]
	v_mov_b32_e32 v55, v18
                                        ; implicit-def: $sgpr28_sgpr29
                                        ; implicit-def: $vgpr59
	s_and_saveexec_b64 s[18:19], vcc
	s_cbranch_execz .LBB1547_126
; %bb.85:
	v_mov_b32_e32 v3, s74
	v_cmp_eq_u32_e32 vcc, v45, v38
	v_cndmask_b32_e32 v3, v3, v47, vcc
	v_cmp_ne_u32_e32 vcc, v45, v38
	v_or_b32_e32 v2, 4, v60
	v_and_b32_e32 v3, 0xffff, v3
	v_cndmask_b32_e64 v4, 0, 1, vcc
	v_lshl_or_b32 v20, v4, 16, v3
	v_cmp_gt_u32_e32 vcc, s72, v2
	v_pk_mov_b32 v[2:3], s[8:9], s[8:9] op_sel:[0,1]
	v_pk_mov_b32 v[8:9], s[14:15], s[14:15] op_sel:[0,1]
	v_mov_b32_e32 v18, 0
	v_pk_mov_b32 v[4:5], s[10:11], s[10:11] op_sel:[0,1]
	v_pk_mov_b32 v[6:7], s[12:13], s[12:13] op_sel:[0,1]
	;; [unrolled: 1-line block ×3, first 2 shown]
	v_mov_b32_e32 v19, v18
	s_mov_b64 s[26:27], 0
	v_pk_mov_b32 v[14:15], v[6:7], v[6:7] op_sel:[0,1]
	v_pk_mov_b32 v[12:13], v[4:5], v[4:5] op_sel:[0,1]
	;; [unrolled: 1-line block ×3, first 2 shown]
	v_mov_b32_e32 v55, v18
                                        ; implicit-def: $sgpr8_sgpr9
                                        ; implicit-def: $vgpr59
	s_and_saveexec_b64 s[24:25], vcc
	s_cbranch_execz .LBB1547_125
; %bb.86:
	v_lshrrev_b32_e32 v2, 16, v47
	v_mov_b32_e32 v4, s74
	v_cmp_eq_u32_e32 vcc, v38, v39
	v_cndmask_b32_e32 v2, v4, v2, vcc
	v_cmp_ne_u32_e32 vcc, v38, v39
	s_mov_b32 s8, 0
	v_or_b32_e32 v3, 5, v60
	v_and_b32_e32 v2, 0xffff, v2
	v_cndmask_b32_e64 v4, 0, 1, vcc
	s_mov_b32 s9, s8
	v_lshl_or_b32 v19, v4, 16, v2
	v_cmp_gt_u32_e32 vcc, s72, v3
	s_mov_b32 s10, s8
	s_mov_b32 s11, s8
	;; [unrolled: 1-line block ×6, first 2 shown]
	v_pk_mov_b32 v[2:3], s[8:9], s[8:9] op_sel:[0,1]
	v_pk_mov_b32 v[8:9], s[14:15], s[14:15] op_sel:[0,1]
	;; [unrolled: 1-line block ×5, first 2 shown]
	v_mov_b32_e32 v18, s8
	s_mov_b64 s[28:29], 0
	v_mov_b32_e32 v55, 0
	v_pk_mov_b32 v[14:15], v[6:7], v[6:7] op_sel:[0,1]
	v_pk_mov_b32 v[12:13], v[4:5], v[4:5] op_sel:[0,1]
	;; [unrolled: 1-line block ×3, first 2 shown]
                                        ; implicit-def: $sgpr34_sgpr35
                                        ; implicit-def: $vgpr59
	s_and_saveexec_b64 s[26:27], vcc
	s_cbranch_execz .LBB1547_124
; %bb.87:
	v_mov_b32_e32 v3, s74
	v_cmp_eq_u32_e32 vcc, v39, v40
	v_cndmask_b32_e32 v3, v3, v48, vcc
	v_cmp_ne_u32_e32 vcc, v39, v40
	v_or_b32_e32 v2, 6, v60
	v_and_b32_e32 v3, 0xffff, v3
	v_cndmask_b32_e64 v4, 0, 1, vcc
	v_lshl_or_b32 v18, v4, 16, v3
	v_cmp_gt_u32_e32 vcc, s72, v2
	v_pk_mov_b32 v[2:3], s[8:9], s[8:9] op_sel:[0,1]
	v_pk_mov_b32 v[8:9], s[14:15], s[14:15] op_sel:[0,1]
	;; [unrolled: 1-line block ×5, first 2 shown]
	s_mov_b64 s[30:31], 0
	v_mov_b32_e32 v55, 0
	v_pk_mov_b32 v[14:15], v[6:7], v[6:7] op_sel:[0,1]
	v_pk_mov_b32 v[12:13], v[4:5], v[4:5] op_sel:[0,1]
	v_pk_mov_b32 v[10:11], v[2:3], v[2:3] op_sel:[0,1]
                                        ; implicit-def: $sgpr8_sgpr9
                                        ; implicit-def: $vgpr59
	s_and_saveexec_b64 s[28:29], vcc
	s_cbranch_execz .LBB1547_123
; %bb.88:
	v_lshrrev_b32_e32 v2, 16, v48
	v_mov_b32_e32 v4, s74
	v_cmp_eq_u32_e32 vcc, v40, v41
	v_cndmask_b32_e32 v2, v4, v2, vcc
	v_cmp_ne_u32_e32 vcc, v40, v41
	s_mov_b32 s8, 0
	v_or_b32_e32 v3, 7, v60
	v_and_b32_e32 v2, 0xffff, v2
	v_cndmask_b32_e64 v4, 0, 1, vcc
	s_mov_b32 s9, s8
	v_lshl_or_b32 v55, v4, 16, v2
	v_cmp_gt_u32_e32 vcc, s72, v3
	s_mov_b32 s10, s8
	s_mov_b32 s11, s8
	;; [unrolled: 1-line block ×6, first 2 shown]
	v_pk_mov_b32 v[2:3], s[8:9], s[8:9] op_sel:[0,1]
	v_pk_mov_b32 v[8:9], s[14:15], s[14:15] op_sel:[0,1]
	;; [unrolled: 1-line block ×5, first 2 shown]
	s_mov_b64 s[34:35], 0
	v_pk_mov_b32 v[14:15], v[6:7], v[6:7] op_sel:[0,1]
	v_pk_mov_b32 v[12:13], v[4:5], v[4:5] op_sel:[0,1]
	;; [unrolled: 1-line block ×3, first 2 shown]
                                        ; implicit-def: $sgpr38_sgpr39
                                        ; implicit-def: $vgpr59
	s_and_saveexec_b64 s[30:31], vcc
	s_cbranch_execz .LBB1547_122
; %bb.89:
	v_mov_b32_e32 v3, s74
	v_cmp_eq_u32_e32 vcc, v41, v34
	v_add_u32_e32 v2, 8, v60
	v_cndmask_b32_e32 v3, v3, v49, vcc
	v_cmp_ne_u32_e32 vcc, v41, v34
	v_and_b32_e32 v3, 0xffff, v3
	v_cndmask_b32_e64 v4, 0, 1, vcc
	v_cmp_gt_u32_e32 vcc, s72, v2
	v_mov_b32_e32 v2, 0
	v_pk_mov_b32 v[16:17], s[14:15], s[14:15] op_sel:[0,1]
	v_lshl_or_b32 v9, v4, 16, v3
	v_mov_b32_e32 v3, v2
	v_mov_b32_e32 v4, v2
	;; [unrolled: 1-line block ×6, first 2 shown]
	s_mov_b64 s[36:37], 0
	v_pk_mov_b32 v[14:15], s[12:13], s[12:13] op_sel:[0,1]
	v_pk_mov_b32 v[12:13], s[10:11], s[10:11] op_sel:[0,1]
	;; [unrolled: 1-line block ×3, first 2 shown]
                                        ; implicit-def: $sgpr8_sgpr9
                                        ; implicit-def: $vgpr59
	s_and_saveexec_b64 s[34:35], vcc
	s_cbranch_execz .LBB1547_121
; %bb.90:
	v_lshrrev_b32_e32 v3, 16, v49
	v_mov_b32_e32 v5, s74
	v_cmp_eq_u32_e32 vcc, v34, v35
	s_mov_b32 s8, 0
	v_cndmask_b32_e32 v3, v5, v3, vcc
	v_cmp_ne_u32_e32 vcc, v34, v35
	s_mov_b32 s14, s8
	s_mov_b32 s15, s8
	v_add_u32_e32 v4, 9, v60
	v_and_b32_e32 v3, 0xffff, v3
	v_cndmask_b32_e64 v5, 0, 1, vcc
	s_mov_b32 s9, s8
	s_mov_b32 s10, s8
	;; [unrolled: 1-line block ×5, first 2 shown]
	v_pk_mov_b32 v[16:17], s[14:15], s[14:15] op_sel:[0,1]
	v_lshl_or_b32 v8, v5, 16, v3
	v_cmp_gt_u32_e32 vcc, s72, v4
	v_mov_b32_e32 v3, v2
	v_mov_b32_e32 v4, v2
	;; [unrolled: 1-line block ×5, first 2 shown]
	s_mov_b64 s[38:39], 0
	v_pk_mov_b32 v[14:15], s[12:13], s[12:13] op_sel:[0,1]
	v_pk_mov_b32 v[12:13], s[10:11], s[10:11] op_sel:[0,1]
	;; [unrolled: 1-line block ×3, first 2 shown]
                                        ; implicit-def: $sgpr42_sgpr43
                                        ; implicit-def: $vgpr59
	s_and_saveexec_b64 s[36:37], vcc
	s_cbranch_execz .LBB1547_120
; %bb.91:
	ds_read_b128 v[38:41], v42 offset:18
	v_mov_b32_e32 v3, s74
	v_cmp_eq_u32_e32 vcc, v35, v36
	v_add_u32_e32 v2, 10, v60
	v_pk_mov_b32 v[16:17], s[14:15], s[14:15] op_sel:[0,1]
	s_waitcnt lgkmcnt(0)
	v_cndmask_b32_e32 v3, v3, v38, vcc
	v_cmp_ne_u32_e32 vcc, v35, v36
	v_and_b32_e32 v3, 0xffff, v3
	v_cndmask_b32_e64 v4, 0, 1, vcc
	v_cmp_gt_u32_e32 vcc, s72, v2
	v_mov_b32_e32 v2, 0
	v_lshl_or_b32 v7, v4, 16, v3
	v_mov_b32_e32 v3, v2
	v_mov_b32_e32 v4, v2
	;; [unrolled: 1-line block ×4, first 2 shown]
	s_mov_b64 s[40:41], 0
	v_pk_mov_b32 v[14:15], s[12:13], s[12:13] op_sel:[0,1]
	v_pk_mov_b32 v[12:13], s[10:11], s[10:11] op_sel:[0,1]
	;; [unrolled: 1-line block ×3, first 2 shown]
                                        ; implicit-def: $sgpr8_sgpr9
                                        ; implicit-def: $vgpr59
	s_and_saveexec_b64 s[38:39], vcc
	s_cbranch_execz .LBB1547_119
; %bb.92:
	v_lshrrev_b32_e32 v3, 16, v38
	v_mov_b32_e32 v5, s74
	v_cmp_eq_u32_e32 vcc, v36, v37
	s_mov_b32 s8, 0
	v_cndmask_b32_e32 v3, v5, v3, vcc
	v_cmp_ne_u32_e32 vcc, v36, v37
	s_mov_b32 s14, s8
	s_mov_b32 s15, s8
	v_add_u32_e32 v4, 11, v60
	v_and_b32_e32 v3, 0xffff, v3
	v_cndmask_b32_e64 v5, 0, 1, vcc
	s_mov_b32 s9, s8
	s_mov_b32 s10, s8
	;; [unrolled: 1-line block ×5, first 2 shown]
	v_pk_mov_b32 v[16:17], s[14:15], s[14:15] op_sel:[0,1]
	v_lshl_or_b32 v6, v5, 16, v3
	v_cmp_gt_u32_e32 vcc, s72, v4
	v_mov_b32_e32 v3, v2
	v_mov_b32_e32 v4, v2
	;; [unrolled: 1-line block ×3, first 2 shown]
	s_mov_b64 s[42:43], 0
	v_pk_mov_b32 v[14:15], s[12:13], s[12:13] op_sel:[0,1]
	v_pk_mov_b32 v[12:13], s[10:11], s[10:11] op_sel:[0,1]
	v_pk_mov_b32 v[10:11], s[8:9], s[8:9] op_sel:[0,1]
                                        ; implicit-def: $sgpr46_sgpr47
                                        ; implicit-def: $vgpr59
	s_and_saveexec_b64 s[40:41], vcc
	s_cbranch_execz .LBB1547_118
; %bb.93:
	v_mov_b32_e32 v3, s74
	v_cmp_eq_u32_e32 vcc, v37, v30
	v_add_u32_e32 v2, 12, v60
	v_cndmask_b32_e32 v3, v3, v39, vcc
	v_cmp_ne_u32_e32 vcc, v37, v30
	v_and_b32_e32 v3, 0xffff, v3
	v_cndmask_b32_e64 v4, 0, 1, vcc
	v_cmp_gt_u32_e32 vcc, s72, v2
	v_mov_b32_e32 v2, 0
	v_pk_mov_b32 v[16:17], s[14:15], s[14:15] op_sel:[0,1]
	v_lshl_or_b32 v5, v4, 16, v3
	v_mov_b32_e32 v3, v2
	v_mov_b32_e32 v4, v2
	s_mov_b64 s[44:45], 0
	v_pk_mov_b32 v[14:15], s[12:13], s[12:13] op_sel:[0,1]
	v_pk_mov_b32 v[12:13], s[10:11], s[10:11] op_sel:[0,1]
	;; [unrolled: 1-line block ×3, first 2 shown]
                                        ; implicit-def: $sgpr8_sgpr9
                                        ; implicit-def: $vgpr59
	s_and_saveexec_b64 s[42:43], vcc
	s_cbranch_execz .LBB1547_117
; %bb.94:
	v_lshrrev_b32_e32 v3, 16, v39
	v_mov_b32_e32 v4, s74
	v_cmp_eq_u32_e32 vcc, v30, v31
	s_mov_b32 s8, 0
	v_add_u32_e32 v10, 13, v60
	v_cndmask_b32_e32 v3, v4, v3, vcc
	v_cmp_ne_u32_e32 vcc, v30, v31
	s_mov_b32 s14, s8
	s_mov_b32 s15, s8
	v_and_b32_e32 v3, 0xffff, v3
	v_cndmask_b32_e64 v4, 0, 1, vcc
	v_cmp_gt_u32_e32 vcc, s72, v10
	s_mov_b32 s9, s8
	s_mov_b32 s10, s8
	;; [unrolled: 1-line block ×5, first 2 shown]
	v_pk_mov_b32 v[16:17], s[14:15], s[14:15] op_sel:[0,1]
	v_lshl_or_b32 v4, v4, 16, v3
	v_mov_b32_e32 v3, v2
	s_mov_b64 s[46:47], 0
	v_pk_mov_b32 v[14:15], s[12:13], s[12:13] op_sel:[0,1]
	v_pk_mov_b32 v[12:13], s[10:11], s[10:11] op_sel:[0,1]
	;; [unrolled: 1-line block ×3, first 2 shown]
                                        ; implicit-def: $sgpr48_sgpr49
                                        ; implicit-def: $vgpr59
	s_and_saveexec_b64 s[44:45], vcc
	s_cbranch_execz .LBB1547_116
; %bb.95:
	v_mov_b32_e32 v3, s74
	v_cmp_eq_u32_e32 vcc, v31, v32
	v_cndmask_b32_e32 v3, v3, v40, vcc
	v_cmp_ne_u32_e32 vcc, v31, v32
	v_and_b32_e32 v3, 0xffff, v3
	v_cndmask_b32_e64 v10, 0, 1, vcc
	v_add_u32_e32 v2, 14, v60
	v_lshl_or_b32 v3, v10, 16, v3
	v_pk_mov_b32 v[16:17], s[14:15], s[14:15] op_sel:[0,1]
	v_cmp_gt_u32_e32 vcc, s72, v2
	v_mov_b32_e32 v2, s8
	v_pk_mov_b32 v[14:15], s[12:13], s[12:13] op_sel:[0,1]
	v_pk_mov_b32 v[12:13], s[10:11], s[10:11] op_sel:[0,1]
	;; [unrolled: 1-line block ×3, first 2 shown]
                                        ; implicit-def: $sgpr10_sgpr11
                                        ; implicit-def: $vgpr59
	s_and_saveexec_b64 s[8:9], vcc
	s_cbranch_execz .LBB1547_115
; %bb.96:
	v_lshrrev_b32_e32 v2, 16, v40
	v_mov_b32_e32 v11, s74
	v_cmp_eq_u32_e32 vcc, v32, v33
	v_cndmask_b32_e32 v2, v11, v2, vcc
	v_cmp_ne_u32_e32 vcc, v32, v33
	s_mov_b32 s76, 0
	v_add_u32_e32 v10, 15, v60
	v_and_b32_e32 v2, 0xffff, v2
	v_cndmask_b32_e64 v11, 0, 1, vcc
	s_mov_b32 s77, s76
	v_lshl_or_b32 v2, v11, 16, v2
	v_cmp_gt_u32_e32 vcc, s72, v10
	s_mov_b32 s78, s76
	s_mov_b32 s79, s76
	;; [unrolled: 1-line block ×6, first 2 shown]
	v_pk_mov_b32 v[10:11], s[76:77], s[76:77] op_sel:[0,1]
	s_mov_b64 s[12:13], 0
	v_pk_mov_b32 v[12:13], s[78:79], s[78:79] op_sel:[0,1]
	v_pk_mov_b32 v[14:15], s[80:81], s[80:81] op_sel:[0,1]
	;; [unrolled: 1-line block ×3, first 2 shown]
                                        ; implicit-def: $sgpr46_sgpr47
                                        ; implicit-def: $vgpr59
	s_and_saveexec_b64 s[10:11], vcc
	s_cbranch_execz .LBB1547_114
; %bb.97:
	v_mov_b32_e32 v10, s74
	v_cmp_eq_u32_e32 vcc, v33, v26
	v_cndmask_b32_e32 v10, v10, v41, vcc
	v_cmp_ne_u32_e32 vcc, v33, v26
	v_and_b32_e32 v10, 0xffff, v10
	v_cndmask_b32_e64 v12, 0, 1, vcc
	v_add_u32_e32 v11, 16, v60
	v_lshl_or_b32 v10, v12, 16, v10
	v_mov_b32_e32 v12, 0
	v_cmp_gt_u32_e32 vcc, s72, v11
	v_mov_b32_e32 v11, v12
	v_mov_b32_e32 v13, v12
	;; [unrolled: 1-line block ×6, first 2 shown]
	s_mov_b64 s[14:15], 0
                                        ; implicit-def: $sgpr48_sgpr49
                                        ; implicit-def: $vgpr59
	s_and_saveexec_b64 s[12:13], vcc
	s_cbranch_execz .LBB1547_113
; %bb.98:
	v_lshrrev_b32_e32 v11, 16, v41
	v_mov_b32_e32 v14, s74
	v_cmp_eq_u32_e32 vcc, v26, v27
	v_cndmask_b32_e32 v11, v14, v11, vcc
	v_cmp_ne_u32_e32 vcc, v26, v27
	v_add_u32_e32 v13, 17, v60
	v_and_b32_e32 v11, 0xffff, v11
	v_cndmask_b32_e64 v14, 0, 1, vcc
	v_lshl_or_b32 v11, v14, 16, v11
	v_cmp_gt_u32_e32 vcc, s72, v13
	v_mov_b32_e32 v13, v12
	v_mov_b32_e32 v14, v12
	;; [unrolled: 1-line block ×5, first 2 shown]
	s_mov_b64 s[46:47], 0
                                        ; implicit-def: $sgpr50_sgpr51
                                        ; implicit-def: $vgpr59
	s_and_saveexec_b64 s[14:15], vcc
	s_cbranch_execz .LBB1547_112
; %bb.99:
	ds_read_b96 v[30:32], v42 offset:34
	v_mov_b32_e32 v12, s74
	v_cmp_eq_u32_e32 vcc, v27, v28
	v_add_u32_e32 v13, 18, v60
	s_mov_b64 s[48:49], 0
	s_waitcnt lgkmcnt(0)
	v_cndmask_b32_e32 v12, v12, v30, vcc
	v_cmp_ne_u32_e32 vcc, v27, v28
	v_and_b32_e32 v12, 0xffff, v12
	v_cndmask_b32_e64 v14, 0, 1, vcc
	v_lshl_or_b32 v12, v14, 16, v12
	v_mov_b32_e32 v14, 0
	v_cmp_gt_u32_e32 vcc, s72, v13
	v_mov_b32_e32 v13, v14
	v_mov_b32_e32 v15, v14
	;; [unrolled: 1-line block ×4, first 2 shown]
                                        ; implicit-def: $sgpr52_sgpr53
                                        ; implicit-def: $vgpr59
	s_and_saveexec_b64 s[46:47], vcc
	s_cbranch_execz .LBB1547_111
; %bb.100:
	v_lshrrev_b32_e32 v13, 16, v30
	v_mov_b32_e32 v16, s74
	v_cmp_eq_u32_e32 vcc, v28, v29
	v_cndmask_b32_e32 v13, v16, v13, vcc
	v_cmp_ne_u32_e32 vcc, v28, v29
	v_add_u32_e32 v15, 19, v60
	v_and_b32_e32 v13, 0xffff, v13
	v_cndmask_b32_e64 v16, 0, 1, vcc
	v_lshl_or_b32 v13, v16, 16, v13
	v_cmp_gt_u32_e32 vcc, s72, v15
	v_mov_b32_e32 v15, v14
	v_mov_b32_e32 v16, v14
	;; [unrolled: 1-line block ×3, first 2 shown]
	s_mov_b64 s[50:51], 0
                                        ; implicit-def: $sgpr60_sgpr61
                                        ; implicit-def: $vgpr59
	s_and_saveexec_b64 s[48:49], vcc
	s_cbranch_execz .LBB1547_110
; %bb.101:
	v_mov_b32_e32 v14, s74
	v_cmp_eq_u32_e32 vcc, v29, v22
	v_cndmask_b32_e32 v14, v14, v31, vcc
	v_cmp_ne_u32_e32 vcc, v29, v22
	v_and_b32_e32 v14, 0xffff, v14
	v_cndmask_b32_e64 v16, 0, 1, vcc
	v_add_u32_e32 v15, 20, v60
	v_lshl_or_b32 v14, v16, 16, v14
	v_mov_b32_e32 v16, 0
	v_cmp_gt_u32_e32 vcc, s72, v15
	v_mov_b32_e32 v15, v16
	v_mov_b32_e32 v17, v16
	s_mov_b64 s[52:53], 0
                                        ; implicit-def: $sgpr68_sgpr69
                                        ; implicit-def: $vgpr59
	s_and_saveexec_b64 s[50:51], vcc
	s_cbranch_execz .LBB1547_109
; %bb.102:
	v_lshrrev_b32_e32 v15, 16, v31
	v_mov_b32_e32 v26, s74
	v_cmp_eq_u32_e32 vcc, v22, v23
	v_cndmask_b32_e32 v15, v26, v15, vcc
	v_cmp_ne_u32_e32 vcc, v22, v23
	v_add_u32_e32 v17, 21, v60
	v_and_b32_e32 v15, 0xffff, v15
	v_cndmask_b32_e64 v22, 0, 1, vcc
	v_lshl_or_b32 v15, v22, 16, v15
	v_cmp_gt_u32_e32 vcc, s72, v17
	s_mov_b32 s5, 0
	v_mov_b32_e32 v17, v16
	s_mov_b64 s[60:61], 0
                                        ; implicit-def: $sgpr70_sgpr71
                                        ; implicit-def: $vgpr59
	s_and_saveexec_b64 s[52:53], vcc
	s_cbranch_execz .LBB1547_108
; %bb.103:
	v_mov_b32_e32 v16, s74
	v_cmp_eq_u32_e32 vcc, v23, v24
	v_cndmask_b32_e32 v16, v16, v32, vcc
	v_cmp_ne_u32_e32 vcc, v23, v24
	v_add_u32_e32 v17, 22, v60
	v_and_b32_e32 v16, 0xffff, v16
	v_cndmask_b32_e64 v22, 0, 1, vcc
	v_lshl_or_b32 v16, v22, 16, v16
	v_cmp_gt_u32_e32 vcc, s72, v17
	v_mov_b32_e32 v17, s5
	s_mov_b64 s[68:69], 0
                                        ; implicit-def: $sgpr70_sgpr71
                                        ; implicit-def: $vgpr59
	s_and_saveexec_b64 s[60:61], vcc
	s_cbranch_execz .LBB1547_107
; %bb.104:
	v_lshrrev_b32_e32 v17, 16, v32
	v_mov_b32_e32 v23, s74
	v_cmp_eq_u32_e32 vcc, v24, v25
	v_cndmask_b32_e32 v17, v23, v17, vcc
	v_cmp_ne_u32_e32 vcc, v24, v25
	v_add_u32_e32 v22, 23, v60
	v_and_b32_e32 v17, 0xffff, v17
	v_cndmask_b32_e64 v23, 0, 1, vcc
	v_lshl_or_b32 v17, v23, 16, v17
	v_cmp_gt_u32_e32 vcc, s72, v22
                                        ; implicit-def: $sgpr70_sgpr71
                                        ; implicit-def: $vgpr59
	s_and_saveexec_b64 s[72:73], vcc
	s_xor_b64 s[72:73], exec, s[72:73]
	s_cbranch_execz .LBB1547_106
; %bb.105:
	ds_read_u16 v22, v42 offset:46
	v_mov_b32_e32 v23, s74
	v_cmp_ne_u32_e32 vcc, v25, v58
	s_mov_b64 s[68:69], exec
	s_and_b64 s[70:71], vcc, exec
	s_waitcnt lgkmcnt(0)
	v_cndmask_b32_e32 v59, v22, v23, vcc
.LBB1547_106:
	s_or_b64 exec, exec, s[72:73]
	s_and_b64 s[70:71], s[70:71], exec
	s_and_b64 s[68:69], s[68:69], exec
.LBB1547_107:
	s_or_b64 exec, exec, s[60:61]
	s_and_b64 s[70:71], s[70:71], exec
	s_and_b64 s[60:61], s[68:69], exec
.LBB1547_108:
	s_or_b64 exec, exec, s[52:53]
	s_and_b64 s[68:69], s[70:71], exec
	s_and_b64 s[52:53], s[60:61], exec
.LBB1547_109:
	s_or_b64 exec, exec, s[50:51]
	s_and_b64 s[60:61], s[68:69], exec
	s_and_b64 s[50:51], s[52:53], exec
.LBB1547_110:
	s_or_b64 exec, exec, s[48:49]
	s_and_b64 s[52:53], s[60:61], exec
	s_and_b64 s[48:49], s[50:51], exec
.LBB1547_111:
	s_or_b64 exec, exec, s[46:47]
	s_and_b64 s[50:51], s[52:53], exec
	s_and_b64 s[46:47], s[48:49], exec
.LBB1547_112:
	s_or_b64 exec, exec, s[14:15]
	s_and_b64 s[48:49], s[50:51], exec
	s_and_b64 s[14:15], s[46:47], exec
.LBB1547_113:
	s_or_b64 exec, exec, s[12:13]
	s_and_b64 s[46:47], s[48:49], exec
	s_and_b64 s[12:13], s[14:15], exec
.LBB1547_114:
	s_or_b64 exec, exec, s[10:11]
	s_and_b64 s[10:11], s[46:47], exec
	s_and_b64 s[46:47], s[12:13], exec
.LBB1547_115:
	s_or_b64 exec, exec, s[8:9]
	s_and_b64 s[48:49], s[10:11], exec
	s_and_b64 s[46:47], s[46:47], exec
.LBB1547_116:
	s_or_b64 exec, exec, s[44:45]
	s_and_b64 s[8:9], s[48:49], exec
	s_and_b64 s[44:45], s[46:47], exec
.LBB1547_117:
	s_or_b64 exec, exec, s[42:43]
	s_and_b64 s[46:47], s[8:9], exec
	s_and_b64 s[42:43], s[44:45], exec
.LBB1547_118:
	s_or_b64 exec, exec, s[40:41]
	s_and_b64 s[8:9], s[46:47], exec
	s_and_b64 s[40:41], s[42:43], exec
.LBB1547_119:
	s_or_b64 exec, exec, s[38:39]
	s_and_b64 s[42:43], s[8:9], exec
	s_and_b64 s[38:39], s[40:41], exec
.LBB1547_120:
	s_or_b64 exec, exec, s[36:37]
	s_and_b64 s[8:9], s[42:43], exec
	s_and_b64 s[36:37], s[38:39], exec
.LBB1547_121:
	s_or_b64 exec, exec, s[34:35]
	s_and_b64 s[38:39], s[8:9], exec
	s_and_b64 s[34:35], s[36:37], exec
.LBB1547_122:
	s_or_b64 exec, exec, s[30:31]
	s_and_b64 s[8:9], s[38:39], exec
	s_and_b64 s[30:31], s[34:35], exec
.LBB1547_123:
	s_or_b64 exec, exec, s[28:29]
	s_and_b64 s[34:35], s[8:9], exec
	s_and_b64 s[28:29], s[30:31], exec
.LBB1547_124:
	s_or_b64 exec, exec, s[26:27]
	s_and_b64 s[8:9], s[34:35], exec
	s_and_b64 s[26:27], s[28:29], exec
.LBB1547_125:
	s_or_b64 exec, exec, s[24:25]
	s_and_b64 s[28:29], s[8:9], exec
	s_and_b64 s[24:25], s[26:27], exec
.LBB1547_126:
	s_or_b64 exec, exec, s[18:19]
	s_and_b64 s[8:9], s[28:29], exec
	s_and_b64 s[24:25], s[24:25], exec
.LBB1547_127:
	s_or_b64 exec, exec, s[16:17]
	s_and_b64 s[26:27], s[8:9], exec
	s_and_b64 s[24:25], s[24:25], exec
.LBB1547_128:
	s_or_b64 exec, exec, s[22:23]
	s_and_b64 s[8:9], s[26:27], exec
	s_and_b64 s[10:11], s[24:25], exec
.LBB1547_129:
	s_or_b64 exec, exec, s[6:7]
	s_and_b64 vcc, exec, s[20:21]
	s_cbranch_vccnz .LBB1547_131
	s_branch .LBB1547_136
.LBB1547_130:
	s_mov_b64 s[10:11], 0
                                        ; implicit-def: $sgpr8_sgpr9
                                        ; implicit-def: $vgpr18_vgpr19_vgpr20_vgpr21
                                        ; implicit-def: $vgpr2_vgpr3_vgpr4_vgpr5_vgpr6_vgpr7_vgpr8_vgpr9
                                        ; implicit-def: $vgpr10_vgpr11_vgpr12_vgpr13_vgpr14_vgpr15_vgpr16_vgpr17
                                        ; implicit-def: $vgpr59
                                        ; implicit-def: $vgpr1
                                        ; implicit-def: $vgpr54
                                        ; implicit-def: $vgpr55
                                        ; implicit-def: $sgpr4
	s_and_b64 vcc, exec, s[20:21]
	s_cbranch_vccz .LBB1547_136
.LBB1547_131:
	v_lshlrev_b32_e32 v1, 2, v0
	v_add_co_u32_e32 v2, vcc, v52, v1
	v_addc_co_u32_e32 v3, vcc, 0, v53, vcc
	s_movk_i32 s4, 0x1000
	flat_load_dword v4, v[2:3]
	flat_load_dword v5, v[2:3] offset:256
	flat_load_dword v6, v[2:3] offset:512
	;; [unrolled: 1-line block ×15, first 2 shown]
	v_add_co_u32_e32 v2, vcc, s4, v2
	v_addc_co_u32_e32 v3, vcc, 0, v3, vcc
	flat_load_dword v20, v[2:3]
	flat_load_dword v21, v[2:3] offset:256
	flat_load_dword v22, v[2:3] offset:512
	;; [unrolled: 1-line block ×7, first 2 shown]
	v_add_co_u32_e32 v2, vcc, 0x1000, v52
	v_addc_co_u32_e32 v3, vcc, 0, v53, vcc
	s_movk_i32 s4, 0x5c
	v_cmp_ne_u32_e32 vcc, 63, v0
	s_waitcnt vmcnt(0) lgkmcnt(0)
	ds_write2st64_b32 v1, v4, v5 offset1:1
	ds_write2st64_b32 v1, v6, v7 offset0:2 offset1:3
	ds_write2st64_b32 v1, v8, v9 offset0:4 offset1:5
	;; [unrolled: 1-line block ×11, first 2 shown]
	s_waitcnt lgkmcnt(0)
	; wave barrier
	s_waitcnt lgkmcnt(0)
	flat_load_dword v40, v[2:3] offset:2048
	v_mad_u32_u24 v6, v0, s4, v1
	s_movk_i32 s4, 0xffa4
	ds_read2_b32 v[22:23], v6 offset0:6 offset1:23
	ds_read_b64 v[18:19], v6
	ds_read2_b64 v[2:5], v6 offset0:1 offset1:2
	ds_read2_b32 v[32:33], v6 offset0:13 offset1:14
	ds_read2_b32 v[34:35], v6 offset0:11 offset1:12
	;; [unrolled: 1-line block ×8, first 2 shown]
	v_mad_i32_i24 v6, v0, s4, v6
	s_waitcnt lgkmcnt(0)
	ds_write_b32 v6, v18 offset:6400
	s_waitcnt lgkmcnt(0)
	; wave barrier
	s_waitcnt lgkmcnt(0)
	s_and_saveexec_b64 s[4:5], vcc
	s_cbranch_execz .LBB1547_133
; %bb.132:
	s_waitcnt vmcnt(0)
	ds_read_b32 v40, v1 offset:6404
.LBB1547_133:
	s_or_b64 exec, exec, s[4:5]
	v_lshlrev_b32_e32 v1, 1, v0
	v_add_co_u32_e32 v8, vcc, v56, v1
	v_addc_co_u32_e32 v9, vcc, 0, v57, vcc
	s_waitcnt lgkmcnt(0)
	; wave barrier
	s_waitcnt lgkmcnt(0)
	flat_load_ushort v7, v[8:9]
	flat_load_ushort v10, v[8:9] offset:128
	flat_load_ushort v11, v[8:9] offset:256
	;; [unrolled: 1-line block ×23, first 2 shown]
	v_sub_u32_e32 v1, v6, v1
	v_mad_u32_u24 v56, v0, 46, v1
	v_cmp_eq_u32_e32 vcc, v18, v19
	v_mov_b32_e32 v18, s74
	s_waitcnt vmcnt(0) lgkmcnt(0)
	ds_write_b16 v1, v7
	ds_write_b16 v1, v10 offset:128
	ds_write_b16 v1, v11 offset:256
	;; [unrolled: 1-line block ×23, first 2 shown]
	s_waitcnt lgkmcnt(0)
	; wave barrier
	s_waitcnt lgkmcnt(0)
	ds_read_b96 v[14:16], v56 offset:2
	ds_read_b128 v[6:9], v56 offset:14
	ds_read_b128 v[10:13], v56 offset:30
	ds_read_u16 v41, v56 offset:46
	v_mov_b32_e32 v17, 0x10000
	s_and_saveexec_b64 s[4:5], vcc
	s_cbranch_execz .LBB1547_135
; %bb.134:
	v_mul_u32_u24_e32 v17, 46, v0
	v_add_u32_e32 v1, v1, v17
	ds_read_u16 v18, v1
	v_mov_b32_e32 v17, 0
.LBB1547_135:
	s_or_b64 exec, exec, s[4:5]
	v_mov_b32_e32 v47, s74
	v_cmp_eq_u32_e32 vcc, v19, v2
	s_waitcnt lgkmcnt(3)
	v_lshrrev_b32_e32 v21, 16, v14
	v_cndmask_b32_e32 v14, v47, v14, vcc
	v_cmp_ne_u32_e32 vcc, v19, v2
	s_waitcnt lgkmcnt(0)
	v_or_b32_sdwa v1, v17, v18 dst_sel:DWORD dst_unused:UNUSED_PAD src0_sel:DWORD src1_sel:WORD_0
	v_and_b32_e32 v14, 0xffff, v14
	v_cndmask_b32_e64 v17, 0, 1, vcc
	v_cmp_eq_u32_e32 vcc, v2, v3
	v_lshrrev_b32_e32 v20, 16, v15
	v_lshl_or_b32 v54, v17, 16, v14
	v_cndmask_b32_e32 v14, v47, v21, vcc
	v_cmp_eq_u32_e32 vcc, v4, v5
	v_cndmask_b32_e32 v17, v47, v20, vcc
	v_cmp_eq_u32_e32 vcc, v3, v4
	;; [unrolled: 2-line block ×3, first 2 shown]
	v_lshrrev_b32_e32 v42, 16, v16
	v_cndmask_b32_e32 v16, v47, v16, vcc
	v_cmp_ne_u32_e32 vcc, v3, v4
	v_and_b32_e32 v15, 0xffff, v15
	v_cndmask_b32_e64 v18, 0, 1, vcc
	v_cmp_ne_u32_e32 vcc, v5, v22
	v_lshl_or_b32 v20, v18, 16, v15
	v_cndmask_b32_e64 v15, 0, 1, vcc
	v_cmp_ne_u32_e32 vcc, v2, v3
	v_and_b32_e32 v14, 0xffff, v14
	v_cndmask_b32_e64 v2, 0, 1, vcc
	v_cmp_ne_u32_e32 vcc, v4, v5
	v_and_b32_e32 v17, 0xffff, v17
	v_lshl_or_b32 v21, v2, 16, v14
	v_cndmask_b32_e64 v2, 0, 1, vcc
	v_cmp_eq_u32_e32 vcc, v22, v38
	v_lshl_or_b32 v19, v2, 16, v17
	v_cndmask_b32_e32 v2, v47, v42, vcc
	v_cmp_ne_u32_e32 vcc, v22, v38
	v_lshrrev_b32_e32 v46, 16, v6
	v_and_b32_e32 v2, 0xffff, v2
	v_cndmask_b32_e64 v3, 0, 1, vcc
	v_cmp_eq_u32_e32 vcc, v39, v36
	v_lshrrev_b32_e32 v45, 16, v7
	v_lshl_or_b32 v55, v3, 16, v2
	v_cndmask_b32_e32 v2, v47, v46, vcc
	v_cmp_eq_u32_e32 vcc, v37, v34
	v_lshrrev_b32_e32 v44, 16, v8
	v_cndmask_b32_e32 v3, v47, v45, vcc
	v_cmp_eq_u32_e32 vcc, v35, v32
	v_lshrrev_b32_e32 v43, 16, v9
	v_cndmask_b32_e32 v4, v47, v44, vcc
	v_cmp_eq_u32_e32 vcc, v33, v26
	v_cndmask_b32_e32 v5, v47, v43, vcc
	v_cmp_eq_u32_e32 vcc, v38, v39
	;; [unrolled: 2-line block ×5, first 2 shown]
	v_cndmask_b32_e32 v9, v47, v9, vcc
	v_cmp_ne_u32_e32 vcc, v38, v39
	v_and_b32_e32 v16, 0xffff, v16
	v_and_b32_e32 v14, 0xffff, v5
	;; [unrolled: 1-line block ×4, first 2 shown]
	v_cndmask_b32_e64 v8, 0, 1, vcc
	v_cmp_ne_u32_e32 vcc, v36, v37
	v_lshl_or_b32 v18, v15, 16, v16
	v_and_b32_e32 v15, 0xffff, v3
	v_and_b32_e32 v3, 0xffff, v9
	;; [unrolled: 1-line block ×3, first 2 shown]
	v_lshl_or_b32 v9, v8, 16, v6
	v_cndmask_b32_e64 v6, 0, 1, vcc
	v_cmp_ne_u32_e32 vcc, v34, v35
	v_lshl_or_b32 v7, v6, 16, v7
	v_cndmask_b32_e64 v6, 0, 1, vcc
	v_cmp_ne_u32_e32 vcc, v32, v33
	;; [unrolled: 3-line block ×3, first 2 shown]
	v_and_b32_e32 v2, 0xffff, v2
	v_lshl_or_b32 v3, v6, 16, v3
	v_cndmask_b32_e64 v6, 0, 1, vcc
	v_cmp_ne_u32_e32 vcc, v37, v34
	v_lshl_or_b32 v8, v6, 16, v2
	v_cndmask_b32_e64 v2, 0, 1, vcc
	v_cmp_ne_u32_e32 vcc, v35, v32
	v_and_b32_e32 v4, 0xffff, v4
	v_lshl_or_b32 v6, v2, 16, v15
	v_cndmask_b32_e64 v2, 0, 1, vcc
	v_cmp_ne_u32_e32 vcc, v33, v26
	v_lshl_or_b32 v4, v2, 16, v4
	v_cndmask_b32_e64 v2, 0, 1, vcc
	v_lshl_or_b32 v2, v2, 16, v14
	v_lshrrev_b32_e32 v14, 16, v13
	v_cmp_eq_u32_e32 vcc, v31, v23
	v_cndmask_b32_e32 v14, v47, v14, vcc
	v_lshrrev_b32_e32 v15, 16, v12
	v_cmp_eq_u32_e32 vcc, v29, v30
	v_cndmask_b32_e32 v15, v47, v15, vcc
	;; [unrolled: 3-line block ×4, first 2 shown]
	v_cmp_eq_u32_e32 vcc, v30, v31
	v_cndmask_b32_e32 v13, v47, v13, vcc
	v_cmp_eq_u32_e32 vcc, v28, v29
	v_cndmask_b32_e32 v12, v47, v12, vcc
	v_cmp_eq_u32_e32 vcc, v24, v25
	v_cndmask_b32_e32 v11, v47, v11, vcc
	v_cmp_eq_u32_e32 vcc, v26, v27
	v_cndmask_b32_e32 v10, v47, v10, vcc
	v_cmp_ne_u32_e32 vcc, v30, v31
	v_and_b32_e32 v22, 0xffff, v17
	v_and_b32_e32 v17, 0xffff, v14
	;; [unrolled: 1-line block ×3, first 2 shown]
	v_cndmask_b32_e64 v14, 0, 1, vcc
	v_cmp_ne_u32_e32 vcc, v28, v29
	v_and_b32_e32 v32, 0xffff, v16
	v_and_b32_e32 v12, 0xffff, v12
	v_lshl_or_b32 v16, v14, 16, v13
	v_cndmask_b32_e64 v13, 0, 1, vcc
	v_cmp_ne_u32_e32 vcc, v24, v25
	v_and_b32_e32 v11, 0xffff, v11
	v_lshl_or_b32 v14, v13, 16, v12
	v_cndmask_b32_e64 v12, 0, 1, vcc
	v_cmp_ne_u32_e32 vcc, v26, v27
	;; [unrolled: 4-line block ×3, first 2 shown]
	v_lshl_or_b32 v10, v11, 16, v10
	v_cndmask_b32_e64 v11, 0, 1, vcc
	v_cmp_ne_u32_e32 vcc, v29, v30
	v_and_b32_e32 v15, 0xffff, v15
	v_lshl_or_b32 v17, v11, 16, v17
	v_cndmask_b32_e64 v11, 0, 1, vcc
	v_cmp_ne_u32_e32 vcc, v25, v28
	v_lshl_or_b32 v15, v11, 16, v15
	v_cndmask_b32_e64 v11, 0, 1, vcc
	v_cmp_ne_u32_e32 vcc, v27, v24
	v_lshl_or_b32 v13, v11, 16, v32
	v_cndmask_b32_e64 v11, 0, 1, vcc
	v_cmp_ne_u32_e64 s[8:9], v23, v40
	v_lshl_or_b32 v11, v11, 16, v22
	v_cndmask_b32_e64 v59, v41, v47, s[8:9]
	s_mov_b64 s[10:11], -1
                                        ; implicit-def: $sgpr4
.LBB1547_136:
	v_mov_b32_e32 v32, s4
	s_and_saveexec_b64 s[4:5], s[10:11]
; %bb.137:
	v_mov_b32_e32 v22, 0x10000
	v_cndmask_b32_e64 v22, 0, v22, s[8:9]
	v_or_b32_sdwa v32, v22, v59 dst_sel:DWORD dst_unused:UNUSED_PAD src0_sel:DWORD src1_sel:WORD_0
; %bb.138:
	s_or_b64 exec, exec, s[4:5]
	s_cmp_lg_u32 s59, 0
	v_mbcnt_lo_u32_b32 v33, -1, 0
	s_waitcnt lgkmcnt(0)
	; wave barrier
	s_waitcnt lgkmcnt(0)
	s_cbranch_scc0 .LBB1547_223
; %bb.139:
	s_mov_b32 s50, 0x10000
	v_cmp_gt_u32_e64 s[4:5], s50, v54
	v_cndmask_b32_e64 v22, 0, v1, s[4:5]
	v_add_u16_e32 v22, v22, v54
	v_cmp_gt_u32_e64 s[6:7], s50, v21
	v_cndmask_b32_e64 v22, 0, v22, s[6:7]
	v_add_u16_e32 v22, v22, v21
	;; [unrolled: 3-line block ×16, first 2 shown]
	v_cmp_gt_u32_e64 s[38:39], s50, v12
	v_cndmask_b32_e64 v22, 0, v22, s[38:39]
	v_or3_b32 v24, v32, v17, v16
	v_add_u16_e32 v22, v22, v12
	v_cmp_gt_u32_e64 s[40:41], s50, v13
	v_or3_b32 v24, v24, v15, v14
	v_cndmask_b32_e64 v22, 0, v22, s[40:41]
	v_or3_b32 v24, v24, v13, v12
	v_add_u16_e32 v22, v22, v13
	v_cmp_gt_u32_e64 s[42:43], s50, v14
	v_or3_b32 v24, v24, v11, v10
	;; [unrolled: 5-line block ×5, first 2 shown]
	v_cndmask_b32_e64 v22, 0, v22, s[48:49]
	v_or3_b32 v24, v24, v21, v54
	v_add_u16_e32 v22, v22, v17
	v_cmp_gt_u32_e32 vcc, s50, v32
	v_and_b32_e32 v24, 0x10000, v24
	v_and_b32_e32 v23, 0x10000, v1
	v_cndmask_b32_e32 v25, 0, v22, vcc
	v_mov_b32_e32 v26, 0x10000
	v_cmp_ne_u32_e32 vcc, 0, v24
	v_add_u16_e32 v22, v25, v32
	v_cndmask_b32_e32 v24, v23, v26, vcc
	v_add_u16_e32 v26, v25, v32
	v_mbcnt_hi_u32_b32 v25, -1, v33
	v_and_b32_e32 v27, 15, v25
	v_or_b32_e32 v26, v24, v26
	v_lshrrev_b32_e32 v23, 16, v24
	v_cmp_ne_u32_e32 vcc, 0, v27
	v_mov_b32_dpp v28, v26 row_shr:1 row_mask:0xf bank_mask:0xf
	s_and_saveexec_b64 s[50:51], vcc
	s_cbranch_execz .LBB1547_141
; %bb.140:
	v_cmp_eq_u32_e32 vcc, 0, v24
	v_and_b32_e32 v23, 0x10000, v24
	v_mov_b32_e32 v24, 1
	v_cndmask_b32_e32 v26, 0, v28, vcc
	v_and_b32_sdwa v24, v28, v24 dst_sel:DWORD dst_unused:UNUSED_PAD src0_sel:WORD_1 src1_sel:DWORD
	v_cmp_ne_u32_e32 vcc, 0, v23
	v_cndmask_b32_e64 v23, v24, 1, vcc
	v_add_u16_e32 v29, v26, v22
	v_lshlrev_b32_e32 v24, 16, v23
	v_add_u16_e32 v22, v26, v22
	v_or_b32_e32 v26, v24, v22
	v_mov_b32_e32 v22, v29
.LBB1547_141:
	s_or_b64 exec, exec, s[50:51]
	v_lshrrev_b32_e32 v24, 16, v26
	v_mov_b32_dpp v28, v26 row_shr:2 row_mask:0xf bank_mask:0xf
	v_cmp_lt_u32_e32 vcc, 1, v27
	s_and_saveexec_b64 s[50:51], vcc
	s_cbranch_execz .LBB1547_143
; %bb.142:
	s_mov_b32 s52, 0x10000
	v_cmp_gt_u32_e32 vcc, s52, v26
	v_and_b32_e32 v23, 0x10000, v26
	v_mov_b32_e32 v26, 1
	v_cndmask_b32_e32 v24, 0, v28, vcc
	v_and_b32_sdwa v26, v28, v26 dst_sel:DWORD dst_unused:UNUSED_PAD src0_sel:WORD_1 src1_sel:DWORD
	v_cmp_ne_u32_e32 vcc, 0, v23
	v_cndmask_b32_e64 v23, v26, 1, vcc
	v_add_u16_e32 v29, v24, v22
	v_lshlrev_b32_e32 v26, 16, v23
	v_add_u16_e32 v22, v24, v22
	v_or_b32_e32 v26, v26, v22
	v_mov_b32_e32 v22, v29
	v_mov_b32_e32 v24, v23
.LBB1547_143:
	s_or_b64 exec, exec, s[50:51]
	v_mov_b32_dpp v28, v26 row_shr:4 row_mask:0xf bank_mask:0xf
	v_cmp_lt_u32_e32 vcc, 3, v27
	s_and_saveexec_b64 s[50:51], vcc
	s_cbranch_execz .LBB1547_145
; %bb.144:
	v_cmp_eq_u16_e32 vcc, 0, v24
	v_and_b32_e32 v23, 1, v24
	v_mov_b32_e32 v24, 1
	v_cndmask_b32_e32 v26, 0, v28, vcc
	v_and_b32_sdwa v24, v28, v24 dst_sel:DWORD dst_unused:UNUSED_PAD src0_sel:WORD_1 src1_sel:DWORD
	v_cmp_eq_u32_e32 vcc, 1, v23
	v_cndmask_b32_e64 v23, v24, 1, vcc
	v_add_u16_e32 v29, v26, v22
	v_lshlrev_b32_e32 v24, 16, v23
	v_add_u16_e32 v22, v26, v22
	v_or_b32_e32 v26, v24, v22
	v_mov_b32_e32 v22, v29
	v_mov_b32_e32 v24, v23
.LBB1547_145:
	s_or_b64 exec, exec, s[50:51]
	v_mov_b32_dpp v28, v26 row_shr:8 row_mask:0xf bank_mask:0xf
	v_cmp_lt_u32_e32 vcc, 7, v27
	s_and_saveexec_b64 s[50:51], vcc
	s_cbranch_execz .LBB1547_147
; %bb.146:
	v_cmp_eq_u16_e32 vcc, 0, v24
	v_and_b32_e32 v23, 1, v24
	v_mov_b32_e32 v24, 1
	v_cndmask_b32_e32 v26, 0, v28, vcc
	v_and_b32_sdwa v24, v28, v24 dst_sel:DWORD dst_unused:UNUSED_PAD src0_sel:WORD_1 src1_sel:DWORD
	v_cmp_eq_u32_e32 vcc, 1, v23
	v_cndmask_b32_e64 v23, v24, 1, vcc
	v_add_u16_e32 v27, v26, v22
	v_lshlrev_b32_e32 v24, 16, v23
	v_add_u16_e32 v22, v26, v22
	v_or_b32_e32 v26, v24, v22
	v_mov_b32_e32 v22, v27
	v_mov_b32_e32 v24, v23
.LBB1547_147:
	s_or_b64 exec, exec, s[50:51]
	v_and_b32_e32 v28, 16, v25
	v_mov_b32_dpp v27, v26 row_bcast:15 row_mask:0xf bank_mask:0xf
	v_cmp_ne_u32_e32 vcc, 0, v28
	s_and_saveexec_b64 s[50:51], vcc
	s_cbranch_execz .LBB1547_149
; %bb.148:
	v_cmp_eq_u16_e32 vcc, 0, v24
	v_and_b32_e32 v23, 1, v24
	v_mov_b32_e32 v24, 1
	v_cndmask_b32_e32 v26, 0, v27, vcc
	v_and_b32_sdwa v24, v27, v24 dst_sel:DWORD dst_unused:UNUSED_PAD src0_sel:WORD_1 src1_sel:DWORD
	v_cmp_eq_u32_e32 vcc, 1, v23
	v_cndmask_b32_e64 v23, v24, 1, vcc
	v_add_u16_e32 v28, v26, v22
	v_lshlrev_b32_e32 v24, 16, v23
	v_add_u16_e32 v22, v26, v22
	v_or_b32_e32 v26, v24, v22
	v_mov_b32_e32 v22, v28
	v_mov_b32_e32 v24, v23
.LBB1547_149:
	s_or_b64 exec, exec, s[50:51]
	v_mov_b32_dpp v26, v26 row_bcast:31 row_mask:0xf bank_mask:0xf
	v_cmp_lt_u32_e32 vcc, 31, v25
	s_and_saveexec_b64 s[50:51], vcc
; %bb.150:
	v_cmp_eq_u16_e32 vcc, 0, v24
	v_cndmask_b32_e32 v23, 0, v26, vcc
	v_add_u16_e32 v22, v23, v22
	v_and_b32_e32 v23, 1, v24
	v_mov_b32_e32 v24, 1
	v_and_b32_sdwa v24, v26, v24 dst_sel:DWORD dst_unused:UNUSED_PAD src0_sel:WORD_1 src1_sel:DWORD
	v_cmp_eq_u32_e32 vcc, 1, v23
	v_cndmask_b32_e64 v23, v24, 1, vcc
	v_mov_b32_e32 v24, v23
; %bb.151:
	s_or_b64 exec, exec, s[50:51]
	v_cmp_eq_u32_e32 vcc, 63, v0
	s_and_saveexec_b64 s[50:51], vcc
	s_cbranch_execz .LBB1547_153
; %bb.152:
	v_mov_b32_e32 v26, 0
	ds_write_b16 v26, v22
	ds_write_b8 v26, v24 offset:2
.LBB1547_153:
	s_or_b64 exec, exec, s[50:51]
	v_lshlrev_b32_e32 v23, 16, v23
	v_or_b32_sdwa v22, v23, v22 dst_sel:DWORD dst_unused:UNUSED_PAD src0_sel:DWORD src1_sel:WORD_0
	v_add_u32_e32 v23, -1, v25
	v_and_b32_e32 v24, 64, v25
	v_cmp_lt_i32_e32 vcc, v23, v24
	v_cndmask_b32_e32 v23, v23, v25, vcc
	v_lshlrev_b32_e32 v23, 2, v23
	ds_bpermute_b32 v34, v23, v22
	v_cmp_gt_u32_e32 vcc, 64, v0
	s_waitcnt lgkmcnt(0)
	; wave barrier
	s_waitcnt lgkmcnt(0)
	s_and_saveexec_b64 s[52:53], vcc
	s_cbranch_execz .LBB1547_200
; %bb.154:
	v_mov_b32_e32 v31, 0
	ds_read_b32 v22, v31
	s_mov_b32 s69, 0
	v_cmp_eq_u32_e64 s[50:51], 0, v25
	s_and_saveexec_b64 s[60:61], s[50:51]
	s_cbranch_execz .LBB1547_156
; %bb.155:
	s_add_i32 s68, s59, 64
	s_lshl_b64 s[68:69], s[68:69], 3
	s_add_u32 s68, s56, s68
	v_mov_b32_e32 v23, 1
	s_addc_u32 s69, s57, s69
	s_waitcnt lgkmcnt(0)
	global_store_dwordx2 v31, v[22:23], s[68:69]
.LBB1547_156:
	s_or_b64 exec, exec, s[60:61]
	v_xad_u32 v24, v25, -1, s59
	v_add_u32_e32 v30, 64, v24
	v_lshlrev_b64 v[26:27], 3, v[30:31]
	v_mov_b32_e32 v23, s57
	v_add_co_u32_e32 v26, vcc, s56, v26
	v_addc_co_u32_e32 v27, vcc, v23, v27, vcc
	global_load_dwordx2 v[28:29], v[26:27], off glc
	s_waitcnt vmcnt(0)
	v_cmp_eq_u16_sdwa s[68:69], v29, v31 src0_sel:BYTE_0 src1_sel:DWORD
	s_and_saveexec_b64 s[60:61], s[68:69]
	s_cbranch_execz .LBB1547_162
; %bb.157:
	s_mov_b32 s70, 1
	s_mov_b64 s[68:69], 0
	v_mov_b32_e32 v23, 0
.LBB1547_158:                           ; =>This Loop Header: Depth=1
                                        ;     Child Loop BB1547_159 Depth 2
	s_max_u32 s71, s70, 1
.LBB1547_159:                           ;   Parent Loop BB1547_158 Depth=1
                                        ; =>  This Inner Loop Header: Depth=2
	s_add_i32 s71, s71, -1
	s_cmp_eq_u32 s71, 0
	s_sleep 1
	s_cbranch_scc0 .LBB1547_159
; %bb.160:                              ;   in Loop: Header=BB1547_158 Depth=1
	global_load_dwordx2 v[28:29], v[26:27], off glc
	s_cmp_lt_u32 s70, 32
	s_cselect_b64 s[72:73], -1, 0
	s_cmp_lg_u64 s[72:73], 0
	s_addc_u32 s70, s70, 0
	s_waitcnt vmcnt(0)
	v_cmp_ne_u16_sdwa s[72:73], v29, v23 src0_sel:BYTE_0 src1_sel:DWORD
	s_or_b64 s[68:69], s[72:73], s[68:69]
	s_andn2_b64 exec, exec, s[68:69]
	s_cbranch_execnz .LBB1547_158
; %bb.161:
	s_or_b64 exec, exec, s[68:69]
.LBB1547_162:
	s_or_b64 exec, exec, s[60:61]
	v_mov_b32_e32 v23, 2
	v_cmp_eq_u16_sdwa s[60:61], v29, v23 src0_sel:BYTE_0 src1_sel:DWORD
	v_lshlrev_b64 v[26:27], v25, -1
	v_and_b32_e32 v23, s61, v27
	v_or_b32_e32 v23, 0x80000000, v23
	v_ffbl_b32_e32 v23, v23
	v_add_u32_e32 v31, 32, v23
	v_and_b32_e32 v23, 63, v25
	v_cmp_ne_u32_e32 vcc, 63, v23
	v_addc_co_u32_e32 v35, vcc, 0, v25, vcc
	v_and_b32_e32 v46, 0xffffff, v28
	v_lshlrev_b32_e32 v35, 2, v35
	ds_bpermute_b32 v36, v35, v46
	v_and_b32_e32 v30, s60, v26
	v_ffbl_b32_e32 v30, v30
	v_min_u32_e32 v31, v30, v31
	v_lshrrev_b32_e32 v30, 16, v28
	v_cmp_lt_u32_e32 vcc, v23, v31
	v_bfe_u32 v44, v28, 16, 8
	s_and_saveexec_b64 s[60:61], vcc
	s_cbranch_execz .LBB1547_164
; %bb.163:
	v_and_b32_e32 v30, 0xff0000, v28
	v_cmp_eq_u32_e32 vcc, 0, v30
	v_and_b32_e32 v30, 0x10000, v30
	v_mov_b32_e32 v39, 1
	s_waitcnt lgkmcnt(0)
	v_cndmask_b32_e32 v37, 0, v36, vcc
	v_and_b32_sdwa v36, v36, v39 dst_sel:DWORD dst_unused:UNUSED_PAD src0_sel:WORD_1 src1_sel:DWORD
	v_cmp_ne_u32_e32 vcc, 0, v30
	v_cndmask_b32_e64 v30, v36, 1, vcc
	v_add_u16_e32 v38, v37, v28
	v_lshlrev_b32_e32 v36, 16, v30
	v_add_u16_e32 v28, v37, v28
	v_or_b32_e32 v46, v36, v28
	v_mov_b32_e32 v28, v38
	v_mov_b32_e32 v44, v30
.LBB1547_164:
	s_or_b64 exec, exec, s[60:61]
	v_cmp_gt_u32_e32 vcc, 62, v23
	s_waitcnt lgkmcnt(0)
	v_cndmask_b32_e64 v36, 0, 1, vcc
	v_lshlrev_b32_e32 v36, 1, v36
	v_add_lshl_u32 v36, v36, v25, 2
	ds_bpermute_b32 v38, v36, v46
	v_add_u32_e32 v37, 2, v23
	v_cmp_le_u32_e32 vcc, v37, v31
	s_and_saveexec_b64 s[60:61], vcc
	s_cbranch_execz .LBB1547_166
; %bb.165:
	v_cmp_eq_u16_e32 vcc, 0, v44
	v_and_b32_e32 v30, 1, v44
	v_mov_b32_e32 v41, 1
	s_waitcnt lgkmcnt(0)
	v_cndmask_b32_e32 v39, 0, v38, vcc
	v_and_b32_sdwa v38, v38, v41 dst_sel:DWORD dst_unused:UNUSED_PAD src0_sel:WORD_1 src1_sel:DWORD
	v_cmp_eq_u32_e32 vcc, 1, v30
	v_cndmask_b32_e64 v30, v38, 1, vcc
	v_add_u16_e32 v40, v39, v28
	v_lshlrev_b32_e32 v38, 16, v30
	v_add_u16_e32 v28, v39, v28
	v_or_b32_e32 v46, v38, v28
	v_mov_b32_e32 v28, v40
	v_mov_b32_e32 v44, v30
.LBB1547_166:
	s_or_b64 exec, exec, s[60:61]
	v_cmp_gt_u32_e32 vcc, 60, v23
	s_waitcnt lgkmcnt(0)
	v_cndmask_b32_e64 v38, 0, 1, vcc
	v_lshlrev_b32_e32 v38, 2, v38
	v_add_lshl_u32 v38, v38, v25, 2
	ds_bpermute_b32 v40, v38, v46
	v_add_u32_e32 v39, 4, v23
	v_cmp_le_u32_e32 vcc, v39, v31
	s_and_saveexec_b64 s[60:61], vcc
	s_cbranch_execz .LBB1547_168
; %bb.167:
	v_cmp_eq_u16_e32 vcc, 0, v44
	v_and_b32_e32 v30, 1, v44
	v_mov_b32_e32 v43, 1
	s_waitcnt lgkmcnt(0)
	v_cndmask_b32_e32 v41, 0, v40, vcc
	v_and_b32_sdwa v40, v40, v43 dst_sel:DWORD dst_unused:UNUSED_PAD src0_sel:WORD_1 src1_sel:DWORD
	v_cmp_eq_u32_e32 vcc, 1, v30
	v_cndmask_b32_e64 v30, v40, 1, vcc
	v_add_u16_e32 v42, v41, v28
	v_lshlrev_b32_e32 v40, 16, v30
	v_add_u16_e32 v28, v41, v28
	v_or_b32_e32 v46, v40, v28
	v_mov_b32_e32 v28, v42
	v_mov_b32_e32 v44, v30
.LBB1547_168:
	s_or_b64 exec, exec, s[60:61]
	v_cmp_gt_u32_e32 vcc, 56, v23
	s_waitcnt lgkmcnt(0)
	v_cndmask_b32_e64 v40, 0, 1, vcc
	v_lshlrev_b32_e32 v40, 3, v40
	v_add_lshl_u32 v40, v40, v25, 2
	ds_bpermute_b32 v42, v40, v46
	v_add_u32_e32 v41, 8, v23
	v_cmp_le_u32_e32 vcc, v41, v31
	s_and_saveexec_b64 s[60:61], vcc
	s_cbranch_execz .LBB1547_170
; %bb.169:
	v_cmp_eq_u16_e32 vcc, 0, v44
	v_and_b32_e32 v30, 1, v44
	v_mov_b32_e32 v44, 1
	s_waitcnt lgkmcnt(0)
	v_cndmask_b32_e32 v43, 0, v42, vcc
	v_and_b32_sdwa v42, v42, v44 dst_sel:DWORD dst_unused:UNUSED_PAD src0_sel:WORD_1 src1_sel:DWORD
	v_cmp_eq_u32_e32 vcc, 1, v30
	v_cndmask_b32_e64 v30, v42, 1, vcc
	v_add_u16_e32 v45, v43, v28
	v_lshlrev_b32_e32 v42, 16, v30
	v_add_u16_e32 v28, v43, v28
	v_or_b32_e32 v46, v42, v28
	v_mov_b32_e32 v28, v45
	v_mov_b32_e32 v44, v30
.LBB1547_170:
	s_or_b64 exec, exec, s[60:61]
	v_cmp_gt_u32_e32 vcc, 48, v23
	s_waitcnt lgkmcnt(0)
	v_cndmask_b32_e64 v42, 0, 1, vcc
	v_lshlrev_b32_e32 v42, 4, v42
	v_add_lshl_u32 v42, v42, v25, 2
	ds_bpermute_b32 v45, v42, v46
	v_add_u32_e32 v43, 16, v23
	v_cmp_le_u32_e32 vcc, v43, v31
	s_and_saveexec_b64 s[60:61], vcc
	s_cbranch_execz .LBB1547_172
; %bb.171:
	v_cmp_eq_u16_e32 vcc, 0, v44
	v_and_b32_e32 v30, 1, v44
	v_mov_b32_e32 v44, 1
	s_waitcnt lgkmcnt(0)
	v_cndmask_b32_e32 v46, 0, v45, vcc
	v_and_b32_sdwa v44, v45, v44 dst_sel:DWORD dst_unused:UNUSED_PAD src0_sel:WORD_1 src1_sel:DWORD
	v_cmp_eq_u32_e32 vcc, 1, v30
	v_cndmask_b32_e64 v30, v44, 1, vcc
	v_add_u16_e32 v47, v46, v28
	v_lshlrev_b32_e32 v44, 16, v30
	v_add_u16_e32 v28, v46, v28
	v_or_b32_e32 v46, v44, v28
	v_mov_b32_e32 v28, v47
	v_mov_b32_e32 v44, v30
.LBB1547_172:
	s_or_b64 exec, exec, s[60:61]
	v_cmp_gt_u32_e32 vcc, 32, v23
	s_waitcnt lgkmcnt(0)
	v_cndmask_b32_e64 v45, 0, 1, vcc
	v_lshlrev_b32_e32 v45, 5, v45
	v_add_lshl_u32 v45, v45, v25, 2
	ds_bpermute_b32 v25, v45, v46
	v_add_u32_e32 v46, 32, v23
	v_cmp_le_u32_e32 vcc, v46, v31
	s_and_saveexec_b64 s[60:61], vcc
	s_cbranch_execz .LBB1547_174
; %bb.173:
	v_cmp_eq_u16_e32 vcc, 0, v44
	s_waitcnt lgkmcnt(0)
	v_cndmask_b32_e32 v30, 0, v25, vcc
	v_add_u16_e32 v28, v30, v28
	v_and_b32_e32 v30, 1, v44
	v_mov_b32_e32 v31, 1
	v_and_b32_sdwa v25, v25, v31 dst_sel:DWORD dst_unused:UNUSED_PAD src0_sel:WORD_1 src1_sel:DWORD
	v_cmp_eq_u32_e32 vcc, 1, v30
	v_cndmask_b32_e64 v30, v25, 1, vcc
.LBB1547_174:
	s_or_b64 exec, exec, s[60:61]
	s_waitcnt lgkmcnt(0)
	v_mov_b32_e32 v25, 0
	v_mov_b32_e32 v48, 2
	;; [unrolled: 1-line block ×3, first 2 shown]
	s_branch .LBB1547_176
.LBB1547_175:                           ;   in Loop: Header=BB1547_176 Depth=1
	s_or_b64 exec, exec, s[60:61]
	v_cmp_eq_u16_sdwa vcc, v44, v25 src0_sel:BYTE_0 src1_sel:DWORD
	v_and_b32_e32 v30, 1, v44
	v_cndmask_b32_e32 v28, 0, v28, vcc
	v_and_b32_e32 v31, 1, v31
	v_cmp_eq_u32_e32 vcc, 1, v30
	v_subrev_u32_e32 v24, 64, v24
	v_add_u16_e32 v28, v28, v47
	v_cndmask_b32_e64 v30, v31, 1, vcc
.LBB1547_176:                           ; =>This Loop Header: Depth=1
                                        ;     Child Loop BB1547_179 Depth 2
                                        ;       Child Loop BB1547_180 Depth 3
	v_cmp_ne_u16_sdwa s[60:61], v29, v48 src0_sel:BYTE_0 src1_sel:DWORD
	v_cndmask_b32_e64 v29, 0, 1, s[60:61]
	;;#ASMSTART
	;;#ASMEND
	v_cmp_ne_u32_e32 vcc, 0, v29
	v_mov_b32_e32 v44, v30
	s_cmp_lg_u64 vcc, exec
	v_mov_b32_e32 v47, v28
	s_cbranch_scc1 .LBB1547_195
; %bb.177:                              ;   in Loop: Header=BB1547_176 Depth=1
	v_lshlrev_b64 v[28:29], 3, v[24:25]
	v_mov_b32_e32 v31, s57
	v_add_co_u32_e32 v30, vcc, s56, v28
	v_addc_co_u32_e32 v31, vcc, v31, v29, vcc
	global_load_dwordx2 v[28:29], v[30:31], off glc
	s_waitcnt vmcnt(0)
	v_cmp_eq_u16_sdwa s[68:69], v29, v25 src0_sel:BYTE_0 src1_sel:DWORD
	s_and_saveexec_b64 s[60:61], s[68:69]
	s_cbranch_execz .LBB1547_183
; %bb.178:                              ;   in Loop: Header=BB1547_176 Depth=1
	s_mov_b32 s70, 1
	s_mov_b64 s[68:69], 0
.LBB1547_179:                           ;   Parent Loop BB1547_176 Depth=1
                                        ; =>  This Loop Header: Depth=2
                                        ;       Child Loop BB1547_180 Depth 3
	s_max_u32 s71, s70, 1
.LBB1547_180:                           ;   Parent Loop BB1547_176 Depth=1
                                        ;     Parent Loop BB1547_179 Depth=2
                                        ; =>    This Inner Loop Header: Depth=3
	s_add_i32 s71, s71, -1
	s_cmp_eq_u32 s71, 0
	s_sleep 1
	s_cbranch_scc0 .LBB1547_180
; %bb.181:                              ;   in Loop: Header=BB1547_179 Depth=2
	global_load_dwordx2 v[28:29], v[30:31], off glc
	s_cmp_lt_u32 s70, 32
	s_cselect_b64 s[72:73], -1, 0
	s_cmp_lg_u64 s[72:73], 0
	s_addc_u32 s70, s70, 0
	s_waitcnt vmcnt(0)
	v_cmp_ne_u16_sdwa s[72:73], v29, v25 src0_sel:BYTE_0 src1_sel:DWORD
	s_or_b64 s[68:69], s[72:73], s[68:69]
	s_andn2_b64 exec, exec, s[68:69]
	s_cbranch_execnz .LBB1547_179
; %bb.182:                              ;   in Loop: Header=BB1547_176 Depth=1
	s_or_b64 exec, exec, s[68:69]
.LBB1547_183:                           ;   in Loop: Header=BB1547_176 Depth=1
	s_or_b64 exec, exec, s[60:61]
	v_cmp_eq_u16_sdwa s[60:61], v29, v48 src0_sel:BYTE_0 src1_sel:DWORD
	v_and_b32_e32 v30, s61, v27
	s_waitcnt lgkmcnt(0)
	v_and_b32_e32 v53, 0xffffff, v28
	v_or_b32_e32 v30, 0x80000000, v30
	ds_bpermute_b32 v56, v35, v53
	v_and_b32_e32 v31, s60, v26
	v_ffbl_b32_e32 v30, v30
	v_add_u32_e32 v30, 32, v30
	v_ffbl_b32_e32 v31, v31
	v_min_u32_e32 v30, v31, v30
	v_lshrrev_b32_e32 v31, 16, v28
	v_cmp_lt_u32_e32 vcc, v23, v30
	v_bfe_u32 v52, v28, 16, 8
	s_and_saveexec_b64 s[60:61], vcc
	s_cbranch_execz .LBB1547_185
; %bb.184:                              ;   in Loop: Header=BB1547_176 Depth=1
	v_and_b32_e32 v31, 0xff0000, v28
	v_cmp_eq_u32_e32 vcc, 0, v31
	v_and_b32_e32 v31, 0x10000, v31
	s_waitcnt lgkmcnt(0)
	v_cndmask_b32_e32 v52, 0, v56, vcc
	v_and_b32_sdwa v53, v56, v49 dst_sel:DWORD dst_unused:UNUSED_PAD src0_sel:WORD_1 src1_sel:DWORD
	v_cmp_ne_u32_e32 vcc, 0, v31
	v_cndmask_b32_e64 v31, v53, 1, vcc
	v_add_u16_e32 v57, v52, v28
	v_lshlrev_b32_e32 v53, 16, v31
	v_add_u16_e32 v28, v52, v28
	v_or_b32_e32 v53, v53, v28
	v_mov_b32_e32 v28, v57
	v_mov_b32_e32 v52, v31
.LBB1547_185:                           ;   in Loop: Header=BB1547_176 Depth=1
	s_or_b64 exec, exec, s[60:61]
	s_waitcnt lgkmcnt(0)
	ds_bpermute_b32 v56, v36, v53
	v_cmp_le_u32_e32 vcc, v37, v30
	s_and_saveexec_b64 s[60:61], vcc
	s_cbranch_execz .LBB1547_187
; %bb.186:                              ;   in Loop: Header=BB1547_176 Depth=1
	v_cmp_eq_u16_e32 vcc, 0, v52
	v_and_b32_e32 v31, 1, v52
	s_waitcnt lgkmcnt(0)
	v_cndmask_b32_e32 v53, 0, v56, vcc
	v_and_b32_sdwa v52, v56, v49 dst_sel:DWORD dst_unused:UNUSED_PAD src0_sel:WORD_1 src1_sel:DWORD
	v_cmp_eq_u32_e32 vcc, 1, v31
	v_cndmask_b32_e64 v31, v52, 1, vcc
	v_add_u16_e32 v57, v53, v28
	v_lshlrev_b32_e32 v52, 16, v31
	v_add_u16_e32 v28, v53, v28
	v_or_b32_e32 v53, v52, v28
	v_mov_b32_e32 v28, v57
	v_mov_b32_e32 v52, v31
.LBB1547_187:                           ;   in Loop: Header=BB1547_176 Depth=1
	s_or_b64 exec, exec, s[60:61]
	s_waitcnt lgkmcnt(0)
	ds_bpermute_b32 v56, v38, v53
	v_cmp_le_u32_e32 vcc, v39, v30
	s_and_saveexec_b64 s[60:61], vcc
	s_cbranch_execz .LBB1547_189
; %bb.188:                              ;   in Loop: Header=BB1547_176 Depth=1
	v_cmp_eq_u16_e32 vcc, 0, v52
	v_and_b32_e32 v31, 1, v52
	s_waitcnt lgkmcnt(0)
	v_cndmask_b32_e32 v53, 0, v56, vcc
	v_and_b32_sdwa v52, v56, v49 dst_sel:DWORD dst_unused:UNUSED_PAD src0_sel:WORD_1 src1_sel:DWORD
	v_cmp_eq_u32_e32 vcc, 1, v31
	v_cndmask_b32_e64 v31, v52, 1, vcc
	v_add_u16_e32 v57, v53, v28
	v_lshlrev_b32_e32 v52, 16, v31
	v_add_u16_e32 v28, v53, v28
	v_or_b32_e32 v53, v52, v28
	v_mov_b32_e32 v28, v57
	v_mov_b32_e32 v52, v31
.LBB1547_189:                           ;   in Loop: Header=BB1547_176 Depth=1
	;; [unrolled: 21-line block ×4, first 2 shown]
	s_or_b64 exec, exec, s[60:61]
	ds_bpermute_b32 v53, v45, v53
	v_cmp_le_u32_e32 vcc, v46, v30
	s_and_saveexec_b64 s[60:61], vcc
	s_cbranch_execz .LBB1547_175
; %bb.194:                              ;   in Loop: Header=BB1547_176 Depth=1
	v_cmp_eq_u16_e32 vcc, 0, v52
	s_waitcnt lgkmcnt(0)
	v_cndmask_b32_e32 v30, 0, v53, vcc
	v_add_u16_e32 v28, v30, v28
	v_and_b32_e32 v30, 1, v52
	v_lshrrev_b32_e32 v31, 16, v53
	v_cmp_eq_u32_e32 vcc, 1, v30
	v_cndmask_b32_e64 v31, v31, 1, vcc
	s_branch .LBB1547_175
.LBB1547_195:                           ;   in Loop: Header=BB1547_176 Depth=1
                                        ; implicit-def: $vgpr30
                                        ; implicit-def: $vgpr28
	s_cbranch_execz .LBB1547_176
; %bb.196:
	s_and_saveexec_b64 s[60:61], s[50:51]
	s_cbranch_execz .LBB1547_198
; %bb.197:
	v_and_b32_e32 v23, 0xff0000, v22
	s_mov_b32 s51, 0
	v_cmp_eq_u32_e32 vcc, 0, v23
	v_and_b32_e32 v24, 0x10000, v22
	v_mov_b32_e32 v25, 1
	s_add_i32 s50, s59, 64
	v_cndmask_b32_e32 v23, 0, v47, vcc
	v_and_b32_sdwa v25, v44, v25 dst_sel:WORD_1 dst_unused:UNUSED_PAD src0_sel:DWORD src1_sel:DWORD
	v_mov_b32_e32 v26, 0x10000
	v_cmp_eq_u32_e32 vcc, 0, v24
	s_lshl_b64 s[50:51], s[50:51], 3
	v_cndmask_b32_e32 v24, v26, v25, vcc
	s_add_u32 s50, s56, s50
	v_add_u16_e32 v22, v23, v22
	s_addc_u32 s51, s57, s51
	v_mov_b32_e32 v25, 0
	v_or_b32_e32 v22, v24, v22
	v_mov_b32_e32 v23, 2
	global_store_dwordx2 v25, v[22:23], s[50:51]
.LBB1547_198:
	s_or_b64 exec, exec, s[60:61]
	s_and_b64 exec, exec, s[0:1]
	s_cbranch_execz .LBB1547_200
; %bb.199:
	v_mov_b32_e32 v22, 0
	ds_write_b16 v22, v47
	ds_write_b8 v22, v44 offset:2
.LBB1547_200:
	s_or_b64 exec, exec, s[52:53]
	v_mov_b32_e32 v22, 0
	s_waitcnt lgkmcnt(0)
	; wave barrier
	s_waitcnt lgkmcnt(0)
	ds_read_b32 v22, v22
	v_and_b32_e32 v23, 0xff0000, v34
	v_cmp_eq_u32_e32 vcc, 0, v23
	s_waitcnt lgkmcnt(0)
	v_cndmask_b32_e32 v23, 0, v22, vcc
	v_add_u32_e32 v23, v23, v34
	v_cndmask_b32_e64 v39, v23, v22, s[0:1]
	v_and_b32_e32 v22, 0xff0000, v1
	v_cmp_eq_u32_e32 vcc, 0, v22
	v_cndmask_b32_e32 v22, 0, v39, vcc
	v_add_u16_e32 v22, v22, v1
	v_cndmask_b32_e64 v23, 0, v22, s[4:5]
	v_add_u16_e32 v23, v23, v54
	v_cndmask_b32_e64 v24, 0, v23, s[6:7]
	;; [unrolled: 2-line block ×22, first 2 shown]
	v_add_u16_e32 v47, v47, v17
	s_branch .LBB1547_243
.LBB1547_201:
	s_or_b64 exec, exec, s[52:53]
                                        ; implicit-def: $vgpr3
	s_and_saveexec_b64 s[52:53], s[4:5]
	s_cbranch_execz .LBB1547_57
.LBB1547_202:
	v_lshlrev_b32_e32 v3, 1, v0
	v_add_co_u32_e32 v4, vcc, v56, v3
	v_addc_co_u32_e32 v5, vcc, 0, v57, vcc
	flat_load_ushort v3, v[4:5] offset:128
	s_or_b64 exec, exec, s[52:53]
                                        ; implicit-def: $vgpr4
	s_and_saveexec_b64 s[4:5], s[6:7]
	s_cbranch_execnz .LBB1547_58
.LBB1547_203:
	s_or_b64 exec, exec, s[4:5]
                                        ; implicit-def: $vgpr5
	s_and_saveexec_b64 s[4:5], s[8:9]
	s_cbranch_execz .LBB1547_59
.LBB1547_204:
	v_lshlrev_b32_e32 v5, 1, v0
	v_add_co_u32_e32 v6, vcc, v56, v5
	v_addc_co_u32_e32 v7, vcc, 0, v57, vcc
	flat_load_ushort v5, v[6:7] offset:384
	s_or_b64 exec, exec, s[4:5]
                                        ; implicit-def: $vgpr6
	s_and_saveexec_b64 s[4:5], s[10:11]
	s_cbranch_execnz .LBB1547_60
.LBB1547_205:
	s_or_b64 exec, exec, s[4:5]
                                        ; implicit-def: $vgpr7
	s_and_saveexec_b64 s[4:5], s[12:13]
	s_cbranch_execz .LBB1547_61
.LBB1547_206:
	v_lshlrev_b32_e32 v7, 1, v0
	v_add_co_u32_e32 v8, vcc, v56, v7
	v_addc_co_u32_e32 v9, vcc, 0, v57, vcc
	flat_load_ushort v7, v[8:9] offset:640
	s_or_b64 exec, exec, s[4:5]
                                        ; implicit-def: $vgpr8
	s_and_saveexec_b64 s[4:5], s[14:15]
	s_cbranch_execnz .LBB1547_62
.LBB1547_207:
	s_or_b64 exec, exec, s[4:5]
                                        ; implicit-def: $vgpr9
	s_and_saveexec_b64 s[4:5], s[16:17]
	s_cbranch_execz .LBB1547_63
.LBB1547_208:
	v_lshlrev_b32_e32 v9, 1, v0
	v_add_co_u32_e32 v10, vcc, v56, v9
	v_addc_co_u32_e32 v11, vcc, 0, v57, vcc
	flat_load_ushort v9, v[10:11] offset:896
	s_or_b64 exec, exec, s[4:5]
                                        ; implicit-def: $vgpr10
	s_and_saveexec_b64 s[4:5], s[18:19]
	s_cbranch_execnz .LBB1547_64
.LBB1547_209:
	s_or_b64 exec, exec, s[4:5]
                                        ; implicit-def: $vgpr11
	s_and_saveexec_b64 s[4:5], s[20:21]
	s_cbranch_execz .LBB1547_65
.LBB1547_210:
	v_lshlrev_b32_e32 v11, 1, v0
	v_add_co_u32_e32 v12, vcc, v56, v11
	v_addc_co_u32_e32 v13, vcc, 0, v57, vcc
	flat_load_ushort v11, v[12:13] offset:1152
	s_or_b64 exec, exec, s[4:5]
                                        ; implicit-def: $vgpr12
	s_and_saveexec_b64 s[4:5], s[22:23]
	s_cbranch_execnz .LBB1547_66
.LBB1547_211:
	s_or_b64 exec, exec, s[4:5]
                                        ; implicit-def: $vgpr13
	s_and_saveexec_b64 s[4:5], s[24:25]
	s_cbranch_execz .LBB1547_67
.LBB1547_212:
	v_lshlrev_b32_e32 v13, 1, v0
	v_add_co_u32_e32 v14, vcc, v56, v13
	v_addc_co_u32_e32 v15, vcc, 0, v57, vcc
	flat_load_ushort v13, v[14:15] offset:1408
	s_or_b64 exec, exec, s[4:5]
                                        ; implicit-def: $vgpr14
	s_and_saveexec_b64 s[4:5], s[26:27]
	s_cbranch_execnz .LBB1547_68
.LBB1547_213:
	s_or_b64 exec, exec, s[4:5]
                                        ; implicit-def: $vgpr15
	s_and_saveexec_b64 s[4:5], s[28:29]
	s_cbranch_execz .LBB1547_69
.LBB1547_214:
	v_lshlrev_b32_e32 v15, 1, v0
	v_add_co_u32_e32 v16, vcc, v56, v15
	v_addc_co_u32_e32 v17, vcc, 0, v57, vcc
	flat_load_ushort v15, v[16:17] offset:1664
	s_or_b64 exec, exec, s[4:5]
                                        ; implicit-def: $vgpr16
	s_and_saveexec_b64 s[4:5], s[30:31]
	s_cbranch_execnz .LBB1547_70
.LBB1547_215:
	s_or_b64 exec, exec, s[4:5]
                                        ; implicit-def: $vgpr17
	s_and_saveexec_b64 s[4:5], s[34:35]
	s_cbranch_execz .LBB1547_71
.LBB1547_216:
	v_lshlrev_b32_e32 v17, 1, v0
	v_add_co_u32_e32 v18, vcc, v56, v17
	v_addc_co_u32_e32 v19, vcc, 0, v57, vcc
	flat_load_ushort v17, v[18:19] offset:1920
	s_or_b64 exec, exec, s[4:5]
                                        ; implicit-def: $vgpr18
	s_and_saveexec_b64 s[4:5], s[36:37]
	s_cbranch_execnz .LBB1547_72
.LBB1547_217:
	s_or_b64 exec, exec, s[4:5]
                                        ; implicit-def: $vgpr19
	s_and_saveexec_b64 s[4:5], s[38:39]
	s_cbranch_execz .LBB1547_73
.LBB1547_218:
	v_lshlrev_b32_e32 v19, 1, v0
	v_add_co_u32_e32 v20, vcc, v56, v19
	v_addc_co_u32_e32 v21, vcc, 0, v57, vcc
	flat_load_ushort v19, v[20:21] offset:2176
	s_or_b64 exec, exec, s[4:5]
                                        ; implicit-def: $vgpr20
	s_and_saveexec_b64 s[4:5], s[40:41]
	s_cbranch_execnz .LBB1547_74
.LBB1547_219:
	s_or_b64 exec, exec, s[4:5]
                                        ; implicit-def: $vgpr21
	s_and_saveexec_b64 s[4:5], s[42:43]
	s_cbranch_execz .LBB1547_75
.LBB1547_220:
	v_lshlrev_b32_e32 v21, 1, v0
	v_add_co_u32_e32 v46, vcc, v56, v21
	v_addc_co_u32_e32 v47, vcc, 0, v57, vcc
	flat_load_ushort v21, v[46:47] offset:2432
	s_or_b64 exec, exec, s[4:5]
                                        ; implicit-def: $vgpr47
	s_and_saveexec_b64 s[4:5], s[44:45]
	s_cbranch_execnz .LBB1547_76
.LBB1547_221:
	s_or_b64 exec, exec, s[4:5]
                                        ; implicit-def: $vgpr48
	s_and_saveexec_b64 s[4:5], s[46:47]
	s_cbranch_execz .LBB1547_77
.LBB1547_222:
	v_lshlrev_b32_e32 v46, 1, v0
	v_add_co_u32_e32 v48, vcc, v56, v46
	v_addc_co_u32_e32 v49, vcc, 0, v57, vcc
	flat_load_ushort v48, v[48:49] offset:2688
	s_or_b64 exec, exec, s[4:5]
                                        ; implicit-def: $vgpr49
	s_and_saveexec_b64 s[4:5], s[48:49]
	s_cbranch_execz .LBB1547_79
	s_branch .LBB1547_78
.LBB1547_223:
                                        ; implicit-def: $vgpr39
                                        ; implicit-def: $vgpr22
                                        ; implicit-def: $vgpr23
                                        ; implicit-def: $vgpr24
                                        ; implicit-def: $vgpr25
                                        ; implicit-def: $vgpr26
                                        ; implicit-def: $vgpr28
                                        ; implicit-def: $vgpr30
                                        ; implicit-def: $vgpr27
                                        ; implicit-def: $vgpr29
                                        ; implicit-def: $vgpr31
                                        ; implicit-def: $vgpr34
                                        ; implicit-def: $vgpr35
                                        ; implicit-def: $vgpr36
                                        ; implicit-def: $vgpr38
                                        ; implicit-def: $vgpr41
                                        ; implicit-def: $vgpr37
                                        ; implicit-def: $vgpr40
                                        ; implicit-def: $vgpr42
                                        ; implicit-def: $vgpr43
                                        ; implicit-def: $vgpr44
                                        ; implicit-def: $vgpr45
                                        ; implicit-def: $vgpr46
                                        ; implicit-def: $vgpr47
	s_cbranch_execz .LBB1547_243
; %bb.224:
	s_cmp_lg_u64 s[66:67], 0
	s_cselect_b32 s5, s63, 0
	s_cselect_b32 s4, s62, 0
	s_cmp_eq_u64 s[4:5], 0
	v_mov_b32_e32 v39, s74
	s_cbranch_scc1 .LBB1547_226
; %bb.225:
	v_mov_b32_e32 v22, 0
	global_load_ushort v39, v22, s[4:5]
.LBB1547_226:
	s_mov_b32 s52, 0x10000
	v_cmp_gt_u32_e32 vcc, s52, v54
	v_cndmask_b32_e32 v22, 0, v1, vcc
	v_add_u16_e32 v22, v22, v54
	v_cmp_gt_u32_e64 s[4:5], s52, v21
	v_cndmask_b32_e64 v22, 0, v22, s[4:5]
	v_add_u16_e32 v22, v22, v21
	v_cmp_gt_u32_e64 s[6:7], s52, v20
	v_cndmask_b32_e64 v22, 0, v22, s[6:7]
	;; [unrolled: 3-line block ×18, first 2 shown]
	v_bfe_u32 v25, v19, 16, 1
	v_add_u16_e32 v22, v22, v14
	v_cmp_gt_u32_e64 s[42:43], s52, v15
	v_lshlrev_b16_e32 v26, 1, v25
	v_mov_b32_e32 v25, 1
	v_cndmask_b32_e64 v22, 0, v22, s[42:43]
	v_and_b32_sdwa v27, v18, v25 dst_sel:DWORD dst_unused:UNUSED_PAD src0_sel:WORD_1 src1_sel:DWORD
	v_add_u16_e32 v22, v22, v15
	v_cmp_gt_u32_e64 s[44:45], s52, v16
	v_or_b32_e32 v26, v27, v26
	v_bfe_u32 v27, v21, 16, 1
	v_and_b32_sdwa v28, v20, v25 dst_sel:DWORD dst_unused:UNUSED_PAD src0_sel:WORD_1 src1_sel:DWORD
	v_cndmask_b32_e64 v22, 0, v22, s[44:45]
	v_lshlrev_b16_e32 v27, 3, v27
	v_lshlrev_b16_e32 v28, 2, v28
	v_add_u16_e32 v22, v22, v16
	v_cmp_gt_u32_e64 s[46:47], s52, v17
	v_or_b32_e32 v27, v27, v28
	v_cndmask_b32_e64 v22, 0, v22, s[46:47]
	v_or_b32_e32 v26, v26, v27
	v_and_b32_e32 v27, 0x10000, v55
	v_add_u16_e32 v22, v22, v17
	v_cmp_gt_u32_e64 s[52:53], s52, v32
	v_and_b32_e32 v28, 0x10000, v32
	v_cmp_ne_u32_e64 s[50:51], 0, v27
	v_cndmask_b32_e64 v27, 0, v22, s[52:53]
	v_cmp_ne_u32_e64 s[52:53], 0, v28
	v_or_b32_e32 v28, v16, v8
	v_or_b32_e32 v29, v17, v9
	;; [unrolled: 1-line block ×7, first 2 shown]
	v_bfe_u32 v31, v31, 16, 1
	v_bfe_u32 v29, v29, 16, 1
	v_and_b32_sdwa v28, v28, v25 dst_sel:DWORD dst_unused:UNUSED_PAD src0_sel:WORD_1 src1_sel:DWORD
	v_or_b32_e32 v36, v10, v2
	v_bfe_u32 v37, v37, 16, 1
	v_bfe_u32 v35, v35, 16, 1
	v_and_b32_sdwa v34, v34, v25 dst_sel:DWORD dst_unused:UNUSED_PAD src0_sel:WORD_1 src1_sel:DWORD
	v_lshlrev_b16_e32 v31, 1, v31
	v_and_b32_sdwa v30, v30, v25 dst_sel:DWORD dst_unused:UNUSED_PAD src0_sel:WORD_1 src1_sel:DWORD
	v_lshlrev_b16_e32 v29, 3, v29
	v_lshlrev_b16_e32 v28, 2, v28
	;; [unrolled: 1-line block ×3, first 2 shown]
	v_and_b32_sdwa v36, v36, v25 dst_sel:DWORD dst_unused:UNUSED_PAD src0_sel:WORD_1 src1_sel:DWORD
	v_lshlrev_b16_e32 v35, 3, v35
	v_lshlrev_b16_e32 v34, 2, v34
	v_or_b32_e32 v30, v30, v31
	v_or_b32_e32 v28, v29, v28
	;; [unrolled: 1-line block ×6, first 2 shown]
	v_lshlrev_b16_e32 v28, 4, v28
	v_or_b32_e32 v28, v34, v28
	v_or_b32_e32 v26, v28, v26
	v_mov_b32_e32 v28, 0
	v_cmp_ne_u16_sdwa s[60:61], v26, v28 src0_sel:BYTE_0 src1_sel:DWORD
	v_and_b32_e32 v24, 0x10000, v54
	s_or_b64 s[52:53], s[52:53], s[60:61]
	v_cmp_ne_u32_e64 s[48:49], 0, v24
	s_or_b64 s[50:51], s[52:53], s[50:51]
	v_mov_b32_e32 v23, 0x10000
	v_and_b32_e32 v24, 0x10000, v1
	s_or_b64 s[48:49], s[50:51], s[48:49]
	v_cndmask_b32_e64 v28, v24, v23, s[48:49]
	v_add_u16_e32 v26, v27, v32
	v_mbcnt_hi_u32_b32 v23, -1, v33
	v_add_u16_e32 v22, v27, v32
	v_and_b32_e32 v27, 15, v23
	v_or_b32_e32 v26, v28, v26
	v_lshrrev_b32_e32 v24, 16, v28
	v_cmp_ne_u32_e64 s[48:49], 0, v27
	v_mov_b32_dpp v29, v26 row_shr:1 row_mask:0xf bank_mask:0xf
	s_and_saveexec_b64 s[50:51], s[48:49]
; %bb.227:
	v_cmp_eq_u32_e64 s[48:49], 0, v28
	v_and_b32_e32 v24, 0x10000, v28
	v_cndmask_b32_e64 v26, 0, v29, s[48:49]
	v_and_b32_sdwa v25, v29, v25 dst_sel:DWORD dst_unused:UNUSED_PAD src0_sel:WORD_1 src1_sel:DWORD
	v_cmp_ne_u32_e64 s[48:49], 0, v24
	v_cndmask_b32_e64 v24, v25, 1, s[48:49]
	v_add_u16_e32 v30, v26, v22
	v_lshlrev_b32_e32 v25, 16, v24
	v_add_u16_e32 v22, v26, v22
	v_or_b32_e32 v26, v25, v22
	v_mov_b32_e32 v22, v30
; %bb.228:
	s_or_b64 exec, exec, s[50:51]
	v_lshrrev_b32_e32 v25, 16, v26
	v_mov_b32_dpp v28, v26 row_shr:2 row_mask:0xf bank_mask:0xf
	v_cmp_lt_u32_e64 s[48:49], 1, v27
	s_and_saveexec_b64 s[50:51], s[48:49]
	s_cbranch_execz .LBB1547_230
; %bb.229:
	s_mov_b32 s48, 0x10000
	v_cmp_gt_u32_e64 s[48:49], s48, v26
	v_and_b32_e32 v24, 0x10000, v26
	v_mov_b32_e32 v26, 1
	v_cndmask_b32_e64 v25, 0, v28, s[48:49]
	v_and_b32_sdwa v26, v28, v26 dst_sel:DWORD dst_unused:UNUSED_PAD src0_sel:WORD_1 src1_sel:DWORD
	v_cmp_ne_u32_e64 s[48:49], 0, v24
	v_cndmask_b32_e64 v24, v26, 1, s[48:49]
	v_add_u16_e32 v29, v25, v22
	v_lshlrev_b32_e32 v26, 16, v24
	v_add_u16_e32 v22, v25, v22
	v_or_b32_e32 v26, v26, v22
	v_mov_b32_e32 v22, v29
	v_mov_b32_e32 v25, v24
.LBB1547_230:
	s_or_b64 exec, exec, s[50:51]
	v_mov_b32_dpp v28, v26 row_shr:4 row_mask:0xf bank_mask:0xf
	v_cmp_lt_u32_e64 s[48:49], 3, v27
	s_and_saveexec_b64 s[50:51], s[48:49]
	s_cbranch_execz .LBB1547_232
; %bb.231:
	v_cmp_eq_u16_e64 s[48:49], 0, v25
	v_and_b32_e32 v24, 1, v25
	v_mov_b32_e32 v25, 1
	v_cndmask_b32_e64 v26, 0, v28, s[48:49]
	v_and_b32_sdwa v25, v28, v25 dst_sel:DWORD dst_unused:UNUSED_PAD src0_sel:WORD_1 src1_sel:DWORD
	v_cmp_eq_u32_e64 s[48:49], 1, v24
	v_cndmask_b32_e64 v24, v25, 1, s[48:49]
	v_add_u16_e32 v29, v26, v22
	v_lshlrev_b32_e32 v25, 16, v24
	v_add_u16_e32 v22, v26, v22
	v_or_b32_e32 v26, v25, v22
	v_mov_b32_e32 v22, v29
	v_mov_b32_e32 v25, v24
.LBB1547_232:
	s_or_b64 exec, exec, s[50:51]
	v_mov_b32_dpp v28, v26 row_shr:8 row_mask:0xf bank_mask:0xf
	v_cmp_lt_u32_e64 s[48:49], 7, v27
	s_and_saveexec_b64 s[50:51], s[48:49]
	s_cbranch_execz .LBB1547_234
; %bb.233:
	v_cmp_eq_u16_e64 s[48:49], 0, v25
	v_and_b32_e32 v24, 1, v25
	v_mov_b32_e32 v25, 1
	v_cndmask_b32_e64 v26, 0, v28, s[48:49]
	v_and_b32_sdwa v25, v28, v25 dst_sel:DWORD dst_unused:UNUSED_PAD src0_sel:WORD_1 src1_sel:DWORD
	v_cmp_eq_u32_e64 s[48:49], 1, v24
	v_cndmask_b32_e64 v24, v25, 1, s[48:49]
	v_add_u16_e32 v27, v26, v22
	v_lshlrev_b32_e32 v25, 16, v24
	v_add_u16_e32 v22, v26, v22
	v_or_b32_e32 v26, v25, v22
	v_mov_b32_e32 v22, v27
	v_mov_b32_e32 v25, v24
.LBB1547_234:
	s_or_b64 exec, exec, s[50:51]
	v_and_b32_e32 v28, 16, v23
	v_mov_b32_dpp v27, v26 row_bcast:15 row_mask:0xf bank_mask:0xf
	v_cmp_ne_u32_e64 s[48:49], 0, v28
	s_and_saveexec_b64 s[50:51], s[48:49]
	s_cbranch_execz .LBB1547_236
; %bb.235:
	v_cmp_eq_u16_e64 s[48:49], 0, v25
	v_and_b32_e32 v24, 1, v25
	v_mov_b32_e32 v25, 1
	v_cndmask_b32_e64 v26, 0, v27, s[48:49]
	v_and_b32_sdwa v25, v27, v25 dst_sel:DWORD dst_unused:UNUSED_PAD src0_sel:WORD_1 src1_sel:DWORD
	v_cmp_eq_u32_e64 s[48:49], 1, v24
	v_cndmask_b32_e64 v24, v25, 1, s[48:49]
	v_add_u16_e32 v28, v26, v22
	v_lshlrev_b32_e32 v25, 16, v24
	v_add_u16_e32 v22, v26, v22
	v_or_b32_e32 v26, v25, v22
	v_mov_b32_e32 v22, v28
	v_mov_b32_e32 v25, v24
.LBB1547_236:
	s_or_b64 exec, exec, s[50:51]
	v_mov_b32_dpp v26, v26 row_bcast:31 row_mask:0xf bank_mask:0xf
	v_cmp_lt_u32_e64 s[48:49], 31, v23
	s_and_saveexec_b64 s[50:51], s[48:49]
; %bb.237:
	v_cmp_eq_u16_e64 s[48:49], 0, v25
	v_cndmask_b32_e64 v24, 0, v26, s[48:49]
	v_add_u16_e32 v22, v24, v22
	v_and_b32_e32 v24, 1, v25
	v_mov_b32_e32 v25, 1
	v_and_b32_sdwa v25, v26, v25 dst_sel:DWORD dst_unused:UNUSED_PAD src0_sel:WORD_1 src1_sel:DWORD
	v_cmp_eq_u32_e64 s[48:49], 1, v24
	v_cndmask_b32_e64 v24, v25, 1, s[48:49]
	v_mov_b32_e32 v25, v24
; %bb.238:
	s_or_b64 exec, exec, s[50:51]
	v_cmp_eq_u32_e64 s[48:49], 63, v0
	s_and_saveexec_b64 s[50:51], s[48:49]
	s_cbranch_execz .LBB1547_240
; %bb.239:
	v_mov_b32_e32 v26, 0
	ds_write_b16 v26, v22
	ds_write_b8 v26, v25 offset:2
.LBB1547_240:
	s_or_b64 exec, exec, s[50:51]
	v_cmp_eq_u16_e64 s[48:49], 0, v24
	v_and_b32_e32 v24, 1, v24
	s_waitcnt vmcnt(0)
	v_cndmask_b32_e64 v25, 0, v39, s[48:49]
	v_mov_b32_e32 v26, 0x10000
	v_cmp_eq_u32_e64 s[48:49], 1, v24
	v_cndmask_b32_e64 v24, 0, v26, s[48:49]
	v_add_u16_e32 v22, v25, v22
	v_or_b32_e32 v22, v24, v22
	v_add_u32_e32 v24, -1, v23
	v_and_b32_e32 v25, 64, v23
	v_cmp_lt_i32_e64 s[48:49], v24, v25
	v_cndmask_b32_e64 v24, v24, v23, s[48:49]
	v_lshlrev_b32_e32 v24, 2, v24
	ds_bpermute_b32 v22, v24, v22
	v_cmp_eq_u32_e64 s[48:49], 0, v23
	s_or_b64 s[48:49], s[0:1], s[48:49]
	s_waitcnt lgkmcnt(0)
	; wave barrier
	s_waitcnt lgkmcnt(0)
	v_cndmask_b32_e64 v32, v22, v39, s[48:49]
	v_and_b32_e32 v22, 0xff0000, v1
	v_cmp_eq_u32_e64 s[48:49], 0, v22
	v_cndmask_b32_e64 v22, 0, v32, s[48:49]
	v_add_u16_e32 v22, v22, v1
	v_cndmask_b32_e32 v1, 0, v22, vcc
	v_add_u16_e32 v23, v1, v54
	v_cndmask_b32_e64 v1, 0, v23, s[4:5]
	v_add_u16_e32 v24, v1, v21
	v_cndmask_b32_e64 v1, 0, v24, s[6:7]
	;; [unrolled: 2-line block ×21, first 2 shown]
	s_and_saveexec_b64 s[4:5], s[0:1]
	s_cbranch_execz .LBB1547_242
; %bb.241:
	v_mov_b32_e32 v4, 0
	ds_read_u8 v2, v4 offset:2
	ds_read_u16 v3, v4
	s_waitcnt lgkmcnt(1)
	v_cmp_eq_u32_e32 vcc, 0, v2
	v_lshlrev_b32_e32 v5, 16, v2
	v_cndmask_b32_e32 v2, 0, v39, vcc
	s_waitcnt lgkmcnt(0)
	v_add_u32_e32 v2, v2, v3
	v_or_b32_sdwa v2, v5, v2 dst_sel:DWORD dst_unused:UNUSED_PAD src0_sel:DWORD src1_sel:WORD_0
	v_mov_b32_e32 v3, 2
	global_store_dwordx2 v4, v[2:3], s[56:57] offset:512
.LBB1547_242:
	s_or_b64 exec, exec, s[4:5]
	v_and_b32_e32 v39, 0xffff, v32
	v_add_u16_e32 v47, v1, v17
.LBB1547_243:
	s_add_u32 s0, s54, s64
	s_addc_u32 s1, s55, s65
	v_mov_b32_e32 v1, s1
	v_add_co_u32_e32 v4, vcc, s0, v50
	v_addc_co_u32_e32 v5, vcc, v1, v51, vcc
	s_and_b64 vcc, exec, s[2:3]
	v_mul_u32_u24_e32 v7, 24, v0
	v_lshlrev_b32_e32 v6, 1, v0
	s_cbranch_vccz .LBB1547_291
; %bb.244:
	s_mov_b32 s0, 0x5040100
	v_lshlrev_b32_e32 v52, 1, v7
	v_perm_b32 v11, v30, v28, s0
	v_perm_b32 v10, v26, v25, s0
	;; [unrolled: 1-line block ×4, first 2 shown]
	s_waitcnt lgkmcnt(0)
	; wave barrier
	ds_write_b128 v52, v[8:11]
	v_perm_b32 v11, v41, v38, s0
	v_perm_b32 v10, v36, v35, s0
	;; [unrolled: 1-line block ×4, first 2 shown]
	ds_write_b128 v52, v[8:11] offset:16
	v_perm_b32 v11, v47, v46, s0
	v_perm_b32 v10, v45, v44, s0
	;; [unrolled: 1-line block ×4, first 2 shown]
	s_movk_i32 s0, 0xffd2
	v_mad_i32_i24 v2, v0, s0, v52
	ds_write_b128 v52, v[8:11] offset:32
	s_waitcnt lgkmcnt(0)
	; wave barrier
	s_waitcnt lgkmcnt(0)
	ds_read_u16 v55, v2 offset:128
	ds_read_u16 v54, v2 offset:256
	;; [unrolled: 1-line block ×23, first 2 shown]
	v_add_co_u32_e32 v2, vcc, v4, v6
	s_add_i32 s33, s33, s58
	v_addc_co_u32_e32 v3, vcc, 0, v5, vcc
	v_mov_b32_e32 v1, 0
	v_cmp_gt_u32_e32 vcc, s33, v0
	s_and_saveexec_b64 s[0:1], vcc
	s_cbranch_execz .LBB1547_246
; %bb.245:
	v_mul_i32_i24_e32 v56, 0xffffffd2, v0
	v_add_u32_e32 v52, v52, v56
	ds_read_u16 v52, v52
	s_waitcnt lgkmcnt(0)
	flat_store_short v[2:3], v52
.LBB1547_246:
	s_or_b64 exec, exec, s[0:1]
	v_or_b32_e32 v52, 64, v0
	v_cmp_gt_u32_e32 vcc, s33, v52
	s_and_saveexec_b64 s[0:1], vcc
	s_cbranch_execz .LBB1547_248
; %bb.247:
	s_waitcnt lgkmcnt(0)
	flat_store_short v[2:3], v55 offset:128
.LBB1547_248:
	s_or_b64 exec, exec, s[0:1]
	v_or_b32_e32 v52, 0x80, v0
	v_cmp_gt_u32_e32 vcc, s33, v52
	s_and_saveexec_b64 s[0:1], vcc
	s_cbranch_execz .LBB1547_250
; %bb.249:
	s_waitcnt lgkmcnt(0)
	flat_store_short v[2:3], v54 offset:256
.LBB1547_250:
	;; [unrolled: 9-line block ×4, first 2 shown]
	s_or_b64 exec, exec, s[0:1]
	s_waitcnt lgkmcnt(0)
	v_or_b32_e32 v51, 0x140, v0
	v_cmp_gt_u32_e32 vcc, s33, v51
	s_and_saveexec_b64 s[0:1], vcc
	s_cbranch_execz .LBB1547_256
; %bb.255:
	flat_store_short v[2:3], v50 offset:640
.LBB1547_256:
	s_or_b64 exec, exec, s[0:1]
	v_or_b32_e32 v50, 0x180, v0
	v_cmp_gt_u32_e32 vcc, s33, v50
	s_and_saveexec_b64 s[0:1], vcc
	s_cbranch_execz .LBB1547_258
; %bb.257:
	flat_store_short v[2:3], v49 offset:768
.LBB1547_258:
	s_or_b64 exec, exec, s[0:1]
	;; [unrolled: 8-line block ×18, first 2 shown]
	v_or_b32_e32 v2, 0x5c0, v0
	v_cmp_gt_u32_e64 s[0:1], s33, v2
	s_branch .LBB1547_293
.LBB1547_291:
	s_mov_b64 s[0:1], 0
                                        ; implicit-def: $vgpr8
	s_cbranch_execz .LBB1547_293
; %bb.292:
	s_mov_b32 s2, 0x5040100
	v_lshlrev_b32_e32 v2, 1, v7
	v_perm_b32 v11, v30, v28, s2
	v_perm_b32 v10, v26, v25, s2
	;; [unrolled: 1-line block ×4, first 2 shown]
	s_waitcnt lgkmcnt(0)
	; wave barrier
	s_waitcnt lgkmcnt(0)
	ds_write_b128 v2, v[8:11]
	v_perm_b32 v11, v41, v38, s2
	v_perm_b32 v10, v36, v35, s2
	v_perm_b32 v9, v34, v31, s2
	v_perm_b32 v8, v29, v27, s2
	ds_write_b128 v2, v[8:11] offset:16
	v_perm_b32 v11, v47, v46, s2
	v_perm_b32 v10, v45, v44, s2
	;; [unrolled: 1-line block ×4, first 2 shown]
	s_movk_i32 s2, 0xffd2
	ds_write_b128 v2, v[8:11] offset:32
	v_mad_i32_i24 v2, v0, s2, v2
	s_waitcnt lgkmcnt(0)
	; wave barrier
	s_waitcnt lgkmcnt(0)
	ds_read_u16 v7, v2
	ds_read_u16 v9, v2 offset:128
	ds_read_u16 v10, v2 offset:256
	;; [unrolled: 1-line block ×23, first 2 shown]
	v_add_co_u32_e32 v2, vcc, v4, v6
	v_mov_b32_e32 v1, 0
	v_addc_co_u32_e32 v3, vcc, 0, v5, vcc
	s_or_b64 s[0:1], s[0:1], exec
	s_waitcnt lgkmcnt(0)
	flat_store_short v[2:3], v7
	flat_store_short v[2:3], v9 offset:128
	flat_store_short v[2:3], v10 offset:256
	;; [unrolled: 1-line block ×22, first 2 shown]
.LBB1547_293:
	s_and_saveexec_b64 s[2:3], s[0:1]
	s_cbranch_execz .LBB1547_295
; %bb.294:
	v_lshlrev_b64 v[0:1], 1, v[0:1]
	v_add_co_u32_e32 v0, vcc, v4, v0
	v_addc_co_u32_e32 v1, vcc, v5, v1, vcc
	flat_store_short v[0:1], v8 offset:2944
	s_endpgm
.LBB1547_295:
	s_endpgm
	.section	.rodata,"a",@progbits
	.p2align	6, 0x0
	.amdhsa_kernel _ZN7rocprim17ROCPRIM_400000_NS6detail17trampoline_kernelINS0_14default_configENS1_27scan_by_key_config_selectorIitEEZZNS1_16scan_by_key_implILNS1_25lookback_scan_determinismE0ELb1ES3_N6thrust23THRUST_200600_302600_NS6detail15normal_iteratorINS9_10device_ptrIiEEEENSB_INSC_ItEEEESG_tNS9_4plusIvEENS9_8equal_toIvEEtEE10hipError_tPvRmT2_T3_T4_T5_mT6_T7_P12ihipStream_tbENKUlT_T0_E_clISt17integral_constantIbLb1EES11_EEDaSW_SX_EUlSW_E_NS1_11comp_targetILNS1_3genE4ELNS1_11target_archE910ELNS1_3gpuE8ELNS1_3repE0EEENS1_30default_config_static_selectorELNS0_4arch9wavefront6targetE1EEEvT1_
		.amdhsa_group_segment_fixed_size 6656
		.amdhsa_private_segment_fixed_size 0
		.amdhsa_kernarg_size 112
		.amdhsa_user_sgpr_count 6
		.amdhsa_user_sgpr_private_segment_buffer 1
		.amdhsa_user_sgpr_dispatch_ptr 0
		.amdhsa_user_sgpr_queue_ptr 0
		.amdhsa_user_sgpr_kernarg_segment_ptr 1
		.amdhsa_user_sgpr_dispatch_id 0
		.amdhsa_user_sgpr_flat_scratch_init 0
		.amdhsa_user_sgpr_kernarg_preload_length 0
		.amdhsa_user_sgpr_kernarg_preload_offset 0
		.amdhsa_user_sgpr_private_segment_size 0
		.amdhsa_uses_dynamic_stack 0
		.amdhsa_system_sgpr_private_segment_wavefront_offset 0
		.amdhsa_system_sgpr_workgroup_id_x 1
		.amdhsa_system_sgpr_workgroup_id_y 0
		.amdhsa_system_sgpr_workgroup_id_z 0
		.amdhsa_system_sgpr_workgroup_info 0
		.amdhsa_system_vgpr_workitem_id 0
		.amdhsa_next_free_vgpr 61
		.amdhsa_next_free_sgpr 84
		.amdhsa_accum_offset 64
		.amdhsa_reserve_vcc 1
		.amdhsa_reserve_flat_scratch 0
		.amdhsa_float_round_mode_32 0
		.amdhsa_float_round_mode_16_64 0
		.amdhsa_float_denorm_mode_32 3
		.amdhsa_float_denorm_mode_16_64 3
		.amdhsa_dx10_clamp 1
		.amdhsa_ieee_mode 1
		.amdhsa_fp16_overflow 0
		.amdhsa_tg_split 0
		.amdhsa_exception_fp_ieee_invalid_op 0
		.amdhsa_exception_fp_denorm_src 0
		.amdhsa_exception_fp_ieee_div_zero 0
		.amdhsa_exception_fp_ieee_overflow 0
		.amdhsa_exception_fp_ieee_underflow 0
		.amdhsa_exception_fp_ieee_inexact 0
		.amdhsa_exception_int_div_zero 0
	.end_amdhsa_kernel
	.section	.text._ZN7rocprim17ROCPRIM_400000_NS6detail17trampoline_kernelINS0_14default_configENS1_27scan_by_key_config_selectorIitEEZZNS1_16scan_by_key_implILNS1_25lookback_scan_determinismE0ELb1ES3_N6thrust23THRUST_200600_302600_NS6detail15normal_iteratorINS9_10device_ptrIiEEEENSB_INSC_ItEEEESG_tNS9_4plusIvEENS9_8equal_toIvEEtEE10hipError_tPvRmT2_T3_T4_T5_mT6_T7_P12ihipStream_tbENKUlT_T0_E_clISt17integral_constantIbLb1EES11_EEDaSW_SX_EUlSW_E_NS1_11comp_targetILNS1_3genE4ELNS1_11target_archE910ELNS1_3gpuE8ELNS1_3repE0EEENS1_30default_config_static_selectorELNS0_4arch9wavefront6targetE1EEEvT1_,"axG",@progbits,_ZN7rocprim17ROCPRIM_400000_NS6detail17trampoline_kernelINS0_14default_configENS1_27scan_by_key_config_selectorIitEEZZNS1_16scan_by_key_implILNS1_25lookback_scan_determinismE0ELb1ES3_N6thrust23THRUST_200600_302600_NS6detail15normal_iteratorINS9_10device_ptrIiEEEENSB_INSC_ItEEEESG_tNS9_4plusIvEENS9_8equal_toIvEEtEE10hipError_tPvRmT2_T3_T4_T5_mT6_T7_P12ihipStream_tbENKUlT_T0_E_clISt17integral_constantIbLb1EES11_EEDaSW_SX_EUlSW_E_NS1_11comp_targetILNS1_3genE4ELNS1_11target_archE910ELNS1_3gpuE8ELNS1_3repE0EEENS1_30default_config_static_selectorELNS0_4arch9wavefront6targetE1EEEvT1_,comdat
.Lfunc_end1547:
	.size	_ZN7rocprim17ROCPRIM_400000_NS6detail17trampoline_kernelINS0_14default_configENS1_27scan_by_key_config_selectorIitEEZZNS1_16scan_by_key_implILNS1_25lookback_scan_determinismE0ELb1ES3_N6thrust23THRUST_200600_302600_NS6detail15normal_iteratorINS9_10device_ptrIiEEEENSB_INSC_ItEEEESG_tNS9_4plusIvEENS9_8equal_toIvEEtEE10hipError_tPvRmT2_T3_T4_T5_mT6_T7_P12ihipStream_tbENKUlT_T0_E_clISt17integral_constantIbLb1EES11_EEDaSW_SX_EUlSW_E_NS1_11comp_targetILNS1_3genE4ELNS1_11target_archE910ELNS1_3gpuE8ELNS1_3repE0EEENS1_30default_config_static_selectorELNS0_4arch9wavefront6targetE1EEEvT1_, .Lfunc_end1547-_ZN7rocprim17ROCPRIM_400000_NS6detail17trampoline_kernelINS0_14default_configENS1_27scan_by_key_config_selectorIitEEZZNS1_16scan_by_key_implILNS1_25lookback_scan_determinismE0ELb1ES3_N6thrust23THRUST_200600_302600_NS6detail15normal_iteratorINS9_10device_ptrIiEEEENSB_INSC_ItEEEESG_tNS9_4plusIvEENS9_8equal_toIvEEtEE10hipError_tPvRmT2_T3_T4_T5_mT6_T7_P12ihipStream_tbENKUlT_T0_E_clISt17integral_constantIbLb1EES11_EEDaSW_SX_EUlSW_E_NS1_11comp_targetILNS1_3genE4ELNS1_11target_archE910ELNS1_3gpuE8ELNS1_3repE0EEENS1_30default_config_static_selectorELNS0_4arch9wavefront6targetE1EEEvT1_
                                        ; -- End function
	.section	.AMDGPU.csdata,"",@progbits
; Kernel info:
; codeLenInByte = 15680
; NumSgprs: 88
; NumVgprs: 61
; NumAgprs: 0
; TotalNumVgprs: 61
; ScratchSize: 0
; MemoryBound: 0
; FloatMode: 240
; IeeeMode: 1
; LDSByteSize: 6656 bytes/workgroup (compile time only)
; SGPRBlocks: 10
; VGPRBlocks: 7
; NumSGPRsForWavesPerEU: 88
; NumVGPRsForWavesPerEU: 61
; AccumOffset: 64
; Occupancy: 3
; WaveLimiterHint : 1
; COMPUTE_PGM_RSRC2:SCRATCH_EN: 0
; COMPUTE_PGM_RSRC2:USER_SGPR: 6
; COMPUTE_PGM_RSRC2:TRAP_HANDLER: 0
; COMPUTE_PGM_RSRC2:TGID_X_EN: 1
; COMPUTE_PGM_RSRC2:TGID_Y_EN: 0
; COMPUTE_PGM_RSRC2:TGID_Z_EN: 0
; COMPUTE_PGM_RSRC2:TIDIG_COMP_CNT: 0
; COMPUTE_PGM_RSRC3_GFX90A:ACCUM_OFFSET: 15
; COMPUTE_PGM_RSRC3_GFX90A:TG_SPLIT: 0
	.section	.text._ZN7rocprim17ROCPRIM_400000_NS6detail17trampoline_kernelINS0_14default_configENS1_27scan_by_key_config_selectorIitEEZZNS1_16scan_by_key_implILNS1_25lookback_scan_determinismE0ELb1ES3_N6thrust23THRUST_200600_302600_NS6detail15normal_iteratorINS9_10device_ptrIiEEEENSB_INSC_ItEEEESG_tNS9_4plusIvEENS9_8equal_toIvEEtEE10hipError_tPvRmT2_T3_T4_T5_mT6_T7_P12ihipStream_tbENKUlT_T0_E_clISt17integral_constantIbLb1EES11_EEDaSW_SX_EUlSW_E_NS1_11comp_targetILNS1_3genE3ELNS1_11target_archE908ELNS1_3gpuE7ELNS1_3repE0EEENS1_30default_config_static_selectorELNS0_4arch9wavefront6targetE1EEEvT1_,"axG",@progbits,_ZN7rocprim17ROCPRIM_400000_NS6detail17trampoline_kernelINS0_14default_configENS1_27scan_by_key_config_selectorIitEEZZNS1_16scan_by_key_implILNS1_25lookback_scan_determinismE0ELb1ES3_N6thrust23THRUST_200600_302600_NS6detail15normal_iteratorINS9_10device_ptrIiEEEENSB_INSC_ItEEEESG_tNS9_4plusIvEENS9_8equal_toIvEEtEE10hipError_tPvRmT2_T3_T4_T5_mT6_T7_P12ihipStream_tbENKUlT_T0_E_clISt17integral_constantIbLb1EES11_EEDaSW_SX_EUlSW_E_NS1_11comp_targetILNS1_3genE3ELNS1_11target_archE908ELNS1_3gpuE7ELNS1_3repE0EEENS1_30default_config_static_selectorELNS0_4arch9wavefront6targetE1EEEvT1_,comdat
	.protected	_ZN7rocprim17ROCPRIM_400000_NS6detail17trampoline_kernelINS0_14default_configENS1_27scan_by_key_config_selectorIitEEZZNS1_16scan_by_key_implILNS1_25lookback_scan_determinismE0ELb1ES3_N6thrust23THRUST_200600_302600_NS6detail15normal_iteratorINS9_10device_ptrIiEEEENSB_INSC_ItEEEESG_tNS9_4plusIvEENS9_8equal_toIvEEtEE10hipError_tPvRmT2_T3_T4_T5_mT6_T7_P12ihipStream_tbENKUlT_T0_E_clISt17integral_constantIbLb1EES11_EEDaSW_SX_EUlSW_E_NS1_11comp_targetILNS1_3genE3ELNS1_11target_archE908ELNS1_3gpuE7ELNS1_3repE0EEENS1_30default_config_static_selectorELNS0_4arch9wavefront6targetE1EEEvT1_ ; -- Begin function _ZN7rocprim17ROCPRIM_400000_NS6detail17trampoline_kernelINS0_14default_configENS1_27scan_by_key_config_selectorIitEEZZNS1_16scan_by_key_implILNS1_25lookback_scan_determinismE0ELb1ES3_N6thrust23THRUST_200600_302600_NS6detail15normal_iteratorINS9_10device_ptrIiEEEENSB_INSC_ItEEEESG_tNS9_4plusIvEENS9_8equal_toIvEEtEE10hipError_tPvRmT2_T3_T4_T5_mT6_T7_P12ihipStream_tbENKUlT_T0_E_clISt17integral_constantIbLb1EES11_EEDaSW_SX_EUlSW_E_NS1_11comp_targetILNS1_3genE3ELNS1_11target_archE908ELNS1_3gpuE7ELNS1_3repE0EEENS1_30default_config_static_selectorELNS0_4arch9wavefront6targetE1EEEvT1_
	.globl	_ZN7rocprim17ROCPRIM_400000_NS6detail17trampoline_kernelINS0_14default_configENS1_27scan_by_key_config_selectorIitEEZZNS1_16scan_by_key_implILNS1_25lookback_scan_determinismE0ELb1ES3_N6thrust23THRUST_200600_302600_NS6detail15normal_iteratorINS9_10device_ptrIiEEEENSB_INSC_ItEEEESG_tNS9_4plusIvEENS9_8equal_toIvEEtEE10hipError_tPvRmT2_T3_T4_T5_mT6_T7_P12ihipStream_tbENKUlT_T0_E_clISt17integral_constantIbLb1EES11_EEDaSW_SX_EUlSW_E_NS1_11comp_targetILNS1_3genE3ELNS1_11target_archE908ELNS1_3gpuE7ELNS1_3repE0EEENS1_30default_config_static_selectorELNS0_4arch9wavefront6targetE1EEEvT1_
	.p2align	8
	.type	_ZN7rocprim17ROCPRIM_400000_NS6detail17trampoline_kernelINS0_14default_configENS1_27scan_by_key_config_selectorIitEEZZNS1_16scan_by_key_implILNS1_25lookback_scan_determinismE0ELb1ES3_N6thrust23THRUST_200600_302600_NS6detail15normal_iteratorINS9_10device_ptrIiEEEENSB_INSC_ItEEEESG_tNS9_4plusIvEENS9_8equal_toIvEEtEE10hipError_tPvRmT2_T3_T4_T5_mT6_T7_P12ihipStream_tbENKUlT_T0_E_clISt17integral_constantIbLb1EES11_EEDaSW_SX_EUlSW_E_NS1_11comp_targetILNS1_3genE3ELNS1_11target_archE908ELNS1_3gpuE7ELNS1_3repE0EEENS1_30default_config_static_selectorELNS0_4arch9wavefront6targetE1EEEvT1_,@function
_ZN7rocprim17ROCPRIM_400000_NS6detail17trampoline_kernelINS0_14default_configENS1_27scan_by_key_config_selectorIitEEZZNS1_16scan_by_key_implILNS1_25lookback_scan_determinismE0ELb1ES3_N6thrust23THRUST_200600_302600_NS6detail15normal_iteratorINS9_10device_ptrIiEEEENSB_INSC_ItEEEESG_tNS9_4plusIvEENS9_8equal_toIvEEtEE10hipError_tPvRmT2_T3_T4_T5_mT6_T7_P12ihipStream_tbENKUlT_T0_E_clISt17integral_constantIbLb1EES11_EEDaSW_SX_EUlSW_E_NS1_11comp_targetILNS1_3genE3ELNS1_11target_archE908ELNS1_3gpuE7ELNS1_3repE0EEENS1_30default_config_static_selectorELNS0_4arch9wavefront6targetE1EEEvT1_: ; @_ZN7rocprim17ROCPRIM_400000_NS6detail17trampoline_kernelINS0_14default_configENS1_27scan_by_key_config_selectorIitEEZZNS1_16scan_by_key_implILNS1_25lookback_scan_determinismE0ELb1ES3_N6thrust23THRUST_200600_302600_NS6detail15normal_iteratorINS9_10device_ptrIiEEEENSB_INSC_ItEEEESG_tNS9_4plusIvEENS9_8equal_toIvEEtEE10hipError_tPvRmT2_T3_T4_T5_mT6_T7_P12ihipStream_tbENKUlT_T0_E_clISt17integral_constantIbLb1EES11_EEDaSW_SX_EUlSW_E_NS1_11comp_targetILNS1_3genE3ELNS1_11target_archE908ELNS1_3gpuE7ELNS1_3repE0EEENS1_30default_config_static_selectorELNS0_4arch9wavefront6targetE1EEEvT1_
; %bb.0:
	.section	.rodata,"a",@progbits
	.p2align	6, 0x0
	.amdhsa_kernel _ZN7rocprim17ROCPRIM_400000_NS6detail17trampoline_kernelINS0_14default_configENS1_27scan_by_key_config_selectorIitEEZZNS1_16scan_by_key_implILNS1_25lookback_scan_determinismE0ELb1ES3_N6thrust23THRUST_200600_302600_NS6detail15normal_iteratorINS9_10device_ptrIiEEEENSB_INSC_ItEEEESG_tNS9_4plusIvEENS9_8equal_toIvEEtEE10hipError_tPvRmT2_T3_T4_T5_mT6_T7_P12ihipStream_tbENKUlT_T0_E_clISt17integral_constantIbLb1EES11_EEDaSW_SX_EUlSW_E_NS1_11comp_targetILNS1_3genE3ELNS1_11target_archE908ELNS1_3gpuE7ELNS1_3repE0EEENS1_30default_config_static_selectorELNS0_4arch9wavefront6targetE1EEEvT1_
		.amdhsa_group_segment_fixed_size 0
		.amdhsa_private_segment_fixed_size 0
		.amdhsa_kernarg_size 112
		.amdhsa_user_sgpr_count 6
		.amdhsa_user_sgpr_private_segment_buffer 1
		.amdhsa_user_sgpr_dispatch_ptr 0
		.amdhsa_user_sgpr_queue_ptr 0
		.amdhsa_user_sgpr_kernarg_segment_ptr 1
		.amdhsa_user_sgpr_dispatch_id 0
		.amdhsa_user_sgpr_flat_scratch_init 0
		.amdhsa_user_sgpr_kernarg_preload_length 0
		.amdhsa_user_sgpr_kernarg_preload_offset 0
		.amdhsa_user_sgpr_private_segment_size 0
		.amdhsa_uses_dynamic_stack 0
		.amdhsa_system_sgpr_private_segment_wavefront_offset 0
		.amdhsa_system_sgpr_workgroup_id_x 1
		.amdhsa_system_sgpr_workgroup_id_y 0
		.amdhsa_system_sgpr_workgroup_id_z 0
		.amdhsa_system_sgpr_workgroup_info 0
		.amdhsa_system_vgpr_workitem_id 0
		.amdhsa_next_free_vgpr 1
		.amdhsa_next_free_sgpr 0
		.amdhsa_accum_offset 4
		.amdhsa_reserve_vcc 0
		.amdhsa_reserve_flat_scratch 0
		.amdhsa_float_round_mode_32 0
		.amdhsa_float_round_mode_16_64 0
		.amdhsa_float_denorm_mode_32 3
		.amdhsa_float_denorm_mode_16_64 3
		.amdhsa_dx10_clamp 1
		.amdhsa_ieee_mode 1
		.amdhsa_fp16_overflow 0
		.amdhsa_tg_split 0
		.amdhsa_exception_fp_ieee_invalid_op 0
		.amdhsa_exception_fp_denorm_src 0
		.amdhsa_exception_fp_ieee_div_zero 0
		.amdhsa_exception_fp_ieee_overflow 0
		.amdhsa_exception_fp_ieee_underflow 0
		.amdhsa_exception_fp_ieee_inexact 0
		.amdhsa_exception_int_div_zero 0
	.end_amdhsa_kernel
	.section	.text._ZN7rocprim17ROCPRIM_400000_NS6detail17trampoline_kernelINS0_14default_configENS1_27scan_by_key_config_selectorIitEEZZNS1_16scan_by_key_implILNS1_25lookback_scan_determinismE0ELb1ES3_N6thrust23THRUST_200600_302600_NS6detail15normal_iteratorINS9_10device_ptrIiEEEENSB_INSC_ItEEEESG_tNS9_4plusIvEENS9_8equal_toIvEEtEE10hipError_tPvRmT2_T3_T4_T5_mT6_T7_P12ihipStream_tbENKUlT_T0_E_clISt17integral_constantIbLb1EES11_EEDaSW_SX_EUlSW_E_NS1_11comp_targetILNS1_3genE3ELNS1_11target_archE908ELNS1_3gpuE7ELNS1_3repE0EEENS1_30default_config_static_selectorELNS0_4arch9wavefront6targetE1EEEvT1_,"axG",@progbits,_ZN7rocprim17ROCPRIM_400000_NS6detail17trampoline_kernelINS0_14default_configENS1_27scan_by_key_config_selectorIitEEZZNS1_16scan_by_key_implILNS1_25lookback_scan_determinismE0ELb1ES3_N6thrust23THRUST_200600_302600_NS6detail15normal_iteratorINS9_10device_ptrIiEEEENSB_INSC_ItEEEESG_tNS9_4plusIvEENS9_8equal_toIvEEtEE10hipError_tPvRmT2_T3_T4_T5_mT6_T7_P12ihipStream_tbENKUlT_T0_E_clISt17integral_constantIbLb1EES11_EEDaSW_SX_EUlSW_E_NS1_11comp_targetILNS1_3genE3ELNS1_11target_archE908ELNS1_3gpuE7ELNS1_3repE0EEENS1_30default_config_static_selectorELNS0_4arch9wavefront6targetE1EEEvT1_,comdat
.Lfunc_end1548:
	.size	_ZN7rocprim17ROCPRIM_400000_NS6detail17trampoline_kernelINS0_14default_configENS1_27scan_by_key_config_selectorIitEEZZNS1_16scan_by_key_implILNS1_25lookback_scan_determinismE0ELb1ES3_N6thrust23THRUST_200600_302600_NS6detail15normal_iteratorINS9_10device_ptrIiEEEENSB_INSC_ItEEEESG_tNS9_4plusIvEENS9_8equal_toIvEEtEE10hipError_tPvRmT2_T3_T4_T5_mT6_T7_P12ihipStream_tbENKUlT_T0_E_clISt17integral_constantIbLb1EES11_EEDaSW_SX_EUlSW_E_NS1_11comp_targetILNS1_3genE3ELNS1_11target_archE908ELNS1_3gpuE7ELNS1_3repE0EEENS1_30default_config_static_selectorELNS0_4arch9wavefront6targetE1EEEvT1_, .Lfunc_end1548-_ZN7rocprim17ROCPRIM_400000_NS6detail17trampoline_kernelINS0_14default_configENS1_27scan_by_key_config_selectorIitEEZZNS1_16scan_by_key_implILNS1_25lookback_scan_determinismE0ELb1ES3_N6thrust23THRUST_200600_302600_NS6detail15normal_iteratorINS9_10device_ptrIiEEEENSB_INSC_ItEEEESG_tNS9_4plusIvEENS9_8equal_toIvEEtEE10hipError_tPvRmT2_T3_T4_T5_mT6_T7_P12ihipStream_tbENKUlT_T0_E_clISt17integral_constantIbLb1EES11_EEDaSW_SX_EUlSW_E_NS1_11comp_targetILNS1_3genE3ELNS1_11target_archE908ELNS1_3gpuE7ELNS1_3repE0EEENS1_30default_config_static_selectorELNS0_4arch9wavefront6targetE1EEEvT1_
                                        ; -- End function
	.section	.AMDGPU.csdata,"",@progbits
; Kernel info:
; codeLenInByte = 0
; NumSgprs: 4
; NumVgprs: 0
; NumAgprs: 0
; TotalNumVgprs: 0
; ScratchSize: 0
; MemoryBound: 0
; FloatMode: 240
; IeeeMode: 1
; LDSByteSize: 0 bytes/workgroup (compile time only)
; SGPRBlocks: 0
; VGPRBlocks: 0
; NumSGPRsForWavesPerEU: 4
; NumVGPRsForWavesPerEU: 1
; AccumOffset: 4
; Occupancy: 8
; WaveLimiterHint : 0
; COMPUTE_PGM_RSRC2:SCRATCH_EN: 0
; COMPUTE_PGM_RSRC2:USER_SGPR: 6
; COMPUTE_PGM_RSRC2:TRAP_HANDLER: 0
; COMPUTE_PGM_RSRC2:TGID_X_EN: 1
; COMPUTE_PGM_RSRC2:TGID_Y_EN: 0
; COMPUTE_PGM_RSRC2:TGID_Z_EN: 0
; COMPUTE_PGM_RSRC2:TIDIG_COMP_CNT: 0
; COMPUTE_PGM_RSRC3_GFX90A:ACCUM_OFFSET: 0
; COMPUTE_PGM_RSRC3_GFX90A:TG_SPLIT: 0
	.section	.text._ZN7rocprim17ROCPRIM_400000_NS6detail17trampoline_kernelINS0_14default_configENS1_27scan_by_key_config_selectorIitEEZZNS1_16scan_by_key_implILNS1_25lookback_scan_determinismE0ELb1ES3_N6thrust23THRUST_200600_302600_NS6detail15normal_iteratorINS9_10device_ptrIiEEEENSB_INSC_ItEEEESG_tNS9_4plusIvEENS9_8equal_toIvEEtEE10hipError_tPvRmT2_T3_T4_T5_mT6_T7_P12ihipStream_tbENKUlT_T0_E_clISt17integral_constantIbLb1EES11_EEDaSW_SX_EUlSW_E_NS1_11comp_targetILNS1_3genE2ELNS1_11target_archE906ELNS1_3gpuE6ELNS1_3repE0EEENS1_30default_config_static_selectorELNS0_4arch9wavefront6targetE1EEEvT1_,"axG",@progbits,_ZN7rocprim17ROCPRIM_400000_NS6detail17trampoline_kernelINS0_14default_configENS1_27scan_by_key_config_selectorIitEEZZNS1_16scan_by_key_implILNS1_25lookback_scan_determinismE0ELb1ES3_N6thrust23THRUST_200600_302600_NS6detail15normal_iteratorINS9_10device_ptrIiEEEENSB_INSC_ItEEEESG_tNS9_4plusIvEENS9_8equal_toIvEEtEE10hipError_tPvRmT2_T3_T4_T5_mT6_T7_P12ihipStream_tbENKUlT_T0_E_clISt17integral_constantIbLb1EES11_EEDaSW_SX_EUlSW_E_NS1_11comp_targetILNS1_3genE2ELNS1_11target_archE906ELNS1_3gpuE6ELNS1_3repE0EEENS1_30default_config_static_selectorELNS0_4arch9wavefront6targetE1EEEvT1_,comdat
	.protected	_ZN7rocprim17ROCPRIM_400000_NS6detail17trampoline_kernelINS0_14default_configENS1_27scan_by_key_config_selectorIitEEZZNS1_16scan_by_key_implILNS1_25lookback_scan_determinismE0ELb1ES3_N6thrust23THRUST_200600_302600_NS6detail15normal_iteratorINS9_10device_ptrIiEEEENSB_INSC_ItEEEESG_tNS9_4plusIvEENS9_8equal_toIvEEtEE10hipError_tPvRmT2_T3_T4_T5_mT6_T7_P12ihipStream_tbENKUlT_T0_E_clISt17integral_constantIbLb1EES11_EEDaSW_SX_EUlSW_E_NS1_11comp_targetILNS1_3genE2ELNS1_11target_archE906ELNS1_3gpuE6ELNS1_3repE0EEENS1_30default_config_static_selectorELNS0_4arch9wavefront6targetE1EEEvT1_ ; -- Begin function _ZN7rocprim17ROCPRIM_400000_NS6detail17trampoline_kernelINS0_14default_configENS1_27scan_by_key_config_selectorIitEEZZNS1_16scan_by_key_implILNS1_25lookback_scan_determinismE0ELb1ES3_N6thrust23THRUST_200600_302600_NS6detail15normal_iteratorINS9_10device_ptrIiEEEENSB_INSC_ItEEEESG_tNS9_4plusIvEENS9_8equal_toIvEEtEE10hipError_tPvRmT2_T3_T4_T5_mT6_T7_P12ihipStream_tbENKUlT_T0_E_clISt17integral_constantIbLb1EES11_EEDaSW_SX_EUlSW_E_NS1_11comp_targetILNS1_3genE2ELNS1_11target_archE906ELNS1_3gpuE6ELNS1_3repE0EEENS1_30default_config_static_selectorELNS0_4arch9wavefront6targetE1EEEvT1_
	.globl	_ZN7rocprim17ROCPRIM_400000_NS6detail17trampoline_kernelINS0_14default_configENS1_27scan_by_key_config_selectorIitEEZZNS1_16scan_by_key_implILNS1_25lookback_scan_determinismE0ELb1ES3_N6thrust23THRUST_200600_302600_NS6detail15normal_iteratorINS9_10device_ptrIiEEEENSB_INSC_ItEEEESG_tNS9_4plusIvEENS9_8equal_toIvEEtEE10hipError_tPvRmT2_T3_T4_T5_mT6_T7_P12ihipStream_tbENKUlT_T0_E_clISt17integral_constantIbLb1EES11_EEDaSW_SX_EUlSW_E_NS1_11comp_targetILNS1_3genE2ELNS1_11target_archE906ELNS1_3gpuE6ELNS1_3repE0EEENS1_30default_config_static_selectorELNS0_4arch9wavefront6targetE1EEEvT1_
	.p2align	8
	.type	_ZN7rocprim17ROCPRIM_400000_NS6detail17trampoline_kernelINS0_14default_configENS1_27scan_by_key_config_selectorIitEEZZNS1_16scan_by_key_implILNS1_25lookback_scan_determinismE0ELb1ES3_N6thrust23THRUST_200600_302600_NS6detail15normal_iteratorINS9_10device_ptrIiEEEENSB_INSC_ItEEEESG_tNS9_4plusIvEENS9_8equal_toIvEEtEE10hipError_tPvRmT2_T3_T4_T5_mT6_T7_P12ihipStream_tbENKUlT_T0_E_clISt17integral_constantIbLb1EES11_EEDaSW_SX_EUlSW_E_NS1_11comp_targetILNS1_3genE2ELNS1_11target_archE906ELNS1_3gpuE6ELNS1_3repE0EEENS1_30default_config_static_selectorELNS0_4arch9wavefront6targetE1EEEvT1_,@function
_ZN7rocprim17ROCPRIM_400000_NS6detail17trampoline_kernelINS0_14default_configENS1_27scan_by_key_config_selectorIitEEZZNS1_16scan_by_key_implILNS1_25lookback_scan_determinismE0ELb1ES3_N6thrust23THRUST_200600_302600_NS6detail15normal_iteratorINS9_10device_ptrIiEEEENSB_INSC_ItEEEESG_tNS9_4plusIvEENS9_8equal_toIvEEtEE10hipError_tPvRmT2_T3_T4_T5_mT6_T7_P12ihipStream_tbENKUlT_T0_E_clISt17integral_constantIbLb1EES11_EEDaSW_SX_EUlSW_E_NS1_11comp_targetILNS1_3genE2ELNS1_11target_archE906ELNS1_3gpuE6ELNS1_3repE0EEENS1_30default_config_static_selectorELNS0_4arch9wavefront6targetE1EEEvT1_: ; @_ZN7rocprim17ROCPRIM_400000_NS6detail17trampoline_kernelINS0_14default_configENS1_27scan_by_key_config_selectorIitEEZZNS1_16scan_by_key_implILNS1_25lookback_scan_determinismE0ELb1ES3_N6thrust23THRUST_200600_302600_NS6detail15normal_iteratorINS9_10device_ptrIiEEEENSB_INSC_ItEEEESG_tNS9_4plusIvEENS9_8equal_toIvEEtEE10hipError_tPvRmT2_T3_T4_T5_mT6_T7_P12ihipStream_tbENKUlT_T0_E_clISt17integral_constantIbLb1EES11_EEDaSW_SX_EUlSW_E_NS1_11comp_targetILNS1_3genE2ELNS1_11target_archE906ELNS1_3gpuE6ELNS1_3repE0EEENS1_30default_config_static_selectorELNS0_4arch9wavefront6targetE1EEEvT1_
; %bb.0:
	.section	.rodata,"a",@progbits
	.p2align	6, 0x0
	.amdhsa_kernel _ZN7rocprim17ROCPRIM_400000_NS6detail17trampoline_kernelINS0_14default_configENS1_27scan_by_key_config_selectorIitEEZZNS1_16scan_by_key_implILNS1_25lookback_scan_determinismE0ELb1ES3_N6thrust23THRUST_200600_302600_NS6detail15normal_iteratorINS9_10device_ptrIiEEEENSB_INSC_ItEEEESG_tNS9_4plusIvEENS9_8equal_toIvEEtEE10hipError_tPvRmT2_T3_T4_T5_mT6_T7_P12ihipStream_tbENKUlT_T0_E_clISt17integral_constantIbLb1EES11_EEDaSW_SX_EUlSW_E_NS1_11comp_targetILNS1_3genE2ELNS1_11target_archE906ELNS1_3gpuE6ELNS1_3repE0EEENS1_30default_config_static_selectorELNS0_4arch9wavefront6targetE1EEEvT1_
		.amdhsa_group_segment_fixed_size 0
		.amdhsa_private_segment_fixed_size 0
		.amdhsa_kernarg_size 112
		.amdhsa_user_sgpr_count 6
		.amdhsa_user_sgpr_private_segment_buffer 1
		.amdhsa_user_sgpr_dispatch_ptr 0
		.amdhsa_user_sgpr_queue_ptr 0
		.amdhsa_user_sgpr_kernarg_segment_ptr 1
		.amdhsa_user_sgpr_dispatch_id 0
		.amdhsa_user_sgpr_flat_scratch_init 0
		.amdhsa_user_sgpr_kernarg_preload_length 0
		.amdhsa_user_sgpr_kernarg_preload_offset 0
		.amdhsa_user_sgpr_private_segment_size 0
		.amdhsa_uses_dynamic_stack 0
		.amdhsa_system_sgpr_private_segment_wavefront_offset 0
		.amdhsa_system_sgpr_workgroup_id_x 1
		.amdhsa_system_sgpr_workgroup_id_y 0
		.amdhsa_system_sgpr_workgroup_id_z 0
		.amdhsa_system_sgpr_workgroup_info 0
		.amdhsa_system_vgpr_workitem_id 0
		.amdhsa_next_free_vgpr 1
		.amdhsa_next_free_sgpr 0
		.amdhsa_accum_offset 4
		.amdhsa_reserve_vcc 0
		.amdhsa_reserve_flat_scratch 0
		.amdhsa_float_round_mode_32 0
		.amdhsa_float_round_mode_16_64 0
		.amdhsa_float_denorm_mode_32 3
		.amdhsa_float_denorm_mode_16_64 3
		.amdhsa_dx10_clamp 1
		.amdhsa_ieee_mode 1
		.amdhsa_fp16_overflow 0
		.amdhsa_tg_split 0
		.amdhsa_exception_fp_ieee_invalid_op 0
		.amdhsa_exception_fp_denorm_src 0
		.amdhsa_exception_fp_ieee_div_zero 0
		.amdhsa_exception_fp_ieee_overflow 0
		.amdhsa_exception_fp_ieee_underflow 0
		.amdhsa_exception_fp_ieee_inexact 0
		.amdhsa_exception_int_div_zero 0
	.end_amdhsa_kernel
	.section	.text._ZN7rocprim17ROCPRIM_400000_NS6detail17trampoline_kernelINS0_14default_configENS1_27scan_by_key_config_selectorIitEEZZNS1_16scan_by_key_implILNS1_25lookback_scan_determinismE0ELb1ES3_N6thrust23THRUST_200600_302600_NS6detail15normal_iteratorINS9_10device_ptrIiEEEENSB_INSC_ItEEEESG_tNS9_4plusIvEENS9_8equal_toIvEEtEE10hipError_tPvRmT2_T3_T4_T5_mT6_T7_P12ihipStream_tbENKUlT_T0_E_clISt17integral_constantIbLb1EES11_EEDaSW_SX_EUlSW_E_NS1_11comp_targetILNS1_3genE2ELNS1_11target_archE906ELNS1_3gpuE6ELNS1_3repE0EEENS1_30default_config_static_selectorELNS0_4arch9wavefront6targetE1EEEvT1_,"axG",@progbits,_ZN7rocprim17ROCPRIM_400000_NS6detail17trampoline_kernelINS0_14default_configENS1_27scan_by_key_config_selectorIitEEZZNS1_16scan_by_key_implILNS1_25lookback_scan_determinismE0ELb1ES3_N6thrust23THRUST_200600_302600_NS6detail15normal_iteratorINS9_10device_ptrIiEEEENSB_INSC_ItEEEESG_tNS9_4plusIvEENS9_8equal_toIvEEtEE10hipError_tPvRmT2_T3_T4_T5_mT6_T7_P12ihipStream_tbENKUlT_T0_E_clISt17integral_constantIbLb1EES11_EEDaSW_SX_EUlSW_E_NS1_11comp_targetILNS1_3genE2ELNS1_11target_archE906ELNS1_3gpuE6ELNS1_3repE0EEENS1_30default_config_static_selectorELNS0_4arch9wavefront6targetE1EEEvT1_,comdat
.Lfunc_end1549:
	.size	_ZN7rocprim17ROCPRIM_400000_NS6detail17trampoline_kernelINS0_14default_configENS1_27scan_by_key_config_selectorIitEEZZNS1_16scan_by_key_implILNS1_25lookback_scan_determinismE0ELb1ES3_N6thrust23THRUST_200600_302600_NS6detail15normal_iteratorINS9_10device_ptrIiEEEENSB_INSC_ItEEEESG_tNS9_4plusIvEENS9_8equal_toIvEEtEE10hipError_tPvRmT2_T3_T4_T5_mT6_T7_P12ihipStream_tbENKUlT_T0_E_clISt17integral_constantIbLb1EES11_EEDaSW_SX_EUlSW_E_NS1_11comp_targetILNS1_3genE2ELNS1_11target_archE906ELNS1_3gpuE6ELNS1_3repE0EEENS1_30default_config_static_selectorELNS0_4arch9wavefront6targetE1EEEvT1_, .Lfunc_end1549-_ZN7rocprim17ROCPRIM_400000_NS6detail17trampoline_kernelINS0_14default_configENS1_27scan_by_key_config_selectorIitEEZZNS1_16scan_by_key_implILNS1_25lookback_scan_determinismE0ELb1ES3_N6thrust23THRUST_200600_302600_NS6detail15normal_iteratorINS9_10device_ptrIiEEEENSB_INSC_ItEEEESG_tNS9_4plusIvEENS9_8equal_toIvEEtEE10hipError_tPvRmT2_T3_T4_T5_mT6_T7_P12ihipStream_tbENKUlT_T0_E_clISt17integral_constantIbLb1EES11_EEDaSW_SX_EUlSW_E_NS1_11comp_targetILNS1_3genE2ELNS1_11target_archE906ELNS1_3gpuE6ELNS1_3repE0EEENS1_30default_config_static_selectorELNS0_4arch9wavefront6targetE1EEEvT1_
                                        ; -- End function
	.section	.AMDGPU.csdata,"",@progbits
; Kernel info:
; codeLenInByte = 0
; NumSgprs: 4
; NumVgprs: 0
; NumAgprs: 0
; TotalNumVgprs: 0
; ScratchSize: 0
; MemoryBound: 0
; FloatMode: 240
; IeeeMode: 1
; LDSByteSize: 0 bytes/workgroup (compile time only)
; SGPRBlocks: 0
; VGPRBlocks: 0
; NumSGPRsForWavesPerEU: 4
; NumVGPRsForWavesPerEU: 1
; AccumOffset: 4
; Occupancy: 8
; WaveLimiterHint : 0
; COMPUTE_PGM_RSRC2:SCRATCH_EN: 0
; COMPUTE_PGM_RSRC2:USER_SGPR: 6
; COMPUTE_PGM_RSRC2:TRAP_HANDLER: 0
; COMPUTE_PGM_RSRC2:TGID_X_EN: 1
; COMPUTE_PGM_RSRC2:TGID_Y_EN: 0
; COMPUTE_PGM_RSRC2:TGID_Z_EN: 0
; COMPUTE_PGM_RSRC2:TIDIG_COMP_CNT: 0
; COMPUTE_PGM_RSRC3_GFX90A:ACCUM_OFFSET: 0
; COMPUTE_PGM_RSRC3_GFX90A:TG_SPLIT: 0
	.section	.text._ZN7rocprim17ROCPRIM_400000_NS6detail17trampoline_kernelINS0_14default_configENS1_27scan_by_key_config_selectorIitEEZZNS1_16scan_by_key_implILNS1_25lookback_scan_determinismE0ELb1ES3_N6thrust23THRUST_200600_302600_NS6detail15normal_iteratorINS9_10device_ptrIiEEEENSB_INSC_ItEEEESG_tNS9_4plusIvEENS9_8equal_toIvEEtEE10hipError_tPvRmT2_T3_T4_T5_mT6_T7_P12ihipStream_tbENKUlT_T0_E_clISt17integral_constantIbLb1EES11_EEDaSW_SX_EUlSW_E_NS1_11comp_targetILNS1_3genE10ELNS1_11target_archE1200ELNS1_3gpuE4ELNS1_3repE0EEENS1_30default_config_static_selectorELNS0_4arch9wavefront6targetE1EEEvT1_,"axG",@progbits,_ZN7rocprim17ROCPRIM_400000_NS6detail17trampoline_kernelINS0_14default_configENS1_27scan_by_key_config_selectorIitEEZZNS1_16scan_by_key_implILNS1_25lookback_scan_determinismE0ELb1ES3_N6thrust23THRUST_200600_302600_NS6detail15normal_iteratorINS9_10device_ptrIiEEEENSB_INSC_ItEEEESG_tNS9_4plusIvEENS9_8equal_toIvEEtEE10hipError_tPvRmT2_T3_T4_T5_mT6_T7_P12ihipStream_tbENKUlT_T0_E_clISt17integral_constantIbLb1EES11_EEDaSW_SX_EUlSW_E_NS1_11comp_targetILNS1_3genE10ELNS1_11target_archE1200ELNS1_3gpuE4ELNS1_3repE0EEENS1_30default_config_static_selectorELNS0_4arch9wavefront6targetE1EEEvT1_,comdat
	.protected	_ZN7rocprim17ROCPRIM_400000_NS6detail17trampoline_kernelINS0_14default_configENS1_27scan_by_key_config_selectorIitEEZZNS1_16scan_by_key_implILNS1_25lookback_scan_determinismE0ELb1ES3_N6thrust23THRUST_200600_302600_NS6detail15normal_iteratorINS9_10device_ptrIiEEEENSB_INSC_ItEEEESG_tNS9_4plusIvEENS9_8equal_toIvEEtEE10hipError_tPvRmT2_T3_T4_T5_mT6_T7_P12ihipStream_tbENKUlT_T0_E_clISt17integral_constantIbLb1EES11_EEDaSW_SX_EUlSW_E_NS1_11comp_targetILNS1_3genE10ELNS1_11target_archE1200ELNS1_3gpuE4ELNS1_3repE0EEENS1_30default_config_static_selectorELNS0_4arch9wavefront6targetE1EEEvT1_ ; -- Begin function _ZN7rocprim17ROCPRIM_400000_NS6detail17trampoline_kernelINS0_14default_configENS1_27scan_by_key_config_selectorIitEEZZNS1_16scan_by_key_implILNS1_25lookback_scan_determinismE0ELb1ES3_N6thrust23THRUST_200600_302600_NS6detail15normal_iteratorINS9_10device_ptrIiEEEENSB_INSC_ItEEEESG_tNS9_4plusIvEENS9_8equal_toIvEEtEE10hipError_tPvRmT2_T3_T4_T5_mT6_T7_P12ihipStream_tbENKUlT_T0_E_clISt17integral_constantIbLb1EES11_EEDaSW_SX_EUlSW_E_NS1_11comp_targetILNS1_3genE10ELNS1_11target_archE1200ELNS1_3gpuE4ELNS1_3repE0EEENS1_30default_config_static_selectorELNS0_4arch9wavefront6targetE1EEEvT1_
	.globl	_ZN7rocprim17ROCPRIM_400000_NS6detail17trampoline_kernelINS0_14default_configENS1_27scan_by_key_config_selectorIitEEZZNS1_16scan_by_key_implILNS1_25lookback_scan_determinismE0ELb1ES3_N6thrust23THRUST_200600_302600_NS6detail15normal_iteratorINS9_10device_ptrIiEEEENSB_INSC_ItEEEESG_tNS9_4plusIvEENS9_8equal_toIvEEtEE10hipError_tPvRmT2_T3_T4_T5_mT6_T7_P12ihipStream_tbENKUlT_T0_E_clISt17integral_constantIbLb1EES11_EEDaSW_SX_EUlSW_E_NS1_11comp_targetILNS1_3genE10ELNS1_11target_archE1200ELNS1_3gpuE4ELNS1_3repE0EEENS1_30default_config_static_selectorELNS0_4arch9wavefront6targetE1EEEvT1_
	.p2align	8
	.type	_ZN7rocprim17ROCPRIM_400000_NS6detail17trampoline_kernelINS0_14default_configENS1_27scan_by_key_config_selectorIitEEZZNS1_16scan_by_key_implILNS1_25lookback_scan_determinismE0ELb1ES3_N6thrust23THRUST_200600_302600_NS6detail15normal_iteratorINS9_10device_ptrIiEEEENSB_INSC_ItEEEESG_tNS9_4plusIvEENS9_8equal_toIvEEtEE10hipError_tPvRmT2_T3_T4_T5_mT6_T7_P12ihipStream_tbENKUlT_T0_E_clISt17integral_constantIbLb1EES11_EEDaSW_SX_EUlSW_E_NS1_11comp_targetILNS1_3genE10ELNS1_11target_archE1200ELNS1_3gpuE4ELNS1_3repE0EEENS1_30default_config_static_selectorELNS0_4arch9wavefront6targetE1EEEvT1_,@function
_ZN7rocprim17ROCPRIM_400000_NS6detail17trampoline_kernelINS0_14default_configENS1_27scan_by_key_config_selectorIitEEZZNS1_16scan_by_key_implILNS1_25lookback_scan_determinismE0ELb1ES3_N6thrust23THRUST_200600_302600_NS6detail15normal_iteratorINS9_10device_ptrIiEEEENSB_INSC_ItEEEESG_tNS9_4plusIvEENS9_8equal_toIvEEtEE10hipError_tPvRmT2_T3_T4_T5_mT6_T7_P12ihipStream_tbENKUlT_T0_E_clISt17integral_constantIbLb1EES11_EEDaSW_SX_EUlSW_E_NS1_11comp_targetILNS1_3genE10ELNS1_11target_archE1200ELNS1_3gpuE4ELNS1_3repE0EEENS1_30default_config_static_selectorELNS0_4arch9wavefront6targetE1EEEvT1_: ; @_ZN7rocprim17ROCPRIM_400000_NS6detail17trampoline_kernelINS0_14default_configENS1_27scan_by_key_config_selectorIitEEZZNS1_16scan_by_key_implILNS1_25lookback_scan_determinismE0ELb1ES3_N6thrust23THRUST_200600_302600_NS6detail15normal_iteratorINS9_10device_ptrIiEEEENSB_INSC_ItEEEESG_tNS9_4plusIvEENS9_8equal_toIvEEtEE10hipError_tPvRmT2_T3_T4_T5_mT6_T7_P12ihipStream_tbENKUlT_T0_E_clISt17integral_constantIbLb1EES11_EEDaSW_SX_EUlSW_E_NS1_11comp_targetILNS1_3genE10ELNS1_11target_archE1200ELNS1_3gpuE4ELNS1_3repE0EEENS1_30default_config_static_selectorELNS0_4arch9wavefront6targetE1EEEvT1_
; %bb.0:
	.section	.rodata,"a",@progbits
	.p2align	6, 0x0
	.amdhsa_kernel _ZN7rocprim17ROCPRIM_400000_NS6detail17trampoline_kernelINS0_14default_configENS1_27scan_by_key_config_selectorIitEEZZNS1_16scan_by_key_implILNS1_25lookback_scan_determinismE0ELb1ES3_N6thrust23THRUST_200600_302600_NS6detail15normal_iteratorINS9_10device_ptrIiEEEENSB_INSC_ItEEEESG_tNS9_4plusIvEENS9_8equal_toIvEEtEE10hipError_tPvRmT2_T3_T4_T5_mT6_T7_P12ihipStream_tbENKUlT_T0_E_clISt17integral_constantIbLb1EES11_EEDaSW_SX_EUlSW_E_NS1_11comp_targetILNS1_3genE10ELNS1_11target_archE1200ELNS1_3gpuE4ELNS1_3repE0EEENS1_30default_config_static_selectorELNS0_4arch9wavefront6targetE1EEEvT1_
		.amdhsa_group_segment_fixed_size 0
		.amdhsa_private_segment_fixed_size 0
		.amdhsa_kernarg_size 112
		.amdhsa_user_sgpr_count 6
		.amdhsa_user_sgpr_private_segment_buffer 1
		.amdhsa_user_sgpr_dispatch_ptr 0
		.amdhsa_user_sgpr_queue_ptr 0
		.amdhsa_user_sgpr_kernarg_segment_ptr 1
		.amdhsa_user_sgpr_dispatch_id 0
		.amdhsa_user_sgpr_flat_scratch_init 0
		.amdhsa_user_sgpr_kernarg_preload_length 0
		.amdhsa_user_sgpr_kernarg_preload_offset 0
		.amdhsa_user_sgpr_private_segment_size 0
		.amdhsa_uses_dynamic_stack 0
		.amdhsa_system_sgpr_private_segment_wavefront_offset 0
		.amdhsa_system_sgpr_workgroup_id_x 1
		.amdhsa_system_sgpr_workgroup_id_y 0
		.amdhsa_system_sgpr_workgroup_id_z 0
		.amdhsa_system_sgpr_workgroup_info 0
		.amdhsa_system_vgpr_workitem_id 0
		.amdhsa_next_free_vgpr 1
		.amdhsa_next_free_sgpr 0
		.amdhsa_accum_offset 4
		.amdhsa_reserve_vcc 0
		.amdhsa_reserve_flat_scratch 0
		.amdhsa_float_round_mode_32 0
		.amdhsa_float_round_mode_16_64 0
		.amdhsa_float_denorm_mode_32 3
		.amdhsa_float_denorm_mode_16_64 3
		.amdhsa_dx10_clamp 1
		.amdhsa_ieee_mode 1
		.amdhsa_fp16_overflow 0
		.amdhsa_tg_split 0
		.amdhsa_exception_fp_ieee_invalid_op 0
		.amdhsa_exception_fp_denorm_src 0
		.amdhsa_exception_fp_ieee_div_zero 0
		.amdhsa_exception_fp_ieee_overflow 0
		.amdhsa_exception_fp_ieee_underflow 0
		.amdhsa_exception_fp_ieee_inexact 0
		.amdhsa_exception_int_div_zero 0
	.end_amdhsa_kernel
	.section	.text._ZN7rocprim17ROCPRIM_400000_NS6detail17trampoline_kernelINS0_14default_configENS1_27scan_by_key_config_selectorIitEEZZNS1_16scan_by_key_implILNS1_25lookback_scan_determinismE0ELb1ES3_N6thrust23THRUST_200600_302600_NS6detail15normal_iteratorINS9_10device_ptrIiEEEENSB_INSC_ItEEEESG_tNS9_4plusIvEENS9_8equal_toIvEEtEE10hipError_tPvRmT2_T3_T4_T5_mT6_T7_P12ihipStream_tbENKUlT_T0_E_clISt17integral_constantIbLb1EES11_EEDaSW_SX_EUlSW_E_NS1_11comp_targetILNS1_3genE10ELNS1_11target_archE1200ELNS1_3gpuE4ELNS1_3repE0EEENS1_30default_config_static_selectorELNS0_4arch9wavefront6targetE1EEEvT1_,"axG",@progbits,_ZN7rocprim17ROCPRIM_400000_NS6detail17trampoline_kernelINS0_14default_configENS1_27scan_by_key_config_selectorIitEEZZNS1_16scan_by_key_implILNS1_25lookback_scan_determinismE0ELb1ES3_N6thrust23THRUST_200600_302600_NS6detail15normal_iteratorINS9_10device_ptrIiEEEENSB_INSC_ItEEEESG_tNS9_4plusIvEENS9_8equal_toIvEEtEE10hipError_tPvRmT2_T3_T4_T5_mT6_T7_P12ihipStream_tbENKUlT_T0_E_clISt17integral_constantIbLb1EES11_EEDaSW_SX_EUlSW_E_NS1_11comp_targetILNS1_3genE10ELNS1_11target_archE1200ELNS1_3gpuE4ELNS1_3repE0EEENS1_30default_config_static_selectorELNS0_4arch9wavefront6targetE1EEEvT1_,comdat
.Lfunc_end1550:
	.size	_ZN7rocprim17ROCPRIM_400000_NS6detail17trampoline_kernelINS0_14default_configENS1_27scan_by_key_config_selectorIitEEZZNS1_16scan_by_key_implILNS1_25lookback_scan_determinismE0ELb1ES3_N6thrust23THRUST_200600_302600_NS6detail15normal_iteratorINS9_10device_ptrIiEEEENSB_INSC_ItEEEESG_tNS9_4plusIvEENS9_8equal_toIvEEtEE10hipError_tPvRmT2_T3_T4_T5_mT6_T7_P12ihipStream_tbENKUlT_T0_E_clISt17integral_constantIbLb1EES11_EEDaSW_SX_EUlSW_E_NS1_11comp_targetILNS1_3genE10ELNS1_11target_archE1200ELNS1_3gpuE4ELNS1_3repE0EEENS1_30default_config_static_selectorELNS0_4arch9wavefront6targetE1EEEvT1_, .Lfunc_end1550-_ZN7rocprim17ROCPRIM_400000_NS6detail17trampoline_kernelINS0_14default_configENS1_27scan_by_key_config_selectorIitEEZZNS1_16scan_by_key_implILNS1_25lookback_scan_determinismE0ELb1ES3_N6thrust23THRUST_200600_302600_NS6detail15normal_iteratorINS9_10device_ptrIiEEEENSB_INSC_ItEEEESG_tNS9_4plusIvEENS9_8equal_toIvEEtEE10hipError_tPvRmT2_T3_T4_T5_mT6_T7_P12ihipStream_tbENKUlT_T0_E_clISt17integral_constantIbLb1EES11_EEDaSW_SX_EUlSW_E_NS1_11comp_targetILNS1_3genE10ELNS1_11target_archE1200ELNS1_3gpuE4ELNS1_3repE0EEENS1_30default_config_static_selectorELNS0_4arch9wavefront6targetE1EEEvT1_
                                        ; -- End function
	.section	.AMDGPU.csdata,"",@progbits
; Kernel info:
; codeLenInByte = 0
; NumSgprs: 4
; NumVgprs: 0
; NumAgprs: 0
; TotalNumVgprs: 0
; ScratchSize: 0
; MemoryBound: 0
; FloatMode: 240
; IeeeMode: 1
; LDSByteSize: 0 bytes/workgroup (compile time only)
; SGPRBlocks: 0
; VGPRBlocks: 0
; NumSGPRsForWavesPerEU: 4
; NumVGPRsForWavesPerEU: 1
; AccumOffset: 4
; Occupancy: 8
; WaveLimiterHint : 0
; COMPUTE_PGM_RSRC2:SCRATCH_EN: 0
; COMPUTE_PGM_RSRC2:USER_SGPR: 6
; COMPUTE_PGM_RSRC2:TRAP_HANDLER: 0
; COMPUTE_PGM_RSRC2:TGID_X_EN: 1
; COMPUTE_PGM_RSRC2:TGID_Y_EN: 0
; COMPUTE_PGM_RSRC2:TGID_Z_EN: 0
; COMPUTE_PGM_RSRC2:TIDIG_COMP_CNT: 0
; COMPUTE_PGM_RSRC3_GFX90A:ACCUM_OFFSET: 0
; COMPUTE_PGM_RSRC3_GFX90A:TG_SPLIT: 0
	.section	.text._ZN7rocprim17ROCPRIM_400000_NS6detail17trampoline_kernelINS0_14default_configENS1_27scan_by_key_config_selectorIitEEZZNS1_16scan_by_key_implILNS1_25lookback_scan_determinismE0ELb1ES3_N6thrust23THRUST_200600_302600_NS6detail15normal_iteratorINS9_10device_ptrIiEEEENSB_INSC_ItEEEESG_tNS9_4plusIvEENS9_8equal_toIvEEtEE10hipError_tPvRmT2_T3_T4_T5_mT6_T7_P12ihipStream_tbENKUlT_T0_E_clISt17integral_constantIbLb1EES11_EEDaSW_SX_EUlSW_E_NS1_11comp_targetILNS1_3genE9ELNS1_11target_archE1100ELNS1_3gpuE3ELNS1_3repE0EEENS1_30default_config_static_selectorELNS0_4arch9wavefront6targetE1EEEvT1_,"axG",@progbits,_ZN7rocprim17ROCPRIM_400000_NS6detail17trampoline_kernelINS0_14default_configENS1_27scan_by_key_config_selectorIitEEZZNS1_16scan_by_key_implILNS1_25lookback_scan_determinismE0ELb1ES3_N6thrust23THRUST_200600_302600_NS6detail15normal_iteratorINS9_10device_ptrIiEEEENSB_INSC_ItEEEESG_tNS9_4plusIvEENS9_8equal_toIvEEtEE10hipError_tPvRmT2_T3_T4_T5_mT6_T7_P12ihipStream_tbENKUlT_T0_E_clISt17integral_constantIbLb1EES11_EEDaSW_SX_EUlSW_E_NS1_11comp_targetILNS1_3genE9ELNS1_11target_archE1100ELNS1_3gpuE3ELNS1_3repE0EEENS1_30default_config_static_selectorELNS0_4arch9wavefront6targetE1EEEvT1_,comdat
	.protected	_ZN7rocprim17ROCPRIM_400000_NS6detail17trampoline_kernelINS0_14default_configENS1_27scan_by_key_config_selectorIitEEZZNS1_16scan_by_key_implILNS1_25lookback_scan_determinismE0ELb1ES3_N6thrust23THRUST_200600_302600_NS6detail15normal_iteratorINS9_10device_ptrIiEEEENSB_INSC_ItEEEESG_tNS9_4plusIvEENS9_8equal_toIvEEtEE10hipError_tPvRmT2_T3_T4_T5_mT6_T7_P12ihipStream_tbENKUlT_T0_E_clISt17integral_constantIbLb1EES11_EEDaSW_SX_EUlSW_E_NS1_11comp_targetILNS1_3genE9ELNS1_11target_archE1100ELNS1_3gpuE3ELNS1_3repE0EEENS1_30default_config_static_selectorELNS0_4arch9wavefront6targetE1EEEvT1_ ; -- Begin function _ZN7rocprim17ROCPRIM_400000_NS6detail17trampoline_kernelINS0_14default_configENS1_27scan_by_key_config_selectorIitEEZZNS1_16scan_by_key_implILNS1_25lookback_scan_determinismE0ELb1ES3_N6thrust23THRUST_200600_302600_NS6detail15normal_iteratorINS9_10device_ptrIiEEEENSB_INSC_ItEEEESG_tNS9_4plusIvEENS9_8equal_toIvEEtEE10hipError_tPvRmT2_T3_T4_T5_mT6_T7_P12ihipStream_tbENKUlT_T0_E_clISt17integral_constantIbLb1EES11_EEDaSW_SX_EUlSW_E_NS1_11comp_targetILNS1_3genE9ELNS1_11target_archE1100ELNS1_3gpuE3ELNS1_3repE0EEENS1_30default_config_static_selectorELNS0_4arch9wavefront6targetE1EEEvT1_
	.globl	_ZN7rocprim17ROCPRIM_400000_NS6detail17trampoline_kernelINS0_14default_configENS1_27scan_by_key_config_selectorIitEEZZNS1_16scan_by_key_implILNS1_25lookback_scan_determinismE0ELb1ES3_N6thrust23THRUST_200600_302600_NS6detail15normal_iteratorINS9_10device_ptrIiEEEENSB_INSC_ItEEEESG_tNS9_4plusIvEENS9_8equal_toIvEEtEE10hipError_tPvRmT2_T3_T4_T5_mT6_T7_P12ihipStream_tbENKUlT_T0_E_clISt17integral_constantIbLb1EES11_EEDaSW_SX_EUlSW_E_NS1_11comp_targetILNS1_3genE9ELNS1_11target_archE1100ELNS1_3gpuE3ELNS1_3repE0EEENS1_30default_config_static_selectorELNS0_4arch9wavefront6targetE1EEEvT1_
	.p2align	8
	.type	_ZN7rocprim17ROCPRIM_400000_NS6detail17trampoline_kernelINS0_14default_configENS1_27scan_by_key_config_selectorIitEEZZNS1_16scan_by_key_implILNS1_25lookback_scan_determinismE0ELb1ES3_N6thrust23THRUST_200600_302600_NS6detail15normal_iteratorINS9_10device_ptrIiEEEENSB_INSC_ItEEEESG_tNS9_4plusIvEENS9_8equal_toIvEEtEE10hipError_tPvRmT2_T3_T4_T5_mT6_T7_P12ihipStream_tbENKUlT_T0_E_clISt17integral_constantIbLb1EES11_EEDaSW_SX_EUlSW_E_NS1_11comp_targetILNS1_3genE9ELNS1_11target_archE1100ELNS1_3gpuE3ELNS1_3repE0EEENS1_30default_config_static_selectorELNS0_4arch9wavefront6targetE1EEEvT1_,@function
_ZN7rocprim17ROCPRIM_400000_NS6detail17trampoline_kernelINS0_14default_configENS1_27scan_by_key_config_selectorIitEEZZNS1_16scan_by_key_implILNS1_25lookback_scan_determinismE0ELb1ES3_N6thrust23THRUST_200600_302600_NS6detail15normal_iteratorINS9_10device_ptrIiEEEENSB_INSC_ItEEEESG_tNS9_4plusIvEENS9_8equal_toIvEEtEE10hipError_tPvRmT2_T3_T4_T5_mT6_T7_P12ihipStream_tbENKUlT_T0_E_clISt17integral_constantIbLb1EES11_EEDaSW_SX_EUlSW_E_NS1_11comp_targetILNS1_3genE9ELNS1_11target_archE1100ELNS1_3gpuE3ELNS1_3repE0EEENS1_30default_config_static_selectorELNS0_4arch9wavefront6targetE1EEEvT1_: ; @_ZN7rocprim17ROCPRIM_400000_NS6detail17trampoline_kernelINS0_14default_configENS1_27scan_by_key_config_selectorIitEEZZNS1_16scan_by_key_implILNS1_25lookback_scan_determinismE0ELb1ES3_N6thrust23THRUST_200600_302600_NS6detail15normal_iteratorINS9_10device_ptrIiEEEENSB_INSC_ItEEEESG_tNS9_4plusIvEENS9_8equal_toIvEEtEE10hipError_tPvRmT2_T3_T4_T5_mT6_T7_P12ihipStream_tbENKUlT_T0_E_clISt17integral_constantIbLb1EES11_EEDaSW_SX_EUlSW_E_NS1_11comp_targetILNS1_3genE9ELNS1_11target_archE1100ELNS1_3gpuE3ELNS1_3repE0EEENS1_30default_config_static_selectorELNS0_4arch9wavefront6targetE1EEEvT1_
; %bb.0:
	.section	.rodata,"a",@progbits
	.p2align	6, 0x0
	.amdhsa_kernel _ZN7rocprim17ROCPRIM_400000_NS6detail17trampoline_kernelINS0_14default_configENS1_27scan_by_key_config_selectorIitEEZZNS1_16scan_by_key_implILNS1_25lookback_scan_determinismE0ELb1ES3_N6thrust23THRUST_200600_302600_NS6detail15normal_iteratorINS9_10device_ptrIiEEEENSB_INSC_ItEEEESG_tNS9_4plusIvEENS9_8equal_toIvEEtEE10hipError_tPvRmT2_T3_T4_T5_mT6_T7_P12ihipStream_tbENKUlT_T0_E_clISt17integral_constantIbLb1EES11_EEDaSW_SX_EUlSW_E_NS1_11comp_targetILNS1_3genE9ELNS1_11target_archE1100ELNS1_3gpuE3ELNS1_3repE0EEENS1_30default_config_static_selectorELNS0_4arch9wavefront6targetE1EEEvT1_
		.amdhsa_group_segment_fixed_size 0
		.amdhsa_private_segment_fixed_size 0
		.amdhsa_kernarg_size 112
		.amdhsa_user_sgpr_count 6
		.amdhsa_user_sgpr_private_segment_buffer 1
		.amdhsa_user_sgpr_dispatch_ptr 0
		.amdhsa_user_sgpr_queue_ptr 0
		.amdhsa_user_sgpr_kernarg_segment_ptr 1
		.amdhsa_user_sgpr_dispatch_id 0
		.amdhsa_user_sgpr_flat_scratch_init 0
		.amdhsa_user_sgpr_kernarg_preload_length 0
		.amdhsa_user_sgpr_kernarg_preload_offset 0
		.amdhsa_user_sgpr_private_segment_size 0
		.amdhsa_uses_dynamic_stack 0
		.amdhsa_system_sgpr_private_segment_wavefront_offset 0
		.amdhsa_system_sgpr_workgroup_id_x 1
		.amdhsa_system_sgpr_workgroup_id_y 0
		.amdhsa_system_sgpr_workgroup_id_z 0
		.amdhsa_system_sgpr_workgroup_info 0
		.amdhsa_system_vgpr_workitem_id 0
		.amdhsa_next_free_vgpr 1
		.amdhsa_next_free_sgpr 0
		.amdhsa_accum_offset 4
		.amdhsa_reserve_vcc 0
		.amdhsa_reserve_flat_scratch 0
		.amdhsa_float_round_mode_32 0
		.amdhsa_float_round_mode_16_64 0
		.amdhsa_float_denorm_mode_32 3
		.amdhsa_float_denorm_mode_16_64 3
		.amdhsa_dx10_clamp 1
		.amdhsa_ieee_mode 1
		.amdhsa_fp16_overflow 0
		.amdhsa_tg_split 0
		.amdhsa_exception_fp_ieee_invalid_op 0
		.amdhsa_exception_fp_denorm_src 0
		.amdhsa_exception_fp_ieee_div_zero 0
		.amdhsa_exception_fp_ieee_overflow 0
		.amdhsa_exception_fp_ieee_underflow 0
		.amdhsa_exception_fp_ieee_inexact 0
		.amdhsa_exception_int_div_zero 0
	.end_amdhsa_kernel
	.section	.text._ZN7rocprim17ROCPRIM_400000_NS6detail17trampoline_kernelINS0_14default_configENS1_27scan_by_key_config_selectorIitEEZZNS1_16scan_by_key_implILNS1_25lookback_scan_determinismE0ELb1ES3_N6thrust23THRUST_200600_302600_NS6detail15normal_iteratorINS9_10device_ptrIiEEEENSB_INSC_ItEEEESG_tNS9_4plusIvEENS9_8equal_toIvEEtEE10hipError_tPvRmT2_T3_T4_T5_mT6_T7_P12ihipStream_tbENKUlT_T0_E_clISt17integral_constantIbLb1EES11_EEDaSW_SX_EUlSW_E_NS1_11comp_targetILNS1_3genE9ELNS1_11target_archE1100ELNS1_3gpuE3ELNS1_3repE0EEENS1_30default_config_static_selectorELNS0_4arch9wavefront6targetE1EEEvT1_,"axG",@progbits,_ZN7rocprim17ROCPRIM_400000_NS6detail17trampoline_kernelINS0_14default_configENS1_27scan_by_key_config_selectorIitEEZZNS1_16scan_by_key_implILNS1_25lookback_scan_determinismE0ELb1ES3_N6thrust23THRUST_200600_302600_NS6detail15normal_iteratorINS9_10device_ptrIiEEEENSB_INSC_ItEEEESG_tNS9_4plusIvEENS9_8equal_toIvEEtEE10hipError_tPvRmT2_T3_T4_T5_mT6_T7_P12ihipStream_tbENKUlT_T0_E_clISt17integral_constantIbLb1EES11_EEDaSW_SX_EUlSW_E_NS1_11comp_targetILNS1_3genE9ELNS1_11target_archE1100ELNS1_3gpuE3ELNS1_3repE0EEENS1_30default_config_static_selectorELNS0_4arch9wavefront6targetE1EEEvT1_,comdat
.Lfunc_end1551:
	.size	_ZN7rocprim17ROCPRIM_400000_NS6detail17trampoline_kernelINS0_14default_configENS1_27scan_by_key_config_selectorIitEEZZNS1_16scan_by_key_implILNS1_25lookback_scan_determinismE0ELb1ES3_N6thrust23THRUST_200600_302600_NS6detail15normal_iteratorINS9_10device_ptrIiEEEENSB_INSC_ItEEEESG_tNS9_4plusIvEENS9_8equal_toIvEEtEE10hipError_tPvRmT2_T3_T4_T5_mT6_T7_P12ihipStream_tbENKUlT_T0_E_clISt17integral_constantIbLb1EES11_EEDaSW_SX_EUlSW_E_NS1_11comp_targetILNS1_3genE9ELNS1_11target_archE1100ELNS1_3gpuE3ELNS1_3repE0EEENS1_30default_config_static_selectorELNS0_4arch9wavefront6targetE1EEEvT1_, .Lfunc_end1551-_ZN7rocprim17ROCPRIM_400000_NS6detail17trampoline_kernelINS0_14default_configENS1_27scan_by_key_config_selectorIitEEZZNS1_16scan_by_key_implILNS1_25lookback_scan_determinismE0ELb1ES3_N6thrust23THRUST_200600_302600_NS6detail15normal_iteratorINS9_10device_ptrIiEEEENSB_INSC_ItEEEESG_tNS9_4plusIvEENS9_8equal_toIvEEtEE10hipError_tPvRmT2_T3_T4_T5_mT6_T7_P12ihipStream_tbENKUlT_T0_E_clISt17integral_constantIbLb1EES11_EEDaSW_SX_EUlSW_E_NS1_11comp_targetILNS1_3genE9ELNS1_11target_archE1100ELNS1_3gpuE3ELNS1_3repE0EEENS1_30default_config_static_selectorELNS0_4arch9wavefront6targetE1EEEvT1_
                                        ; -- End function
	.section	.AMDGPU.csdata,"",@progbits
; Kernel info:
; codeLenInByte = 0
; NumSgprs: 4
; NumVgprs: 0
; NumAgprs: 0
; TotalNumVgprs: 0
; ScratchSize: 0
; MemoryBound: 0
; FloatMode: 240
; IeeeMode: 1
; LDSByteSize: 0 bytes/workgroup (compile time only)
; SGPRBlocks: 0
; VGPRBlocks: 0
; NumSGPRsForWavesPerEU: 4
; NumVGPRsForWavesPerEU: 1
; AccumOffset: 4
; Occupancy: 8
; WaveLimiterHint : 0
; COMPUTE_PGM_RSRC2:SCRATCH_EN: 0
; COMPUTE_PGM_RSRC2:USER_SGPR: 6
; COMPUTE_PGM_RSRC2:TRAP_HANDLER: 0
; COMPUTE_PGM_RSRC2:TGID_X_EN: 1
; COMPUTE_PGM_RSRC2:TGID_Y_EN: 0
; COMPUTE_PGM_RSRC2:TGID_Z_EN: 0
; COMPUTE_PGM_RSRC2:TIDIG_COMP_CNT: 0
; COMPUTE_PGM_RSRC3_GFX90A:ACCUM_OFFSET: 0
; COMPUTE_PGM_RSRC3_GFX90A:TG_SPLIT: 0
	.section	.text._ZN7rocprim17ROCPRIM_400000_NS6detail17trampoline_kernelINS0_14default_configENS1_27scan_by_key_config_selectorIitEEZZNS1_16scan_by_key_implILNS1_25lookback_scan_determinismE0ELb1ES3_N6thrust23THRUST_200600_302600_NS6detail15normal_iteratorINS9_10device_ptrIiEEEENSB_INSC_ItEEEESG_tNS9_4plusIvEENS9_8equal_toIvEEtEE10hipError_tPvRmT2_T3_T4_T5_mT6_T7_P12ihipStream_tbENKUlT_T0_E_clISt17integral_constantIbLb1EES11_EEDaSW_SX_EUlSW_E_NS1_11comp_targetILNS1_3genE8ELNS1_11target_archE1030ELNS1_3gpuE2ELNS1_3repE0EEENS1_30default_config_static_selectorELNS0_4arch9wavefront6targetE1EEEvT1_,"axG",@progbits,_ZN7rocprim17ROCPRIM_400000_NS6detail17trampoline_kernelINS0_14default_configENS1_27scan_by_key_config_selectorIitEEZZNS1_16scan_by_key_implILNS1_25lookback_scan_determinismE0ELb1ES3_N6thrust23THRUST_200600_302600_NS6detail15normal_iteratorINS9_10device_ptrIiEEEENSB_INSC_ItEEEESG_tNS9_4plusIvEENS9_8equal_toIvEEtEE10hipError_tPvRmT2_T3_T4_T5_mT6_T7_P12ihipStream_tbENKUlT_T0_E_clISt17integral_constantIbLb1EES11_EEDaSW_SX_EUlSW_E_NS1_11comp_targetILNS1_3genE8ELNS1_11target_archE1030ELNS1_3gpuE2ELNS1_3repE0EEENS1_30default_config_static_selectorELNS0_4arch9wavefront6targetE1EEEvT1_,comdat
	.protected	_ZN7rocprim17ROCPRIM_400000_NS6detail17trampoline_kernelINS0_14default_configENS1_27scan_by_key_config_selectorIitEEZZNS1_16scan_by_key_implILNS1_25lookback_scan_determinismE0ELb1ES3_N6thrust23THRUST_200600_302600_NS6detail15normal_iteratorINS9_10device_ptrIiEEEENSB_INSC_ItEEEESG_tNS9_4plusIvEENS9_8equal_toIvEEtEE10hipError_tPvRmT2_T3_T4_T5_mT6_T7_P12ihipStream_tbENKUlT_T0_E_clISt17integral_constantIbLb1EES11_EEDaSW_SX_EUlSW_E_NS1_11comp_targetILNS1_3genE8ELNS1_11target_archE1030ELNS1_3gpuE2ELNS1_3repE0EEENS1_30default_config_static_selectorELNS0_4arch9wavefront6targetE1EEEvT1_ ; -- Begin function _ZN7rocprim17ROCPRIM_400000_NS6detail17trampoline_kernelINS0_14default_configENS1_27scan_by_key_config_selectorIitEEZZNS1_16scan_by_key_implILNS1_25lookback_scan_determinismE0ELb1ES3_N6thrust23THRUST_200600_302600_NS6detail15normal_iteratorINS9_10device_ptrIiEEEENSB_INSC_ItEEEESG_tNS9_4plusIvEENS9_8equal_toIvEEtEE10hipError_tPvRmT2_T3_T4_T5_mT6_T7_P12ihipStream_tbENKUlT_T0_E_clISt17integral_constantIbLb1EES11_EEDaSW_SX_EUlSW_E_NS1_11comp_targetILNS1_3genE8ELNS1_11target_archE1030ELNS1_3gpuE2ELNS1_3repE0EEENS1_30default_config_static_selectorELNS0_4arch9wavefront6targetE1EEEvT1_
	.globl	_ZN7rocprim17ROCPRIM_400000_NS6detail17trampoline_kernelINS0_14default_configENS1_27scan_by_key_config_selectorIitEEZZNS1_16scan_by_key_implILNS1_25lookback_scan_determinismE0ELb1ES3_N6thrust23THRUST_200600_302600_NS6detail15normal_iteratorINS9_10device_ptrIiEEEENSB_INSC_ItEEEESG_tNS9_4plusIvEENS9_8equal_toIvEEtEE10hipError_tPvRmT2_T3_T4_T5_mT6_T7_P12ihipStream_tbENKUlT_T0_E_clISt17integral_constantIbLb1EES11_EEDaSW_SX_EUlSW_E_NS1_11comp_targetILNS1_3genE8ELNS1_11target_archE1030ELNS1_3gpuE2ELNS1_3repE0EEENS1_30default_config_static_selectorELNS0_4arch9wavefront6targetE1EEEvT1_
	.p2align	8
	.type	_ZN7rocprim17ROCPRIM_400000_NS6detail17trampoline_kernelINS0_14default_configENS1_27scan_by_key_config_selectorIitEEZZNS1_16scan_by_key_implILNS1_25lookback_scan_determinismE0ELb1ES3_N6thrust23THRUST_200600_302600_NS6detail15normal_iteratorINS9_10device_ptrIiEEEENSB_INSC_ItEEEESG_tNS9_4plusIvEENS9_8equal_toIvEEtEE10hipError_tPvRmT2_T3_T4_T5_mT6_T7_P12ihipStream_tbENKUlT_T0_E_clISt17integral_constantIbLb1EES11_EEDaSW_SX_EUlSW_E_NS1_11comp_targetILNS1_3genE8ELNS1_11target_archE1030ELNS1_3gpuE2ELNS1_3repE0EEENS1_30default_config_static_selectorELNS0_4arch9wavefront6targetE1EEEvT1_,@function
_ZN7rocprim17ROCPRIM_400000_NS6detail17trampoline_kernelINS0_14default_configENS1_27scan_by_key_config_selectorIitEEZZNS1_16scan_by_key_implILNS1_25lookback_scan_determinismE0ELb1ES3_N6thrust23THRUST_200600_302600_NS6detail15normal_iteratorINS9_10device_ptrIiEEEENSB_INSC_ItEEEESG_tNS9_4plusIvEENS9_8equal_toIvEEtEE10hipError_tPvRmT2_T3_T4_T5_mT6_T7_P12ihipStream_tbENKUlT_T0_E_clISt17integral_constantIbLb1EES11_EEDaSW_SX_EUlSW_E_NS1_11comp_targetILNS1_3genE8ELNS1_11target_archE1030ELNS1_3gpuE2ELNS1_3repE0EEENS1_30default_config_static_selectorELNS0_4arch9wavefront6targetE1EEEvT1_: ; @_ZN7rocprim17ROCPRIM_400000_NS6detail17trampoline_kernelINS0_14default_configENS1_27scan_by_key_config_selectorIitEEZZNS1_16scan_by_key_implILNS1_25lookback_scan_determinismE0ELb1ES3_N6thrust23THRUST_200600_302600_NS6detail15normal_iteratorINS9_10device_ptrIiEEEENSB_INSC_ItEEEESG_tNS9_4plusIvEENS9_8equal_toIvEEtEE10hipError_tPvRmT2_T3_T4_T5_mT6_T7_P12ihipStream_tbENKUlT_T0_E_clISt17integral_constantIbLb1EES11_EEDaSW_SX_EUlSW_E_NS1_11comp_targetILNS1_3genE8ELNS1_11target_archE1030ELNS1_3gpuE2ELNS1_3repE0EEENS1_30default_config_static_selectorELNS0_4arch9wavefront6targetE1EEEvT1_
; %bb.0:
	.section	.rodata,"a",@progbits
	.p2align	6, 0x0
	.amdhsa_kernel _ZN7rocprim17ROCPRIM_400000_NS6detail17trampoline_kernelINS0_14default_configENS1_27scan_by_key_config_selectorIitEEZZNS1_16scan_by_key_implILNS1_25lookback_scan_determinismE0ELb1ES3_N6thrust23THRUST_200600_302600_NS6detail15normal_iteratorINS9_10device_ptrIiEEEENSB_INSC_ItEEEESG_tNS9_4plusIvEENS9_8equal_toIvEEtEE10hipError_tPvRmT2_T3_T4_T5_mT6_T7_P12ihipStream_tbENKUlT_T0_E_clISt17integral_constantIbLb1EES11_EEDaSW_SX_EUlSW_E_NS1_11comp_targetILNS1_3genE8ELNS1_11target_archE1030ELNS1_3gpuE2ELNS1_3repE0EEENS1_30default_config_static_selectorELNS0_4arch9wavefront6targetE1EEEvT1_
		.amdhsa_group_segment_fixed_size 0
		.amdhsa_private_segment_fixed_size 0
		.amdhsa_kernarg_size 112
		.amdhsa_user_sgpr_count 6
		.amdhsa_user_sgpr_private_segment_buffer 1
		.amdhsa_user_sgpr_dispatch_ptr 0
		.amdhsa_user_sgpr_queue_ptr 0
		.amdhsa_user_sgpr_kernarg_segment_ptr 1
		.amdhsa_user_sgpr_dispatch_id 0
		.amdhsa_user_sgpr_flat_scratch_init 0
		.amdhsa_user_sgpr_kernarg_preload_length 0
		.amdhsa_user_sgpr_kernarg_preload_offset 0
		.amdhsa_user_sgpr_private_segment_size 0
		.amdhsa_uses_dynamic_stack 0
		.amdhsa_system_sgpr_private_segment_wavefront_offset 0
		.amdhsa_system_sgpr_workgroup_id_x 1
		.amdhsa_system_sgpr_workgroup_id_y 0
		.amdhsa_system_sgpr_workgroup_id_z 0
		.amdhsa_system_sgpr_workgroup_info 0
		.amdhsa_system_vgpr_workitem_id 0
		.amdhsa_next_free_vgpr 1
		.amdhsa_next_free_sgpr 0
		.amdhsa_accum_offset 4
		.amdhsa_reserve_vcc 0
		.amdhsa_reserve_flat_scratch 0
		.amdhsa_float_round_mode_32 0
		.amdhsa_float_round_mode_16_64 0
		.amdhsa_float_denorm_mode_32 3
		.amdhsa_float_denorm_mode_16_64 3
		.amdhsa_dx10_clamp 1
		.amdhsa_ieee_mode 1
		.amdhsa_fp16_overflow 0
		.amdhsa_tg_split 0
		.amdhsa_exception_fp_ieee_invalid_op 0
		.amdhsa_exception_fp_denorm_src 0
		.amdhsa_exception_fp_ieee_div_zero 0
		.amdhsa_exception_fp_ieee_overflow 0
		.amdhsa_exception_fp_ieee_underflow 0
		.amdhsa_exception_fp_ieee_inexact 0
		.amdhsa_exception_int_div_zero 0
	.end_amdhsa_kernel
	.section	.text._ZN7rocprim17ROCPRIM_400000_NS6detail17trampoline_kernelINS0_14default_configENS1_27scan_by_key_config_selectorIitEEZZNS1_16scan_by_key_implILNS1_25lookback_scan_determinismE0ELb1ES3_N6thrust23THRUST_200600_302600_NS6detail15normal_iteratorINS9_10device_ptrIiEEEENSB_INSC_ItEEEESG_tNS9_4plusIvEENS9_8equal_toIvEEtEE10hipError_tPvRmT2_T3_T4_T5_mT6_T7_P12ihipStream_tbENKUlT_T0_E_clISt17integral_constantIbLb1EES11_EEDaSW_SX_EUlSW_E_NS1_11comp_targetILNS1_3genE8ELNS1_11target_archE1030ELNS1_3gpuE2ELNS1_3repE0EEENS1_30default_config_static_selectorELNS0_4arch9wavefront6targetE1EEEvT1_,"axG",@progbits,_ZN7rocprim17ROCPRIM_400000_NS6detail17trampoline_kernelINS0_14default_configENS1_27scan_by_key_config_selectorIitEEZZNS1_16scan_by_key_implILNS1_25lookback_scan_determinismE0ELb1ES3_N6thrust23THRUST_200600_302600_NS6detail15normal_iteratorINS9_10device_ptrIiEEEENSB_INSC_ItEEEESG_tNS9_4plusIvEENS9_8equal_toIvEEtEE10hipError_tPvRmT2_T3_T4_T5_mT6_T7_P12ihipStream_tbENKUlT_T0_E_clISt17integral_constantIbLb1EES11_EEDaSW_SX_EUlSW_E_NS1_11comp_targetILNS1_3genE8ELNS1_11target_archE1030ELNS1_3gpuE2ELNS1_3repE0EEENS1_30default_config_static_selectorELNS0_4arch9wavefront6targetE1EEEvT1_,comdat
.Lfunc_end1552:
	.size	_ZN7rocprim17ROCPRIM_400000_NS6detail17trampoline_kernelINS0_14default_configENS1_27scan_by_key_config_selectorIitEEZZNS1_16scan_by_key_implILNS1_25lookback_scan_determinismE0ELb1ES3_N6thrust23THRUST_200600_302600_NS6detail15normal_iteratorINS9_10device_ptrIiEEEENSB_INSC_ItEEEESG_tNS9_4plusIvEENS9_8equal_toIvEEtEE10hipError_tPvRmT2_T3_T4_T5_mT6_T7_P12ihipStream_tbENKUlT_T0_E_clISt17integral_constantIbLb1EES11_EEDaSW_SX_EUlSW_E_NS1_11comp_targetILNS1_3genE8ELNS1_11target_archE1030ELNS1_3gpuE2ELNS1_3repE0EEENS1_30default_config_static_selectorELNS0_4arch9wavefront6targetE1EEEvT1_, .Lfunc_end1552-_ZN7rocprim17ROCPRIM_400000_NS6detail17trampoline_kernelINS0_14default_configENS1_27scan_by_key_config_selectorIitEEZZNS1_16scan_by_key_implILNS1_25lookback_scan_determinismE0ELb1ES3_N6thrust23THRUST_200600_302600_NS6detail15normal_iteratorINS9_10device_ptrIiEEEENSB_INSC_ItEEEESG_tNS9_4plusIvEENS9_8equal_toIvEEtEE10hipError_tPvRmT2_T3_T4_T5_mT6_T7_P12ihipStream_tbENKUlT_T0_E_clISt17integral_constantIbLb1EES11_EEDaSW_SX_EUlSW_E_NS1_11comp_targetILNS1_3genE8ELNS1_11target_archE1030ELNS1_3gpuE2ELNS1_3repE0EEENS1_30default_config_static_selectorELNS0_4arch9wavefront6targetE1EEEvT1_
                                        ; -- End function
	.section	.AMDGPU.csdata,"",@progbits
; Kernel info:
; codeLenInByte = 0
; NumSgprs: 4
; NumVgprs: 0
; NumAgprs: 0
; TotalNumVgprs: 0
; ScratchSize: 0
; MemoryBound: 0
; FloatMode: 240
; IeeeMode: 1
; LDSByteSize: 0 bytes/workgroup (compile time only)
; SGPRBlocks: 0
; VGPRBlocks: 0
; NumSGPRsForWavesPerEU: 4
; NumVGPRsForWavesPerEU: 1
; AccumOffset: 4
; Occupancy: 8
; WaveLimiterHint : 0
; COMPUTE_PGM_RSRC2:SCRATCH_EN: 0
; COMPUTE_PGM_RSRC2:USER_SGPR: 6
; COMPUTE_PGM_RSRC2:TRAP_HANDLER: 0
; COMPUTE_PGM_RSRC2:TGID_X_EN: 1
; COMPUTE_PGM_RSRC2:TGID_Y_EN: 0
; COMPUTE_PGM_RSRC2:TGID_Z_EN: 0
; COMPUTE_PGM_RSRC2:TIDIG_COMP_CNT: 0
; COMPUTE_PGM_RSRC3_GFX90A:ACCUM_OFFSET: 0
; COMPUTE_PGM_RSRC3_GFX90A:TG_SPLIT: 0
	.section	.text._ZN7rocprim17ROCPRIM_400000_NS6detail17trampoline_kernelINS0_14default_configENS1_27scan_by_key_config_selectorIitEEZZNS1_16scan_by_key_implILNS1_25lookback_scan_determinismE0ELb1ES3_N6thrust23THRUST_200600_302600_NS6detail15normal_iteratorINS9_10device_ptrIiEEEENSB_INSC_ItEEEESG_tNS9_4plusIvEENS9_8equal_toIvEEtEE10hipError_tPvRmT2_T3_T4_T5_mT6_T7_P12ihipStream_tbENKUlT_T0_E_clISt17integral_constantIbLb1EES10_IbLb0EEEEDaSW_SX_EUlSW_E_NS1_11comp_targetILNS1_3genE0ELNS1_11target_archE4294967295ELNS1_3gpuE0ELNS1_3repE0EEENS1_30default_config_static_selectorELNS0_4arch9wavefront6targetE1EEEvT1_,"axG",@progbits,_ZN7rocprim17ROCPRIM_400000_NS6detail17trampoline_kernelINS0_14default_configENS1_27scan_by_key_config_selectorIitEEZZNS1_16scan_by_key_implILNS1_25lookback_scan_determinismE0ELb1ES3_N6thrust23THRUST_200600_302600_NS6detail15normal_iteratorINS9_10device_ptrIiEEEENSB_INSC_ItEEEESG_tNS9_4plusIvEENS9_8equal_toIvEEtEE10hipError_tPvRmT2_T3_T4_T5_mT6_T7_P12ihipStream_tbENKUlT_T0_E_clISt17integral_constantIbLb1EES10_IbLb0EEEEDaSW_SX_EUlSW_E_NS1_11comp_targetILNS1_3genE0ELNS1_11target_archE4294967295ELNS1_3gpuE0ELNS1_3repE0EEENS1_30default_config_static_selectorELNS0_4arch9wavefront6targetE1EEEvT1_,comdat
	.protected	_ZN7rocprim17ROCPRIM_400000_NS6detail17trampoline_kernelINS0_14default_configENS1_27scan_by_key_config_selectorIitEEZZNS1_16scan_by_key_implILNS1_25lookback_scan_determinismE0ELb1ES3_N6thrust23THRUST_200600_302600_NS6detail15normal_iteratorINS9_10device_ptrIiEEEENSB_INSC_ItEEEESG_tNS9_4plusIvEENS9_8equal_toIvEEtEE10hipError_tPvRmT2_T3_T4_T5_mT6_T7_P12ihipStream_tbENKUlT_T0_E_clISt17integral_constantIbLb1EES10_IbLb0EEEEDaSW_SX_EUlSW_E_NS1_11comp_targetILNS1_3genE0ELNS1_11target_archE4294967295ELNS1_3gpuE0ELNS1_3repE0EEENS1_30default_config_static_selectorELNS0_4arch9wavefront6targetE1EEEvT1_ ; -- Begin function _ZN7rocprim17ROCPRIM_400000_NS6detail17trampoline_kernelINS0_14default_configENS1_27scan_by_key_config_selectorIitEEZZNS1_16scan_by_key_implILNS1_25lookback_scan_determinismE0ELb1ES3_N6thrust23THRUST_200600_302600_NS6detail15normal_iteratorINS9_10device_ptrIiEEEENSB_INSC_ItEEEESG_tNS9_4plusIvEENS9_8equal_toIvEEtEE10hipError_tPvRmT2_T3_T4_T5_mT6_T7_P12ihipStream_tbENKUlT_T0_E_clISt17integral_constantIbLb1EES10_IbLb0EEEEDaSW_SX_EUlSW_E_NS1_11comp_targetILNS1_3genE0ELNS1_11target_archE4294967295ELNS1_3gpuE0ELNS1_3repE0EEENS1_30default_config_static_selectorELNS0_4arch9wavefront6targetE1EEEvT1_
	.globl	_ZN7rocprim17ROCPRIM_400000_NS6detail17trampoline_kernelINS0_14default_configENS1_27scan_by_key_config_selectorIitEEZZNS1_16scan_by_key_implILNS1_25lookback_scan_determinismE0ELb1ES3_N6thrust23THRUST_200600_302600_NS6detail15normal_iteratorINS9_10device_ptrIiEEEENSB_INSC_ItEEEESG_tNS9_4plusIvEENS9_8equal_toIvEEtEE10hipError_tPvRmT2_T3_T4_T5_mT6_T7_P12ihipStream_tbENKUlT_T0_E_clISt17integral_constantIbLb1EES10_IbLb0EEEEDaSW_SX_EUlSW_E_NS1_11comp_targetILNS1_3genE0ELNS1_11target_archE4294967295ELNS1_3gpuE0ELNS1_3repE0EEENS1_30default_config_static_selectorELNS0_4arch9wavefront6targetE1EEEvT1_
	.p2align	8
	.type	_ZN7rocprim17ROCPRIM_400000_NS6detail17trampoline_kernelINS0_14default_configENS1_27scan_by_key_config_selectorIitEEZZNS1_16scan_by_key_implILNS1_25lookback_scan_determinismE0ELb1ES3_N6thrust23THRUST_200600_302600_NS6detail15normal_iteratorINS9_10device_ptrIiEEEENSB_INSC_ItEEEESG_tNS9_4plusIvEENS9_8equal_toIvEEtEE10hipError_tPvRmT2_T3_T4_T5_mT6_T7_P12ihipStream_tbENKUlT_T0_E_clISt17integral_constantIbLb1EES10_IbLb0EEEEDaSW_SX_EUlSW_E_NS1_11comp_targetILNS1_3genE0ELNS1_11target_archE4294967295ELNS1_3gpuE0ELNS1_3repE0EEENS1_30default_config_static_selectorELNS0_4arch9wavefront6targetE1EEEvT1_,@function
_ZN7rocprim17ROCPRIM_400000_NS6detail17trampoline_kernelINS0_14default_configENS1_27scan_by_key_config_selectorIitEEZZNS1_16scan_by_key_implILNS1_25lookback_scan_determinismE0ELb1ES3_N6thrust23THRUST_200600_302600_NS6detail15normal_iteratorINS9_10device_ptrIiEEEENSB_INSC_ItEEEESG_tNS9_4plusIvEENS9_8equal_toIvEEtEE10hipError_tPvRmT2_T3_T4_T5_mT6_T7_P12ihipStream_tbENKUlT_T0_E_clISt17integral_constantIbLb1EES10_IbLb0EEEEDaSW_SX_EUlSW_E_NS1_11comp_targetILNS1_3genE0ELNS1_11target_archE4294967295ELNS1_3gpuE0ELNS1_3repE0EEENS1_30default_config_static_selectorELNS0_4arch9wavefront6targetE1EEEvT1_: ; @_ZN7rocprim17ROCPRIM_400000_NS6detail17trampoline_kernelINS0_14default_configENS1_27scan_by_key_config_selectorIitEEZZNS1_16scan_by_key_implILNS1_25lookback_scan_determinismE0ELb1ES3_N6thrust23THRUST_200600_302600_NS6detail15normal_iteratorINS9_10device_ptrIiEEEENSB_INSC_ItEEEESG_tNS9_4plusIvEENS9_8equal_toIvEEtEE10hipError_tPvRmT2_T3_T4_T5_mT6_T7_P12ihipStream_tbENKUlT_T0_E_clISt17integral_constantIbLb1EES10_IbLb0EEEEDaSW_SX_EUlSW_E_NS1_11comp_targetILNS1_3genE0ELNS1_11target_archE4294967295ELNS1_3gpuE0ELNS1_3repE0EEENS1_30default_config_static_selectorELNS0_4arch9wavefront6targetE1EEEvT1_
; %bb.0:
	.section	.rodata,"a",@progbits
	.p2align	6, 0x0
	.amdhsa_kernel _ZN7rocprim17ROCPRIM_400000_NS6detail17trampoline_kernelINS0_14default_configENS1_27scan_by_key_config_selectorIitEEZZNS1_16scan_by_key_implILNS1_25lookback_scan_determinismE0ELb1ES3_N6thrust23THRUST_200600_302600_NS6detail15normal_iteratorINS9_10device_ptrIiEEEENSB_INSC_ItEEEESG_tNS9_4plusIvEENS9_8equal_toIvEEtEE10hipError_tPvRmT2_T3_T4_T5_mT6_T7_P12ihipStream_tbENKUlT_T0_E_clISt17integral_constantIbLb1EES10_IbLb0EEEEDaSW_SX_EUlSW_E_NS1_11comp_targetILNS1_3genE0ELNS1_11target_archE4294967295ELNS1_3gpuE0ELNS1_3repE0EEENS1_30default_config_static_selectorELNS0_4arch9wavefront6targetE1EEEvT1_
		.amdhsa_group_segment_fixed_size 0
		.amdhsa_private_segment_fixed_size 0
		.amdhsa_kernarg_size 112
		.amdhsa_user_sgpr_count 6
		.amdhsa_user_sgpr_private_segment_buffer 1
		.amdhsa_user_sgpr_dispatch_ptr 0
		.amdhsa_user_sgpr_queue_ptr 0
		.amdhsa_user_sgpr_kernarg_segment_ptr 1
		.amdhsa_user_sgpr_dispatch_id 0
		.amdhsa_user_sgpr_flat_scratch_init 0
		.amdhsa_user_sgpr_kernarg_preload_length 0
		.amdhsa_user_sgpr_kernarg_preload_offset 0
		.amdhsa_user_sgpr_private_segment_size 0
		.amdhsa_uses_dynamic_stack 0
		.amdhsa_system_sgpr_private_segment_wavefront_offset 0
		.amdhsa_system_sgpr_workgroup_id_x 1
		.amdhsa_system_sgpr_workgroup_id_y 0
		.amdhsa_system_sgpr_workgroup_id_z 0
		.amdhsa_system_sgpr_workgroup_info 0
		.amdhsa_system_vgpr_workitem_id 0
		.amdhsa_next_free_vgpr 1
		.amdhsa_next_free_sgpr 0
		.amdhsa_accum_offset 4
		.amdhsa_reserve_vcc 0
		.amdhsa_reserve_flat_scratch 0
		.amdhsa_float_round_mode_32 0
		.amdhsa_float_round_mode_16_64 0
		.amdhsa_float_denorm_mode_32 3
		.amdhsa_float_denorm_mode_16_64 3
		.amdhsa_dx10_clamp 1
		.amdhsa_ieee_mode 1
		.amdhsa_fp16_overflow 0
		.amdhsa_tg_split 0
		.amdhsa_exception_fp_ieee_invalid_op 0
		.amdhsa_exception_fp_denorm_src 0
		.amdhsa_exception_fp_ieee_div_zero 0
		.amdhsa_exception_fp_ieee_overflow 0
		.amdhsa_exception_fp_ieee_underflow 0
		.amdhsa_exception_fp_ieee_inexact 0
		.amdhsa_exception_int_div_zero 0
	.end_amdhsa_kernel
	.section	.text._ZN7rocprim17ROCPRIM_400000_NS6detail17trampoline_kernelINS0_14default_configENS1_27scan_by_key_config_selectorIitEEZZNS1_16scan_by_key_implILNS1_25lookback_scan_determinismE0ELb1ES3_N6thrust23THRUST_200600_302600_NS6detail15normal_iteratorINS9_10device_ptrIiEEEENSB_INSC_ItEEEESG_tNS9_4plusIvEENS9_8equal_toIvEEtEE10hipError_tPvRmT2_T3_T4_T5_mT6_T7_P12ihipStream_tbENKUlT_T0_E_clISt17integral_constantIbLb1EES10_IbLb0EEEEDaSW_SX_EUlSW_E_NS1_11comp_targetILNS1_3genE0ELNS1_11target_archE4294967295ELNS1_3gpuE0ELNS1_3repE0EEENS1_30default_config_static_selectorELNS0_4arch9wavefront6targetE1EEEvT1_,"axG",@progbits,_ZN7rocprim17ROCPRIM_400000_NS6detail17trampoline_kernelINS0_14default_configENS1_27scan_by_key_config_selectorIitEEZZNS1_16scan_by_key_implILNS1_25lookback_scan_determinismE0ELb1ES3_N6thrust23THRUST_200600_302600_NS6detail15normal_iteratorINS9_10device_ptrIiEEEENSB_INSC_ItEEEESG_tNS9_4plusIvEENS9_8equal_toIvEEtEE10hipError_tPvRmT2_T3_T4_T5_mT6_T7_P12ihipStream_tbENKUlT_T0_E_clISt17integral_constantIbLb1EES10_IbLb0EEEEDaSW_SX_EUlSW_E_NS1_11comp_targetILNS1_3genE0ELNS1_11target_archE4294967295ELNS1_3gpuE0ELNS1_3repE0EEENS1_30default_config_static_selectorELNS0_4arch9wavefront6targetE1EEEvT1_,comdat
.Lfunc_end1553:
	.size	_ZN7rocprim17ROCPRIM_400000_NS6detail17trampoline_kernelINS0_14default_configENS1_27scan_by_key_config_selectorIitEEZZNS1_16scan_by_key_implILNS1_25lookback_scan_determinismE0ELb1ES3_N6thrust23THRUST_200600_302600_NS6detail15normal_iteratorINS9_10device_ptrIiEEEENSB_INSC_ItEEEESG_tNS9_4plusIvEENS9_8equal_toIvEEtEE10hipError_tPvRmT2_T3_T4_T5_mT6_T7_P12ihipStream_tbENKUlT_T0_E_clISt17integral_constantIbLb1EES10_IbLb0EEEEDaSW_SX_EUlSW_E_NS1_11comp_targetILNS1_3genE0ELNS1_11target_archE4294967295ELNS1_3gpuE0ELNS1_3repE0EEENS1_30default_config_static_selectorELNS0_4arch9wavefront6targetE1EEEvT1_, .Lfunc_end1553-_ZN7rocprim17ROCPRIM_400000_NS6detail17trampoline_kernelINS0_14default_configENS1_27scan_by_key_config_selectorIitEEZZNS1_16scan_by_key_implILNS1_25lookback_scan_determinismE0ELb1ES3_N6thrust23THRUST_200600_302600_NS6detail15normal_iteratorINS9_10device_ptrIiEEEENSB_INSC_ItEEEESG_tNS9_4plusIvEENS9_8equal_toIvEEtEE10hipError_tPvRmT2_T3_T4_T5_mT6_T7_P12ihipStream_tbENKUlT_T0_E_clISt17integral_constantIbLb1EES10_IbLb0EEEEDaSW_SX_EUlSW_E_NS1_11comp_targetILNS1_3genE0ELNS1_11target_archE4294967295ELNS1_3gpuE0ELNS1_3repE0EEENS1_30default_config_static_selectorELNS0_4arch9wavefront6targetE1EEEvT1_
                                        ; -- End function
	.section	.AMDGPU.csdata,"",@progbits
; Kernel info:
; codeLenInByte = 0
; NumSgprs: 4
; NumVgprs: 0
; NumAgprs: 0
; TotalNumVgprs: 0
; ScratchSize: 0
; MemoryBound: 0
; FloatMode: 240
; IeeeMode: 1
; LDSByteSize: 0 bytes/workgroup (compile time only)
; SGPRBlocks: 0
; VGPRBlocks: 0
; NumSGPRsForWavesPerEU: 4
; NumVGPRsForWavesPerEU: 1
; AccumOffset: 4
; Occupancy: 8
; WaveLimiterHint : 0
; COMPUTE_PGM_RSRC2:SCRATCH_EN: 0
; COMPUTE_PGM_RSRC2:USER_SGPR: 6
; COMPUTE_PGM_RSRC2:TRAP_HANDLER: 0
; COMPUTE_PGM_RSRC2:TGID_X_EN: 1
; COMPUTE_PGM_RSRC2:TGID_Y_EN: 0
; COMPUTE_PGM_RSRC2:TGID_Z_EN: 0
; COMPUTE_PGM_RSRC2:TIDIG_COMP_CNT: 0
; COMPUTE_PGM_RSRC3_GFX90A:ACCUM_OFFSET: 0
; COMPUTE_PGM_RSRC3_GFX90A:TG_SPLIT: 0
	.section	.text._ZN7rocprim17ROCPRIM_400000_NS6detail17trampoline_kernelINS0_14default_configENS1_27scan_by_key_config_selectorIitEEZZNS1_16scan_by_key_implILNS1_25lookback_scan_determinismE0ELb1ES3_N6thrust23THRUST_200600_302600_NS6detail15normal_iteratorINS9_10device_ptrIiEEEENSB_INSC_ItEEEESG_tNS9_4plusIvEENS9_8equal_toIvEEtEE10hipError_tPvRmT2_T3_T4_T5_mT6_T7_P12ihipStream_tbENKUlT_T0_E_clISt17integral_constantIbLb1EES10_IbLb0EEEEDaSW_SX_EUlSW_E_NS1_11comp_targetILNS1_3genE10ELNS1_11target_archE1201ELNS1_3gpuE5ELNS1_3repE0EEENS1_30default_config_static_selectorELNS0_4arch9wavefront6targetE1EEEvT1_,"axG",@progbits,_ZN7rocprim17ROCPRIM_400000_NS6detail17trampoline_kernelINS0_14default_configENS1_27scan_by_key_config_selectorIitEEZZNS1_16scan_by_key_implILNS1_25lookback_scan_determinismE0ELb1ES3_N6thrust23THRUST_200600_302600_NS6detail15normal_iteratorINS9_10device_ptrIiEEEENSB_INSC_ItEEEESG_tNS9_4plusIvEENS9_8equal_toIvEEtEE10hipError_tPvRmT2_T3_T4_T5_mT6_T7_P12ihipStream_tbENKUlT_T0_E_clISt17integral_constantIbLb1EES10_IbLb0EEEEDaSW_SX_EUlSW_E_NS1_11comp_targetILNS1_3genE10ELNS1_11target_archE1201ELNS1_3gpuE5ELNS1_3repE0EEENS1_30default_config_static_selectorELNS0_4arch9wavefront6targetE1EEEvT1_,comdat
	.protected	_ZN7rocprim17ROCPRIM_400000_NS6detail17trampoline_kernelINS0_14default_configENS1_27scan_by_key_config_selectorIitEEZZNS1_16scan_by_key_implILNS1_25lookback_scan_determinismE0ELb1ES3_N6thrust23THRUST_200600_302600_NS6detail15normal_iteratorINS9_10device_ptrIiEEEENSB_INSC_ItEEEESG_tNS9_4plusIvEENS9_8equal_toIvEEtEE10hipError_tPvRmT2_T3_T4_T5_mT6_T7_P12ihipStream_tbENKUlT_T0_E_clISt17integral_constantIbLb1EES10_IbLb0EEEEDaSW_SX_EUlSW_E_NS1_11comp_targetILNS1_3genE10ELNS1_11target_archE1201ELNS1_3gpuE5ELNS1_3repE0EEENS1_30default_config_static_selectorELNS0_4arch9wavefront6targetE1EEEvT1_ ; -- Begin function _ZN7rocprim17ROCPRIM_400000_NS6detail17trampoline_kernelINS0_14default_configENS1_27scan_by_key_config_selectorIitEEZZNS1_16scan_by_key_implILNS1_25lookback_scan_determinismE0ELb1ES3_N6thrust23THRUST_200600_302600_NS6detail15normal_iteratorINS9_10device_ptrIiEEEENSB_INSC_ItEEEESG_tNS9_4plusIvEENS9_8equal_toIvEEtEE10hipError_tPvRmT2_T3_T4_T5_mT6_T7_P12ihipStream_tbENKUlT_T0_E_clISt17integral_constantIbLb1EES10_IbLb0EEEEDaSW_SX_EUlSW_E_NS1_11comp_targetILNS1_3genE10ELNS1_11target_archE1201ELNS1_3gpuE5ELNS1_3repE0EEENS1_30default_config_static_selectorELNS0_4arch9wavefront6targetE1EEEvT1_
	.globl	_ZN7rocprim17ROCPRIM_400000_NS6detail17trampoline_kernelINS0_14default_configENS1_27scan_by_key_config_selectorIitEEZZNS1_16scan_by_key_implILNS1_25lookback_scan_determinismE0ELb1ES3_N6thrust23THRUST_200600_302600_NS6detail15normal_iteratorINS9_10device_ptrIiEEEENSB_INSC_ItEEEESG_tNS9_4plusIvEENS9_8equal_toIvEEtEE10hipError_tPvRmT2_T3_T4_T5_mT6_T7_P12ihipStream_tbENKUlT_T0_E_clISt17integral_constantIbLb1EES10_IbLb0EEEEDaSW_SX_EUlSW_E_NS1_11comp_targetILNS1_3genE10ELNS1_11target_archE1201ELNS1_3gpuE5ELNS1_3repE0EEENS1_30default_config_static_selectorELNS0_4arch9wavefront6targetE1EEEvT1_
	.p2align	8
	.type	_ZN7rocprim17ROCPRIM_400000_NS6detail17trampoline_kernelINS0_14default_configENS1_27scan_by_key_config_selectorIitEEZZNS1_16scan_by_key_implILNS1_25lookback_scan_determinismE0ELb1ES3_N6thrust23THRUST_200600_302600_NS6detail15normal_iteratorINS9_10device_ptrIiEEEENSB_INSC_ItEEEESG_tNS9_4plusIvEENS9_8equal_toIvEEtEE10hipError_tPvRmT2_T3_T4_T5_mT6_T7_P12ihipStream_tbENKUlT_T0_E_clISt17integral_constantIbLb1EES10_IbLb0EEEEDaSW_SX_EUlSW_E_NS1_11comp_targetILNS1_3genE10ELNS1_11target_archE1201ELNS1_3gpuE5ELNS1_3repE0EEENS1_30default_config_static_selectorELNS0_4arch9wavefront6targetE1EEEvT1_,@function
_ZN7rocprim17ROCPRIM_400000_NS6detail17trampoline_kernelINS0_14default_configENS1_27scan_by_key_config_selectorIitEEZZNS1_16scan_by_key_implILNS1_25lookback_scan_determinismE0ELb1ES3_N6thrust23THRUST_200600_302600_NS6detail15normal_iteratorINS9_10device_ptrIiEEEENSB_INSC_ItEEEESG_tNS9_4plusIvEENS9_8equal_toIvEEtEE10hipError_tPvRmT2_T3_T4_T5_mT6_T7_P12ihipStream_tbENKUlT_T0_E_clISt17integral_constantIbLb1EES10_IbLb0EEEEDaSW_SX_EUlSW_E_NS1_11comp_targetILNS1_3genE10ELNS1_11target_archE1201ELNS1_3gpuE5ELNS1_3repE0EEENS1_30default_config_static_selectorELNS0_4arch9wavefront6targetE1EEEvT1_: ; @_ZN7rocprim17ROCPRIM_400000_NS6detail17trampoline_kernelINS0_14default_configENS1_27scan_by_key_config_selectorIitEEZZNS1_16scan_by_key_implILNS1_25lookback_scan_determinismE0ELb1ES3_N6thrust23THRUST_200600_302600_NS6detail15normal_iteratorINS9_10device_ptrIiEEEENSB_INSC_ItEEEESG_tNS9_4plusIvEENS9_8equal_toIvEEtEE10hipError_tPvRmT2_T3_T4_T5_mT6_T7_P12ihipStream_tbENKUlT_T0_E_clISt17integral_constantIbLb1EES10_IbLb0EEEEDaSW_SX_EUlSW_E_NS1_11comp_targetILNS1_3genE10ELNS1_11target_archE1201ELNS1_3gpuE5ELNS1_3repE0EEENS1_30default_config_static_selectorELNS0_4arch9wavefront6targetE1EEEvT1_
; %bb.0:
	.section	.rodata,"a",@progbits
	.p2align	6, 0x0
	.amdhsa_kernel _ZN7rocprim17ROCPRIM_400000_NS6detail17trampoline_kernelINS0_14default_configENS1_27scan_by_key_config_selectorIitEEZZNS1_16scan_by_key_implILNS1_25lookback_scan_determinismE0ELb1ES3_N6thrust23THRUST_200600_302600_NS6detail15normal_iteratorINS9_10device_ptrIiEEEENSB_INSC_ItEEEESG_tNS9_4plusIvEENS9_8equal_toIvEEtEE10hipError_tPvRmT2_T3_T4_T5_mT6_T7_P12ihipStream_tbENKUlT_T0_E_clISt17integral_constantIbLb1EES10_IbLb0EEEEDaSW_SX_EUlSW_E_NS1_11comp_targetILNS1_3genE10ELNS1_11target_archE1201ELNS1_3gpuE5ELNS1_3repE0EEENS1_30default_config_static_selectorELNS0_4arch9wavefront6targetE1EEEvT1_
		.amdhsa_group_segment_fixed_size 0
		.amdhsa_private_segment_fixed_size 0
		.amdhsa_kernarg_size 112
		.amdhsa_user_sgpr_count 6
		.amdhsa_user_sgpr_private_segment_buffer 1
		.amdhsa_user_sgpr_dispatch_ptr 0
		.amdhsa_user_sgpr_queue_ptr 0
		.amdhsa_user_sgpr_kernarg_segment_ptr 1
		.amdhsa_user_sgpr_dispatch_id 0
		.amdhsa_user_sgpr_flat_scratch_init 0
		.amdhsa_user_sgpr_kernarg_preload_length 0
		.amdhsa_user_sgpr_kernarg_preload_offset 0
		.amdhsa_user_sgpr_private_segment_size 0
		.amdhsa_uses_dynamic_stack 0
		.amdhsa_system_sgpr_private_segment_wavefront_offset 0
		.amdhsa_system_sgpr_workgroup_id_x 1
		.amdhsa_system_sgpr_workgroup_id_y 0
		.amdhsa_system_sgpr_workgroup_id_z 0
		.amdhsa_system_sgpr_workgroup_info 0
		.amdhsa_system_vgpr_workitem_id 0
		.amdhsa_next_free_vgpr 1
		.amdhsa_next_free_sgpr 0
		.amdhsa_accum_offset 4
		.amdhsa_reserve_vcc 0
		.amdhsa_reserve_flat_scratch 0
		.amdhsa_float_round_mode_32 0
		.amdhsa_float_round_mode_16_64 0
		.amdhsa_float_denorm_mode_32 3
		.amdhsa_float_denorm_mode_16_64 3
		.amdhsa_dx10_clamp 1
		.amdhsa_ieee_mode 1
		.amdhsa_fp16_overflow 0
		.amdhsa_tg_split 0
		.amdhsa_exception_fp_ieee_invalid_op 0
		.amdhsa_exception_fp_denorm_src 0
		.amdhsa_exception_fp_ieee_div_zero 0
		.amdhsa_exception_fp_ieee_overflow 0
		.amdhsa_exception_fp_ieee_underflow 0
		.amdhsa_exception_fp_ieee_inexact 0
		.amdhsa_exception_int_div_zero 0
	.end_amdhsa_kernel
	.section	.text._ZN7rocprim17ROCPRIM_400000_NS6detail17trampoline_kernelINS0_14default_configENS1_27scan_by_key_config_selectorIitEEZZNS1_16scan_by_key_implILNS1_25lookback_scan_determinismE0ELb1ES3_N6thrust23THRUST_200600_302600_NS6detail15normal_iteratorINS9_10device_ptrIiEEEENSB_INSC_ItEEEESG_tNS9_4plusIvEENS9_8equal_toIvEEtEE10hipError_tPvRmT2_T3_T4_T5_mT6_T7_P12ihipStream_tbENKUlT_T0_E_clISt17integral_constantIbLb1EES10_IbLb0EEEEDaSW_SX_EUlSW_E_NS1_11comp_targetILNS1_3genE10ELNS1_11target_archE1201ELNS1_3gpuE5ELNS1_3repE0EEENS1_30default_config_static_selectorELNS0_4arch9wavefront6targetE1EEEvT1_,"axG",@progbits,_ZN7rocprim17ROCPRIM_400000_NS6detail17trampoline_kernelINS0_14default_configENS1_27scan_by_key_config_selectorIitEEZZNS1_16scan_by_key_implILNS1_25lookback_scan_determinismE0ELb1ES3_N6thrust23THRUST_200600_302600_NS6detail15normal_iteratorINS9_10device_ptrIiEEEENSB_INSC_ItEEEESG_tNS9_4plusIvEENS9_8equal_toIvEEtEE10hipError_tPvRmT2_T3_T4_T5_mT6_T7_P12ihipStream_tbENKUlT_T0_E_clISt17integral_constantIbLb1EES10_IbLb0EEEEDaSW_SX_EUlSW_E_NS1_11comp_targetILNS1_3genE10ELNS1_11target_archE1201ELNS1_3gpuE5ELNS1_3repE0EEENS1_30default_config_static_selectorELNS0_4arch9wavefront6targetE1EEEvT1_,comdat
.Lfunc_end1554:
	.size	_ZN7rocprim17ROCPRIM_400000_NS6detail17trampoline_kernelINS0_14default_configENS1_27scan_by_key_config_selectorIitEEZZNS1_16scan_by_key_implILNS1_25lookback_scan_determinismE0ELb1ES3_N6thrust23THRUST_200600_302600_NS6detail15normal_iteratorINS9_10device_ptrIiEEEENSB_INSC_ItEEEESG_tNS9_4plusIvEENS9_8equal_toIvEEtEE10hipError_tPvRmT2_T3_T4_T5_mT6_T7_P12ihipStream_tbENKUlT_T0_E_clISt17integral_constantIbLb1EES10_IbLb0EEEEDaSW_SX_EUlSW_E_NS1_11comp_targetILNS1_3genE10ELNS1_11target_archE1201ELNS1_3gpuE5ELNS1_3repE0EEENS1_30default_config_static_selectorELNS0_4arch9wavefront6targetE1EEEvT1_, .Lfunc_end1554-_ZN7rocprim17ROCPRIM_400000_NS6detail17trampoline_kernelINS0_14default_configENS1_27scan_by_key_config_selectorIitEEZZNS1_16scan_by_key_implILNS1_25lookback_scan_determinismE0ELb1ES3_N6thrust23THRUST_200600_302600_NS6detail15normal_iteratorINS9_10device_ptrIiEEEENSB_INSC_ItEEEESG_tNS9_4plusIvEENS9_8equal_toIvEEtEE10hipError_tPvRmT2_T3_T4_T5_mT6_T7_P12ihipStream_tbENKUlT_T0_E_clISt17integral_constantIbLb1EES10_IbLb0EEEEDaSW_SX_EUlSW_E_NS1_11comp_targetILNS1_3genE10ELNS1_11target_archE1201ELNS1_3gpuE5ELNS1_3repE0EEENS1_30default_config_static_selectorELNS0_4arch9wavefront6targetE1EEEvT1_
                                        ; -- End function
	.section	.AMDGPU.csdata,"",@progbits
; Kernel info:
; codeLenInByte = 0
; NumSgprs: 4
; NumVgprs: 0
; NumAgprs: 0
; TotalNumVgprs: 0
; ScratchSize: 0
; MemoryBound: 0
; FloatMode: 240
; IeeeMode: 1
; LDSByteSize: 0 bytes/workgroup (compile time only)
; SGPRBlocks: 0
; VGPRBlocks: 0
; NumSGPRsForWavesPerEU: 4
; NumVGPRsForWavesPerEU: 1
; AccumOffset: 4
; Occupancy: 8
; WaveLimiterHint : 0
; COMPUTE_PGM_RSRC2:SCRATCH_EN: 0
; COMPUTE_PGM_RSRC2:USER_SGPR: 6
; COMPUTE_PGM_RSRC2:TRAP_HANDLER: 0
; COMPUTE_PGM_RSRC2:TGID_X_EN: 1
; COMPUTE_PGM_RSRC2:TGID_Y_EN: 0
; COMPUTE_PGM_RSRC2:TGID_Z_EN: 0
; COMPUTE_PGM_RSRC2:TIDIG_COMP_CNT: 0
; COMPUTE_PGM_RSRC3_GFX90A:ACCUM_OFFSET: 0
; COMPUTE_PGM_RSRC3_GFX90A:TG_SPLIT: 0
	.section	.text._ZN7rocprim17ROCPRIM_400000_NS6detail17trampoline_kernelINS0_14default_configENS1_27scan_by_key_config_selectorIitEEZZNS1_16scan_by_key_implILNS1_25lookback_scan_determinismE0ELb1ES3_N6thrust23THRUST_200600_302600_NS6detail15normal_iteratorINS9_10device_ptrIiEEEENSB_INSC_ItEEEESG_tNS9_4plusIvEENS9_8equal_toIvEEtEE10hipError_tPvRmT2_T3_T4_T5_mT6_T7_P12ihipStream_tbENKUlT_T0_E_clISt17integral_constantIbLb1EES10_IbLb0EEEEDaSW_SX_EUlSW_E_NS1_11comp_targetILNS1_3genE5ELNS1_11target_archE942ELNS1_3gpuE9ELNS1_3repE0EEENS1_30default_config_static_selectorELNS0_4arch9wavefront6targetE1EEEvT1_,"axG",@progbits,_ZN7rocprim17ROCPRIM_400000_NS6detail17trampoline_kernelINS0_14default_configENS1_27scan_by_key_config_selectorIitEEZZNS1_16scan_by_key_implILNS1_25lookback_scan_determinismE0ELb1ES3_N6thrust23THRUST_200600_302600_NS6detail15normal_iteratorINS9_10device_ptrIiEEEENSB_INSC_ItEEEESG_tNS9_4plusIvEENS9_8equal_toIvEEtEE10hipError_tPvRmT2_T3_T4_T5_mT6_T7_P12ihipStream_tbENKUlT_T0_E_clISt17integral_constantIbLb1EES10_IbLb0EEEEDaSW_SX_EUlSW_E_NS1_11comp_targetILNS1_3genE5ELNS1_11target_archE942ELNS1_3gpuE9ELNS1_3repE0EEENS1_30default_config_static_selectorELNS0_4arch9wavefront6targetE1EEEvT1_,comdat
	.protected	_ZN7rocprim17ROCPRIM_400000_NS6detail17trampoline_kernelINS0_14default_configENS1_27scan_by_key_config_selectorIitEEZZNS1_16scan_by_key_implILNS1_25lookback_scan_determinismE0ELb1ES3_N6thrust23THRUST_200600_302600_NS6detail15normal_iteratorINS9_10device_ptrIiEEEENSB_INSC_ItEEEESG_tNS9_4plusIvEENS9_8equal_toIvEEtEE10hipError_tPvRmT2_T3_T4_T5_mT6_T7_P12ihipStream_tbENKUlT_T0_E_clISt17integral_constantIbLb1EES10_IbLb0EEEEDaSW_SX_EUlSW_E_NS1_11comp_targetILNS1_3genE5ELNS1_11target_archE942ELNS1_3gpuE9ELNS1_3repE0EEENS1_30default_config_static_selectorELNS0_4arch9wavefront6targetE1EEEvT1_ ; -- Begin function _ZN7rocprim17ROCPRIM_400000_NS6detail17trampoline_kernelINS0_14default_configENS1_27scan_by_key_config_selectorIitEEZZNS1_16scan_by_key_implILNS1_25lookback_scan_determinismE0ELb1ES3_N6thrust23THRUST_200600_302600_NS6detail15normal_iteratorINS9_10device_ptrIiEEEENSB_INSC_ItEEEESG_tNS9_4plusIvEENS9_8equal_toIvEEtEE10hipError_tPvRmT2_T3_T4_T5_mT6_T7_P12ihipStream_tbENKUlT_T0_E_clISt17integral_constantIbLb1EES10_IbLb0EEEEDaSW_SX_EUlSW_E_NS1_11comp_targetILNS1_3genE5ELNS1_11target_archE942ELNS1_3gpuE9ELNS1_3repE0EEENS1_30default_config_static_selectorELNS0_4arch9wavefront6targetE1EEEvT1_
	.globl	_ZN7rocprim17ROCPRIM_400000_NS6detail17trampoline_kernelINS0_14default_configENS1_27scan_by_key_config_selectorIitEEZZNS1_16scan_by_key_implILNS1_25lookback_scan_determinismE0ELb1ES3_N6thrust23THRUST_200600_302600_NS6detail15normal_iteratorINS9_10device_ptrIiEEEENSB_INSC_ItEEEESG_tNS9_4plusIvEENS9_8equal_toIvEEtEE10hipError_tPvRmT2_T3_T4_T5_mT6_T7_P12ihipStream_tbENKUlT_T0_E_clISt17integral_constantIbLb1EES10_IbLb0EEEEDaSW_SX_EUlSW_E_NS1_11comp_targetILNS1_3genE5ELNS1_11target_archE942ELNS1_3gpuE9ELNS1_3repE0EEENS1_30default_config_static_selectorELNS0_4arch9wavefront6targetE1EEEvT1_
	.p2align	8
	.type	_ZN7rocprim17ROCPRIM_400000_NS6detail17trampoline_kernelINS0_14default_configENS1_27scan_by_key_config_selectorIitEEZZNS1_16scan_by_key_implILNS1_25lookback_scan_determinismE0ELb1ES3_N6thrust23THRUST_200600_302600_NS6detail15normal_iteratorINS9_10device_ptrIiEEEENSB_INSC_ItEEEESG_tNS9_4plusIvEENS9_8equal_toIvEEtEE10hipError_tPvRmT2_T3_T4_T5_mT6_T7_P12ihipStream_tbENKUlT_T0_E_clISt17integral_constantIbLb1EES10_IbLb0EEEEDaSW_SX_EUlSW_E_NS1_11comp_targetILNS1_3genE5ELNS1_11target_archE942ELNS1_3gpuE9ELNS1_3repE0EEENS1_30default_config_static_selectorELNS0_4arch9wavefront6targetE1EEEvT1_,@function
_ZN7rocprim17ROCPRIM_400000_NS6detail17trampoline_kernelINS0_14default_configENS1_27scan_by_key_config_selectorIitEEZZNS1_16scan_by_key_implILNS1_25lookback_scan_determinismE0ELb1ES3_N6thrust23THRUST_200600_302600_NS6detail15normal_iteratorINS9_10device_ptrIiEEEENSB_INSC_ItEEEESG_tNS9_4plusIvEENS9_8equal_toIvEEtEE10hipError_tPvRmT2_T3_T4_T5_mT6_T7_P12ihipStream_tbENKUlT_T0_E_clISt17integral_constantIbLb1EES10_IbLb0EEEEDaSW_SX_EUlSW_E_NS1_11comp_targetILNS1_3genE5ELNS1_11target_archE942ELNS1_3gpuE9ELNS1_3repE0EEENS1_30default_config_static_selectorELNS0_4arch9wavefront6targetE1EEEvT1_: ; @_ZN7rocprim17ROCPRIM_400000_NS6detail17trampoline_kernelINS0_14default_configENS1_27scan_by_key_config_selectorIitEEZZNS1_16scan_by_key_implILNS1_25lookback_scan_determinismE0ELb1ES3_N6thrust23THRUST_200600_302600_NS6detail15normal_iteratorINS9_10device_ptrIiEEEENSB_INSC_ItEEEESG_tNS9_4plusIvEENS9_8equal_toIvEEtEE10hipError_tPvRmT2_T3_T4_T5_mT6_T7_P12ihipStream_tbENKUlT_T0_E_clISt17integral_constantIbLb1EES10_IbLb0EEEEDaSW_SX_EUlSW_E_NS1_11comp_targetILNS1_3genE5ELNS1_11target_archE942ELNS1_3gpuE9ELNS1_3repE0EEENS1_30default_config_static_selectorELNS0_4arch9wavefront6targetE1EEEvT1_
; %bb.0:
	.section	.rodata,"a",@progbits
	.p2align	6, 0x0
	.amdhsa_kernel _ZN7rocprim17ROCPRIM_400000_NS6detail17trampoline_kernelINS0_14default_configENS1_27scan_by_key_config_selectorIitEEZZNS1_16scan_by_key_implILNS1_25lookback_scan_determinismE0ELb1ES3_N6thrust23THRUST_200600_302600_NS6detail15normal_iteratorINS9_10device_ptrIiEEEENSB_INSC_ItEEEESG_tNS9_4plusIvEENS9_8equal_toIvEEtEE10hipError_tPvRmT2_T3_T4_T5_mT6_T7_P12ihipStream_tbENKUlT_T0_E_clISt17integral_constantIbLb1EES10_IbLb0EEEEDaSW_SX_EUlSW_E_NS1_11comp_targetILNS1_3genE5ELNS1_11target_archE942ELNS1_3gpuE9ELNS1_3repE0EEENS1_30default_config_static_selectorELNS0_4arch9wavefront6targetE1EEEvT1_
		.amdhsa_group_segment_fixed_size 0
		.amdhsa_private_segment_fixed_size 0
		.amdhsa_kernarg_size 112
		.amdhsa_user_sgpr_count 6
		.amdhsa_user_sgpr_private_segment_buffer 1
		.amdhsa_user_sgpr_dispatch_ptr 0
		.amdhsa_user_sgpr_queue_ptr 0
		.amdhsa_user_sgpr_kernarg_segment_ptr 1
		.amdhsa_user_sgpr_dispatch_id 0
		.amdhsa_user_sgpr_flat_scratch_init 0
		.amdhsa_user_sgpr_kernarg_preload_length 0
		.amdhsa_user_sgpr_kernarg_preload_offset 0
		.amdhsa_user_sgpr_private_segment_size 0
		.amdhsa_uses_dynamic_stack 0
		.amdhsa_system_sgpr_private_segment_wavefront_offset 0
		.amdhsa_system_sgpr_workgroup_id_x 1
		.amdhsa_system_sgpr_workgroup_id_y 0
		.amdhsa_system_sgpr_workgroup_id_z 0
		.amdhsa_system_sgpr_workgroup_info 0
		.amdhsa_system_vgpr_workitem_id 0
		.amdhsa_next_free_vgpr 1
		.amdhsa_next_free_sgpr 0
		.amdhsa_accum_offset 4
		.amdhsa_reserve_vcc 0
		.amdhsa_reserve_flat_scratch 0
		.amdhsa_float_round_mode_32 0
		.amdhsa_float_round_mode_16_64 0
		.amdhsa_float_denorm_mode_32 3
		.amdhsa_float_denorm_mode_16_64 3
		.amdhsa_dx10_clamp 1
		.amdhsa_ieee_mode 1
		.amdhsa_fp16_overflow 0
		.amdhsa_tg_split 0
		.amdhsa_exception_fp_ieee_invalid_op 0
		.amdhsa_exception_fp_denorm_src 0
		.amdhsa_exception_fp_ieee_div_zero 0
		.amdhsa_exception_fp_ieee_overflow 0
		.amdhsa_exception_fp_ieee_underflow 0
		.amdhsa_exception_fp_ieee_inexact 0
		.amdhsa_exception_int_div_zero 0
	.end_amdhsa_kernel
	.section	.text._ZN7rocprim17ROCPRIM_400000_NS6detail17trampoline_kernelINS0_14default_configENS1_27scan_by_key_config_selectorIitEEZZNS1_16scan_by_key_implILNS1_25lookback_scan_determinismE0ELb1ES3_N6thrust23THRUST_200600_302600_NS6detail15normal_iteratorINS9_10device_ptrIiEEEENSB_INSC_ItEEEESG_tNS9_4plusIvEENS9_8equal_toIvEEtEE10hipError_tPvRmT2_T3_T4_T5_mT6_T7_P12ihipStream_tbENKUlT_T0_E_clISt17integral_constantIbLb1EES10_IbLb0EEEEDaSW_SX_EUlSW_E_NS1_11comp_targetILNS1_3genE5ELNS1_11target_archE942ELNS1_3gpuE9ELNS1_3repE0EEENS1_30default_config_static_selectorELNS0_4arch9wavefront6targetE1EEEvT1_,"axG",@progbits,_ZN7rocprim17ROCPRIM_400000_NS6detail17trampoline_kernelINS0_14default_configENS1_27scan_by_key_config_selectorIitEEZZNS1_16scan_by_key_implILNS1_25lookback_scan_determinismE0ELb1ES3_N6thrust23THRUST_200600_302600_NS6detail15normal_iteratorINS9_10device_ptrIiEEEENSB_INSC_ItEEEESG_tNS9_4plusIvEENS9_8equal_toIvEEtEE10hipError_tPvRmT2_T3_T4_T5_mT6_T7_P12ihipStream_tbENKUlT_T0_E_clISt17integral_constantIbLb1EES10_IbLb0EEEEDaSW_SX_EUlSW_E_NS1_11comp_targetILNS1_3genE5ELNS1_11target_archE942ELNS1_3gpuE9ELNS1_3repE0EEENS1_30default_config_static_selectorELNS0_4arch9wavefront6targetE1EEEvT1_,comdat
.Lfunc_end1555:
	.size	_ZN7rocprim17ROCPRIM_400000_NS6detail17trampoline_kernelINS0_14default_configENS1_27scan_by_key_config_selectorIitEEZZNS1_16scan_by_key_implILNS1_25lookback_scan_determinismE0ELb1ES3_N6thrust23THRUST_200600_302600_NS6detail15normal_iteratorINS9_10device_ptrIiEEEENSB_INSC_ItEEEESG_tNS9_4plusIvEENS9_8equal_toIvEEtEE10hipError_tPvRmT2_T3_T4_T5_mT6_T7_P12ihipStream_tbENKUlT_T0_E_clISt17integral_constantIbLb1EES10_IbLb0EEEEDaSW_SX_EUlSW_E_NS1_11comp_targetILNS1_3genE5ELNS1_11target_archE942ELNS1_3gpuE9ELNS1_3repE0EEENS1_30default_config_static_selectorELNS0_4arch9wavefront6targetE1EEEvT1_, .Lfunc_end1555-_ZN7rocprim17ROCPRIM_400000_NS6detail17trampoline_kernelINS0_14default_configENS1_27scan_by_key_config_selectorIitEEZZNS1_16scan_by_key_implILNS1_25lookback_scan_determinismE0ELb1ES3_N6thrust23THRUST_200600_302600_NS6detail15normal_iteratorINS9_10device_ptrIiEEEENSB_INSC_ItEEEESG_tNS9_4plusIvEENS9_8equal_toIvEEtEE10hipError_tPvRmT2_T3_T4_T5_mT6_T7_P12ihipStream_tbENKUlT_T0_E_clISt17integral_constantIbLb1EES10_IbLb0EEEEDaSW_SX_EUlSW_E_NS1_11comp_targetILNS1_3genE5ELNS1_11target_archE942ELNS1_3gpuE9ELNS1_3repE0EEENS1_30default_config_static_selectorELNS0_4arch9wavefront6targetE1EEEvT1_
                                        ; -- End function
	.section	.AMDGPU.csdata,"",@progbits
; Kernel info:
; codeLenInByte = 0
; NumSgprs: 4
; NumVgprs: 0
; NumAgprs: 0
; TotalNumVgprs: 0
; ScratchSize: 0
; MemoryBound: 0
; FloatMode: 240
; IeeeMode: 1
; LDSByteSize: 0 bytes/workgroup (compile time only)
; SGPRBlocks: 0
; VGPRBlocks: 0
; NumSGPRsForWavesPerEU: 4
; NumVGPRsForWavesPerEU: 1
; AccumOffset: 4
; Occupancy: 8
; WaveLimiterHint : 0
; COMPUTE_PGM_RSRC2:SCRATCH_EN: 0
; COMPUTE_PGM_RSRC2:USER_SGPR: 6
; COMPUTE_PGM_RSRC2:TRAP_HANDLER: 0
; COMPUTE_PGM_RSRC2:TGID_X_EN: 1
; COMPUTE_PGM_RSRC2:TGID_Y_EN: 0
; COMPUTE_PGM_RSRC2:TGID_Z_EN: 0
; COMPUTE_PGM_RSRC2:TIDIG_COMP_CNT: 0
; COMPUTE_PGM_RSRC3_GFX90A:ACCUM_OFFSET: 0
; COMPUTE_PGM_RSRC3_GFX90A:TG_SPLIT: 0
	.section	.text._ZN7rocprim17ROCPRIM_400000_NS6detail17trampoline_kernelINS0_14default_configENS1_27scan_by_key_config_selectorIitEEZZNS1_16scan_by_key_implILNS1_25lookback_scan_determinismE0ELb1ES3_N6thrust23THRUST_200600_302600_NS6detail15normal_iteratorINS9_10device_ptrIiEEEENSB_INSC_ItEEEESG_tNS9_4plusIvEENS9_8equal_toIvEEtEE10hipError_tPvRmT2_T3_T4_T5_mT6_T7_P12ihipStream_tbENKUlT_T0_E_clISt17integral_constantIbLb1EES10_IbLb0EEEEDaSW_SX_EUlSW_E_NS1_11comp_targetILNS1_3genE4ELNS1_11target_archE910ELNS1_3gpuE8ELNS1_3repE0EEENS1_30default_config_static_selectorELNS0_4arch9wavefront6targetE1EEEvT1_,"axG",@progbits,_ZN7rocprim17ROCPRIM_400000_NS6detail17trampoline_kernelINS0_14default_configENS1_27scan_by_key_config_selectorIitEEZZNS1_16scan_by_key_implILNS1_25lookback_scan_determinismE0ELb1ES3_N6thrust23THRUST_200600_302600_NS6detail15normal_iteratorINS9_10device_ptrIiEEEENSB_INSC_ItEEEESG_tNS9_4plusIvEENS9_8equal_toIvEEtEE10hipError_tPvRmT2_T3_T4_T5_mT6_T7_P12ihipStream_tbENKUlT_T0_E_clISt17integral_constantIbLb1EES10_IbLb0EEEEDaSW_SX_EUlSW_E_NS1_11comp_targetILNS1_3genE4ELNS1_11target_archE910ELNS1_3gpuE8ELNS1_3repE0EEENS1_30default_config_static_selectorELNS0_4arch9wavefront6targetE1EEEvT1_,comdat
	.protected	_ZN7rocprim17ROCPRIM_400000_NS6detail17trampoline_kernelINS0_14default_configENS1_27scan_by_key_config_selectorIitEEZZNS1_16scan_by_key_implILNS1_25lookback_scan_determinismE0ELb1ES3_N6thrust23THRUST_200600_302600_NS6detail15normal_iteratorINS9_10device_ptrIiEEEENSB_INSC_ItEEEESG_tNS9_4plusIvEENS9_8equal_toIvEEtEE10hipError_tPvRmT2_T3_T4_T5_mT6_T7_P12ihipStream_tbENKUlT_T0_E_clISt17integral_constantIbLb1EES10_IbLb0EEEEDaSW_SX_EUlSW_E_NS1_11comp_targetILNS1_3genE4ELNS1_11target_archE910ELNS1_3gpuE8ELNS1_3repE0EEENS1_30default_config_static_selectorELNS0_4arch9wavefront6targetE1EEEvT1_ ; -- Begin function _ZN7rocprim17ROCPRIM_400000_NS6detail17trampoline_kernelINS0_14default_configENS1_27scan_by_key_config_selectorIitEEZZNS1_16scan_by_key_implILNS1_25lookback_scan_determinismE0ELb1ES3_N6thrust23THRUST_200600_302600_NS6detail15normal_iteratorINS9_10device_ptrIiEEEENSB_INSC_ItEEEESG_tNS9_4plusIvEENS9_8equal_toIvEEtEE10hipError_tPvRmT2_T3_T4_T5_mT6_T7_P12ihipStream_tbENKUlT_T0_E_clISt17integral_constantIbLb1EES10_IbLb0EEEEDaSW_SX_EUlSW_E_NS1_11comp_targetILNS1_3genE4ELNS1_11target_archE910ELNS1_3gpuE8ELNS1_3repE0EEENS1_30default_config_static_selectorELNS0_4arch9wavefront6targetE1EEEvT1_
	.globl	_ZN7rocprim17ROCPRIM_400000_NS6detail17trampoline_kernelINS0_14default_configENS1_27scan_by_key_config_selectorIitEEZZNS1_16scan_by_key_implILNS1_25lookback_scan_determinismE0ELb1ES3_N6thrust23THRUST_200600_302600_NS6detail15normal_iteratorINS9_10device_ptrIiEEEENSB_INSC_ItEEEESG_tNS9_4plusIvEENS9_8equal_toIvEEtEE10hipError_tPvRmT2_T3_T4_T5_mT6_T7_P12ihipStream_tbENKUlT_T0_E_clISt17integral_constantIbLb1EES10_IbLb0EEEEDaSW_SX_EUlSW_E_NS1_11comp_targetILNS1_3genE4ELNS1_11target_archE910ELNS1_3gpuE8ELNS1_3repE0EEENS1_30default_config_static_selectorELNS0_4arch9wavefront6targetE1EEEvT1_
	.p2align	8
	.type	_ZN7rocprim17ROCPRIM_400000_NS6detail17trampoline_kernelINS0_14default_configENS1_27scan_by_key_config_selectorIitEEZZNS1_16scan_by_key_implILNS1_25lookback_scan_determinismE0ELb1ES3_N6thrust23THRUST_200600_302600_NS6detail15normal_iteratorINS9_10device_ptrIiEEEENSB_INSC_ItEEEESG_tNS9_4plusIvEENS9_8equal_toIvEEtEE10hipError_tPvRmT2_T3_T4_T5_mT6_T7_P12ihipStream_tbENKUlT_T0_E_clISt17integral_constantIbLb1EES10_IbLb0EEEEDaSW_SX_EUlSW_E_NS1_11comp_targetILNS1_3genE4ELNS1_11target_archE910ELNS1_3gpuE8ELNS1_3repE0EEENS1_30default_config_static_selectorELNS0_4arch9wavefront6targetE1EEEvT1_,@function
_ZN7rocprim17ROCPRIM_400000_NS6detail17trampoline_kernelINS0_14default_configENS1_27scan_by_key_config_selectorIitEEZZNS1_16scan_by_key_implILNS1_25lookback_scan_determinismE0ELb1ES3_N6thrust23THRUST_200600_302600_NS6detail15normal_iteratorINS9_10device_ptrIiEEEENSB_INSC_ItEEEESG_tNS9_4plusIvEENS9_8equal_toIvEEtEE10hipError_tPvRmT2_T3_T4_T5_mT6_T7_P12ihipStream_tbENKUlT_T0_E_clISt17integral_constantIbLb1EES10_IbLb0EEEEDaSW_SX_EUlSW_E_NS1_11comp_targetILNS1_3genE4ELNS1_11target_archE910ELNS1_3gpuE8ELNS1_3repE0EEENS1_30default_config_static_selectorELNS0_4arch9wavefront6targetE1EEEvT1_: ; @_ZN7rocprim17ROCPRIM_400000_NS6detail17trampoline_kernelINS0_14default_configENS1_27scan_by_key_config_selectorIitEEZZNS1_16scan_by_key_implILNS1_25lookback_scan_determinismE0ELb1ES3_N6thrust23THRUST_200600_302600_NS6detail15normal_iteratorINS9_10device_ptrIiEEEENSB_INSC_ItEEEESG_tNS9_4plusIvEENS9_8equal_toIvEEtEE10hipError_tPvRmT2_T3_T4_T5_mT6_T7_P12ihipStream_tbENKUlT_T0_E_clISt17integral_constantIbLb1EES10_IbLb0EEEEDaSW_SX_EUlSW_E_NS1_11comp_targetILNS1_3genE4ELNS1_11target_archE910ELNS1_3gpuE8ELNS1_3repE0EEENS1_30default_config_static_selectorELNS0_4arch9wavefront6targetE1EEEvT1_
; %bb.0:
	s_load_dwordx8 s[48:55], s[4:5], 0x0
	s_load_dword s7, s[4:5], 0x20
	s_load_dwordx4 s[56:59], s[4:5], 0x28
	s_load_dwordx2 s[68:69], s[4:5], 0x38
	s_load_dword s2, s[4:5], 0x40
	s_load_dwordx4 s[60:63], s[4:5], 0x48
	s_waitcnt lgkmcnt(0)
	s_lshl_b64 s[0:1], s[50:51], 2
	s_add_u32 s4, s48, s0
	s_addc_u32 s5, s49, s1
	s_lshl_b64 s[64:65], s[50:51], 1
	s_add_u32 s8, s52, s64
	s_mul_i32 s0, s69, s2
	s_mul_hi_u32 s1, s68, s2
	s_addc_u32 s9, s53, s65
	s_add_i32 s10, s1, s0
	s_mul_i32 s0, s6, 0x600
	s_mov_b32 s1, 0
	s_mul_i32 s11, s68, s2
	s_lshl_b64 s[2:3], s[0:1], 2
	s_add_u32 s70, s4, s2
	s_addc_u32 s71, s5, s3
	s_lshl_b64 s[66:67], s[0:1], 1
	s_add_u32 s59, s8, s66
	s_addc_u32 s78, s9, s67
	s_add_u32 s0, s11, s6
	s_addc_u32 s1, s10, 0
	s_add_u32 s4, s60, -1
	s_addc_u32 s5, s61, -1
	v_pk_mov_b32 v[2:3], s[4:5], s[4:5] op_sel:[0,1]
	v_cmp_ge_u64_e64 s[0:1], s[0:1], v[2:3]
	s_mov_b64 s[2:3], -1
	s_and_b64 vcc, exec, s[0:1]
	s_mul_i32 s33, s4, 0xfffffa00
	s_waitcnt lgkmcnt(0)
	; wave barrier
	s_cbranch_vccz .LBB1556_126
; %bb.1:
	v_pk_mov_b32 v[2:3], s[70:71], s[70:71] op_sel:[0,1]
	flat_load_dword v1, v[2:3]
	s_add_i32 s76, s33, s58
	v_cmp_gt_u32_e32 vcc, s76, v0
	s_waitcnt vmcnt(0) lgkmcnt(0)
	v_mov_b32_e32 v2, v1
	s_and_saveexec_b64 s[4:5], vcc
	s_cbranch_execz .LBB1556_3
; %bb.2:
	v_lshlrev_b32_e32 v2, 2, v0
	v_mov_b32_e32 v3, s71
	v_add_co_u32_e64 v2, s[2:3], s70, v2
	v_addc_co_u32_e64 v3, s[2:3], 0, v3, s[2:3]
	flat_load_dword v2, v[2:3]
.LBB1556_3:
	s_or_b64 exec, exec, s[4:5]
	v_or_b32_e32 v3, 64, v0
	v_cmp_gt_u32_e64 s[2:3], s76, v3
	v_mov_b32_e32 v3, v1
	s_and_saveexec_b64 s[8:9], s[2:3]
	s_cbranch_execz .LBB1556_5
; %bb.4:
	v_lshlrev_b32_e32 v3, 2, v0
	v_mov_b32_e32 v5, s71
	v_add_co_u32_e64 v4, s[4:5], s70, v3
	v_addc_co_u32_e64 v5, s[4:5], 0, v5, s[4:5]
	flat_load_dword v3, v[4:5] offset:256
.LBB1556_5:
	s_or_b64 exec, exec, s[8:9]
	v_or_b32_e32 v4, 0x80, v0
	v_cmp_gt_u32_e64 s[4:5], s76, v4
	v_mov_b32_e32 v4, v1
	s_and_saveexec_b64 s[10:11], s[4:5]
	s_cbranch_execz .LBB1556_7
; %bb.6:
	v_lshlrev_b32_e32 v4, 2, v0
	v_mov_b32_e32 v5, s71
	v_add_co_u32_e64 v4, s[8:9], s70, v4
	v_addc_co_u32_e64 v5, s[8:9], 0, v5, s[8:9]
	flat_load_dword v4, v[4:5] offset:512
.LBB1556_7:
	;; [unrolled: 13-line block ×15, first 2 shown]
	s_or_b64 exec, exec, s[36:37]
	v_or_b32_e32 v19, 0x400, v0
	v_cmp_gt_u32_e64 s[34:35], s76, v19
	v_mov_b32_e32 v18, v1
	s_and_saveexec_b64 s[38:39], s[34:35]
	s_cbranch_execz .LBB1556_35
; %bb.34:
	v_lshlrev_b32_e32 v18, 2, v19
	v_mov_b32_e32 v19, s71
	v_add_co_u32_e64 v18, s[36:37], s70, v18
	v_addc_co_u32_e64 v19, s[36:37], 0, v19, s[36:37]
	flat_load_dword v18, v[18:19]
.LBB1556_35:
	s_or_b64 exec, exec, s[38:39]
	v_or_b32_e32 v20, 0x440, v0
	v_cmp_gt_u32_e64 s[36:37], s76, v20
	v_mov_b32_e32 v19, v1
	s_and_saveexec_b64 s[40:41], s[36:37]
	s_cbranch_execz .LBB1556_37
; %bb.36:
	v_lshlrev_b32_e32 v19, 2, v20
	v_mov_b32_e32 v21, s71
	v_add_co_u32_e64 v20, s[38:39], s70, v19
	v_addc_co_u32_e64 v21, s[38:39], 0, v21, s[38:39]
	flat_load_dword v19, v[20:21]
.LBB1556_37:
	;; [unrolled: 13-line block ×7, first 2 shown]
	s_or_b64 exec, exec, s[52:53]
	v_or_b32_e32 v25, 0x5c0, v0
	v_cmp_gt_u32_e64 s[48:49], s76, v25
	s_and_saveexec_b64 s[60:61], s[48:49]
	s_cbranch_execz .LBB1556_49
; %bb.48:
	v_lshlrev_b32_e32 v1, 2, v25
	v_mov_b32_e32 v25, s71
	v_add_co_u32_e64 v26, s[52:53], s70, v1
	v_addc_co_u32_e64 v27, s[52:53], 0, v25, s[52:53]
	flat_load_dword v1, v[26:27]
.LBB1556_49:
	s_or_b64 exec, exec, s[60:61]
	v_lshlrev_b32_e32 v46, 2, v0
	s_waitcnt vmcnt(0) lgkmcnt(0)
	ds_write2st64_b32 v46, v2, v3 offset1:1
	ds_write2st64_b32 v46, v4, v5 offset0:2 offset1:3
	ds_write2st64_b32 v46, v6, v7 offset0:4 offset1:5
	;; [unrolled: 1-line block ×11, first 2 shown]
	v_pk_mov_b32 v[2:3], s[70:71], s[70:71] op_sel:[0,1]
	s_waitcnt lgkmcnt(0)
	; wave barrier
	s_waitcnt lgkmcnt(0)
	flat_load_dword v52, v[2:3]
	s_movk_i32 s52, 0x5c
	v_mad_u32_u24 v1, v0, s52, v46
	s_movk_i32 s52, 0xffa4
	ds_read_b128 v[42:45], v1
	ds_read_b128 v[38:41], v1 offset:16
	ds_read_b128 v[34:37], v1 offset:32
	;; [unrolled: 1-line block ×5, first 2 shown]
	v_mad_i32_i24 v1, v0, s52, v1
	v_cmp_ne_u32_e64 s[52:53], 63, v0
	s_waitcnt lgkmcnt(0)
	ds_write_b32 v1, v42 offset:6400
	s_waitcnt lgkmcnt(0)
	; wave barrier
	s_waitcnt lgkmcnt(0)
	s_and_saveexec_b64 s[60:61], s[52:53]
	s_cbranch_execz .LBB1556_51
; %bb.50:
	s_waitcnt vmcnt(0)
	ds_read_b32 v52, v46 offset:6404
.LBB1556_51:
	s_or_b64 exec, exec, s[60:61]
	s_waitcnt lgkmcnt(0)
	; wave barrier
	s_waitcnt lgkmcnt(0)
                                        ; implicit-def: $vgpr2
	s_and_saveexec_b64 s[52:53], vcc
	s_cbranch_execz .LBB1556_197
; %bb.52:
	v_lshlrev_b32_e32 v2, 1, v0
	v_mov_b32_e32 v3, s78
	v_add_co_u32_e32 v2, vcc, s59, v2
	v_addc_co_u32_e32 v3, vcc, 0, v3, vcc
	flat_load_ushort v2, v[2:3]
	s_or_b64 exec, exec, s[52:53]
                                        ; implicit-def: $vgpr3
	s_and_saveexec_b64 s[52:53], s[2:3]
	s_cbranch_execnz .LBB1556_198
.LBB1556_53:
	s_or_b64 exec, exec, s[52:53]
                                        ; implicit-def: $vgpr4
	s_and_saveexec_b64 s[2:3], s[4:5]
	s_cbranch_execz .LBB1556_199
.LBB1556_54:
	v_lshlrev_b32_e32 v4, 1, v0
	v_mov_b32_e32 v5, s78
	v_add_co_u32_e32 v4, vcc, s59, v4
	v_addc_co_u32_e32 v5, vcc, 0, v5, vcc
	flat_load_ushort v4, v[4:5] offset:256
	s_or_b64 exec, exec, s[2:3]
                                        ; implicit-def: $vgpr5
	s_and_saveexec_b64 s[2:3], s[50:51]
	s_cbranch_execnz .LBB1556_200
.LBB1556_55:
	s_or_b64 exec, exec, s[2:3]
                                        ; implicit-def: $vgpr6
	s_and_saveexec_b64 s[2:3], s[8:9]
	s_cbranch_execz .LBB1556_201
.LBB1556_56:
	v_lshlrev_b32_e32 v6, 1, v0
	v_mov_b32_e32 v7, s78
	v_add_co_u32_e32 v6, vcc, s59, v6
	v_addc_co_u32_e32 v7, vcc, 0, v7, vcc
	flat_load_ushort v6, v[6:7] offset:512
	s_or_b64 exec, exec, s[2:3]
                                        ; implicit-def: $vgpr7
	s_and_saveexec_b64 s[2:3], s[10:11]
	s_cbranch_execnz .LBB1556_202
.LBB1556_57:
	s_or_b64 exec, exec, s[2:3]
                                        ; implicit-def: $vgpr8
	s_and_saveexec_b64 s[2:3], s[12:13]
	s_cbranch_execz .LBB1556_203
.LBB1556_58:
	v_lshlrev_b32_e32 v8, 1, v0
	v_mov_b32_e32 v9, s78
	v_add_co_u32_e32 v8, vcc, s59, v8
	v_addc_co_u32_e32 v9, vcc, 0, v9, vcc
	flat_load_ushort v8, v[8:9] offset:768
	s_or_b64 exec, exec, s[2:3]
                                        ; implicit-def: $vgpr9
	s_and_saveexec_b64 s[2:3], s[14:15]
	s_cbranch_execnz .LBB1556_204
.LBB1556_59:
	s_or_b64 exec, exec, s[2:3]
                                        ; implicit-def: $vgpr10
	s_and_saveexec_b64 s[2:3], s[16:17]
	s_cbranch_execz .LBB1556_205
.LBB1556_60:
	v_lshlrev_b32_e32 v10, 1, v0
	v_mov_b32_e32 v11, s78
	v_add_co_u32_e32 v10, vcc, s59, v10
	v_addc_co_u32_e32 v11, vcc, 0, v11, vcc
	flat_load_ushort v10, v[10:11] offset:1024
	s_or_b64 exec, exec, s[2:3]
                                        ; implicit-def: $vgpr11
	s_and_saveexec_b64 s[2:3], s[18:19]
	s_cbranch_execnz .LBB1556_206
.LBB1556_61:
	s_or_b64 exec, exec, s[2:3]
                                        ; implicit-def: $vgpr12
	s_and_saveexec_b64 s[2:3], s[20:21]
	s_cbranch_execz .LBB1556_207
.LBB1556_62:
	v_lshlrev_b32_e32 v12, 1, v0
	v_mov_b32_e32 v13, s78
	v_add_co_u32_e32 v12, vcc, s59, v12
	v_addc_co_u32_e32 v13, vcc, 0, v13, vcc
	flat_load_ushort v12, v[12:13] offset:1280
	s_or_b64 exec, exec, s[2:3]
                                        ; implicit-def: $vgpr13
	s_and_saveexec_b64 s[2:3], s[22:23]
	s_cbranch_execnz .LBB1556_208
.LBB1556_63:
	s_or_b64 exec, exec, s[2:3]
                                        ; implicit-def: $vgpr14
	s_and_saveexec_b64 s[2:3], s[24:25]
	s_cbranch_execz .LBB1556_209
.LBB1556_64:
	v_lshlrev_b32_e32 v14, 1, v0
	v_mov_b32_e32 v15, s78
	v_add_co_u32_e32 v14, vcc, s59, v14
	v_addc_co_u32_e32 v15, vcc, 0, v15, vcc
	flat_load_ushort v14, v[14:15] offset:1536
	s_or_b64 exec, exec, s[2:3]
                                        ; implicit-def: $vgpr15
	s_and_saveexec_b64 s[2:3], s[26:27]
	s_cbranch_execnz .LBB1556_210
.LBB1556_65:
	s_or_b64 exec, exec, s[2:3]
                                        ; implicit-def: $vgpr16
	s_and_saveexec_b64 s[2:3], s[28:29]
	s_cbranch_execz .LBB1556_211
.LBB1556_66:
	v_lshlrev_b32_e32 v16, 1, v0
	v_mov_b32_e32 v17, s78
	v_add_co_u32_e32 v16, vcc, s59, v16
	v_addc_co_u32_e32 v17, vcc, 0, v17, vcc
	flat_load_ushort v16, v[16:17] offset:1792
	s_or_b64 exec, exec, s[2:3]
                                        ; implicit-def: $vgpr17
	s_and_saveexec_b64 s[2:3], s[30:31]
	s_cbranch_execnz .LBB1556_212
.LBB1556_67:
	s_or_b64 exec, exec, s[2:3]
                                        ; implicit-def: $vgpr18
	s_and_saveexec_b64 s[2:3], s[34:35]
	s_cbranch_execz .LBB1556_213
.LBB1556_68:
	v_lshlrev_b32_e32 v18, 1, v0
	v_mov_b32_e32 v19, s78
	v_add_co_u32_e32 v18, vcc, s59, v18
	v_addc_co_u32_e32 v19, vcc, 0, v19, vcc
	flat_load_ushort v18, v[18:19] offset:2048
	s_or_b64 exec, exec, s[2:3]
                                        ; implicit-def: $vgpr19
	s_and_saveexec_b64 s[2:3], s[36:37]
	s_cbranch_execnz .LBB1556_214
.LBB1556_69:
	s_or_b64 exec, exec, s[2:3]
                                        ; implicit-def: $vgpr20
	s_and_saveexec_b64 s[2:3], s[38:39]
	s_cbranch_execz .LBB1556_215
.LBB1556_70:
	v_lshlrev_b32_e32 v20, 1, v0
	v_mov_b32_e32 v21, s78
	v_add_co_u32_e32 v20, vcc, s59, v20
	v_addc_co_u32_e32 v21, vcc, 0, v21, vcc
	flat_load_ushort v20, v[20:21] offset:2304
	s_or_b64 exec, exec, s[2:3]
                                        ; implicit-def: $vgpr21
	s_and_saveexec_b64 s[2:3], s[40:41]
	s_cbranch_execnz .LBB1556_216
.LBB1556_71:
	s_or_b64 exec, exec, s[2:3]
                                        ; implicit-def: $vgpr47
	s_and_saveexec_b64 s[2:3], s[42:43]
	s_cbranch_execz .LBB1556_217
.LBB1556_72:
	v_lshlrev_b32_e32 v46, 1, v0
	v_mov_b32_e32 v47, s78
	v_add_co_u32_e32 v46, vcc, s59, v46
	v_addc_co_u32_e32 v47, vcc, 0, v47, vcc
	flat_load_ushort v47, v[46:47] offset:2560
	s_or_b64 exec, exec, s[2:3]
                                        ; implicit-def: $vgpr48
	s_and_saveexec_b64 s[2:3], s[44:45]
	s_cbranch_execnz .LBB1556_218
.LBB1556_73:
	s_or_b64 exec, exec, s[2:3]
                                        ; implicit-def: $vgpr49
	s_and_saveexec_b64 s[2:3], s[46:47]
	s_cbranch_execz .LBB1556_75
.LBB1556_74:
	v_lshlrev_b32_e32 v46, 1, v0
	v_mov_b32_e32 v49, s78
	v_add_co_u32_e32 v50, vcc, s59, v46
	v_addc_co_u32_e32 v51, vcc, 0, v49, vcc
	flat_load_ushort v49, v[50:51] offset:2816
.LBB1556_75:
	s_or_b64 exec, exec, s[2:3]
	v_mul_u32_u24_e32 v54, 24, v0
                                        ; implicit-def: $vgpr50
	s_and_saveexec_b64 s[2:3], s[48:49]
	s_cbranch_execz .LBB1556_77
; %bb.76:
	v_lshlrev_b32_e32 v46, 1, v0
	v_mov_b32_e32 v51, s78
	v_add_co_u32_e32 v50, vcc, s59, v46
	v_addc_co_u32_e32 v51, vcc, 0, v51, vcc
	flat_load_ushort v50, v[50:51] offset:2944
.LBB1556_77:
	s_or_b64 exec, exec, s[2:3]
	v_lshlrev_b32_e32 v46, 1, v0
	s_mov_b32 s8, 0
	v_sub_u32_e32 v46, v1, v46
	s_mov_b32 s9, s8
	s_waitcnt vmcnt(0) lgkmcnt(0)
	ds_write_b16 v46, v2
	ds_write_b16 v46, v3 offset:128
	ds_write_b16 v46, v4 offset:256
	;; [unrolled: 1-line block ×23, first 2 shown]
	s_mov_b32 s10, s8
	s_mov_b32 s11, s8
	;; [unrolled: 1-line block ×6, first 2 shown]
	v_pk_mov_b32 v[2:3], s[8:9], s[8:9] op_sel:[0,1]
	s_mov_b32 s18, s8
	s_mov_b32 s19, s8
	v_pk_mov_b32 v[8:9], s[14:15], s[14:15] op_sel:[0,1]
	s_mov_b32 s16, s8
	s_mov_b32 s17, s8
	v_pk_mov_b32 v[20:21], s[18:19], s[18:19] op_sel:[0,1]
	v_pk_mov_b32 v[4:5], s[10:11], s[10:11] op_sel:[0,1]
	;; [unrolled: 1-line block ×4, first 2 shown]
	v_cmp_gt_u32_e32 vcc, s76, v54
	s_mov_b64 s[2:3], 0
	v_pk_mov_b32 v[18:19], s[16:17], s[16:17] op_sel:[0,1]
	v_mov_b32_e32 v1, 0
	s_mov_b64 s[12:13], 0
	v_pk_mov_b32 v[14:15], v[6:7], v[6:7] op_sel:[0,1]
	v_pk_mov_b32 v[12:13], v[4:5], v[4:5] op_sel:[0,1]
	;; [unrolled: 1-line block ×3, first 2 shown]
	v_mov_b32_e32 v50, 0
	v_mov_b32_e32 v51, 0
	s_waitcnt lgkmcnt(0)
	; wave barrier
	s_waitcnt lgkmcnt(0)
                                        ; implicit-def: $sgpr10_sgpr11
                                        ; implicit-def: $vgpr53
	s_and_saveexec_b64 s[4:5], vcc
	s_cbranch_execz .LBB1556_125
; %bb.78:
	v_mad_u32_u24 v1, v0, 46, v46
	ds_read_u16 v1, v1
	v_mov_b32_e32 v3, s7
	v_cmp_eq_u32_e32 vcc, v42, v43
	s_mov_b32 s12, 0
	v_or_b32_e32 v2, 1, v54
	s_waitcnt lgkmcnt(0)
	v_cndmask_b32_e32 v1, v3, v1, vcc
	v_cmp_ne_u32_e32 vcc, v42, v43
	v_and_b32_e32 v1, 0xffff, v1
	v_cndmask_b32_e64 v3, 0, 1, vcc
	s_mov_b32 s13, s12
	v_lshl_or_b32 v1, v3, 16, v1
	v_cmp_gt_u32_e32 vcc, s76, v2
	s_mov_b32 s14, s12
	s_mov_b32 s15, s12
	;; [unrolled: 1-line block ×6, first 2 shown]
	v_pk_mov_b32 v[2:3], s[12:13], s[12:13] op_sel:[0,1]
	s_mov_b32 s20, s12
	s_mov_b32 s21, s12
	v_pk_mov_b32 v[8:9], s[18:19], s[18:19] op_sel:[0,1]
	s_mov_b32 s22, s12
	s_mov_b32 s23, s12
	v_pk_mov_b32 v[18:19], s[20:21], s[20:21] op_sel:[0,1]
	v_pk_mov_b32 v[4:5], s[14:15], s[14:15] op_sel:[0,1]
	;; [unrolled: 1-line block ×4, first 2 shown]
	s_mov_b64 s[24:25], 0
	v_pk_mov_b32 v[20:21], s[22:23], s[22:23] op_sel:[0,1]
	v_mov_b32_e32 v50, 0
	v_pk_mov_b32 v[14:15], v[6:7], v[6:7] op_sel:[0,1]
	v_pk_mov_b32 v[12:13], v[4:5], v[4:5] op_sel:[0,1]
	v_pk_mov_b32 v[10:11], v[2:3], v[2:3] op_sel:[0,1]
	v_mov_b32_e32 v51, 0
                                        ; implicit-def: $sgpr26_sgpr27
                                        ; implicit-def: $vgpr53
	s_and_saveexec_b64 s[10:11], vcc
	s_cbranch_execz .LBB1556_124
; %bb.79:
	v_mul_u32_u24_e32 v2, 46, v0
	v_add_u32_e32 v42, v46, v2
	ds_read_b128 v[46:49], v42 offset:2
	v_mov_b32_e32 v3, s7
	v_cmp_eq_u32_e32 vcc, v43, v44
	v_or_b32_e32 v2, 2, v54
	v_pk_mov_b32 v[18:19], s[20:21], s[20:21] op_sel:[0,1]
	s_waitcnt lgkmcnt(0)
	v_cndmask_b32_e32 v3, v3, v46, vcc
	v_cmp_ne_u32_e32 vcc, v43, v44
	v_and_b32_e32 v3, 0xffff, v3
	v_cndmask_b32_e64 v4, 0, 1, vcc
	v_lshl_or_b32 v50, v4, 16, v3
	v_cmp_gt_u32_e32 vcc, s76, v2
	v_pk_mov_b32 v[2:3], s[12:13], s[12:13] op_sel:[0,1]
	v_pk_mov_b32 v[8:9], s[18:19], s[18:19] op_sel:[0,1]
	;; [unrolled: 1-line block ×6, first 2 shown]
	v_mov_b32_e32 v51, 0
	v_pk_mov_b32 v[14:15], v[6:7], v[6:7] op_sel:[0,1]
	v_pk_mov_b32 v[12:13], v[4:5], v[4:5] op_sel:[0,1]
	;; [unrolled: 1-line block ×3, first 2 shown]
                                        ; implicit-def: $sgpr12_sgpr13
                                        ; implicit-def: $vgpr53
	s_and_saveexec_b64 s[20:21], vcc
	s_cbranch_execz .LBB1556_123
; %bb.80:
	v_lshrrev_b32_e32 v2, 16, v46
	v_mov_b32_e32 v4, s7
	v_cmp_eq_u32_e32 vcc, v44, v45
	v_cndmask_b32_e32 v2, v4, v2, vcc
	v_cmp_ne_u32_e32 vcc, v44, v45
	s_mov_b32 s12, 0
	v_or_b32_e32 v3, 3, v54
	v_and_b32_e32 v2, 0xffff, v2
	v_cndmask_b32_e64 v4, 0, 1, vcc
	s_mov_b32 s13, s12
	v_lshl_or_b32 v21, v4, 16, v2
	v_cmp_gt_u32_e32 vcc, s76, v3
	s_mov_b32 s14, s12
	s_mov_b32 s15, s12
	;; [unrolled: 1-line block ×6, first 2 shown]
	v_pk_mov_b32 v[2:3], s[12:13], s[12:13] op_sel:[0,1]
	v_pk_mov_b32 v[8:9], s[18:19], s[18:19] op_sel:[0,1]
	v_mov_b32_e32 v18, 0
	v_pk_mov_b32 v[4:5], s[14:15], s[14:15] op_sel:[0,1]
	v_pk_mov_b32 v[6:7], s[16:17], s[16:17] op_sel:[0,1]
	;; [unrolled: 1-line block ×3, first 2 shown]
	v_mov_b32_e32 v19, v18
	v_mov_b32_e32 v20, v18
	v_pk_mov_b32 v[14:15], v[6:7], v[6:7] op_sel:[0,1]
	v_pk_mov_b32 v[12:13], v[4:5], v[4:5] op_sel:[0,1]
	;; [unrolled: 1-line block ×3, first 2 shown]
	v_mov_b32_e32 v51, v18
                                        ; implicit-def: $sgpr28_sgpr29
                                        ; implicit-def: $vgpr53
	s_and_saveexec_b64 s[22:23], vcc
	s_cbranch_execz .LBB1556_122
; %bb.81:
	v_mov_b32_e32 v3, s7
	v_cmp_eq_u32_e32 vcc, v45, v38
	v_cndmask_b32_e32 v3, v3, v47, vcc
	v_cmp_ne_u32_e32 vcc, v45, v38
	v_or_b32_e32 v2, 4, v54
	v_and_b32_e32 v3, 0xffff, v3
	v_cndmask_b32_e64 v4, 0, 1, vcc
	v_lshl_or_b32 v20, v4, 16, v3
	v_cmp_gt_u32_e32 vcc, s76, v2
	v_pk_mov_b32 v[2:3], s[12:13], s[12:13] op_sel:[0,1]
	v_pk_mov_b32 v[8:9], s[18:19], s[18:19] op_sel:[0,1]
	v_mov_b32_e32 v18, 0
	v_pk_mov_b32 v[4:5], s[14:15], s[14:15] op_sel:[0,1]
	v_pk_mov_b32 v[6:7], s[16:17], s[16:17] op_sel:[0,1]
	;; [unrolled: 1-line block ×3, first 2 shown]
	v_mov_b32_e32 v19, v18
	s_mov_b64 s[26:27], 0
	v_pk_mov_b32 v[14:15], v[6:7], v[6:7] op_sel:[0,1]
	v_pk_mov_b32 v[12:13], v[4:5], v[4:5] op_sel:[0,1]
	;; [unrolled: 1-line block ×3, first 2 shown]
	v_mov_b32_e32 v51, v18
                                        ; implicit-def: $sgpr12_sgpr13
                                        ; implicit-def: $vgpr53
	s_and_saveexec_b64 s[24:25], vcc
	s_cbranch_execz .LBB1556_121
; %bb.82:
	v_lshrrev_b32_e32 v2, 16, v47
	v_mov_b32_e32 v4, s7
	v_cmp_eq_u32_e32 vcc, v38, v39
	v_cndmask_b32_e32 v2, v4, v2, vcc
	v_cmp_ne_u32_e32 vcc, v38, v39
	s_mov_b32 s12, 0
	v_or_b32_e32 v3, 5, v54
	v_and_b32_e32 v2, 0xffff, v2
	v_cndmask_b32_e64 v4, 0, 1, vcc
	s_mov_b32 s13, s12
	v_lshl_or_b32 v19, v4, 16, v2
	v_cmp_gt_u32_e32 vcc, s76, v3
	s_mov_b32 s14, s12
	s_mov_b32 s15, s12
	;; [unrolled: 1-line block ×6, first 2 shown]
	v_pk_mov_b32 v[2:3], s[12:13], s[12:13] op_sel:[0,1]
	v_pk_mov_b32 v[8:9], s[18:19], s[18:19] op_sel:[0,1]
	;; [unrolled: 1-line block ×5, first 2 shown]
	v_mov_b32_e32 v18, s12
	s_mov_b64 s[28:29], 0
	v_mov_b32_e32 v51, 0
	v_pk_mov_b32 v[14:15], v[6:7], v[6:7] op_sel:[0,1]
	v_pk_mov_b32 v[12:13], v[4:5], v[4:5] op_sel:[0,1]
	;; [unrolled: 1-line block ×3, first 2 shown]
                                        ; implicit-def: $sgpr34_sgpr35
                                        ; implicit-def: $vgpr53
	s_and_saveexec_b64 s[26:27], vcc
	s_cbranch_execz .LBB1556_120
; %bb.83:
	v_mov_b32_e32 v3, s7
	v_cmp_eq_u32_e32 vcc, v39, v40
	v_cndmask_b32_e32 v3, v3, v48, vcc
	v_cmp_ne_u32_e32 vcc, v39, v40
	v_or_b32_e32 v2, 6, v54
	v_and_b32_e32 v3, 0xffff, v3
	v_cndmask_b32_e64 v4, 0, 1, vcc
	v_lshl_or_b32 v18, v4, 16, v3
	v_cmp_gt_u32_e32 vcc, s76, v2
	v_pk_mov_b32 v[2:3], s[12:13], s[12:13] op_sel:[0,1]
	v_pk_mov_b32 v[8:9], s[18:19], s[18:19] op_sel:[0,1]
	;; [unrolled: 1-line block ×5, first 2 shown]
	s_mov_b64 s[30:31], 0
	v_mov_b32_e32 v51, 0
	v_pk_mov_b32 v[14:15], v[6:7], v[6:7] op_sel:[0,1]
	v_pk_mov_b32 v[12:13], v[4:5], v[4:5] op_sel:[0,1]
	;; [unrolled: 1-line block ×3, first 2 shown]
                                        ; implicit-def: $sgpr12_sgpr13
                                        ; implicit-def: $vgpr53
	s_and_saveexec_b64 s[28:29], vcc
	s_cbranch_execz .LBB1556_119
; %bb.84:
	v_lshrrev_b32_e32 v2, 16, v48
	v_mov_b32_e32 v4, s7
	v_cmp_eq_u32_e32 vcc, v40, v41
	v_cndmask_b32_e32 v2, v4, v2, vcc
	v_cmp_ne_u32_e32 vcc, v40, v41
	s_mov_b32 s12, 0
	v_or_b32_e32 v3, 7, v54
	v_and_b32_e32 v2, 0xffff, v2
	v_cndmask_b32_e64 v4, 0, 1, vcc
	s_mov_b32 s13, s12
	v_lshl_or_b32 v51, v4, 16, v2
	v_cmp_gt_u32_e32 vcc, s76, v3
	s_mov_b32 s14, s12
	s_mov_b32 s15, s12
	;; [unrolled: 1-line block ×6, first 2 shown]
	v_pk_mov_b32 v[2:3], s[12:13], s[12:13] op_sel:[0,1]
	v_pk_mov_b32 v[8:9], s[18:19], s[18:19] op_sel:[0,1]
	;; [unrolled: 1-line block ×5, first 2 shown]
	s_mov_b64 s[34:35], 0
	v_pk_mov_b32 v[14:15], v[6:7], v[6:7] op_sel:[0,1]
	v_pk_mov_b32 v[12:13], v[4:5], v[4:5] op_sel:[0,1]
	;; [unrolled: 1-line block ×3, first 2 shown]
                                        ; implicit-def: $sgpr38_sgpr39
                                        ; implicit-def: $vgpr53
	s_and_saveexec_b64 s[30:31], vcc
	s_cbranch_execz .LBB1556_118
; %bb.85:
	v_mov_b32_e32 v3, s7
	v_cmp_eq_u32_e32 vcc, v41, v34
	v_add_u32_e32 v2, 8, v54
	v_cndmask_b32_e32 v3, v3, v49, vcc
	v_cmp_ne_u32_e32 vcc, v41, v34
	v_and_b32_e32 v3, 0xffff, v3
	v_cndmask_b32_e64 v4, 0, 1, vcc
	v_cmp_gt_u32_e32 vcc, s76, v2
	v_mov_b32_e32 v2, 0
	v_pk_mov_b32 v[10:11], s[12:13], s[12:13] op_sel:[0,1]
	v_lshl_or_b32 v9, v4, 16, v3
	v_mov_b32_e32 v3, v2
	v_mov_b32_e32 v4, v2
	;; [unrolled: 1-line block ×6, first 2 shown]
	s_mov_b64 s[36:37], 0
	v_pk_mov_b32 v[12:13], s[14:15], s[14:15] op_sel:[0,1]
	v_pk_mov_b32 v[14:15], s[16:17], s[16:17] op_sel:[0,1]
	;; [unrolled: 1-line block ×3, first 2 shown]
                                        ; implicit-def: $sgpr12_sgpr13
                                        ; implicit-def: $vgpr53
	s_and_saveexec_b64 s[34:35], vcc
	s_cbranch_execz .LBB1556_117
; %bb.86:
	v_lshrrev_b32_e32 v3, 16, v49
	v_mov_b32_e32 v5, s7
	v_cmp_eq_u32_e32 vcc, v34, v35
	s_mov_b32 s12, 0
	v_cndmask_b32_e32 v3, v5, v3, vcc
	v_cmp_ne_u32_e32 vcc, v34, v35
	s_mov_b32 s13, s12
	v_add_u32_e32 v4, 9, v54
	v_and_b32_e32 v3, 0xffff, v3
	v_cndmask_b32_e64 v5, 0, 1, vcc
	s_mov_b32 s14, s12
	s_mov_b32 s15, s12
	;; [unrolled: 1-line block ×6, first 2 shown]
	v_pk_mov_b32 v[10:11], s[12:13], s[12:13] op_sel:[0,1]
	v_lshl_or_b32 v8, v5, 16, v3
	v_cmp_gt_u32_e32 vcc, s76, v4
	v_mov_b32_e32 v3, v2
	v_mov_b32_e32 v4, v2
	;; [unrolled: 1-line block ×5, first 2 shown]
	s_mov_b64 s[38:39], 0
	v_pk_mov_b32 v[12:13], s[14:15], s[14:15] op_sel:[0,1]
	v_pk_mov_b32 v[14:15], s[16:17], s[16:17] op_sel:[0,1]
	;; [unrolled: 1-line block ×3, first 2 shown]
                                        ; implicit-def: $sgpr42_sgpr43
                                        ; implicit-def: $vgpr53
	s_and_saveexec_b64 s[36:37], vcc
	s_cbranch_execz .LBB1556_116
; %bb.87:
	ds_read_b128 v[38:41], v42 offset:18
	v_mov_b32_e32 v3, s7
	v_cmp_eq_u32_e32 vcc, v35, v36
	v_add_u32_e32 v2, 10, v54
	v_pk_mov_b32 v[10:11], s[12:13], s[12:13] op_sel:[0,1]
	s_waitcnt lgkmcnt(0)
	v_cndmask_b32_e32 v3, v3, v38, vcc
	v_cmp_ne_u32_e32 vcc, v35, v36
	v_and_b32_e32 v3, 0xffff, v3
	v_cndmask_b32_e64 v4, 0, 1, vcc
	v_cmp_gt_u32_e32 vcc, s76, v2
	v_mov_b32_e32 v2, 0
	v_lshl_or_b32 v7, v4, 16, v3
	v_mov_b32_e32 v3, v2
	v_mov_b32_e32 v4, v2
	;; [unrolled: 1-line block ×4, first 2 shown]
	s_mov_b64 s[40:41], 0
	v_pk_mov_b32 v[12:13], s[14:15], s[14:15] op_sel:[0,1]
	v_pk_mov_b32 v[14:15], s[16:17], s[16:17] op_sel:[0,1]
	;; [unrolled: 1-line block ×3, first 2 shown]
                                        ; implicit-def: $sgpr12_sgpr13
                                        ; implicit-def: $vgpr53
	s_and_saveexec_b64 s[38:39], vcc
	s_cbranch_execz .LBB1556_115
; %bb.88:
	v_lshrrev_b32_e32 v3, 16, v38
	v_mov_b32_e32 v5, s7
	v_cmp_eq_u32_e32 vcc, v36, v37
	s_mov_b32 s12, 0
	v_cndmask_b32_e32 v3, v5, v3, vcc
	v_cmp_ne_u32_e32 vcc, v36, v37
	s_mov_b32 s13, s12
	v_add_u32_e32 v4, 11, v54
	v_and_b32_e32 v3, 0xffff, v3
	v_cndmask_b32_e64 v5, 0, 1, vcc
	s_mov_b32 s14, s12
	s_mov_b32 s15, s12
	s_mov_b32 s16, s12
	s_mov_b32 s17, s12
	s_mov_b32 s18, s12
	s_mov_b32 s19, s12
	v_pk_mov_b32 v[10:11], s[12:13], s[12:13] op_sel:[0,1]
	v_lshl_or_b32 v6, v5, 16, v3
	v_cmp_gt_u32_e32 vcc, s76, v4
	v_mov_b32_e32 v3, v2
	v_mov_b32_e32 v4, v2
	;; [unrolled: 1-line block ×3, first 2 shown]
	s_mov_b64 s[42:43], 0
	v_pk_mov_b32 v[12:13], s[14:15], s[14:15] op_sel:[0,1]
	v_pk_mov_b32 v[14:15], s[16:17], s[16:17] op_sel:[0,1]
	;; [unrolled: 1-line block ×3, first 2 shown]
                                        ; implicit-def: $sgpr46_sgpr47
                                        ; implicit-def: $vgpr53
	s_and_saveexec_b64 s[40:41], vcc
	s_cbranch_execz .LBB1556_114
; %bb.89:
	v_mov_b32_e32 v3, s7
	v_cmp_eq_u32_e32 vcc, v37, v30
	v_add_u32_e32 v2, 12, v54
	v_cndmask_b32_e32 v3, v3, v39, vcc
	v_cmp_ne_u32_e32 vcc, v37, v30
	v_and_b32_e32 v3, 0xffff, v3
	v_cndmask_b32_e64 v4, 0, 1, vcc
	v_cmp_gt_u32_e32 vcc, s76, v2
	v_mov_b32_e32 v2, 0
	v_pk_mov_b32 v[10:11], s[12:13], s[12:13] op_sel:[0,1]
	v_lshl_or_b32 v5, v4, 16, v3
	v_mov_b32_e32 v3, v2
	v_mov_b32_e32 v4, v2
	s_mov_b64 s[44:45], 0
	v_pk_mov_b32 v[12:13], s[14:15], s[14:15] op_sel:[0,1]
	v_pk_mov_b32 v[14:15], s[16:17], s[16:17] op_sel:[0,1]
	v_pk_mov_b32 v[16:17], s[18:19], s[18:19] op_sel:[0,1]
                                        ; implicit-def: $sgpr12_sgpr13
                                        ; implicit-def: $vgpr53
	s_and_saveexec_b64 s[42:43], vcc
	s_cbranch_execz .LBB1556_113
; %bb.90:
	v_lshrrev_b32_e32 v3, 16, v39
	v_mov_b32_e32 v4, s7
	v_cmp_eq_u32_e32 vcc, v30, v31
	s_mov_b32 s12, 0
	v_add_u32_e32 v10, 13, v54
	v_cndmask_b32_e32 v3, v4, v3, vcc
	v_cmp_ne_u32_e32 vcc, v30, v31
	s_mov_b32 s13, s12
	v_and_b32_e32 v3, 0xffff, v3
	v_cndmask_b32_e64 v4, 0, 1, vcc
	v_cmp_gt_u32_e32 vcc, s76, v10
	s_mov_b32 s14, s12
	s_mov_b32 s15, s12
	;; [unrolled: 1-line block ×6, first 2 shown]
	v_pk_mov_b32 v[10:11], s[12:13], s[12:13] op_sel:[0,1]
	v_lshl_or_b32 v4, v4, 16, v3
	v_mov_b32_e32 v3, v2
	s_mov_b64 s[46:47], 0
	v_pk_mov_b32 v[12:13], s[14:15], s[14:15] op_sel:[0,1]
	v_pk_mov_b32 v[14:15], s[16:17], s[16:17] op_sel:[0,1]
	;; [unrolled: 1-line block ×3, first 2 shown]
                                        ; implicit-def: $sgpr48_sgpr49
                                        ; implicit-def: $vgpr53
	s_and_saveexec_b64 s[44:45], vcc
	s_cbranch_execz .LBB1556_112
; %bb.91:
	v_mov_b32_e32 v3, s7
	v_cmp_eq_u32_e32 vcc, v31, v32
	v_cndmask_b32_e32 v3, v3, v40, vcc
	v_cmp_ne_u32_e32 vcc, v31, v32
	v_and_b32_e32 v3, 0xffff, v3
	v_cndmask_b32_e64 v10, 0, 1, vcc
	v_add_u32_e32 v2, 14, v54
	v_lshl_or_b32 v3, v10, 16, v3
	v_pk_mov_b32 v[10:11], s[12:13], s[12:13] op_sel:[0,1]
	v_cmp_gt_u32_e32 vcc, s76, v2
	v_mov_b32_e32 v2, s12
	v_pk_mov_b32 v[12:13], s[14:15], s[14:15] op_sel:[0,1]
	v_pk_mov_b32 v[14:15], s[16:17], s[16:17] op_sel:[0,1]
	;; [unrolled: 1-line block ×3, first 2 shown]
                                        ; implicit-def: $sgpr14_sgpr15
                                        ; implicit-def: $vgpr53
	s_and_saveexec_b64 s[12:13], vcc
	s_cbranch_execz .LBB1556_111
; %bb.92:
	v_lshrrev_b32_e32 v2, 16, v40
	v_mov_b32_e32 v11, s7
	v_cmp_eq_u32_e32 vcc, v32, v33
	v_cndmask_b32_e32 v2, v11, v2, vcc
	v_cmp_ne_u32_e32 vcc, v32, v33
	s_mov_b32 s80, 0
	v_add_u32_e32 v10, 15, v54
	v_and_b32_e32 v2, 0xffff, v2
	v_cndmask_b32_e64 v11, 0, 1, vcc
	s_mov_b32 s81, s80
	v_lshl_or_b32 v2, v11, 16, v2
	v_cmp_gt_u32_e32 vcc, s76, v10
	s_mov_b32 s82, s80
	s_mov_b32 s83, s80
	;; [unrolled: 1-line block ×6, first 2 shown]
	v_pk_mov_b32 v[10:11], s[80:81], s[80:81] op_sel:[0,1]
	s_mov_b64 s[16:17], 0
	v_pk_mov_b32 v[12:13], s[82:83], s[82:83] op_sel:[0,1]
	v_pk_mov_b32 v[14:15], s[84:85], s[84:85] op_sel:[0,1]
	;; [unrolled: 1-line block ×3, first 2 shown]
                                        ; implicit-def: $sgpr46_sgpr47
                                        ; implicit-def: $vgpr53
	s_and_saveexec_b64 s[14:15], vcc
	s_cbranch_execz .LBB1556_110
; %bb.93:
	v_mov_b32_e32 v10, s7
	v_cmp_eq_u32_e32 vcc, v33, v26
	v_cndmask_b32_e32 v10, v10, v41, vcc
	v_cmp_ne_u32_e32 vcc, v33, v26
	v_and_b32_e32 v10, 0xffff, v10
	v_cndmask_b32_e64 v12, 0, 1, vcc
	v_add_u32_e32 v11, 16, v54
	v_lshl_or_b32 v10, v12, 16, v10
	v_mov_b32_e32 v12, 0
	v_cmp_gt_u32_e32 vcc, s76, v11
	v_mov_b32_e32 v11, v12
	v_mov_b32_e32 v13, v12
	v_mov_b32_e32 v14, v12
	v_mov_b32_e32 v15, v12
	v_mov_b32_e32 v16, v12
	v_mov_b32_e32 v17, v12
	s_mov_b64 s[18:19], 0
                                        ; implicit-def: $sgpr48_sgpr49
                                        ; implicit-def: $vgpr53
	s_and_saveexec_b64 s[16:17], vcc
	s_cbranch_execz .LBB1556_109
; %bb.94:
	v_lshrrev_b32_e32 v11, 16, v41
	v_mov_b32_e32 v14, s7
	v_cmp_eq_u32_e32 vcc, v26, v27
	v_cndmask_b32_e32 v11, v14, v11, vcc
	v_cmp_ne_u32_e32 vcc, v26, v27
	v_add_u32_e32 v13, 17, v54
	v_and_b32_e32 v11, 0xffff, v11
	v_cndmask_b32_e64 v14, 0, 1, vcc
	v_lshl_or_b32 v11, v14, 16, v11
	v_cmp_gt_u32_e32 vcc, s76, v13
	v_mov_b32_e32 v13, v12
	v_mov_b32_e32 v14, v12
	;; [unrolled: 1-line block ×5, first 2 shown]
	s_mov_b64 s[46:47], 0
                                        ; implicit-def: $sgpr50_sgpr51
                                        ; implicit-def: $vgpr53
	s_and_saveexec_b64 s[18:19], vcc
	s_cbranch_execz .LBB1556_108
; %bb.95:
	ds_read_b96 v[30:32], v42 offset:34
	v_mov_b32_e32 v12, s7
	v_cmp_eq_u32_e32 vcc, v27, v28
	v_add_u32_e32 v13, 18, v54
	s_mov_b64 s[48:49], 0
	s_waitcnt lgkmcnt(0)
	v_cndmask_b32_e32 v12, v12, v30, vcc
	v_cmp_ne_u32_e32 vcc, v27, v28
	v_and_b32_e32 v12, 0xffff, v12
	v_cndmask_b32_e64 v14, 0, 1, vcc
	v_lshl_or_b32 v12, v14, 16, v12
	v_mov_b32_e32 v14, 0
	v_cmp_gt_u32_e32 vcc, s76, v13
	v_mov_b32_e32 v13, v14
	v_mov_b32_e32 v15, v14
	v_mov_b32_e32 v16, v14
	v_mov_b32_e32 v17, v14
                                        ; implicit-def: $sgpr52_sgpr53
                                        ; implicit-def: $vgpr53
	s_and_saveexec_b64 s[46:47], vcc
	s_cbranch_execz .LBB1556_107
; %bb.96:
	v_lshrrev_b32_e32 v13, 16, v30
	v_mov_b32_e32 v16, s7
	v_cmp_eq_u32_e32 vcc, v28, v29
	v_cndmask_b32_e32 v13, v16, v13, vcc
	v_cmp_ne_u32_e32 vcc, v28, v29
	v_add_u32_e32 v15, 19, v54
	v_and_b32_e32 v13, 0xffff, v13
	v_cndmask_b32_e64 v16, 0, 1, vcc
	v_lshl_or_b32 v13, v16, 16, v13
	v_cmp_gt_u32_e32 vcc, s76, v15
	v_mov_b32_e32 v15, v14
	v_mov_b32_e32 v16, v14
	;; [unrolled: 1-line block ×3, first 2 shown]
	s_mov_b64 s[50:51], 0
                                        ; implicit-def: $sgpr60_sgpr61
                                        ; implicit-def: $vgpr53
	s_and_saveexec_b64 s[48:49], vcc
	s_cbranch_execz .LBB1556_106
; %bb.97:
	v_mov_b32_e32 v14, s7
	v_cmp_eq_u32_e32 vcc, v29, v22
	v_cndmask_b32_e32 v14, v14, v31, vcc
	v_cmp_ne_u32_e32 vcc, v29, v22
	v_and_b32_e32 v14, 0xffff, v14
	v_cndmask_b32_e64 v16, 0, 1, vcc
	v_add_u32_e32 v15, 20, v54
	v_lshl_or_b32 v14, v16, 16, v14
	v_mov_b32_e32 v16, 0
	v_cmp_gt_u32_e32 vcc, s76, v15
	v_mov_b32_e32 v15, v16
	v_mov_b32_e32 v17, v16
	s_mov_b64 s[52:53], 0
                                        ; implicit-def: $sgpr72_sgpr73
                                        ; implicit-def: $vgpr53
	s_and_saveexec_b64 s[50:51], vcc
	s_cbranch_execz .LBB1556_105
; %bb.98:
	v_lshrrev_b32_e32 v15, 16, v31
	v_mov_b32_e32 v26, s7
	v_cmp_eq_u32_e32 vcc, v22, v23
	v_cndmask_b32_e32 v15, v26, v15, vcc
	v_cmp_ne_u32_e32 vcc, v22, v23
	v_add_u32_e32 v17, 21, v54
	v_and_b32_e32 v15, 0xffff, v15
	v_cndmask_b32_e64 v22, 0, 1, vcc
	v_lshl_or_b32 v15, v22, 16, v15
	v_cmp_gt_u32_e32 vcc, s76, v17
	s_mov_b32 s9, 0
	v_mov_b32_e32 v17, v16
	s_mov_b64 s[60:61], 0
                                        ; implicit-def: $sgpr74_sgpr75
                                        ; implicit-def: $vgpr53
	s_and_saveexec_b64 s[52:53], vcc
	s_cbranch_execz .LBB1556_104
; %bb.99:
	v_mov_b32_e32 v16, s7
	v_cmp_eq_u32_e32 vcc, v23, v24
	v_cndmask_b32_e32 v16, v16, v32, vcc
	v_cmp_ne_u32_e32 vcc, v23, v24
	v_add_u32_e32 v17, 22, v54
	v_and_b32_e32 v16, 0xffff, v16
	v_cndmask_b32_e64 v22, 0, 1, vcc
	v_lshl_or_b32 v16, v22, 16, v16
	v_cmp_gt_u32_e32 vcc, s76, v17
	v_mov_b32_e32 v17, s9
	s_mov_b64 s[72:73], 0
                                        ; implicit-def: $sgpr74_sgpr75
                                        ; implicit-def: $vgpr53
	s_and_saveexec_b64 s[60:61], vcc
	s_cbranch_execz .LBB1556_103
; %bb.100:
	v_lshrrev_b32_e32 v17, 16, v32
	v_mov_b32_e32 v23, s7
	v_cmp_eq_u32_e32 vcc, v24, v25
	v_cndmask_b32_e32 v17, v23, v17, vcc
	v_cmp_ne_u32_e32 vcc, v24, v25
	v_add_u32_e32 v22, 23, v54
	v_and_b32_e32 v17, 0xffff, v17
	v_cndmask_b32_e64 v23, 0, 1, vcc
	v_lshl_or_b32 v17, v23, 16, v17
	v_cmp_gt_u32_e32 vcc, s76, v22
                                        ; implicit-def: $sgpr74_sgpr75
                                        ; implicit-def: $vgpr53
	s_and_saveexec_b64 s[76:77], vcc
	s_xor_b64 s[76:77], exec, s[76:77]
	s_cbranch_execz .LBB1556_102
; %bb.101:
	ds_read_u16 v22, v42 offset:46
	v_mov_b32_e32 v23, s7
	v_cmp_ne_u32_e32 vcc, v25, v52
	s_mov_b64 s[72:73], exec
	s_and_b64 s[74:75], vcc, exec
	s_waitcnt lgkmcnt(0)
	v_cndmask_b32_e32 v53, v22, v23, vcc
.LBB1556_102:
	s_or_b64 exec, exec, s[76:77]
	s_and_b64 s[74:75], s[74:75], exec
	s_and_b64 s[72:73], s[72:73], exec
.LBB1556_103:
	s_or_b64 exec, exec, s[60:61]
	s_and_b64 s[74:75], s[74:75], exec
	s_and_b64 s[60:61], s[72:73], exec
.LBB1556_104:
	s_or_b64 exec, exec, s[52:53]
	s_and_b64 s[72:73], s[74:75], exec
	s_and_b64 s[52:53], s[60:61], exec
.LBB1556_105:
	s_or_b64 exec, exec, s[50:51]
	s_and_b64 s[60:61], s[72:73], exec
	s_and_b64 s[50:51], s[52:53], exec
.LBB1556_106:
	s_or_b64 exec, exec, s[48:49]
	s_and_b64 s[52:53], s[60:61], exec
	s_and_b64 s[48:49], s[50:51], exec
.LBB1556_107:
	s_or_b64 exec, exec, s[46:47]
	s_and_b64 s[50:51], s[52:53], exec
	s_and_b64 s[46:47], s[48:49], exec
.LBB1556_108:
	s_or_b64 exec, exec, s[18:19]
	s_and_b64 s[48:49], s[50:51], exec
	s_and_b64 s[18:19], s[46:47], exec
.LBB1556_109:
	s_or_b64 exec, exec, s[16:17]
	s_and_b64 s[46:47], s[48:49], exec
	s_and_b64 s[16:17], s[18:19], exec
.LBB1556_110:
	s_or_b64 exec, exec, s[14:15]
	s_and_b64 s[14:15], s[46:47], exec
	s_and_b64 s[46:47], s[16:17], exec
.LBB1556_111:
	s_or_b64 exec, exec, s[12:13]
	s_and_b64 s[48:49], s[14:15], exec
	s_and_b64 s[46:47], s[46:47], exec
.LBB1556_112:
	s_or_b64 exec, exec, s[44:45]
	s_and_b64 s[12:13], s[48:49], exec
	s_and_b64 s[44:45], s[46:47], exec
.LBB1556_113:
	s_or_b64 exec, exec, s[42:43]
	s_and_b64 s[46:47], s[12:13], exec
	s_and_b64 s[42:43], s[44:45], exec
.LBB1556_114:
	s_or_b64 exec, exec, s[40:41]
	s_and_b64 s[12:13], s[46:47], exec
	s_and_b64 s[40:41], s[42:43], exec
.LBB1556_115:
	s_or_b64 exec, exec, s[38:39]
	s_and_b64 s[42:43], s[12:13], exec
	s_and_b64 s[38:39], s[40:41], exec
.LBB1556_116:
	s_or_b64 exec, exec, s[36:37]
	s_and_b64 s[12:13], s[42:43], exec
	s_and_b64 s[36:37], s[38:39], exec
.LBB1556_117:
	s_or_b64 exec, exec, s[34:35]
	s_and_b64 s[38:39], s[12:13], exec
	s_and_b64 s[34:35], s[36:37], exec
.LBB1556_118:
	s_or_b64 exec, exec, s[30:31]
	s_and_b64 s[12:13], s[38:39], exec
	s_and_b64 s[30:31], s[34:35], exec
.LBB1556_119:
	s_or_b64 exec, exec, s[28:29]
	s_and_b64 s[34:35], s[12:13], exec
	s_and_b64 s[28:29], s[30:31], exec
.LBB1556_120:
	s_or_b64 exec, exec, s[26:27]
	s_and_b64 s[12:13], s[34:35], exec
	s_and_b64 s[26:27], s[28:29], exec
.LBB1556_121:
	s_or_b64 exec, exec, s[24:25]
	s_and_b64 s[28:29], s[12:13], exec
	s_and_b64 s[24:25], s[26:27], exec
.LBB1556_122:
	s_or_b64 exec, exec, s[22:23]
	s_and_b64 s[12:13], s[28:29], exec
	s_and_b64 s[24:25], s[24:25], exec
.LBB1556_123:
	s_or_b64 exec, exec, s[20:21]
	s_and_b64 s[26:27], s[12:13], exec
	s_and_b64 s[24:25], s[24:25], exec
.LBB1556_124:
	s_or_b64 exec, exec, s[10:11]
	s_and_b64 s[10:11], s[26:27], exec
	s_and_b64 s[12:13], s[24:25], exec
.LBB1556_125:
	s_or_b64 exec, exec, s[4:5]
	s_and_b64 vcc, exec, s[2:3]
	s_cbranch_vccnz .LBB1556_127
	s_branch .LBB1556_132
.LBB1556_126:
	s_mov_b64 s[12:13], 0
                                        ; implicit-def: $sgpr10_sgpr11
                                        ; implicit-def: $vgpr18_vgpr19_vgpr20_vgpr21
                                        ; implicit-def: $vgpr2_vgpr3_vgpr4_vgpr5_vgpr6_vgpr7_vgpr8_vgpr9
                                        ; implicit-def: $vgpr10_vgpr11_vgpr12_vgpr13_vgpr14_vgpr15_vgpr16_vgpr17
                                        ; implicit-def: $vgpr53
                                        ; implicit-def: $vgpr1
                                        ; implicit-def: $vgpr50
                                        ; implicit-def: $vgpr51
                                        ; implicit-def: $sgpr8
	s_and_b64 vcc, exec, s[2:3]
	s_cbranch_vccz .LBB1556_132
.LBB1556_127:
	v_lshlrev_b32_e32 v1, 2, v0
	v_mov_b32_e32 v3, s71
	v_add_co_u32_e32 v2, vcc, s70, v1
	v_addc_co_u32_e32 v3, vcc, 0, v3, vcc
	s_movk_i32 s2, 0x1000
	flat_load_dword v4, v[2:3]
	flat_load_dword v5, v[2:3] offset:256
	flat_load_dword v6, v[2:3] offset:512
	;; [unrolled: 1-line block ×15, first 2 shown]
	v_add_co_u32_e32 v2, vcc, s2, v2
	v_addc_co_u32_e32 v3, vcc, 0, v3, vcc
	flat_load_dword v20, v[2:3]
	flat_load_dword v21, v[2:3] offset:256
	flat_load_dword v22, v[2:3] offset:512
	;; [unrolled: 1-line block ×7, first 2 shown]
	v_mov_b32_e32 v2, s70
	v_mov_b32_e32 v3, s71
	v_add_co_u32_e32 v2, vcc, s2, v2
	v_addc_co_u32_e32 v3, vcc, 0, v3, vcc
	s_movk_i32 s2, 0x5c
	v_cmp_ne_u32_e32 vcc, 63, v0
	s_waitcnt vmcnt(0) lgkmcnt(0)
	ds_write2st64_b32 v1, v4, v5 offset1:1
	ds_write2st64_b32 v1, v6, v7 offset0:2 offset1:3
	ds_write2st64_b32 v1, v8, v9 offset0:4 offset1:5
	;; [unrolled: 1-line block ×11, first 2 shown]
	s_waitcnt lgkmcnt(0)
	; wave barrier
	s_waitcnt lgkmcnt(0)
	flat_load_dword v40, v[2:3] offset:2048
	v_mad_u32_u24 v6, v0, s2, v1
	s_movk_i32 s2, 0xffa4
	ds_read2_b32 v[22:23], v6 offset0:6 offset1:23
	ds_read_b64 v[18:19], v6
	ds_read2_b64 v[2:5], v6 offset0:1 offset1:2
	ds_read2_b32 v[32:33], v6 offset0:13 offset1:14
	ds_read2_b32 v[34:35], v6 offset0:11 offset1:12
	;; [unrolled: 1-line block ×8, first 2 shown]
	v_mad_i32_i24 v6, v0, s2, v6
	s_waitcnt lgkmcnt(0)
	ds_write_b32 v6, v18 offset:6400
	s_waitcnt lgkmcnt(0)
	; wave barrier
	s_waitcnt lgkmcnt(0)
	s_and_saveexec_b64 s[2:3], vcc
	s_cbranch_execz .LBB1556_129
; %bb.128:
	s_waitcnt vmcnt(0)
	ds_read_b32 v40, v1 offset:6404
.LBB1556_129:
	s_or_b64 exec, exec, s[2:3]
	v_lshlrev_b32_e32 v1, 1, v0
	v_mov_b32_e32 v7, s78
	v_add_co_u32_e32 v8, vcc, s59, v1
	v_addc_co_u32_e32 v9, vcc, 0, v7, vcc
	s_waitcnt lgkmcnt(0)
	; wave barrier
	s_waitcnt lgkmcnt(0)
	flat_load_ushort v7, v[8:9]
	flat_load_ushort v10, v[8:9] offset:128
	flat_load_ushort v11, v[8:9] offset:256
	;; [unrolled: 1-line block ×23, first 2 shown]
	v_sub_u32_e32 v1, v6, v1
	v_mad_u32_u24 v54, v0, 46, v1
	v_cmp_eq_u32_e32 vcc, v18, v19
	v_mov_b32_e32 v18, s7
	s_waitcnt vmcnt(0) lgkmcnt(0)
	ds_write_b16 v1, v7
	ds_write_b16 v1, v10 offset:128
	ds_write_b16 v1, v11 offset:256
	;; [unrolled: 1-line block ×23, first 2 shown]
	s_waitcnt lgkmcnt(0)
	; wave barrier
	s_waitcnt lgkmcnt(0)
	ds_read_b96 v[14:16], v54 offset:2
	ds_read_b128 v[6:9], v54 offset:14
	ds_read_b128 v[10:13], v54 offset:30
	ds_read_u16 v41, v54 offset:46
	v_mov_b32_e32 v17, 0x10000
	s_and_saveexec_b64 s[2:3], vcc
	s_cbranch_execz .LBB1556_131
; %bb.130:
	v_mul_u32_u24_e32 v17, 46, v0
	v_add_u32_e32 v1, v1, v17
	ds_read_u16 v18, v1
	v_mov_b32_e32 v17, 0
.LBB1556_131:
	s_or_b64 exec, exec, s[2:3]
	v_mov_b32_e32 v47, s7
	v_cmp_eq_u32_e32 vcc, v19, v2
	s_waitcnt lgkmcnt(3)
	v_lshrrev_b32_e32 v21, 16, v14
	v_cndmask_b32_e32 v14, v47, v14, vcc
	v_cmp_ne_u32_e32 vcc, v19, v2
	s_waitcnt lgkmcnt(0)
	v_or_b32_sdwa v1, v17, v18 dst_sel:DWORD dst_unused:UNUSED_PAD src0_sel:DWORD src1_sel:WORD_0
	v_and_b32_e32 v14, 0xffff, v14
	v_cndmask_b32_e64 v17, 0, 1, vcc
	v_cmp_eq_u32_e32 vcc, v2, v3
	v_lshrrev_b32_e32 v20, 16, v15
	v_lshl_or_b32 v50, v17, 16, v14
	v_cndmask_b32_e32 v14, v47, v21, vcc
	v_cmp_eq_u32_e32 vcc, v4, v5
	v_cndmask_b32_e32 v17, v47, v20, vcc
	v_cmp_eq_u32_e32 vcc, v3, v4
	;; [unrolled: 2-line block ×3, first 2 shown]
	v_lshrrev_b32_e32 v42, 16, v16
	v_cndmask_b32_e32 v16, v47, v16, vcc
	v_cmp_ne_u32_e32 vcc, v3, v4
	v_and_b32_e32 v15, 0xffff, v15
	v_cndmask_b32_e64 v18, 0, 1, vcc
	v_cmp_ne_u32_e32 vcc, v5, v22
	v_lshl_or_b32 v20, v18, 16, v15
	v_cndmask_b32_e64 v15, 0, 1, vcc
	v_cmp_ne_u32_e32 vcc, v2, v3
	v_and_b32_e32 v14, 0xffff, v14
	v_cndmask_b32_e64 v2, 0, 1, vcc
	v_cmp_ne_u32_e32 vcc, v4, v5
	v_and_b32_e32 v17, 0xffff, v17
	v_lshl_or_b32 v21, v2, 16, v14
	v_cndmask_b32_e64 v2, 0, 1, vcc
	v_cmp_eq_u32_e32 vcc, v22, v38
	v_lshl_or_b32 v19, v2, 16, v17
	v_cndmask_b32_e32 v2, v47, v42, vcc
	v_cmp_ne_u32_e32 vcc, v22, v38
	v_lshrrev_b32_e32 v46, 16, v6
	v_and_b32_e32 v2, 0xffff, v2
	v_cndmask_b32_e64 v3, 0, 1, vcc
	v_cmp_eq_u32_e32 vcc, v39, v36
	v_lshrrev_b32_e32 v45, 16, v7
	v_lshl_or_b32 v51, v3, 16, v2
	v_cndmask_b32_e32 v2, v47, v46, vcc
	v_cmp_eq_u32_e32 vcc, v37, v34
	v_lshrrev_b32_e32 v44, 16, v8
	v_cndmask_b32_e32 v3, v47, v45, vcc
	v_cmp_eq_u32_e32 vcc, v35, v32
	v_lshrrev_b32_e32 v43, 16, v9
	v_cndmask_b32_e32 v4, v47, v44, vcc
	v_cmp_eq_u32_e32 vcc, v33, v26
	v_cndmask_b32_e32 v5, v47, v43, vcc
	v_cmp_eq_u32_e32 vcc, v38, v39
	v_cndmask_b32_e32 v6, v47, v6, vcc
	v_cmp_eq_u32_e32 vcc, v36, v37
	v_cndmask_b32_e32 v7, v47, v7, vcc
	v_cmp_eq_u32_e32 vcc, v34, v35
	v_cndmask_b32_e32 v8, v47, v8, vcc
	v_cmp_eq_u32_e32 vcc, v32, v33
	v_cndmask_b32_e32 v9, v47, v9, vcc
	v_cmp_ne_u32_e32 vcc, v38, v39
	v_and_b32_e32 v16, 0xffff, v16
	v_and_b32_e32 v14, 0xffff, v5
	;; [unrolled: 1-line block ×4, first 2 shown]
	v_cndmask_b32_e64 v8, 0, 1, vcc
	v_cmp_ne_u32_e32 vcc, v36, v37
	v_lshl_or_b32 v18, v15, 16, v16
	v_and_b32_e32 v15, 0xffff, v3
	v_and_b32_e32 v3, 0xffff, v9
	;; [unrolled: 1-line block ×3, first 2 shown]
	v_lshl_or_b32 v9, v8, 16, v6
	v_cndmask_b32_e64 v6, 0, 1, vcc
	v_cmp_ne_u32_e32 vcc, v34, v35
	v_lshl_or_b32 v7, v6, 16, v7
	v_cndmask_b32_e64 v6, 0, 1, vcc
	v_cmp_ne_u32_e32 vcc, v32, v33
	;; [unrolled: 3-line block ×3, first 2 shown]
	v_and_b32_e32 v2, 0xffff, v2
	v_lshl_or_b32 v3, v6, 16, v3
	v_cndmask_b32_e64 v6, 0, 1, vcc
	v_cmp_ne_u32_e32 vcc, v37, v34
	v_lshl_or_b32 v8, v6, 16, v2
	v_cndmask_b32_e64 v2, 0, 1, vcc
	v_cmp_ne_u32_e32 vcc, v35, v32
	v_and_b32_e32 v4, 0xffff, v4
	v_lshl_or_b32 v6, v2, 16, v15
	v_cndmask_b32_e64 v2, 0, 1, vcc
	v_cmp_ne_u32_e32 vcc, v33, v26
	v_lshl_or_b32 v4, v2, 16, v4
	v_cndmask_b32_e64 v2, 0, 1, vcc
	v_lshl_or_b32 v2, v2, 16, v14
	v_lshrrev_b32_e32 v14, 16, v13
	v_cmp_eq_u32_e32 vcc, v31, v23
	v_cndmask_b32_e32 v14, v47, v14, vcc
	v_lshrrev_b32_e32 v15, 16, v12
	v_cmp_eq_u32_e32 vcc, v29, v30
	v_cndmask_b32_e32 v15, v47, v15, vcc
	v_lshrrev_b32_e32 v16, 16, v11
	v_cmp_eq_u32_e32 vcc, v25, v28
	v_cndmask_b32_e32 v16, v47, v16, vcc
	v_lshrrev_b32_e32 v17, 16, v10
	v_cmp_eq_u32_e32 vcc, v27, v24
	v_cndmask_b32_e32 v17, v47, v17, vcc
	v_cmp_eq_u32_e32 vcc, v30, v31
	v_cndmask_b32_e32 v13, v47, v13, vcc
	v_cmp_eq_u32_e32 vcc, v28, v29
	v_cndmask_b32_e32 v12, v47, v12, vcc
	;; [unrolled: 2-line block ×4, first 2 shown]
	v_cmp_ne_u32_e32 vcc, v30, v31
	v_and_b32_e32 v22, 0xffff, v17
	v_and_b32_e32 v17, 0xffff, v14
	;; [unrolled: 1-line block ×3, first 2 shown]
	v_cndmask_b32_e64 v14, 0, 1, vcc
	v_cmp_ne_u32_e32 vcc, v28, v29
	v_and_b32_e32 v32, 0xffff, v16
	v_and_b32_e32 v12, 0xffff, v12
	v_lshl_or_b32 v16, v14, 16, v13
	v_cndmask_b32_e64 v13, 0, 1, vcc
	v_cmp_ne_u32_e32 vcc, v24, v25
	v_and_b32_e32 v11, 0xffff, v11
	v_lshl_or_b32 v14, v13, 16, v12
	v_cndmask_b32_e64 v12, 0, 1, vcc
	v_cmp_ne_u32_e32 vcc, v26, v27
	;; [unrolled: 4-line block ×3, first 2 shown]
	v_lshl_or_b32 v10, v11, 16, v10
	v_cndmask_b32_e64 v11, 0, 1, vcc
	v_cmp_ne_u32_e32 vcc, v29, v30
	v_and_b32_e32 v15, 0xffff, v15
	v_lshl_or_b32 v17, v11, 16, v17
	v_cndmask_b32_e64 v11, 0, 1, vcc
	v_cmp_ne_u32_e32 vcc, v25, v28
	v_lshl_or_b32 v15, v11, 16, v15
	v_cndmask_b32_e64 v11, 0, 1, vcc
	v_cmp_ne_u32_e32 vcc, v27, v24
	v_lshl_or_b32 v13, v11, 16, v32
	v_cndmask_b32_e64 v11, 0, 1, vcc
	v_cmp_ne_u32_e64 s[10:11], v23, v40
	v_lshl_or_b32 v11, v11, 16, v22
	v_cndmask_b32_e64 v53, v41, v47, s[10:11]
	s_mov_b64 s[12:13], -1
                                        ; implicit-def: $sgpr8
.LBB1556_132:
	v_mov_b32_e32 v32, s8
	s_and_saveexec_b64 s[2:3], s[12:13]
; %bb.133:
	v_mov_b32_e32 v22, 0x10000
	v_cndmask_b32_e64 v22, 0, v22, s[10:11]
	v_or_b32_sdwa v32, v22, v53 dst_sel:DWORD dst_unused:UNUSED_PAD src0_sel:DWORD src1_sel:WORD_0
; %bb.134:
	s_or_b64 exec, exec, s[2:3]
	s_cmp_lg_u32 s6, 0
	v_mbcnt_lo_u32_b32 v33, -1, 0
	s_waitcnt lgkmcnt(0)
	; wave barrier
	s_waitcnt lgkmcnt(0)
	s_cbranch_scc0 .LBB1556_219
; %bb.135:
	s_mov_b32 s48, 0x10000
	v_cmp_gt_u32_e64 s[2:3], s48, v50
	v_cndmask_b32_e64 v22, 0, v1, s[2:3]
	v_add_u16_e32 v22, v22, v50
	v_cmp_gt_u32_e64 s[4:5], s48, v21
	v_cndmask_b32_e64 v22, 0, v22, s[4:5]
	v_add_u16_e32 v22, v22, v21
	v_cmp_gt_u32_e64 s[50:51], s48, v20
	v_cndmask_b32_e64 v22, 0, v22, s[50:51]
	v_add_u16_e32 v22, v22, v20
	v_cmp_gt_u32_e64 s[8:9], s48, v19
	v_cndmask_b32_e64 v22, 0, v22, s[8:9]
	v_add_u16_e32 v22, v22, v19
	v_cmp_gt_u32_e64 s[10:11], s48, v18
	v_cndmask_b32_e64 v22, 0, v22, s[10:11]
	v_add_u16_e32 v22, v22, v18
	v_cmp_gt_u32_e64 s[12:13], s48, v51
	v_cndmask_b32_e64 v22, 0, v22, s[12:13]
	v_add_u16_e32 v22, v22, v51
	v_cmp_gt_u32_e64 s[14:15], s48, v9
	v_cndmask_b32_e64 v22, 0, v22, s[14:15]
	v_add_u16_e32 v22, v22, v9
	v_cmp_gt_u32_e64 s[16:17], s48, v8
	v_cndmask_b32_e64 v22, 0, v22, s[16:17]
	v_add_u16_e32 v22, v22, v8
	v_cmp_gt_u32_e64 s[18:19], s48, v7
	v_cndmask_b32_e64 v22, 0, v22, s[18:19]
	v_add_u16_e32 v22, v22, v7
	v_cmp_gt_u32_e64 s[20:21], s48, v6
	v_cndmask_b32_e64 v22, 0, v22, s[20:21]
	v_add_u16_e32 v22, v22, v6
	v_cmp_gt_u32_e64 s[22:23], s48, v5
	v_cndmask_b32_e64 v22, 0, v22, s[22:23]
	v_add_u16_e32 v22, v22, v5
	v_cmp_gt_u32_e64 s[24:25], s48, v4
	v_cndmask_b32_e64 v22, 0, v22, s[24:25]
	v_add_u16_e32 v22, v22, v4
	v_cmp_gt_u32_e64 s[26:27], s48, v3
	v_cndmask_b32_e64 v22, 0, v22, s[26:27]
	v_add_u16_e32 v22, v22, v3
	v_cmp_gt_u32_e64 s[28:29], s48, v2
	v_cndmask_b32_e64 v22, 0, v22, s[28:29]
	v_add_u16_e32 v22, v22, v2
	v_cmp_gt_u32_e64 s[30:31], s48, v10
	v_cndmask_b32_e64 v22, 0, v22, s[30:31]
	v_add_u16_e32 v22, v22, v10
	v_cmp_gt_u32_e64 s[34:35], s48, v11
	v_cndmask_b32_e64 v22, 0, v22, s[34:35]
	v_add_u16_e32 v22, v22, v11
	v_cmp_gt_u32_e64 s[36:37], s48, v12
	v_cndmask_b32_e64 v22, 0, v22, s[36:37]
	v_or3_b32 v24, v32, v17, v16
	v_add_u16_e32 v22, v22, v12
	v_cmp_gt_u32_e64 s[38:39], s48, v13
	v_or3_b32 v24, v24, v15, v14
	v_cndmask_b32_e64 v22, 0, v22, s[38:39]
	v_or3_b32 v24, v24, v13, v12
	v_add_u16_e32 v22, v22, v13
	v_cmp_gt_u32_e64 s[40:41], s48, v14
	v_or3_b32 v24, v24, v11, v10
	;; [unrolled: 5-line block ×5, first 2 shown]
	v_cndmask_b32_e64 v22, 0, v22, s[46:47]
	v_or3_b32 v24, v24, v21, v50
	v_add_u16_e32 v22, v22, v17
	v_cmp_gt_u32_e32 vcc, s48, v32
	v_and_b32_e32 v24, 0x10000, v24
	v_and_b32_e32 v23, 0x10000, v1
	v_cndmask_b32_e32 v25, 0, v22, vcc
	v_mov_b32_e32 v26, 0x10000
	v_cmp_ne_u32_e32 vcc, 0, v24
	v_add_u16_e32 v22, v25, v32
	v_cndmask_b32_e32 v24, v23, v26, vcc
	v_add_u16_e32 v26, v25, v32
	v_mbcnt_hi_u32_b32 v25, -1, v33
	v_and_b32_e32 v27, 15, v25
	v_or_b32_e32 v26, v24, v26
	v_lshrrev_b32_e32 v23, 16, v24
	v_cmp_ne_u32_e32 vcc, 0, v27
	v_mov_b32_dpp v28, v26 row_shr:1 row_mask:0xf bank_mask:0xf
	s_and_saveexec_b64 s[48:49], vcc
	s_cbranch_execz .LBB1556_137
; %bb.136:
	v_cmp_eq_u32_e32 vcc, 0, v24
	v_and_b32_e32 v23, 0x10000, v24
	v_mov_b32_e32 v24, 1
	v_cndmask_b32_e32 v26, 0, v28, vcc
	v_and_b32_sdwa v24, v28, v24 dst_sel:DWORD dst_unused:UNUSED_PAD src0_sel:WORD_1 src1_sel:DWORD
	v_cmp_ne_u32_e32 vcc, 0, v23
	v_cndmask_b32_e64 v23, v24, 1, vcc
	v_add_u16_e32 v29, v26, v22
	v_lshlrev_b32_e32 v24, 16, v23
	v_add_u16_e32 v22, v26, v22
	v_or_b32_e32 v26, v24, v22
	v_mov_b32_e32 v22, v29
.LBB1556_137:
	s_or_b64 exec, exec, s[48:49]
	v_lshrrev_b32_e32 v24, 16, v26
	v_mov_b32_dpp v28, v26 row_shr:2 row_mask:0xf bank_mask:0xf
	v_cmp_lt_u32_e32 vcc, 1, v27
	s_and_saveexec_b64 s[48:49], vcc
	s_cbranch_execz .LBB1556_139
; %bb.138:
	s_mov_b32 s52, 0x10000
	v_cmp_gt_u32_e32 vcc, s52, v26
	v_and_b32_e32 v23, 0x10000, v26
	v_mov_b32_e32 v26, 1
	v_cndmask_b32_e32 v24, 0, v28, vcc
	v_and_b32_sdwa v26, v28, v26 dst_sel:DWORD dst_unused:UNUSED_PAD src0_sel:WORD_1 src1_sel:DWORD
	v_cmp_ne_u32_e32 vcc, 0, v23
	v_cndmask_b32_e64 v23, v26, 1, vcc
	v_add_u16_e32 v29, v24, v22
	v_lshlrev_b32_e32 v26, 16, v23
	v_add_u16_e32 v22, v24, v22
	v_or_b32_e32 v26, v26, v22
	v_mov_b32_e32 v22, v29
	v_mov_b32_e32 v24, v23
.LBB1556_139:
	s_or_b64 exec, exec, s[48:49]
	v_mov_b32_dpp v28, v26 row_shr:4 row_mask:0xf bank_mask:0xf
	v_cmp_lt_u32_e32 vcc, 3, v27
	s_and_saveexec_b64 s[48:49], vcc
	s_cbranch_execz .LBB1556_141
; %bb.140:
	v_cmp_eq_u16_e32 vcc, 0, v24
	v_and_b32_e32 v23, 1, v24
	v_mov_b32_e32 v24, 1
	v_cndmask_b32_e32 v26, 0, v28, vcc
	v_and_b32_sdwa v24, v28, v24 dst_sel:DWORD dst_unused:UNUSED_PAD src0_sel:WORD_1 src1_sel:DWORD
	v_cmp_eq_u32_e32 vcc, 1, v23
	v_cndmask_b32_e64 v23, v24, 1, vcc
	v_add_u16_e32 v29, v26, v22
	v_lshlrev_b32_e32 v24, 16, v23
	v_add_u16_e32 v22, v26, v22
	v_or_b32_e32 v26, v24, v22
	v_mov_b32_e32 v22, v29
	v_mov_b32_e32 v24, v23
.LBB1556_141:
	s_or_b64 exec, exec, s[48:49]
	v_mov_b32_dpp v28, v26 row_shr:8 row_mask:0xf bank_mask:0xf
	v_cmp_lt_u32_e32 vcc, 7, v27
	s_and_saveexec_b64 s[48:49], vcc
	s_cbranch_execz .LBB1556_143
; %bb.142:
	v_cmp_eq_u16_e32 vcc, 0, v24
	v_and_b32_e32 v23, 1, v24
	v_mov_b32_e32 v24, 1
	v_cndmask_b32_e32 v26, 0, v28, vcc
	v_and_b32_sdwa v24, v28, v24 dst_sel:DWORD dst_unused:UNUSED_PAD src0_sel:WORD_1 src1_sel:DWORD
	v_cmp_eq_u32_e32 vcc, 1, v23
	v_cndmask_b32_e64 v23, v24, 1, vcc
	v_add_u16_e32 v27, v26, v22
	v_lshlrev_b32_e32 v24, 16, v23
	v_add_u16_e32 v22, v26, v22
	v_or_b32_e32 v26, v24, v22
	v_mov_b32_e32 v22, v27
	v_mov_b32_e32 v24, v23
.LBB1556_143:
	s_or_b64 exec, exec, s[48:49]
	v_and_b32_e32 v28, 16, v25
	v_mov_b32_dpp v27, v26 row_bcast:15 row_mask:0xf bank_mask:0xf
	v_cmp_ne_u32_e32 vcc, 0, v28
	s_and_saveexec_b64 s[48:49], vcc
	s_cbranch_execz .LBB1556_145
; %bb.144:
	v_cmp_eq_u16_e32 vcc, 0, v24
	v_and_b32_e32 v23, 1, v24
	v_mov_b32_e32 v24, 1
	v_cndmask_b32_e32 v26, 0, v27, vcc
	v_and_b32_sdwa v24, v27, v24 dst_sel:DWORD dst_unused:UNUSED_PAD src0_sel:WORD_1 src1_sel:DWORD
	v_cmp_eq_u32_e32 vcc, 1, v23
	v_cndmask_b32_e64 v23, v24, 1, vcc
	v_add_u16_e32 v28, v26, v22
	v_lshlrev_b32_e32 v24, 16, v23
	v_add_u16_e32 v22, v26, v22
	v_or_b32_e32 v26, v24, v22
	v_mov_b32_e32 v22, v28
	v_mov_b32_e32 v24, v23
.LBB1556_145:
	s_or_b64 exec, exec, s[48:49]
	v_mov_b32_dpp v26, v26 row_bcast:31 row_mask:0xf bank_mask:0xf
	v_cmp_lt_u32_e32 vcc, 31, v25
	s_and_saveexec_b64 s[48:49], vcc
; %bb.146:
	v_cmp_eq_u16_e32 vcc, 0, v24
	v_cndmask_b32_e32 v23, 0, v26, vcc
	v_add_u16_e32 v22, v23, v22
	v_and_b32_e32 v23, 1, v24
	v_mov_b32_e32 v24, 1
	v_and_b32_sdwa v24, v26, v24 dst_sel:DWORD dst_unused:UNUSED_PAD src0_sel:WORD_1 src1_sel:DWORD
	v_cmp_eq_u32_e32 vcc, 1, v23
	v_cndmask_b32_e64 v23, v24, 1, vcc
	v_mov_b32_e32 v24, v23
; %bb.147:
	s_or_b64 exec, exec, s[48:49]
	v_cmp_eq_u32_e32 vcc, 63, v0
	s_and_saveexec_b64 s[48:49], vcc
	s_cbranch_execz .LBB1556_149
; %bb.148:
	v_mov_b32_e32 v26, 0
	ds_write_b16 v26, v22
	ds_write_b8 v26, v24 offset:2
.LBB1556_149:
	s_or_b64 exec, exec, s[48:49]
	v_lshlrev_b32_e32 v23, 16, v23
	v_or_b32_sdwa v22, v23, v22 dst_sel:DWORD dst_unused:UNUSED_PAD src0_sel:DWORD src1_sel:WORD_0
	v_add_u32_e32 v23, -1, v25
	v_and_b32_e32 v24, 64, v25
	v_cmp_lt_i32_e32 vcc, v23, v24
	v_cndmask_b32_e32 v23, v23, v25, vcc
	v_lshlrev_b32_e32 v23, 2, v23
	ds_bpermute_b32 v34, v23, v22
	v_cmp_gt_u32_e32 vcc, 64, v0
	s_waitcnt lgkmcnt(0)
	; wave barrier
	s_waitcnt lgkmcnt(0)
	s_and_saveexec_b64 s[52:53], vcc
	s_cbranch_execz .LBB1556_196
; %bb.150:
	v_mov_b32_e32 v31, 0
	ds_read_b32 v22, v31
	s_mov_b32 s71, 0
	v_cmp_eq_u32_e64 s[48:49], 0, v25
	s_and_saveexec_b64 s[60:61], s[48:49]
	s_cbranch_execz .LBB1556_152
; %bb.151:
	s_add_i32 s70, s6, 64
	s_lshl_b64 s[70:71], s[70:71], 3
	s_add_u32 s70, s56, s70
	v_mov_b32_e32 v23, 1
	s_addc_u32 s71, s57, s71
	s_waitcnt lgkmcnt(0)
	global_store_dwordx2 v31, v[22:23], s[70:71]
.LBB1556_152:
	s_or_b64 exec, exec, s[60:61]
	v_xad_u32 v24, v25, -1, s6
	v_add_u32_e32 v30, 64, v24
	v_lshlrev_b64 v[26:27], 3, v[30:31]
	v_mov_b32_e32 v23, s57
	v_add_co_u32_e32 v26, vcc, s56, v26
	v_addc_co_u32_e32 v27, vcc, v23, v27, vcc
	global_load_dwordx2 v[28:29], v[26:27], off glc
	s_waitcnt vmcnt(0)
	v_cmp_eq_u16_sdwa s[70:71], v29, v31 src0_sel:BYTE_0 src1_sel:DWORD
	s_and_saveexec_b64 s[60:61], s[70:71]
	s_cbranch_execz .LBB1556_158
; %bb.153:
	s_mov_b32 s59, 1
	s_mov_b64 s[70:71], 0
	v_mov_b32_e32 v23, 0
.LBB1556_154:                           ; =>This Loop Header: Depth=1
                                        ;     Child Loop BB1556_155 Depth 2
	s_max_u32 s72, s59, 1
.LBB1556_155:                           ;   Parent Loop BB1556_154 Depth=1
                                        ; =>  This Inner Loop Header: Depth=2
	s_add_i32 s72, s72, -1
	s_cmp_eq_u32 s72, 0
	s_sleep 1
	s_cbranch_scc0 .LBB1556_155
; %bb.156:                              ;   in Loop: Header=BB1556_154 Depth=1
	global_load_dwordx2 v[28:29], v[26:27], off glc
	s_cmp_lt_u32 s59, 32
	s_cselect_b64 s[72:73], -1, 0
	s_cmp_lg_u64 s[72:73], 0
	s_addc_u32 s59, s59, 0
	s_waitcnt vmcnt(0)
	v_cmp_ne_u16_sdwa s[72:73], v29, v23 src0_sel:BYTE_0 src1_sel:DWORD
	s_or_b64 s[70:71], s[72:73], s[70:71]
	s_andn2_b64 exec, exec, s[70:71]
	s_cbranch_execnz .LBB1556_154
; %bb.157:
	s_or_b64 exec, exec, s[70:71]
.LBB1556_158:
	s_or_b64 exec, exec, s[60:61]
	v_mov_b32_e32 v23, 2
	v_cmp_eq_u16_sdwa s[60:61], v29, v23 src0_sel:BYTE_0 src1_sel:DWORD
	v_lshlrev_b64 v[26:27], v25, -1
	v_and_b32_e32 v23, s61, v27
	v_or_b32_e32 v23, 0x80000000, v23
	v_ffbl_b32_e32 v23, v23
	v_add_u32_e32 v31, 32, v23
	v_and_b32_e32 v23, 63, v25
	v_cmp_ne_u32_e32 vcc, 63, v23
	v_addc_co_u32_e32 v35, vcc, 0, v25, vcc
	v_and_b32_e32 v46, 0xffffff, v28
	v_lshlrev_b32_e32 v35, 2, v35
	ds_bpermute_b32 v36, v35, v46
	v_and_b32_e32 v30, s60, v26
	v_ffbl_b32_e32 v30, v30
	v_min_u32_e32 v31, v30, v31
	v_lshrrev_b32_e32 v30, 16, v28
	v_cmp_lt_u32_e32 vcc, v23, v31
	v_bfe_u32 v44, v28, 16, 8
	s_and_saveexec_b64 s[60:61], vcc
	s_cbranch_execz .LBB1556_160
; %bb.159:
	v_and_b32_e32 v30, 0xff0000, v28
	v_cmp_eq_u32_e32 vcc, 0, v30
	v_and_b32_e32 v30, 0x10000, v30
	v_mov_b32_e32 v39, 1
	s_waitcnt lgkmcnt(0)
	v_cndmask_b32_e32 v37, 0, v36, vcc
	v_and_b32_sdwa v36, v36, v39 dst_sel:DWORD dst_unused:UNUSED_PAD src0_sel:WORD_1 src1_sel:DWORD
	v_cmp_ne_u32_e32 vcc, 0, v30
	v_cndmask_b32_e64 v30, v36, 1, vcc
	v_add_u16_e32 v38, v37, v28
	v_lshlrev_b32_e32 v36, 16, v30
	v_add_u16_e32 v28, v37, v28
	v_or_b32_e32 v46, v36, v28
	v_mov_b32_e32 v28, v38
	v_mov_b32_e32 v44, v30
.LBB1556_160:
	s_or_b64 exec, exec, s[60:61]
	v_cmp_gt_u32_e32 vcc, 62, v23
	s_waitcnt lgkmcnt(0)
	v_cndmask_b32_e64 v36, 0, 1, vcc
	v_lshlrev_b32_e32 v36, 1, v36
	v_add_lshl_u32 v36, v36, v25, 2
	ds_bpermute_b32 v38, v36, v46
	v_add_u32_e32 v37, 2, v23
	v_cmp_le_u32_e32 vcc, v37, v31
	s_and_saveexec_b64 s[60:61], vcc
	s_cbranch_execz .LBB1556_162
; %bb.161:
	v_cmp_eq_u16_e32 vcc, 0, v44
	v_and_b32_e32 v30, 1, v44
	v_mov_b32_e32 v41, 1
	s_waitcnt lgkmcnt(0)
	v_cndmask_b32_e32 v39, 0, v38, vcc
	v_and_b32_sdwa v38, v38, v41 dst_sel:DWORD dst_unused:UNUSED_PAD src0_sel:WORD_1 src1_sel:DWORD
	v_cmp_eq_u32_e32 vcc, 1, v30
	v_cndmask_b32_e64 v30, v38, 1, vcc
	v_add_u16_e32 v40, v39, v28
	v_lshlrev_b32_e32 v38, 16, v30
	v_add_u16_e32 v28, v39, v28
	v_or_b32_e32 v46, v38, v28
	v_mov_b32_e32 v28, v40
	v_mov_b32_e32 v44, v30
.LBB1556_162:
	s_or_b64 exec, exec, s[60:61]
	v_cmp_gt_u32_e32 vcc, 60, v23
	s_waitcnt lgkmcnt(0)
	v_cndmask_b32_e64 v38, 0, 1, vcc
	v_lshlrev_b32_e32 v38, 2, v38
	v_add_lshl_u32 v38, v38, v25, 2
	ds_bpermute_b32 v40, v38, v46
	v_add_u32_e32 v39, 4, v23
	v_cmp_le_u32_e32 vcc, v39, v31
	s_and_saveexec_b64 s[60:61], vcc
	s_cbranch_execz .LBB1556_164
; %bb.163:
	v_cmp_eq_u16_e32 vcc, 0, v44
	v_and_b32_e32 v30, 1, v44
	v_mov_b32_e32 v43, 1
	s_waitcnt lgkmcnt(0)
	v_cndmask_b32_e32 v41, 0, v40, vcc
	v_and_b32_sdwa v40, v40, v43 dst_sel:DWORD dst_unused:UNUSED_PAD src0_sel:WORD_1 src1_sel:DWORD
	v_cmp_eq_u32_e32 vcc, 1, v30
	v_cndmask_b32_e64 v30, v40, 1, vcc
	v_add_u16_e32 v42, v41, v28
	v_lshlrev_b32_e32 v40, 16, v30
	v_add_u16_e32 v28, v41, v28
	v_or_b32_e32 v46, v40, v28
	v_mov_b32_e32 v28, v42
	v_mov_b32_e32 v44, v30
.LBB1556_164:
	;; [unrolled: 27-line block ×4, first 2 shown]
	s_or_b64 exec, exec, s[60:61]
	v_cmp_gt_u32_e32 vcc, 32, v23
	s_waitcnt lgkmcnt(0)
	v_cndmask_b32_e64 v45, 0, 1, vcc
	v_lshlrev_b32_e32 v45, 5, v45
	v_add_lshl_u32 v45, v45, v25, 2
	ds_bpermute_b32 v25, v45, v46
	v_add_u32_e32 v47, 32, v23
	v_cmp_le_u32_e32 vcc, v47, v31
	s_and_saveexec_b64 s[60:61], vcc
	s_cbranch_execz .LBB1556_170
; %bb.169:
	v_cmp_eq_u16_e32 vcc, 0, v44
	s_waitcnt lgkmcnt(0)
	v_cndmask_b32_e32 v30, 0, v25, vcc
	v_add_u16_e32 v28, v30, v28
	v_and_b32_e32 v30, 1, v44
	v_mov_b32_e32 v31, 1
	v_and_b32_sdwa v25, v25, v31 dst_sel:DWORD dst_unused:UNUSED_PAD src0_sel:WORD_1 src1_sel:DWORD
	v_cmp_eq_u32_e32 vcc, 1, v30
	v_cndmask_b32_e64 v30, v25, 1, vcc
.LBB1556_170:
	s_or_b64 exec, exec, s[60:61]
	s_waitcnt lgkmcnt(0)
	v_mov_b32_e32 v25, 0
	v_mov_b32_e32 v48, 2
	;; [unrolled: 1-line block ×3, first 2 shown]
	s_branch .LBB1556_172
.LBB1556_171:                           ;   in Loop: Header=BB1556_172 Depth=1
	s_or_b64 exec, exec, s[60:61]
	v_cmp_eq_u16_sdwa vcc, v44, v25 src0_sel:BYTE_0 src1_sel:DWORD
	v_and_b32_e32 v30, 1, v44
	v_cndmask_b32_e32 v28, 0, v28, vcc
	v_and_b32_e32 v31, 1, v31
	v_cmp_eq_u32_e32 vcc, 1, v30
	v_subrev_u32_e32 v24, 64, v24
	v_add_u16_e32 v28, v28, v46
	v_cndmask_b32_e64 v30, v31, 1, vcc
.LBB1556_172:                           ; =>This Loop Header: Depth=1
                                        ;     Child Loop BB1556_175 Depth 2
                                        ;       Child Loop BB1556_176 Depth 3
	v_cmp_ne_u16_sdwa s[60:61], v29, v48 src0_sel:BYTE_0 src1_sel:DWORD
	v_cndmask_b32_e64 v29, 0, 1, s[60:61]
	;;#ASMSTART
	;;#ASMEND
	v_cmp_ne_u32_e32 vcc, 0, v29
	v_mov_b32_e32 v44, v30
	s_cmp_lg_u64 vcc, exec
	v_mov_b32_e32 v46, v28
	s_cbranch_scc1 .LBB1556_191
; %bb.173:                              ;   in Loop: Header=BB1556_172 Depth=1
	v_lshlrev_b64 v[28:29], 3, v[24:25]
	v_mov_b32_e32 v31, s57
	v_add_co_u32_e32 v30, vcc, s56, v28
	v_addc_co_u32_e32 v31, vcc, v31, v29, vcc
	global_load_dwordx2 v[28:29], v[30:31], off glc
	s_waitcnt vmcnt(0)
	v_cmp_eq_u16_sdwa s[70:71], v29, v25 src0_sel:BYTE_0 src1_sel:DWORD
	s_and_saveexec_b64 s[60:61], s[70:71]
	s_cbranch_execz .LBB1556_179
; %bb.174:                              ;   in Loop: Header=BB1556_172 Depth=1
	s_mov_b32 s59, 1
	s_mov_b64 s[70:71], 0
.LBB1556_175:                           ;   Parent Loop BB1556_172 Depth=1
                                        ; =>  This Loop Header: Depth=2
                                        ;       Child Loop BB1556_176 Depth 3
	s_max_u32 s72, s59, 1
.LBB1556_176:                           ;   Parent Loop BB1556_172 Depth=1
                                        ;     Parent Loop BB1556_175 Depth=2
                                        ; =>    This Inner Loop Header: Depth=3
	s_add_i32 s72, s72, -1
	s_cmp_eq_u32 s72, 0
	s_sleep 1
	s_cbranch_scc0 .LBB1556_176
; %bb.177:                              ;   in Loop: Header=BB1556_175 Depth=2
	global_load_dwordx2 v[28:29], v[30:31], off glc
	s_cmp_lt_u32 s59, 32
	s_cselect_b64 s[72:73], -1, 0
	s_cmp_lg_u64 s[72:73], 0
	s_addc_u32 s59, s59, 0
	s_waitcnt vmcnt(0)
	v_cmp_ne_u16_sdwa s[72:73], v29, v25 src0_sel:BYTE_0 src1_sel:DWORD
	s_or_b64 s[70:71], s[72:73], s[70:71]
	s_andn2_b64 exec, exec, s[70:71]
	s_cbranch_execnz .LBB1556_175
; %bb.178:                              ;   in Loop: Header=BB1556_172 Depth=1
	s_or_b64 exec, exec, s[70:71]
.LBB1556_179:                           ;   in Loop: Header=BB1556_172 Depth=1
	s_or_b64 exec, exec, s[60:61]
	v_cmp_eq_u16_sdwa s[60:61], v29, v48 src0_sel:BYTE_0 src1_sel:DWORD
	v_and_b32_e32 v30, s61, v27
	s_waitcnt lgkmcnt(0)
	v_and_b32_e32 v53, 0xffffff, v28
	v_or_b32_e32 v30, 0x80000000, v30
	ds_bpermute_b32 v54, v35, v53
	v_and_b32_e32 v31, s60, v26
	v_ffbl_b32_e32 v30, v30
	v_add_u32_e32 v30, 32, v30
	v_ffbl_b32_e32 v31, v31
	v_min_u32_e32 v30, v31, v30
	v_lshrrev_b32_e32 v31, 16, v28
	v_cmp_lt_u32_e32 vcc, v23, v30
	v_bfe_u32 v52, v28, 16, 8
	s_and_saveexec_b64 s[60:61], vcc
	s_cbranch_execz .LBB1556_181
; %bb.180:                              ;   in Loop: Header=BB1556_172 Depth=1
	v_and_b32_e32 v31, 0xff0000, v28
	v_cmp_eq_u32_e32 vcc, 0, v31
	v_and_b32_e32 v31, 0x10000, v31
	s_waitcnt lgkmcnt(0)
	v_cndmask_b32_e32 v52, 0, v54, vcc
	v_and_b32_sdwa v53, v54, v49 dst_sel:DWORD dst_unused:UNUSED_PAD src0_sel:WORD_1 src1_sel:DWORD
	v_cmp_ne_u32_e32 vcc, 0, v31
	v_cndmask_b32_e64 v31, v53, 1, vcc
	v_add_u16_e32 v55, v52, v28
	v_lshlrev_b32_e32 v53, 16, v31
	v_add_u16_e32 v28, v52, v28
	v_or_b32_e32 v53, v53, v28
	v_mov_b32_e32 v28, v55
	v_mov_b32_e32 v52, v31
.LBB1556_181:                           ;   in Loop: Header=BB1556_172 Depth=1
	s_or_b64 exec, exec, s[60:61]
	s_waitcnt lgkmcnt(0)
	ds_bpermute_b32 v54, v36, v53
	v_cmp_le_u32_e32 vcc, v37, v30
	s_and_saveexec_b64 s[60:61], vcc
	s_cbranch_execz .LBB1556_183
; %bb.182:                              ;   in Loop: Header=BB1556_172 Depth=1
	v_cmp_eq_u16_e32 vcc, 0, v52
	v_and_b32_e32 v31, 1, v52
	s_waitcnt lgkmcnt(0)
	v_cndmask_b32_e32 v53, 0, v54, vcc
	v_and_b32_sdwa v52, v54, v49 dst_sel:DWORD dst_unused:UNUSED_PAD src0_sel:WORD_1 src1_sel:DWORD
	v_cmp_eq_u32_e32 vcc, 1, v31
	v_cndmask_b32_e64 v31, v52, 1, vcc
	v_add_u16_e32 v55, v53, v28
	v_lshlrev_b32_e32 v52, 16, v31
	v_add_u16_e32 v28, v53, v28
	v_or_b32_e32 v53, v52, v28
	v_mov_b32_e32 v28, v55
	v_mov_b32_e32 v52, v31
.LBB1556_183:                           ;   in Loop: Header=BB1556_172 Depth=1
	s_or_b64 exec, exec, s[60:61]
	s_waitcnt lgkmcnt(0)
	ds_bpermute_b32 v54, v38, v53
	v_cmp_le_u32_e32 vcc, v39, v30
	s_and_saveexec_b64 s[60:61], vcc
	s_cbranch_execz .LBB1556_185
; %bb.184:                              ;   in Loop: Header=BB1556_172 Depth=1
	v_cmp_eq_u16_e32 vcc, 0, v52
	v_and_b32_e32 v31, 1, v52
	s_waitcnt lgkmcnt(0)
	v_cndmask_b32_e32 v53, 0, v54, vcc
	v_and_b32_sdwa v52, v54, v49 dst_sel:DWORD dst_unused:UNUSED_PAD src0_sel:WORD_1 src1_sel:DWORD
	v_cmp_eq_u32_e32 vcc, 1, v31
	v_cndmask_b32_e64 v31, v52, 1, vcc
	v_add_u16_e32 v55, v53, v28
	v_lshlrev_b32_e32 v52, 16, v31
	v_add_u16_e32 v28, v53, v28
	v_or_b32_e32 v53, v52, v28
	v_mov_b32_e32 v28, v55
	v_mov_b32_e32 v52, v31
.LBB1556_185:                           ;   in Loop: Header=BB1556_172 Depth=1
	;; [unrolled: 21-line block ×4, first 2 shown]
	s_or_b64 exec, exec, s[60:61]
	ds_bpermute_b32 v53, v45, v53
	v_cmp_le_u32_e32 vcc, v47, v30
	s_and_saveexec_b64 s[60:61], vcc
	s_cbranch_execz .LBB1556_171
; %bb.190:                              ;   in Loop: Header=BB1556_172 Depth=1
	v_cmp_eq_u16_e32 vcc, 0, v52
	s_waitcnt lgkmcnt(0)
	v_cndmask_b32_e32 v30, 0, v53, vcc
	v_add_u16_e32 v28, v30, v28
	v_and_b32_e32 v30, 1, v52
	v_lshrrev_b32_e32 v31, 16, v53
	v_cmp_eq_u32_e32 vcc, 1, v30
	v_cndmask_b32_e64 v31, v31, 1, vcc
	s_branch .LBB1556_171
.LBB1556_191:                           ;   in Loop: Header=BB1556_172 Depth=1
                                        ; implicit-def: $vgpr30
                                        ; implicit-def: $vgpr28
	s_cbranch_execz .LBB1556_172
; %bb.192:
	s_and_saveexec_b64 s[60:61], s[48:49]
	s_cbranch_execz .LBB1556_194
; %bb.193:
	v_and_b32_e32 v23, 0xff0000, v22
	s_mov_b32 s49, 0
	v_cmp_eq_u32_e32 vcc, 0, v23
	v_and_b32_e32 v24, 0x10000, v22
	v_mov_b32_e32 v25, 1
	s_add_i32 s48, s6, 64
	v_cndmask_b32_e32 v23, 0, v46, vcc
	v_and_b32_sdwa v25, v44, v25 dst_sel:WORD_1 dst_unused:UNUSED_PAD src0_sel:DWORD src1_sel:DWORD
	v_mov_b32_e32 v26, 0x10000
	v_cmp_eq_u32_e32 vcc, 0, v24
	s_lshl_b64 s[48:49], s[48:49], 3
	v_cndmask_b32_e32 v24, v26, v25, vcc
	s_add_u32 s48, s56, s48
	v_add_u16_e32 v22, v23, v22
	s_addc_u32 s49, s57, s49
	v_mov_b32_e32 v25, 0
	v_or_b32_e32 v22, v24, v22
	v_mov_b32_e32 v23, 2
	global_store_dwordx2 v25, v[22:23], s[48:49]
.LBB1556_194:
	s_or_b64 exec, exec, s[60:61]
	v_cmp_eq_u32_e32 vcc, 0, v0
	s_and_b64 exec, exec, vcc
	s_cbranch_execz .LBB1556_196
; %bb.195:
	v_mov_b32_e32 v22, 0
	ds_write_b16 v22, v46
	ds_write_b8 v22, v44 offset:2
.LBB1556_196:
	s_or_b64 exec, exec, s[52:53]
	v_mov_b32_e32 v22, 0
	s_waitcnt lgkmcnt(0)
	; wave barrier
	s_waitcnt lgkmcnt(0)
	ds_read_b32 v22, v22
	v_and_b32_e32 v23, 0xff0000, v34
	v_cmp_eq_u32_e32 vcc, 0, v23
	s_waitcnt lgkmcnt(0)
	v_cndmask_b32_e32 v23, 0, v22, vcc
	v_add_u32_e32 v23, v23, v34
	v_cmp_eq_u32_e32 vcc, 0, v0
	v_cndmask_b32_e32 v39, v23, v22, vcc
	v_and_b32_e32 v22, 0xff0000, v1
	v_cmp_eq_u32_e32 vcc, 0, v22
	v_cndmask_b32_e32 v22, 0, v39, vcc
	v_add_u16_e32 v22, v22, v1
	v_cndmask_b32_e64 v23, 0, v22, s[2:3]
	v_add_u16_e32 v23, v23, v50
	v_cndmask_b32_e64 v24, 0, v23, s[4:5]
	;; [unrolled: 2-line block ×22, first 2 shown]
	v_add_u16_e32 v47, v47, v17
	s_branch .LBB1556_239
.LBB1556_197:
	s_or_b64 exec, exec, s[52:53]
                                        ; implicit-def: $vgpr3
	s_and_saveexec_b64 s[52:53], s[2:3]
	s_cbranch_execz .LBB1556_53
.LBB1556_198:
	v_lshlrev_b32_e32 v3, 1, v0
	v_mov_b32_e32 v5, s78
	v_add_co_u32_e32 v4, vcc, s59, v3
	v_addc_co_u32_e32 v5, vcc, 0, v5, vcc
	flat_load_ushort v3, v[4:5] offset:128
	s_or_b64 exec, exec, s[52:53]
                                        ; implicit-def: $vgpr4
	s_and_saveexec_b64 s[2:3], s[4:5]
	s_cbranch_execnz .LBB1556_54
.LBB1556_199:
	s_or_b64 exec, exec, s[2:3]
                                        ; implicit-def: $vgpr5
	s_and_saveexec_b64 s[2:3], s[50:51]
	s_cbranch_execz .LBB1556_55
.LBB1556_200:
	v_lshlrev_b32_e32 v5, 1, v0
	v_mov_b32_e32 v7, s78
	v_add_co_u32_e32 v6, vcc, s59, v5
	v_addc_co_u32_e32 v7, vcc, 0, v7, vcc
	flat_load_ushort v5, v[6:7] offset:384
	s_or_b64 exec, exec, s[2:3]
                                        ; implicit-def: $vgpr6
	s_and_saveexec_b64 s[2:3], s[8:9]
	s_cbranch_execnz .LBB1556_56
.LBB1556_201:
	s_or_b64 exec, exec, s[2:3]
                                        ; implicit-def: $vgpr7
	s_and_saveexec_b64 s[2:3], s[10:11]
	s_cbranch_execz .LBB1556_57
.LBB1556_202:
	v_lshlrev_b32_e32 v7, 1, v0
	v_mov_b32_e32 v9, s78
	v_add_co_u32_e32 v8, vcc, s59, v7
	v_addc_co_u32_e32 v9, vcc, 0, v9, vcc
	flat_load_ushort v7, v[8:9] offset:640
	s_or_b64 exec, exec, s[2:3]
                                        ; implicit-def: $vgpr8
	s_and_saveexec_b64 s[2:3], s[12:13]
	s_cbranch_execnz .LBB1556_58
.LBB1556_203:
	s_or_b64 exec, exec, s[2:3]
                                        ; implicit-def: $vgpr9
	s_and_saveexec_b64 s[2:3], s[14:15]
	s_cbranch_execz .LBB1556_59
.LBB1556_204:
	v_lshlrev_b32_e32 v9, 1, v0
	v_mov_b32_e32 v11, s78
	v_add_co_u32_e32 v10, vcc, s59, v9
	v_addc_co_u32_e32 v11, vcc, 0, v11, vcc
	flat_load_ushort v9, v[10:11] offset:896
	s_or_b64 exec, exec, s[2:3]
                                        ; implicit-def: $vgpr10
	s_and_saveexec_b64 s[2:3], s[16:17]
	s_cbranch_execnz .LBB1556_60
.LBB1556_205:
	s_or_b64 exec, exec, s[2:3]
                                        ; implicit-def: $vgpr11
	s_and_saveexec_b64 s[2:3], s[18:19]
	s_cbranch_execz .LBB1556_61
.LBB1556_206:
	v_lshlrev_b32_e32 v11, 1, v0
	v_mov_b32_e32 v13, s78
	v_add_co_u32_e32 v12, vcc, s59, v11
	v_addc_co_u32_e32 v13, vcc, 0, v13, vcc
	flat_load_ushort v11, v[12:13] offset:1152
	s_or_b64 exec, exec, s[2:3]
                                        ; implicit-def: $vgpr12
	s_and_saveexec_b64 s[2:3], s[20:21]
	s_cbranch_execnz .LBB1556_62
.LBB1556_207:
	s_or_b64 exec, exec, s[2:3]
                                        ; implicit-def: $vgpr13
	s_and_saveexec_b64 s[2:3], s[22:23]
	s_cbranch_execz .LBB1556_63
.LBB1556_208:
	v_lshlrev_b32_e32 v13, 1, v0
	v_mov_b32_e32 v15, s78
	v_add_co_u32_e32 v14, vcc, s59, v13
	v_addc_co_u32_e32 v15, vcc, 0, v15, vcc
	flat_load_ushort v13, v[14:15] offset:1408
	s_or_b64 exec, exec, s[2:3]
                                        ; implicit-def: $vgpr14
	s_and_saveexec_b64 s[2:3], s[24:25]
	s_cbranch_execnz .LBB1556_64
.LBB1556_209:
	s_or_b64 exec, exec, s[2:3]
                                        ; implicit-def: $vgpr15
	s_and_saveexec_b64 s[2:3], s[26:27]
	s_cbranch_execz .LBB1556_65
.LBB1556_210:
	v_lshlrev_b32_e32 v15, 1, v0
	v_mov_b32_e32 v17, s78
	v_add_co_u32_e32 v16, vcc, s59, v15
	v_addc_co_u32_e32 v17, vcc, 0, v17, vcc
	flat_load_ushort v15, v[16:17] offset:1664
	s_or_b64 exec, exec, s[2:3]
                                        ; implicit-def: $vgpr16
	s_and_saveexec_b64 s[2:3], s[28:29]
	s_cbranch_execnz .LBB1556_66
.LBB1556_211:
	s_or_b64 exec, exec, s[2:3]
                                        ; implicit-def: $vgpr17
	s_and_saveexec_b64 s[2:3], s[30:31]
	s_cbranch_execz .LBB1556_67
.LBB1556_212:
	v_lshlrev_b32_e32 v17, 1, v0
	v_mov_b32_e32 v19, s78
	v_add_co_u32_e32 v18, vcc, s59, v17
	v_addc_co_u32_e32 v19, vcc, 0, v19, vcc
	flat_load_ushort v17, v[18:19] offset:1920
	s_or_b64 exec, exec, s[2:3]
                                        ; implicit-def: $vgpr18
	s_and_saveexec_b64 s[2:3], s[34:35]
	s_cbranch_execnz .LBB1556_68
.LBB1556_213:
	s_or_b64 exec, exec, s[2:3]
                                        ; implicit-def: $vgpr19
	s_and_saveexec_b64 s[2:3], s[36:37]
	s_cbranch_execz .LBB1556_69
.LBB1556_214:
	v_lshlrev_b32_e32 v19, 1, v0
	v_mov_b32_e32 v21, s78
	v_add_co_u32_e32 v20, vcc, s59, v19
	v_addc_co_u32_e32 v21, vcc, 0, v21, vcc
	flat_load_ushort v19, v[20:21] offset:2176
	s_or_b64 exec, exec, s[2:3]
                                        ; implicit-def: $vgpr20
	s_and_saveexec_b64 s[2:3], s[38:39]
	s_cbranch_execnz .LBB1556_70
.LBB1556_215:
	s_or_b64 exec, exec, s[2:3]
                                        ; implicit-def: $vgpr21
	s_and_saveexec_b64 s[2:3], s[40:41]
	s_cbranch_execz .LBB1556_71
.LBB1556_216:
	v_lshlrev_b32_e32 v21, 1, v0
	v_mov_b32_e32 v47, s78
	v_add_co_u32_e32 v46, vcc, s59, v21
	v_addc_co_u32_e32 v47, vcc, 0, v47, vcc
	flat_load_ushort v21, v[46:47] offset:2432
	s_or_b64 exec, exec, s[2:3]
                                        ; implicit-def: $vgpr47
	s_and_saveexec_b64 s[2:3], s[42:43]
	s_cbranch_execnz .LBB1556_72
.LBB1556_217:
	s_or_b64 exec, exec, s[2:3]
                                        ; implicit-def: $vgpr48
	s_and_saveexec_b64 s[2:3], s[44:45]
	s_cbranch_execz .LBB1556_73
.LBB1556_218:
	v_lshlrev_b32_e32 v46, 1, v0
	v_mov_b32_e32 v49, s78
	v_add_co_u32_e32 v48, vcc, s59, v46
	v_addc_co_u32_e32 v49, vcc, 0, v49, vcc
	flat_load_ushort v48, v[48:49] offset:2688
	s_or_b64 exec, exec, s[2:3]
                                        ; implicit-def: $vgpr49
	s_and_saveexec_b64 s[2:3], s[46:47]
	s_cbranch_execz .LBB1556_75
	s_branch .LBB1556_74
.LBB1556_219:
                                        ; implicit-def: $vgpr39
                                        ; implicit-def: $vgpr22
                                        ; implicit-def: $vgpr23
                                        ; implicit-def: $vgpr24
                                        ; implicit-def: $vgpr25
                                        ; implicit-def: $vgpr26
                                        ; implicit-def: $vgpr28
                                        ; implicit-def: $vgpr30
                                        ; implicit-def: $vgpr27
                                        ; implicit-def: $vgpr29
                                        ; implicit-def: $vgpr31
                                        ; implicit-def: $vgpr34
                                        ; implicit-def: $vgpr35
                                        ; implicit-def: $vgpr36
                                        ; implicit-def: $vgpr38
                                        ; implicit-def: $vgpr41
                                        ; implicit-def: $vgpr37
                                        ; implicit-def: $vgpr40
                                        ; implicit-def: $vgpr42
                                        ; implicit-def: $vgpr43
                                        ; implicit-def: $vgpr44
                                        ; implicit-def: $vgpr45
                                        ; implicit-def: $vgpr46
                                        ; implicit-def: $vgpr47
	s_cbranch_execz .LBB1556_239
; %bb.220:
	s_cmp_lg_u64 s[68:69], 0
	s_cselect_b32 s3, s63, 0
	s_cselect_b32 s2, s62, 0
	s_cmp_eq_u64 s[2:3], 0
	v_mov_b32_e32 v39, s7
	s_cbranch_scc1 .LBB1556_222
; %bb.221:
	v_mov_b32_e32 v22, 0
	global_load_ushort v39, v22, s[2:3]
.LBB1556_222:
	s_mov_b32 s50, 0x10000
	v_cmp_gt_u32_e32 vcc, s50, v50
	v_cndmask_b32_e32 v22, 0, v1, vcc
	v_add_u16_e32 v22, v22, v50
	v_cmp_gt_u32_e64 s[2:3], s50, v21
	v_cndmask_b32_e64 v22, 0, v22, s[2:3]
	v_add_u16_e32 v22, v22, v21
	v_cmp_gt_u32_e64 s[4:5], s50, v20
	v_cndmask_b32_e64 v22, 0, v22, s[4:5]
	;; [unrolled: 3-line block ×18, first 2 shown]
	v_bfe_u32 v25, v19, 16, 1
	v_add_u16_e32 v22, v22, v14
	v_cmp_gt_u32_e64 s[40:41], s50, v15
	v_lshlrev_b16_e32 v26, 1, v25
	v_mov_b32_e32 v25, 1
	v_cndmask_b32_e64 v22, 0, v22, s[40:41]
	v_and_b32_sdwa v27, v18, v25 dst_sel:DWORD dst_unused:UNUSED_PAD src0_sel:WORD_1 src1_sel:DWORD
	v_add_u16_e32 v22, v22, v15
	v_cmp_gt_u32_e64 s[42:43], s50, v16
	v_or_b32_e32 v26, v27, v26
	v_bfe_u32 v27, v21, 16, 1
	v_and_b32_sdwa v28, v20, v25 dst_sel:DWORD dst_unused:UNUSED_PAD src0_sel:WORD_1 src1_sel:DWORD
	v_cndmask_b32_e64 v22, 0, v22, s[42:43]
	v_lshlrev_b16_e32 v27, 3, v27
	v_lshlrev_b16_e32 v28, 2, v28
	v_add_u16_e32 v22, v22, v16
	v_cmp_gt_u32_e64 s[44:45], s50, v17
	v_or_b32_e32 v27, v27, v28
	v_cndmask_b32_e64 v22, 0, v22, s[44:45]
	v_or_b32_e32 v26, v26, v27
	v_and_b32_e32 v27, 0x10000, v51
	v_add_u16_e32 v22, v22, v17
	v_cmp_gt_u32_e64 s[50:51], s50, v32
	v_and_b32_e32 v28, 0x10000, v32
	v_cmp_ne_u32_e64 s[48:49], 0, v27
	v_cndmask_b32_e64 v27, 0, v22, s[50:51]
	v_cmp_ne_u32_e64 s[50:51], 0, v28
	v_or_b32_e32 v28, v16, v8
	v_or_b32_e32 v29, v17, v9
	;; [unrolled: 1-line block ×7, first 2 shown]
	v_bfe_u32 v31, v31, 16, 1
	v_bfe_u32 v29, v29, 16, 1
	v_and_b32_sdwa v28, v28, v25 dst_sel:DWORD dst_unused:UNUSED_PAD src0_sel:WORD_1 src1_sel:DWORD
	v_or_b32_e32 v36, v10, v2
	v_bfe_u32 v37, v37, 16, 1
	v_bfe_u32 v35, v35, 16, 1
	v_and_b32_sdwa v34, v34, v25 dst_sel:DWORD dst_unused:UNUSED_PAD src0_sel:WORD_1 src1_sel:DWORD
	v_lshlrev_b16_e32 v31, 1, v31
	v_and_b32_sdwa v30, v30, v25 dst_sel:DWORD dst_unused:UNUSED_PAD src0_sel:WORD_1 src1_sel:DWORD
	v_lshlrev_b16_e32 v29, 3, v29
	v_lshlrev_b16_e32 v28, 2, v28
	;; [unrolled: 1-line block ×3, first 2 shown]
	v_and_b32_sdwa v36, v36, v25 dst_sel:DWORD dst_unused:UNUSED_PAD src0_sel:WORD_1 src1_sel:DWORD
	v_lshlrev_b16_e32 v35, 3, v35
	v_lshlrev_b16_e32 v34, 2, v34
	v_or_b32_e32 v30, v30, v31
	v_or_b32_e32 v28, v29, v28
	;; [unrolled: 1-line block ×6, first 2 shown]
	v_lshlrev_b16_e32 v28, 4, v28
	v_or_b32_e32 v28, v34, v28
	v_or_b32_e32 v26, v28, v26
	v_mov_b32_e32 v28, 0
	v_cmp_ne_u16_sdwa s[52:53], v26, v28 src0_sel:BYTE_0 src1_sel:DWORD
	v_and_b32_e32 v24, 0x10000, v50
	s_or_b64 s[50:51], s[50:51], s[52:53]
	v_cmp_ne_u32_e64 s[46:47], 0, v24
	s_or_b64 s[48:49], s[50:51], s[48:49]
	v_mov_b32_e32 v23, 0x10000
	v_and_b32_e32 v24, 0x10000, v1
	s_or_b64 s[46:47], s[48:49], s[46:47]
	v_cndmask_b32_e64 v28, v24, v23, s[46:47]
	v_add_u16_e32 v26, v27, v32
	v_mbcnt_hi_u32_b32 v23, -1, v33
	v_add_u16_e32 v22, v27, v32
	v_and_b32_e32 v27, 15, v23
	v_or_b32_e32 v26, v28, v26
	v_lshrrev_b32_e32 v24, 16, v28
	v_cmp_ne_u32_e64 s[46:47], 0, v27
	v_mov_b32_dpp v29, v26 row_shr:1 row_mask:0xf bank_mask:0xf
	s_and_saveexec_b64 s[48:49], s[46:47]
; %bb.223:
	v_cmp_eq_u32_e64 s[46:47], 0, v28
	v_and_b32_e32 v24, 0x10000, v28
	v_cndmask_b32_e64 v26, 0, v29, s[46:47]
	v_and_b32_sdwa v25, v29, v25 dst_sel:DWORD dst_unused:UNUSED_PAD src0_sel:WORD_1 src1_sel:DWORD
	v_cmp_ne_u32_e64 s[46:47], 0, v24
	v_cndmask_b32_e64 v24, v25, 1, s[46:47]
	v_add_u16_e32 v30, v26, v22
	v_lshlrev_b32_e32 v25, 16, v24
	v_add_u16_e32 v22, v26, v22
	v_or_b32_e32 v26, v25, v22
	v_mov_b32_e32 v22, v30
; %bb.224:
	s_or_b64 exec, exec, s[48:49]
	v_lshrrev_b32_e32 v25, 16, v26
	v_mov_b32_dpp v28, v26 row_shr:2 row_mask:0xf bank_mask:0xf
	v_cmp_lt_u32_e64 s[46:47], 1, v27
	s_and_saveexec_b64 s[48:49], s[46:47]
	s_cbranch_execz .LBB1556_226
; %bb.225:
	s_mov_b32 s46, 0x10000
	v_cmp_gt_u32_e64 s[46:47], s46, v26
	v_and_b32_e32 v24, 0x10000, v26
	v_mov_b32_e32 v26, 1
	v_cndmask_b32_e64 v25, 0, v28, s[46:47]
	v_and_b32_sdwa v26, v28, v26 dst_sel:DWORD dst_unused:UNUSED_PAD src0_sel:WORD_1 src1_sel:DWORD
	v_cmp_ne_u32_e64 s[46:47], 0, v24
	v_cndmask_b32_e64 v24, v26, 1, s[46:47]
	v_add_u16_e32 v29, v25, v22
	v_lshlrev_b32_e32 v26, 16, v24
	v_add_u16_e32 v22, v25, v22
	v_or_b32_e32 v26, v26, v22
	v_mov_b32_e32 v22, v29
	v_mov_b32_e32 v25, v24
.LBB1556_226:
	s_or_b64 exec, exec, s[48:49]
	v_mov_b32_dpp v28, v26 row_shr:4 row_mask:0xf bank_mask:0xf
	v_cmp_lt_u32_e64 s[46:47], 3, v27
	s_and_saveexec_b64 s[48:49], s[46:47]
	s_cbranch_execz .LBB1556_228
; %bb.227:
	v_cmp_eq_u16_e64 s[46:47], 0, v25
	v_and_b32_e32 v24, 1, v25
	v_mov_b32_e32 v25, 1
	v_cndmask_b32_e64 v26, 0, v28, s[46:47]
	v_and_b32_sdwa v25, v28, v25 dst_sel:DWORD dst_unused:UNUSED_PAD src0_sel:WORD_1 src1_sel:DWORD
	v_cmp_eq_u32_e64 s[46:47], 1, v24
	v_cndmask_b32_e64 v24, v25, 1, s[46:47]
	v_add_u16_e32 v29, v26, v22
	v_lshlrev_b32_e32 v25, 16, v24
	v_add_u16_e32 v22, v26, v22
	v_or_b32_e32 v26, v25, v22
	v_mov_b32_e32 v22, v29
	v_mov_b32_e32 v25, v24
.LBB1556_228:
	s_or_b64 exec, exec, s[48:49]
	v_mov_b32_dpp v28, v26 row_shr:8 row_mask:0xf bank_mask:0xf
	v_cmp_lt_u32_e64 s[46:47], 7, v27
	s_and_saveexec_b64 s[48:49], s[46:47]
	s_cbranch_execz .LBB1556_230
; %bb.229:
	v_cmp_eq_u16_e64 s[46:47], 0, v25
	v_and_b32_e32 v24, 1, v25
	v_mov_b32_e32 v25, 1
	v_cndmask_b32_e64 v26, 0, v28, s[46:47]
	v_and_b32_sdwa v25, v28, v25 dst_sel:DWORD dst_unused:UNUSED_PAD src0_sel:WORD_1 src1_sel:DWORD
	v_cmp_eq_u32_e64 s[46:47], 1, v24
	v_cndmask_b32_e64 v24, v25, 1, s[46:47]
	v_add_u16_e32 v27, v26, v22
	v_lshlrev_b32_e32 v25, 16, v24
	v_add_u16_e32 v22, v26, v22
	v_or_b32_e32 v26, v25, v22
	v_mov_b32_e32 v22, v27
	v_mov_b32_e32 v25, v24
.LBB1556_230:
	s_or_b64 exec, exec, s[48:49]
	v_and_b32_e32 v28, 16, v23
	v_mov_b32_dpp v27, v26 row_bcast:15 row_mask:0xf bank_mask:0xf
	v_cmp_ne_u32_e64 s[46:47], 0, v28
	s_and_saveexec_b64 s[48:49], s[46:47]
	s_cbranch_execz .LBB1556_232
; %bb.231:
	v_cmp_eq_u16_e64 s[46:47], 0, v25
	v_and_b32_e32 v24, 1, v25
	v_mov_b32_e32 v25, 1
	v_cndmask_b32_e64 v26, 0, v27, s[46:47]
	v_and_b32_sdwa v25, v27, v25 dst_sel:DWORD dst_unused:UNUSED_PAD src0_sel:WORD_1 src1_sel:DWORD
	v_cmp_eq_u32_e64 s[46:47], 1, v24
	v_cndmask_b32_e64 v24, v25, 1, s[46:47]
	v_add_u16_e32 v28, v26, v22
	v_lshlrev_b32_e32 v25, 16, v24
	v_add_u16_e32 v22, v26, v22
	v_or_b32_e32 v26, v25, v22
	v_mov_b32_e32 v22, v28
	v_mov_b32_e32 v25, v24
.LBB1556_232:
	s_or_b64 exec, exec, s[48:49]
	v_mov_b32_dpp v26, v26 row_bcast:31 row_mask:0xf bank_mask:0xf
	v_cmp_lt_u32_e64 s[46:47], 31, v23
	s_and_saveexec_b64 s[48:49], s[46:47]
; %bb.233:
	v_cmp_eq_u16_e64 s[46:47], 0, v25
	v_cndmask_b32_e64 v24, 0, v26, s[46:47]
	v_add_u16_e32 v22, v24, v22
	v_and_b32_e32 v24, 1, v25
	v_mov_b32_e32 v25, 1
	v_and_b32_sdwa v25, v26, v25 dst_sel:DWORD dst_unused:UNUSED_PAD src0_sel:WORD_1 src1_sel:DWORD
	v_cmp_eq_u32_e64 s[46:47], 1, v24
	v_cndmask_b32_e64 v24, v25, 1, s[46:47]
	v_mov_b32_e32 v25, v24
; %bb.234:
	s_or_b64 exec, exec, s[48:49]
	v_cmp_eq_u32_e64 s[46:47], 63, v0
	s_and_saveexec_b64 s[48:49], s[46:47]
	s_cbranch_execz .LBB1556_236
; %bb.235:
	v_mov_b32_e32 v26, 0
	ds_write_b16 v26, v22
	ds_write_b8 v26, v25 offset:2
.LBB1556_236:
	s_or_b64 exec, exec, s[48:49]
	v_cmp_eq_u16_e64 s[46:47], 0, v24
	v_and_b32_e32 v24, 1, v24
	s_waitcnt vmcnt(0)
	v_cndmask_b32_e64 v25, 0, v39, s[46:47]
	v_mov_b32_e32 v26, 0x10000
	v_cmp_eq_u32_e64 s[46:47], 1, v24
	v_cndmask_b32_e64 v24, 0, v26, s[46:47]
	v_add_u16_e32 v22, v25, v22
	v_or_b32_e32 v22, v24, v22
	v_add_u32_e32 v24, -1, v23
	v_and_b32_e32 v25, 64, v23
	v_cmp_lt_i32_e64 s[46:47], v24, v25
	v_cndmask_b32_e64 v24, v24, v23, s[46:47]
	v_lshlrev_b32_e32 v24, 2, v24
	ds_bpermute_b32 v22, v24, v22
	v_cmp_eq_u32_e64 s[46:47], 0, v23
	v_cmp_eq_u32_e64 s[48:49], 0, v0
	s_or_b64 s[46:47], s[48:49], s[46:47]
	s_waitcnt lgkmcnt(0)
	v_cndmask_b32_e64 v32, v22, v39, s[46:47]
	v_and_b32_e32 v22, 0xff0000, v1
	v_cmp_eq_u32_e64 s[46:47], 0, v22
	v_cndmask_b32_e64 v22, 0, v32, s[46:47]
	v_add_u16_e32 v22, v22, v1
	v_cndmask_b32_e32 v1, 0, v22, vcc
	v_add_u16_e32 v23, v1, v50
	v_cndmask_b32_e64 v1, 0, v23, s[2:3]
	v_add_u16_e32 v24, v1, v21
	v_cndmask_b32_e64 v1, 0, v24, s[4:5]
	;; [unrolled: 2-line block ×21, first 2 shown]
	; wave barrier
	s_and_saveexec_b64 s[2:3], s[48:49]
	s_cbranch_execz .LBB1556_238
; %bb.237:
	v_mov_b32_e32 v4, 0
	ds_read_u8 v2, v4 offset:2
	ds_read_u16 v3, v4
	s_waitcnt lgkmcnt(1)
	v_cmp_eq_u32_e32 vcc, 0, v2
	v_lshlrev_b32_e32 v5, 16, v2
	v_cndmask_b32_e32 v2, 0, v39, vcc
	s_waitcnt lgkmcnt(0)
	v_add_u32_e32 v2, v2, v3
	v_or_b32_sdwa v2, v5, v2 dst_sel:DWORD dst_unused:UNUSED_PAD src0_sel:DWORD src1_sel:WORD_0
	v_mov_b32_e32 v3, 2
	global_store_dwordx2 v4, v[2:3], s[56:57] offset:512
.LBB1556_238:
	s_or_b64 exec, exec, s[2:3]
	v_and_b32_e32 v39, 0xffff, v32
	v_add_u16_e32 v47, v1, v17
.LBB1556_239:
	s_add_u32 s2, s54, s64
	s_addc_u32 s3, s55, s65
	s_add_u32 s4, s2, s66
	s_addc_u32 s5, s3, s67
	s_and_b64 vcc, exec, s[0:1]
	v_mul_u32_u24_e32 v5, 24, v0
	v_lshlrev_b32_e32 v4, 1, v0
	s_cbranch_vccz .LBB1556_287
; %bb.240:
	s_mov_b32 s0, 0x5040100
	v_lshlrev_b32_e32 v50, 1, v5
	v_perm_b32 v9, v30, v28, s0
	v_perm_b32 v8, v26, v25, s0
	;; [unrolled: 1-line block ×4, first 2 shown]
	s_waitcnt lgkmcnt(0)
	; wave barrier
	ds_write_b128 v50, v[6:9]
	v_perm_b32 v9, v41, v38, s0
	v_perm_b32 v8, v36, v35, s0
	;; [unrolled: 1-line block ×4, first 2 shown]
	ds_write_b128 v50, v[6:9] offset:16
	v_perm_b32 v9, v47, v46, s0
	v_perm_b32 v8, v45, v44, s0
	;; [unrolled: 1-line block ×4, first 2 shown]
	s_movk_i32 s0, 0xffd2
	v_mad_i32_i24 v2, v0, s0, v50
	ds_write_b128 v50, v[6:9] offset:32
	s_waitcnt lgkmcnt(0)
	; wave barrier
	s_waitcnt lgkmcnt(0)
	ds_read_u16 v53, v2 offset:128
	ds_read_u16 v52, v2 offset:256
	;; [unrolled: 1-line block ×23, first 2 shown]
	v_mov_b32_e32 v3, s5
	v_add_co_u32_e32 v2, vcc, s4, v4
	s_add_i32 s33, s33, s58
	v_addc_co_u32_e32 v3, vcc, 0, v3, vcc
	v_mov_b32_e32 v1, 0
	v_cmp_gt_u32_e32 vcc, s33, v0
	s_and_saveexec_b64 s[0:1], vcc
	s_cbranch_execz .LBB1556_242
; %bb.241:
	v_mul_i32_i24_e32 v54, 0xffffffd2, v0
	v_add_u32_e32 v50, v50, v54
	ds_read_u16 v50, v50
	s_waitcnt lgkmcnt(0)
	flat_store_short v[2:3], v50
.LBB1556_242:
	s_or_b64 exec, exec, s[0:1]
	v_or_b32_e32 v50, 64, v0
	v_cmp_gt_u32_e32 vcc, s33, v50
	s_and_saveexec_b64 s[0:1], vcc
	s_cbranch_execz .LBB1556_244
; %bb.243:
	s_waitcnt lgkmcnt(0)
	flat_store_short v[2:3], v53 offset:128
.LBB1556_244:
	s_or_b64 exec, exec, s[0:1]
	v_or_b32_e32 v50, 0x80, v0
	v_cmp_gt_u32_e32 vcc, s33, v50
	s_and_saveexec_b64 s[0:1], vcc
	s_cbranch_execz .LBB1556_246
; %bb.245:
	s_waitcnt lgkmcnt(0)
	flat_store_short v[2:3], v52 offset:256
.LBB1556_246:
	;; [unrolled: 9-line block ×4, first 2 shown]
	s_or_b64 exec, exec, s[0:1]
	s_waitcnt lgkmcnt(0)
	v_or_b32_e32 v49, 0x140, v0
	v_cmp_gt_u32_e32 vcc, s33, v49
	s_and_saveexec_b64 s[0:1], vcc
	s_cbranch_execz .LBB1556_252
; %bb.251:
	flat_store_short v[2:3], v48 offset:640
.LBB1556_252:
	s_or_b64 exec, exec, s[0:1]
	v_or_b32_e32 v48, 0x180, v0
	v_cmp_gt_u32_e32 vcc, s33, v48
	s_and_saveexec_b64 s[0:1], vcc
	s_cbranch_execz .LBB1556_254
; %bb.253:
	flat_store_short v[2:3], v33 offset:768
.LBB1556_254:
	s_or_b64 exec, exec, s[0:1]
	;; [unrolled: 8-line block ×18, first 2 shown]
	v_or_b32_e32 v2, 0x5c0, v0
	v_cmp_gt_u32_e64 s[0:1], s33, v2
	s_branch .LBB1556_289
.LBB1556_287:
	s_mov_b64 s[0:1], 0
                                        ; implicit-def: $vgpr6
	s_cbranch_execz .LBB1556_289
; %bb.288:
	s_mov_b32 s2, 0x5040100
	v_lshlrev_b32_e32 v2, 1, v5
	v_perm_b32 v9, v30, v28, s2
	v_perm_b32 v8, v26, v25, s2
	;; [unrolled: 1-line block ×4, first 2 shown]
	s_waitcnt lgkmcnt(0)
	; wave barrier
	s_waitcnt lgkmcnt(0)
	ds_write_b128 v2, v[6:9]
	v_perm_b32 v9, v41, v38, s2
	v_perm_b32 v8, v36, v35, s2
	;; [unrolled: 1-line block ×4, first 2 shown]
	ds_write_b128 v2, v[6:9] offset:16
	v_perm_b32 v9, v47, v46, s2
	v_perm_b32 v8, v45, v44, s2
	;; [unrolled: 1-line block ×4, first 2 shown]
	s_movk_i32 s2, 0xffd2
	ds_write_b128 v2, v[6:9] offset:32
	v_mad_i32_i24 v2, v0, s2, v2
	s_waitcnt lgkmcnt(0)
	; wave barrier
	s_waitcnt lgkmcnt(0)
	ds_read_u16 v5, v2
	ds_read_u16 v7, v2 offset:128
	ds_read_u16 v8, v2 offset:256
	;; [unrolled: 1-line block ×23, first 2 shown]
	v_mov_b32_e32 v3, s5
	v_add_co_u32_e32 v2, vcc, s4, v4
	v_mov_b32_e32 v1, 0
	v_addc_co_u32_e32 v3, vcc, 0, v3, vcc
	s_or_b64 s[0:1], s[0:1], exec
	s_waitcnt lgkmcnt(0)
	flat_store_short v[2:3], v5
	flat_store_short v[2:3], v7 offset:128
	flat_store_short v[2:3], v8 offset:256
	flat_store_short v[2:3], v9 offset:384
	flat_store_short v[2:3], v10 offset:512
	flat_store_short v[2:3], v11 offset:640
	flat_store_short v[2:3], v12 offset:768
	flat_store_short v[2:3], v13 offset:896
	flat_store_short v[2:3], v14 offset:1024
	flat_store_short v[2:3], v15 offset:1152
	flat_store_short v[2:3], v16 offset:1280
	flat_store_short v[2:3], v17 offset:1408
	flat_store_short v[2:3], v18 offset:1536
	flat_store_short v[2:3], v19 offset:1664
	flat_store_short v[2:3], v20 offset:1792
	flat_store_short v[2:3], v21 offset:1920
	flat_store_short v[2:3], v22 offset:2048
	flat_store_short v[2:3], v23 offset:2176
	flat_store_short v[2:3], v24 offset:2304
	flat_store_short v[2:3], v25 offset:2432
	flat_store_short v[2:3], v26 offset:2560
	flat_store_short v[2:3], v27 offset:2688
	flat_store_short v[2:3], v28 offset:2816
.LBB1556_289:
	s_and_saveexec_b64 s[2:3], s[0:1]
	s_cbranch_execz .LBB1556_291
; %bb.290:
	v_lshlrev_b64 v[0:1], 1, v[0:1]
	v_mov_b32_e32 v2, s5
	v_add_co_u32_e32 v0, vcc, s4, v0
	v_addc_co_u32_e32 v1, vcc, v2, v1, vcc
	flat_store_short v[0:1], v6 offset:2944
	s_endpgm
.LBB1556_291:
	s_endpgm
	.section	.rodata,"a",@progbits
	.p2align	6, 0x0
	.amdhsa_kernel _ZN7rocprim17ROCPRIM_400000_NS6detail17trampoline_kernelINS0_14default_configENS1_27scan_by_key_config_selectorIitEEZZNS1_16scan_by_key_implILNS1_25lookback_scan_determinismE0ELb1ES3_N6thrust23THRUST_200600_302600_NS6detail15normal_iteratorINS9_10device_ptrIiEEEENSB_INSC_ItEEEESG_tNS9_4plusIvEENS9_8equal_toIvEEtEE10hipError_tPvRmT2_T3_T4_T5_mT6_T7_P12ihipStream_tbENKUlT_T0_E_clISt17integral_constantIbLb1EES10_IbLb0EEEEDaSW_SX_EUlSW_E_NS1_11comp_targetILNS1_3genE4ELNS1_11target_archE910ELNS1_3gpuE8ELNS1_3repE0EEENS1_30default_config_static_selectorELNS0_4arch9wavefront6targetE1EEEvT1_
		.amdhsa_group_segment_fixed_size 6656
		.amdhsa_private_segment_fixed_size 0
		.amdhsa_kernarg_size 112
		.amdhsa_user_sgpr_count 6
		.amdhsa_user_sgpr_private_segment_buffer 1
		.amdhsa_user_sgpr_dispatch_ptr 0
		.amdhsa_user_sgpr_queue_ptr 0
		.amdhsa_user_sgpr_kernarg_segment_ptr 1
		.amdhsa_user_sgpr_dispatch_id 0
		.amdhsa_user_sgpr_flat_scratch_init 0
		.amdhsa_user_sgpr_kernarg_preload_length 0
		.amdhsa_user_sgpr_kernarg_preload_offset 0
		.amdhsa_user_sgpr_private_segment_size 0
		.amdhsa_uses_dynamic_stack 0
		.amdhsa_system_sgpr_private_segment_wavefront_offset 0
		.amdhsa_system_sgpr_workgroup_id_x 1
		.amdhsa_system_sgpr_workgroup_id_y 0
		.amdhsa_system_sgpr_workgroup_id_z 0
		.amdhsa_system_sgpr_workgroup_info 0
		.amdhsa_system_vgpr_workitem_id 0
		.amdhsa_next_free_vgpr 56
		.amdhsa_next_free_sgpr 88
		.amdhsa_accum_offset 56
		.amdhsa_reserve_vcc 1
		.amdhsa_reserve_flat_scratch 0
		.amdhsa_float_round_mode_32 0
		.amdhsa_float_round_mode_16_64 0
		.amdhsa_float_denorm_mode_32 3
		.amdhsa_float_denorm_mode_16_64 3
		.amdhsa_dx10_clamp 1
		.amdhsa_ieee_mode 1
		.amdhsa_fp16_overflow 0
		.amdhsa_tg_split 0
		.amdhsa_exception_fp_ieee_invalid_op 0
		.amdhsa_exception_fp_denorm_src 0
		.amdhsa_exception_fp_ieee_div_zero 0
		.amdhsa_exception_fp_ieee_overflow 0
		.amdhsa_exception_fp_ieee_underflow 0
		.amdhsa_exception_fp_ieee_inexact 0
		.amdhsa_exception_int_div_zero 0
	.end_amdhsa_kernel
	.section	.text._ZN7rocprim17ROCPRIM_400000_NS6detail17trampoline_kernelINS0_14default_configENS1_27scan_by_key_config_selectorIitEEZZNS1_16scan_by_key_implILNS1_25lookback_scan_determinismE0ELb1ES3_N6thrust23THRUST_200600_302600_NS6detail15normal_iteratorINS9_10device_ptrIiEEEENSB_INSC_ItEEEESG_tNS9_4plusIvEENS9_8equal_toIvEEtEE10hipError_tPvRmT2_T3_T4_T5_mT6_T7_P12ihipStream_tbENKUlT_T0_E_clISt17integral_constantIbLb1EES10_IbLb0EEEEDaSW_SX_EUlSW_E_NS1_11comp_targetILNS1_3genE4ELNS1_11target_archE910ELNS1_3gpuE8ELNS1_3repE0EEENS1_30default_config_static_selectorELNS0_4arch9wavefront6targetE1EEEvT1_,"axG",@progbits,_ZN7rocprim17ROCPRIM_400000_NS6detail17trampoline_kernelINS0_14default_configENS1_27scan_by_key_config_selectorIitEEZZNS1_16scan_by_key_implILNS1_25lookback_scan_determinismE0ELb1ES3_N6thrust23THRUST_200600_302600_NS6detail15normal_iteratorINS9_10device_ptrIiEEEENSB_INSC_ItEEEESG_tNS9_4plusIvEENS9_8equal_toIvEEtEE10hipError_tPvRmT2_T3_T4_T5_mT6_T7_P12ihipStream_tbENKUlT_T0_E_clISt17integral_constantIbLb1EES10_IbLb0EEEEDaSW_SX_EUlSW_E_NS1_11comp_targetILNS1_3genE4ELNS1_11target_archE910ELNS1_3gpuE8ELNS1_3repE0EEENS1_30default_config_static_selectorELNS0_4arch9wavefront6targetE1EEEvT1_,comdat
.Lfunc_end1556:
	.size	_ZN7rocprim17ROCPRIM_400000_NS6detail17trampoline_kernelINS0_14default_configENS1_27scan_by_key_config_selectorIitEEZZNS1_16scan_by_key_implILNS1_25lookback_scan_determinismE0ELb1ES3_N6thrust23THRUST_200600_302600_NS6detail15normal_iteratorINS9_10device_ptrIiEEEENSB_INSC_ItEEEESG_tNS9_4plusIvEENS9_8equal_toIvEEtEE10hipError_tPvRmT2_T3_T4_T5_mT6_T7_P12ihipStream_tbENKUlT_T0_E_clISt17integral_constantIbLb1EES10_IbLb0EEEEDaSW_SX_EUlSW_E_NS1_11comp_targetILNS1_3genE4ELNS1_11target_archE910ELNS1_3gpuE8ELNS1_3repE0EEENS1_30default_config_static_selectorELNS0_4arch9wavefront6targetE1EEEvT1_, .Lfunc_end1556-_ZN7rocprim17ROCPRIM_400000_NS6detail17trampoline_kernelINS0_14default_configENS1_27scan_by_key_config_selectorIitEEZZNS1_16scan_by_key_implILNS1_25lookback_scan_determinismE0ELb1ES3_N6thrust23THRUST_200600_302600_NS6detail15normal_iteratorINS9_10device_ptrIiEEEENSB_INSC_ItEEEESG_tNS9_4plusIvEENS9_8equal_toIvEEtEE10hipError_tPvRmT2_T3_T4_T5_mT6_T7_P12ihipStream_tbENKUlT_T0_E_clISt17integral_constantIbLb1EES10_IbLb0EEEEDaSW_SX_EUlSW_E_NS1_11comp_targetILNS1_3genE4ELNS1_11target_archE910ELNS1_3gpuE8ELNS1_3repE0EEENS1_30default_config_static_selectorELNS0_4arch9wavefront6targetE1EEEvT1_
                                        ; -- End function
	.section	.AMDGPU.csdata,"",@progbits
; Kernel info:
; codeLenInByte = 15764
; NumSgprs: 92
; NumVgprs: 56
; NumAgprs: 0
; TotalNumVgprs: 56
; ScratchSize: 0
; MemoryBound: 0
; FloatMode: 240
; IeeeMode: 1
; LDSByteSize: 6656 bytes/workgroup (compile time only)
; SGPRBlocks: 11
; VGPRBlocks: 6
; NumSGPRsForWavesPerEU: 92
; NumVGPRsForWavesPerEU: 56
; AccumOffset: 56
; Occupancy: 3
; WaveLimiterHint : 1
; COMPUTE_PGM_RSRC2:SCRATCH_EN: 0
; COMPUTE_PGM_RSRC2:USER_SGPR: 6
; COMPUTE_PGM_RSRC2:TRAP_HANDLER: 0
; COMPUTE_PGM_RSRC2:TGID_X_EN: 1
; COMPUTE_PGM_RSRC2:TGID_Y_EN: 0
; COMPUTE_PGM_RSRC2:TGID_Z_EN: 0
; COMPUTE_PGM_RSRC2:TIDIG_COMP_CNT: 0
; COMPUTE_PGM_RSRC3_GFX90A:ACCUM_OFFSET: 13
; COMPUTE_PGM_RSRC3_GFX90A:TG_SPLIT: 0
	.section	.text._ZN7rocprim17ROCPRIM_400000_NS6detail17trampoline_kernelINS0_14default_configENS1_27scan_by_key_config_selectorIitEEZZNS1_16scan_by_key_implILNS1_25lookback_scan_determinismE0ELb1ES3_N6thrust23THRUST_200600_302600_NS6detail15normal_iteratorINS9_10device_ptrIiEEEENSB_INSC_ItEEEESG_tNS9_4plusIvEENS9_8equal_toIvEEtEE10hipError_tPvRmT2_T3_T4_T5_mT6_T7_P12ihipStream_tbENKUlT_T0_E_clISt17integral_constantIbLb1EES10_IbLb0EEEEDaSW_SX_EUlSW_E_NS1_11comp_targetILNS1_3genE3ELNS1_11target_archE908ELNS1_3gpuE7ELNS1_3repE0EEENS1_30default_config_static_selectorELNS0_4arch9wavefront6targetE1EEEvT1_,"axG",@progbits,_ZN7rocprim17ROCPRIM_400000_NS6detail17trampoline_kernelINS0_14default_configENS1_27scan_by_key_config_selectorIitEEZZNS1_16scan_by_key_implILNS1_25lookback_scan_determinismE0ELb1ES3_N6thrust23THRUST_200600_302600_NS6detail15normal_iteratorINS9_10device_ptrIiEEEENSB_INSC_ItEEEESG_tNS9_4plusIvEENS9_8equal_toIvEEtEE10hipError_tPvRmT2_T3_T4_T5_mT6_T7_P12ihipStream_tbENKUlT_T0_E_clISt17integral_constantIbLb1EES10_IbLb0EEEEDaSW_SX_EUlSW_E_NS1_11comp_targetILNS1_3genE3ELNS1_11target_archE908ELNS1_3gpuE7ELNS1_3repE0EEENS1_30default_config_static_selectorELNS0_4arch9wavefront6targetE1EEEvT1_,comdat
	.protected	_ZN7rocprim17ROCPRIM_400000_NS6detail17trampoline_kernelINS0_14default_configENS1_27scan_by_key_config_selectorIitEEZZNS1_16scan_by_key_implILNS1_25lookback_scan_determinismE0ELb1ES3_N6thrust23THRUST_200600_302600_NS6detail15normal_iteratorINS9_10device_ptrIiEEEENSB_INSC_ItEEEESG_tNS9_4plusIvEENS9_8equal_toIvEEtEE10hipError_tPvRmT2_T3_T4_T5_mT6_T7_P12ihipStream_tbENKUlT_T0_E_clISt17integral_constantIbLb1EES10_IbLb0EEEEDaSW_SX_EUlSW_E_NS1_11comp_targetILNS1_3genE3ELNS1_11target_archE908ELNS1_3gpuE7ELNS1_3repE0EEENS1_30default_config_static_selectorELNS0_4arch9wavefront6targetE1EEEvT1_ ; -- Begin function _ZN7rocprim17ROCPRIM_400000_NS6detail17trampoline_kernelINS0_14default_configENS1_27scan_by_key_config_selectorIitEEZZNS1_16scan_by_key_implILNS1_25lookback_scan_determinismE0ELb1ES3_N6thrust23THRUST_200600_302600_NS6detail15normal_iteratorINS9_10device_ptrIiEEEENSB_INSC_ItEEEESG_tNS9_4plusIvEENS9_8equal_toIvEEtEE10hipError_tPvRmT2_T3_T4_T5_mT6_T7_P12ihipStream_tbENKUlT_T0_E_clISt17integral_constantIbLb1EES10_IbLb0EEEEDaSW_SX_EUlSW_E_NS1_11comp_targetILNS1_3genE3ELNS1_11target_archE908ELNS1_3gpuE7ELNS1_3repE0EEENS1_30default_config_static_selectorELNS0_4arch9wavefront6targetE1EEEvT1_
	.globl	_ZN7rocprim17ROCPRIM_400000_NS6detail17trampoline_kernelINS0_14default_configENS1_27scan_by_key_config_selectorIitEEZZNS1_16scan_by_key_implILNS1_25lookback_scan_determinismE0ELb1ES3_N6thrust23THRUST_200600_302600_NS6detail15normal_iteratorINS9_10device_ptrIiEEEENSB_INSC_ItEEEESG_tNS9_4plusIvEENS9_8equal_toIvEEtEE10hipError_tPvRmT2_T3_T4_T5_mT6_T7_P12ihipStream_tbENKUlT_T0_E_clISt17integral_constantIbLb1EES10_IbLb0EEEEDaSW_SX_EUlSW_E_NS1_11comp_targetILNS1_3genE3ELNS1_11target_archE908ELNS1_3gpuE7ELNS1_3repE0EEENS1_30default_config_static_selectorELNS0_4arch9wavefront6targetE1EEEvT1_
	.p2align	8
	.type	_ZN7rocprim17ROCPRIM_400000_NS6detail17trampoline_kernelINS0_14default_configENS1_27scan_by_key_config_selectorIitEEZZNS1_16scan_by_key_implILNS1_25lookback_scan_determinismE0ELb1ES3_N6thrust23THRUST_200600_302600_NS6detail15normal_iteratorINS9_10device_ptrIiEEEENSB_INSC_ItEEEESG_tNS9_4plusIvEENS9_8equal_toIvEEtEE10hipError_tPvRmT2_T3_T4_T5_mT6_T7_P12ihipStream_tbENKUlT_T0_E_clISt17integral_constantIbLb1EES10_IbLb0EEEEDaSW_SX_EUlSW_E_NS1_11comp_targetILNS1_3genE3ELNS1_11target_archE908ELNS1_3gpuE7ELNS1_3repE0EEENS1_30default_config_static_selectorELNS0_4arch9wavefront6targetE1EEEvT1_,@function
_ZN7rocprim17ROCPRIM_400000_NS6detail17trampoline_kernelINS0_14default_configENS1_27scan_by_key_config_selectorIitEEZZNS1_16scan_by_key_implILNS1_25lookback_scan_determinismE0ELb1ES3_N6thrust23THRUST_200600_302600_NS6detail15normal_iteratorINS9_10device_ptrIiEEEENSB_INSC_ItEEEESG_tNS9_4plusIvEENS9_8equal_toIvEEtEE10hipError_tPvRmT2_T3_T4_T5_mT6_T7_P12ihipStream_tbENKUlT_T0_E_clISt17integral_constantIbLb1EES10_IbLb0EEEEDaSW_SX_EUlSW_E_NS1_11comp_targetILNS1_3genE3ELNS1_11target_archE908ELNS1_3gpuE7ELNS1_3repE0EEENS1_30default_config_static_selectorELNS0_4arch9wavefront6targetE1EEEvT1_: ; @_ZN7rocprim17ROCPRIM_400000_NS6detail17trampoline_kernelINS0_14default_configENS1_27scan_by_key_config_selectorIitEEZZNS1_16scan_by_key_implILNS1_25lookback_scan_determinismE0ELb1ES3_N6thrust23THRUST_200600_302600_NS6detail15normal_iteratorINS9_10device_ptrIiEEEENSB_INSC_ItEEEESG_tNS9_4plusIvEENS9_8equal_toIvEEtEE10hipError_tPvRmT2_T3_T4_T5_mT6_T7_P12ihipStream_tbENKUlT_T0_E_clISt17integral_constantIbLb1EES10_IbLb0EEEEDaSW_SX_EUlSW_E_NS1_11comp_targetILNS1_3genE3ELNS1_11target_archE908ELNS1_3gpuE7ELNS1_3repE0EEENS1_30default_config_static_selectorELNS0_4arch9wavefront6targetE1EEEvT1_
; %bb.0:
	.section	.rodata,"a",@progbits
	.p2align	6, 0x0
	.amdhsa_kernel _ZN7rocprim17ROCPRIM_400000_NS6detail17trampoline_kernelINS0_14default_configENS1_27scan_by_key_config_selectorIitEEZZNS1_16scan_by_key_implILNS1_25lookback_scan_determinismE0ELb1ES3_N6thrust23THRUST_200600_302600_NS6detail15normal_iteratorINS9_10device_ptrIiEEEENSB_INSC_ItEEEESG_tNS9_4plusIvEENS9_8equal_toIvEEtEE10hipError_tPvRmT2_T3_T4_T5_mT6_T7_P12ihipStream_tbENKUlT_T0_E_clISt17integral_constantIbLb1EES10_IbLb0EEEEDaSW_SX_EUlSW_E_NS1_11comp_targetILNS1_3genE3ELNS1_11target_archE908ELNS1_3gpuE7ELNS1_3repE0EEENS1_30default_config_static_selectorELNS0_4arch9wavefront6targetE1EEEvT1_
		.amdhsa_group_segment_fixed_size 0
		.amdhsa_private_segment_fixed_size 0
		.amdhsa_kernarg_size 112
		.amdhsa_user_sgpr_count 6
		.amdhsa_user_sgpr_private_segment_buffer 1
		.amdhsa_user_sgpr_dispatch_ptr 0
		.amdhsa_user_sgpr_queue_ptr 0
		.amdhsa_user_sgpr_kernarg_segment_ptr 1
		.amdhsa_user_sgpr_dispatch_id 0
		.amdhsa_user_sgpr_flat_scratch_init 0
		.amdhsa_user_sgpr_kernarg_preload_length 0
		.amdhsa_user_sgpr_kernarg_preload_offset 0
		.amdhsa_user_sgpr_private_segment_size 0
		.amdhsa_uses_dynamic_stack 0
		.amdhsa_system_sgpr_private_segment_wavefront_offset 0
		.amdhsa_system_sgpr_workgroup_id_x 1
		.amdhsa_system_sgpr_workgroup_id_y 0
		.amdhsa_system_sgpr_workgroup_id_z 0
		.amdhsa_system_sgpr_workgroup_info 0
		.amdhsa_system_vgpr_workitem_id 0
		.amdhsa_next_free_vgpr 1
		.amdhsa_next_free_sgpr 0
		.amdhsa_accum_offset 4
		.amdhsa_reserve_vcc 0
		.amdhsa_reserve_flat_scratch 0
		.amdhsa_float_round_mode_32 0
		.amdhsa_float_round_mode_16_64 0
		.amdhsa_float_denorm_mode_32 3
		.amdhsa_float_denorm_mode_16_64 3
		.amdhsa_dx10_clamp 1
		.amdhsa_ieee_mode 1
		.amdhsa_fp16_overflow 0
		.amdhsa_tg_split 0
		.amdhsa_exception_fp_ieee_invalid_op 0
		.amdhsa_exception_fp_denorm_src 0
		.amdhsa_exception_fp_ieee_div_zero 0
		.amdhsa_exception_fp_ieee_overflow 0
		.amdhsa_exception_fp_ieee_underflow 0
		.amdhsa_exception_fp_ieee_inexact 0
		.amdhsa_exception_int_div_zero 0
	.end_amdhsa_kernel
	.section	.text._ZN7rocprim17ROCPRIM_400000_NS6detail17trampoline_kernelINS0_14default_configENS1_27scan_by_key_config_selectorIitEEZZNS1_16scan_by_key_implILNS1_25lookback_scan_determinismE0ELb1ES3_N6thrust23THRUST_200600_302600_NS6detail15normal_iteratorINS9_10device_ptrIiEEEENSB_INSC_ItEEEESG_tNS9_4plusIvEENS9_8equal_toIvEEtEE10hipError_tPvRmT2_T3_T4_T5_mT6_T7_P12ihipStream_tbENKUlT_T0_E_clISt17integral_constantIbLb1EES10_IbLb0EEEEDaSW_SX_EUlSW_E_NS1_11comp_targetILNS1_3genE3ELNS1_11target_archE908ELNS1_3gpuE7ELNS1_3repE0EEENS1_30default_config_static_selectorELNS0_4arch9wavefront6targetE1EEEvT1_,"axG",@progbits,_ZN7rocprim17ROCPRIM_400000_NS6detail17trampoline_kernelINS0_14default_configENS1_27scan_by_key_config_selectorIitEEZZNS1_16scan_by_key_implILNS1_25lookback_scan_determinismE0ELb1ES3_N6thrust23THRUST_200600_302600_NS6detail15normal_iteratorINS9_10device_ptrIiEEEENSB_INSC_ItEEEESG_tNS9_4plusIvEENS9_8equal_toIvEEtEE10hipError_tPvRmT2_T3_T4_T5_mT6_T7_P12ihipStream_tbENKUlT_T0_E_clISt17integral_constantIbLb1EES10_IbLb0EEEEDaSW_SX_EUlSW_E_NS1_11comp_targetILNS1_3genE3ELNS1_11target_archE908ELNS1_3gpuE7ELNS1_3repE0EEENS1_30default_config_static_selectorELNS0_4arch9wavefront6targetE1EEEvT1_,comdat
.Lfunc_end1557:
	.size	_ZN7rocprim17ROCPRIM_400000_NS6detail17trampoline_kernelINS0_14default_configENS1_27scan_by_key_config_selectorIitEEZZNS1_16scan_by_key_implILNS1_25lookback_scan_determinismE0ELb1ES3_N6thrust23THRUST_200600_302600_NS6detail15normal_iteratorINS9_10device_ptrIiEEEENSB_INSC_ItEEEESG_tNS9_4plusIvEENS9_8equal_toIvEEtEE10hipError_tPvRmT2_T3_T4_T5_mT6_T7_P12ihipStream_tbENKUlT_T0_E_clISt17integral_constantIbLb1EES10_IbLb0EEEEDaSW_SX_EUlSW_E_NS1_11comp_targetILNS1_3genE3ELNS1_11target_archE908ELNS1_3gpuE7ELNS1_3repE0EEENS1_30default_config_static_selectorELNS0_4arch9wavefront6targetE1EEEvT1_, .Lfunc_end1557-_ZN7rocprim17ROCPRIM_400000_NS6detail17trampoline_kernelINS0_14default_configENS1_27scan_by_key_config_selectorIitEEZZNS1_16scan_by_key_implILNS1_25lookback_scan_determinismE0ELb1ES3_N6thrust23THRUST_200600_302600_NS6detail15normal_iteratorINS9_10device_ptrIiEEEENSB_INSC_ItEEEESG_tNS9_4plusIvEENS9_8equal_toIvEEtEE10hipError_tPvRmT2_T3_T4_T5_mT6_T7_P12ihipStream_tbENKUlT_T0_E_clISt17integral_constantIbLb1EES10_IbLb0EEEEDaSW_SX_EUlSW_E_NS1_11comp_targetILNS1_3genE3ELNS1_11target_archE908ELNS1_3gpuE7ELNS1_3repE0EEENS1_30default_config_static_selectorELNS0_4arch9wavefront6targetE1EEEvT1_
                                        ; -- End function
	.section	.AMDGPU.csdata,"",@progbits
; Kernel info:
; codeLenInByte = 0
; NumSgprs: 4
; NumVgprs: 0
; NumAgprs: 0
; TotalNumVgprs: 0
; ScratchSize: 0
; MemoryBound: 0
; FloatMode: 240
; IeeeMode: 1
; LDSByteSize: 0 bytes/workgroup (compile time only)
; SGPRBlocks: 0
; VGPRBlocks: 0
; NumSGPRsForWavesPerEU: 4
; NumVGPRsForWavesPerEU: 1
; AccumOffset: 4
; Occupancy: 8
; WaveLimiterHint : 0
; COMPUTE_PGM_RSRC2:SCRATCH_EN: 0
; COMPUTE_PGM_RSRC2:USER_SGPR: 6
; COMPUTE_PGM_RSRC2:TRAP_HANDLER: 0
; COMPUTE_PGM_RSRC2:TGID_X_EN: 1
; COMPUTE_PGM_RSRC2:TGID_Y_EN: 0
; COMPUTE_PGM_RSRC2:TGID_Z_EN: 0
; COMPUTE_PGM_RSRC2:TIDIG_COMP_CNT: 0
; COMPUTE_PGM_RSRC3_GFX90A:ACCUM_OFFSET: 0
; COMPUTE_PGM_RSRC3_GFX90A:TG_SPLIT: 0
	.section	.text._ZN7rocprim17ROCPRIM_400000_NS6detail17trampoline_kernelINS0_14default_configENS1_27scan_by_key_config_selectorIitEEZZNS1_16scan_by_key_implILNS1_25lookback_scan_determinismE0ELb1ES3_N6thrust23THRUST_200600_302600_NS6detail15normal_iteratorINS9_10device_ptrIiEEEENSB_INSC_ItEEEESG_tNS9_4plusIvEENS9_8equal_toIvEEtEE10hipError_tPvRmT2_T3_T4_T5_mT6_T7_P12ihipStream_tbENKUlT_T0_E_clISt17integral_constantIbLb1EES10_IbLb0EEEEDaSW_SX_EUlSW_E_NS1_11comp_targetILNS1_3genE2ELNS1_11target_archE906ELNS1_3gpuE6ELNS1_3repE0EEENS1_30default_config_static_selectorELNS0_4arch9wavefront6targetE1EEEvT1_,"axG",@progbits,_ZN7rocprim17ROCPRIM_400000_NS6detail17trampoline_kernelINS0_14default_configENS1_27scan_by_key_config_selectorIitEEZZNS1_16scan_by_key_implILNS1_25lookback_scan_determinismE0ELb1ES3_N6thrust23THRUST_200600_302600_NS6detail15normal_iteratorINS9_10device_ptrIiEEEENSB_INSC_ItEEEESG_tNS9_4plusIvEENS9_8equal_toIvEEtEE10hipError_tPvRmT2_T3_T4_T5_mT6_T7_P12ihipStream_tbENKUlT_T0_E_clISt17integral_constantIbLb1EES10_IbLb0EEEEDaSW_SX_EUlSW_E_NS1_11comp_targetILNS1_3genE2ELNS1_11target_archE906ELNS1_3gpuE6ELNS1_3repE0EEENS1_30default_config_static_selectorELNS0_4arch9wavefront6targetE1EEEvT1_,comdat
	.protected	_ZN7rocprim17ROCPRIM_400000_NS6detail17trampoline_kernelINS0_14default_configENS1_27scan_by_key_config_selectorIitEEZZNS1_16scan_by_key_implILNS1_25lookback_scan_determinismE0ELb1ES3_N6thrust23THRUST_200600_302600_NS6detail15normal_iteratorINS9_10device_ptrIiEEEENSB_INSC_ItEEEESG_tNS9_4plusIvEENS9_8equal_toIvEEtEE10hipError_tPvRmT2_T3_T4_T5_mT6_T7_P12ihipStream_tbENKUlT_T0_E_clISt17integral_constantIbLb1EES10_IbLb0EEEEDaSW_SX_EUlSW_E_NS1_11comp_targetILNS1_3genE2ELNS1_11target_archE906ELNS1_3gpuE6ELNS1_3repE0EEENS1_30default_config_static_selectorELNS0_4arch9wavefront6targetE1EEEvT1_ ; -- Begin function _ZN7rocprim17ROCPRIM_400000_NS6detail17trampoline_kernelINS0_14default_configENS1_27scan_by_key_config_selectorIitEEZZNS1_16scan_by_key_implILNS1_25lookback_scan_determinismE0ELb1ES3_N6thrust23THRUST_200600_302600_NS6detail15normal_iteratorINS9_10device_ptrIiEEEENSB_INSC_ItEEEESG_tNS9_4plusIvEENS9_8equal_toIvEEtEE10hipError_tPvRmT2_T3_T4_T5_mT6_T7_P12ihipStream_tbENKUlT_T0_E_clISt17integral_constantIbLb1EES10_IbLb0EEEEDaSW_SX_EUlSW_E_NS1_11comp_targetILNS1_3genE2ELNS1_11target_archE906ELNS1_3gpuE6ELNS1_3repE0EEENS1_30default_config_static_selectorELNS0_4arch9wavefront6targetE1EEEvT1_
	.globl	_ZN7rocprim17ROCPRIM_400000_NS6detail17trampoline_kernelINS0_14default_configENS1_27scan_by_key_config_selectorIitEEZZNS1_16scan_by_key_implILNS1_25lookback_scan_determinismE0ELb1ES3_N6thrust23THRUST_200600_302600_NS6detail15normal_iteratorINS9_10device_ptrIiEEEENSB_INSC_ItEEEESG_tNS9_4plusIvEENS9_8equal_toIvEEtEE10hipError_tPvRmT2_T3_T4_T5_mT6_T7_P12ihipStream_tbENKUlT_T0_E_clISt17integral_constantIbLb1EES10_IbLb0EEEEDaSW_SX_EUlSW_E_NS1_11comp_targetILNS1_3genE2ELNS1_11target_archE906ELNS1_3gpuE6ELNS1_3repE0EEENS1_30default_config_static_selectorELNS0_4arch9wavefront6targetE1EEEvT1_
	.p2align	8
	.type	_ZN7rocprim17ROCPRIM_400000_NS6detail17trampoline_kernelINS0_14default_configENS1_27scan_by_key_config_selectorIitEEZZNS1_16scan_by_key_implILNS1_25lookback_scan_determinismE0ELb1ES3_N6thrust23THRUST_200600_302600_NS6detail15normal_iteratorINS9_10device_ptrIiEEEENSB_INSC_ItEEEESG_tNS9_4plusIvEENS9_8equal_toIvEEtEE10hipError_tPvRmT2_T3_T4_T5_mT6_T7_P12ihipStream_tbENKUlT_T0_E_clISt17integral_constantIbLb1EES10_IbLb0EEEEDaSW_SX_EUlSW_E_NS1_11comp_targetILNS1_3genE2ELNS1_11target_archE906ELNS1_3gpuE6ELNS1_3repE0EEENS1_30default_config_static_selectorELNS0_4arch9wavefront6targetE1EEEvT1_,@function
_ZN7rocprim17ROCPRIM_400000_NS6detail17trampoline_kernelINS0_14default_configENS1_27scan_by_key_config_selectorIitEEZZNS1_16scan_by_key_implILNS1_25lookback_scan_determinismE0ELb1ES3_N6thrust23THRUST_200600_302600_NS6detail15normal_iteratorINS9_10device_ptrIiEEEENSB_INSC_ItEEEESG_tNS9_4plusIvEENS9_8equal_toIvEEtEE10hipError_tPvRmT2_T3_T4_T5_mT6_T7_P12ihipStream_tbENKUlT_T0_E_clISt17integral_constantIbLb1EES10_IbLb0EEEEDaSW_SX_EUlSW_E_NS1_11comp_targetILNS1_3genE2ELNS1_11target_archE906ELNS1_3gpuE6ELNS1_3repE0EEENS1_30default_config_static_selectorELNS0_4arch9wavefront6targetE1EEEvT1_: ; @_ZN7rocprim17ROCPRIM_400000_NS6detail17trampoline_kernelINS0_14default_configENS1_27scan_by_key_config_selectorIitEEZZNS1_16scan_by_key_implILNS1_25lookback_scan_determinismE0ELb1ES3_N6thrust23THRUST_200600_302600_NS6detail15normal_iteratorINS9_10device_ptrIiEEEENSB_INSC_ItEEEESG_tNS9_4plusIvEENS9_8equal_toIvEEtEE10hipError_tPvRmT2_T3_T4_T5_mT6_T7_P12ihipStream_tbENKUlT_T0_E_clISt17integral_constantIbLb1EES10_IbLb0EEEEDaSW_SX_EUlSW_E_NS1_11comp_targetILNS1_3genE2ELNS1_11target_archE906ELNS1_3gpuE6ELNS1_3repE0EEENS1_30default_config_static_selectorELNS0_4arch9wavefront6targetE1EEEvT1_
; %bb.0:
	.section	.rodata,"a",@progbits
	.p2align	6, 0x0
	.amdhsa_kernel _ZN7rocprim17ROCPRIM_400000_NS6detail17trampoline_kernelINS0_14default_configENS1_27scan_by_key_config_selectorIitEEZZNS1_16scan_by_key_implILNS1_25lookback_scan_determinismE0ELb1ES3_N6thrust23THRUST_200600_302600_NS6detail15normal_iteratorINS9_10device_ptrIiEEEENSB_INSC_ItEEEESG_tNS9_4plusIvEENS9_8equal_toIvEEtEE10hipError_tPvRmT2_T3_T4_T5_mT6_T7_P12ihipStream_tbENKUlT_T0_E_clISt17integral_constantIbLb1EES10_IbLb0EEEEDaSW_SX_EUlSW_E_NS1_11comp_targetILNS1_3genE2ELNS1_11target_archE906ELNS1_3gpuE6ELNS1_3repE0EEENS1_30default_config_static_selectorELNS0_4arch9wavefront6targetE1EEEvT1_
		.amdhsa_group_segment_fixed_size 0
		.amdhsa_private_segment_fixed_size 0
		.amdhsa_kernarg_size 112
		.amdhsa_user_sgpr_count 6
		.amdhsa_user_sgpr_private_segment_buffer 1
		.amdhsa_user_sgpr_dispatch_ptr 0
		.amdhsa_user_sgpr_queue_ptr 0
		.amdhsa_user_sgpr_kernarg_segment_ptr 1
		.amdhsa_user_sgpr_dispatch_id 0
		.amdhsa_user_sgpr_flat_scratch_init 0
		.amdhsa_user_sgpr_kernarg_preload_length 0
		.amdhsa_user_sgpr_kernarg_preload_offset 0
		.amdhsa_user_sgpr_private_segment_size 0
		.amdhsa_uses_dynamic_stack 0
		.amdhsa_system_sgpr_private_segment_wavefront_offset 0
		.amdhsa_system_sgpr_workgroup_id_x 1
		.amdhsa_system_sgpr_workgroup_id_y 0
		.amdhsa_system_sgpr_workgroup_id_z 0
		.amdhsa_system_sgpr_workgroup_info 0
		.amdhsa_system_vgpr_workitem_id 0
		.amdhsa_next_free_vgpr 1
		.amdhsa_next_free_sgpr 0
		.amdhsa_accum_offset 4
		.amdhsa_reserve_vcc 0
		.amdhsa_reserve_flat_scratch 0
		.amdhsa_float_round_mode_32 0
		.amdhsa_float_round_mode_16_64 0
		.amdhsa_float_denorm_mode_32 3
		.amdhsa_float_denorm_mode_16_64 3
		.amdhsa_dx10_clamp 1
		.amdhsa_ieee_mode 1
		.amdhsa_fp16_overflow 0
		.amdhsa_tg_split 0
		.amdhsa_exception_fp_ieee_invalid_op 0
		.amdhsa_exception_fp_denorm_src 0
		.amdhsa_exception_fp_ieee_div_zero 0
		.amdhsa_exception_fp_ieee_overflow 0
		.amdhsa_exception_fp_ieee_underflow 0
		.amdhsa_exception_fp_ieee_inexact 0
		.amdhsa_exception_int_div_zero 0
	.end_amdhsa_kernel
	.section	.text._ZN7rocprim17ROCPRIM_400000_NS6detail17trampoline_kernelINS0_14default_configENS1_27scan_by_key_config_selectorIitEEZZNS1_16scan_by_key_implILNS1_25lookback_scan_determinismE0ELb1ES3_N6thrust23THRUST_200600_302600_NS6detail15normal_iteratorINS9_10device_ptrIiEEEENSB_INSC_ItEEEESG_tNS9_4plusIvEENS9_8equal_toIvEEtEE10hipError_tPvRmT2_T3_T4_T5_mT6_T7_P12ihipStream_tbENKUlT_T0_E_clISt17integral_constantIbLb1EES10_IbLb0EEEEDaSW_SX_EUlSW_E_NS1_11comp_targetILNS1_3genE2ELNS1_11target_archE906ELNS1_3gpuE6ELNS1_3repE0EEENS1_30default_config_static_selectorELNS0_4arch9wavefront6targetE1EEEvT1_,"axG",@progbits,_ZN7rocprim17ROCPRIM_400000_NS6detail17trampoline_kernelINS0_14default_configENS1_27scan_by_key_config_selectorIitEEZZNS1_16scan_by_key_implILNS1_25lookback_scan_determinismE0ELb1ES3_N6thrust23THRUST_200600_302600_NS6detail15normal_iteratorINS9_10device_ptrIiEEEENSB_INSC_ItEEEESG_tNS9_4plusIvEENS9_8equal_toIvEEtEE10hipError_tPvRmT2_T3_T4_T5_mT6_T7_P12ihipStream_tbENKUlT_T0_E_clISt17integral_constantIbLb1EES10_IbLb0EEEEDaSW_SX_EUlSW_E_NS1_11comp_targetILNS1_3genE2ELNS1_11target_archE906ELNS1_3gpuE6ELNS1_3repE0EEENS1_30default_config_static_selectorELNS0_4arch9wavefront6targetE1EEEvT1_,comdat
.Lfunc_end1558:
	.size	_ZN7rocprim17ROCPRIM_400000_NS6detail17trampoline_kernelINS0_14default_configENS1_27scan_by_key_config_selectorIitEEZZNS1_16scan_by_key_implILNS1_25lookback_scan_determinismE0ELb1ES3_N6thrust23THRUST_200600_302600_NS6detail15normal_iteratorINS9_10device_ptrIiEEEENSB_INSC_ItEEEESG_tNS9_4plusIvEENS9_8equal_toIvEEtEE10hipError_tPvRmT2_T3_T4_T5_mT6_T7_P12ihipStream_tbENKUlT_T0_E_clISt17integral_constantIbLb1EES10_IbLb0EEEEDaSW_SX_EUlSW_E_NS1_11comp_targetILNS1_3genE2ELNS1_11target_archE906ELNS1_3gpuE6ELNS1_3repE0EEENS1_30default_config_static_selectorELNS0_4arch9wavefront6targetE1EEEvT1_, .Lfunc_end1558-_ZN7rocprim17ROCPRIM_400000_NS6detail17trampoline_kernelINS0_14default_configENS1_27scan_by_key_config_selectorIitEEZZNS1_16scan_by_key_implILNS1_25lookback_scan_determinismE0ELb1ES3_N6thrust23THRUST_200600_302600_NS6detail15normal_iteratorINS9_10device_ptrIiEEEENSB_INSC_ItEEEESG_tNS9_4plusIvEENS9_8equal_toIvEEtEE10hipError_tPvRmT2_T3_T4_T5_mT6_T7_P12ihipStream_tbENKUlT_T0_E_clISt17integral_constantIbLb1EES10_IbLb0EEEEDaSW_SX_EUlSW_E_NS1_11comp_targetILNS1_3genE2ELNS1_11target_archE906ELNS1_3gpuE6ELNS1_3repE0EEENS1_30default_config_static_selectorELNS0_4arch9wavefront6targetE1EEEvT1_
                                        ; -- End function
	.section	.AMDGPU.csdata,"",@progbits
; Kernel info:
; codeLenInByte = 0
; NumSgprs: 4
; NumVgprs: 0
; NumAgprs: 0
; TotalNumVgprs: 0
; ScratchSize: 0
; MemoryBound: 0
; FloatMode: 240
; IeeeMode: 1
; LDSByteSize: 0 bytes/workgroup (compile time only)
; SGPRBlocks: 0
; VGPRBlocks: 0
; NumSGPRsForWavesPerEU: 4
; NumVGPRsForWavesPerEU: 1
; AccumOffset: 4
; Occupancy: 8
; WaveLimiterHint : 0
; COMPUTE_PGM_RSRC2:SCRATCH_EN: 0
; COMPUTE_PGM_RSRC2:USER_SGPR: 6
; COMPUTE_PGM_RSRC2:TRAP_HANDLER: 0
; COMPUTE_PGM_RSRC2:TGID_X_EN: 1
; COMPUTE_PGM_RSRC2:TGID_Y_EN: 0
; COMPUTE_PGM_RSRC2:TGID_Z_EN: 0
; COMPUTE_PGM_RSRC2:TIDIG_COMP_CNT: 0
; COMPUTE_PGM_RSRC3_GFX90A:ACCUM_OFFSET: 0
; COMPUTE_PGM_RSRC3_GFX90A:TG_SPLIT: 0
	.section	.text._ZN7rocprim17ROCPRIM_400000_NS6detail17trampoline_kernelINS0_14default_configENS1_27scan_by_key_config_selectorIitEEZZNS1_16scan_by_key_implILNS1_25lookback_scan_determinismE0ELb1ES3_N6thrust23THRUST_200600_302600_NS6detail15normal_iteratorINS9_10device_ptrIiEEEENSB_INSC_ItEEEESG_tNS9_4plusIvEENS9_8equal_toIvEEtEE10hipError_tPvRmT2_T3_T4_T5_mT6_T7_P12ihipStream_tbENKUlT_T0_E_clISt17integral_constantIbLb1EES10_IbLb0EEEEDaSW_SX_EUlSW_E_NS1_11comp_targetILNS1_3genE10ELNS1_11target_archE1200ELNS1_3gpuE4ELNS1_3repE0EEENS1_30default_config_static_selectorELNS0_4arch9wavefront6targetE1EEEvT1_,"axG",@progbits,_ZN7rocprim17ROCPRIM_400000_NS6detail17trampoline_kernelINS0_14default_configENS1_27scan_by_key_config_selectorIitEEZZNS1_16scan_by_key_implILNS1_25lookback_scan_determinismE0ELb1ES3_N6thrust23THRUST_200600_302600_NS6detail15normal_iteratorINS9_10device_ptrIiEEEENSB_INSC_ItEEEESG_tNS9_4plusIvEENS9_8equal_toIvEEtEE10hipError_tPvRmT2_T3_T4_T5_mT6_T7_P12ihipStream_tbENKUlT_T0_E_clISt17integral_constantIbLb1EES10_IbLb0EEEEDaSW_SX_EUlSW_E_NS1_11comp_targetILNS1_3genE10ELNS1_11target_archE1200ELNS1_3gpuE4ELNS1_3repE0EEENS1_30default_config_static_selectorELNS0_4arch9wavefront6targetE1EEEvT1_,comdat
	.protected	_ZN7rocprim17ROCPRIM_400000_NS6detail17trampoline_kernelINS0_14default_configENS1_27scan_by_key_config_selectorIitEEZZNS1_16scan_by_key_implILNS1_25lookback_scan_determinismE0ELb1ES3_N6thrust23THRUST_200600_302600_NS6detail15normal_iteratorINS9_10device_ptrIiEEEENSB_INSC_ItEEEESG_tNS9_4plusIvEENS9_8equal_toIvEEtEE10hipError_tPvRmT2_T3_T4_T5_mT6_T7_P12ihipStream_tbENKUlT_T0_E_clISt17integral_constantIbLb1EES10_IbLb0EEEEDaSW_SX_EUlSW_E_NS1_11comp_targetILNS1_3genE10ELNS1_11target_archE1200ELNS1_3gpuE4ELNS1_3repE0EEENS1_30default_config_static_selectorELNS0_4arch9wavefront6targetE1EEEvT1_ ; -- Begin function _ZN7rocprim17ROCPRIM_400000_NS6detail17trampoline_kernelINS0_14default_configENS1_27scan_by_key_config_selectorIitEEZZNS1_16scan_by_key_implILNS1_25lookback_scan_determinismE0ELb1ES3_N6thrust23THRUST_200600_302600_NS6detail15normal_iteratorINS9_10device_ptrIiEEEENSB_INSC_ItEEEESG_tNS9_4plusIvEENS9_8equal_toIvEEtEE10hipError_tPvRmT2_T3_T4_T5_mT6_T7_P12ihipStream_tbENKUlT_T0_E_clISt17integral_constantIbLb1EES10_IbLb0EEEEDaSW_SX_EUlSW_E_NS1_11comp_targetILNS1_3genE10ELNS1_11target_archE1200ELNS1_3gpuE4ELNS1_3repE0EEENS1_30default_config_static_selectorELNS0_4arch9wavefront6targetE1EEEvT1_
	.globl	_ZN7rocprim17ROCPRIM_400000_NS6detail17trampoline_kernelINS0_14default_configENS1_27scan_by_key_config_selectorIitEEZZNS1_16scan_by_key_implILNS1_25lookback_scan_determinismE0ELb1ES3_N6thrust23THRUST_200600_302600_NS6detail15normal_iteratorINS9_10device_ptrIiEEEENSB_INSC_ItEEEESG_tNS9_4plusIvEENS9_8equal_toIvEEtEE10hipError_tPvRmT2_T3_T4_T5_mT6_T7_P12ihipStream_tbENKUlT_T0_E_clISt17integral_constantIbLb1EES10_IbLb0EEEEDaSW_SX_EUlSW_E_NS1_11comp_targetILNS1_3genE10ELNS1_11target_archE1200ELNS1_3gpuE4ELNS1_3repE0EEENS1_30default_config_static_selectorELNS0_4arch9wavefront6targetE1EEEvT1_
	.p2align	8
	.type	_ZN7rocprim17ROCPRIM_400000_NS6detail17trampoline_kernelINS0_14default_configENS1_27scan_by_key_config_selectorIitEEZZNS1_16scan_by_key_implILNS1_25lookback_scan_determinismE0ELb1ES3_N6thrust23THRUST_200600_302600_NS6detail15normal_iteratorINS9_10device_ptrIiEEEENSB_INSC_ItEEEESG_tNS9_4plusIvEENS9_8equal_toIvEEtEE10hipError_tPvRmT2_T3_T4_T5_mT6_T7_P12ihipStream_tbENKUlT_T0_E_clISt17integral_constantIbLb1EES10_IbLb0EEEEDaSW_SX_EUlSW_E_NS1_11comp_targetILNS1_3genE10ELNS1_11target_archE1200ELNS1_3gpuE4ELNS1_3repE0EEENS1_30default_config_static_selectorELNS0_4arch9wavefront6targetE1EEEvT1_,@function
_ZN7rocprim17ROCPRIM_400000_NS6detail17trampoline_kernelINS0_14default_configENS1_27scan_by_key_config_selectorIitEEZZNS1_16scan_by_key_implILNS1_25lookback_scan_determinismE0ELb1ES3_N6thrust23THRUST_200600_302600_NS6detail15normal_iteratorINS9_10device_ptrIiEEEENSB_INSC_ItEEEESG_tNS9_4plusIvEENS9_8equal_toIvEEtEE10hipError_tPvRmT2_T3_T4_T5_mT6_T7_P12ihipStream_tbENKUlT_T0_E_clISt17integral_constantIbLb1EES10_IbLb0EEEEDaSW_SX_EUlSW_E_NS1_11comp_targetILNS1_3genE10ELNS1_11target_archE1200ELNS1_3gpuE4ELNS1_3repE0EEENS1_30default_config_static_selectorELNS0_4arch9wavefront6targetE1EEEvT1_: ; @_ZN7rocprim17ROCPRIM_400000_NS6detail17trampoline_kernelINS0_14default_configENS1_27scan_by_key_config_selectorIitEEZZNS1_16scan_by_key_implILNS1_25lookback_scan_determinismE0ELb1ES3_N6thrust23THRUST_200600_302600_NS6detail15normal_iteratorINS9_10device_ptrIiEEEENSB_INSC_ItEEEESG_tNS9_4plusIvEENS9_8equal_toIvEEtEE10hipError_tPvRmT2_T3_T4_T5_mT6_T7_P12ihipStream_tbENKUlT_T0_E_clISt17integral_constantIbLb1EES10_IbLb0EEEEDaSW_SX_EUlSW_E_NS1_11comp_targetILNS1_3genE10ELNS1_11target_archE1200ELNS1_3gpuE4ELNS1_3repE0EEENS1_30default_config_static_selectorELNS0_4arch9wavefront6targetE1EEEvT1_
; %bb.0:
	.section	.rodata,"a",@progbits
	.p2align	6, 0x0
	.amdhsa_kernel _ZN7rocprim17ROCPRIM_400000_NS6detail17trampoline_kernelINS0_14default_configENS1_27scan_by_key_config_selectorIitEEZZNS1_16scan_by_key_implILNS1_25lookback_scan_determinismE0ELb1ES3_N6thrust23THRUST_200600_302600_NS6detail15normal_iteratorINS9_10device_ptrIiEEEENSB_INSC_ItEEEESG_tNS9_4plusIvEENS9_8equal_toIvEEtEE10hipError_tPvRmT2_T3_T4_T5_mT6_T7_P12ihipStream_tbENKUlT_T0_E_clISt17integral_constantIbLb1EES10_IbLb0EEEEDaSW_SX_EUlSW_E_NS1_11comp_targetILNS1_3genE10ELNS1_11target_archE1200ELNS1_3gpuE4ELNS1_3repE0EEENS1_30default_config_static_selectorELNS0_4arch9wavefront6targetE1EEEvT1_
		.amdhsa_group_segment_fixed_size 0
		.amdhsa_private_segment_fixed_size 0
		.amdhsa_kernarg_size 112
		.amdhsa_user_sgpr_count 6
		.amdhsa_user_sgpr_private_segment_buffer 1
		.amdhsa_user_sgpr_dispatch_ptr 0
		.amdhsa_user_sgpr_queue_ptr 0
		.amdhsa_user_sgpr_kernarg_segment_ptr 1
		.amdhsa_user_sgpr_dispatch_id 0
		.amdhsa_user_sgpr_flat_scratch_init 0
		.amdhsa_user_sgpr_kernarg_preload_length 0
		.amdhsa_user_sgpr_kernarg_preload_offset 0
		.amdhsa_user_sgpr_private_segment_size 0
		.amdhsa_uses_dynamic_stack 0
		.amdhsa_system_sgpr_private_segment_wavefront_offset 0
		.amdhsa_system_sgpr_workgroup_id_x 1
		.amdhsa_system_sgpr_workgroup_id_y 0
		.amdhsa_system_sgpr_workgroup_id_z 0
		.amdhsa_system_sgpr_workgroup_info 0
		.amdhsa_system_vgpr_workitem_id 0
		.amdhsa_next_free_vgpr 1
		.amdhsa_next_free_sgpr 0
		.amdhsa_accum_offset 4
		.amdhsa_reserve_vcc 0
		.amdhsa_reserve_flat_scratch 0
		.amdhsa_float_round_mode_32 0
		.amdhsa_float_round_mode_16_64 0
		.amdhsa_float_denorm_mode_32 3
		.amdhsa_float_denorm_mode_16_64 3
		.amdhsa_dx10_clamp 1
		.amdhsa_ieee_mode 1
		.amdhsa_fp16_overflow 0
		.amdhsa_tg_split 0
		.amdhsa_exception_fp_ieee_invalid_op 0
		.amdhsa_exception_fp_denorm_src 0
		.amdhsa_exception_fp_ieee_div_zero 0
		.amdhsa_exception_fp_ieee_overflow 0
		.amdhsa_exception_fp_ieee_underflow 0
		.amdhsa_exception_fp_ieee_inexact 0
		.amdhsa_exception_int_div_zero 0
	.end_amdhsa_kernel
	.section	.text._ZN7rocprim17ROCPRIM_400000_NS6detail17trampoline_kernelINS0_14default_configENS1_27scan_by_key_config_selectorIitEEZZNS1_16scan_by_key_implILNS1_25lookback_scan_determinismE0ELb1ES3_N6thrust23THRUST_200600_302600_NS6detail15normal_iteratorINS9_10device_ptrIiEEEENSB_INSC_ItEEEESG_tNS9_4plusIvEENS9_8equal_toIvEEtEE10hipError_tPvRmT2_T3_T4_T5_mT6_T7_P12ihipStream_tbENKUlT_T0_E_clISt17integral_constantIbLb1EES10_IbLb0EEEEDaSW_SX_EUlSW_E_NS1_11comp_targetILNS1_3genE10ELNS1_11target_archE1200ELNS1_3gpuE4ELNS1_3repE0EEENS1_30default_config_static_selectorELNS0_4arch9wavefront6targetE1EEEvT1_,"axG",@progbits,_ZN7rocprim17ROCPRIM_400000_NS6detail17trampoline_kernelINS0_14default_configENS1_27scan_by_key_config_selectorIitEEZZNS1_16scan_by_key_implILNS1_25lookback_scan_determinismE0ELb1ES3_N6thrust23THRUST_200600_302600_NS6detail15normal_iteratorINS9_10device_ptrIiEEEENSB_INSC_ItEEEESG_tNS9_4plusIvEENS9_8equal_toIvEEtEE10hipError_tPvRmT2_T3_T4_T5_mT6_T7_P12ihipStream_tbENKUlT_T0_E_clISt17integral_constantIbLb1EES10_IbLb0EEEEDaSW_SX_EUlSW_E_NS1_11comp_targetILNS1_3genE10ELNS1_11target_archE1200ELNS1_3gpuE4ELNS1_3repE0EEENS1_30default_config_static_selectorELNS0_4arch9wavefront6targetE1EEEvT1_,comdat
.Lfunc_end1559:
	.size	_ZN7rocprim17ROCPRIM_400000_NS6detail17trampoline_kernelINS0_14default_configENS1_27scan_by_key_config_selectorIitEEZZNS1_16scan_by_key_implILNS1_25lookback_scan_determinismE0ELb1ES3_N6thrust23THRUST_200600_302600_NS6detail15normal_iteratorINS9_10device_ptrIiEEEENSB_INSC_ItEEEESG_tNS9_4plusIvEENS9_8equal_toIvEEtEE10hipError_tPvRmT2_T3_T4_T5_mT6_T7_P12ihipStream_tbENKUlT_T0_E_clISt17integral_constantIbLb1EES10_IbLb0EEEEDaSW_SX_EUlSW_E_NS1_11comp_targetILNS1_3genE10ELNS1_11target_archE1200ELNS1_3gpuE4ELNS1_3repE0EEENS1_30default_config_static_selectorELNS0_4arch9wavefront6targetE1EEEvT1_, .Lfunc_end1559-_ZN7rocprim17ROCPRIM_400000_NS6detail17trampoline_kernelINS0_14default_configENS1_27scan_by_key_config_selectorIitEEZZNS1_16scan_by_key_implILNS1_25lookback_scan_determinismE0ELb1ES3_N6thrust23THRUST_200600_302600_NS6detail15normal_iteratorINS9_10device_ptrIiEEEENSB_INSC_ItEEEESG_tNS9_4plusIvEENS9_8equal_toIvEEtEE10hipError_tPvRmT2_T3_T4_T5_mT6_T7_P12ihipStream_tbENKUlT_T0_E_clISt17integral_constantIbLb1EES10_IbLb0EEEEDaSW_SX_EUlSW_E_NS1_11comp_targetILNS1_3genE10ELNS1_11target_archE1200ELNS1_3gpuE4ELNS1_3repE0EEENS1_30default_config_static_selectorELNS0_4arch9wavefront6targetE1EEEvT1_
                                        ; -- End function
	.section	.AMDGPU.csdata,"",@progbits
; Kernel info:
; codeLenInByte = 0
; NumSgprs: 4
; NumVgprs: 0
; NumAgprs: 0
; TotalNumVgprs: 0
; ScratchSize: 0
; MemoryBound: 0
; FloatMode: 240
; IeeeMode: 1
; LDSByteSize: 0 bytes/workgroup (compile time only)
; SGPRBlocks: 0
; VGPRBlocks: 0
; NumSGPRsForWavesPerEU: 4
; NumVGPRsForWavesPerEU: 1
; AccumOffset: 4
; Occupancy: 8
; WaveLimiterHint : 0
; COMPUTE_PGM_RSRC2:SCRATCH_EN: 0
; COMPUTE_PGM_RSRC2:USER_SGPR: 6
; COMPUTE_PGM_RSRC2:TRAP_HANDLER: 0
; COMPUTE_PGM_RSRC2:TGID_X_EN: 1
; COMPUTE_PGM_RSRC2:TGID_Y_EN: 0
; COMPUTE_PGM_RSRC2:TGID_Z_EN: 0
; COMPUTE_PGM_RSRC2:TIDIG_COMP_CNT: 0
; COMPUTE_PGM_RSRC3_GFX90A:ACCUM_OFFSET: 0
; COMPUTE_PGM_RSRC3_GFX90A:TG_SPLIT: 0
	.section	.text._ZN7rocprim17ROCPRIM_400000_NS6detail17trampoline_kernelINS0_14default_configENS1_27scan_by_key_config_selectorIitEEZZNS1_16scan_by_key_implILNS1_25lookback_scan_determinismE0ELb1ES3_N6thrust23THRUST_200600_302600_NS6detail15normal_iteratorINS9_10device_ptrIiEEEENSB_INSC_ItEEEESG_tNS9_4plusIvEENS9_8equal_toIvEEtEE10hipError_tPvRmT2_T3_T4_T5_mT6_T7_P12ihipStream_tbENKUlT_T0_E_clISt17integral_constantIbLb1EES10_IbLb0EEEEDaSW_SX_EUlSW_E_NS1_11comp_targetILNS1_3genE9ELNS1_11target_archE1100ELNS1_3gpuE3ELNS1_3repE0EEENS1_30default_config_static_selectorELNS0_4arch9wavefront6targetE1EEEvT1_,"axG",@progbits,_ZN7rocprim17ROCPRIM_400000_NS6detail17trampoline_kernelINS0_14default_configENS1_27scan_by_key_config_selectorIitEEZZNS1_16scan_by_key_implILNS1_25lookback_scan_determinismE0ELb1ES3_N6thrust23THRUST_200600_302600_NS6detail15normal_iteratorINS9_10device_ptrIiEEEENSB_INSC_ItEEEESG_tNS9_4plusIvEENS9_8equal_toIvEEtEE10hipError_tPvRmT2_T3_T4_T5_mT6_T7_P12ihipStream_tbENKUlT_T0_E_clISt17integral_constantIbLb1EES10_IbLb0EEEEDaSW_SX_EUlSW_E_NS1_11comp_targetILNS1_3genE9ELNS1_11target_archE1100ELNS1_3gpuE3ELNS1_3repE0EEENS1_30default_config_static_selectorELNS0_4arch9wavefront6targetE1EEEvT1_,comdat
	.protected	_ZN7rocprim17ROCPRIM_400000_NS6detail17trampoline_kernelINS0_14default_configENS1_27scan_by_key_config_selectorIitEEZZNS1_16scan_by_key_implILNS1_25lookback_scan_determinismE0ELb1ES3_N6thrust23THRUST_200600_302600_NS6detail15normal_iteratorINS9_10device_ptrIiEEEENSB_INSC_ItEEEESG_tNS9_4plusIvEENS9_8equal_toIvEEtEE10hipError_tPvRmT2_T3_T4_T5_mT6_T7_P12ihipStream_tbENKUlT_T0_E_clISt17integral_constantIbLb1EES10_IbLb0EEEEDaSW_SX_EUlSW_E_NS1_11comp_targetILNS1_3genE9ELNS1_11target_archE1100ELNS1_3gpuE3ELNS1_3repE0EEENS1_30default_config_static_selectorELNS0_4arch9wavefront6targetE1EEEvT1_ ; -- Begin function _ZN7rocprim17ROCPRIM_400000_NS6detail17trampoline_kernelINS0_14default_configENS1_27scan_by_key_config_selectorIitEEZZNS1_16scan_by_key_implILNS1_25lookback_scan_determinismE0ELb1ES3_N6thrust23THRUST_200600_302600_NS6detail15normal_iteratorINS9_10device_ptrIiEEEENSB_INSC_ItEEEESG_tNS9_4plusIvEENS9_8equal_toIvEEtEE10hipError_tPvRmT2_T3_T4_T5_mT6_T7_P12ihipStream_tbENKUlT_T0_E_clISt17integral_constantIbLb1EES10_IbLb0EEEEDaSW_SX_EUlSW_E_NS1_11comp_targetILNS1_3genE9ELNS1_11target_archE1100ELNS1_3gpuE3ELNS1_3repE0EEENS1_30default_config_static_selectorELNS0_4arch9wavefront6targetE1EEEvT1_
	.globl	_ZN7rocprim17ROCPRIM_400000_NS6detail17trampoline_kernelINS0_14default_configENS1_27scan_by_key_config_selectorIitEEZZNS1_16scan_by_key_implILNS1_25lookback_scan_determinismE0ELb1ES3_N6thrust23THRUST_200600_302600_NS6detail15normal_iteratorINS9_10device_ptrIiEEEENSB_INSC_ItEEEESG_tNS9_4plusIvEENS9_8equal_toIvEEtEE10hipError_tPvRmT2_T3_T4_T5_mT6_T7_P12ihipStream_tbENKUlT_T0_E_clISt17integral_constantIbLb1EES10_IbLb0EEEEDaSW_SX_EUlSW_E_NS1_11comp_targetILNS1_3genE9ELNS1_11target_archE1100ELNS1_3gpuE3ELNS1_3repE0EEENS1_30default_config_static_selectorELNS0_4arch9wavefront6targetE1EEEvT1_
	.p2align	8
	.type	_ZN7rocprim17ROCPRIM_400000_NS6detail17trampoline_kernelINS0_14default_configENS1_27scan_by_key_config_selectorIitEEZZNS1_16scan_by_key_implILNS1_25lookback_scan_determinismE0ELb1ES3_N6thrust23THRUST_200600_302600_NS6detail15normal_iteratorINS9_10device_ptrIiEEEENSB_INSC_ItEEEESG_tNS9_4plusIvEENS9_8equal_toIvEEtEE10hipError_tPvRmT2_T3_T4_T5_mT6_T7_P12ihipStream_tbENKUlT_T0_E_clISt17integral_constantIbLb1EES10_IbLb0EEEEDaSW_SX_EUlSW_E_NS1_11comp_targetILNS1_3genE9ELNS1_11target_archE1100ELNS1_3gpuE3ELNS1_3repE0EEENS1_30default_config_static_selectorELNS0_4arch9wavefront6targetE1EEEvT1_,@function
_ZN7rocprim17ROCPRIM_400000_NS6detail17trampoline_kernelINS0_14default_configENS1_27scan_by_key_config_selectorIitEEZZNS1_16scan_by_key_implILNS1_25lookback_scan_determinismE0ELb1ES3_N6thrust23THRUST_200600_302600_NS6detail15normal_iteratorINS9_10device_ptrIiEEEENSB_INSC_ItEEEESG_tNS9_4plusIvEENS9_8equal_toIvEEtEE10hipError_tPvRmT2_T3_T4_T5_mT6_T7_P12ihipStream_tbENKUlT_T0_E_clISt17integral_constantIbLb1EES10_IbLb0EEEEDaSW_SX_EUlSW_E_NS1_11comp_targetILNS1_3genE9ELNS1_11target_archE1100ELNS1_3gpuE3ELNS1_3repE0EEENS1_30default_config_static_selectorELNS0_4arch9wavefront6targetE1EEEvT1_: ; @_ZN7rocprim17ROCPRIM_400000_NS6detail17trampoline_kernelINS0_14default_configENS1_27scan_by_key_config_selectorIitEEZZNS1_16scan_by_key_implILNS1_25lookback_scan_determinismE0ELb1ES3_N6thrust23THRUST_200600_302600_NS6detail15normal_iteratorINS9_10device_ptrIiEEEENSB_INSC_ItEEEESG_tNS9_4plusIvEENS9_8equal_toIvEEtEE10hipError_tPvRmT2_T3_T4_T5_mT6_T7_P12ihipStream_tbENKUlT_T0_E_clISt17integral_constantIbLb1EES10_IbLb0EEEEDaSW_SX_EUlSW_E_NS1_11comp_targetILNS1_3genE9ELNS1_11target_archE1100ELNS1_3gpuE3ELNS1_3repE0EEENS1_30default_config_static_selectorELNS0_4arch9wavefront6targetE1EEEvT1_
; %bb.0:
	.section	.rodata,"a",@progbits
	.p2align	6, 0x0
	.amdhsa_kernel _ZN7rocprim17ROCPRIM_400000_NS6detail17trampoline_kernelINS0_14default_configENS1_27scan_by_key_config_selectorIitEEZZNS1_16scan_by_key_implILNS1_25lookback_scan_determinismE0ELb1ES3_N6thrust23THRUST_200600_302600_NS6detail15normal_iteratorINS9_10device_ptrIiEEEENSB_INSC_ItEEEESG_tNS9_4plusIvEENS9_8equal_toIvEEtEE10hipError_tPvRmT2_T3_T4_T5_mT6_T7_P12ihipStream_tbENKUlT_T0_E_clISt17integral_constantIbLb1EES10_IbLb0EEEEDaSW_SX_EUlSW_E_NS1_11comp_targetILNS1_3genE9ELNS1_11target_archE1100ELNS1_3gpuE3ELNS1_3repE0EEENS1_30default_config_static_selectorELNS0_4arch9wavefront6targetE1EEEvT1_
		.amdhsa_group_segment_fixed_size 0
		.amdhsa_private_segment_fixed_size 0
		.amdhsa_kernarg_size 112
		.amdhsa_user_sgpr_count 6
		.amdhsa_user_sgpr_private_segment_buffer 1
		.amdhsa_user_sgpr_dispatch_ptr 0
		.amdhsa_user_sgpr_queue_ptr 0
		.amdhsa_user_sgpr_kernarg_segment_ptr 1
		.amdhsa_user_sgpr_dispatch_id 0
		.amdhsa_user_sgpr_flat_scratch_init 0
		.amdhsa_user_sgpr_kernarg_preload_length 0
		.amdhsa_user_sgpr_kernarg_preload_offset 0
		.amdhsa_user_sgpr_private_segment_size 0
		.amdhsa_uses_dynamic_stack 0
		.amdhsa_system_sgpr_private_segment_wavefront_offset 0
		.amdhsa_system_sgpr_workgroup_id_x 1
		.amdhsa_system_sgpr_workgroup_id_y 0
		.amdhsa_system_sgpr_workgroup_id_z 0
		.amdhsa_system_sgpr_workgroup_info 0
		.amdhsa_system_vgpr_workitem_id 0
		.amdhsa_next_free_vgpr 1
		.amdhsa_next_free_sgpr 0
		.amdhsa_accum_offset 4
		.amdhsa_reserve_vcc 0
		.amdhsa_reserve_flat_scratch 0
		.amdhsa_float_round_mode_32 0
		.amdhsa_float_round_mode_16_64 0
		.amdhsa_float_denorm_mode_32 3
		.amdhsa_float_denorm_mode_16_64 3
		.amdhsa_dx10_clamp 1
		.amdhsa_ieee_mode 1
		.amdhsa_fp16_overflow 0
		.amdhsa_tg_split 0
		.amdhsa_exception_fp_ieee_invalid_op 0
		.amdhsa_exception_fp_denorm_src 0
		.amdhsa_exception_fp_ieee_div_zero 0
		.amdhsa_exception_fp_ieee_overflow 0
		.amdhsa_exception_fp_ieee_underflow 0
		.amdhsa_exception_fp_ieee_inexact 0
		.amdhsa_exception_int_div_zero 0
	.end_amdhsa_kernel
	.section	.text._ZN7rocprim17ROCPRIM_400000_NS6detail17trampoline_kernelINS0_14default_configENS1_27scan_by_key_config_selectorIitEEZZNS1_16scan_by_key_implILNS1_25lookback_scan_determinismE0ELb1ES3_N6thrust23THRUST_200600_302600_NS6detail15normal_iteratorINS9_10device_ptrIiEEEENSB_INSC_ItEEEESG_tNS9_4plusIvEENS9_8equal_toIvEEtEE10hipError_tPvRmT2_T3_T4_T5_mT6_T7_P12ihipStream_tbENKUlT_T0_E_clISt17integral_constantIbLb1EES10_IbLb0EEEEDaSW_SX_EUlSW_E_NS1_11comp_targetILNS1_3genE9ELNS1_11target_archE1100ELNS1_3gpuE3ELNS1_3repE0EEENS1_30default_config_static_selectorELNS0_4arch9wavefront6targetE1EEEvT1_,"axG",@progbits,_ZN7rocprim17ROCPRIM_400000_NS6detail17trampoline_kernelINS0_14default_configENS1_27scan_by_key_config_selectorIitEEZZNS1_16scan_by_key_implILNS1_25lookback_scan_determinismE0ELb1ES3_N6thrust23THRUST_200600_302600_NS6detail15normal_iteratorINS9_10device_ptrIiEEEENSB_INSC_ItEEEESG_tNS9_4plusIvEENS9_8equal_toIvEEtEE10hipError_tPvRmT2_T3_T4_T5_mT6_T7_P12ihipStream_tbENKUlT_T0_E_clISt17integral_constantIbLb1EES10_IbLb0EEEEDaSW_SX_EUlSW_E_NS1_11comp_targetILNS1_3genE9ELNS1_11target_archE1100ELNS1_3gpuE3ELNS1_3repE0EEENS1_30default_config_static_selectorELNS0_4arch9wavefront6targetE1EEEvT1_,comdat
.Lfunc_end1560:
	.size	_ZN7rocprim17ROCPRIM_400000_NS6detail17trampoline_kernelINS0_14default_configENS1_27scan_by_key_config_selectorIitEEZZNS1_16scan_by_key_implILNS1_25lookback_scan_determinismE0ELb1ES3_N6thrust23THRUST_200600_302600_NS6detail15normal_iteratorINS9_10device_ptrIiEEEENSB_INSC_ItEEEESG_tNS9_4plusIvEENS9_8equal_toIvEEtEE10hipError_tPvRmT2_T3_T4_T5_mT6_T7_P12ihipStream_tbENKUlT_T0_E_clISt17integral_constantIbLb1EES10_IbLb0EEEEDaSW_SX_EUlSW_E_NS1_11comp_targetILNS1_3genE9ELNS1_11target_archE1100ELNS1_3gpuE3ELNS1_3repE0EEENS1_30default_config_static_selectorELNS0_4arch9wavefront6targetE1EEEvT1_, .Lfunc_end1560-_ZN7rocprim17ROCPRIM_400000_NS6detail17trampoline_kernelINS0_14default_configENS1_27scan_by_key_config_selectorIitEEZZNS1_16scan_by_key_implILNS1_25lookback_scan_determinismE0ELb1ES3_N6thrust23THRUST_200600_302600_NS6detail15normal_iteratorINS9_10device_ptrIiEEEENSB_INSC_ItEEEESG_tNS9_4plusIvEENS9_8equal_toIvEEtEE10hipError_tPvRmT2_T3_T4_T5_mT6_T7_P12ihipStream_tbENKUlT_T0_E_clISt17integral_constantIbLb1EES10_IbLb0EEEEDaSW_SX_EUlSW_E_NS1_11comp_targetILNS1_3genE9ELNS1_11target_archE1100ELNS1_3gpuE3ELNS1_3repE0EEENS1_30default_config_static_selectorELNS0_4arch9wavefront6targetE1EEEvT1_
                                        ; -- End function
	.section	.AMDGPU.csdata,"",@progbits
; Kernel info:
; codeLenInByte = 0
; NumSgprs: 4
; NumVgprs: 0
; NumAgprs: 0
; TotalNumVgprs: 0
; ScratchSize: 0
; MemoryBound: 0
; FloatMode: 240
; IeeeMode: 1
; LDSByteSize: 0 bytes/workgroup (compile time only)
; SGPRBlocks: 0
; VGPRBlocks: 0
; NumSGPRsForWavesPerEU: 4
; NumVGPRsForWavesPerEU: 1
; AccumOffset: 4
; Occupancy: 8
; WaveLimiterHint : 0
; COMPUTE_PGM_RSRC2:SCRATCH_EN: 0
; COMPUTE_PGM_RSRC2:USER_SGPR: 6
; COMPUTE_PGM_RSRC2:TRAP_HANDLER: 0
; COMPUTE_PGM_RSRC2:TGID_X_EN: 1
; COMPUTE_PGM_RSRC2:TGID_Y_EN: 0
; COMPUTE_PGM_RSRC2:TGID_Z_EN: 0
; COMPUTE_PGM_RSRC2:TIDIG_COMP_CNT: 0
; COMPUTE_PGM_RSRC3_GFX90A:ACCUM_OFFSET: 0
; COMPUTE_PGM_RSRC3_GFX90A:TG_SPLIT: 0
	.section	.text._ZN7rocprim17ROCPRIM_400000_NS6detail17trampoline_kernelINS0_14default_configENS1_27scan_by_key_config_selectorIitEEZZNS1_16scan_by_key_implILNS1_25lookback_scan_determinismE0ELb1ES3_N6thrust23THRUST_200600_302600_NS6detail15normal_iteratorINS9_10device_ptrIiEEEENSB_INSC_ItEEEESG_tNS9_4plusIvEENS9_8equal_toIvEEtEE10hipError_tPvRmT2_T3_T4_T5_mT6_T7_P12ihipStream_tbENKUlT_T0_E_clISt17integral_constantIbLb1EES10_IbLb0EEEEDaSW_SX_EUlSW_E_NS1_11comp_targetILNS1_3genE8ELNS1_11target_archE1030ELNS1_3gpuE2ELNS1_3repE0EEENS1_30default_config_static_selectorELNS0_4arch9wavefront6targetE1EEEvT1_,"axG",@progbits,_ZN7rocprim17ROCPRIM_400000_NS6detail17trampoline_kernelINS0_14default_configENS1_27scan_by_key_config_selectorIitEEZZNS1_16scan_by_key_implILNS1_25lookback_scan_determinismE0ELb1ES3_N6thrust23THRUST_200600_302600_NS6detail15normal_iteratorINS9_10device_ptrIiEEEENSB_INSC_ItEEEESG_tNS9_4plusIvEENS9_8equal_toIvEEtEE10hipError_tPvRmT2_T3_T4_T5_mT6_T7_P12ihipStream_tbENKUlT_T0_E_clISt17integral_constantIbLb1EES10_IbLb0EEEEDaSW_SX_EUlSW_E_NS1_11comp_targetILNS1_3genE8ELNS1_11target_archE1030ELNS1_3gpuE2ELNS1_3repE0EEENS1_30default_config_static_selectorELNS0_4arch9wavefront6targetE1EEEvT1_,comdat
	.protected	_ZN7rocprim17ROCPRIM_400000_NS6detail17trampoline_kernelINS0_14default_configENS1_27scan_by_key_config_selectorIitEEZZNS1_16scan_by_key_implILNS1_25lookback_scan_determinismE0ELb1ES3_N6thrust23THRUST_200600_302600_NS6detail15normal_iteratorINS9_10device_ptrIiEEEENSB_INSC_ItEEEESG_tNS9_4plusIvEENS9_8equal_toIvEEtEE10hipError_tPvRmT2_T3_T4_T5_mT6_T7_P12ihipStream_tbENKUlT_T0_E_clISt17integral_constantIbLb1EES10_IbLb0EEEEDaSW_SX_EUlSW_E_NS1_11comp_targetILNS1_3genE8ELNS1_11target_archE1030ELNS1_3gpuE2ELNS1_3repE0EEENS1_30default_config_static_selectorELNS0_4arch9wavefront6targetE1EEEvT1_ ; -- Begin function _ZN7rocprim17ROCPRIM_400000_NS6detail17trampoline_kernelINS0_14default_configENS1_27scan_by_key_config_selectorIitEEZZNS1_16scan_by_key_implILNS1_25lookback_scan_determinismE0ELb1ES3_N6thrust23THRUST_200600_302600_NS6detail15normal_iteratorINS9_10device_ptrIiEEEENSB_INSC_ItEEEESG_tNS9_4plusIvEENS9_8equal_toIvEEtEE10hipError_tPvRmT2_T3_T4_T5_mT6_T7_P12ihipStream_tbENKUlT_T0_E_clISt17integral_constantIbLb1EES10_IbLb0EEEEDaSW_SX_EUlSW_E_NS1_11comp_targetILNS1_3genE8ELNS1_11target_archE1030ELNS1_3gpuE2ELNS1_3repE0EEENS1_30default_config_static_selectorELNS0_4arch9wavefront6targetE1EEEvT1_
	.globl	_ZN7rocprim17ROCPRIM_400000_NS6detail17trampoline_kernelINS0_14default_configENS1_27scan_by_key_config_selectorIitEEZZNS1_16scan_by_key_implILNS1_25lookback_scan_determinismE0ELb1ES3_N6thrust23THRUST_200600_302600_NS6detail15normal_iteratorINS9_10device_ptrIiEEEENSB_INSC_ItEEEESG_tNS9_4plusIvEENS9_8equal_toIvEEtEE10hipError_tPvRmT2_T3_T4_T5_mT6_T7_P12ihipStream_tbENKUlT_T0_E_clISt17integral_constantIbLb1EES10_IbLb0EEEEDaSW_SX_EUlSW_E_NS1_11comp_targetILNS1_3genE8ELNS1_11target_archE1030ELNS1_3gpuE2ELNS1_3repE0EEENS1_30default_config_static_selectorELNS0_4arch9wavefront6targetE1EEEvT1_
	.p2align	8
	.type	_ZN7rocprim17ROCPRIM_400000_NS6detail17trampoline_kernelINS0_14default_configENS1_27scan_by_key_config_selectorIitEEZZNS1_16scan_by_key_implILNS1_25lookback_scan_determinismE0ELb1ES3_N6thrust23THRUST_200600_302600_NS6detail15normal_iteratorINS9_10device_ptrIiEEEENSB_INSC_ItEEEESG_tNS9_4plusIvEENS9_8equal_toIvEEtEE10hipError_tPvRmT2_T3_T4_T5_mT6_T7_P12ihipStream_tbENKUlT_T0_E_clISt17integral_constantIbLb1EES10_IbLb0EEEEDaSW_SX_EUlSW_E_NS1_11comp_targetILNS1_3genE8ELNS1_11target_archE1030ELNS1_3gpuE2ELNS1_3repE0EEENS1_30default_config_static_selectorELNS0_4arch9wavefront6targetE1EEEvT1_,@function
_ZN7rocprim17ROCPRIM_400000_NS6detail17trampoline_kernelINS0_14default_configENS1_27scan_by_key_config_selectorIitEEZZNS1_16scan_by_key_implILNS1_25lookback_scan_determinismE0ELb1ES3_N6thrust23THRUST_200600_302600_NS6detail15normal_iteratorINS9_10device_ptrIiEEEENSB_INSC_ItEEEESG_tNS9_4plusIvEENS9_8equal_toIvEEtEE10hipError_tPvRmT2_T3_T4_T5_mT6_T7_P12ihipStream_tbENKUlT_T0_E_clISt17integral_constantIbLb1EES10_IbLb0EEEEDaSW_SX_EUlSW_E_NS1_11comp_targetILNS1_3genE8ELNS1_11target_archE1030ELNS1_3gpuE2ELNS1_3repE0EEENS1_30default_config_static_selectorELNS0_4arch9wavefront6targetE1EEEvT1_: ; @_ZN7rocprim17ROCPRIM_400000_NS6detail17trampoline_kernelINS0_14default_configENS1_27scan_by_key_config_selectorIitEEZZNS1_16scan_by_key_implILNS1_25lookback_scan_determinismE0ELb1ES3_N6thrust23THRUST_200600_302600_NS6detail15normal_iteratorINS9_10device_ptrIiEEEENSB_INSC_ItEEEESG_tNS9_4plusIvEENS9_8equal_toIvEEtEE10hipError_tPvRmT2_T3_T4_T5_mT6_T7_P12ihipStream_tbENKUlT_T0_E_clISt17integral_constantIbLb1EES10_IbLb0EEEEDaSW_SX_EUlSW_E_NS1_11comp_targetILNS1_3genE8ELNS1_11target_archE1030ELNS1_3gpuE2ELNS1_3repE0EEENS1_30default_config_static_selectorELNS0_4arch9wavefront6targetE1EEEvT1_
; %bb.0:
	.section	.rodata,"a",@progbits
	.p2align	6, 0x0
	.amdhsa_kernel _ZN7rocprim17ROCPRIM_400000_NS6detail17trampoline_kernelINS0_14default_configENS1_27scan_by_key_config_selectorIitEEZZNS1_16scan_by_key_implILNS1_25lookback_scan_determinismE0ELb1ES3_N6thrust23THRUST_200600_302600_NS6detail15normal_iteratorINS9_10device_ptrIiEEEENSB_INSC_ItEEEESG_tNS9_4plusIvEENS9_8equal_toIvEEtEE10hipError_tPvRmT2_T3_T4_T5_mT6_T7_P12ihipStream_tbENKUlT_T0_E_clISt17integral_constantIbLb1EES10_IbLb0EEEEDaSW_SX_EUlSW_E_NS1_11comp_targetILNS1_3genE8ELNS1_11target_archE1030ELNS1_3gpuE2ELNS1_3repE0EEENS1_30default_config_static_selectorELNS0_4arch9wavefront6targetE1EEEvT1_
		.amdhsa_group_segment_fixed_size 0
		.amdhsa_private_segment_fixed_size 0
		.amdhsa_kernarg_size 112
		.amdhsa_user_sgpr_count 6
		.amdhsa_user_sgpr_private_segment_buffer 1
		.amdhsa_user_sgpr_dispatch_ptr 0
		.amdhsa_user_sgpr_queue_ptr 0
		.amdhsa_user_sgpr_kernarg_segment_ptr 1
		.amdhsa_user_sgpr_dispatch_id 0
		.amdhsa_user_sgpr_flat_scratch_init 0
		.amdhsa_user_sgpr_kernarg_preload_length 0
		.amdhsa_user_sgpr_kernarg_preload_offset 0
		.amdhsa_user_sgpr_private_segment_size 0
		.amdhsa_uses_dynamic_stack 0
		.amdhsa_system_sgpr_private_segment_wavefront_offset 0
		.amdhsa_system_sgpr_workgroup_id_x 1
		.amdhsa_system_sgpr_workgroup_id_y 0
		.amdhsa_system_sgpr_workgroup_id_z 0
		.amdhsa_system_sgpr_workgroup_info 0
		.amdhsa_system_vgpr_workitem_id 0
		.amdhsa_next_free_vgpr 1
		.amdhsa_next_free_sgpr 0
		.amdhsa_accum_offset 4
		.amdhsa_reserve_vcc 0
		.amdhsa_reserve_flat_scratch 0
		.amdhsa_float_round_mode_32 0
		.amdhsa_float_round_mode_16_64 0
		.amdhsa_float_denorm_mode_32 3
		.amdhsa_float_denorm_mode_16_64 3
		.amdhsa_dx10_clamp 1
		.amdhsa_ieee_mode 1
		.amdhsa_fp16_overflow 0
		.amdhsa_tg_split 0
		.amdhsa_exception_fp_ieee_invalid_op 0
		.amdhsa_exception_fp_denorm_src 0
		.amdhsa_exception_fp_ieee_div_zero 0
		.amdhsa_exception_fp_ieee_overflow 0
		.amdhsa_exception_fp_ieee_underflow 0
		.amdhsa_exception_fp_ieee_inexact 0
		.amdhsa_exception_int_div_zero 0
	.end_amdhsa_kernel
	.section	.text._ZN7rocprim17ROCPRIM_400000_NS6detail17trampoline_kernelINS0_14default_configENS1_27scan_by_key_config_selectorIitEEZZNS1_16scan_by_key_implILNS1_25lookback_scan_determinismE0ELb1ES3_N6thrust23THRUST_200600_302600_NS6detail15normal_iteratorINS9_10device_ptrIiEEEENSB_INSC_ItEEEESG_tNS9_4plusIvEENS9_8equal_toIvEEtEE10hipError_tPvRmT2_T3_T4_T5_mT6_T7_P12ihipStream_tbENKUlT_T0_E_clISt17integral_constantIbLb1EES10_IbLb0EEEEDaSW_SX_EUlSW_E_NS1_11comp_targetILNS1_3genE8ELNS1_11target_archE1030ELNS1_3gpuE2ELNS1_3repE0EEENS1_30default_config_static_selectorELNS0_4arch9wavefront6targetE1EEEvT1_,"axG",@progbits,_ZN7rocprim17ROCPRIM_400000_NS6detail17trampoline_kernelINS0_14default_configENS1_27scan_by_key_config_selectorIitEEZZNS1_16scan_by_key_implILNS1_25lookback_scan_determinismE0ELb1ES3_N6thrust23THRUST_200600_302600_NS6detail15normal_iteratorINS9_10device_ptrIiEEEENSB_INSC_ItEEEESG_tNS9_4plusIvEENS9_8equal_toIvEEtEE10hipError_tPvRmT2_T3_T4_T5_mT6_T7_P12ihipStream_tbENKUlT_T0_E_clISt17integral_constantIbLb1EES10_IbLb0EEEEDaSW_SX_EUlSW_E_NS1_11comp_targetILNS1_3genE8ELNS1_11target_archE1030ELNS1_3gpuE2ELNS1_3repE0EEENS1_30default_config_static_selectorELNS0_4arch9wavefront6targetE1EEEvT1_,comdat
.Lfunc_end1561:
	.size	_ZN7rocprim17ROCPRIM_400000_NS6detail17trampoline_kernelINS0_14default_configENS1_27scan_by_key_config_selectorIitEEZZNS1_16scan_by_key_implILNS1_25lookback_scan_determinismE0ELb1ES3_N6thrust23THRUST_200600_302600_NS6detail15normal_iteratorINS9_10device_ptrIiEEEENSB_INSC_ItEEEESG_tNS9_4plusIvEENS9_8equal_toIvEEtEE10hipError_tPvRmT2_T3_T4_T5_mT6_T7_P12ihipStream_tbENKUlT_T0_E_clISt17integral_constantIbLb1EES10_IbLb0EEEEDaSW_SX_EUlSW_E_NS1_11comp_targetILNS1_3genE8ELNS1_11target_archE1030ELNS1_3gpuE2ELNS1_3repE0EEENS1_30default_config_static_selectorELNS0_4arch9wavefront6targetE1EEEvT1_, .Lfunc_end1561-_ZN7rocprim17ROCPRIM_400000_NS6detail17trampoline_kernelINS0_14default_configENS1_27scan_by_key_config_selectorIitEEZZNS1_16scan_by_key_implILNS1_25lookback_scan_determinismE0ELb1ES3_N6thrust23THRUST_200600_302600_NS6detail15normal_iteratorINS9_10device_ptrIiEEEENSB_INSC_ItEEEESG_tNS9_4plusIvEENS9_8equal_toIvEEtEE10hipError_tPvRmT2_T3_T4_T5_mT6_T7_P12ihipStream_tbENKUlT_T0_E_clISt17integral_constantIbLb1EES10_IbLb0EEEEDaSW_SX_EUlSW_E_NS1_11comp_targetILNS1_3genE8ELNS1_11target_archE1030ELNS1_3gpuE2ELNS1_3repE0EEENS1_30default_config_static_selectorELNS0_4arch9wavefront6targetE1EEEvT1_
                                        ; -- End function
	.section	.AMDGPU.csdata,"",@progbits
; Kernel info:
; codeLenInByte = 0
; NumSgprs: 4
; NumVgprs: 0
; NumAgprs: 0
; TotalNumVgprs: 0
; ScratchSize: 0
; MemoryBound: 0
; FloatMode: 240
; IeeeMode: 1
; LDSByteSize: 0 bytes/workgroup (compile time only)
; SGPRBlocks: 0
; VGPRBlocks: 0
; NumSGPRsForWavesPerEU: 4
; NumVGPRsForWavesPerEU: 1
; AccumOffset: 4
; Occupancy: 8
; WaveLimiterHint : 0
; COMPUTE_PGM_RSRC2:SCRATCH_EN: 0
; COMPUTE_PGM_RSRC2:USER_SGPR: 6
; COMPUTE_PGM_RSRC2:TRAP_HANDLER: 0
; COMPUTE_PGM_RSRC2:TGID_X_EN: 1
; COMPUTE_PGM_RSRC2:TGID_Y_EN: 0
; COMPUTE_PGM_RSRC2:TGID_Z_EN: 0
; COMPUTE_PGM_RSRC2:TIDIG_COMP_CNT: 0
; COMPUTE_PGM_RSRC3_GFX90A:ACCUM_OFFSET: 0
; COMPUTE_PGM_RSRC3_GFX90A:TG_SPLIT: 0
	.section	.text._ZN7rocprim17ROCPRIM_400000_NS6detail17trampoline_kernelINS0_14default_configENS1_27scan_by_key_config_selectorIitEEZZNS1_16scan_by_key_implILNS1_25lookback_scan_determinismE0ELb1ES3_N6thrust23THRUST_200600_302600_NS6detail15normal_iteratorINS9_10device_ptrIiEEEENSB_INSC_ItEEEESG_tNS9_4plusIvEENS9_8equal_toIvEEtEE10hipError_tPvRmT2_T3_T4_T5_mT6_T7_P12ihipStream_tbENKUlT_T0_E_clISt17integral_constantIbLb0EES10_IbLb1EEEEDaSW_SX_EUlSW_E_NS1_11comp_targetILNS1_3genE0ELNS1_11target_archE4294967295ELNS1_3gpuE0ELNS1_3repE0EEENS1_30default_config_static_selectorELNS0_4arch9wavefront6targetE1EEEvT1_,"axG",@progbits,_ZN7rocprim17ROCPRIM_400000_NS6detail17trampoline_kernelINS0_14default_configENS1_27scan_by_key_config_selectorIitEEZZNS1_16scan_by_key_implILNS1_25lookback_scan_determinismE0ELb1ES3_N6thrust23THRUST_200600_302600_NS6detail15normal_iteratorINS9_10device_ptrIiEEEENSB_INSC_ItEEEESG_tNS9_4plusIvEENS9_8equal_toIvEEtEE10hipError_tPvRmT2_T3_T4_T5_mT6_T7_P12ihipStream_tbENKUlT_T0_E_clISt17integral_constantIbLb0EES10_IbLb1EEEEDaSW_SX_EUlSW_E_NS1_11comp_targetILNS1_3genE0ELNS1_11target_archE4294967295ELNS1_3gpuE0ELNS1_3repE0EEENS1_30default_config_static_selectorELNS0_4arch9wavefront6targetE1EEEvT1_,comdat
	.protected	_ZN7rocprim17ROCPRIM_400000_NS6detail17trampoline_kernelINS0_14default_configENS1_27scan_by_key_config_selectorIitEEZZNS1_16scan_by_key_implILNS1_25lookback_scan_determinismE0ELb1ES3_N6thrust23THRUST_200600_302600_NS6detail15normal_iteratorINS9_10device_ptrIiEEEENSB_INSC_ItEEEESG_tNS9_4plusIvEENS9_8equal_toIvEEtEE10hipError_tPvRmT2_T3_T4_T5_mT6_T7_P12ihipStream_tbENKUlT_T0_E_clISt17integral_constantIbLb0EES10_IbLb1EEEEDaSW_SX_EUlSW_E_NS1_11comp_targetILNS1_3genE0ELNS1_11target_archE4294967295ELNS1_3gpuE0ELNS1_3repE0EEENS1_30default_config_static_selectorELNS0_4arch9wavefront6targetE1EEEvT1_ ; -- Begin function _ZN7rocprim17ROCPRIM_400000_NS6detail17trampoline_kernelINS0_14default_configENS1_27scan_by_key_config_selectorIitEEZZNS1_16scan_by_key_implILNS1_25lookback_scan_determinismE0ELb1ES3_N6thrust23THRUST_200600_302600_NS6detail15normal_iteratorINS9_10device_ptrIiEEEENSB_INSC_ItEEEESG_tNS9_4plusIvEENS9_8equal_toIvEEtEE10hipError_tPvRmT2_T3_T4_T5_mT6_T7_P12ihipStream_tbENKUlT_T0_E_clISt17integral_constantIbLb0EES10_IbLb1EEEEDaSW_SX_EUlSW_E_NS1_11comp_targetILNS1_3genE0ELNS1_11target_archE4294967295ELNS1_3gpuE0ELNS1_3repE0EEENS1_30default_config_static_selectorELNS0_4arch9wavefront6targetE1EEEvT1_
	.globl	_ZN7rocprim17ROCPRIM_400000_NS6detail17trampoline_kernelINS0_14default_configENS1_27scan_by_key_config_selectorIitEEZZNS1_16scan_by_key_implILNS1_25lookback_scan_determinismE0ELb1ES3_N6thrust23THRUST_200600_302600_NS6detail15normal_iteratorINS9_10device_ptrIiEEEENSB_INSC_ItEEEESG_tNS9_4plusIvEENS9_8equal_toIvEEtEE10hipError_tPvRmT2_T3_T4_T5_mT6_T7_P12ihipStream_tbENKUlT_T0_E_clISt17integral_constantIbLb0EES10_IbLb1EEEEDaSW_SX_EUlSW_E_NS1_11comp_targetILNS1_3genE0ELNS1_11target_archE4294967295ELNS1_3gpuE0ELNS1_3repE0EEENS1_30default_config_static_selectorELNS0_4arch9wavefront6targetE1EEEvT1_
	.p2align	8
	.type	_ZN7rocprim17ROCPRIM_400000_NS6detail17trampoline_kernelINS0_14default_configENS1_27scan_by_key_config_selectorIitEEZZNS1_16scan_by_key_implILNS1_25lookback_scan_determinismE0ELb1ES3_N6thrust23THRUST_200600_302600_NS6detail15normal_iteratorINS9_10device_ptrIiEEEENSB_INSC_ItEEEESG_tNS9_4plusIvEENS9_8equal_toIvEEtEE10hipError_tPvRmT2_T3_T4_T5_mT6_T7_P12ihipStream_tbENKUlT_T0_E_clISt17integral_constantIbLb0EES10_IbLb1EEEEDaSW_SX_EUlSW_E_NS1_11comp_targetILNS1_3genE0ELNS1_11target_archE4294967295ELNS1_3gpuE0ELNS1_3repE0EEENS1_30default_config_static_selectorELNS0_4arch9wavefront6targetE1EEEvT1_,@function
_ZN7rocprim17ROCPRIM_400000_NS6detail17trampoline_kernelINS0_14default_configENS1_27scan_by_key_config_selectorIitEEZZNS1_16scan_by_key_implILNS1_25lookback_scan_determinismE0ELb1ES3_N6thrust23THRUST_200600_302600_NS6detail15normal_iteratorINS9_10device_ptrIiEEEENSB_INSC_ItEEEESG_tNS9_4plusIvEENS9_8equal_toIvEEtEE10hipError_tPvRmT2_T3_T4_T5_mT6_T7_P12ihipStream_tbENKUlT_T0_E_clISt17integral_constantIbLb0EES10_IbLb1EEEEDaSW_SX_EUlSW_E_NS1_11comp_targetILNS1_3genE0ELNS1_11target_archE4294967295ELNS1_3gpuE0ELNS1_3repE0EEENS1_30default_config_static_selectorELNS0_4arch9wavefront6targetE1EEEvT1_: ; @_ZN7rocprim17ROCPRIM_400000_NS6detail17trampoline_kernelINS0_14default_configENS1_27scan_by_key_config_selectorIitEEZZNS1_16scan_by_key_implILNS1_25lookback_scan_determinismE0ELb1ES3_N6thrust23THRUST_200600_302600_NS6detail15normal_iteratorINS9_10device_ptrIiEEEENSB_INSC_ItEEEESG_tNS9_4plusIvEENS9_8equal_toIvEEtEE10hipError_tPvRmT2_T3_T4_T5_mT6_T7_P12ihipStream_tbENKUlT_T0_E_clISt17integral_constantIbLb0EES10_IbLb1EEEEDaSW_SX_EUlSW_E_NS1_11comp_targetILNS1_3genE0ELNS1_11target_archE4294967295ELNS1_3gpuE0ELNS1_3repE0EEENS1_30default_config_static_selectorELNS0_4arch9wavefront6targetE1EEEvT1_
; %bb.0:
	.section	.rodata,"a",@progbits
	.p2align	6, 0x0
	.amdhsa_kernel _ZN7rocprim17ROCPRIM_400000_NS6detail17trampoline_kernelINS0_14default_configENS1_27scan_by_key_config_selectorIitEEZZNS1_16scan_by_key_implILNS1_25lookback_scan_determinismE0ELb1ES3_N6thrust23THRUST_200600_302600_NS6detail15normal_iteratorINS9_10device_ptrIiEEEENSB_INSC_ItEEEESG_tNS9_4plusIvEENS9_8equal_toIvEEtEE10hipError_tPvRmT2_T3_T4_T5_mT6_T7_P12ihipStream_tbENKUlT_T0_E_clISt17integral_constantIbLb0EES10_IbLb1EEEEDaSW_SX_EUlSW_E_NS1_11comp_targetILNS1_3genE0ELNS1_11target_archE4294967295ELNS1_3gpuE0ELNS1_3repE0EEENS1_30default_config_static_selectorELNS0_4arch9wavefront6targetE1EEEvT1_
		.amdhsa_group_segment_fixed_size 0
		.amdhsa_private_segment_fixed_size 0
		.amdhsa_kernarg_size 112
		.amdhsa_user_sgpr_count 6
		.amdhsa_user_sgpr_private_segment_buffer 1
		.amdhsa_user_sgpr_dispatch_ptr 0
		.amdhsa_user_sgpr_queue_ptr 0
		.amdhsa_user_sgpr_kernarg_segment_ptr 1
		.amdhsa_user_sgpr_dispatch_id 0
		.amdhsa_user_sgpr_flat_scratch_init 0
		.amdhsa_user_sgpr_kernarg_preload_length 0
		.amdhsa_user_sgpr_kernarg_preload_offset 0
		.amdhsa_user_sgpr_private_segment_size 0
		.amdhsa_uses_dynamic_stack 0
		.amdhsa_system_sgpr_private_segment_wavefront_offset 0
		.amdhsa_system_sgpr_workgroup_id_x 1
		.amdhsa_system_sgpr_workgroup_id_y 0
		.amdhsa_system_sgpr_workgroup_id_z 0
		.amdhsa_system_sgpr_workgroup_info 0
		.amdhsa_system_vgpr_workitem_id 0
		.amdhsa_next_free_vgpr 1
		.amdhsa_next_free_sgpr 0
		.amdhsa_accum_offset 4
		.amdhsa_reserve_vcc 0
		.amdhsa_reserve_flat_scratch 0
		.amdhsa_float_round_mode_32 0
		.amdhsa_float_round_mode_16_64 0
		.amdhsa_float_denorm_mode_32 3
		.amdhsa_float_denorm_mode_16_64 3
		.amdhsa_dx10_clamp 1
		.amdhsa_ieee_mode 1
		.amdhsa_fp16_overflow 0
		.amdhsa_tg_split 0
		.amdhsa_exception_fp_ieee_invalid_op 0
		.amdhsa_exception_fp_denorm_src 0
		.amdhsa_exception_fp_ieee_div_zero 0
		.amdhsa_exception_fp_ieee_overflow 0
		.amdhsa_exception_fp_ieee_underflow 0
		.amdhsa_exception_fp_ieee_inexact 0
		.amdhsa_exception_int_div_zero 0
	.end_amdhsa_kernel
	.section	.text._ZN7rocprim17ROCPRIM_400000_NS6detail17trampoline_kernelINS0_14default_configENS1_27scan_by_key_config_selectorIitEEZZNS1_16scan_by_key_implILNS1_25lookback_scan_determinismE0ELb1ES3_N6thrust23THRUST_200600_302600_NS6detail15normal_iteratorINS9_10device_ptrIiEEEENSB_INSC_ItEEEESG_tNS9_4plusIvEENS9_8equal_toIvEEtEE10hipError_tPvRmT2_T3_T4_T5_mT6_T7_P12ihipStream_tbENKUlT_T0_E_clISt17integral_constantIbLb0EES10_IbLb1EEEEDaSW_SX_EUlSW_E_NS1_11comp_targetILNS1_3genE0ELNS1_11target_archE4294967295ELNS1_3gpuE0ELNS1_3repE0EEENS1_30default_config_static_selectorELNS0_4arch9wavefront6targetE1EEEvT1_,"axG",@progbits,_ZN7rocprim17ROCPRIM_400000_NS6detail17trampoline_kernelINS0_14default_configENS1_27scan_by_key_config_selectorIitEEZZNS1_16scan_by_key_implILNS1_25lookback_scan_determinismE0ELb1ES3_N6thrust23THRUST_200600_302600_NS6detail15normal_iteratorINS9_10device_ptrIiEEEENSB_INSC_ItEEEESG_tNS9_4plusIvEENS9_8equal_toIvEEtEE10hipError_tPvRmT2_T3_T4_T5_mT6_T7_P12ihipStream_tbENKUlT_T0_E_clISt17integral_constantIbLb0EES10_IbLb1EEEEDaSW_SX_EUlSW_E_NS1_11comp_targetILNS1_3genE0ELNS1_11target_archE4294967295ELNS1_3gpuE0ELNS1_3repE0EEENS1_30default_config_static_selectorELNS0_4arch9wavefront6targetE1EEEvT1_,comdat
.Lfunc_end1562:
	.size	_ZN7rocprim17ROCPRIM_400000_NS6detail17trampoline_kernelINS0_14default_configENS1_27scan_by_key_config_selectorIitEEZZNS1_16scan_by_key_implILNS1_25lookback_scan_determinismE0ELb1ES3_N6thrust23THRUST_200600_302600_NS6detail15normal_iteratorINS9_10device_ptrIiEEEENSB_INSC_ItEEEESG_tNS9_4plusIvEENS9_8equal_toIvEEtEE10hipError_tPvRmT2_T3_T4_T5_mT6_T7_P12ihipStream_tbENKUlT_T0_E_clISt17integral_constantIbLb0EES10_IbLb1EEEEDaSW_SX_EUlSW_E_NS1_11comp_targetILNS1_3genE0ELNS1_11target_archE4294967295ELNS1_3gpuE0ELNS1_3repE0EEENS1_30default_config_static_selectorELNS0_4arch9wavefront6targetE1EEEvT1_, .Lfunc_end1562-_ZN7rocprim17ROCPRIM_400000_NS6detail17trampoline_kernelINS0_14default_configENS1_27scan_by_key_config_selectorIitEEZZNS1_16scan_by_key_implILNS1_25lookback_scan_determinismE0ELb1ES3_N6thrust23THRUST_200600_302600_NS6detail15normal_iteratorINS9_10device_ptrIiEEEENSB_INSC_ItEEEESG_tNS9_4plusIvEENS9_8equal_toIvEEtEE10hipError_tPvRmT2_T3_T4_T5_mT6_T7_P12ihipStream_tbENKUlT_T0_E_clISt17integral_constantIbLb0EES10_IbLb1EEEEDaSW_SX_EUlSW_E_NS1_11comp_targetILNS1_3genE0ELNS1_11target_archE4294967295ELNS1_3gpuE0ELNS1_3repE0EEENS1_30default_config_static_selectorELNS0_4arch9wavefront6targetE1EEEvT1_
                                        ; -- End function
	.section	.AMDGPU.csdata,"",@progbits
; Kernel info:
; codeLenInByte = 0
; NumSgprs: 4
; NumVgprs: 0
; NumAgprs: 0
; TotalNumVgprs: 0
; ScratchSize: 0
; MemoryBound: 0
; FloatMode: 240
; IeeeMode: 1
; LDSByteSize: 0 bytes/workgroup (compile time only)
; SGPRBlocks: 0
; VGPRBlocks: 0
; NumSGPRsForWavesPerEU: 4
; NumVGPRsForWavesPerEU: 1
; AccumOffset: 4
; Occupancy: 8
; WaveLimiterHint : 0
; COMPUTE_PGM_RSRC2:SCRATCH_EN: 0
; COMPUTE_PGM_RSRC2:USER_SGPR: 6
; COMPUTE_PGM_RSRC2:TRAP_HANDLER: 0
; COMPUTE_PGM_RSRC2:TGID_X_EN: 1
; COMPUTE_PGM_RSRC2:TGID_Y_EN: 0
; COMPUTE_PGM_RSRC2:TGID_Z_EN: 0
; COMPUTE_PGM_RSRC2:TIDIG_COMP_CNT: 0
; COMPUTE_PGM_RSRC3_GFX90A:ACCUM_OFFSET: 0
; COMPUTE_PGM_RSRC3_GFX90A:TG_SPLIT: 0
	.section	.text._ZN7rocprim17ROCPRIM_400000_NS6detail17trampoline_kernelINS0_14default_configENS1_27scan_by_key_config_selectorIitEEZZNS1_16scan_by_key_implILNS1_25lookback_scan_determinismE0ELb1ES3_N6thrust23THRUST_200600_302600_NS6detail15normal_iteratorINS9_10device_ptrIiEEEENSB_INSC_ItEEEESG_tNS9_4plusIvEENS9_8equal_toIvEEtEE10hipError_tPvRmT2_T3_T4_T5_mT6_T7_P12ihipStream_tbENKUlT_T0_E_clISt17integral_constantIbLb0EES10_IbLb1EEEEDaSW_SX_EUlSW_E_NS1_11comp_targetILNS1_3genE10ELNS1_11target_archE1201ELNS1_3gpuE5ELNS1_3repE0EEENS1_30default_config_static_selectorELNS0_4arch9wavefront6targetE1EEEvT1_,"axG",@progbits,_ZN7rocprim17ROCPRIM_400000_NS6detail17trampoline_kernelINS0_14default_configENS1_27scan_by_key_config_selectorIitEEZZNS1_16scan_by_key_implILNS1_25lookback_scan_determinismE0ELb1ES3_N6thrust23THRUST_200600_302600_NS6detail15normal_iteratorINS9_10device_ptrIiEEEENSB_INSC_ItEEEESG_tNS9_4plusIvEENS9_8equal_toIvEEtEE10hipError_tPvRmT2_T3_T4_T5_mT6_T7_P12ihipStream_tbENKUlT_T0_E_clISt17integral_constantIbLb0EES10_IbLb1EEEEDaSW_SX_EUlSW_E_NS1_11comp_targetILNS1_3genE10ELNS1_11target_archE1201ELNS1_3gpuE5ELNS1_3repE0EEENS1_30default_config_static_selectorELNS0_4arch9wavefront6targetE1EEEvT1_,comdat
	.protected	_ZN7rocprim17ROCPRIM_400000_NS6detail17trampoline_kernelINS0_14default_configENS1_27scan_by_key_config_selectorIitEEZZNS1_16scan_by_key_implILNS1_25lookback_scan_determinismE0ELb1ES3_N6thrust23THRUST_200600_302600_NS6detail15normal_iteratorINS9_10device_ptrIiEEEENSB_INSC_ItEEEESG_tNS9_4plusIvEENS9_8equal_toIvEEtEE10hipError_tPvRmT2_T3_T4_T5_mT6_T7_P12ihipStream_tbENKUlT_T0_E_clISt17integral_constantIbLb0EES10_IbLb1EEEEDaSW_SX_EUlSW_E_NS1_11comp_targetILNS1_3genE10ELNS1_11target_archE1201ELNS1_3gpuE5ELNS1_3repE0EEENS1_30default_config_static_selectorELNS0_4arch9wavefront6targetE1EEEvT1_ ; -- Begin function _ZN7rocprim17ROCPRIM_400000_NS6detail17trampoline_kernelINS0_14default_configENS1_27scan_by_key_config_selectorIitEEZZNS1_16scan_by_key_implILNS1_25lookback_scan_determinismE0ELb1ES3_N6thrust23THRUST_200600_302600_NS6detail15normal_iteratorINS9_10device_ptrIiEEEENSB_INSC_ItEEEESG_tNS9_4plusIvEENS9_8equal_toIvEEtEE10hipError_tPvRmT2_T3_T4_T5_mT6_T7_P12ihipStream_tbENKUlT_T0_E_clISt17integral_constantIbLb0EES10_IbLb1EEEEDaSW_SX_EUlSW_E_NS1_11comp_targetILNS1_3genE10ELNS1_11target_archE1201ELNS1_3gpuE5ELNS1_3repE0EEENS1_30default_config_static_selectorELNS0_4arch9wavefront6targetE1EEEvT1_
	.globl	_ZN7rocprim17ROCPRIM_400000_NS6detail17trampoline_kernelINS0_14default_configENS1_27scan_by_key_config_selectorIitEEZZNS1_16scan_by_key_implILNS1_25lookback_scan_determinismE0ELb1ES3_N6thrust23THRUST_200600_302600_NS6detail15normal_iteratorINS9_10device_ptrIiEEEENSB_INSC_ItEEEESG_tNS9_4plusIvEENS9_8equal_toIvEEtEE10hipError_tPvRmT2_T3_T4_T5_mT6_T7_P12ihipStream_tbENKUlT_T0_E_clISt17integral_constantIbLb0EES10_IbLb1EEEEDaSW_SX_EUlSW_E_NS1_11comp_targetILNS1_3genE10ELNS1_11target_archE1201ELNS1_3gpuE5ELNS1_3repE0EEENS1_30default_config_static_selectorELNS0_4arch9wavefront6targetE1EEEvT1_
	.p2align	8
	.type	_ZN7rocprim17ROCPRIM_400000_NS6detail17trampoline_kernelINS0_14default_configENS1_27scan_by_key_config_selectorIitEEZZNS1_16scan_by_key_implILNS1_25lookback_scan_determinismE0ELb1ES3_N6thrust23THRUST_200600_302600_NS6detail15normal_iteratorINS9_10device_ptrIiEEEENSB_INSC_ItEEEESG_tNS9_4plusIvEENS9_8equal_toIvEEtEE10hipError_tPvRmT2_T3_T4_T5_mT6_T7_P12ihipStream_tbENKUlT_T0_E_clISt17integral_constantIbLb0EES10_IbLb1EEEEDaSW_SX_EUlSW_E_NS1_11comp_targetILNS1_3genE10ELNS1_11target_archE1201ELNS1_3gpuE5ELNS1_3repE0EEENS1_30default_config_static_selectorELNS0_4arch9wavefront6targetE1EEEvT1_,@function
_ZN7rocprim17ROCPRIM_400000_NS6detail17trampoline_kernelINS0_14default_configENS1_27scan_by_key_config_selectorIitEEZZNS1_16scan_by_key_implILNS1_25lookback_scan_determinismE0ELb1ES3_N6thrust23THRUST_200600_302600_NS6detail15normal_iteratorINS9_10device_ptrIiEEEENSB_INSC_ItEEEESG_tNS9_4plusIvEENS9_8equal_toIvEEtEE10hipError_tPvRmT2_T3_T4_T5_mT6_T7_P12ihipStream_tbENKUlT_T0_E_clISt17integral_constantIbLb0EES10_IbLb1EEEEDaSW_SX_EUlSW_E_NS1_11comp_targetILNS1_3genE10ELNS1_11target_archE1201ELNS1_3gpuE5ELNS1_3repE0EEENS1_30default_config_static_selectorELNS0_4arch9wavefront6targetE1EEEvT1_: ; @_ZN7rocprim17ROCPRIM_400000_NS6detail17trampoline_kernelINS0_14default_configENS1_27scan_by_key_config_selectorIitEEZZNS1_16scan_by_key_implILNS1_25lookback_scan_determinismE0ELb1ES3_N6thrust23THRUST_200600_302600_NS6detail15normal_iteratorINS9_10device_ptrIiEEEENSB_INSC_ItEEEESG_tNS9_4plusIvEENS9_8equal_toIvEEtEE10hipError_tPvRmT2_T3_T4_T5_mT6_T7_P12ihipStream_tbENKUlT_T0_E_clISt17integral_constantIbLb0EES10_IbLb1EEEEDaSW_SX_EUlSW_E_NS1_11comp_targetILNS1_3genE10ELNS1_11target_archE1201ELNS1_3gpuE5ELNS1_3repE0EEENS1_30default_config_static_selectorELNS0_4arch9wavefront6targetE1EEEvT1_
; %bb.0:
	.section	.rodata,"a",@progbits
	.p2align	6, 0x0
	.amdhsa_kernel _ZN7rocprim17ROCPRIM_400000_NS6detail17trampoline_kernelINS0_14default_configENS1_27scan_by_key_config_selectorIitEEZZNS1_16scan_by_key_implILNS1_25lookback_scan_determinismE0ELb1ES3_N6thrust23THRUST_200600_302600_NS6detail15normal_iteratorINS9_10device_ptrIiEEEENSB_INSC_ItEEEESG_tNS9_4plusIvEENS9_8equal_toIvEEtEE10hipError_tPvRmT2_T3_T4_T5_mT6_T7_P12ihipStream_tbENKUlT_T0_E_clISt17integral_constantIbLb0EES10_IbLb1EEEEDaSW_SX_EUlSW_E_NS1_11comp_targetILNS1_3genE10ELNS1_11target_archE1201ELNS1_3gpuE5ELNS1_3repE0EEENS1_30default_config_static_selectorELNS0_4arch9wavefront6targetE1EEEvT1_
		.amdhsa_group_segment_fixed_size 0
		.amdhsa_private_segment_fixed_size 0
		.amdhsa_kernarg_size 112
		.amdhsa_user_sgpr_count 6
		.amdhsa_user_sgpr_private_segment_buffer 1
		.amdhsa_user_sgpr_dispatch_ptr 0
		.amdhsa_user_sgpr_queue_ptr 0
		.amdhsa_user_sgpr_kernarg_segment_ptr 1
		.amdhsa_user_sgpr_dispatch_id 0
		.amdhsa_user_sgpr_flat_scratch_init 0
		.amdhsa_user_sgpr_kernarg_preload_length 0
		.amdhsa_user_sgpr_kernarg_preload_offset 0
		.amdhsa_user_sgpr_private_segment_size 0
		.amdhsa_uses_dynamic_stack 0
		.amdhsa_system_sgpr_private_segment_wavefront_offset 0
		.amdhsa_system_sgpr_workgroup_id_x 1
		.amdhsa_system_sgpr_workgroup_id_y 0
		.amdhsa_system_sgpr_workgroup_id_z 0
		.amdhsa_system_sgpr_workgroup_info 0
		.amdhsa_system_vgpr_workitem_id 0
		.amdhsa_next_free_vgpr 1
		.amdhsa_next_free_sgpr 0
		.amdhsa_accum_offset 4
		.amdhsa_reserve_vcc 0
		.amdhsa_reserve_flat_scratch 0
		.amdhsa_float_round_mode_32 0
		.amdhsa_float_round_mode_16_64 0
		.amdhsa_float_denorm_mode_32 3
		.amdhsa_float_denorm_mode_16_64 3
		.amdhsa_dx10_clamp 1
		.amdhsa_ieee_mode 1
		.amdhsa_fp16_overflow 0
		.amdhsa_tg_split 0
		.amdhsa_exception_fp_ieee_invalid_op 0
		.amdhsa_exception_fp_denorm_src 0
		.amdhsa_exception_fp_ieee_div_zero 0
		.amdhsa_exception_fp_ieee_overflow 0
		.amdhsa_exception_fp_ieee_underflow 0
		.amdhsa_exception_fp_ieee_inexact 0
		.amdhsa_exception_int_div_zero 0
	.end_amdhsa_kernel
	.section	.text._ZN7rocprim17ROCPRIM_400000_NS6detail17trampoline_kernelINS0_14default_configENS1_27scan_by_key_config_selectorIitEEZZNS1_16scan_by_key_implILNS1_25lookback_scan_determinismE0ELb1ES3_N6thrust23THRUST_200600_302600_NS6detail15normal_iteratorINS9_10device_ptrIiEEEENSB_INSC_ItEEEESG_tNS9_4plusIvEENS9_8equal_toIvEEtEE10hipError_tPvRmT2_T3_T4_T5_mT6_T7_P12ihipStream_tbENKUlT_T0_E_clISt17integral_constantIbLb0EES10_IbLb1EEEEDaSW_SX_EUlSW_E_NS1_11comp_targetILNS1_3genE10ELNS1_11target_archE1201ELNS1_3gpuE5ELNS1_3repE0EEENS1_30default_config_static_selectorELNS0_4arch9wavefront6targetE1EEEvT1_,"axG",@progbits,_ZN7rocprim17ROCPRIM_400000_NS6detail17trampoline_kernelINS0_14default_configENS1_27scan_by_key_config_selectorIitEEZZNS1_16scan_by_key_implILNS1_25lookback_scan_determinismE0ELb1ES3_N6thrust23THRUST_200600_302600_NS6detail15normal_iteratorINS9_10device_ptrIiEEEENSB_INSC_ItEEEESG_tNS9_4plusIvEENS9_8equal_toIvEEtEE10hipError_tPvRmT2_T3_T4_T5_mT6_T7_P12ihipStream_tbENKUlT_T0_E_clISt17integral_constantIbLb0EES10_IbLb1EEEEDaSW_SX_EUlSW_E_NS1_11comp_targetILNS1_3genE10ELNS1_11target_archE1201ELNS1_3gpuE5ELNS1_3repE0EEENS1_30default_config_static_selectorELNS0_4arch9wavefront6targetE1EEEvT1_,comdat
.Lfunc_end1563:
	.size	_ZN7rocprim17ROCPRIM_400000_NS6detail17trampoline_kernelINS0_14default_configENS1_27scan_by_key_config_selectorIitEEZZNS1_16scan_by_key_implILNS1_25lookback_scan_determinismE0ELb1ES3_N6thrust23THRUST_200600_302600_NS6detail15normal_iteratorINS9_10device_ptrIiEEEENSB_INSC_ItEEEESG_tNS9_4plusIvEENS9_8equal_toIvEEtEE10hipError_tPvRmT2_T3_T4_T5_mT6_T7_P12ihipStream_tbENKUlT_T0_E_clISt17integral_constantIbLb0EES10_IbLb1EEEEDaSW_SX_EUlSW_E_NS1_11comp_targetILNS1_3genE10ELNS1_11target_archE1201ELNS1_3gpuE5ELNS1_3repE0EEENS1_30default_config_static_selectorELNS0_4arch9wavefront6targetE1EEEvT1_, .Lfunc_end1563-_ZN7rocprim17ROCPRIM_400000_NS6detail17trampoline_kernelINS0_14default_configENS1_27scan_by_key_config_selectorIitEEZZNS1_16scan_by_key_implILNS1_25lookback_scan_determinismE0ELb1ES3_N6thrust23THRUST_200600_302600_NS6detail15normal_iteratorINS9_10device_ptrIiEEEENSB_INSC_ItEEEESG_tNS9_4plusIvEENS9_8equal_toIvEEtEE10hipError_tPvRmT2_T3_T4_T5_mT6_T7_P12ihipStream_tbENKUlT_T0_E_clISt17integral_constantIbLb0EES10_IbLb1EEEEDaSW_SX_EUlSW_E_NS1_11comp_targetILNS1_3genE10ELNS1_11target_archE1201ELNS1_3gpuE5ELNS1_3repE0EEENS1_30default_config_static_selectorELNS0_4arch9wavefront6targetE1EEEvT1_
                                        ; -- End function
	.section	.AMDGPU.csdata,"",@progbits
; Kernel info:
; codeLenInByte = 0
; NumSgprs: 4
; NumVgprs: 0
; NumAgprs: 0
; TotalNumVgprs: 0
; ScratchSize: 0
; MemoryBound: 0
; FloatMode: 240
; IeeeMode: 1
; LDSByteSize: 0 bytes/workgroup (compile time only)
; SGPRBlocks: 0
; VGPRBlocks: 0
; NumSGPRsForWavesPerEU: 4
; NumVGPRsForWavesPerEU: 1
; AccumOffset: 4
; Occupancy: 8
; WaveLimiterHint : 0
; COMPUTE_PGM_RSRC2:SCRATCH_EN: 0
; COMPUTE_PGM_RSRC2:USER_SGPR: 6
; COMPUTE_PGM_RSRC2:TRAP_HANDLER: 0
; COMPUTE_PGM_RSRC2:TGID_X_EN: 1
; COMPUTE_PGM_RSRC2:TGID_Y_EN: 0
; COMPUTE_PGM_RSRC2:TGID_Z_EN: 0
; COMPUTE_PGM_RSRC2:TIDIG_COMP_CNT: 0
; COMPUTE_PGM_RSRC3_GFX90A:ACCUM_OFFSET: 0
; COMPUTE_PGM_RSRC3_GFX90A:TG_SPLIT: 0
	.section	.text._ZN7rocprim17ROCPRIM_400000_NS6detail17trampoline_kernelINS0_14default_configENS1_27scan_by_key_config_selectorIitEEZZNS1_16scan_by_key_implILNS1_25lookback_scan_determinismE0ELb1ES3_N6thrust23THRUST_200600_302600_NS6detail15normal_iteratorINS9_10device_ptrIiEEEENSB_INSC_ItEEEESG_tNS9_4plusIvEENS9_8equal_toIvEEtEE10hipError_tPvRmT2_T3_T4_T5_mT6_T7_P12ihipStream_tbENKUlT_T0_E_clISt17integral_constantIbLb0EES10_IbLb1EEEEDaSW_SX_EUlSW_E_NS1_11comp_targetILNS1_3genE5ELNS1_11target_archE942ELNS1_3gpuE9ELNS1_3repE0EEENS1_30default_config_static_selectorELNS0_4arch9wavefront6targetE1EEEvT1_,"axG",@progbits,_ZN7rocprim17ROCPRIM_400000_NS6detail17trampoline_kernelINS0_14default_configENS1_27scan_by_key_config_selectorIitEEZZNS1_16scan_by_key_implILNS1_25lookback_scan_determinismE0ELb1ES3_N6thrust23THRUST_200600_302600_NS6detail15normal_iteratorINS9_10device_ptrIiEEEENSB_INSC_ItEEEESG_tNS9_4plusIvEENS9_8equal_toIvEEtEE10hipError_tPvRmT2_T3_T4_T5_mT6_T7_P12ihipStream_tbENKUlT_T0_E_clISt17integral_constantIbLb0EES10_IbLb1EEEEDaSW_SX_EUlSW_E_NS1_11comp_targetILNS1_3genE5ELNS1_11target_archE942ELNS1_3gpuE9ELNS1_3repE0EEENS1_30default_config_static_selectorELNS0_4arch9wavefront6targetE1EEEvT1_,comdat
	.protected	_ZN7rocprim17ROCPRIM_400000_NS6detail17trampoline_kernelINS0_14default_configENS1_27scan_by_key_config_selectorIitEEZZNS1_16scan_by_key_implILNS1_25lookback_scan_determinismE0ELb1ES3_N6thrust23THRUST_200600_302600_NS6detail15normal_iteratorINS9_10device_ptrIiEEEENSB_INSC_ItEEEESG_tNS9_4plusIvEENS9_8equal_toIvEEtEE10hipError_tPvRmT2_T3_T4_T5_mT6_T7_P12ihipStream_tbENKUlT_T0_E_clISt17integral_constantIbLb0EES10_IbLb1EEEEDaSW_SX_EUlSW_E_NS1_11comp_targetILNS1_3genE5ELNS1_11target_archE942ELNS1_3gpuE9ELNS1_3repE0EEENS1_30default_config_static_selectorELNS0_4arch9wavefront6targetE1EEEvT1_ ; -- Begin function _ZN7rocprim17ROCPRIM_400000_NS6detail17trampoline_kernelINS0_14default_configENS1_27scan_by_key_config_selectorIitEEZZNS1_16scan_by_key_implILNS1_25lookback_scan_determinismE0ELb1ES3_N6thrust23THRUST_200600_302600_NS6detail15normal_iteratorINS9_10device_ptrIiEEEENSB_INSC_ItEEEESG_tNS9_4plusIvEENS9_8equal_toIvEEtEE10hipError_tPvRmT2_T3_T4_T5_mT6_T7_P12ihipStream_tbENKUlT_T0_E_clISt17integral_constantIbLb0EES10_IbLb1EEEEDaSW_SX_EUlSW_E_NS1_11comp_targetILNS1_3genE5ELNS1_11target_archE942ELNS1_3gpuE9ELNS1_3repE0EEENS1_30default_config_static_selectorELNS0_4arch9wavefront6targetE1EEEvT1_
	.globl	_ZN7rocprim17ROCPRIM_400000_NS6detail17trampoline_kernelINS0_14default_configENS1_27scan_by_key_config_selectorIitEEZZNS1_16scan_by_key_implILNS1_25lookback_scan_determinismE0ELb1ES3_N6thrust23THRUST_200600_302600_NS6detail15normal_iteratorINS9_10device_ptrIiEEEENSB_INSC_ItEEEESG_tNS9_4plusIvEENS9_8equal_toIvEEtEE10hipError_tPvRmT2_T3_T4_T5_mT6_T7_P12ihipStream_tbENKUlT_T0_E_clISt17integral_constantIbLb0EES10_IbLb1EEEEDaSW_SX_EUlSW_E_NS1_11comp_targetILNS1_3genE5ELNS1_11target_archE942ELNS1_3gpuE9ELNS1_3repE0EEENS1_30default_config_static_selectorELNS0_4arch9wavefront6targetE1EEEvT1_
	.p2align	8
	.type	_ZN7rocprim17ROCPRIM_400000_NS6detail17trampoline_kernelINS0_14default_configENS1_27scan_by_key_config_selectorIitEEZZNS1_16scan_by_key_implILNS1_25lookback_scan_determinismE0ELb1ES3_N6thrust23THRUST_200600_302600_NS6detail15normal_iteratorINS9_10device_ptrIiEEEENSB_INSC_ItEEEESG_tNS9_4plusIvEENS9_8equal_toIvEEtEE10hipError_tPvRmT2_T3_T4_T5_mT6_T7_P12ihipStream_tbENKUlT_T0_E_clISt17integral_constantIbLb0EES10_IbLb1EEEEDaSW_SX_EUlSW_E_NS1_11comp_targetILNS1_3genE5ELNS1_11target_archE942ELNS1_3gpuE9ELNS1_3repE0EEENS1_30default_config_static_selectorELNS0_4arch9wavefront6targetE1EEEvT1_,@function
_ZN7rocprim17ROCPRIM_400000_NS6detail17trampoline_kernelINS0_14default_configENS1_27scan_by_key_config_selectorIitEEZZNS1_16scan_by_key_implILNS1_25lookback_scan_determinismE0ELb1ES3_N6thrust23THRUST_200600_302600_NS6detail15normal_iteratorINS9_10device_ptrIiEEEENSB_INSC_ItEEEESG_tNS9_4plusIvEENS9_8equal_toIvEEtEE10hipError_tPvRmT2_T3_T4_T5_mT6_T7_P12ihipStream_tbENKUlT_T0_E_clISt17integral_constantIbLb0EES10_IbLb1EEEEDaSW_SX_EUlSW_E_NS1_11comp_targetILNS1_3genE5ELNS1_11target_archE942ELNS1_3gpuE9ELNS1_3repE0EEENS1_30default_config_static_selectorELNS0_4arch9wavefront6targetE1EEEvT1_: ; @_ZN7rocprim17ROCPRIM_400000_NS6detail17trampoline_kernelINS0_14default_configENS1_27scan_by_key_config_selectorIitEEZZNS1_16scan_by_key_implILNS1_25lookback_scan_determinismE0ELb1ES3_N6thrust23THRUST_200600_302600_NS6detail15normal_iteratorINS9_10device_ptrIiEEEENSB_INSC_ItEEEESG_tNS9_4plusIvEENS9_8equal_toIvEEtEE10hipError_tPvRmT2_T3_T4_T5_mT6_T7_P12ihipStream_tbENKUlT_T0_E_clISt17integral_constantIbLb0EES10_IbLb1EEEEDaSW_SX_EUlSW_E_NS1_11comp_targetILNS1_3genE5ELNS1_11target_archE942ELNS1_3gpuE9ELNS1_3repE0EEENS1_30default_config_static_selectorELNS0_4arch9wavefront6targetE1EEEvT1_
; %bb.0:
	.section	.rodata,"a",@progbits
	.p2align	6, 0x0
	.amdhsa_kernel _ZN7rocprim17ROCPRIM_400000_NS6detail17trampoline_kernelINS0_14default_configENS1_27scan_by_key_config_selectorIitEEZZNS1_16scan_by_key_implILNS1_25lookback_scan_determinismE0ELb1ES3_N6thrust23THRUST_200600_302600_NS6detail15normal_iteratorINS9_10device_ptrIiEEEENSB_INSC_ItEEEESG_tNS9_4plusIvEENS9_8equal_toIvEEtEE10hipError_tPvRmT2_T3_T4_T5_mT6_T7_P12ihipStream_tbENKUlT_T0_E_clISt17integral_constantIbLb0EES10_IbLb1EEEEDaSW_SX_EUlSW_E_NS1_11comp_targetILNS1_3genE5ELNS1_11target_archE942ELNS1_3gpuE9ELNS1_3repE0EEENS1_30default_config_static_selectorELNS0_4arch9wavefront6targetE1EEEvT1_
		.amdhsa_group_segment_fixed_size 0
		.amdhsa_private_segment_fixed_size 0
		.amdhsa_kernarg_size 112
		.amdhsa_user_sgpr_count 6
		.amdhsa_user_sgpr_private_segment_buffer 1
		.amdhsa_user_sgpr_dispatch_ptr 0
		.amdhsa_user_sgpr_queue_ptr 0
		.amdhsa_user_sgpr_kernarg_segment_ptr 1
		.amdhsa_user_sgpr_dispatch_id 0
		.amdhsa_user_sgpr_flat_scratch_init 0
		.amdhsa_user_sgpr_kernarg_preload_length 0
		.amdhsa_user_sgpr_kernarg_preload_offset 0
		.amdhsa_user_sgpr_private_segment_size 0
		.amdhsa_uses_dynamic_stack 0
		.amdhsa_system_sgpr_private_segment_wavefront_offset 0
		.amdhsa_system_sgpr_workgroup_id_x 1
		.amdhsa_system_sgpr_workgroup_id_y 0
		.amdhsa_system_sgpr_workgroup_id_z 0
		.amdhsa_system_sgpr_workgroup_info 0
		.amdhsa_system_vgpr_workitem_id 0
		.amdhsa_next_free_vgpr 1
		.amdhsa_next_free_sgpr 0
		.amdhsa_accum_offset 4
		.amdhsa_reserve_vcc 0
		.amdhsa_reserve_flat_scratch 0
		.amdhsa_float_round_mode_32 0
		.amdhsa_float_round_mode_16_64 0
		.amdhsa_float_denorm_mode_32 3
		.amdhsa_float_denorm_mode_16_64 3
		.amdhsa_dx10_clamp 1
		.amdhsa_ieee_mode 1
		.amdhsa_fp16_overflow 0
		.amdhsa_tg_split 0
		.amdhsa_exception_fp_ieee_invalid_op 0
		.amdhsa_exception_fp_denorm_src 0
		.amdhsa_exception_fp_ieee_div_zero 0
		.amdhsa_exception_fp_ieee_overflow 0
		.amdhsa_exception_fp_ieee_underflow 0
		.amdhsa_exception_fp_ieee_inexact 0
		.amdhsa_exception_int_div_zero 0
	.end_amdhsa_kernel
	.section	.text._ZN7rocprim17ROCPRIM_400000_NS6detail17trampoline_kernelINS0_14default_configENS1_27scan_by_key_config_selectorIitEEZZNS1_16scan_by_key_implILNS1_25lookback_scan_determinismE0ELb1ES3_N6thrust23THRUST_200600_302600_NS6detail15normal_iteratorINS9_10device_ptrIiEEEENSB_INSC_ItEEEESG_tNS9_4plusIvEENS9_8equal_toIvEEtEE10hipError_tPvRmT2_T3_T4_T5_mT6_T7_P12ihipStream_tbENKUlT_T0_E_clISt17integral_constantIbLb0EES10_IbLb1EEEEDaSW_SX_EUlSW_E_NS1_11comp_targetILNS1_3genE5ELNS1_11target_archE942ELNS1_3gpuE9ELNS1_3repE0EEENS1_30default_config_static_selectorELNS0_4arch9wavefront6targetE1EEEvT1_,"axG",@progbits,_ZN7rocprim17ROCPRIM_400000_NS6detail17trampoline_kernelINS0_14default_configENS1_27scan_by_key_config_selectorIitEEZZNS1_16scan_by_key_implILNS1_25lookback_scan_determinismE0ELb1ES3_N6thrust23THRUST_200600_302600_NS6detail15normal_iteratorINS9_10device_ptrIiEEEENSB_INSC_ItEEEESG_tNS9_4plusIvEENS9_8equal_toIvEEtEE10hipError_tPvRmT2_T3_T4_T5_mT6_T7_P12ihipStream_tbENKUlT_T0_E_clISt17integral_constantIbLb0EES10_IbLb1EEEEDaSW_SX_EUlSW_E_NS1_11comp_targetILNS1_3genE5ELNS1_11target_archE942ELNS1_3gpuE9ELNS1_3repE0EEENS1_30default_config_static_selectorELNS0_4arch9wavefront6targetE1EEEvT1_,comdat
.Lfunc_end1564:
	.size	_ZN7rocprim17ROCPRIM_400000_NS6detail17trampoline_kernelINS0_14default_configENS1_27scan_by_key_config_selectorIitEEZZNS1_16scan_by_key_implILNS1_25lookback_scan_determinismE0ELb1ES3_N6thrust23THRUST_200600_302600_NS6detail15normal_iteratorINS9_10device_ptrIiEEEENSB_INSC_ItEEEESG_tNS9_4plusIvEENS9_8equal_toIvEEtEE10hipError_tPvRmT2_T3_T4_T5_mT6_T7_P12ihipStream_tbENKUlT_T0_E_clISt17integral_constantIbLb0EES10_IbLb1EEEEDaSW_SX_EUlSW_E_NS1_11comp_targetILNS1_3genE5ELNS1_11target_archE942ELNS1_3gpuE9ELNS1_3repE0EEENS1_30default_config_static_selectorELNS0_4arch9wavefront6targetE1EEEvT1_, .Lfunc_end1564-_ZN7rocprim17ROCPRIM_400000_NS6detail17trampoline_kernelINS0_14default_configENS1_27scan_by_key_config_selectorIitEEZZNS1_16scan_by_key_implILNS1_25lookback_scan_determinismE0ELb1ES3_N6thrust23THRUST_200600_302600_NS6detail15normal_iteratorINS9_10device_ptrIiEEEENSB_INSC_ItEEEESG_tNS9_4plusIvEENS9_8equal_toIvEEtEE10hipError_tPvRmT2_T3_T4_T5_mT6_T7_P12ihipStream_tbENKUlT_T0_E_clISt17integral_constantIbLb0EES10_IbLb1EEEEDaSW_SX_EUlSW_E_NS1_11comp_targetILNS1_3genE5ELNS1_11target_archE942ELNS1_3gpuE9ELNS1_3repE0EEENS1_30default_config_static_selectorELNS0_4arch9wavefront6targetE1EEEvT1_
                                        ; -- End function
	.section	.AMDGPU.csdata,"",@progbits
; Kernel info:
; codeLenInByte = 0
; NumSgprs: 4
; NumVgprs: 0
; NumAgprs: 0
; TotalNumVgprs: 0
; ScratchSize: 0
; MemoryBound: 0
; FloatMode: 240
; IeeeMode: 1
; LDSByteSize: 0 bytes/workgroup (compile time only)
; SGPRBlocks: 0
; VGPRBlocks: 0
; NumSGPRsForWavesPerEU: 4
; NumVGPRsForWavesPerEU: 1
; AccumOffset: 4
; Occupancy: 8
; WaveLimiterHint : 0
; COMPUTE_PGM_RSRC2:SCRATCH_EN: 0
; COMPUTE_PGM_RSRC2:USER_SGPR: 6
; COMPUTE_PGM_RSRC2:TRAP_HANDLER: 0
; COMPUTE_PGM_RSRC2:TGID_X_EN: 1
; COMPUTE_PGM_RSRC2:TGID_Y_EN: 0
; COMPUTE_PGM_RSRC2:TGID_Z_EN: 0
; COMPUTE_PGM_RSRC2:TIDIG_COMP_CNT: 0
; COMPUTE_PGM_RSRC3_GFX90A:ACCUM_OFFSET: 0
; COMPUTE_PGM_RSRC3_GFX90A:TG_SPLIT: 0
	.section	.text._ZN7rocprim17ROCPRIM_400000_NS6detail17trampoline_kernelINS0_14default_configENS1_27scan_by_key_config_selectorIitEEZZNS1_16scan_by_key_implILNS1_25lookback_scan_determinismE0ELb1ES3_N6thrust23THRUST_200600_302600_NS6detail15normal_iteratorINS9_10device_ptrIiEEEENSB_INSC_ItEEEESG_tNS9_4plusIvEENS9_8equal_toIvEEtEE10hipError_tPvRmT2_T3_T4_T5_mT6_T7_P12ihipStream_tbENKUlT_T0_E_clISt17integral_constantIbLb0EES10_IbLb1EEEEDaSW_SX_EUlSW_E_NS1_11comp_targetILNS1_3genE4ELNS1_11target_archE910ELNS1_3gpuE8ELNS1_3repE0EEENS1_30default_config_static_selectorELNS0_4arch9wavefront6targetE1EEEvT1_,"axG",@progbits,_ZN7rocprim17ROCPRIM_400000_NS6detail17trampoline_kernelINS0_14default_configENS1_27scan_by_key_config_selectorIitEEZZNS1_16scan_by_key_implILNS1_25lookback_scan_determinismE0ELb1ES3_N6thrust23THRUST_200600_302600_NS6detail15normal_iteratorINS9_10device_ptrIiEEEENSB_INSC_ItEEEESG_tNS9_4plusIvEENS9_8equal_toIvEEtEE10hipError_tPvRmT2_T3_T4_T5_mT6_T7_P12ihipStream_tbENKUlT_T0_E_clISt17integral_constantIbLb0EES10_IbLb1EEEEDaSW_SX_EUlSW_E_NS1_11comp_targetILNS1_3genE4ELNS1_11target_archE910ELNS1_3gpuE8ELNS1_3repE0EEENS1_30default_config_static_selectorELNS0_4arch9wavefront6targetE1EEEvT1_,comdat
	.protected	_ZN7rocprim17ROCPRIM_400000_NS6detail17trampoline_kernelINS0_14default_configENS1_27scan_by_key_config_selectorIitEEZZNS1_16scan_by_key_implILNS1_25lookback_scan_determinismE0ELb1ES3_N6thrust23THRUST_200600_302600_NS6detail15normal_iteratorINS9_10device_ptrIiEEEENSB_INSC_ItEEEESG_tNS9_4plusIvEENS9_8equal_toIvEEtEE10hipError_tPvRmT2_T3_T4_T5_mT6_T7_P12ihipStream_tbENKUlT_T0_E_clISt17integral_constantIbLb0EES10_IbLb1EEEEDaSW_SX_EUlSW_E_NS1_11comp_targetILNS1_3genE4ELNS1_11target_archE910ELNS1_3gpuE8ELNS1_3repE0EEENS1_30default_config_static_selectorELNS0_4arch9wavefront6targetE1EEEvT1_ ; -- Begin function _ZN7rocprim17ROCPRIM_400000_NS6detail17trampoline_kernelINS0_14default_configENS1_27scan_by_key_config_selectorIitEEZZNS1_16scan_by_key_implILNS1_25lookback_scan_determinismE0ELb1ES3_N6thrust23THRUST_200600_302600_NS6detail15normal_iteratorINS9_10device_ptrIiEEEENSB_INSC_ItEEEESG_tNS9_4plusIvEENS9_8equal_toIvEEtEE10hipError_tPvRmT2_T3_T4_T5_mT6_T7_P12ihipStream_tbENKUlT_T0_E_clISt17integral_constantIbLb0EES10_IbLb1EEEEDaSW_SX_EUlSW_E_NS1_11comp_targetILNS1_3genE4ELNS1_11target_archE910ELNS1_3gpuE8ELNS1_3repE0EEENS1_30default_config_static_selectorELNS0_4arch9wavefront6targetE1EEEvT1_
	.globl	_ZN7rocprim17ROCPRIM_400000_NS6detail17trampoline_kernelINS0_14default_configENS1_27scan_by_key_config_selectorIitEEZZNS1_16scan_by_key_implILNS1_25lookback_scan_determinismE0ELb1ES3_N6thrust23THRUST_200600_302600_NS6detail15normal_iteratorINS9_10device_ptrIiEEEENSB_INSC_ItEEEESG_tNS9_4plusIvEENS9_8equal_toIvEEtEE10hipError_tPvRmT2_T3_T4_T5_mT6_T7_P12ihipStream_tbENKUlT_T0_E_clISt17integral_constantIbLb0EES10_IbLb1EEEEDaSW_SX_EUlSW_E_NS1_11comp_targetILNS1_3genE4ELNS1_11target_archE910ELNS1_3gpuE8ELNS1_3repE0EEENS1_30default_config_static_selectorELNS0_4arch9wavefront6targetE1EEEvT1_
	.p2align	8
	.type	_ZN7rocprim17ROCPRIM_400000_NS6detail17trampoline_kernelINS0_14default_configENS1_27scan_by_key_config_selectorIitEEZZNS1_16scan_by_key_implILNS1_25lookback_scan_determinismE0ELb1ES3_N6thrust23THRUST_200600_302600_NS6detail15normal_iteratorINS9_10device_ptrIiEEEENSB_INSC_ItEEEESG_tNS9_4plusIvEENS9_8equal_toIvEEtEE10hipError_tPvRmT2_T3_T4_T5_mT6_T7_P12ihipStream_tbENKUlT_T0_E_clISt17integral_constantIbLb0EES10_IbLb1EEEEDaSW_SX_EUlSW_E_NS1_11comp_targetILNS1_3genE4ELNS1_11target_archE910ELNS1_3gpuE8ELNS1_3repE0EEENS1_30default_config_static_selectorELNS0_4arch9wavefront6targetE1EEEvT1_,@function
_ZN7rocprim17ROCPRIM_400000_NS6detail17trampoline_kernelINS0_14default_configENS1_27scan_by_key_config_selectorIitEEZZNS1_16scan_by_key_implILNS1_25lookback_scan_determinismE0ELb1ES3_N6thrust23THRUST_200600_302600_NS6detail15normal_iteratorINS9_10device_ptrIiEEEENSB_INSC_ItEEEESG_tNS9_4plusIvEENS9_8equal_toIvEEtEE10hipError_tPvRmT2_T3_T4_T5_mT6_T7_P12ihipStream_tbENKUlT_T0_E_clISt17integral_constantIbLb0EES10_IbLb1EEEEDaSW_SX_EUlSW_E_NS1_11comp_targetILNS1_3genE4ELNS1_11target_archE910ELNS1_3gpuE8ELNS1_3repE0EEENS1_30default_config_static_selectorELNS0_4arch9wavefront6targetE1EEEvT1_: ; @_ZN7rocprim17ROCPRIM_400000_NS6detail17trampoline_kernelINS0_14default_configENS1_27scan_by_key_config_selectorIitEEZZNS1_16scan_by_key_implILNS1_25lookback_scan_determinismE0ELb1ES3_N6thrust23THRUST_200600_302600_NS6detail15normal_iteratorINS9_10device_ptrIiEEEENSB_INSC_ItEEEESG_tNS9_4plusIvEENS9_8equal_toIvEEtEE10hipError_tPvRmT2_T3_T4_T5_mT6_T7_P12ihipStream_tbENKUlT_T0_E_clISt17integral_constantIbLb0EES10_IbLb1EEEEDaSW_SX_EUlSW_E_NS1_11comp_targetILNS1_3genE4ELNS1_11target_archE910ELNS1_3gpuE8ELNS1_3repE0EEENS1_30default_config_static_selectorELNS0_4arch9wavefront6targetE1EEEvT1_
; %bb.0:
	s_load_dword s74, s[4:5], 0x20
	s_load_dwordx4 s[56:59], s[4:5], 0x28
	s_load_dwordx2 s[66:67], s[4:5], 0x38
	v_cmp_eq_u32_e64 s[0:1], 0, v0
	s_and_saveexec_b64 s[2:3], s[0:1]
	s_cbranch_execz .LBB1565_4
; %bb.1:
	s_mov_b64 s[8:9], exec
	v_mbcnt_lo_u32_b32 v1, s8, 0
	v_mbcnt_hi_u32_b32 v1, s9, v1
	v_cmp_eq_u32_e32 vcc, 0, v1
                                        ; implicit-def: $vgpr2
	s_and_saveexec_b64 s[6:7], vcc
	s_cbranch_execz .LBB1565_3
; %bb.2:
	s_load_dwordx2 s[10:11], s[4:5], 0x68
	s_bcnt1_i32_b64 s8, s[8:9]
	v_mov_b32_e32 v2, 0
	v_mov_b32_e32 v3, s8
	s_waitcnt lgkmcnt(0)
	global_atomic_add v2, v2, v3, s[10:11] glc
.LBB1565_3:
	s_or_b64 exec, exec, s[6:7]
	s_waitcnt vmcnt(0)
	v_readfirstlane_b32 s6, v2
	v_add_u32_e32 v1, s6, v1
	v_mov_b32_e32 v2, 0
	ds_write_b32 v2, v1
.LBB1565_4:
	s_or_b64 exec, exec, s[2:3]
	s_load_dwordx8 s[48:55], s[4:5], 0x0
	s_load_dword s2, s[4:5], 0x40
	s_load_dwordx4 s[60:63], s[4:5], 0x48
	v_mov_b32_e32 v3, 0
	s_waitcnt lgkmcnt(0)
	s_lshl_b64 s[4:5], s[50:51], 2
	; wave barrier
	ds_read_b32 v1, v3
	s_add_u32 s3, s48, s4
	s_addc_u32 s4, s49, s5
	s_lshl_b64 s[64:65], s[50:51], 1
	s_add_u32 s5, s52, s64
	s_mul_i32 s7, s67, s2
	s_mul_hi_u32 s8, s66, s2
	s_addc_u32 s6, s53, s65
	s_add_i32 s7, s8, s7
	s_movk_i32 s8, 0x600
	s_waitcnt lgkmcnt(0)
	v_mul_lo_u32 v2, v1, s8
	v_lshlrev_b64 v[4:5], 2, v[2:3]
	v_mov_b32_e32 v6, s4
	v_add_co_u32_e32 v52, vcc, s3, v4
	v_addc_co_u32_e32 v53, vcc, v6, v5, vcc
	v_lshlrev_b64 v[50:51], 1, v[2:3]
	v_mov_b32_e32 v2, s6
	v_add_co_u32_e32 v56, vcc, s5, v50
	s_mul_i32 s2, s66, s2
	v_addc_co_u32_e32 v57, vcc, v2, v51, vcc
	v_mov_b32_e32 v3, s7
	v_add_co_u32_e32 v2, vcc, s2, v1
	s_add_u32 s4, s60, -1
	v_addc_co_u32_e32 v3, vcc, 0, v3, vcc
	s_addc_u32 s5, s61, -1
	v_cmp_le_u64_e64 s[2:3], s[4:5], v[2:3]
	v_readfirstlane_b32 s59, v1
	s_mov_b64 s[20:21], -1
	s_and_b64 vcc, exec, s[2:3]
	s_mul_i32 s33, s4, 0xfffffa00
	s_waitcnt lgkmcnt(0)
	; wave barrier
	s_waitcnt lgkmcnt(0)
	s_waitcnt lgkmcnt(0)
	; wave barrier
	s_cbranch_vccz .LBB1565_130
; %bb.5:
	flat_load_dword v1, v[52:53]
	s_add_i32 s72, s33, s58
	v_cmp_gt_u32_e32 vcc, s72, v0
	s_waitcnt vmcnt(0) lgkmcnt(0)
	v_mov_b32_e32 v2, v1
	s_and_saveexec_b64 s[6:7], vcc
	s_cbranch_execz .LBB1565_7
; %bb.6:
	v_lshlrev_b32_e32 v2, 2, v0
	v_add_co_u32_e64 v2, s[4:5], v52, v2
	v_addc_co_u32_e64 v3, s[4:5], 0, v53, s[4:5]
	flat_load_dword v2, v[2:3]
.LBB1565_7:
	s_or_b64 exec, exec, s[6:7]
	v_or_b32_e32 v3, 64, v0
	v_cmp_gt_u32_e64 s[4:5], s72, v3
	v_mov_b32_e32 v3, v1
	s_and_saveexec_b64 s[8:9], s[4:5]
	s_cbranch_execz .LBB1565_9
; %bb.8:
	v_lshlrev_b32_e32 v3, 2, v0
	v_add_co_u32_e64 v4, s[6:7], v52, v3
	v_addc_co_u32_e64 v5, s[6:7], 0, v53, s[6:7]
	flat_load_dword v3, v[4:5] offset:256
.LBB1565_9:
	s_or_b64 exec, exec, s[8:9]
	v_or_b32_e32 v4, 0x80, v0
	v_cmp_gt_u32_e64 s[6:7], s72, v4
	v_mov_b32_e32 v4, v1
	s_and_saveexec_b64 s[10:11], s[6:7]
	s_cbranch_execz .LBB1565_11
; %bb.10:
	v_lshlrev_b32_e32 v4, 2, v0
	v_add_co_u32_e64 v4, s[8:9], v52, v4
	v_addc_co_u32_e64 v5, s[8:9], 0, v53, s[8:9]
	flat_load_dword v4, v[4:5] offset:512
.LBB1565_11:
	;; [unrolled: 12-line block ×15, first 2 shown]
	s_or_b64 exec, exec, s[38:39]
	v_or_b32_e32 v19, 0x400, v0
	v_cmp_gt_u32_e64 s[36:37], s72, v19
	v_mov_b32_e32 v18, v1
	s_and_saveexec_b64 s[40:41], s[36:37]
	s_cbranch_execz .LBB1565_39
; %bb.38:
	v_lshlrev_b32_e32 v18, 2, v19
	v_add_co_u32_e64 v18, s[38:39], v52, v18
	v_addc_co_u32_e64 v19, s[38:39], 0, v53, s[38:39]
	flat_load_dword v18, v[18:19]
.LBB1565_39:
	s_or_b64 exec, exec, s[40:41]
	v_or_b32_e32 v20, 0x440, v0
	v_cmp_gt_u32_e64 s[38:39], s72, v20
	v_mov_b32_e32 v19, v1
	s_and_saveexec_b64 s[42:43], s[38:39]
	s_cbranch_execz .LBB1565_41
; %bb.40:
	v_lshlrev_b32_e32 v19, 2, v20
	v_add_co_u32_e64 v20, s[40:41], v52, v19
	v_addc_co_u32_e64 v21, s[40:41], 0, v53, s[40:41]
	flat_load_dword v19, v[20:21]
.LBB1565_41:
	;; [unrolled: 12-line block ×7, first 2 shown]
	s_or_b64 exec, exec, s[52:53]
	v_or_b32_e32 v25, 0x5c0, v0
	v_cmp_gt_u32_e64 s[50:51], s72, v25
	s_and_saveexec_b64 s[60:61], s[50:51]
	s_cbranch_execz .LBB1565_53
; %bb.52:
	v_lshlrev_b32_e32 v1, 2, v25
	v_add_co_u32_e64 v26, s[52:53], v52, v1
	v_addc_co_u32_e64 v27, s[52:53], 0, v53, s[52:53]
	flat_load_dword v1, v[26:27]
.LBB1565_53:
	s_or_b64 exec, exec, s[60:61]
	v_lshlrev_b32_e32 v46, 2, v0
	s_waitcnt vmcnt(0) lgkmcnt(0)
	ds_write2st64_b32 v46, v2, v3 offset1:1
	ds_write2st64_b32 v46, v4, v5 offset0:2 offset1:3
	ds_write2st64_b32 v46, v6, v7 offset0:4 offset1:5
	;; [unrolled: 1-line block ×11, first 2 shown]
	s_waitcnt lgkmcnt(0)
	; wave barrier
	s_waitcnt lgkmcnt(0)
	flat_load_dword v58, v[52:53]
	s_movk_i32 s52, 0x5c
	v_mad_u32_u24 v1, v0, s52, v46
	s_movk_i32 s52, 0xffa4
	ds_read_b128 v[42:45], v1
	ds_read_b128 v[38:41], v1 offset:16
	ds_read_b128 v[34:37], v1 offset:32
	;; [unrolled: 1-line block ×5, first 2 shown]
	v_mad_i32_i24 v1, v0, s52, v1
	v_cmp_ne_u32_e64 s[52:53], 63, v0
	s_waitcnt lgkmcnt(0)
	ds_write_b32 v1, v42 offset:6400
	s_waitcnt lgkmcnt(0)
	; wave barrier
	s_waitcnt lgkmcnt(0)
	s_and_saveexec_b64 s[60:61], s[52:53]
	s_cbranch_execz .LBB1565_55
; %bb.54:
	s_waitcnt vmcnt(0)
	ds_read_b32 v58, v46 offset:6404
.LBB1565_55:
	s_or_b64 exec, exec, s[60:61]
	s_waitcnt lgkmcnt(0)
	; wave barrier
	s_waitcnt lgkmcnt(0)
                                        ; implicit-def: $vgpr2
	s_and_saveexec_b64 s[52:53], vcc
	s_cbranch_execz .LBB1565_197
; %bb.56:
	v_lshlrev_b32_e32 v2, 1, v0
	v_add_co_u32_e32 v2, vcc, v56, v2
	v_addc_co_u32_e32 v3, vcc, 0, v57, vcc
	flat_load_ushort v2, v[2:3]
	s_or_b64 exec, exec, s[52:53]
                                        ; implicit-def: $vgpr3
	s_and_saveexec_b64 s[52:53], s[4:5]
	s_cbranch_execnz .LBB1565_198
.LBB1565_57:
	s_or_b64 exec, exec, s[52:53]
                                        ; implicit-def: $vgpr4
	s_and_saveexec_b64 s[4:5], s[6:7]
	s_cbranch_execz .LBB1565_199
.LBB1565_58:
	v_lshlrev_b32_e32 v4, 1, v0
	v_add_co_u32_e32 v4, vcc, v56, v4
	v_addc_co_u32_e32 v5, vcc, 0, v57, vcc
	flat_load_ushort v4, v[4:5] offset:256
	s_or_b64 exec, exec, s[4:5]
                                        ; implicit-def: $vgpr5
	s_and_saveexec_b64 s[4:5], s[8:9]
	s_cbranch_execnz .LBB1565_200
.LBB1565_59:
	s_or_b64 exec, exec, s[4:5]
                                        ; implicit-def: $vgpr6
	s_and_saveexec_b64 s[4:5], s[10:11]
	s_cbranch_execz .LBB1565_201
.LBB1565_60:
	v_lshlrev_b32_e32 v6, 1, v0
	v_add_co_u32_e32 v6, vcc, v56, v6
	v_addc_co_u32_e32 v7, vcc, 0, v57, vcc
	flat_load_ushort v6, v[6:7] offset:512
	s_or_b64 exec, exec, s[4:5]
                                        ; implicit-def: $vgpr7
	s_and_saveexec_b64 s[4:5], s[12:13]
	s_cbranch_execnz .LBB1565_202
.LBB1565_61:
	s_or_b64 exec, exec, s[4:5]
                                        ; implicit-def: $vgpr8
	s_and_saveexec_b64 s[4:5], s[14:15]
	s_cbranch_execz .LBB1565_203
.LBB1565_62:
	v_lshlrev_b32_e32 v8, 1, v0
	v_add_co_u32_e32 v8, vcc, v56, v8
	v_addc_co_u32_e32 v9, vcc, 0, v57, vcc
	flat_load_ushort v8, v[8:9] offset:768
	s_or_b64 exec, exec, s[4:5]
                                        ; implicit-def: $vgpr9
	s_and_saveexec_b64 s[4:5], s[16:17]
	s_cbranch_execnz .LBB1565_204
.LBB1565_63:
	s_or_b64 exec, exec, s[4:5]
                                        ; implicit-def: $vgpr10
	s_and_saveexec_b64 s[4:5], s[18:19]
	s_cbranch_execz .LBB1565_205
.LBB1565_64:
	v_lshlrev_b32_e32 v10, 1, v0
	v_add_co_u32_e32 v10, vcc, v56, v10
	v_addc_co_u32_e32 v11, vcc, 0, v57, vcc
	flat_load_ushort v10, v[10:11] offset:1024
	s_or_b64 exec, exec, s[4:5]
                                        ; implicit-def: $vgpr11
	s_and_saveexec_b64 s[4:5], s[20:21]
	s_cbranch_execnz .LBB1565_206
.LBB1565_65:
	s_or_b64 exec, exec, s[4:5]
                                        ; implicit-def: $vgpr12
	s_and_saveexec_b64 s[4:5], s[22:23]
	s_cbranch_execz .LBB1565_207
.LBB1565_66:
	v_lshlrev_b32_e32 v12, 1, v0
	v_add_co_u32_e32 v12, vcc, v56, v12
	v_addc_co_u32_e32 v13, vcc, 0, v57, vcc
	flat_load_ushort v12, v[12:13] offset:1280
	s_or_b64 exec, exec, s[4:5]
                                        ; implicit-def: $vgpr13
	s_and_saveexec_b64 s[4:5], s[24:25]
	s_cbranch_execnz .LBB1565_208
.LBB1565_67:
	s_or_b64 exec, exec, s[4:5]
                                        ; implicit-def: $vgpr14
	s_and_saveexec_b64 s[4:5], s[26:27]
	s_cbranch_execz .LBB1565_209
.LBB1565_68:
	v_lshlrev_b32_e32 v14, 1, v0
	v_add_co_u32_e32 v14, vcc, v56, v14
	v_addc_co_u32_e32 v15, vcc, 0, v57, vcc
	flat_load_ushort v14, v[14:15] offset:1536
	s_or_b64 exec, exec, s[4:5]
                                        ; implicit-def: $vgpr15
	s_and_saveexec_b64 s[4:5], s[28:29]
	s_cbranch_execnz .LBB1565_210
.LBB1565_69:
	s_or_b64 exec, exec, s[4:5]
                                        ; implicit-def: $vgpr16
	s_and_saveexec_b64 s[4:5], s[30:31]
	s_cbranch_execz .LBB1565_211
.LBB1565_70:
	v_lshlrev_b32_e32 v16, 1, v0
	v_add_co_u32_e32 v16, vcc, v56, v16
	v_addc_co_u32_e32 v17, vcc, 0, v57, vcc
	flat_load_ushort v16, v[16:17] offset:1792
	s_or_b64 exec, exec, s[4:5]
                                        ; implicit-def: $vgpr17
	s_and_saveexec_b64 s[4:5], s[34:35]
	s_cbranch_execnz .LBB1565_212
.LBB1565_71:
	s_or_b64 exec, exec, s[4:5]
                                        ; implicit-def: $vgpr18
	s_and_saveexec_b64 s[4:5], s[36:37]
	s_cbranch_execz .LBB1565_213
.LBB1565_72:
	v_lshlrev_b32_e32 v18, 1, v0
	v_add_co_u32_e32 v18, vcc, v56, v18
	v_addc_co_u32_e32 v19, vcc, 0, v57, vcc
	flat_load_ushort v18, v[18:19] offset:2048
	s_or_b64 exec, exec, s[4:5]
                                        ; implicit-def: $vgpr19
	s_and_saveexec_b64 s[4:5], s[38:39]
	s_cbranch_execnz .LBB1565_214
.LBB1565_73:
	s_or_b64 exec, exec, s[4:5]
                                        ; implicit-def: $vgpr20
	s_and_saveexec_b64 s[4:5], s[40:41]
	s_cbranch_execz .LBB1565_215
.LBB1565_74:
	v_lshlrev_b32_e32 v20, 1, v0
	v_add_co_u32_e32 v20, vcc, v56, v20
	v_addc_co_u32_e32 v21, vcc, 0, v57, vcc
	flat_load_ushort v20, v[20:21] offset:2304
	s_or_b64 exec, exec, s[4:5]
                                        ; implicit-def: $vgpr21
	s_and_saveexec_b64 s[4:5], s[42:43]
	s_cbranch_execnz .LBB1565_216
.LBB1565_75:
	s_or_b64 exec, exec, s[4:5]
                                        ; implicit-def: $vgpr47
	s_and_saveexec_b64 s[4:5], s[44:45]
	s_cbranch_execz .LBB1565_217
.LBB1565_76:
	v_lshlrev_b32_e32 v46, 1, v0
	v_add_co_u32_e32 v46, vcc, v56, v46
	v_addc_co_u32_e32 v47, vcc, 0, v57, vcc
	flat_load_ushort v47, v[46:47] offset:2560
	s_or_b64 exec, exec, s[4:5]
                                        ; implicit-def: $vgpr48
	s_and_saveexec_b64 s[4:5], s[46:47]
	s_cbranch_execnz .LBB1565_218
.LBB1565_77:
	s_or_b64 exec, exec, s[4:5]
                                        ; implicit-def: $vgpr49
	s_and_saveexec_b64 s[4:5], s[48:49]
	s_cbranch_execz .LBB1565_79
.LBB1565_78:
	v_lshlrev_b32_e32 v46, 1, v0
	v_add_co_u32_e32 v54, vcc, v56, v46
	v_addc_co_u32_e32 v55, vcc, 0, v57, vcc
	flat_load_ushort v49, v[54:55] offset:2816
.LBB1565_79:
	s_or_b64 exec, exec, s[4:5]
	v_mul_u32_u24_e32 v60, 24, v0
                                        ; implicit-def: $vgpr54
	s_and_saveexec_b64 s[4:5], s[50:51]
	s_cbranch_execz .LBB1565_81
; %bb.80:
	v_lshlrev_b32_e32 v46, 1, v0
	v_add_co_u32_e32 v54, vcc, v56, v46
	v_addc_co_u32_e32 v55, vcc, 0, v57, vcc
	flat_load_ushort v54, v[54:55] offset:2944
.LBB1565_81:
	s_or_b64 exec, exec, s[4:5]
	v_lshlrev_b32_e32 v46, 1, v0
	s_mov_b32 s4, 0
	v_sub_u32_e32 v46, v1, v46
	s_mov_b32 s5, s4
	s_waitcnt vmcnt(0) lgkmcnt(0)
	ds_write_b16 v46, v2
	ds_write_b16 v46, v3 offset:128
	ds_write_b16 v46, v4 offset:256
	;; [unrolled: 1-line block ×23, first 2 shown]
	s_mov_b32 s6, s4
	s_mov_b32 s7, s4
	;; [unrolled: 1-line block ×6, first 2 shown]
	v_pk_mov_b32 v[2:3], s[4:5], s[4:5] op_sel:[0,1]
	s_mov_b32 s14, s4
	s_mov_b32 s15, s4
	v_pk_mov_b32 v[8:9], s[10:11], s[10:11] op_sel:[0,1]
	s_mov_b32 s12, s4
	s_mov_b32 s13, s4
	v_pk_mov_b32 v[20:21], s[14:15], s[14:15] op_sel:[0,1]
	v_pk_mov_b32 v[4:5], s[6:7], s[6:7] op_sel:[0,1]
	;; [unrolled: 1-line block ×4, first 2 shown]
	v_cmp_gt_u32_e32 vcc, s72, v60
	s_mov_b64 s[20:21], 0
	v_pk_mov_b32 v[18:19], s[12:13], s[12:13] op_sel:[0,1]
	v_mov_b32_e32 v1, 0
	s_mov_b64 s[10:11], 0
	v_pk_mov_b32 v[14:15], v[6:7], v[6:7] op_sel:[0,1]
	v_pk_mov_b32 v[12:13], v[4:5], v[4:5] op_sel:[0,1]
	;; [unrolled: 1-line block ×3, first 2 shown]
	v_mov_b32_e32 v54, 0
	v_mov_b32_e32 v55, 0
	s_waitcnt lgkmcnt(0)
	; wave barrier
	s_waitcnt lgkmcnt(0)
                                        ; implicit-def: $sgpr8_sgpr9
                                        ; implicit-def: $vgpr59
	s_and_saveexec_b64 s[6:7], vcc
	s_cbranch_execz .LBB1565_129
; %bb.82:
	v_mad_u32_u24 v1, v0, 46, v46
	ds_read_u16 v1, v1
	v_mov_b32_e32 v3, s74
	v_cmp_eq_u32_e32 vcc, v42, v43
	s_mov_b32 s8, 0
	v_or_b32_e32 v2, 1, v60
	s_waitcnt lgkmcnt(0)
	v_cndmask_b32_e32 v1, v3, v1, vcc
	v_cmp_ne_u32_e32 vcc, v42, v43
	v_and_b32_e32 v1, 0xffff, v1
	v_cndmask_b32_e64 v3, 0, 1, vcc
	s_mov_b32 s9, s8
	v_lshl_or_b32 v1, v3, 16, v1
	v_cmp_gt_u32_e32 vcc, s72, v2
	s_mov_b32 s10, s8
	s_mov_b32 s11, s8
	;; [unrolled: 1-line block ×6, first 2 shown]
	v_pk_mov_b32 v[2:3], s[8:9], s[8:9] op_sel:[0,1]
	s_mov_b32 s18, s8
	s_mov_b32 s19, s8
	v_pk_mov_b32 v[8:9], s[14:15], s[14:15] op_sel:[0,1]
	s_mov_b32 s16, s8
	s_mov_b32 s17, s8
	v_pk_mov_b32 v[20:21], s[18:19], s[18:19] op_sel:[0,1]
	v_pk_mov_b32 v[4:5], s[10:11], s[10:11] op_sel:[0,1]
	v_pk_mov_b32 v[6:7], s[12:13], s[12:13] op_sel:[0,1]
	v_pk_mov_b32 v[16:17], v[8:9], v[8:9] op_sel:[0,1]
	s_mov_b64 s[24:25], 0
	v_pk_mov_b32 v[18:19], s[16:17], s[16:17] op_sel:[0,1]
	v_mov_b32_e32 v54, 0
	v_pk_mov_b32 v[14:15], v[6:7], v[6:7] op_sel:[0,1]
	v_pk_mov_b32 v[12:13], v[4:5], v[4:5] op_sel:[0,1]
	;; [unrolled: 1-line block ×3, first 2 shown]
	v_mov_b32_e32 v55, 0
                                        ; implicit-def: $sgpr26_sgpr27
                                        ; implicit-def: $vgpr59
	s_and_saveexec_b64 s[22:23], vcc
	s_cbranch_execz .LBB1565_128
; %bb.83:
	v_mul_u32_u24_e32 v2, 46, v0
	v_add_u32_e32 v42, v46, v2
	ds_read_b128 v[46:49], v42 offset:2
	v_mov_b32_e32 v3, s74
	v_cmp_eq_u32_e32 vcc, v43, v44
	v_or_b32_e32 v2, 2, v60
	v_pk_mov_b32 v[20:21], s[18:19], s[18:19] op_sel:[0,1]
	s_waitcnt lgkmcnt(0)
	v_cndmask_b32_e32 v3, v3, v46, vcc
	v_cmp_ne_u32_e32 vcc, v43, v44
	v_and_b32_e32 v3, 0xffff, v3
	v_cndmask_b32_e64 v4, 0, 1, vcc
	v_lshl_or_b32 v54, v4, 16, v3
	v_cmp_gt_u32_e32 vcc, s72, v2
	v_pk_mov_b32 v[2:3], s[8:9], s[8:9] op_sel:[0,1]
	v_pk_mov_b32 v[8:9], s[14:15], s[14:15] op_sel:[0,1]
	;; [unrolled: 1-line block ×6, first 2 shown]
	v_mov_b32_e32 v55, 0
	v_pk_mov_b32 v[14:15], v[6:7], v[6:7] op_sel:[0,1]
	v_pk_mov_b32 v[12:13], v[4:5], v[4:5] op_sel:[0,1]
	;; [unrolled: 1-line block ×3, first 2 shown]
                                        ; implicit-def: $sgpr8_sgpr9
                                        ; implicit-def: $vgpr59
	s_and_saveexec_b64 s[16:17], vcc
	s_cbranch_execz .LBB1565_127
; %bb.84:
	v_lshrrev_b32_e32 v2, 16, v46
	v_mov_b32_e32 v4, s74
	v_cmp_eq_u32_e32 vcc, v44, v45
	v_cndmask_b32_e32 v2, v4, v2, vcc
	v_cmp_ne_u32_e32 vcc, v44, v45
	s_mov_b32 s8, 0
	v_or_b32_e32 v3, 3, v60
	v_and_b32_e32 v2, 0xffff, v2
	v_cndmask_b32_e64 v4, 0, 1, vcc
	s_mov_b32 s9, s8
	v_lshl_or_b32 v21, v4, 16, v2
	v_cmp_gt_u32_e32 vcc, s72, v3
	s_mov_b32 s10, s8
	s_mov_b32 s11, s8
	;; [unrolled: 1-line block ×6, first 2 shown]
	v_pk_mov_b32 v[2:3], s[8:9], s[8:9] op_sel:[0,1]
	v_pk_mov_b32 v[8:9], s[14:15], s[14:15] op_sel:[0,1]
	v_mov_b32_e32 v18, 0
	v_pk_mov_b32 v[4:5], s[10:11], s[10:11] op_sel:[0,1]
	v_pk_mov_b32 v[6:7], s[12:13], s[12:13] op_sel:[0,1]
	;; [unrolled: 1-line block ×3, first 2 shown]
	v_mov_b32_e32 v19, v18
	v_mov_b32_e32 v20, v18
	v_pk_mov_b32 v[14:15], v[6:7], v[6:7] op_sel:[0,1]
	v_pk_mov_b32 v[12:13], v[4:5], v[4:5] op_sel:[0,1]
	v_pk_mov_b32 v[10:11], v[2:3], v[2:3] op_sel:[0,1]
	v_mov_b32_e32 v55, v18
                                        ; implicit-def: $sgpr28_sgpr29
                                        ; implicit-def: $vgpr59
	s_and_saveexec_b64 s[18:19], vcc
	s_cbranch_execz .LBB1565_126
; %bb.85:
	v_mov_b32_e32 v3, s74
	v_cmp_eq_u32_e32 vcc, v45, v38
	v_cndmask_b32_e32 v3, v3, v47, vcc
	v_cmp_ne_u32_e32 vcc, v45, v38
	v_or_b32_e32 v2, 4, v60
	v_and_b32_e32 v3, 0xffff, v3
	v_cndmask_b32_e64 v4, 0, 1, vcc
	v_lshl_or_b32 v20, v4, 16, v3
	v_cmp_gt_u32_e32 vcc, s72, v2
	v_pk_mov_b32 v[2:3], s[8:9], s[8:9] op_sel:[0,1]
	v_pk_mov_b32 v[8:9], s[14:15], s[14:15] op_sel:[0,1]
	v_mov_b32_e32 v18, 0
	v_pk_mov_b32 v[4:5], s[10:11], s[10:11] op_sel:[0,1]
	v_pk_mov_b32 v[6:7], s[12:13], s[12:13] op_sel:[0,1]
	;; [unrolled: 1-line block ×3, first 2 shown]
	v_mov_b32_e32 v19, v18
	s_mov_b64 s[26:27], 0
	v_pk_mov_b32 v[14:15], v[6:7], v[6:7] op_sel:[0,1]
	v_pk_mov_b32 v[12:13], v[4:5], v[4:5] op_sel:[0,1]
	;; [unrolled: 1-line block ×3, first 2 shown]
	v_mov_b32_e32 v55, v18
                                        ; implicit-def: $sgpr8_sgpr9
                                        ; implicit-def: $vgpr59
	s_and_saveexec_b64 s[24:25], vcc
	s_cbranch_execz .LBB1565_125
; %bb.86:
	v_lshrrev_b32_e32 v2, 16, v47
	v_mov_b32_e32 v4, s74
	v_cmp_eq_u32_e32 vcc, v38, v39
	v_cndmask_b32_e32 v2, v4, v2, vcc
	v_cmp_ne_u32_e32 vcc, v38, v39
	s_mov_b32 s8, 0
	v_or_b32_e32 v3, 5, v60
	v_and_b32_e32 v2, 0xffff, v2
	v_cndmask_b32_e64 v4, 0, 1, vcc
	s_mov_b32 s9, s8
	v_lshl_or_b32 v19, v4, 16, v2
	v_cmp_gt_u32_e32 vcc, s72, v3
	s_mov_b32 s10, s8
	s_mov_b32 s11, s8
	;; [unrolled: 1-line block ×6, first 2 shown]
	v_pk_mov_b32 v[2:3], s[8:9], s[8:9] op_sel:[0,1]
	v_pk_mov_b32 v[8:9], s[14:15], s[14:15] op_sel:[0,1]
	;; [unrolled: 1-line block ×5, first 2 shown]
	v_mov_b32_e32 v18, s8
	s_mov_b64 s[28:29], 0
	v_mov_b32_e32 v55, 0
	v_pk_mov_b32 v[14:15], v[6:7], v[6:7] op_sel:[0,1]
	v_pk_mov_b32 v[12:13], v[4:5], v[4:5] op_sel:[0,1]
	v_pk_mov_b32 v[10:11], v[2:3], v[2:3] op_sel:[0,1]
                                        ; implicit-def: $sgpr34_sgpr35
                                        ; implicit-def: $vgpr59
	s_and_saveexec_b64 s[26:27], vcc
	s_cbranch_execz .LBB1565_124
; %bb.87:
	v_mov_b32_e32 v3, s74
	v_cmp_eq_u32_e32 vcc, v39, v40
	v_cndmask_b32_e32 v3, v3, v48, vcc
	v_cmp_ne_u32_e32 vcc, v39, v40
	v_or_b32_e32 v2, 6, v60
	v_and_b32_e32 v3, 0xffff, v3
	v_cndmask_b32_e64 v4, 0, 1, vcc
	v_lshl_or_b32 v18, v4, 16, v3
	v_cmp_gt_u32_e32 vcc, s72, v2
	v_pk_mov_b32 v[2:3], s[8:9], s[8:9] op_sel:[0,1]
	v_pk_mov_b32 v[8:9], s[14:15], s[14:15] op_sel:[0,1]
	;; [unrolled: 1-line block ×5, first 2 shown]
	s_mov_b64 s[30:31], 0
	v_mov_b32_e32 v55, 0
	v_pk_mov_b32 v[14:15], v[6:7], v[6:7] op_sel:[0,1]
	v_pk_mov_b32 v[12:13], v[4:5], v[4:5] op_sel:[0,1]
	;; [unrolled: 1-line block ×3, first 2 shown]
                                        ; implicit-def: $sgpr8_sgpr9
                                        ; implicit-def: $vgpr59
	s_and_saveexec_b64 s[28:29], vcc
	s_cbranch_execz .LBB1565_123
; %bb.88:
	v_lshrrev_b32_e32 v2, 16, v48
	v_mov_b32_e32 v4, s74
	v_cmp_eq_u32_e32 vcc, v40, v41
	v_cndmask_b32_e32 v2, v4, v2, vcc
	v_cmp_ne_u32_e32 vcc, v40, v41
	s_mov_b32 s8, 0
	v_or_b32_e32 v3, 7, v60
	v_and_b32_e32 v2, 0xffff, v2
	v_cndmask_b32_e64 v4, 0, 1, vcc
	s_mov_b32 s9, s8
	v_lshl_or_b32 v55, v4, 16, v2
	v_cmp_gt_u32_e32 vcc, s72, v3
	s_mov_b32 s10, s8
	s_mov_b32 s11, s8
	;; [unrolled: 1-line block ×6, first 2 shown]
	v_pk_mov_b32 v[2:3], s[8:9], s[8:9] op_sel:[0,1]
	v_pk_mov_b32 v[8:9], s[14:15], s[14:15] op_sel:[0,1]
	;; [unrolled: 1-line block ×5, first 2 shown]
	s_mov_b64 s[34:35], 0
	v_pk_mov_b32 v[14:15], v[6:7], v[6:7] op_sel:[0,1]
	v_pk_mov_b32 v[12:13], v[4:5], v[4:5] op_sel:[0,1]
	;; [unrolled: 1-line block ×3, first 2 shown]
                                        ; implicit-def: $sgpr38_sgpr39
                                        ; implicit-def: $vgpr59
	s_and_saveexec_b64 s[30:31], vcc
	s_cbranch_execz .LBB1565_122
; %bb.89:
	v_mov_b32_e32 v3, s74
	v_cmp_eq_u32_e32 vcc, v41, v34
	v_add_u32_e32 v2, 8, v60
	v_cndmask_b32_e32 v3, v3, v49, vcc
	v_cmp_ne_u32_e32 vcc, v41, v34
	v_and_b32_e32 v3, 0xffff, v3
	v_cndmask_b32_e64 v4, 0, 1, vcc
	v_cmp_gt_u32_e32 vcc, s72, v2
	v_mov_b32_e32 v2, 0
	v_pk_mov_b32 v[16:17], s[14:15], s[14:15] op_sel:[0,1]
	v_lshl_or_b32 v9, v4, 16, v3
	v_mov_b32_e32 v3, v2
	v_mov_b32_e32 v4, v2
	;; [unrolled: 1-line block ×6, first 2 shown]
	s_mov_b64 s[36:37], 0
	v_pk_mov_b32 v[14:15], s[12:13], s[12:13] op_sel:[0,1]
	v_pk_mov_b32 v[12:13], s[10:11], s[10:11] op_sel:[0,1]
	;; [unrolled: 1-line block ×3, first 2 shown]
                                        ; implicit-def: $sgpr8_sgpr9
                                        ; implicit-def: $vgpr59
	s_and_saveexec_b64 s[34:35], vcc
	s_cbranch_execz .LBB1565_121
; %bb.90:
	v_lshrrev_b32_e32 v3, 16, v49
	v_mov_b32_e32 v5, s74
	v_cmp_eq_u32_e32 vcc, v34, v35
	s_mov_b32 s8, 0
	v_cndmask_b32_e32 v3, v5, v3, vcc
	v_cmp_ne_u32_e32 vcc, v34, v35
	s_mov_b32 s14, s8
	s_mov_b32 s15, s8
	v_add_u32_e32 v4, 9, v60
	v_and_b32_e32 v3, 0xffff, v3
	v_cndmask_b32_e64 v5, 0, 1, vcc
	s_mov_b32 s9, s8
	s_mov_b32 s10, s8
	;; [unrolled: 1-line block ×5, first 2 shown]
	v_pk_mov_b32 v[16:17], s[14:15], s[14:15] op_sel:[0,1]
	v_lshl_or_b32 v8, v5, 16, v3
	v_cmp_gt_u32_e32 vcc, s72, v4
	v_mov_b32_e32 v3, v2
	v_mov_b32_e32 v4, v2
	;; [unrolled: 1-line block ×5, first 2 shown]
	s_mov_b64 s[38:39], 0
	v_pk_mov_b32 v[14:15], s[12:13], s[12:13] op_sel:[0,1]
	v_pk_mov_b32 v[12:13], s[10:11], s[10:11] op_sel:[0,1]
	;; [unrolled: 1-line block ×3, first 2 shown]
                                        ; implicit-def: $sgpr42_sgpr43
                                        ; implicit-def: $vgpr59
	s_and_saveexec_b64 s[36:37], vcc
	s_cbranch_execz .LBB1565_120
; %bb.91:
	ds_read_b128 v[38:41], v42 offset:18
	v_mov_b32_e32 v3, s74
	v_cmp_eq_u32_e32 vcc, v35, v36
	v_add_u32_e32 v2, 10, v60
	v_pk_mov_b32 v[16:17], s[14:15], s[14:15] op_sel:[0,1]
	s_waitcnt lgkmcnt(0)
	v_cndmask_b32_e32 v3, v3, v38, vcc
	v_cmp_ne_u32_e32 vcc, v35, v36
	v_and_b32_e32 v3, 0xffff, v3
	v_cndmask_b32_e64 v4, 0, 1, vcc
	v_cmp_gt_u32_e32 vcc, s72, v2
	v_mov_b32_e32 v2, 0
	v_lshl_or_b32 v7, v4, 16, v3
	v_mov_b32_e32 v3, v2
	v_mov_b32_e32 v4, v2
	;; [unrolled: 1-line block ×4, first 2 shown]
	s_mov_b64 s[40:41], 0
	v_pk_mov_b32 v[14:15], s[12:13], s[12:13] op_sel:[0,1]
	v_pk_mov_b32 v[12:13], s[10:11], s[10:11] op_sel:[0,1]
	;; [unrolled: 1-line block ×3, first 2 shown]
                                        ; implicit-def: $sgpr8_sgpr9
                                        ; implicit-def: $vgpr59
	s_and_saveexec_b64 s[38:39], vcc
	s_cbranch_execz .LBB1565_119
; %bb.92:
	v_lshrrev_b32_e32 v3, 16, v38
	v_mov_b32_e32 v5, s74
	v_cmp_eq_u32_e32 vcc, v36, v37
	s_mov_b32 s8, 0
	v_cndmask_b32_e32 v3, v5, v3, vcc
	v_cmp_ne_u32_e32 vcc, v36, v37
	s_mov_b32 s14, s8
	s_mov_b32 s15, s8
	v_add_u32_e32 v4, 11, v60
	v_and_b32_e32 v3, 0xffff, v3
	v_cndmask_b32_e64 v5, 0, 1, vcc
	s_mov_b32 s9, s8
	s_mov_b32 s10, s8
	;; [unrolled: 1-line block ×5, first 2 shown]
	v_pk_mov_b32 v[16:17], s[14:15], s[14:15] op_sel:[0,1]
	v_lshl_or_b32 v6, v5, 16, v3
	v_cmp_gt_u32_e32 vcc, s72, v4
	v_mov_b32_e32 v3, v2
	v_mov_b32_e32 v4, v2
	;; [unrolled: 1-line block ×3, first 2 shown]
	s_mov_b64 s[42:43], 0
	v_pk_mov_b32 v[14:15], s[12:13], s[12:13] op_sel:[0,1]
	v_pk_mov_b32 v[12:13], s[10:11], s[10:11] op_sel:[0,1]
	;; [unrolled: 1-line block ×3, first 2 shown]
                                        ; implicit-def: $sgpr46_sgpr47
                                        ; implicit-def: $vgpr59
	s_and_saveexec_b64 s[40:41], vcc
	s_cbranch_execz .LBB1565_118
; %bb.93:
	v_mov_b32_e32 v3, s74
	v_cmp_eq_u32_e32 vcc, v37, v30
	v_add_u32_e32 v2, 12, v60
	v_cndmask_b32_e32 v3, v3, v39, vcc
	v_cmp_ne_u32_e32 vcc, v37, v30
	v_and_b32_e32 v3, 0xffff, v3
	v_cndmask_b32_e64 v4, 0, 1, vcc
	v_cmp_gt_u32_e32 vcc, s72, v2
	v_mov_b32_e32 v2, 0
	v_pk_mov_b32 v[16:17], s[14:15], s[14:15] op_sel:[0,1]
	v_lshl_or_b32 v5, v4, 16, v3
	v_mov_b32_e32 v3, v2
	v_mov_b32_e32 v4, v2
	s_mov_b64 s[44:45], 0
	v_pk_mov_b32 v[14:15], s[12:13], s[12:13] op_sel:[0,1]
	v_pk_mov_b32 v[12:13], s[10:11], s[10:11] op_sel:[0,1]
	v_pk_mov_b32 v[10:11], s[8:9], s[8:9] op_sel:[0,1]
                                        ; implicit-def: $sgpr8_sgpr9
                                        ; implicit-def: $vgpr59
	s_and_saveexec_b64 s[42:43], vcc
	s_cbranch_execz .LBB1565_117
; %bb.94:
	v_lshrrev_b32_e32 v3, 16, v39
	v_mov_b32_e32 v4, s74
	v_cmp_eq_u32_e32 vcc, v30, v31
	s_mov_b32 s8, 0
	v_add_u32_e32 v10, 13, v60
	v_cndmask_b32_e32 v3, v4, v3, vcc
	v_cmp_ne_u32_e32 vcc, v30, v31
	s_mov_b32 s14, s8
	s_mov_b32 s15, s8
	v_and_b32_e32 v3, 0xffff, v3
	v_cndmask_b32_e64 v4, 0, 1, vcc
	v_cmp_gt_u32_e32 vcc, s72, v10
	s_mov_b32 s9, s8
	s_mov_b32 s10, s8
	;; [unrolled: 1-line block ×5, first 2 shown]
	v_pk_mov_b32 v[16:17], s[14:15], s[14:15] op_sel:[0,1]
	v_lshl_or_b32 v4, v4, 16, v3
	v_mov_b32_e32 v3, v2
	s_mov_b64 s[46:47], 0
	v_pk_mov_b32 v[14:15], s[12:13], s[12:13] op_sel:[0,1]
	v_pk_mov_b32 v[12:13], s[10:11], s[10:11] op_sel:[0,1]
	v_pk_mov_b32 v[10:11], s[8:9], s[8:9] op_sel:[0,1]
                                        ; implicit-def: $sgpr48_sgpr49
                                        ; implicit-def: $vgpr59
	s_and_saveexec_b64 s[44:45], vcc
	s_cbranch_execz .LBB1565_116
; %bb.95:
	v_mov_b32_e32 v3, s74
	v_cmp_eq_u32_e32 vcc, v31, v32
	v_cndmask_b32_e32 v3, v3, v40, vcc
	v_cmp_ne_u32_e32 vcc, v31, v32
	v_and_b32_e32 v3, 0xffff, v3
	v_cndmask_b32_e64 v10, 0, 1, vcc
	v_add_u32_e32 v2, 14, v60
	v_lshl_or_b32 v3, v10, 16, v3
	v_pk_mov_b32 v[16:17], s[14:15], s[14:15] op_sel:[0,1]
	v_cmp_gt_u32_e32 vcc, s72, v2
	v_mov_b32_e32 v2, s8
	v_pk_mov_b32 v[14:15], s[12:13], s[12:13] op_sel:[0,1]
	v_pk_mov_b32 v[12:13], s[10:11], s[10:11] op_sel:[0,1]
	;; [unrolled: 1-line block ×3, first 2 shown]
                                        ; implicit-def: $sgpr10_sgpr11
                                        ; implicit-def: $vgpr59
	s_and_saveexec_b64 s[8:9], vcc
	s_cbranch_execz .LBB1565_115
; %bb.96:
	v_lshrrev_b32_e32 v2, 16, v40
	v_mov_b32_e32 v11, s74
	v_cmp_eq_u32_e32 vcc, v32, v33
	v_cndmask_b32_e32 v2, v11, v2, vcc
	v_cmp_ne_u32_e32 vcc, v32, v33
	s_mov_b32 s76, 0
	v_add_u32_e32 v10, 15, v60
	v_and_b32_e32 v2, 0xffff, v2
	v_cndmask_b32_e64 v11, 0, 1, vcc
	s_mov_b32 s77, s76
	v_lshl_or_b32 v2, v11, 16, v2
	v_cmp_gt_u32_e32 vcc, s72, v10
	s_mov_b32 s78, s76
	s_mov_b32 s79, s76
	;; [unrolled: 1-line block ×6, first 2 shown]
	v_pk_mov_b32 v[10:11], s[76:77], s[76:77] op_sel:[0,1]
	s_mov_b64 s[12:13], 0
	v_pk_mov_b32 v[12:13], s[78:79], s[78:79] op_sel:[0,1]
	v_pk_mov_b32 v[14:15], s[80:81], s[80:81] op_sel:[0,1]
	;; [unrolled: 1-line block ×3, first 2 shown]
                                        ; implicit-def: $sgpr46_sgpr47
                                        ; implicit-def: $vgpr59
	s_and_saveexec_b64 s[10:11], vcc
	s_cbranch_execz .LBB1565_114
; %bb.97:
	v_mov_b32_e32 v10, s74
	v_cmp_eq_u32_e32 vcc, v33, v26
	v_cndmask_b32_e32 v10, v10, v41, vcc
	v_cmp_ne_u32_e32 vcc, v33, v26
	v_and_b32_e32 v10, 0xffff, v10
	v_cndmask_b32_e64 v12, 0, 1, vcc
	v_add_u32_e32 v11, 16, v60
	v_lshl_or_b32 v10, v12, 16, v10
	v_mov_b32_e32 v12, 0
	v_cmp_gt_u32_e32 vcc, s72, v11
	v_mov_b32_e32 v11, v12
	v_mov_b32_e32 v13, v12
	;; [unrolled: 1-line block ×6, first 2 shown]
	s_mov_b64 s[14:15], 0
                                        ; implicit-def: $sgpr48_sgpr49
                                        ; implicit-def: $vgpr59
	s_and_saveexec_b64 s[12:13], vcc
	s_cbranch_execz .LBB1565_113
; %bb.98:
	v_lshrrev_b32_e32 v11, 16, v41
	v_mov_b32_e32 v14, s74
	v_cmp_eq_u32_e32 vcc, v26, v27
	v_cndmask_b32_e32 v11, v14, v11, vcc
	v_cmp_ne_u32_e32 vcc, v26, v27
	v_add_u32_e32 v13, 17, v60
	v_and_b32_e32 v11, 0xffff, v11
	v_cndmask_b32_e64 v14, 0, 1, vcc
	v_lshl_or_b32 v11, v14, 16, v11
	v_cmp_gt_u32_e32 vcc, s72, v13
	v_mov_b32_e32 v13, v12
	v_mov_b32_e32 v14, v12
	;; [unrolled: 1-line block ×5, first 2 shown]
	s_mov_b64 s[46:47], 0
                                        ; implicit-def: $sgpr50_sgpr51
                                        ; implicit-def: $vgpr59
	s_and_saveexec_b64 s[14:15], vcc
	s_cbranch_execz .LBB1565_112
; %bb.99:
	ds_read_b96 v[30:32], v42 offset:34
	v_mov_b32_e32 v12, s74
	v_cmp_eq_u32_e32 vcc, v27, v28
	v_add_u32_e32 v13, 18, v60
	s_mov_b64 s[48:49], 0
	s_waitcnt lgkmcnt(0)
	v_cndmask_b32_e32 v12, v12, v30, vcc
	v_cmp_ne_u32_e32 vcc, v27, v28
	v_and_b32_e32 v12, 0xffff, v12
	v_cndmask_b32_e64 v14, 0, 1, vcc
	v_lshl_or_b32 v12, v14, 16, v12
	v_mov_b32_e32 v14, 0
	v_cmp_gt_u32_e32 vcc, s72, v13
	v_mov_b32_e32 v13, v14
	v_mov_b32_e32 v15, v14
	;; [unrolled: 1-line block ×4, first 2 shown]
                                        ; implicit-def: $sgpr52_sgpr53
                                        ; implicit-def: $vgpr59
	s_and_saveexec_b64 s[46:47], vcc
	s_cbranch_execz .LBB1565_111
; %bb.100:
	v_lshrrev_b32_e32 v13, 16, v30
	v_mov_b32_e32 v16, s74
	v_cmp_eq_u32_e32 vcc, v28, v29
	v_cndmask_b32_e32 v13, v16, v13, vcc
	v_cmp_ne_u32_e32 vcc, v28, v29
	v_add_u32_e32 v15, 19, v60
	v_and_b32_e32 v13, 0xffff, v13
	v_cndmask_b32_e64 v16, 0, 1, vcc
	v_lshl_or_b32 v13, v16, 16, v13
	v_cmp_gt_u32_e32 vcc, s72, v15
	v_mov_b32_e32 v15, v14
	v_mov_b32_e32 v16, v14
	;; [unrolled: 1-line block ×3, first 2 shown]
	s_mov_b64 s[50:51], 0
                                        ; implicit-def: $sgpr60_sgpr61
                                        ; implicit-def: $vgpr59
	s_and_saveexec_b64 s[48:49], vcc
	s_cbranch_execz .LBB1565_110
; %bb.101:
	v_mov_b32_e32 v14, s74
	v_cmp_eq_u32_e32 vcc, v29, v22
	v_cndmask_b32_e32 v14, v14, v31, vcc
	v_cmp_ne_u32_e32 vcc, v29, v22
	v_and_b32_e32 v14, 0xffff, v14
	v_cndmask_b32_e64 v16, 0, 1, vcc
	v_add_u32_e32 v15, 20, v60
	v_lshl_or_b32 v14, v16, 16, v14
	v_mov_b32_e32 v16, 0
	v_cmp_gt_u32_e32 vcc, s72, v15
	v_mov_b32_e32 v15, v16
	v_mov_b32_e32 v17, v16
	s_mov_b64 s[52:53], 0
                                        ; implicit-def: $sgpr68_sgpr69
                                        ; implicit-def: $vgpr59
	s_and_saveexec_b64 s[50:51], vcc
	s_cbranch_execz .LBB1565_109
; %bb.102:
	v_lshrrev_b32_e32 v15, 16, v31
	v_mov_b32_e32 v26, s74
	v_cmp_eq_u32_e32 vcc, v22, v23
	v_cndmask_b32_e32 v15, v26, v15, vcc
	v_cmp_ne_u32_e32 vcc, v22, v23
	v_add_u32_e32 v17, 21, v60
	v_and_b32_e32 v15, 0xffff, v15
	v_cndmask_b32_e64 v22, 0, 1, vcc
	v_lshl_or_b32 v15, v22, 16, v15
	v_cmp_gt_u32_e32 vcc, s72, v17
	s_mov_b32 s5, 0
	v_mov_b32_e32 v17, v16
	s_mov_b64 s[60:61], 0
                                        ; implicit-def: $sgpr70_sgpr71
                                        ; implicit-def: $vgpr59
	s_and_saveexec_b64 s[52:53], vcc
	s_cbranch_execz .LBB1565_108
; %bb.103:
	v_mov_b32_e32 v16, s74
	v_cmp_eq_u32_e32 vcc, v23, v24
	v_cndmask_b32_e32 v16, v16, v32, vcc
	v_cmp_ne_u32_e32 vcc, v23, v24
	v_add_u32_e32 v17, 22, v60
	v_and_b32_e32 v16, 0xffff, v16
	v_cndmask_b32_e64 v22, 0, 1, vcc
	v_lshl_or_b32 v16, v22, 16, v16
	v_cmp_gt_u32_e32 vcc, s72, v17
	v_mov_b32_e32 v17, s5
	s_mov_b64 s[68:69], 0
                                        ; implicit-def: $sgpr70_sgpr71
                                        ; implicit-def: $vgpr59
	s_and_saveexec_b64 s[60:61], vcc
	s_cbranch_execz .LBB1565_107
; %bb.104:
	v_lshrrev_b32_e32 v17, 16, v32
	v_mov_b32_e32 v23, s74
	v_cmp_eq_u32_e32 vcc, v24, v25
	v_cndmask_b32_e32 v17, v23, v17, vcc
	v_cmp_ne_u32_e32 vcc, v24, v25
	v_add_u32_e32 v22, 23, v60
	v_and_b32_e32 v17, 0xffff, v17
	v_cndmask_b32_e64 v23, 0, 1, vcc
	v_lshl_or_b32 v17, v23, 16, v17
	v_cmp_gt_u32_e32 vcc, s72, v22
                                        ; implicit-def: $sgpr70_sgpr71
                                        ; implicit-def: $vgpr59
	s_and_saveexec_b64 s[72:73], vcc
	s_xor_b64 s[72:73], exec, s[72:73]
	s_cbranch_execz .LBB1565_106
; %bb.105:
	ds_read_u16 v22, v42 offset:46
	v_mov_b32_e32 v23, s74
	v_cmp_ne_u32_e32 vcc, v25, v58
	s_mov_b64 s[68:69], exec
	s_and_b64 s[70:71], vcc, exec
	s_waitcnt lgkmcnt(0)
	v_cndmask_b32_e32 v59, v22, v23, vcc
.LBB1565_106:
	s_or_b64 exec, exec, s[72:73]
	s_and_b64 s[70:71], s[70:71], exec
	s_and_b64 s[68:69], s[68:69], exec
.LBB1565_107:
	s_or_b64 exec, exec, s[60:61]
	s_and_b64 s[70:71], s[70:71], exec
	s_and_b64 s[60:61], s[68:69], exec
.LBB1565_108:
	s_or_b64 exec, exec, s[52:53]
	s_and_b64 s[68:69], s[70:71], exec
	s_and_b64 s[52:53], s[60:61], exec
.LBB1565_109:
	s_or_b64 exec, exec, s[50:51]
	s_and_b64 s[60:61], s[68:69], exec
	s_and_b64 s[50:51], s[52:53], exec
.LBB1565_110:
	s_or_b64 exec, exec, s[48:49]
	s_and_b64 s[52:53], s[60:61], exec
	s_and_b64 s[48:49], s[50:51], exec
.LBB1565_111:
	s_or_b64 exec, exec, s[46:47]
	s_and_b64 s[50:51], s[52:53], exec
	s_and_b64 s[46:47], s[48:49], exec
.LBB1565_112:
	s_or_b64 exec, exec, s[14:15]
	s_and_b64 s[48:49], s[50:51], exec
	s_and_b64 s[14:15], s[46:47], exec
.LBB1565_113:
	s_or_b64 exec, exec, s[12:13]
	s_and_b64 s[46:47], s[48:49], exec
	s_and_b64 s[12:13], s[14:15], exec
.LBB1565_114:
	s_or_b64 exec, exec, s[10:11]
	s_and_b64 s[10:11], s[46:47], exec
	s_and_b64 s[46:47], s[12:13], exec
.LBB1565_115:
	s_or_b64 exec, exec, s[8:9]
	s_and_b64 s[48:49], s[10:11], exec
	s_and_b64 s[46:47], s[46:47], exec
.LBB1565_116:
	s_or_b64 exec, exec, s[44:45]
	s_and_b64 s[8:9], s[48:49], exec
	s_and_b64 s[44:45], s[46:47], exec
.LBB1565_117:
	s_or_b64 exec, exec, s[42:43]
	s_and_b64 s[46:47], s[8:9], exec
	s_and_b64 s[42:43], s[44:45], exec
.LBB1565_118:
	s_or_b64 exec, exec, s[40:41]
	s_and_b64 s[8:9], s[46:47], exec
	s_and_b64 s[40:41], s[42:43], exec
.LBB1565_119:
	s_or_b64 exec, exec, s[38:39]
	s_and_b64 s[42:43], s[8:9], exec
	s_and_b64 s[38:39], s[40:41], exec
.LBB1565_120:
	s_or_b64 exec, exec, s[36:37]
	s_and_b64 s[8:9], s[42:43], exec
	s_and_b64 s[36:37], s[38:39], exec
.LBB1565_121:
	s_or_b64 exec, exec, s[34:35]
	s_and_b64 s[38:39], s[8:9], exec
	s_and_b64 s[34:35], s[36:37], exec
.LBB1565_122:
	s_or_b64 exec, exec, s[30:31]
	s_and_b64 s[8:9], s[38:39], exec
	s_and_b64 s[30:31], s[34:35], exec
.LBB1565_123:
	s_or_b64 exec, exec, s[28:29]
	s_and_b64 s[34:35], s[8:9], exec
	s_and_b64 s[28:29], s[30:31], exec
.LBB1565_124:
	s_or_b64 exec, exec, s[26:27]
	s_and_b64 s[8:9], s[34:35], exec
	s_and_b64 s[26:27], s[28:29], exec
.LBB1565_125:
	s_or_b64 exec, exec, s[24:25]
	s_and_b64 s[28:29], s[8:9], exec
	s_and_b64 s[24:25], s[26:27], exec
.LBB1565_126:
	s_or_b64 exec, exec, s[18:19]
	s_and_b64 s[8:9], s[28:29], exec
	s_and_b64 s[24:25], s[24:25], exec
.LBB1565_127:
	s_or_b64 exec, exec, s[16:17]
	s_and_b64 s[26:27], s[8:9], exec
	s_and_b64 s[24:25], s[24:25], exec
.LBB1565_128:
	s_or_b64 exec, exec, s[22:23]
	s_and_b64 s[8:9], s[26:27], exec
	s_and_b64 s[10:11], s[24:25], exec
.LBB1565_129:
	s_or_b64 exec, exec, s[6:7]
	s_and_b64 vcc, exec, s[20:21]
	s_cbranch_vccnz .LBB1565_131
	s_branch .LBB1565_136
.LBB1565_130:
	s_mov_b64 s[10:11], 0
                                        ; implicit-def: $sgpr8_sgpr9
                                        ; implicit-def: $vgpr18_vgpr19_vgpr20_vgpr21
                                        ; implicit-def: $vgpr2_vgpr3_vgpr4_vgpr5_vgpr6_vgpr7_vgpr8_vgpr9
                                        ; implicit-def: $vgpr10_vgpr11_vgpr12_vgpr13_vgpr14_vgpr15_vgpr16_vgpr17
                                        ; implicit-def: $vgpr59
                                        ; implicit-def: $vgpr1
                                        ; implicit-def: $vgpr54
                                        ; implicit-def: $vgpr55
                                        ; implicit-def: $sgpr4
	s_and_b64 vcc, exec, s[20:21]
	s_cbranch_vccz .LBB1565_136
.LBB1565_131:
	v_lshlrev_b32_e32 v1, 2, v0
	v_add_co_u32_e32 v2, vcc, v52, v1
	v_addc_co_u32_e32 v3, vcc, 0, v53, vcc
	s_movk_i32 s4, 0x1000
	flat_load_dword v4, v[2:3]
	flat_load_dword v5, v[2:3] offset:256
	flat_load_dword v6, v[2:3] offset:512
	;; [unrolled: 1-line block ×15, first 2 shown]
	v_add_co_u32_e32 v2, vcc, s4, v2
	v_addc_co_u32_e32 v3, vcc, 0, v3, vcc
	flat_load_dword v20, v[2:3]
	flat_load_dword v21, v[2:3] offset:256
	flat_load_dword v22, v[2:3] offset:512
	;; [unrolled: 1-line block ×7, first 2 shown]
	v_add_co_u32_e32 v2, vcc, 0x1000, v52
	v_addc_co_u32_e32 v3, vcc, 0, v53, vcc
	s_movk_i32 s4, 0x5c
	v_cmp_ne_u32_e32 vcc, 63, v0
	s_waitcnt vmcnt(0) lgkmcnt(0)
	ds_write2st64_b32 v1, v4, v5 offset1:1
	ds_write2st64_b32 v1, v6, v7 offset0:2 offset1:3
	ds_write2st64_b32 v1, v8, v9 offset0:4 offset1:5
	;; [unrolled: 1-line block ×11, first 2 shown]
	s_waitcnt lgkmcnt(0)
	; wave barrier
	s_waitcnt lgkmcnt(0)
	flat_load_dword v40, v[2:3] offset:2048
	v_mad_u32_u24 v6, v0, s4, v1
	s_movk_i32 s4, 0xffa4
	ds_read2_b32 v[22:23], v6 offset0:6 offset1:23
	ds_read_b64 v[18:19], v6
	ds_read2_b64 v[2:5], v6 offset0:1 offset1:2
	ds_read2_b32 v[32:33], v6 offset0:13 offset1:14
	ds_read2_b32 v[34:35], v6 offset0:11 offset1:12
	;; [unrolled: 1-line block ×8, first 2 shown]
	v_mad_i32_i24 v6, v0, s4, v6
	s_waitcnt lgkmcnt(0)
	ds_write_b32 v6, v18 offset:6400
	s_waitcnt lgkmcnt(0)
	; wave barrier
	s_waitcnt lgkmcnt(0)
	s_and_saveexec_b64 s[4:5], vcc
	s_cbranch_execz .LBB1565_133
; %bb.132:
	s_waitcnt vmcnt(0)
	ds_read_b32 v40, v1 offset:6404
.LBB1565_133:
	s_or_b64 exec, exec, s[4:5]
	v_lshlrev_b32_e32 v1, 1, v0
	v_add_co_u32_e32 v8, vcc, v56, v1
	v_addc_co_u32_e32 v9, vcc, 0, v57, vcc
	s_waitcnt lgkmcnt(0)
	; wave barrier
	s_waitcnt lgkmcnt(0)
	flat_load_ushort v7, v[8:9]
	flat_load_ushort v10, v[8:9] offset:128
	flat_load_ushort v11, v[8:9] offset:256
	;; [unrolled: 1-line block ×23, first 2 shown]
	v_sub_u32_e32 v1, v6, v1
	v_mad_u32_u24 v56, v0, 46, v1
	v_cmp_eq_u32_e32 vcc, v18, v19
	v_mov_b32_e32 v18, s74
	s_waitcnt vmcnt(0) lgkmcnt(0)
	ds_write_b16 v1, v7
	ds_write_b16 v1, v10 offset:128
	ds_write_b16 v1, v11 offset:256
	;; [unrolled: 1-line block ×23, first 2 shown]
	s_waitcnt lgkmcnt(0)
	; wave barrier
	s_waitcnt lgkmcnt(0)
	ds_read_b96 v[14:16], v56 offset:2
	ds_read_b128 v[6:9], v56 offset:14
	ds_read_b128 v[10:13], v56 offset:30
	ds_read_u16 v41, v56 offset:46
	v_mov_b32_e32 v17, 0x10000
	s_and_saveexec_b64 s[4:5], vcc
	s_cbranch_execz .LBB1565_135
; %bb.134:
	v_mul_u32_u24_e32 v17, 46, v0
	v_add_u32_e32 v1, v1, v17
	ds_read_u16 v18, v1
	v_mov_b32_e32 v17, 0
.LBB1565_135:
	s_or_b64 exec, exec, s[4:5]
	v_mov_b32_e32 v47, s74
	v_cmp_eq_u32_e32 vcc, v19, v2
	s_waitcnt lgkmcnt(3)
	v_lshrrev_b32_e32 v21, 16, v14
	v_cndmask_b32_e32 v14, v47, v14, vcc
	v_cmp_ne_u32_e32 vcc, v19, v2
	s_waitcnt lgkmcnt(0)
	v_or_b32_sdwa v1, v17, v18 dst_sel:DWORD dst_unused:UNUSED_PAD src0_sel:DWORD src1_sel:WORD_0
	v_and_b32_e32 v14, 0xffff, v14
	v_cndmask_b32_e64 v17, 0, 1, vcc
	v_cmp_eq_u32_e32 vcc, v2, v3
	v_lshrrev_b32_e32 v20, 16, v15
	v_lshl_or_b32 v54, v17, 16, v14
	v_cndmask_b32_e32 v14, v47, v21, vcc
	v_cmp_eq_u32_e32 vcc, v4, v5
	v_cndmask_b32_e32 v17, v47, v20, vcc
	v_cmp_eq_u32_e32 vcc, v3, v4
	;; [unrolled: 2-line block ×3, first 2 shown]
	v_lshrrev_b32_e32 v42, 16, v16
	v_cndmask_b32_e32 v16, v47, v16, vcc
	v_cmp_ne_u32_e32 vcc, v3, v4
	v_and_b32_e32 v15, 0xffff, v15
	v_cndmask_b32_e64 v18, 0, 1, vcc
	v_cmp_ne_u32_e32 vcc, v5, v22
	v_lshl_or_b32 v20, v18, 16, v15
	v_cndmask_b32_e64 v15, 0, 1, vcc
	v_cmp_ne_u32_e32 vcc, v2, v3
	v_and_b32_e32 v14, 0xffff, v14
	v_cndmask_b32_e64 v2, 0, 1, vcc
	v_cmp_ne_u32_e32 vcc, v4, v5
	v_and_b32_e32 v17, 0xffff, v17
	v_lshl_or_b32 v21, v2, 16, v14
	v_cndmask_b32_e64 v2, 0, 1, vcc
	v_cmp_eq_u32_e32 vcc, v22, v38
	v_lshl_or_b32 v19, v2, 16, v17
	v_cndmask_b32_e32 v2, v47, v42, vcc
	v_cmp_ne_u32_e32 vcc, v22, v38
	v_lshrrev_b32_e32 v46, 16, v6
	v_and_b32_e32 v2, 0xffff, v2
	v_cndmask_b32_e64 v3, 0, 1, vcc
	v_cmp_eq_u32_e32 vcc, v39, v36
	v_lshrrev_b32_e32 v45, 16, v7
	v_lshl_or_b32 v55, v3, 16, v2
	v_cndmask_b32_e32 v2, v47, v46, vcc
	v_cmp_eq_u32_e32 vcc, v37, v34
	v_lshrrev_b32_e32 v44, 16, v8
	v_cndmask_b32_e32 v3, v47, v45, vcc
	v_cmp_eq_u32_e32 vcc, v35, v32
	v_lshrrev_b32_e32 v43, 16, v9
	v_cndmask_b32_e32 v4, v47, v44, vcc
	v_cmp_eq_u32_e32 vcc, v33, v26
	v_cndmask_b32_e32 v5, v47, v43, vcc
	v_cmp_eq_u32_e32 vcc, v38, v39
	;; [unrolled: 2-line block ×5, first 2 shown]
	v_cndmask_b32_e32 v9, v47, v9, vcc
	v_cmp_ne_u32_e32 vcc, v38, v39
	v_and_b32_e32 v16, 0xffff, v16
	v_and_b32_e32 v14, 0xffff, v5
	v_and_b32_e32 v5, 0xffff, v8
	v_and_b32_e32 v6, 0xffff, v6
	v_cndmask_b32_e64 v8, 0, 1, vcc
	v_cmp_ne_u32_e32 vcc, v36, v37
	v_lshl_or_b32 v18, v15, 16, v16
	v_and_b32_e32 v15, 0xffff, v3
	v_and_b32_e32 v3, 0xffff, v9
	;; [unrolled: 1-line block ×3, first 2 shown]
	v_lshl_or_b32 v9, v8, 16, v6
	v_cndmask_b32_e64 v6, 0, 1, vcc
	v_cmp_ne_u32_e32 vcc, v34, v35
	v_lshl_or_b32 v7, v6, 16, v7
	v_cndmask_b32_e64 v6, 0, 1, vcc
	v_cmp_ne_u32_e32 vcc, v32, v33
	;; [unrolled: 3-line block ×3, first 2 shown]
	v_and_b32_e32 v2, 0xffff, v2
	v_lshl_or_b32 v3, v6, 16, v3
	v_cndmask_b32_e64 v6, 0, 1, vcc
	v_cmp_ne_u32_e32 vcc, v37, v34
	v_lshl_or_b32 v8, v6, 16, v2
	v_cndmask_b32_e64 v2, 0, 1, vcc
	v_cmp_ne_u32_e32 vcc, v35, v32
	v_and_b32_e32 v4, 0xffff, v4
	v_lshl_or_b32 v6, v2, 16, v15
	v_cndmask_b32_e64 v2, 0, 1, vcc
	v_cmp_ne_u32_e32 vcc, v33, v26
	v_lshl_or_b32 v4, v2, 16, v4
	v_cndmask_b32_e64 v2, 0, 1, vcc
	v_lshl_or_b32 v2, v2, 16, v14
	v_lshrrev_b32_e32 v14, 16, v13
	v_cmp_eq_u32_e32 vcc, v31, v23
	v_cndmask_b32_e32 v14, v47, v14, vcc
	v_lshrrev_b32_e32 v15, 16, v12
	v_cmp_eq_u32_e32 vcc, v29, v30
	v_cndmask_b32_e32 v15, v47, v15, vcc
	v_lshrrev_b32_e32 v16, 16, v11
	v_cmp_eq_u32_e32 vcc, v25, v28
	v_cndmask_b32_e32 v16, v47, v16, vcc
	v_lshrrev_b32_e32 v17, 16, v10
	v_cmp_eq_u32_e32 vcc, v27, v24
	v_cndmask_b32_e32 v17, v47, v17, vcc
	v_cmp_eq_u32_e32 vcc, v30, v31
	v_cndmask_b32_e32 v13, v47, v13, vcc
	v_cmp_eq_u32_e32 vcc, v28, v29
	v_cndmask_b32_e32 v12, v47, v12, vcc
	;; [unrolled: 2-line block ×4, first 2 shown]
	v_cmp_ne_u32_e32 vcc, v30, v31
	v_and_b32_e32 v22, 0xffff, v17
	v_and_b32_e32 v17, 0xffff, v14
	;; [unrolled: 1-line block ×3, first 2 shown]
	v_cndmask_b32_e64 v14, 0, 1, vcc
	v_cmp_ne_u32_e32 vcc, v28, v29
	v_and_b32_e32 v32, 0xffff, v16
	v_and_b32_e32 v12, 0xffff, v12
	v_lshl_or_b32 v16, v14, 16, v13
	v_cndmask_b32_e64 v13, 0, 1, vcc
	v_cmp_ne_u32_e32 vcc, v24, v25
	v_and_b32_e32 v11, 0xffff, v11
	v_lshl_or_b32 v14, v13, 16, v12
	v_cndmask_b32_e64 v12, 0, 1, vcc
	v_cmp_ne_u32_e32 vcc, v26, v27
	;; [unrolled: 4-line block ×3, first 2 shown]
	v_lshl_or_b32 v10, v11, 16, v10
	v_cndmask_b32_e64 v11, 0, 1, vcc
	v_cmp_ne_u32_e32 vcc, v29, v30
	v_and_b32_e32 v15, 0xffff, v15
	v_lshl_or_b32 v17, v11, 16, v17
	v_cndmask_b32_e64 v11, 0, 1, vcc
	v_cmp_ne_u32_e32 vcc, v25, v28
	v_lshl_or_b32 v15, v11, 16, v15
	v_cndmask_b32_e64 v11, 0, 1, vcc
	v_cmp_ne_u32_e32 vcc, v27, v24
	v_lshl_or_b32 v13, v11, 16, v32
	v_cndmask_b32_e64 v11, 0, 1, vcc
	v_cmp_ne_u32_e64 s[8:9], v23, v40
	v_lshl_or_b32 v11, v11, 16, v22
	v_cndmask_b32_e64 v59, v41, v47, s[8:9]
	s_mov_b64 s[10:11], -1
                                        ; implicit-def: $sgpr4
.LBB1565_136:
	v_mov_b32_e32 v32, s4
	s_and_saveexec_b64 s[4:5], s[10:11]
; %bb.137:
	v_mov_b32_e32 v22, 0x10000
	v_cndmask_b32_e64 v22, 0, v22, s[8:9]
	v_or_b32_sdwa v32, v22, v59 dst_sel:DWORD dst_unused:UNUSED_PAD src0_sel:DWORD src1_sel:WORD_0
; %bb.138:
	s_or_b64 exec, exec, s[4:5]
	s_cmp_lg_u32 s59, 0
	v_mbcnt_lo_u32_b32 v33, -1, 0
	s_waitcnt lgkmcnt(0)
	; wave barrier
	s_waitcnt lgkmcnt(0)
	s_cbranch_scc0 .LBB1565_219
; %bb.139:
	s_mov_b32 s50, 0x10000
	v_cmp_gt_u32_e64 s[4:5], s50, v54
	v_cndmask_b32_e64 v22, 0, v1, s[4:5]
	v_add_u16_e32 v22, v22, v54
	v_cmp_gt_u32_e64 s[6:7], s50, v21
	v_cndmask_b32_e64 v22, 0, v22, s[6:7]
	v_add_u16_e32 v22, v22, v21
	;; [unrolled: 3-line block ×16, first 2 shown]
	v_cmp_gt_u32_e64 s[38:39], s50, v12
	v_cndmask_b32_e64 v22, 0, v22, s[38:39]
	v_or3_b32 v24, v32, v17, v16
	v_add_u16_e32 v22, v22, v12
	v_cmp_gt_u32_e64 s[40:41], s50, v13
	v_or3_b32 v24, v24, v15, v14
	v_cndmask_b32_e64 v22, 0, v22, s[40:41]
	v_or3_b32 v24, v24, v13, v12
	v_add_u16_e32 v22, v22, v13
	v_cmp_gt_u32_e64 s[42:43], s50, v14
	v_or3_b32 v24, v24, v11, v10
	;; [unrolled: 5-line block ×5, first 2 shown]
	v_cndmask_b32_e64 v22, 0, v22, s[48:49]
	v_or3_b32 v24, v24, v21, v54
	v_add_u16_e32 v22, v22, v17
	v_cmp_gt_u32_e32 vcc, s50, v32
	v_and_b32_e32 v24, 0x10000, v24
	v_and_b32_e32 v23, 0x10000, v1
	v_cndmask_b32_e32 v25, 0, v22, vcc
	v_mov_b32_e32 v26, 0x10000
	v_cmp_ne_u32_e32 vcc, 0, v24
	v_add_u16_e32 v22, v25, v32
	v_cndmask_b32_e32 v24, v23, v26, vcc
	v_add_u16_e32 v26, v25, v32
	v_mbcnt_hi_u32_b32 v25, -1, v33
	v_and_b32_e32 v27, 15, v25
	v_or_b32_e32 v26, v24, v26
	v_lshrrev_b32_e32 v23, 16, v24
	v_cmp_ne_u32_e32 vcc, 0, v27
	v_mov_b32_dpp v28, v26 row_shr:1 row_mask:0xf bank_mask:0xf
	s_and_saveexec_b64 s[50:51], vcc
	s_cbranch_execz .LBB1565_141
; %bb.140:
	v_cmp_eq_u32_e32 vcc, 0, v24
	v_and_b32_e32 v23, 0x10000, v24
	v_mov_b32_e32 v24, 1
	v_cndmask_b32_e32 v26, 0, v28, vcc
	v_and_b32_sdwa v24, v28, v24 dst_sel:DWORD dst_unused:UNUSED_PAD src0_sel:WORD_1 src1_sel:DWORD
	v_cmp_ne_u32_e32 vcc, 0, v23
	v_cndmask_b32_e64 v23, v24, 1, vcc
	v_add_u16_e32 v29, v26, v22
	v_lshlrev_b32_e32 v24, 16, v23
	v_add_u16_e32 v22, v26, v22
	v_or_b32_e32 v26, v24, v22
	v_mov_b32_e32 v22, v29
.LBB1565_141:
	s_or_b64 exec, exec, s[50:51]
	v_lshrrev_b32_e32 v24, 16, v26
	v_mov_b32_dpp v28, v26 row_shr:2 row_mask:0xf bank_mask:0xf
	v_cmp_lt_u32_e32 vcc, 1, v27
	s_and_saveexec_b64 s[50:51], vcc
	s_cbranch_execz .LBB1565_143
; %bb.142:
	s_mov_b32 s52, 0x10000
	v_cmp_gt_u32_e32 vcc, s52, v26
	v_and_b32_e32 v23, 0x10000, v26
	v_mov_b32_e32 v26, 1
	v_cndmask_b32_e32 v24, 0, v28, vcc
	v_and_b32_sdwa v26, v28, v26 dst_sel:DWORD dst_unused:UNUSED_PAD src0_sel:WORD_1 src1_sel:DWORD
	v_cmp_ne_u32_e32 vcc, 0, v23
	v_cndmask_b32_e64 v23, v26, 1, vcc
	v_add_u16_e32 v29, v24, v22
	v_lshlrev_b32_e32 v26, 16, v23
	v_add_u16_e32 v22, v24, v22
	v_or_b32_e32 v26, v26, v22
	v_mov_b32_e32 v22, v29
	v_mov_b32_e32 v24, v23
.LBB1565_143:
	s_or_b64 exec, exec, s[50:51]
	v_mov_b32_dpp v28, v26 row_shr:4 row_mask:0xf bank_mask:0xf
	v_cmp_lt_u32_e32 vcc, 3, v27
	s_and_saveexec_b64 s[50:51], vcc
	s_cbranch_execz .LBB1565_145
; %bb.144:
	v_cmp_eq_u16_e32 vcc, 0, v24
	v_and_b32_e32 v23, 1, v24
	v_mov_b32_e32 v24, 1
	v_cndmask_b32_e32 v26, 0, v28, vcc
	v_and_b32_sdwa v24, v28, v24 dst_sel:DWORD dst_unused:UNUSED_PAD src0_sel:WORD_1 src1_sel:DWORD
	v_cmp_eq_u32_e32 vcc, 1, v23
	v_cndmask_b32_e64 v23, v24, 1, vcc
	v_add_u16_e32 v29, v26, v22
	v_lshlrev_b32_e32 v24, 16, v23
	v_add_u16_e32 v22, v26, v22
	v_or_b32_e32 v26, v24, v22
	v_mov_b32_e32 v22, v29
	v_mov_b32_e32 v24, v23
.LBB1565_145:
	s_or_b64 exec, exec, s[50:51]
	v_mov_b32_dpp v28, v26 row_shr:8 row_mask:0xf bank_mask:0xf
	v_cmp_lt_u32_e32 vcc, 7, v27
	s_and_saveexec_b64 s[50:51], vcc
	s_cbranch_execz .LBB1565_147
; %bb.146:
	v_cmp_eq_u16_e32 vcc, 0, v24
	v_and_b32_e32 v23, 1, v24
	v_mov_b32_e32 v24, 1
	v_cndmask_b32_e32 v26, 0, v28, vcc
	v_and_b32_sdwa v24, v28, v24 dst_sel:DWORD dst_unused:UNUSED_PAD src0_sel:WORD_1 src1_sel:DWORD
	v_cmp_eq_u32_e32 vcc, 1, v23
	v_cndmask_b32_e64 v23, v24, 1, vcc
	v_add_u16_e32 v27, v26, v22
	v_lshlrev_b32_e32 v24, 16, v23
	v_add_u16_e32 v22, v26, v22
	v_or_b32_e32 v26, v24, v22
	v_mov_b32_e32 v22, v27
	v_mov_b32_e32 v24, v23
.LBB1565_147:
	s_or_b64 exec, exec, s[50:51]
	v_and_b32_e32 v28, 16, v25
	v_mov_b32_dpp v27, v26 row_bcast:15 row_mask:0xf bank_mask:0xf
	v_cmp_ne_u32_e32 vcc, 0, v28
	s_and_saveexec_b64 s[50:51], vcc
	s_cbranch_execz .LBB1565_149
; %bb.148:
	v_cmp_eq_u16_e32 vcc, 0, v24
	v_and_b32_e32 v23, 1, v24
	v_mov_b32_e32 v24, 1
	v_cndmask_b32_e32 v26, 0, v27, vcc
	v_and_b32_sdwa v24, v27, v24 dst_sel:DWORD dst_unused:UNUSED_PAD src0_sel:WORD_1 src1_sel:DWORD
	v_cmp_eq_u32_e32 vcc, 1, v23
	v_cndmask_b32_e64 v23, v24, 1, vcc
	v_add_u16_e32 v28, v26, v22
	v_lshlrev_b32_e32 v24, 16, v23
	v_add_u16_e32 v22, v26, v22
	v_or_b32_e32 v26, v24, v22
	v_mov_b32_e32 v22, v28
	v_mov_b32_e32 v24, v23
.LBB1565_149:
	s_or_b64 exec, exec, s[50:51]
	v_mov_b32_dpp v26, v26 row_bcast:31 row_mask:0xf bank_mask:0xf
	v_cmp_lt_u32_e32 vcc, 31, v25
	s_and_saveexec_b64 s[50:51], vcc
; %bb.150:
	v_cmp_eq_u16_e32 vcc, 0, v24
	v_cndmask_b32_e32 v23, 0, v26, vcc
	v_add_u16_e32 v22, v23, v22
	v_and_b32_e32 v23, 1, v24
	v_mov_b32_e32 v24, 1
	v_and_b32_sdwa v24, v26, v24 dst_sel:DWORD dst_unused:UNUSED_PAD src0_sel:WORD_1 src1_sel:DWORD
	v_cmp_eq_u32_e32 vcc, 1, v23
	v_cndmask_b32_e64 v23, v24, 1, vcc
	v_mov_b32_e32 v24, v23
; %bb.151:
	s_or_b64 exec, exec, s[50:51]
	v_cmp_eq_u32_e32 vcc, 63, v0
	s_and_saveexec_b64 s[50:51], vcc
	s_cbranch_execz .LBB1565_153
; %bb.152:
	v_mov_b32_e32 v26, 0
	ds_write_b16 v26, v22
	ds_write_b8 v26, v24 offset:2
.LBB1565_153:
	s_or_b64 exec, exec, s[50:51]
	v_lshlrev_b32_e32 v23, 16, v23
	v_or_b32_sdwa v22, v23, v22 dst_sel:DWORD dst_unused:UNUSED_PAD src0_sel:DWORD src1_sel:WORD_0
	v_add_u32_e32 v23, -1, v25
	v_and_b32_e32 v24, 64, v25
	v_cmp_lt_i32_e32 vcc, v23, v24
	v_cndmask_b32_e32 v23, v23, v25, vcc
	v_lshlrev_b32_e32 v23, 2, v23
	ds_bpermute_b32 v34, v23, v22
	v_cmp_gt_u32_e32 vcc, 64, v0
	s_waitcnt lgkmcnt(0)
	; wave barrier
	s_waitcnt lgkmcnt(0)
	s_and_saveexec_b64 s[52:53], vcc
	s_cbranch_execz .LBB1565_196
; %bb.154:
	v_mov_b32_e32 v29, 0
	ds_read_b32 v22, v29
	s_mov_b32 s69, 0
	v_cmp_eq_u32_e64 s[50:51], 0, v25
	s_and_saveexec_b64 s[60:61], s[50:51]
	s_cbranch_execz .LBB1565_156
; %bb.155:
	s_add_i32 s68, s59, 64
	s_lshl_b64 s[68:69], s[68:69], 3
	s_add_u32 s68, s56, s68
	v_mov_b32_e32 v23, 1
	s_addc_u32 s69, s57, s69
	s_waitcnt lgkmcnt(0)
	global_store_dwordx2 v29, v[22:23], s[68:69]
.LBB1565_156:
	s_or_b64 exec, exec, s[60:61]
	v_xad_u32 v24, v25, -1, s59
	v_add_u32_e32 v28, 64, v24
	v_lshlrev_b64 v[26:27], 3, v[28:29]
	v_mov_b32_e32 v23, s57
	v_add_co_u32_e32 v30, vcc, s56, v26
	v_addc_co_u32_e32 v31, vcc, v23, v27, vcc
	global_load_dwordx2 v[26:27], v[30:31], off glc
	s_waitcnt vmcnt(0)
	v_cmp_eq_u16_sdwa s[68:69], v27, v29 src0_sel:BYTE_0 src1_sel:DWORD
	s_and_saveexec_b64 s[60:61], s[68:69]
	s_cbranch_execz .LBB1565_160
; %bb.157:
	s_mov_b64 s[68:69], 0
	v_mov_b32_e32 v23, 0
.LBB1565_158:                           ; =>This Inner Loop Header: Depth=1
	global_load_dwordx2 v[26:27], v[30:31], off glc
	s_waitcnt vmcnt(0)
	v_cmp_ne_u16_sdwa s[70:71], v27, v23 src0_sel:BYTE_0 src1_sel:DWORD
	s_or_b64 s[68:69], s[70:71], s[68:69]
	s_andn2_b64 exec, exec, s[68:69]
	s_cbranch_execnz .LBB1565_158
; %bb.159:
	s_or_b64 exec, exec, s[68:69]
.LBB1565_160:
	s_or_b64 exec, exec, s[60:61]
	v_mov_b32_e32 v23, 2
	v_cmp_eq_u16_sdwa s[60:61], v27, v23 src0_sel:BYTE_0 src1_sel:DWORD
	v_lshlrev_b64 v[28:29], v25, -1
	v_and_b32_e32 v23, s61, v29
	v_or_b32_e32 v23, 0x80000000, v23
	v_ffbl_b32_e32 v23, v23
	v_add_u32_e32 v31, 32, v23
	v_and_b32_e32 v23, 63, v25
	v_cmp_ne_u32_e32 vcc, 63, v23
	v_addc_co_u32_e32 v35, vcc, 0, v25, vcc
	v_and_b32_e32 v46, 0xffffff, v26
	v_lshlrev_b32_e32 v35, 2, v35
	ds_bpermute_b32 v36, v35, v46
	v_and_b32_e32 v30, s60, v28
	v_ffbl_b32_e32 v30, v30
	v_min_u32_e32 v31, v30, v31
	v_lshrrev_b32_e32 v30, 16, v26
	v_cmp_lt_u32_e32 vcc, v23, v31
	v_bfe_u32 v44, v26, 16, 8
	s_and_saveexec_b64 s[60:61], vcc
	s_cbranch_execz .LBB1565_162
; %bb.161:
	v_and_b32_e32 v30, 0xff0000, v26
	v_cmp_eq_u32_e32 vcc, 0, v30
	v_and_b32_e32 v30, 0x10000, v30
	v_mov_b32_e32 v39, 1
	s_waitcnt lgkmcnt(0)
	v_cndmask_b32_e32 v37, 0, v36, vcc
	v_and_b32_sdwa v36, v36, v39 dst_sel:DWORD dst_unused:UNUSED_PAD src0_sel:WORD_1 src1_sel:DWORD
	v_cmp_ne_u32_e32 vcc, 0, v30
	v_cndmask_b32_e64 v30, v36, 1, vcc
	v_add_u16_e32 v38, v37, v26
	v_lshlrev_b32_e32 v36, 16, v30
	v_add_u16_e32 v26, v37, v26
	v_or_b32_e32 v46, v36, v26
	v_mov_b32_e32 v26, v38
	v_mov_b32_e32 v44, v30
.LBB1565_162:
	s_or_b64 exec, exec, s[60:61]
	v_cmp_gt_u32_e32 vcc, 62, v23
	s_waitcnt lgkmcnt(0)
	v_cndmask_b32_e64 v36, 0, 1, vcc
	v_lshlrev_b32_e32 v36, 1, v36
	v_add_lshl_u32 v36, v36, v25, 2
	ds_bpermute_b32 v38, v36, v46
	v_add_u32_e32 v37, 2, v23
	v_cmp_le_u32_e32 vcc, v37, v31
	s_and_saveexec_b64 s[60:61], vcc
	s_cbranch_execz .LBB1565_164
; %bb.163:
	v_cmp_eq_u16_e32 vcc, 0, v44
	v_and_b32_e32 v30, 1, v44
	v_mov_b32_e32 v41, 1
	s_waitcnt lgkmcnt(0)
	v_cndmask_b32_e32 v39, 0, v38, vcc
	v_and_b32_sdwa v38, v38, v41 dst_sel:DWORD dst_unused:UNUSED_PAD src0_sel:WORD_1 src1_sel:DWORD
	v_cmp_eq_u32_e32 vcc, 1, v30
	v_cndmask_b32_e64 v30, v38, 1, vcc
	v_add_u16_e32 v40, v39, v26
	v_lshlrev_b32_e32 v38, 16, v30
	v_add_u16_e32 v26, v39, v26
	v_or_b32_e32 v46, v38, v26
	v_mov_b32_e32 v26, v40
	v_mov_b32_e32 v44, v30
.LBB1565_164:
	s_or_b64 exec, exec, s[60:61]
	v_cmp_gt_u32_e32 vcc, 60, v23
	s_waitcnt lgkmcnt(0)
	v_cndmask_b32_e64 v38, 0, 1, vcc
	v_lshlrev_b32_e32 v38, 2, v38
	v_add_lshl_u32 v38, v38, v25, 2
	ds_bpermute_b32 v40, v38, v46
	v_add_u32_e32 v39, 4, v23
	v_cmp_le_u32_e32 vcc, v39, v31
	s_and_saveexec_b64 s[60:61], vcc
	s_cbranch_execz .LBB1565_166
; %bb.165:
	v_cmp_eq_u16_e32 vcc, 0, v44
	v_and_b32_e32 v30, 1, v44
	v_mov_b32_e32 v43, 1
	s_waitcnt lgkmcnt(0)
	v_cndmask_b32_e32 v41, 0, v40, vcc
	v_and_b32_sdwa v40, v40, v43 dst_sel:DWORD dst_unused:UNUSED_PAD src0_sel:WORD_1 src1_sel:DWORD
	v_cmp_eq_u32_e32 vcc, 1, v30
	v_cndmask_b32_e64 v30, v40, 1, vcc
	v_add_u16_e32 v42, v41, v26
	v_lshlrev_b32_e32 v40, 16, v30
	v_add_u16_e32 v26, v41, v26
	v_or_b32_e32 v46, v40, v26
	v_mov_b32_e32 v26, v42
	v_mov_b32_e32 v44, v30
.LBB1565_166:
	;; [unrolled: 27-line block ×4, first 2 shown]
	s_or_b64 exec, exec, s[60:61]
	v_cmp_gt_u32_e32 vcc, 32, v23
	s_waitcnt lgkmcnt(0)
	v_cndmask_b32_e64 v45, 0, 1, vcc
	v_lshlrev_b32_e32 v45, 5, v45
	v_add_lshl_u32 v45, v45, v25, 2
	ds_bpermute_b32 v25, v45, v46
	v_add_u32_e32 v46, 32, v23
	v_cmp_le_u32_e32 vcc, v46, v31
	s_and_saveexec_b64 s[60:61], vcc
	s_cbranch_execz .LBB1565_172
; %bb.171:
	v_cmp_eq_u16_e32 vcc, 0, v44
	s_waitcnt lgkmcnt(0)
	v_cndmask_b32_e32 v30, 0, v25, vcc
	v_add_u16_e32 v26, v30, v26
	v_and_b32_e32 v30, 1, v44
	v_mov_b32_e32 v31, 1
	v_and_b32_sdwa v25, v25, v31 dst_sel:DWORD dst_unused:UNUSED_PAD src0_sel:WORD_1 src1_sel:DWORD
	v_cmp_eq_u32_e32 vcc, 1, v30
	v_cndmask_b32_e64 v30, v25, 1, vcc
.LBB1565_172:
	s_or_b64 exec, exec, s[60:61]
	s_waitcnt lgkmcnt(0)
	v_mov_b32_e32 v25, 0
	v_mov_b32_e32 v48, 2
	;; [unrolled: 1-line block ×3, first 2 shown]
	s_branch .LBB1565_174
.LBB1565_173:                           ;   in Loop: Header=BB1565_174 Depth=1
	s_or_b64 exec, exec, s[60:61]
	v_cmp_eq_u16_sdwa vcc, v44, v25 src0_sel:BYTE_0 src1_sel:DWORD
	v_and_b32_e32 v30, 1, v44
	v_cndmask_b32_e32 v26, 0, v26, vcc
	v_and_b32_e32 v31, 1, v31
	v_cmp_eq_u32_e32 vcc, 1, v30
	v_subrev_u32_e32 v24, 64, v24
	v_add_u16_e32 v26, v26, v47
	v_cndmask_b32_e64 v30, v31, 1, vcc
.LBB1565_174:                           ; =>This Loop Header: Depth=1
                                        ;     Child Loop BB1565_177 Depth 2
	v_cmp_ne_u16_sdwa s[60:61], v27, v48 src0_sel:BYTE_0 src1_sel:DWORD
	v_cndmask_b32_e64 v27, 0, 1, s[60:61]
	;;#ASMSTART
	;;#ASMEND
	v_cmp_ne_u32_e32 vcc, 0, v27
	v_mov_b32_e32 v44, v30
	s_cmp_lg_u64 vcc, exec
	v_mov_b32_e32 v47, v26
	s_cbranch_scc1 .LBB1565_191
; %bb.175:                              ;   in Loop: Header=BB1565_174 Depth=1
	v_lshlrev_b64 v[26:27], 3, v[24:25]
	v_mov_b32_e32 v31, s57
	v_add_co_u32_e32 v30, vcc, s56, v26
	v_addc_co_u32_e32 v31, vcc, v31, v27, vcc
	global_load_dwordx2 v[26:27], v[30:31], off glc
	s_waitcnt vmcnt(0)
	v_cmp_eq_u16_sdwa s[68:69], v27, v25 src0_sel:BYTE_0 src1_sel:DWORD
	s_and_saveexec_b64 s[60:61], s[68:69]
	s_cbranch_execz .LBB1565_179
; %bb.176:                              ;   in Loop: Header=BB1565_174 Depth=1
	s_mov_b64 s[68:69], 0
.LBB1565_177:                           ;   Parent Loop BB1565_174 Depth=1
                                        ; =>  This Inner Loop Header: Depth=2
	global_load_dwordx2 v[26:27], v[30:31], off glc
	s_waitcnt vmcnt(0)
	v_cmp_ne_u16_sdwa s[70:71], v27, v25 src0_sel:BYTE_0 src1_sel:DWORD
	s_or_b64 s[68:69], s[70:71], s[68:69]
	s_andn2_b64 exec, exec, s[68:69]
	s_cbranch_execnz .LBB1565_177
; %bb.178:                              ;   in Loop: Header=BB1565_174 Depth=1
	s_or_b64 exec, exec, s[68:69]
.LBB1565_179:                           ;   in Loop: Header=BB1565_174 Depth=1
	s_or_b64 exec, exec, s[60:61]
	v_cmp_eq_u16_sdwa s[60:61], v27, v48 src0_sel:BYTE_0 src1_sel:DWORD
	v_and_b32_e32 v30, s61, v29
	s_waitcnt lgkmcnt(0)
	v_and_b32_e32 v53, 0xffffff, v26
	v_or_b32_e32 v30, 0x80000000, v30
	ds_bpermute_b32 v56, v35, v53
	v_and_b32_e32 v31, s60, v28
	v_ffbl_b32_e32 v30, v30
	v_add_u32_e32 v30, 32, v30
	v_ffbl_b32_e32 v31, v31
	v_min_u32_e32 v30, v31, v30
	v_lshrrev_b32_e32 v31, 16, v26
	v_cmp_lt_u32_e32 vcc, v23, v30
	v_bfe_u32 v52, v26, 16, 8
	s_and_saveexec_b64 s[60:61], vcc
	s_cbranch_execz .LBB1565_181
; %bb.180:                              ;   in Loop: Header=BB1565_174 Depth=1
	v_and_b32_e32 v31, 0xff0000, v26
	v_cmp_eq_u32_e32 vcc, 0, v31
	v_and_b32_e32 v31, 0x10000, v31
	s_waitcnt lgkmcnt(0)
	v_cndmask_b32_e32 v52, 0, v56, vcc
	v_and_b32_sdwa v53, v56, v49 dst_sel:DWORD dst_unused:UNUSED_PAD src0_sel:WORD_1 src1_sel:DWORD
	v_cmp_ne_u32_e32 vcc, 0, v31
	v_cndmask_b32_e64 v31, v53, 1, vcc
	v_add_u16_e32 v57, v52, v26
	v_lshlrev_b32_e32 v53, 16, v31
	v_add_u16_e32 v26, v52, v26
	v_or_b32_e32 v53, v53, v26
	v_mov_b32_e32 v26, v57
	v_mov_b32_e32 v52, v31
.LBB1565_181:                           ;   in Loop: Header=BB1565_174 Depth=1
	s_or_b64 exec, exec, s[60:61]
	s_waitcnt lgkmcnt(0)
	ds_bpermute_b32 v56, v36, v53
	v_cmp_le_u32_e32 vcc, v37, v30
	s_and_saveexec_b64 s[60:61], vcc
	s_cbranch_execz .LBB1565_183
; %bb.182:                              ;   in Loop: Header=BB1565_174 Depth=1
	v_cmp_eq_u16_e32 vcc, 0, v52
	v_and_b32_e32 v31, 1, v52
	s_waitcnt lgkmcnt(0)
	v_cndmask_b32_e32 v53, 0, v56, vcc
	v_and_b32_sdwa v52, v56, v49 dst_sel:DWORD dst_unused:UNUSED_PAD src0_sel:WORD_1 src1_sel:DWORD
	v_cmp_eq_u32_e32 vcc, 1, v31
	v_cndmask_b32_e64 v31, v52, 1, vcc
	v_add_u16_e32 v57, v53, v26
	v_lshlrev_b32_e32 v52, 16, v31
	v_add_u16_e32 v26, v53, v26
	v_or_b32_e32 v53, v52, v26
	v_mov_b32_e32 v26, v57
	v_mov_b32_e32 v52, v31
.LBB1565_183:                           ;   in Loop: Header=BB1565_174 Depth=1
	s_or_b64 exec, exec, s[60:61]
	s_waitcnt lgkmcnt(0)
	ds_bpermute_b32 v56, v38, v53
	v_cmp_le_u32_e32 vcc, v39, v30
	s_and_saveexec_b64 s[60:61], vcc
	s_cbranch_execz .LBB1565_185
; %bb.184:                              ;   in Loop: Header=BB1565_174 Depth=1
	v_cmp_eq_u16_e32 vcc, 0, v52
	v_and_b32_e32 v31, 1, v52
	s_waitcnt lgkmcnt(0)
	v_cndmask_b32_e32 v53, 0, v56, vcc
	v_and_b32_sdwa v52, v56, v49 dst_sel:DWORD dst_unused:UNUSED_PAD src0_sel:WORD_1 src1_sel:DWORD
	v_cmp_eq_u32_e32 vcc, 1, v31
	v_cndmask_b32_e64 v31, v52, 1, vcc
	v_add_u16_e32 v57, v53, v26
	v_lshlrev_b32_e32 v52, 16, v31
	v_add_u16_e32 v26, v53, v26
	v_or_b32_e32 v53, v52, v26
	v_mov_b32_e32 v26, v57
	v_mov_b32_e32 v52, v31
.LBB1565_185:                           ;   in Loop: Header=BB1565_174 Depth=1
	;; [unrolled: 21-line block ×4, first 2 shown]
	s_or_b64 exec, exec, s[60:61]
	ds_bpermute_b32 v53, v45, v53
	v_cmp_le_u32_e32 vcc, v46, v30
	s_and_saveexec_b64 s[60:61], vcc
	s_cbranch_execz .LBB1565_173
; %bb.190:                              ;   in Loop: Header=BB1565_174 Depth=1
	v_cmp_eq_u16_e32 vcc, 0, v52
	s_waitcnt lgkmcnt(0)
	v_cndmask_b32_e32 v30, 0, v53, vcc
	v_add_u16_e32 v26, v30, v26
	v_and_b32_e32 v30, 1, v52
	v_lshrrev_b32_e32 v31, 16, v53
	v_cmp_eq_u32_e32 vcc, 1, v30
	v_cndmask_b32_e64 v31, v31, 1, vcc
	s_branch .LBB1565_173
.LBB1565_191:                           ;   in Loop: Header=BB1565_174 Depth=1
                                        ; implicit-def: $vgpr30
                                        ; implicit-def: $vgpr26
	s_cbranch_execz .LBB1565_174
; %bb.192:
	s_and_saveexec_b64 s[60:61], s[50:51]
	s_cbranch_execz .LBB1565_194
; %bb.193:
	v_and_b32_e32 v23, 0xff0000, v22
	s_mov_b32 s51, 0
	v_cmp_eq_u32_e32 vcc, 0, v23
	v_and_b32_e32 v24, 0x10000, v22
	v_mov_b32_e32 v25, 1
	s_add_i32 s50, s59, 64
	v_cndmask_b32_e32 v23, 0, v47, vcc
	v_and_b32_sdwa v25, v44, v25 dst_sel:WORD_1 dst_unused:UNUSED_PAD src0_sel:DWORD src1_sel:DWORD
	v_mov_b32_e32 v26, 0x10000
	v_cmp_eq_u32_e32 vcc, 0, v24
	s_lshl_b64 s[50:51], s[50:51], 3
	v_cndmask_b32_e32 v24, v26, v25, vcc
	s_add_u32 s50, s56, s50
	v_add_u16_e32 v22, v23, v22
	s_addc_u32 s51, s57, s51
	v_mov_b32_e32 v25, 0
	v_or_b32_e32 v22, v24, v22
	v_mov_b32_e32 v23, 2
	global_store_dwordx2 v25, v[22:23], s[50:51]
.LBB1565_194:
	s_or_b64 exec, exec, s[60:61]
	s_and_b64 exec, exec, s[0:1]
	s_cbranch_execz .LBB1565_196
; %bb.195:
	v_mov_b32_e32 v22, 0
	ds_write_b16 v22, v47
	ds_write_b8 v22, v44 offset:2
.LBB1565_196:
	s_or_b64 exec, exec, s[52:53]
	v_mov_b32_e32 v22, 0
	s_waitcnt lgkmcnt(0)
	; wave barrier
	s_waitcnt lgkmcnt(0)
	ds_read_b32 v22, v22
	v_and_b32_e32 v23, 0xff0000, v34
	v_cmp_eq_u32_e32 vcc, 0, v23
	s_waitcnt lgkmcnt(0)
	v_cndmask_b32_e32 v23, 0, v22, vcc
	v_add_u32_e32 v23, v23, v34
	v_cndmask_b32_e64 v39, v23, v22, s[0:1]
	v_and_b32_e32 v22, 0xff0000, v1
	v_cmp_eq_u32_e32 vcc, 0, v22
	v_cndmask_b32_e32 v22, 0, v39, vcc
	v_add_u16_e32 v22, v22, v1
	v_cndmask_b32_e64 v23, 0, v22, s[4:5]
	v_add_u16_e32 v23, v23, v54
	v_cndmask_b32_e64 v24, 0, v23, s[6:7]
	;; [unrolled: 2-line block ×22, first 2 shown]
	v_add_u16_e32 v47, v47, v17
	s_branch .LBB1565_239
.LBB1565_197:
	s_or_b64 exec, exec, s[52:53]
                                        ; implicit-def: $vgpr3
	s_and_saveexec_b64 s[52:53], s[4:5]
	s_cbranch_execz .LBB1565_57
.LBB1565_198:
	v_lshlrev_b32_e32 v3, 1, v0
	v_add_co_u32_e32 v4, vcc, v56, v3
	v_addc_co_u32_e32 v5, vcc, 0, v57, vcc
	flat_load_ushort v3, v[4:5] offset:128
	s_or_b64 exec, exec, s[52:53]
                                        ; implicit-def: $vgpr4
	s_and_saveexec_b64 s[4:5], s[6:7]
	s_cbranch_execnz .LBB1565_58
.LBB1565_199:
	s_or_b64 exec, exec, s[4:5]
                                        ; implicit-def: $vgpr5
	s_and_saveexec_b64 s[4:5], s[8:9]
	s_cbranch_execz .LBB1565_59
.LBB1565_200:
	v_lshlrev_b32_e32 v5, 1, v0
	v_add_co_u32_e32 v6, vcc, v56, v5
	v_addc_co_u32_e32 v7, vcc, 0, v57, vcc
	flat_load_ushort v5, v[6:7] offset:384
	s_or_b64 exec, exec, s[4:5]
                                        ; implicit-def: $vgpr6
	s_and_saveexec_b64 s[4:5], s[10:11]
	s_cbranch_execnz .LBB1565_60
.LBB1565_201:
	s_or_b64 exec, exec, s[4:5]
                                        ; implicit-def: $vgpr7
	s_and_saveexec_b64 s[4:5], s[12:13]
	s_cbranch_execz .LBB1565_61
.LBB1565_202:
	v_lshlrev_b32_e32 v7, 1, v0
	v_add_co_u32_e32 v8, vcc, v56, v7
	v_addc_co_u32_e32 v9, vcc, 0, v57, vcc
	flat_load_ushort v7, v[8:9] offset:640
	s_or_b64 exec, exec, s[4:5]
                                        ; implicit-def: $vgpr8
	s_and_saveexec_b64 s[4:5], s[14:15]
	s_cbranch_execnz .LBB1565_62
.LBB1565_203:
	s_or_b64 exec, exec, s[4:5]
                                        ; implicit-def: $vgpr9
	s_and_saveexec_b64 s[4:5], s[16:17]
	s_cbranch_execz .LBB1565_63
.LBB1565_204:
	v_lshlrev_b32_e32 v9, 1, v0
	v_add_co_u32_e32 v10, vcc, v56, v9
	v_addc_co_u32_e32 v11, vcc, 0, v57, vcc
	flat_load_ushort v9, v[10:11] offset:896
	s_or_b64 exec, exec, s[4:5]
                                        ; implicit-def: $vgpr10
	s_and_saveexec_b64 s[4:5], s[18:19]
	s_cbranch_execnz .LBB1565_64
.LBB1565_205:
	s_or_b64 exec, exec, s[4:5]
                                        ; implicit-def: $vgpr11
	s_and_saveexec_b64 s[4:5], s[20:21]
	s_cbranch_execz .LBB1565_65
.LBB1565_206:
	v_lshlrev_b32_e32 v11, 1, v0
	v_add_co_u32_e32 v12, vcc, v56, v11
	v_addc_co_u32_e32 v13, vcc, 0, v57, vcc
	flat_load_ushort v11, v[12:13] offset:1152
	s_or_b64 exec, exec, s[4:5]
                                        ; implicit-def: $vgpr12
	s_and_saveexec_b64 s[4:5], s[22:23]
	s_cbranch_execnz .LBB1565_66
.LBB1565_207:
	s_or_b64 exec, exec, s[4:5]
                                        ; implicit-def: $vgpr13
	s_and_saveexec_b64 s[4:5], s[24:25]
	s_cbranch_execz .LBB1565_67
.LBB1565_208:
	v_lshlrev_b32_e32 v13, 1, v0
	v_add_co_u32_e32 v14, vcc, v56, v13
	v_addc_co_u32_e32 v15, vcc, 0, v57, vcc
	flat_load_ushort v13, v[14:15] offset:1408
	s_or_b64 exec, exec, s[4:5]
                                        ; implicit-def: $vgpr14
	s_and_saveexec_b64 s[4:5], s[26:27]
	s_cbranch_execnz .LBB1565_68
.LBB1565_209:
	s_or_b64 exec, exec, s[4:5]
                                        ; implicit-def: $vgpr15
	s_and_saveexec_b64 s[4:5], s[28:29]
	s_cbranch_execz .LBB1565_69
.LBB1565_210:
	v_lshlrev_b32_e32 v15, 1, v0
	v_add_co_u32_e32 v16, vcc, v56, v15
	v_addc_co_u32_e32 v17, vcc, 0, v57, vcc
	flat_load_ushort v15, v[16:17] offset:1664
	s_or_b64 exec, exec, s[4:5]
                                        ; implicit-def: $vgpr16
	s_and_saveexec_b64 s[4:5], s[30:31]
	s_cbranch_execnz .LBB1565_70
.LBB1565_211:
	s_or_b64 exec, exec, s[4:5]
                                        ; implicit-def: $vgpr17
	s_and_saveexec_b64 s[4:5], s[34:35]
	s_cbranch_execz .LBB1565_71
.LBB1565_212:
	v_lshlrev_b32_e32 v17, 1, v0
	v_add_co_u32_e32 v18, vcc, v56, v17
	v_addc_co_u32_e32 v19, vcc, 0, v57, vcc
	flat_load_ushort v17, v[18:19] offset:1920
	s_or_b64 exec, exec, s[4:5]
                                        ; implicit-def: $vgpr18
	s_and_saveexec_b64 s[4:5], s[36:37]
	s_cbranch_execnz .LBB1565_72
.LBB1565_213:
	s_or_b64 exec, exec, s[4:5]
                                        ; implicit-def: $vgpr19
	s_and_saveexec_b64 s[4:5], s[38:39]
	s_cbranch_execz .LBB1565_73
.LBB1565_214:
	v_lshlrev_b32_e32 v19, 1, v0
	v_add_co_u32_e32 v20, vcc, v56, v19
	v_addc_co_u32_e32 v21, vcc, 0, v57, vcc
	flat_load_ushort v19, v[20:21] offset:2176
	s_or_b64 exec, exec, s[4:5]
                                        ; implicit-def: $vgpr20
	s_and_saveexec_b64 s[4:5], s[40:41]
	s_cbranch_execnz .LBB1565_74
.LBB1565_215:
	s_or_b64 exec, exec, s[4:5]
                                        ; implicit-def: $vgpr21
	s_and_saveexec_b64 s[4:5], s[42:43]
	s_cbranch_execz .LBB1565_75
.LBB1565_216:
	v_lshlrev_b32_e32 v21, 1, v0
	v_add_co_u32_e32 v46, vcc, v56, v21
	v_addc_co_u32_e32 v47, vcc, 0, v57, vcc
	flat_load_ushort v21, v[46:47] offset:2432
	s_or_b64 exec, exec, s[4:5]
                                        ; implicit-def: $vgpr47
	s_and_saveexec_b64 s[4:5], s[44:45]
	s_cbranch_execnz .LBB1565_76
.LBB1565_217:
	s_or_b64 exec, exec, s[4:5]
                                        ; implicit-def: $vgpr48
	s_and_saveexec_b64 s[4:5], s[46:47]
	s_cbranch_execz .LBB1565_77
.LBB1565_218:
	v_lshlrev_b32_e32 v46, 1, v0
	v_add_co_u32_e32 v48, vcc, v56, v46
	v_addc_co_u32_e32 v49, vcc, 0, v57, vcc
	flat_load_ushort v48, v[48:49] offset:2688
	s_or_b64 exec, exec, s[4:5]
                                        ; implicit-def: $vgpr49
	s_and_saveexec_b64 s[4:5], s[48:49]
	s_cbranch_execz .LBB1565_79
	s_branch .LBB1565_78
.LBB1565_219:
                                        ; implicit-def: $vgpr39
                                        ; implicit-def: $vgpr22
                                        ; implicit-def: $vgpr23
                                        ; implicit-def: $vgpr24
                                        ; implicit-def: $vgpr25
                                        ; implicit-def: $vgpr26
                                        ; implicit-def: $vgpr28
                                        ; implicit-def: $vgpr30
                                        ; implicit-def: $vgpr27
                                        ; implicit-def: $vgpr29
                                        ; implicit-def: $vgpr31
                                        ; implicit-def: $vgpr34
                                        ; implicit-def: $vgpr35
                                        ; implicit-def: $vgpr36
                                        ; implicit-def: $vgpr38
                                        ; implicit-def: $vgpr41
                                        ; implicit-def: $vgpr37
                                        ; implicit-def: $vgpr40
                                        ; implicit-def: $vgpr42
                                        ; implicit-def: $vgpr43
                                        ; implicit-def: $vgpr44
                                        ; implicit-def: $vgpr45
                                        ; implicit-def: $vgpr46
                                        ; implicit-def: $vgpr47
	s_cbranch_execz .LBB1565_239
; %bb.220:
	s_cmp_lg_u64 s[66:67], 0
	s_cselect_b32 s5, s63, 0
	s_cselect_b32 s4, s62, 0
	s_cmp_eq_u64 s[4:5], 0
	v_mov_b32_e32 v39, s74
	s_cbranch_scc1 .LBB1565_222
; %bb.221:
	v_mov_b32_e32 v22, 0
	global_load_ushort v39, v22, s[4:5]
.LBB1565_222:
	s_mov_b32 s52, 0x10000
	v_cmp_gt_u32_e32 vcc, s52, v54
	v_cndmask_b32_e32 v22, 0, v1, vcc
	v_add_u16_e32 v22, v22, v54
	v_cmp_gt_u32_e64 s[4:5], s52, v21
	v_cndmask_b32_e64 v22, 0, v22, s[4:5]
	v_add_u16_e32 v22, v22, v21
	v_cmp_gt_u32_e64 s[6:7], s52, v20
	v_cndmask_b32_e64 v22, 0, v22, s[6:7]
	;; [unrolled: 3-line block ×18, first 2 shown]
	v_bfe_u32 v25, v19, 16, 1
	v_add_u16_e32 v22, v22, v14
	v_cmp_gt_u32_e64 s[42:43], s52, v15
	v_lshlrev_b16_e32 v26, 1, v25
	v_mov_b32_e32 v25, 1
	v_cndmask_b32_e64 v22, 0, v22, s[42:43]
	v_and_b32_sdwa v27, v18, v25 dst_sel:DWORD dst_unused:UNUSED_PAD src0_sel:WORD_1 src1_sel:DWORD
	v_add_u16_e32 v22, v22, v15
	v_cmp_gt_u32_e64 s[44:45], s52, v16
	v_or_b32_e32 v26, v27, v26
	v_bfe_u32 v27, v21, 16, 1
	v_and_b32_sdwa v28, v20, v25 dst_sel:DWORD dst_unused:UNUSED_PAD src0_sel:WORD_1 src1_sel:DWORD
	v_cndmask_b32_e64 v22, 0, v22, s[44:45]
	v_lshlrev_b16_e32 v27, 3, v27
	v_lshlrev_b16_e32 v28, 2, v28
	v_add_u16_e32 v22, v22, v16
	v_cmp_gt_u32_e64 s[46:47], s52, v17
	v_or_b32_e32 v27, v27, v28
	v_cndmask_b32_e64 v22, 0, v22, s[46:47]
	v_or_b32_e32 v26, v26, v27
	v_and_b32_e32 v27, 0x10000, v55
	v_add_u16_e32 v22, v22, v17
	v_cmp_gt_u32_e64 s[52:53], s52, v32
	v_and_b32_e32 v28, 0x10000, v32
	v_cmp_ne_u32_e64 s[50:51], 0, v27
	v_cndmask_b32_e64 v27, 0, v22, s[52:53]
	v_cmp_ne_u32_e64 s[52:53], 0, v28
	v_or_b32_e32 v28, v16, v8
	v_or_b32_e32 v29, v17, v9
	v_or_b32_e32 v31, v15, v7
	v_or_b32_e32 v30, v14, v6
	v_or_b32_e32 v34, v12, v4
	v_or_b32_e32 v35, v13, v5
	v_or_b32_e32 v37, v11, v3
	v_bfe_u32 v31, v31, 16, 1
	v_bfe_u32 v29, v29, 16, 1
	v_and_b32_sdwa v28, v28, v25 dst_sel:DWORD dst_unused:UNUSED_PAD src0_sel:WORD_1 src1_sel:DWORD
	v_or_b32_e32 v36, v10, v2
	v_bfe_u32 v37, v37, 16, 1
	v_bfe_u32 v35, v35, 16, 1
	v_and_b32_sdwa v34, v34, v25 dst_sel:DWORD dst_unused:UNUSED_PAD src0_sel:WORD_1 src1_sel:DWORD
	v_lshlrev_b16_e32 v31, 1, v31
	v_and_b32_sdwa v30, v30, v25 dst_sel:DWORD dst_unused:UNUSED_PAD src0_sel:WORD_1 src1_sel:DWORD
	v_lshlrev_b16_e32 v29, 3, v29
	v_lshlrev_b16_e32 v28, 2, v28
	;; [unrolled: 1-line block ×3, first 2 shown]
	v_and_b32_sdwa v36, v36, v25 dst_sel:DWORD dst_unused:UNUSED_PAD src0_sel:WORD_1 src1_sel:DWORD
	v_lshlrev_b16_e32 v35, 3, v35
	v_lshlrev_b16_e32 v34, 2, v34
	v_or_b32_e32 v30, v30, v31
	v_or_b32_e32 v28, v29, v28
	;; [unrolled: 1-line block ×6, first 2 shown]
	v_lshlrev_b16_e32 v28, 4, v28
	v_or_b32_e32 v28, v34, v28
	v_or_b32_e32 v26, v28, v26
	v_mov_b32_e32 v28, 0
	v_cmp_ne_u16_sdwa s[60:61], v26, v28 src0_sel:BYTE_0 src1_sel:DWORD
	v_and_b32_e32 v24, 0x10000, v54
	s_or_b64 s[52:53], s[52:53], s[60:61]
	v_cmp_ne_u32_e64 s[48:49], 0, v24
	s_or_b64 s[50:51], s[52:53], s[50:51]
	v_mov_b32_e32 v23, 0x10000
	v_and_b32_e32 v24, 0x10000, v1
	s_or_b64 s[48:49], s[50:51], s[48:49]
	v_cndmask_b32_e64 v28, v24, v23, s[48:49]
	v_add_u16_e32 v26, v27, v32
	v_mbcnt_hi_u32_b32 v23, -1, v33
	v_add_u16_e32 v22, v27, v32
	v_and_b32_e32 v27, 15, v23
	v_or_b32_e32 v26, v28, v26
	v_lshrrev_b32_e32 v24, 16, v28
	v_cmp_ne_u32_e64 s[48:49], 0, v27
	v_mov_b32_dpp v29, v26 row_shr:1 row_mask:0xf bank_mask:0xf
	s_and_saveexec_b64 s[50:51], s[48:49]
; %bb.223:
	v_cmp_eq_u32_e64 s[48:49], 0, v28
	v_and_b32_e32 v24, 0x10000, v28
	v_cndmask_b32_e64 v26, 0, v29, s[48:49]
	v_and_b32_sdwa v25, v29, v25 dst_sel:DWORD dst_unused:UNUSED_PAD src0_sel:WORD_1 src1_sel:DWORD
	v_cmp_ne_u32_e64 s[48:49], 0, v24
	v_cndmask_b32_e64 v24, v25, 1, s[48:49]
	v_add_u16_e32 v30, v26, v22
	v_lshlrev_b32_e32 v25, 16, v24
	v_add_u16_e32 v22, v26, v22
	v_or_b32_e32 v26, v25, v22
	v_mov_b32_e32 v22, v30
; %bb.224:
	s_or_b64 exec, exec, s[50:51]
	v_lshrrev_b32_e32 v25, 16, v26
	v_mov_b32_dpp v28, v26 row_shr:2 row_mask:0xf bank_mask:0xf
	v_cmp_lt_u32_e64 s[48:49], 1, v27
	s_and_saveexec_b64 s[50:51], s[48:49]
	s_cbranch_execz .LBB1565_226
; %bb.225:
	s_mov_b32 s48, 0x10000
	v_cmp_gt_u32_e64 s[48:49], s48, v26
	v_and_b32_e32 v24, 0x10000, v26
	v_mov_b32_e32 v26, 1
	v_cndmask_b32_e64 v25, 0, v28, s[48:49]
	v_and_b32_sdwa v26, v28, v26 dst_sel:DWORD dst_unused:UNUSED_PAD src0_sel:WORD_1 src1_sel:DWORD
	v_cmp_ne_u32_e64 s[48:49], 0, v24
	v_cndmask_b32_e64 v24, v26, 1, s[48:49]
	v_add_u16_e32 v29, v25, v22
	v_lshlrev_b32_e32 v26, 16, v24
	v_add_u16_e32 v22, v25, v22
	v_or_b32_e32 v26, v26, v22
	v_mov_b32_e32 v22, v29
	v_mov_b32_e32 v25, v24
.LBB1565_226:
	s_or_b64 exec, exec, s[50:51]
	v_mov_b32_dpp v28, v26 row_shr:4 row_mask:0xf bank_mask:0xf
	v_cmp_lt_u32_e64 s[48:49], 3, v27
	s_and_saveexec_b64 s[50:51], s[48:49]
	s_cbranch_execz .LBB1565_228
; %bb.227:
	v_cmp_eq_u16_e64 s[48:49], 0, v25
	v_and_b32_e32 v24, 1, v25
	v_mov_b32_e32 v25, 1
	v_cndmask_b32_e64 v26, 0, v28, s[48:49]
	v_and_b32_sdwa v25, v28, v25 dst_sel:DWORD dst_unused:UNUSED_PAD src0_sel:WORD_1 src1_sel:DWORD
	v_cmp_eq_u32_e64 s[48:49], 1, v24
	v_cndmask_b32_e64 v24, v25, 1, s[48:49]
	v_add_u16_e32 v29, v26, v22
	v_lshlrev_b32_e32 v25, 16, v24
	v_add_u16_e32 v22, v26, v22
	v_or_b32_e32 v26, v25, v22
	v_mov_b32_e32 v22, v29
	v_mov_b32_e32 v25, v24
.LBB1565_228:
	s_or_b64 exec, exec, s[50:51]
	v_mov_b32_dpp v28, v26 row_shr:8 row_mask:0xf bank_mask:0xf
	v_cmp_lt_u32_e64 s[48:49], 7, v27
	s_and_saveexec_b64 s[50:51], s[48:49]
	s_cbranch_execz .LBB1565_230
; %bb.229:
	v_cmp_eq_u16_e64 s[48:49], 0, v25
	v_and_b32_e32 v24, 1, v25
	v_mov_b32_e32 v25, 1
	v_cndmask_b32_e64 v26, 0, v28, s[48:49]
	v_and_b32_sdwa v25, v28, v25 dst_sel:DWORD dst_unused:UNUSED_PAD src0_sel:WORD_1 src1_sel:DWORD
	v_cmp_eq_u32_e64 s[48:49], 1, v24
	v_cndmask_b32_e64 v24, v25, 1, s[48:49]
	v_add_u16_e32 v27, v26, v22
	v_lshlrev_b32_e32 v25, 16, v24
	v_add_u16_e32 v22, v26, v22
	v_or_b32_e32 v26, v25, v22
	v_mov_b32_e32 v22, v27
	v_mov_b32_e32 v25, v24
.LBB1565_230:
	s_or_b64 exec, exec, s[50:51]
	v_and_b32_e32 v28, 16, v23
	v_mov_b32_dpp v27, v26 row_bcast:15 row_mask:0xf bank_mask:0xf
	v_cmp_ne_u32_e64 s[48:49], 0, v28
	s_and_saveexec_b64 s[50:51], s[48:49]
	s_cbranch_execz .LBB1565_232
; %bb.231:
	v_cmp_eq_u16_e64 s[48:49], 0, v25
	v_and_b32_e32 v24, 1, v25
	v_mov_b32_e32 v25, 1
	v_cndmask_b32_e64 v26, 0, v27, s[48:49]
	v_and_b32_sdwa v25, v27, v25 dst_sel:DWORD dst_unused:UNUSED_PAD src0_sel:WORD_1 src1_sel:DWORD
	v_cmp_eq_u32_e64 s[48:49], 1, v24
	v_cndmask_b32_e64 v24, v25, 1, s[48:49]
	v_add_u16_e32 v28, v26, v22
	v_lshlrev_b32_e32 v25, 16, v24
	v_add_u16_e32 v22, v26, v22
	v_or_b32_e32 v26, v25, v22
	v_mov_b32_e32 v22, v28
	v_mov_b32_e32 v25, v24
.LBB1565_232:
	s_or_b64 exec, exec, s[50:51]
	v_mov_b32_dpp v26, v26 row_bcast:31 row_mask:0xf bank_mask:0xf
	v_cmp_lt_u32_e64 s[48:49], 31, v23
	s_and_saveexec_b64 s[50:51], s[48:49]
; %bb.233:
	v_cmp_eq_u16_e64 s[48:49], 0, v25
	v_cndmask_b32_e64 v24, 0, v26, s[48:49]
	v_add_u16_e32 v22, v24, v22
	v_and_b32_e32 v24, 1, v25
	v_mov_b32_e32 v25, 1
	v_and_b32_sdwa v25, v26, v25 dst_sel:DWORD dst_unused:UNUSED_PAD src0_sel:WORD_1 src1_sel:DWORD
	v_cmp_eq_u32_e64 s[48:49], 1, v24
	v_cndmask_b32_e64 v24, v25, 1, s[48:49]
	v_mov_b32_e32 v25, v24
; %bb.234:
	s_or_b64 exec, exec, s[50:51]
	v_cmp_eq_u32_e64 s[48:49], 63, v0
	s_and_saveexec_b64 s[50:51], s[48:49]
	s_cbranch_execz .LBB1565_236
; %bb.235:
	v_mov_b32_e32 v26, 0
	ds_write_b16 v26, v22
	ds_write_b8 v26, v25 offset:2
.LBB1565_236:
	s_or_b64 exec, exec, s[50:51]
	v_cmp_eq_u16_e64 s[48:49], 0, v24
	v_and_b32_e32 v24, 1, v24
	s_waitcnt vmcnt(0)
	v_cndmask_b32_e64 v25, 0, v39, s[48:49]
	v_mov_b32_e32 v26, 0x10000
	v_cmp_eq_u32_e64 s[48:49], 1, v24
	v_cndmask_b32_e64 v24, 0, v26, s[48:49]
	v_add_u16_e32 v22, v25, v22
	v_or_b32_e32 v22, v24, v22
	v_add_u32_e32 v24, -1, v23
	v_and_b32_e32 v25, 64, v23
	v_cmp_lt_i32_e64 s[48:49], v24, v25
	v_cndmask_b32_e64 v24, v24, v23, s[48:49]
	v_lshlrev_b32_e32 v24, 2, v24
	ds_bpermute_b32 v22, v24, v22
	v_cmp_eq_u32_e64 s[48:49], 0, v23
	s_or_b64 s[48:49], s[0:1], s[48:49]
	s_waitcnt lgkmcnt(0)
	; wave barrier
	s_waitcnt lgkmcnt(0)
	v_cndmask_b32_e64 v32, v22, v39, s[48:49]
	v_and_b32_e32 v22, 0xff0000, v1
	v_cmp_eq_u32_e64 s[48:49], 0, v22
	v_cndmask_b32_e64 v22, 0, v32, s[48:49]
	v_add_u16_e32 v22, v22, v1
	v_cndmask_b32_e32 v1, 0, v22, vcc
	v_add_u16_e32 v23, v1, v54
	v_cndmask_b32_e64 v1, 0, v23, s[4:5]
	v_add_u16_e32 v24, v1, v21
	v_cndmask_b32_e64 v1, 0, v24, s[6:7]
	;; [unrolled: 2-line block ×21, first 2 shown]
	s_and_saveexec_b64 s[4:5], s[0:1]
	s_cbranch_execz .LBB1565_238
; %bb.237:
	v_mov_b32_e32 v4, 0
	ds_read_u8 v2, v4 offset:2
	ds_read_u16 v3, v4
	s_waitcnt lgkmcnt(1)
	v_cmp_eq_u32_e32 vcc, 0, v2
	v_lshlrev_b32_e32 v5, 16, v2
	v_cndmask_b32_e32 v2, 0, v39, vcc
	s_waitcnt lgkmcnt(0)
	v_add_u32_e32 v2, v2, v3
	v_or_b32_sdwa v2, v5, v2 dst_sel:DWORD dst_unused:UNUSED_PAD src0_sel:DWORD src1_sel:WORD_0
	v_mov_b32_e32 v3, 2
	global_store_dwordx2 v4, v[2:3], s[56:57] offset:512
.LBB1565_238:
	s_or_b64 exec, exec, s[4:5]
	v_and_b32_e32 v39, 0xffff, v32
	v_add_u16_e32 v47, v1, v17
.LBB1565_239:
	s_add_u32 s0, s54, s64
	s_addc_u32 s1, s55, s65
	v_mov_b32_e32 v1, s1
	v_add_co_u32_e32 v4, vcc, s0, v50
	v_addc_co_u32_e32 v5, vcc, v1, v51, vcc
	s_and_b64 vcc, exec, s[2:3]
	v_mul_u32_u24_e32 v7, 24, v0
	v_lshlrev_b32_e32 v6, 1, v0
	s_cbranch_vccz .LBB1565_287
; %bb.240:
	s_mov_b32 s0, 0x5040100
	v_lshlrev_b32_e32 v52, 1, v7
	v_perm_b32 v11, v30, v28, s0
	v_perm_b32 v10, v26, v25, s0
	;; [unrolled: 1-line block ×4, first 2 shown]
	s_waitcnt lgkmcnt(0)
	; wave barrier
	ds_write_b128 v52, v[8:11]
	v_perm_b32 v11, v41, v38, s0
	v_perm_b32 v10, v36, v35, s0
	;; [unrolled: 1-line block ×4, first 2 shown]
	ds_write_b128 v52, v[8:11] offset:16
	v_perm_b32 v11, v47, v46, s0
	v_perm_b32 v10, v45, v44, s0
	;; [unrolled: 1-line block ×4, first 2 shown]
	s_movk_i32 s0, 0xffd2
	v_mad_i32_i24 v2, v0, s0, v52
	ds_write_b128 v52, v[8:11] offset:32
	s_waitcnt lgkmcnt(0)
	; wave barrier
	s_waitcnt lgkmcnt(0)
	ds_read_u16 v55, v2 offset:128
	ds_read_u16 v54, v2 offset:256
	;; [unrolled: 1-line block ×23, first 2 shown]
	v_add_co_u32_e32 v2, vcc, v4, v6
	s_add_i32 s33, s33, s58
	v_addc_co_u32_e32 v3, vcc, 0, v5, vcc
	v_mov_b32_e32 v1, 0
	v_cmp_gt_u32_e32 vcc, s33, v0
	s_and_saveexec_b64 s[0:1], vcc
	s_cbranch_execz .LBB1565_242
; %bb.241:
	v_mul_i32_i24_e32 v56, 0xffffffd2, v0
	v_add_u32_e32 v52, v52, v56
	ds_read_u16 v52, v52
	s_waitcnt lgkmcnt(0)
	flat_store_short v[2:3], v52
.LBB1565_242:
	s_or_b64 exec, exec, s[0:1]
	v_or_b32_e32 v52, 64, v0
	v_cmp_gt_u32_e32 vcc, s33, v52
	s_and_saveexec_b64 s[0:1], vcc
	s_cbranch_execz .LBB1565_244
; %bb.243:
	s_waitcnt lgkmcnt(0)
	flat_store_short v[2:3], v55 offset:128
.LBB1565_244:
	s_or_b64 exec, exec, s[0:1]
	v_or_b32_e32 v52, 0x80, v0
	v_cmp_gt_u32_e32 vcc, s33, v52
	s_and_saveexec_b64 s[0:1], vcc
	s_cbranch_execz .LBB1565_246
; %bb.245:
	s_waitcnt lgkmcnt(0)
	flat_store_short v[2:3], v54 offset:256
.LBB1565_246:
	;; [unrolled: 9-line block ×4, first 2 shown]
	s_or_b64 exec, exec, s[0:1]
	s_waitcnt lgkmcnt(0)
	v_or_b32_e32 v51, 0x140, v0
	v_cmp_gt_u32_e32 vcc, s33, v51
	s_and_saveexec_b64 s[0:1], vcc
	s_cbranch_execz .LBB1565_252
; %bb.251:
	flat_store_short v[2:3], v50 offset:640
.LBB1565_252:
	s_or_b64 exec, exec, s[0:1]
	v_or_b32_e32 v50, 0x180, v0
	v_cmp_gt_u32_e32 vcc, s33, v50
	s_and_saveexec_b64 s[0:1], vcc
	s_cbranch_execz .LBB1565_254
; %bb.253:
	flat_store_short v[2:3], v49 offset:768
.LBB1565_254:
	s_or_b64 exec, exec, s[0:1]
	;; [unrolled: 8-line block ×18, first 2 shown]
	v_or_b32_e32 v2, 0x5c0, v0
	v_cmp_gt_u32_e64 s[0:1], s33, v2
	s_branch .LBB1565_289
.LBB1565_287:
	s_mov_b64 s[0:1], 0
                                        ; implicit-def: $vgpr8
	s_cbranch_execz .LBB1565_289
; %bb.288:
	s_mov_b32 s2, 0x5040100
	v_lshlrev_b32_e32 v2, 1, v7
	v_perm_b32 v11, v30, v28, s2
	v_perm_b32 v10, v26, v25, s2
	;; [unrolled: 1-line block ×4, first 2 shown]
	s_waitcnt lgkmcnt(0)
	; wave barrier
	s_waitcnt lgkmcnt(0)
	ds_write_b128 v2, v[8:11]
	v_perm_b32 v11, v41, v38, s2
	v_perm_b32 v10, v36, v35, s2
	;; [unrolled: 1-line block ×4, first 2 shown]
	ds_write_b128 v2, v[8:11] offset:16
	v_perm_b32 v11, v47, v46, s2
	v_perm_b32 v10, v45, v44, s2
	;; [unrolled: 1-line block ×4, first 2 shown]
	s_movk_i32 s2, 0xffd2
	ds_write_b128 v2, v[8:11] offset:32
	v_mad_i32_i24 v2, v0, s2, v2
	s_waitcnt lgkmcnt(0)
	; wave barrier
	s_waitcnt lgkmcnt(0)
	ds_read_u16 v7, v2
	ds_read_u16 v9, v2 offset:128
	ds_read_u16 v10, v2 offset:256
	ds_read_u16 v11, v2 offset:384
	ds_read_u16 v12, v2 offset:512
	ds_read_u16 v13, v2 offset:640
	ds_read_u16 v14, v2 offset:768
	ds_read_u16 v15, v2 offset:896
	ds_read_u16 v16, v2 offset:1024
	ds_read_u16 v17, v2 offset:1152
	ds_read_u16 v18, v2 offset:1280
	ds_read_u16 v19, v2 offset:1408
	ds_read_u16 v20, v2 offset:1536
	ds_read_u16 v21, v2 offset:1664
	ds_read_u16 v22, v2 offset:1792
	ds_read_u16 v23, v2 offset:1920
	ds_read_u16 v24, v2 offset:2048
	ds_read_u16 v25, v2 offset:2176
	ds_read_u16 v26, v2 offset:2304
	ds_read_u16 v27, v2 offset:2432
	ds_read_u16 v28, v2 offset:2560
	ds_read_u16 v29, v2 offset:2688
	ds_read_u16 v30, v2 offset:2816
	ds_read_u16 v8, v2 offset:2944
	v_add_co_u32_e32 v2, vcc, v4, v6
	v_mov_b32_e32 v1, 0
	v_addc_co_u32_e32 v3, vcc, 0, v5, vcc
	s_or_b64 s[0:1], s[0:1], exec
	s_waitcnt lgkmcnt(0)
	flat_store_short v[2:3], v7
	flat_store_short v[2:3], v9 offset:128
	flat_store_short v[2:3], v10 offset:256
	;; [unrolled: 1-line block ×22, first 2 shown]
.LBB1565_289:
	s_and_saveexec_b64 s[2:3], s[0:1]
	s_cbranch_execz .LBB1565_291
; %bb.290:
	v_lshlrev_b64 v[0:1], 1, v[0:1]
	v_add_co_u32_e32 v0, vcc, v4, v0
	v_addc_co_u32_e32 v1, vcc, v5, v1, vcc
	flat_store_short v[0:1], v8 offset:2944
	s_endpgm
.LBB1565_291:
	s_endpgm
	.section	.rodata,"a",@progbits
	.p2align	6, 0x0
	.amdhsa_kernel _ZN7rocprim17ROCPRIM_400000_NS6detail17trampoline_kernelINS0_14default_configENS1_27scan_by_key_config_selectorIitEEZZNS1_16scan_by_key_implILNS1_25lookback_scan_determinismE0ELb1ES3_N6thrust23THRUST_200600_302600_NS6detail15normal_iteratorINS9_10device_ptrIiEEEENSB_INSC_ItEEEESG_tNS9_4plusIvEENS9_8equal_toIvEEtEE10hipError_tPvRmT2_T3_T4_T5_mT6_T7_P12ihipStream_tbENKUlT_T0_E_clISt17integral_constantIbLb0EES10_IbLb1EEEEDaSW_SX_EUlSW_E_NS1_11comp_targetILNS1_3genE4ELNS1_11target_archE910ELNS1_3gpuE8ELNS1_3repE0EEENS1_30default_config_static_selectorELNS0_4arch9wavefront6targetE1EEEvT1_
		.amdhsa_group_segment_fixed_size 6656
		.amdhsa_private_segment_fixed_size 0
		.amdhsa_kernarg_size 112
		.amdhsa_user_sgpr_count 6
		.amdhsa_user_sgpr_private_segment_buffer 1
		.amdhsa_user_sgpr_dispatch_ptr 0
		.amdhsa_user_sgpr_queue_ptr 0
		.amdhsa_user_sgpr_kernarg_segment_ptr 1
		.amdhsa_user_sgpr_dispatch_id 0
		.amdhsa_user_sgpr_flat_scratch_init 0
		.amdhsa_user_sgpr_kernarg_preload_length 0
		.amdhsa_user_sgpr_kernarg_preload_offset 0
		.amdhsa_user_sgpr_private_segment_size 0
		.amdhsa_uses_dynamic_stack 0
		.amdhsa_system_sgpr_private_segment_wavefront_offset 0
		.amdhsa_system_sgpr_workgroup_id_x 1
		.amdhsa_system_sgpr_workgroup_id_y 0
		.amdhsa_system_sgpr_workgroup_id_z 0
		.amdhsa_system_sgpr_workgroup_info 0
		.amdhsa_system_vgpr_workitem_id 0
		.amdhsa_next_free_vgpr 61
		.amdhsa_next_free_sgpr 84
		.amdhsa_accum_offset 64
		.amdhsa_reserve_vcc 1
		.amdhsa_reserve_flat_scratch 0
		.amdhsa_float_round_mode_32 0
		.amdhsa_float_round_mode_16_64 0
		.amdhsa_float_denorm_mode_32 3
		.amdhsa_float_denorm_mode_16_64 3
		.amdhsa_dx10_clamp 1
		.amdhsa_ieee_mode 1
		.amdhsa_fp16_overflow 0
		.amdhsa_tg_split 0
		.amdhsa_exception_fp_ieee_invalid_op 0
		.amdhsa_exception_fp_denorm_src 0
		.amdhsa_exception_fp_ieee_div_zero 0
		.amdhsa_exception_fp_ieee_overflow 0
		.amdhsa_exception_fp_ieee_underflow 0
		.amdhsa_exception_fp_ieee_inexact 0
		.amdhsa_exception_int_div_zero 0
	.end_amdhsa_kernel
	.section	.text._ZN7rocprim17ROCPRIM_400000_NS6detail17trampoline_kernelINS0_14default_configENS1_27scan_by_key_config_selectorIitEEZZNS1_16scan_by_key_implILNS1_25lookback_scan_determinismE0ELb1ES3_N6thrust23THRUST_200600_302600_NS6detail15normal_iteratorINS9_10device_ptrIiEEEENSB_INSC_ItEEEESG_tNS9_4plusIvEENS9_8equal_toIvEEtEE10hipError_tPvRmT2_T3_T4_T5_mT6_T7_P12ihipStream_tbENKUlT_T0_E_clISt17integral_constantIbLb0EES10_IbLb1EEEEDaSW_SX_EUlSW_E_NS1_11comp_targetILNS1_3genE4ELNS1_11target_archE910ELNS1_3gpuE8ELNS1_3repE0EEENS1_30default_config_static_selectorELNS0_4arch9wavefront6targetE1EEEvT1_,"axG",@progbits,_ZN7rocprim17ROCPRIM_400000_NS6detail17trampoline_kernelINS0_14default_configENS1_27scan_by_key_config_selectorIitEEZZNS1_16scan_by_key_implILNS1_25lookback_scan_determinismE0ELb1ES3_N6thrust23THRUST_200600_302600_NS6detail15normal_iteratorINS9_10device_ptrIiEEEENSB_INSC_ItEEEESG_tNS9_4plusIvEENS9_8equal_toIvEEtEE10hipError_tPvRmT2_T3_T4_T5_mT6_T7_P12ihipStream_tbENKUlT_T0_E_clISt17integral_constantIbLb0EES10_IbLb1EEEEDaSW_SX_EUlSW_E_NS1_11comp_targetILNS1_3genE4ELNS1_11target_archE910ELNS1_3gpuE8ELNS1_3repE0EEENS1_30default_config_static_selectorELNS0_4arch9wavefront6targetE1EEEvT1_,comdat
.Lfunc_end1565:
	.size	_ZN7rocprim17ROCPRIM_400000_NS6detail17trampoline_kernelINS0_14default_configENS1_27scan_by_key_config_selectorIitEEZZNS1_16scan_by_key_implILNS1_25lookback_scan_determinismE0ELb1ES3_N6thrust23THRUST_200600_302600_NS6detail15normal_iteratorINS9_10device_ptrIiEEEENSB_INSC_ItEEEESG_tNS9_4plusIvEENS9_8equal_toIvEEtEE10hipError_tPvRmT2_T3_T4_T5_mT6_T7_P12ihipStream_tbENKUlT_T0_E_clISt17integral_constantIbLb0EES10_IbLb1EEEEDaSW_SX_EUlSW_E_NS1_11comp_targetILNS1_3genE4ELNS1_11target_archE910ELNS1_3gpuE8ELNS1_3repE0EEENS1_30default_config_static_selectorELNS0_4arch9wavefront6targetE1EEEvT1_, .Lfunc_end1565-_ZN7rocprim17ROCPRIM_400000_NS6detail17trampoline_kernelINS0_14default_configENS1_27scan_by_key_config_selectorIitEEZZNS1_16scan_by_key_implILNS1_25lookback_scan_determinismE0ELb1ES3_N6thrust23THRUST_200600_302600_NS6detail15normal_iteratorINS9_10device_ptrIiEEEENSB_INSC_ItEEEESG_tNS9_4plusIvEENS9_8equal_toIvEEtEE10hipError_tPvRmT2_T3_T4_T5_mT6_T7_P12ihipStream_tbENKUlT_T0_E_clISt17integral_constantIbLb0EES10_IbLb1EEEEDaSW_SX_EUlSW_E_NS1_11comp_targetILNS1_3genE4ELNS1_11target_archE910ELNS1_3gpuE8ELNS1_3repE0EEENS1_30default_config_static_selectorELNS0_4arch9wavefront6targetE1EEEvT1_
                                        ; -- End function
	.section	.AMDGPU.csdata,"",@progbits
; Kernel info:
; codeLenInByte = 15600
; NumSgprs: 88
; NumVgprs: 61
; NumAgprs: 0
; TotalNumVgprs: 61
; ScratchSize: 0
; MemoryBound: 0
; FloatMode: 240
; IeeeMode: 1
; LDSByteSize: 6656 bytes/workgroup (compile time only)
; SGPRBlocks: 10
; VGPRBlocks: 7
; NumSGPRsForWavesPerEU: 88
; NumVGPRsForWavesPerEU: 61
; AccumOffset: 64
; Occupancy: 3
; WaveLimiterHint : 1
; COMPUTE_PGM_RSRC2:SCRATCH_EN: 0
; COMPUTE_PGM_RSRC2:USER_SGPR: 6
; COMPUTE_PGM_RSRC2:TRAP_HANDLER: 0
; COMPUTE_PGM_RSRC2:TGID_X_EN: 1
; COMPUTE_PGM_RSRC2:TGID_Y_EN: 0
; COMPUTE_PGM_RSRC2:TGID_Z_EN: 0
; COMPUTE_PGM_RSRC2:TIDIG_COMP_CNT: 0
; COMPUTE_PGM_RSRC3_GFX90A:ACCUM_OFFSET: 15
; COMPUTE_PGM_RSRC3_GFX90A:TG_SPLIT: 0
	.section	.text._ZN7rocprim17ROCPRIM_400000_NS6detail17trampoline_kernelINS0_14default_configENS1_27scan_by_key_config_selectorIitEEZZNS1_16scan_by_key_implILNS1_25lookback_scan_determinismE0ELb1ES3_N6thrust23THRUST_200600_302600_NS6detail15normal_iteratorINS9_10device_ptrIiEEEENSB_INSC_ItEEEESG_tNS9_4plusIvEENS9_8equal_toIvEEtEE10hipError_tPvRmT2_T3_T4_T5_mT6_T7_P12ihipStream_tbENKUlT_T0_E_clISt17integral_constantIbLb0EES10_IbLb1EEEEDaSW_SX_EUlSW_E_NS1_11comp_targetILNS1_3genE3ELNS1_11target_archE908ELNS1_3gpuE7ELNS1_3repE0EEENS1_30default_config_static_selectorELNS0_4arch9wavefront6targetE1EEEvT1_,"axG",@progbits,_ZN7rocprim17ROCPRIM_400000_NS6detail17trampoline_kernelINS0_14default_configENS1_27scan_by_key_config_selectorIitEEZZNS1_16scan_by_key_implILNS1_25lookback_scan_determinismE0ELb1ES3_N6thrust23THRUST_200600_302600_NS6detail15normal_iteratorINS9_10device_ptrIiEEEENSB_INSC_ItEEEESG_tNS9_4plusIvEENS9_8equal_toIvEEtEE10hipError_tPvRmT2_T3_T4_T5_mT6_T7_P12ihipStream_tbENKUlT_T0_E_clISt17integral_constantIbLb0EES10_IbLb1EEEEDaSW_SX_EUlSW_E_NS1_11comp_targetILNS1_3genE3ELNS1_11target_archE908ELNS1_3gpuE7ELNS1_3repE0EEENS1_30default_config_static_selectorELNS0_4arch9wavefront6targetE1EEEvT1_,comdat
	.protected	_ZN7rocprim17ROCPRIM_400000_NS6detail17trampoline_kernelINS0_14default_configENS1_27scan_by_key_config_selectorIitEEZZNS1_16scan_by_key_implILNS1_25lookback_scan_determinismE0ELb1ES3_N6thrust23THRUST_200600_302600_NS6detail15normal_iteratorINS9_10device_ptrIiEEEENSB_INSC_ItEEEESG_tNS9_4plusIvEENS9_8equal_toIvEEtEE10hipError_tPvRmT2_T3_T4_T5_mT6_T7_P12ihipStream_tbENKUlT_T0_E_clISt17integral_constantIbLb0EES10_IbLb1EEEEDaSW_SX_EUlSW_E_NS1_11comp_targetILNS1_3genE3ELNS1_11target_archE908ELNS1_3gpuE7ELNS1_3repE0EEENS1_30default_config_static_selectorELNS0_4arch9wavefront6targetE1EEEvT1_ ; -- Begin function _ZN7rocprim17ROCPRIM_400000_NS6detail17trampoline_kernelINS0_14default_configENS1_27scan_by_key_config_selectorIitEEZZNS1_16scan_by_key_implILNS1_25lookback_scan_determinismE0ELb1ES3_N6thrust23THRUST_200600_302600_NS6detail15normal_iteratorINS9_10device_ptrIiEEEENSB_INSC_ItEEEESG_tNS9_4plusIvEENS9_8equal_toIvEEtEE10hipError_tPvRmT2_T3_T4_T5_mT6_T7_P12ihipStream_tbENKUlT_T0_E_clISt17integral_constantIbLb0EES10_IbLb1EEEEDaSW_SX_EUlSW_E_NS1_11comp_targetILNS1_3genE3ELNS1_11target_archE908ELNS1_3gpuE7ELNS1_3repE0EEENS1_30default_config_static_selectorELNS0_4arch9wavefront6targetE1EEEvT1_
	.globl	_ZN7rocprim17ROCPRIM_400000_NS6detail17trampoline_kernelINS0_14default_configENS1_27scan_by_key_config_selectorIitEEZZNS1_16scan_by_key_implILNS1_25lookback_scan_determinismE0ELb1ES3_N6thrust23THRUST_200600_302600_NS6detail15normal_iteratorINS9_10device_ptrIiEEEENSB_INSC_ItEEEESG_tNS9_4plusIvEENS9_8equal_toIvEEtEE10hipError_tPvRmT2_T3_T4_T5_mT6_T7_P12ihipStream_tbENKUlT_T0_E_clISt17integral_constantIbLb0EES10_IbLb1EEEEDaSW_SX_EUlSW_E_NS1_11comp_targetILNS1_3genE3ELNS1_11target_archE908ELNS1_3gpuE7ELNS1_3repE0EEENS1_30default_config_static_selectorELNS0_4arch9wavefront6targetE1EEEvT1_
	.p2align	8
	.type	_ZN7rocprim17ROCPRIM_400000_NS6detail17trampoline_kernelINS0_14default_configENS1_27scan_by_key_config_selectorIitEEZZNS1_16scan_by_key_implILNS1_25lookback_scan_determinismE0ELb1ES3_N6thrust23THRUST_200600_302600_NS6detail15normal_iteratorINS9_10device_ptrIiEEEENSB_INSC_ItEEEESG_tNS9_4plusIvEENS9_8equal_toIvEEtEE10hipError_tPvRmT2_T3_T4_T5_mT6_T7_P12ihipStream_tbENKUlT_T0_E_clISt17integral_constantIbLb0EES10_IbLb1EEEEDaSW_SX_EUlSW_E_NS1_11comp_targetILNS1_3genE3ELNS1_11target_archE908ELNS1_3gpuE7ELNS1_3repE0EEENS1_30default_config_static_selectorELNS0_4arch9wavefront6targetE1EEEvT1_,@function
_ZN7rocprim17ROCPRIM_400000_NS6detail17trampoline_kernelINS0_14default_configENS1_27scan_by_key_config_selectorIitEEZZNS1_16scan_by_key_implILNS1_25lookback_scan_determinismE0ELb1ES3_N6thrust23THRUST_200600_302600_NS6detail15normal_iteratorINS9_10device_ptrIiEEEENSB_INSC_ItEEEESG_tNS9_4plusIvEENS9_8equal_toIvEEtEE10hipError_tPvRmT2_T3_T4_T5_mT6_T7_P12ihipStream_tbENKUlT_T0_E_clISt17integral_constantIbLb0EES10_IbLb1EEEEDaSW_SX_EUlSW_E_NS1_11comp_targetILNS1_3genE3ELNS1_11target_archE908ELNS1_3gpuE7ELNS1_3repE0EEENS1_30default_config_static_selectorELNS0_4arch9wavefront6targetE1EEEvT1_: ; @_ZN7rocprim17ROCPRIM_400000_NS6detail17trampoline_kernelINS0_14default_configENS1_27scan_by_key_config_selectorIitEEZZNS1_16scan_by_key_implILNS1_25lookback_scan_determinismE0ELb1ES3_N6thrust23THRUST_200600_302600_NS6detail15normal_iteratorINS9_10device_ptrIiEEEENSB_INSC_ItEEEESG_tNS9_4plusIvEENS9_8equal_toIvEEtEE10hipError_tPvRmT2_T3_T4_T5_mT6_T7_P12ihipStream_tbENKUlT_T0_E_clISt17integral_constantIbLb0EES10_IbLb1EEEEDaSW_SX_EUlSW_E_NS1_11comp_targetILNS1_3genE3ELNS1_11target_archE908ELNS1_3gpuE7ELNS1_3repE0EEENS1_30default_config_static_selectorELNS0_4arch9wavefront6targetE1EEEvT1_
; %bb.0:
	.section	.rodata,"a",@progbits
	.p2align	6, 0x0
	.amdhsa_kernel _ZN7rocprim17ROCPRIM_400000_NS6detail17trampoline_kernelINS0_14default_configENS1_27scan_by_key_config_selectorIitEEZZNS1_16scan_by_key_implILNS1_25lookback_scan_determinismE0ELb1ES3_N6thrust23THRUST_200600_302600_NS6detail15normal_iteratorINS9_10device_ptrIiEEEENSB_INSC_ItEEEESG_tNS9_4plusIvEENS9_8equal_toIvEEtEE10hipError_tPvRmT2_T3_T4_T5_mT6_T7_P12ihipStream_tbENKUlT_T0_E_clISt17integral_constantIbLb0EES10_IbLb1EEEEDaSW_SX_EUlSW_E_NS1_11comp_targetILNS1_3genE3ELNS1_11target_archE908ELNS1_3gpuE7ELNS1_3repE0EEENS1_30default_config_static_selectorELNS0_4arch9wavefront6targetE1EEEvT1_
		.amdhsa_group_segment_fixed_size 0
		.amdhsa_private_segment_fixed_size 0
		.amdhsa_kernarg_size 112
		.amdhsa_user_sgpr_count 6
		.amdhsa_user_sgpr_private_segment_buffer 1
		.amdhsa_user_sgpr_dispatch_ptr 0
		.amdhsa_user_sgpr_queue_ptr 0
		.amdhsa_user_sgpr_kernarg_segment_ptr 1
		.amdhsa_user_sgpr_dispatch_id 0
		.amdhsa_user_sgpr_flat_scratch_init 0
		.amdhsa_user_sgpr_kernarg_preload_length 0
		.amdhsa_user_sgpr_kernarg_preload_offset 0
		.amdhsa_user_sgpr_private_segment_size 0
		.amdhsa_uses_dynamic_stack 0
		.amdhsa_system_sgpr_private_segment_wavefront_offset 0
		.amdhsa_system_sgpr_workgroup_id_x 1
		.amdhsa_system_sgpr_workgroup_id_y 0
		.amdhsa_system_sgpr_workgroup_id_z 0
		.amdhsa_system_sgpr_workgroup_info 0
		.amdhsa_system_vgpr_workitem_id 0
		.amdhsa_next_free_vgpr 1
		.amdhsa_next_free_sgpr 0
		.amdhsa_accum_offset 4
		.amdhsa_reserve_vcc 0
		.amdhsa_reserve_flat_scratch 0
		.amdhsa_float_round_mode_32 0
		.amdhsa_float_round_mode_16_64 0
		.amdhsa_float_denorm_mode_32 3
		.amdhsa_float_denorm_mode_16_64 3
		.amdhsa_dx10_clamp 1
		.amdhsa_ieee_mode 1
		.amdhsa_fp16_overflow 0
		.amdhsa_tg_split 0
		.amdhsa_exception_fp_ieee_invalid_op 0
		.amdhsa_exception_fp_denorm_src 0
		.amdhsa_exception_fp_ieee_div_zero 0
		.amdhsa_exception_fp_ieee_overflow 0
		.amdhsa_exception_fp_ieee_underflow 0
		.amdhsa_exception_fp_ieee_inexact 0
		.amdhsa_exception_int_div_zero 0
	.end_amdhsa_kernel
	.section	.text._ZN7rocprim17ROCPRIM_400000_NS6detail17trampoline_kernelINS0_14default_configENS1_27scan_by_key_config_selectorIitEEZZNS1_16scan_by_key_implILNS1_25lookback_scan_determinismE0ELb1ES3_N6thrust23THRUST_200600_302600_NS6detail15normal_iteratorINS9_10device_ptrIiEEEENSB_INSC_ItEEEESG_tNS9_4plusIvEENS9_8equal_toIvEEtEE10hipError_tPvRmT2_T3_T4_T5_mT6_T7_P12ihipStream_tbENKUlT_T0_E_clISt17integral_constantIbLb0EES10_IbLb1EEEEDaSW_SX_EUlSW_E_NS1_11comp_targetILNS1_3genE3ELNS1_11target_archE908ELNS1_3gpuE7ELNS1_3repE0EEENS1_30default_config_static_selectorELNS0_4arch9wavefront6targetE1EEEvT1_,"axG",@progbits,_ZN7rocprim17ROCPRIM_400000_NS6detail17trampoline_kernelINS0_14default_configENS1_27scan_by_key_config_selectorIitEEZZNS1_16scan_by_key_implILNS1_25lookback_scan_determinismE0ELb1ES3_N6thrust23THRUST_200600_302600_NS6detail15normal_iteratorINS9_10device_ptrIiEEEENSB_INSC_ItEEEESG_tNS9_4plusIvEENS9_8equal_toIvEEtEE10hipError_tPvRmT2_T3_T4_T5_mT6_T7_P12ihipStream_tbENKUlT_T0_E_clISt17integral_constantIbLb0EES10_IbLb1EEEEDaSW_SX_EUlSW_E_NS1_11comp_targetILNS1_3genE3ELNS1_11target_archE908ELNS1_3gpuE7ELNS1_3repE0EEENS1_30default_config_static_selectorELNS0_4arch9wavefront6targetE1EEEvT1_,comdat
.Lfunc_end1566:
	.size	_ZN7rocprim17ROCPRIM_400000_NS6detail17trampoline_kernelINS0_14default_configENS1_27scan_by_key_config_selectorIitEEZZNS1_16scan_by_key_implILNS1_25lookback_scan_determinismE0ELb1ES3_N6thrust23THRUST_200600_302600_NS6detail15normal_iteratorINS9_10device_ptrIiEEEENSB_INSC_ItEEEESG_tNS9_4plusIvEENS9_8equal_toIvEEtEE10hipError_tPvRmT2_T3_T4_T5_mT6_T7_P12ihipStream_tbENKUlT_T0_E_clISt17integral_constantIbLb0EES10_IbLb1EEEEDaSW_SX_EUlSW_E_NS1_11comp_targetILNS1_3genE3ELNS1_11target_archE908ELNS1_3gpuE7ELNS1_3repE0EEENS1_30default_config_static_selectorELNS0_4arch9wavefront6targetE1EEEvT1_, .Lfunc_end1566-_ZN7rocprim17ROCPRIM_400000_NS6detail17trampoline_kernelINS0_14default_configENS1_27scan_by_key_config_selectorIitEEZZNS1_16scan_by_key_implILNS1_25lookback_scan_determinismE0ELb1ES3_N6thrust23THRUST_200600_302600_NS6detail15normal_iteratorINS9_10device_ptrIiEEEENSB_INSC_ItEEEESG_tNS9_4plusIvEENS9_8equal_toIvEEtEE10hipError_tPvRmT2_T3_T4_T5_mT6_T7_P12ihipStream_tbENKUlT_T0_E_clISt17integral_constantIbLb0EES10_IbLb1EEEEDaSW_SX_EUlSW_E_NS1_11comp_targetILNS1_3genE3ELNS1_11target_archE908ELNS1_3gpuE7ELNS1_3repE0EEENS1_30default_config_static_selectorELNS0_4arch9wavefront6targetE1EEEvT1_
                                        ; -- End function
	.section	.AMDGPU.csdata,"",@progbits
; Kernel info:
; codeLenInByte = 0
; NumSgprs: 4
; NumVgprs: 0
; NumAgprs: 0
; TotalNumVgprs: 0
; ScratchSize: 0
; MemoryBound: 0
; FloatMode: 240
; IeeeMode: 1
; LDSByteSize: 0 bytes/workgroup (compile time only)
; SGPRBlocks: 0
; VGPRBlocks: 0
; NumSGPRsForWavesPerEU: 4
; NumVGPRsForWavesPerEU: 1
; AccumOffset: 4
; Occupancy: 8
; WaveLimiterHint : 0
; COMPUTE_PGM_RSRC2:SCRATCH_EN: 0
; COMPUTE_PGM_RSRC2:USER_SGPR: 6
; COMPUTE_PGM_RSRC2:TRAP_HANDLER: 0
; COMPUTE_PGM_RSRC2:TGID_X_EN: 1
; COMPUTE_PGM_RSRC2:TGID_Y_EN: 0
; COMPUTE_PGM_RSRC2:TGID_Z_EN: 0
; COMPUTE_PGM_RSRC2:TIDIG_COMP_CNT: 0
; COMPUTE_PGM_RSRC3_GFX90A:ACCUM_OFFSET: 0
; COMPUTE_PGM_RSRC3_GFX90A:TG_SPLIT: 0
	.section	.text._ZN7rocprim17ROCPRIM_400000_NS6detail17trampoline_kernelINS0_14default_configENS1_27scan_by_key_config_selectorIitEEZZNS1_16scan_by_key_implILNS1_25lookback_scan_determinismE0ELb1ES3_N6thrust23THRUST_200600_302600_NS6detail15normal_iteratorINS9_10device_ptrIiEEEENSB_INSC_ItEEEESG_tNS9_4plusIvEENS9_8equal_toIvEEtEE10hipError_tPvRmT2_T3_T4_T5_mT6_T7_P12ihipStream_tbENKUlT_T0_E_clISt17integral_constantIbLb0EES10_IbLb1EEEEDaSW_SX_EUlSW_E_NS1_11comp_targetILNS1_3genE2ELNS1_11target_archE906ELNS1_3gpuE6ELNS1_3repE0EEENS1_30default_config_static_selectorELNS0_4arch9wavefront6targetE1EEEvT1_,"axG",@progbits,_ZN7rocprim17ROCPRIM_400000_NS6detail17trampoline_kernelINS0_14default_configENS1_27scan_by_key_config_selectorIitEEZZNS1_16scan_by_key_implILNS1_25lookback_scan_determinismE0ELb1ES3_N6thrust23THRUST_200600_302600_NS6detail15normal_iteratorINS9_10device_ptrIiEEEENSB_INSC_ItEEEESG_tNS9_4plusIvEENS9_8equal_toIvEEtEE10hipError_tPvRmT2_T3_T4_T5_mT6_T7_P12ihipStream_tbENKUlT_T0_E_clISt17integral_constantIbLb0EES10_IbLb1EEEEDaSW_SX_EUlSW_E_NS1_11comp_targetILNS1_3genE2ELNS1_11target_archE906ELNS1_3gpuE6ELNS1_3repE0EEENS1_30default_config_static_selectorELNS0_4arch9wavefront6targetE1EEEvT1_,comdat
	.protected	_ZN7rocprim17ROCPRIM_400000_NS6detail17trampoline_kernelINS0_14default_configENS1_27scan_by_key_config_selectorIitEEZZNS1_16scan_by_key_implILNS1_25lookback_scan_determinismE0ELb1ES3_N6thrust23THRUST_200600_302600_NS6detail15normal_iteratorINS9_10device_ptrIiEEEENSB_INSC_ItEEEESG_tNS9_4plusIvEENS9_8equal_toIvEEtEE10hipError_tPvRmT2_T3_T4_T5_mT6_T7_P12ihipStream_tbENKUlT_T0_E_clISt17integral_constantIbLb0EES10_IbLb1EEEEDaSW_SX_EUlSW_E_NS1_11comp_targetILNS1_3genE2ELNS1_11target_archE906ELNS1_3gpuE6ELNS1_3repE0EEENS1_30default_config_static_selectorELNS0_4arch9wavefront6targetE1EEEvT1_ ; -- Begin function _ZN7rocprim17ROCPRIM_400000_NS6detail17trampoline_kernelINS0_14default_configENS1_27scan_by_key_config_selectorIitEEZZNS1_16scan_by_key_implILNS1_25lookback_scan_determinismE0ELb1ES3_N6thrust23THRUST_200600_302600_NS6detail15normal_iteratorINS9_10device_ptrIiEEEENSB_INSC_ItEEEESG_tNS9_4plusIvEENS9_8equal_toIvEEtEE10hipError_tPvRmT2_T3_T4_T5_mT6_T7_P12ihipStream_tbENKUlT_T0_E_clISt17integral_constantIbLb0EES10_IbLb1EEEEDaSW_SX_EUlSW_E_NS1_11comp_targetILNS1_3genE2ELNS1_11target_archE906ELNS1_3gpuE6ELNS1_3repE0EEENS1_30default_config_static_selectorELNS0_4arch9wavefront6targetE1EEEvT1_
	.globl	_ZN7rocprim17ROCPRIM_400000_NS6detail17trampoline_kernelINS0_14default_configENS1_27scan_by_key_config_selectorIitEEZZNS1_16scan_by_key_implILNS1_25lookback_scan_determinismE0ELb1ES3_N6thrust23THRUST_200600_302600_NS6detail15normal_iteratorINS9_10device_ptrIiEEEENSB_INSC_ItEEEESG_tNS9_4plusIvEENS9_8equal_toIvEEtEE10hipError_tPvRmT2_T3_T4_T5_mT6_T7_P12ihipStream_tbENKUlT_T0_E_clISt17integral_constantIbLb0EES10_IbLb1EEEEDaSW_SX_EUlSW_E_NS1_11comp_targetILNS1_3genE2ELNS1_11target_archE906ELNS1_3gpuE6ELNS1_3repE0EEENS1_30default_config_static_selectorELNS0_4arch9wavefront6targetE1EEEvT1_
	.p2align	8
	.type	_ZN7rocprim17ROCPRIM_400000_NS6detail17trampoline_kernelINS0_14default_configENS1_27scan_by_key_config_selectorIitEEZZNS1_16scan_by_key_implILNS1_25lookback_scan_determinismE0ELb1ES3_N6thrust23THRUST_200600_302600_NS6detail15normal_iteratorINS9_10device_ptrIiEEEENSB_INSC_ItEEEESG_tNS9_4plusIvEENS9_8equal_toIvEEtEE10hipError_tPvRmT2_T3_T4_T5_mT6_T7_P12ihipStream_tbENKUlT_T0_E_clISt17integral_constantIbLb0EES10_IbLb1EEEEDaSW_SX_EUlSW_E_NS1_11comp_targetILNS1_3genE2ELNS1_11target_archE906ELNS1_3gpuE6ELNS1_3repE0EEENS1_30default_config_static_selectorELNS0_4arch9wavefront6targetE1EEEvT1_,@function
_ZN7rocprim17ROCPRIM_400000_NS6detail17trampoline_kernelINS0_14default_configENS1_27scan_by_key_config_selectorIitEEZZNS1_16scan_by_key_implILNS1_25lookback_scan_determinismE0ELb1ES3_N6thrust23THRUST_200600_302600_NS6detail15normal_iteratorINS9_10device_ptrIiEEEENSB_INSC_ItEEEESG_tNS9_4plusIvEENS9_8equal_toIvEEtEE10hipError_tPvRmT2_T3_T4_T5_mT6_T7_P12ihipStream_tbENKUlT_T0_E_clISt17integral_constantIbLb0EES10_IbLb1EEEEDaSW_SX_EUlSW_E_NS1_11comp_targetILNS1_3genE2ELNS1_11target_archE906ELNS1_3gpuE6ELNS1_3repE0EEENS1_30default_config_static_selectorELNS0_4arch9wavefront6targetE1EEEvT1_: ; @_ZN7rocprim17ROCPRIM_400000_NS6detail17trampoline_kernelINS0_14default_configENS1_27scan_by_key_config_selectorIitEEZZNS1_16scan_by_key_implILNS1_25lookback_scan_determinismE0ELb1ES3_N6thrust23THRUST_200600_302600_NS6detail15normal_iteratorINS9_10device_ptrIiEEEENSB_INSC_ItEEEESG_tNS9_4plusIvEENS9_8equal_toIvEEtEE10hipError_tPvRmT2_T3_T4_T5_mT6_T7_P12ihipStream_tbENKUlT_T0_E_clISt17integral_constantIbLb0EES10_IbLb1EEEEDaSW_SX_EUlSW_E_NS1_11comp_targetILNS1_3genE2ELNS1_11target_archE906ELNS1_3gpuE6ELNS1_3repE0EEENS1_30default_config_static_selectorELNS0_4arch9wavefront6targetE1EEEvT1_
; %bb.0:
	.section	.rodata,"a",@progbits
	.p2align	6, 0x0
	.amdhsa_kernel _ZN7rocprim17ROCPRIM_400000_NS6detail17trampoline_kernelINS0_14default_configENS1_27scan_by_key_config_selectorIitEEZZNS1_16scan_by_key_implILNS1_25lookback_scan_determinismE0ELb1ES3_N6thrust23THRUST_200600_302600_NS6detail15normal_iteratorINS9_10device_ptrIiEEEENSB_INSC_ItEEEESG_tNS9_4plusIvEENS9_8equal_toIvEEtEE10hipError_tPvRmT2_T3_T4_T5_mT6_T7_P12ihipStream_tbENKUlT_T0_E_clISt17integral_constantIbLb0EES10_IbLb1EEEEDaSW_SX_EUlSW_E_NS1_11comp_targetILNS1_3genE2ELNS1_11target_archE906ELNS1_3gpuE6ELNS1_3repE0EEENS1_30default_config_static_selectorELNS0_4arch9wavefront6targetE1EEEvT1_
		.amdhsa_group_segment_fixed_size 0
		.amdhsa_private_segment_fixed_size 0
		.amdhsa_kernarg_size 112
		.amdhsa_user_sgpr_count 6
		.amdhsa_user_sgpr_private_segment_buffer 1
		.amdhsa_user_sgpr_dispatch_ptr 0
		.amdhsa_user_sgpr_queue_ptr 0
		.amdhsa_user_sgpr_kernarg_segment_ptr 1
		.amdhsa_user_sgpr_dispatch_id 0
		.amdhsa_user_sgpr_flat_scratch_init 0
		.amdhsa_user_sgpr_kernarg_preload_length 0
		.amdhsa_user_sgpr_kernarg_preload_offset 0
		.amdhsa_user_sgpr_private_segment_size 0
		.amdhsa_uses_dynamic_stack 0
		.amdhsa_system_sgpr_private_segment_wavefront_offset 0
		.amdhsa_system_sgpr_workgroup_id_x 1
		.amdhsa_system_sgpr_workgroup_id_y 0
		.amdhsa_system_sgpr_workgroup_id_z 0
		.amdhsa_system_sgpr_workgroup_info 0
		.amdhsa_system_vgpr_workitem_id 0
		.amdhsa_next_free_vgpr 1
		.amdhsa_next_free_sgpr 0
		.amdhsa_accum_offset 4
		.amdhsa_reserve_vcc 0
		.amdhsa_reserve_flat_scratch 0
		.amdhsa_float_round_mode_32 0
		.amdhsa_float_round_mode_16_64 0
		.amdhsa_float_denorm_mode_32 3
		.amdhsa_float_denorm_mode_16_64 3
		.amdhsa_dx10_clamp 1
		.amdhsa_ieee_mode 1
		.amdhsa_fp16_overflow 0
		.amdhsa_tg_split 0
		.amdhsa_exception_fp_ieee_invalid_op 0
		.amdhsa_exception_fp_denorm_src 0
		.amdhsa_exception_fp_ieee_div_zero 0
		.amdhsa_exception_fp_ieee_overflow 0
		.amdhsa_exception_fp_ieee_underflow 0
		.amdhsa_exception_fp_ieee_inexact 0
		.amdhsa_exception_int_div_zero 0
	.end_amdhsa_kernel
	.section	.text._ZN7rocprim17ROCPRIM_400000_NS6detail17trampoline_kernelINS0_14default_configENS1_27scan_by_key_config_selectorIitEEZZNS1_16scan_by_key_implILNS1_25lookback_scan_determinismE0ELb1ES3_N6thrust23THRUST_200600_302600_NS6detail15normal_iteratorINS9_10device_ptrIiEEEENSB_INSC_ItEEEESG_tNS9_4plusIvEENS9_8equal_toIvEEtEE10hipError_tPvRmT2_T3_T4_T5_mT6_T7_P12ihipStream_tbENKUlT_T0_E_clISt17integral_constantIbLb0EES10_IbLb1EEEEDaSW_SX_EUlSW_E_NS1_11comp_targetILNS1_3genE2ELNS1_11target_archE906ELNS1_3gpuE6ELNS1_3repE0EEENS1_30default_config_static_selectorELNS0_4arch9wavefront6targetE1EEEvT1_,"axG",@progbits,_ZN7rocprim17ROCPRIM_400000_NS6detail17trampoline_kernelINS0_14default_configENS1_27scan_by_key_config_selectorIitEEZZNS1_16scan_by_key_implILNS1_25lookback_scan_determinismE0ELb1ES3_N6thrust23THRUST_200600_302600_NS6detail15normal_iteratorINS9_10device_ptrIiEEEENSB_INSC_ItEEEESG_tNS9_4plusIvEENS9_8equal_toIvEEtEE10hipError_tPvRmT2_T3_T4_T5_mT6_T7_P12ihipStream_tbENKUlT_T0_E_clISt17integral_constantIbLb0EES10_IbLb1EEEEDaSW_SX_EUlSW_E_NS1_11comp_targetILNS1_3genE2ELNS1_11target_archE906ELNS1_3gpuE6ELNS1_3repE0EEENS1_30default_config_static_selectorELNS0_4arch9wavefront6targetE1EEEvT1_,comdat
.Lfunc_end1567:
	.size	_ZN7rocprim17ROCPRIM_400000_NS6detail17trampoline_kernelINS0_14default_configENS1_27scan_by_key_config_selectorIitEEZZNS1_16scan_by_key_implILNS1_25lookback_scan_determinismE0ELb1ES3_N6thrust23THRUST_200600_302600_NS6detail15normal_iteratorINS9_10device_ptrIiEEEENSB_INSC_ItEEEESG_tNS9_4plusIvEENS9_8equal_toIvEEtEE10hipError_tPvRmT2_T3_T4_T5_mT6_T7_P12ihipStream_tbENKUlT_T0_E_clISt17integral_constantIbLb0EES10_IbLb1EEEEDaSW_SX_EUlSW_E_NS1_11comp_targetILNS1_3genE2ELNS1_11target_archE906ELNS1_3gpuE6ELNS1_3repE0EEENS1_30default_config_static_selectorELNS0_4arch9wavefront6targetE1EEEvT1_, .Lfunc_end1567-_ZN7rocprim17ROCPRIM_400000_NS6detail17trampoline_kernelINS0_14default_configENS1_27scan_by_key_config_selectorIitEEZZNS1_16scan_by_key_implILNS1_25lookback_scan_determinismE0ELb1ES3_N6thrust23THRUST_200600_302600_NS6detail15normal_iteratorINS9_10device_ptrIiEEEENSB_INSC_ItEEEESG_tNS9_4plusIvEENS9_8equal_toIvEEtEE10hipError_tPvRmT2_T3_T4_T5_mT6_T7_P12ihipStream_tbENKUlT_T0_E_clISt17integral_constantIbLb0EES10_IbLb1EEEEDaSW_SX_EUlSW_E_NS1_11comp_targetILNS1_3genE2ELNS1_11target_archE906ELNS1_3gpuE6ELNS1_3repE0EEENS1_30default_config_static_selectorELNS0_4arch9wavefront6targetE1EEEvT1_
                                        ; -- End function
	.section	.AMDGPU.csdata,"",@progbits
; Kernel info:
; codeLenInByte = 0
; NumSgprs: 4
; NumVgprs: 0
; NumAgprs: 0
; TotalNumVgprs: 0
; ScratchSize: 0
; MemoryBound: 0
; FloatMode: 240
; IeeeMode: 1
; LDSByteSize: 0 bytes/workgroup (compile time only)
; SGPRBlocks: 0
; VGPRBlocks: 0
; NumSGPRsForWavesPerEU: 4
; NumVGPRsForWavesPerEU: 1
; AccumOffset: 4
; Occupancy: 8
; WaveLimiterHint : 0
; COMPUTE_PGM_RSRC2:SCRATCH_EN: 0
; COMPUTE_PGM_RSRC2:USER_SGPR: 6
; COMPUTE_PGM_RSRC2:TRAP_HANDLER: 0
; COMPUTE_PGM_RSRC2:TGID_X_EN: 1
; COMPUTE_PGM_RSRC2:TGID_Y_EN: 0
; COMPUTE_PGM_RSRC2:TGID_Z_EN: 0
; COMPUTE_PGM_RSRC2:TIDIG_COMP_CNT: 0
; COMPUTE_PGM_RSRC3_GFX90A:ACCUM_OFFSET: 0
; COMPUTE_PGM_RSRC3_GFX90A:TG_SPLIT: 0
	.section	.text._ZN7rocprim17ROCPRIM_400000_NS6detail17trampoline_kernelINS0_14default_configENS1_27scan_by_key_config_selectorIitEEZZNS1_16scan_by_key_implILNS1_25lookback_scan_determinismE0ELb1ES3_N6thrust23THRUST_200600_302600_NS6detail15normal_iteratorINS9_10device_ptrIiEEEENSB_INSC_ItEEEESG_tNS9_4plusIvEENS9_8equal_toIvEEtEE10hipError_tPvRmT2_T3_T4_T5_mT6_T7_P12ihipStream_tbENKUlT_T0_E_clISt17integral_constantIbLb0EES10_IbLb1EEEEDaSW_SX_EUlSW_E_NS1_11comp_targetILNS1_3genE10ELNS1_11target_archE1200ELNS1_3gpuE4ELNS1_3repE0EEENS1_30default_config_static_selectorELNS0_4arch9wavefront6targetE1EEEvT1_,"axG",@progbits,_ZN7rocprim17ROCPRIM_400000_NS6detail17trampoline_kernelINS0_14default_configENS1_27scan_by_key_config_selectorIitEEZZNS1_16scan_by_key_implILNS1_25lookback_scan_determinismE0ELb1ES3_N6thrust23THRUST_200600_302600_NS6detail15normal_iteratorINS9_10device_ptrIiEEEENSB_INSC_ItEEEESG_tNS9_4plusIvEENS9_8equal_toIvEEtEE10hipError_tPvRmT2_T3_T4_T5_mT6_T7_P12ihipStream_tbENKUlT_T0_E_clISt17integral_constantIbLb0EES10_IbLb1EEEEDaSW_SX_EUlSW_E_NS1_11comp_targetILNS1_3genE10ELNS1_11target_archE1200ELNS1_3gpuE4ELNS1_3repE0EEENS1_30default_config_static_selectorELNS0_4arch9wavefront6targetE1EEEvT1_,comdat
	.protected	_ZN7rocprim17ROCPRIM_400000_NS6detail17trampoline_kernelINS0_14default_configENS1_27scan_by_key_config_selectorIitEEZZNS1_16scan_by_key_implILNS1_25lookback_scan_determinismE0ELb1ES3_N6thrust23THRUST_200600_302600_NS6detail15normal_iteratorINS9_10device_ptrIiEEEENSB_INSC_ItEEEESG_tNS9_4plusIvEENS9_8equal_toIvEEtEE10hipError_tPvRmT2_T3_T4_T5_mT6_T7_P12ihipStream_tbENKUlT_T0_E_clISt17integral_constantIbLb0EES10_IbLb1EEEEDaSW_SX_EUlSW_E_NS1_11comp_targetILNS1_3genE10ELNS1_11target_archE1200ELNS1_3gpuE4ELNS1_3repE0EEENS1_30default_config_static_selectorELNS0_4arch9wavefront6targetE1EEEvT1_ ; -- Begin function _ZN7rocprim17ROCPRIM_400000_NS6detail17trampoline_kernelINS0_14default_configENS1_27scan_by_key_config_selectorIitEEZZNS1_16scan_by_key_implILNS1_25lookback_scan_determinismE0ELb1ES3_N6thrust23THRUST_200600_302600_NS6detail15normal_iteratorINS9_10device_ptrIiEEEENSB_INSC_ItEEEESG_tNS9_4plusIvEENS9_8equal_toIvEEtEE10hipError_tPvRmT2_T3_T4_T5_mT6_T7_P12ihipStream_tbENKUlT_T0_E_clISt17integral_constantIbLb0EES10_IbLb1EEEEDaSW_SX_EUlSW_E_NS1_11comp_targetILNS1_3genE10ELNS1_11target_archE1200ELNS1_3gpuE4ELNS1_3repE0EEENS1_30default_config_static_selectorELNS0_4arch9wavefront6targetE1EEEvT1_
	.globl	_ZN7rocprim17ROCPRIM_400000_NS6detail17trampoline_kernelINS0_14default_configENS1_27scan_by_key_config_selectorIitEEZZNS1_16scan_by_key_implILNS1_25lookback_scan_determinismE0ELb1ES3_N6thrust23THRUST_200600_302600_NS6detail15normal_iteratorINS9_10device_ptrIiEEEENSB_INSC_ItEEEESG_tNS9_4plusIvEENS9_8equal_toIvEEtEE10hipError_tPvRmT2_T3_T4_T5_mT6_T7_P12ihipStream_tbENKUlT_T0_E_clISt17integral_constantIbLb0EES10_IbLb1EEEEDaSW_SX_EUlSW_E_NS1_11comp_targetILNS1_3genE10ELNS1_11target_archE1200ELNS1_3gpuE4ELNS1_3repE0EEENS1_30default_config_static_selectorELNS0_4arch9wavefront6targetE1EEEvT1_
	.p2align	8
	.type	_ZN7rocprim17ROCPRIM_400000_NS6detail17trampoline_kernelINS0_14default_configENS1_27scan_by_key_config_selectorIitEEZZNS1_16scan_by_key_implILNS1_25lookback_scan_determinismE0ELb1ES3_N6thrust23THRUST_200600_302600_NS6detail15normal_iteratorINS9_10device_ptrIiEEEENSB_INSC_ItEEEESG_tNS9_4plusIvEENS9_8equal_toIvEEtEE10hipError_tPvRmT2_T3_T4_T5_mT6_T7_P12ihipStream_tbENKUlT_T0_E_clISt17integral_constantIbLb0EES10_IbLb1EEEEDaSW_SX_EUlSW_E_NS1_11comp_targetILNS1_3genE10ELNS1_11target_archE1200ELNS1_3gpuE4ELNS1_3repE0EEENS1_30default_config_static_selectorELNS0_4arch9wavefront6targetE1EEEvT1_,@function
_ZN7rocprim17ROCPRIM_400000_NS6detail17trampoline_kernelINS0_14default_configENS1_27scan_by_key_config_selectorIitEEZZNS1_16scan_by_key_implILNS1_25lookback_scan_determinismE0ELb1ES3_N6thrust23THRUST_200600_302600_NS6detail15normal_iteratorINS9_10device_ptrIiEEEENSB_INSC_ItEEEESG_tNS9_4plusIvEENS9_8equal_toIvEEtEE10hipError_tPvRmT2_T3_T4_T5_mT6_T7_P12ihipStream_tbENKUlT_T0_E_clISt17integral_constantIbLb0EES10_IbLb1EEEEDaSW_SX_EUlSW_E_NS1_11comp_targetILNS1_3genE10ELNS1_11target_archE1200ELNS1_3gpuE4ELNS1_3repE0EEENS1_30default_config_static_selectorELNS0_4arch9wavefront6targetE1EEEvT1_: ; @_ZN7rocprim17ROCPRIM_400000_NS6detail17trampoline_kernelINS0_14default_configENS1_27scan_by_key_config_selectorIitEEZZNS1_16scan_by_key_implILNS1_25lookback_scan_determinismE0ELb1ES3_N6thrust23THRUST_200600_302600_NS6detail15normal_iteratorINS9_10device_ptrIiEEEENSB_INSC_ItEEEESG_tNS9_4plusIvEENS9_8equal_toIvEEtEE10hipError_tPvRmT2_T3_T4_T5_mT6_T7_P12ihipStream_tbENKUlT_T0_E_clISt17integral_constantIbLb0EES10_IbLb1EEEEDaSW_SX_EUlSW_E_NS1_11comp_targetILNS1_3genE10ELNS1_11target_archE1200ELNS1_3gpuE4ELNS1_3repE0EEENS1_30default_config_static_selectorELNS0_4arch9wavefront6targetE1EEEvT1_
; %bb.0:
	.section	.rodata,"a",@progbits
	.p2align	6, 0x0
	.amdhsa_kernel _ZN7rocprim17ROCPRIM_400000_NS6detail17trampoline_kernelINS0_14default_configENS1_27scan_by_key_config_selectorIitEEZZNS1_16scan_by_key_implILNS1_25lookback_scan_determinismE0ELb1ES3_N6thrust23THRUST_200600_302600_NS6detail15normal_iteratorINS9_10device_ptrIiEEEENSB_INSC_ItEEEESG_tNS9_4plusIvEENS9_8equal_toIvEEtEE10hipError_tPvRmT2_T3_T4_T5_mT6_T7_P12ihipStream_tbENKUlT_T0_E_clISt17integral_constantIbLb0EES10_IbLb1EEEEDaSW_SX_EUlSW_E_NS1_11comp_targetILNS1_3genE10ELNS1_11target_archE1200ELNS1_3gpuE4ELNS1_3repE0EEENS1_30default_config_static_selectorELNS0_4arch9wavefront6targetE1EEEvT1_
		.amdhsa_group_segment_fixed_size 0
		.amdhsa_private_segment_fixed_size 0
		.amdhsa_kernarg_size 112
		.amdhsa_user_sgpr_count 6
		.amdhsa_user_sgpr_private_segment_buffer 1
		.amdhsa_user_sgpr_dispatch_ptr 0
		.amdhsa_user_sgpr_queue_ptr 0
		.amdhsa_user_sgpr_kernarg_segment_ptr 1
		.amdhsa_user_sgpr_dispatch_id 0
		.amdhsa_user_sgpr_flat_scratch_init 0
		.amdhsa_user_sgpr_kernarg_preload_length 0
		.amdhsa_user_sgpr_kernarg_preload_offset 0
		.amdhsa_user_sgpr_private_segment_size 0
		.amdhsa_uses_dynamic_stack 0
		.amdhsa_system_sgpr_private_segment_wavefront_offset 0
		.amdhsa_system_sgpr_workgroup_id_x 1
		.amdhsa_system_sgpr_workgroup_id_y 0
		.amdhsa_system_sgpr_workgroup_id_z 0
		.amdhsa_system_sgpr_workgroup_info 0
		.amdhsa_system_vgpr_workitem_id 0
		.amdhsa_next_free_vgpr 1
		.amdhsa_next_free_sgpr 0
		.amdhsa_accum_offset 4
		.amdhsa_reserve_vcc 0
		.amdhsa_reserve_flat_scratch 0
		.amdhsa_float_round_mode_32 0
		.amdhsa_float_round_mode_16_64 0
		.amdhsa_float_denorm_mode_32 3
		.amdhsa_float_denorm_mode_16_64 3
		.amdhsa_dx10_clamp 1
		.amdhsa_ieee_mode 1
		.amdhsa_fp16_overflow 0
		.amdhsa_tg_split 0
		.amdhsa_exception_fp_ieee_invalid_op 0
		.amdhsa_exception_fp_denorm_src 0
		.amdhsa_exception_fp_ieee_div_zero 0
		.amdhsa_exception_fp_ieee_overflow 0
		.amdhsa_exception_fp_ieee_underflow 0
		.amdhsa_exception_fp_ieee_inexact 0
		.amdhsa_exception_int_div_zero 0
	.end_amdhsa_kernel
	.section	.text._ZN7rocprim17ROCPRIM_400000_NS6detail17trampoline_kernelINS0_14default_configENS1_27scan_by_key_config_selectorIitEEZZNS1_16scan_by_key_implILNS1_25lookback_scan_determinismE0ELb1ES3_N6thrust23THRUST_200600_302600_NS6detail15normal_iteratorINS9_10device_ptrIiEEEENSB_INSC_ItEEEESG_tNS9_4plusIvEENS9_8equal_toIvEEtEE10hipError_tPvRmT2_T3_T4_T5_mT6_T7_P12ihipStream_tbENKUlT_T0_E_clISt17integral_constantIbLb0EES10_IbLb1EEEEDaSW_SX_EUlSW_E_NS1_11comp_targetILNS1_3genE10ELNS1_11target_archE1200ELNS1_3gpuE4ELNS1_3repE0EEENS1_30default_config_static_selectorELNS0_4arch9wavefront6targetE1EEEvT1_,"axG",@progbits,_ZN7rocprim17ROCPRIM_400000_NS6detail17trampoline_kernelINS0_14default_configENS1_27scan_by_key_config_selectorIitEEZZNS1_16scan_by_key_implILNS1_25lookback_scan_determinismE0ELb1ES3_N6thrust23THRUST_200600_302600_NS6detail15normal_iteratorINS9_10device_ptrIiEEEENSB_INSC_ItEEEESG_tNS9_4plusIvEENS9_8equal_toIvEEtEE10hipError_tPvRmT2_T3_T4_T5_mT6_T7_P12ihipStream_tbENKUlT_T0_E_clISt17integral_constantIbLb0EES10_IbLb1EEEEDaSW_SX_EUlSW_E_NS1_11comp_targetILNS1_3genE10ELNS1_11target_archE1200ELNS1_3gpuE4ELNS1_3repE0EEENS1_30default_config_static_selectorELNS0_4arch9wavefront6targetE1EEEvT1_,comdat
.Lfunc_end1568:
	.size	_ZN7rocprim17ROCPRIM_400000_NS6detail17trampoline_kernelINS0_14default_configENS1_27scan_by_key_config_selectorIitEEZZNS1_16scan_by_key_implILNS1_25lookback_scan_determinismE0ELb1ES3_N6thrust23THRUST_200600_302600_NS6detail15normal_iteratorINS9_10device_ptrIiEEEENSB_INSC_ItEEEESG_tNS9_4plusIvEENS9_8equal_toIvEEtEE10hipError_tPvRmT2_T3_T4_T5_mT6_T7_P12ihipStream_tbENKUlT_T0_E_clISt17integral_constantIbLb0EES10_IbLb1EEEEDaSW_SX_EUlSW_E_NS1_11comp_targetILNS1_3genE10ELNS1_11target_archE1200ELNS1_3gpuE4ELNS1_3repE0EEENS1_30default_config_static_selectorELNS0_4arch9wavefront6targetE1EEEvT1_, .Lfunc_end1568-_ZN7rocprim17ROCPRIM_400000_NS6detail17trampoline_kernelINS0_14default_configENS1_27scan_by_key_config_selectorIitEEZZNS1_16scan_by_key_implILNS1_25lookback_scan_determinismE0ELb1ES3_N6thrust23THRUST_200600_302600_NS6detail15normal_iteratorINS9_10device_ptrIiEEEENSB_INSC_ItEEEESG_tNS9_4plusIvEENS9_8equal_toIvEEtEE10hipError_tPvRmT2_T3_T4_T5_mT6_T7_P12ihipStream_tbENKUlT_T0_E_clISt17integral_constantIbLb0EES10_IbLb1EEEEDaSW_SX_EUlSW_E_NS1_11comp_targetILNS1_3genE10ELNS1_11target_archE1200ELNS1_3gpuE4ELNS1_3repE0EEENS1_30default_config_static_selectorELNS0_4arch9wavefront6targetE1EEEvT1_
                                        ; -- End function
	.section	.AMDGPU.csdata,"",@progbits
; Kernel info:
; codeLenInByte = 0
; NumSgprs: 4
; NumVgprs: 0
; NumAgprs: 0
; TotalNumVgprs: 0
; ScratchSize: 0
; MemoryBound: 0
; FloatMode: 240
; IeeeMode: 1
; LDSByteSize: 0 bytes/workgroup (compile time only)
; SGPRBlocks: 0
; VGPRBlocks: 0
; NumSGPRsForWavesPerEU: 4
; NumVGPRsForWavesPerEU: 1
; AccumOffset: 4
; Occupancy: 8
; WaveLimiterHint : 0
; COMPUTE_PGM_RSRC2:SCRATCH_EN: 0
; COMPUTE_PGM_RSRC2:USER_SGPR: 6
; COMPUTE_PGM_RSRC2:TRAP_HANDLER: 0
; COMPUTE_PGM_RSRC2:TGID_X_EN: 1
; COMPUTE_PGM_RSRC2:TGID_Y_EN: 0
; COMPUTE_PGM_RSRC2:TGID_Z_EN: 0
; COMPUTE_PGM_RSRC2:TIDIG_COMP_CNT: 0
; COMPUTE_PGM_RSRC3_GFX90A:ACCUM_OFFSET: 0
; COMPUTE_PGM_RSRC3_GFX90A:TG_SPLIT: 0
	.section	.text._ZN7rocprim17ROCPRIM_400000_NS6detail17trampoline_kernelINS0_14default_configENS1_27scan_by_key_config_selectorIitEEZZNS1_16scan_by_key_implILNS1_25lookback_scan_determinismE0ELb1ES3_N6thrust23THRUST_200600_302600_NS6detail15normal_iteratorINS9_10device_ptrIiEEEENSB_INSC_ItEEEESG_tNS9_4plusIvEENS9_8equal_toIvEEtEE10hipError_tPvRmT2_T3_T4_T5_mT6_T7_P12ihipStream_tbENKUlT_T0_E_clISt17integral_constantIbLb0EES10_IbLb1EEEEDaSW_SX_EUlSW_E_NS1_11comp_targetILNS1_3genE9ELNS1_11target_archE1100ELNS1_3gpuE3ELNS1_3repE0EEENS1_30default_config_static_selectorELNS0_4arch9wavefront6targetE1EEEvT1_,"axG",@progbits,_ZN7rocprim17ROCPRIM_400000_NS6detail17trampoline_kernelINS0_14default_configENS1_27scan_by_key_config_selectorIitEEZZNS1_16scan_by_key_implILNS1_25lookback_scan_determinismE0ELb1ES3_N6thrust23THRUST_200600_302600_NS6detail15normal_iteratorINS9_10device_ptrIiEEEENSB_INSC_ItEEEESG_tNS9_4plusIvEENS9_8equal_toIvEEtEE10hipError_tPvRmT2_T3_T4_T5_mT6_T7_P12ihipStream_tbENKUlT_T0_E_clISt17integral_constantIbLb0EES10_IbLb1EEEEDaSW_SX_EUlSW_E_NS1_11comp_targetILNS1_3genE9ELNS1_11target_archE1100ELNS1_3gpuE3ELNS1_3repE0EEENS1_30default_config_static_selectorELNS0_4arch9wavefront6targetE1EEEvT1_,comdat
	.protected	_ZN7rocprim17ROCPRIM_400000_NS6detail17trampoline_kernelINS0_14default_configENS1_27scan_by_key_config_selectorIitEEZZNS1_16scan_by_key_implILNS1_25lookback_scan_determinismE0ELb1ES3_N6thrust23THRUST_200600_302600_NS6detail15normal_iteratorINS9_10device_ptrIiEEEENSB_INSC_ItEEEESG_tNS9_4plusIvEENS9_8equal_toIvEEtEE10hipError_tPvRmT2_T3_T4_T5_mT6_T7_P12ihipStream_tbENKUlT_T0_E_clISt17integral_constantIbLb0EES10_IbLb1EEEEDaSW_SX_EUlSW_E_NS1_11comp_targetILNS1_3genE9ELNS1_11target_archE1100ELNS1_3gpuE3ELNS1_3repE0EEENS1_30default_config_static_selectorELNS0_4arch9wavefront6targetE1EEEvT1_ ; -- Begin function _ZN7rocprim17ROCPRIM_400000_NS6detail17trampoline_kernelINS0_14default_configENS1_27scan_by_key_config_selectorIitEEZZNS1_16scan_by_key_implILNS1_25lookback_scan_determinismE0ELb1ES3_N6thrust23THRUST_200600_302600_NS6detail15normal_iteratorINS9_10device_ptrIiEEEENSB_INSC_ItEEEESG_tNS9_4plusIvEENS9_8equal_toIvEEtEE10hipError_tPvRmT2_T3_T4_T5_mT6_T7_P12ihipStream_tbENKUlT_T0_E_clISt17integral_constantIbLb0EES10_IbLb1EEEEDaSW_SX_EUlSW_E_NS1_11comp_targetILNS1_3genE9ELNS1_11target_archE1100ELNS1_3gpuE3ELNS1_3repE0EEENS1_30default_config_static_selectorELNS0_4arch9wavefront6targetE1EEEvT1_
	.globl	_ZN7rocprim17ROCPRIM_400000_NS6detail17trampoline_kernelINS0_14default_configENS1_27scan_by_key_config_selectorIitEEZZNS1_16scan_by_key_implILNS1_25lookback_scan_determinismE0ELb1ES3_N6thrust23THRUST_200600_302600_NS6detail15normal_iteratorINS9_10device_ptrIiEEEENSB_INSC_ItEEEESG_tNS9_4plusIvEENS9_8equal_toIvEEtEE10hipError_tPvRmT2_T3_T4_T5_mT6_T7_P12ihipStream_tbENKUlT_T0_E_clISt17integral_constantIbLb0EES10_IbLb1EEEEDaSW_SX_EUlSW_E_NS1_11comp_targetILNS1_3genE9ELNS1_11target_archE1100ELNS1_3gpuE3ELNS1_3repE0EEENS1_30default_config_static_selectorELNS0_4arch9wavefront6targetE1EEEvT1_
	.p2align	8
	.type	_ZN7rocprim17ROCPRIM_400000_NS6detail17trampoline_kernelINS0_14default_configENS1_27scan_by_key_config_selectorIitEEZZNS1_16scan_by_key_implILNS1_25lookback_scan_determinismE0ELb1ES3_N6thrust23THRUST_200600_302600_NS6detail15normal_iteratorINS9_10device_ptrIiEEEENSB_INSC_ItEEEESG_tNS9_4plusIvEENS9_8equal_toIvEEtEE10hipError_tPvRmT2_T3_T4_T5_mT6_T7_P12ihipStream_tbENKUlT_T0_E_clISt17integral_constantIbLb0EES10_IbLb1EEEEDaSW_SX_EUlSW_E_NS1_11comp_targetILNS1_3genE9ELNS1_11target_archE1100ELNS1_3gpuE3ELNS1_3repE0EEENS1_30default_config_static_selectorELNS0_4arch9wavefront6targetE1EEEvT1_,@function
_ZN7rocprim17ROCPRIM_400000_NS6detail17trampoline_kernelINS0_14default_configENS1_27scan_by_key_config_selectorIitEEZZNS1_16scan_by_key_implILNS1_25lookback_scan_determinismE0ELb1ES3_N6thrust23THRUST_200600_302600_NS6detail15normal_iteratorINS9_10device_ptrIiEEEENSB_INSC_ItEEEESG_tNS9_4plusIvEENS9_8equal_toIvEEtEE10hipError_tPvRmT2_T3_T4_T5_mT6_T7_P12ihipStream_tbENKUlT_T0_E_clISt17integral_constantIbLb0EES10_IbLb1EEEEDaSW_SX_EUlSW_E_NS1_11comp_targetILNS1_3genE9ELNS1_11target_archE1100ELNS1_3gpuE3ELNS1_3repE0EEENS1_30default_config_static_selectorELNS0_4arch9wavefront6targetE1EEEvT1_: ; @_ZN7rocprim17ROCPRIM_400000_NS6detail17trampoline_kernelINS0_14default_configENS1_27scan_by_key_config_selectorIitEEZZNS1_16scan_by_key_implILNS1_25lookback_scan_determinismE0ELb1ES3_N6thrust23THRUST_200600_302600_NS6detail15normal_iteratorINS9_10device_ptrIiEEEENSB_INSC_ItEEEESG_tNS9_4plusIvEENS9_8equal_toIvEEtEE10hipError_tPvRmT2_T3_T4_T5_mT6_T7_P12ihipStream_tbENKUlT_T0_E_clISt17integral_constantIbLb0EES10_IbLb1EEEEDaSW_SX_EUlSW_E_NS1_11comp_targetILNS1_3genE9ELNS1_11target_archE1100ELNS1_3gpuE3ELNS1_3repE0EEENS1_30default_config_static_selectorELNS0_4arch9wavefront6targetE1EEEvT1_
; %bb.0:
	.section	.rodata,"a",@progbits
	.p2align	6, 0x0
	.amdhsa_kernel _ZN7rocprim17ROCPRIM_400000_NS6detail17trampoline_kernelINS0_14default_configENS1_27scan_by_key_config_selectorIitEEZZNS1_16scan_by_key_implILNS1_25lookback_scan_determinismE0ELb1ES3_N6thrust23THRUST_200600_302600_NS6detail15normal_iteratorINS9_10device_ptrIiEEEENSB_INSC_ItEEEESG_tNS9_4plusIvEENS9_8equal_toIvEEtEE10hipError_tPvRmT2_T3_T4_T5_mT6_T7_P12ihipStream_tbENKUlT_T0_E_clISt17integral_constantIbLb0EES10_IbLb1EEEEDaSW_SX_EUlSW_E_NS1_11comp_targetILNS1_3genE9ELNS1_11target_archE1100ELNS1_3gpuE3ELNS1_3repE0EEENS1_30default_config_static_selectorELNS0_4arch9wavefront6targetE1EEEvT1_
		.amdhsa_group_segment_fixed_size 0
		.amdhsa_private_segment_fixed_size 0
		.amdhsa_kernarg_size 112
		.amdhsa_user_sgpr_count 6
		.amdhsa_user_sgpr_private_segment_buffer 1
		.amdhsa_user_sgpr_dispatch_ptr 0
		.amdhsa_user_sgpr_queue_ptr 0
		.amdhsa_user_sgpr_kernarg_segment_ptr 1
		.amdhsa_user_sgpr_dispatch_id 0
		.amdhsa_user_sgpr_flat_scratch_init 0
		.amdhsa_user_sgpr_kernarg_preload_length 0
		.amdhsa_user_sgpr_kernarg_preload_offset 0
		.amdhsa_user_sgpr_private_segment_size 0
		.amdhsa_uses_dynamic_stack 0
		.amdhsa_system_sgpr_private_segment_wavefront_offset 0
		.amdhsa_system_sgpr_workgroup_id_x 1
		.amdhsa_system_sgpr_workgroup_id_y 0
		.amdhsa_system_sgpr_workgroup_id_z 0
		.amdhsa_system_sgpr_workgroup_info 0
		.amdhsa_system_vgpr_workitem_id 0
		.amdhsa_next_free_vgpr 1
		.amdhsa_next_free_sgpr 0
		.amdhsa_accum_offset 4
		.amdhsa_reserve_vcc 0
		.amdhsa_reserve_flat_scratch 0
		.amdhsa_float_round_mode_32 0
		.amdhsa_float_round_mode_16_64 0
		.amdhsa_float_denorm_mode_32 3
		.amdhsa_float_denorm_mode_16_64 3
		.amdhsa_dx10_clamp 1
		.amdhsa_ieee_mode 1
		.amdhsa_fp16_overflow 0
		.amdhsa_tg_split 0
		.amdhsa_exception_fp_ieee_invalid_op 0
		.amdhsa_exception_fp_denorm_src 0
		.amdhsa_exception_fp_ieee_div_zero 0
		.amdhsa_exception_fp_ieee_overflow 0
		.amdhsa_exception_fp_ieee_underflow 0
		.amdhsa_exception_fp_ieee_inexact 0
		.amdhsa_exception_int_div_zero 0
	.end_amdhsa_kernel
	.section	.text._ZN7rocprim17ROCPRIM_400000_NS6detail17trampoline_kernelINS0_14default_configENS1_27scan_by_key_config_selectorIitEEZZNS1_16scan_by_key_implILNS1_25lookback_scan_determinismE0ELb1ES3_N6thrust23THRUST_200600_302600_NS6detail15normal_iteratorINS9_10device_ptrIiEEEENSB_INSC_ItEEEESG_tNS9_4plusIvEENS9_8equal_toIvEEtEE10hipError_tPvRmT2_T3_T4_T5_mT6_T7_P12ihipStream_tbENKUlT_T0_E_clISt17integral_constantIbLb0EES10_IbLb1EEEEDaSW_SX_EUlSW_E_NS1_11comp_targetILNS1_3genE9ELNS1_11target_archE1100ELNS1_3gpuE3ELNS1_3repE0EEENS1_30default_config_static_selectorELNS0_4arch9wavefront6targetE1EEEvT1_,"axG",@progbits,_ZN7rocprim17ROCPRIM_400000_NS6detail17trampoline_kernelINS0_14default_configENS1_27scan_by_key_config_selectorIitEEZZNS1_16scan_by_key_implILNS1_25lookback_scan_determinismE0ELb1ES3_N6thrust23THRUST_200600_302600_NS6detail15normal_iteratorINS9_10device_ptrIiEEEENSB_INSC_ItEEEESG_tNS9_4plusIvEENS9_8equal_toIvEEtEE10hipError_tPvRmT2_T3_T4_T5_mT6_T7_P12ihipStream_tbENKUlT_T0_E_clISt17integral_constantIbLb0EES10_IbLb1EEEEDaSW_SX_EUlSW_E_NS1_11comp_targetILNS1_3genE9ELNS1_11target_archE1100ELNS1_3gpuE3ELNS1_3repE0EEENS1_30default_config_static_selectorELNS0_4arch9wavefront6targetE1EEEvT1_,comdat
.Lfunc_end1569:
	.size	_ZN7rocprim17ROCPRIM_400000_NS6detail17trampoline_kernelINS0_14default_configENS1_27scan_by_key_config_selectorIitEEZZNS1_16scan_by_key_implILNS1_25lookback_scan_determinismE0ELb1ES3_N6thrust23THRUST_200600_302600_NS6detail15normal_iteratorINS9_10device_ptrIiEEEENSB_INSC_ItEEEESG_tNS9_4plusIvEENS9_8equal_toIvEEtEE10hipError_tPvRmT2_T3_T4_T5_mT6_T7_P12ihipStream_tbENKUlT_T0_E_clISt17integral_constantIbLb0EES10_IbLb1EEEEDaSW_SX_EUlSW_E_NS1_11comp_targetILNS1_3genE9ELNS1_11target_archE1100ELNS1_3gpuE3ELNS1_3repE0EEENS1_30default_config_static_selectorELNS0_4arch9wavefront6targetE1EEEvT1_, .Lfunc_end1569-_ZN7rocprim17ROCPRIM_400000_NS6detail17trampoline_kernelINS0_14default_configENS1_27scan_by_key_config_selectorIitEEZZNS1_16scan_by_key_implILNS1_25lookback_scan_determinismE0ELb1ES3_N6thrust23THRUST_200600_302600_NS6detail15normal_iteratorINS9_10device_ptrIiEEEENSB_INSC_ItEEEESG_tNS9_4plusIvEENS9_8equal_toIvEEtEE10hipError_tPvRmT2_T3_T4_T5_mT6_T7_P12ihipStream_tbENKUlT_T0_E_clISt17integral_constantIbLb0EES10_IbLb1EEEEDaSW_SX_EUlSW_E_NS1_11comp_targetILNS1_3genE9ELNS1_11target_archE1100ELNS1_3gpuE3ELNS1_3repE0EEENS1_30default_config_static_selectorELNS0_4arch9wavefront6targetE1EEEvT1_
                                        ; -- End function
	.section	.AMDGPU.csdata,"",@progbits
; Kernel info:
; codeLenInByte = 0
; NumSgprs: 4
; NumVgprs: 0
; NumAgprs: 0
; TotalNumVgprs: 0
; ScratchSize: 0
; MemoryBound: 0
; FloatMode: 240
; IeeeMode: 1
; LDSByteSize: 0 bytes/workgroup (compile time only)
; SGPRBlocks: 0
; VGPRBlocks: 0
; NumSGPRsForWavesPerEU: 4
; NumVGPRsForWavesPerEU: 1
; AccumOffset: 4
; Occupancy: 8
; WaveLimiterHint : 0
; COMPUTE_PGM_RSRC2:SCRATCH_EN: 0
; COMPUTE_PGM_RSRC2:USER_SGPR: 6
; COMPUTE_PGM_RSRC2:TRAP_HANDLER: 0
; COMPUTE_PGM_RSRC2:TGID_X_EN: 1
; COMPUTE_PGM_RSRC2:TGID_Y_EN: 0
; COMPUTE_PGM_RSRC2:TGID_Z_EN: 0
; COMPUTE_PGM_RSRC2:TIDIG_COMP_CNT: 0
; COMPUTE_PGM_RSRC3_GFX90A:ACCUM_OFFSET: 0
; COMPUTE_PGM_RSRC3_GFX90A:TG_SPLIT: 0
	.section	.text._ZN7rocprim17ROCPRIM_400000_NS6detail17trampoline_kernelINS0_14default_configENS1_27scan_by_key_config_selectorIitEEZZNS1_16scan_by_key_implILNS1_25lookback_scan_determinismE0ELb1ES3_N6thrust23THRUST_200600_302600_NS6detail15normal_iteratorINS9_10device_ptrIiEEEENSB_INSC_ItEEEESG_tNS9_4plusIvEENS9_8equal_toIvEEtEE10hipError_tPvRmT2_T3_T4_T5_mT6_T7_P12ihipStream_tbENKUlT_T0_E_clISt17integral_constantIbLb0EES10_IbLb1EEEEDaSW_SX_EUlSW_E_NS1_11comp_targetILNS1_3genE8ELNS1_11target_archE1030ELNS1_3gpuE2ELNS1_3repE0EEENS1_30default_config_static_selectorELNS0_4arch9wavefront6targetE1EEEvT1_,"axG",@progbits,_ZN7rocprim17ROCPRIM_400000_NS6detail17trampoline_kernelINS0_14default_configENS1_27scan_by_key_config_selectorIitEEZZNS1_16scan_by_key_implILNS1_25lookback_scan_determinismE0ELb1ES3_N6thrust23THRUST_200600_302600_NS6detail15normal_iteratorINS9_10device_ptrIiEEEENSB_INSC_ItEEEESG_tNS9_4plusIvEENS9_8equal_toIvEEtEE10hipError_tPvRmT2_T3_T4_T5_mT6_T7_P12ihipStream_tbENKUlT_T0_E_clISt17integral_constantIbLb0EES10_IbLb1EEEEDaSW_SX_EUlSW_E_NS1_11comp_targetILNS1_3genE8ELNS1_11target_archE1030ELNS1_3gpuE2ELNS1_3repE0EEENS1_30default_config_static_selectorELNS0_4arch9wavefront6targetE1EEEvT1_,comdat
	.protected	_ZN7rocprim17ROCPRIM_400000_NS6detail17trampoline_kernelINS0_14default_configENS1_27scan_by_key_config_selectorIitEEZZNS1_16scan_by_key_implILNS1_25lookback_scan_determinismE0ELb1ES3_N6thrust23THRUST_200600_302600_NS6detail15normal_iteratorINS9_10device_ptrIiEEEENSB_INSC_ItEEEESG_tNS9_4plusIvEENS9_8equal_toIvEEtEE10hipError_tPvRmT2_T3_T4_T5_mT6_T7_P12ihipStream_tbENKUlT_T0_E_clISt17integral_constantIbLb0EES10_IbLb1EEEEDaSW_SX_EUlSW_E_NS1_11comp_targetILNS1_3genE8ELNS1_11target_archE1030ELNS1_3gpuE2ELNS1_3repE0EEENS1_30default_config_static_selectorELNS0_4arch9wavefront6targetE1EEEvT1_ ; -- Begin function _ZN7rocprim17ROCPRIM_400000_NS6detail17trampoline_kernelINS0_14default_configENS1_27scan_by_key_config_selectorIitEEZZNS1_16scan_by_key_implILNS1_25lookback_scan_determinismE0ELb1ES3_N6thrust23THRUST_200600_302600_NS6detail15normal_iteratorINS9_10device_ptrIiEEEENSB_INSC_ItEEEESG_tNS9_4plusIvEENS9_8equal_toIvEEtEE10hipError_tPvRmT2_T3_T4_T5_mT6_T7_P12ihipStream_tbENKUlT_T0_E_clISt17integral_constantIbLb0EES10_IbLb1EEEEDaSW_SX_EUlSW_E_NS1_11comp_targetILNS1_3genE8ELNS1_11target_archE1030ELNS1_3gpuE2ELNS1_3repE0EEENS1_30default_config_static_selectorELNS0_4arch9wavefront6targetE1EEEvT1_
	.globl	_ZN7rocprim17ROCPRIM_400000_NS6detail17trampoline_kernelINS0_14default_configENS1_27scan_by_key_config_selectorIitEEZZNS1_16scan_by_key_implILNS1_25lookback_scan_determinismE0ELb1ES3_N6thrust23THRUST_200600_302600_NS6detail15normal_iteratorINS9_10device_ptrIiEEEENSB_INSC_ItEEEESG_tNS9_4plusIvEENS9_8equal_toIvEEtEE10hipError_tPvRmT2_T3_T4_T5_mT6_T7_P12ihipStream_tbENKUlT_T0_E_clISt17integral_constantIbLb0EES10_IbLb1EEEEDaSW_SX_EUlSW_E_NS1_11comp_targetILNS1_3genE8ELNS1_11target_archE1030ELNS1_3gpuE2ELNS1_3repE0EEENS1_30default_config_static_selectorELNS0_4arch9wavefront6targetE1EEEvT1_
	.p2align	8
	.type	_ZN7rocprim17ROCPRIM_400000_NS6detail17trampoline_kernelINS0_14default_configENS1_27scan_by_key_config_selectorIitEEZZNS1_16scan_by_key_implILNS1_25lookback_scan_determinismE0ELb1ES3_N6thrust23THRUST_200600_302600_NS6detail15normal_iteratorINS9_10device_ptrIiEEEENSB_INSC_ItEEEESG_tNS9_4plusIvEENS9_8equal_toIvEEtEE10hipError_tPvRmT2_T3_T4_T5_mT6_T7_P12ihipStream_tbENKUlT_T0_E_clISt17integral_constantIbLb0EES10_IbLb1EEEEDaSW_SX_EUlSW_E_NS1_11comp_targetILNS1_3genE8ELNS1_11target_archE1030ELNS1_3gpuE2ELNS1_3repE0EEENS1_30default_config_static_selectorELNS0_4arch9wavefront6targetE1EEEvT1_,@function
_ZN7rocprim17ROCPRIM_400000_NS6detail17trampoline_kernelINS0_14default_configENS1_27scan_by_key_config_selectorIitEEZZNS1_16scan_by_key_implILNS1_25lookback_scan_determinismE0ELb1ES3_N6thrust23THRUST_200600_302600_NS6detail15normal_iteratorINS9_10device_ptrIiEEEENSB_INSC_ItEEEESG_tNS9_4plusIvEENS9_8equal_toIvEEtEE10hipError_tPvRmT2_T3_T4_T5_mT6_T7_P12ihipStream_tbENKUlT_T0_E_clISt17integral_constantIbLb0EES10_IbLb1EEEEDaSW_SX_EUlSW_E_NS1_11comp_targetILNS1_3genE8ELNS1_11target_archE1030ELNS1_3gpuE2ELNS1_3repE0EEENS1_30default_config_static_selectorELNS0_4arch9wavefront6targetE1EEEvT1_: ; @_ZN7rocprim17ROCPRIM_400000_NS6detail17trampoline_kernelINS0_14default_configENS1_27scan_by_key_config_selectorIitEEZZNS1_16scan_by_key_implILNS1_25lookback_scan_determinismE0ELb1ES3_N6thrust23THRUST_200600_302600_NS6detail15normal_iteratorINS9_10device_ptrIiEEEENSB_INSC_ItEEEESG_tNS9_4plusIvEENS9_8equal_toIvEEtEE10hipError_tPvRmT2_T3_T4_T5_mT6_T7_P12ihipStream_tbENKUlT_T0_E_clISt17integral_constantIbLb0EES10_IbLb1EEEEDaSW_SX_EUlSW_E_NS1_11comp_targetILNS1_3genE8ELNS1_11target_archE1030ELNS1_3gpuE2ELNS1_3repE0EEENS1_30default_config_static_selectorELNS0_4arch9wavefront6targetE1EEEvT1_
; %bb.0:
	.section	.rodata,"a",@progbits
	.p2align	6, 0x0
	.amdhsa_kernel _ZN7rocprim17ROCPRIM_400000_NS6detail17trampoline_kernelINS0_14default_configENS1_27scan_by_key_config_selectorIitEEZZNS1_16scan_by_key_implILNS1_25lookback_scan_determinismE0ELb1ES3_N6thrust23THRUST_200600_302600_NS6detail15normal_iteratorINS9_10device_ptrIiEEEENSB_INSC_ItEEEESG_tNS9_4plusIvEENS9_8equal_toIvEEtEE10hipError_tPvRmT2_T3_T4_T5_mT6_T7_P12ihipStream_tbENKUlT_T0_E_clISt17integral_constantIbLb0EES10_IbLb1EEEEDaSW_SX_EUlSW_E_NS1_11comp_targetILNS1_3genE8ELNS1_11target_archE1030ELNS1_3gpuE2ELNS1_3repE0EEENS1_30default_config_static_selectorELNS0_4arch9wavefront6targetE1EEEvT1_
		.amdhsa_group_segment_fixed_size 0
		.amdhsa_private_segment_fixed_size 0
		.amdhsa_kernarg_size 112
		.amdhsa_user_sgpr_count 6
		.amdhsa_user_sgpr_private_segment_buffer 1
		.amdhsa_user_sgpr_dispatch_ptr 0
		.amdhsa_user_sgpr_queue_ptr 0
		.amdhsa_user_sgpr_kernarg_segment_ptr 1
		.amdhsa_user_sgpr_dispatch_id 0
		.amdhsa_user_sgpr_flat_scratch_init 0
		.amdhsa_user_sgpr_kernarg_preload_length 0
		.amdhsa_user_sgpr_kernarg_preload_offset 0
		.amdhsa_user_sgpr_private_segment_size 0
		.amdhsa_uses_dynamic_stack 0
		.amdhsa_system_sgpr_private_segment_wavefront_offset 0
		.amdhsa_system_sgpr_workgroup_id_x 1
		.amdhsa_system_sgpr_workgroup_id_y 0
		.amdhsa_system_sgpr_workgroup_id_z 0
		.amdhsa_system_sgpr_workgroup_info 0
		.amdhsa_system_vgpr_workitem_id 0
		.amdhsa_next_free_vgpr 1
		.amdhsa_next_free_sgpr 0
		.amdhsa_accum_offset 4
		.amdhsa_reserve_vcc 0
		.amdhsa_reserve_flat_scratch 0
		.amdhsa_float_round_mode_32 0
		.amdhsa_float_round_mode_16_64 0
		.amdhsa_float_denorm_mode_32 3
		.amdhsa_float_denorm_mode_16_64 3
		.amdhsa_dx10_clamp 1
		.amdhsa_ieee_mode 1
		.amdhsa_fp16_overflow 0
		.amdhsa_tg_split 0
		.amdhsa_exception_fp_ieee_invalid_op 0
		.amdhsa_exception_fp_denorm_src 0
		.amdhsa_exception_fp_ieee_div_zero 0
		.amdhsa_exception_fp_ieee_overflow 0
		.amdhsa_exception_fp_ieee_underflow 0
		.amdhsa_exception_fp_ieee_inexact 0
		.amdhsa_exception_int_div_zero 0
	.end_amdhsa_kernel
	.section	.text._ZN7rocprim17ROCPRIM_400000_NS6detail17trampoline_kernelINS0_14default_configENS1_27scan_by_key_config_selectorIitEEZZNS1_16scan_by_key_implILNS1_25lookback_scan_determinismE0ELb1ES3_N6thrust23THRUST_200600_302600_NS6detail15normal_iteratorINS9_10device_ptrIiEEEENSB_INSC_ItEEEESG_tNS9_4plusIvEENS9_8equal_toIvEEtEE10hipError_tPvRmT2_T3_T4_T5_mT6_T7_P12ihipStream_tbENKUlT_T0_E_clISt17integral_constantIbLb0EES10_IbLb1EEEEDaSW_SX_EUlSW_E_NS1_11comp_targetILNS1_3genE8ELNS1_11target_archE1030ELNS1_3gpuE2ELNS1_3repE0EEENS1_30default_config_static_selectorELNS0_4arch9wavefront6targetE1EEEvT1_,"axG",@progbits,_ZN7rocprim17ROCPRIM_400000_NS6detail17trampoline_kernelINS0_14default_configENS1_27scan_by_key_config_selectorIitEEZZNS1_16scan_by_key_implILNS1_25lookback_scan_determinismE0ELb1ES3_N6thrust23THRUST_200600_302600_NS6detail15normal_iteratorINS9_10device_ptrIiEEEENSB_INSC_ItEEEESG_tNS9_4plusIvEENS9_8equal_toIvEEtEE10hipError_tPvRmT2_T3_T4_T5_mT6_T7_P12ihipStream_tbENKUlT_T0_E_clISt17integral_constantIbLb0EES10_IbLb1EEEEDaSW_SX_EUlSW_E_NS1_11comp_targetILNS1_3genE8ELNS1_11target_archE1030ELNS1_3gpuE2ELNS1_3repE0EEENS1_30default_config_static_selectorELNS0_4arch9wavefront6targetE1EEEvT1_,comdat
.Lfunc_end1570:
	.size	_ZN7rocprim17ROCPRIM_400000_NS6detail17trampoline_kernelINS0_14default_configENS1_27scan_by_key_config_selectorIitEEZZNS1_16scan_by_key_implILNS1_25lookback_scan_determinismE0ELb1ES3_N6thrust23THRUST_200600_302600_NS6detail15normal_iteratorINS9_10device_ptrIiEEEENSB_INSC_ItEEEESG_tNS9_4plusIvEENS9_8equal_toIvEEtEE10hipError_tPvRmT2_T3_T4_T5_mT6_T7_P12ihipStream_tbENKUlT_T0_E_clISt17integral_constantIbLb0EES10_IbLb1EEEEDaSW_SX_EUlSW_E_NS1_11comp_targetILNS1_3genE8ELNS1_11target_archE1030ELNS1_3gpuE2ELNS1_3repE0EEENS1_30default_config_static_selectorELNS0_4arch9wavefront6targetE1EEEvT1_, .Lfunc_end1570-_ZN7rocprim17ROCPRIM_400000_NS6detail17trampoline_kernelINS0_14default_configENS1_27scan_by_key_config_selectorIitEEZZNS1_16scan_by_key_implILNS1_25lookback_scan_determinismE0ELb1ES3_N6thrust23THRUST_200600_302600_NS6detail15normal_iteratorINS9_10device_ptrIiEEEENSB_INSC_ItEEEESG_tNS9_4plusIvEENS9_8equal_toIvEEtEE10hipError_tPvRmT2_T3_T4_T5_mT6_T7_P12ihipStream_tbENKUlT_T0_E_clISt17integral_constantIbLb0EES10_IbLb1EEEEDaSW_SX_EUlSW_E_NS1_11comp_targetILNS1_3genE8ELNS1_11target_archE1030ELNS1_3gpuE2ELNS1_3repE0EEENS1_30default_config_static_selectorELNS0_4arch9wavefront6targetE1EEEvT1_
                                        ; -- End function
	.section	.AMDGPU.csdata,"",@progbits
; Kernel info:
; codeLenInByte = 0
; NumSgprs: 4
; NumVgprs: 0
; NumAgprs: 0
; TotalNumVgprs: 0
; ScratchSize: 0
; MemoryBound: 0
; FloatMode: 240
; IeeeMode: 1
; LDSByteSize: 0 bytes/workgroup (compile time only)
; SGPRBlocks: 0
; VGPRBlocks: 0
; NumSGPRsForWavesPerEU: 4
; NumVGPRsForWavesPerEU: 1
; AccumOffset: 4
; Occupancy: 8
; WaveLimiterHint : 0
; COMPUTE_PGM_RSRC2:SCRATCH_EN: 0
; COMPUTE_PGM_RSRC2:USER_SGPR: 6
; COMPUTE_PGM_RSRC2:TRAP_HANDLER: 0
; COMPUTE_PGM_RSRC2:TGID_X_EN: 1
; COMPUTE_PGM_RSRC2:TGID_Y_EN: 0
; COMPUTE_PGM_RSRC2:TGID_Z_EN: 0
; COMPUTE_PGM_RSRC2:TIDIG_COMP_CNT: 0
; COMPUTE_PGM_RSRC3_GFX90A:ACCUM_OFFSET: 0
; COMPUTE_PGM_RSRC3_GFX90A:TG_SPLIT: 0
	.section	.text._ZN7rocprim17ROCPRIM_400000_NS6detail17trampoline_kernelINS0_14default_configENS1_27scan_by_key_config_selectorIixEEZZNS1_16scan_by_key_implILNS1_25lookback_scan_determinismE0ELb1ES3_N6thrust23THRUST_200600_302600_NS6detail15normal_iteratorINS9_10device_ptrIiEEEENSB_INSC_IxEEEESG_xNS9_4plusIvEENS9_8equal_toIvEExEE10hipError_tPvRmT2_T3_T4_T5_mT6_T7_P12ihipStream_tbENKUlT_T0_E_clISt17integral_constantIbLb0EES11_EEDaSW_SX_EUlSW_E_NS1_11comp_targetILNS1_3genE0ELNS1_11target_archE4294967295ELNS1_3gpuE0ELNS1_3repE0EEENS1_30default_config_static_selectorELNS0_4arch9wavefront6targetE1EEEvT1_,"axG",@progbits,_ZN7rocprim17ROCPRIM_400000_NS6detail17trampoline_kernelINS0_14default_configENS1_27scan_by_key_config_selectorIixEEZZNS1_16scan_by_key_implILNS1_25lookback_scan_determinismE0ELb1ES3_N6thrust23THRUST_200600_302600_NS6detail15normal_iteratorINS9_10device_ptrIiEEEENSB_INSC_IxEEEESG_xNS9_4plusIvEENS9_8equal_toIvEExEE10hipError_tPvRmT2_T3_T4_T5_mT6_T7_P12ihipStream_tbENKUlT_T0_E_clISt17integral_constantIbLb0EES11_EEDaSW_SX_EUlSW_E_NS1_11comp_targetILNS1_3genE0ELNS1_11target_archE4294967295ELNS1_3gpuE0ELNS1_3repE0EEENS1_30default_config_static_selectorELNS0_4arch9wavefront6targetE1EEEvT1_,comdat
	.protected	_ZN7rocprim17ROCPRIM_400000_NS6detail17trampoline_kernelINS0_14default_configENS1_27scan_by_key_config_selectorIixEEZZNS1_16scan_by_key_implILNS1_25lookback_scan_determinismE0ELb1ES3_N6thrust23THRUST_200600_302600_NS6detail15normal_iteratorINS9_10device_ptrIiEEEENSB_INSC_IxEEEESG_xNS9_4plusIvEENS9_8equal_toIvEExEE10hipError_tPvRmT2_T3_T4_T5_mT6_T7_P12ihipStream_tbENKUlT_T0_E_clISt17integral_constantIbLb0EES11_EEDaSW_SX_EUlSW_E_NS1_11comp_targetILNS1_3genE0ELNS1_11target_archE4294967295ELNS1_3gpuE0ELNS1_3repE0EEENS1_30default_config_static_selectorELNS0_4arch9wavefront6targetE1EEEvT1_ ; -- Begin function _ZN7rocprim17ROCPRIM_400000_NS6detail17trampoline_kernelINS0_14default_configENS1_27scan_by_key_config_selectorIixEEZZNS1_16scan_by_key_implILNS1_25lookback_scan_determinismE0ELb1ES3_N6thrust23THRUST_200600_302600_NS6detail15normal_iteratorINS9_10device_ptrIiEEEENSB_INSC_IxEEEESG_xNS9_4plusIvEENS9_8equal_toIvEExEE10hipError_tPvRmT2_T3_T4_T5_mT6_T7_P12ihipStream_tbENKUlT_T0_E_clISt17integral_constantIbLb0EES11_EEDaSW_SX_EUlSW_E_NS1_11comp_targetILNS1_3genE0ELNS1_11target_archE4294967295ELNS1_3gpuE0ELNS1_3repE0EEENS1_30default_config_static_selectorELNS0_4arch9wavefront6targetE1EEEvT1_
	.globl	_ZN7rocprim17ROCPRIM_400000_NS6detail17trampoline_kernelINS0_14default_configENS1_27scan_by_key_config_selectorIixEEZZNS1_16scan_by_key_implILNS1_25lookback_scan_determinismE0ELb1ES3_N6thrust23THRUST_200600_302600_NS6detail15normal_iteratorINS9_10device_ptrIiEEEENSB_INSC_IxEEEESG_xNS9_4plusIvEENS9_8equal_toIvEExEE10hipError_tPvRmT2_T3_T4_T5_mT6_T7_P12ihipStream_tbENKUlT_T0_E_clISt17integral_constantIbLb0EES11_EEDaSW_SX_EUlSW_E_NS1_11comp_targetILNS1_3genE0ELNS1_11target_archE4294967295ELNS1_3gpuE0ELNS1_3repE0EEENS1_30default_config_static_selectorELNS0_4arch9wavefront6targetE1EEEvT1_
	.p2align	8
	.type	_ZN7rocprim17ROCPRIM_400000_NS6detail17trampoline_kernelINS0_14default_configENS1_27scan_by_key_config_selectorIixEEZZNS1_16scan_by_key_implILNS1_25lookback_scan_determinismE0ELb1ES3_N6thrust23THRUST_200600_302600_NS6detail15normal_iteratorINS9_10device_ptrIiEEEENSB_INSC_IxEEEESG_xNS9_4plusIvEENS9_8equal_toIvEExEE10hipError_tPvRmT2_T3_T4_T5_mT6_T7_P12ihipStream_tbENKUlT_T0_E_clISt17integral_constantIbLb0EES11_EEDaSW_SX_EUlSW_E_NS1_11comp_targetILNS1_3genE0ELNS1_11target_archE4294967295ELNS1_3gpuE0ELNS1_3repE0EEENS1_30default_config_static_selectorELNS0_4arch9wavefront6targetE1EEEvT1_,@function
_ZN7rocprim17ROCPRIM_400000_NS6detail17trampoline_kernelINS0_14default_configENS1_27scan_by_key_config_selectorIixEEZZNS1_16scan_by_key_implILNS1_25lookback_scan_determinismE0ELb1ES3_N6thrust23THRUST_200600_302600_NS6detail15normal_iteratorINS9_10device_ptrIiEEEENSB_INSC_IxEEEESG_xNS9_4plusIvEENS9_8equal_toIvEExEE10hipError_tPvRmT2_T3_T4_T5_mT6_T7_P12ihipStream_tbENKUlT_T0_E_clISt17integral_constantIbLb0EES11_EEDaSW_SX_EUlSW_E_NS1_11comp_targetILNS1_3genE0ELNS1_11target_archE4294967295ELNS1_3gpuE0ELNS1_3repE0EEENS1_30default_config_static_selectorELNS0_4arch9wavefront6targetE1EEEvT1_: ; @_ZN7rocprim17ROCPRIM_400000_NS6detail17trampoline_kernelINS0_14default_configENS1_27scan_by_key_config_selectorIixEEZZNS1_16scan_by_key_implILNS1_25lookback_scan_determinismE0ELb1ES3_N6thrust23THRUST_200600_302600_NS6detail15normal_iteratorINS9_10device_ptrIiEEEENSB_INSC_IxEEEESG_xNS9_4plusIvEENS9_8equal_toIvEExEE10hipError_tPvRmT2_T3_T4_T5_mT6_T7_P12ihipStream_tbENKUlT_T0_E_clISt17integral_constantIbLb0EES11_EEDaSW_SX_EUlSW_E_NS1_11comp_targetILNS1_3genE0ELNS1_11target_archE4294967295ELNS1_3gpuE0ELNS1_3repE0EEENS1_30default_config_static_selectorELNS0_4arch9wavefront6targetE1EEEvT1_
; %bb.0:
	.section	.rodata,"a",@progbits
	.p2align	6, 0x0
	.amdhsa_kernel _ZN7rocprim17ROCPRIM_400000_NS6detail17trampoline_kernelINS0_14default_configENS1_27scan_by_key_config_selectorIixEEZZNS1_16scan_by_key_implILNS1_25lookback_scan_determinismE0ELb1ES3_N6thrust23THRUST_200600_302600_NS6detail15normal_iteratorINS9_10device_ptrIiEEEENSB_INSC_IxEEEESG_xNS9_4plusIvEENS9_8equal_toIvEExEE10hipError_tPvRmT2_T3_T4_T5_mT6_T7_P12ihipStream_tbENKUlT_T0_E_clISt17integral_constantIbLb0EES11_EEDaSW_SX_EUlSW_E_NS1_11comp_targetILNS1_3genE0ELNS1_11target_archE4294967295ELNS1_3gpuE0ELNS1_3repE0EEENS1_30default_config_static_selectorELNS0_4arch9wavefront6targetE1EEEvT1_
		.amdhsa_group_segment_fixed_size 0
		.amdhsa_private_segment_fixed_size 0
		.amdhsa_kernarg_size 136
		.amdhsa_user_sgpr_count 6
		.amdhsa_user_sgpr_private_segment_buffer 1
		.amdhsa_user_sgpr_dispatch_ptr 0
		.amdhsa_user_sgpr_queue_ptr 0
		.amdhsa_user_sgpr_kernarg_segment_ptr 1
		.amdhsa_user_sgpr_dispatch_id 0
		.amdhsa_user_sgpr_flat_scratch_init 0
		.amdhsa_user_sgpr_kernarg_preload_length 0
		.amdhsa_user_sgpr_kernarg_preload_offset 0
		.amdhsa_user_sgpr_private_segment_size 0
		.amdhsa_uses_dynamic_stack 0
		.amdhsa_system_sgpr_private_segment_wavefront_offset 0
		.amdhsa_system_sgpr_workgroup_id_x 1
		.amdhsa_system_sgpr_workgroup_id_y 0
		.amdhsa_system_sgpr_workgroup_id_z 0
		.amdhsa_system_sgpr_workgroup_info 0
		.amdhsa_system_vgpr_workitem_id 0
		.amdhsa_next_free_vgpr 1
		.amdhsa_next_free_sgpr 0
		.amdhsa_accum_offset 4
		.amdhsa_reserve_vcc 0
		.amdhsa_reserve_flat_scratch 0
		.amdhsa_float_round_mode_32 0
		.amdhsa_float_round_mode_16_64 0
		.amdhsa_float_denorm_mode_32 3
		.amdhsa_float_denorm_mode_16_64 3
		.amdhsa_dx10_clamp 1
		.amdhsa_ieee_mode 1
		.amdhsa_fp16_overflow 0
		.amdhsa_tg_split 0
		.amdhsa_exception_fp_ieee_invalid_op 0
		.amdhsa_exception_fp_denorm_src 0
		.amdhsa_exception_fp_ieee_div_zero 0
		.amdhsa_exception_fp_ieee_overflow 0
		.amdhsa_exception_fp_ieee_underflow 0
		.amdhsa_exception_fp_ieee_inexact 0
		.amdhsa_exception_int_div_zero 0
	.end_amdhsa_kernel
	.section	.text._ZN7rocprim17ROCPRIM_400000_NS6detail17trampoline_kernelINS0_14default_configENS1_27scan_by_key_config_selectorIixEEZZNS1_16scan_by_key_implILNS1_25lookback_scan_determinismE0ELb1ES3_N6thrust23THRUST_200600_302600_NS6detail15normal_iteratorINS9_10device_ptrIiEEEENSB_INSC_IxEEEESG_xNS9_4plusIvEENS9_8equal_toIvEExEE10hipError_tPvRmT2_T3_T4_T5_mT6_T7_P12ihipStream_tbENKUlT_T0_E_clISt17integral_constantIbLb0EES11_EEDaSW_SX_EUlSW_E_NS1_11comp_targetILNS1_3genE0ELNS1_11target_archE4294967295ELNS1_3gpuE0ELNS1_3repE0EEENS1_30default_config_static_selectorELNS0_4arch9wavefront6targetE1EEEvT1_,"axG",@progbits,_ZN7rocprim17ROCPRIM_400000_NS6detail17trampoline_kernelINS0_14default_configENS1_27scan_by_key_config_selectorIixEEZZNS1_16scan_by_key_implILNS1_25lookback_scan_determinismE0ELb1ES3_N6thrust23THRUST_200600_302600_NS6detail15normal_iteratorINS9_10device_ptrIiEEEENSB_INSC_IxEEEESG_xNS9_4plusIvEENS9_8equal_toIvEExEE10hipError_tPvRmT2_T3_T4_T5_mT6_T7_P12ihipStream_tbENKUlT_T0_E_clISt17integral_constantIbLb0EES11_EEDaSW_SX_EUlSW_E_NS1_11comp_targetILNS1_3genE0ELNS1_11target_archE4294967295ELNS1_3gpuE0ELNS1_3repE0EEENS1_30default_config_static_selectorELNS0_4arch9wavefront6targetE1EEEvT1_,comdat
.Lfunc_end1571:
	.size	_ZN7rocprim17ROCPRIM_400000_NS6detail17trampoline_kernelINS0_14default_configENS1_27scan_by_key_config_selectorIixEEZZNS1_16scan_by_key_implILNS1_25lookback_scan_determinismE0ELb1ES3_N6thrust23THRUST_200600_302600_NS6detail15normal_iteratorINS9_10device_ptrIiEEEENSB_INSC_IxEEEESG_xNS9_4plusIvEENS9_8equal_toIvEExEE10hipError_tPvRmT2_T3_T4_T5_mT6_T7_P12ihipStream_tbENKUlT_T0_E_clISt17integral_constantIbLb0EES11_EEDaSW_SX_EUlSW_E_NS1_11comp_targetILNS1_3genE0ELNS1_11target_archE4294967295ELNS1_3gpuE0ELNS1_3repE0EEENS1_30default_config_static_selectorELNS0_4arch9wavefront6targetE1EEEvT1_, .Lfunc_end1571-_ZN7rocprim17ROCPRIM_400000_NS6detail17trampoline_kernelINS0_14default_configENS1_27scan_by_key_config_selectorIixEEZZNS1_16scan_by_key_implILNS1_25lookback_scan_determinismE0ELb1ES3_N6thrust23THRUST_200600_302600_NS6detail15normal_iteratorINS9_10device_ptrIiEEEENSB_INSC_IxEEEESG_xNS9_4plusIvEENS9_8equal_toIvEExEE10hipError_tPvRmT2_T3_T4_T5_mT6_T7_P12ihipStream_tbENKUlT_T0_E_clISt17integral_constantIbLb0EES11_EEDaSW_SX_EUlSW_E_NS1_11comp_targetILNS1_3genE0ELNS1_11target_archE4294967295ELNS1_3gpuE0ELNS1_3repE0EEENS1_30default_config_static_selectorELNS0_4arch9wavefront6targetE1EEEvT1_
                                        ; -- End function
	.section	.AMDGPU.csdata,"",@progbits
; Kernel info:
; codeLenInByte = 0
; NumSgprs: 4
; NumVgprs: 0
; NumAgprs: 0
; TotalNumVgprs: 0
; ScratchSize: 0
; MemoryBound: 0
; FloatMode: 240
; IeeeMode: 1
; LDSByteSize: 0 bytes/workgroup (compile time only)
; SGPRBlocks: 0
; VGPRBlocks: 0
; NumSGPRsForWavesPerEU: 4
; NumVGPRsForWavesPerEU: 1
; AccumOffset: 4
; Occupancy: 8
; WaveLimiterHint : 0
; COMPUTE_PGM_RSRC2:SCRATCH_EN: 0
; COMPUTE_PGM_RSRC2:USER_SGPR: 6
; COMPUTE_PGM_RSRC2:TRAP_HANDLER: 0
; COMPUTE_PGM_RSRC2:TGID_X_EN: 1
; COMPUTE_PGM_RSRC2:TGID_Y_EN: 0
; COMPUTE_PGM_RSRC2:TGID_Z_EN: 0
; COMPUTE_PGM_RSRC2:TIDIG_COMP_CNT: 0
; COMPUTE_PGM_RSRC3_GFX90A:ACCUM_OFFSET: 0
; COMPUTE_PGM_RSRC3_GFX90A:TG_SPLIT: 0
	.section	.text._ZN7rocprim17ROCPRIM_400000_NS6detail17trampoline_kernelINS0_14default_configENS1_27scan_by_key_config_selectorIixEEZZNS1_16scan_by_key_implILNS1_25lookback_scan_determinismE0ELb1ES3_N6thrust23THRUST_200600_302600_NS6detail15normal_iteratorINS9_10device_ptrIiEEEENSB_INSC_IxEEEESG_xNS9_4plusIvEENS9_8equal_toIvEExEE10hipError_tPvRmT2_T3_T4_T5_mT6_T7_P12ihipStream_tbENKUlT_T0_E_clISt17integral_constantIbLb0EES11_EEDaSW_SX_EUlSW_E_NS1_11comp_targetILNS1_3genE10ELNS1_11target_archE1201ELNS1_3gpuE5ELNS1_3repE0EEENS1_30default_config_static_selectorELNS0_4arch9wavefront6targetE1EEEvT1_,"axG",@progbits,_ZN7rocprim17ROCPRIM_400000_NS6detail17trampoline_kernelINS0_14default_configENS1_27scan_by_key_config_selectorIixEEZZNS1_16scan_by_key_implILNS1_25lookback_scan_determinismE0ELb1ES3_N6thrust23THRUST_200600_302600_NS6detail15normal_iteratorINS9_10device_ptrIiEEEENSB_INSC_IxEEEESG_xNS9_4plusIvEENS9_8equal_toIvEExEE10hipError_tPvRmT2_T3_T4_T5_mT6_T7_P12ihipStream_tbENKUlT_T0_E_clISt17integral_constantIbLb0EES11_EEDaSW_SX_EUlSW_E_NS1_11comp_targetILNS1_3genE10ELNS1_11target_archE1201ELNS1_3gpuE5ELNS1_3repE0EEENS1_30default_config_static_selectorELNS0_4arch9wavefront6targetE1EEEvT1_,comdat
	.protected	_ZN7rocprim17ROCPRIM_400000_NS6detail17trampoline_kernelINS0_14default_configENS1_27scan_by_key_config_selectorIixEEZZNS1_16scan_by_key_implILNS1_25lookback_scan_determinismE0ELb1ES3_N6thrust23THRUST_200600_302600_NS6detail15normal_iteratorINS9_10device_ptrIiEEEENSB_INSC_IxEEEESG_xNS9_4plusIvEENS9_8equal_toIvEExEE10hipError_tPvRmT2_T3_T4_T5_mT6_T7_P12ihipStream_tbENKUlT_T0_E_clISt17integral_constantIbLb0EES11_EEDaSW_SX_EUlSW_E_NS1_11comp_targetILNS1_3genE10ELNS1_11target_archE1201ELNS1_3gpuE5ELNS1_3repE0EEENS1_30default_config_static_selectorELNS0_4arch9wavefront6targetE1EEEvT1_ ; -- Begin function _ZN7rocprim17ROCPRIM_400000_NS6detail17trampoline_kernelINS0_14default_configENS1_27scan_by_key_config_selectorIixEEZZNS1_16scan_by_key_implILNS1_25lookback_scan_determinismE0ELb1ES3_N6thrust23THRUST_200600_302600_NS6detail15normal_iteratorINS9_10device_ptrIiEEEENSB_INSC_IxEEEESG_xNS9_4plusIvEENS9_8equal_toIvEExEE10hipError_tPvRmT2_T3_T4_T5_mT6_T7_P12ihipStream_tbENKUlT_T0_E_clISt17integral_constantIbLb0EES11_EEDaSW_SX_EUlSW_E_NS1_11comp_targetILNS1_3genE10ELNS1_11target_archE1201ELNS1_3gpuE5ELNS1_3repE0EEENS1_30default_config_static_selectorELNS0_4arch9wavefront6targetE1EEEvT1_
	.globl	_ZN7rocprim17ROCPRIM_400000_NS6detail17trampoline_kernelINS0_14default_configENS1_27scan_by_key_config_selectorIixEEZZNS1_16scan_by_key_implILNS1_25lookback_scan_determinismE0ELb1ES3_N6thrust23THRUST_200600_302600_NS6detail15normal_iteratorINS9_10device_ptrIiEEEENSB_INSC_IxEEEESG_xNS9_4plusIvEENS9_8equal_toIvEExEE10hipError_tPvRmT2_T3_T4_T5_mT6_T7_P12ihipStream_tbENKUlT_T0_E_clISt17integral_constantIbLb0EES11_EEDaSW_SX_EUlSW_E_NS1_11comp_targetILNS1_3genE10ELNS1_11target_archE1201ELNS1_3gpuE5ELNS1_3repE0EEENS1_30default_config_static_selectorELNS0_4arch9wavefront6targetE1EEEvT1_
	.p2align	8
	.type	_ZN7rocprim17ROCPRIM_400000_NS6detail17trampoline_kernelINS0_14default_configENS1_27scan_by_key_config_selectorIixEEZZNS1_16scan_by_key_implILNS1_25lookback_scan_determinismE0ELb1ES3_N6thrust23THRUST_200600_302600_NS6detail15normal_iteratorINS9_10device_ptrIiEEEENSB_INSC_IxEEEESG_xNS9_4plusIvEENS9_8equal_toIvEExEE10hipError_tPvRmT2_T3_T4_T5_mT6_T7_P12ihipStream_tbENKUlT_T0_E_clISt17integral_constantIbLb0EES11_EEDaSW_SX_EUlSW_E_NS1_11comp_targetILNS1_3genE10ELNS1_11target_archE1201ELNS1_3gpuE5ELNS1_3repE0EEENS1_30default_config_static_selectorELNS0_4arch9wavefront6targetE1EEEvT1_,@function
_ZN7rocprim17ROCPRIM_400000_NS6detail17trampoline_kernelINS0_14default_configENS1_27scan_by_key_config_selectorIixEEZZNS1_16scan_by_key_implILNS1_25lookback_scan_determinismE0ELb1ES3_N6thrust23THRUST_200600_302600_NS6detail15normal_iteratorINS9_10device_ptrIiEEEENSB_INSC_IxEEEESG_xNS9_4plusIvEENS9_8equal_toIvEExEE10hipError_tPvRmT2_T3_T4_T5_mT6_T7_P12ihipStream_tbENKUlT_T0_E_clISt17integral_constantIbLb0EES11_EEDaSW_SX_EUlSW_E_NS1_11comp_targetILNS1_3genE10ELNS1_11target_archE1201ELNS1_3gpuE5ELNS1_3repE0EEENS1_30default_config_static_selectorELNS0_4arch9wavefront6targetE1EEEvT1_: ; @_ZN7rocprim17ROCPRIM_400000_NS6detail17trampoline_kernelINS0_14default_configENS1_27scan_by_key_config_selectorIixEEZZNS1_16scan_by_key_implILNS1_25lookback_scan_determinismE0ELb1ES3_N6thrust23THRUST_200600_302600_NS6detail15normal_iteratorINS9_10device_ptrIiEEEENSB_INSC_IxEEEESG_xNS9_4plusIvEENS9_8equal_toIvEExEE10hipError_tPvRmT2_T3_T4_T5_mT6_T7_P12ihipStream_tbENKUlT_T0_E_clISt17integral_constantIbLb0EES11_EEDaSW_SX_EUlSW_E_NS1_11comp_targetILNS1_3genE10ELNS1_11target_archE1201ELNS1_3gpuE5ELNS1_3repE0EEENS1_30default_config_static_selectorELNS0_4arch9wavefront6targetE1EEEvT1_
; %bb.0:
	.section	.rodata,"a",@progbits
	.p2align	6, 0x0
	.amdhsa_kernel _ZN7rocprim17ROCPRIM_400000_NS6detail17trampoline_kernelINS0_14default_configENS1_27scan_by_key_config_selectorIixEEZZNS1_16scan_by_key_implILNS1_25lookback_scan_determinismE0ELb1ES3_N6thrust23THRUST_200600_302600_NS6detail15normal_iteratorINS9_10device_ptrIiEEEENSB_INSC_IxEEEESG_xNS9_4plusIvEENS9_8equal_toIvEExEE10hipError_tPvRmT2_T3_T4_T5_mT6_T7_P12ihipStream_tbENKUlT_T0_E_clISt17integral_constantIbLb0EES11_EEDaSW_SX_EUlSW_E_NS1_11comp_targetILNS1_3genE10ELNS1_11target_archE1201ELNS1_3gpuE5ELNS1_3repE0EEENS1_30default_config_static_selectorELNS0_4arch9wavefront6targetE1EEEvT1_
		.amdhsa_group_segment_fixed_size 0
		.amdhsa_private_segment_fixed_size 0
		.amdhsa_kernarg_size 136
		.amdhsa_user_sgpr_count 6
		.amdhsa_user_sgpr_private_segment_buffer 1
		.amdhsa_user_sgpr_dispatch_ptr 0
		.amdhsa_user_sgpr_queue_ptr 0
		.amdhsa_user_sgpr_kernarg_segment_ptr 1
		.amdhsa_user_sgpr_dispatch_id 0
		.amdhsa_user_sgpr_flat_scratch_init 0
		.amdhsa_user_sgpr_kernarg_preload_length 0
		.amdhsa_user_sgpr_kernarg_preload_offset 0
		.amdhsa_user_sgpr_private_segment_size 0
		.amdhsa_uses_dynamic_stack 0
		.amdhsa_system_sgpr_private_segment_wavefront_offset 0
		.amdhsa_system_sgpr_workgroup_id_x 1
		.amdhsa_system_sgpr_workgroup_id_y 0
		.amdhsa_system_sgpr_workgroup_id_z 0
		.amdhsa_system_sgpr_workgroup_info 0
		.amdhsa_system_vgpr_workitem_id 0
		.amdhsa_next_free_vgpr 1
		.amdhsa_next_free_sgpr 0
		.amdhsa_accum_offset 4
		.amdhsa_reserve_vcc 0
		.amdhsa_reserve_flat_scratch 0
		.amdhsa_float_round_mode_32 0
		.amdhsa_float_round_mode_16_64 0
		.amdhsa_float_denorm_mode_32 3
		.amdhsa_float_denorm_mode_16_64 3
		.amdhsa_dx10_clamp 1
		.amdhsa_ieee_mode 1
		.amdhsa_fp16_overflow 0
		.amdhsa_tg_split 0
		.amdhsa_exception_fp_ieee_invalid_op 0
		.amdhsa_exception_fp_denorm_src 0
		.amdhsa_exception_fp_ieee_div_zero 0
		.amdhsa_exception_fp_ieee_overflow 0
		.amdhsa_exception_fp_ieee_underflow 0
		.amdhsa_exception_fp_ieee_inexact 0
		.amdhsa_exception_int_div_zero 0
	.end_amdhsa_kernel
	.section	.text._ZN7rocprim17ROCPRIM_400000_NS6detail17trampoline_kernelINS0_14default_configENS1_27scan_by_key_config_selectorIixEEZZNS1_16scan_by_key_implILNS1_25lookback_scan_determinismE0ELb1ES3_N6thrust23THRUST_200600_302600_NS6detail15normal_iteratorINS9_10device_ptrIiEEEENSB_INSC_IxEEEESG_xNS9_4plusIvEENS9_8equal_toIvEExEE10hipError_tPvRmT2_T3_T4_T5_mT6_T7_P12ihipStream_tbENKUlT_T0_E_clISt17integral_constantIbLb0EES11_EEDaSW_SX_EUlSW_E_NS1_11comp_targetILNS1_3genE10ELNS1_11target_archE1201ELNS1_3gpuE5ELNS1_3repE0EEENS1_30default_config_static_selectorELNS0_4arch9wavefront6targetE1EEEvT1_,"axG",@progbits,_ZN7rocprim17ROCPRIM_400000_NS6detail17trampoline_kernelINS0_14default_configENS1_27scan_by_key_config_selectorIixEEZZNS1_16scan_by_key_implILNS1_25lookback_scan_determinismE0ELb1ES3_N6thrust23THRUST_200600_302600_NS6detail15normal_iteratorINS9_10device_ptrIiEEEENSB_INSC_IxEEEESG_xNS9_4plusIvEENS9_8equal_toIvEExEE10hipError_tPvRmT2_T3_T4_T5_mT6_T7_P12ihipStream_tbENKUlT_T0_E_clISt17integral_constantIbLb0EES11_EEDaSW_SX_EUlSW_E_NS1_11comp_targetILNS1_3genE10ELNS1_11target_archE1201ELNS1_3gpuE5ELNS1_3repE0EEENS1_30default_config_static_selectorELNS0_4arch9wavefront6targetE1EEEvT1_,comdat
.Lfunc_end1572:
	.size	_ZN7rocprim17ROCPRIM_400000_NS6detail17trampoline_kernelINS0_14default_configENS1_27scan_by_key_config_selectorIixEEZZNS1_16scan_by_key_implILNS1_25lookback_scan_determinismE0ELb1ES3_N6thrust23THRUST_200600_302600_NS6detail15normal_iteratorINS9_10device_ptrIiEEEENSB_INSC_IxEEEESG_xNS9_4plusIvEENS9_8equal_toIvEExEE10hipError_tPvRmT2_T3_T4_T5_mT6_T7_P12ihipStream_tbENKUlT_T0_E_clISt17integral_constantIbLb0EES11_EEDaSW_SX_EUlSW_E_NS1_11comp_targetILNS1_3genE10ELNS1_11target_archE1201ELNS1_3gpuE5ELNS1_3repE0EEENS1_30default_config_static_selectorELNS0_4arch9wavefront6targetE1EEEvT1_, .Lfunc_end1572-_ZN7rocprim17ROCPRIM_400000_NS6detail17trampoline_kernelINS0_14default_configENS1_27scan_by_key_config_selectorIixEEZZNS1_16scan_by_key_implILNS1_25lookback_scan_determinismE0ELb1ES3_N6thrust23THRUST_200600_302600_NS6detail15normal_iteratorINS9_10device_ptrIiEEEENSB_INSC_IxEEEESG_xNS9_4plusIvEENS9_8equal_toIvEExEE10hipError_tPvRmT2_T3_T4_T5_mT6_T7_P12ihipStream_tbENKUlT_T0_E_clISt17integral_constantIbLb0EES11_EEDaSW_SX_EUlSW_E_NS1_11comp_targetILNS1_3genE10ELNS1_11target_archE1201ELNS1_3gpuE5ELNS1_3repE0EEENS1_30default_config_static_selectorELNS0_4arch9wavefront6targetE1EEEvT1_
                                        ; -- End function
	.section	.AMDGPU.csdata,"",@progbits
; Kernel info:
; codeLenInByte = 0
; NumSgprs: 4
; NumVgprs: 0
; NumAgprs: 0
; TotalNumVgprs: 0
; ScratchSize: 0
; MemoryBound: 0
; FloatMode: 240
; IeeeMode: 1
; LDSByteSize: 0 bytes/workgroup (compile time only)
; SGPRBlocks: 0
; VGPRBlocks: 0
; NumSGPRsForWavesPerEU: 4
; NumVGPRsForWavesPerEU: 1
; AccumOffset: 4
; Occupancy: 8
; WaveLimiterHint : 0
; COMPUTE_PGM_RSRC2:SCRATCH_EN: 0
; COMPUTE_PGM_RSRC2:USER_SGPR: 6
; COMPUTE_PGM_RSRC2:TRAP_HANDLER: 0
; COMPUTE_PGM_RSRC2:TGID_X_EN: 1
; COMPUTE_PGM_RSRC2:TGID_Y_EN: 0
; COMPUTE_PGM_RSRC2:TGID_Z_EN: 0
; COMPUTE_PGM_RSRC2:TIDIG_COMP_CNT: 0
; COMPUTE_PGM_RSRC3_GFX90A:ACCUM_OFFSET: 0
; COMPUTE_PGM_RSRC3_GFX90A:TG_SPLIT: 0
	.section	.text._ZN7rocprim17ROCPRIM_400000_NS6detail17trampoline_kernelINS0_14default_configENS1_27scan_by_key_config_selectorIixEEZZNS1_16scan_by_key_implILNS1_25lookback_scan_determinismE0ELb1ES3_N6thrust23THRUST_200600_302600_NS6detail15normal_iteratorINS9_10device_ptrIiEEEENSB_INSC_IxEEEESG_xNS9_4plusIvEENS9_8equal_toIvEExEE10hipError_tPvRmT2_T3_T4_T5_mT6_T7_P12ihipStream_tbENKUlT_T0_E_clISt17integral_constantIbLb0EES11_EEDaSW_SX_EUlSW_E_NS1_11comp_targetILNS1_3genE5ELNS1_11target_archE942ELNS1_3gpuE9ELNS1_3repE0EEENS1_30default_config_static_selectorELNS0_4arch9wavefront6targetE1EEEvT1_,"axG",@progbits,_ZN7rocprim17ROCPRIM_400000_NS6detail17trampoline_kernelINS0_14default_configENS1_27scan_by_key_config_selectorIixEEZZNS1_16scan_by_key_implILNS1_25lookback_scan_determinismE0ELb1ES3_N6thrust23THRUST_200600_302600_NS6detail15normal_iteratorINS9_10device_ptrIiEEEENSB_INSC_IxEEEESG_xNS9_4plusIvEENS9_8equal_toIvEExEE10hipError_tPvRmT2_T3_T4_T5_mT6_T7_P12ihipStream_tbENKUlT_T0_E_clISt17integral_constantIbLb0EES11_EEDaSW_SX_EUlSW_E_NS1_11comp_targetILNS1_3genE5ELNS1_11target_archE942ELNS1_3gpuE9ELNS1_3repE0EEENS1_30default_config_static_selectorELNS0_4arch9wavefront6targetE1EEEvT1_,comdat
	.protected	_ZN7rocprim17ROCPRIM_400000_NS6detail17trampoline_kernelINS0_14default_configENS1_27scan_by_key_config_selectorIixEEZZNS1_16scan_by_key_implILNS1_25lookback_scan_determinismE0ELb1ES3_N6thrust23THRUST_200600_302600_NS6detail15normal_iteratorINS9_10device_ptrIiEEEENSB_INSC_IxEEEESG_xNS9_4plusIvEENS9_8equal_toIvEExEE10hipError_tPvRmT2_T3_T4_T5_mT6_T7_P12ihipStream_tbENKUlT_T0_E_clISt17integral_constantIbLb0EES11_EEDaSW_SX_EUlSW_E_NS1_11comp_targetILNS1_3genE5ELNS1_11target_archE942ELNS1_3gpuE9ELNS1_3repE0EEENS1_30default_config_static_selectorELNS0_4arch9wavefront6targetE1EEEvT1_ ; -- Begin function _ZN7rocprim17ROCPRIM_400000_NS6detail17trampoline_kernelINS0_14default_configENS1_27scan_by_key_config_selectorIixEEZZNS1_16scan_by_key_implILNS1_25lookback_scan_determinismE0ELb1ES3_N6thrust23THRUST_200600_302600_NS6detail15normal_iteratorINS9_10device_ptrIiEEEENSB_INSC_IxEEEESG_xNS9_4plusIvEENS9_8equal_toIvEExEE10hipError_tPvRmT2_T3_T4_T5_mT6_T7_P12ihipStream_tbENKUlT_T0_E_clISt17integral_constantIbLb0EES11_EEDaSW_SX_EUlSW_E_NS1_11comp_targetILNS1_3genE5ELNS1_11target_archE942ELNS1_3gpuE9ELNS1_3repE0EEENS1_30default_config_static_selectorELNS0_4arch9wavefront6targetE1EEEvT1_
	.globl	_ZN7rocprim17ROCPRIM_400000_NS6detail17trampoline_kernelINS0_14default_configENS1_27scan_by_key_config_selectorIixEEZZNS1_16scan_by_key_implILNS1_25lookback_scan_determinismE0ELb1ES3_N6thrust23THRUST_200600_302600_NS6detail15normal_iteratorINS9_10device_ptrIiEEEENSB_INSC_IxEEEESG_xNS9_4plusIvEENS9_8equal_toIvEExEE10hipError_tPvRmT2_T3_T4_T5_mT6_T7_P12ihipStream_tbENKUlT_T0_E_clISt17integral_constantIbLb0EES11_EEDaSW_SX_EUlSW_E_NS1_11comp_targetILNS1_3genE5ELNS1_11target_archE942ELNS1_3gpuE9ELNS1_3repE0EEENS1_30default_config_static_selectorELNS0_4arch9wavefront6targetE1EEEvT1_
	.p2align	8
	.type	_ZN7rocprim17ROCPRIM_400000_NS6detail17trampoline_kernelINS0_14default_configENS1_27scan_by_key_config_selectorIixEEZZNS1_16scan_by_key_implILNS1_25lookback_scan_determinismE0ELb1ES3_N6thrust23THRUST_200600_302600_NS6detail15normal_iteratorINS9_10device_ptrIiEEEENSB_INSC_IxEEEESG_xNS9_4plusIvEENS9_8equal_toIvEExEE10hipError_tPvRmT2_T3_T4_T5_mT6_T7_P12ihipStream_tbENKUlT_T0_E_clISt17integral_constantIbLb0EES11_EEDaSW_SX_EUlSW_E_NS1_11comp_targetILNS1_3genE5ELNS1_11target_archE942ELNS1_3gpuE9ELNS1_3repE0EEENS1_30default_config_static_selectorELNS0_4arch9wavefront6targetE1EEEvT1_,@function
_ZN7rocprim17ROCPRIM_400000_NS6detail17trampoline_kernelINS0_14default_configENS1_27scan_by_key_config_selectorIixEEZZNS1_16scan_by_key_implILNS1_25lookback_scan_determinismE0ELb1ES3_N6thrust23THRUST_200600_302600_NS6detail15normal_iteratorINS9_10device_ptrIiEEEENSB_INSC_IxEEEESG_xNS9_4plusIvEENS9_8equal_toIvEExEE10hipError_tPvRmT2_T3_T4_T5_mT6_T7_P12ihipStream_tbENKUlT_T0_E_clISt17integral_constantIbLb0EES11_EEDaSW_SX_EUlSW_E_NS1_11comp_targetILNS1_3genE5ELNS1_11target_archE942ELNS1_3gpuE9ELNS1_3repE0EEENS1_30default_config_static_selectorELNS0_4arch9wavefront6targetE1EEEvT1_: ; @_ZN7rocprim17ROCPRIM_400000_NS6detail17trampoline_kernelINS0_14default_configENS1_27scan_by_key_config_selectorIixEEZZNS1_16scan_by_key_implILNS1_25lookback_scan_determinismE0ELb1ES3_N6thrust23THRUST_200600_302600_NS6detail15normal_iteratorINS9_10device_ptrIiEEEENSB_INSC_IxEEEESG_xNS9_4plusIvEENS9_8equal_toIvEExEE10hipError_tPvRmT2_T3_T4_T5_mT6_T7_P12ihipStream_tbENKUlT_T0_E_clISt17integral_constantIbLb0EES11_EEDaSW_SX_EUlSW_E_NS1_11comp_targetILNS1_3genE5ELNS1_11target_archE942ELNS1_3gpuE9ELNS1_3repE0EEENS1_30default_config_static_selectorELNS0_4arch9wavefront6targetE1EEEvT1_
; %bb.0:
	.section	.rodata,"a",@progbits
	.p2align	6, 0x0
	.amdhsa_kernel _ZN7rocprim17ROCPRIM_400000_NS6detail17trampoline_kernelINS0_14default_configENS1_27scan_by_key_config_selectorIixEEZZNS1_16scan_by_key_implILNS1_25lookback_scan_determinismE0ELb1ES3_N6thrust23THRUST_200600_302600_NS6detail15normal_iteratorINS9_10device_ptrIiEEEENSB_INSC_IxEEEESG_xNS9_4plusIvEENS9_8equal_toIvEExEE10hipError_tPvRmT2_T3_T4_T5_mT6_T7_P12ihipStream_tbENKUlT_T0_E_clISt17integral_constantIbLb0EES11_EEDaSW_SX_EUlSW_E_NS1_11comp_targetILNS1_3genE5ELNS1_11target_archE942ELNS1_3gpuE9ELNS1_3repE0EEENS1_30default_config_static_selectorELNS0_4arch9wavefront6targetE1EEEvT1_
		.amdhsa_group_segment_fixed_size 0
		.amdhsa_private_segment_fixed_size 0
		.amdhsa_kernarg_size 136
		.amdhsa_user_sgpr_count 6
		.amdhsa_user_sgpr_private_segment_buffer 1
		.amdhsa_user_sgpr_dispatch_ptr 0
		.amdhsa_user_sgpr_queue_ptr 0
		.amdhsa_user_sgpr_kernarg_segment_ptr 1
		.amdhsa_user_sgpr_dispatch_id 0
		.amdhsa_user_sgpr_flat_scratch_init 0
		.amdhsa_user_sgpr_kernarg_preload_length 0
		.amdhsa_user_sgpr_kernarg_preload_offset 0
		.amdhsa_user_sgpr_private_segment_size 0
		.amdhsa_uses_dynamic_stack 0
		.amdhsa_system_sgpr_private_segment_wavefront_offset 0
		.amdhsa_system_sgpr_workgroup_id_x 1
		.amdhsa_system_sgpr_workgroup_id_y 0
		.amdhsa_system_sgpr_workgroup_id_z 0
		.amdhsa_system_sgpr_workgroup_info 0
		.amdhsa_system_vgpr_workitem_id 0
		.amdhsa_next_free_vgpr 1
		.amdhsa_next_free_sgpr 0
		.amdhsa_accum_offset 4
		.amdhsa_reserve_vcc 0
		.amdhsa_reserve_flat_scratch 0
		.amdhsa_float_round_mode_32 0
		.amdhsa_float_round_mode_16_64 0
		.amdhsa_float_denorm_mode_32 3
		.amdhsa_float_denorm_mode_16_64 3
		.amdhsa_dx10_clamp 1
		.amdhsa_ieee_mode 1
		.amdhsa_fp16_overflow 0
		.amdhsa_tg_split 0
		.amdhsa_exception_fp_ieee_invalid_op 0
		.amdhsa_exception_fp_denorm_src 0
		.amdhsa_exception_fp_ieee_div_zero 0
		.amdhsa_exception_fp_ieee_overflow 0
		.amdhsa_exception_fp_ieee_underflow 0
		.amdhsa_exception_fp_ieee_inexact 0
		.amdhsa_exception_int_div_zero 0
	.end_amdhsa_kernel
	.section	.text._ZN7rocprim17ROCPRIM_400000_NS6detail17trampoline_kernelINS0_14default_configENS1_27scan_by_key_config_selectorIixEEZZNS1_16scan_by_key_implILNS1_25lookback_scan_determinismE0ELb1ES3_N6thrust23THRUST_200600_302600_NS6detail15normal_iteratorINS9_10device_ptrIiEEEENSB_INSC_IxEEEESG_xNS9_4plusIvEENS9_8equal_toIvEExEE10hipError_tPvRmT2_T3_T4_T5_mT6_T7_P12ihipStream_tbENKUlT_T0_E_clISt17integral_constantIbLb0EES11_EEDaSW_SX_EUlSW_E_NS1_11comp_targetILNS1_3genE5ELNS1_11target_archE942ELNS1_3gpuE9ELNS1_3repE0EEENS1_30default_config_static_selectorELNS0_4arch9wavefront6targetE1EEEvT1_,"axG",@progbits,_ZN7rocprim17ROCPRIM_400000_NS6detail17trampoline_kernelINS0_14default_configENS1_27scan_by_key_config_selectorIixEEZZNS1_16scan_by_key_implILNS1_25lookback_scan_determinismE0ELb1ES3_N6thrust23THRUST_200600_302600_NS6detail15normal_iteratorINS9_10device_ptrIiEEEENSB_INSC_IxEEEESG_xNS9_4plusIvEENS9_8equal_toIvEExEE10hipError_tPvRmT2_T3_T4_T5_mT6_T7_P12ihipStream_tbENKUlT_T0_E_clISt17integral_constantIbLb0EES11_EEDaSW_SX_EUlSW_E_NS1_11comp_targetILNS1_3genE5ELNS1_11target_archE942ELNS1_3gpuE9ELNS1_3repE0EEENS1_30default_config_static_selectorELNS0_4arch9wavefront6targetE1EEEvT1_,comdat
.Lfunc_end1573:
	.size	_ZN7rocprim17ROCPRIM_400000_NS6detail17trampoline_kernelINS0_14default_configENS1_27scan_by_key_config_selectorIixEEZZNS1_16scan_by_key_implILNS1_25lookback_scan_determinismE0ELb1ES3_N6thrust23THRUST_200600_302600_NS6detail15normal_iteratorINS9_10device_ptrIiEEEENSB_INSC_IxEEEESG_xNS9_4plusIvEENS9_8equal_toIvEExEE10hipError_tPvRmT2_T3_T4_T5_mT6_T7_P12ihipStream_tbENKUlT_T0_E_clISt17integral_constantIbLb0EES11_EEDaSW_SX_EUlSW_E_NS1_11comp_targetILNS1_3genE5ELNS1_11target_archE942ELNS1_3gpuE9ELNS1_3repE0EEENS1_30default_config_static_selectorELNS0_4arch9wavefront6targetE1EEEvT1_, .Lfunc_end1573-_ZN7rocprim17ROCPRIM_400000_NS6detail17trampoline_kernelINS0_14default_configENS1_27scan_by_key_config_selectorIixEEZZNS1_16scan_by_key_implILNS1_25lookback_scan_determinismE0ELb1ES3_N6thrust23THRUST_200600_302600_NS6detail15normal_iteratorINS9_10device_ptrIiEEEENSB_INSC_IxEEEESG_xNS9_4plusIvEENS9_8equal_toIvEExEE10hipError_tPvRmT2_T3_T4_T5_mT6_T7_P12ihipStream_tbENKUlT_T0_E_clISt17integral_constantIbLb0EES11_EEDaSW_SX_EUlSW_E_NS1_11comp_targetILNS1_3genE5ELNS1_11target_archE942ELNS1_3gpuE9ELNS1_3repE0EEENS1_30default_config_static_selectorELNS0_4arch9wavefront6targetE1EEEvT1_
                                        ; -- End function
	.section	.AMDGPU.csdata,"",@progbits
; Kernel info:
; codeLenInByte = 0
; NumSgprs: 4
; NumVgprs: 0
; NumAgprs: 0
; TotalNumVgprs: 0
; ScratchSize: 0
; MemoryBound: 0
; FloatMode: 240
; IeeeMode: 1
; LDSByteSize: 0 bytes/workgroup (compile time only)
; SGPRBlocks: 0
; VGPRBlocks: 0
; NumSGPRsForWavesPerEU: 4
; NumVGPRsForWavesPerEU: 1
; AccumOffset: 4
; Occupancy: 8
; WaveLimiterHint : 0
; COMPUTE_PGM_RSRC2:SCRATCH_EN: 0
; COMPUTE_PGM_RSRC2:USER_SGPR: 6
; COMPUTE_PGM_RSRC2:TRAP_HANDLER: 0
; COMPUTE_PGM_RSRC2:TGID_X_EN: 1
; COMPUTE_PGM_RSRC2:TGID_Y_EN: 0
; COMPUTE_PGM_RSRC2:TGID_Z_EN: 0
; COMPUTE_PGM_RSRC2:TIDIG_COMP_CNT: 0
; COMPUTE_PGM_RSRC3_GFX90A:ACCUM_OFFSET: 0
; COMPUTE_PGM_RSRC3_GFX90A:TG_SPLIT: 0
	.section	.text._ZN7rocprim17ROCPRIM_400000_NS6detail17trampoline_kernelINS0_14default_configENS1_27scan_by_key_config_selectorIixEEZZNS1_16scan_by_key_implILNS1_25lookback_scan_determinismE0ELb1ES3_N6thrust23THRUST_200600_302600_NS6detail15normal_iteratorINS9_10device_ptrIiEEEENSB_INSC_IxEEEESG_xNS9_4plusIvEENS9_8equal_toIvEExEE10hipError_tPvRmT2_T3_T4_T5_mT6_T7_P12ihipStream_tbENKUlT_T0_E_clISt17integral_constantIbLb0EES11_EEDaSW_SX_EUlSW_E_NS1_11comp_targetILNS1_3genE4ELNS1_11target_archE910ELNS1_3gpuE8ELNS1_3repE0EEENS1_30default_config_static_selectorELNS0_4arch9wavefront6targetE1EEEvT1_,"axG",@progbits,_ZN7rocprim17ROCPRIM_400000_NS6detail17trampoline_kernelINS0_14default_configENS1_27scan_by_key_config_selectorIixEEZZNS1_16scan_by_key_implILNS1_25lookback_scan_determinismE0ELb1ES3_N6thrust23THRUST_200600_302600_NS6detail15normal_iteratorINS9_10device_ptrIiEEEENSB_INSC_IxEEEESG_xNS9_4plusIvEENS9_8equal_toIvEExEE10hipError_tPvRmT2_T3_T4_T5_mT6_T7_P12ihipStream_tbENKUlT_T0_E_clISt17integral_constantIbLb0EES11_EEDaSW_SX_EUlSW_E_NS1_11comp_targetILNS1_3genE4ELNS1_11target_archE910ELNS1_3gpuE8ELNS1_3repE0EEENS1_30default_config_static_selectorELNS0_4arch9wavefront6targetE1EEEvT1_,comdat
	.protected	_ZN7rocprim17ROCPRIM_400000_NS6detail17trampoline_kernelINS0_14default_configENS1_27scan_by_key_config_selectorIixEEZZNS1_16scan_by_key_implILNS1_25lookback_scan_determinismE0ELb1ES3_N6thrust23THRUST_200600_302600_NS6detail15normal_iteratorINS9_10device_ptrIiEEEENSB_INSC_IxEEEESG_xNS9_4plusIvEENS9_8equal_toIvEExEE10hipError_tPvRmT2_T3_T4_T5_mT6_T7_P12ihipStream_tbENKUlT_T0_E_clISt17integral_constantIbLb0EES11_EEDaSW_SX_EUlSW_E_NS1_11comp_targetILNS1_3genE4ELNS1_11target_archE910ELNS1_3gpuE8ELNS1_3repE0EEENS1_30default_config_static_selectorELNS0_4arch9wavefront6targetE1EEEvT1_ ; -- Begin function _ZN7rocprim17ROCPRIM_400000_NS6detail17trampoline_kernelINS0_14default_configENS1_27scan_by_key_config_selectorIixEEZZNS1_16scan_by_key_implILNS1_25lookback_scan_determinismE0ELb1ES3_N6thrust23THRUST_200600_302600_NS6detail15normal_iteratorINS9_10device_ptrIiEEEENSB_INSC_IxEEEESG_xNS9_4plusIvEENS9_8equal_toIvEExEE10hipError_tPvRmT2_T3_T4_T5_mT6_T7_P12ihipStream_tbENKUlT_T0_E_clISt17integral_constantIbLb0EES11_EEDaSW_SX_EUlSW_E_NS1_11comp_targetILNS1_3genE4ELNS1_11target_archE910ELNS1_3gpuE8ELNS1_3repE0EEENS1_30default_config_static_selectorELNS0_4arch9wavefront6targetE1EEEvT1_
	.globl	_ZN7rocprim17ROCPRIM_400000_NS6detail17trampoline_kernelINS0_14default_configENS1_27scan_by_key_config_selectorIixEEZZNS1_16scan_by_key_implILNS1_25lookback_scan_determinismE0ELb1ES3_N6thrust23THRUST_200600_302600_NS6detail15normal_iteratorINS9_10device_ptrIiEEEENSB_INSC_IxEEEESG_xNS9_4plusIvEENS9_8equal_toIvEExEE10hipError_tPvRmT2_T3_T4_T5_mT6_T7_P12ihipStream_tbENKUlT_T0_E_clISt17integral_constantIbLb0EES11_EEDaSW_SX_EUlSW_E_NS1_11comp_targetILNS1_3genE4ELNS1_11target_archE910ELNS1_3gpuE8ELNS1_3repE0EEENS1_30default_config_static_selectorELNS0_4arch9wavefront6targetE1EEEvT1_
	.p2align	8
	.type	_ZN7rocprim17ROCPRIM_400000_NS6detail17trampoline_kernelINS0_14default_configENS1_27scan_by_key_config_selectorIixEEZZNS1_16scan_by_key_implILNS1_25lookback_scan_determinismE0ELb1ES3_N6thrust23THRUST_200600_302600_NS6detail15normal_iteratorINS9_10device_ptrIiEEEENSB_INSC_IxEEEESG_xNS9_4plusIvEENS9_8equal_toIvEExEE10hipError_tPvRmT2_T3_T4_T5_mT6_T7_P12ihipStream_tbENKUlT_T0_E_clISt17integral_constantIbLb0EES11_EEDaSW_SX_EUlSW_E_NS1_11comp_targetILNS1_3genE4ELNS1_11target_archE910ELNS1_3gpuE8ELNS1_3repE0EEENS1_30default_config_static_selectorELNS0_4arch9wavefront6targetE1EEEvT1_,@function
_ZN7rocprim17ROCPRIM_400000_NS6detail17trampoline_kernelINS0_14default_configENS1_27scan_by_key_config_selectorIixEEZZNS1_16scan_by_key_implILNS1_25lookback_scan_determinismE0ELb1ES3_N6thrust23THRUST_200600_302600_NS6detail15normal_iteratorINS9_10device_ptrIiEEEENSB_INSC_IxEEEESG_xNS9_4plusIvEENS9_8equal_toIvEExEE10hipError_tPvRmT2_T3_T4_T5_mT6_T7_P12ihipStream_tbENKUlT_T0_E_clISt17integral_constantIbLb0EES11_EEDaSW_SX_EUlSW_E_NS1_11comp_targetILNS1_3genE4ELNS1_11target_archE910ELNS1_3gpuE8ELNS1_3repE0EEENS1_30default_config_static_selectorELNS0_4arch9wavefront6targetE1EEEvT1_: ; @_ZN7rocprim17ROCPRIM_400000_NS6detail17trampoline_kernelINS0_14default_configENS1_27scan_by_key_config_selectorIixEEZZNS1_16scan_by_key_implILNS1_25lookback_scan_determinismE0ELb1ES3_N6thrust23THRUST_200600_302600_NS6detail15normal_iteratorINS9_10device_ptrIiEEEENSB_INSC_IxEEEESG_xNS9_4plusIvEENS9_8equal_toIvEExEE10hipError_tPvRmT2_T3_T4_T5_mT6_T7_P12ihipStream_tbENKUlT_T0_E_clISt17integral_constantIbLb0EES11_EEDaSW_SX_EUlSW_E_NS1_11comp_targetILNS1_3genE4ELNS1_11target_archE910ELNS1_3gpuE8ELNS1_3repE0EEENS1_30default_config_static_selectorELNS0_4arch9wavefront6targetE1EEEvT1_
; %bb.0:
	s_load_dwordx8 s[56:63], s[4:5], 0x0
	s_load_dwordx2 s[68:69], s[4:5], 0x20
	s_load_dwordx8 s[48:55], s[4:5], 0x30
	s_load_dwordx2 s[70:71], s[4:5], 0x50
	s_load_dword s2, s[4:5], 0x58
	s_load_dwordx4 s[64:67], s[4:5], 0x60
	s_waitcnt lgkmcnt(0)
	s_lshl_b64 s[0:1], s[58:59], 2
	s_add_u32 s4, s56, s0
	s_addc_u32 s5, s57, s1
	s_lshl_b64 s[56:57], s[58:59], 3
	s_add_u32 s7, s60, s56
	s_mul_i32 s0, s71, s2
	s_mul_hi_u32 s1, s70, s2
	s_addc_u32 s8, s61, s57
	s_add_i32 s9, s1, s0
	s_mul_i32 s0, s6, 0x540
	s_mov_b32 s1, 0
	s_mul_i32 s10, s70, s2
	s_lshl_b64 s[2:3], s[0:1], 2
	s_add_u32 s60, s4, s2
	s_addc_u32 s61, s5, s3
	s_lshl_b64 s[58:59], s[0:1], 3
	s_add_u32 s7, s7, s58
	s_addc_u32 s55, s8, s59
	s_add_u32 s0, s10, s6
	s_addc_u32 s1, s9, 0
	s_add_u32 s4, s64, -1
	s_addc_u32 s5, s65, -1
	v_pk_mov_b32 v[2:3], s[4:5], s[4:5] op_sel:[0,1]
	v_cmp_ge_u64_e64 s[0:1], s[0:1], v[2:3]
	s_mov_b64 s[2:3], -1
	s_and_b64 vcc, exec, s[0:1]
	s_mul_i32 s33, s4, 0xfffffac0
	s_waitcnt lgkmcnt(0)
	; wave barrier
	s_cbranch_vccz .LBB1574_65
; %bb.1:
	v_pk_mov_b32 v[2:3], s[60:61], s[60:61] op_sel:[0,1]
	flat_load_dword v2, v[2:3]
	s_add_i32 s74, s33, s54
	v_cmp_gt_u32_e32 vcc, s74, v0
	s_waitcnt vmcnt(0) lgkmcnt(0)
	v_mov_b32_e32 v3, v2
	s_and_saveexec_b64 s[4:5], vcc
	s_cbranch_execz .LBB1574_3
; %bb.2:
	v_lshlrev_b32_e32 v1, 2, v0
	v_mov_b32_e32 v3, s61
	v_add_co_u32_e64 v4, s[2:3], s60, v1
	v_addc_co_u32_e64 v5, s[2:3], 0, v3, s[2:3]
	flat_load_dword v3, v[4:5]
.LBB1574_3:
	s_or_b64 exec, exec, s[4:5]
	v_or_b32_e32 v1, 64, v0
	v_cmp_gt_u32_e64 s[2:3], s74, v1
	v_mov_b32_e32 v4, v2
	s_and_saveexec_b64 s[8:9], s[2:3]
	s_cbranch_execz .LBB1574_5
; %bb.4:
	v_lshlrev_b32_e32 v1, 2, v0
	v_mov_b32_e32 v5, s61
	v_add_co_u32_e64 v4, s[4:5], s60, v1
	v_addc_co_u32_e64 v5, s[4:5], 0, v5, s[4:5]
	flat_load_dword v4, v[4:5] offset:256
.LBB1574_5:
	s_or_b64 exec, exec, s[8:9]
	v_or_b32_e32 v1, 0x80, v0
	v_cmp_gt_u32_e64 s[4:5], s74, v1
	v_mov_b32_e32 v5, v2
	s_and_saveexec_b64 s[10:11], s[4:5]
	s_cbranch_execz .LBB1574_7
; %bb.6:
	v_lshlrev_b32_e32 v1, 2, v0
	v_mov_b32_e32 v5, s61
	v_add_co_u32_e64 v6, s[8:9], s60, v1
	v_addc_co_u32_e64 v7, s[8:9], 0, v5, s[8:9]
	flat_load_dword v5, v[6:7] offset:512
.LBB1574_7:
	;; [unrolled: 13-line block ×15, first 2 shown]
	s_or_b64 exec, exec, s[36:37]
	v_or_b32_e32 v56, 0x400, v0
	v_cmp_gt_u32_e64 s[34:35], s74, v56
	v_mov_b32_e32 v19, v2
	s_and_saveexec_b64 s[38:39], s[34:35]
	s_cbranch_execz .LBB1574_35
; %bb.34:
	v_lshlrev_b32_e32 v19, 2, v56
	v_mov_b32_e32 v21, s61
	v_add_co_u32_e64 v20, s[36:37], s60, v19
	v_addc_co_u32_e64 v21, s[36:37], 0, v21, s[36:37]
	flat_load_dword v19, v[20:21]
.LBB1574_35:
	s_or_b64 exec, exec, s[38:39]
	v_or_b32_e32 v58, 0x440, v0
	v_cmp_gt_u32_e64 s[36:37], s74, v58
	v_mov_b32_e32 v20, v2
	s_and_saveexec_b64 s[40:41], s[36:37]
	s_cbranch_execz .LBB1574_37
; %bb.36:
	v_lshlrev_b32_e32 v20, 2, v58
	v_mov_b32_e32 v21, s61
	v_add_co_u32_e64 v20, s[38:39], s60, v20
	v_addc_co_u32_e64 v21, s[38:39], 0, v21, s[38:39]
	flat_load_dword v20, v[20:21]
.LBB1574_37:
	;; [unrolled: 13-line block ×4, first 2 shown]
	s_or_b64 exec, exec, s[46:47]
	v_or_b32_e32 v64, 0x500, v0
	v_cmp_gt_u32_e64 s[42:43], s74, v64
	s_and_saveexec_b64 s[64:65], s[42:43]
	s_cbranch_execz .LBB1574_43
; %bb.42:
	v_lshlrev_b32_e32 v2, 2, v64
	v_mov_b32_e32 v23, s61
	v_add_co_u32_e64 v24, s[46:47], s60, v2
	v_addc_co_u32_e64 v25, s[46:47], 0, v23, s[46:47]
	flat_load_dword v2, v[24:25]
.LBB1574_43:
	s_or_b64 exec, exec, s[64:65]
	v_lshlrev_b32_e32 v26, 2, v0
	s_waitcnt vmcnt(0) lgkmcnt(0)
	ds_write2st64_b32 v26, v3, v4 offset1:1
	ds_write2st64_b32 v26, v5, v6 offset0:2 offset1:3
	ds_write2st64_b32 v26, v7, v8 offset0:4 offset1:5
	;; [unrolled: 1-line block ×9, first 2 shown]
	ds_write_b32 v26, v2 offset:5120
	v_pk_mov_b32 v[2:3], s[60:61], s[60:61] op_sel:[0,1]
	s_waitcnt lgkmcnt(0)
	; wave barrier
	s_waitcnt lgkmcnt(0)
	flat_load_dword v82, v[2:3]
	s_movk_i32 s46, 0x50
	v_mad_u32_u24 v2, v0, s46, v26
	s_movk_i32 s46, 0xffb0
	v_mad_i32_i24 v65, v0, s46, v2
	v_cmp_ne_u32_e64 s[46:47], 63, v0
	ds_read_b32 v84, v2
	ds_read2_b32 v[24:25], v2 offset0:1 offset1:2
	ds_read2_b32 v[22:23], v2 offset0:3 offset1:4
	;; [unrolled: 1-line block ×10, first 2 shown]
	s_waitcnt lgkmcnt(0)
	ds_write_b32 v65, v84 offset:5632
	s_waitcnt lgkmcnt(0)
	; wave barrier
	s_waitcnt lgkmcnt(0)
	s_and_saveexec_b64 s[64:65], s[46:47]
	s_cbranch_execz .LBB1574_45
; %bb.44:
	s_waitcnt vmcnt(0)
	ds_read_b32 v82, v26 offset:5636
.LBB1574_45:
	s_or_b64 exec, exec, s[64:65]
	s_waitcnt lgkmcnt(0)
	; wave barrier
	s_waitcnt lgkmcnt(0)
                                        ; implicit-def: $vgpr2_vgpr3
	s_and_saveexec_b64 s[46:47], vcc
	s_cbranch_execz .LBB1574_66
; %bb.46:
	v_lshlrev_b32_e32 v2, 3, v0
	v_mov_b32_e32 v3, s55
	v_add_co_u32_e32 v2, vcc, s7, v2
	v_addc_co_u32_e32 v3, vcc, 0, v3, vcc
	flat_load_dwordx2 v[2:3], v[2:3]
	s_or_b64 exec, exec, s[46:47]
                                        ; implicit-def: $vgpr4_vgpr5
	s_and_saveexec_b64 s[46:47], s[2:3]
	s_cbranch_execnz .LBB1574_67
.LBB1574_47:
	s_or_b64 exec, exec, s[46:47]
                                        ; implicit-def: $vgpr26_vgpr27
	s_and_saveexec_b64 s[2:3], s[4:5]
	s_cbranch_execz .LBB1574_68
.LBB1574_48:
	v_lshlrev_b32_e32 v26, 3, v0
	v_mov_b32_e32 v27, s55
	v_add_co_u32_e32 v26, vcc, s7, v26
	v_addc_co_u32_e32 v27, vcc, 0, v27, vcc
	flat_load_dwordx2 v[26:27], v[26:27] offset:1024
	s_or_b64 exec, exec, s[2:3]
                                        ; implicit-def: $vgpr28_vgpr29
	s_and_saveexec_b64 s[2:3], s[44:45]
	s_cbranch_execnz .LBB1574_69
.LBB1574_49:
	s_or_b64 exec, exec, s[2:3]
                                        ; implicit-def: $vgpr30_vgpr31
	s_and_saveexec_b64 s[2:3], s[8:9]
	s_cbranch_execz .LBB1574_70
.LBB1574_50:
	v_lshlrev_b32_e32 v30, 3, v0
	v_mov_b32_e32 v31, s55
	v_add_co_u32_e32 v30, vcc, s7, v30
	v_addc_co_u32_e32 v31, vcc, 0, v31, vcc
	flat_load_dwordx2 v[30:31], v[30:31] offset:2048
	s_or_b64 exec, exec, s[2:3]
                                        ; implicit-def: $vgpr32_vgpr33
	s_and_saveexec_b64 s[2:3], s[10:11]
	s_cbranch_execnz .LBB1574_71
.LBB1574_51:
	s_or_b64 exec, exec, s[2:3]
                                        ; implicit-def: $vgpr34_vgpr35
	s_and_saveexec_b64 s[2:3], s[12:13]
	s_cbranch_execz .LBB1574_72
.LBB1574_52:
	v_lshlrev_b32_e32 v34, 3, v0
	v_mov_b32_e32 v35, s55
	v_add_co_u32_e32 v34, vcc, s7, v34
	v_addc_co_u32_e32 v35, vcc, 0, v35, vcc
	flat_load_dwordx2 v[34:35], v[34:35] offset:3072
	s_or_b64 exec, exec, s[2:3]
                                        ; implicit-def: $vgpr36_vgpr37
	s_and_saveexec_b64 s[2:3], s[14:15]
	s_cbranch_execnz .LBB1574_73
.LBB1574_53:
	s_or_b64 exec, exec, s[2:3]
                                        ; implicit-def: $vgpr38_vgpr39
	s_and_saveexec_b64 s[2:3], s[16:17]
	s_cbranch_execz .LBB1574_74
.LBB1574_54:
	v_lshlrev_b32_e32 v1, 3, v1
	v_mov_b32_e32 v39, s55
	v_add_co_u32_e32 v38, vcc, s7, v1
	v_addc_co_u32_e32 v39, vcc, 0, v39, vcc
	flat_load_dwordx2 v[38:39], v[38:39]
	s_or_b64 exec, exec, s[2:3]
                                        ; implicit-def: $vgpr40_vgpr41
	s_and_saveexec_b64 s[2:3], s[18:19]
	s_cbranch_execnz .LBB1574_75
.LBB1574_55:
	s_or_b64 exec, exec, s[2:3]
                                        ; implicit-def: $vgpr42_vgpr43
	s_and_saveexec_b64 s[2:3], s[20:21]
	s_cbranch_execz .LBB1574_76
.LBB1574_56:
	v_lshlrev_b32_e32 v1, 3, v44
	v_mov_b32_e32 v43, s55
	v_add_co_u32_e32 v42, vcc, s7, v1
	v_addc_co_u32_e32 v43, vcc, 0, v43, vcc
	flat_load_dwordx2 v[42:43], v[42:43]
	s_or_b64 exec, exec, s[2:3]
                                        ; implicit-def: $vgpr44_vgpr45
	s_and_saveexec_b64 s[2:3], s[22:23]
	s_cbranch_execnz .LBB1574_77
.LBB1574_57:
	s_or_b64 exec, exec, s[2:3]
                                        ; implicit-def: $vgpr46_vgpr47
	s_and_saveexec_b64 s[2:3], s[24:25]
	s_cbranch_execz .LBB1574_78
.LBB1574_58:
	v_lshlrev_b32_e32 v1, 3, v48
	v_mov_b32_e32 v47, s55
	v_add_co_u32_e32 v46, vcc, s7, v1
	v_addc_co_u32_e32 v47, vcc, 0, v47, vcc
	flat_load_dwordx2 v[46:47], v[46:47]
	s_or_b64 exec, exec, s[2:3]
                                        ; implicit-def: $vgpr48_vgpr49
	s_and_saveexec_b64 s[2:3], s[26:27]
	s_cbranch_execnz .LBB1574_79
.LBB1574_59:
	s_or_b64 exec, exec, s[2:3]
                                        ; implicit-def: $vgpr50_vgpr51
	s_and_saveexec_b64 s[2:3], s[28:29]
	s_cbranch_execz .LBB1574_80
.LBB1574_60:
	v_lshlrev_b32_e32 v1, 3, v52
	v_mov_b32_e32 v51, s55
	v_add_co_u32_e32 v50, vcc, s7, v1
	v_addc_co_u32_e32 v51, vcc, 0, v51, vcc
	flat_load_dwordx2 v[50:51], v[50:51]
	s_or_b64 exec, exec, s[2:3]
                                        ; implicit-def: $vgpr52_vgpr53
	s_and_saveexec_b64 s[2:3], s[30:31]
	s_cbranch_execnz .LBB1574_81
.LBB1574_61:
	s_or_b64 exec, exec, s[2:3]
                                        ; implicit-def: $vgpr54_vgpr55
	s_and_saveexec_b64 s[2:3], s[34:35]
	s_cbranch_execz .LBB1574_82
.LBB1574_62:
	v_lshlrev_b32_e32 v1, 3, v56
	v_mov_b32_e32 v55, s55
	v_add_co_u32_e32 v54, vcc, s7, v1
	v_addc_co_u32_e32 v55, vcc, 0, v55, vcc
	flat_load_dwordx2 v[54:55], v[54:55]
	s_or_b64 exec, exec, s[2:3]
                                        ; implicit-def: $vgpr56_vgpr57
	s_and_saveexec_b64 s[2:3], s[36:37]
	s_cbranch_execnz .LBB1574_83
.LBB1574_63:
	s_or_b64 exec, exec, s[2:3]
                                        ; implicit-def: $vgpr58_vgpr59
	s_and_saveexec_b64 s[2:3], s[38:39]
	s_cbranch_execz .LBB1574_84
.LBB1574_64:
	v_lshlrev_b32_e32 v1, 3, v60
	v_mov_b32_e32 v59, s55
	v_add_co_u32_e32 v58, vcc, s7, v1
	v_addc_co_u32_e32 v59, vcc, 0, v59, vcc
	flat_load_dwordx2 v[58:59], v[58:59]
	s_or_b64 exec, exec, s[2:3]
                                        ; implicit-def: $vgpr60_vgpr61
	s_and_saveexec_b64 s[2:3], s[40:41]
	s_cbranch_execz .LBB1574_86
	s_branch .LBB1574_85
.LBB1574_65:
	s_mov_b64 s[10:11], 0
                                        ; implicit-def: $sgpr8_sgpr9
                                        ; implicit-def: $vgpr2_vgpr3
                                        ; implicit-def: $vgpr42_vgpr43
                                        ; implicit-def: $vgpr108
                                        ; implicit-def: $vgpr44_vgpr45
                                        ; implicit-def: $vgpr124
                                        ; implicit-def: $vgpr80_vgpr81
                                        ; implicit-def: $vgpr123
                                        ; implicit-def: $vgpr78_vgpr79
                                        ; implicit-def: $vgpr122
                                        ; implicit-def: $vgpr76_vgpr77
                                        ; implicit-def: $vgpr121
                                        ; implicit-def: $vgpr74_vgpr75
                                        ; implicit-def: $vgpr120
                                        ; implicit-def: $vgpr72_vgpr73
                                        ; implicit-def: $vgpr119
                                        ; implicit-def: $vgpr70_vgpr71
                                        ; implicit-def: $vgpr118
                                        ; implicit-def: $vgpr68_vgpr69
                                        ; implicit-def: $vgpr117
                                        ; implicit-def: $vgpr66_vgpr67
                                        ; implicit-def: $vgpr116
                                        ; implicit-def: $vgpr64_vgpr65
                                        ; implicit-def: $vgpr115
                                        ; implicit-def: $vgpr62_vgpr63
                                        ; implicit-def: $vgpr114
                                        ; implicit-def: $vgpr60_vgpr61
                                        ; implicit-def: $vgpr113
                                        ; implicit-def: $vgpr58_vgpr59
                                        ; implicit-def: $vgpr112
                                        ; implicit-def: $vgpr56_vgpr57
                                        ; implicit-def: $vgpr111
                                        ; implicit-def: $vgpr54_vgpr55
                                        ; implicit-def: $vgpr110
                                        ; implicit-def: $vgpr52_vgpr53
                                        ; implicit-def: $vgpr109
                                        ; implicit-def: $vgpr50_vgpr51
                                        ; implicit-def: $vgpr107
                                        ; implicit-def: $vgpr48_vgpr49
                                        ; implicit-def: $vgpr106
                                        ; implicit-def: $vgpr46_vgpr47
                                        ; implicit-def: $vgpr1
                                        ; implicit-def: $sgpr76
                                        ; implicit-def: $sgpr4_sgpr5
	s_and_b64 vcc, exec, s[2:3]
	s_cbranch_vccz .LBB1574_136
	s_branch .LBB1574_131
.LBB1574_66:
	s_or_b64 exec, exec, s[46:47]
                                        ; implicit-def: $vgpr4_vgpr5
	s_and_saveexec_b64 s[46:47], s[2:3]
	s_cbranch_execz .LBB1574_47
.LBB1574_67:
	v_lshlrev_b32_e32 v4, 3, v0
	v_mov_b32_e32 v5, s55
	v_add_co_u32_e32 v4, vcc, s7, v4
	v_addc_co_u32_e32 v5, vcc, 0, v5, vcc
	flat_load_dwordx2 v[4:5], v[4:5] offset:512
	s_or_b64 exec, exec, s[46:47]
                                        ; implicit-def: $vgpr26_vgpr27
	s_and_saveexec_b64 s[2:3], s[4:5]
	s_cbranch_execnz .LBB1574_48
.LBB1574_68:
	s_or_b64 exec, exec, s[2:3]
                                        ; implicit-def: $vgpr28_vgpr29
	s_and_saveexec_b64 s[2:3], s[44:45]
	s_cbranch_execz .LBB1574_49
.LBB1574_69:
	v_lshlrev_b32_e32 v28, 3, v0
	v_mov_b32_e32 v29, s55
	v_add_co_u32_e32 v28, vcc, s7, v28
	v_addc_co_u32_e32 v29, vcc, 0, v29, vcc
	flat_load_dwordx2 v[28:29], v[28:29] offset:1536
	s_or_b64 exec, exec, s[2:3]
                                        ; implicit-def: $vgpr30_vgpr31
	s_and_saveexec_b64 s[2:3], s[8:9]
	s_cbranch_execnz .LBB1574_50
.LBB1574_70:
	s_or_b64 exec, exec, s[2:3]
                                        ; implicit-def: $vgpr32_vgpr33
	s_and_saveexec_b64 s[2:3], s[10:11]
	s_cbranch_execz .LBB1574_51
.LBB1574_71:
	v_lshlrev_b32_e32 v32, 3, v0
	v_mov_b32_e32 v33, s55
	v_add_co_u32_e32 v32, vcc, s7, v32
	v_addc_co_u32_e32 v33, vcc, 0, v33, vcc
	flat_load_dwordx2 v[32:33], v[32:33] offset:2560
	s_or_b64 exec, exec, s[2:3]
                                        ; implicit-def: $vgpr34_vgpr35
	s_and_saveexec_b64 s[2:3], s[12:13]
	s_cbranch_execnz .LBB1574_52
.LBB1574_72:
	s_or_b64 exec, exec, s[2:3]
                                        ; implicit-def: $vgpr36_vgpr37
	s_and_saveexec_b64 s[2:3], s[14:15]
	s_cbranch_execz .LBB1574_53
.LBB1574_73:
	v_lshlrev_b32_e32 v36, 3, v0
	v_mov_b32_e32 v37, s55
	v_add_co_u32_e32 v36, vcc, s7, v36
	v_addc_co_u32_e32 v37, vcc, 0, v37, vcc
	flat_load_dwordx2 v[36:37], v[36:37] offset:3584
	s_or_b64 exec, exec, s[2:3]
                                        ; implicit-def: $vgpr38_vgpr39
	s_and_saveexec_b64 s[2:3], s[16:17]
	s_cbranch_execnz .LBB1574_54
.LBB1574_74:
	s_or_b64 exec, exec, s[2:3]
                                        ; implicit-def: $vgpr40_vgpr41
	s_and_saveexec_b64 s[2:3], s[18:19]
	s_cbranch_execz .LBB1574_55
.LBB1574_75:
	v_lshlrev_b32_e32 v1, 3, v42
	v_mov_b32_e32 v41, s55
	v_add_co_u32_e32 v40, vcc, s7, v1
	v_addc_co_u32_e32 v41, vcc, 0, v41, vcc
	flat_load_dwordx2 v[40:41], v[40:41]
	s_or_b64 exec, exec, s[2:3]
                                        ; implicit-def: $vgpr42_vgpr43
	s_and_saveexec_b64 s[2:3], s[20:21]
	s_cbranch_execnz .LBB1574_56
.LBB1574_76:
	s_or_b64 exec, exec, s[2:3]
                                        ; implicit-def: $vgpr44_vgpr45
	s_and_saveexec_b64 s[2:3], s[22:23]
	s_cbranch_execz .LBB1574_57
.LBB1574_77:
	v_lshlrev_b32_e32 v1, 3, v46
	v_mov_b32_e32 v45, s55
	v_add_co_u32_e32 v44, vcc, s7, v1
	v_addc_co_u32_e32 v45, vcc, 0, v45, vcc
	flat_load_dwordx2 v[44:45], v[44:45]
	s_or_b64 exec, exec, s[2:3]
                                        ; implicit-def: $vgpr46_vgpr47
	s_and_saveexec_b64 s[2:3], s[24:25]
	s_cbranch_execnz .LBB1574_58
.LBB1574_78:
	s_or_b64 exec, exec, s[2:3]
                                        ; implicit-def: $vgpr48_vgpr49
	s_and_saveexec_b64 s[2:3], s[26:27]
	s_cbranch_execz .LBB1574_59
.LBB1574_79:
	v_lshlrev_b32_e32 v1, 3, v50
	v_mov_b32_e32 v49, s55
	v_add_co_u32_e32 v48, vcc, s7, v1
	v_addc_co_u32_e32 v49, vcc, 0, v49, vcc
	flat_load_dwordx2 v[48:49], v[48:49]
	s_or_b64 exec, exec, s[2:3]
                                        ; implicit-def: $vgpr50_vgpr51
	s_and_saveexec_b64 s[2:3], s[28:29]
	s_cbranch_execnz .LBB1574_60
.LBB1574_80:
	s_or_b64 exec, exec, s[2:3]
                                        ; implicit-def: $vgpr52_vgpr53
	s_and_saveexec_b64 s[2:3], s[30:31]
	s_cbranch_execz .LBB1574_61
.LBB1574_81:
	v_lshlrev_b32_e32 v1, 3, v54
	v_mov_b32_e32 v53, s55
	v_add_co_u32_e32 v52, vcc, s7, v1
	v_addc_co_u32_e32 v53, vcc, 0, v53, vcc
	flat_load_dwordx2 v[52:53], v[52:53]
	s_or_b64 exec, exec, s[2:3]
                                        ; implicit-def: $vgpr54_vgpr55
	s_and_saveexec_b64 s[2:3], s[34:35]
	s_cbranch_execnz .LBB1574_62
.LBB1574_82:
	s_or_b64 exec, exec, s[2:3]
                                        ; implicit-def: $vgpr56_vgpr57
	s_and_saveexec_b64 s[2:3], s[36:37]
	s_cbranch_execz .LBB1574_63
.LBB1574_83:
	v_lshlrev_b32_e32 v1, 3, v58
	v_mov_b32_e32 v57, s55
	v_add_co_u32_e32 v56, vcc, s7, v1
	v_addc_co_u32_e32 v57, vcc, 0, v57, vcc
	flat_load_dwordx2 v[56:57], v[56:57]
	s_or_b64 exec, exec, s[2:3]
                                        ; implicit-def: $vgpr58_vgpr59
	s_and_saveexec_b64 s[2:3], s[38:39]
	s_cbranch_execnz .LBB1574_64
.LBB1574_84:
	s_or_b64 exec, exec, s[2:3]
                                        ; implicit-def: $vgpr60_vgpr61
	s_and_saveexec_b64 s[2:3], s[40:41]
	s_cbranch_execz .LBB1574_86
.LBB1574_85:
	v_lshlrev_b32_e32 v1, 3, v62
	v_mov_b32_e32 v61, s55
	v_add_co_u32_e32 v60, vcc, s7, v1
	v_addc_co_u32_e32 v61, vcc, 0, v61, vcc
	flat_load_dwordx2 v[60:61], v[60:61]
.LBB1574_86:
	s_or_b64 exec, exec, s[2:3]
	v_mul_u32_u24_e32 v83, 21, v0
                                        ; implicit-def: $vgpr62_vgpr63
	s_and_saveexec_b64 s[2:3], s[42:43]
	s_cbranch_execz .LBB1574_88
; %bb.87:
	v_lshlrev_b32_e32 v1, 3, v64
	v_mov_b32_e32 v63, s55
	v_add_co_u32_e32 v62, vcc, s7, v1
	v_addc_co_u32_e32 v63, vcc, 0, v63, vcc
	flat_load_dwordx2 v[62:63], v[62:63]
.LBB1574_88:
	s_or_b64 exec, exec, s[2:3]
	v_lshl_add_u32 v85, v0, 2, v65
	s_waitcnt vmcnt(0) lgkmcnt(0)
	ds_write2st64_b64 v85, v[2:3], v[4:5] offset1:1
	ds_write2st64_b64 v85, v[26:27], v[28:29] offset0:2 offset1:3
	ds_write2st64_b64 v85, v[30:31], v[32:33] offset0:4 offset1:5
	;; [unrolled: 1-line block ×9, first 2 shown]
	ds_write_b64 v85, v[62:63] offset:10240
	v_pk_mov_b32 v[42:43], 0, 0
	v_cmp_gt_u32_e32 vcc, s74, v83
	s_mov_b64 s[10:11], 0
	s_mov_b32 s76, 0
	s_mov_b64 s[2:3], 0
	v_mov_b32_e32 v108, 0
	v_pk_mov_b32 v[44:45], v[42:43], v[42:43] op_sel:[0,1]
	v_mov_b32_e32 v124, 0
	v_pk_mov_b32 v[80:81], v[42:43], v[42:43] op_sel:[0,1]
	;; [unrolled: 2-line block ×19, first 2 shown]
	v_mov_b32_e32 v1, 0
	s_waitcnt lgkmcnt(0)
	; wave barrier
	s_waitcnt lgkmcnt(0)
                                        ; implicit-def: $sgpr8_sgpr9
                                        ; implicit-def: $vgpr2_vgpr3
	s_and_saveexec_b64 s[4:5], vcc
	s_cbranch_execz .LBB1574_130
; %bb.89:
	s_movk_i32 s8, 0xa0
	v_mad_u32_u24 v1, v0, s8, v85
	ds_read_b64 v[2:3], v1
	v_cmp_ne_u32_e32 vcc, v84, v24
	v_mov_b32_e32 v5, s69
	v_add_u32_e32 v4, 1, v83
	v_pk_mov_b32 v[44:45], 0, 0
	s_waitcnt lgkmcnt(0)
	v_cndmask_b32_e32 v43, v3, v5, vcc
	v_mov_b32_e32 v3, s68
	v_cndmask_b32_e64 v1, 0, 1, vcc
	v_cndmask_b32_e32 v42, v2, v3, vcc
	v_cmp_gt_u32_e32 vcc, s74, v4
	s_mov_b64 s[12:13], 0
	v_mov_b32_e32 v108, 0
	v_mov_b32_e32 v124, 0
	v_pk_mov_b32 v[80:81], v[44:45], v[44:45] op_sel:[0,1]
	v_mov_b32_e32 v123, 0
	v_pk_mov_b32 v[78:79], v[44:45], v[44:45] op_sel:[0,1]
	;; [unrolled: 2-line block ×18, first 2 shown]
                                        ; implicit-def: $sgpr14_sgpr15
                                        ; implicit-def: $vgpr2_vgpr3
	s_and_saveexec_b64 s[8:9], vcc
	s_cbranch_execz .LBB1574_129
; %bb.90:
	v_mul_u32_u24_e32 v2, 0xa0, v0
	v_add_u32_e32 v26, v85, v2
	ds_read2_b64 v[2:5], v26 offset0:1 offset1:2
	v_cmp_ne_u32_e32 vcc, v24, v25
	v_mov_b32_e32 v24, s69
	v_add_u32_e32 v27, 2, v83
	v_pk_mov_b32 v[44:45], 0, 0
	s_waitcnt lgkmcnt(0)
	v_cndmask_b32_e32 v47, v3, v24, vcc
	v_mov_b32_e32 v3, s68
	v_cndmask_b32_e64 v106, 0, 1, vcc
	v_cndmask_b32_e32 v46, v2, v3, vcc
	v_cmp_gt_u32_e32 vcc, s74, v27
	s_mov_b64 s[14:15], 0
	v_mov_b32_e32 v108, 0
	v_mov_b32_e32 v124, 0
	v_pk_mov_b32 v[80:81], v[44:45], v[44:45] op_sel:[0,1]
	v_mov_b32_e32 v123, 0
	v_pk_mov_b32 v[78:79], v[44:45], v[44:45] op_sel:[0,1]
	;; [unrolled: 2-line block ×17, first 2 shown]
                                        ; implicit-def: $sgpr16_sgpr17
                                        ; implicit-def: $vgpr2_vgpr3
	s_and_saveexec_b64 s[10:11], vcc
	s_cbranch_execz .LBB1574_128
; %bb.91:
	v_cmp_ne_u32_e32 vcc, v25, v22
	v_mov_b32_e32 v3, s69
	v_add_u32_e32 v2, 3, v83
	v_cndmask_b32_e32 v49, v5, v3, vcc
	v_mov_b32_e32 v3, s68
	v_pk_mov_b32 v[44:45], 0, 0
	v_cndmask_b32_e64 v107, 0, 1, vcc
	v_cndmask_b32_e32 v48, v4, v3, vcc
	v_cmp_gt_u32_e32 vcc, s74, v2
	s_mov_b64 s[16:17], 0
	v_mov_b32_e32 v108, 0
	v_mov_b32_e32 v124, 0
	v_pk_mov_b32 v[80:81], v[44:45], v[44:45] op_sel:[0,1]
	v_mov_b32_e32 v123, 0
	v_pk_mov_b32 v[78:79], v[44:45], v[44:45] op_sel:[0,1]
	;; [unrolled: 2-line block ×16, first 2 shown]
                                        ; implicit-def: $sgpr18_sgpr19
                                        ; implicit-def: $vgpr2_vgpr3
	s_and_saveexec_b64 s[12:13], vcc
	s_cbranch_execz .LBB1574_127
; %bb.92:
	ds_read2_b64 v[2:5], v26 offset0:3 offset1:4
	v_cmp_ne_u32_e32 vcc, v22, v23
	v_mov_b32_e32 v22, s69
	v_add_u32_e32 v24, 4, v83
	v_pk_mov_b32 v[44:45], 0, 0
	s_waitcnt lgkmcnt(0)
	v_cndmask_b32_e32 v51, v3, v22, vcc
	v_mov_b32_e32 v3, s68
	v_cndmask_b32_e64 v109, 0, 1, vcc
	v_cndmask_b32_e32 v50, v2, v3, vcc
	v_cmp_gt_u32_e32 vcc, s74, v24
	s_mov_b64 s[18:19], 0
	v_mov_b32_e32 v108, 0
	v_mov_b32_e32 v124, 0
	v_pk_mov_b32 v[80:81], v[44:45], v[44:45] op_sel:[0,1]
	v_mov_b32_e32 v123, 0
	v_pk_mov_b32 v[78:79], v[44:45], v[44:45] op_sel:[0,1]
	;; [unrolled: 2-line block ×15, first 2 shown]
                                        ; implicit-def: $sgpr20_sgpr21
                                        ; implicit-def: $vgpr2_vgpr3
	s_and_saveexec_b64 s[14:15], vcc
	s_cbranch_execz .LBB1574_126
; %bb.93:
	v_cmp_ne_u32_e32 vcc, v23, v20
	v_mov_b32_e32 v3, s69
	v_add_u32_e32 v2, 5, v83
	v_cndmask_b32_e32 v53, v5, v3, vcc
	v_mov_b32_e32 v3, s68
	v_pk_mov_b32 v[44:45], 0, 0
	v_cndmask_b32_e64 v110, 0, 1, vcc
	v_cndmask_b32_e32 v52, v4, v3, vcc
	v_cmp_gt_u32_e32 vcc, s74, v2
	s_mov_b64 s[20:21], 0
	v_mov_b32_e32 v108, 0
	v_mov_b32_e32 v124, 0
	v_pk_mov_b32 v[80:81], v[44:45], v[44:45] op_sel:[0,1]
	v_mov_b32_e32 v123, 0
	v_pk_mov_b32 v[78:79], v[44:45], v[44:45] op_sel:[0,1]
	;; [unrolled: 2-line block ×14, first 2 shown]
                                        ; implicit-def: $sgpr22_sgpr23
                                        ; implicit-def: $vgpr2_vgpr3
	s_and_saveexec_b64 s[16:17], vcc
	s_cbranch_execz .LBB1574_125
; %bb.94:
	ds_read2_b64 v[2:5], v26 offset0:5 offset1:6
	v_cmp_ne_u32_e32 vcc, v20, v21
	v_mov_b32_e32 v20, s69
	v_add_u32_e32 v22, 6, v83
	v_pk_mov_b32 v[44:45], 0, 0
	s_waitcnt lgkmcnt(0)
	v_cndmask_b32_e32 v55, v3, v20, vcc
	v_mov_b32_e32 v3, s68
	v_cndmask_b32_e64 v111, 0, 1, vcc
	v_cndmask_b32_e32 v54, v2, v3, vcc
	v_cmp_gt_u32_e32 vcc, s74, v22
	s_mov_b64 s[22:23], 0
	v_mov_b32_e32 v108, 0
	v_mov_b32_e32 v124, 0
	v_pk_mov_b32 v[80:81], v[44:45], v[44:45] op_sel:[0,1]
	v_mov_b32_e32 v123, 0
	v_pk_mov_b32 v[78:79], v[44:45], v[44:45] op_sel:[0,1]
	;; [unrolled: 2-line block ×13, first 2 shown]
                                        ; implicit-def: $sgpr24_sgpr25
                                        ; implicit-def: $vgpr2_vgpr3
	s_and_saveexec_b64 s[18:19], vcc
	s_cbranch_execz .LBB1574_124
; %bb.95:
	v_cmp_ne_u32_e32 vcc, v21, v18
	v_mov_b32_e32 v3, s69
	v_add_u32_e32 v2, 7, v83
	v_cndmask_b32_e32 v57, v5, v3, vcc
	v_mov_b32_e32 v3, s68
	v_pk_mov_b32 v[44:45], 0, 0
	v_cndmask_b32_e64 v112, 0, 1, vcc
	v_cndmask_b32_e32 v56, v4, v3, vcc
	v_cmp_gt_u32_e32 vcc, s74, v2
	s_mov_b64 s[24:25], 0
	v_mov_b32_e32 v108, 0
	v_mov_b32_e32 v124, 0
	v_pk_mov_b32 v[80:81], v[44:45], v[44:45] op_sel:[0,1]
	v_mov_b32_e32 v123, 0
	v_pk_mov_b32 v[78:79], v[44:45], v[44:45] op_sel:[0,1]
	;; [unrolled: 2-line block ×12, first 2 shown]
                                        ; implicit-def: $sgpr26_sgpr27
                                        ; implicit-def: $vgpr2_vgpr3
	s_and_saveexec_b64 s[20:21], vcc
	s_cbranch_execz .LBB1574_123
; %bb.96:
	ds_read2_b64 v[2:5], v26 offset0:7 offset1:8
	v_cmp_ne_u32_e32 vcc, v18, v19
	v_mov_b32_e32 v18, s69
	v_add_u32_e32 v20, 8, v83
	v_pk_mov_b32 v[44:45], 0, 0
	s_waitcnt lgkmcnt(0)
	v_cndmask_b32_e32 v59, v3, v18, vcc
	v_mov_b32_e32 v3, s68
	v_cndmask_b32_e64 v113, 0, 1, vcc
	v_cndmask_b32_e32 v58, v2, v3, vcc
	v_cmp_gt_u32_e32 vcc, s74, v20
	s_mov_b64 s[26:27], 0
	v_mov_b32_e32 v108, 0
	v_mov_b32_e32 v124, 0
	v_pk_mov_b32 v[80:81], v[44:45], v[44:45] op_sel:[0,1]
	v_mov_b32_e32 v123, 0
	v_pk_mov_b32 v[78:79], v[44:45], v[44:45] op_sel:[0,1]
	;; [unrolled: 2-line block ×11, first 2 shown]
                                        ; implicit-def: $sgpr28_sgpr29
                                        ; implicit-def: $vgpr2_vgpr3
	s_and_saveexec_b64 s[22:23], vcc
	s_cbranch_execz .LBB1574_122
; %bb.97:
	v_cmp_ne_u32_e32 vcc, v19, v16
	v_mov_b32_e32 v3, s69
	v_add_u32_e32 v2, 9, v83
	v_cndmask_b32_e32 v61, v5, v3, vcc
	v_mov_b32_e32 v3, s68
	v_pk_mov_b32 v[44:45], 0, 0
	v_cndmask_b32_e64 v114, 0, 1, vcc
	v_cndmask_b32_e32 v60, v4, v3, vcc
	v_cmp_gt_u32_e32 vcc, s74, v2
	s_mov_b64 s[28:29], 0
	v_mov_b32_e32 v108, 0
	v_mov_b32_e32 v124, 0
	v_pk_mov_b32 v[80:81], v[44:45], v[44:45] op_sel:[0,1]
	v_mov_b32_e32 v123, 0
	v_pk_mov_b32 v[78:79], v[44:45], v[44:45] op_sel:[0,1]
	;; [unrolled: 2-line block ×10, first 2 shown]
                                        ; implicit-def: $sgpr30_sgpr31
                                        ; implicit-def: $vgpr2_vgpr3
	s_and_saveexec_b64 s[24:25], vcc
	s_cbranch_execz .LBB1574_121
; %bb.98:
	ds_read2_b64 v[2:5], v26 offset0:9 offset1:10
	v_cmp_ne_u32_e32 vcc, v16, v17
	v_mov_b32_e32 v16, s69
	v_add_u32_e32 v18, 10, v83
	v_pk_mov_b32 v[44:45], 0, 0
	s_waitcnt lgkmcnt(0)
	v_cndmask_b32_e32 v63, v3, v16, vcc
	v_mov_b32_e32 v3, s68
	v_cndmask_b32_e64 v115, 0, 1, vcc
	v_cndmask_b32_e32 v62, v2, v3, vcc
	v_cmp_gt_u32_e32 vcc, s74, v18
	s_mov_b64 s[30:31], 0
	v_mov_b32_e32 v108, 0
	v_mov_b32_e32 v124, 0
	v_pk_mov_b32 v[80:81], v[44:45], v[44:45] op_sel:[0,1]
	v_mov_b32_e32 v123, 0
	v_pk_mov_b32 v[78:79], v[44:45], v[44:45] op_sel:[0,1]
	;; [unrolled: 2-line block ×9, first 2 shown]
                                        ; implicit-def: $sgpr34_sgpr35
                                        ; implicit-def: $vgpr2_vgpr3
	s_and_saveexec_b64 s[26:27], vcc
	s_cbranch_execz .LBB1574_120
; %bb.99:
	v_cmp_ne_u32_e32 vcc, v17, v14
	v_mov_b32_e32 v3, s69
	v_add_u32_e32 v2, 11, v83
	v_cndmask_b32_e32 v65, v5, v3, vcc
	v_mov_b32_e32 v3, s68
	v_pk_mov_b32 v[44:45], 0, 0
	v_cndmask_b32_e64 v116, 0, 1, vcc
	v_cndmask_b32_e32 v64, v4, v3, vcc
	v_cmp_gt_u32_e32 vcc, s74, v2
	s_mov_b64 s[34:35], 0
	v_mov_b32_e32 v108, 0
	v_mov_b32_e32 v124, 0
	v_pk_mov_b32 v[80:81], v[44:45], v[44:45] op_sel:[0,1]
	v_mov_b32_e32 v123, 0
	v_pk_mov_b32 v[78:79], v[44:45], v[44:45] op_sel:[0,1]
	;; [unrolled: 2-line block ×8, first 2 shown]
                                        ; implicit-def: $sgpr36_sgpr37
                                        ; implicit-def: $vgpr2_vgpr3
	s_and_saveexec_b64 s[28:29], vcc
	s_cbranch_execz .LBB1574_119
; %bb.100:
	ds_read2_b64 v[2:5], v26 offset0:11 offset1:12
	v_cmp_ne_u32_e32 vcc, v14, v15
	v_mov_b32_e32 v14, s69
	v_add_u32_e32 v16, 12, v83
	v_pk_mov_b32 v[44:45], 0, 0
	s_waitcnt lgkmcnt(0)
	v_cndmask_b32_e32 v67, v3, v14, vcc
	v_mov_b32_e32 v3, s68
	v_cndmask_b32_e64 v117, 0, 1, vcc
	v_cndmask_b32_e32 v66, v2, v3, vcc
	v_cmp_gt_u32_e32 vcc, s74, v16
	s_mov_b64 s[36:37], 0
	v_mov_b32_e32 v108, 0
	v_mov_b32_e32 v124, 0
	v_pk_mov_b32 v[80:81], v[44:45], v[44:45] op_sel:[0,1]
	v_mov_b32_e32 v123, 0
	v_pk_mov_b32 v[78:79], v[44:45], v[44:45] op_sel:[0,1]
	;; [unrolled: 2-line block ×7, first 2 shown]
                                        ; implicit-def: $sgpr38_sgpr39
                                        ; implicit-def: $vgpr2_vgpr3
	s_and_saveexec_b64 s[30:31], vcc
	s_cbranch_execz .LBB1574_118
; %bb.101:
	v_cmp_ne_u32_e32 vcc, v15, v12
	v_mov_b32_e32 v3, s69
	v_add_u32_e32 v2, 13, v83
	v_cndmask_b32_e32 v69, v5, v3, vcc
	v_mov_b32_e32 v3, s68
	v_pk_mov_b32 v[44:45], 0, 0
	v_cndmask_b32_e64 v118, 0, 1, vcc
	v_cndmask_b32_e32 v68, v4, v3, vcc
	v_cmp_gt_u32_e32 vcc, s74, v2
	s_mov_b64 s[38:39], 0
	v_mov_b32_e32 v108, 0
	v_mov_b32_e32 v124, 0
	v_pk_mov_b32 v[80:81], v[44:45], v[44:45] op_sel:[0,1]
	v_mov_b32_e32 v123, 0
	v_pk_mov_b32 v[78:79], v[44:45], v[44:45] op_sel:[0,1]
	;; [unrolled: 2-line block ×6, first 2 shown]
                                        ; implicit-def: $sgpr40_sgpr41
                                        ; implicit-def: $vgpr2_vgpr3
	s_and_saveexec_b64 s[34:35], vcc
	s_cbranch_execz .LBB1574_117
; %bb.102:
	ds_read2_b64 v[2:5], v26 offset0:13 offset1:14
	v_cmp_ne_u32_e32 vcc, v12, v13
	v_mov_b32_e32 v12, s69
	v_add_u32_e32 v14, 14, v83
	v_pk_mov_b32 v[44:45], 0, 0
	s_waitcnt lgkmcnt(0)
	v_cndmask_b32_e32 v71, v3, v12, vcc
	v_mov_b32_e32 v3, s68
	v_cndmask_b32_e64 v119, 0, 1, vcc
	v_cndmask_b32_e32 v70, v2, v3, vcc
	v_cmp_gt_u32_e32 vcc, s74, v14
	s_mov_b64 s[40:41], 0
	v_mov_b32_e32 v108, 0
	v_mov_b32_e32 v124, 0
	v_pk_mov_b32 v[80:81], v[44:45], v[44:45] op_sel:[0,1]
	v_mov_b32_e32 v123, 0
	v_pk_mov_b32 v[78:79], v[44:45], v[44:45] op_sel:[0,1]
	;; [unrolled: 2-line block ×5, first 2 shown]
                                        ; implicit-def: $sgpr42_sgpr43
                                        ; implicit-def: $vgpr2_vgpr3
	s_and_saveexec_b64 s[36:37], vcc
	s_cbranch_execz .LBB1574_116
; %bb.103:
	v_cmp_ne_u32_e32 vcc, v13, v10
	v_mov_b32_e32 v3, s69
	v_add_u32_e32 v2, 15, v83
	v_cndmask_b32_e32 v73, v5, v3, vcc
	v_mov_b32_e32 v3, s68
	v_pk_mov_b32 v[44:45], 0, 0
	v_cndmask_b32_e64 v120, 0, 1, vcc
	v_cndmask_b32_e32 v72, v4, v3, vcc
	v_cmp_gt_u32_e32 vcc, s74, v2
	s_mov_b64 s[42:43], 0
	v_mov_b32_e32 v108, 0
	v_mov_b32_e32 v124, 0
	v_pk_mov_b32 v[80:81], v[44:45], v[44:45] op_sel:[0,1]
	v_mov_b32_e32 v123, 0
	v_pk_mov_b32 v[78:79], v[44:45], v[44:45] op_sel:[0,1]
	;; [unrolled: 2-line block ×4, first 2 shown]
                                        ; implicit-def: $sgpr44_sgpr45
                                        ; implicit-def: $vgpr2_vgpr3
	s_and_saveexec_b64 s[38:39], vcc
	s_cbranch_execz .LBB1574_115
; %bb.104:
	ds_read2_b64 v[2:5], v26 offset0:15 offset1:16
	v_cmp_ne_u32_e32 vcc, v10, v11
	v_mov_b32_e32 v10, s69
	v_add_u32_e32 v12, 16, v83
	v_pk_mov_b32 v[44:45], 0, 0
	s_waitcnt lgkmcnt(0)
	v_cndmask_b32_e32 v75, v3, v10, vcc
	v_mov_b32_e32 v3, s68
	v_cndmask_b32_e64 v121, 0, 1, vcc
	v_cndmask_b32_e32 v74, v2, v3, vcc
	v_cmp_gt_u32_e32 vcc, s74, v12
	s_mov_b64 s[44:45], 0
	v_mov_b32_e32 v108, 0
	v_mov_b32_e32 v124, 0
	v_pk_mov_b32 v[80:81], v[44:45], v[44:45] op_sel:[0,1]
	v_mov_b32_e32 v123, 0
	v_pk_mov_b32 v[78:79], v[44:45], v[44:45] op_sel:[0,1]
	;; [unrolled: 2-line block ×3, first 2 shown]
                                        ; implicit-def: $sgpr46_sgpr47
                                        ; implicit-def: $vgpr2_vgpr3
	s_and_saveexec_b64 s[40:41], vcc
	s_cbranch_execz .LBB1574_114
; %bb.105:
	v_cmp_ne_u32_e32 vcc, v11, v8
	v_mov_b32_e32 v3, s69
	v_add_u32_e32 v2, 17, v83
	v_cndmask_b32_e32 v77, v5, v3, vcc
	v_mov_b32_e32 v3, s68
	v_pk_mov_b32 v[44:45], 0, 0
	v_cndmask_b32_e64 v122, 0, 1, vcc
	v_cndmask_b32_e32 v76, v4, v3, vcc
	v_cmp_gt_u32_e32 vcc, s74, v2
	s_mov_b64 s[46:47], 0
	v_mov_b32_e32 v108, 0
	v_mov_b32_e32 v124, 0
	v_pk_mov_b32 v[80:81], v[44:45], v[44:45] op_sel:[0,1]
	v_mov_b32_e32 v123, 0
	v_pk_mov_b32 v[78:79], v[44:45], v[44:45] op_sel:[0,1]
                                        ; implicit-def: $sgpr64_sgpr65
                                        ; implicit-def: $vgpr2_vgpr3
	s_and_saveexec_b64 s[42:43], vcc
	s_cbranch_execz .LBB1574_113
; %bb.106:
	ds_read2_b64 v[2:5], v26 offset0:17 offset1:18
	v_cmp_ne_u32_e32 vcc, v8, v9
	v_mov_b32_e32 v8, s69
	v_add_u32_e32 v10, 18, v83
	v_pk_mov_b32 v[44:45], 0, 0
	s_waitcnt lgkmcnt(0)
	v_cndmask_b32_e32 v79, v3, v8, vcc
	v_mov_b32_e32 v3, s68
	v_cndmask_b32_e64 v123, 0, 1, vcc
	v_cndmask_b32_e32 v78, v2, v3, vcc
	v_cmp_gt_u32_e32 vcc, s74, v10
	s_mov_b64 s[64:65], 0
	v_mov_b32_e32 v108, 0
	v_mov_b32_e32 v124, 0
	v_pk_mov_b32 v[80:81], v[44:45], v[44:45] op_sel:[0,1]
                                        ; implicit-def: $sgpr72_sgpr73
                                        ; implicit-def: $vgpr2_vgpr3
	s_and_saveexec_b64 s[44:45], vcc
	s_cbranch_execz .LBB1574_112
; %bb.107:
	v_cmp_ne_u32_e32 vcc, v9, v6
	v_mov_b32_e32 v3, s69
	v_add_u32_e32 v2, 19, v83
	v_cndmask_b32_e32 v81, v5, v3, vcc
	v_mov_b32_e32 v3, s68
	v_cndmask_b32_e64 v124, 0, 1, vcc
	v_cndmask_b32_e32 v80, v4, v3, vcc
	v_cmp_gt_u32_e32 vcc, s74, v2
	v_mov_b32_e32 v108, 0
	v_pk_mov_b32 v[44:45], 0, 0
                                        ; implicit-def: $sgpr72_sgpr73
                                        ; implicit-def: $vgpr2_vgpr3
	s_and_saveexec_b64 s[46:47], vcc
	s_cbranch_execz .LBB1574_111
; %bb.108:
	ds_read2_b64 v[2:5], v26 offset0:19 offset1:20
	v_cmp_ne_u32_e32 vcc, v6, v7
	v_mov_b32_e32 v6, s69
	v_add_u32_e32 v8, 20, v83
	v_cndmask_b32_e64 v108, 0, 1, vcc
	s_waitcnt lgkmcnt(0)
	v_cndmask_b32_e32 v45, v3, v6, vcc
	v_mov_b32_e32 v3, s68
	v_cndmask_b32_e32 v44, v2, v3, vcc
	v_cmp_gt_u32_e32 vcc, s74, v8
                                        ; implicit-def: $sgpr72_sgpr73
                                        ; implicit-def: $vgpr2_vgpr3
	s_and_saveexec_b64 s[74:75], vcc
	s_xor_b64 s[74:75], exec, s[74:75]
; %bb.109:
	v_mov_b32_e32 v2, s69
	v_cmp_ne_u32_e32 vcc, v7, v82
	v_cndmask_b32_e32 v3, v5, v2, vcc
	v_mov_b32_e32 v2, s68
	s_mov_b64 s[64:65], exec
	v_cndmask_b32_e32 v2, v4, v2, vcc
	s_and_b64 s[72:73], vcc, exec
; %bb.110:
	s_or_b64 exec, exec, s[74:75]
	s_and_b64 s[72:73], s[72:73], exec
	s_and_b64 s[64:65], s[64:65], exec
.LBB1574_111:
	s_or_b64 exec, exec, s[46:47]
	s_and_b64 s[72:73], s[72:73], exec
	s_and_b64 s[46:47], s[64:65], exec
.LBB1574_112:
	s_or_b64 exec, exec, s[44:45]
	s_and_b64 s[64:65], s[72:73], exec
	s_and_b64 s[44:45], s[46:47], exec
.LBB1574_113:
	s_or_b64 exec, exec, s[42:43]
	s_and_b64 s[46:47], s[64:65], exec
	s_and_b64 s[42:43], s[44:45], exec
.LBB1574_114:
	s_or_b64 exec, exec, s[40:41]
	s_and_b64 s[44:45], s[46:47], exec
	s_and_b64 s[40:41], s[42:43], exec
.LBB1574_115:
	s_or_b64 exec, exec, s[38:39]
	s_and_b64 s[42:43], s[44:45], exec
	s_and_b64 s[38:39], s[40:41], exec
.LBB1574_116:
	s_or_b64 exec, exec, s[36:37]
	s_and_b64 s[40:41], s[42:43], exec
	s_and_b64 s[36:37], s[38:39], exec
.LBB1574_117:
	s_or_b64 exec, exec, s[34:35]
	s_and_b64 s[38:39], s[40:41], exec
	s_and_b64 s[34:35], s[36:37], exec
.LBB1574_118:
	s_or_b64 exec, exec, s[30:31]
	s_and_b64 s[36:37], s[38:39], exec
	s_and_b64 s[30:31], s[34:35], exec
.LBB1574_119:
	s_or_b64 exec, exec, s[28:29]
	s_and_b64 s[34:35], s[36:37], exec
	s_and_b64 s[28:29], s[30:31], exec
.LBB1574_120:
	s_or_b64 exec, exec, s[26:27]
	s_and_b64 s[30:31], s[34:35], exec
	s_and_b64 s[26:27], s[28:29], exec
.LBB1574_121:
	s_or_b64 exec, exec, s[24:25]
	s_and_b64 s[28:29], s[30:31], exec
	s_and_b64 s[24:25], s[26:27], exec
.LBB1574_122:
	s_or_b64 exec, exec, s[22:23]
	s_and_b64 s[26:27], s[28:29], exec
	s_and_b64 s[22:23], s[24:25], exec
.LBB1574_123:
	s_or_b64 exec, exec, s[20:21]
	s_and_b64 s[24:25], s[26:27], exec
	s_and_b64 s[20:21], s[22:23], exec
.LBB1574_124:
	s_or_b64 exec, exec, s[18:19]
	s_and_b64 s[22:23], s[24:25], exec
	s_and_b64 s[18:19], s[20:21], exec
.LBB1574_125:
	s_or_b64 exec, exec, s[16:17]
	s_and_b64 s[20:21], s[22:23], exec
	s_and_b64 s[16:17], s[18:19], exec
.LBB1574_126:
	s_or_b64 exec, exec, s[14:15]
	s_and_b64 s[18:19], s[20:21], exec
	s_and_b64 s[14:15], s[16:17], exec
.LBB1574_127:
	s_or_b64 exec, exec, s[12:13]
	s_and_b64 s[16:17], s[18:19], exec
	s_and_b64 s[12:13], s[14:15], exec
.LBB1574_128:
	s_or_b64 exec, exec, s[10:11]
	s_and_b64 s[14:15], s[16:17], exec
	s_and_b64 s[10:11], s[12:13], exec
.LBB1574_129:
	s_or_b64 exec, exec, s[8:9]
	s_and_b64 s[8:9], s[14:15], exec
	s_and_b64 s[10:11], s[10:11], exec
.LBB1574_130:
	s_or_b64 exec, exec, s[4:5]
	s_mov_b64 s[4:5], 0
	s_and_b64 vcc, exec, s[2:3]
	s_cbranch_vccz .LBB1574_136
.LBB1574_131:
	v_lshlrev_b32_e32 v2, 2, v0
	v_mov_b32_e32 v1, s61
	v_add_co_u32_e32 v4, vcc, s60, v2
	v_addc_co_u32_e32 v5, vcc, 0, v1, vcc
	s_movk_i32 s4, 0x1000
	flat_load_dword v1, v[4:5]
	flat_load_dword v3, v[4:5] offset:256
	flat_load_dword v6, v[4:5] offset:512
	flat_load_dword v7, v[4:5] offset:768
	flat_load_dword v8, v[4:5] offset:1024
	flat_load_dword v9, v[4:5] offset:1280
	flat_load_dword v10, v[4:5] offset:1536
	flat_load_dword v11, v[4:5] offset:1792
	flat_load_dword v12, v[4:5] offset:2048
	flat_load_dword v13, v[4:5] offset:2304
	flat_load_dword v14, v[4:5] offset:2560
	flat_load_dword v15, v[4:5] offset:2816
	flat_load_dword v16, v[4:5] offset:3072
	flat_load_dword v17, v[4:5] offset:3328
	flat_load_dword v18, v[4:5] offset:3584
	flat_load_dword v19, v[4:5] offset:3840
	v_add_co_u32_e32 v4, vcc, s4, v4
	v_addc_co_u32_e32 v5, vcc, 0, v5, vcc
	flat_load_dword v20, v[4:5]
	flat_load_dword v21, v[4:5] offset:256
	flat_load_dword v22, v[4:5] offset:512
	;; [unrolled: 1-line block ×4, first 2 shown]
	v_mov_b32_e32 v4, s60
	v_mov_b32_e32 v5, s61
	v_add_co_u32_e32 v4, vcc, 0x1000, v4
	v_addc_co_u32_e32 v5, vcc, 0, v5, vcc
	s_movk_i32 s2, 0x50
	v_cmp_ne_u32_e32 vcc, 63, v0
	s_waitcnt vmcnt(0) lgkmcnt(0)
	ds_write2st64_b32 v2, v1, v3 offset1:1
	ds_write2st64_b32 v2, v6, v7 offset0:2 offset1:3
	ds_write2st64_b32 v2, v8, v9 offset0:4 offset1:5
	;; [unrolled: 1-line block ×9, first 2 shown]
	ds_write_b32 v2, v24 offset:5120
	s_waitcnt lgkmcnt(0)
	; wave barrier
	s_waitcnt lgkmcnt(0)
	flat_load_dword v84, v[4:5] offset:1280
	v_mad_u32_u24 v3, v0, s2, v2
	s_movk_i32 s2, 0xffb0
	ds_read_b32 v1, v3
	ds_read2_b32 v[60:61], v3 offset0:1 offset1:2
	ds_read2_b32 v[58:59], v3 offset0:3 offset1:4
	;; [unrolled: 1-line block ×10, first 2 shown]
	v_mad_i32_i24 v3, v0, s2, v3
	s_waitcnt lgkmcnt(0)
	ds_write_b32 v3, v1 offset:5632
	s_waitcnt lgkmcnt(0)
	; wave barrier
	s_waitcnt lgkmcnt(0)
	s_and_saveexec_b64 s[2:3], vcc
	s_cbranch_execz .LBB1574_133
; %bb.132:
	s_waitcnt vmcnt(0)
	ds_read_b32 v84, v2 offset:5636
.LBB1574_133:
	s_or_b64 exec, exec, s[2:3]
	v_lshlrev_b32_e32 v2, 3, v0
	v_mov_b32_e32 v5, s55
	v_add_co_u32_e32 v4, vcc, s7, v2
	v_addc_co_u32_e32 v5, vcc, 0, v5, vcc
	v_add_co_u32_e32 v22, vcc, s4, v4
	v_addc_co_u32_e32 v23, vcc, 0, v5, vcc
	s_movk_i32 s2, 0x2000
	s_waitcnt lgkmcnt(0)
	; wave barrier
	s_waitcnt lgkmcnt(0)
	flat_load_dwordx2 v[6:7], v[4:5]
	flat_load_dwordx2 v[8:9], v[4:5] offset:512
	flat_load_dwordx2 v[10:11], v[4:5] offset:1024
	;; [unrolled: 1-line block ×7, first 2 shown]
	v_add_co_u32_e32 v4, vcc, s2, v4
	v_addc_co_u32_e32 v5, vcc, 0, v5, vcc
	flat_load_dwordx2 v[24:25], v[22:23]
	flat_load_dwordx2 v[26:27], v[22:23] offset:512
	flat_load_dwordx2 v[28:29], v[22:23] offset:1024
	flat_load_dwordx2 v[30:31], v[22:23] offset:1536
	flat_load_dwordx2 v[32:33], v[22:23] offset:2048
	flat_load_dwordx2 v[34:35], v[22:23] offset:2560
	flat_load_dwordx2 v[36:37], v[22:23] offset:3072
	flat_load_dwordx2 v[38:39], v[22:23] offset:3584
	s_nop 0
	flat_load_dwordx2 v[22:23], v[4:5]
	flat_load_dwordx2 v[40:41], v[4:5] offset:512
	flat_load_dwordx2 v[42:43], v[4:5] offset:1024
	flat_load_dwordx2 v[64:65], v[4:5] offset:1536
	flat_load_dwordx2 v[66:67], v[4:5] offset:2048
	v_lshl_add_u32 v62, v0, 2, v3
	s_movk_i32 s2, 0xa0
	v_mad_u32_u24 v2, v0, s2, v62
	v_cmp_ne_u32_e32 vcc, v1, v60
	v_cmp_eq_u32_e64 s[2:3], v1, v60
	s_waitcnt vmcnt(0) lgkmcnt(0)
	ds_write2st64_b64 v62, v[6:7], v[8:9] offset1:1
	ds_write2st64_b64 v62, v[10:11], v[12:13] offset0:2 offset1:3
	ds_write2st64_b64 v62, v[14:15], v[16:17] offset0:4 offset1:5
	ds_write2st64_b64 v62, v[18:19], v[20:21] offset0:6 offset1:7
	ds_write2st64_b64 v62, v[24:25], v[26:27] offset0:8 offset1:9
	ds_write2st64_b64 v62, v[28:29], v[30:31] offset0:10 offset1:11
	ds_write2st64_b64 v62, v[32:33], v[34:35] offset0:12 offset1:13
	ds_write2st64_b64 v62, v[36:37], v[38:39] offset0:14 offset1:15
	ds_write2st64_b64 v62, v[22:23], v[40:41] offset0:16 offset1:17
	ds_write2st64_b64 v62, v[42:43], v[64:65] offset0:18 offset1:19
	ds_write_b64 v62, v[66:67] offset:10240
	s_waitcnt lgkmcnt(0)
	; wave barrier
	s_waitcnt lgkmcnt(0)
	ds_read2_b64 v[38:41], v2 offset0:1 offset1:2
	ds_read2_b64 v[34:37], v2 offset0:3 offset1:4
	;; [unrolled: 1-line block ×10, first 2 shown]
	v_pk_mov_b32 v[42:43], s[68:69], s[68:69] op_sel:[0,1]
	s_and_saveexec_b64 s[4:5], s[2:3]
	s_cbranch_execz .LBB1574_135
; %bb.134:
	v_mul_u32_u24_e32 v1, 0xa0, v0
	v_add_u32_e32 v1, v62, v1
	ds_read_b64 v[42:43], v1
.LBB1574_135:
	s_or_b64 exec, exec, s[4:5]
	v_cndmask_b32_e64 v1, 0, 1, vcc
	v_cmp_ne_u32_e32 vcc, v60, v61
	v_cmp_ne_u32_e64 s[38:39], v45, v82
	v_cmp_ne_u32_e64 s[40:41], v82, v83
	v_mov_b32_e32 v82, s69
	v_cmp_ne_u32_e64 s[8:9], v59, v56
	v_cmp_ne_u32_e64 s[30:31], v46, v47
	v_cmp_ne_u32_e64 s[34:35], v47, v44
	s_waitcnt lgkmcnt(9)
	v_cndmask_b32_e32 v47, v39, v82, vcc
	v_mov_b32_e32 v39, s68
	v_cmp_ne_u32_e64 s[2:3], v61, v58
	v_cmp_ne_u32_e64 s[4:5], v58, v59
	v_cndmask_b32_e64 v110, 0, 1, s[8:9]
	v_cmp_ne_u32_e64 s[10:11], v56, v57
	v_cmp_ne_u32_e64 s[12:13], v57, v54
	;; [unrolled: 1-line block ×11, first 2 shown]
	s_waitcnt lgkmcnt(8)
	v_cndmask_b32_e64 v53, v37, v82, s[8:9]
	v_cndmask_b32_e64 v52, v36, v39, s[8:9]
	v_cmp_ne_u32_e64 s[8:9], v83, v84
	v_cndmask_b32_e64 v106, 0, 1, vcc
	v_cndmask_b32_e64 v107, 0, 1, s[2:3]
	v_cndmask_b32_e64 v109, 0, 1, s[4:5]
	v_cndmask_b32_e64 v111, 0, 1, s[10:11]
	v_cndmask_b32_e64 v112, 0, 1, s[12:13]
	v_cndmask_b32_e64 v113, 0, 1, s[14:15]
	v_cndmask_b32_e64 v114, 0, 1, s[16:17]
	v_cndmask_b32_e64 v115, 0, 1, s[18:19]
	v_cndmask_b32_e64 v116, 0, 1, s[20:21]
	v_cndmask_b32_e64 v117, 0, 1, s[22:23]
	v_cndmask_b32_e64 v118, 0, 1, s[24:25]
	v_cndmask_b32_e64 v119, 0, 1, s[26:27]
	v_cndmask_b32_e64 v120, 0, 1, s[28:29]
	v_cndmask_b32_e64 v121, 0, 1, s[30:31]
	v_cndmask_b32_e64 v122, 0, 1, s[34:35]
	v_cndmask_b32_e64 v123, 0, 1, s[36:37]
	v_cndmask_b32_e64 v124, 0, 1, s[38:39]
	v_cndmask_b32_e64 v108, 0, 1, s[40:41]
	v_cndmask_b32_e32 v46, v38, v39, vcc
	v_cndmask_b32_e64 v49, v41, v82, s[2:3]
	v_cndmask_b32_e64 v48, v40, v39, s[2:3]
	v_cndmask_b32_e64 v51, v35, v82, s[4:5]
	v_cndmask_b32_e64 v50, v34, v39, s[4:5]
	s_waitcnt lgkmcnt(7)
	v_cndmask_b32_e64 v55, v31, v82, s[10:11]
	v_cndmask_b32_e64 v54, v30, v39, s[10:11]
	v_cndmask_b32_e64 v57, v33, v82, s[12:13]
	v_cndmask_b32_e64 v56, v32, v39, s[12:13]
	s_waitcnt lgkmcnt(6)
	;; [unrolled: 5-line block ×8, first 2 shown]
	v_cndmask_b32_e64 v45, v3, v82, s[40:41]
	v_cndmask_b32_e64 v44, v2, v39, s[40:41]
	;; [unrolled: 1-line block ×4, first 2 shown]
	s_mov_b64 s[10:11], -1
                                        ; implicit-def: $sgpr76
                                        ; implicit-def: $sgpr4_sgpr5
.LBB1574_136:
	v_pk_mov_b32 v[82:83], s[4:5], s[4:5] op_sel:[0,1]
	v_mov_b32_e32 v125, s76
	s_and_saveexec_b64 s[2:3], s[10:11]
; %bb.137:
	v_cndmask_b32_e64 v125, 0, 1, s[8:9]
	v_pk_mov_b32 v[82:83], v[2:3], v[2:3] op_sel:[0,1]
; %bb.138:
	s_or_b64 exec, exec, s[2:3]
	v_or_b32_e32 v2, v125, v108
	s_cmp_lg_u32 s6, 0
	v_or_b32_e32 v127, v2, v124
	v_mbcnt_lo_u32_b32 v126, -1, 0
	s_waitcnt lgkmcnt(0)
	; wave barrier
	s_waitcnt lgkmcnt(0)
	s_cbranch_scc0 .LBB1574_197
; %bb.139:
	v_mov_b32_e32 v2, 0
	v_cmp_eq_u16_sdwa s[40:41], v106, v2 src0_sel:BYTE_0 src1_sel:DWORD
	v_cndmask_b32_e64 v4, 0, v42, s[40:41]
	v_cndmask_b32_e64 v3, 0, v43, s[40:41]
	v_add_co_u32_e32 v4, vcc, v4, v46
	v_cmp_eq_u16_sdwa s[38:39], v107, v2 src0_sel:BYTE_0 src1_sel:DWORD
	v_addc_co_u32_e32 v3, vcc, v3, v47, vcc
	v_cndmask_b32_e64 v4, 0, v4, s[38:39]
	v_cndmask_b32_e64 v3, 0, v3, s[38:39]
	v_add_co_u32_e32 v4, vcc, v4, v48
	v_cmp_eq_u16_sdwa s[36:37], v109, v2 src0_sel:BYTE_0 src1_sel:DWORD
	v_addc_co_u32_e32 v3, vcc, v3, v49, vcc
	v_cndmask_b32_e64 v4, 0, v4, s[36:37]
	v_cndmask_b32_e64 v3, 0, v3, s[36:37]
	v_add_co_u32_e32 v4, vcc, v4, v50
	v_cmp_eq_u16_sdwa s[34:35], v110, v2 src0_sel:BYTE_0 src1_sel:DWORD
	v_addc_co_u32_e32 v3, vcc, v3, v51, vcc
	v_cndmask_b32_e64 v4, 0, v4, s[34:35]
	v_cndmask_b32_e64 v3, 0, v3, s[34:35]
	v_add_co_u32_e32 v4, vcc, v4, v52
	v_cmp_eq_u16_sdwa s[30:31], v111, v2 src0_sel:BYTE_0 src1_sel:DWORD
	v_addc_co_u32_e32 v3, vcc, v3, v53, vcc
	v_cndmask_b32_e64 v4, 0, v4, s[30:31]
	v_cndmask_b32_e64 v3, 0, v3, s[30:31]
	v_add_co_u32_e32 v4, vcc, v4, v54
	v_cmp_eq_u16_sdwa s[28:29], v112, v2 src0_sel:BYTE_0 src1_sel:DWORD
	v_addc_co_u32_e32 v3, vcc, v3, v55, vcc
	v_cndmask_b32_e64 v4, 0, v4, s[28:29]
	v_cndmask_b32_e64 v3, 0, v3, s[28:29]
	v_add_co_u32_e32 v4, vcc, v4, v56
	v_cmp_eq_u16_sdwa s[26:27], v113, v2 src0_sel:BYTE_0 src1_sel:DWORD
	v_addc_co_u32_e32 v3, vcc, v3, v57, vcc
	v_cndmask_b32_e64 v4, 0, v4, s[26:27]
	v_cndmask_b32_e64 v3, 0, v3, s[26:27]
	v_add_co_u32_e32 v4, vcc, v4, v58
	v_cmp_eq_u16_sdwa s[24:25], v114, v2 src0_sel:BYTE_0 src1_sel:DWORD
	v_addc_co_u32_e32 v3, vcc, v3, v59, vcc
	v_cndmask_b32_e64 v4, 0, v4, s[24:25]
	v_cndmask_b32_e64 v3, 0, v3, s[24:25]
	v_add_co_u32_e32 v4, vcc, v4, v60
	v_cmp_eq_u16_sdwa s[22:23], v115, v2 src0_sel:BYTE_0 src1_sel:DWORD
	v_addc_co_u32_e32 v3, vcc, v3, v61, vcc
	v_cndmask_b32_e64 v4, 0, v4, s[22:23]
	v_cndmask_b32_e64 v3, 0, v3, s[22:23]
	v_add_co_u32_e32 v4, vcc, v4, v62
	v_cmp_eq_u16_sdwa s[20:21], v116, v2 src0_sel:BYTE_0 src1_sel:DWORD
	v_addc_co_u32_e32 v3, vcc, v3, v63, vcc
	v_cndmask_b32_e64 v4, 0, v4, s[20:21]
	v_cndmask_b32_e64 v3, 0, v3, s[20:21]
	v_add_co_u32_e32 v4, vcc, v4, v64
	v_cmp_eq_u16_sdwa s[18:19], v117, v2 src0_sel:BYTE_0 src1_sel:DWORD
	v_addc_co_u32_e32 v3, vcc, v3, v65, vcc
	v_cndmask_b32_e64 v4, 0, v4, s[18:19]
	v_cndmask_b32_e64 v3, 0, v3, s[18:19]
	v_add_co_u32_e32 v4, vcc, v4, v66
	v_cmp_eq_u16_sdwa s[16:17], v118, v2 src0_sel:BYTE_0 src1_sel:DWORD
	v_addc_co_u32_e32 v3, vcc, v3, v67, vcc
	v_cndmask_b32_e64 v4, 0, v4, s[16:17]
	v_cndmask_b32_e64 v3, 0, v3, s[16:17]
	v_add_co_u32_e32 v4, vcc, v4, v68
	v_cmp_eq_u16_sdwa s[14:15], v119, v2 src0_sel:BYTE_0 src1_sel:DWORD
	v_addc_co_u32_e32 v3, vcc, v3, v69, vcc
	v_cndmask_b32_e64 v4, 0, v4, s[14:15]
	v_cndmask_b32_e64 v3, 0, v3, s[14:15]
	v_add_co_u32_e32 v4, vcc, v4, v70
	v_cmp_eq_u16_sdwa s[12:13], v120, v2 src0_sel:BYTE_0 src1_sel:DWORD
	v_addc_co_u32_e32 v3, vcc, v3, v71, vcc
	v_cndmask_b32_e64 v4, 0, v4, s[12:13]
	v_cndmask_b32_e64 v3, 0, v3, s[12:13]
	v_add_co_u32_e32 v4, vcc, v4, v72
	v_cmp_eq_u16_sdwa s[10:11], v121, v2 src0_sel:BYTE_0 src1_sel:DWORD
	v_addc_co_u32_e32 v3, vcc, v3, v73, vcc
	v_cndmask_b32_e64 v4, 0, v4, s[10:11]
	v_cndmask_b32_e64 v3, 0, v3, s[10:11]
	v_add_co_u32_e32 v4, vcc, v4, v74
	v_cmp_eq_u16_sdwa s[8:9], v122, v2 src0_sel:BYTE_0 src1_sel:DWORD
	v_addc_co_u32_e32 v3, vcc, v3, v75, vcc
	v_cndmask_b32_e64 v4, 0, v4, s[8:9]
	v_cndmask_b32_e64 v3, 0, v3, s[8:9]
	v_add_co_u32_e32 v4, vcc, v4, v76
	v_cmp_eq_u16_sdwa s[44:45], v123, v2 src0_sel:BYTE_0 src1_sel:DWORD
	v_addc_co_u32_e32 v3, vcc, v3, v77, vcc
	v_cndmask_b32_e64 v4, 0, v4, s[44:45]
	v_cndmask_b32_e64 v3, 0, v3, s[44:45]
	v_add_co_u32_e32 v4, vcc, v4, v78
	v_cmp_eq_u16_sdwa s[4:5], v124, v2 src0_sel:BYTE_0 src1_sel:DWORD
	v_addc_co_u32_e32 v3, vcc, v3, v79, vcc
	v_cndmask_b32_e64 v4, 0, v4, s[4:5]
	v_cndmask_b32_e64 v3, 0, v3, s[4:5]
	v_add_co_u32_e32 v4, vcc, v4, v80
	v_cmp_eq_u16_sdwa s[2:3], v108, v2 src0_sel:BYTE_0 src1_sel:DWORD
	v_addc_co_u32_e32 v3, vcc, v3, v81, vcc
	v_cndmask_b32_e64 v4, 0, v4, s[2:3]
	v_cndmask_b32_e64 v3, 0, v3, s[2:3]
	v_add_co_u32_e32 v4, vcc, v4, v44
	v_addc_co_u32_e32 v3, vcc, v3, v45, vcc
	v_cmp_eq_u16_sdwa vcc, v125, v2 src0_sel:BYTE_0 src1_sel:DWORD
	v_cndmask_b32_e32 v2, 0, v4, vcc
	v_or_b32_e32 v4, v127, v123
	v_or_b32_e32 v4, v4, v122
	;; [unrolled: 1-line block ×17, first 2 shown]
	v_cndmask_b32_e32 v3, 0, v3, vcc
	v_add_co_u32_e32 v2, vcc, v2, v82
	v_or_b32_e32 v4, v4, v1
	v_mbcnt_hi_u32_b32 v5, -1, v126
	v_addc_co_u32_e32 v3, vcc, v3, v83, vcc
	v_and_b32_e32 v4, 1, v4
	v_and_b32_e32 v7, 15, v5
	v_cmp_eq_u32_e32 vcc, 1, v4
	v_mov_b32_dpp v9, v2 row_shr:1 row_mask:0xf bank_mask:0xf
	v_mov_b32_dpp v10, v3 row_shr:1 row_mask:0xf bank_mask:0xf
	;; [unrolled: 1-line block ×3, first 2 shown]
	v_cmp_ne_u32_e64 s[42:43], 0, v7
	v_mov_b32_e32 v6, v4
	s_and_saveexec_b64 s[46:47], s[42:43]
; %bb.140:
	v_cndmask_b32_e64 v9, v9, 0, vcc
	v_cndmask_b32_e64 v6, v10, 0, vcc
	v_add_co_u32_e32 v2, vcc, v9, v2
	v_addc_co_u32_e32 v3, vcc, v6, v3, vcc
	v_and_b32_e32 v6, 1, v8
	v_or_b32_e32 v4, v6, v4
	v_and_b32_e32 v6, 0xffff, v4
; %bb.141:
	s_or_b64 exec, exec, s[46:47]
	v_mov_b32_dpp v9, v2 row_shr:2 row_mask:0xf bank_mask:0xf
	v_mov_b32_dpp v10, v3 row_shr:2 row_mask:0xf bank_mask:0xf
	v_mov_b32_dpp v8, v6 row_shr:2 row_mask:0xf bank_mask:0xf
	v_cmp_lt_u32_e32 vcc, 1, v7
	s_and_saveexec_b64 s[46:47], vcc
	s_cbranch_execz .LBB1574_143
; %bb.142:
	v_cmp_eq_u16_e32 vcc, 0, v4
	v_cndmask_b32_e32 v9, 0, v9, vcc
	v_cndmask_b32_e32 v6, 0, v10, vcc
	v_add_co_u32_e32 v2, vcc, v9, v2
	v_addc_co_u32_e32 v3, vcc, v6, v3, vcc
	v_and_b32_e32 v4, 1, v4
	v_cmp_eq_u32_e32 vcc, 1, v4
	v_and_b32_e32 v4, 1, v8
	v_cmp_eq_u32_e64 s[42:43], 1, v4
	s_or_b64 s[42:43], vcc, s[42:43]
	v_cndmask_b32_e64 v4, 0, 1, s[42:43]
	v_cndmask_b32_e64 v6, 0, 1, s[42:43]
.LBB1574_143:
	s_or_b64 exec, exec, s[46:47]
	v_mov_b32_dpp v9, v2 row_shr:4 row_mask:0xf bank_mask:0xf
	v_mov_b32_dpp v10, v3 row_shr:4 row_mask:0xf bank_mask:0xf
	v_mov_b32_dpp v8, v6 row_shr:4 row_mask:0xf bank_mask:0xf
	v_cmp_lt_u32_e32 vcc, 3, v7
	s_and_saveexec_b64 s[46:47], vcc
	s_cbranch_execz .LBB1574_145
; %bb.144:
	v_cmp_eq_u16_e32 vcc, 0, v4
	v_cndmask_b32_e32 v9, 0, v9, vcc
	v_cndmask_b32_e32 v6, 0, v10, vcc
	v_add_co_u32_e32 v2, vcc, v9, v2
	v_addc_co_u32_e32 v3, vcc, v6, v3, vcc
	v_and_b32_e32 v4, 1, v4
	v_cmp_eq_u32_e32 vcc, 1, v4
	v_and_b32_e32 v4, 1, v8
	v_cmp_eq_u32_e64 s[42:43], 1, v4
	s_or_b64 s[42:43], vcc, s[42:43]
	v_cndmask_b32_e64 v4, 0, 1, s[42:43]
	v_cndmask_b32_e64 v6, 0, 1, s[42:43]
.LBB1574_145:
	;; [unrolled: 21-line block ×3, first 2 shown]
	s_or_b64 exec, exec, s[46:47]
	v_and_b32_e32 v10, 16, v5
	v_mov_b32_dpp v8, v2 row_bcast:15 row_mask:0xf bank_mask:0xf
	v_mov_b32_dpp v9, v3 row_bcast:15 row_mask:0xf bank_mask:0xf
	;; [unrolled: 1-line block ×3, first 2 shown]
	v_cmp_ne_u32_e32 vcc, 0, v10
	s_and_saveexec_b64 s[46:47], vcc
	s_cbranch_execz .LBB1574_149
; %bb.148:
	v_cmp_eq_u16_e32 vcc, 0, v4
	v_cndmask_b32_e32 v8, 0, v8, vcc
	v_cndmask_b32_e32 v6, 0, v9, vcc
	v_add_co_u32_e32 v2, vcc, v8, v2
	v_addc_co_u32_e32 v3, vcc, v6, v3, vcc
	v_and_b32_e32 v4, 1, v4
	v_cmp_eq_u32_e32 vcc, 1, v4
	v_and_b32_e32 v4, 1, v7
	v_cmp_eq_u32_e64 s[42:43], 1, v4
	s_or_b64 s[42:43], vcc, s[42:43]
	v_cndmask_b32_e64 v4, 0, 1, s[42:43]
	v_cndmask_b32_e64 v6, 0, 1, s[42:43]
.LBB1574_149:
	s_or_b64 exec, exec, s[46:47]
	v_mov_b32_dpp v7, v2 row_bcast:31 row_mask:0xf bank_mask:0xf
	v_mov_b32_dpp v8, v3 row_bcast:31 row_mask:0xf bank_mask:0xf
	;; [unrolled: 1-line block ×3, first 2 shown]
	v_cmp_lt_u32_e32 vcc, 31, v5
	s_and_saveexec_b64 s[46:47], vcc
; %bb.150:
	v_cmp_eq_u16_e32 vcc, 0, v4
	v_cndmask_b32_e32 v7, 0, v7, vcc
	v_cndmask_b32_e32 v8, 0, v8, vcc
	v_add_co_u32_e32 v2, vcc, v7, v2
	v_addc_co_u32_e32 v3, vcc, v8, v3, vcc
	v_and_b32_e32 v4, 1, v4
	v_cmp_eq_u32_e32 vcc, 1, v4
	v_and_b32_e32 v4, 1, v6
	v_cmp_eq_u32_e64 s[42:43], 1, v4
	s_or_b64 s[42:43], vcc, s[42:43]
	v_cndmask_b32_e64 v4, 0, 1, s[42:43]
; %bb.151:
	s_or_b64 exec, exec, s[46:47]
	v_cmp_eq_u32_e32 vcc, 63, v0
	s_and_saveexec_b64 s[42:43], vcc
	s_cbranch_execz .LBB1574_153
; %bb.152:
	v_mov_b32_e32 v6, 0
	ds_write_b64 v6, v[2:3]
	ds_write_b8 v6, v4 offset:8
.LBB1574_153:
	s_or_b64 exec, exec, s[42:43]
	v_add_u32_e32 v6, -1, v5
	v_and_b32_e32 v7, 64, v5
	v_cmp_lt_i32_e32 vcc, v6, v7
	v_cndmask_b32_e32 v6, v6, v5, vcc
	v_lshlrev_b32_e32 v6, 2, v6
	ds_bpermute_b32 v12, v6, v2
	v_and_b32_e32 v2, 0xffff, v4
	ds_bpermute_b32 v13, v6, v3
	ds_bpermute_b32 v14, v6, v2
	v_cmp_gt_u32_e32 vcc, 64, v0
	s_waitcnt lgkmcnt(0)
	; wave barrier
	s_waitcnt lgkmcnt(0)
	s_and_saveexec_b64 s[60:61], vcc
	s_cbranch_execz .LBB1574_196
; %bb.154:
	v_mov_b32_e32 v7, 0
	ds_read_b64 v[2:3], v7
	ds_read_u8 v15, v7 offset:8
	s_mov_b32 s65, 0
	v_cmp_eq_u32_e64 s[42:43], 0, v5
	s_and_saveexec_b64 s[46:47], s[42:43]
	s_cbranch_execz .LBB1574_156
; %bb.155:
	s_add_i32 s64, s6, 64
	s_lshl_b64 s[72:73], s[64:65], 4
	s_add_u32 s72, s48, s72
	s_addc_u32 s73, s49, s73
	v_mov_b32_e32 v4, s64
	v_mov_b32_e32 v6, 1
	s_waitcnt lgkmcnt(1)
	global_store_dwordx2 v7, v[2:3], s[72:73]
	s_waitcnt lgkmcnt(0)
	global_store_byte v7, v15, s[72:73] offset:8
	s_waitcnt vmcnt(0)
	buffer_wbinvl1_vol
	global_store_byte v4, v6, s[52:53]
.LBB1574_156:
	s_or_b64 exec, exec, s[46:47]
	v_xad_u32 v4, v5, -1, s6
	v_add_u32_e32 v6, 64, v4
	global_load_ubyte v16, v6, s[52:53] glc
	s_waitcnt vmcnt(0)
	v_cmp_eq_u16_e32 vcc, 0, v16
	s_and_saveexec_b64 s[46:47], vcc
	s_cbranch_execz .LBB1574_160
; %bb.157:
	v_mov_b32_e32 v9, s53
	v_add_co_u32_e32 v8, vcc, s52, v6
	v_addc_co_u32_e32 v9, vcc, 0, v9, vcc
	s_mov_b64 s[64:65], 0
.LBB1574_158:                           ; =>This Inner Loop Header: Depth=1
	global_load_ubyte v16, v[8:9], off glc
	s_waitcnt vmcnt(0)
	v_cmp_ne_u16_e32 vcc, 0, v16
	s_or_b64 s[64:65], vcc, s[64:65]
	s_andn2_b64 exec, exec, s[64:65]
	s_cbranch_execnz .LBB1574_158
; %bb.159:
	s_or_b64 exec, exec, s[64:65]
.LBB1574_160:
	s_or_b64 exec, exec, s[46:47]
	v_mov_b32_e32 v8, s51
	v_mov_b32_e32 v9, s49
	v_cmp_eq_u16_e32 vcc, 1, v16
	v_cndmask_b32_e32 v8, v8, v9, vcc
	v_mov_b32_e32 v9, s50
	v_mov_b32_e32 v10, s48
	v_cndmask_b32_e32 v9, v9, v10, vcc
	v_lshlrev_b64 v[6:7], 4, v[6:7]
	v_add_co_u32_e32 v6, vcc, v9, v6
	v_addc_co_u32_e32 v7, vcc, v8, v7, vcc
	s_waitcnt lgkmcnt(0)
	buffer_wbinvl1_vol
	global_load_dwordx2 v[10:11], v[6:7], off
	global_load_ubyte v31, v[6:7], off offset:8
	v_cmp_eq_u16_e32 vcc, 2, v16
	v_lshlrev_b64 v[6:7], v5, -1
	v_and_b32_e32 v17, 63, v5
	v_and_b32_e32 v8, vcc_hi, v7
	v_and_b32_e32 v22, vcc_lo, v6
	v_cmp_ne_u32_e32 vcc, 63, v17
	v_addc_co_u32_e32 v9, vcc, 0, v5, vcc
	v_lshlrev_b32_e32 v18, 2, v9
	v_or_b32_e32 v8, 0x80000000, v8
	v_ffbl_b32_e32 v8, v8
	v_add_u32_e32 v8, 32, v8
	v_ffbl_b32_e32 v22, v22
	v_min_u32_e32 v8, v22, v8
	v_cmp_lt_u32_e32 vcc, v17, v8
	s_waitcnt vmcnt(1)
	ds_bpermute_b32 v20, v18, v10
	s_waitcnt vmcnt(0)
	v_and_b32_e32 v9, 1, v31
	ds_bpermute_b32 v21, v18, v11
	ds_bpermute_b32 v19, v18, v9
	s_and_saveexec_b64 s[46:47], vcc
	s_cbranch_execz .LBB1574_162
; %bb.161:
	v_mov_b32_e32 v9, 0
	v_cmp_eq_u16_sdwa vcc, v31, v9 src0_sel:BYTE_0 src1_sel:DWORD
	s_waitcnt lgkmcnt(2)
	v_cndmask_b32_e32 v20, 0, v20, vcc
	s_waitcnt lgkmcnt(1)
	v_cndmask_b32_e32 v9, 0, v21, vcc
	v_add_co_u32_e32 v10, vcc, v20, v10
	v_addc_co_u32_e32 v11, vcc, v9, v11, vcc
	s_waitcnt lgkmcnt(0)
	v_and_b32_e32 v9, 1, v19
	v_or_b32_e32 v31, v9, v31
	v_and_b32_e32 v9, 0xff, v31
.LBB1574_162:
	s_or_b64 exec, exec, s[46:47]
	v_cmp_gt_u32_e32 vcc, 62, v17
	s_waitcnt lgkmcnt(0)
	v_cndmask_b32_e64 v19, 0, 1, vcc
	v_lshlrev_b32_e32 v19, 1, v19
	v_add_lshl_u32 v19, v19, v5, 2
	ds_bpermute_b32 v22, v19, v10
	ds_bpermute_b32 v23, v19, v11
	ds_bpermute_b32 v21, v19, v9
	v_add_u32_e32 v20, 2, v17
	v_cmp_le_u32_e32 vcc, v20, v8
	s_and_saveexec_b64 s[64:65], vcc
	s_cbranch_execz .LBB1574_164
; %bb.163:
	v_mov_b32_e32 v9, 0
	v_cmp_eq_u16_sdwa vcc, v31, v9 src0_sel:BYTE_0 src1_sel:DWORD
	s_waitcnt lgkmcnt(2)
	v_cndmask_b32_e32 v22, 0, v22, vcc
	s_waitcnt lgkmcnt(1)
	v_cndmask_b32_e32 v9, 0, v23, vcc
	v_add_co_u32_e32 v10, vcc, v22, v10
	v_addc_co_u32_e32 v11, vcc, v9, v11, vcc
	v_and_b32_e32 v9, 1, v31
	v_cmp_eq_u32_e32 vcc, 1, v9
	s_waitcnt lgkmcnt(0)
	v_and_b32_e32 v9, 1, v21
	v_cmp_eq_u32_e64 s[46:47], 1, v9
	s_or_b64 s[46:47], vcc, s[46:47]
	v_cndmask_b32_e64 v31, 0, 1, s[46:47]
	v_cndmask_b32_e64 v9, 0, 1, s[46:47]
.LBB1574_164:
	s_or_b64 exec, exec, s[64:65]
	v_cmp_gt_u32_e32 vcc, 60, v17
	s_waitcnt lgkmcnt(0)
	v_cndmask_b32_e64 v21, 0, 1, vcc
	v_lshlrev_b32_e32 v21, 2, v21
	v_add_lshl_u32 v21, v21, v5, 2
	ds_bpermute_b32 v24, v21, v10
	ds_bpermute_b32 v25, v21, v11
	ds_bpermute_b32 v23, v21, v9
	v_add_u32_e32 v22, 4, v17
	v_cmp_le_u32_e32 vcc, v22, v8
	s_and_saveexec_b64 s[64:65], vcc
	s_cbranch_execz .LBB1574_166
; %bb.165:
	v_mov_b32_e32 v9, 0
	v_cmp_eq_u16_sdwa vcc, v31, v9 src0_sel:BYTE_0 src1_sel:DWORD
	s_waitcnt lgkmcnt(2)
	v_cndmask_b32_e32 v24, 0, v24, vcc
	s_waitcnt lgkmcnt(1)
	v_cndmask_b32_e32 v9, 0, v25, vcc
	v_add_co_u32_e32 v10, vcc, v24, v10
	v_addc_co_u32_e32 v11, vcc, v9, v11, vcc
	v_and_b32_e32 v9, 1, v31
	v_cmp_eq_u32_e32 vcc, 1, v9
	s_waitcnt lgkmcnt(0)
	v_and_b32_e32 v9, 1, v23
	v_cmp_eq_u32_e64 s[46:47], 1, v9
	s_or_b64 s[46:47], vcc, s[46:47]
	v_cndmask_b32_e64 v31, 0, 1, s[46:47]
	v_cndmask_b32_e64 v9, 0, 1, s[46:47]
.LBB1574_166:
	;; [unrolled: 31-line block ×4, first 2 shown]
	s_or_b64 exec, exec, s[64:65]
	v_cmp_gt_u32_e32 vcc, 32, v17
	s_waitcnt lgkmcnt(0)
	v_cndmask_b32_e64 v27, 0, 1, vcc
	v_lshlrev_b32_e32 v27, 5, v27
	v_add_lshl_u32 v28, v27, v5, 2
	ds_bpermute_b32 v27, v28, v10
	ds_bpermute_b32 v30, v28, v11
	;; [unrolled: 1-line block ×3, first 2 shown]
	v_add_u32_e32 v29, 32, v17
	v_cmp_le_u32_e32 vcc, v29, v8
	s_and_saveexec_b64 s[64:65], vcc
	s_cbranch_execz .LBB1574_172
; %bb.171:
	v_mov_b32_e32 v8, 0
	v_cmp_eq_u16_sdwa vcc, v31, v8 src0_sel:BYTE_0 src1_sel:DWORD
	s_waitcnt lgkmcnt(2)
	v_cndmask_b32_e32 v9, 0, v27, vcc
	s_waitcnt lgkmcnt(1)
	v_cndmask_b32_e32 v8, 0, v30, vcc
	v_add_co_u32_e32 v10, vcc, v9, v10
	v_addc_co_u32_e32 v11, vcc, v8, v11, vcc
	v_and_b32_e32 v8, 1, v31
	s_waitcnt lgkmcnt(0)
	v_and_b32_e32 v5, 1, v5
	v_cmp_eq_u32_e32 vcc, 1, v8
	v_cmp_eq_u32_e64 s[46:47], 1, v5
	s_or_b64 s[46:47], vcc, s[46:47]
	v_cndmask_b32_e64 v31, 0, 1, s[46:47]
.LBB1574_172:
	s_or_b64 exec, exec, s[64:65]
	s_waitcnt lgkmcnt(0)
	v_mov_b32_e32 v5, 0
	v_mov_b32_e32 v30, 2
	s_branch .LBB1574_174
.LBB1574_173:                           ;   in Loop: Header=BB1574_174 Depth=1
	s_or_b64 exec, exec, s[72:73]
	v_cmp_eq_u16_sdwa vcc, v27, v5 src0_sel:BYTE_0 src1_sel:DWORD
	v_cndmask_b32_e32 v10, 0, v10, vcc
	v_cndmask_b32_e32 v11, 0, v11, vcc
	v_add_co_u32_e32 v10, vcc, v10, v8
	v_addc_co_u32_e32 v11, vcc, v11, v9, vcc
	v_and_b32_e32 v31, 1, v27
	v_cmp_eq_u32_e32 vcc, 1, v31
	s_or_b64 s[46:47], vcc, s[64:65]
	v_subrev_u32_e32 v4, 64, v4
	v_cndmask_b32_e64 v31, 0, 1, s[46:47]
.LBB1574_174:                           ; =>This Loop Header: Depth=1
                                        ;     Child Loop BB1574_177 Depth 2
	v_cmp_ne_u16_sdwa s[46:47], v16, v30 src0_sel:BYTE_0 src1_sel:DWORD
	v_cndmask_b32_e64 v8, 0, 1, s[46:47]
	;;#ASMSTART
	;;#ASMEND
	v_cmp_ne_u32_e32 vcc, 0, v8
	v_mov_b32_e32 v27, v31
	s_cmp_lg_u64 vcc, exec
	v_pk_mov_b32 v[8:9], v[10:11], v[10:11] op_sel:[0,1]
	s_cbranch_scc1 .LBB1574_191
; %bb.175:                              ;   in Loop: Header=BB1574_174 Depth=1
	global_load_ubyte v16, v4, s[52:53] glc
	s_waitcnt vmcnt(0)
	v_cmp_eq_u16_e32 vcc, 0, v16
	s_and_saveexec_b64 s[46:47], vcc
	s_cbranch_execz .LBB1574_179
; %bb.176:                              ;   in Loop: Header=BB1574_174 Depth=1
	v_mov_b32_e32 v11, s53
	v_add_co_u32_e32 v10, vcc, s52, v4
	v_addc_co_u32_e32 v11, vcc, 0, v11, vcc
	s_mov_b64 s[64:65], 0
.LBB1574_177:                           ;   Parent Loop BB1574_174 Depth=1
                                        ; =>  This Inner Loop Header: Depth=2
	global_load_ubyte v16, v[10:11], off glc
	s_waitcnt vmcnt(0)
	v_cmp_ne_u16_e32 vcc, 0, v16
	s_or_b64 s[64:65], vcc, s[64:65]
	s_andn2_b64 exec, exec, s[64:65]
	s_cbranch_execnz .LBB1574_177
; %bb.178:                              ;   in Loop: Header=BB1574_174 Depth=1
	s_or_b64 exec, exec, s[64:65]
.LBB1574_179:                           ;   in Loop: Header=BB1574_174 Depth=1
	s_or_b64 exec, exec, s[46:47]
	v_mov_b32_e32 v10, s51
	v_mov_b32_e32 v11, s49
	v_cmp_eq_u16_e32 vcc, 1, v16
	v_cndmask_b32_e32 v31, v10, v11, vcc
	v_mov_b32_e32 v10, s50
	v_mov_b32_e32 v11, s48
	v_cndmask_b32_e32 v32, v10, v11, vcc
	v_lshlrev_b64 v[10:11], 4, v[4:5]
	v_add_co_u32_e32 v32, vcc, v32, v10
	s_waitcnt lgkmcnt(0)
	v_addc_co_u32_e32 v33, vcc, v31, v11, vcc
	buffer_wbinvl1_vol
	global_load_dwordx2 v[10:11], v[32:33], off
	global_load_ubyte v31, v[32:33], off offset:8
	v_cmp_eq_u16_e32 vcc, 2, v16
	v_and_b32_e32 v32, vcc_hi, v7
	v_or_b32_e32 v32, 0x80000000, v32
	v_and_b32_e32 v37, vcc_lo, v6
	v_ffbl_b32_e32 v32, v32
	v_add_u32_e32 v32, 32, v32
	v_ffbl_b32_e32 v37, v37
	v_min_u32_e32 v32, v37, v32
	v_cmp_lt_u32_e32 vcc, v17, v32
	s_waitcnt vmcnt(1)
	ds_bpermute_b32 v35, v18, v10
	s_waitcnt vmcnt(0)
	v_and_b32_e32 v33, 1, v31
	ds_bpermute_b32 v36, v18, v11
	ds_bpermute_b32 v34, v18, v33
	s_and_saveexec_b64 s[46:47], vcc
	s_cbranch_execz .LBB1574_181
; %bb.180:                              ;   in Loop: Header=BB1574_174 Depth=1
	v_cmp_eq_u16_sdwa vcc, v31, v5 src0_sel:BYTE_0 src1_sel:DWORD
	s_waitcnt lgkmcnt(2)
	v_cndmask_b32_e32 v35, 0, v35, vcc
	s_waitcnt lgkmcnt(1)
	v_cndmask_b32_e32 v33, 0, v36, vcc
	v_add_co_u32_e32 v10, vcc, v35, v10
	v_addc_co_u32_e32 v11, vcc, v33, v11, vcc
	s_waitcnt lgkmcnt(0)
	v_and_b32_e32 v33, 1, v34
	v_or_b32_e32 v31, v33, v31
	v_and_b32_e32 v33, 0xff, v31
.LBB1574_181:                           ;   in Loop: Header=BB1574_174 Depth=1
	s_or_b64 exec, exec, s[46:47]
	s_waitcnt lgkmcnt(2)
	ds_bpermute_b32 v35, v19, v10
	s_waitcnt lgkmcnt(2)
	ds_bpermute_b32 v36, v19, v11
	;; [unrolled: 2-line block ×3, first 2 shown]
	v_and_b32_e32 v37, 1, v31
	v_cmp_le_u32_e32 vcc, v20, v32
	v_cmp_eq_u32_e64 s[64:65], 1, v37
	s_and_saveexec_b64 s[46:47], vcc
	s_cbranch_execz .LBB1574_183
; %bb.182:                              ;   in Loop: Header=BB1574_174 Depth=1
	v_cmp_eq_u16_sdwa vcc, v31, v5 src0_sel:BYTE_0 src1_sel:DWORD
	s_waitcnt lgkmcnt(2)
	v_cndmask_b32_e32 v33, 0, v35, vcc
	s_waitcnt lgkmcnt(1)
	v_cndmask_b32_e32 v31, 0, v36, vcc
	v_add_co_u32_e32 v10, vcc, v33, v10
	v_addc_co_u32_e32 v11, vcc, v31, v11, vcc
	s_waitcnt lgkmcnt(0)
	v_and_b32_e32 v31, 1, v34
	v_cmp_eq_u32_e32 vcc, 1, v31
	s_or_b64 s[72:73], s[64:65], vcc
	v_cndmask_b32_e64 v31, 0, 1, s[72:73]
	v_cndmask_b32_e64 v33, 0, 1, s[72:73]
	s_andn2_b64 s[64:65], s[64:65], exec
	s_and_b64 s[72:73], s[72:73], exec
	s_or_b64 s[64:65], s[64:65], s[72:73]
.LBB1574_183:                           ;   in Loop: Header=BB1574_174 Depth=1
	s_or_b64 exec, exec, s[46:47]
	s_waitcnt lgkmcnt(2)
	ds_bpermute_b32 v35, v21, v10
	s_waitcnt lgkmcnt(2)
	ds_bpermute_b32 v36, v21, v11
	s_waitcnt lgkmcnt(2)
	ds_bpermute_b32 v34, v21, v33
	v_cmp_le_u32_e32 vcc, v22, v32
	s_and_saveexec_b64 s[72:73], vcc
	s_cbranch_execz .LBB1574_185
; %bb.184:                              ;   in Loop: Header=BB1574_174 Depth=1
	v_cmp_eq_u16_sdwa vcc, v31, v5 src0_sel:BYTE_0 src1_sel:DWORD
	s_waitcnt lgkmcnt(2)
	v_cndmask_b32_e32 v35, 0, v35, vcc
	s_waitcnt lgkmcnt(1)
	v_cndmask_b32_e32 v33, 0, v36, vcc
	v_add_co_u32_e32 v10, vcc, v35, v10
	v_addc_co_u32_e32 v11, vcc, v33, v11, vcc
	v_and_b32_e32 v31, 1, v31
	v_cmp_eq_u32_e32 vcc, 1, v31
	s_waitcnt lgkmcnt(0)
	v_and_b32_e32 v31, 1, v34
	v_cmp_eq_u32_e64 s[46:47], 1, v31
	s_or_b64 s[46:47], vcc, s[46:47]
	v_cndmask_b32_e64 v31, 0, 1, s[46:47]
	v_cndmask_b32_e64 v33, 0, 1, s[46:47]
	s_andn2_b64 s[64:65], s[64:65], exec
	s_and_b64 s[46:47], s[46:47], exec
	s_or_b64 s[64:65], s[64:65], s[46:47]
.LBB1574_185:                           ;   in Loop: Header=BB1574_174 Depth=1
	s_or_b64 exec, exec, s[72:73]
	s_waitcnt lgkmcnt(2)
	ds_bpermute_b32 v35, v23, v10
	s_waitcnt lgkmcnt(2)
	ds_bpermute_b32 v36, v23, v11
	s_waitcnt lgkmcnt(2)
	ds_bpermute_b32 v34, v23, v33
	v_cmp_le_u32_e32 vcc, v24, v32
	s_and_saveexec_b64 s[72:73], vcc
	s_cbranch_execz .LBB1574_187
; %bb.186:                              ;   in Loop: Header=BB1574_174 Depth=1
	v_cmp_eq_u16_sdwa vcc, v31, v5 src0_sel:BYTE_0 src1_sel:DWORD
	s_waitcnt lgkmcnt(2)
	v_cndmask_b32_e32 v35, 0, v35, vcc
	s_waitcnt lgkmcnt(1)
	v_cndmask_b32_e32 v33, 0, v36, vcc
	v_add_co_u32_e32 v10, vcc, v35, v10
	v_addc_co_u32_e32 v11, vcc, v33, v11, vcc
	v_and_b32_e32 v31, 1, v31
	v_cmp_eq_u32_e32 vcc, 1, v31
	s_waitcnt lgkmcnt(0)
	v_and_b32_e32 v31, 1, v34
	v_cmp_eq_u32_e64 s[46:47], 1, v31
	s_or_b64 s[46:47], vcc, s[46:47]
	v_cndmask_b32_e64 v31, 0, 1, s[46:47]
	v_cndmask_b32_e64 v33, 0, 1, s[46:47]
	s_andn2_b64 s[64:65], s[64:65], exec
	s_and_b64 s[46:47], s[46:47], exec
	s_or_b64 s[64:65], s[64:65], s[46:47]
.LBB1574_187:                           ;   in Loop: Header=BB1574_174 Depth=1
	;; [unrolled: 30-line block ×3, first 2 shown]
	s_or_b64 exec, exec, s[72:73]
	s_waitcnt lgkmcnt(0)
	ds_bpermute_b32 v34, v28, v10
	ds_bpermute_b32 v35, v28, v11
	ds_bpermute_b32 v33, v28, v33
	v_cmp_le_u32_e32 vcc, v29, v32
	s_and_saveexec_b64 s[72:73], vcc
	s_cbranch_execz .LBB1574_173
; %bb.190:                              ;   in Loop: Header=BB1574_174 Depth=1
	v_cmp_eq_u16_sdwa vcc, v31, v5 src0_sel:BYTE_0 src1_sel:DWORD
	s_waitcnt lgkmcnt(2)
	v_cndmask_b32_e32 v34, 0, v34, vcc
	s_waitcnt lgkmcnt(1)
	v_cndmask_b32_e32 v32, 0, v35, vcc
	v_add_co_u32_e32 v10, vcc, v34, v10
	v_addc_co_u32_e32 v11, vcc, v32, v11, vcc
	v_and_b32_e32 v31, 1, v31
	v_cmp_eq_u32_e32 vcc, 1, v31
	s_waitcnt lgkmcnt(0)
	v_and_b32_e32 v31, 1, v33
	v_cmp_eq_u32_e64 s[46:47], 1, v31
	s_or_b64 s[46:47], vcc, s[46:47]
	s_andn2_b64 s[64:65], s[64:65], exec
	s_and_b64 s[46:47], s[46:47], exec
	s_or_b64 s[64:65], s[64:65], s[46:47]
	s_branch .LBB1574_173
.LBB1574_191:                           ;   in Loop: Header=BB1574_174 Depth=1
                                        ; implicit-def: $vgpr31
                                        ; implicit-def: $vgpr10_vgpr11
                                        ; implicit-def: $vgpr16
	s_cbranch_execz .LBB1574_174
; %bb.192:
	s_and_saveexec_b64 s[46:47], s[42:43]
	s_cbranch_execz .LBB1574_194
; %bb.193:
	v_mov_b32_e32 v4, 0
	s_mov_b32 s7, 0
	v_cmp_eq_u16_sdwa vcc, v15, v4 src0_sel:BYTE_0 src1_sel:DWORD
	s_add_i32 s6, s6, 64
	v_cndmask_b32_e32 v6, 0, v8, vcc
	s_lshl_b64 s[42:43], s[6:7], 4
	v_cndmask_b32_e32 v5, 0, v9, vcc
	v_add_co_u32_e32 v2, vcc, v6, v2
	s_add_u32 s42, s50, s42
	v_addc_co_u32_e32 v3, vcc, v5, v3, vcc
	v_or_b32_e32 v5, v15, v27
	s_addc_u32 s43, s51, s43
	v_and_b32_e32 v5, 1, v5
	global_store_dwordx2 v4, v[2:3], s[42:43]
	global_store_byte v4, v5, s[42:43] offset:8
	v_mov_b32_e32 v2, s6
	v_mov_b32_e32 v3, 2
	s_waitcnt vmcnt(0) lgkmcnt(0)
	buffer_wbinvl1_vol
	global_store_byte v2, v3, s[52:53]
.LBB1574_194:
	s_or_b64 exec, exec, s[46:47]
	v_cmp_eq_u32_e32 vcc, 0, v0
	s_and_b64 exec, exec, vcc
	s_cbranch_execz .LBB1574_196
; %bb.195:
	v_mov_b32_e32 v2, 0
	ds_write_b64 v2, v[8:9]
	ds_write_b8 v2, v27 offset:8
.LBB1574_196:
	s_or_b64 exec, exec, s[60:61]
	v_mov_b32_e32 v4, 0
	s_waitcnt lgkmcnt(0)
	; wave barrier
	s_waitcnt lgkmcnt(0)
	ds_read_b64 v[2:3], v4
	v_cmp_eq_u32_sdwa vcc, v14, v4 src0_sel:BYTE_0 src1_sel:DWORD
	s_waitcnt lgkmcnt(0)
	v_cndmask_b32_e32 v6, 0, v2, vcc
	v_cndmask_b32_e32 v5, 0, v3, vcc
	v_add_co_u32_e32 v6, vcc, v12, v6
	v_addc_co_u32_e32 v5, vcc, v13, v5, vcc
	v_cmp_eq_u32_e32 vcc, 0, v0
	v_cndmask_b32_e32 v85, v5, v3, vcc
	v_cndmask_b32_e32 v84, v6, v2, vcc
	v_cmp_eq_u16_sdwa vcc, v1, v4 src0_sel:BYTE_0 src1_sel:DWORD
	v_cndmask_b32_e32 v3, 0, v84, vcc
	v_cndmask_b32_e32 v2, 0, v85, vcc
	v_add_co_u32_e32 v4, vcc, v3, v42
	v_addc_co_u32_e32 v5, vcc, v2, v43, vcc
	v_cndmask_b32_e64 v3, 0, v4, s[40:41]
	v_cndmask_b32_e64 v2, 0, v5, s[40:41]
	v_add_co_u32_e32 v6, vcc, v3, v46
	v_addc_co_u32_e32 v7, vcc, v2, v47, vcc
	v_cndmask_b32_e64 v3, 0, v6, s[38:39]
	v_cndmask_b32_e64 v2, 0, v7, s[38:39]
	;; [unrolled: 4-line block ×19, first 2 shown]
	s_branch .LBB1574_217
.LBB1574_197:
                                        ; implicit-def: $vgpr84_vgpr85
                                        ; implicit-def: $vgpr104_vgpr105
                                        ; implicit-def: $vgpr102_vgpr103
                                        ; implicit-def: $vgpr100_vgpr101
                                        ; implicit-def: $vgpr98_vgpr99
                                        ; implicit-def: $vgpr96_vgpr97
                                        ; implicit-def: $vgpr94_vgpr95
                                        ; implicit-def: $vgpr92_vgpr93
                                        ; implicit-def: $vgpr90_vgpr91
                                        ; implicit-def: $vgpr88_vgpr89
                                        ; implicit-def: $vgpr86_vgpr87
                                        ; implicit-def: $vgpr38_vgpr39_vgpr40_vgpr41
                                        ; implicit-def: $vgpr34_vgpr35_vgpr36_vgpr37
                                        ; implicit-def: $vgpr30_vgpr31_vgpr32_vgpr33
                                        ; implicit-def: $vgpr26_vgpr27_vgpr28_vgpr29
                                        ; implicit-def: $vgpr22_vgpr23_vgpr24_vgpr25
                                        ; implicit-def: $vgpr18_vgpr19_vgpr20_vgpr21
                                        ; implicit-def: $vgpr14_vgpr15_vgpr16_vgpr17
                                        ; implicit-def: $vgpr10_vgpr11_vgpr12_vgpr13
                                        ; implicit-def: $vgpr6_vgpr7_vgpr8_vgpr9
                                        ; implicit-def: $vgpr2_vgpr3_vgpr4_vgpr5
	s_cbranch_execz .LBB1574_217
; %bb.198:
	s_cmp_lg_u64 s[70:71], 0
	s_cselect_b32 s3, s67, 0
	s_cselect_b32 s2, s66, 0
	s_cmp_eq_u64 s[2:3], 0
	v_pk_mov_b32 v[2:3], s[68:69], s[68:69] op_sel:[0,1]
	s_cbranch_scc1 .LBB1574_200
; %bb.199:
	v_mov_b32_e32 v2, 0
	global_load_dwordx2 v[2:3], v2, s[2:3]
.LBB1574_200:
	v_mov_b32_e32 v4, 0
	v_cmp_eq_u16_sdwa s[38:39], v106, v4 src0_sel:BYTE_0 src1_sel:DWORD
	v_cndmask_b32_e64 v6, 0, v42, s[38:39]
	v_cndmask_b32_e64 v5, 0, v43, s[38:39]
	v_add_co_u32_e32 v6, vcc, v6, v46
	v_cmp_eq_u16_sdwa s[36:37], v107, v4 src0_sel:BYTE_0 src1_sel:DWORD
	v_addc_co_u32_e32 v5, vcc, v5, v47, vcc
	v_cndmask_b32_e64 v6, 0, v6, s[36:37]
	v_cndmask_b32_e64 v5, 0, v5, s[36:37]
	v_add_co_u32_e32 v6, vcc, v6, v48
	v_cmp_eq_u16_sdwa s[34:35], v109, v4 src0_sel:BYTE_0 src1_sel:DWORD
	v_addc_co_u32_e32 v5, vcc, v5, v49, vcc
	;; [unrolled: 5-line block ×17, first 2 shown]
	v_cndmask_b32_e64 v6, 0, v6, s[2:3]
	v_cndmask_b32_e64 v5, 0, v5, s[2:3]
	v_add_co_u32_e32 v6, vcc, v6, v80
	v_addc_co_u32_e32 v5, vcc, v5, v81, vcc
	v_cmp_eq_u16_sdwa vcc, v108, v4 src0_sel:BYTE_0 src1_sel:DWORD
	v_cndmask_b32_e32 v6, 0, v6, vcc
	v_cndmask_b32_e32 v5, 0, v5, vcc
	v_add_co_u32_e64 v6, s[40:41], v6, v44
	v_addc_co_u32_e64 v5, s[40:41], v5, v45, s[40:41]
	v_cmp_eq_u16_sdwa s[40:41], v125, v4 src0_sel:BYTE_0 src1_sel:DWORD
	v_cndmask_b32_e64 v4, 0, v6, s[40:41]
	v_or_b32_e32 v6, v127, v123
	v_or_b32_e32 v6, v6, v122
	v_or_b32_e32 v6, v6, v121
	v_or_b32_e32 v6, v6, v120
	v_or_b32_e32 v6, v6, v119
	v_or_b32_e32 v6, v6, v118
	v_or_b32_e32 v6, v6, v117
	v_or_b32_e32 v6, v6, v116
	v_or_b32_e32 v6, v6, v115
	v_or_b32_e32 v6, v6, v114
	v_or_b32_e32 v6, v6, v113
	v_or_b32_e32 v6, v6, v112
	v_or_b32_e32 v6, v6, v111
	v_or_b32_e32 v6, v6, v110
	v_or_b32_e32 v6, v6, v109
	v_or_b32_e32 v6, v6, v107
	v_or_b32_e32 v6, v6, v106
	v_or_b32_e32 v6, v6, v1
	v_cndmask_b32_e64 v5, 0, v5, s[40:41]
	v_add_co_u32_e64 v4, s[40:41], v4, v82
	v_and_b32_e32 v7, 1, v6
	v_mbcnt_hi_u32_b32 v6, -1, v126
	v_addc_co_u32_e64 v5, s[40:41], v5, v83, s[40:41]
	v_and_b32_e32 v9, 15, v6
	v_cmp_eq_u32_e64 s[40:41], 1, v7
	v_mov_b32_dpp v11, v4 row_shr:1 row_mask:0xf bank_mask:0xf
	v_mov_b32_dpp v12, v5 row_shr:1 row_mask:0xf bank_mask:0xf
	;; [unrolled: 1-line block ×3, first 2 shown]
	v_cmp_ne_u32_e64 s[42:43], 0, v9
	v_mov_b32_e32 v8, v7
	s_and_saveexec_b64 s[44:45], s[42:43]
; %bb.201:
	v_cndmask_b32_e64 v11, v11, 0, s[40:41]
	v_cndmask_b32_e64 v8, v12, 0, s[40:41]
	v_add_co_u32_e64 v4, s[40:41], v11, v4
	v_addc_co_u32_e64 v5, s[40:41], v8, v5, s[40:41]
	v_and_b32_e32 v8, 1, v10
	v_or_b32_e32 v7, v8, v7
	v_and_b32_e32 v8, 0xffff, v7
; %bb.202:
	s_or_b64 exec, exec, s[44:45]
	v_mov_b32_dpp v11, v4 row_shr:2 row_mask:0xf bank_mask:0xf
	v_mov_b32_dpp v12, v5 row_shr:2 row_mask:0xf bank_mask:0xf
	v_mov_b32_dpp v10, v8 row_shr:2 row_mask:0xf bank_mask:0xf
	v_cmp_lt_u32_e64 s[40:41], 1, v9
	s_and_saveexec_b64 s[44:45], s[40:41]
	s_cbranch_execz .LBB1574_204
; %bb.203:
	v_cmp_eq_u16_e64 s[40:41], 0, v7
	v_cndmask_b32_e64 v11, 0, v11, s[40:41]
	v_cndmask_b32_e64 v8, 0, v12, s[40:41]
	v_add_co_u32_e64 v4, s[40:41], v11, v4
	v_addc_co_u32_e64 v5, s[40:41], v8, v5, s[40:41]
	v_and_b32_e32 v7, 1, v7
	v_cmp_eq_u32_e64 s[40:41], 1, v7
	v_and_b32_e32 v7, 1, v10
	v_cmp_eq_u32_e64 s[42:43], 1, v7
	s_or_b64 s[40:41], s[40:41], s[42:43]
	v_cndmask_b32_e64 v7, 0, 1, s[40:41]
	v_cndmask_b32_e64 v8, 0, 1, s[40:41]
.LBB1574_204:
	s_or_b64 exec, exec, s[44:45]
	v_mov_b32_dpp v11, v4 row_shr:4 row_mask:0xf bank_mask:0xf
	v_mov_b32_dpp v12, v5 row_shr:4 row_mask:0xf bank_mask:0xf
	v_mov_b32_dpp v10, v8 row_shr:4 row_mask:0xf bank_mask:0xf
	v_cmp_lt_u32_e64 s[40:41], 3, v9
	s_and_saveexec_b64 s[44:45], s[40:41]
	s_cbranch_execz .LBB1574_206
; %bb.205:
	v_cmp_eq_u16_e64 s[40:41], 0, v7
	v_cndmask_b32_e64 v11, 0, v11, s[40:41]
	v_cndmask_b32_e64 v8, 0, v12, s[40:41]
	v_add_co_u32_e64 v4, s[40:41], v11, v4
	v_addc_co_u32_e64 v5, s[40:41], v8, v5, s[40:41]
	v_and_b32_e32 v7, 1, v7
	v_cmp_eq_u32_e64 s[40:41], 1, v7
	v_and_b32_e32 v7, 1, v10
	v_cmp_eq_u32_e64 s[42:43], 1, v7
	s_or_b64 s[40:41], s[40:41], s[42:43]
	v_cndmask_b32_e64 v7, 0, 1, s[40:41]
	v_cndmask_b32_e64 v8, 0, 1, s[40:41]
.LBB1574_206:
	s_or_b64 exec, exec, s[44:45]
	v_mov_b32_dpp v11, v4 row_shr:8 row_mask:0xf bank_mask:0xf
	v_mov_b32_dpp v12, v5 row_shr:8 row_mask:0xf bank_mask:0xf
	v_mov_b32_dpp v10, v8 row_shr:8 row_mask:0xf bank_mask:0xf
	v_cmp_lt_u32_e64 s[40:41], 7, v9
	s_and_saveexec_b64 s[44:45], s[40:41]
	s_cbranch_execz .LBB1574_208
; %bb.207:
	v_cmp_eq_u16_e64 s[40:41], 0, v7
	v_cndmask_b32_e64 v9, 0, v11, s[40:41]
	v_cndmask_b32_e64 v8, 0, v12, s[40:41]
	v_add_co_u32_e64 v4, s[40:41], v9, v4
	v_addc_co_u32_e64 v5, s[40:41], v8, v5, s[40:41]
	v_and_b32_e32 v7, 1, v7
	v_cmp_eq_u32_e64 s[40:41], 1, v7
	v_and_b32_e32 v7, 1, v10
	v_cmp_eq_u32_e64 s[42:43], 1, v7
	s_or_b64 s[40:41], s[40:41], s[42:43]
	v_cndmask_b32_e64 v7, 0, 1, s[40:41]
	v_cndmask_b32_e64 v8, 0, 1, s[40:41]
.LBB1574_208:
	s_or_b64 exec, exec, s[44:45]
	v_and_b32_e32 v12, 16, v6
	v_mov_b32_dpp v10, v4 row_bcast:15 row_mask:0xf bank_mask:0xf
	v_mov_b32_dpp v11, v5 row_bcast:15 row_mask:0xf bank_mask:0xf
	;; [unrolled: 1-line block ×3, first 2 shown]
	v_cmp_ne_u32_e64 s[40:41], 0, v12
	s_and_saveexec_b64 s[44:45], s[40:41]
	s_cbranch_execz .LBB1574_210
; %bb.209:
	v_cmp_eq_u16_e64 s[40:41], 0, v7
	v_cndmask_b32_e64 v10, 0, v10, s[40:41]
	v_cndmask_b32_e64 v8, 0, v11, s[40:41]
	v_add_co_u32_e64 v4, s[40:41], v10, v4
	v_addc_co_u32_e64 v5, s[40:41], v8, v5, s[40:41]
	v_and_b32_e32 v7, 1, v7
	v_cmp_eq_u32_e64 s[40:41], 1, v7
	v_and_b32_e32 v7, 1, v9
	v_cmp_eq_u32_e64 s[42:43], 1, v7
	s_or_b64 s[40:41], s[40:41], s[42:43]
	v_cndmask_b32_e64 v7, 0, 1, s[40:41]
	v_cndmask_b32_e64 v8, 0, 1, s[40:41]
.LBB1574_210:
	s_or_b64 exec, exec, s[44:45]
	v_mov_b32_dpp v9, v4 row_bcast:31 row_mask:0xf bank_mask:0xf
	v_mov_b32_dpp v10, v5 row_bcast:31 row_mask:0xf bank_mask:0xf
	;; [unrolled: 1-line block ×3, first 2 shown]
	v_cmp_lt_u32_e64 s[40:41], 31, v6
	s_and_saveexec_b64 s[44:45], s[40:41]
; %bb.211:
	v_cmp_eq_u16_e64 s[40:41], 0, v7
	v_cndmask_b32_e64 v9, 0, v9, s[40:41]
	v_cndmask_b32_e64 v10, 0, v10, s[40:41]
	v_add_co_u32_e64 v4, s[40:41], v9, v4
	v_addc_co_u32_e64 v5, s[40:41], v10, v5, s[40:41]
	v_and_b32_e32 v7, 1, v7
	v_cmp_eq_u32_e64 s[40:41], 1, v7
	v_and_b32_e32 v7, 1, v8
	v_cmp_eq_u32_e64 s[42:43], 1, v7
	s_or_b64 s[40:41], s[40:41], s[42:43]
	v_cndmask_b32_e64 v7, 0, 1, s[40:41]
; %bb.212:
	s_or_b64 exec, exec, s[44:45]
	v_cmp_eq_u32_e64 s[40:41], 63, v0
	s_and_saveexec_b64 s[42:43], s[40:41]
	s_cbranch_execz .LBB1574_214
; %bb.213:
	v_mov_b32_e32 v8, 0
	ds_write_b64 v8, v[4:5]
	ds_write_b8 v8, v7 offset:8
.LBB1574_214:
	s_or_b64 exec, exec, s[42:43]
	v_cmp_eq_u16_e64 s[40:41], 0, v7
	s_waitcnt vmcnt(0)
	v_cndmask_b32_e64 v8, 0, v2, s[40:41]
	v_cndmask_b32_e64 v7, 0, v3, s[40:41]
	v_add_co_u32_e64 v4, s[40:41], v8, v4
	v_addc_co_u32_e64 v5, s[40:41], v7, v5, s[40:41]
	v_add_u32_e32 v7, -1, v6
	v_and_b32_e32 v8, 64, v6
	v_cmp_lt_i32_e64 s[40:41], v7, v8
	v_cndmask_b32_e64 v7, v7, v6, s[40:41]
	v_lshlrev_b32_e32 v7, 2, v7
	ds_bpermute_b32 v5, v7, v5
	ds_bpermute_b32 v4, v7, v4
	v_cmp_eq_u32_e64 s[42:43], 0, v6
	v_cmp_eq_u32_e64 s[40:41], 0, v0
	s_or_b64 s[42:43], s[40:41], s[42:43]
	v_mov_b32_e32 v8, 0
	s_waitcnt lgkmcnt(1)
	v_cndmask_b32_e64 v85, v5, v3, s[42:43]
	s_waitcnt lgkmcnt(0)
	v_cndmask_b32_e64 v84, v4, v2, s[42:43]
	v_cmp_eq_u16_sdwa s[42:43], v1, v8 src0_sel:BYTE_0 src1_sel:DWORD
	v_cndmask_b32_e64 v4, 0, v84, s[42:43]
	v_cndmask_b32_e64 v1, 0, v85, s[42:43]
	v_add_co_u32_e64 v4, s[42:43], v4, v42
	v_addc_co_u32_e64 v5, s[42:43], v1, v43, s[42:43]
	v_cndmask_b32_e64 v6, 0, v4, s[38:39]
	v_cndmask_b32_e64 v1, 0, v5, s[38:39]
	v_add_co_u32_e64 v6, s[38:39], v6, v46
	v_addc_co_u32_e64 v7, s[38:39], v1, v47, s[38:39]
	;; [unrolled: 4-line block ×19, first 2 shown]
	v_cndmask_b32_e32 v105, 0, v103, vcc
	v_cndmask_b32_e32 v104, 0, v102, vcc
	s_waitcnt lgkmcnt(0)
	; wave barrier
	s_and_saveexec_b64 s[2:3], s[40:41]
	s_cbranch_execz .LBB1574_216
; %bb.215:
	ds_read_u8 v1, v8 offset:8
	ds_read_b64 v[12:13], v8
	v_pk_mov_b32 v[84:85], v[2:3], v[2:3] op_sel:[0,1]
	s_waitcnt lgkmcnt(1)
	v_cmp_eq_u16_e32 vcc, 0, v1
	v_cndmask_b32_e32 v16, 0, v2, vcc
	v_cndmask_b32_e32 v9, 0, v3, vcc
	s_waitcnt lgkmcnt(0)
	v_add_co_u32_e32 v12, vcc, v16, v12
	v_addc_co_u32_e32 v13, vcc, v9, v13, vcc
	global_store_dwordx2 v8, v[12:13], s[50:51] offset:1024
	global_store_byte v8, v1, s[50:51] offset:1032
	v_mov_b32_e32 v1, 2
	s_waitcnt vmcnt(0)
	buffer_wbinvl1_vol
	global_store_byte v8, v1, s[52:53] offset:64
.LBB1574_216:
	s_or_b64 exec, exec, s[2:3]
.LBB1574_217:
	s_add_u32 s2, s62, s56
	s_addc_u32 s3, s63, s57
	v_add_co_u32_e32 v2, vcc, v104, v44
	v_addc_co_u32_e32 v3, vcc, v105, v45, vcc
	s_add_u32 s4, s2, s58
	s_addc_u32 s5, s3, s59
	s_and_b64 vcc, exec, s[0:1]
	v_lshlrev_b32_e32 v12, 3, v0
	s_cbranch_vccz .LBB1574_259
; %bb.218:
	s_movk_i32 s0, 0xa8
	v_mul_i32_i24_e32 v16, 0xffffff60, v0
	v_mul_u32_u24_e32 v13, 0xa8, v0
	v_mad_u32_u24 v8, v0, s0, v16
	s_waitcnt lgkmcnt(0)
	; wave barrier
	ds_write2_b64 v13, v[84:85], v[4:5] offset1:1
	ds_write2_b64 v13, v[6:7], v[86:87] offset0:2 offset1:3
	ds_write2_b64 v13, v[10:11], v[88:89] offset0:4 offset1:5
	ds_write2_b64 v13, v[14:15], v[90:91] offset0:6 offset1:7
	ds_write2_b64 v13, v[18:19], v[92:93] offset0:8 offset1:9
	ds_write2_b64 v13, v[22:23], v[94:95] offset0:10 offset1:11
	ds_write2_b64 v13, v[26:27], v[96:97] offset0:12 offset1:13
	ds_write2_b64 v13, v[30:31], v[98:99] offset0:14 offset1:15
	ds_write2_b64 v13, v[34:35], v[100:101] offset0:16 offset1:17
	ds_write2_b64 v13, v[38:39], v[102:103] offset0:18 offset1:19
	ds_write_b64 v13, v[2:3] offset:160
	s_waitcnt lgkmcnt(0)
	; wave barrier
	s_waitcnt lgkmcnt(0)
	ds_read2st64_b64 v[76:79], v8 offset0:1 offset1:2
	ds_read2st64_b64 v[72:75], v8 offset0:3 offset1:4
	;; [unrolled: 1-line block ×10, first 2 shown]
	v_mov_b32_e32 v9, s5
	v_add_co_u32_e32 v8, vcc, s4, v12
	s_add_i32 s33, s33, s54
	v_addc_co_u32_e32 v9, vcc, 0, v9, vcc
	v_mov_b32_e32 v1, 0
	v_cmp_gt_u32_e32 vcc, s33, v0
	s_and_saveexec_b64 s[0:1], vcc
	s_cbranch_execz .LBB1574_220
; %bb.219:
	v_add_u32_e32 v13, v13, v16
	ds_read_b64 v[16:17], v13
	s_waitcnt lgkmcnt(0)
	flat_store_dwordx2 v[8:9], v[16:17]
.LBB1574_220:
	s_or_b64 exec, exec, s[0:1]
	v_or_b32_e32 v13, 64, v0
	v_cmp_gt_u32_e32 vcc, s33, v13
	s_and_saveexec_b64 s[0:1], vcc
	s_cbranch_execz .LBB1574_222
; %bb.221:
	s_waitcnt lgkmcnt(0)
	flat_store_dwordx2 v[8:9], v[76:77] offset:512
.LBB1574_222:
	s_or_b64 exec, exec, s[0:1]
	v_or_b32_e32 v13, 0x80, v0
	v_cmp_gt_u32_e32 vcc, s33, v13
	s_and_saveexec_b64 s[0:1], vcc
	s_cbranch_execz .LBB1574_224
; %bb.223:
	s_waitcnt lgkmcnt(0)
	flat_store_dwordx2 v[8:9], v[78:79] offset:1024
.LBB1574_224:
	;; [unrolled: 9-line block ×7, first 2 shown]
	s_or_b64 exec, exec, s[0:1]
	v_or_b32_e32 v13, 0x200, v0
	v_cmp_gt_u32_e32 vcc, s33, v13
	s_and_saveexec_b64 s[0:1], vcc
	s_cbranch_execz .LBB1574_236
; %bb.235:
	v_add_co_u32_e32 v16, vcc, 0x1000, v8
	v_addc_co_u32_e32 v17, vcc, 0, v9, vcc
	s_waitcnt lgkmcnt(0)
	flat_store_dwordx2 v[16:17], v[66:67]
.LBB1574_236:
	s_or_b64 exec, exec, s[0:1]
	v_or_b32_e32 v13, 0x240, v0
	v_cmp_gt_u32_e32 vcc, s33, v13
	s_and_saveexec_b64 s[0:1], vcc
	s_cbranch_execz .LBB1574_238
; %bb.237:
	v_add_co_u32_e32 v16, vcc, 0x1000, v8
	v_addc_co_u32_e32 v17, vcc, 0, v9, vcc
	s_waitcnt lgkmcnt(0)
	flat_store_dwordx2 v[16:17], v[60:61] offset:512
.LBB1574_238:
	s_or_b64 exec, exec, s[0:1]
	v_or_b32_e32 v13, 0x280, v0
	v_cmp_gt_u32_e32 vcc, s33, v13
	s_and_saveexec_b64 s[0:1], vcc
	s_cbranch_execz .LBB1574_240
; %bb.239:
	v_add_co_u32_e32 v16, vcc, 0x1000, v8
	v_addc_co_u32_e32 v17, vcc, 0, v9, vcc
	s_waitcnt lgkmcnt(0)
	flat_store_dwordx2 v[16:17], v[62:63] offset:1024
.LBB1574_240:
	;; [unrolled: 11-line block ×7, first 2 shown]
	s_or_b64 exec, exec, s[0:1]
	v_or_b32_e32 v13, 0x400, v0
	v_cmp_gt_u32_e32 vcc, s33, v13
	s_and_saveexec_b64 s[0:1], vcc
	s_cbranch_execz .LBB1574_252
; %bb.251:
	v_add_co_u32_e32 v16, vcc, 0x2000, v8
	v_addc_co_u32_e32 v17, vcc, 0, v9, vcc
	s_waitcnt lgkmcnt(0)
	flat_store_dwordx2 v[16:17], v[50:51]
.LBB1574_252:
	s_or_b64 exec, exec, s[0:1]
	v_or_b32_e32 v13, 0x440, v0
	v_cmp_gt_u32_e32 vcc, s33, v13
	s_and_saveexec_b64 s[0:1], vcc
	s_cbranch_execz .LBB1574_254
; %bb.253:
	v_add_co_u32_e32 v16, vcc, 0x2000, v8
	v_addc_co_u32_e32 v17, vcc, 0, v9, vcc
	s_waitcnt lgkmcnt(0)
	flat_store_dwordx2 v[16:17], v[44:45] offset:512
.LBB1574_254:
	s_or_b64 exec, exec, s[0:1]
	v_or_b32_e32 v13, 0x480, v0
	v_cmp_gt_u32_e32 vcc, s33, v13
	s_and_saveexec_b64 s[0:1], vcc
	s_cbranch_execz .LBB1574_256
; %bb.255:
	v_add_co_u32_e32 v16, vcc, 0x2000, v8
	v_addc_co_u32_e32 v17, vcc, 0, v9, vcc
	s_waitcnt lgkmcnt(0)
	flat_store_dwordx2 v[16:17], v[46:47] offset:1024
.LBB1574_256:
	s_or_b64 exec, exec, s[0:1]
	v_or_b32_e32 v13, 0x4c0, v0
	v_cmp_gt_u32_e32 vcc, s33, v13
	s_and_saveexec_b64 s[0:1], vcc
	s_cbranch_execz .LBB1574_258
; %bb.257:
	v_add_co_u32_e32 v8, vcc, 0x2000, v8
	v_addc_co_u32_e32 v9, vcc, 0, v9, vcc
	s_waitcnt lgkmcnt(0)
	flat_store_dwordx2 v[8:9], v[40:41] offset:1536
.LBB1574_258:
	s_or_b64 exec, exec, s[0:1]
	v_or_b32_e32 v8, 0x500, v0
	v_cmp_gt_u32_e64 s[0:1], s33, v8
	s_branch .LBB1574_261
.LBB1574_259:
	s_mov_b64 s[0:1], 0
                                        ; implicit-def: $vgpr42_vgpr43
	s_cbranch_execz .LBB1574_261
; %bb.260:
	v_mul_u32_u24_e32 v1, 0xa8, v0
	s_waitcnt lgkmcnt(0)
	; wave barrier
	s_waitcnt lgkmcnt(0)
	s_movk_i32 s2, 0xa8
	ds_write2_b64 v1, v[84:85], v[4:5] offset1:1
	ds_write2_b64 v1, v[6:7], v[86:87] offset0:2 offset1:3
	ds_write2_b64 v1, v[10:11], v[88:89] offset0:4 offset1:5
	;; [unrolled: 1-line block ×9, first 2 shown]
	ds_write_b64 v1, v[2:3] offset:160
	v_mul_i32_i24_e32 v2, 0xffffff60, v0
	v_mad_u32_u24 v10, v0, s2, v2
	s_waitcnt lgkmcnt(0)
	; wave barrier
	s_waitcnt lgkmcnt(0)
	ds_read2st64_b64 v[2:5], v10 offset1:1
	ds_read2st64_b64 v[6:9], v10 offset0:2 offset1:3
	ds_read2st64_b64 v[14:17], v10 offset0:4 offset1:5
	;; [unrolled: 1-line block ×9, first 2 shown]
	ds_read_b64 v[42:43], v10 offset:10240
	v_mov_b32_e32 v11, s5
	v_add_co_u32_e32 v10, vcc, s4, v12
	v_addc_co_u32_e32 v11, vcc, 0, v11, vcc
	s_movk_i32 s2, 0x1000
	s_waitcnt lgkmcnt(0)
	flat_store_dwordx2 v[10:11], v[2:3]
	flat_store_dwordx2 v[10:11], v[4:5] offset:512
	flat_store_dwordx2 v[10:11], v[6:7] offset:1024
	;; [unrolled: 1-line block ×7, first 2 shown]
	v_add_co_u32_e32 v2, vcc, s2, v10
	v_addc_co_u32_e32 v3, vcc, 0, v11, vcc
	flat_store_dwordx2 v[2:3], v[22:23]
	flat_store_dwordx2 v[2:3], v[24:25] offset:512
	flat_store_dwordx2 v[2:3], v[26:27] offset:1024
	;; [unrolled: 1-line block ×7, first 2 shown]
	v_add_co_u32_e32 v2, vcc, 0x2000, v10
	v_mov_b32_e32 v1, 0
	v_addc_co_u32_e32 v3, vcc, 0, v11, vcc
	s_or_b64 s[0:1], s[0:1], exec
	flat_store_dwordx2 v[2:3], v[38:39]
	flat_store_dwordx2 v[2:3], v[40:41] offset:512
	flat_store_dwordx2 v[2:3], v[44:45] offset:1024
	;; [unrolled: 1-line block ×3, first 2 shown]
.LBB1574_261:
	s_and_saveexec_b64 s[2:3], s[0:1]
	s_cbranch_execz .LBB1574_263
; %bb.262:
	v_lshlrev_b64 v[0:1], 3, v[0:1]
	v_mov_b32_e32 v2, s5
	v_add_co_u32_e32 v0, vcc, s4, v0
	v_addc_co_u32_e32 v1, vcc, v2, v1, vcc
	v_add_co_u32_e32 v0, vcc, 0x2000, v0
	v_addc_co_u32_e32 v1, vcc, 0, v1, vcc
	s_waitcnt lgkmcnt(0)
	flat_store_dwordx2 v[0:1], v[42:43] offset:2048
	s_endpgm
.LBB1574_263:
	s_endpgm
	.section	.rodata,"a",@progbits
	.p2align	6, 0x0
	.amdhsa_kernel _ZN7rocprim17ROCPRIM_400000_NS6detail17trampoline_kernelINS0_14default_configENS1_27scan_by_key_config_selectorIixEEZZNS1_16scan_by_key_implILNS1_25lookback_scan_determinismE0ELb1ES3_N6thrust23THRUST_200600_302600_NS6detail15normal_iteratorINS9_10device_ptrIiEEEENSB_INSC_IxEEEESG_xNS9_4plusIvEENS9_8equal_toIvEExEE10hipError_tPvRmT2_T3_T4_T5_mT6_T7_P12ihipStream_tbENKUlT_T0_E_clISt17integral_constantIbLb0EES11_EEDaSW_SX_EUlSW_E_NS1_11comp_targetILNS1_3genE4ELNS1_11target_archE910ELNS1_3gpuE8ELNS1_3repE0EEENS1_30default_config_static_selectorELNS0_4arch9wavefront6targetE1EEEvT1_
		.amdhsa_group_segment_fixed_size 10752
		.amdhsa_private_segment_fixed_size 0
		.amdhsa_kernarg_size 136
		.amdhsa_user_sgpr_count 6
		.amdhsa_user_sgpr_private_segment_buffer 1
		.amdhsa_user_sgpr_dispatch_ptr 0
		.amdhsa_user_sgpr_queue_ptr 0
		.amdhsa_user_sgpr_kernarg_segment_ptr 1
		.amdhsa_user_sgpr_dispatch_id 0
		.amdhsa_user_sgpr_flat_scratch_init 0
		.amdhsa_user_sgpr_kernarg_preload_length 0
		.amdhsa_user_sgpr_kernarg_preload_offset 0
		.amdhsa_user_sgpr_private_segment_size 0
		.amdhsa_uses_dynamic_stack 0
		.amdhsa_system_sgpr_private_segment_wavefront_offset 0
		.amdhsa_system_sgpr_workgroup_id_x 1
		.amdhsa_system_sgpr_workgroup_id_y 0
		.amdhsa_system_sgpr_workgroup_id_z 0
		.amdhsa_system_sgpr_workgroup_info 0
		.amdhsa_system_vgpr_workitem_id 0
		.amdhsa_next_free_vgpr 128
		.amdhsa_next_free_sgpr 77
		.amdhsa_accum_offset 128
		.amdhsa_reserve_vcc 1
		.amdhsa_reserve_flat_scratch 0
		.amdhsa_float_round_mode_32 0
		.amdhsa_float_round_mode_16_64 0
		.amdhsa_float_denorm_mode_32 3
		.amdhsa_float_denorm_mode_16_64 3
		.amdhsa_dx10_clamp 1
		.amdhsa_ieee_mode 1
		.amdhsa_fp16_overflow 0
		.amdhsa_tg_split 0
		.amdhsa_exception_fp_ieee_invalid_op 0
		.amdhsa_exception_fp_denorm_src 0
		.amdhsa_exception_fp_ieee_div_zero 0
		.amdhsa_exception_fp_ieee_overflow 0
		.amdhsa_exception_fp_ieee_underflow 0
		.amdhsa_exception_fp_ieee_inexact 0
		.amdhsa_exception_int_div_zero 0
	.end_amdhsa_kernel
	.section	.text._ZN7rocprim17ROCPRIM_400000_NS6detail17trampoline_kernelINS0_14default_configENS1_27scan_by_key_config_selectorIixEEZZNS1_16scan_by_key_implILNS1_25lookback_scan_determinismE0ELb1ES3_N6thrust23THRUST_200600_302600_NS6detail15normal_iteratorINS9_10device_ptrIiEEEENSB_INSC_IxEEEESG_xNS9_4plusIvEENS9_8equal_toIvEExEE10hipError_tPvRmT2_T3_T4_T5_mT6_T7_P12ihipStream_tbENKUlT_T0_E_clISt17integral_constantIbLb0EES11_EEDaSW_SX_EUlSW_E_NS1_11comp_targetILNS1_3genE4ELNS1_11target_archE910ELNS1_3gpuE8ELNS1_3repE0EEENS1_30default_config_static_selectorELNS0_4arch9wavefront6targetE1EEEvT1_,"axG",@progbits,_ZN7rocprim17ROCPRIM_400000_NS6detail17trampoline_kernelINS0_14default_configENS1_27scan_by_key_config_selectorIixEEZZNS1_16scan_by_key_implILNS1_25lookback_scan_determinismE0ELb1ES3_N6thrust23THRUST_200600_302600_NS6detail15normal_iteratorINS9_10device_ptrIiEEEENSB_INSC_IxEEEESG_xNS9_4plusIvEENS9_8equal_toIvEExEE10hipError_tPvRmT2_T3_T4_T5_mT6_T7_P12ihipStream_tbENKUlT_T0_E_clISt17integral_constantIbLb0EES11_EEDaSW_SX_EUlSW_E_NS1_11comp_targetILNS1_3genE4ELNS1_11target_archE910ELNS1_3gpuE8ELNS1_3repE0EEENS1_30default_config_static_selectorELNS0_4arch9wavefront6targetE1EEEvT1_,comdat
.Lfunc_end1574:
	.size	_ZN7rocprim17ROCPRIM_400000_NS6detail17trampoline_kernelINS0_14default_configENS1_27scan_by_key_config_selectorIixEEZZNS1_16scan_by_key_implILNS1_25lookback_scan_determinismE0ELb1ES3_N6thrust23THRUST_200600_302600_NS6detail15normal_iteratorINS9_10device_ptrIiEEEENSB_INSC_IxEEEESG_xNS9_4plusIvEENS9_8equal_toIvEExEE10hipError_tPvRmT2_T3_T4_T5_mT6_T7_P12ihipStream_tbENKUlT_T0_E_clISt17integral_constantIbLb0EES11_EEDaSW_SX_EUlSW_E_NS1_11comp_targetILNS1_3genE4ELNS1_11target_archE910ELNS1_3gpuE8ELNS1_3repE0EEENS1_30default_config_static_selectorELNS0_4arch9wavefront6targetE1EEEvT1_, .Lfunc_end1574-_ZN7rocprim17ROCPRIM_400000_NS6detail17trampoline_kernelINS0_14default_configENS1_27scan_by_key_config_selectorIixEEZZNS1_16scan_by_key_implILNS1_25lookback_scan_determinismE0ELb1ES3_N6thrust23THRUST_200600_302600_NS6detail15normal_iteratorINS9_10device_ptrIiEEEENSB_INSC_IxEEEESG_xNS9_4plusIvEENS9_8equal_toIvEExEE10hipError_tPvRmT2_T3_T4_T5_mT6_T7_P12ihipStream_tbENKUlT_T0_E_clISt17integral_constantIbLb0EES11_EEDaSW_SX_EUlSW_E_NS1_11comp_targetILNS1_3genE4ELNS1_11target_archE910ELNS1_3gpuE8ELNS1_3repE0EEENS1_30default_config_static_selectorELNS0_4arch9wavefront6targetE1EEEvT1_
                                        ; -- End function
	.section	.AMDGPU.csdata,"",@progbits
; Kernel info:
; codeLenInByte = 17008
; NumSgprs: 81
; NumVgprs: 128
; NumAgprs: 0
; TotalNumVgprs: 128
; ScratchSize: 0
; MemoryBound: 0
; FloatMode: 240
; IeeeMode: 1
; LDSByteSize: 10752 bytes/workgroup (compile time only)
; SGPRBlocks: 10
; VGPRBlocks: 15
; NumSGPRsForWavesPerEU: 81
; NumVGPRsForWavesPerEU: 128
; AccumOffset: 128
; Occupancy: 2
; WaveLimiterHint : 1
; COMPUTE_PGM_RSRC2:SCRATCH_EN: 0
; COMPUTE_PGM_RSRC2:USER_SGPR: 6
; COMPUTE_PGM_RSRC2:TRAP_HANDLER: 0
; COMPUTE_PGM_RSRC2:TGID_X_EN: 1
; COMPUTE_PGM_RSRC2:TGID_Y_EN: 0
; COMPUTE_PGM_RSRC2:TGID_Z_EN: 0
; COMPUTE_PGM_RSRC2:TIDIG_COMP_CNT: 0
; COMPUTE_PGM_RSRC3_GFX90A:ACCUM_OFFSET: 31
; COMPUTE_PGM_RSRC3_GFX90A:TG_SPLIT: 0
	.section	.text._ZN7rocprim17ROCPRIM_400000_NS6detail17trampoline_kernelINS0_14default_configENS1_27scan_by_key_config_selectorIixEEZZNS1_16scan_by_key_implILNS1_25lookback_scan_determinismE0ELb1ES3_N6thrust23THRUST_200600_302600_NS6detail15normal_iteratorINS9_10device_ptrIiEEEENSB_INSC_IxEEEESG_xNS9_4plusIvEENS9_8equal_toIvEExEE10hipError_tPvRmT2_T3_T4_T5_mT6_T7_P12ihipStream_tbENKUlT_T0_E_clISt17integral_constantIbLb0EES11_EEDaSW_SX_EUlSW_E_NS1_11comp_targetILNS1_3genE3ELNS1_11target_archE908ELNS1_3gpuE7ELNS1_3repE0EEENS1_30default_config_static_selectorELNS0_4arch9wavefront6targetE1EEEvT1_,"axG",@progbits,_ZN7rocprim17ROCPRIM_400000_NS6detail17trampoline_kernelINS0_14default_configENS1_27scan_by_key_config_selectorIixEEZZNS1_16scan_by_key_implILNS1_25lookback_scan_determinismE0ELb1ES3_N6thrust23THRUST_200600_302600_NS6detail15normal_iteratorINS9_10device_ptrIiEEEENSB_INSC_IxEEEESG_xNS9_4plusIvEENS9_8equal_toIvEExEE10hipError_tPvRmT2_T3_T4_T5_mT6_T7_P12ihipStream_tbENKUlT_T0_E_clISt17integral_constantIbLb0EES11_EEDaSW_SX_EUlSW_E_NS1_11comp_targetILNS1_3genE3ELNS1_11target_archE908ELNS1_3gpuE7ELNS1_3repE0EEENS1_30default_config_static_selectorELNS0_4arch9wavefront6targetE1EEEvT1_,comdat
	.protected	_ZN7rocprim17ROCPRIM_400000_NS6detail17trampoline_kernelINS0_14default_configENS1_27scan_by_key_config_selectorIixEEZZNS1_16scan_by_key_implILNS1_25lookback_scan_determinismE0ELb1ES3_N6thrust23THRUST_200600_302600_NS6detail15normal_iteratorINS9_10device_ptrIiEEEENSB_INSC_IxEEEESG_xNS9_4plusIvEENS9_8equal_toIvEExEE10hipError_tPvRmT2_T3_T4_T5_mT6_T7_P12ihipStream_tbENKUlT_T0_E_clISt17integral_constantIbLb0EES11_EEDaSW_SX_EUlSW_E_NS1_11comp_targetILNS1_3genE3ELNS1_11target_archE908ELNS1_3gpuE7ELNS1_3repE0EEENS1_30default_config_static_selectorELNS0_4arch9wavefront6targetE1EEEvT1_ ; -- Begin function _ZN7rocprim17ROCPRIM_400000_NS6detail17trampoline_kernelINS0_14default_configENS1_27scan_by_key_config_selectorIixEEZZNS1_16scan_by_key_implILNS1_25lookback_scan_determinismE0ELb1ES3_N6thrust23THRUST_200600_302600_NS6detail15normal_iteratorINS9_10device_ptrIiEEEENSB_INSC_IxEEEESG_xNS9_4plusIvEENS9_8equal_toIvEExEE10hipError_tPvRmT2_T3_T4_T5_mT6_T7_P12ihipStream_tbENKUlT_T0_E_clISt17integral_constantIbLb0EES11_EEDaSW_SX_EUlSW_E_NS1_11comp_targetILNS1_3genE3ELNS1_11target_archE908ELNS1_3gpuE7ELNS1_3repE0EEENS1_30default_config_static_selectorELNS0_4arch9wavefront6targetE1EEEvT1_
	.globl	_ZN7rocprim17ROCPRIM_400000_NS6detail17trampoline_kernelINS0_14default_configENS1_27scan_by_key_config_selectorIixEEZZNS1_16scan_by_key_implILNS1_25lookback_scan_determinismE0ELb1ES3_N6thrust23THRUST_200600_302600_NS6detail15normal_iteratorINS9_10device_ptrIiEEEENSB_INSC_IxEEEESG_xNS9_4plusIvEENS9_8equal_toIvEExEE10hipError_tPvRmT2_T3_T4_T5_mT6_T7_P12ihipStream_tbENKUlT_T0_E_clISt17integral_constantIbLb0EES11_EEDaSW_SX_EUlSW_E_NS1_11comp_targetILNS1_3genE3ELNS1_11target_archE908ELNS1_3gpuE7ELNS1_3repE0EEENS1_30default_config_static_selectorELNS0_4arch9wavefront6targetE1EEEvT1_
	.p2align	8
	.type	_ZN7rocprim17ROCPRIM_400000_NS6detail17trampoline_kernelINS0_14default_configENS1_27scan_by_key_config_selectorIixEEZZNS1_16scan_by_key_implILNS1_25lookback_scan_determinismE0ELb1ES3_N6thrust23THRUST_200600_302600_NS6detail15normal_iteratorINS9_10device_ptrIiEEEENSB_INSC_IxEEEESG_xNS9_4plusIvEENS9_8equal_toIvEExEE10hipError_tPvRmT2_T3_T4_T5_mT6_T7_P12ihipStream_tbENKUlT_T0_E_clISt17integral_constantIbLb0EES11_EEDaSW_SX_EUlSW_E_NS1_11comp_targetILNS1_3genE3ELNS1_11target_archE908ELNS1_3gpuE7ELNS1_3repE0EEENS1_30default_config_static_selectorELNS0_4arch9wavefront6targetE1EEEvT1_,@function
_ZN7rocprim17ROCPRIM_400000_NS6detail17trampoline_kernelINS0_14default_configENS1_27scan_by_key_config_selectorIixEEZZNS1_16scan_by_key_implILNS1_25lookback_scan_determinismE0ELb1ES3_N6thrust23THRUST_200600_302600_NS6detail15normal_iteratorINS9_10device_ptrIiEEEENSB_INSC_IxEEEESG_xNS9_4plusIvEENS9_8equal_toIvEExEE10hipError_tPvRmT2_T3_T4_T5_mT6_T7_P12ihipStream_tbENKUlT_T0_E_clISt17integral_constantIbLb0EES11_EEDaSW_SX_EUlSW_E_NS1_11comp_targetILNS1_3genE3ELNS1_11target_archE908ELNS1_3gpuE7ELNS1_3repE0EEENS1_30default_config_static_selectorELNS0_4arch9wavefront6targetE1EEEvT1_: ; @_ZN7rocprim17ROCPRIM_400000_NS6detail17trampoline_kernelINS0_14default_configENS1_27scan_by_key_config_selectorIixEEZZNS1_16scan_by_key_implILNS1_25lookback_scan_determinismE0ELb1ES3_N6thrust23THRUST_200600_302600_NS6detail15normal_iteratorINS9_10device_ptrIiEEEENSB_INSC_IxEEEESG_xNS9_4plusIvEENS9_8equal_toIvEExEE10hipError_tPvRmT2_T3_T4_T5_mT6_T7_P12ihipStream_tbENKUlT_T0_E_clISt17integral_constantIbLb0EES11_EEDaSW_SX_EUlSW_E_NS1_11comp_targetILNS1_3genE3ELNS1_11target_archE908ELNS1_3gpuE7ELNS1_3repE0EEENS1_30default_config_static_selectorELNS0_4arch9wavefront6targetE1EEEvT1_
; %bb.0:
	.section	.rodata,"a",@progbits
	.p2align	6, 0x0
	.amdhsa_kernel _ZN7rocprim17ROCPRIM_400000_NS6detail17trampoline_kernelINS0_14default_configENS1_27scan_by_key_config_selectorIixEEZZNS1_16scan_by_key_implILNS1_25lookback_scan_determinismE0ELb1ES3_N6thrust23THRUST_200600_302600_NS6detail15normal_iteratorINS9_10device_ptrIiEEEENSB_INSC_IxEEEESG_xNS9_4plusIvEENS9_8equal_toIvEExEE10hipError_tPvRmT2_T3_T4_T5_mT6_T7_P12ihipStream_tbENKUlT_T0_E_clISt17integral_constantIbLb0EES11_EEDaSW_SX_EUlSW_E_NS1_11comp_targetILNS1_3genE3ELNS1_11target_archE908ELNS1_3gpuE7ELNS1_3repE0EEENS1_30default_config_static_selectorELNS0_4arch9wavefront6targetE1EEEvT1_
		.amdhsa_group_segment_fixed_size 0
		.amdhsa_private_segment_fixed_size 0
		.amdhsa_kernarg_size 136
		.amdhsa_user_sgpr_count 6
		.amdhsa_user_sgpr_private_segment_buffer 1
		.amdhsa_user_sgpr_dispatch_ptr 0
		.amdhsa_user_sgpr_queue_ptr 0
		.amdhsa_user_sgpr_kernarg_segment_ptr 1
		.amdhsa_user_sgpr_dispatch_id 0
		.amdhsa_user_sgpr_flat_scratch_init 0
		.amdhsa_user_sgpr_kernarg_preload_length 0
		.amdhsa_user_sgpr_kernarg_preload_offset 0
		.amdhsa_user_sgpr_private_segment_size 0
		.amdhsa_uses_dynamic_stack 0
		.amdhsa_system_sgpr_private_segment_wavefront_offset 0
		.amdhsa_system_sgpr_workgroup_id_x 1
		.amdhsa_system_sgpr_workgroup_id_y 0
		.amdhsa_system_sgpr_workgroup_id_z 0
		.amdhsa_system_sgpr_workgroup_info 0
		.amdhsa_system_vgpr_workitem_id 0
		.amdhsa_next_free_vgpr 1
		.amdhsa_next_free_sgpr 0
		.amdhsa_accum_offset 4
		.amdhsa_reserve_vcc 0
		.amdhsa_reserve_flat_scratch 0
		.amdhsa_float_round_mode_32 0
		.amdhsa_float_round_mode_16_64 0
		.amdhsa_float_denorm_mode_32 3
		.amdhsa_float_denorm_mode_16_64 3
		.amdhsa_dx10_clamp 1
		.amdhsa_ieee_mode 1
		.amdhsa_fp16_overflow 0
		.amdhsa_tg_split 0
		.amdhsa_exception_fp_ieee_invalid_op 0
		.amdhsa_exception_fp_denorm_src 0
		.amdhsa_exception_fp_ieee_div_zero 0
		.amdhsa_exception_fp_ieee_overflow 0
		.amdhsa_exception_fp_ieee_underflow 0
		.amdhsa_exception_fp_ieee_inexact 0
		.amdhsa_exception_int_div_zero 0
	.end_amdhsa_kernel
	.section	.text._ZN7rocprim17ROCPRIM_400000_NS6detail17trampoline_kernelINS0_14default_configENS1_27scan_by_key_config_selectorIixEEZZNS1_16scan_by_key_implILNS1_25lookback_scan_determinismE0ELb1ES3_N6thrust23THRUST_200600_302600_NS6detail15normal_iteratorINS9_10device_ptrIiEEEENSB_INSC_IxEEEESG_xNS9_4plusIvEENS9_8equal_toIvEExEE10hipError_tPvRmT2_T3_T4_T5_mT6_T7_P12ihipStream_tbENKUlT_T0_E_clISt17integral_constantIbLb0EES11_EEDaSW_SX_EUlSW_E_NS1_11comp_targetILNS1_3genE3ELNS1_11target_archE908ELNS1_3gpuE7ELNS1_3repE0EEENS1_30default_config_static_selectorELNS0_4arch9wavefront6targetE1EEEvT1_,"axG",@progbits,_ZN7rocprim17ROCPRIM_400000_NS6detail17trampoline_kernelINS0_14default_configENS1_27scan_by_key_config_selectorIixEEZZNS1_16scan_by_key_implILNS1_25lookback_scan_determinismE0ELb1ES3_N6thrust23THRUST_200600_302600_NS6detail15normal_iteratorINS9_10device_ptrIiEEEENSB_INSC_IxEEEESG_xNS9_4plusIvEENS9_8equal_toIvEExEE10hipError_tPvRmT2_T3_T4_T5_mT6_T7_P12ihipStream_tbENKUlT_T0_E_clISt17integral_constantIbLb0EES11_EEDaSW_SX_EUlSW_E_NS1_11comp_targetILNS1_3genE3ELNS1_11target_archE908ELNS1_3gpuE7ELNS1_3repE0EEENS1_30default_config_static_selectorELNS0_4arch9wavefront6targetE1EEEvT1_,comdat
.Lfunc_end1575:
	.size	_ZN7rocprim17ROCPRIM_400000_NS6detail17trampoline_kernelINS0_14default_configENS1_27scan_by_key_config_selectorIixEEZZNS1_16scan_by_key_implILNS1_25lookback_scan_determinismE0ELb1ES3_N6thrust23THRUST_200600_302600_NS6detail15normal_iteratorINS9_10device_ptrIiEEEENSB_INSC_IxEEEESG_xNS9_4plusIvEENS9_8equal_toIvEExEE10hipError_tPvRmT2_T3_T4_T5_mT6_T7_P12ihipStream_tbENKUlT_T0_E_clISt17integral_constantIbLb0EES11_EEDaSW_SX_EUlSW_E_NS1_11comp_targetILNS1_3genE3ELNS1_11target_archE908ELNS1_3gpuE7ELNS1_3repE0EEENS1_30default_config_static_selectorELNS0_4arch9wavefront6targetE1EEEvT1_, .Lfunc_end1575-_ZN7rocprim17ROCPRIM_400000_NS6detail17trampoline_kernelINS0_14default_configENS1_27scan_by_key_config_selectorIixEEZZNS1_16scan_by_key_implILNS1_25lookback_scan_determinismE0ELb1ES3_N6thrust23THRUST_200600_302600_NS6detail15normal_iteratorINS9_10device_ptrIiEEEENSB_INSC_IxEEEESG_xNS9_4plusIvEENS9_8equal_toIvEExEE10hipError_tPvRmT2_T3_T4_T5_mT6_T7_P12ihipStream_tbENKUlT_T0_E_clISt17integral_constantIbLb0EES11_EEDaSW_SX_EUlSW_E_NS1_11comp_targetILNS1_3genE3ELNS1_11target_archE908ELNS1_3gpuE7ELNS1_3repE0EEENS1_30default_config_static_selectorELNS0_4arch9wavefront6targetE1EEEvT1_
                                        ; -- End function
	.section	.AMDGPU.csdata,"",@progbits
; Kernel info:
; codeLenInByte = 0
; NumSgprs: 4
; NumVgprs: 0
; NumAgprs: 0
; TotalNumVgprs: 0
; ScratchSize: 0
; MemoryBound: 0
; FloatMode: 240
; IeeeMode: 1
; LDSByteSize: 0 bytes/workgroup (compile time only)
; SGPRBlocks: 0
; VGPRBlocks: 0
; NumSGPRsForWavesPerEU: 4
; NumVGPRsForWavesPerEU: 1
; AccumOffset: 4
; Occupancy: 8
; WaveLimiterHint : 0
; COMPUTE_PGM_RSRC2:SCRATCH_EN: 0
; COMPUTE_PGM_RSRC2:USER_SGPR: 6
; COMPUTE_PGM_RSRC2:TRAP_HANDLER: 0
; COMPUTE_PGM_RSRC2:TGID_X_EN: 1
; COMPUTE_PGM_RSRC2:TGID_Y_EN: 0
; COMPUTE_PGM_RSRC2:TGID_Z_EN: 0
; COMPUTE_PGM_RSRC2:TIDIG_COMP_CNT: 0
; COMPUTE_PGM_RSRC3_GFX90A:ACCUM_OFFSET: 0
; COMPUTE_PGM_RSRC3_GFX90A:TG_SPLIT: 0
	.section	.text._ZN7rocprim17ROCPRIM_400000_NS6detail17trampoline_kernelINS0_14default_configENS1_27scan_by_key_config_selectorIixEEZZNS1_16scan_by_key_implILNS1_25lookback_scan_determinismE0ELb1ES3_N6thrust23THRUST_200600_302600_NS6detail15normal_iteratorINS9_10device_ptrIiEEEENSB_INSC_IxEEEESG_xNS9_4plusIvEENS9_8equal_toIvEExEE10hipError_tPvRmT2_T3_T4_T5_mT6_T7_P12ihipStream_tbENKUlT_T0_E_clISt17integral_constantIbLb0EES11_EEDaSW_SX_EUlSW_E_NS1_11comp_targetILNS1_3genE2ELNS1_11target_archE906ELNS1_3gpuE6ELNS1_3repE0EEENS1_30default_config_static_selectorELNS0_4arch9wavefront6targetE1EEEvT1_,"axG",@progbits,_ZN7rocprim17ROCPRIM_400000_NS6detail17trampoline_kernelINS0_14default_configENS1_27scan_by_key_config_selectorIixEEZZNS1_16scan_by_key_implILNS1_25lookback_scan_determinismE0ELb1ES3_N6thrust23THRUST_200600_302600_NS6detail15normal_iteratorINS9_10device_ptrIiEEEENSB_INSC_IxEEEESG_xNS9_4plusIvEENS9_8equal_toIvEExEE10hipError_tPvRmT2_T3_T4_T5_mT6_T7_P12ihipStream_tbENKUlT_T0_E_clISt17integral_constantIbLb0EES11_EEDaSW_SX_EUlSW_E_NS1_11comp_targetILNS1_3genE2ELNS1_11target_archE906ELNS1_3gpuE6ELNS1_3repE0EEENS1_30default_config_static_selectorELNS0_4arch9wavefront6targetE1EEEvT1_,comdat
	.protected	_ZN7rocprim17ROCPRIM_400000_NS6detail17trampoline_kernelINS0_14default_configENS1_27scan_by_key_config_selectorIixEEZZNS1_16scan_by_key_implILNS1_25lookback_scan_determinismE0ELb1ES3_N6thrust23THRUST_200600_302600_NS6detail15normal_iteratorINS9_10device_ptrIiEEEENSB_INSC_IxEEEESG_xNS9_4plusIvEENS9_8equal_toIvEExEE10hipError_tPvRmT2_T3_T4_T5_mT6_T7_P12ihipStream_tbENKUlT_T0_E_clISt17integral_constantIbLb0EES11_EEDaSW_SX_EUlSW_E_NS1_11comp_targetILNS1_3genE2ELNS1_11target_archE906ELNS1_3gpuE6ELNS1_3repE0EEENS1_30default_config_static_selectorELNS0_4arch9wavefront6targetE1EEEvT1_ ; -- Begin function _ZN7rocprim17ROCPRIM_400000_NS6detail17trampoline_kernelINS0_14default_configENS1_27scan_by_key_config_selectorIixEEZZNS1_16scan_by_key_implILNS1_25lookback_scan_determinismE0ELb1ES3_N6thrust23THRUST_200600_302600_NS6detail15normal_iteratorINS9_10device_ptrIiEEEENSB_INSC_IxEEEESG_xNS9_4plusIvEENS9_8equal_toIvEExEE10hipError_tPvRmT2_T3_T4_T5_mT6_T7_P12ihipStream_tbENKUlT_T0_E_clISt17integral_constantIbLb0EES11_EEDaSW_SX_EUlSW_E_NS1_11comp_targetILNS1_3genE2ELNS1_11target_archE906ELNS1_3gpuE6ELNS1_3repE0EEENS1_30default_config_static_selectorELNS0_4arch9wavefront6targetE1EEEvT1_
	.globl	_ZN7rocprim17ROCPRIM_400000_NS6detail17trampoline_kernelINS0_14default_configENS1_27scan_by_key_config_selectorIixEEZZNS1_16scan_by_key_implILNS1_25lookback_scan_determinismE0ELb1ES3_N6thrust23THRUST_200600_302600_NS6detail15normal_iteratorINS9_10device_ptrIiEEEENSB_INSC_IxEEEESG_xNS9_4plusIvEENS9_8equal_toIvEExEE10hipError_tPvRmT2_T3_T4_T5_mT6_T7_P12ihipStream_tbENKUlT_T0_E_clISt17integral_constantIbLb0EES11_EEDaSW_SX_EUlSW_E_NS1_11comp_targetILNS1_3genE2ELNS1_11target_archE906ELNS1_3gpuE6ELNS1_3repE0EEENS1_30default_config_static_selectorELNS0_4arch9wavefront6targetE1EEEvT1_
	.p2align	8
	.type	_ZN7rocprim17ROCPRIM_400000_NS6detail17trampoline_kernelINS0_14default_configENS1_27scan_by_key_config_selectorIixEEZZNS1_16scan_by_key_implILNS1_25lookback_scan_determinismE0ELb1ES3_N6thrust23THRUST_200600_302600_NS6detail15normal_iteratorINS9_10device_ptrIiEEEENSB_INSC_IxEEEESG_xNS9_4plusIvEENS9_8equal_toIvEExEE10hipError_tPvRmT2_T3_T4_T5_mT6_T7_P12ihipStream_tbENKUlT_T0_E_clISt17integral_constantIbLb0EES11_EEDaSW_SX_EUlSW_E_NS1_11comp_targetILNS1_3genE2ELNS1_11target_archE906ELNS1_3gpuE6ELNS1_3repE0EEENS1_30default_config_static_selectorELNS0_4arch9wavefront6targetE1EEEvT1_,@function
_ZN7rocprim17ROCPRIM_400000_NS6detail17trampoline_kernelINS0_14default_configENS1_27scan_by_key_config_selectorIixEEZZNS1_16scan_by_key_implILNS1_25lookback_scan_determinismE0ELb1ES3_N6thrust23THRUST_200600_302600_NS6detail15normal_iteratorINS9_10device_ptrIiEEEENSB_INSC_IxEEEESG_xNS9_4plusIvEENS9_8equal_toIvEExEE10hipError_tPvRmT2_T3_T4_T5_mT6_T7_P12ihipStream_tbENKUlT_T0_E_clISt17integral_constantIbLb0EES11_EEDaSW_SX_EUlSW_E_NS1_11comp_targetILNS1_3genE2ELNS1_11target_archE906ELNS1_3gpuE6ELNS1_3repE0EEENS1_30default_config_static_selectorELNS0_4arch9wavefront6targetE1EEEvT1_: ; @_ZN7rocprim17ROCPRIM_400000_NS6detail17trampoline_kernelINS0_14default_configENS1_27scan_by_key_config_selectorIixEEZZNS1_16scan_by_key_implILNS1_25lookback_scan_determinismE0ELb1ES3_N6thrust23THRUST_200600_302600_NS6detail15normal_iteratorINS9_10device_ptrIiEEEENSB_INSC_IxEEEESG_xNS9_4plusIvEENS9_8equal_toIvEExEE10hipError_tPvRmT2_T3_T4_T5_mT6_T7_P12ihipStream_tbENKUlT_T0_E_clISt17integral_constantIbLb0EES11_EEDaSW_SX_EUlSW_E_NS1_11comp_targetILNS1_3genE2ELNS1_11target_archE906ELNS1_3gpuE6ELNS1_3repE0EEENS1_30default_config_static_selectorELNS0_4arch9wavefront6targetE1EEEvT1_
; %bb.0:
	.section	.rodata,"a",@progbits
	.p2align	6, 0x0
	.amdhsa_kernel _ZN7rocprim17ROCPRIM_400000_NS6detail17trampoline_kernelINS0_14default_configENS1_27scan_by_key_config_selectorIixEEZZNS1_16scan_by_key_implILNS1_25lookback_scan_determinismE0ELb1ES3_N6thrust23THRUST_200600_302600_NS6detail15normal_iteratorINS9_10device_ptrIiEEEENSB_INSC_IxEEEESG_xNS9_4plusIvEENS9_8equal_toIvEExEE10hipError_tPvRmT2_T3_T4_T5_mT6_T7_P12ihipStream_tbENKUlT_T0_E_clISt17integral_constantIbLb0EES11_EEDaSW_SX_EUlSW_E_NS1_11comp_targetILNS1_3genE2ELNS1_11target_archE906ELNS1_3gpuE6ELNS1_3repE0EEENS1_30default_config_static_selectorELNS0_4arch9wavefront6targetE1EEEvT1_
		.amdhsa_group_segment_fixed_size 0
		.amdhsa_private_segment_fixed_size 0
		.amdhsa_kernarg_size 136
		.amdhsa_user_sgpr_count 6
		.amdhsa_user_sgpr_private_segment_buffer 1
		.amdhsa_user_sgpr_dispatch_ptr 0
		.amdhsa_user_sgpr_queue_ptr 0
		.amdhsa_user_sgpr_kernarg_segment_ptr 1
		.amdhsa_user_sgpr_dispatch_id 0
		.amdhsa_user_sgpr_flat_scratch_init 0
		.amdhsa_user_sgpr_kernarg_preload_length 0
		.amdhsa_user_sgpr_kernarg_preload_offset 0
		.amdhsa_user_sgpr_private_segment_size 0
		.amdhsa_uses_dynamic_stack 0
		.amdhsa_system_sgpr_private_segment_wavefront_offset 0
		.amdhsa_system_sgpr_workgroup_id_x 1
		.amdhsa_system_sgpr_workgroup_id_y 0
		.amdhsa_system_sgpr_workgroup_id_z 0
		.amdhsa_system_sgpr_workgroup_info 0
		.amdhsa_system_vgpr_workitem_id 0
		.amdhsa_next_free_vgpr 1
		.amdhsa_next_free_sgpr 0
		.amdhsa_accum_offset 4
		.amdhsa_reserve_vcc 0
		.amdhsa_reserve_flat_scratch 0
		.amdhsa_float_round_mode_32 0
		.amdhsa_float_round_mode_16_64 0
		.amdhsa_float_denorm_mode_32 3
		.amdhsa_float_denorm_mode_16_64 3
		.amdhsa_dx10_clamp 1
		.amdhsa_ieee_mode 1
		.amdhsa_fp16_overflow 0
		.amdhsa_tg_split 0
		.amdhsa_exception_fp_ieee_invalid_op 0
		.amdhsa_exception_fp_denorm_src 0
		.amdhsa_exception_fp_ieee_div_zero 0
		.amdhsa_exception_fp_ieee_overflow 0
		.amdhsa_exception_fp_ieee_underflow 0
		.amdhsa_exception_fp_ieee_inexact 0
		.amdhsa_exception_int_div_zero 0
	.end_amdhsa_kernel
	.section	.text._ZN7rocprim17ROCPRIM_400000_NS6detail17trampoline_kernelINS0_14default_configENS1_27scan_by_key_config_selectorIixEEZZNS1_16scan_by_key_implILNS1_25lookback_scan_determinismE0ELb1ES3_N6thrust23THRUST_200600_302600_NS6detail15normal_iteratorINS9_10device_ptrIiEEEENSB_INSC_IxEEEESG_xNS9_4plusIvEENS9_8equal_toIvEExEE10hipError_tPvRmT2_T3_T4_T5_mT6_T7_P12ihipStream_tbENKUlT_T0_E_clISt17integral_constantIbLb0EES11_EEDaSW_SX_EUlSW_E_NS1_11comp_targetILNS1_3genE2ELNS1_11target_archE906ELNS1_3gpuE6ELNS1_3repE0EEENS1_30default_config_static_selectorELNS0_4arch9wavefront6targetE1EEEvT1_,"axG",@progbits,_ZN7rocprim17ROCPRIM_400000_NS6detail17trampoline_kernelINS0_14default_configENS1_27scan_by_key_config_selectorIixEEZZNS1_16scan_by_key_implILNS1_25lookback_scan_determinismE0ELb1ES3_N6thrust23THRUST_200600_302600_NS6detail15normal_iteratorINS9_10device_ptrIiEEEENSB_INSC_IxEEEESG_xNS9_4plusIvEENS9_8equal_toIvEExEE10hipError_tPvRmT2_T3_T4_T5_mT6_T7_P12ihipStream_tbENKUlT_T0_E_clISt17integral_constantIbLb0EES11_EEDaSW_SX_EUlSW_E_NS1_11comp_targetILNS1_3genE2ELNS1_11target_archE906ELNS1_3gpuE6ELNS1_3repE0EEENS1_30default_config_static_selectorELNS0_4arch9wavefront6targetE1EEEvT1_,comdat
.Lfunc_end1576:
	.size	_ZN7rocprim17ROCPRIM_400000_NS6detail17trampoline_kernelINS0_14default_configENS1_27scan_by_key_config_selectorIixEEZZNS1_16scan_by_key_implILNS1_25lookback_scan_determinismE0ELb1ES3_N6thrust23THRUST_200600_302600_NS6detail15normal_iteratorINS9_10device_ptrIiEEEENSB_INSC_IxEEEESG_xNS9_4plusIvEENS9_8equal_toIvEExEE10hipError_tPvRmT2_T3_T4_T5_mT6_T7_P12ihipStream_tbENKUlT_T0_E_clISt17integral_constantIbLb0EES11_EEDaSW_SX_EUlSW_E_NS1_11comp_targetILNS1_3genE2ELNS1_11target_archE906ELNS1_3gpuE6ELNS1_3repE0EEENS1_30default_config_static_selectorELNS0_4arch9wavefront6targetE1EEEvT1_, .Lfunc_end1576-_ZN7rocprim17ROCPRIM_400000_NS6detail17trampoline_kernelINS0_14default_configENS1_27scan_by_key_config_selectorIixEEZZNS1_16scan_by_key_implILNS1_25lookback_scan_determinismE0ELb1ES3_N6thrust23THRUST_200600_302600_NS6detail15normal_iteratorINS9_10device_ptrIiEEEENSB_INSC_IxEEEESG_xNS9_4plusIvEENS9_8equal_toIvEExEE10hipError_tPvRmT2_T3_T4_T5_mT6_T7_P12ihipStream_tbENKUlT_T0_E_clISt17integral_constantIbLb0EES11_EEDaSW_SX_EUlSW_E_NS1_11comp_targetILNS1_3genE2ELNS1_11target_archE906ELNS1_3gpuE6ELNS1_3repE0EEENS1_30default_config_static_selectorELNS0_4arch9wavefront6targetE1EEEvT1_
                                        ; -- End function
	.section	.AMDGPU.csdata,"",@progbits
; Kernel info:
; codeLenInByte = 0
; NumSgprs: 4
; NumVgprs: 0
; NumAgprs: 0
; TotalNumVgprs: 0
; ScratchSize: 0
; MemoryBound: 0
; FloatMode: 240
; IeeeMode: 1
; LDSByteSize: 0 bytes/workgroup (compile time only)
; SGPRBlocks: 0
; VGPRBlocks: 0
; NumSGPRsForWavesPerEU: 4
; NumVGPRsForWavesPerEU: 1
; AccumOffset: 4
; Occupancy: 8
; WaveLimiterHint : 0
; COMPUTE_PGM_RSRC2:SCRATCH_EN: 0
; COMPUTE_PGM_RSRC2:USER_SGPR: 6
; COMPUTE_PGM_RSRC2:TRAP_HANDLER: 0
; COMPUTE_PGM_RSRC2:TGID_X_EN: 1
; COMPUTE_PGM_RSRC2:TGID_Y_EN: 0
; COMPUTE_PGM_RSRC2:TGID_Z_EN: 0
; COMPUTE_PGM_RSRC2:TIDIG_COMP_CNT: 0
; COMPUTE_PGM_RSRC3_GFX90A:ACCUM_OFFSET: 0
; COMPUTE_PGM_RSRC3_GFX90A:TG_SPLIT: 0
	.section	.text._ZN7rocprim17ROCPRIM_400000_NS6detail17trampoline_kernelINS0_14default_configENS1_27scan_by_key_config_selectorIixEEZZNS1_16scan_by_key_implILNS1_25lookback_scan_determinismE0ELb1ES3_N6thrust23THRUST_200600_302600_NS6detail15normal_iteratorINS9_10device_ptrIiEEEENSB_INSC_IxEEEESG_xNS9_4plusIvEENS9_8equal_toIvEExEE10hipError_tPvRmT2_T3_T4_T5_mT6_T7_P12ihipStream_tbENKUlT_T0_E_clISt17integral_constantIbLb0EES11_EEDaSW_SX_EUlSW_E_NS1_11comp_targetILNS1_3genE10ELNS1_11target_archE1200ELNS1_3gpuE4ELNS1_3repE0EEENS1_30default_config_static_selectorELNS0_4arch9wavefront6targetE1EEEvT1_,"axG",@progbits,_ZN7rocprim17ROCPRIM_400000_NS6detail17trampoline_kernelINS0_14default_configENS1_27scan_by_key_config_selectorIixEEZZNS1_16scan_by_key_implILNS1_25lookback_scan_determinismE0ELb1ES3_N6thrust23THRUST_200600_302600_NS6detail15normal_iteratorINS9_10device_ptrIiEEEENSB_INSC_IxEEEESG_xNS9_4plusIvEENS9_8equal_toIvEExEE10hipError_tPvRmT2_T3_T4_T5_mT6_T7_P12ihipStream_tbENKUlT_T0_E_clISt17integral_constantIbLb0EES11_EEDaSW_SX_EUlSW_E_NS1_11comp_targetILNS1_3genE10ELNS1_11target_archE1200ELNS1_3gpuE4ELNS1_3repE0EEENS1_30default_config_static_selectorELNS0_4arch9wavefront6targetE1EEEvT1_,comdat
	.protected	_ZN7rocprim17ROCPRIM_400000_NS6detail17trampoline_kernelINS0_14default_configENS1_27scan_by_key_config_selectorIixEEZZNS1_16scan_by_key_implILNS1_25lookback_scan_determinismE0ELb1ES3_N6thrust23THRUST_200600_302600_NS6detail15normal_iteratorINS9_10device_ptrIiEEEENSB_INSC_IxEEEESG_xNS9_4plusIvEENS9_8equal_toIvEExEE10hipError_tPvRmT2_T3_T4_T5_mT6_T7_P12ihipStream_tbENKUlT_T0_E_clISt17integral_constantIbLb0EES11_EEDaSW_SX_EUlSW_E_NS1_11comp_targetILNS1_3genE10ELNS1_11target_archE1200ELNS1_3gpuE4ELNS1_3repE0EEENS1_30default_config_static_selectorELNS0_4arch9wavefront6targetE1EEEvT1_ ; -- Begin function _ZN7rocprim17ROCPRIM_400000_NS6detail17trampoline_kernelINS0_14default_configENS1_27scan_by_key_config_selectorIixEEZZNS1_16scan_by_key_implILNS1_25lookback_scan_determinismE0ELb1ES3_N6thrust23THRUST_200600_302600_NS6detail15normal_iteratorINS9_10device_ptrIiEEEENSB_INSC_IxEEEESG_xNS9_4plusIvEENS9_8equal_toIvEExEE10hipError_tPvRmT2_T3_T4_T5_mT6_T7_P12ihipStream_tbENKUlT_T0_E_clISt17integral_constantIbLb0EES11_EEDaSW_SX_EUlSW_E_NS1_11comp_targetILNS1_3genE10ELNS1_11target_archE1200ELNS1_3gpuE4ELNS1_3repE0EEENS1_30default_config_static_selectorELNS0_4arch9wavefront6targetE1EEEvT1_
	.globl	_ZN7rocprim17ROCPRIM_400000_NS6detail17trampoline_kernelINS0_14default_configENS1_27scan_by_key_config_selectorIixEEZZNS1_16scan_by_key_implILNS1_25lookback_scan_determinismE0ELb1ES3_N6thrust23THRUST_200600_302600_NS6detail15normal_iteratorINS9_10device_ptrIiEEEENSB_INSC_IxEEEESG_xNS9_4plusIvEENS9_8equal_toIvEExEE10hipError_tPvRmT2_T3_T4_T5_mT6_T7_P12ihipStream_tbENKUlT_T0_E_clISt17integral_constantIbLb0EES11_EEDaSW_SX_EUlSW_E_NS1_11comp_targetILNS1_3genE10ELNS1_11target_archE1200ELNS1_3gpuE4ELNS1_3repE0EEENS1_30default_config_static_selectorELNS0_4arch9wavefront6targetE1EEEvT1_
	.p2align	8
	.type	_ZN7rocprim17ROCPRIM_400000_NS6detail17trampoline_kernelINS0_14default_configENS1_27scan_by_key_config_selectorIixEEZZNS1_16scan_by_key_implILNS1_25lookback_scan_determinismE0ELb1ES3_N6thrust23THRUST_200600_302600_NS6detail15normal_iteratorINS9_10device_ptrIiEEEENSB_INSC_IxEEEESG_xNS9_4plusIvEENS9_8equal_toIvEExEE10hipError_tPvRmT2_T3_T4_T5_mT6_T7_P12ihipStream_tbENKUlT_T0_E_clISt17integral_constantIbLb0EES11_EEDaSW_SX_EUlSW_E_NS1_11comp_targetILNS1_3genE10ELNS1_11target_archE1200ELNS1_3gpuE4ELNS1_3repE0EEENS1_30default_config_static_selectorELNS0_4arch9wavefront6targetE1EEEvT1_,@function
_ZN7rocprim17ROCPRIM_400000_NS6detail17trampoline_kernelINS0_14default_configENS1_27scan_by_key_config_selectorIixEEZZNS1_16scan_by_key_implILNS1_25lookback_scan_determinismE0ELb1ES3_N6thrust23THRUST_200600_302600_NS6detail15normal_iteratorINS9_10device_ptrIiEEEENSB_INSC_IxEEEESG_xNS9_4plusIvEENS9_8equal_toIvEExEE10hipError_tPvRmT2_T3_T4_T5_mT6_T7_P12ihipStream_tbENKUlT_T0_E_clISt17integral_constantIbLb0EES11_EEDaSW_SX_EUlSW_E_NS1_11comp_targetILNS1_3genE10ELNS1_11target_archE1200ELNS1_3gpuE4ELNS1_3repE0EEENS1_30default_config_static_selectorELNS0_4arch9wavefront6targetE1EEEvT1_: ; @_ZN7rocprim17ROCPRIM_400000_NS6detail17trampoline_kernelINS0_14default_configENS1_27scan_by_key_config_selectorIixEEZZNS1_16scan_by_key_implILNS1_25lookback_scan_determinismE0ELb1ES3_N6thrust23THRUST_200600_302600_NS6detail15normal_iteratorINS9_10device_ptrIiEEEENSB_INSC_IxEEEESG_xNS9_4plusIvEENS9_8equal_toIvEExEE10hipError_tPvRmT2_T3_T4_T5_mT6_T7_P12ihipStream_tbENKUlT_T0_E_clISt17integral_constantIbLb0EES11_EEDaSW_SX_EUlSW_E_NS1_11comp_targetILNS1_3genE10ELNS1_11target_archE1200ELNS1_3gpuE4ELNS1_3repE0EEENS1_30default_config_static_selectorELNS0_4arch9wavefront6targetE1EEEvT1_
; %bb.0:
	.section	.rodata,"a",@progbits
	.p2align	6, 0x0
	.amdhsa_kernel _ZN7rocprim17ROCPRIM_400000_NS6detail17trampoline_kernelINS0_14default_configENS1_27scan_by_key_config_selectorIixEEZZNS1_16scan_by_key_implILNS1_25lookback_scan_determinismE0ELb1ES3_N6thrust23THRUST_200600_302600_NS6detail15normal_iteratorINS9_10device_ptrIiEEEENSB_INSC_IxEEEESG_xNS9_4plusIvEENS9_8equal_toIvEExEE10hipError_tPvRmT2_T3_T4_T5_mT6_T7_P12ihipStream_tbENKUlT_T0_E_clISt17integral_constantIbLb0EES11_EEDaSW_SX_EUlSW_E_NS1_11comp_targetILNS1_3genE10ELNS1_11target_archE1200ELNS1_3gpuE4ELNS1_3repE0EEENS1_30default_config_static_selectorELNS0_4arch9wavefront6targetE1EEEvT1_
		.amdhsa_group_segment_fixed_size 0
		.amdhsa_private_segment_fixed_size 0
		.amdhsa_kernarg_size 136
		.amdhsa_user_sgpr_count 6
		.amdhsa_user_sgpr_private_segment_buffer 1
		.amdhsa_user_sgpr_dispatch_ptr 0
		.amdhsa_user_sgpr_queue_ptr 0
		.amdhsa_user_sgpr_kernarg_segment_ptr 1
		.amdhsa_user_sgpr_dispatch_id 0
		.amdhsa_user_sgpr_flat_scratch_init 0
		.amdhsa_user_sgpr_kernarg_preload_length 0
		.amdhsa_user_sgpr_kernarg_preload_offset 0
		.amdhsa_user_sgpr_private_segment_size 0
		.amdhsa_uses_dynamic_stack 0
		.amdhsa_system_sgpr_private_segment_wavefront_offset 0
		.amdhsa_system_sgpr_workgroup_id_x 1
		.amdhsa_system_sgpr_workgroup_id_y 0
		.amdhsa_system_sgpr_workgroup_id_z 0
		.amdhsa_system_sgpr_workgroup_info 0
		.amdhsa_system_vgpr_workitem_id 0
		.amdhsa_next_free_vgpr 1
		.amdhsa_next_free_sgpr 0
		.amdhsa_accum_offset 4
		.amdhsa_reserve_vcc 0
		.amdhsa_reserve_flat_scratch 0
		.amdhsa_float_round_mode_32 0
		.amdhsa_float_round_mode_16_64 0
		.amdhsa_float_denorm_mode_32 3
		.amdhsa_float_denorm_mode_16_64 3
		.amdhsa_dx10_clamp 1
		.amdhsa_ieee_mode 1
		.amdhsa_fp16_overflow 0
		.amdhsa_tg_split 0
		.amdhsa_exception_fp_ieee_invalid_op 0
		.amdhsa_exception_fp_denorm_src 0
		.amdhsa_exception_fp_ieee_div_zero 0
		.amdhsa_exception_fp_ieee_overflow 0
		.amdhsa_exception_fp_ieee_underflow 0
		.amdhsa_exception_fp_ieee_inexact 0
		.amdhsa_exception_int_div_zero 0
	.end_amdhsa_kernel
	.section	.text._ZN7rocprim17ROCPRIM_400000_NS6detail17trampoline_kernelINS0_14default_configENS1_27scan_by_key_config_selectorIixEEZZNS1_16scan_by_key_implILNS1_25lookback_scan_determinismE0ELb1ES3_N6thrust23THRUST_200600_302600_NS6detail15normal_iteratorINS9_10device_ptrIiEEEENSB_INSC_IxEEEESG_xNS9_4plusIvEENS9_8equal_toIvEExEE10hipError_tPvRmT2_T3_T4_T5_mT6_T7_P12ihipStream_tbENKUlT_T0_E_clISt17integral_constantIbLb0EES11_EEDaSW_SX_EUlSW_E_NS1_11comp_targetILNS1_3genE10ELNS1_11target_archE1200ELNS1_3gpuE4ELNS1_3repE0EEENS1_30default_config_static_selectorELNS0_4arch9wavefront6targetE1EEEvT1_,"axG",@progbits,_ZN7rocprim17ROCPRIM_400000_NS6detail17trampoline_kernelINS0_14default_configENS1_27scan_by_key_config_selectorIixEEZZNS1_16scan_by_key_implILNS1_25lookback_scan_determinismE0ELb1ES3_N6thrust23THRUST_200600_302600_NS6detail15normal_iteratorINS9_10device_ptrIiEEEENSB_INSC_IxEEEESG_xNS9_4plusIvEENS9_8equal_toIvEExEE10hipError_tPvRmT2_T3_T4_T5_mT6_T7_P12ihipStream_tbENKUlT_T0_E_clISt17integral_constantIbLb0EES11_EEDaSW_SX_EUlSW_E_NS1_11comp_targetILNS1_3genE10ELNS1_11target_archE1200ELNS1_3gpuE4ELNS1_3repE0EEENS1_30default_config_static_selectorELNS0_4arch9wavefront6targetE1EEEvT1_,comdat
.Lfunc_end1577:
	.size	_ZN7rocprim17ROCPRIM_400000_NS6detail17trampoline_kernelINS0_14default_configENS1_27scan_by_key_config_selectorIixEEZZNS1_16scan_by_key_implILNS1_25lookback_scan_determinismE0ELb1ES3_N6thrust23THRUST_200600_302600_NS6detail15normal_iteratorINS9_10device_ptrIiEEEENSB_INSC_IxEEEESG_xNS9_4plusIvEENS9_8equal_toIvEExEE10hipError_tPvRmT2_T3_T4_T5_mT6_T7_P12ihipStream_tbENKUlT_T0_E_clISt17integral_constantIbLb0EES11_EEDaSW_SX_EUlSW_E_NS1_11comp_targetILNS1_3genE10ELNS1_11target_archE1200ELNS1_3gpuE4ELNS1_3repE0EEENS1_30default_config_static_selectorELNS0_4arch9wavefront6targetE1EEEvT1_, .Lfunc_end1577-_ZN7rocprim17ROCPRIM_400000_NS6detail17trampoline_kernelINS0_14default_configENS1_27scan_by_key_config_selectorIixEEZZNS1_16scan_by_key_implILNS1_25lookback_scan_determinismE0ELb1ES3_N6thrust23THRUST_200600_302600_NS6detail15normal_iteratorINS9_10device_ptrIiEEEENSB_INSC_IxEEEESG_xNS9_4plusIvEENS9_8equal_toIvEExEE10hipError_tPvRmT2_T3_T4_T5_mT6_T7_P12ihipStream_tbENKUlT_T0_E_clISt17integral_constantIbLb0EES11_EEDaSW_SX_EUlSW_E_NS1_11comp_targetILNS1_3genE10ELNS1_11target_archE1200ELNS1_3gpuE4ELNS1_3repE0EEENS1_30default_config_static_selectorELNS0_4arch9wavefront6targetE1EEEvT1_
                                        ; -- End function
	.section	.AMDGPU.csdata,"",@progbits
; Kernel info:
; codeLenInByte = 0
; NumSgprs: 4
; NumVgprs: 0
; NumAgprs: 0
; TotalNumVgprs: 0
; ScratchSize: 0
; MemoryBound: 0
; FloatMode: 240
; IeeeMode: 1
; LDSByteSize: 0 bytes/workgroup (compile time only)
; SGPRBlocks: 0
; VGPRBlocks: 0
; NumSGPRsForWavesPerEU: 4
; NumVGPRsForWavesPerEU: 1
; AccumOffset: 4
; Occupancy: 8
; WaveLimiterHint : 0
; COMPUTE_PGM_RSRC2:SCRATCH_EN: 0
; COMPUTE_PGM_RSRC2:USER_SGPR: 6
; COMPUTE_PGM_RSRC2:TRAP_HANDLER: 0
; COMPUTE_PGM_RSRC2:TGID_X_EN: 1
; COMPUTE_PGM_RSRC2:TGID_Y_EN: 0
; COMPUTE_PGM_RSRC2:TGID_Z_EN: 0
; COMPUTE_PGM_RSRC2:TIDIG_COMP_CNT: 0
; COMPUTE_PGM_RSRC3_GFX90A:ACCUM_OFFSET: 0
; COMPUTE_PGM_RSRC3_GFX90A:TG_SPLIT: 0
	.section	.text._ZN7rocprim17ROCPRIM_400000_NS6detail17trampoline_kernelINS0_14default_configENS1_27scan_by_key_config_selectorIixEEZZNS1_16scan_by_key_implILNS1_25lookback_scan_determinismE0ELb1ES3_N6thrust23THRUST_200600_302600_NS6detail15normal_iteratorINS9_10device_ptrIiEEEENSB_INSC_IxEEEESG_xNS9_4plusIvEENS9_8equal_toIvEExEE10hipError_tPvRmT2_T3_T4_T5_mT6_T7_P12ihipStream_tbENKUlT_T0_E_clISt17integral_constantIbLb0EES11_EEDaSW_SX_EUlSW_E_NS1_11comp_targetILNS1_3genE9ELNS1_11target_archE1100ELNS1_3gpuE3ELNS1_3repE0EEENS1_30default_config_static_selectorELNS0_4arch9wavefront6targetE1EEEvT1_,"axG",@progbits,_ZN7rocprim17ROCPRIM_400000_NS6detail17trampoline_kernelINS0_14default_configENS1_27scan_by_key_config_selectorIixEEZZNS1_16scan_by_key_implILNS1_25lookback_scan_determinismE0ELb1ES3_N6thrust23THRUST_200600_302600_NS6detail15normal_iteratorINS9_10device_ptrIiEEEENSB_INSC_IxEEEESG_xNS9_4plusIvEENS9_8equal_toIvEExEE10hipError_tPvRmT2_T3_T4_T5_mT6_T7_P12ihipStream_tbENKUlT_T0_E_clISt17integral_constantIbLb0EES11_EEDaSW_SX_EUlSW_E_NS1_11comp_targetILNS1_3genE9ELNS1_11target_archE1100ELNS1_3gpuE3ELNS1_3repE0EEENS1_30default_config_static_selectorELNS0_4arch9wavefront6targetE1EEEvT1_,comdat
	.protected	_ZN7rocprim17ROCPRIM_400000_NS6detail17trampoline_kernelINS0_14default_configENS1_27scan_by_key_config_selectorIixEEZZNS1_16scan_by_key_implILNS1_25lookback_scan_determinismE0ELb1ES3_N6thrust23THRUST_200600_302600_NS6detail15normal_iteratorINS9_10device_ptrIiEEEENSB_INSC_IxEEEESG_xNS9_4plusIvEENS9_8equal_toIvEExEE10hipError_tPvRmT2_T3_T4_T5_mT6_T7_P12ihipStream_tbENKUlT_T0_E_clISt17integral_constantIbLb0EES11_EEDaSW_SX_EUlSW_E_NS1_11comp_targetILNS1_3genE9ELNS1_11target_archE1100ELNS1_3gpuE3ELNS1_3repE0EEENS1_30default_config_static_selectorELNS0_4arch9wavefront6targetE1EEEvT1_ ; -- Begin function _ZN7rocprim17ROCPRIM_400000_NS6detail17trampoline_kernelINS0_14default_configENS1_27scan_by_key_config_selectorIixEEZZNS1_16scan_by_key_implILNS1_25lookback_scan_determinismE0ELb1ES3_N6thrust23THRUST_200600_302600_NS6detail15normal_iteratorINS9_10device_ptrIiEEEENSB_INSC_IxEEEESG_xNS9_4plusIvEENS9_8equal_toIvEExEE10hipError_tPvRmT2_T3_T4_T5_mT6_T7_P12ihipStream_tbENKUlT_T0_E_clISt17integral_constantIbLb0EES11_EEDaSW_SX_EUlSW_E_NS1_11comp_targetILNS1_3genE9ELNS1_11target_archE1100ELNS1_3gpuE3ELNS1_3repE0EEENS1_30default_config_static_selectorELNS0_4arch9wavefront6targetE1EEEvT1_
	.globl	_ZN7rocprim17ROCPRIM_400000_NS6detail17trampoline_kernelINS0_14default_configENS1_27scan_by_key_config_selectorIixEEZZNS1_16scan_by_key_implILNS1_25lookback_scan_determinismE0ELb1ES3_N6thrust23THRUST_200600_302600_NS6detail15normal_iteratorINS9_10device_ptrIiEEEENSB_INSC_IxEEEESG_xNS9_4plusIvEENS9_8equal_toIvEExEE10hipError_tPvRmT2_T3_T4_T5_mT6_T7_P12ihipStream_tbENKUlT_T0_E_clISt17integral_constantIbLb0EES11_EEDaSW_SX_EUlSW_E_NS1_11comp_targetILNS1_3genE9ELNS1_11target_archE1100ELNS1_3gpuE3ELNS1_3repE0EEENS1_30default_config_static_selectorELNS0_4arch9wavefront6targetE1EEEvT1_
	.p2align	8
	.type	_ZN7rocprim17ROCPRIM_400000_NS6detail17trampoline_kernelINS0_14default_configENS1_27scan_by_key_config_selectorIixEEZZNS1_16scan_by_key_implILNS1_25lookback_scan_determinismE0ELb1ES3_N6thrust23THRUST_200600_302600_NS6detail15normal_iteratorINS9_10device_ptrIiEEEENSB_INSC_IxEEEESG_xNS9_4plusIvEENS9_8equal_toIvEExEE10hipError_tPvRmT2_T3_T4_T5_mT6_T7_P12ihipStream_tbENKUlT_T0_E_clISt17integral_constantIbLb0EES11_EEDaSW_SX_EUlSW_E_NS1_11comp_targetILNS1_3genE9ELNS1_11target_archE1100ELNS1_3gpuE3ELNS1_3repE0EEENS1_30default_config_static_selectorELNS0_4arch9wavefront6targetE1EEEvT1_,@function
_ZN7rocprim17ROCPRIM_400000_NS6detail17trampoline_kernelINS0_14default_configENS1_27scan_by_key_config_selectorIixEEZZNS1_16scan_by_key_implILNS1_25lookback_scan_determinismE0ELb1ES3_N6thrust23THRUST_200600_302600_NS6detail15normal_iteratorINS9_10device_ptrIiEEEENSB_INSC_IxEEEESG_xNS9_4plusIvEENS9_8equal_toIvEExEE10hipError_tPvRmT2_T3_T4_T5_mT6_T7_P12ihipStream_tbENKUlT_T0_E_clISt17integral_constantIbLb0EES11_EEDaSW_SX_EUlSW_E_NS1_11comp_targetILNS1_3genE9ELNS1_11target_archE1100ELNS1_3gpuE3ELNS1_3repE0EEENS1_30default_config_static_selectorELNS0_4arch9wavefront6targetE1EEEvT1_: ; @_ZN7rocprim17ROCPRIM_400000_NS6detail17trampoline_kernelINS0_14default_configENS1_27scan_by_key_config_selectorIixEEZZNS1_16scan_by_key_implILNS1_25lookback_scan_determinismE0ELb1ES3_N6thrust23THRUST_200600_302600_NS6detail15normal_iteratorINS9_10device_ptrIiEEEENSB_INSC_IxEEEESG_xNS9_4plusIvEENS9_8equal_toIvEExEE10hipError_tPvRmT2_T3_T4_T5_mT6_T7_P12ihipStream_tbENKUlT_T0_E_clISt17integral_constantIbLb0EES11_EEDaSW_SX_EUlSW_E_NS1_11comp_targetILNS1_3genE9ELNS1_11target_archE1100ELNS1_3gpuE3ELNS1_3repE0EEENS1_30default_config_static_selectorELNS0_4arch9wavefront6targetE1EEEvT1_
; %bb.0:
	.section	.rodata,"a",@progbits
	.p2align	6, 0x0
	.amdhsa_kernel _ZN7rocprim17ROCPRIM_400000_NS6detail17trampoline_kernelINS0_14default_configENS1_27scan_by_key_config_selectorIixEEZZNS1_16scan_by_key_implILNS1_25lookback_scan_determinismE0ELb1ES3_N6thrust23THRUST_200600_302600_NS6detail15normal_iteratorINS9_10device_ptrIiEEEENSB_INSC_IxEEEESG_xNS9_4plusIvEENS9_8equal_toIvEExEE10hipError_tPvRmT2_T3_T4_T5_mT6_T7_P12ihipStream_tbENKUlT_T0_E_clISt17integral_constantIbLb0EES11_EEDaSW_SX_EUlSW_E_NS1_11comp_targetILNS1_3genE9ELNS1_11target_archE1100ELNS1_3gpuE3ELNS1_3repE0EEENS1_30default_config_static_selectorELNS0_4arch9wavefront6targetE1EEEvT1_
		.amdhsa_group_segment_fixed_size 0
		.amdhsa_private_segment_fixed_size 0
		.amdhsa_kernarg_size 136
		.amdhsa_user_sgpr_count 6
		.amdhsa_user_sgpr_private_segment_buffer 1
		.amdhsa_user_sgpr_dispatch_ptr 0
		.amdhsa_user_sgpr_queue_ptr 0
		.amdhsa_user_sgpr_kernarg_segment_ptr 1
		.amdhsa_user_sgpr_dispatch_id 0
		.amdhsa_user_sgpr_flat_scratch_init 0
		.amdhsa_user_sgpr_kernarg_preload_length 0
		.amdhsa_user_sgpr_kernarg_preload_offset 0
		.amdhsa_user_sgpr_private_segment_size 0
		.amdhsa_uses_dynamic_stack 0
		.amdhsa_system_sgpr_private_segment_wavefront_offset 0
		.amdhsa_system_sgpr_workgroup_id_x 1
		.amdhsa_system_sgpr_workgroup_id_y 0
		.amdhsa_system_sgpr_workgroup_id_z 0
		.amdhsa_system_sgpr_workgroup_info 0
		.amdhsa_system_vgpr_workitem_id 0
		.amdhsa_next_free_vgpr 1
		.amdhsa_next_free_sgpr 0
		.amdhsa_accum_offset 4
		.amdhsa_reserve_vcc 0
		.amdhsa_reserve_flat_scratch 0
		.amdhsa_float_round_mode_32 0
		.amdhsa_float_round_mode_16_64 0
		.amdhsa_float_denorm_mode_32 3
		.amdhsa_float_denorm_mode_16_64 3
		.amdhsa_dx10_clamp 1
		.amdhsa_ieee_mode 1
		.amdhsa_fp16_overflow 0
		.amdhsa_tg_split 0
		.amdhsa_exception_fp_ieee_invalid_op 0
		.amdhsa_exception_fp_denorm_src 0
		.amdhsa_exception_fp_ieee_div_zero 0
		.amdhsa_exception_fp_ieee_overflow 0
		.amdhsa_exception_fp_ieee_underflow 0
		.amdhsa_exception_fp_ieee_inexact 0
		.amdhsa_exception_int_div_zero 0
	.end_amdhsa_kernel
	.section	.text._ZN7rocprim17ROCPRIM_400000_NS6detail17trampoline_kernelINS0_14default_configENS1_27scan_by_key_config_selectorIixEEZZNS1_16scan_by_key_implILNS1_25lookback_scan_determinismE0ELb1ES3_N6thrust23THRUST_200600_302600_NS6detail15normal_iteratorINS9_10device_ptrIiEEEENSB_INSC_IxEEEESG_xNS9_4plusIvEENS9_8equal_toIvEExEE10hipError_tPvRmT2_T3_T4_T5_mT6_T7_P12ihipStream_tbENKUlT_T0_E_clISt17integral_constantIbLb0EES11_EEDaSW_SX_EUlSW_E_NS1_11comp_targetILNS1_3genE9ELNS1_11target_archE1100ELNS1_3gpuE3ELNS1_3repE0EEENS1_30default_config_static_selectorELNS0_4arch9wavefront6targetE1EEEvT1_,"axG",@progbits,_ZN7rocprim17ROCPRIM_400000_NS6detail17trampoline_kernelINS0_14default_configENS1_27scan_by_key_config_selectorIixEEZZNS1_16scan_by_key_implILNS1_25lookback_scan_determinismE0ELb1ES3_N6thrust23THRUST_200600_302600_NS6detail15normal_iteratorINS9_10device_ptrIiEEEENSB_INSC_IxEEEESG_xNS9_4plusIvEENS9_8equal_toIvEExEE10hipError_tPvRmT2_T3_T4_T5_mT6_T7_P12ihipStream_tbENKUlT_T0_E_clISt17integral_constantIbLb0EES11_EEDaSW_SX_EUlSW_E_NS1_11comp_targetILNS1_3genE9ELNS1_11target_archE1100ELNS1_3gpuE3ELNS1_3repE0EEENS1_30default_config_static_selectorELNS0_4arch9wavefront6targetE1EEEvT1_,comdat
.Lfunc_end1578:
	.size	_ZN7rocprim17ROCPRIM_400000_NS6detail17trampoline_kernelINS0_14default_configENS1_27scan_by_key_config_selectorIixEEZZNS1_16scan_by_key_implILNS1_25lookback_scan_determinismE0ELb1ES3_N6thrust23THRUST_200600_302600_NS6detail15normal_iteratorINS9_10device_ptrIiEEEENSB_INSC_IxEEEESG_xNS9_4plusIvEENS9_8equal_toIvEExEE10hipError_tPvRmT2_T3_T4_T5_mT6_T7_P12ihipStream_tbENKUlT_T0_E_clISt17integral_constantIbLb0EES11_EEDaSW_SX_EUlSW_E_NS1_11comp_targetILNS1_3genE9ELNS1_11target_archE1100ELNS1_3gpuE3ELNS1_3repE0EEENS1_30default_config_static_selectorELNS0_4arch9wavefront6targetE1EEEvT1_, .Lfunc_end1578-_ZN7rocprim17ROCPRIM_400000_NS6detail17trampoline_kernelINS0_14default_configENS1_27scan_by_key_config_selectorIixEEZZNS1_16scan_by_key_implILNS1_25lookback_scan_determinismE0ELb1ES3_N6thrust23THRUST_200600_302600_NS6detail15normal_iteratorINS9_10device_ptrIiEEEENSB_INSC_IxEEEESG_xNS9_4plusIvEENS9_8equal_toIvEExEE10hipError_tPvRmT2_T3_T4_T5_mT6_T7_P12ihipStream_tbENKUlT_T0_E_clISt17integral_constantIbLb0EES11_EEDaSW_SX_EUlSW_E_NS1_11comp_targetILNS1_3genE9ELNS1_11target_archE1100ELNS1_3gpuE3ELNS1_3repE0EEENS1_30default_config_static_selectorELNS0_4arch9wavefront6targetE1EEEvT1_
                                        ; -- End function
	.section	.AMDGPU.csdata,"",@progbits
; Kernel info:
; codeLenInByte = 0
; NumSgprs: 4
; NumVgprs: 0
; NumAgprs: 0
; TotalNumVgprs: 0
; ScratchSize: 0
; MemoryBound: 0
; FloatMode: 240
; IeeeMode: 1
; LDSByteSize: 0 bytes/workgroup (compile time only)
; SGPRBlocks: 0
; VGPRBlocks: 0
; NumSGPRsForWavesPerEU: 4
; NumVGPRsForWavesPerEU: 1
; AccumOffset: 4
; Occupancy: 8
; WaveLimiterHint : 0
; COMPUTE_PGM_RSRC2:SCRATCH_EN: 0
; COMPUTE_PGM_RSRC2:USER_SGPR: 6
; COMPUTE_PGM_RSRC2:TRAP_HANDLER: 0
; COMPUTE_PGM_RSRC2:TGID_X_EN: 1
; COMPUTE_PGM_RSRC2:TGID_Y_EN: 0
; COMPUTE_PGM_RSRC2:TGID_Z_EN: 0
; COMPUTE_PGM_RSRC2:TIDIG_COMP_CNT: 0
; COMPUTE_PGM_RSRC3_GFX90A:ACCUM_OFFSET: 0
; COMPUTE_PGM_RSRC3_GFX90A:TG_SPLIT: 0
	.section	.text._ZN7rocprim17ROCPRIM_400000_NS6detail17trampoline_kernelINS0_14default_configENS1_27scan_by_key_config_selectorIixEEZZNS1_16scan_by_key_implILNS1_25lookback_scan_determinismE0ELb1ES3_N6thrust23THRUST_200600_302600_NS6detail15normal_iteratorINS9_10device_ptrIiEEEENSB_INSC_IxEEEESG_xNS9_4plusIvEENS9_8equal_toIvEExEE10hipError_tPvRmT2_T3_T4_T5_mT6_T7_P12ihipStream_tbENKUlT_T0_E_clISt17integral_constantIbLb0EES11_EEDaSW_SX_EUlSW_E_NS1_11comp_targetILNS1_3genE8ELNS1_11target_archE1030ELNS1_3gpuE2ELNS1_3repE0EEENS1_30default_config_static_selectorELNS0_4arch9wavefront6targetE1EEEvT1_,"axG",@progbits,_ZN7rocprim17ROCPRIM_400000_NS6detail17trampoline_kernelINS0_14default_configENS1_27scan_by_key_config_selectorIixEEZZNS1_16scan_by_key_implILNS1_25lookback_scan_determinismE0ELb1ES3_N6thrust23THRUST_200600_302600_NS6detail15normal_iteratorINS9_10device_ptrIiEEEENSB_INSC_IxEEEESG_xNS9_4plusIvEENS9_8equal_toIvEExEE10hipError_tPvRmT2_T3_T4_T5_mT6_T7_P12ihipStream_tbENKUlT_T0_E_clISt17integral_constantIbLb0EES11_EEDaSW_SX_EUlSW_E_NS1_11comp_targetILNS1_3genE8ELNS1_11target_archE1030ELNS1_3gpuE2ELNS1_3repE0EEENS1_30default_config_static_selectorELNS0_4arch9wavefront6targetE1EEEvT1_,comdat
	.protected	_ZN7rocprim17ROCPRIM_400000_NS6detail17trampoline_kernelINS0_14default_configENS1_27scan_by_key_config_selectorIixEEZZNS1_16scan_by_key_implILNS1_25lookback_scan_determinismE0ELb1ES3_N6thrust23THRUST_200600_302600_NS6detail15normal_iteratorINS9_10device_ptrIiEEEENSB_INSC_IxEEEESG_xNS9_4plusIvEENS9_8equal_toIvEExEE10hipError_tPvRmT2_T3_T4_T5_mT6_T7_P12ihipStream_tbENKUlT_T0_E_clISt17integral_constantIbLb0EES11_EEDaSW_SX_EUlSW_E_NS1_11comp_targetILNS1_3genE8ELNS1_11target_archE1030ELNS1_3gpuE2ELNS1_3repE0EEENS1_30default_config_static_selectorELNS0_4arch9wavefront6targetE1EEEvT1_ ; -- Begin function _ZN7rocprim17ROCPRIM_400000_NS6detail17trampoline_kernelINS0_14default_configENS1_27scan_by_key_config_selectorIixEEZZNS1_16scan_by_key_implILNS1_25lookback_scan_determinismE0ELb1ES3_N6thrust23THRUST_200600_302600_NS6detail15normal_iteratorINS9_10device_ptrIiEEEENSB_INSC_IxEEEESG_xNS9_4plusIvEENS9_8equal_toIvEExEE10hipError_tPvRmT2_T3_T4_T5_mT6_T7_P12ihipStream_tbENKUlT_T0_E_clISt17integral_constantIbLb0EES11_EEDaSW_SX_EUlSW_E_NS1_11comp_targetILNS1_3genE8ELNS1_11target_archE1030ELNS1_3gpuE2ELNS1_3repE0EEENS1_30default_config_static_selectorELNS0_4arch9wavefront6targetE1EEEvT1_
	.globl	_ZN7rocprim17ROCPRIM_400000_NS6detail17trampoline_kernelINS0_14default_configENS1_27scan_by_key_config_selectorIixEEZZNS1_16scan_by_key_implILNS1_25lookback_scan_determinismE0ELb1ES3_N6thrust23THRUST_200600_302600_NS6detail15normal_iteratorINS9_10device_ptrIiEEEENSB_INSC_IxEEEESG_xNS9_4plusIvEENS9_8equal_toIvEExEE10hipError_tPvRmT2_T3_T4_T5_mT6_T7_P12ihipStream_tbENKUlT_T0_E_clISt17integral_constantIbLb0EES11_EEDaSW_SX_EUlSW_E_NS1_11comp_targetILNS1_3genE8ELNS1_11target_archE1030ELNS1_3gpuE2ELNS1_3repE0EEENS1_30default_config_static_selectorELNS0_4arch9wavefront6targetE1EEEvT1_
	.p2align	8
	.type	_ZN7rocprim17ROCPRIM_400000_NS6detail17trampoline_kernelINS0_14default_configENS1_27scan_by_key_config_selectorIixEEZZNS1_16scan_by_key_implILNS1_25lookback_scan_determinismE0ELb1ES3_N6thrust23THRUST_200600_302600_NS6detail15normal_iteratorINS9_10device_ptrIiEEEENSB_INSC_IxEEEESG_xNS9_4plusIvEENS9_8equal_toIvEExEE10hipError_tPvRmT2_T3_T4_T5_mT6_T7_P12ihipStream_tbENKUlT_T0_E_clISt17integral_constantIbLb0EES11_EEDaSW_SX_EUlSW_E_NS1_11comp_targetILNS1_3genE8ELNS1_11target_archE1030ELNS1_3gpuE2ELNS1_3repE0EEENS1_30default_config_static_selectorELNS0_4arch9wavefront6targetE1EEEvT1_,@function
_ZN7rocprim17ROCPRIM_400000_NS6detail17trampoline_kernelINS0_14default_configENS1_27scan_by_key_config_selectorIixEEZZNS1_16scan_by_key_implILNS1_25lookback_scan_determinismE0ELb1ES3_N6thrust23THRUST_200600_302600_NS6detail15normal_iteratorINS9_10device_ptrIiEEEENSB_INSC_IxEEEESG_xNS9_4plusIvEENS9_8equal_toIvEExEE10hipError_tPvRmT2_T3_T4_T5_mT6_T7_P12ihipStream_tbENKUlT_T0_E_clISt17integral_constantIbLb0EES11_EEDaSW_SX_EUlSW_E_NS1_11comp_targetILNS1_3genE8ELNS1_11target_archE1030ELNS1_3gpuE2ELNS1_3repE0EEENS1_30default_config_static_selectorELNS0_4arch9wavefront6targetE1EEEvT1_: ; @_ZN7rocprim17ROCPRIM_400000_NS6detail17trampoline_kernelINS0_14default_configENS1_27scan_by_key_config_selectorIixEEZZNS1_16scan_by_key_implILNS1_25lookback_scan_determinismE0ELb1ES3_N6thrust23THRUST_200600_302600_NS6detail15normal_iteratorINS9_10device_ptrIiEEEENSB_INSC_IxEEEESG_xNS9_4plusIvEENS9_8equal_toIvEExEE10hipError_tPvRmT2_T3_T4_T5_mT6_T7_P12ihipStream_tbENKUlT_T0_E_clISt17integral_constantIbLb0EES11_EEDaSW_SX_EUlSW_E_NS1_11comp_targetILNS1_3genE8ELNS1_11target_archE1030ELNS1_3gpuE2ELNS1_3repE0EEENS1_30default_config_static_selectorELNS0_4arch9wavefront6targetE1EEEvT1_
; %bb.0:
	.section	.rodata,"a",@progbits
	.p2align	6, 0x0
	.amdhsa_kernel _ZN7rocprim17ROCPRIM_400000_NS6detail17trampoline_kernelINS0_14default_configENS1_27scan_by_key_config_selectorIixEEZZNS1_16scan_by_key_implILNS1_25lookback_scan_determinismE0ELb1ES3_N6thrust23THRUST_200600_302600_NS6detail15normal_iteratorINS9_10device_ptrIiEEEENSB_INSC_IxEEEESG_xNS9_4plusIvEENS9_8equal_toIvEExEE10hipError_tPvRmT2_T3_T4_T5_mT6_T7_P12ihipStream_tbENKUlT_T0_E_clISt17integral_constantIbLb0EES11_EEDaSW_SX_EUlSW_E_NS1_11comp_targetILNS1_3genE8ELNS1_11target_archE1030ELNS1_3gpuE2ELNS1_3repE0EEENS1_30default_config_static_selectorELNS0_4arch9wavefront6targetE1EEEvT1_
		.amdhsa_group_segment_fixed_size 0
		.amdhsa_private_segment_fixed_size 0
		.amdhsa_kernarg_size 136
		.amdhsa_user_sgpr_count 6
		.amdhsa_user_sgpr_private_segment_buffer 1
		.amdhsa_user_sgpr_dispatch_ptr 0
		.amdhsa_user_sgpr_queue_ptr 0
		.amdhsa_user_sgpr_kernarg_segment_ptr 1
		.amdhsa_user_sgpr_dispatch_id 0
		.amdhsa_user_sgpr_flat_scratch_init 0
		.amdhsa_user_sgpr_kernarg_preload_length 0
		.amdhsa_user_sgpr_kernarg_preload_offset 0
		.amdhsa_user_sgpr_private_segment_size 0
		.amdhsa_uses_dynamic_stack 0
		.amdhsa_system_sgpr_private_segment_wavefront_offset 0
		.amdhsa_system_sgpr_workgroup_id_x 1
		.amdhsa_system_sgpr_workgroup_id_y 0
		.amdhsa_system_sgpr_workgroup_id_z 0
		.amdhsa_system_sgpr_workgroup_info 0
		.amdhsa_system_vgpr_workitem_id 0
		.amdhsa_next_free_vgpr 1
		.amdhsa_next_free_sgpr 0
		.amdhsa_accum_offset 4
		.amdhsa_reserve_vcc 0
		.amdhsa_reserve_flat_scratch 0
		.amdhsa_float_round_mode_32 0
		.amdhsa_float_round_mode_16_64 0
		.amdhsa_float_denorm_mode_32 3
		.amdhsa_float_denorm_mode_16_64 3
		.amdhsa_dx10_clamp 1
		.amdhsa_ieee_mode 1
		.amdhsa_fp16_overflow 0
		.amdhsa_tg_split 0
		.amdhsa_exception_fp_ieee_invalid_op 0
		.amdhsa_exception_fp_denorm_src 0
		.amdhsa_exception_fp_ieee_div_zero 0
		.amdhsa_exception_fp_ieee_overflow 0
		.amdhsa_exception_fp_ieee_underflow 0
		.amdhsa_exception_fp_ieee_inexact 0
		.amdhsa_exception_int_div_zero 0
	.end_amdhsa_kernel
	.section	.text._ZN7rocprim17ROCPRIM_400000_NS6detail17trampoline_kernelINS0_14default_configENS1_27scan_by_key_config_selectorIixEEZZNS1_16scan_by_key_implILNS1_25lookback_scan_determinismE0ELb1ES3_N6thrust23THRUST_200600_302600_NS6detail15normal_iteratorINS9_10device_ptrIiEEEENSB_INSC_IxEEEESG_xNS9_4plusIvEENS9_8equal_toIvEExEE10hipError_tPvRmT2_T3_T4_T5_mT6_T7_P12ihipStream_tbENKUlT_T0_E_clISt17integral_constantIbLb0EES11_EEDaSW_SX_EUlSW_E_NS1_11comp_targetILNS1_3genE8ELNS1_11target_archE1030ELNS1_3gpuE2ELNS1_3repE0EEENS1_30default_config_static_selectorELNS0_4arch9wavefront6targetE1EEEvT1_,"axG",@progbits,_ZN7rocprim17ROCPRIM_400000_NS6detail17trampoline_kernelINS0_14default_configENS1_27scan_by_key_config_selectorIixEEZZNS1_16scan_by_key_implILNS1_25lookback_scan_determinismE0ELb1ES3_N6thrust23THRUST_200600_302600_NS6detail15normal_iteratorINS9_10device_ptrIiEEEENSB_INSC_IxEEEESG_xNS9_4plusIvEENS9_8equal_toIvEExEE10hipError_tPvRmT2_T3_T4_T5_mT6_T7_P12ihipStream_tbENKUlT_T0_E_clISt17integral_constantIbLb0EES11_EEDaSW_SX_EUlSW_E_NS1_11comp_targetILNS1_3genE8ELNS1_11target_archE1030ELNS1_3gpuE2ELNS1_3repE0EEENS1_30default_config_static_selectorELNS0_4arch9wavefront6targetE1EEEvT1_,comdat
.Lfunc_end1579:
	.size	_ZN7rocprim17ROCPRIM_400000_NS6detail17trampoline_kernelINS0_14default_configENS1_27scan_by_key_config_selectorIixEEZZNS1_16scan_by_key_implILNS1_25lookback_scan_determinismE0ELb1ES3_N6thrust23THRUST_200600_302600_NS6detail15normal_iteratorINS9_10device_ptrIiEEEENSB_INSC_IxEEEESG_xNS9_4plusIvEENS9_8equal_toIvEExEE10hipError_tPvRmT2_T3_T4_T5_mT6_T7_P12ihipStream_tbENKUlT_T0_E_clISt17integral_constantIbLb0EES11_EEDaSW_SX_EUlSW_E_NS1_11comp_targetILNS1_3genE8ELNS1_11target_archE1030ELNS1_3gpuE2ELNS1_3repE0EEENS1_30default_config_static_selectorELNS0_4arch9wavefront6targetE1EEEvT1_, .Lfunc_end1579-_ZN7rocprim17ROCPRIM_400000_NS6detail17trampoline_kernelINS0_14default_configENS1_27scan_by_key_config_selectorIixEEZZNS1_16scan_by_key_implILNS1_25lookback_scan_determinismE0ELb1ES3_N6thrust23THRUST_200600_302600_NS6detail15normal_iteratorINS9_10device_ptrIiEEEENSB_INSC_IxEEEESG_xNS9_4plusIvEENS9_8equal_toIvEExEE10hipError_tPvRmT2_T3_T4_T5_mT6_T7_P12ihipStream_tbENKUlT_T0_E_clISt17integral_constantIbLb0EES11_EEDaSW_SX_EUlSW_E_NS1_11comp_targetILNS1_3genE8ELNS1_11target_archE1030ELNS1_3gpuE2ELNS1_3repE0EEENS1_30default_config_static_selectorELNS0_4arch9wavefront6targetE1EEEvT1_
                                        ; -- End function
	.section	.AMDGPU.csdata,"",@progbits
; Kernel info:
; codeLenInByte = 0
; NumSgprs: 4
; NumVgprs: 0
; NumAgprs: 0
; TotalNumVgprs: 0
; ScratchSize: 0
; MemoryBound: 0
; FloatMode: 240
; IeeeMode: 1
; LDSByteSize: 0 bytes/workgroup (compile time only)
; SGPRBlocks: 0
; VGPRBlocks: 0
; NumSGPRsForWavesPerEU: 4
; NumVGPRsForWavesPerEU: 1
; AccumOffset: 4
; Occupancy: 8
; WaveLimiterHint : 0
; COMPUTE_PGM_RSRC2:SCRATCH_EN: 0
; COMPUTE_PGM_RSRC2:USER_SGPR: 6
; COMPUTE_PGM_RSRC2:TRAP_HANDLER: 0
; COMPUTE_PGM_RSRC2:TGID_X_EN: 1
; COMPUTE_PGM_RSRC2:TGID_Y_EN: 0
; COMPUTE_PGM_RSRC2:TGID_Z_EN: 0
; COMPUTE_PGM_RSRC2:TIDIG_COMP_CNT: 0
; COMPUTE_PGM_RSRC3_GFX90A:ACCUM_OFFSET: 0
; COMPUTE_PGM_RSRC3_GFX90A:TG_SPLIT: 0
	.section	.text._ZN7rocprim17ROCPRIM_400000_NS6detail17trampoline_kernelINS0_14default_configENS1_27scan_by_key_config_selectorIixEEZZNS1_16scan_by_key_implILNS1_25lookback_scan_determinismE0ELb1ES3_N6thrust23THRUST_200600_302600_NS6detail15normal_iteratorINS9_10device_ptrIiEEEENSB_INSC_IxEEEESG_xNS9_4plusIvEENS9_8equal_toIvEExEE10hipError_tPvRmT2_T3_T4_T5_mT6_T7_P12ihipStream_tbENKUlT_T0_E_clISt17integral_constantIbLb1EES11_EEDaSW_SX_EUlSW_E_NS1_11comp_targetILNS1_3genE0ELNS1_11target_archE4294967295ELNS1_3gpuE0ELNS1_3repE0EEENS1_30default_config_static_selectorELNS0_4arch9wavefront6targetE1EEEvT1_,"axG",@progbits,_ZN7rocprim17ROCPRIM_400000_NS6detail17trampoline_kernelINS0_14default_configENS1_27scan_by_key_config_selectorIixEEZZNS1_16scan_by_key_implILNS1_25lookback_scan_determinismE0ELb1ES3_N6thrust23THRUST_200600_302600_NS6detail15normal_iteratorINS9_10device_ptrIiEEEENSB_INSC_IxEEEESG_xNS9_4plusIvEENS9_8equal_toIvEExEE10hipError_tPvRmT2_T3_T4_T5_mT6_T7_P12ihipStream_tbENKUlT_T0_E_clISt17integral_constantIbLb1EES11_EEDaSW_SX_EUlSW_E_NS1_11comp_targetILNS1_3genE0ELNS1_11target_archE4294967295ELNS1_3gpuE0ELNS1_3repE0EEENS1_30default_config_static_selectorELNS0_4arch9wavefront6targetE1EEEvT1_,comdat
	.protected	_ZN7rocprim17ROCPRIM_400000_NS6detail17trampoline_kernelINS0_14default_configENS1_27scan_by_key_config_selectorIixEEZZNS1_16scan_by_key_implILNS1_25lookback_scan_determinismE0ELb1ES3_N6thrust23THRUST_200600_302600_NS6detail15normal_iteratorINS9_10device_ptrIiEEEENSB_INSC_IxEEEESG_xNS9_4plusIvEENS9_8equal_toIvEExEE10hipError_tPvRmT2_T3_T4_T5_mT6_T7_P12ihipStream_tbENKUlT_T0_E_clISt17integral_constantIbLb1EES11_EEDaSW_SX_EUlSW_E_NS1_11comp_targetILNS1_3genE0ELNS1_11target_archE4294967295ELNS1_3gpuE0ELNS1_3repE0EEENS1_30default_config_static_selectorELNS0_4arch9wavefront6targetE1EEEvT1_ ; -- Begin function _ZN7rocprim17ROCPRIM_400000_NS6detail17trampoline_kernelINS0_14default_configENS1_27scan_by_key_config_selectorIixEEZZNS1_16scan_by_key_implILNS1_25lookback_scan_determinismE0ELb1ES3_N6thrust23THRUST_200600_302600_NS6detail15normal_iteratorINS9_10device_ptrIiEEEENSB_INSC_IxEEEESG_xNS9_4plusIvEENS9_8equal_toIvEExEE10hipError_tPvRmT2_T3_T4_T5_mT6_T7_P12ihipStream_tbENKUlT_T0_E_clISt17integral_constantIbLb1EES11_EEDaSW_SX_EUlSW_E_NS1_11comp_targetILNS1_3genE0ELNS1_11target_archE4294967295ELNS1_3gpuE0ELNS1_3repE0EEENS1_30default_config_static_selectorELNS0_4arch9wavefront6targetE1EEEvT1_
	.globl	_ZN7rocprim17ROCPRIM_400000_NS6detail17trampoline_kernelINS0_14default_configENS1_27scan_by_key_config_selectorIixEEZZNS1_16scan_by_key_implILNS1_25lookback_scan_determinismE0ELb1ES3_N6thrust23THRUST_200600_302600_NS6detail15normal_iteratorINS9_10device_ptrIiEEEENSB_INSC_IxEEEESG_xNS9_4plusIvEENS9_8equal_toIvEExEE10hipError_tPvRmT2_T3_T4_T5_mT6_T7_P12ihipStream_tbENKUlT_T0_E_clISt17integral_constantIbLb1EES11_EEDaSW_SX_EUlSW_E_NS1_11comp_targetILNS1_3genE0ELNS1_11target_archE4294967295ELNS1_3gpuE0ELNS1_3repE0EEENS1_30default_config_static_selectorELNS0_4arch9wavefront6targetE1EEEvT1_
	.p2align	8
	.type	_ZN7rocprim17ROCPRIM_400000_NS6detail17trampoline_kernelINS0_14default_configENS1_27scan_by_key_config_selectorIixEEZZNS1_16scan_by_key_implILNS1_25lookback_scan_determinismE0ELb1ES3_N6thrust23THRUST_200600_302600_NS6detail15normal_iteratorINS9_10device_ptrIiEEEENSB_INSC_IxEEEESG_xNS9_4plusIvEENS9_8equal_toIvEExEE10hipError_tPvRmT2_T3_T4_T5_mT6_T7_P12ihipStream_tbENKUlT_T0_E_clISt17integral_constantIbLb1EES11_EEDaSW_SX_EUlSW_E_NS1_11comp_targetILNS1_3genE0ELNS1_11target_archE4294967295ELNS1_3gpuE0ELNS1_3repE0EEENS1_30default_config_static_selectorELNS0_4arch9wavefront6targetE1EEEvT1_,@function
_ZN7rocprim17ROCPRIM_400000_NS6detail17trampoline_kernelINS0_14default_configENS1_27scan_by_key_config_selectorIixEEZZNS1_16scan_by_key_implILNS1_25lookback_scan_determinismE0ELb1ES3_N6thrust23THRUST_200600_302600_NS6detail15normal_iteratorINS9_10device_ptrIiEEEENSB_INSC_IxEEEESG_xNS9_4plusIvEENS9_8equal_toIvEExEE10hipError_tPvRmT2_T3_T4_T5_mT6_T7_P12ihipStream_tbENKUlT_T0_E_clISt17integral_constantIbLb1EES11_EEDaSW_SX_EUlSW_E_NS1_11comp_targetILNS1_3genE0ELNS1_11target_archE4294967295ELNS1_3gpuE0ELNS1_3repE0EEENS1_30default_config_static_selectorELNS0_4arch9wavefront6targetE1EEEvT1_: ; @_ZN7rocprim17ROCPRIM_400000_NS6detail17trampoline_kernelINS0_14default_configENS1_27scan_by_key_config_selectorIixEEZZNS1_16scan_by_key_implILNS1_25lookback_scan_determinismE0ELb1ES3_N6thrust23THRUST_200600_302600_NS6detail15normal_iteratorINS9_10device_ptrIiEEEENSB_INSC_IxEEEESG_xNS9_4plusIvEENS9_8equal_toIvEExEE10hipError_tPvRmT2_T3_T4_T5_mT6_T7_P12ihipStream_tbENKUlT_T0_E_clISt17integral_constantIbLb1EES11_EEDaSW_SX_EUlSW_E_NS1_11comp_targetILNS1_3genE0ELNS1_11target_archE4294967295ELNS1_3gpuE0ELNS1_3repE0EEENS1_30default_config_static_selectorELNS0_4arch9wavefront6targetE1EEEvT1_
; %bb.0:
	.section	.rodata,"a",@progbits
	.p2align	6, 0x0
	.amdhsa_kernel _ZN7rocprim17ROCPRIM_400000_NS6detail17trampoline_kernelINS0_14default_configENS1_27scan_by_key_config_selectorIixEEZZNS1_16scan_by_key_implILNS1_25lookback_scan_determinismE0ELb1ES3_N6thrust23THRUST_200600_302600_NS6detail15normal_iteratorINS9_10device_ptrIiEEEENSB_INSC_IxEEEESG_xNS9_4plusIvEENS9_8equal_toIvEExEE10hipError_tPvRmT2_T3_T4_T5_mT6_T7_P12ihipStream_tbENKUlT_T0_E_clISt17integral_constantIbLb1EES11_EEDaSW_SX_EUlSW_E_NS1_11comp_targetILNS1_3genE0ELNS1_11target_archE4294967295ELNS1_3gpuE0ELNS1_3repE0EEENS1_30default_config_static_selectorELNS0_4arch9wavefront6targetE1EEEvT1_
		.amdhsa_group_segment_fixed_size 0
		.amdhsa_private_segment_fixed_size 0
		.amdhsa_kernarg_size 136
		.amdhsa_user_sgpr_count 6
		.amdhsa_user_sgpr_private_segment_buffer 1
		.amdhsa_user_sgpr_dispatch_ptr 0
		.amdhsa_user_sgpr_queue_ptr 0
		.amdhsa_user_sgpr_kernarg_segment_ptr 1
		.amdhsa_user_sgpr_dispatch_id 0
		.amdhsa_user_sgpr_flat_scratch_init 0
		.amdhsa_user_sgpr_kernarg_preload_length 0
		.amdhsa_user_sgpr_kernarg_preload_offset 0
		.amdhsa_user_sgpr_private_segment_size 0
		.amdhsa_uses_dynamic_stack 0
		.amdhsa_system_sgpr_private_segment_wavefront_offset 0
		.amdhsa_system_sgpr_workgroup_id_x 1
		.amdhsa_system_sgpr_workgroup_id_y 0
		.amdhsa_system_sgpr_workgroup_id_z 0
		.amdhsa_system_sgpr_workgroup_info 0
		.amdhsa_system_vgpr_workitem_id 0
		.amdhsa_next_free_vgpr 1
		.amdhsa_next_free_sgpr 0
		.amdhsa_accum_offset 4
		.amdhsa_reserve_vcc 0
		.amdhsa_reserve_flat_scratch 0
		.amdhsa_float_round_mode_32 0
		.amdhsa_float_round_mode_16_64 0
		.amdhsa_float_denorm_mode_32 3
		.amdhsa_float_denorm_mode_16_64 3
		.amdhsa_dx10_clamp 1
		.amdhsa_ieee_mode 1
		.amdhsa_fp16_overflow 0
		.amdhsa_tg_split 0
		.amdhsa_exception_fp_ieee_invalid_op 0
		.amdhsa_exception_fp_denorm_src 0
		.amdhsa_exception_fp_ieee_div_zero 0
		.amdhsa_exception_fp_ieee_overflow 0
		.amdhsa_exception_fp_ieee_underflow 0
		.amdhsa_exception_fp_ieee_inexact 0
		.amdhsa_exception_int_div_zero 0
	.end_amdhsa_kernel
	.section	.text._ZN7rocprim17ROCPRIM_400000_NS6detail17trampoline_kernelINS0_14default_configENS1_27scan_by_key_config_selectorIixEEZZNS1_16scan_by_key_implILNS1_25lookback_scan_determinismE0ELb1ES3_N6thrust23THRUST_200600_302600_NS6detail15normal_iteratorINS9_10device_ptrIiEEEENSB_INSC_IxEEEESG_xNS9_4plusIvEENS9_8equal_toIvEExEE10hipError_tPvRmT2_T3_T4_T5_mT6_T7_P12ihipStream_tbENKUlT_T0_E_clISt17integral_constantIbLb1EES11_EEDaSW_SX_EUlSW_E_NS1_11comp_targetILNS1_3genE0ELNS1_11target_archE4294967295ELNS1_3gpuE0ELNS1_3repE0EEENS1_30default_config_static_selectorELNS0_4arch9wavefront6targetE1EEEvT1_,"axG",@progbits,_ZN7rocprim17ROCPRIM_400000_NS6detail17trampoline_kernelINS0_14default_configENS1_27scan_by_key_config_selectorIixEEZZNS1_16scan_by_key_implILNS1_25lookback_scan_determinismE0ELb1ES3_N6thrust23THRUST_200600_302600_NS6detail15normal_iteratorINS9_10device_ptrIiEEEENSB_INSC_IxEEEESG_xNS9_4plusIvEENS9_8equal_toIvEExEE10hipError_tPvRmT2_T3_T4_T5_mT6_T7_P12ihipStream_tbENKUlT_T0_E_clISt17integral_constantIbLb1EES11_EEDaSW_SX_EUlSW_E_NS1_11comp_targetILNS1_3genE0ELNS1_11target_archE4294967295ELNS1_3gpuE0ELNS1_3repE0EEENS1_30default_config_static_selectorELNS0_4arch9wavefront6targetE1EEEvT1_,comdat
.Lfunc_end1580:
	.size	_ZN7rocprim17ROCPRIM_400000_NS6detail17trampoline_kernelINS0_14default_configENS1_27scan_by_key_config_selectorIixEEZZNS1_16scan_by_key_implILNS1_25lookback_scan_determinismE0ELb1ES3_N6thrust23THRUST_200600_302600_NS6detail15normal_iteratorINS9_10device_ptrIiEEEENSB_INSC_IxEEEESG_xNS9_4plusIvEENS9_8equal_toIvEExEE10hipError_tPvRmT2_T3_T4_T5_mT6_T7_P12ihipStream_tbENKUlT_T0_E_clISt17integral_constantIbLb1EES11_EEDaSW_SX_EUlSW_E_NS1_11comp_targetILNS1_3genE0ELNS1_11target_archE4294967295ELNS1_3gpuE0ELNS1_3repE0EEENS1_30default_config_static_selectorELNS0_4arch9wavefront6targetE1EEEvT1_, .Lfunc_end1580-_ZN7rocprim17ROCPRIM_400000_NS6detail17trampoline_kernelINS0_14default_configENS1_27scan_by_key_config_selectorIixEEZZNS1_16scan_by_key_implILNS1_25lookback_scan_determinismE0ELb1ES3_N6thrust23THRUST_200600_302600_NS6detail15normal_iteratorINS9_10device_ptrIiEEEENSB_INSC_IxEEEESG_xNS9_4plusIvEENS9_8equal_toIvEExEE10hipError_tPvRmT2_T3_T4_T5_mT6_T7_P12ihipStream_tbENKUlT_T0_E_clISt17integral_constantIbLb1EES11_EEDaSW_SX_EUlSW_E_NS1_11comp_targetILNS1_3genE0ELNS1_11target_archE4294967295ELNS1_3gpuE0ELNS1_3repE0EEENS1_30default_config_static_selectorELNS0_4arch9wavefront6targetE1EEEvT1_
                                        ; -- End function
	.section	.AMDGPU.csdata,"",@progbits
; Kernel info:
; codeLenInByte = 0
; NumSgprs: 4
; NumVgprs: 0
; NumAgprs: 0
; TotalNumVgprs: 0
; ScratchSize: 0
; MemoryBound: 0
; FloatMode: 240
; IeeeMode: 1
; LDSByteSize: 0 bytes/workgroup (compile time only)
; SGPRBlocks: 0
; VGPRBlocks: 0
; NumSGPRsForWavesPerEU: 4
; NumVGPRsForWavesPerEU: 1
; AccumOffset: 4
; Occupancy: 8
; WaveLimiterHint : 0
; COMPUTE_PGM_RSRC2:SCRATCH_EN: 0
; COMPUTE_PGM_RSRC2:USER_SGPR: 6
; COMPUTE_PGM_RSRC2:TRAP_HANDLER: 0
; COMPUTE_PGM_RSRC2:TGID_X_EN: 1
; COMPUTE_PGM_RSRC2:TGID_Y_EN: 0
; COMPUTE_PGM_RSRC2:TGID_Z_EN: 0
; COMPUTE_PGM_RSRC2:TIDIG_COMP_CNT: 0
; COMPUTE_PGM_RSRC3_GFX90A:ACCUM_OFFSET: 0
; COMPUTE_PGM_RSRC3_GFX90A:TG_SPLIT: 0
	.section	.text._ZN7rocprim17ROCPRIM_400000_NS6detail17trampoline_kernelINS0_14default_configENS1_27scan_by_key_config_selectorIixEEZZNS1_16scan_by_key_implILNS1_25lookback_scan_determinismE0ELb1ES3_N6thrust23THRUST_200600_302600_NS6detail15normal_iteratorINS9_10device_ptrIiEEEENSB_INSC_IxEEEESG_xNS9_4plusIvEENS9_8equal_toIvEExEE10hipError_tPvRmT2_T3_T4_T5_mT6_T7_P12ihipStream_tbENKUlT_T0_E_clISt17integral_constantIbLb1EES11_EEDaSW_SX_EUlSW_E_NS1_11comp_targetILNS1_3genE10ELNS1_11target_archE1201ELNS1_3gpuE5ELNS1_3repE0EEENS1_30default_config_static_selectorELNS0_4arch9wavefront6targetE1EEEvT1_,"axG",@progbits,_ZN7rocprim17ROCPRIM_400000_NS6detail17trampoline_kernelINS0_14default_configENS1_27scan_by_key_config_selectorIixEEZZNS1_16scan_by_key_implILNS1_25lookback_scan_determinismE0ELb1ES3_N6thrust23THRUST_200600_302600_NS6detail15normal_iteratorINS9_10device_ptrIiEEEENSB_INSC_IxEEEESG_xNS9_4plusIvEENS9_8equal_toIvEExEE10hipError_tPvRmT2_T3_T4_T5_mT6_T7_P12ihipStream_tbENKUlT_T0_E_clISt17integral_constantIbLb1EES11_EEDaSW_SX_EUlSW_E_NS1_11comp_targetILNS1_3genE10ELNS1_11target_archE1201ELNS1_3gpuE5ELNS1_3repE0EEENS1_30default_config_static_selectorELNS0_4arch9wavefront6targetE1EEEvT1_,comdat
	.protected	_ZN7rocprim17ROCPRIM_400000_NS6detail17trampoline_kernelINS0_14default_configENS1_27scan_by_key_config_selectorIixEEZZNS1_16scan_by_key_implILNS1_25lookback_scan_determinismE0ELb1ES3_N6thrust23THRUST_200600_302600_NS6detail15normal_iteratorINS9_10device_ptrIiEEEENSB_INSC_IxEEEESG_xNS9_4plusIvEENS9_8equal_toIvEExEE10hipError_tPvRmT2_T3_T4_T5_mT6_T7_P12ihipStream_tbENKUlT_T0_E_clISt17integral_constantIbLb1EES11_EEDaSW_SX_EUlSW_E_NS1_11comp_targetILNS1_3genE10ELNS1_11target_archE1201ELNS1_3gpuE5ELNS1_3repE0EEENS1_30default_config_static_selectorELNS0_4arch9wavefront6targetE1EEEvT1_ ; -- Begin function _ZN7rocprim17ROCPRIM_400000_NS6detail17trampoline_kernelINS0_14default_configENS1_27scan_by_key_config_selectorIixEEZZNS1_16scan_by_key_implILNS1_25lookback_scan_determinismE0ELb1ES3_N6thrust23THRUST_200600_302600_NS6detail15normal_iteratorINS9_10device_ptrIiEEEENSB_INSC_IxEEEESG_xNS9_4plusIvEENS9_8equal_toIvEExEE10hipError_tPvRmT2_T3_T4_T5_mT6_T7_P12ihipStream_tbENKUlT_T0_E_clISt17integral_constantIbLb1EES11_EEDaSW_SX_EUlSW_E_NS1_11comp_targetILNS1_3genE10ELNS1_11target_archE1201ELNS1_3gpuE5ELNS1_3repE0EEENS1_30default_config_static_selectorELNS0_4arch9wavefront6targetE1EEEvT1_
	.globl	_ZN7rocprim17ROCPRIM_400000_NS6detail17trampoline_kernelINS0_14default_configENS1_27scan_by_key_config_selectorIixEEZZNS1_16scan_by_key_implILNS1_25lookback_scan_determinismE0ELb1ES3_N6thrust23THRUST_200600_302600_NS6detail15normal_iteratorINS9_10device_ptrIiEEEENSB_INSC_IxEEEESG_xNS9_4plusIvEENS9_8equal_toIvEExEE10hipError_tPvRmT2_T3_T4_T5_mT6_T7_P12ihipStream_tbENKUlT_T0_E_clISt17integral_constantIbLb1EES11_EEDaSW_SX_EUlSW_E_NS1_11comp_targetILNS1_3genE10ELNS1_11target_archE1201ELNS1_3gpuE5ELNS1_3repE0EEENS1_30default_config_static_selectorELNS0_4arch9wavefront6targetE1EEEvT1_
	.p2align	8
	.type	_ZN7rocprim17ROCPRIM_400000_NS6detail17trampoline_kernelINS0_14default_configENS1_27scan_by_key_config_selectorIixEEZZNS1_16scan_by_key_implILNS1_25lookback_scan_determinismE0ELb1ES3_N6thrust23THRUST_200600_302600_NS6detail15normal_iteratorINS9_10device_ptrIiEEEENSB_INSC_IxEEEESG_xNS9_4plusIvEENS9_8equal_toIvEExEE10hipError_tPvRmT2_T3_T4_T5_mT6_T7_P12ihipStream_tbENKUlT_T0_E_clISt17integral_constantIbLb1EES11_EEDaSW_SX_EUlSW_E_NS1_11comp_targetILNS1_3genE10ELNS1_11target_archE1201ELNS1_3gpuE5ELNS1_3repE0EEENS1_30default_config_static_selectorELNS0_4arch9wavefront6targetE1EEEvT1_,@function
_ZN7rocprim17ROCPRIM_400000_NS6detail17trampoline_kernelINS0_14default_configENS1_27scan_by_key_config_selectorIixEEZZNS1_16scan_by_key_implILNS1_25lookback_scan_determinismE0ELb1ES3_N6thrust23THRUST_200600_302600_NS6detail15normal_iteratorINS9_10device_ptrIiEEEENSB_INSC_IxEEEESG_xNS9_4plusIvEENS9_8equal_toIvEExEE10hipError_tPvRmT2_T3_T4_T5_mT6_T7_P12ihipStream_tbENKUlT_T0_E_clISt17integral_constantIbLb1EES11_EEDaSW_SX_EUlSW_E_NS1_11comp_targetILNS1_3genE10ELNS1_11target_archE1201ELNS1_3gpuE5ELNS1_3repE0EEENS1_30default_config_static_selectorELNS0_4arch9wavefront6targetE1EEEvT1_: ; @_ZN7rocprim17ROCPRIM_400000_NS6detail17trampoline_kernelINS0_14default_configENS1_27scan_by_key_config_selectorIixEEZZNS1_16scan_by_key_implILNS1_25lookback_scan_determinismE0ELb1ES3_N6thrust23THRUST_200600_302600_NS6detail15normal_iteratorINS9_10device_ptrIiEEEENSB_INSC_IxEEEESG_xNS9_4plusIvEENS9_8equal_toIvEExEE10hipError_tPvRmT2_T3_T4_T5_mT6_T7_P12ihipStream_tbENKUlT_T0_E_clISt17integral_constantIbLb1EES11_EEDaSW_SX_EUlSW_E_NS1_11comp_targetILNS1_3genE10ELNS1_11target_archE1201ELNS1_3gpuE5ELNS1_3repE0EEENS1_30default_config_static_selectorELNS0_4arch9wavefront6targetE1EEEvT1_
; %bb.0:
	.section	.rodata,"a",@progbits
	.p2align	6, 0x0
	.amdhsa_kernel _ZN7rocprim17ROCPRIM_400000_NS6detail17trampoline_kernelINS0_14default_configENS1_27scan_by_key_config_selectorIixEEZZNS1_16scan_by_key_implILNS1_25lookback_scan_determinismE0ELb1ES3_N6thrust23THRUST_200600_302600_NS6detail15normal_iteratorINS9_10device_ptrIiEEEENSB_INSC_IxEEEESG_xNS9_4plusIvEENS9_8equal_toIvEExEE10hipError_tPvRmT2_T3_T4_T5_mT6_T7_P12ihipStream_tbENKUlT_T0_E_clISt17integral_constantIbLb1EES11_EEDaSW_SX_EUlSW_E_NS1_11comp_targetILNS1_3genE10ELNS1_11target_archE1201ELNS1_3gpuE5ELNS1_3repE0EEENS1_30default_config_static_selectorELNS0_4arch9wavefront6targetE1EEEvT1_
		.amdhsa_group_segment_fixed_size 0
		.amdhsa_private_segment_fixed_size 0
		.amdhsa_kernarg_size 136
		.amdhsa_user_sgpr_count 6
		.amdhsa_user_sgpr_private_segment_buffer 1
		.amdhsa_user_sgpr_dispatch_ptr 0
		.amdhsa_user_sgpr_queue_ptr 0
		.amdhsa_user_sgpr_kernarg_segment_ptr 1
		.amdhsa_user_sgpr_dispatch_id 0
		.amdhsa_user_sgpr_flat_scratch_init 0
		.amdhsa_user_sgpr_kernarg_preload_length 0
		.amdhsa_user_sgpr_kernarg_preload_offset 0
		.amdhsa_user_sgpr_private_segment_size 0
		.amdhsa_uses_dynamic_stack 0
		.amdhsa_system_sgpr_private_segment_wavefront_offset 0
		.amdhsa_system_sgpr_workgroup_id_x 1
		.amdhsa_system_sgpr_workgroup_id_y 0
		.amdhsa_system_sgpr_workgroup_id_z 0
		.amdhsa_system_sgpr_workgroup_info 0
		.amdhsa_system_vgpr_workitem_id 0
		.amdhsa_next_free_vgpr 1
		.amdhsa_next_free_sgpr 0
		.amdhsa_accum_offset 4
		.amdhsa_reserve_vcc 0
		.amdhsa_reserve_flat_scratch 0
		.amdhsa_float_round_mode_32 0
		.amdhsa_float_round_mode_16_64 0
		.amdhsa_float_denorm_mode_32 3
		.amdhsa_float_denorm_mode_16_64 3
		.amdhsa_dx10_clamp 1
		.amdhsa_ieee_mode 1
		.amdhsa_fp16_overflow 0
		.amdhsa_tg_split 0
		.amdhsa_exception_fp_ieee_invalid_op 0
		.amdhsa_exception_fp_denorm_src 0
		.amdhsa_exception_fp_ieee_div_zero 0
		.amdhsa_exception_fp_ieee_overflow 0
		.amdhsa_exception_fp_ieee_underflow 0
		.amdhsa_exception_fp_ieee_inexact 0
		.amdhsa_exception_int_div_zero 0
	.end_amdhsa_kernel
	.section	.text._ZN7rocprim17ROCPRIM_400000_NS6detail17trampoline_kernelINS0_14default_configENS1_27scan_by_key_config_selectorIixEEZZNS1_16scan_by_key_implILNS1_25lookback_scan_determinismE0ELb1ES3_N6thrust23THRUST_200600_302600_NS6detail15normal_iteratorINS9_10device_ptrIiEEEENSB_INSC_IxEEEESG_xNS9_4plusIvEENS9_8equal_toIvEExEE10hipError_tPvRmT2_T3_T4_T5_mT6_T7_P12ihipStream_tbENKUlT_T0_E_clISt17integral_constantIbLb1EES11_EEDaSW_SX_EUlSW_E_NS1_11comp_targetILNS1_3genE10ELNS1_11target_archE1201ELNS1_3gpuE5ELNS1_3repE0EEENS1_30default_config_static_selectorELNS0_4arch9wavefront6targetE1EEEvT1_,"axG",@progbits,_ZN7rocprim17ROCPRIM_400000_NS6detail17trampoline_kernelINS0_14default_configENS1_27scan_by_key_config_selectorIixEEZZNS1_16scan_by_key_implILNS1_25lookback_scan_determinismE0ELb1ES3_N6thrust23THRUST_200600_302600_NS6detail15normal_iteratorINS9_10device_ptrIiEEEENSB_INSC_IxEEEESG_xNS9_4plusIvEENS9_8equal_toIvEExEE10hipError_tPvRmT2_T3_T4_T5_mT6_T7_P12ihipStream_tbENKUlT_T0_E_clISt17integral_constantIbLb1EES11_EEDaSW_SX_EUlSW_E_NS1_11comp_targetILNS1_3genE10ELNS1_11target_archE1201ELNS1_3gpuE5ELNS1_3repE0EEENS1_30default_config_static_selectorELNS0_4arch9wavefront6targetE1EEEvT1_,comdat
.Lfunc_end1581:
	.size	_ZN7rocprim17ROCPRIM_400000_NS6detail17trampoline_kernelINS0_14default_configENS1_27scan_by_key_config_selectorIixEEZZNS1_16scan_by_key_implILNS1_25lookback_scan_determinismE0ELb1ES3_N6thrust23THRUST_200600_302600_NS6detail15normal_iteratorINS9_10device_ptrIiEEEENSB_INSC_IxEEEESG_xNS9_4plusIvEENS9_8equal_toIvEExEE10hipError_tPvRmT2_T3_T4_T5_mT6_T7_P12ihipStream_tbENKUlT_T0_E_clISt17integral_constantIbLb1EES11_EEDaSW_SX_EUlSW_E_NS1_11comp_targetILNS1_3genE10ELNS1_11target_archE1201ELNS1_3gpuE5ELNS1_3repE0EEENS1_30default_config_static_selectorELNS0_4arch9wavefront6targetE1EEEvT1_, .Lfunc_end1581-_ZN7rocprim17ROCPRIM_400000_NS6detail17trampoline_kernelINS0_14default_configENS1_27scan_by_key_config_selectorIixEEZZNS1_16scan_by_key_implILNS1_25lookback_scan_determinismE0ELb1ES3_N6thrust23THRUST_200600_302600_NS6detail15normal_iteratorINS9_10device_ptrIiEEEENSB_INSC_IxEEEESG_xNS9_4plusIvEENS9_8equal_toIvEExEE10hipError_tPvRmT2_T3_T4_T5_mT6_T7_P12ihipStream_tbENKUlT_T0_E_clISt17integral_constantIbLb1EES11_EEDaSW_SX_EUlSW_E_NS1_11comp_targetILNS1_3genE10ELNS1_11target_archE1201ELNS1_3gpuE5ELNS1_3repE0EEENS1_30default_config_static_selectorELNS0_4arch9wavefront6targetE1EEEvT1_
                                        ; -- End function
	.section	.AMDGPU.csdata,"",@progbits
; Kernel info:
; codeLenInByte = 0
; NumSgprs: 4
; NumVgprs: 0
; NumAgprs: 0
; TotalNumVgprs: 0
; ScratchSize: 0
; MemoryBound: 0
; FloatMode: 240
; IeeeMode: 1
; LDSByteSize: 0 bytes/workgroup (compile time only)
; SGPRBlocks: 0
; VGPRBlocks: 0
; NumSGPRsForWavesPerEU: 4
; NumVGPRsForWavesPerEU: 1
; AccumOffset: 4
; Occupancy: 8
; WaveLimiterHint : 0
; COMPUTE_PGM_RSRC2:SCRATCH_EN: 0
; COMPUTE_PGM_RSRC2:USER_SGPR: 6
; COMPUTE_PGM_RSRC2:TRAP_HANDLER: 0
; COMPUTE_PGM_RSRC2:TGID_X_EN: 1
; COMPUTE_PGM_RSRC2:TGID_Y_EN: 0
; COMPUTE_PGM_RSRC2:TGID_Z_EN: 0
; COMPUTE_PGM_RSRC2:TIDIG_COMP_CNT: 0
; COMPUTE_PGM_RSRC3_GFX90A:ACCUM_OFFSET: 0
; COMPUTE_PGM_RSRC3_GFX90A:TG_SPLIT: 0
	.section	.text._ZN7rocprim17ROCPRIM_400000_NS6detail17trampoline_kernelINS0_14default_configENS1_27scan_by_key_config_selectorIixEEZZNS1_16scan_by_key_implILNS1_25lookback_scan_determinismE0ELb1ES3_N6thrust23THRUST_200600_302600_NS6detail15normal_iteratorINS9_10device_ptrIiEEEENSB_INSC_IxEEEESG_xNS9_4plusIvEENS9_8equal_toIvEExEE10hipError_tPvRmT2_T3_T4_T5_mT6_T7_P12ihipStream_tbENKUlT_T0_E_clISt17integral_constantIbLb1EES11_EEDaSW_SX_EUlSW_E_NS1_11comp_targetILNS1_3genE5ELNS1_11target_archE942ELNS1_3gpuE9ELNS1_3repE0EEENS1_30default_config_static_selectorELNS0_4arch9wavefront6targetE1EEEvT1_,"axG",@progbits,_ZN7rocprim17ROCPRIM_400000_NS6detail17trampoline_kernelINS0_14default_configENS1_27scan_by_key_config_selectorIixEEZZNS1_16scan_by_key_implILNS1_25lookback_scan_determinismE0ELb1ES3_N6thrust23THRUST_200600_302600_NS6detail15normal_iteratorINS9_10device_ptrIiEEEENSB_INSC_IxEEEESG_xNS9_4plusIvEENS9_8equal_toIvEExEE10hipError_tPvRmT2_T3_T4_T5_mT6_T7_P12ihipStream_tbENKUlT_T0_E_clISt17integral_constantIbLb1EES11_EEDaSW_SX_EUlSW_E_NS1_11comp_targetILNS1_3genE5ELNS1_11target_archE942ELNS1_3gpuE9ELNS1_3repE0EEENS1_30default_config_static_selectorELNS0_4arch9wavefront6targetE1EEEvT1_,comdat
	.protected	_ZN7rocprim17ROCPRIM_400000_NS6detail17trampoline_kernelINS0_14default_configENS1_27scan_by_key_config_selectorIixEEZZNS1_16scan_by_key_implILNS1_25lookback_scan_determinismE0ELb1ES3_N6thrust23THRUST_200600_302600_NS6detail15normal_iteratorINS9_10device_ptrIiEEEENSB_INSC_IxEEEESG_xNS9_4plusIvEENS9_8equal_toIvEExEE10hipError_tPvRmT2_T3_T4_T5_mT6_T7_P12ihipStream_tbENKUlT_T0_E_clISt17integral_constantIbLb1EES11_EEDaSW_SX_EUlSW_E_NS1_11comp_targetILNS1_3genE5ELNS1_11target_archE942ELNS1_3gpuE9ELNS1_3repE0EEENS1_30default_config_static_selectorELNS0_4arch9wavefront6targetE1EEEvT1_ ; -- Begin function _ZN7rocprim17ROCPRIM_400000_NS6detail17trampoline_kernelINS0_14default_configENS1_27scan_by_key_config_selectorIixEEZZNS1_16scan_by_key_implILNS1_25lookback_scan_determinismE0ELb1ES3_N6thrust23THRUST_200600_302600_NS6detail15normal_iteratorINS9_10device_ptrIiEEEENSB_INSC_IxEEEESG_xNS9_4plusIvEENS9_8equal_toIvEExEE10hipError_tPvRmT2_T3_T4_T5_mT6_T7_P12ihipStream_tbENKUlT_T0_E_clISt17integral_constantIbLb1EES11_EEDaSW_SX_EUlSW_E_NS1_11comp_targetILNS1_3genE5ELNS1_11target_archE942ELNS1_3gpuE9ELNS1_3repE0EEENS1_30default_config_static_selectorELNS0_4arch9wavefront6targetE1EEEvT1_
	.globl	_ZN7rocprim17ROCPRIM_400000_NS6detail17trampoline_kernelINS0_14default_configENS1_27scan_by_key_config_selectorIixEEZZNS1_16scan_by_key_implILNS1_25lookback_scan_determinismE0ELb1ES3_N6thrust23THRUST_200600_302600_NS6detail15normal_iteratorINS9_10device_ptrIiEEEENSB_INSC_IxEEEESG_xNS9_4plusIvEENS9_8equal_toIvEExEE10hipError_tPvRmT2_T3_T4_T5_mT6_T7_P12ihipStream_tbENKUlT_T0_E_clISt17integral_constantIbLb1EES11_EEDaSW_SX_EUlSW_E_NS1_11comp_targetILNS1_3genE5ELNS1_11target_archE942ELNS1_3gpuE9ELNS1_3repE0EEENS1_30default_config_static_selectorELNS0_4arch9wavefront6targetE1EEEvT1_
	.p2align	8
	.type	_ZN7rocprim17ROCPRIM_400000_NS6detail17trampoline_kernelINS0_14default_configENS1_27scan_by_key_config_selectorIixEEZZNS1_16scan_by_key_implILNS1_25lookback_scan_determinismE0ELb1ES3_N6thrust23THRUST_200600_302600_NS6detail15normal_iteratorINS9_10device_ptrIiEEEENSB_INSC_IxEEEESG_xNS9_4plusIvEENS9_8equal_toIvEExEE10hipError_tPvRmT2_T3_T4_T5_mT6_T7_P12ihipStream_tbENKUlT_T0_E_clISt17integral_constantIbLb1EES11_EEDaSW_SX_EUlSW_E_NS1_11comp_targetILNS1_3genE5ELNS1_11target_archE942ELNS1_3gpuE9ELNS1_3repE0EEENS1_30default_config_static_selectorELNS0_4arch9wavefront6targetE1EEEvT1_,@function
_ZN7rocprim17ROCPRIM_400000_NS6detail17trampoline_kernelINS0_14default_configENS1_27scan_by_key_config_selectorIixEEZZNS1_16scan_by_key_implILNS1_25lookback_scan_determinismE0ELb1ES3_N6thrust23THRUST_200600_302600_NS6detail15normal_iteratorINS9_10device_ptrIiEEEENSB_INSC_IxEEEESG_xNS9_4plusIvEENS9_8equal_toIvEExEE10hipError_tPvRmT2_T3_T4_T5_mT6_T7_P12ihipStream_tbENKUlT_T0_E_clISt17integral_constantIbLb1EES11_EEDaSW_SX_EUlSW_E_NS1_11comp_targetILNS1_3genE5ELNS1_11target_archE942ELNS1_3gpuE9ELNS1_3repE0EEENS1_30default_config_static_selectorELNS0_4arch9wavefront6targetE1EEEvT1_: ; @_ZN7rocprim17ROCPRIM_400000_NS6detail17trampoline_kernelINS0_14default_configENS1_27scan_by_key_config_selectorIixEEZZNS1_16scan_by_key_implILNS1_25lookback_scan_determinismE0ELb1ES3_N6thrust23THRUST_200600_302600_NS6detail15normal_iteratorINS9_10device_ptrIiEEEENSB_INSC_IxEEEESG_xNS9_4plusIvEENS9_8equal_toIvEExEE10hipError_tPvRmT2_T3_T4_T5_mT6_T7_P12ihipStream_tbENKUlT_T0_E_clISt17integral_constantIbLb1EES11_EEDaSW_SX_EUlSW_E_NS1_11comp_targetILNS1_3genE5ELNS1_11target_archE942ELNS1_3gpuE9ELNS1_3repE0EEENS1_30default_config_static_selectorELNS0_4arch9wavefront6targetE1EEEvT1_
; %bb.0:
	.section	.rodata,"a",@progbits
	.p2align	6, 0x0
	.amdhsa_kernel _ZN7rocprim17ROCPRIM_400000_NS6detail17trampoline_kernelINS0_14default_configENS1_27scan_by_key_config_selectorIixEEZZNS1_16scan_by_key_implILNS1_25lookback_scan_determinismE0ELb1ES3_N6thrust23THRUST_200600_302600_NS6detail15normal_iteratorINS9_10device_ptrIiEEEENSB_INSC_IxEEEESG_xNS9_4plusIvEENS9_8equal_toIvEExEE10hipError_tPvRmT2_T3_T4_T5_mT6_T7_P12ihipStream_tbENKUlT_T0_E_clISt17integral_constantIbLb1EES11_EEDaSW_SX_EUlSW_E_NS1_11comp_targetILNS1_3genE5ELNS1_11target_archE942ELNS1_3gpuE9ELNS1_3repE0EEENS1_30default_config_static_selectorELNS0_4arch9wavefront6targetE1EEEvT1_
		.amdhsa_group_segment_fixed_size 0
		.amdhsa_private_segment_fixed_size 0
		.amdhsa_kernarg_size 136
		.amdhsa_user_sgpr_count 6
		.amdhsa_user_sgpr_private_segment_buffer 1
		.amdhsa_user_sgpr_dispatch_ptr 0
		.amdhsa_user_sgpr_queue_ptr 0
		.amdhsa_user_sgpr_kernarg_segment_ptr 1
		.amdhsa_user_sgpr_dispatch_id 0
		.amdhsa_user_sgpr_flat_scratch_init 0
		.amdhsa_user_sgpr_kernarg_preload_length 0
		.amdhsa_user_sgpr_kernarg_preload_offset 0
		.amdhsa_user_sgpr_private_segment_size 0
		.amdhsa_uses_dynamic_stack 0
		.amdhsa_system_sgpr_private_segment_wavefront_offset 0
		.amdhsa_system_sgpr_workgroup_id_x 1
		.amdhsa_system_sgpr_workgroup_id_y 0
		.amdhsa_system_sgpr_workgroup_id_z 0
		.amdhsa_system_sgpr_workgroup_info 0
		.amdhsa_system_vgpr_workitem_id 0
		.amdhsa_next_free_vgpr 1
		.amdhsa_next_free_sgpr 0
		.amdhsa_accum_offset 4
		.amdhsa_reserve_vcc 0
		.amdhsa_reserve_flat_scratch 0
		.amdhsa_float_round_mode_32 0
		.amdhsa_float_round_mode_16_64 0
		.amdhsa_float_denorm_mode_32 3
		.amdhsa_float_denorm_mode_16_64 3
		.amdhsa_dx10_clamp 1
		.amdhsa_ieee_mode 1
		.amdhsa_fp16_overflow 0
		.amdhsa_tg_split 0
		.amdhsa_exception_fp_ieee_invalid_op 0
		.amdhsa_exception_fp_denorm_src 0
		.amdhsa_exception_fp_ieee_div_zero 0
		.amdhsa_exception_fp_ieee_overflow 0
		.amdhsa_exception_fp_ieee_underflow 0
		.amdhsa_exception_fp_ieee_inexact 0
		.amdhsa_exception_int_div_zero 0
	.end_amdhsa_kernel
	.section	.text._ZN7rocprim17ROCPRIM_400000_NS6detail17trampoline_kernelINS0_14default_configENS1_27scan_by_key_config_selectorIixEEZZNS1_16scan_by_key_implILNS1_25lookback_scan_determinismE0ELb1ES3_N6thrust23THRUST_200600_302600_NS6detail15normal_iteratorINS9_10device_ptrIiEEEENSB_INSC_IxEEEESG_xNS9_4plusIvEENS9_8equal_toIvEExEE10hipError_tPvRmT2_T3_T4_T5_mT6_T7_P12ihipStream_tbENKUlT_T0_E_clISt17integral_constantIbLb1EES11_EEDaSW_SX_EUlSW_E_NS1_11comp_targetILNS1_3genE5ELNS1_11target_archE942ELNS1_3gpuE9ELNS1_3repE0EEENS1_30default_config_static_selectorELNS0_4arch9wavefront6targetE1EEEvT1_,"axG",@progbits,_ZN7rocprim17ROCPRIM_400000_NS6detail17trampoline_kernelINS0_14default_configENS1_27scan_by_key_config_selectorIixEEZZNS1_16scan_by_key_implILNS1_25lookback_scan_determinismE0ELb1ES3_N6thrust23THRUST_200600_302600_NS6detail15normal_iteratorINS9_10device_ptrIiEEEENSB_INSC_IxEEEESG_xNS9_4plusIvEENS9_8equal_toIvEExEE10hipError_tPvRmT2_T3_T4_T5_mT6_T7_P12ihipStream_tbENKUlT_T0_E_clISt17integral_constantIbLb1EES11_EEDaSW_SX_EUlSW_E_NS1_11comp_targetILNS1_3genE5ELNS1_11target_archE942ELNS1_3gpuE9ELNS1_3repE0EEENS1_30default_config_static_selectorELNS0_4arch9wavefront6targetE1EEEvT1_,comdat
.Lfunc_end1582:
	.size	_ZN7rocprim17ROCPRIM_400000_NS6detail17trampoline_kernelINS0_14default_configENS1_27scan_by_key_config_selectorIixEEZZNS1_16scan_by_key_implILNS1_25lookback_scan_determinismE0ELb1ES3_N6thrust23THRUST_200600_302600_NS6detail15normal_iteratorINS9_10device_ptrIiEEEENSB_INSC_IxEEEESG_xNS9_4plusIvEENS9_8equal_toIvEExEE10hipError_tPvRmT2_T3_T4_T5_mT6_T7_P12ihipStream_tbENKUlT_T0_E_clISt17integral_constantIbLb1EES11_EEDaSW_SX_EUlSW_E_NS1_11comp_targetILNS1_3genE5ELNS1_11target_archE942ELNS1_3gpuE9ELNS1_3repE0EEENS1_30default_config_static_selectorELNS0_4arch9wavefront6targetE1EEEvT1_, .Lfunc_end1582-_ZN7rocprim17ROCPRIM_400000_NS6detail17trampoline_kernelINS0_14default_configENS1_27scan_by_key_config_selectorIixEEZZNS1_16scan_by_key_implILNS1_25lookback_scan_determinismE0ELb1ES3_N6thrust23THRUST_200600_302600_NS6detail15normal_iteratorINS9_10device_ptrIiEEEENSB_INSC_IxEEEESG_xNS9_4plusIvEENS9_8equal_toIvEExEE10hipError_tPvRmT2_T3_T4_T5_mT6_T7_P12ihipStream_tbENKUlT_T0_E_clISt17integral_constantIbLb1EES11_EEDaSW_SX_EUlSW_E_NS1_11comp_targetILNS1_3genE5ELNS1_11target_archE942ELNS1_3gpuE9ELNS1_3repE0EEENS1_30default_config_static_selectorELNS0_4arch9wavefront6targetE1EEEvT1_
                                        ; -- End function
	.section	.AMDGPU.csdata,"",@progbits
; Kernel info:
; codeLenInByte = 0
; NumSgprs: 4
; NumVgprs: 0
; NumAgprs: 0
; TotalNumVgprs: 0
; ScratchSize: 0
; MemoryBound: 0
; FloatMode: 240
; IeeeMode: 1
; LDSByteSize: 0 bytes/workgroup (compile time only)
; SGPRBlocks: 0
; VGPRBlocks: 0
; NumSGPRsForWavesPerEU: 4
; NumVGPRsForWavesPerEU: 1
; AccumOffset: 4
; Occupancy: 8
; WaveLimiterHint : 0
; COMPUTE_PGM_RSRC2:SCRATCH_EN: 0
; COMPUTE_PGM_RSRC2:USER_SGPR: 6
; COMPUTE_PGM_RSRC2:TRAP_HANDLER: 0
; COMPUTE_PGM_RSRC2:TGID_X_EN: 1
; COMPUTE_PGM_RSRC2:TGID_Y_EN: 0
; COMPUTE_PGM_RSRC2:TGID_Z_EN: 0
; COMPUTE_PGM_RSRC2:TIDIG_COMP_CNT: 0
; COMPUTE_PGM_RSRC3_GFX90A:ACCUM_OFFSET: 0
; COMPUTE_PGM_RSRC3_GFX90A:TG_SPLIT: 0
	.section	.text._ZN7rocprim17ROCPRIM_400000_NS6detail17trampoline_kernelINS0_14default_configENS1_27scan_by_key_config_selectorIixEEZZNS1_16scan_by_key_implILNS1_25lookback_scan_determinismE0ELb1ES3_N6thrust23THRUST_200600_302600_NS6detail15normal_iteratorINS9_10device_ptrIiEEEENSB_INSC_IxEEEESG_xNS9_4plusIvEENS9_8equal_toIvEExEE10hipError_tPvRmT2_T3_T4_T5_mT6_T7_P12ihipStream_tbENKUlT_T0_E_clISt17integral_constantIbLb1EES11_EEDaSW_SX_EUlSW_E_NS1_11comp_targetILNS1_3genE4ELNS1_11target_archE910ELNS1_3gpuE8ELNS1_3repE0EEENS1_30default_config_static_selectorELNS0_4arch9wavefront6targetE1EEEvT1_,"axG",@progbits,_ZN7rocprim17ROCPRIM_400000_NS6detail17trampoline_kernelINS0_14default_configENS1_27scan_by_key_config_selectorIixEEZZNS1_16scan_by_key_implILNS1_25lookback_scan_determinismE0ELb1ES3_N6thrust23THRUST_200600_302600_NS6detail15normal_iteratorINS9_10device_ptrIiEEEENSB_INSC_IxEEEESG_xNS9_4plusIvEENS9_8equal_toIvEExEE10hipError_tPvRmT2_T3_T4_T5_mT6_T7_P12ihipStream_tbENKUlT_T0_E_clISt17integral_constantIbLb1EES11_EEDaSW_SX_EUlSW_E_NS1_11comp_targetILNS1_3genE4ELNS1_11target_archE910ELNS1_3gpuE8ELNS1_3repE0EEENS1_30default_config_static_selectorELNS0_4arch9wavefront6targetE1EEEvT1_,comdat
	.protected	_ZN7rocprim17ROCPRIM_400000_NS6detail17trampoline_kernelINS0_14default_configENS1_27scan_by_key_config_selectorIixEEZZNS1_16scan_by_key_implILNS1_25lookback_scan_determinismE0ELb1ES3_N6thrust23THRUST_200600_302600_NS6detail15normal_iteratorINS9_10device_ptrIiEEEENSB_INSC_IxEEEESG_xNS9_4plusIvEENS9_8equal_toIvEExEE10hipError_tPvRmT2_T3_T4_T5_mT6_T7_P12ihipStream_tbENKUlT_T0_E_clISt17integral_constantIbLb1EES11_EEDaSW_SX_EUlSW_E_NS1_11comp_targetILNS1_3genE4ELNS1_11target_archE910ELNS1_3gpuE8ELNS1_3repE0EEENS1_30default_config_static_selectorELNS0_4arch9wavefront6targetE1EEEvT1_ ; -- Begin function _ZN7rocprim17ROCPRIM_400000_NS6detail17trampoline_kernelINS0_14default_configENS1_27scan_by_key_config_selectorIixEEZZNS1_16scan_by_key_implILNS1_25lookback_scan_determinismE0ELb1ES3_N6thrust23THRUST_200600_302600_NS6detail15normal_iteratorINS9_10device_ptrIiEEEENSB_INSC_IxEEEESG_xNS9_4plusIvEENS9_8equal_toIvEExEE10hipError_tPvRmT2_T3_T4_T5_mT6_T7_P12ihipStream_tbENKUlT_T0_E_clISt17integral_constantIbLb1EES11_EEDaSW_SX_EUlSW_E_NS1_11comp_targetILNS1_3genE4ELNS1_11target_archE910ELNS1_3gpuE8ELNS1_3repE0EEENS1_30default_config_static_selectorELNS0_4arch9wavefront6targetE1EEEvT1_
	.globl	_ZN7rocprim17ROCPRIM_400000_NS6detail17trampoline_kernelINS0_14default_configENS1_27scan_by_key_config_selectorIixEEZZNS1_16scan_by_key_implILNS1_25lookback_scan_determinismE0ELb1ES3_N6thrust23THRUST_200600_302600_NS6detail15normal_iteratorINS9_10device_ptrIiEEEENSB_INSC_IxEEEESG_xNS9_4plusIvEENS9_8equal_toIvEExEE10hipError_tPvRmT2_T3_T4_T5_mT6_T7_P12ihipStream_tbENKUlT_T0_E_clISt17integral_constantIbLb1EES11_EEDaSW_SX_EUlSW_E_NS1_11comp_targetILNS1_3genE4ELNS1_11target_archE910ELNS1_3gpuE8ELNS1_3repE0EEENS1_30default_config_static_selectorELNS0_4arch9wavefront6targetE1EEEvT1_
	.p2align	8
	.type	_ZN7rocprim17ROCPRIM_400000_NS6detail17trampoline_kernelINS0_14default_configENS1_27scan_by_key_config_selectorIixEEZZNS1_16scan_by_key_implILNS1_25lookback_scan_determinismE0ELb1ES3_N6thrust23THRUST_200600_302600_NS6detail15normal_iteratorINS9_10device_ptrIiEEEENSB_INSC_IxEEEESG_xNS9_4plusIvEENS9_8equal_toIvEExEE10hipError_tPvRmT2_T3_T4_T5_mT6_T7_P12ihipStream_tbENKUlT_T0_E_clISt17integral_constantIbLb1EES11_EEDaSW_SX_EUlSW_E_NS1_11comp_targetILNS1_3genE4ELNS1_11target_archE910ELNS1_3gpuE8ELNS1_3repE0EEENS1_30default_config_static_selectorELNS0_4arch9wavefront6targetE1EEEvT1_,@function
_ZN7rocprim17ROCPRIM_400000_NS6detail17trampoline_kernelINS0_14default_configENS1_27scan_by_key_config_selectorIixEEZZNS1_16scan_by_key_implILNS1_25lookback_scan_determinismE0ELb1ES3_N6thrust23THRUST_200600_302600_NS6detail15normal_iteratorINS9_10device_ptrIiEEEENSB_INSC_IxEEEESG_xNS9_4plusIvEENS9_8equal_toIvEExEE10hipError_tPvRmT2_T3_T4_T5_mT6_T7_P12ihipStream_tbENKUlT_T0_E_clISt17integral_constantIbLb1EES11_EEDaSW_SX_EUlSW_E_NS1_11comp_targetILNS1_3genE4ELNS1_11target_archE910ELNS1_3gpuE8ELNS1_3repE0EEENS1_30default_config_static_selectorELNS0_4arch9wavefront6targetE1EEEvT1_: ; @_ZN7rocprim17ROCPRIM_400000_NS6detail17trampoline_kernelINS0_14default_configENS1_27scan_by_key_config_selectorIixEEZZNS1_16scan_by_key_implILNS1_25lookback_scan_determinismE0ELb1ES3_N6thrust23THRUST_200600_302600_NS6detail15normal_iteratorINS9_10device_ptrIiEEEENSB_INSC_IxEEEESG_xNS9_4plusIvEENS9_8equal_toIvEExEE10hipError_tPvRmT2_T3_T4_T5_mT6_T7_P12ihipStream_tbENKUlT_T0_E_clISt17integral_constantIbLb1EES11_EEDaSW_SX_EUlSW_E_NS1_11comp_targetILNS1_3genE4ELNS1_11target_archE910ELNS1_3gpuE8ELNS1_3repE0EEENS1_30default_config_static_selectorELNS0_4arch9wavefront6targetE1EEEvT1_
; %bb.0:
	s_load_dwordx8 s[56:63], s[4:5], 0x0
	s_load_dwordx2 s[68:69], s[4:5], 0x20
	s_load_dwordx8 s[48:55], s[4:5], 0x30
	s_load_dwordx2 s[70:71], s[4:5], 0x50
	v_cmp_eq_u32_e64 s[0:1], 0, v0
	s_and_saveexec_b64 s[2:3], s[0:1]
	s_cbranch_execz .LBB1583_4
; %bb.1:
	s_mov_b64 s[8:9], exec
	v_mbcnt_lo_u32_b32 v1, s8, 0
	v_mbcnt_hi_u32_b32 v1, s9, v1
	v_cmp_eq_u32_e32 vcc, 0, v1
                                        ; implicit-def: $vgpr2
	s_and_saveexec_b64 s[6:7], vcc
	s_cbranch_execz .LBB1583_3
; %bb.2:
	s_load_dwordx2 s[10:11], s[4:5], 0x80
	s_bcnt1_i32_b64 s8, s[8:9]
	v_mov_b32_e32 v2, 0
	v_mov_b32_e32 v3, s8
	s_waitcnt lgkmcnt(0)
	global_atomic_add v2, v2, v3, s[10:11] glc
.LBB1583_3:
	s_or_b64 exec, exec, s[6:7]
	s_waitcnt vmcnt(0)
	v_readfirstlane_b32 s6, v2
	v_add_u32_e32 v1, s6, v1
	v_mov_b32_e32 v2, 0
	ds_write_b32 v2, v1
.LBB1583_4:
	s_or_b64 exec, exec, s[2:3]
	s_load_dword s2, s[4:5], 0x58
	s_load_dwordx4 s[64:67], s[4:5], 0x60
	v_mov_b32_e32 v3, 0
	s_waitcnt lgkmcnt(0)
	s_lshl_b64 s[4:5], s[58:59], 2
	s_waitcnt lgkmcnt(0)
	; wave barrier
	ds_read_b32 v1, v3
	s_add_u32 s3, s56, s4
	s_addc_u32 s4, s57, s5
	s_lshl_b64 s[56:57], s[58:59], 3
	s_add_u32 s5, s60, s56
	s_mul_i32 s7, s71, s2
	s_mul_hi_u32 s8, s70, s2
	s_addc_u32 s6, s61, s57
	s_add_i32 s7, s8, s7
	s_movk_i32 s8, 0x540
	s_waitcnt lgkmcnt(0)
	v_mul_lo_u32 v2, v1, s8
	v_lshlrev_b64 v[4:5], 2, v[2:3]
	v_mov_b32_e32 v7, s4
	v_add_co_u32_e32 v6, vcc, s3, v4
	v_addc_co_u32_e32 v7, vcc, v7, v5, vcc
	v_lshlrev_b64 v[42:43], 3, v[2:3]
	v_mov_b32_e32 v2, s6
	v_add_co_u32_e32 v86, vcc, s5, v42
	s_mul_i32 s2, s70, s2
	v_addc_co_u32_e32 v87, vcc, v2, v43, vcc
	v_mov_b32_e32 v3, s7
	v_add_co_u32_e32 v2, vcc, s2, v1
	s_add_u32 s6, s64, -1
	v_addc_co_u32_e32 v3, vcc, 0, v3, vcc
	s_addc_u32 s7, s65, -1
	v_cmp_le_u64_e64 s[2:3], s[6:7], v[2:3]
	v_readfirstlane_b32 s55, v1
	s_mov_b64 s[4:5], -1
	s_and_b64 vcc, exec, s[2:3]
	s_mul_i32 s33, s6, 0xfffffac0
	s_waitcnt lgkmcnt(0)
	; wave barrier
	s_waitcnt lgkmcnt(0)
	s_waitcnt lgkmcnt(0)
	; wave barrier
	s_cbranch_vccz .LBB1583_69
; %bb.5:
	flat_load_dword v2, v[6:7]
	s_add_i32 s64, s33, s54
	v_cmp_gt_u32_e32 vcc, s64, v0
	s_waitcnt vmcnt(0) lgkmcnt(0)
	v_mov_b32_e32 v3, v2
	s_and_saveexec_b64 s[6:7], vcc
	s_cbranch_execz .LBB1583_7
; %bb.6:
	v_lshlrev_b32_e32 v1, 2, v0
	v_add_co_u32_e64 v4, s[4:5], v6, v1
	v_addc_co_u32_e64 v5, s[4:5], 0, v7, s[4:5]
	flat_load_dword v3, v[4:5]
.LBB1583_7:
	s_or_b64 exec, exec, s[6:7]
	v_or_b32_e32 v1, 64, v0
	v_cmp_gt_u32_e64 s[4:5], s64, v1
	v_mov_b32_e32 v4, v2
	s_and_saveexec_b64 s[8:9], s[4:5]
	s_cbranch_execz .LBB1583_9
; %bb.8:
	v_lshlrev_b32_e32 v1, 2, v0
	v_add_co_u32_e64 v4, s[6:7], v6, v1
	v_addc_co_u32_e64 v5, s[6:7], 0, v7, s[6:7]
	flat_load_dword v4, v[4:5] offset:256
.LBB1583_9:
	s_or_b64 exec, exec, s[8:9]
	v_or_b32_e32 v1, 0x80, v0
	v_cmp_gt_u32_e64 s[6:7], s64, v1
	v_mov_b32_e32 v5, v2
	s_and_saveexec_b64 s[10:11], s[6:7]
	s_cbranch_execz .LBB1583_11
; %bb.10:
	v_lshlrev_b32_e32 v1, 2, v0
	v_add_co_u32_e64 v8, s[8:9], v6, v1
	v_addc_co_u32_e64 v9, s[8:9], 0, v7, s[8:9]
	flat_load_dword v5, v[8:9] offset:512
.LBB1583_11:
	;; [unrolled: 12-line block ×15, first 2 shown]
	s_or_b64 exec, exec, s[38:39]
	v_or_b32_e32 v60, 0x400, v0
	v_cmp_gt_u32_e64 s[36:37], s64, v60
	v_mov_b32_e32 v21, v2
	s_and_saveexec_b64 s[40:41], s[36:37]
	s_cbranch_execz .LBB1583_39
; %bb.38:
	v_lshlrev_b32_e32 v21, 2, v60
	v_add_co_u32_e64 v22, s[38:39], v6, v21
	v_addc_co_u32_e64 v23, s[38:39], 0, v7, s[38:39]
	flat_load_dword v21, v[22:23]
.LBB1583_39:
	s_or_b64 exec, exec, s[40:41]
	v_or_b32_e32 v62, 0x440, v0
	v_cmp_gt_u32_e64 s[38:39], s64, v62
	v_mov_b32_e32 v22, v2
	s_and_saveexec_b64 s[42:43], s[38:39]
	s_cbranch_execz .LBB1583_41
; %bb.40:
	v_lshlrev_b32_e32 v22, 2, v62
	v_add_co_u32_e64 v22, s[40:41], v6, v22
	v_addc_co_u32_e64 v23, s[40:41], 0, v7, s[40:41]
	flat_load_dword v22, v[22:23]
.LBB1583_41:
	;; [unrolled: 12-line block ×4, first 2 shown]
	s_or_b64 exec, exec, s[46:47]
	v_or_b32_e32 v68, 0x500, v0
	v_cmp_gt_u32_e64 s[44:45], s64, v68
	s_and_saveexec_b64 s[58:59], s[44:45]
	s_cbranch_execz .LBB1583_47
; %bb.46:
	v_lshlrev_b32_e32 v2, 2, v68
	v_add_co_u32_e64 v26, s[46:47], v6, v2
	v_addc_co_u32_e64 v27, s[46:47], 0, v7, s[46:47]
	flat_load_dword v2, v[26:27]
.LBB1583_47:
	s_or_b64 exec, exec, s[58:59]
	v_lshlrev_b32_e32 v28, 2, v0
	s_waitcnt vmcnt(0) lgkmcnt(0)
	ds_write2st64_b32 v28, v3, v4 offset1:1
	ds_write2st64_b32 v28, v5, v8 offset0:2 offset1:3
	ds_write2st64_b32 v28, v9, v10 offset0:4 offset1:5
	;; [unrolled: 1-line block ×9, first 2 shown]
	ds_write_b32 v28, v2 offset:5120
	s_waitcnt lgkmcnt(0)
	; wave barrier
	s_waitcnt lgkmcnt(0)
	flat_load_dword v84, v[6:7]
	s_movk_i32 s46, 0x50
	v_mad_u32_u24 v2, v0, s46, v28
	s_movk_i32 s46, 0xffb0
	v_mad_i32_i24 v69, v0, s46, v2
	v_cmp_ne_u32_e64 s[46:47], 63, v0
	ds_read_b32 v88, v2
	ds_read2_b32 v[26:27], v2 offset0:1 offset1:2
	ds_read2_b32 v[24:25], v2 offset0:3 offset1:4
	;; [unrolled: 1-line block ×10, first 2 shown]
	s_waitcnt lgkmcnt(0)
	ds_write_b32 v69, v88 offset:5632
	s_waitcnt lgkmcnt(0)
	; wave barrier
	s_waitcnt lgkmcnt(0)
	s_and_saveexec_b64 s[58:59], s[46:47]
	s_cbranch_execz .LBB1583_49
; %bb.48:
	s_waitcnt vmcnt(0)
	ds_read_b32 v84, v28 offset:5636
.LBB1583_49:
	s_or_b64 exec, exec, s[58:59]
	s_waitcnt lgkmcnt(0)
	; wave barrier
	s_waitcnt lgkmcnt(0)
                                        ; implicit-def: $vgpr2_vgpr3
	s_and_saveexec_b64 s[46:47], vcc
	s_cbranch_execz .LBB1583_70
; %bb.50:
	v_lshlrev_b32_e32 v2, 3, v0
	v_add_co_u32_e32 v2, vcc, v86, v2
	v_addc_co_u32_e32 v3, vcc, 0, v87, vcc
	flat_load_dwordx2 v[2:3], v[2:3]
	s_or_b64 exec, exec, s[46:47]
                                        ; implicit-def: $vgpr4_vgpr5
	s_and_saveexec_b64 s[46:47], s[4:5]
	s_cbranch_execnz .LBB1583_71
.LBB1583_51:
	s_or_b64 exec, exec, s[46:47]
                                        ; implicit-def: $vgpr28_vgpr29
	s_and_saveexec_b64 s[4:5], s[6:7]
	s_cbranch_execz .LBB1583_72
.LBB1583_52:
	v_lshlrev_b32_e32 v28, 3, v0
	v_add_co_u32_e32 v28, vcc, v86, v28
	v_addc_co_u32_e32 v29, vcc, 0, v87, vcc
	flat_load_dwordx2 v[28:29], v[28:29] offset:1024
	s_or_b64 exec, exec, s[4:5]
                                        ; implicit-def: $vgpr30_vgpr31
	s_and_saveexec_b64 s[4:5], s[8:9]
	s_cbranch_execnz .LBB1583_73
.LBB1583_53:
	s_or_b64 exec, exec, s[4:5]
                                        ; implicit-def: $vgpr32_vgpr33
	s_and_saveexec_b64 s[4:5], s[10:11]
	s_cbranch_execz .LBB1583_74
.LBB1583_54:
	v_lshlrev_b32_e32 v32, 3, v0
	v_add_co_u32_e32 v32, vcc, v86, v32
	v_addc_co_u32_e32 v33, vcc, 0, v87, vcc
	flat_load_dwordx2 v[32:33], v[32:33] offset:2048
	s_or_b64 exec, exec, s[4:5]
                                        ; implicit-def: $vgpr34_vgpr35
	s_and_saveexec_b64 s[4:5], s[12:13]
	s_cbranch_execnz .LBB1583_75
.LBB1583_55:
	s_or_b64 exec, exec, s[4:5]
                                        ; implicit-def: $vgpr36_vgpr37
	s_and_saveexec_b64 s[4:5], s[14:15]
	s_cbranch_execz .LBB1583_76
.LBB1583_56:
	v_lshlrev_b32_e32 v36, 3, v0
	v_add_co_u32_e32 v36, vcc, v86, v36
	v_addc_co_u32_e32 v37, vcc, 0, v87, vcc
	flat_load_dwordx2 v[36:37], v[36:37] offset:3072
	s_or_b64 exec, exec, s[4:5]
                                        ; implicit-def: $vgpr38_vgpr39
	s_and_saveexec_b64 s[4:5], s[16:17]
	s_cbranch_execnz .LBB1583_77
.LBB1583_57:
	s_or_b64 exec, exec, s[4:5]
                                        ; implicit-def: $vgpr40_vgpr41
	s_and_saveexec_b64 s[4:5], s[18:19]
	s_cbranch_execz .LBB1583_78
.LBB1583_58:
	v_lshlrev_b32_e32 v1, 3, v1
	v_add_co_u32_e32 v40, vcc, v86, v1
	v_addc_co_u32_e32 v41, vcc, 0, v87, vcc
	flat_load_dwordx2 v[40:41], v[40:41]
	s_or_b64 exec, exec, s[4:5]
                                        ; implicit-def: $vgpr44_vgpr45
	s_and_saveexec_b64 s[4:5], s[20:21]
	s_cbranch_execnz .LBB1583_79
.LBB1583_59:
	s_or_b64 exec, exec, s[4:5]
                                        ; implicit-def: $vgpr46_vgpr47
	s_and_saveexec_b64 s[4:5], s[22:23]
	s_cbranch_execz .LBB1583_80
.LBB1583_60:
	v_lshlrev_b32_e32 v1, 3, v48
	v_add_co_u32_e32 v46, vcc, v86, v1
	v_addc_co_u32_e32 v47, vcc, 0, v87, vcc
	flat_load_dwordx2 v[46:47], v[46:47]
	s_or_b64 exec, exec, s[4:5]
                                        ; implicit-def: $vgpr48_vgpr49
	s_and_saveexec_b64 s[4:5], s[24:25]
	s_cbranch_execnz .LBB1583_81
.LBB1583_61:
	s_or_b64 exec, exec, s[4:5]
                                        ; implicit-def: $vgpr50_vgpr51
	s_and_saveexec_b64 s[4:5], s[26:27]
	s_cbranch_execz .LBB1583_82
.LBB1583_62:
	v_lshlrev_b32_e32 v1, 3, v52
	v_add_co_u32_e32 v50, vcc, v86, v1
	v_addc_co_u32_e32 v51, vcc, 0, v87, vcc
	flat_load_dwordx2 v[50:51], v[50:51]
	s_or_b64 exec, exec, s[4:5]
                                        ; implicit-def: $vgpr52_vgpr53
	s_and_saveexec_b64 s[4:5], s[28:29]
	s_cbranch_execnz .LBB1583_83
.LBB1583_63:
	s_or_b64 exec, exec, s[4:5]
                                        ; implicit-def: $vgpr54_vgpr55
	s_and_saveexec_b64 s[4:5], s[30:31]
	s_cbranch_execz .LBB1583_84
.LBB1583_64:
	v_lshlrev_b32_e32 v1, 3, v56
	v_add_co_u32_e32 v54, vcc, v86, v1
	v_addc_co_u32_e32 v55, vcc, 0, v87, vcc
	flat_load_dwordx2 v[54:55], v[54:55]
	s_or_b64 exec, exec, s[4:5]
                                        ; implicit-def: $vgpr56_vgpr57
	s_and_saveexec_b64 s[4:5], s[34:35]
	s_cbranch_execnz .LBB1583_85
.LBB1583_65:
	s_or_b64 exec, exec, s[4:5]
                                        ; implicit-def: $vgpr58_vgpr59
	s_and_saveexec_b64 s[4:5], s[36:37]
	s_cbranch_execz .LBB1583_86
.LBB1583_66:
	v_lshlrev_b32_e32 v1, 3, v60
	v_add_co_u32_e32 v58, vcc, v86, v1
	v_addc_co_u32_e32 v59, vcc, 0, v87, vcc
	flat_load_dwordx2 v[58:59], v[58:59]
	s_or_b64 exec, exec, s[4:5]
                                        ; implicit-def: $vgpr60_vgpr61
	s_and_saveexec_b64 s[4:5], s[38:39]
	s_cbranch_execnz .LBB1583_87
.LBB1583_67:
	s_or_b64 exec, exec, s[4:5]
                                        ; implicit-def: $vgpr62_vgpr63
	s_and_saveexec_b64 s[4:5], s[40:41]
	s_cbranch_execz .LBB1583_88
.LBB1583_68:
	v_lshlrev_b32_e32 v1, 3, v64
	v_add_co_u32_e32 v62, vcc, v86, v1
	v_addc_co_u32_e32 v63, vcc, 0, v87, vcc
	flat_load_dwordx2 v[62:63], v[62:63]
	s_or_b64 exec, exec, s[4:5]
                                        ; implicit-def: $vgpr64_vgpr65
	s_and_saveexec_b64 s[4:5], s[42:43]
	s_cbranch_execz .LBB1583_90
	s_branch .LBB1583_89
.LBB1583_69:
	s_mov_b64 s[10:11], 0
                                        ; implicit-def: $sgpr8_sgpr9
                                        ; implicit-def: $vgpr2_vgpr3
                                        ; implicit-def: $vgpr44_vgpr45
                                        ; implicit-def: $vgpr110
                                        ; implicit-def: $vgpr46_vgpr47
                                        ; implicit-def: $vgpr126
                                        ; implicit-def: $vgpr82_vgpr83
                                        ; implicit-def: $vgpr125
                                        ; implicit-def: $vgpr80_vgpr81
                                        ; implicit-def: $vgpr124
                                        ; implicit-def: $vgpr78_vgpr79
                                        ; implicit-def: $vgpr123
                                        ; implicit-def: $vgpr76_vgpr77
                                        ; implicit-def: $vgpr122
                                        ; implicit-def: $vgpr74_vgpr75
                                        ; implicit-def: $vgpr121
                                        ; implicit-def: $vgpr72_vgpr73
                                        ; implicit-def: $vgpr120
                                        ; implicit-def: $vgpr70_vgpr71
                                        ; implicit-def: $vgpr119
                                        ; implicit-def: $vgpr68_vgpr69
                                        ; implicit-def: $vgpr118
                                        ; implicit-def: $vgpr66_vgpr67
                                        ; implicit-def: $vgpr117
                                        ; implicit-def: $vgpr64_vgpr65
                                        ; implicit-def: $vgpr116
                                        ; implicit-def: $vgpr62_vgpr63
                                        ; implicit-def: $vgpr115
                                        ; implicit-def: $vgpr60_vgpr61
                                        ; implicit-def: $vgpr114
                                        ; implicit-def: $vgpr58_vgpr59
                                        ; implicit-def: $vgpr113
                                        ; implicit-def: $vgpr56_vgpr57
                                        ; implicit-def: $vgpr112
                                        ; implicit-def: $vgpr54_vgpr55
                                        ; implicit-def: $vgpr111
                                        ; implicit-def: $vgpr52_vgpr53
                                        ; implicit-def: $vgpr109
                                        ; implicit-def: $vgpr50_vgpr51
                                        ; implicit-def: $vgpr108
                                        ; implicit-def: $vgpr48_vgpr49
                                        ; implicit-def: $vgpr1
                                        ; implicit-def: $sgpr72
                                        ; implicit-def: $sgpr6_sgpr7
	s_and_b64 vcc, exec, s[4:5]
	s_cbranch_vccz .LBB1583_140
	s_branch .LBB1583_135
.LBB1583_70:
	s_or_b64 exec, exec, s[46:47]
                                        ; implicit-def: $vgpr4_vgpr5
	s_and_saveexec_b64 s[46:47], s[4:5]
	s_cbranch_execz .LBB1583_51
.LBB1583_71:
	v_lshlrev_b32_e32 v4, 3, v0
	v_add_co_u32_e32 v4, vcc, v86, v4
	v_addc_co_u32_e32 v5, vcc, 0, v87, vcc
	flat_load_dwordx2 v[4:5], v[4:5] offset:512
	s_or_b64 exec, exec, s[46:47]
                                        ; implicit-def: $vgpr28_vgpr29
	s_and_saveexec_b64 s[4:5], s[6:7]
	s_cbranch_execnz .LBB1583_52
.LBB1583_72:
	s_or_b64 exec, exec, s[4:5]
                                        ; implicit-def: $vgpr30_vgpr31
	s_and_saveexec_b64 s[4:5], s[8:9]
	s_cbranch_execz .LBB1583_53
.LBB1583_73:
	v_lshlrev_b32_e32 v30, 3, v0
	v_add_co_u32_e32 v30, vcc, v86, v30
	v_addc_co_u32_e32 v31, vcc, 0, v87, vcc
	flat_load_dwordx2 v[30:31], v[30:31] offset:1536
	s_or_b64 exec, exec, s[4:5]
                                        ; implicit-def: $vgpr32_vgpr33
	s_and_saveexec_b64 s[4:5], s[10:11]
	s_cbranch_execnz .LBB1583_54
.LBB1583_74:
	s_or_b64 exec, exec, s[4:5]
                                        ; implicit-def: $vgpr34_vgpr35
	s_and_saveexec_b64 s[4:5], s[12:13]
	s_cbranch_execz .LBB1583_55
.LBB1583_75:
	v_lshlrev_b32_e32 v34, 3, v0
	v_add_co_u32_e32 v34, vcc, v86, v34
	v_addc_co_u32_e32 v35, vcc, 0, v87, vcc
	flat_load_dwordx2 v[34:35], v[34:35] offset:2560
	s_or_b64 exec, exec, s[4:5]
                                        ; implicit-def: $vgpr36_vgpr37
	s_and_saveexec_b64 s[4:5], s[14:15]
	s_cbranch_execnz .LBB1583_56
.LBB1583_76:
	s_or_b64 exec, exec, s[4:5]
                                        ; implicit-def: $vgpr38_vgpr39
	s_and_saveexec_b64 s[4:5], s[16:17]
	s_cbranch_execz .LBB1583_57
.LBB1583_77:
	v_lshlrev_b32_e32 v38, 3, v0
	v_add_co_u32_e32 v38, vcc, v86, v38
	v_addc_co_u32_e32 v39, vcc, 0, v87, vcc
	flat_load_dwordx2 v[38:39], v[38:39] offset:3584
	s_or_b64 exec, exec, s[4:5]
                                        ; implicit-def: $vgpr40_vgpr41
	s_and_saveexec_b64 s[4:5], s[18:19]
	s_cbranch_execnz .LBB1583_58
.LBB1583_78:
	s_or_b64 exec, exec, s[4:5]
                                        ; implicit-def: $vgpr44_vgpr45
	s_and_saveexec_b64 s[4:5], s[20:21]
	s_cbranch_execz .LBB1583_59
.LBB1583_79:
	v_lshlrev_b32_e32 v1, 3, v46
	v_add_co_u32_e32 v44, vcc, v86, v1
	v_addc_co_u32_e32 v45, vcc, 0, v87, vcc
	flat_load_dwordx2 v[44:45], v[44:45]
	s_or_b64 exec, exec, s[4:5]
                                        ; implicit-def: $vgpr46_vgpr47
	s_and_saveexec_b64 s[4:5], s[22:23]
	s_cbranch_execnz .LBB1583_60
.LBB1583_80:
	s_or_b64 exec, exec, s[4:5]
                                        ; implicit-def: $vgpr48_vgpr49
	s_and_saveexec_b64 s[4:5], s[24:25]
	s_cbranch_execz .LBB1583_61
.LBB1583_81:
	v_lshlrev_b32_e32 v1, 3, v50
	v_add_co_u32_e32 v48, vcc, v86, v1
	v_addc_co_u32_e32 v49, vcc, 0, v87, vcc
	flat_load_dwordx2 v[48:49], v[48:49]
	s_or_b64 exec, exec, s[4:5]
                                        ; implicit-def: $vgpr50_vgpr51
	s_and_saveexec_b64 s[4:5], s[26:27]
	s_cbranch_execnz .LBB1583_62
.LBB1583_82:
	s_or_b64 exec, exec, s[4:5]
                                        ; implicit-def: $vgpr52_vgpr53
	s_and_saveexec_b64 s[4:5], s[28:29]
	s_cbranch_execz .LBB1583_63
.LBB1583_83:
	v_lshlrev_b32_e32 v1, 3, v54
	v_add_co_u32_e32 v52, vcc, v86, v1
	v_addc_co_u32_e32 v53, vcc, 0, v87, vcc
	flat_load_dwordx2 v[52:53], v[52:53]
	s_or_b64 exec, exec, s[4:5]
                                        ; implicit-def: $vgpr54_vgpr55
	s_and_saveexec_b64 s[4:5], s[30:31]
	s_cbranch_execnz .LBB1583_64
.LBB1583_84:
	s_or_b64 exec, exec, s[4:5]
                                        ; implicit-def: $vgpr56_vgpr57
	s_and_saveexec_b64 s[4:5], s[34:35]
	s_cbranch_execz .LBB1583_65
.LBB1583_85:
	v_lshlrev_b32_e32 v1, 3, v58
	v_add_co_u32_e32 v56, vcc, v86, v1
	v_addc_co_u32_e32 v57, vcc, 0, v87, vcc
	flat_load_dwordx2 v[56:57], v[56:57]
	s_or_b64 exec, exec, s[4:5]
                                        ; implicit-def: $vgpr58_vgpr59
	s_and_saveexec_b64 s[4:5], s[36:37]
	s_cbranch_execnz .LBB1583_66
.LBB1583_86:
	s_or_b64 exec, exec, s[4:5]
                                        ; implicit-def: $vgpr60_vgpr61
	s_and_saveexec_b64 s[4:5], s[38:39]
	s_cbranch_execz .LBB1583_67
.LBB1583_87:
	v_lshlrev_b32_e32 v1, 3, v62
	v_add_co_u32_e32 v60, vcc, v86, v1
	v_addc_co_u32_e32 v61, vcc, 0, v87, vcc
	flat_load_dwordx2 v[60:61], v[60:61]
	s_or_b64 exec, exec, s[4:5]
                                        ; implicit-def: $vgpr62_vgpr63
	s_and_saveexec_b64 s[4:5], s[40:41]
	s_cbranch_execnz .LBB1583_68
.LBB1583_88:
	s_or_b64 exec, exec, s[4:5]
                                        ; implicit-def: $vgpr64_vgpr65
	s_and_saveexec_b64 s[4:5], s[42:43]
	s_cbranch_execz .LBB1583_90
.LBB1583_89:
	v_lshlrev_b32_e32 v1, 3, v66
	v_add_co_u32_e32 v64, vcc, v86, v1
	v_addc_co_u32_e32 v65, vcc, 0, v87, vcc
	flat_load_dwordx2 v[64:65], v[64:65]
.LBB1583_90:
	s_or_b64 exec, exec, s[4:5]
	v_mul_u32_u24_e32 v85, 21, v0
                                        ; implicit-def: $vgpr66_vgpr67
	s_and_saveexec_b64 s[4:5], s[44:45]
	s_cbranch_execz .LBB1583_92
; %bb.91:
	v_lshlrev_b32_e32 v1, 3, v68
	v_add_co_u32_e32 v66, vcc, v86, v1
	v_addc_co_u32_e32 v67, vcc, 0, v87, vcc
	flat_load_dwordx2 v[66:67], v[66:67]
.LBB1583_92:
	s_or_b64 exec, exec, s[4:5]
	v_lshl_add_u32 v89, v0, 2, v69
	s_waitcnt vmcnt(0) lgkmcnt(0)
	ds_write2st64_b64 v89, v[2:3], v[4:5] offset1:1
	ds_write2st64_b64 v89, v[28:29], v[30:31] offset0:2 offset1:3
	ds_write2st64_b64 v89, v[32:33], v[34:35] offset0:4 offset1:5
	;; [unrolled: 1-line block ×9, first 2 shown]
	ds_write_b64 v89, v[66:67] offset:10240
	v_pk_mov_b32 v[44:45], 0, 0
	v_cmp_gt_u32_e32 vcc, s64, v85
	s_mov_b64 s[10:11], 0
	s_mov_b32 s72, 0
	s_mov_b64 s[4:5], 0
	v_mov_b32_e32 v110, 0
	v_pk_mov_b32 v[46:47], v[44:45], v[44:45] op_sel:[0,1]
	v_mov_b32_e32 v126, 0
	v_pk_mov_b32 v[82:83], v[44:45], v[44:45] op_sel:[0,1]
	;; [unrolled: 2-line block ×19, first 2 shown]
	v_mov_b32_e32 v1, 0
	s_waitcnt lgkmcnt(0)
	; wave barrier
	s_waitcnt lgkmcnt(0)
                                        ; implicit-def: $sgpr8_sgpr9
                                        ; implicit-def: $vgpr2_vgpr3
	s_and_saveexec_b64 s[6:7], vcc
	s_cbranch_execz .LBB1583_134
; %bb.93:
	s_movk_i32 s8, 0xa0
	v_mad_u32_u24 v1, v0, s8, v89
	ds_read_b64 v[2:3], v1
	v_cmp_ne_u32_e32 vcc, v88, v26
	v_mov_b32_e32 v5, s69
	v_add_u32_e32 v4, 1, v85
	v_pk_mov_b32 v[46:47], 0, 0
	s_waitcnt lgkmcnt(0)
	v_cndmask_b32_e32 v45, v3, v5, vcc
	v_mov_b32_e32 v3, s68
	v_cndmask_b32_e64 v1, 0, 1, vcc
	v_cndmask_b32_e32 v44, v2, v3, vcc
	v_cmp_gt_u32_e32 vcc, s64, v4
	s_mov_b64 s[12:13], 0
	v_mov_b32_e32 v110, 0
	v_mov_b32_e32 v126, 0
	v_pk_mov_b32 v[82:83], v[46:47], v[46:47] op_sel:[0,1]
	v_mov_b32_e32 v125, 0
	v_pk_mov_b32 v[80:81], v[46:47], v[46:47] op_sel:[0,1]
	;; [unrolled: 2-line block ×18, first 2 shown]
                                        ; implicit-def: $sgpr14_sgpr15
                                        ; implicit-def: $vgpr2_vgpr3
	s_and_saveexec_b64 s[8:9], vcc
	s_cbranch_execz .LBB1583_133
; %bb.94:
	v_mul_u32_u24_e32 v2, 0xa0, v0
	v_add_u32_e32 v28, v89, v2
	ds_read2_b64 v[2:5], v28 offset0:1 offset1:2
	v_cmp_ne_u32_e32 vcc, v26, v27
	v_mov_b32_e32 v26, s69
	v_add_u32_e32 v29, 2, v85
	v_pk_mov_b32 v[46:47], 0, 0
	s_waitcnt lgkmcnt(0)
	v_cndmask_b32_e32 v49, v3, v26, vcc
	v_mov_b32_e32 v3, s68
	v_cndmask_b32_e64 v108, 0, 1, vcc
	v_cndmask_b32_e32 v48, v2, v3, vcc
	v_cmp_gt_u32_e32 vcc, s64, v29
	s_mov_b64 s[14:15], 0
	v_mov_b32_e32 v110, 0
	v_mov_b32_e32 v126, 0
	v_pk_mov_b32 v[82:83], v[46:47], v[46:47] op_sel:[0,1]
	v_mov_b32_e32 v125, 0
	v_pk_mov_b32 v[80:81], v[46:47], v[46:47] op_sel:[0,1]
	;; [unrolled: 2-line block ×17, first 2 shown]
                                        ; implicit-def: $sgpr16_sgpr17
                                        ; implicit-def: $vgpr2_vgpr3
	s_and_saveexec_b64 s[10:11], vcc
	s_cbranch_execz .LBB1583_132
; %bb.95:
	v_cmp_ne_u32_e32 vcc, v27, v24
	v_mov_b32_e32 v3, s69
	v_add_u32_e32 v2, 3, v85
	v_cndmask_b32_e32 v51, v5, v3, vcc
	v_mov_b32_e32 v3, s68
	v_pk_mov_b32 v[46:47], 0, 0
	v_cndmask_b32_e64 v109, 0, 1, vcc
	v_cndmask_b32_e32 v50, v4, v3, vcc
	v_cmp_gt_u32_e32 vcc, s64, v2
	s_mov_b64 s[16:17], 0
	v_mov_b32_e32 v110, 0
	v_mov_b32_e32 v126, 0
	v_pk_mov_b32 v[82:83], v[46:47], v[46:47] op_sel:[0,1]
	v_mov_b32_e32 v125, 0
	v_pk_mov_b32 v[80:81], v[46:47], v[46:47] op_sel:[0,1]
	;; [unrolled: 2-line block ×16, first 2 shown]
                                        ; implicit-def: $sgpr18_sgpr19
                                        ; implicit-def: $vgpr2_vgpr3
	s_and_saveexec_b64 s[12:13], vcc
	s_cbranch_execz .LBB1583_131
; %bb.96:
	ds_read2_b64 v[2:5], v28 offset0:3 offset1:4
	v_cmp_ne_u32_e32 vcc, v24, v25
	v_mov_b32_e32 v24, s69
	v_add_u32_e32 v26, 4, v85
	v_pk_mov_b32 v[46:47], 0, 0
	s_waitcnt lgkmcnt(0)
	v_cndmask_b32_e32 v53, v3, v24, vcc
	v_mov_b32_e32 v3, s68
	v_cndmask_b32_e64 v111, 0, 1, vcc
	v_cndmask_b32_e32 v52, v2, v3, vcc
	v_cmp_gt_u32_e32 vcc, s64, v26
	s_mov_b64 s[18:19], 0
	v_mov_b32_e32 v110, 0
	v_mov_b32_e32 v126, 0
	v_pk_mov_b32 v[82:83], v[46:47], v[46:47] op_sel:[0,1]
	v_mov_b32_e32 v125, 0
	v_pk_mov_b32 v[80:81], v[46:47], v[46:47] op_sel:[0,1]
	;; [unrolled: 2-line block ×15, first 2 shown]
                                        ; implicit-def: $sgpr20_sgpr21
                                        ; implicit-def: $vgpr2_vgpr3
	s_and_saveexec_b64 s[14:15], vcc
	s_cbranch_execz .LBB1583_130
; %bb.97:
	v_cmp_ne_u32_e32 vcc, v25, v22
	v_mov_b32_e32 v3, s69
	v_add_u32_e32 v2, 5, v85
	v_cndmask_b32_e32 v55, v5, v3, vcc
	v_mov_b32_e32 v3, s68
	v_pk_mov_b32 v[46:47], 0, 0
	v_cndmask_b32_e64 v112, 0, 1, vcc
	v_cndmask_b32_e32 v54, v4, v3, vcc
	v_cmp_gt_u32_e32 vcc, s64, v2
	s_mov_b64 s[20:21], 0
	v_mov_b32_e32 v110, 0
	v_mov_b32_e32 v126, 0
	v_pk_mov_b32 v[82:83], v[46:47], v[46:47] op_sel:[0,1]
	v_mov_b32_e32 v125, 0
	v_pk_mov_b32 v[80:81], v[46:47], v[46:47] op_sel:[0,1]
	v_mov_b32_e32 v124, 0
	v_pk_mov_b32 v[78:79], v[46:47], v[46:47] op_sel:[0,1]
	v_mov_b32_e32 v123, 0
	v_pk_mov_b32 v[76:77], v[46:47], v[46:47] op_sel:[0,1]
	v_mov_b32_e32 v122, 0
	v_pk_mov_b32 v[74:75], v[46:47], v[46:47] op_sel:[0,1]
	v_mov_b32_e32 v121, 0
	v_pk_mov_b32 v[72:73], v[46:47], v[46:47] op_sel:[0,1]
	v_mov_b32_e32 v120, 0
	v_pk_mov_b32 v[70:71], v[46:47], v[46:47] op_sel:[0,1]
	v_mov_b32_e32 v119, 0
	v_pk_mov_b32 v[68:69], v[46:47], v[46:47] op_sel:[0,1]
	v_mov_b32_e32 v118, 0
	v_pk_mov_b32 v[66:67], v[46:47], v[46:47] op_sel:[0,1]
	v_mov_b32_e32 v117, 0
	v_pk_mov_b32 v[64:65], v[46:47], v[46:47] op_sel:[0,1]
	v_mov_b32_e32 v116, 0
	v_pk_mov_b32 v[62:63], v[46:47], v[46:47] op_sel:[0,1]
	v_mov_b32_e32 v115, 0
	v_pk_mov_b32 v[60:61], v[46:47], v[46:47] op_sel:[0,1]
	v_mov_b32_e32 v114, 0
	v_pk_mov_b32 v[58:59], v[46:47], v[46:47] op_sel:[0,1]
	v_mov_b32_e32 v113, 0
	v_pk_mov_b32 v[56:57], v[46:47], v[46:47] op_sel:[0,1]
                                        ; implicit-def: $sgpr22_sgpr23
                                        ; implicit-def: $vgpr2_vgpr3
	s_and_saveexec_b64 s[16:17], vcc
	s_cbranch_execz .LBB1583_129
; %bb.98:
	ds_read2_b64 v[2:5], v28 offset0:5 offset1:6
	v_cmp_ne_u32_e32 vcc, v22, v23
	v_mov_b32_e32 v22, s69
	v_add_u32_e32 v24, 6, v85
	v_pk_mov_b32 v[46:47], 0, 0
	s_waitcnt lgkmcnt(0)
	v_cndmask_b32_e32 v57, v3, v22, vcc
	v_mov_b32_e32 v3, s68
	v_cndmask_b32_e64 v113, 0, 1, vcc
	v_cndmask_b32_e32 v56, v2, v3, vcc
	v_cmp_gt_u32_e32 vcc, s64, v24
	s_mov_b64 s[22:23], 0
	v_mov_b32_e32 v110, 0
	v_mov_b32_e32 v126, 0
	v_pk_mov_b32 v[82:83], v[46:47], v[46:47] op_sel:[0,1]
	v_mov_b32_e32 v125, 0
	v_pk_mov_b32 v[80:81], v[46:47], v[46:47] op_sel:[0,1]
	v_mov_b32_e32 v124, 0
	v_pk_mov_b32 v[78:79], v[46:47], v[46:47] op_sel:[0,1]
	v_mov_b32_e32 v123, 0
	v_pk_mov_b32 v[76:77], v[46:47], v[46:47] op_sel:[0,1]
	v_mov_b32_e32 v122, 0
	v_pk_mov_b32 v[74:75], v[46:47], v[46:47] op_sel:[0,1]
	v_mov_b32_e32 v121, 0
	v_pk_mov_b32 v[72:73], v[46:47], v[46:47] op_sel:[0,1]
	v_mov_b32_e32 v120, 0
	v_pk_mov_b32 v[70:71], v[46:47], v[46:47] op_sel:[0,1]
	v_mov_b32_e32 v119, 0
	v_pk_mov_b32 v[68:69], v[46:47], v[46:47] op_sel:[0,1]
	v_mov_b32_e32 v118, 0
	v_pk_mov_b32 v[66:67], v[46:47], v[46:47] op_sel:[0,1]
	v_mov_b32_e32 v117, 0
	v_pk_mov_b32 v[64:65], v[46:47], v[46:47] op_sel:[0,1]
	v_mov_b32_e32 v116, 0
	v_pk_mov_b32 v[62:63], v[46:47], v[46:47] op_sel:[0,1]
	v_mov_b32_e32 v115, 0
	v_pk_mov_b32 v[60:61], v[46:47], v[46:47] op_sel:[0,1]
	v_mov_b32_e32 v114, 0
	v_pk_mov_b32 v[58:59], v[46:47], v[46:47] op_sel:[0,1]
                                        ; implicit-def: $sgpr24_sgpr25
                                        ; implicit-def: $vgpr2_vgpr3
	s_and_saveexec_b64 s[18:19], vcc
	s_cbranch_execz .LBB1583_128
; %bb.99:
	v_cmp_ne_u32_e32 vcc, v23, v20
	v_mov_b32_e32 v3, s69
	v_add_u32_e32 v2, 7, v85
	v_cndmask_b32_e32 v59, v5, v3, vcc
	v_mov_b32_e32 v3, s68
	v_pk_mov_b32 v[46:47], 0, 0
	v_cndmask_b32_e64 v114, 0, 1, vcc
	v_cndmask_b32_e32 v58, v4, v3, vcc
	v_cmp_gt_u32_e32 vcc, s64, v2
	s_mov_b64 s[24:25], 0
	v_mov_b32_e32 v110, 0
	v_mov_b32_e32 v126, 0
	v_pk_mov_b32 v[82:83], v[46:47], v[46:47] op_sel:[0,1]
	v_mov_b32_e32 v125, 0
	v_pk_mov_b32 v[80:81], v[46:47], v[46:47] op_sel:[0,1]
	;; [unrolled: 2-line block ×12, first 2 shown]
                                        ; implicit-def: $sgpr26_sgpr27
                                        ; implicit-def: $vgpr2_vgpr3
	s_and_saveexec_b64 s[20:21], vcc
	s_cbranch_execz .LBB1583_127
; %bb.100:
	ds_read2_b64 v[2:5], v28 offset0:7 offset1:8
	v_cmp_ne_u32_e32 vcc, v20, v21
	v_mov_b32_e32 v20, s69
	v_add_u32_e32 v22, 8, v85
	v_pk_mov_b32 v[46:47], 0, 0
	s_waitcnt lgkmcnt(0)
	v_cndmask_b32_e32 v61, v3, v20, vcc
	v_mov_b32_e32 v3, s68
	v_cndmask_b32_e64 v115, 0, 1, vcc
	v_cndmask_b32_e32 v60, v2, v3, vcc
	v_cmp_gt_u32_e32 vcc, s64, v22
	s_mov_b64 s[26:27], 0
	v_mov_b32_e32 v110, 0
	v_mov_b32_e32 v126, 0
	v_pk_mov_b32 v[82:83], v[46:47], v[46:47] op_sel:[0,1]
	v_mov_b32_e32 v125, 0
	v_pk_mov_b32 v[80:81], v[46:47], v[46:47] op_sel:[0,1]
	v_mov_b32_e32 v124, 0
	v_pk_mov_b32 v[78:79], v[46:47], v[46:47] op_sel:[0,1]
	v_mov_b32_e32 v123, 0
	v_pk_mov_b32 v[76:77], v[46:47], v[46:47] op_sel:[0,1]
	v_mov_b32_e32 v122, 0
	v_pk_mov_b32 v[74:75], v[46:47], v[46:47] op_sel:[0,1]
	v_mov_b32_e32 v121, 0
	v_pk_mov_b32 v[72:73], v[46:47], v[46:47] op_sel:[0,1]
	v_mov_b32_e32 v120, 0
	v_pk_mov_b32 v[70:71], v[46:47], v[46:47] op_sel:[0,1]
	v_mov_b32_e32 v119, 0
	v_pk_mov_b32 v[68:69], v[46:47], v[46:47] op_sel:[0,1]
	v_mov_b32_e32 v118, 0
	v_pk_mov_b32 v[66:67], v[46:47], v[46:47] op_sel:[0,1]
	v_mov_b32_e32 v117, 0
	v_pk_mov_b32 v[64:65], v[46:47], v[46:47] op_sel:[0,1]
	v_mov_b32_e32 v116, 0
	v_pk_mov_b32 v[62:63], v[46:47], v[46:47] op_sel:[0,1]
                                        ; implicit-def: $sgpr28_sgpr29
                                        ; implicit-def: $vgpr2_vgpr3
	s_and_saveexec_b64 s[22:23], vcc
	s_cbranch_execz .LBB1583_126
; %bb.101:
	v_cmp_ne_u32_e32 vcc, v21, v18
	v_mov_b32_e32 v3, s69
	v_add_u32_e32 v2, 9, v85
	v_cndmask_b32_e32 v63, v5, v3, vcc
	v_mov_b32_e32 v3, s68
	v_pk_mov_b32 v[46:47], 0, 0
	v_cndmask_b32_e64 v116, 0, 1, vcc
	v_cndmask_b32_e32 v62, v4, v3, vcc
	v_cmp_gt_u32_e32 vcc, s64, v2
	s_mov_b64 s[28:29], 0
	v_mov_b32_e32 v110, 0
	v_mov_b32_e32 v126, 0
	v_pk_mov_b32 v[82:83], v[46:47], v[46:47] op_sel:[0,1]
	v_mov_b32_e32 v125, 0
	v_pk_mov_b32 v[80:81], v[46:47], v[46:47] op_sel:[0,1]
	;; [unrolled: 2-line block ×10, first 2 shown]
                                        ; implicit-def: $sgpr30_sgpr31
                                        ; implicit-def: $vgpr2_vgpr3
	s_and_saveexec_b64 s[24:25], vcc
	s_cbranch_execz .LBB1583_125
; %bb.102:
	ds_read2_b64 v[2:5], v28 offset0:9 offset1:10
	v_cmp_ne_u32_e32 vcc, v18, v19
	v_mov_b32_e32 v18, s69
	v_add_u32_e32 v20, 10, v85
	v_pk_mov_b32 v[46:47], 0, 0
	s_waitcnt lgkmcnt(0)
	v_cndmask_b32_e32 v65, v3, v18, vcc
	v_mov_b32_e32 v3, s68
	v_cndmask_b32_e64 v117, 0, 1, vcc
	v_cndmask_b32_e32 v64, v2, v3, vcc
	v_cmp_gt_u32_e32 vcc, s64, v20
	s_mov_b64 s[30:31], 0
	v_mov_b32_e32 v110, 0
	v_mov_b32_e32 v126, 0
	v_pk_mov_b32 v[82:83], v[46:47], v[46:47] op_sel:[0,1]
	v_mov_b32_e32 v125, 0
	v_pk_mov_b32 v[80:81], v[46:47], v[46:47] op_sel:[0,1]
	v_mov_b32_e32 v124, 0
	v_pk_mov_b32 v[78:79], v[46:47], v[46:47] op_sel:[0,1]
	v_mov_b32_e32 v123, 0
	v_pk_mov_b32 v[76:77], v[46:47], v[46:47] op_sel:[0,1]
	v_mov_b32_e32 v122, 0
	v_pk_mov_b32 v[74:75], v[46:47], v[46:47] op_sel:[0,1]
	v_mov_b32_e32 v121, 0
	v_pk_mov_b32 v[72:73], v[46:47], v[46:47] op_sel:[0,1]
	v_mov_b32_e32 v120, 0
	v_pk_mov_b32 v[70:71], v[46:47], v[46:47] op_sel:[0,1]
	v_mov_b32_e32 v119, 0
	v_pk_mov_b32 v[68:69], v[46:47], v[46:47] op_sel:[0,1]
	v_mov_b32_e32 v118, 0
	v_pk_mov_b32 v[66:67], v[46:47], v[46:47] op_sel:[0,1]
                                        ; implicit-def: $sgpr34_sgpr35
                                        ; implicit-def: $vgpr2_vgpr3
	s_and_saveexec_b64 s[26:27], vcc
	s_cbranch_execz .LBB1583_124
; %bb.103:
	v_cmp_ne_u32_e32 vcc, v19, v16
	v_mov_b32_e32 v3, s69
	v_add_u32_e32 v2, 11, v85
	v_cndmask_b32_e32 v67, v5, v3, vcc
	v_mov_b32_e32 v3, s68
	v_pk_mov_b32 v[46:47], 0, 0
	v_cndmask_b32_e64 v118, 0, 1, vcc
	v_cndmask_b32_e32 v66, v4, v3, vcc
	v_cmp_gt_u32_e32 vcc, s64, v2
	s_mov_b64 s[34:35], 0
	v_mov_b32_e32 v110, 0
	v_mov_b32_e32 v126, 0
	v_pk_mov_b32 v[82:83], v[46:47], v[46:47] op_sel:[0,1]
	v_mov_b32_e32 v125, 0
	v_pk_mov_b32 v[80:81], v[46:47], v[46:47] op_sel:[0,1]
	;; [unrolled: 2-line block ×8, first 2 shown]
                                        ; implicit-def: $sgpr36_sgpr37
                                        ; implicit-def: $vgpr2_vgpr3
	s_and_saveexec_b64 s[28:29], vcc
	s_cbranch_execz .LBB1583_123
; %bb.104:
	ds_read2_b64 v[2:5], v28 offset0:11 offset1:12
	v_cmp_ne_u32_e32 vcc, v16, v17
	v_mov_b32_e32 v16, s69
	v_add_u32_e32 v18, 12, v85
	v_pk_mov_b32 v[46:47], 0, 0
	s_waitcnt lgkmcnt(0)
	v_cndmask_b32_e32 v69, v3, v16, vcc
	v_mov_b32_e32 v3, s68
	v_cndmask_b32_e64 v119, 0, 1, vcc
	v_cndmask_b32_e32 v68, v2, v3, vcc
	v_cmp_gt_u32_e32 vcc, s64, v18
	s_mov_b64 s[36:37], 0
	v_mov_b32_e32 v110, 0
	v_mov_b32_e32 v126, 0
	v_pk_mov_b32 v[82:83], v[46:47], v[46:47] op_sel:[0,1]
	v_mov_b32_e32 v125, 0
	v_pk_mov_b32 v[80:81], v[46:47], v[46:47] op_sel:[0,1]
	;; [unrolled: 2-line block ×7, first 2 shown]
                                        ; implicit-def: $sgpr38_sgpr39
                                        ; implicit-def: $vgpr2_vgpr3
	s_and_saveexec_b64 s[30:31], vcc
	s_cbranch_execz .LBB1583_122
; %bb.105:
	v_cmp_ne_u32_e32 vcc, v17, v14
	v_mov_b32_e32 v3, s69
	v_add_u32_e32 v2, 13, v85
	v_cndmask_b32_e32 v71, v5, v3, vcc
	v_mov_b32_e32 v3, s68
	v_pk_mov_b32 v[46:47], 0, 0
	v_cndmask_b32_e64 v120, 0, 1, vcc
	v_cndmask_b32_e32 v70, v4, v3, vcc
	v_cmp_gt_u32_e32 vcc, s64, v2
	s_mov_b64 s[38:39], 0
	v_mov_b32_e32 v110, 0
	v_mov_b32_e32 v126, 0
	v_pk_mov_b32 v[82:83], v[46:47], v[46:47] op_sel:[0,1]
	v_mov_b32_e32 v125, 0
	v_pk_mov_b32 v[80:81], v[46:47], v[46:47] op_sel:[0,1]
	;; [unrolled: 2-line block ×6, first 2 shown]
                                        ; implicit-def: $sgpr40_sgpr41
                                        ; implicit-def: $vgpr2_vgpr3
	s_and_saveexec_b64 s[34:35], vcc
	s_cbranch_execz .LBB1583_121
; %bb.106:
	ds_read2_b64 v[2:5], v28 offset0:13 offset1:14
	v_cmp_ne_u32_e32 vcc, v14, v15
	v_mov_b32_e32 v14, s69
	v_add_u32_e32 v16, 14, v85
	v_pk_mov_b32 v[46:47], 0, 0
	s_waitcnt lgkmcnt(0)
	v_cndmask_b32_e32 v73, v3, v14, vcc
	v_mov_b32_e32 v3, s68
	v_cndmask_b32_e64 v121, 0, 1, vcc
	v_cndmask_b32_e32 v72, v2, v3, vcc
	v_cmp_gt_u32_e32 vcc, s64, v16
	s_mov_b64 s[40:41], 0
	v_mov_b32_e32 v110, 0
	v_mov_b32_e32 v126, 0
	v_pk_mov_b32 v[82:83], v[46:47], v[46:47] op_sel:[0,1]
	v_mov_b32_e32 v125, 0
	v_pk_mov_b32 v[80:81], v[46:47], v[46:47] op_sel:[0,1]
	;; [unrolled: 2-line block ×5, first 2 shown]
                                        ; implicit-def: $sgpr42_sgpr43
                                        ; implicit-def: $vgpr2_vgpr3
	s_and_saveexec_b64 s[36:37], vcc
	s_cbranch_execz .LBB1583_120
; %bb.107:
	v_cmp_ne_u32_e32 vcc, v15, v12
	v_mov_b32_e32 v3, s69
	v_add_u32_e32 v2, 15, v85
	v_cndmask_b32_e32 v75, v5, v3, vcc
	v_mov_b32_e32 v3, s68
	v_pk_mov_b32 v[46:47], 0, 0
	v_cndmask_b32_e64 v122, 0, 1, vcc
	v_cndmask_b32_e32 v74, v4, v3, vcc
	v_cmp_gt_u32_e32 vcc, s64, v2
	s_mov_b64 s[42:43], 0
	v_mov_b32_e32 v110, 0
	v_mov_b32_e32 v126, 0
	v_pk_mov_b32 v[82:83], v[46:47], v[46:47] op_sel:[0,1]
	v_mov_b32_e32 v125, 0
	v_pk_mov_b32 v[80:81], v[46:47], v[46:47] op_sel:[0,1]
	;; [unrolled: 2-line block ×4, first 2 shown]
                                        ; implicit-def: $sgpr44_sgpr45
                                        ; implicit-def: $vgpr2_vgpr3
	s_and_saveexec_b64 s[38:39], vcc
	s_cbranch_execz .LBB1583_119
; %bb.108:
	ds_read2_b64 v[2:5], v28 offset0:15 offset1:16
	v_cmp_ne_u32_e32 vcc, v12, v13
	v_mov_b32_e32 v12, s69
	v_add_u32_e32 v14, 16, v85
	v_pk_mov_b32 v[46:47], 0, 0
	s_waitcnt lgkmcnt(0)
	v_cndmask_b32_e32 v77, v3, v12, vcc
	v_mov_b32_e32 v3, s68
	v_cndmask_b32_e64 v123, 0, 1, vcc
	v_cndmask_b32_e32 v76, v2, v3, vcc
	v_cmp_gt_u32_e32 vcc, s64, v14
	s_mov_b64 s[44:45], 0
	v_mov_b32_e32 v110, 0
	v_mov_b32_e32 v126, 0
	v_pk_mov_b32 v[82:83], v[46:47], v[46:47] op_sel:[0,1]
	v_mov_b32_e32 v125, 0
	v_pk_mov_b32 v[80:81], v[46:47], v[46:47] op_sel:[0,1]
	v_mov_b32_e32 v124, 0
	v_pk_mov_b32 v[78:79], v[46:47], v[46:47] op_sel:[0,1]
                                        ; implicit-def: $sgpr46_sgpr47
                                        ; implicit-def: $vgpr2_vgpr3
	s_and_saveexec_b64 s[40:41], vcc
	s_cbranch_execz .LBB1583_118
; %bb.109:
	v_cmp_ne_u32_e32 vcc, v13, v10
	v_mov_b32_e32 v3, s69
	v_add_u32_e32 v2, 17, v85
	v_cndmask_b32_e32 v79, v5, v3, vcc
	v_mov_b32_e32 v3, s68
	v_pk_mov_b32 v[46:47], 0, 0
	v_cndmask_b32_e64 v124, 0, 1, vcc
	v_cndmask_b32_e32 v78, v4, v3, vcc
	v_cmp_gt_u32_e32 vcc, s64, v2
	s_mov_b64 s[46:47], 0
	v_mov_b32_e32 v110, 0
	v_mov_b32_e32 v126, 0
	v_pk_mov_b32 v[82:83], v[46:47], v[46:47] op_sel:[0,1]
	v_mov_b32_e32 v125, 0
	v_pk_mov_b32 v[80:81], v[46:47], v[46:47] op_sel:[0,1]
                                        ; implicit-def: $sgpr58_sgpr59
                                        ; implicit-def: $vgpr2_vgpr3
	s_and_saveexec_b64 s[42:43], vcc
	s_cbranch_execz .LBB1583_117
; %bb.110:
	ds_read2_b64 v[2:5], v28 offset0:17 offset1:18
	v_cmp_ne_u32_e32 vcc, v10, v11
	v_mov_b32_e32 v10, s69
	v_add_u32_e32 v12, 18, v85
	v_pk_mov_b32 v[46:47], 0, 0
	s_waitcnt lgkmcnt(0)
	v_cndmask_b32_e32 v81, v3, v10, vcc
	v_mov_b32_e32 v3, s68
	v_cndmask_b32_e64 v125, 0, 1, vcc
	v_cndmask_b32_e32 v80, v2, v3, vcc
	v_cmp_gt_u32_e32 vcc, s64, v12
	s_mov_b64 s[58:59], 0
	v_mov_b32_e32 v110, 0
	v_mov_b32_e32 v126, 0
	v_pk_mov_b32 v[82:83], v[46:47], v[46:47] op_sel:[0,1]
                                        ; implicit-def: $sgpr60_sgpr61
                                        ; implicit-def: $vgpr2_vgpr3
	s_and_saveexec_b64 s[44:45], vcc
	s_cbranch_execz .LBB1583_116
; %bb.111:
	v_cmp_ne_u32_e32 vcc, v11, v8
	v_mov_b32_e32 v3, s69
	v_add_u32_e32 v2, 19, v85
	v_cndmask_b32_e32 v83, v5, v3, vcc
	v_mov_b32_e32 v3, s68
	v_cndmask_b32_e64 v126, 0, 1, vcc
	v_cndmask_b32_e32 v82, v4, v3, vcc
	v_cmp_gt_u32_e32 vcc, s64, v2
	v_mov_b32_e32 v110, 0
	v_pk_mov_b32 v[46:47], 0, 0
                                        ; implicit-def: $sgpr60_sgpr61
                                        ; implicit-def: $vgpr2_vgpr3
	s_and_saveexec_b64 s[46:47], vcc
	s_cbranch_execz .LBB1583_115
; %bb.112:
	ds_read2_b64 v[2:5], v28 offset0:19 offset1:20
	v_cmp_ne_u32_e32 vcc, v8, v9
	v_mov_b32_e32 v8, s69
	v_add_u32_e32 v10, 20, v85
	v_cndmask_b32_e64 v110, 0, 1, vcc
	s_waitcnt lgkmcnt(0)
	v_cndmask_b32_e32 v47, v3, v8, vcc
	v_mov_b32_e32 v3, s68
	v_cndmask_b32_e32 v46, v2, v3, vcc
	v_cmp_gt_u32_e32 vcc, s64, v10
                                        ; implicit-def: $sgpr60_sgpr61
                                        ; implicit-def: $vgpr2_vgpr3
	s_and_saveexec_b64 s[64:65], vcc
	s_xor_b64 s[64:65], exec, s[64:65]
; %bb.113:
	v_mov_b32_e32 v2, s69
	v_cmp_ne_u32_e32 vcc, v9, v84
	v_cndmask_b32_e32 v3, v5, v2, vcc
	v_mov_b32_e32 v2, s68
	s_mov_b64 s[58:59], exec
	v_cndmask_b32_e32 v2, v4, v2, vcc
	s_and_b64 s[60:61], vcc, exec
; %bb.114:
	s_or_b64 exec, exec, s[64:65]
	s_and_b64 s[60:61], s[60:61], exec
	s_and_b64 s[58:59], s[58:59], exec
.LBB1583_115:
	s_or_b64 exec, exec, s[46:47]
	s_and_b64 s[60:61], s[60:61], exec
	s_and_b64 s[46:47], s[58:59], exec
.LBB1583_116:
	s_or_b64 exec, exec, s[44:45]
	s_and_b64 s[58:59], s[60:61], exec
	s_and_b64 s[44:45], s[46:47], exec
.LBB1583_117:
	s_or_b64 exec, exec, s[42:43]
	s_and_b64 s[46:47], s[58:59], exec
	s_and_b64 s[42:43], s[44:45], exec
.LBB1583_118:
	s_or_b64 exec, exec, s[40:41]
	s_and_b64 s[44:45], s[46:47], exec
	s_and_b64 s[40:41], s[42:43], exec
.LBB1583_119:
	s_or_b64 exec, exec, s[38:39]
	s_and_b64 s[42:43], s[44:45], exec
	s_and_b64 s[38:39], s[40:41], exec
.LBB1583_120:
	s_or_b64 exec, exec, s[36:37]
	s_and_b64 s[40:41], s[42:43], exec
	s_and_b64 s[36:37], s[38:39], exec
.LBB1583_121:
	s_or_b64 exec, exec, s[34:35]
	s_and_b64 s[38:39], s[40:41], exec
	s_and_b64 s[34:35], s[36:37], exec
.LBB1583_122:
	s_or_b64 exec, exec, s[30:31]
	s_and_b64 s[36:37], s[38:39], exec
	s_and_b64 s[30:31], s[34:35], exec
.LBB1583_123:
	s_or_b64 exec, exec, s[28:29]
	s_and_b64 s[34:35], s[36:37], exec
	s_and_b64 s[28:29], s[30:31], exec
.LBB1583_124:
	s_or_b64 exec, exec, s[26:27]
	s_and_b64 s[30:31], s[34:35], exec
	s_and_b64 s[26:27], s[28:29], exec
.LBB1583_125:
	s_or_b64 exec, exec, s[24:25]
	s_and_b64 s[28:29], s[30:31], exec
	s_and_b64 s[24:25], s[26:27], exec
.LBB1583_126:
	s_or_b64 exec, exec, s[22:23]
	s_and_b64 s[26:27], s[28:29], exec
	s_and_b64 s[22:23], s[24:25], exec
.LBB1583_127:
	s_or_b64 exec, exec, s[20:21]
	s_and_b64 s[24:25], s[26:27], exec
	s_and_b64 s[20:21], s[22:23], exec
.LBB1583_128:
	s_or_b64 exec, exec, s[18:19]
	s_and_b64 s[22:23], s[24:25], exec
	s_and_b64 s[18:19], s[20:21], exec
.LBB1583_129:
	s_or_b64 exec, exec, s[16:17]
	s_and_b64 s[20:21], s[22:23], exec
	s_and_b64 s[16:17], s[18:19], exec
.LBB1583_130:
	s_or_b64 exec, exec, s[14:15]
	s_and_b64 s[18:19], s[20:21], exec
	s_and_b64 s[14:15], s[16:17], exec
.LBB1583_131:
	s_or_b64 exec, exec, s[12:13]
	s_and_b64 s[16:17], s[18:19], exec
	s_and_b64 s[12:13], s[14:15], exec
.LBB1583_132:
	s_or_b64 exec, exec, s[10:11]
	s_and_b64 s[14:15], s[16:17], exec
	s_and_b64 s[10:11], s[12:13], exec
.LBB1583_133:
	s_or_b64 exec, exec, s[8:9]
	s_and_b64 s[8:9], s[14:15], exec
	s_and_b64 s[10:11], s[10:11], exec
.LBB1583_134:
	s_or_b64 exec, exec, s[6:7]
	s_mov_b64 s[6:7], 0
	s_and_b64 vcc, exec, s[4:5]
	s_cbranch_vccz .LBB1583_140
.LBB1583_135:
	v_lshlrev_b32_e32 v2, 2, v0
	v_add_co_u32_e32 v4, vcc, v6, v2
	v_addc_co_u32_e32 v5, vcc, 0, v7, vcc
	s_movk_i32 s6, 0x1000
	flat_load_dword v1, v[4:5]
	flat_load_dword v3, v[4:5] offset:256
	flat_load_dword v8, v[4:5] offset:512
	;; [unrolled: 1-line block ×15, first 2 shown]
	v_add_co_u32_e32 v4, vcc, s6, v4
	v_addc_co_u32_e32 v5, vcc, 0, v5, vcc
	flat_load_dword v22, v[4:5]
	flat_load_dword v23, v[4:5] offset:256
	flat_load_dword v24, v[4:5] offset:512
	;; [unrolled: 1-line block ×4, first 2 shown]
	v_add_co_u32_e32 v4, vcc, 0x1000, v6
	v_addc_co_u32_e32 v5, vcc, 0, v7, vcc
	s_movk_i32 s4, 0x50
	v_cmp_ne_u32_e32 vcc, 63, v0
	s_waitcnt vmcnt(0) lgkmcnt(0)
	ds_write2st64_b32 v2, v1, v3 offset1:1
	ds_write2st64_b32 v2, v8, v9 offset0:2 offset1:3
	ds_write2st64_b32 v2, v10, v11 offset0:4 offset1:5
	ds_write2st64_b32 v2, v12, v13 offset0:6 offset1:7
	ds_write2st64_b32 v2, v14, v15 offset0:8 offset1:9
	ds_write2st64_b32 v2, v16, v17 offset0:10 offset1:11
	ds_write2st64_b32 v2, v18, v19 offset0:12 offset1:13
	ds_write2st64_b32 v2, v20, v21 offset0:14 offset1:15
	ds_write2st64_b32 v2, v22, v23 offset0:16 offset1:17
	ds_write2st64_b32 v2, v24, v25 offset0:18 offset1:19
	ds_write_b32 v2, v26 offset:5120
	s_waitcnt lgkmcnt(0)
	; wave barrier
	s_waitcnt lgkmcnt(0)
	flat_load_dword v88, v[4:5] offset:1280
	v_mad_u32_u24 v3, v0, s4, v2
	s_movk_i32 s4, 0xffb0
	ds_read_b32 v1, v3
	ds_read2_b32 v[62:63], v3 offset0:1 offset1:2
	ds_read2_b32 v[60:61], v3 offset0:3 offset1:4
	;; [unrolled: 1-line block ×10, first 2 shown]
	v_mad_i32_i24 v3, v0, s4, v3
	s_waitcnt lgkmcnt(0)
	ds_write_b32 v3, v1 offset:5632
	s_waitcnt lgkmcnt(0)
	; wave barrier
	s_waitcnt lgkmcnt(0)
	s_and_saveexec_b64 s[4:5], vcc
	s_cbranch_execz .LBB1583_137
; %bb.136:
	s_waitcnt vmcnt(0)
	ds_read_b32 v88, v2 offset:5636
.LBB1583_137:
	s_or_b64 exec, exec, s[4:5]
	v_lshlrev_b32_e32 v2, 3, v0
	v_add_co_u32_e32 v4, vcc, v86, v2
	v_addc_co_u32_e32 v5, vcc, 0, v87, vcc
	v_add_co_u32_e32 v22, vcc, s6, v4
	v_addc_co_u32_e32 v23, vcc, 0, v5, vcc
	s_movk_i32 s4, 0x2000
	s_waitcnt lgkmcnt(0)
	; wave barrier
	s_waitcnt lgkmcnt(0)
	flat_load_dwordx2 v[6:7], v[4:5]
	flat_load_dwordx2 v[8:9], v[4:5] offset:512
	flat_load_dwordx2 v[10:11], v[4:5] offset:1024
	;; [unrolled: 1-line block ×7, first 2 shown]
	v_add_co_u32_e32 v4, vcc, s4, v4
	v_addc_co_u32_e32 v5, vcc, 0, v5, vcc
	flat_load_dwordx2 v[24:25], v[22:23]
	flat_load_dwordx2 v[26:27], v[22:23] offset:512
	flat_load_dwordx2 v[28:29], v[22:23] offset:1024
	;; [unrolled: 1-line block ×7, first 2 shown]
	s_nop 0
	flat_load_dwordx2 v[22:23], v[4:5]
	flat_load_dwordx2 v[40:41], v[4:5] offset:512
	flat_load_dwordx2 v[44:45], v[4:5] offset:1024
	;; [unrolled: 1-line block ×4, first 2 shown]
	v_lshl_add_u32 v64, v0, 2, v3
	s_movk_i32 s4, 0xa0
	v_mad_u32_u24 v2, v0, s4, v64
	v_cmp_ne_u32_e32 vcc, v1, v62
	v_cmp_eq_u32_e64 s[4:5], v1, v62
	s_waitcnt vmcnt(0) lgkmcnt(0)
	ds_write2st64_b64 v64, v[6:7], v[8:9] offset1:1
	ds_write2st64_b64 v64, v[10:11], v[12:13] offset0:2 offset1:3
	ds_write2st64_b64 v64, v[14:15], v[16:17] offset0:4 offset1:5
	;; [unrolled: 1-line block ×9, first 2 shown]
	ds_write_b64 v64, v[68:69] offset:10240
	s_waitcnt lgkmcnt(0)
	; wave barrier
	s_waitcnt lgkmcnt(0)
	ds_read2_b64 v[38:41], v2 offset0:1 offset1:2
	ds_read2_b64 v[34:37], v2 offset0:3 offset1:4
	;; [unrolled: 1-line block ×10, first 2 shown]
	v_pk_mov_b32 v[44:45], s[68:69], s[68:69] op_sel:[0,1]
	s_and_saveexec_b64 s[6:7], s[4:5]
	s_cbranch_execz .LBB1583_139
; %bb.138:
	v_mul_u32_u24_e32 v1, 0xa0, v0
	v_add_u32_e32 v1, v64, v1
	ds_read_b64 v[44:45], v1
.LBB1583_139:
	s_or_b64 exec, exec, s[6:7]
	v_cndmask_b32_e64 v1, 0, 1, vcc
	v_cmp_ne_u32_e32 vcc, v62, v63
	v_cmp_ne_u32_e64 s[38:39], v47, v84
	v_cmp_ne_u32_e64 s[40:41], v84, v85
	v_mov_b32_e32 v84, s69
	v_cmp_ne_u32_e64 s[8:9], v61, v58
	v_cmp_ne_u32_e64 s[30:31], v48, v49
	;; [unrolled: 1-line block ×3, first 2 shown]
	s_waitcnt lgkmcnt(9)
	v_cndmask_b32_e32 v49, v39, v84, vcc
	v_mov_b32_e32 v39, s68
	v_cmp_ne_u32_e64 s[4:5], v63, v60
	v_cmp_ne_u32_e64 s[6:7], v60, v61
	v_cndmask_b32_e64 v112, 0, 1, s[8:9]
	v_cmp_ne_u32_e64 s[10:11], v58, v59
	v_cmp_ne_u32_e64 s[12:13], v59, v56
	;; [unrolled: 1-line block ×11, first 2 shown]
	s_waitcnt lgkmcnt(8)
	v_cndmask_b32_e64 v55, v37, v84, s[8:9]
	v_cndmask_b32_e64 v54, v36, v39, s[8:9]
	v_cmp_ne_u32_e64 s[8:9], v85, v88
	v_cndmask_b32_e64 v108, 0, 1, vcc
	v_cndmask_b32_e64 v109, 0, 1, s[4:5]
	v_cndmask_b32_e64 v111, 0, 1, s[6:7]
	;; [unrolled: 1-line block ×17, first 2 shown]
	v_cndmask_b32_e32 v48, v38, v39, vcc
	v_cndmask_b32_e64 v51, v41, v84, s[4:5]
	v_cndmask_b32_e64 v50, v40, v39, s[4:5]
	v_cndmask_b32_e64 v53, v35, v84, s[6:7]
	v_cndmask_b32_e64 v52, v34, v39, s[6:7]
	s_waitcnt lgkmcnt(7)
	v_cndmask_b32_e64 v57, v31, v84, s[10:11]
	v_cndmask_b32_e64 v56, v30, v39, s[10:11]
	v_cndmask_b32_e64 v59, v33, v84, s[12:13]
	v_cndmask_b32_e64 v58, v32, v39, s[12:13]
	s_waitcnt lgkmcnt(6)
	;; [unrolled: 5-line block ×8, first 2 shown]
	v_cndmask_b32_e64 v47, v3, v84, s[40:41]
	v_cndmask_b32_e64 v46, v2, v39, s[40:41]
	v_cndmask_b32_e64 v3, v5, v84, s[8:9]
	v_cndmask_b32_e64 v2, v4, v39, s[8:9]
	s_mov_b64 s[10:11], -1
                                        ; implicit-def: $sgpr72
                                        ; implicit-def: $sgpr6_sgpr7
.LBB1583_140:
	v_pk_mov_b32 v[84:85], s[6:7], s[6:7] op_sel:[0,1]
	v_mov_b32_e32 v127, s72
	s_and_saveexec_b64 s[4:5], s[10:11]
; %bb.141:
	v_cndmask_b32_e64 v127, 0, 1, s[8:9]
	v_pk_mov_b32 v[84:85], v[2:3], v[2:3] op_sel:[0,1]
; %bb.142:
	s_or_b64 exec, exec, s[4:5]
	v_or_b32_e32 v2, v127, v110
	s_cmp_lg_u32 s55, 0
	v_or_b32_e32 v129, v2, v126
	v_mbcnt_lo_u32_b32 v128, -1, 0
	s_waitcnt lgkmcnt(0)
	; wave barrier
	s_waitcnt lgkmcnt(0)
	s_cbranch_scc0 .LBB1583_205
; %bb.143:
	v_mov_b32_e32 v2, 0
	v_cmp_eq_u16_sdwa s[42:43], v108, v2 src0_sel:BYTE_0 src1_sel:DWORD
	v_cndmask_b32_e64 v4, 0, v44, s[42:43]
	v_cndmask_b32_e64 v3, 0, v45, s[42:43]
	v_add_co_u32_e32 v4, vcc, v4, v48
	v_cmp_eq_u16_sdwa s[40:41], v109, v2 src0_sel:BYTE_0 src1_sel:DWORD
	v_addc_co_u32_e32 v3, vcc, v3, v49, vcc
	v_cndmask_b32_e64 v4, 0, v4, s[40:41]
	v_cndmask_b32_e64 v3, 0, v3, s[40:41]
	v_add_co_u32_e32 v4, vcc, v4, v50
	v_cmp_eq_u16_sdwa s[38:39], v111, v2 src0_sel:BYTE_0 src1_sel:DWORD
	v_addc_co_u32_e32 v3, vcc, v3, v51, vcc
	;; [unrolled: 5-line block ×18, first 2 shown]
	v_cndmask_b32_e64 v4, 0, v4, s[4:5]
	v_cndmask_b32_e64 v3, 0, v3, s[4:5]
	v_add_co_u32_e32 v4, vcc, v4, v46
	v_addc_co_u32_e32 v3, vcc, v3, v47, vcc
	v_cmp_eq_u16_sdwa vcc, v127, v2 src0_sel:BYTE_0 src1_sel:DWORD
	v_cndmask_b32_e32 v2, 0, v4, vcc
	v_or_b32_e32 v4, v129, v125
	v_or_b32_e32 v4, v4, v124
	;; [unrolled: 1-line block ×17, first 2 shown]
	v_cndmask_b32_e32 v3, 0, v3, vcc
	v_add_co_u32_e32 v2, vcc, v2, v84
	v_or_b32_e32 v4, v4, v1
	v_mbcnt_hi_u32_b32 v5, -1, v128
	v_addc_co_u32_e32 v3, vcc, v3, v85, vcc
	v_and_b32_e32 v4, 1, v4
	v_and_b32_e32 v7, 15, v5
	v_cmp_eq_u32_e32 vcc, 1, v4
	v_mov_b32_dpp v9, v2 row_shr:1 row_mask:0xf bank_mask:0xf
	v_mov_b32_dpp v10, v3 row_shr:1 row_mask:0xf bank_mask:0xf
	v_mov_b32_dpp v8, v4 row_shr:1 row_mask:0xf bank_mask:0xf
	v_cmp_ne_u32_e64 s[44:45], 0, v7
	v_mov_b32_e32 v6, v4
	s_and_saveexec_b64 s[46:47], s[44:45]
; %bb.144:
	v_cndmask_b32_e64 v9, v9, 0, vcc
	v_cndmask_b32_e64 v6, v10, 0, vcc
	v_add_co_u32_e32 v2, vcc, v9, v2
	v_addc_co_u32_e32 v3, vcc, v6, v3, vcc
	v_and_b32_e32 v6, 1, v8
	v_or_b32_e32 v4, v6, v4
	v_and_b32_e32 v6, 0xffff, v4
; %bb.145:
	s_or_b64 exec, exec, s[46:47]
	v_mov_b32_dpp v9, v2 row_shr:2 row_mask:0xf bank_mask:0xf
	v_mov_b32_dpp v10, v3 row_shr:2 row_mask:0xf bank_mask:0xf
	v_mov_b32_dpp v8, v6 row_shr:2 row_mask:0xf bank_mask:0xf
	v_cmp_lt_u32_e32 vcc, 1, v7
	s_and_saveexec_b64 s[46:47], vcc
	s_cbranch_execz .LBB1583_147
; %bb.146:
	v_cmp_eq_u16_e32 vcc, 0, v4
	v_cndmask_b32_e32 v9, 0, v9, vcc
	v_cndmask_b32_e32 v6, 0, v10, vcc
	v_add_co_u32_e32 v2, vcc, v9, v2
	v_addc_co_u32_e32 v3, vcc, v6, v3, vcc
	v_and_b32_e32 v4, 1, v4
	v_cmp_eq_u32_e32 vcc, 1, v4
	v_and_b32_e32 v4, 1, v8
	v_cmp_eq_u32_e64 s[44:45], 1, v4
	s_or_b64 s[44:45], vcc, s[44:45]
	v_cndmask_b32_e64 v4, 0, 1, s[44:45]
	v_cndmask_b32_e64 v6, 0, 1, s[44:45]
.LBB1583_147:
	s_or_b64 exec, exec, s[46:47]
	v_mov_b32_dpp v9, v2 row_shr:4 row_mask:0xf bank_mask:0xf
	v_mov_b32_dpp v10, v3 row_shr:4 row_mask:0xf bank_mask:0xf
	v_mov_b32_dpp v8, v6 row_shr:4 row_mask:0xf bank_mask:0xf
	v_cmp_lt_u32_e32 vcc, 3, v7
	s_and_saveexec_b64 s[46:47], vcc
	s_cbranch_execz .LBB1583_149
; %bb.148:
	v_cmp_eq_u16_e32 vcc, 0, v4
	v_cndmask_b32_e32 v9, 0, v9, vcc
	v_cndmask_b32_e32 v6, 0, v10, vcc
	v_add_co_u32_e32 v2, vcc, v9, v2
	v_addc_co_u32_e32 v3, vcc, v6, v3, vcc
	v_and_b32_e32 v4, 1, v4
	v_cmp_eq_u32_e32 vcc, 1, v4
	v_and_b32_e32 v4, 1, v8
	v_cmp_eq_u32_e64 s[44:45], 1, v4
	s_or_b64 s[44:45], vcc, s[44:45]
	v_cndmask_b32_e64 v4, 0, 1, s[44:45]
	v_cndmask_b32_e64 v6, 0, 1, s[44:45]
.LBB1583_149:
	;; [unrolled: 21-line block ×3, first 2 shown]
	s_or_b64 exec, exec, s[46:47]
	v_and_b32_e32 v10, 16, v5
	v_mov_b32_dpp v8, v2 row_bcast:15 row_mask:0xf bank_mask:0xf
	v_mov_b32_dpp v9, v3 row_bcast:15 row_mask:0xf bank_mask:0xf
	;; [unrolled: 1-line block ×3, first 2 shown]
	v_cmp_ne_u32_e32 vcc, 0, v10
	s_and_saveexec_b64 s[46:47], vcc
	s_cbranch_execz .LBB1583_153
; %bb.152:
	v_cmp_eq_u16_e32 vcc, 0, v4
	v_cndmask_b32_e32 v8, 0, v8, vcc
	v_cndmask_b32_e32 v6, 0, v9, vcc
	v_add_co_u32_e32 v2, vcc, v8, v2
	v_addc_co_u32_e32 v3, vcc, v6, v3, vcc
	v_and_b32_e32 v4, 1, v4
	v_cmp_eq_u32_e32 vcc, 1, v4
	v_and_b32_e32 v4, 1, v7
	v_cmp_eq_u32_e64 s[44:45], 1, v4
	s_or_b64 s[44:45], vcc, s[44:45]
	v_cndmask_b32_e64 v4, 0, 1, s[44:45]
	v_cndmask_b32_e64 v6, 0, 1, s[44:45]
.LBB1583_153:
	s_or_b64 exec, exec, s[46:47]
	v_mov_b32_dpp v7, v2 row_bcast:31 row_mask:0xf bank_mask:0xf
	v_mov_b32_dpp v8, v3 row_bcast:31 row_mask:0xf bank_mask:0xf
	;; [unrolled: 1-line block ×3, first 2 shown]
	v_cmp_lt_u32_e32 vcc, 31, v5
	s_and_saveexec_b64 s[46:47], vcc
; %bb.154:
	v_cmp_eq_u16_e32 vcc, 0, v4
	v_cndmask_b32_e32 v7, 0, v7, vcc
	v_cndmask_b32_e32 v8, 0, v8, vcc
	v_add_co_u32_e32 v2, vcc, v7, v2
	v_addc_co_u32_e32 v3, vcc, v8, v3, vcc
	v_and_b32_e32 v4, 1, v4
	v_cmp_eq_u32_e32 vcc, 1, v4
	v_and_b32_e32 v4, 1, v6
	v_cmp_eq_u32_e64 s[44:45], 1, v4
	s_or_b64 s[44:45], vcc, s[44:45]
	v_cndmask_b32_e64 v4, 0, 1, s[44:45]
; %bb.155:
	s_or_b64 exec, exec, s[46:47]
	v_cmp_eq_u32_e32 vcc, 63, v0
	s_and_saveexec_b64 s[44:45], vcc
	s_cbranch_execz .LBB1583_157
; %bb.156:
	v_mov_b32_e32 v6, 0
	ds_write_b64 v6, v[2:3]
	ds_write_b8 v6, v4 offset:8
.LBB1583_157:
	s_or_b64 exec, exec, s[44:45]
	v_add_u32_e32 v6, -1, v5
	v_and_b32_e32 v7, 64, v5
	v_cmp_lt_i32_e32 vcc, v6, v7
	v_cndmask_b32_e32 v6, v6, v5, vcc
	v_lshlrev_b32_e32 v6, 2, v6
	ds_bpermute_b32 v12, v6, v2
	v_and_b32_e32 v2, 0xffff, v4
	ds_bpermute_b32 v13, v6, v3
	ds_bpermute_b32 v14, v6, v2
	v_cmp_gt_u32_e32 vcc, 64, v0
	s_waitcnt lgkmcnt(0)
	; wave barrier
	s_waitcnt lgkmcnt(0)
	s_and_saveexec_b64 s[58:59], vcc
	s_cbranch_execz .LBB1583_204
; %bb.158:
	v_mov_b32_e32 v7, 0
	ds_read_b64 v[2:3], v7
	ds_read_u8 v15, v7 offset:8
	s_mov_b32 s61, 0
	v_cmp_eq_u32_e64 s[44:45], 0, v5
	s_and_saveexec_b64 s[46:47], s[44:45]
	s_cbranch_execz .LBB1583_160
; %bb.159:
	s_add_i32 s60, s55, 64
	s_lshl_b64 s[64:65], s[60:61], 4
	s_add_u32 s64, s48, s64
	s_addc_u32 s65, s49, s65
	v_mov_b32_e32 v4, s60
	v_mov_b32_e32 v6, 1
	s_waitcnt lgkmcnt(1)
	global_store_dwordx2 v7, v[2:3], s[64:65]
	s_waitcnt lgkmcnt(0)
	global_store_byte v7, v15, s[64:65] offset:8
	s_waitcnt vmcnt(0)
	buffer_wbinvl1_vol
	global_store_byte v4, v6, s[52:53]
.LBB1583_160:
	s_or_b64 exec, exec, s[46:47]
	v_xad_u32 v4, v5, -1, s55
	v_add_u32_e32 v6, 64, v4
	global_load_ubyte v16, v6, s[52:53] glc
	s_waitcnt vmcnt(0)
	v_cmp_eq_u16_e32 vcc, 0, v16
	s_and_saveexec_b64 s[46:47], vcc
	s_cbranch_execz .LBB1583_166
; %bb.161:
	v_mov_b32_e32 v9, s53
	v_add_co_u32_e32 v8, vcc, s52, v6
	v_addc_co_u32_e32 v9, vcc, 0, v9, vcc
	s_mov_b32 s64, 1
	s_mov_b64 s[60:61], 0
.LBB1583_162:                           ; =>This Loop Header: Depth=1
                                        ;     Child Loop BB1583_163 Depth 2
	s_max_u32 s65, s64, 1
.LBB1583_163:                           ;   Parent Loop BB1583_162 Depth=1
                                        ; =>  This Inner Loop Header: Depth=2
	s_add_i32 s65, s65, -1
	s_cmp_eq_u32 s65, 0
	s_sleep 1
	s_cbranch_scc0 .LBB1583_163
; %bb.164:                              ;   in Loop: Header=BB1583_162 Depth=1
	global_load_ubyte v16, v[8:9], off glc
	s_cmp_lt_u32 s64, 32
	s_cselect_b64 s[72:73], -1, 0
	s_cmp_lg_u64 s[72:73], 0
	s_addc_u32 s64, s64, 0
	s_waitcnt vmcnt(0)
	v_cmp_ne_u16_e32 vcc, 0, v16
	s_or_b64 s[60:61], vcc, s[60:61]
	s_andn2_b64 exec, exec, s[60:61]
	s_cbranch_execnz .LBB1583_162
; %bb.165:
	s_or_b64 exec, exec, s[60:61]
.LBB1583_166:
	s_or_b64 exec, exec, s[46:47]
	v_mov_b32_e32 v8, s51
	v_mov_b32_e32 v9, s49
	v_cmp_eq_u16_e32 vcc, 1, v16
	v_cndmask_b32_e32 v8, v8, v9, vcc
	v_mov_b32_e32 v9, s50
	v_mov_b32_e32 v10, s48
	v_cndmask_b32_e32 v9, v9, v10, vcc
	v_lshlrev_b64 v[6:7], 4, v[6:7]
	v_add_co_u32_e32 v6, vcc, v9, v6
	v_addc_co_u32_e32 v7, vcc, v8, v7, vcc
	s_waitcnt lgkmcnt(0)
	buffer_wbinvl1_vol
	global_load_dwordx2 v[10:11], v[6:7], off
	global_load_ubyte v31, v[6:7], off offset:8
	v_cmp_eq_u16_e32 vcc, 2, v16
	v_lshlrev_b64 v[6:7], v5, -1
	v_and_b32_e32 v17, 63, v5
	v_and_b32_e32 v8, vcc_hi, v7
	v_and_b32_e32 v22, vcc_lo, v6
	v_cmp_ne_u32_e32 vcc, 63, v17
	v_addc_co_u32_e32 v9, vcc, 0, v5, vcc
	v_lshlrev_b32_e32 v18, 2, v9
	v_or_b32_e32 v8, 0x80000000, v8
	v_ffbl_b32_e32 v8, v8
	v_add_u32_e32 v8, 32, v8
	v_ffbl_b32_e32 v22, v22
	v_min_u32_e32 v8, v22, v8
	v_cmp_lt_u32_e32 vcc, v17, v8
	s_waitcnt vmcnt(1)
	ds_bpermute_b32 v20, v18, v10
	s_waitcnt vmcnt(0)
	v_and_b32_e32 v9, 1, v31
	ds_bpermute_b32 v21, v18, v11
	ds_bpermute_b32 v19, v18, v9
	s_and_saveexec_b64 s[46:47], vcc
	s_cbranch_execz .LBB1583_168
; %bb.167:
	v_mov_b32_e32 v9, 0
	v_cmp_eq_u16_sdwa vcc, v31, v9 src0_sel:BYTE_0 src1_sel:DWORD
	s_waitcnt lgkmcnt(2)
	v_cndmask_b32_e32 v20, 0, v20, vcc
	s_waitcnt lgkmcnt(1)
	v_cndmask_b32_e32 v9, 0, v21, vcc
	v_add_co_u32_e32 v10, vcc, v20, v10
	v_addc_co_u32_e32 v11, vcc, v9, v11, vcc
	s_waitcnt lgkmcnt(0)
	v_and_b32_e32 v9, 1, v19
	v_or_b32_e32 v31, v9, v31
	v_and_b32_e32 v9, 0xff, v31
.LBB1583_168:
	s_or_b64 exec, exec, s[46:47]
	v_cmp_gt_u32_e32 vcc, 62, v17
	s_waitcnt lgkmcnt(0)
	v_cndmask_b32_e64 v19, 0, 1, vcc
	v_lshlrev_b32_e32 v19, 1, v19
	v_add_lshl_u32 v19, v19, v5, 2
	ds_bpermute_b32 v22, v19, v10
	ds_bpermute_b32 v23, v19, v11
	ds_bpermute_b32 v21, v19, v9
	v_add_u32_e32 v20, 2, v17
	v_cmp_le_u32_e32 vcc, v20, v8
	s_and_saveexec_b64 s[60:61], vcc
	s_cbranch_execz .LBB1583_170
; %bb.169:
	v_mov_b32_e32 v9, 0
	v_cmp_eq_u16_sdwa vcc, v31, v9 src0_sel:BYTE_0 src1_sel:DWORD
	s_waitcnt lgkmcnt(2)
	v_cndmask_b32_e32 v22, 0, v22, vcc
	s_waitcnt lgkmcnt(1)
	v_cndmask_b32_e32 v9, 0, v23, vcc
	v_add_co_u32_e32 v10, vcc, v22, v10
	v_addc_co_u32_e32 v11, vcc, v9, v11, vcc
	v_and_b32_e32 v9, 1, v31
	v_cmp_eq_u32_e32 vcc, 1, v9
	s_waitcnt lgkmcnt(0)
	v_and_b32_e32 v9, 1, v21
	v_cmp_eq_u32_e64 s[46:47], 1, v9
	s_or_b64 s[46:47], vcc, s[46:47]
	v_cndmask_b32_e64 v31, 0, 1, s[46:47]
	v_cndmask_b32_e64 v9, 0, 1, s[46:47]
.LBB1583_170:
	s_or_b64 exec, exec, s[60:61]
	v_cmp_gt_u32_e32 vcc, 60, v17
	s_waitcnt lgkmcnt(0)
	v_cndmask_b32_e64 v21, 0, 1, vcc
	v_lshlrev_b32_e32 v21, 2, v21
	v_add_lshl_u32 v21, v21, v5, 2
	ds_bpermute_b32 v24, v21, v10
	ds_bpermute_b32 v25, v21, v11
	ds_bpermute_b32 v23, v21, v9
	v_add_u32_e32 v22, 4, v17
	v_cmp_le_u32_e32 vcc, v22, v8
	s_and_saveexec_b64 s[60:61], vcc
	s_cbranch_execz .LBB1583_172
; %bb.171:
	v_mov_b32_e32 v9, 0
	v_cmp_eq_u16_sdwa vcc, v31, v9 src0_sel:BYTE_0 src1_sel:DWORD
	s_waitcnt lgkmcnt(2)
	v_cndmask_b32_e32 v24, 0, v24, vcc
	s_waitcnt lgkmcnt(1)
	v_cndmask_b32_e32 v9, 0, v25, vcc
	v_add_co_u32_e32 v10, vcc, v24, v10
	v_addc_co_u32_e32 v11, vcc, v9, v11, vcc
	v_and_b32_e32 v9, 1, v31
	v_cmp_eq_u32_e32 vcc, 1, v9
	s_waitcnt lgkmcnt(0)
	v_and_b32_e32 v9, 1, v23
	v_cmp_eq_u32_e64 s[46:47], 1, v9
	s_or_b64 s[46:47], vcc, s[46:47]
	v_cndmask_b32_e64 v31, 0, 1, s[46:47]
	v_cndmask_b32_e64 v9, 0, 1, s[46:47]
.LBB1583_172:
	;; [unrolled: 31-line block ×4, first 2 shown]
	s_or_b64 exec, exec, s[60:61]
	v_cmp_gt_u32_e32 vcc, 32, v17
	s_waitcnt lgkmcnt(0)
	v_cndmask_b32_e64 v27, 0, 1, vcc
	v_lshlrev_b32_e32 v27, 5, v27
	v_add_lshl_u32 v28, v27, v5, 2
	ds_bpermute_b32 v27, v28, v10
	ds_bpermute_b32 v30, v28, v11
	ds_bpermute_b32 v5, v28, v9
	v_add_u32_e32 v29, 32, v17
	v_cmp_le_u32_e32 vcc, v29, v8
	s_and_saveexec_b64 s[60:61], vcc
	s_cbranch_execz .LBB1583_178
; %bb.177:
	v_mov_b32_e32 v8, 0
	v_cmp_eq_u16_sdwa vcc, v31, v8 src0_sel:BYTE_0 src1_sel:DWORD
	s_waitcnt lgkmcnt(2)
	v_cndmask_b32_e32 v9, 0, v27, vcc
	s_waitcnt lgkmcnt(1)
	v_cndmask_b32_e32 v8, 0, v30, vcc
	v_add_co_u32_e32 v10, vcc, v9, v10
	v_addc_co_u32_e32 v11, vcc, v8, v11, vcc
	v_and_b32_e32 v8, 1, v31
	s_waitcnt lgkmcnt(0)
	v_and_b32_e32 v5, 1, v5
	v_cmp_eq_u32_e32 vcc, 1, v8
	v_cmp_eq_u32_e64 s[46:47], 1, v5
	s_or_b64 s[46:47], vcc, s[46:47]
	v_cndmask_b32_e64 v31, 0, 1, s[46:47]
.LBB1583_178:
	s_or_b64 exec, exec, s[60:61]
	s_waitcnt lgkmcnt(0)
	v_mov_b32_e32 v5, 0
	v_mov_b32_e32 v30, 2
	s_branch .LBB1583_180
.LBB1583_179:                           ;   in Loop: Header=BB1583_180 Depth=1
	s_or_b64 exec, exec, s[64:65]
	v_cmp_eq_u16_sdwa vcc, v27, v5 src0_sel:BYTE_0 src1_sel:DWORD
	v_cndmask_b32_e32 v10, 0, v10, vcc
	v_cndmask_b32_e32 v11, 0, v11, vcc
	v_add_co_u32_e32 v10, vcc, v10, v8
	v_addc_co_u32_e32 v11, vcc, v11, v9, vcc
	v_and_b32_e32 v31, 1, v27
	v_cmp_eq_u32_e32 vcc, 1, v31
	s_or_b64 s[46:47], vcc, s[60:61]
	v_subrev_u32_e32 v4, 64, v4
	v_cndmask_b32_e64 v31, 0, 1, s[46:47]
.LBB1583_180:                           ; =>This Loop Header: Depth=1
                                        ;     Child Loop BB1583_183 Depth 2
                                        ;       Child Loop BB1583_184 Depth 3
	v_cmp_ne_u16_sdwa s[46:47], v16, v30 src0_sel:BYTE_0 src1_sel:DWORD
	v_cndmask_b32_e64 v8, 0, 1, s[46:47]
	;;#ASMSTART
	;;#ASMEND
	v_cmp_ne_u32_e32 vcc, 0, v8
	v_mov_b32_e32 v27, v31
	s_cmp_lg_u64 vcc, exec
	v_pk_mov_b32 v[8:9], v[10:11], v[10:11] op_sel:[0,1]
	s_cbranch_scc1 .LBB1583_199
; %bb.181:                              ;   in Loop: Header=BB1583_180 Depth=1
	global_load_ubyte v16, v4, s[52:53] glc
	s_waitcnt vmcnt(0)
	v_cmp_eq_u16_e32 vcc, 0, v16
	s_and_saveexec_b64 s[46:47], vcc
	s_cbranch_execz .LBB1583_187
; %bb.182:                              ;   in Loop: Header=BB1583_180 Depth=1
	v_mov_b32_e32 v11, s53
	v_add_co_u32_e32 v10, vcc, s52, v4
	v_addc_co_u32_e32 v11, vcc, 0, v11, vcc
	s_mov_b32 s64, 1
	s_mov_b64 s[60:61], 0
.LBB1583_183:                           ;   Parent Loop BB1583_180 Depth=1
                                        ; =>  This Loop Header: Depth=2
                                        ;       Child Loop BB1583_184 Depth 3
	s_max_u32 s65, s64, 1
.LBB1583_184:                           ;   Parent Loop BB1583_180 Depth=1
                                        ;     Parent Loop BB1583_183 Depth=2
                                        ; =>    This Inner Loop Header: Depth=3
	s_add_i32 s65, s65, -1
	s_cmp_eq_u32 s65, 0
	s_sleep 1
	s_cbranch_scc0 .LBB1583_184
; %bb.185:                              ;   in Loop: Header=BB1583_183 Depth=2
	global_load_ubyte v16, v[10:11], off glc
	s_cmp_lt_u32 s64, 32
	s_cselect_b64 s[72:73], -1, 0
	s_cmp_lg_u64 s[72:73], 0
	s_addc_u32 s64, s64, 0
	s_waitcnt vmcnt(0)
	v_cmp_ne_u16_e32 vcc, 0, v16
	s_or_b64 s[60:61], vcc, s[60:61]
	s_andn2_b64 exec, exec, s[60:61]
	s_cbranch_execnz .LBB1583_183
; %bb.186:                              ;   in Loop: Header=BB1583_180 Depth=1
	s_or_b64 exec, exec, s[60:61]
.LBB1583_187:                           ;   in Loop: Header=BB1583_180 Depth=1
	s_or_b64 exec, exec, s[46:47]
	v_mov_b32_e32 v10, s51
	v_mov_b32_e32 v11, s49
	v_cmp_eq_u16_e32 vcc, 1, v16
	v_cndmask_b32_e32 v31, v10, v11, vcc
	v_mov_b32_e32 v10, s50
	v_mov_b32_e32 v11, s48
	v_cndmask_b32_e32 v32, v10, v11, vcc
	v_lshlrev_b64 v[10:11], 4, v[4:5]
	v_add_co_u32_e32 v32, vcc, v32, v10
	s_waitcnt lgkmcnt(0)
	v_addc_co_u32_e32 v33, vcc, v31, v11, vcc
	buffer_wbinvl1_vol
	global_load_dwordx2 v[10:11], v[32:33], off
	global_load_ubyte v31, v[32:33], off offset:8
	v_cmp_eq_u16_e32 vcc, 2, v16
	v_and_b32_e32 v32, vcc_hi, v7
	v_or_b32_e32 v32, 0x80000000, v32
	v_and_b32_e32 v37, vcc_lo, v6
	v_ffbl_b32_e32 v32, v32
	v_add_u32_e32 v32, 32, v32
	v_ffbl_b32_e32 v37, v37
	v_min_u32_e32 v32, v37, v32
	v_cmp_lt_u32_e32 vcc, v17, v32
	s_waitcnt vmcnt(1)
	ds_bpermute_b32 v35, v18, v10
	s_waitcnt vmcnt(0)
	v_and_b32_e32 v33, 1, v31
	ds_bpermute_b32 v36, v18, v11
	ds_bpermute_b32 v34, v18, v33
	s_and_saveexec_b64 s[46:47], vcc
	s_cbranch_execz .LBB1583_189
; %bb.188:                              ;   in Loop: Header=BB1583_180 Depth=1
	v_cmp_eq_u16_sdwa vcc, v31, v5 src0_sel:BYTE_0 src1_sel:DWORD
	s_waitcnt lgkmcnt(2)
	v_cndmask_b32_e32 v35, 0, v35, vcc
	s_waitcnt lgkmcnt(1)
	v_cndmask_b32_e32 v33, 0, v36, vcc
	v_add_co_u32_e32 v10, vcc, v35, v10
	v_addc_co_u32_e32 v11, vcc, v33, v11, vcc
	s_waitcnt lgkmcnt(0)
	v_and_b32_e32 v33, 1, v34
	v_or_b32_e32 v31, v33, v31
	v_and_b32_e32 v33, 0xff, v31
.LBB1583_189:                           ;   in Loop: Header=BB1583_180 Depth=1
	s_or_b64 exec, exec, s[46:47]
	s_waitcnt lgkmcnt(2)
	ds_bpermute_b32 v35, v19, v10
	s_waitcnt lgkmcnt(2)
	ds_bpermute_b32 v36, v19, v11
	;; [unrolled: 2-line block ×3, first 2 shown]
	v_and_b32_e32 v37, 1, v31
	v_cmp_le_u32_e32 vcc, v20, v32
	v_cmp_eq_u32_e64 s[60:61], 1, v37
	s_and_saveexec_b64 s[46:47], vcc
	s_cbranch_execz .LBB1583_191
; %bb.190:                              ;   in Loop: Header=BB1583_180 Depth=1
	v_cmp_eq_u16_sdwa vcc, v31, v5 src0_sel:BYTE_0 src1_sel:DWORD
	s_waitcnt lgkmcnt(2)
	v_cndmask_b32_e32 v33, 0, v35, vcc
	s_waitcnt lgkmcnt(1)
	v_cndmask_b32_e32 v31, 0, v36, vcc
	v_add_co_u32_e32 v10, vcc, v33, v10
	v_addc_co_u32_e32 v11, vcc, v31, v11, vcc
	s_waitcnt lgkmcnt(0)
	v_and_b32_e32 v31, 1, v34
	v_cmp_eq_u32_e32 vcc, 1, v31
	s_or_b64 s[64:65], s[60:61], vcc
	v_cndmask_b32_e64 v31, 0, 1, s[64:65]
	v_cndmask_b32_e64 v33, 0, 1, s[64:65]
	s_andn2_b64 s[60:61], s[60:61], exec
	s_and_b64 s[64:65], s[64:65], exec
	s_or_b64 s[60:61], s[60:61], s[64:65]
.LBB1583_191:                           ;   in Loop: Header=BB1583_180 Depth=1
	s_or_b64 exec, exec, s[46:47]
	s_waitcnt lgkmcnt(2)
	ds_bpermute_b32 v35, v21, v10
	s_waitcnt lgkmcnt(2)
	ds_bpermute_b32 v36, v21, v11
	s_waitcnt lgkmcnt(2)
	ds_bpermute_b32 v34, v21, v33
	v_cmp_le_u32_e32 vcc, v22, v32
	s_and_saveexec_b64 s[64:65], vcc
	s_cbranch_execz .LBB1583_193
; %bb.192:                              ;   in Loop: Header=BB1583_180 Depth=1
	v_cmp_eq_u16_sdwa vcc, v31, v5 src0_sel:BYTE_0 src1_sel:DWORD
	s_waitcnt lgkmcnt(2)
	v_cndmask_b32_e32 v35, 0, v35, vcc
	s_waitcnt lgkmcnt(1)
	v_cndmask_b32_e32 v33, 0, v36, vcc
	v_add_co_u32_e32 v10, vcc, v35, v10
	v_addc_co_u32_e32 v11, vcc, v33, v11, vcc
	v_and_b32_e32 v31, 1, v31
	v_cmp_eq_u32_e32 vcc, 1, v31
	s_waitcnt lgkmcnt(0)
	v_and_b32_e32 v31, 1, v34
	v_cmp_eq_u32_e64 s[46:47], 1, v31
	s_or_b64 s[46:47], vcc, s[46:47]
	v_cndmask_b32_e64 v31, 0, 1, s[46:47]
	v_cndmask_b32_e64 v33, 0, 1, s[46:47]
	s_andn2_b64 s[60:61], s[60:61], exec
	s_and_b64 s[46:47], s[46:47], exec
	s_or_b64 s[60:61], s[60:61], s[46:47]
.LBB1583_193:                           ;   in Loop: Header=BB1583_180 Depth=1
	s_or_b64 exec, exec, s[64:65]
	s_waitcnt lgkmcnt(2)
	ds_bpermute_b32 v35, v23, v10
	s_waitcnt lgkmcnt(2)
	ds_bpermute_b32 v36, v23, v11
	s_waitcnt lgkmcnt(2)
	ds_bpermute_b32 v34, v23, v33
	v_cmp_le_u32_e32 vcc, v24, v32
	s_and_saveexec_b64 s[64:65], vcc
	s_cbranch_execz .LBB1583_195
; %bb.194:                              ;   in Loop: Header=BB1583_180 Depth=1
	v_cmp_eq_u16_sdwa vcc, v31, v5 src0_sel:BYTE_0 src1_sel:DWORD
	s_waitcnt lgkmcnt(2)
	v_cndmask_b32_e32 v35, 0, v35, vcc
	s_waitcnt lgkmcnt(1)
	v_cndmask_b32_e32 v33, 0, v36, vcc
	v_add_co_u32_e32 v10, vcc, v35, v10
	v_addc_co_u32_e32 v11, vcc, v33, v11, vcc
	v_and_b32_e32 v31, 1, v31
	v_cmp_eq_u32_e32 vcc, 1, v31
	s_waitcnt lgkmcnt(0)
	v_and_b32_e32 v31, 1, v34
	v_cmp_eq_u32_e64 s[46:47], 1, v31
	s_or_b64 s[46:47], vcc, s[46:47]
	v_cndmask_b32_e64 v31, 0, 1, s[46:47]
	v_cndmask_b32_e64 v33, 0, 1, s[46:47]
	s_andn2_b64 s[60:61], s[60:61], exec
	s_and_b64 s[46:47], s[46:47], exec
	s_or_b64 s[60:61], s[60:61], s[46:47]
.LBB1583_195:                           ;   in Loop: Header=BB1583_180 Depth=1
	;; [unrolled: 30-line block ×3, first 2 shown]
	s_or_b64 exec, exec, s[64:65]
	s_waitcnt lgkmcnt(0)
	ds_bpermute_b32 v34, v28, v10
	ds_bpermute_b32 v35, v28, v11
	;; [unrolled: 1-line block ×3, first 2 shown]
	v_cmp_le_u32_e32 vcc, v29, v32
	s_and_saveexec_b64 s[64:65], vcc
	s_cbranch_execz .LBB1583_179
; %bb.198:                              ;   in Loop: Header=BB1583_180 Depth=1
	v_cmp_eq_u16_sdwa vcc, v31, v5 src0_sel:BYTE_0 src1_sel:DWORD
	s_waitcnt lgkmcnt(2)
	v_cndmask_b32_e32 v34, 0, v34, vcc
	s_waitcnt lgkmcnt(1)
	v_cndmask_b32_e32 v32, 0, v35, vcc
	v_add_co_u32_e32 v10, vcc, v34, v10
	v_addc_co_u32_e32 v11, vcc, v32, v11, vcc
	v_and_b32_e32 v31, 1, v31
	v_cmp_eq_u32_e32 vcc, 1, v31
	s_waitcnt lgkmcnt(0)
	v_and_b32_e32 v31, 1, v33
	v_cmp_eq_u32_e64 s[46:47], 1, v31
	s_or_b64 s[46:47], vcc, s[46:47]
	s_andn2_b64 s[60:61], s[60:61], exec
	s_and_b64 s[46:47], s[46:47], exec
	s_or_b64 s[60:61], s[60:61], s[46:47]
	s_branch .LBB1583_179
.LBB1583_199:                           ;   in Loop: Header=BB1583_180 Depth=1
                                        ; implicit-def: $vgpr31
                                        ; implicit-def: $vgpr10_vgpr11
                                        ; implicit-def: $vgpr16
	s_cbranch_execz .LBB1583_180
; %bb.200:
	s_and_saveexec_b64 s[46:47], s[44:45]
	s_cbranch_execz .LBB1583_202
; %bb.201:
	v_mov_b32_e32 v4, 0
	s_mov_b32 s45, 0
	v_cmp_eq_u16_sdwa vcc, v15, v4 src0_sel:BYTE_0 src1_sel:DWORD
	s_add_i32 s44, s55, 64
	v_cndmask_b32_e32 v6, 0, v8, vcc
	s_lshl_b64 s[48:49], s[44:45], 4
	v_cndmask_b32_e32 v5, 0, v9, vcc
	v_add_co_u32_e32 v2, vcc, v6, v2
	s_add_u32 s48, s50, s48
	v_addc_co_u32_e32 v3, vcc, v5, v3, vcc
	v_or_b32_e32 v5, v15, v27
	s_addc_u32 s49, s51, s49
	v_and_b32_e32 v5, 1, v5
	global_store_dwordx2 v4, v[2:3], s[48:49]
	global_store_byte v4, v5, s[48:49] offset:8
	v_mov_b32_e32 v2, s44
	v_mov_b32_e32 v3, 2
	s_waitcnt vmcnt(0) lgkmcnt(0)
	buffer_wbinvl1_vol
	global_store_byte v2, v3, s[52:53]
.LBB1583_202:
	s_or_b64 exec, exec, s[46:47]
	s_and_b64 exec, exec, s[0:1]
	s_cbranch_execz .LBB1583_204
; %bb.203:
	v_mov_b32_e32 v2, 0
	ds_write_b64 v2, v[8:9]
	ds_write_b8 v2, v27 offset:8
.LBB1583_204:
	s_or_b64 exec, exec, s[58:59]
	v_mov_b32_e32 v4, 0
	s_waitcnt lgkmcnt(0)
	; wave barrier
	s_waitcnt lgkmcnt(0)
	ds_read_b64 v[2:3], v4
	v_cmp_eq_u32_sdwa vcc, v14, v4 src0_sel:BYTE_0 src1_sel:DWORD
	s_waitcnt lgkmcnt(0)
	v_cndmask_b32_e32 v6, 0, v2, vcc
	v_cndmask_b32_e32 v5, 0, v3, vcc
	v_add_co_u32_e32 v6, vcc, v12, v6
	v_addc_co_u32_e32 v5, vcc, v13, v5, vcc
	v_cndmask_b32_e64 v86, v6, v2, s[0:1]
	v_cmp_eq_u16_sdwa vcc, v1, v4 src0_sel:BYTE_0 src1_sel:DWORD
	v_cndmask_b32_e64 v87, v5, v3, s[0:1]
	v_cndmask_b32_e32 v3, 0, v86, vcc
	v_cndmask_b32_e32 v2, 0, v87, vcc
	v_add_co_u32_e32 v4, vcc, v3, v44
	v_addc_co_u32_e32 v5, vcc, v2, v45, vcc
	v_cndmask_b32_e64 v3, 0, v4, s[42:43]
	v_cndmask_b32_e64 v2, 0, v5, s[42:43]
	v_add_co_u32_e32 v6, vcc, v3, v48
	v_addc_co_u32_e32 v7, vcc, v2, v49, vcc
	v_cndmask_b32_e64 v3, 0, v6, s[40:41]
	v_cndmask_b32_e64 v2, 0, v7, s[40:41]
	;; [unrolled: 4-line block ×19, first 2 shown]
	s_branch .LBB1583_225
.LBB1583_205:
                                        ; implicit-def: $vgpr86_vgpr87
                                        ; implicit-def: $vgpr106_vgpr107
                                        ; implicit-def: $vgpr104_vgpr105
                                        ; implicit-def: $vgpr102_vgpr103
                                        ; implicit-def: $vgpr100_vgpr101
                                        ; implicit-def: $vgpr98_vgpr99
                                        ; implicit-def: $vgpr96_vgpr97
                                        ; implicit-def: $vgpr94_vgpr95
                                        ; implicit-def: $vgpr92_vgpr93
                                        ; implicit-def: $vgpr90_vgpr91
                                        ; implicit-def: $vgpr88_vgpr89
                                        ; implicit-def: $vgpr38_vgpr39_vgpr40_vgpr41
                                        ; implicit-def: $vgpr34_vgpr35_vgpr36_vgpr37
                                        ; implicit-def: $vgpr30_vgpr31_vgpr32_vgpr33
                                        ; implicit-def: $vgpr26_vgpr27_vgpr28_vgpr29
                                        ; implicit-def: $vgpr22_vgpr23_vgpr24_vgpr25
                                        ; implicit-def: $vgpr18_vgpr19_vgpr20_vgpr21
                                        ; implicit-def: $vgpr14_vgpr15_vgpr16_vgpr17
                                        ; implicit-def: $vgpr10_vgpr11_vgpr12_vgpr13
                                        ; implicit-def: $vgpr6_vgpr7_vgpr8_vgpr9
                                        ; implicit-def: $vgpr2_vgpr3_vgpr4_vgpr5
	s_cbranch_execz .LBB1583_225
; %bb.206:
	s_cmp_lg_u64 s[70:71], 0
	s_cselect_b32 s5, s67, 0
	s_cselect_b32 s4, s66, 0
	s_cmp_eq_u64 s[4:5], 0
	v_pk_mov_b32 v[2:3], s[68:69], s[68:69] op_sel:[0,1]
	s_cbranch_scc1 .LBB1583_208
; %bb.207:
	v_mov_b32_e32 v2, 0
	global_load_dwordx2 v[2:3], v2, s[4:5]
.LBB1583_208:
	v_mov_b32_e32 v4, 0
	v_cmp_eq_u16_sdwa s[40:41], v108, v4 src0_sel:BYTE_0 src1_sel:DWORD
	v_cndmask_b32_e64 v6, 0, v44, s[40:41]
	v_cndmask_b32_e64 v5, 0, v45, s[40:41]
	v_add_co_u32_e32 v6, vcc, v6, v48
	v_cmp_eq_u16_sdwa s[38:39], v109, v4 src0_sel:BYTE_0 src1_sel:DWORD
	v_addc_co_u32_e32 v5, vcc, v5, v49, vcc
	v_cndmask_b32_e64 v6, 0, v6, s[38:39]
	v_cndmask_b32_e64 v5, 0, v5, s[38:39]
	v_add_co_u32_e32 v6, vcc, v6, v50
	v_cmp_eq_u16_sdwa s[36:37], v111, v4 src0_sel:BYTE_0 src1_sel:DWORD
	v_addc_co_u32_e32 v5, vcc, v5, v51, vcc
	;; [unrolled: 5-line block ×17, first 2 shown]
	v_cndmask_b32_e64 v6, 0, v6, s[4:5]
	v_cndmask_b32_e64 v5, 0, v5, s[4:5]
	v_add_co_u32_e32 v6, vcc, v6, v82
	v_addc_co_u32_e32 v5, vcc, v5, v83, vcc
	v_cmp_eq_u16_sdwa vcc, v110, v4 src0_sel:BYTE_0 src1_sel:DWORD
	v_cndmask_b32_e32 v6, 0, v6, vcc
	v_cndmask_b32_e32 v5, 0, v5, vcc
	v_add_co_u32_e64 v6, s[42:43], v6, v46
	v_addc_co_u32_e64 v5, s[42:43], v5, v47, s[42:43]
	v_cmp_eq_u16_sdwa s[42:43], v127, v4 src0_sel:BYTE_0 src1_sel:DWORD
	v_cndmask_b32_e64 v4, 0, v6, s[42:43]
	v_or_b32_e32 v6, v129, v125
	v_or_b32_e32 v6, v6, v124
	;; [unrolled: 1-line block ×18, first 2 shown]
	v_cndmask_b32_e64 v5, 0, v5, s[42:43]
	v_add_co_u32_e64 v4, s[42:43], v4, v84
	v_and_b32_e32 v7, 1, v6
	v_mbcnt_hi_u32_b32 v6, -1, v128
	v_addc_co_u32_e64 v5, s[42:43], v5, v85, s[42:43]
	v_and_b32_e32 v9, 15, v6
	v_cmp_eq_u32_e64 s[42:43], 1, v7
	v_mov_b32_dpp v11, v4 row_shr:1 row_mask:0xf bank_mask:0xf
	v_mov_b32_dpp v12, v5 row_shr:1 row_mask:0xf bank_mask:0xf
	;; [unrolled: 1-line block ×3, first 2 shown]
	v_cmp_ne_u32_e64 s[44:45], 0, v9
	v_mov_b32_e32 v8, v7
	s_and_saveexec_b64 s[46:47], s[44:45]
; %bb.209:
	v_cndmask_b32_e64 v11, v11, 0, s[42:43]
	v_cndmask_b32_e64 v8, v12, 0, s[42:43]
	v_add_co_u32_e64 v4, s[42:43], v11, v4
	v_addc_co_u32_e64 v5, s[42:43], v8, v5, s[42:43]
	v_and_b32_e32 v8, 1, v10
	v_or_b32_e32 v7, v8, v7
	v_and_b32_e32 v8, 0xffff, v7
; %bb.210:
	s_or_b64 exec, exec, s[46:47]
	v_mov_b32_dpp v11, v4 row_shr:2 row_mask:0xf bank_mask:0xf
	v_mov_b32_dpp v12, v5 row_shr:2 row_mask:0xf bank_mask:0xf
	v_mov_b32_dpp v10, v8 row_shr:2 row_mask:0xf bank_mask:0xf
	v_cmp_lt_u32_e64 s[42:43], 1, v9
	s_and_saveexec_b64 s[46:47], s[42:43]
	s_cbranch_execz .LBB1583_212
; %bb.211:
	v_cmp_eq_u16_e64 s[42:43], 0, v7
	v_cndmask_b32_e64 v11, 0, v11, s[42:43]
	v_cndmask_b32_e64 v8, 0, v12, s[42:43]
	v_add_co_u32_e64 v4, s[42:43], v11, v4
	v_addc_co_u32_e64 v5, s[42:43], v8, v5, s[42:43]
	v_and_b32_e32 v7, 1, v7
	v_cmp_eq_u32_e64 s[42:43], 1, v7
	v_and_b32_e32 v7, 1, v10
	v_cmp_eq_u32_e64 s[44:45], 1, v7
	s_or_b64 s[42:43], s[42:43], s[44:45]
	v_cndmask_b32_e64 v7, 0, 1, s[42:43]
	v_cndmask_b32_e64 v8, 0, 1, s[42:43]
.LBB1583_212:
	s_or_b64 exec, exec, s[46:47]
	v_mov_b32_dpp v11, v4 row_shr:4 row_mask:0xf bank_mask:0xf
	v_mov_b32_dpp v12, v5 row_shr:4 row_mask:0xf bank_mask:0xf
	v_mov_b32_dpp v10, v8 row_shr:4 row_mask:0xf bank_mask:0xf
	v_cmp_lt_u32_e64 s[42:43], 3, v9
	s_and_saveexec_b64 s[46:47], s[42:43]
	s_cbranch_execz .LBB1583_214
; %bb.213:
	v_cmp_eq_u16_e64 s[42:43], 0, v7
	v_cndmask_b32_e64 v11, 0, v11, s[42:43]
	v_cndmask_b32_e64 v8, 0, v12, s[42:43]
	v_add_co_u32_e64 v4, s[42:43], v11, v4
	v_addc_co_u32_e64 v5, s[42:43], v8, v5, s[42:43]
	v_and_b32_e32 v7, 1, v7
	v_cmp_eq_u32_e64 s[42:43], 1, v7
	v_and_b32_e32 v7, 1, v10
	v_cmp_eq_u32_e64 s[44:45], 1, v7
	s_or_b64 s[42:43], s[42:43], s[44:45]
	v_cndmask_b32_e64 v7, 0, 1, s[42:43]
	v_cndmask_b32_e64 v8, 0, 1, s[42:43]
.LBB1583_214:
	;; [unrolled: 21-line block ×3, first 2 shown]
	s_or_b64 exec, exec, s[46:47]
	v_and_b32_e32 v12, 16, v6
	v_mov_b32_dpp v10, v4 row_bcast:15 row_mask:0xf bank_mask:0xf
	v_mov_b32_dpp v11, v5 row_bcast:15 row_mask:0xf bank_mask:0xf
	;; [unrolled: 1-line block ×3, first 2 shown]
	v_cmp_ne_u32_e64 s[42:43], 0, v12
	s_and_saveexec_b64 s[46:47], s[42:43]
	s_cbranch_execz .LBB1583_218
; %bb.217:
	v_cmp_eq_u16_e64 s[42:43], 0, v7
	v_cndmask_b32_e64 v10, 0, v10, s[42:43]
	v_cndmask_b32_e64 v8, 0, v11, s[42:43]
	v_add_co_u32_e64 v4, s[42:43], v10, v4
	v_addc_co_u32_e64 v5, s[42:43], v8, v5, s[42:43]
	v_and_b32_e32 v7, 1, v7
	v_cmp_eq_u32_e64 s[42:43], 1, v7
	v_and_b32_e32 v7, 1, v9
	v_cmp_eq_u32_e64 s[44:45], 1, v7
	s_or_b64 s[42:43], s[42:43], s[44:45]
	v_cndmask_b32_e64 v7, 0, 1, s[42:43]
	v_cndmask_b32_e64 v8, 0, 1, s[42:43]
.LBB1583_218:
	s_or_b64 exec, exec, s[46:47]
	v_mov_b32_dpp v9, v4 row_bcast:31 row_mask:0xf bank_mask:0xf
	v_mov_b32_dpp v10, v5 row_bcast:31 row_mask:0xf bank_mask:0xf
	v_mov_b32_dpp v8, v8 row_bcast:31 row_mask:0xf bank_mask:0xf
	v_cmp_lt_u32_e64 s[42:43], 31, v6
	s_and_saveexec_b64 s[46:47], s[42:43]
; %bb.219:
	v_cmp_eq_u16_e64 s[42:43], 0, v7
	v_cndmask_b32_e64 v9, 0, v9, s[42:43]
	v_cndmask_b32_e64 v10, 0, v10, s[42:43]
	v_add_co_u32_e64 v4, s[42:43], v9, v4
	v_addc_co_u32_e64 v5, s[42:43], v10, v5, s[42:43]
	v_and_b32_e32 v7, 1, v7
	v_cmp_eq_u32_e64 s[42:43], 1, v7
	v_and_b32_e32 v7, 1, v8
	v_cmp_eq_u32_e64 s[44:45], 1, v7
	s_or_b64 s[42:43], s[42:43], s[44:45]
	v_cndmask_b32_e64 v7, 0, 1, s[42:43]
; %bb.220:
	s_or_b64 exec, exec, s[46:47]
	v_cmp_eq_u32_e64 s[42:43], 63, v0
	s_and_saveexec_b64 s[44:45], s[42:43]
	s_cbranch_execz .LBB1583_222
; %bb.221:
	v_mov_b32_e32 v8, 0
	ds_write_b64 v8, v[4:5]
	ds_write_b8 v8, v7 offset:8
.LBB1583_222:
	s_or_b64 exec, exec, s[44:45]
	v_cmp_eq_u16_e64 s[42:43], 0, v7
	s_waitcnt vmcnt(0)
	v_cndmask_b32_e64 v8, 0, v2, s[42:43]
	v_cndmask_b32_e64 v7, 0, v3, s[42:43]
	v_add_co_u32_e64 v4, s[42:43], v8, v4
	v_addc_co_u32_e64 v5, s[42:43], v7, v5, s[42:43]
	v_add_u32_e32 v7, -1, v6
	v_and_b32_e32 v8, 64, v6
	v_cmp_lt_i32_e64 s[42:43], v7, v8
	v_cndmask_b32_e64 v7, v7, v6, s[42:43]
	v_lshlrev_b32_e32 v7, 2, v7
	ds_bpermute_b32 v5, v7, v5
	ds_bpermute_b32 v4, v7, v4
	v_cmp_eq_u32_e64 s[42:43], 0, v6
	s_or_b64 s[42:43], s[0:1], s[42:43]
	v_mov_b32_e32 v8, 0
	s_waitcnt lgkmcnt(1)
	v_cndmask_b32_e64 v87, v5, v3, s[42:43]
	s_waitcnt lgkmcnt(0)
	v_cndmask_b32_e64 v86, v4, v2, s[42:43]
	v_cmp_eq_u16_sdwa s[42:43], v1, v8 src0_sel:BYTE_0 src1_sel:DWORD
	v_cndmask_b32_e64 v4, 0, v86, s[42:43]
	v_cndmask_b32_e64 v1, 0, v87, s[42:43]
	v_add_co_u32_e64 v4, s[42:43], v4, v44
	v_addc_co_u32_e64 v5, s[42:43], v1, v45, s[42:43]
	v_cndmask_b32_e64 v6, 0, v4, s[40:41]
	v_cndmask_b32_e64 v1, 0, v5, s[40:41]
	v_add_co_u32_e64 v6, s[40:41], v6, v48
	v_addc_co_u32_e64 v7, s[40:41], v1, v49, s[40:41]
	;; [unrolled: 4-line block ×19, first 2 shown]
	v_cndmask_b32_e32 v107, 0, v105, vcc
	v_cndmask_b32_e32 v106, 0, v104, vcc
	s_waitcnt lgkmcnt(0)
	; wave barrier
	s_and_saveexec_b64 s[4:5], s[0:1]
	s_cbranch_execz .LBB1583_224
; %bb.223:
	ds_read_u8 v1, v8 offset:8
	ds_read_b64 v[12:13], v8
	v_pk_mov_b32 v[86:87], v[2:3], v[2:3] op_sel:[0,1]
	s_waitcnt lgkmcnt(1)
	v_cmp_eq_u16_e32 vcc, 0, v1
	v_cndmask_b32_e32 v16, 0, v2, vcc
	v_cndmask_b32_e32 v9, 0, v3, vcc
	s_waitcnt lgkmcnt(0)
	v_add_co_u32_e32 v12, vcc, v16, v12
	v_addc_co_u32_e32 v13, vcc, v9, v13, vcc
	global_store_dwordx2 v8, v[12:13], s[50:51] offset:1024
	global_store_byte v8, v1, s[50:51] offset:1032
	v_mov_b32_e32 v1, 2
	s_waitcnt vmcnt(0)
	buffer_wbinvl1_vol
	global_store_byte v8, v1, s[52:53] offset:64
.LBB1583_224:
	s_or_b64 exec, exec, s[4:5]
.LBB1583_225:
	s_add_u32 s0, s62, s56
	v_add_co_u32_e32 v2, vcc, v106, v46
	s_addc_u32 s1, s63, s57
	v_addc_co_u32_e32 v3, vcc, v107, v47, vcc
	v_mov_b32_e32 v1, s1
	v_add_co_u32_e32 v12, vcc, s0, v42
	v_addc_co_u32_e32 v13, vcc, v1, v43, vcc
	s_and_b64 vcc, exec, s[2:3]
	v_lshlrev_b32_e32 v16, 3, v0
	s_cbranch_vccz .LBB1583_267
; %bb.226:
	s_movk_i32 s0, 0xa8
	v_mul_i32_i24_e32 v20, 0xffffff60, v0
	v_mul_u32_u24_e32 v17, 0xa8, v0
	v_mad_u32_u24 v8, v0, s0, v20
	s_waitcnt lgkmcnt(0)
	; wave barrier
	ds_write2_b64 v17, v[86:87], v[4:5] offset1:1
	ds_write2_b64 v17, v[6:7], v[88:89] offset0:2 offset1:3
	ds_write2_b64 v17, v[10:11], v[90:91] offset0:4 offset1:5
	;; [unrolled: 1-line block ×9, first 2 shown]
	ds_write_b64 v17, v[2:3] offset:160
	s_waitcnt lgkmcnt(0)
	; wave barrier
	s_waitcnt lgkmcnt(0)
	ds_read2st64_b64 v[76:79], v8 offset0:1 offset1:2
	ds_read2st64_b64 v[72:75], v8 offset0:3 offset1:4
	;; [unrolled: 1-line block ×10, first 2 shown]
	v_add_co_u32_e32 v8, vcc, v12, v16
	s_add_i32 s33, s33, s54
	v_addc_co_u32_e32 v9, vcc, 0, v13, vcc
	v_mov_b32_e32 v1, 0
	v_cmp_gt_u32_e32 vcc, s33, v0
	s_and_saveexec_b64 s[0:1], vcc
	s_cbranch_execz .LBB1583_228
; %bb.227:
	v_add_u32_e32 v17, v17, v20
	ds_read_b64 v[20:21], v17
	s_waitcnt lgkmcnt(0)
	flat_store_dwordx2 v[8:9], v[20:21]
.LBB1583_228:
	s_or_b64 exec, exec, s[0:1]
	v_or_b32_e32 v17, 64, v0
	v_cmp_gt_u32_e32 vcc, s33, v17
	s_and_saveexec_b64 s[0:1], vcc
	s_cbranch_execz .LBB1583_230
; %bb.229:
	s_waitcnt lgkmcnt(0)
	flat_store_dwordx2 v[8:9], v[76:77] offset:512
.LBB1583_230:
	s_or_b64 exec, exec, s[0:1]
	v_or_b32_e32 v17, 0x80, v0
	v_cmp_gt_u32_e32 vcc, s33, v17
	s_and_saveexec_b64 s[0:1], vcc
	s_cbranch_execz .LBB1583_232
; %bb.231:
	s_waitcnt lgkmcnt(0)
	flat_store_dwordx2 v[8:9], v[78:79] offset:1024
.LBB1583_232:
	;; [unrolled: 9-line block ×7, first 2 shown]
	s_or_b64 exec, exec, s[0:1]
	v_or_b32_e32 v17, 0x200, v0
	v_cmp_gt_u32_e32 vcc, s33, v17
	s_and_saveexec_b64 s[0:1], vcc
	s_cbranch_execz .LBB1583_244
; %bb.243:
	v_add_co_u32_e32 v20, vcc, 0x1000, v8
	v_addc_co_u32_e32 v21, vcc, 0, v9, vcc
	s_waitcnt lgkmcnt(0)
	flat_store_dwordx2 v[20:21], v[66:67]
.LBB1583_244:
	s_or_b64 exec, exec, s[0:1]
	v_or_b32_e32 v17, 0x240, v0
	v_cmp_gt_u32_e32 vcc, s33, v17
	s_and_saveexec_b64 s[0:1], vcc
	s_cbranch_execz .LBB1583_246
; %bb.245:
	v_add_co_u32_e32 v20, vcc, 0x1000, v8
	v_addc_co_u32_e32 v21, vcc, 0, v9, vcc
	s_waitcnt lgkmcnt(0)
	flat_store_dwordx2 v[20:21], v[60:61] offset:512
.LBB1583_246:
	s_or_b64 exec, exec, s[0:1]
	v_or_b32_e32 v17, 0x280, v0
	v_cmp_gt_u32_e32 vcc, s33, v17
	s_and_saveexec_b64 s[0:1], vcc
	s_cbranch_execz .LBB1583_248
; %bb.247:
	v_add_co_u32_e32 v20, vcc, 0x1000, v8
	v_addc_co_u32_e32 v21, vcc, 0, v9, vcc
	s_waitcnt lgkmcnt(0)
	flat_store_dwordx2 v[20:21], v[62:63] offset:1024
.LBB1583_248:
	;; [unrolled: 11-line block ×7, first 2 shown]
	s_or_b64 exec, exec, s[0:1]
	v_or_b32_e32 v17, 0x400, v0
	v_cmp_gt_u32_e32 vcc, s33, v17
	s_and_saveexec_b64 s[0:1], vcc
	s_cbranch_execz .LBB1583_260
; %bb.259:
	v_add_co_u32_e32 v20, vcc, 0x2000, v8
	v_addc_co_u32_e32 v21, vcc, 0, v9, vcc
	s_waitcnt lgkmcnt(0)
	flat_store_dwordx2 v[20:21], v[50:51]
.LBB1583_260:
	s_or_b64 exec, exec, s[0:1]
	v_or_b32_e32 v17, 0x440, v0
	v_cmp_gt_u32_e32 vcc, s33, v17
	s_and_saveexec_b64 s[0:1], vcc
	s_cbranch_execz .LBB1583_262
; %bb.261:
	v_add_co_u32_e32 v20, vcc, 0x2000, v8
	v_addc_co_u32_e32 v21, vcc, 0, v9, vcc
	s_waitcnt lgkmcnt(0)
	flat_store_dwordx2 v[20:21], v[44:45] offset:512
.LBB1583_262:
	s_or_b64 exec, exec, s[0:1]
	v_or_b32_e32 v17, 0x480, v0
	v_cmp_gt_u32_e32 vcc, s33, v17
	s_and_saveexec_b64 s[0:1], vcc
	s_cbranch_execz .LBB1583_264
; %bb.263:
	v_add_co_u32_e32 v20, vcc, 0x2000, v8
	v_addc_co_u32_e32 v21, vcc, 0, v9, vcc
	s_waitcnt lgkmcnt(0)
	flat_store_dwordx2 v[20:21], v[46:47] offset:1024
.LBB1583_264:
	;; [unrolled: 11-line block ×3, first 2 shown]
	s_or_b64 exec, exec, s[0:1]
	v_or_b32_e32 v8, 0x500, v0
	v_cmp_gt_u32_e64 s[0:1], s33, v8
	s_branch .LBB1583_269
.LBB1583_267:
	s_mov_b64 s[0:1], 0
                                        ; implicit-def: $vgpr42_vgpr43
	s_cbranch_execz .LBB1583_269
; %bb.268:
	v_mul_u32_u24_e32 v1, 0xa8, v0
	s_waitcnt lgkmcnt(0)
	; wave barrier
	s_waitcnt lgkmcnt(0)
	s_movk_i32 s2, 0xa8
	ds_write2_b64 v1, v[86:87], v[4:5] offset1:1
	ds_write2_b64 v1, v[6:7], v[88:89] offset0:2 offset1:3
	ds_write2_b64 v1, v[10:11], v[90:91] offset0:4 offset1:5
	;; [unrolled: 1-line block ×9, first 2 shown]
	ds_write_b64 v1, v[2:3] offset:160
	v_mul_i32_i24_e32 v2, 0xffffff60, v0
	v_mad_u32_u24 v10, v0, s2, v2
	s_waitcnt lgkmcnt(0)
	; wave barrier
	s_waitcnt lgkmcnt(0)
	ds_read2st64_b64 v[2:5], v10 offset1:1
	ds_read2st64_b64 v[6:9], v10 offset0:2 offset1:3
	ds_read2st64_b64 v[18:21], v10 offset0:4 offset1:5
	;; [unrolled: 1-line block ×9, first 2 shown]
	ds_read_b64 v[42:43], v10 offset:10240
	v_add_co_u32_e32 v10, vcc, v12, v16
	v_addc_co_u32_e32 v11, vcc, 0, v13, vcc
	s_movk_i32 s2, 0x1000
	s_waitcnt lgkmcnt(0)
	flat_store_dwordx2 v[10:11], v[2:3]
	flat_store_dwordx2 v[10:11], v[4:5] offset:512
	flat_store_dwordx2 v[10:11], v[6:7] offset:1024
	;; [unrolled: 1-line block ×7, first 2 shown]
	v_add_co_u32_e32 v2, vcc, s2, v10
	v_addc_co_u32_e32 v3, vcc, 0, v11, vcc
	flat_store_dwordx2 v[2:3], v[26:27]
	flat_store_dwordx2 v[2:3], v[28:29] offset:512
	flat_store_dwordx2 v[2:3], v[30:31] offset:1024
	;; [unrolled: 1-line block ×7, first 2 shown]
	v_add_co_u32_e32 v2, vcc, 0x2000, v10
	v_mov_b32_e32 v1, 0
	v_addc_co_u32_e32 v3, vcc, 0, v11, vcc
	s_or_b64 s[0:1], s[0:1], exec
	flat_store_dwordx2 v[2:3], v[44:45]
	flat_store_dwordx2 v[2:3], v[46:47] offset:512
	flat_store_dwordx2 v[2:3], v[48:49] offset:1024
	;; [unrolled: 1-line block ×3, first 2 shown]
.LBB1583_269:
	s_and_saveexec_b64 s[2:3], s[0:1]
	s_cbranch_execz .LBB1583_271
; %bb.270:
	v_lshlrev_b64 v[0:1], 3, v[0:1]
	v_add_co_u32_e32 v0, vcc, v12, v0
	v_addc_co_u32_e32 v1, vcc, v13, v1, vcc
	v_add_co_u32_e32 v0, vcc, 0x2000, v0
	v_addc_co_u32_e32 v1, vcc, 0, v1, vcc
	s_waitcnt lgkmcnt(0)
	flat_store_dwordx2 v[0:1], v[42:43] offset:2048
	s_endpgm
.LBB1583_271:
	s_endpgm
	.section	.rodata,"a",@progbits
	.p2align	6, 0x0
	.amdhsa_kernel _ZN7rocprim17ROCPRIM_400000_NS6detail17trampoline_kernelINS0_14default_configENS1_27scan_by_key_config_selectorIixEEZZNS1_16scan_by_key_implILNS1_25lookback_scan_determinismE0ELb1ES3_N6thrust23THRUST_200600_302600_NS6detail15normal_iteratorINS9_10device_ptrIiEEEENSB_INSC_IxEEEESG_xNS9_4plusIvEENS9_8equal_toIvEExEE10hipError_tPvRmT2_T3_T4_T5_mT6_T7_P12ihipStream_tbENKUlT_T0_E_clISt17integral_constantIbLb1EES11_EEDaSW_SX_EUlSW_E_NS1_11comp_targetILNS1_3genE4ELNS1_11target_archE910ELNS1_3gpuE8ELNS1_3repE0EEENS1_30default_config_static_selectorELNS0_4arch9wavefront6targetE1EEEvT1_
		.amdhsa_group_segment_fixed_size 10752
		.amdhsa_private_segment_fixed_size 0
		.amdhsa_kernarg_size 136
		.amdhsa_user_sgpr_count 6
		.amdhsa_user_sgpr_private_segment_buffer 1
		.amdhsa_user_sgpr_dispatch_ptr 0
		.amdhsa_user_sgpr_queue_ptr 0
		.amdhsa_user_sgpr_kernarg_segment_ptr 1
		.amdhsa_user_sgpr_dispatch_id 0
		.amdhsa_user_sgpr_flat_scratch_init 0
		.amdhsa_user_sgpr_kernarg_preload_length 0
		.amdhsa_user_sgpr_kernarg_preload_offset 0
		.amdhsa_user_sgpr_private_segment_size 0
		.amdhsa_uses_dynamic_stack 0
		.amdhsa_system_sgpr_private_segment_wavefront_offset 0
		.amdhsa_system_sgpr_workgroup_id_x 1
		.amdhsa_system_sgpr_workgroup_id_y 0
		.amdhsa_system_sgpr_workgroup_id_z 0
		.amdhsa_system_sgpr_workgroup_info 0
		.amdhsa_system_vgpr_workitem_id 0
		.amdhsa_next_free_vgpr 130
		.amdhsa_next_free_sgpr 74
		.amdhsa_accum_offset 132
		.amdhsa_reserve_vcc 1
		.amdhsa_reserve_flat_scratch 0
		.amdhsa_float_round_mode_32 0
		.amdhsa_float_round_mode_16_64 0
		.amdhsa_float_denorm_mode_32 3
		.amdhsa_float_denorm_mode_16_64 3
		.amdhsa_dx10_clamp 1
		.amdhsa_ieee_mode 1
		.amdhsa_fp16_overflow 0
		.amdhsa_tg_split 0
		.amdhsa_exception_fp_ieee_invalid_op 0
		.amdhsa_exception_fp_denorm_src 0
		.amdhsa_exception_fp_ieee_div_zero 0
		.amdhsa_exception_fp_ieee_overflow 0
		.amdhsa_exception_fp_ieee_underflow 0
		.amdhsa_exception_fp_ieee_inexact 0
		.amdhsa_exception_int_div_zero 0
	.end_amdhsa_kernel
	.section	.text._ZN7rocprim17ROCPRIM_400000_NS6detail17trampoline_kernelINS0_14default_configENS1_27scan_by_key_config_selectorIixEEZZNS1_16scan_by_key_implILNS1_25lookback_scan_determinismE0ELb1ES3_N6thrust23THRUST_200600_302600_NS6detail15normal_iteratorINS9_10device_ptrIiEEEENSB_INSC_IxEEEESG_xNS9_4plusIvEENS9_8equal_toIvEExEE10hipError_tPvRmT2_T3_T4_T5_mT6_T7_P12ihipStream_tbENKUlT_T0_E_clISt17integral_constantIbLb1EES11_EEDaSW_SX_EUlSW_E_NS1_11comp_targetILNS1_3genE4ELNS1_11target_archE910ELNS1_3gpuE8ELNS1_3repE0EEENS1_30default_config_static_selectorELNS0_4arch9wavefront6targetE1EEEvT1_,"axG",@progbits,_ZN7rocprim17ROCPRIM_400000_NS6detail17trampoline_kernelINS0_14default_configENS1_27scan_by_key_config_selectorIixEEZZNS1_16scan_by_key_implILNS1_25lookback_scan_determinismE0ELb1ES3_N6thrust23THRUST_200600_302600_NS6detail15normal_iteratorINS9_10device_ptrIiEEEENSB_INSC_IxEEEESG_xNS9_4plusIvEENS9_8equal_toIvEExEE10hipError_tPvRmT2_T3_T4_T5_mT6_T7_P12ihipStream_tbENKUlT_T0_E_clISt17integral_constantIbLb1EES11_EEDaSW_SX_EUlSW_E_NS1_11comp_targetILNS1_3genE4ELNS1_11target_archE910ELNS1_3gpuE8ELNS1_3repE0EEENS1_30default_config_static_selectorELNS0_4arch9wavefront6targetE1EEEvT1_,comdat
.Lfunc_end1583:
	.size	_ZN7rocprim17ROCPRIM_400000_NS6detail17trampoline_kernelINS0_14default_configENS1_27scan_by_key_config_selectorIixEEZZNS1_16scan_by_key_implILNS1_25lookback_scan_determinismE0ELb1ES3_N6thrust23THRUST_200600_302600_NS6detail15normal_iteratorINS9_10device_ptrIiEEEENSB_INSC_IxEEEESG_xNS9_4plusIvEENS9_8equal_toIvEExEE10hipError_tPvRmT2_T3_T4_T5_mT6_T7_P12ihipStream_tbENKUlT_T0_E_clISt17integral_constantIbLb1EES11_EEDaSW_SX_EUlSW_E_NS1_11comp_targetILNS1_3genE4ELNS1_11target_archE910ELNS1_3gpuE8ELNS1_3repE0EEENS1_30default_config_static_selectorELNS0_4arch9wavefront6targetE1EEEvT1_, .Lfunc_end1583-_ZN7rocprim17ROCPRIM_400000_NS6detail17trampoline_kernelINS0_14default_configENS1_27scan_by_key_config_selectorIixEEZZNS1_16scan_by_key_implILNS1_25lookback_scan_determinismE0ELb1ES3_N6thrust23THRUST_200600_302600_NS6detail15normal_iteratorINS9_10device_ptrIiEEEENSB_INSC_IxEEEESG_xNS9_4plusIvEENS9_8equal_toIvEExEE10hipError_tPvRmT2_T3_T4_T5_mT6_T7_P12ihipStream_tbENKUlT_T0_E_clISt17integral_constantIbLb1EES11_EEDaSW_SX_EUlSW_E_NS1_11comp_targetILNS1_3genE4ELNS1_11target_archE910ELNS1_3gpuE8ELNS1_3repE0EEENS1_30default_config_static_selectorELNS0_4arch9wavefront6targetE1EEEvT1_
                                        ; -- End function
	.section	.AMDGPU.csdata,"",@progbits
; Kernel info:
; codeLenInByte = 17028
; NumSgprs: 78
; NumVgprs: 130
; NumAgprs: 0
; TotalNumVgprs: 130
; ScratchSize: 0
; MemoryBound: 0
; FloatMode: 240
; IeeeMode: 1
; LDSByteSize: 10752 bytes/workgroup (compile time only)
; SGPRBlocks: 9
; VGPRBlocks: 16
; NumSGPRsForWavesPerEU: 78
; NumVGPRsForWavesPerEU: 130
; AccumOffset: 132
; Occupancy: 2
; WaveLimiterHint : 1
; COMPUTE_PGM_RSRC2:SCRATCH_EN: 0
; COMPUTE_PGM_RSRC2:USER_SGPR: 6
; COMPUTE_PGM_RSRC2:TRAP_HANDLER: 0
; COMPUTE_PGM_RSRC2:TGID_X_EN: 1
; COMPUTE_PGM_RSRC2:TGID_Y_EN: 0
; COMPUTE_PGM_RSRC2:TGID_Z_EN: 0
; COMPUTE_PGM_RSRC2:TIDIG_COMP_CNT: 0
; COMPUTE_PGM_RSRC3_GFX90A:ACCUM_OFFSET: 32
; COMPUTE_PGM_RSRC3_GFX90A:TG_SPLIT: 0
	.section	.text._ZN7rocprim17ROCPRIM_400000_NS6detail17trampoline_kernelINS0_14default_configENS1_27scan_by_key_config_selectorIixEEZZNS1_16scan_by_key_implILNS1_25lookback_scan_determinismE0ELb1ES3_N6thrust23THRUST_200600_302600_NS6detail15normal_iteratorINS9_10device_ptrIiEEEENSB_INSC_IxEEEESG_xNS9_4plusIvEENS9_8equal_toIvEExEE10hipError_tPvRmT2_T3_T4_T5_mT6_T7_P12ihipStream_tbENKUlT_T0_E_clISt17integral_constantIbLb1EES11_EEDaSW_SX_EUlSW_E_NS1_11comp_targetILNS1_3genE3ELNS1_11target_archE908ELNS1_3gpuE7ELNS1_3repE0EEENS1_30default_config_static_selectorELNS0_4arch9wavefront6targetE1EEEvT1_,"axG",@progbits,_ZN7rocprim17ROCPRIM_400000_NS6detail17trampoline_kernelINS0_14default_configENS1_27scan_by_key_config_selectorIixEEZZNS1_16scan_by_key_implILNS1_25lookback_scan_determinismE0ELb1ES3_N6thrust23THRUST_200600_302600_NS6detail15normal_iteratorINS9_10device_ptrIiEEEENSB_INSC_IxEEEESG_xNS9_4plusIvEENS9_8equal_toIvEExEE10hipError_tPvRmT2_T3_T4_T5_mT6_T7_P12ihipStream_tbENKUlT_T0_E_clISt17integral_constantIbLb1EES11_EEDaSW_SX_EUlSW_E_NS1_11comp_targetILNS1_3genE3ELNS1_11target_archE908ELNS1_3gpuE7ELNS1_3repE0EEENS1_30default_config_static_selectorELNS0_4arch9wavefront6targetE1EEEvT1_,comdat
	.protected	_ZN7rocprim17ROCPRIM_400000_NS6detail17trampoline_kernelINS0_14default_configENS1_27scan_by_key_config_selectorIixEEZZNS1_16scan_by_key_implILNS1_25lookback_scan_determinismE0ELb1ES3_N6thrust23THRUST_200600_302600_NS6detail15normal_iteratorINS9_10device_ptrIiEEEENSB_INSC_IxEEEESG_xNS9_4plusIvEENS9_8equal_toIvEExEE10hipError_tPvRmT2_T3_T4_T5_mT6_T7_P12ihipStream_tbENKUlT_T0_E_clISt17integral_constantIbLb1EES11_EEDaSW_SX_EUlSW_E_NS1_11comp_targetILNS1_3genE3ELNS1_11target_archE908ELNS1_3gpuE7ELNS1_3repE0EEENS1_30default_config_static_selectorELNS0_4arch9wavefront6targetE1EEEvT1_ ; -- Begin function _ZN7rocprim17ROCPRIM_400000_NS6detail17trampoline_kernelINS0_14default_configENS1_27scan_by_key_config_selectorIixEEZZNS1_16scan_by_key_implILNS1_25lookback_scan_determinismE0ELb1ES3_N6thrust23THRUST_200600_302600_NS6detail15normal_iteratorINS9_10device_ptrIiEEEENSB_INSC_IxEEEESG_xNS9_4plusIvEENS9_8equal_toIvEExEE10hipError_tPvRmT2_T3_T4_T5_mT6_T7_P12ihipStream_tbENKUlT_T0_E_clISt17integral_constantIbLb1EES11_EEDaSW_SX_EUlSW_E_NS1_11comp_targetILNS1_3genE3ELNS1_11target_archE908ELNS1_3gpuE7ELNS1_3repE0EEENS1_30default_config_static_selectorELNS0_4arch9wavefront6targetE1EEEvT1_
	.globl	_ZN7rocprim17ROCPRIM_400000_NS6detail17trampoline_kernelINS0_14default_configENS1_27scan_by_key_config_selectorIixEEZZNS1_16scan_by_key_implILNS1_25lookback_scan_determinismE0ELb1ES3_N6thrust23THRUST_200600_302600_NS6detail15normal_iteratorINS9_10device_ptrIiEEEENSB_INSC_IxEEEESG_xNS9_4plusIvEENS9_8equal_toIvEExEE10hipError_tPvRmT2_T3_T4_T5_mT6_T7_P12ihipStream_tbENKUlT_T0_E_clISt17integral_constantIbLb1EES11_EEDaSW_SX_EUlSW_E_NS1_11comp_targetILNS1_3genE3ELNS1_11target_archE908ELNS1_3gpuE7ELNS1_3repE0EEENS1_30default_config_static_selectorELNS0_4arch9wavefront6targetE1EEEvT1_
	.p2align	8
	.type	_ZN7rocprim17ROCPRIM_400000_NS6detail17trampoline_kernelINS0_14default_configENS1_27scan_by_key_config_selectorIixEEZZNS1_16scan_by_key_implILNS1_25lookback_scan_determinismE0ELb1ES3_N6thrust23THRUST_200600_302600_NS6detail15normal_iteratorINS9_10device_ptrIiEEEENSB_INSC_IxEEEESG_xNS9_4plusIvEENS9_8equal_toIvEExEE10hipError_tPvRmT2_T3_T4_T5_mT6_T7_P12ihipStream_tbENKUlT_T0_E_clISt17integral_constantIbLb1EES11_EEDaSW_SX_EUlSW_E_NS1_11comp_targetILNS1_3genE3ELNS1_11target_archE908ELNS1_3gpuE7ELNS1_3repE0EEENS1_30default_config_static_selectorELNS0_4arch9wavefront6targetE1EEEvT1_,@function
_ZN7rocprim17ROCPRIM_400000_NS6detail17trampoline_kernelINS0_14default_configENS1_27scan_by_key_config_selectorIixEEZZNS1_16scan_by_key_implILNS1_25lookback_scan_determinismE0ELb1ES3_N6thrust23THRUST_200600_302600_NS6detail15normal_iteratorINS9_10device_ptrIiEEEENSB_INSC_IxEEEESG_xNS9_4plusIvEENS9_8equal_toIvEExEE10hipError_tPvRmT2_T3_T4_T5_mT6_T7_P12ihipStream_tbENKUlT_T0_E_clISt17integral_constantIbLb1EES11_EEDaSW_SX_EUlSW_E_NS1_11comp_targetILNS1_3genE3ELNS1_11target_archE908ELNS1_3gpuE7ELNS1_3repE0EEENS1_30default_config_static_selectorELNS0_4arch9wavefront6targetE1EEEvT1_: ; @_ZN7rocprim17ROCPRIM_400000_NS6detail17trampoline_kernelINS0_14default_configENS1_27scan_by_key_config_selectorIixEEZZNS1_16scan_by_key_implILNS1_25lookback_scan_determinismE0ELb1ES3_N6thrust23THRUST_200600_302600_NS6detail15normal_iteratorINS9_10device_ptrIiEEEENSB_INSC_IxEEEESG_xNS9_4plusIvEENS9_8equal_toIvEExEE10hipError_tPvRmT2_T3_T4_T5_mT6_T7_P12ihipStream_tbENKUlT_T0_E_clISt17integral_constantIbLb1EES11_EEDaSW_SX_EUlSW_E_NS1_11comp_targetILNS1_3genE3ELNS1_11target_archE908ELNS1_3gpuE7ELNS1_3repE0EEENS1_30default_config_static_selectorELNS0_4arch9wavefront6targetE1EEEvT1_
; %bb.0:
	.section	.rodata,"a",@progbits
	.p2align	6, 0x0
	.amdhsa_kernel _ZN7rocprim17ROCPRIM_400000_NS6detail17trampoline_kernelINS0_14default_configENS1_27scan_by_key_config_selectorIixEEZZNS1_16scan_by_key_implILNS1_25lookback_scan_determinismE0ELb1ES3_N6thrust23THRUST_200600_302600_NS6detail15normal_iteratorINS9_10device_ptrIiEEEENSB_INSC_IxEEEESG_xNS9_4plusIvEENS9_8equal_toIvEExEE10hipError_tPvRmT2_T3_T4_T5_mT6_T7_P12ihipStream_tbENKUlT_T0_E_clISt17integral_constantIbLb1EES11_EEDaSW_SX_EUlSW_E_NS1_11comp_targetILNS1_3genE3ELNS1_11target_archE908ELNS1_3gpuE7ELNS1_3repE0EEENS1_30default_config_static_selectorELNS0_4arch9wavefront6targetE1EEEvT1_
		.amdhsa_group_segment_fixed_size 0
		.amdhsa_private_segment_fixed_size 0
		.amdhsa_kernarg_size 136
		.amdhsa_user_sgpr_count 6
		.amdhsa_user_sgpr_private_segment_buffer 1
		.amdhsa_user_sgpr_dispatch_ptr 0
		.amdhsa_user_sgpr_queue_ptr 0
		.amdhsa_user_sgpr_kernarg_segment_ptr 1
		.amdhsa_user_sgpr_dispatch_id 0
		.amdhsa_user_sgpr_flat_scratch_init 0
		.amdhsa_user_sgpr_kernarg_preload_length 0
		.amdhsa_user_sgpr_kernarg_preload_offset 0
		.amdhsa_user_sgpr_private_segment_size 0
		.amdhsa_uses_dynamic_stack 0
		.amdhsa_system_sgpr_private_segment_wavefront_offset 0
		.amdhsa_system_sgpr_workgroup_id_x 1
		.amdhsa_system_sgpr_workgroup_id_y 0
		.amdhsa_system_sgpr_workgroup_id_z 0
		.amdhsa_system_sgpr_workgroup_info 0
		.amdhsa_system_vgpr_workitem_id 0
		.amdhsa_next_free_vgpr 1
		.amdhsa_next_free_sgpr 0
		.amdhsa_accum_offset 4
		.amdhsa_reserve_vcc 0
		.amdhsa_reserve_flat_scratch 0
		.amdhsa_float_round_mode_32 0
		.amdhsa_float_round_mode_16_64 0
		.amdhsa_float_denorm_mode_32 3
		.amdhsa_float_denorm_mode_16_64 3
		.amdhsa_dx10_clamp 1
		.amdhsa_ieee_mode 1
		.amdhsa_fp16_overflow 0
		.amdhsa_tg_split 0
		.amdhsa_exception_fp_ieee_invalid_op 0
		.amdhsa_exception_fp_denorm_src 0
		.amdhsa_exception_fp_ieee_div_zero 0
		.amdhsa_exception_fp_ieee_overflow 0
		.amdhsa_exception_fp_ieee_underflow 0
		.amdhsa_exception_fp_ieee_inexact 0
		.amdhsa_exception_int_div_zero 0
	.end_amdhsa_kernel
	.section	.text._ZN7rocprim17ROCPRIM_400000_NS6detail17trampoline_kernelINS0_14default_configENS1_27scan_by_key_config_selectorIixEEZZNS1_16scan_by_key_implILNS1_25lookback_scan_determinismE0ELb1ES3_N6thrust23THRUST_200600_302600_NS6detail15normal_iteratorINS9_10device_ptrIiEEEENSB_INSC_IxEEEESG_xNS9_4plusIvEENS9_8equal_toIvEExEE10hipError_tPvRmT2_T3_T4_T5_mT6_T7_P12ihipStream_tbENKUlT_T0_E_clISt17integral_constantIbLb1EES11_EEDaSW_SX_EUlSW_E_NS1_11comp_targetILNS1_3genE3ELNS1_11target_archE908ELNS1_3gpuE7ELNS1_3repE0EEENS1_30default_config_static_selectorELNS0_4arch9wavefront6targetE1EEEvT1_,"axG",@progbits,_ZN7rocprim17ROCPRIM_400000_NS6detail17trampoline_kernelINS0_14default_configENS1_27scan_by_key_config_selectorIixEEZZNS1_16scan_by_key_implILNS1_25lookback_scan_determinismE0ELb1ES3_N6thrust23THRUST_200600_302600_NS6detail15normal_iteratorINS9_10device_ptrIiEEEENSB_INSC_IxEEEESG_xNS9_4plusIvEENS9_8equal_toIvEExEE10hipError_tPvRmT2_T3_T4_T5_mT6_T7_P12ihipStream_tbENKUlT_T0_E_clISt17integral_constantIbLb1EES11_EEDaSW_SX_EUlSW_E_NS1_11comp_targetILNS1_3genE3ELNS1_11target_archE908ELNS1_3gpuE7ELNS1_3repE0EEENS1_30default_config_static_selectorELNS0_4arch9wavefront6targetE1EEEvT1_,comdat
.Lfunc_end1584:
	.size	_ZN7rocprim17ROCPRIM_400000_NS6detail17trampoline_kernelINS0_14default_configENS1_27scan_by_key_config_selectorIixEEZZNS1_16scan_by_key_implILNS1_25lookback_scan_determinismE0ELb1ES3_N6thrust23THRUST_200600_302600_NS6detail15normal_iteratorINS9_10device_ptrIiEEEENSB_INSC_IxEEEESG_xNS9_4plusIvEENS9_8equal_toIvEExEE10hipError_tPvRmT2_T3_T4_T5_mT6_T7_P12ihipStream_tbENKUlT_T0_E_clISt17integral_constantIbLb1EES11_EEDaSW_SX_EUlSW_E_NS1_11comp_targetILNS1_3genE3ELNS1_11target_archE908ELNS1_3gpuE7ELNS1_3repE0EEENS1_30default_config_static_selectorELNS0_4arch9wavefront6targetE1EEEvT1_, .Lfunc_end1584-_ZN7rocprim17ROCPRIM_400000_NS6detail17trampoline_kernelINS0_14default_configENS1_27scan_by_key_config_selectorIixEEZZNS1_16scan_by_key_implILNS1_25lookback_scan_determinismE0ELb1ES3_N6thrust23THRUST_200600_302600_NS6detail15normal_iteratorINS9_10device_ptrIiEEEENSB_INSC_IxEEEESG_xNS9_4plusIvEENS9_8equal_toIvEExEE10hipError_tPvRmT2_T3_T4_T5_mT6_T7_P12ihipStream_tbENKUlT_T0_E_clISt17integral_constantIbLb1EES11_EEDaSW_SX_EUlSW_E_NS1_11comp_targetILNS1_3genE3ELNS1_11target_archE908ELNS1_3gpuE7ELNS1_3repE0EEENS1_30default_config_static_selectorELNS0_4arch9wavefront6targetE1EEEvT1_
                                        ; -- End function
	.section	.AMDGPU.csdata,"",@progbits
; Kernel info:
; codeLenInByte = 0
; NumSgprs: 4
; NumVgprs: 0
; NumAgprs: 0
; TotalNumVgprs: 0
; ScratchSize: 0
; MemoryBound: 0
; FloatMode: 240
; IeeeMode: 1
; LDSByteSize: 0 bytes/workgroup (compile time only)
; SGPRBlocks: 0
; VGPRBlocks: 0
; NumSGPRsForWavesPerEU: 4
; NumVGPRsForWavesPerEU: 1
; AccumOffset: 4
; Occupancy: 8
; WaveLimiterHint : 0
; COMPUTE_PGM_RSRC2:SCRATCH_EN: 0
; COMPUTE_PGM_RSRC2:USER_SGPR: 6
; COMPUTE_PGM_RSRC2:TRAP_HANDLER: 0
; COMPUTE_PGM_RSRC2:TGID_X_EN: 1
; COMPUTE_PGM_RSRC2:TGID_Y_EN: 0
; COMPUTE_PGM_RSRC2:TGID_Z_EN: 0
; COMPUTE_PGM_RSRC2:TIDIG_COMP_CNT: 0
; COMPUTE_PGM_RSRC3_GFX90A:ACCUM_OFFSET: 0
; COMPUTE_PGM_RSRC3_GFX90A:TG_SPLIT: 0
	.section	.text._ZN7rocprim17ROCPRIM_400000_NS6detail17trampoline_kernelINS0_14default_configENS1_27scan_by_key_config_selectorIixEEZZNS1_16scan_by_key_implILNS1_25lookback_scan_determinismE0ELb1ES3_N6thrust23THRUST_200600_302600_NS6detail15normal_iteratorINS9_10device_ptrIiEEEENSB_INSC_IxEEEESG_xNS9_4plusIvEENS9_8equal_toIvEExEE10hipError_tPvRmT2_T3_T4_T5_mT6_T7_P12ihipStream_tbENKUlT_T0_E_clISt17integral_constantIbLb1EES11_EEDaSW_SX_EUlSW_E_NS1_11comp_targetILNS1_3genE2ELNS1_11target_archE906ELNS1_3gpuE6ELNS1_3repE0EEENS1_30default_config_static_selectorELNS0_4arch9wavefront6targetE1EEEvT1_,"axG",@progbits,_ZN7rocprim17ROCPRIM_400000_NS6detail17trampoline_kernelINS0_14default_configENS1_27scan_by_key_config_selectorIixEEZZNS1_16scan_by_key_implILNS1_25lookback_scan_determinismE0ELb1ES3_N6thrust23THRUST_200600_302600_NS6detail15normal_iteratorINS9_10device_ptrIiEEEENSB_INSC_IxEEEESG_xNS9_4plusIvEENS9_8equal_toIvEExEE10hipError_tPvRmT2_T3_T4_T5_mT6_T7_P12ihipStream_tbENKUlT_T0_E_clISt17integral_constantIbLb1EES11_EEDaSW_SX_EUlSW_E_NS1_11comp_targetILNS1_3genE2ELNS1_11target_archE906ELNS1_3gpuE6ELNS1_3repE0EEENS1_30default_config_static_selectorELNS0_4arch9wavefront6targetE1EEEvT1_,comdat
	.protected	_ZN7rocprim17ROCPRIM_400000_NS6detail17trampoline_kernelINS0_14default_configENS1_27scan_by_key_config_selectorIixEEZZNS1_16scan_by_key_implILNS1_25lookback_scan_determinismE0ELb1ES3_N6thrust23THRUST_200600_302600_NS6detail15normal_iteratorINS9_10device_ptrIiEEEENSB_INSC_IxEEEESG_xNS9_4plusIvEENS9_8equal_toIvEExEE10hipError_tPvRmT2_T3_T4_T5_mT6_T7_P12ihipStream_tbENKUlT_T0_E_clISt17integral_constantIbLb1EES11_EEDaSW_SX_EUlSW_E_NS1_11comp_targetILNS1_3genE2ELNS1_11target_archE906ELNS1_3gpuE6ELNS1_3repE0EEENS1_30default_config_static_selectorELNS0_4arch9wavefront6targetE1EEEvT1_ ; -- Begin function _ZN7rocprim17ROCPRIM_400000_NS6detail17trampoline_kernelINS0_14default_configENS1_27scan_by_key_config_selectorIixEEZZNS1_16scan_by_key_implILNS1_25lookback_scan_determinismE0ELb1ES3_N6thrust23THRUST_200600_302600_NS6detail15normal_iteratorINS9_10device_ptrIiEEEENSB_INSC_IxEEEESG_xNS9_4plusIvEENS9_8equal_toIvEExEE10hipError_tPvRmT2_T3_T4_T5_mT6_T7_P12ihipStream_tbENKUlT_T0_E_clISt17integral_constantIbLb1EES11_EEDaSW_SX_EUlSW_E_NS1_11comp_targetILNS1_3genE2ELNS1_11target_archE906ELNS1_3gpuE6ELNS1_3repE0EEENS1_30default_config_static_selectorELNS0_4arch9wavefront6targetE1EEEvT1_
	.globl	_ZN7rocprim17ROCPRIM_400000_NS6detail17trampoline_kernelINS0_14default_configENS1_27scan_by_key_config_selectorIixEEZZNS1_16scan_by_key_implILNS1_25lookback_scan_determinismE0ELb1ES3_N6thrust23THRUST_200600_302600_NS6detail15normal_iteratorINS9_10device_ptrIiEEEENSB_INSC_IxEEEESG_xNS9_4plusIvEENS9_8equal_toIvEExEE10hipError_tPvRmT2_T3_T4_T5_mT6_T7_P12ihipStream_tbENKUlT_T0_E_clISt17integral_constantIbLb1EES11_EEDaSW_SX_EUlSW_E_NS1_11comp_targetILNS1_3genE2ELNS1_11target_archE906ELNS1_3gpuE6ELNS1_3repE0EEENS1_30default_config_static_selectorELNS0_4arch9wavefront6targetE1EEEvT1_
	.p2align	8
	.type	_ZN7rocprim17ROCPRIM_400000_NS6detail17trampoline_kernelINS0_14default_configENS1_27scan_by_key_config_selectorIixEEZZNS1_16scan_by_key_implILNS1_25lookback_scan_determinismE0ELb1ES3_N6thrust23THRUST_200600_302600_NS6detail15normal_iteratorINS9_10device_ptrIiEEEENSB_INSC_IxEEEESG_xNS9_4plusIvEENS9_8equal_toIvEExEE10hipError_tPvRmT2_T3_T4_T5_mT6_T7_P12ihipStream_tbENKUlT_T0_E_clISt17integral_constantIbLb1EES11_EEDaSW_SX_EUlSW_E_NS1_11comp_targetILNS1_3genE2ELNS1_11target_archE906ELNS1_3gpuE6ELNS1_3repE0EEENS1_30default_config_static_selectorELNS0_4arch9wavefront6targetE1EEEvT1_,@function
_ZN7rocprim17ROCPRIM_400000_NS6detail17trampoline_kernelINS0_14default_configENS1_27scan_by_key_config_selectorIixEEZZNS1_16scan_by_key_implILNS1_25lookback_scan_determinismE0ELb1ES3_N6thrust23THRUST_200600_302600_NS6detail15normal_iteratorINS9_10device_ptrIiEEEENSB_INSC_IxEEEESG_xNS9_4plusIvEENS9_8equal_toIvEExEE10hipError_tPvRmT2_T3_T4_T5_mT6_T7_P12ihipStream_tbENKUlT_T0_E_clISt17integral_constantIbLb1EES11_EEDaSW_SX_EUlSW_E_NS1_11comp_targetILNS1_3genE2ELNS1_11target_archE906ELNS1_3gpuE6ELNS1_3repE0EEENS1_30default_config_static_selectorELNS0_4arch9wavefront6targetE1EEEvT1_: ; @_ZN7rocprim17ROCPRIM_400000_NS6detail17trampoline_kernelINS0_14default_configENS1_27scan_by_key_config_selectorIixEEZZNS1_16scan_by_key_implILNS1_25lookback_scan_determinismE0ELb1ES3_N6thrust23THRUST_200600_302600_NS6detail15normal_iteratorINS9_10device_ptrIiEEEENSB_INSC_IxEEEESG_xNS9_4plusIvEENS9_8equal_toIvEExEE10hipError_tPvRmT2_T3_T4_T5_mT6_T7_P12ihipStream_tbENKUlT_T0_E_clISt17integral_constantIbLb1EES11_EEDaSW_SX_EUlSW_E_NS1_11comp_targetILNS1_3genE2ELNS1_11target_archE906ELNS1_3gpuE6ELNS1_3repE0EEENS1_30default_config_static_selectorELNS0_4arch9wavefront6targetE1EEEvT1_
; %bb.0:
	.section	.rodata,"a",@progbits
	.p2align	6, 0x0
	.amdhsa_kernel _ZN7rocprim17ROCPRIM_400000_NS6detail17trampoline_kernelINS0_14default_configENS1_27scan_by_key_config_selectorIixEEZZNS1_16scan_by_key_implILNS1_25lookback_scan_determinismE0ELb1ES3_N6thrust23THRUST_200600_302600_NS6detail15normal_iteratorINS9_10device_ptrIiEEEENSB_INSC_IxEEEESG_xNS9_4plusIvEENS9_8equal_toIvEExEE10hipError_tPvRmT2_T3_T4_T5_mT6_T7_P12ihipStream_tbENKUlT_T0_E_clISt17integral_constantIbLb1EES11_EEDaSW_SX_EUlSW_E_NS1_11comp_targetILNS1_3genE2ELNS1_11target_archE906ELNS1_3gpuE6ELNS1_3repE0EEENS1_30default_config_static_selectorELNS0_4arch9wavefront6targetE1EEEvT1_
		.amdhsa_group_segment_fixed_size 0
		.amdhsa_private_segment_fixed_size 0
		.amdhsa_kernarg_size 136
		.amdhsa_user_sgpr_count 6
		.amdhsa_user_sgpr_private_segment_buffer 1
		.amdhsa_user_sgpr_dispatch_ptr 0
		.amdhsa_user_sgpr_queue_ptr 0
		.amdhsa_user_sgpr_kernarg_segment_ptr 1
		.amdhsa_user_sgpr_dispatch_id 0
		.amdhsa_user_sgpr_flat_scratch_init 0
		.amdhsa_user_sgpr_kernarg_preload_length 0
		.amdhsa_user_sgpr_kernarg_preload_offset 0
		.amdhsa_user_sgpr_private_segment_size 0
		.amdhsa_uses_dynamic_stack 0
		.amdhsa_system_sgpr_private_segment_wavefront_offset 0
		.amdhsa_system_sgpr_workgroup_id_x 1
		.amdhsa_system_sgpr_workgroup_id_y 0
		.amdhsa_system_sgpr_workgroup_id_z 0
		.amdhsa_system_sgpr_workgroup_info 0
		.amdhsa_system_vgpr_workitem_id 0
		.amdhsa_next_free_vgpr 1
		.amdhsa_next_free_sgpr 0
		.amdhsa_accum_offset 4
		.amdhsa_reserve_vcc 0
		.amdhsa_reserve_flat_scratch 0
		.amdhsa_float_round_mode_32 0
		.amdhsa_float_round_mode_16_64 0
		.amdhsa_float_denorm_mode_32 3
		.amdhsa_float_denorm_mode_16_64 3
		.amdhsa_dx10_clamp 1
		.amdhsa_ieee_mode 1
		.amdhsa_fp16_overflow 0
		.amdhsa_tg_split 0
		.amdhsa_exception_fp_ieee_invalid_op 0
		.amdhsa_exception_fp_denorm_src 0
		.amdhsa_exception_fp_ieee_div_zero 0
		.amdhsa_exception_fp_ieee_overflow 0
		.amdhsa_exception_fp_ieee_underflow 0
		.amdhsa_exception_fp_ieee_inexact 0
		.amdhsa_exception_int_div_zero 0
	.end_amdhsa_kernel
	.section	.text._ZN7rocprim17ROCPRIM_400000_NS6detail17trampoline_kernelINS0_14default_configENS1_27scan_by_key_config_selectorIixEEZZNS1_16scan_by_key_implILNS1_25lookback_scan_determinismE0ELb1ES3_N6thrust23THRUST_200600_302600_NS6detail15normal_iteratorINS9_10device_ptrIiEEEENSB_INSC_IxEEEESG_xNS9_4plusIvEENS9_8equal_toIvEExEE10hipError_tPvRmT2_T3_T4_T5_mT6_T7_P12ihipStream_tbENKUlT_T0_E_clISt17integral_constantIbLb1EES11_EEDaSW_SX_EUlSW_E_NS1_11comp_targetILNS1_3genE2ELNS1_11target_archE906ELNS1_3gpuE6ELNS1_3repE0EEENS1_30default_config_static_selectorELNS0_4arch9wavefront6targetE1EEEvT1_,"axG",@progbits,_ZN7rocprim17ROCPRIM_400000_NS6detail17trampoline_kernelINS0_14default_configENS1_27scan_by_key_config_selectorIixEEZZNS1_16scan_by_key_implILNS1_25lookback_scan_determinismE0ELb1ES3_N6thrust23THRUST_200600_302600_NS6detail15normal_iteratorINS9_10device_ptrIiEEEENSB_INSC_IxEEEESG_xNS9_4plusIvEENS9_8equal_toIvEExEE10hipError_tPvRmT2_T3_T4_T5_mT6_T7_P12ihipStream_tbENKUlT_T0_E_clISt17integral_constantIbLb1EES11_EEDaSW_SX_EUlSW_E_NS1_11comp_targetILNS1_3genE2ELNS1_11target_archE906ELNS1_3gpuE6ELNS1_3repE0EEENS1_30default_config_static_selectorELNS0_4arch9wavefront6targetE1EEEvT1_,comdat
.Lfunc_end1585:
	.size	_ZN7rocprim17ROCPRIM_400000_NS6detail17trampoline_kernelINS0_14default_configENS1_27scan_by_key_config_selectorIixEEZZNS1_16scan_by_key_implILNS1_25lookback_scan_determinismE0ELb1ES3_N6thrust23THRUST_200600_302600_NS6detail15normal_iteratorINS9_10device_ptrIiEEEENSB_INSC_IxEEEESG_xNS9_4plusIvEENS9_8equal_toIvEExEE10hipError_tPvRmT2_T3_T4_T5_mT6_T7_P12ihipStream_tbENKUlT_T0_E_clISt17integral_constantIbLb1EES11_EEDaSW_SX_EUlSW_E_NS1_11comp_targetILNS1_3genE2ELNS1_11target_archE906ELNS1_3gpuE6ELNS1_3repE0EEENS1_30default_config_static_selectorELNS0_4arch9wavefront6targetE1EEEvT1_, .Lfunc_end1585-_ZN7rocprim17ROCPRIM_400000_NS6detail17trampoline_kernelINS0_14default_configENS1_27scan_by_key_config_selectorIixEEZZNS1_16scan_by_key_implILNS1_25lookback_scan_determinismE0ELb1ES3_N6thrust23THRUST_200600_302600_NS6detail15normal_iteratorINS9_10device_ptrIiEEEENSB_INSC_IxEEEESG_xNS9_4plusIvEENS9_8equal_toIvEExEE10hipError_tPvRmT2_T3_T4_T5_mT6_T7_P12ihipStream_tbENKUlT_T0_E_clISt17integral_constantIbLb1EES11_EEDaSW_SX_EUlSW_E_NS1_11comp_targetILNS1_3genE2ELNS1_11target_archE906ELNS1_3gpuE6ELNS1_3repE0EEENS1_30default_config_static_selectorELNS0_4arch9wavefront6targetE1EEEvT1_
                                        ; -- End function
	.section	.AMDGPU.csdata,"",@progbits
; Kernel info:
; codeLenInByte = 0
; NumSgprs: 4
; NumVgprs: 0
; NumAgprs: 0
; TotalNumVgprs: 0
; ScratchSize: 0
; MemoryBound: 0
; FloatMode: 240
; IeeeMode: 1
; LDSByteSize: 0 bytes/workgroup (compile time only)
; SGPRBlocks: 0
; VGPRBlocks: 0
; NumSGPRsForWavesPerEU: 4
; NumVGPRsForWavesPerEU: 1
; AccumOffset: 4
; Occupancy: 8
; WaveLimiterHint : 0
; COMPUTE_PGM_RSRC2:SCRATCH_EN: 0
; COMPUTE_PGM_RSRC2:USER_SGPR: 6
; COMPUTE_PGM_RSRC2:TRAP_HANDLER: 0
; COMPUTE_PGM_RSRC2:TGID_X_EN: 1
; COMPUTE_PGM_RSRC2:TGID_Y_EN: 0
; COMPUTE_PGM_RSRC2:TGID_Z_EN: 0
; COMPUTE_PGM_RSRC2:TIDIG_COMP_CNT: 0
; COMPUTE_PGM_RSRC3_GFX90A:ACCUM_OFFSET: 0
; COMPUTE_PGM_RSRC3_GFX90A:TG_SPLIT: 0
	.section	.text._ZN7rocprim17ROCPRIM_400000_NS6detail17trampoline_kernelINS0_14default_configENS1_27scan_by_key_config_selectorIixEEZZNS1_16scan_by_key_implILNS1_25lookback_scan_determinismE0ELb1ES3_N6thrust23THRUST_200600_302600_NS6detail15normal_iteratorINS9_10device_ptrIiEEEENSB_INSC_IxEEEESG_xNS9_4plusIvEENS9_8equal_toIvEExEE10hipError_tPvRmT2_T3_T4_T5_mT6_T7_P12ihipStream_tbENKUlT_T0_E_clISt17integral_constantIbLb1EES11_EEDaSW_SX_EUlSW_E_NS1_11comp_targetILNS1_3genE10ELNS1_11target_archE1200ELNS1_3gpuE4ELNS1_3repE0EEENS1_30default_config_static_selectorELNS0_4arch9wavefront6targetE1EEEvT1_,"axG",@progbits,_ZN7rocprim17ROCPRIM_400000_NS6detail17trampoline_kernelINS0_14default_configENS1_27scan_by_key_config_selectorIixEEZZNS1_16scan_by_key_implILNS1_25lookback_scan_determinismE0ELb1ES3_N6thrust23THRUST_200600_302600_NS6detail15normal_iteratorINS9_10device_ptrIiEEEENSB_INSC_IxEEEESG_xNS9_4plusIvEENS9_8equal_toIvEExEE10hipError_tPvRmT2_T3_T4_T5_mT6_T7_P12ihipStream_tbENKUlT_T0_E_clISt17integral_constantIbLb1EES11_EEDaSW_SX_EUlSW_E_NS1_11comp_targetILNS1_3genE10ELNS1_11target_archE1200ELNS1_3gpuE4ELNS1_3repE0EEENS1_30default_config_static_selectorELNS0_4arch9wavefront6targetE1EEEvT1_,comdat
	.protected	_ZN7rocprim17ROCPRIM_400000_NS6detail17trampoline_kernelINS0_14default_configENS1_27scan_by_key_config_selectorIixEEZZNS1_16scan_by_key_implILNS1_25lookback_scan_determinismE0ELb1ES3_N6thrust23THRUST_200600_302600_NS6detail15normal_iteratorINS9_10device_ptrIiEEEENSB_INSC_IxEEEESG_xNS9_4plusIvEENS9_8equal_toIvEExEE10hipError_tPvRmT2_T3_T4_T5_mT6_T7_P12ihipStream_tbENKUlT_T0_E_clISt17integral_constantIbLb1EES11_EEDaSW_SX_EUlSW_E_NS1_11comp_targetILNS1_3genE10ELNS1_11target_archE1200ELNS1_3gpuE4ELNS1_3repE0EEENS1_30default_config_static_selectorELNS0_4arch9wavefront6targetE1EEEvT1_ ; -- Begin function _ZN7rocprim17ROCPRIM_400000_NS6detail17trampoline_kernelINS0_14default_configENS1_27scan_by_key_config_selectorIixEEZZNS1_16scan_by_key_implILNS1_25lookback_scan_determinismE0ELb1ES3_N6thrust23THRUST_200600_302600_NS6detail15normal_iteratorINS9_10device_ptrIiEEEENSB_INSC_IxEEEESG_xNS9_4plusIvEENS9_8equal_toIvEExEE10hipError_tPvRmT2_T3_T4_T5_mT6_T7_P12ihipStream_tbENKUlT_T0_E_clISt17integral_constantIbLb1EES11_EEDaSW_SX_EUlSW_E_NS1_11comp_targetILNS1_3genE10ELNS1_11target_archE1200ELNS1_3gpuE4ELNS1_3repE0EEENS1_30default_config_static_selectorELNS0_4arch9wavefront6targetE1EEEvT1_
	.globl	_ZN7rocprim17ROCPRIM_400000_NS6detail17trampoline_kernelINS0_14default_configENS1_27scan_by_key_config_selectorIixEEZZNS1_16scan_by_key_implILNS1_25lookback_scan_determinismE0ELb1ES3_N6thrust23THRUST_200600_302600_NS6detail15normal_iteratorINS9_10device_ptrIiEEEENSB_INSC_IxEEEESG_xNS9_4plusIvEENS9_8equal_toIvEExEE10hipError_tPvRmT2_T3_T4_T5_mT6_T7_P12ihipStream_tbENKUlT_T0_E_clISt17integral_constantIbLb1EES11_EEDaSW_SX_EUlSW_E_NS1_11comp_targetILNS1_3genE10ELNS1_11target_archE1200ELNS1_3gpuE4ELNS1_3repE0EEENS1_30default_config_static_selectorELNS0_4arch9wavefront6targetE1EEEvT1_
	.p2align	8
	.type	_ZN7rocprim17ROCPRIM_400000_NS6detail17trampoline_kernelINS0_14default_configENS1_27scan_by_key_config_selectorIixEEZZNS1_16scan_by_key_implILNS1_25lookback_scan_determinismE0ELb1ES3_N6thrust23THRUST_200600_302600_NS6detail15normal_iteratorINS9_10device_ptrIiEEEENSB_INSC_IxEEEESG_xNS9_4plusIvEENS9_8equal_toIvEExEE10hipError_tPvRmT2_T3_T4_T5_mT6_T7_P12ihipStream_tbENKUlT_T0_E_clISt17integral_constantIbLb1EES11_EEDaSW_SX_EUlSW_E_NS1_11comp_targetILNS1_3genE10ELNS1_11target_archE1200ELNS1_3gpuE4ELNS1_3repE0EEENS1_30default_config_static_selectorELNS0_4arch9wavefront6targetE1EEEvT1_,@function
_ZN7rocprim17ROCPRIM_400000_NS6detail17trampoline_kernelINS0_14default_configENS1_27scan_by_key_config_selectorIixEEZZNS1_16scan_by_key_implILNS1_25lookback_scan_determinismE0ELb1ES3_N6thrust23THRUST_200600_302600_NS6detail15normal_iteratorINS9_10device_ptrIiEEEENSB_INSC_IxEEEESG_xNS9_4plusIvEENS9_8equal_toIvEExEE10hipError_tPvRmT2_T3_T4_T5_mT6_T7_P12ihipStream_tbENKUlT_T0_E_clISt17integral_constantIbLb1EES11_EEDaSW_SX_EUlSW_E_NS1_11comp_targetILNS1_3genE10ELNS1_11target_archE1200ELNS1_3gpuE4ELNS1_3repE0EEENS1_30default_config_static_selectorELNS0_4arch9wavefront6targetE1EEEvT1_: ; @_ZN7rocprim17ROCPRIM_400000_NS6detail17trampoline_kernelINS0_14default_configENS1_27scan_by_key_config_selectorIixEEZZNS1_16scan_by_key_implILNS1_25lookback_scan_determinismE0ELb1ES3_N6thrust23THRUST_200600_302600_NS6detail15normal_iteratorINS9_10device_ptrIiEEEENSB_INSC_IxEEEESG_xNS9_4plusIvEENS9_8equal_toIvEExEE10hipError_tPvRmT2_T3_T4_T5_mT6_T7_P12ihipStream_tbENKUlT_T0_E_clISt17integral_constantIbLb1EES11_EEDaSW_SX_EUlSW_E_NS1_11comp_targetILNS1_3genE10ELNS1_11target_archE1200ELNS1_3gpuE4ELNS1_3repE0EEENS1_30default_config_static_selectorELNS0_4arch9wavefront6targetE1EEEvT1_
; %bb.0:
	.section	.rodata,"a",@progbits
	.p2align	6, 0x0
	.amdhsa_kernel _ZN7rocprim17ROCPRIM_400000_NS6detail17trampoline_kernelINS0_14default_configENS1_27scan_by_key_config_selectorIixEEZZNS1_16scan_by_key_implILNS1_25lookback_scan_determinismE0ELb1ES3_N6thrust23THRUST_200600_302600_NS6detail15normal_iteratorINS9_10device_ptrIiEEEENSB_INSC_IxEEEESG_xNS9_4plusIvEENS9_8equal_toIvEExEE10hipError_tPvRmT2_T3_T4_T5_mT6_T7_P12ihipStream_tbENKUlT_T0_E_clISt17integral_constantIbLb1EES11_EEDaSW_SX_EUlSW_E_NS1_11comp_targetILNS1_3genE10ELNS1_11target_archE1200ELNS1_3gpuE4ELNS1_3repE0EEENS1_30default_config_static_selectorELNS0_4arch9wavefront6targetE1EEEvT1_
		.amdhsa_group_segment_fixed_size 0
		.amdhsa_private_segment_fixed_size 0
		.amdhsa_kernarg_size 136
		.amdhsa_user_sgpr_count 6
		.amdhsa_user_sgpr_private_segment_buffer 1
		.amdhsa_user_sgpr_dispatch_ptr 0
		.amdhsa_user_sgpr_queue_ptr 0
		.amdhsa_user_sgpr_kernarg_segment_ptr 1
		.amdhsa_user_sgpr_dispatch_id 0
		.amdhsa_user_sgpr_flat_scratch_init 0
		.amdhsa_user_sgpr_kernarg_preload_length 0
		.amdhsa_user_sgpr_kernarg_preload_offset 0
		.amdhsa_user_sgpr_private_segment_size 0
		.amdhsa_uses_dynamic_stack 0
		.amdhsa_system_sgpr_private_segment_wavefront_offset 0
		.amdhsa_system_sgpr_workgroup_id_x 1
		.amdhsa_system_sgpr_workgroup_id_y 0
		.amdhsa_system_sgpr_workgroup_id_z 0
		.amdhsa_system_sgpr_workgroup_info 0
		.amdhsa_system_vgpr_workitem_id 0
		.amdhsa_next_free_vgpr 1
		.amdhsa_next_free_sgpr 0
		.amdhsa_accum_offset 4
		.amdhsa_reserve_vcc 0
		.amdhsa_reserve_flat_scratch 0
		.amdhsa_float_round_mode_32 0
		.amdhsa_float_round_mode_16_64 0
		.amdhsa_float_denorm_mode_32 3
		.amdhsa_float_denorm_mode_16_64 3
		.amdhsa_dx10_clamp 1
		.amdhsa_ieee_mode 1
		.amdhsa_fp16_overflow 0
		.amdhsa_tg_split 0
		.amdhsa_exception_fp_ieee_invalid_op 0
		.amdhsa_exception_fp_denorm_src 0
		.amdhsa_exception_fp_ieee_div_zero 0
		.amdhsa_exception_fp_ieee_overflow 0
		.amdhsa_exception_fp_ieee_underflow 0
		.amdhsa_exception_fp_ieee_inexact 0
		.amdhsa_exception_int_div_zero 0
	.end_amdhsa_kernel
	.section	.text._ZN7rocprim17ROCPRIM_400000_NS6detail17trampoline_kernelINS0_14default_configENS1_27scan_by_key_config_selectorIixEEZZNS1_16scan_by_key_implILNS1_25lookback_scan_determinismE0ELb1ES3_N6thrust23THRUST_200600_302600_NS6detail15normal_iteratorINS9_10device_ptrIiEEEENSB_INSC_IxEEEESG_xNS9_4plusIvEENS9_8equal_toIvEExEE10hipError_tPvRmT2_T3_T4_T5_mT6_T7_P12ihipStream_tbENKUlT_T0_E_clISt17integral_constantIbLb1EES11_EEDaSW_SX_EUlSW_E_NS1_11comp_targetILNS1_3genE10ELNS1_11target_archE1200ELNS1_3gpuE4ELNS1_3repE0EEENS1_30default_config_static_selectorELNS0_4arch9wavefront6targetE1EEEvT1_,"axG",@progbits,_ZN7rocprim17ROCPRIM_400000_NS6detail17trampoline_kernelINS0_14default_configENS1_27scan_by_key_config_selectorIixEEZZNS1_16scan_by_key_implILNS1_25lookback_scan_determinismE0ELb1ES3_N6thrust23THRUST_200600_302600_NS6detail15normal_iteratorINS9_10device_ptrIiEEEENSB_INSC_IxEEEESG_xNS9_4plusIvEENS9_8equal_toIvEExEE10hipError_tPvRmT2_T3_T4_T5_mT6_T7_P12ihipStream_tbENKUlT_T0_E_clISt17integral_constantIbLb1EES11_EEDaSW_SX_EUlSW_E_NS1_11comp_targetILNS1_3genE10ELNS1_11target_archE1200ELNS1_3gpuE4ELNS1_3repE0EEENS1_30default_config_static_selectorELNS0_4arch9wavefront6targetE1EEEvT1_,comdat
.Lfunc_end1586:
	.size	_ZN7rocprim17ROCPRIM_400000_NS6detail17trampoline_kernelINS0_14default_configENS1_27scan_by_key_config_selectorIixEEZZNS1_16scan_by_key_implILNS1_25lookback_scan_determinismE0ELb1ES3_N6thrust23THRUST_200600_302600_NS6detail15normal_iteratorINS9_10device_ptrIiEEEENSB_INSC_IxEEEESG_xNS9_4plusIvEENS9_8equal_toIvEExEE10hipError_tPvRmT2_T3_T4_T5_mT6_T7_P12ihipStream_tbENKUlT_T0_E_clISt17integral_constantIbLb1EES11_EEDaSW_SX_EUlSW_E_NS1_11comp_targetILNS1_3genE10ELNS1_11target_archE1200ELNS1_3gpuE4ELNS1_3repE0EEENS1_30default_config_static_selectorELNS0_4arch9wavefront6targetE1EEEvT1_, .Lfunc_end1586-_ZN7rocprim17ROCPRIM_400000_NS6detail17trampoline_kernelINS0_14default_configENS1_27scan_by_key_config_selectorIixEEZZNS1_16scan_by_key_implILNS1_25lookback_scan_determinismE0ELb1ES3_N6thrust23THRUST_200600_302600_NS6detail15normal_iteratorINS9_10device_ptrIiEEEENSB_INSC_IxEEEESG_xNS9_4plusIvEENS9_8equal_toIvEExEE10hipError_tPvRmT2_T3_T4_T5_mT6_T7_P12ihipStream_tbENKUlT_T0_E_clISt17integral_constantIbLb1EES11_EEDaSW_SX_EUlSW_E_NS1_11comp_targetILNS1_3genE10ELNS1_11target_archE1200ELNS1_3gpuE4ELNS1_3repE0EEENS1_30default_config_static_selectorELNS0_4arch9wavefront6targetE1EEEvT1_
                                        ; -- End function
	.section	.AMDGPU.csdata,"",@progbits
; Kernel info:
; codeLenInByte = 0
; NumSgprs: 4
; NumVgprs: 0
; NumAgprs: 0
; TotalNumVgprs: 0
; ScratchSize: 0
; MemoryBound: 0
; FloatMode: 240
; IeeeMode: 1
; LDSByteSize: 0 bytes/workgroup (compile time only)
; SGPRBlocks: 0
; VGPRBlocks: 0
; NumSGPRsForWavesPerEU: 4
; NumVGPRsForWavesPerEU: 1
; AccumOffset: 4
; Occupancy: 8
; WaveLimiterHint : 0
; COMPUTE_PGM_RSRC2:SCRATCH_EN: 0
; COMPUTE_PGM_RSRC2:USER_SGPR: 6
; COMPUTE_PGM_RSRC2:TRAP_HANDLER: 0
; COMPUTE_PGM_RSRC2:TGID_X_EN: 1
; COMPUTE_PGM_RSRC2:TGID_Y_EN: 0
; COMPUTE_PGM_RSRC2:TGID_Z_EN: 0
; COMPUTE_PGM_RSRC2:TIDIG_COMP_CNT: 0
; COMPUTE_PGM_RSRC3_GFX90A:ACCUM_OFFSET: 0
; COMPUTE_PGM_RSRC3_GFX90A:TG_SPLIT: 0
	.section	.text._ZN7rocprim17ROCPRIM_400000_NS6detail17trampoline_kernelINS0_14default_configENS1_27scan_by_key_config_selectorIixEEZZNS1_16scan_by_key_implILNS1_25lookback_scan_determinismE0ELb1ES3_N6thrust23THRUST_200600_302600_NS6detail15normal_iteratorINS9_10device_ptrIiEEEENSB_INSC_IxEEEESG_xNS9_4plusIvEENS9_8equal_toIvEExEE10hipError_tPvRmT2_T3_T4_T5_mT6_T7_P12ihipStream_tbENKUlT_T0_E_clISt17integral_constantIbLb1EES11_EEDaSW_SX_EUlSW_E_NS1_11comp_targetILNS1_3genE9ELNS1_11target_archE1100ELNS1_3gpuE3ELNS1_3repE0EEENS1_30default_config_static_selectorELNS0_4arch9wavefront6targetE1EEEvT1_,"axG",@progbits,_ZN7rocprim17ROCPRIM_400000_NS6detail17trampoline_kernelINS0_14default_configENS1_27scan_by_key_config_selectorIixEEZZNS1_16scan_by_key_implILNS1_25lookback_scan_determinismE0ELb1ES3_N6thrust23THRUST_200600_302600_NS6detail15normal_iteratorINS9_10device_ptrIiEEEENSB_INSC_IxEEEESG_xNS9_4plusIvEENS9_8equal_toIvEExEE10hipError_tPvRmT2_T3_T4_T5_mT6_T7_P12ihipStream_tbENKUlT_T0_E_clISt17integral_constantIbLb1EES11_EEDaSW_SX_EUlSW_E_NS1_11comp_targetILNS1_3genE9ELNS1_11target_archE1100ELNS1_3gpuE3ELNS1_3repE0EEENS1_30default_config_static_selectorELNS0_4arch9wavefront6targetE1EEEvT1_,comdat
	.protected	_ZN7rocprim17ROCPRIM_400000_NS6detail17trampoline_kernelINS0_14default_configENS1_27scan_by_key_config_selectorIixEEZZNS1_16scan_by_key_implILNS1_25lookback_scan_determinismE0ELb1ES3_N6thrust23THRUST_200600_302600_NS6detail15normal_iteratorINS9_10device_ptrIiEEEENSB_INSC_IxEEEESG_xNS9_4plusIvEENS9_8equal_toIvEExEE10hipError_tPvRmT2_T3_T4_T5_mT6_T7_P12ihipStream_tbENKUlT_T0_E_clISt17integral_constantIbLb1EES11_EEDaSW_SX_EUlSW_E_NS1_11comp_targetILNS1_3genE9ELNS1_11target_archE1100ELNS1_3gpuE3ELNS1_3repE0EEENS1_30default_config_static_selectorELNS0_4arch9wavefront6targetE1EEEvT1_ ; -- Begin function _ZN7rocprim17ROCPRIM_400000_NS6detail17trampoline_kernelINS0_14default_configENS1_27scan_by_key_config_selectorIixEEZZNS1_16scan_by_key_implILNS1_25lookback_scan_determinismE0ELb1ES3_N6thrust23THRUST_200600_302600_NS6detail15normal_iteratorINS9_10device_ptrIiEEEENSB_INSC_IxEEEESG_xNS9_4plusIvEENS9_8equal_toIvEExEE10hipError_tPvRmT2_T3_T4_T5_mT6_T7_P12ihipStream_tbENKUlT_T0_E_clISt17integral_constantIbLb1EES11_EEDaSW_SX_EUlSW_E_NS1_11comp_targetILNS1_3genE9ELNS1_11target_archE1100ELNS1_3gpuE3ELNS1_3repE0EEENS1_30default_config_static_selectorELNS0_4arch9wavefront6targetE1EEEvT1_
	.globl	_ZN7rocprim17ROCPRIM_400000_NS6detail17trampoline_kernelINS0_14default_configENS1_27scan_by_key_config_selectorIixEEZZNS1_16scan_by_key_implILNS1_25lookback_scan_determinismE0ELb1ES3_N6thrust23THRUST_200600_302600_NS6detail15normal_iteratorINS9_10device_ptrIiEEEENSB_INSC_IxEEEESG_xNS9_4plusIvEENS9_8equal_toIvEExEE10hipError_tPvRmT2_T3_T4_T5_mT6_T7_P12ihipStream_tbENKUlT_T0_E_clISt17integral_constantIbLb1EES11_EEDaSW_SX_EUlSW_E_NS1_11comp_targetILNS1_3genE9ELNS1_11target_archE1100ELNS1_3gpuE3ELNS1_3repE0EEENS1_30default_config_static_selectorELNS0_4arch9wavefront6targetE1EEEvT1_
	.p2align	8
	.type	_ZN7rocprim17ROCPRIM_400000_NS6detail17trampoline_kernelINS0_14default_configENS1_27scan_by_key_config_selectorIixEEZZNS1_16scan_by_key_implILNS1_25lookback_scan_determinismE0ELb1ES3_N6thrust23THRUST_200600_302600_NS6detail15normal_iteratorINS9_10device_ptrIiEEEENSB_INSC_IxEEEESG_xNS9_4plusIvEENS9_8equal_toIvEExEE10hipError_tPvRmT2_T3_T4_T5_mT6_T7_P12ihipStream_tbENKUlT_T0_E_clISt17integral_constantIbLb1EES11_EEDaSW_SX_EUlSW_E_NS1_11comp_targetILNS1_3genE9ELNS1_11target_archE1100ELNS1_3gpuE3ELNS1_3repE0EEENS1_30default_config_static_selectorELNS0_4arch9wavefront6targetE1EEEvT1_,@function
_ZN7rocprim17ROCPRIM_400000_NS6detail17trampoline_kernelINS0_14default_configENS1_27scan_by_key_config_selectorIixEEZZNS1_16scan_by_key_implILNS1_25lookback_scan_determinismE0ELb1ES3_N6thrust23THRUST_200600_302600_NS6detail15normal_iteratorINS9_10device_ptrIiEEEENSB_INSC_IxEEEESG_xNS9_4plusIvEENS9_8equal_toIvEExEE10hipError_tPvRmT2_T3_T4_T5_mT6_T7_P12ihipStream_tbENKUlT_T0_E_clISt17integral_constantIbLb1EES11_EEDaSW_SX_EUlSW_E_NS1_11comp_targetILNS1_3genE9ELNS1_11target_archE1100ELNS1_3gpuE3ELNS1_3repE0EEENS1_30default_config_static_selectorELNS0_4arch9wavefront6targetE1EEEvT1_: ; @_ZN7rocprim17ROCPRIM_400000_NS6detail17trampoline_kernelINS0_14default_configENS1_27scan_by_key_config_selectorIixEEZZNS1_16scan_by_key_implILNS1_25lookback_scan_determinismE0ELb1ES3_N6thrust23THRUST_200600_302600_NS6detail15normal_iteratorINS9_10device_ptrIiEEEENSB_INSC_IxEEEESG_xNS9_4plusIvEENS9_8equal_toIvEExEE10hipError_tPvRmT2_T3_T4_T5_mT6_T7_P12ihipStream_tbENKUlT_T0_E_clISt17integral_constantIbLb1EES11_EEDaSW_SX_EUlSW_E_NS1_11comp_targetILNS1_3genE9ELNS1_11target_archE1100ELNS1_3gpuE3ELNS1_3repE0EEENS1_30default_config_static_selectorELNS0_4arch9wavefront6targetE1EEEvT1_
; %bb.0:
	.section	.rodata,"a",@progbits
	.p2align	6, 0x0
	.amdhsa_kernel _ZN7rocprim17ROCPRIM_400000_NS6detail17trampoline_kernelINS0_14default_configENS1_27scan_by_key_config_selectorIixEEZZNS1_16scan_by_key_implILNS1_25lookback_scan_determinismE0ELb1ES3_N6thrust23THRUST_200600_302600_NS6detail15normal_iteratorINS9_10device_ptrIiEEEENSB_INSC_IxEEEESG_xNS9_4plusIvEENS9_8equal_toIvEExEE10hipError_tPvRmT2_T3_T4_T5_mT6_T7_P12ihipStream_tbENKUlT_T0_E_clISt17integral_constantIbLb1EES11_EEDaSW_SX_EUlSW_E_NS1_11comp_targetILNS1_3genE9ELNS1_11target_archE1100ELNS1_3gpuE3ELNS1_3repE0EEENS1_30default_config_static_selectorELNS0_4arch9wavefront6targetE1EEEvT1_
		.amdhsa_group_segment_fixed_size 0
		.amdhsa_private_segment_fixed_size 0
		.amdhsa_kernarg_size 136
		.amdhsa_user_sgpr_count 6
		.amdhsa_user_sgpr_private_segment_buffer 1
		.amdhsa_user_sgpr_dispatch_ptr 0
		.amdhsa_user_sgpr_queue_ptr 0
		.amdhsa_user_sgpr_kernarg_segment_ptr 1
		.amdhsa_user_sgpr_dispatch_id 0
		.amdhsa_user_sgpr_flat_scratch_init 0
		.amdhsa_user_sgpr_kernarg_preload_length 0
		.amdhsa_user_sgpr_kernarg_preload_offset 0
		.amdhsa_user_sgpr_private_segment_size 0
		.amdhsa_uses_dynamic_stack 0
		.amdhsa_system_sgpr_private_segment_wavefront_offset 0
		.amdhsa_system_sgpr_workgroup_id_x 1
		.amdhsa_system_sgpr_workgroup_id_y 0
		.amdhsa_system_sgpr_workgroup_id_z 0
		.amdhsa_system_sgpr_workgroup_info 0
		.amdhsa_system_vgpr_workitem_id 0
		.amdhsa_next_free_vgpr 1
		.amdhsa_next_free_sgpr 0
		.amdhsa_accum_offset 4
		.amdhsa_reserve_vcc 0
		.amdhsa_reserve_flat_scratch 0
		.amdhsa_float_round_mode_32 0
		.amdhsa_float_round_mode_16_64 0
		.amdhsa_float_denorm_mode_32 3
		.amdhsa_float_denorm_mode_16_64 3
		.amdhsa_dx10_clamp 1
		.amdhsa_ieee_mode 1
		.amdhsa_fp16_overflow 0
		.amdhsa_tg_split 0
		.amdhsa_exception_fp_ieee_invalid_op 0
		.amdhsa_exception_fp_denorm_src 0
		.amdhsa_exception_fp_ieee_div_zero 0
		.amdhsa_exception_fp_ieee_overflow 0
		.amdhsa_exception_fp_ieee_underflow 0
		.amdhsa_exception_fp_ieee_inexact 0
		.amdhsa_exception_int_div_zero 0
	.end_amdhsa_kernel
	.section	.text._ZN7rocprim17ROCPRIM_400000_NS6detail17trampoline_kernelINS0_14default_configENS1_27scan_by_key_config_selectorIixEEZZNS1_16scan_by_key_implILNS1_25lookback_scan_determinismE0ELb1ES3_N6thrust23THRUST_200600_302600_NS6detail15normal_iteratorINS9_10device_ptrIiEEEENSB_INSC_IxEEEESG_xNS9_4plusIvEENS9_8equal_toIvEExEE10hipError_tPvRmT2_T3_T4_T5_mT6_T7_P12ihipStream_tbENKUlT_T0_E_clISt17integral_constantIbLb1EES11_EEDaSW_SX_EUlSW_E_NS1_11comp_targetILNS1_3genE9ELNS1_11target_archE1100ELNS1_3gpuE3ELNS1_3repE0EEENS1_30default_config_static_selectorELNS0_4arch9wavefront6targetE1EEEvT1_,"axG",@progbits,_ZN7rocprim17ROCPRIM_400000_NS6detail17trampoline_kernelINS0_14default_configENS1_27scan_by_key_config_selectorIixEEZZNS1_16scan_by_key_implILNS1_25lookback_scan_determinismE0ELb1ES3_N6thrust23THRUST_200600_302600_NS6detail15normal_iteratorINS9_10device_ptrIiEEEENSB_INSC_IxEEEESG_xNS9_4plusIvEENS9_8equal_toIvEExEE10hipError_tPvRmT2_T3_T4_T5_mT6_T7_P12ihipStream_tbENKUlT_T0_E_clISt17integral_constantIbLb1EES11_EEDaSW_SX_EUlSW_E_NS1_11comp_targetILNS1_3genE9ELNS1_11target_archE1100ELNS1_3gpuE3ELNS1_3repE0EEENS1_30default_config_static_selectorELNS0_4arch9wavefront6targetE1EEEvT1_,comdat
.Lfunc_end1587:
	.size	_ZN7rocprim17ROCPRIM_400000_NS6detail17trampoline_kernelINS0_14default_configENS1_27scan_by_key_config_selectorIixEEZZNS1_16scan_by_key_implILNS1_25lookback_scan_determinismE0ELb1ES3_N6thrust23THRUST_200600_302600_NS6detail15normal_iteratorINS9_10device_ptrIiEEEENSB_INSC_IxEEEESG_xNS9_4plusIvEENS9_8equal_toIvEExEE10hipError_tPvRmT2_T3_T4_T5_mT6_T7_P12ihipStream_tbENKUlT_T0_E_clISt17integral_constantIbLb1EES11_EEDaSW_SX_EUlSW_E_NS1_11comp_targetILNS1_3genE9ELNS1_11target_archE1100ELNS1_3gpuE3ELNS1_3repE0EEENS1_30default_config_static_selectorELNS0_4arch9wavefront6targetE1EEEvT1_, .Lfunc_end1587-_ZN7rocprim17ROCPRIM_400000_NS6detail17trampoline_kernelINS0_14default_configENS1_27scan_by_key_config_selectorIixEEZZNS1_16scan_by_key_implILNS1_25lookback_scan_determinismE0ELb1ES3_N6thrust23THRUST_200600_302600_NS6detail15normal_iteratorINS9_10device_ptrIiEEEENSB_INSC_IxEEEESG_xNS9_4plusIvEENS9_8equal_toIvEExEE10hipError_tPvRmT2_T3_T4_T5_mT6_T7_P12ihipStream_tbENKUlT_T0_E_clISt17integral_constantIbLb1EES11_EEDaSW_SX_EUlSW_E_NS1_11comp_targetILNS1_3genE9ELNS1_11target_archE1100ELNS1_3gpuE3ELNS1_3repE0EEENS1_30default_config_static_selectorELNS0_4arch9wavefront6targetE1EEEvT1_
                                        ; -- End function
	.section	.AMDGPU.csdata,"",@progbits
; Kernel info:
; codeLenInByte = 0
; NumSgprs: 4
; NumVgprs: 0
; NumAgprs: 0
; TotalNumVgprs: 0
; ScratchSize: 0
; MemoryBound: 0
; FloatMode: 240
; IeeeMode: 1
; LDSByteSize: 0 bytes/workgroup (compile time only)
; SGPRBlocks: 0
; VGPRBlocks: 0
; NumSGPRsForWavesPerEU: 4
; NumVGPRsForWavesPerEU: 1
; AccumOffset: 4
; Occupancy: 8
; WaveLimiterHint : 0
; COMPUTE_PGM_RSRC2:SCRATCH_EN: 0
; COMPUTE_PGM_RSRC2:USER_SGPR: 6
; COMPUTE_PGM_RSRC2:TRAP_HANDLER: 0
; COMPUTE_PGM_RSRC2:TGID_X_EN: 1
; COMPUTE_PGM_RSRC2:TGID_Y_EN: 0
; COMPUTE_PGM_RSRC2:TGID_Z_EN: 0
; COMPUTE_PGM_RSRC2:TIDIG_COMP_CNT: 0
; COMPUTE_PGM_RSRC3_GFX90A:ACCUM_OFFSET: 0
; COMPUTE_PGM_RSRC3_GFX90A:TG_SPLIT: 0
	.section	.text._ZN7rocprim17ROCPRIM_400000_NS6detail17trampoline_kernelINS0_14default_configENS1_27scan_by_key_config_selectorIixEEZZNS1_16scan_by_key_implILNS1_25lookback_scan_determinismE0ELb1ES3_N6thrust23THRUST_200600_302600_NS6detail15normal_iteratorINS9_10device_ptrIiEEEENSB_INSC_IxEEEESG_xNS9_4plusIvEENS9_8equal_toIvEExEE10hipError_tPvRmT2_T3_T4_T5_mT6_T7_P12ihipStream_tbENKUlT_T0_E_clISt17integral_constantIbLb1EES11_EEDaSW_SX_EUlSW_E_NS1_11comp_targetILNS1_3genE8ELNS1_11target_archE1030ELNS1_3gpuE2ELNS1_3repE0EEENS1_30default_config_static_selectorELNS0_4arch9wavefront6targetE1EEEvT1_,"axG",@progbits,_ZN7rocprim17ROCPRIM_400000_NS6detail17trampoline_kernelINS0_14default_configENS1_27scan_by_key_config_selectorIixEEZZNS1_16scan_by_key_implILNS1_25lookback_scan_determinismE0ELb1ES3_N6thrust23THRUST_200600_302600_NS6detail15normal_iteratorINS9_10device_ptrIiEEEENSB_INSC_IxEEEESG_xNS9_4plusIvEENS9_8equal_toIvEExEE10hipError_tPvRmT2_T3_T4_T5_mT6_T7_P12ihipStream_tbENKUlT_T0_E_clISt17integral_constantIbLb1EES11_EEDaSW_SX_EUlSW_E_NS1_11comp_targetILNS1_3genE8ELNS1_11target_archE1030ELNS1_3gpuE2ELNS1_3repE0EEENS1_30default_config_static_selectorELNS0_4arch9wavefront6targetE1EEEvT1_,comdat
	.protected	_ZN7rocprim17ROCPRIM_400000_NS6detail17trampoline_kernelINS0_14default_configENS1_27scan_by_key_config_selectorIixEEZZNS1_16scan_by_key_implILNS1_25lookback_scan_determinismE0ELb1ES3_N6thrust23THRUST_200600_302600_NS6detail15normal_iteratorINS9_10device_ptrIiEEEENSB_INSC_IxEEEESG_xNS9_4plusIvEENS9_8equal_toIvEExEE10hipError_tPvRmT2_T3_T4_T5_mT6_T7_P12ihipStream_tbENKUlT_T0_E_clISt17integral_constantIbLb1EES11_EEDaSW_SX_EUlSW_E_NS1_11comp_targetILNS1_3genE8ELNS1_11target_archE1030ELNS1_3gpuE2ELNS1_3repE0EEENS1_30default_config_static_selectorELNS0_4arch9wavefront6targetE1EEEvT1_ ; -- Begin function _ZN7rocprim17ROCPRIM_400000_NS6detail17trampoline_kernelINS0_14default_configENS1_27scan_by_key_config_selectorIixEEZZNS1_16scan_by_key_implILNS1_25lookback_scan_determinismE0ELb1ES3_N6thrust23THRUST_200600_302600_NS6detail15normal_iteratorINS9_10device_ptrIiEEEENSB_INSC_IxEEEESG_xNS9_4plusIvEENS9_8equal_toIvEExEE10hipError_tPvRmT2_T3_T4_T5_mT6_T7_P12ihipStream_tbENKUlT_T0_E_clISt17integral_constantIbLb1EES11_EEDaSW_SX_EUlSW_E_NS1_11comp_targetILNS1_3genE8ELNS1_11target_archE1030ELNS1_3gpuE2ELNS1_3repE0EEENS1_30default_config_static_selectorELNS0_4arch9wavefront6targetE1EEEvT1_
	.globl	_ZN7rocprim17ROCPRIM_400000_NS6detail17trampoline_kernelINS0_14default_configENS1_27scan_by_key_config_selectorIixEEZZNS1_16scan_by_key_implILNS1_25lookback_scan_determinismE0ELb1ES3_N6thrust23THRUST_200600_302600_NS6detail15normal_iteratorINS9_10device_ptrIiEEEENSB_INSC_IxEEEESG_xNS9_4plusIvEENS9_8equal_toIvEExEE10hipError_tPvRmT2_T3_T4_T5_mT6_T7_P12ihipStream_tbENKUlT_T0_E_clISt17integral_constantIbLb1EES11_EEDaSW_SX_EUlSW_E_NS1_11comp_targetILNS1_3genE8ELNS1_11target_archE1030ELNS1_3gpuE2ELNS1_3repE0EEENS1_30default_config_static_selectorELNS0_4arch9wavefront6targetE1EEEvT1_
	.p2align	8
	.type	_ZN7rocprim17ROCPRIM_400000_NS6detail17trampoline_kernelINS0_14default_configENS1_27scan_by_key_config_selectorIixEEZZNS1_16scan_by_key_implILNS1_25lookback_scan_determinismE0ELb1ES3_N6thrust23THRUST_200600_302600_NS6detail15normal_iteratorINS9_10device_ptrIiEEEENSB_INSC_IxEEEESG_xNS9_4plusIvEENS9_8equal_toIvEExEE10hipError_tPvRmT2_T3_T4_T5_mT6_T7_P12ihipStream_tbENKUlT_T0_E_clISt17integral_constantIbLb1EES11_EEDaSW_SX_EUlSW_E_NS1_11comp_targetILNS1_3genE8ELNS1_11target_archE1030ELNS1_3gpuE2ELNS1_3repE0EEENS1_30default_config_static_selectorELNS0_4arch9wavefront6targetE1EEEvT1_,@function
_ZN7rocprim17ROCPRIM_400000_NS6detail17trampoline_kernelINS0_14default_configENS1_27scan_by_key_config_selectorIixEEZZNS1_16scan_by_key_implILNS1_25lookback_scan_determinismE0ELb1ES3_N6thrust23THRUST_200600_302600_NS6detail15normal_iteratorINS9_10device_ptrIiEEEENSB_INSC_IxEEEESG_xNS9_4plusIvEENS9_8equal_toIvEExEE10hipError_tPvRmT2_T3_T4_T5_mT6_T7_P12ihipStream_tbENKUlT_T0_E_clISt17integral_constantIbLb1EES11_EEDaSW_SX_EUlSW_E_NS1_11comp_targetILNS1_3genE8ELNS1_11target_archE1030ELNS1_3gpuE2ELNS1_3repE0EEENS1_30default_config_static_selectorELNS0_4arch9wavefront6targetE1EEEvT1_: ; @_ZN7rocprim17ROCPRIM_400000_NS6detail17trampoline_kernelINS0_14default_configENS1_27scan_by_key_config_selectorIixEEZZNS1_16scan_by_key_implILNS1_25lookback_scan_determinismE0ELb1ES3_N6thrust23THRUST_200600_302600_NS6detail15normal_iteratorINS9_10device_ptrIiEEEENSB_INSC_IxEEEESG_xNS9_4plusIvEENS9_8equal_toIvEExEE10hipError_tPvRmT2_T3_T4_T5_mT6_T7_P12ihipStream_tbENKUlT_T0_E_clISt17integral_constantIbLb1EES11_EEDaSW_SX_EUlSW_E_NS1_11comp_targetILNS1_3genE8ELNS1_11target_archE1030ELNS1_3gpuE2ELNS1_3repE0EEENS1_30default_config_static_selectorELNS0_4arch9wavefront6targetE1EEEvT1_
; %bb.0:
	.section	.rodata,"a",@progbits
	.p2align	6, 0x0
	.amdhsa_kernel _ZN7rocprim17ROCPRIM_400000_NS6detail17trampoline_kernelINS0_14default_configENS1_27scan_by_key_config_selectorIixEEZZNS1_16scan_by_key_implILNS1_25lookback_scan_determinismE0ELb1ES3_N6thrust23THRUST_200600_302600_NS6detail15normal_iteratorINS9_10device_ptrIiEEEENSB_INSC_IxEEEESG_xNS9_4plusIvEENS9_8equal_toIvEExEE10hipError_tPvRmT2_T3_T4_T5_mT6_T7_P12ihipStream_tbENKUlT_T0_E_clISt17integral_constantIbLb1EES11_EEDaSW_SX_EUlSW_E_NS1_11comp_targetILNS1_3genE8ELNS1_11target_archE1030ELNS1_3gpuE2ELNS1_3repE0EEENS1_30default_config_static_selectorELNS0_4arch9wavefront6targetE1EEEvT1_
		.amdhsa_group_segment_fixed_size 0
		.amdhsa_private_segment_fixed_size 0
		.amdhsa_kernarg_size 136
		.amdhsa_user_sgpr_count 6
		.amdhsa_user_sgpr_private_segment_buffer 1
		.amdhsa_user_sgpr_dispatch_ptr 0
		.amdhsa_user_sgpr_queue_ptr 0
		.amdhsa_user_sgpr_kernarg_segment_ptr 1
		.amdhsa_user_sgpr_dispatch_id 0
		.amdhsa_user_sgpr_flat_scratch_init 0
		.amdhsa_user_sgpr_kernarg_preload_length 0
		.amdhsa_user_sgpr_kernarg_preload_offset 0
		.amdhsa_user_sgpr_private_segment_size 0
		.amdhsa_uses_dynamic_stack 0
		.amdhsa_system_sgpr_private_segment_wavefront_offset 0
		.amdhsa_system_sgpr_workgroup_id_x 1
		.amdhsa_system_sgpr_workgroup_id_y 0
		.amdhsa_system_sgpr_workgroup_id_z 0
		.amdhsa_system_sgpr_workgroup_info 0
		.amdhsa_system_vgpr_workitem_id 0
		.amdhsa_next_free_vgpr 1
		.amdhsa_next_free_sgpr 0
		.amdhsa_accum_offset 4
		.amdhsa_reserve_vcc 0
		.amdhsa_reserve_flat_scratch 0
		.amdhsa_float_round_mode_32 0
		.amdhsa_float_round_mode_16_64 0
		.amdhsa_float_denorm_mode_32 3
		.amdhsa_float_denorm_mode_16_64 3
		.amdhsa_dx10_clamp 1
		.amdhsa_ieee_mode 1
		.amdhsa_fp16_overflow 0
		.amdhsa_tg_split 0
		.amdhsa_exception_fp_ieee_invalid_op 0
		.amdhsa_exception_fp_denorm_src 0
		.amdhsa_exception_fp_ieee_div_zero 0
		.amdhsa_exception_fp_ieee_overflow 0
		.amdhsa_exception_fp_ieee_underflow 0
		.amdhsa_exception_fp_ieee_inexact 0
		.amdhsa_exception_int_div_zero 0
	.end_amdhsa_kernel
	.section	.text._ZN7rocprim17ROCPRIM_400000_NS6detail17trampoline_kernelINS0_14default_configENS1_27scan_by_key_config_selectorIixEEZZNS1_16scan_by_key_implILNS1_25lookback_scan_determinismE0ELb1ES3_N6thrust23THRUST_200600_302600_NS6detail15normal_iteratorINS9_10device_ptrIiEEEENSB_INSC_IxEEEESG_xNS9_4plusIvEENS9_8equal_toIvEExEE10hipError_tPvRmT2_T3_T4_T5_mT6_T7_P12ihipStream_tbENKUlT_T0_E_clISt17integral_constantIbLb1EES11_EEDaSW_SX_EUlSW_E_NS1_11comp_targetILNS1_3genE8ELNS1_11target_archE1030ELNS1_3gpuE2ELNS1_3repE0EEENS1_30default_config_static_selectorELNS0_4arch9wavefront6targetE1EEEvT1_,"axG",@progbits,_ZN7rocprim17ROCPRIM_400000_NS6detail17trampoline_kernelINS0_14default_configENS1_27scan_by_key_config_selectorIixEEZZNS1_16scan_by_key_implILNS1_25lookback_scan_determinismE0ELb1ES3_N6thrust23THRUST_200600_302600_NS6detail15normal_iteratorINS9_10device_ptrIiEEEENSB_INSC_IxEEEESG_xNS9_4plusIvEENS9_8equal_toIvEExEE10hipError_tPvRmT2_T3_T4_T5_mT6_T7_P12ihipStream_tbENKUlT_T0_E_clISt17integral_constantIbLb1EES11_EEDaSW_SX_EUlSW_E_NS1_11comp_targetILNS1_3genE8ELNS1_11target_archE1030ELNS1_3gpuE2ELNS1_3repE0EEENS1_30default_config_static_selectorELNS0_4arch9wavefront6targetE1EEEvT1_,comdat
.Lfunc_end1588:
	.size	_ZN7rocprim17ROCPRIM_400000_NS6detail17trampoline_kernelINS0_14default_configENS1_27scan_by_key_config_selectorIixEEZZNS1_16scan_by_key_implILNS1_25lookback_scan_determinismE0ELb1ES3_N6thrust23THRUST_200600_302600_NS6detail15normal_iteratorINS9_10device_ptrIiEEEENSB_INSC_IxEEEESG_xNS9_4plusIvEENS9_8equal_toIvEExEE10hipError_tPvRmT2_T3_T4_T5_mT6_T7_P12ihipStream_tbENKUlT_T0_E_clISt17integral_constantIbLb1EES11_EEDaSW_SX_EUlSW_E_NS1_11comp_targetILNS1_3genE8ELNS1_11target_archE1030ELNS1_3gpuE2ELNS1_3repE0EEENS1_30default_config_static_selectorELNS0_4arch9wavefront6targetE1EEEvT1_, .Lfunc_end1588-_ZN7rocprim17ROCPRIM_400000_NS6detail17trampoline_kernelINS0_14default_configENS1_27scan_by_key_config_selectorIixEEZZNS1_16scan_by_key_implILNS1_25lookback_scan_determinismE0ELb1ES3_N6thrust23THRUST_200600_302600_NS6detail15normal_iteratorINS9_10device_ptrIiEEEENSB_INSC_IxEEEESG_xNS9_4plusIvEENS9_8equal_toIvEExEE10hipError_tPvRmT2_T3_T4_T5_mT6_T7_P12ihipStream_tbENKUlT_T0_E_clISt17integral_constantIbLb1EES11_EEDaSW_SX_EUlSW_E_NS1_11comp_targetILNS1_3genE8ELNS1_11target_archE1030ELNS1_3gpuE2ELNS1_3repE0EEENS1_30default_config_static_selectorELNS0_4arch9wavefront6targetE1EEEvT1_
                                        ; -- End function
	.section	.AMDGPU.csdata,"",@progbits
; Kernel info:
; codeLenInByte = 0
; NumSgprs: 4
; NumVgprs: 0
; NumAgprs: 0
; TotalNumVgprs: 0
; ScratchSize: 0
; MemoryBound: 0
; FloatMode: 240
; IeeeMode: 1
; LDSByteSize: 0 bytes/workgroup (compile time only)
; SGPRBlocks: 0
; VGPRBlocks: 0
; NumSGPRsForWavesPerEU: 4
; NumVGPRsForWavesPerEU: 1
; AccumOffset: 4
; Occupancy: 8
; WaveLimiterHint : 0
; COMPUTE_PGM_RSRC2:SCRATCH_EN: 0
; COMPUTE_PGM_RSRC2:USER_SGPR: 6
; COMPUTE_PGM_RSRC2:TRAP_HANDLER: 0
; COMPUTE_PGM_RSRC2:TGID_X_EN: 1
; COMPUTE_PGM_RSRC2:TGID_Y_EN: 0
; COMPUTE_PGM_RSRC2:TGID_Z_EN: 0
; COMPUTE_PGM_RSRC2:TIDIG_COMP_CNT: 0
; COMPUTE_PGM_RSRC3_GFX90A:ACCUM_OFFSET: 0
; COMPUTE_PGM_RSRC3_GFX90A:TG_SPLIT: 0
	.section	.text._ZN7rocprim17ROCPRIM_400000_NS6detail17trampoline_kernelINS0_14default_configENS1_27scan_by_key_config_selectorIixEEZZNS1_16scan_by_key_implILNS1_25lookback_scan_determinismE0ELb1ES3_N6thrust23THRUST_200600_302600_NS6detail15normal_iteratorINS9_10device_ptrIiEEEENSB_INSC_IxEEEESG_xNS9_4plusIvEENS9_8equal_toIvEExEE10hipError_tPvRmT2_T3_T4_T5_mT6_T7_P12ihipStream_tbENKUlT_T0_E_clISt17integral_constantIbLb1EES10_IbLb0EEEEDaSW_SX_EUlSW_E_NS1_11comp_targetILNS1_3genE0ELNS1_11target_archE4294967295ELNS1_3gpuE0ELNS1_3repE0EEENS1_30default_config_static_selectorELNS0_4arch9wavefront6targetE1EEEvT1_,"axG",@progbits,_ZN7rocprim17ROCPRIM_400000_NS6detail17trampoline_kernelINS0_14default_configENS1_27scan_by_key_config_selectorIixEEZZNS1_16scan_by_key_implILNS1_25lookback_scan_determinismE0ELb1ES3_N6thrust23THRUST_200600_302600_NS6detail15normal_iteratorINS9_10device_ptrIiEEEENSB_INSC_IxEEEESG_xNS9_4plusIvEENS9_8equal_toIvEExEE10hipError_tPvRmT2_T3_T4_T5_mT6_T7_P12ihipStream_tbENKUlT_T0_E_clISt17integral_constantIbLb1EES10_IbLb0EEEEDaSW_SX_EUlSW_E_NS1_11comp_targetILNS1_3genE0ELNS1_11target_archE4294967295ELNS1_3gpuE0ELNS1_3repE0EEENS1_30default_config_static_selectorELNS0_4arch9wavefront6targetE1EEEvT1_,comdat
	.protected	_ZN7rocprim17ROCPRIM_400000_NS6detail17trampoline_kernelINS0_14default_configENS1_27scan_by_key_config_selectorIixEEZZNS1_16scan_by_key_implILNS1_25lookback_scan_determinismE0ELb1ES3_N6thrust23THRUST_200600_302600_NS6detail15normal_iteratorINS9_10device_ptrIiEEEENSB_INSC_IxEEEESG_xNS9_4plusIvEENS9_8equal_toIvEExEE10hipError_tPvRmT2_T3_T4_T5_mT6_T7_P12ihipStream_tbENKUlT_T0_E_clISt17integral_constantIbLb1EES10_IbLb0EEEEDaSW_SX_EUlSW_E_NS1_11comp_targetILNS1_3genE0ELNS1_11target_archE4294967295ELNS1_3gpuE0ELNS1_3repE0EEENS1_30default_config_static_selectorELNS0_4arch9wavefront6targetE1EEEvT1_ ; -- Begin function _ZN7rocprim17ROCPRIM_400000_NS6detail17trampoline_kernelINS0_14default_configENS1_27scan_by_key_config_selectorIixEEZZNS1_16scan_by_key_implILNS1_25lookback_scan_determinismE0ELb1ES3_N6thrust23THRUST_200600_302600_NS6detail15normal_iteratorINS9_10device_ptrIiEEEENSB_INSC_IxEEEESG_xNS9_4plusIvEENS9_8equal_toIvEExEE10hipError_tPvRmT2_T3_T4_T5_mT6_T7_P12ihipStream_tbENKUlT_T0_E_clISt17integral_constantIbLb1EES10_IbLb0EEEEDaSW_SX_EUlSW_E_NS1_11comp_targetILNS1_3genE0ELNS1_11target_archE4294967295ELNS1_3gpuE0ELNS1_3repE0EEENS1_30default_config_static_selectorELNS0_4arch9wavefront6targetE1EEEvT1_
	.globl	_ZN7rocprim17ROCPRIM_400000_NS6detail17trampoline_kernelINS0_14default_configENS1_27scan_by_key_config_selectorIixEEZZNS1_16scan_by_key_implILNS1_25lookback_scan_determinismE0ELb1ES3_N6thrust23THRUST_200600_302600_NS6detail15normal_iteratorINS9_10device_ptrIiEEEENSB_INSC_IxEEEESG_xNS9_4plusIvEENS9_8equal_toIvEExEE10hipError_tPvRmT2_T3_T4_T5_mT6_T7_P12ihipStream_tbENKUlT_T0_E_clISt17integral_constantIbLb1EES10_IbLb0EEEEDaSW_SX_EUlSW_E_NS1_11comp_targetILNS1_3genE0ELNS1_11target_archE4294967295ELNS1_3gpuE0ELNS1_3repE0EEENS1_30default_config_static_selectorELNS0_4arch9wavefront6targetE1EEEvT1_
	.p2align	8
	.type	_ZN7rocprim17ROCPRIM_400000_NS6detail17trampoline_kernelINS0_14default_configENS1_27scan_by_key_config_selectorIixEEZZNS1_16scan_by_key_implILNS1_25lookback_scan_determinismE0ELb1ES3_N6thrust23THRUST_200600_302600_NS6detail15normal_iteratorINS9_10device_ptrIiEEEENSB_INSC_IxEEEESG_xNS9_4plusIvEENS9_8equal_toIvEExEE10hipError_tPvRmT2_T3_T4_T5_mT6_T7_P12ihipStream_tbENKUlT_T0_E_clISt17integral_constantIbLb1EES10_IbLb0EEEEDaSW_SX_EUlSW_E_NS1_11comp_targetILNS1_3genE0ELNS1_11target_archE4294967295ELNS1_3gpuE0ELNS1_3repE0EEENS1_30default_config_static_selectorELNS0_4arch9wavefront6targetE1EEEvT1_,@function
_ZN7rocprim17ROCPRIM_400000_NS6detail17trampoline_kernelINS0_14default_configENS1_27scan_by_key_config_selectorIixEEZZNS1_16scan_by_key_implILNS1_25lookback_scan_determinismE0ELb1ES3_N6thrust23THRUST_200600_302600_NS6detail15normal_iteratorINS9_10device_ptrIiEEEENSB_INSC_IxEEEESG_xNS9_4plusIvEENS9_8equal_toIvEExEE10hipError_tPvRmT2_T3_T4_T5_mT6_T7_P12ihipStream_tbENKUlT_T0_E_clISt17integral_constantIbLb1EES10_IbLb0EEEEDaSW_SX_EUlSW_E_NS1_11comp_targetILNS1_3genE0ELNS1_11target_archE4294967295ELNS1_3gpuE0ELNS1_3repE0EEENS1_30default_config_static_selectorELNS0_4arch9wavefront6targetE1EEEvT1_: ; @_ZN7rocprim17ROCPRIM_400000_NS6detail17trampoline_kernelINS0_14default_configENS1_27scan_by_key_config_selectorIixEEZZNS1_16scan_by_key_implILNS1_25lookback_scan_determinismE0ELb1ES3_N6thrust23THRUST_200600_302600_NS6detail15normal_iteratorINS9_10device_ptrIiEEEENSB_INSC_IxEEEESG_xNS9_4plusIvEENS9_8equal_toIvEExEE10hipError_tPvRmT2_T3_T4_T5_mT6_T7_P12ihipStream_tbENKUlT_T0_E_clISt17integral_constantIbLb1EES10_IbLb0EEEEDaSW_SX_EUlSW_E_NS1_11comp_targetILNS1_3genE0ELNS1_11target_archE4294967295ELNS1_3gpuE0ELNS1_3repE0EEENS1_30default_config_static_selectorELNS0_4arch9wavefront6targetE1EEEvT1_
; %bb.0:
	.section	.rodata,"a",@progbits
	.p2align	6, 0x0
	.amdhsa_kernel _ZN7rocprim17ROCPRIM_400000_NS6detail17trampoline_kernelINS0_14default_configENS1_27scan_by_key_config_selectorIixEEZZNS1_16scan_by_key_implILNS1_25lookback_scan_determinismE0ELb1ES3_N6thrust23THRUST_200600_302600_NS6detail15normal_iteratorINS9_10device_ptrIiEEEENSB_INSC_IxEEEESG_xNS9_4plusIvEENS9_8equal_toIvEExEE10hipError_tPvRmT2_T3_T4_T5_mT6_T7_P12ihipStream_tbENKUlT_T0_E_clISt17integral_constantIbLb1EES10_IbLb0EEEEDaSW_SX_EUlSW_E_NS1_11comp_targetILNS1_3genE0ELNS1_11target_archE4294967295ELNS1_3gpuE0ELNS1_3repE0EEENS1_30default_config_static_selectorELNS0_4arch9wavefront6targetE1EEEvT1_
		.amdhsa_group_segment_fixed_size 0
		.amdhsa_private_segment_fixed_size 0
		.amdhsa_kernarg_size 136
		.amdhsa_user_sgpr_count 6
		.amdhsa_user_sgpr_private_segment_buffer 1
		.amdhsa_user_sgpr_dispatch_ptr 0
		.amdhsa_user_sgpr_queue_ptr 0
		.amdhsa_user_sgpr_kernarg_segment_ptr 1
		.amdhsa_user_sgpr_dispatch_id 0
		.amdhsa_user_sgpr_flat_scratch_init 0
		.amdhsa_user_sgpr_kernarg_preload_length 0
		.amdhsa_user_sgpr_kernarg_preload_offset 0
		.amdhsa_user_sgpr_private_segment_size 0
		.amdhsa_uses_dynamic_stack 0
		.amdhsa_system_sgpr_private_segment_wavefront_offset 0
		.amdhsa_system_sgpr_workgroup_id_x 1
		.amdhsa_system_sgpr_workgroup_id_y 0
		.amdhsa_system_sgpr_workgroup_id_z 0
		.amdhsa_system_sgpr_workgroup_info 0
		.amdhsa_system_vgpr_workitem_id 0
		.amdhsa_next_free_vgpr 1
		.amdhsa_next_free_sgpr 0
		.amdhsa_accum_offset 4
		.amdhsa_reserve_vcc 0
		.amdhsa_reserve_flat_scratch 0
		.amdhsa_float_round_mode_32 0
		.amdhsa_float_round_mode_16_64 0
		.amdhsa_float_denorm_mode_32 3
		.amdhsa_float_denorm_mode_16_64 3
		.amdhsa_dx10_clamp 1
		.amdhsa_ieee_mode 1
		.amdhsa_fp16_overflow 0
		.amdhsa_tg_split 0
		.amdhsa_exception_fp_ieee_invalid_op 0
		.amdhsa_exception_fp_denorm_src 0
		.amdhsa_exception_fp_ieee_div_zero 0
		.amdhsa_exception_fp_ieee_overflow 0
		.amdhsa_exception_fp_ieee_underflow 0
		.amdhsa_exception_fp_ieee_inexact 0
		.amdhsa_exception_int_div_zero 0
	.end_amdhsa_kernel
	.section	.text._ZN7rocprim17ROCPRIM_400000_NS6detail17trampoline_kernelINS0_14default_configENS1_27scan_by_key_config_selectorIixEEZZNS1_16scan_by_key_implILNS1_25lookback_scan_determinismE0ELb1ES3_N6thrust23THRUST_200600_302600_NS6detail15normal_iteratorINS9_10device_ptrIiEEEENSB_INSC_IxEEEESG_xNS9_4plusIvEENS9_8equal_toIvEExEE10hipError_tPvRmT2_T3_T4_T5_mT6_T7_P12ihipStream_tbENKUlT_T0_E_clISt17integral_constantIbLb1EES10_IbLb0EEEEDaSW_SX_EUlSW_E_NS1_11comp_targetILNS1_3genE0ELNS1_11target_archE4294967295ELNS1_3gpuE0ELNS1_3repE0EEENS1_30default_config_static_selectorELNS0_4arch9wavefront6targetE1EEEvT1_,"axG",@progbits,_ZN7rocprim17ROCPRIM_400000_NS6detail17trampoline_kernelINS0_14default_configENS1_27scan_by_key_config_selectorIixEEZZNS1_16scan_by_key_implILNS1_25lookback_scan_determinismE0ELb1ES3_N6thrust23THRUST_200600_302600_NS6detail15normal_iteratorINS9_10device_ptrIiEEEENSB_INSC_IxEEEESG_xNS9_4plusIvEENS9_8equal_toIvEExEE10hipError_tPvRmT2_T3_T4_T5_mT6_T7_P12ihipStream_tbENKUlT_T0_E_clISt17integral_constantIbLb1EES10_IbLb0EEEEDaSW_SX_EUlSW_E_NS1_11comp_targetILNS1_3genE0ELNS1_11target_archE4294967295ELNS1_3gpuE0ELNS1_3repE0EEENS1_30default_config_static_selectorELNS0_4arch9wavefront6targetE1EEEvT1_,comdat
.Lfunc_end1589:
	.size	_ZN7rocprim17ROCPRIM_400000_NS6detail17trampoline_kernelINS0_14default_configENS1_27scan_by_key_config_selectorIixEEZZNS1_16scan_by_key_implILNS1_25lookback_scan_determinismE0ELb1ES3_N6thrust23THRUST_200600_302600_NS6detail15normal_iteratorINS9_10device_ptrIiEEEENSB_INSC_IxEEEESG_xNS9_4plusIvEENS9_8equal_toIvEExEE10hipError_tPvRmT2_T3_T4_T5_mT6_T7_P12ihipStream_tbENKUlT_T0_E_clISt17integral_constantIbLb1EES10_IbLb0EEEEDaSW_SX_EUlSW_E_NS1_11comp_targetILNS1_3genE0ELNS1_11target_archE4294967295ELNS1_3gpuE0ELNS1_3repE0EEENS1_30default_config_static_selectorELNS0_4arch9wavefront6targetE1EEEvT1_, .Lfunc_end1589-_ZN7rocprim17ROCPRIM_400000_NS6detail17trampoline_kernelINS0_14default_configENS1_27scan_by_key_config_selectorIixEEZZNS1_16scan_by_key_implILNS1_25lookback_scan_determinismE0ELb1ES3_N6thrust23THRUST_200600_302600_NS6detail15normal_iteratorINS9_10device_ptrIiEEEENSB_INSC_IxEEEESG_xNS9_4plusIvEENS9_8equal_toIvEExEE10hipError_tPvRmT2_T3_T4_T5_mT6_T7_P12ihipStream_tbENKUlT_T0_E_clISt17integral_constantIbLb1EES10_IbLb0EEEEDaSW_SX_EUlSW_E_NS1_11comp_targetILNS1_3genE0ELNS1_11target_archE4294967295ELNS1_3gpuE0ELNS1_3repE0EEENS1_30default_config_static_selectorELNS0_4arch9wavefront6targetE1EEEvT1_
                                        ; -- End function
	.section	.AMDGPU.csdata,"",@progbits
; Kernel info:
; codeLenInByte = 0
; NumSgprs: 4
; NumVgprs: 0
; NumAgprs: 0
; TotalNumVgprs: 0
; ScratchSize: 0
; MemoryBound: 0
; FloatMode: 240
; IeeeMode: 1
; LDSByteSize: 0 bytes/workgroup (compile time only)
; SGPRBlocks: 0
; VGPRBlocks: 0
; NumSGPRsForWavesPerEU: 4
; NumVGPRsForWavesPerEU: 1
; AccumOffset: 4
; Occupancy: 8
; WaveLimiterHint : 0
; COMPUTE_PGM_RSRC2:SCRATCH_EN: 0
; COMPUTE_PGM_RSRC2:USER_SGPR: 6
; COMPUTE_PGM_RSRC2:TRAP_HANDLER: 0
; COMPUTE_PGM_RSRC2:TGID_X_EN: 1
; COMPUTE_PGM_RSRC2:TGID_Y_EN: 0
; COMPUTE_PGM_RSRC2:TGID_Z_EN: 0
; COMPUTE_PGM_RSRC2:TIDIG_COMP_CNT: 0
; COMPUTE_PGM_RSRC3_GFX90A:ACCUM_OFFSET: 0
; COMPUTE_PGM_RSRC3_GFX90A:TG_SPLIT: 0
	.section	.text._ZN7rocprim17ROCPRIM_400000_NS6detail17trampoline_kernelINS0_14default_configENS1_27scan_by_key_config_selectorIixEEZZNS1_16scan_by_key_implILNS1_25lookback_scan_determinismE0ELb1ES3_N6thrust23THRUST_200600_302600_NS6detail15normal_iteratorINS9_10device_ptrIiEEEENSB_INSC_IxEEEESG_xNS9_4plusIvEENS9_8equal_toIvEExEE10hipError_tPvRmT2_T3_T4_T5_mT6_T7_P12ihipStream_tbENKUlT_T0_E_clISt17integral_constantIbLb1EES10_IbLb0EEEEDaSW_SX_EUlSW_E_NS1_11comp_targetILNS1_3genE10ELNS1_11target_archE1201ELNS1_3gpuE5ELNS1_3repE0EEENS1_30default_config_static_selectorELNS0_4arch9wavefront6targetE1EEEvT1_,"axG",@progbits,_ZN7rocprim17ROCPRIM_400000_NS6detail17trampoline_kernelINS0_14default_configENS1_27scan_by_key_config_selectorIixEEZZNS1_16scan_by_key_implILNS1_25lookback_scan_determinismE0ELb1ES3_N6thrust23THRUST_200600_302600_NS6detail15normal_iteratorINS9_10device_ptrIiEEEENSB_INSC_IxEEEESG_xNS9_4plusIvEENS9_8equal_toIvEExEE10hipError_tPvRmT2_T3_T4_T5_mT6_T7_P12ihipStream_tbENKUlT_T0_E_clISt17integral_constantIbLb1EES10_IbLb0EEEEDaSW_SX_EUlSW_E_NS1_11comp_targetILNS1_3genE10ELNS1_11target_archE1201ELNS1_3gpuE5ELNS1_3repE0EEENS1_30default_config_static_selectorELNS0_4arch9wavefront6targetE1EEEvT1_,comdat
	.protected	_ZN7rocprim17ROCPRIM_400000_NS6detail17trampoline_kernelINS0_14default_configENS1_27scan_by_key_config_selectorIixEEZZNS1_16scan_by_key_implILNS1_25lookback_scan_determinismE0ELb1ES3_N6thrust23THRUST_200600_302600_NS6detail15normal_iteratorINS9_10device_ptrIiEEEENSB_INSC_IxEEEESG_xNS9_4plusIvEENS9_8equal_toIvEExEE10hipError_tPvRmT2_T3_T4_T5_mT6_T7_P12ihipStream_tbENKUlT_T0_E_clISt17integral_constantIbLb1EES10_IbLb0EEEEDaSW_SX_EUlSW_E_NS1_11comp_targetILNS1_3genE10ELNS1_11target_archE1201ELNS1_3gpuE5ELNS1_3repE0EEENS1_30default_config_static_selectorELNS0_4arch9wavefront6targetE1EEEvT1_ ; -- Begin function _ZN7rocprim17ROCPRIM_400000_NS6detail17trampoline_kernelINS0_14default_configENS1_27scan_by_key_config_selectorIixEEZZNS1_16scan_by_key_implILNS1_25lookback_scan_determinismE0ELb1ES3_N6thrust23THRUST_200600_302600_NS6detail15normal_iteratorINS9_10device_ptrIiEEEENSB_INSC_IxEEEESG_xNS9_4plusIvEENS9_8equal_toIvEExEE10hipError_tPvRmT2_T3_T4_T5_mT6_T7_P12ihipStream_tbENKUlT_T0_E_clISt17integral_constantIbLb1EES10_IbLb0EEEEDaSW_SX_EUlSW_E_NS1_11comp_targetILNS1_3genE10ELNS1_11target_archE1201ELNS1_3gpuE5ELNS1_3repE0EEENS1_30default_config_static_selectorELNS0_4arch9wavefront6targetE1EEEvT1_
	.globl	_ZN7rocprim17ROCPRIM_400000_NS6detail17trampoline_kernelINS0_14default_configENS1_27scan_by_key_config_selectorIixEEZZNS1_16scan_by_key_implILNS1_25lookback_scan_determinismE0ELb1ES3_N6thrust23THRUST_200600_302600_NS6detail15normal_iteratorINS9_10device_ptrIiEEEENSB_INSC_IxEEEESG_xNS9_4plusIvEENS9_8equal_toIvEExEE10hipError_tPvRmT2_T3_T4_T5_mT6_T7_P12ihipStream_tbENKUlT_T0_E_clISt17integral_constantIbLb1EES10_IbLb0EEEEDaSW_SX_EUlSW_E_NS1_11comp_targetILNS1_3genE10ELNS1_11target_archE1201ELNS1_3gpuE5ELNS1_3repE0EEENS1_30default_config_static_selectorELNS0_4arch9wavefront6targetE1EEEvT1_
	.p2align	8
	.type	_ZN7rocprim17ROCPRIM_400000_NS6detail17trampoline_kernelINS0_14default_configENS1_27scan_by_key_config_selectorIixEEZZNS1_16scan_by_key_implILNS1_25lookback_scan_determinismE0ELb1ES3_N6thrust23THRUST_200600_302600_NS6detail15normal_iteratorINS9_10device_ptrIiEEEENSB_INSC_IxEEEESG_xNS9_4plusIvEENS9_8equal_toIvEExEE10hipError_tPvRmT2_T3_T4_T5_mT6_T7_P12ihipStream_tbENKUlT_T0_E_clISt17integral_constantIbLb1EES10_IbLb0EEEEDaSW_SX_EUlSW_E_NS1_11comp_targetILNS1_3genE10ELNS1_11target_archE1201ELNS1_3gpuE5ELNS1_3repE0EEENS1_30default_config_static_selectorELNS0_4arch9wavefront6targetE1EEEvT1_,@function
_ZN7rocprim17ROCPRIM_400000_NS6detail17trampoline_kernelINS0_14default_configENS1_27scan_by_key_config_selectorIixEEZZNS1_16scan_by_key_implILNS1_25lookback_scan_determinismE0ELb1ES3_N6thrust23THRUST_200600_302600_NS6detail15normal_iteratorINS9_10device_ptrIiEEEENSB_INSC_IxEEEESG_xNS9_4plusIvEENS9_8equal_toIvEExEE10hipError_tPvRmT2_T3_T4_T5_mT6_T7_P12ihipStream_tbENKUlT_T0_E_clISt17integral_constantIbLb1EES10_IbLb0EEEEDaSW_SX_EUlSW_E_NS1_11comp_targetILNS1_3genE10ELNS1_11target_archE1201ELNS1_3gpuE5ELNS1_3repE0EEENS1_30default_config_static_selectorELNS0_4arch9wavefront6targetE1EEEvT1_: ; @_ZN7rocprim17ROCPRIM_400000_NS6detail17trampoline_kernelINS0_14default_configENS1_27scan_by_key_config_selectorIixEEZZNS1_16scan_by_key_implILNS1_25lookback_scan_determinismE0ELb1ES3_N6thrust23THRUST_200600_302600_NS6detail15normal_iteratorINS9_10device_ptrIiEEEENSB_INSC_IxEEEESG_xNS9_4plusIvEENS9_8equal_toIvEExEE10hipError_tPvRmT2_T3_T4_T5_mT6_T7_P12ihipStream_tbENKUlT_T0_E_clISt17integral_constantIbLb1EES10_IbLb0EEEEDaSW_SX_EUlSW_E_NS1_11comp_targetILNS1_3genE10ELNS1_11target_archE1201ELNS1_3gpuE5ELNS1_3repE0EEENS1_30default_config_static_selectorELNS0_4arch9wavefront6targetE1EEEvT1_
; %bb.0:
	.section	.rodata,"a",@progbits
	.p2align	6, 0x0
	.amdhsa_kernel _ZN7rocprim17ROCPRIM_400000_NS6detail17trampoline_kernelINS0_14default_configENS1_27scan_by_key_config_selectorIixEEZZNS1_16scan_by_key_implILNS1_25lookback_scan_determinismE0ELb1ES3_N6thrust23THRUST_200600_302600_NS6detail15normal_iteratorINS9_10device_ptrIiEEEENSB_INSC_IxEEEESG_xNS9_4plusIvEENS9_8equal_toIvEExEE10hipError_tPvRmT2_T3_T4_T5_mT6_T7_P12ihipStream_tbENKUlT_T0_E_clISt17integral_constantIbLb1EES10_IbLb0EEEEDaSW_SX_EUlSW_E_NS1_11comp_targetILNS1_3genE10ELNS1_11target_archE1201ELNS1_3gpuE5ELNS1_3repE0EEENS1_30default_config_static_selectorELNS0_4arch9wavefront6targetE1EEEvT1_
		.amdhsa_group_segment_fixed_size 0
		.amdhsa_private_segment_fixed_size 0
		.amdhsa_kernarg_size 136
		.amdhsa_user_sgpr_count 6
		.amdhsa_user_sgpr_private_segment_buffer 1
		.amdhsa_user_sgpr_dispatch_ptr 0
		.amdhsa_user_sgpr_queue_ptr 0
		.amdhsa_user_sgpr_kernarg_segment_ptr 1
		.amdhsa_user_sgpr_dispatch_id 0
		.amdhsa_user_sgpr_flat_scratch_init 0
		.amdhsa_user_sgpr_kernarg_preload_length 0
		.amdhsa_user_sgpr_kernarg_preload_offset 0
		.amdhsa_user_sgpr_private_segment_size 0
		.amdhsa_uses_dynamic_stack 0
		.amdhsa_system_sgpr_private_segment_wavefront_offset 0
		.amdhsa_system_sgpr_workgroup_id_x 1
		.amdhsa_system_sgpr_workgroup_id_y 0
		.amdhsa_system_sgpr_workgroup_id_z 0
		.amdhsa_system_sgpr_workgroup_info 0
		.amdhsa_system_vgpr_workitem_id 0
		.amdhsa_next_free_vgpr 1
		.amdhsa_next_free_sgpr 0
		.amdhsa_accum_offset 4
		.amdhsa_reserve_vcc 0
		.amdhsa_reserve_flat_scratch 0
		.amdhsa_float_round_mode_32 0
		.amdhsa_float_round_mode_16_64 0
		.amdhsa_float_denorm_mode_32 3
		.amdhsa_float_denorm_mode_16_64 3
		.amdhsa_dx10_clamp 1
		.amdhsa_ieee_mode 1
		.amdhsa_fp16_overflow 0
		.amdhsa_tg_split 0
		.amdhsa_exception_fp_ieee_invalid_op 0
		.amdhsa_exception_fp_denorm_src 0
		.amdhsa_exception_fp_ieee_div_zero 0
		.amdhsa_exception_fp_ieee_overflow 0
		.amdhsa_exception_fp_ieee_underflow 0
		.amdhsa_exception_fp_ieee_inexact 0
		.amdhsa_exception_int_div_zero 0
	.end_amdhsa_kernel
	.section	.text._ZN7rocprim17ROCPRIM_400000_NS6detail17trampoline_kernelINS0_14default_configENS1_27scan_by_key_config_selectorIixEEZZNS1_16scan_by_key_implILNS1_25lookback_scan_determinismE0ELb1ES3_N6thrust23THRUST_200600_302600_NS6detail15normal_iteratorINS9_10device_ptrIiEEEENSB_INSC_IxEEEESG_xNS9_4plusIvEENS9_8equal_toIvEExEE10hipError_tPvRmT2_T3_T4_T5_mT6_T7_P12ihipStream_tbENKUlT_T0_E_clISt17integral_constantIbLb1EES10_IbLb0EEEEDaSW_SX_EUlSW_E_NS1_11comp_targetILNS1_3genE10ELNS1_11target_archE1201ELNS1_3gpuE5ELNS1_3repE0EEENS1_30default_config_static_selectorELNS0_4arch9wavefront6targetE1EEEvT1_,"axG",@progbits,_ZN7rocprim17ROCPRIM_400000_NS6detail17trampoline_kernelINS0_14default_configENS1_27scan_by_key_config_selectorIixEEZZNS1_16scan_by_key_implILNS1_25lookback_scan_determinismE0ELb1ES3_N6thrust23THRUST_200600_302600_NS6detail15normal_iteratorINS9_10device_ptrIiEEEENSB_INSC_IxEEEESG_xNS9_4plusIvEENS9_8equal_toIvEExEE10hipError_tPvRmT2_T3_T4_T5_mT6_T7_P12ihipStream_tbENKUlT_T0_E_clISt17integral_constantIbLb1EES10_IbLb0EEEEDaSW_SX_EUlSW_E_NS1_11comp_targetILNS1_3genE10ELNS1_11target_archE1201ELNS1_3gpuE5ELNS1_3repE0EEENS1_30default_config_static_selectorELNS0_4arch9wavefront6targetE1EEEvT1_,comdat
.Lfunc_end1590:
	.size	_ZN7rocprim17ROCPRIM_400000_NS6detail17trampoline_kernelINS0_14default_configENS1_27scan_by_key_config_selectorIixEEZZNS1_16scan_by_key_implILNS1_25lookback_scan_determinismE0ELb1ES3_N6thrust23THRUST_200600_302600_NS6detail15normal_iteratorINS9_10device_ptrIiEEEENSB_INSC_IxEEEESG_xNS9_4plusIvEENS9_8equal_toIvEExEE10hipError_tPvRmT2_T3_T4_T5_mT6_T7_P12ihipStream_tbENKUlT_T0_E_clISt17integral_constantIbLb1EES10_IbLb0EEEEDaSW_SX_EUlSW_E_NS1_11comp_targetILNS1_3genE10ELNS1_11target_archE1201ELNS1_3gpuE5ELNS1_3repE0EEENS1_30default_config_static_selectorELNS0_4arch9wavefront6targetE1EEEvT1_, .Lfunc_end1590-_ZN7rocprim17ROCPRIM_400000_NS6detail17trampoline_kernelINS0_14default_configENS1_27scan_by_key_config_selectorIixEEZZNS1_16scan_by_key_implILNS1_25lookback_scan_determinismE0ELb1ES3_N6thrust23THRUST_200600_302600_NS6detail15normal_iteratorINS9_10device_ptrIiEEEENSB_INSC_IxEEEESG_xNS9_4plusIvEENS9_8equal_toIvEExEE10hipError_tPvRmT2_T3_T4_T5_mT6_T7_P12ihipStream_tbENKUlT_T0_E_clISt17integral_constantIbLb1EES10_IbLb0EEEEDaSW_SX_EUlSW_E_NS1_11comp_targetILNS1_3genE10ELNS1_11target_archE1201ELNS1_3gpuE5ELNS1_3repE0EEENS1_30default_config_static_selectorELNS0_4arch9wavefront6targetE1EEEvT1_
                                        ; -- End function
	.section	.AMDGPU.csdata,"",@progbits
; Kernel info:
; codeLenInByte = 0
; NumSgprs: 4
; NumVgprs: 0
; NumAgprs: 0
; TotalNumVgprs: 0
; ScratchSize: 0
; MemoryBound: 0
; FloatMode: 240
; IeeeMode: 1
; LDSByteSize: 0 bytes/workgroup (compile time only)
; SGPRBlocks: 0
; VGPRBlocks: 0
; NumSGPRsForWavesPerEU: 4
; NumVGPRsForWavesPerEU: 1
; AccumOffset: 4
; Occupancy: 8
; WaveLimiterHint : 0
; COMPUTE_PGM_RSRC2:SCRATCH_EN: 0
; COMPUTE_PGM_RSRC2:USER_SGPR: 6
; COMPUTE_PGM_RSRC2:TRAP_HANDLER: 0
; COMPUTE_PGM_RSRC2:TGID_X_EN: 1
; COMPUTE_PGM_RSRC2:TGID_Y_EN: 0
; COMPUTE_PGM_RSRC2:TGID_Z_EN: 0
; COMPUTE_PGM_RSRC2:TIDIG_COMP_CNT: 0
; COMPUTE_PGM_RSRC3_GFX90A:ACCUM_OFFSET: 0
; COMPUTE_PGM_RSRC3_GFX90A:TG_SPLIT: 0
	.section	.text._ZN7rocprim17ROCPRIM_400000_NS6detail17trampoline_kernelINS0_14default_configENS1_27scan_by_key_config_selectorIixEEZZNS1_16scan_by_key_implILNS1_25lookback_scan_determinismE0ELb1ES3_N6thrust23THRUST_200600_302600_NS6detail15normal_iteratorINS9_10device_ptrIiEEEENSB_INSC_IxEEEESG_xNS9_4plusIvEENS9_8equal_toIvEExEE10hipError_tPvRmT2_T3_T4_T5_mT6_T7_P12ihipStream_tbENKUlT_T0_E_clISt17integral_constantIbLb1EES10_IbLb0EEEEDaSW_SX_EUlSW_E_NS1_11comp_targetILNS1_3genE5ELNS1_11target_archE942ELNS1_3gpuE9ELNS1_3repE0EEENS1_30default_config_static_selectorELNS0_4arch9wavefront6targetE1EEEvT1_,"axG",@progbits,_ZN7rocprim17ROCPRIM_400000_NS6detail17trampoline_kernelINS0_14default_configENS1_27scan_by_key_config_selectorIixEEZZNS1_16scan_by_key_implILNS1_25lookback_scan_determinismE0ELb1ES3_N6thrust23THRUST_200600_302600_NS6detail15normal_iteratorINS9_10device_ptrIiEEEENSB_INSC_IxEEEESG_xNS9_4plusIvEENS9_8equal_toIvEExEE10hipError_tPvRmT2_T3_T4_T5_mT6_T7_P12ihipStream_tbENKUlT_T0_E_clISt17integral_constantIbLb1EES10_IbLb0EEEEDaSW_SX_EUlSW_E_NS1_11comp_targetILNS1_3genE5ELNS1_11target_archE942ELNS1_3gpuE9ELNS1_3repE0EEENS1_30default_config_static_selectorELNS0_4arch9wavefront6targetE1EEEvT1_,comdat
	.protected	_ZN7rocprim17ROCPRIM_400000_NS6detail17trampoline_kernelINS0_14default_configENS1_27scan_by_key_config_selectorIixEEZZNS1_16scan_by_key_implILNS1_25lookback_scan_determinismE0ELb1ES3_N6thrust23THRUST_200600_302600_NS6detail15normal_iteratorINS9_10device_ptrIiEEEENSB_INSC_IxEEEESG_xNS9_4plusIvEENS9_8equal_toIvEExEE10hipError_tPvRmT2_T3_T4_T5_mT6_T7_P12ihipStream_tbENKUlT_T0_E_clISt17integral_constantIbLb1EES10_IbLb0EEEEDaSW_SX_EUlSW_E_NS1_11comp_targetILNS1_3genE5ELNS1_11target_archE942ELNS1_3gpuE9ELNS1_3repE0EEENS1_30default_config_static_selectorELNS0_4arch9wavefront6targetE1EEEvT1_ ; -- Begin function _ZN7rocprim17ROCPRIM_400000_NS6detail17trampoline_kernelINS0_14default_configENS1_27scan_by_key_config_selectorIixEEZZNS1_16scan_by_key_implILNS1_25lookback_scan_determinismE0ELb1ES3_N6thrust23THRUST_200600_302600_NS6detail15normal_iteratorINS9_10device_ptrIiEEEENSB_INSC_IxEEEESG_xNS9_4plusIvEENS9_8equal_toIvEExEE10hipError_tPvRmT2_T3_T4_T5_mT6_T7_P12ihipStream_tbENKUlT_T0_E_clISt17integral_constantIbLb1EES10_IbLb0EEEEDaSW_SX_EUlSW_E_NS1_11comp_targetILNS1_3genE5ELNS1_11target_archE942ELNS1_3gpuE9ELNS1_3repE0EEENS1_30default_config_static_selectorELNS0_4arch9wavefront6targetE1EEEvT1_
	.globl	_ZN7rocprim17ROCPRIM_400000_NS6detail17trampoline_kernelINS0_14default_configENS1_27scan_by_key_config_selectorIixEEZZNS1_16scan_by_key_implILNS1_25lookback_scan_determinismE0ELb1ES3_N6thrust23THRUST_200600_302600_NS6detail15normal_iteratorINS9_10device_ptrIiEEEENSB_INSC_IxEEEESG_xNS9_4plusIvEENS9_8equal_toIvEExEE10hipError_tPvRmT2_T3_T4_T5_mT6_T7_P12ihipStream_tbENKUlT_T0_E_clISt17integral_constantIbLb1EES10_IbLb0EEEEDaSW_SX_EUlSW_E_NS1_11comp_targetILNS1_3genE5ELNS1_11target_archE942ELNS1_3gpuE9ELNS1_3repE0EEENS1_30default_config_static_selectorELNS0_4arch9wavefront6targetE1EEEvT1_
	.p2align	8
	.type	_ZN7rocprim17ROCPRIM_400000_NS6detail17trampoline_kernelINS0_14default_configENS1_27scan_by_key_config_selectorIixEEZZNS1_16scan_by_key_implILNS1_25lookback_scan_determinismE0ELb1ES3_N6thrust23THRUST_200600_302600_NS6detail15normal_iteratorINS9_10device_ptrIiEEEENSB_INSC_IxEEEESG_xNS9_4plusIvEENS9_8equal_toIvEExEE10hipError_tPvRmT2_T3_T4_T5_mT6_T7_P12ihipStream_tbENKUlT_T0_E_clISt17integral_constantIbLb1EES10_IbLb0EEEEDaSW_SX_EUlSW_E_NS1_11comp_targetILNS1_3genE5ELNS1_11target_archE942ELNS1_3gpuE9ELNS1_3repE0EEENS1_30default_config_static_selectorELNS0_4arch9wavefront6targetE1EEEvT1_,@function
_ZN7rocprim17ROCPRIM_400000_NS6detail17trampoline_kernelINS0_14default_configENS1_27scan_by_key_config_selectorIixEEZZNS1_16scan_by_key_implILNS1_25lookback_scan_determinismE0ELb1ES3_N6thrust23THRUST_200600_302600_NS6detail15normal_iteratorINS9_10device_ptrIiEEEENSB_INSC_IxEEEESG_xNS9_4plusIvEENS9_8equal_toIvEExEE10hipError_tPvRmT2_T3_T4_T5_mT6_T7_P12ihipStream_tbENKUlT_T0_E_clISt17integral_constantIbLb1EES10_IbLb0EEEEDaSW_SX_EUlSW_E_NS1_11comp_targetILNS1_3genE5ELNS1_11target_archE942ELNS1_3gpuE9ELNS1_3repE0EEENS1_30default_config_static_selectorELNS0_4arch9wavefront6targetE1EEEvT1_: ; @_ZN7rocprim17ROCPRIM_400000_NS6detail17trampoline_kernelINS0_14default_configENS1_27scan_by_key_config_selectorIixEEZZNS1_16scan_by_key_implILNS1_25lookback_scan_determinismE0ELb1ES3_N6thrust23THRUST_200600_302600_NS6detail15normal_iteratorINS9_10device_ptrIiEEEENSB_INSC_IxEEEESG_xNS9_4plusIvEENS9_8equal_toIvEExEE10hipError_tPvRmT2_T3_T4_T5_mT6_T7_P12ihipStream_tbENKUlT_T0_E_clISt17integral_constantIbLb1EES10_IbLb0EEEEDaSW_SX_EUlSW_E_NS1_11comp_targetILNS1_3genE5ELNS1_11target_archE942ELNS1_3gpuE9ELNS1_3repE0EEENS1_30default_config_static_selectorELNS0_4arch9wavefront6targetE1EEEvT1_
; %bb.0:
	.section	.rodata,"a",@progbits
	.p2align	6, 0x0
	.amdhsa_kernel _ZN7rocprim17ROCPRIM_400000_NS6detail17trampoline_kernelINS0_14default_configENS1_27scan_by_key_config_selectorIixEEZZNS1_16scan_by_key_implILNS1_25lookback_scan_determinismE0ELb1ES3_N6thrust23THRUST_200600_302600_NS6detail15normal_iteratorINS9_10device_ptrIiEEEENSB_INSC_IxEEEESG_xNS9_4plusIvEENS9_8equal_toIvEExEE10hipError_tPvRmT2_T3_T4_T5_mT6_T7_P12ihipStream_tbENKUlT_T0_E_clISt17integral_constantIbLb1EES10_IbLb0EEEEDaSW_SX_EUlSW_E_NS1_11comp_targetILNS1_3genE5ELNS1_11target_archE942ELNS1_3gpuE9ELNS1_3repE0EEENS1_30default_config_static_selectorELNS0_4arch9wavefront6targetE1EEEvT1_
		.amdhsa_group_segment_fixed_size 0
		.amdhsa_private_segment_fixed_size 0
		.amdhsa_kernarg_size 136
		.amdhsa_user_sgpr_count 6
		.amdhsa_user_sgpr_private_segment_buffer 1
		.amdhsa_user_sgpr_dispatch_ptr 0
		.amdhsa_user_sgpr_queue_ptr 0
		.amdhsa_user_sgpr_kernarg_segment_ptr 1
		.amdhsa_user_sgpr_dispatch_id 0
		.amdhsa_user_sgpr_flat_scratch_init 0
		.amdhsa_user_sgpr_kernarg_preload_length 0
		.amdhsa_user_sgpr_kernarg_preload_offset 0
		.amdhsa_user_sgpr_private_segment_size 0
		.amdhsa_uses_dynamic_stack 0
		.amdhsa_system_sgpr_private_segment_wavefront_offset 0
		.amdhsa_system_sgpr_workgroup_id_x 1
		.amdhsa_system_sgpr_workgroup_id_y 0
		.amdhsa_system_sgpr_workgroup_id_z 0
		.amdhsa_system_sgpr_workgroup_info 0
		.amdhsa_system_vgpr_workitem_id 0
		.amdhsa_next_free_vgpr 1
		.amdhsa_next_free_sgpr 0
		.amdhsa_accum_offset 4
		.amdhsa_reserve_vcc 0
		.amdhsa_reserve_flat_scratch 0
		.amdhsa_float_round_mode_32 0
		.amdhsa_float_round_mode_16_64 0
		.amdhsa_float_denorm_mode_32 3
		.amdhsa_float_denorm_mode_16_64 3
		.amdhsa_dx10_clamp 1
		.amdhsa_ieee_mode 1
		.amdhsa_fp16_overflow 0
		.amdhsa_tg_split 0
		.amdhsa_exception_fp_ieee_invalid_op 0
		.amdhsa_exception_fp_denorm_src 0
		.amdhsa_exception_fp_ieee_div_zero 0
		.amdhsa_exception_fp_ieee_overflow 0
		.amdhsa_exception_fp_ieee_underflow 0
		.amdhsa_exception_fp_ieee_inexact 0
		.amdhsa_exception_int_div_zero 0
	.end_amdhsa_kernel
	.section	.text._ZN7rocprim17ROCPRIM_400000_NS6detail17trampoline_kernelINS0_14default_configENS1_27scan_by_key_config_selectorIixEEZZNS1_16scan_by_key_implILNS1_25lookback_scan_determinismE0ELb1ES3_N6thrust23THRUST_200600_302600_NS6detail15normal_iteratorINS9_10device_ptrIiEEEENSB_INSC_IxEEEESG_xNS9_4plusIvEENS9_8equal_toIvEExEE10hipError_tPvRmT2_T3_T4_T5_mT6_T7_P12ihipStream_tbENKUlT_T0_E_clISt17integral_constantIbLb1EES10_IbLb0EEEEDaSW_SX_EUlSW_E_NS1_11comp_targetILNS1_3genE5ELNS1_11target_archE942ELNS1_3gpuE9ELNS1_3repE0EEENS1_30default_config_static_selectorELNS0_4arch9wavefront6targetE1EEEvT1_,"axG",@progbits,_ZN7rocprim17ROCPRIM_400000_NS6detail17trampoline_kernelINS0_14default_configENS1_27scan_by_key_config_selectorIixEEZZNS1_16scan_by_key_implILNS1_25lookback_scan_determinismE0ELb1ES3_N6thrust23THRUST_200600_302600_NS6detail15normal_iteratorINS9_10device_ptrIiEEEENSB_INSC_IxEEEESG_xNS9_4plusIvEENS9_8equal_toIvEExEE10hipError_tPvRmT2_T3_T4_T5_mT6_T7_P12ihipStream_tbENKUlT_T0_E_clISt17integral_constantIbLb1EES10_IbLb0EEEEDaSW_SX_EUlSW_E_NS1_11comp_targetILNS1_3genE5ELNS1_11target_archE942ELNS1_3gpuE9ELNS1_3repE0EEENS1_30default_config_static_selectorELNS0_4arch9wavefront6targetE1EEEvT1_,comdat
.Lfunc_end1591:
	.size	_ZN7rocprim17ROCPRIM_400000_NS6detail17trampoline_kernelINS0_14default_configENS1_27scan_by_key_config_selectorIixEEZZNS1_16scan_by_key_implILNS1_25lookback_scan_determinismE0ELb1ES3_N6thrust23THRUST_200600_302600_NS6detail15normal_iteratorINS9_10device_ptrIiEEEENSB_INSC_IxEEEESG_xNS9_4plusIvEENS9_8equal_toIvEExEE10hipError_tPvRmT2_T3_T4_T5_mT6_T7_P12ihipStream_tbENKUlT_T0_E_clISt17integral_constantIbLb1EES10_IbLb0EEEEDaSW_SX_EUlSW_E_NS1_11comp_targetILNS1_3genE5ELNS1_11target_archE942ELNS1_3gpuE9ELNS1_3repE0EEENS1_30default_config_static_selectorELNS0_4arch9wavefront6targetE1EEEvT1_, .Lfunc_end1591-_ZN7rocprim17ROCPRIM_400000_NS6detail17trampoline_kernelINS0_14default_configENS1_27scan_by_key_config_selectorIixEEZZNS1_16scan_by_key_implILNS1_25lookback_scan_determinismE0ELb1ES3_N6thrust23THRUST_200600_302600_NS6detail15normal_iteratorINS9_10device_ptrIiEEEENSB_INSC_IxEEEESG_xNS9_4plusIvEENS9_8equal_toIvEExEE10hipError_tPvRmT2_T3_T4_T5_mT6_T7_P12ihipStream_tbENKUlT_T0_E_clISt17integral_constantIbLb1EES10_IbLb0EEEEDaSW_SX_EUlSW_E_NS1_11comp_targetILNS1_3genE5ELNS1_11target_archE942ELNS1_3gpuE9ELNS1_3repE0EEENS1_30default_config_static_selectorELNS0_4arch9wavefront6targetE1EEEvT1_
                                        ; -- End function
	.section	.AMDGPU.csdata,"",@progbits
; Kernel info:
; codeLenInByte = 0
; NumSgprs: 4
; NumVgprs: 0
; NumAgprs: 0
; TotalNumVgprs: 0
; ScratchSize: 0
; MemoryBound: 0
; FloatMode: 240
; IeeeMode: 1
; LDSByteSize: 0 bytes/workgroup (compile time only)
; SGPRBlocks: 0
; VGPRBlocks: 0
; NumSGPRsForWavesPerEU: 4
; NumVGPRsForWavesPerEU: 1
; AccumOffset: 4
; Occupancy: 8
; WaveLimiterHint : 0
; COMPUTE_PGM_RSRC2:SCRATCH_EN: 0
; COMPUTE_PGM_RSRC2:USER_SGPR: 6
; COMPUTE_PGM_RSRC2:TRAP_HANDLER: 0
; COMPUTE_PGM_RSRC2:TGID_X_EN: 1
; COMPUTE_PGM_RSRC2:TGID_Y_EN: 0
; COMPUTE_PGM_RSRC2:TGID_Z_EN: 0
; COMPUTE_PGM_RSRC2:TIDIG_COMP_CNT: 0
; COMPUTE_PGM_RSRC3_GFX90A:ACCUM_OFFSET: 0
; COMPUTE_PGM_RSRC3_GFX90A:TG_SPLIT: 0
	.section	.text._ZN7rocprim17ROCPRIM_400000_NS6detail17trampoline_kernelINS0_14default_configENS1_27scan_by_key_config_selectorIixEEZZNS1_16scan_by_key_implILNS1_25lookback_scan_determinismE0ELb1ES3_N6thrust23THRUST_200600_302600_NS6detail15normal_iteratorINS9_10device_ptrIiEEEENSB_INSC_IxEEEESG_xNS9_4plusIvEENS9_8equal_toIvEExEE10hipError_tPvRmT2_T3_T4_T5_mT6_T7_P12ihipStream_tbENKUlT_T0_E_clISt17integral_constantIbLb1EES10_IbLb0EEEEDaSW_SX_EUlSW_E_NS1_11comp_targetILNS1_3genE4ELNS1_11target_archE910ELNS1_3gpuE8ELNS1_3repE0EEENS1_30default_config_static_selectorELNS0_4arch9wavefront6targetE1EEEvT1_,"axG",@progbits,_ZN7rocprim17ROCPRIM_400000_NS6detail17trampoline_kernelINS0_14default_configENS1_27scan_by_key_config_selectorIixEEZZNS1_16scan_by_key_implILNS1_25lookback_scan_determinismE0ELb1ES3_N6thrust23THRUST_200600_302600_NS6detail15normal_iteratorINS9_10device_ptrIiEEEENSB_INSC_IxEEEESG_xNS9_4plusIvEENS9_8equal_toIvEExEE10hipError_tPvRmT2_T3_T4_T5_mT6_T7_P12ihipStream_tbENKUlT_T0_E_clISt17integral_constantIbLb1EES10_IbLb0EEEEDaSW_SX_EUlSW_E_NS1_11comp_targetILNS1_3genE4ELNS1_11target_archE910ELNS1_3gpuE8ELNS1_3repE0EEENS1_30default_config_static_selectorELNS0_4arch9wavefront6targetE1EEEvT1_,comdat
	.protected	_ZN7rocprim17ROCPRIM_400000_NS6detail17trampoline_kernelINS0_14default_configENS1_27scan_by_key_config_selectorIixEEZZNS1_16scan_by_key_implILNS1_25lookback_scan_determinismE0ELb1ES3_N6thrust23THRUST_200600_302600_NS6detail15normal_iteratorINS9_10device_ptrIiEEEENSB_INSC_IxEEEESG_xNS9_4plusIvEENS9_8equal_toIvEExEE10hipError_tPvRmT2_T3_T4_T5_mT6_T7_P12ihipStream_tbENKUlT_T0_E_clISt17integral_constantIbLb1EES10_IbLb0EEEEDaSW_SX_EUlSW_E_NS1_11comp_targetILNS1_3genE4ELNS1_11target_archE910ELNS1_3gpuE8ELNS1_3repE0EEENS1_30default_config_static_selectorELNS0_4arch9wavefront6targetE1EEEvT1_ ; -- Begin function _ZN7rocprim17ROCPRIM_400000_NS6detail17trampoline_kernelINS0_14default_configENS1_27scan_by_key_config_selectorIixEEZZNS1_16scan_by_key_implILNS1_25lookback_scan_determinismE0ELb1ES3_N6thrust23THRUST_200600_302600_NS6detail15normal_iteratorINS9_10device_ptrIiEEEENSB_INSC_IxEEEESG_xNS9_4plusIvEENS9_8equal_toIvEExEE10hipError_tPvRmT2_T3_T4_T5_mT6_T7_P12ihipStream_tbENKUlT_T0_E_clISt17integral_constantIbLb1EES10_IbLb0EEEEDaSW_SX_EUlSW_E_NS1_11comp_targetILNS1_3genE4ELNS1_11target_archE910ELNS1_3gpuE8ELNS1_3repE0EEENS1_30default_config_static_selectorELNS0_4arch9wavefront6targetE1EEEvT1_
	.globl	_ZN7rocprim17ROCPRIM_400000_NS6detail17trampoline_kernelINS0_14default_configENS1_27scan_by_key_config_selectorIixEEZZNS1_16scan_by_key_implILNS1_25lookback_scan_determinismE0ELb1ES3_N6thrust23THRUST_200600_302600_NS6detail15normal_iteratorINS9_10device_ptrIiEEEENSB_INSC_IxEEEESG_xNS9_4plusIvEENS9_8equal_toIvEExEE10hipError_tPvRmT2_T3_T4_T5_mT6_T7_P12ihipStream_tbENKUlT_T0_E_clISt17integral_constantIbLb1EES10_IbLb0EEEEDaSW_SX_EUlSW_E_NS1_11comp_targetILNS1_3genE4ELNS1_11target_archE910ELNS1_3gpuE8ELNS1_3repE0EEENS1_30default_config_static_selectorELNS0_4arch9wavefront6targetE1EEEvT1_
	.p2align	8
	.type	_ZN7rocprim17ROCPRIM_400000_NS6detail17trampoline_kernelINS0_14default_configENS1_27scan_by_key_config_selectorIixEEZZNS1_16scan_by_key_implILNS1_25lookback_scan_determinismE0ELb1ES3_N6thrust23THRUST_200600_302600_NS6detail15normal_iteratorINS9_10device_ptrIiEEEENSB_INSC_IxEEEESG_xNS9_4plusIvEENS9_8equal_toIvEExEE10hipError_tPvRmT2_T3_T4_T5_mT6_T7_P12ihipStream_tbENKUlT_T0_E_clISt17integral_constantIbLb1EES10_IbLb0EEEEDaSW_SX_EUlSW_E_NS1_11comp_targetILNS1_3genE4ELNS1_11target_archE910ELNS1_3gpuE8ELNS1_3repE0EEENS1_30default_config_static_selectorELNS0_4arch9wavefront6targetE1EEEvT1_,@function
_ZN7rocprim17ROCPRIM_400000_NS6detail17trampoline_kernelINS0_14default_configENS1_27scan_by_key_config_selectorIixEEZZNS1_16scan_by_key_implILNS1_25lookback_scan_determinismE0ELb1ES3_N6thrust23THRUST_200600_302600_NS6detail15normal_iteratorINS9_10device_ptrIiEEEENSB_INSC_IxEEEESG_xNS9_4plusIvEENS9_8equal_toIvEExEE10hipError_tPvRmT2_T3_T4_T5_mT6_T7_P12ihipStream_tbENKUlT_T0_E_clISt17integral_constantIbLb1EES10_IbLb0EEEEDaSW_SX_EUlSW_E_NS1_11comp_targetILNS1_3genE4ELNS1_11target_archE910ELNS1_3gpuE8ELNS1_3repE0EEENS1_30default_config_static_selectorELNS0_4arch9wavefront6targetE1EEEvT1_: ; @_ZN7rocprim17ROCPRIM_400000_NS6detail17trampoline_kernelINS0_14default_configENS1_27scan_by_key_config_selectorIixEEZZNS1_16scan_by_key_implILNS1_25lookback_scan_determinismE0ELb1ES3_N6thrust23THRUST_200600_302600_NS6detail15normal_iteratorINS9_10device_ptrIiEEEENSB_INSC_IxEEEESG_xNS9_4plusIvEENS9_8equal_toIvEExEE10hipError_tPvRmT2_T3_T4_T5_mT6_T7_P12ihipStream_tbENKUlT_T0_E_clISt17integral_constantIbLb1EES10_IbLb0EEEEDaSW_SX_EUlSW_E_NS1_11comp_targetILNS1_3genE4ELNS1_11target_archE910ELNS1_3gpuE8ELNS1_3repE0EEENS1_30default_config_static_selectorELNS0_4arch9wavefront6targetE1EEEvT1_
; %bb.0:
	s_load_dwordx8 s[56:63], s[4:5], 0x0
	s_load_dwordx2 s[68:69], s[4:5], 0x20
	s_load_dwordx8 s[48:55], s[4:5], 0x30
	s_load_dwordx2 s[70:71], s[4:5], 0x50
	s_load_dword s2, s[4:5], 0x58
	s_load_dwordx4 s[64:67], s[4:5], 0x60
	s_waitcnt lgkmcnt(0)
	s_lshl_b64 s[0:1], s[58:59], 2
	s_add_u32 s4, s56, s0
	s_addc_u32 s5, s57, s1
	s_lshl_b64 s[56:57], s[58:59], 3
	s_add_u32 s7, s60, s56
	s_mul_i32 s0, s71, s2
	s_mul_hi_u32 s1, s70, s2
	s_addc_u32 s8, s61, s57
	s_add_i32 s9, s1, s0
	s_mul_i32 s0, s6, 0x540
	s_mov_b32 s1, 0
	s_mul_i32 s10, s70, s2
	s_lshl_b64 s[2:3], s[0:1], 2
	s_add_u32 s60, s4, s2
	s_addc_u32 s61, s5, s3
	s_lshl_b64 s[58:59], s[0:1], 3
	s_add_u32 s7, s7, s58
	s_addc_u32 s55, s8, s59
	s_add_u32 s0, s10, s6
	s_addc_u32 s1, s9, 0
	s_add_u32 s4, s64, -1
	s_addc_u32 s5, s65, -1
	v_pk_mov_b32 v[2:3], s[4:5], s[4:5] op_sel:[0,1]
	v_cmp_ge_u64_e64 s[0:1], s[0:1], v[2:3]
	s_mov_b64 s[2:3], -1
	s_and_b64 vcc, exec, s[0:1]
	s_mul_i32 s33, s4, 0xfffffac0
	s_waitcnt lgkmcnt(0)
	; wave barrier
	s_cbranch_vccz .LBB1592_65
; %bb.1:
	v_pk_mov_b32 v[2:3], s[60:61], s[60:61] op_sel:[0,1]
	flat_load_dword v2, v[2:3]
	s_add_i32 s74, s33, s54
	v_cmp_gt_u32_e32 vcc, s74, v0
	s_waitcnt vmcnt(0) lgkmcnt(0)
	v_mov_b32_e32 v3, v2
	s_and_saveexec_b64 s[4:5], vcc
	s_cbranch_execz .LBB1592_3
; %bb.2:
	v_lshlrev_b32_e32 v1, 2, v0
	v_mov_b32_e32 v3, s61
	v_add_co_u32_e64 v4, s[2:3], s60, v1
	v_addc_co_u32_e64 v5, s[2:3], 0, v3, s[2:3]
	flat_load_dword v3, v[4:5]
.LBB1592_3:
	s_or_b64 exec, exec, s[4:5]
	v_or_b32_e32 v1, 64, v0
	v_cmp_gt_u32_e64 s[2:3], s74, v1
	v_mov_b32_e32 v4, v2
	s_and_saveexec_b64 s[8:9], s[2:3]
	s_cbranch_execz .LBB1592_5
; %bb.4:
	v_lshlrev_b32_e32 v1, 2, v0
	v_mov_b32_e32 v5, s61
	v_add_co_u32_e64 v4, s[4:5], s60, v1
	v_addc_co_u32_e64 v5, s[4:5], 0, v5, s[4:5]
	flat_load_dword v4, v[4:5] offset:256
.LBB1592_5:
	s_or_b64 exec, exec, s[8:9]
	v_or_b32_e32 v1, 0x80, v0
	v_cmp_gt_u32_e64 s[4:5], s74, v1
	v_mov_b32_e32 v5, v2
	s_and_saveexec_b64 s[10:11], s[4:5]
	s_cbranch_execz .LBB1592_7
; %bb.6:
	v_lshlrev_b32_e32 v1, 2, v0
	v_mov_b32_e32 v5, s61
	v_add_co_u32_e64 v6, s[8:9], s60, v1
	v_addc_co_u32_e64 v7, s[8:9], 0, v5, s[8:9]
	flat_load_dword v5, v[6:7] offset:512
.LBB1592_7:
	;; [unrolled: 13-line block ×15, first 2 shown]
	s_or_b64 exec, exec, s[36:37]
	v_or_b32_e32 v56, 0x400, v0
	v_cmp_gt_u32_e64 s[34:35], s74, v56
	v_mov_b32_e32 v19, v2
	s_and_saveexec_b64 s[38:39], s[34:35]
	s_cbranch_execz .LBB1592_35
; %bb.34:
	v_lshlrev_b32_e32 v19, 2, v56
	v_mov_b32_e32 v21, s61
	v_add_co_u32_e64 v20, s[36:37], s60, v19
	v_addc_co_u32_e64 v21, s[36:37], 0, v21, s[36:37]
	flat_load_dword v19, v[20:21]
.LBB1592_35:
	s_or_b64 exec, exec, s[38:39]
	v_or_b32_e32 v58, 0x440, v0
	v_cmp_gt_u32_e64 s[36:37], s74, v58
	v_mov_b32_e32 v20, v2
	s_and_saveexec_b64 s[40:41], s[36:37]
	s_cbranch_execz .LBB1592_37
; %bb.36:
	v_lshlrev_b32_e32 v20, 2, v58
	v_mov_b32_e32 v21, s61
	v_add_co_u32_e64 v20, s[38:39], s60, v20
	v_addc_co_u32_e64 v21, s[38:39], 0, v21, s[38:39]
	flat_load_dword v20, v[20:21]
.LBB1592_37:
	;; [unrolled: 13-line block ×4, first 2 shown]
	s_or_b64 exec, exec, s[46:47]
	v_or_b32_e32 v64, 0x500, v0
	v_cmp_gt_u32_e64 s[42:43], s74, v64
	s_and_saveexec_b64 s[64:65], s[42:43]
	s_cbranch_execz .LBB1592_43
; %bb.42:
	v_lshlrev_b32_e32 v2, 2, v64
	v_mov_b32_e32 v23, s61
	v_add_co_u32_e64 v24, s[46:47], s60, v2
	v_addc_co_u32_e64 v25, s[46:47], 0, v23, s[46:47]
	flat_load_dword v2, v[24:25]
.LBB1592_43:
	s_or_b64 exec, exec, s[64:65]
	v_lshlrev_b32_e32 v26, 2, v0
	s_waitcnt vmcnt(0) lgkmcnt(0)
	ds_write2st64_b32 v26, v3, v4 offset1:1
	ds_write2st64_b32 v26, v5, v6 offset0:2 offset1:3
	ds_write2st64_b32 v26, v7, v8 offset0:4 offset1:5
	;; [unrolled: 1-line block ×9, first 2 shown]
	ds_write_b32 v26, v2 offset:5120
	v_pk_mov_b32 v[2:3], s[60:61], s[60:61] op_sel:[0,1]
	s_waitcnt lgkmcnt(0)
	; wave barrier
	s_waitcnt lgkmcnt(0)
	flat_load_dword v82, v[2:3]
	s_movk_i32 s46, 0x50
	v_mad_u32_u24 v2, v0, s46, v26
	s_movk_i32 s46, 0xffb0
	v_mad_i32_i24 v65, v0, s46, v2
	v_cmp_ne_u32_e64 s[46:47], 63, v0
	ds_read_b32 v84, v2
	ds_read2_b32 v[24:25], v2 offset0:1 offset1:2
	ds_read2_b32 v[22:23], v2 offset0:3 offset1:4
	;; [unrolled: 1-line block ×10, first 2 shown]
	s_waitcnt lgkmcnt(0)
	ds_write_b32 v65, v84 offset:5632
	s_waitcnt lgkmcnt(0)
	; wave barrier
	s_waitcnt lgkmcnt(0)
	s_and_saveexec_b64 s[64:65], s[46:47]
	s_cbranch_execz .LBB1592_45
; %bb.44:
	s_waitcnt vmcnt(0)
	ds_read_b32 v82, v26 offset:5636
.LBB1592_45:
	s_or_b64 exec, exec, s[64:65]
	s_waitcnt lgkmcnt(0)
	; wave barrier
	s_waitcnt lgkmcnt(0)
                                        ; implicit-def: $vgpr2_vgpr3
	s_and_saveexec_b64 s[46:47], vcc
	s_cbranch_execz .LBB1592_66
; %bb.46:
	v_lshlrev_b32_e32 v2, 3, v0
	v_mov_b32_e32 v3, s55
	v_add_co_u32_e32 v2, vcc, s7, v2
	v_addc_co_u32_e32 v3, vcc, 0, v3, vcc
	flat_load_dwordx2 v[2:3], v[2:3]
	s_or_b64 exec, exec, s[46:47]
                                        ; implicit-def: $vgpr4_vgpr5
	s_and_saveexec_b64 s[46:47], s[2:3]
	s_cbranch_execnz .LBB1592_67
.LBB1592_47:
	s_or_b64 exec, exec, s[46:47]
                                        ; implicit-def: $vgpr26_vgpr27
	s_and_saveexec_b64 s[2:3], s[4:5]
	s_cbranch_execz .LBB1592_68
.LBB1592_48:
	v_lshlrev_b32_e32 v26, 3, v0
	v_mov_b32_e32 v27, s55
	v_add_co_u32_e32 v26, vcc, s7, v26
	v_addc_co_u32_e32 v27, vcc, 0, v27, vcc
	flat_load_dwordx2 v[26:27], v[26:27] offset:1024
	s_or_b64 exec, exec, s[2:3]
                                        ; implicit-def: $vgpr28_vgpr29
	s_and_saveexec_b64 s[2:3], s[44:45]
	s_cbranch_execnz .LBB1592_69
.LBB1592_49:
	s_or_b64 exec, exec, s[2:3]
                                        ; implicit-def: $vgpr30_vgpr31
	s_and_saveexec_b64 s[2:3], s[8:9]
	s_cbranch_execz .LBB1592_70
.LBB1592_50:
	v_lshlrev_b32_e32 v30, 3, v0
	v_mov_b32_e32 v31, s55
	v_add_co_u32_e32 v30, vcc, s7, v30
	v_addc_co_u32_e32 v31, vcc, 0, v31, vcc
	flat_load_dwordx2 v[30:31], v[30:31] offset:2048
	s_or_b64 exec, exec, s[2:3]
                                        ; implicit-def: $vgpr32_vgpr33
	s_and_saveexec_b64 s[2:3], s[10:11]
	s_cbranch_execnz .LBB1592_71
.LBB1592_51:
	s_or_b64 exec, exec, s[2:3]
                                        ; implicit-def: $vgpr34_vgpr35
	s_and_saveexec_b64 s[2:3], s[12:13]
	s_cbranch_execz .LBB1592_72
.LBB1592_52:
	v_lshlrev_b32_e32 v34, 3, v0
	v_mov_b32_e32 v35, s55
	v_add_co_u32_e32 v34, vcc, s7, v34
	v_addc_co_u32_e32 v35, vcc, 0, v35, vcc
	flat_load_dwordx2 v[34:35], v[34:35] offset:3072
	s_or_b64 exec, exec, s[2:3]
                                        ; implicit-def: $vgpr36_vgpr37
	s_and_saveexec_b64 s[2:3], s[14:15]
	s_cbranch_execnz .LBB1592_73
.LBB1592_53:
	s_or_b64 exec, exec, s[2:3]
                                        ; implicit-def: $vgpr38_vgpr39
	s_and_saveexec_b64 s[2:3], s[16:17]
	s_cbranch_execz .LBB1592_74
.LBB1592_54:
	v_lshlrev_b32_e32 v1, 3, v1
	v_mov_b32_e32 v39, s55
	v_add_co_u32_e32 v38, vcc, s7, v1
	v_addc_co_u32_e32 v39, vcc, 0, v39, vcc
	flat_load_dwordx2 v[38:39], v[38:39]
	s_or_b64 exec, exec, s[2:3]
                                        ; implicit-def: $vgpr40_vgpr41
	s_and_saveexec_b64 s[2:3], s[18:19]
	s_cbranch_execnz .LBB1592_75
.LBB1592_55:
	s_or_b64 exec, exec, s[2:3]
                                        ; implicit-def: $vgpr42_vgpr43
	s_and_saveexec_b64 s[2:3], s[20:21]
	s_cbranch_execz .LBB1592_76
.LBB1592_56:
	v_lshlrev_b32_e32 v1, 3, v44
	v_mov_b32_e32 v43, s55
	v_add_co_u32_e32 v42, vcc, s7, v1
	v_addc_co_u32_e32 v43, vcc, 0, v43, vcc
	flat_load_dwordx2 v[42:43], v[42:43]
	s_or_b64 exec, exec, s[2:3]
                                        ; implicit-def: $vgpr44_vgpr45
	s_and_saveexec_b64 s[2:3], s[22:23]
	s_cbranch_execnz .LBB1592_77
.LBB1592_57:
	s_or_b64 exec, exec, s[2:3]
                                        ; implicit-def: $vgpr46_vgpr47
	s_and_saveexec_b64 s[2:3], s[24:25]
	s_cbranch_execz .LBB1592_78
.LBB1592_58:
	v_lshlrev_b32_e32 v1, 3, v48
	v_mov_b32_e32 v47, s55
	v_add_co_u32_e32 v46, vcc, s7, v1
	v_addc_co_u32_e32 v47, vcc, 0, v47, vcc
	flat_load_dwordx2 v[46:47], v[46:47]
	s_or_b64 exec, exec, s[2:3]
                                        ; implicit-def: $vgpr48_vgpr49
	s_and_saveexec_b64 s[2:3], s[26:27]
	s_cbranch_execnz .LBB1592_79
.LBB1592_59:
	s_or_b64 exec, exec, s[2:3]
                                        ; implicit-def: $vgpr50_vgpr51
	s_and_saveexec_b64 s[2:3], s[28:29]
	s_cbranch_execz .LBB1592_80
.LBB1592_60:
	v_lshlrev_b32_e32 v1, 3, v52
	v_mov_b32_e32 v51, s55
	v_add_co_u32_e32 v50, vcc, s7, v1
	v_addc_co_u32_e32 v51, vcc, 0, v51, vcc
	flat_load_dwordx2 v[50:51], v[50:51]
	s_or_b64 exec, exec, s[2:3]
                                        ; implicit-def: $vgpr52_vgpr53
	s_and_saveexec_b64 s[2:3], s[30:31]
	s_cbranch_execnz .LBB1592_81
.LBB1592_61:
	s_or_b64 exec, exec, s[2:3]
                                        ; implicit-def: $vgpr54_vgpr55
	s_and_saveexec_b64 s[2:3], s[34:35]
	s_cbranch_execz .LBB1592_82
.LBB1592_62:
	v_lshlrev_b32_e32 v1, 3, v56
	v_mov_b32_e32 v55, s55
	v_add_co_u32_e32 v54, vcc, s7, v1
	v_addc_co_u32_e32 v55, vcc, 0, v55, vcc
	flat_load_dwordx2 v[54:55], v[54:55]
	s_or_b64 exec, exec, s[2:3]
                                        ; implicit-def: $vgpr56_vgpr57
	s_and_saveexec_b64 s[2:3], s[36:37]
	s_cbranch_execnz .LBB1592_83
.LBB1592_63:
	s_or_b64 exec, exec, s[2:3]
                                        ; implicit-def: $vgpr58_vgpr59
	s_and_saveexec_b64 s[2:3], s[38:39]
	s_cbranch_execz .LBB1592_84
.LBB1592_64:
	v_lshlrev_b32_e32 v1, 3, v60
	v_mov_b32_e32 v59, s55
	v_add_co_u32_e32 v58, vcc, s7, v1
	v_addc_co_u32_e32 v59, vcc, 0, v59, vcc
	flat_load_dwordx2 v[58:59], v[58:59]
	s_or_b64 exec, exec, s[2:3]
                                        ; implicit-def: $vgpr60_vgpr61
	s_and_saveexec_b64 s[2:3], s[40:41]
	s_cbranch_execz .LBB1592_86
	s_branch .LBB1592_85
.LBB1592_65:
	s_mov_b64 s[10:11], 0
                                        ; implicit-def: $sgpr8_sgpr9
                                        ; implicit-def: $vgpr2_vgpr3
                                        ; implicit-def: $vgpr42_vgpr43
                                        ; implicit-def: $vgpr108
                                        ; implicit-def: $vgpr44_vgpr45
                                        ; implicit-def: $vgpr124
                                        ; implicit-def: $vgpr80_vgpr81
                                        ; implicit-def: $vgpr123
                                        ; implicit-def: $vgpr78_vgpr79
                                        ; implicit-def: $vgpr122
                                        ; implicit-def: $vgpr76_vgpr77
                                        ; implicit-def: $vgpr121
                                        ; implicit-def: $vgpr74_vgpr75
                                        ; implicit-def: $vgpr120
                                        ; implicit-def: $vgpr72_vgpr73
                                        ; implicit-def: $vgpr119
                                        ; implicit-def: $vgpr70_vgpr71
                                        ; implicit-def: $vgpr118
                                        ; implicit-def: $vgpr68_vgpr69
                                        ; implicit-def: $vgpr117
                                        ; implicit-def: $vgpr66_vgpr67
                                        ; implicit-def: $vgpr116
                                        ; implicit-def: $vgpr64_vgpr65
                                        ; implicit-def: $vgpr115
                                        ; implicit-def: $vgpr62_vgpr63
                                        ; implicit-def: $vgpr114
                                        ; implicit-def: $vgpr60_vgpr61
                                        ; implicit-def: $vgpr113
                                        ; implicit-def: $vgpr58_vgpr59
                                        ; implicit-def: $vgpr112
                                        ; implicit-def: $vgpr56_vgpr57
                                        ; implicit-def: $vgpr111
                                        ; implicit-def: $vgpr54_vgpr55
                                        ; implicit-def: $vgpr110
                                        ; implicit-def: $vgpr52_vgpr53
                                        ; implicit-def: $vgpr109
                                        ; implicit-def: $vgpr50_vgpr51
                                        ; implicit-def: $vgpr107
                                        ; implicit-def: $vgpr48_vgpr49
                                        ; implicit-def: $vgpr106
                                        ; implicit-def: $vgpr46_vgpr47
                                        ; implicit-def: $vgpr1
                                        ; implicit-def: $sgpr76
                                        ; implicit-def: $sgpr4_sgpr5
	s_and_b64 vcc, exec, s[2:3]
	s_cbranch_vccz .LBB1592_136
	s_branch .LBB1592_131
.LBB1592_66:
	s_or_b64 exec, exec, s[46:47]
                                        ; implicit-def: $vgpr4_vgpr5
	s_and_saveexec_b64 s[46:47], s[2:3]
	s_cbranch_execz .LBB1592_47
.LBB1592_67:
	v_lshlrev_b32_e32 v4, 3, v0
	v_mov_b32_e32 v5, s55
	v_add_co_u32_e32 v4, vcc, s7, v4
	v_addc_co_u32_e32 v5, vcc, 0, v5, vcc
	flat_load_dwordx2 v[4:5], v[4:5] offset:512
	s_or_b64 exec, exec, s[46:47]
                                        ; implicit-def: $vgpr26_vgpr27
	s_and_saveexec_b64 s[2:3], s[4:5]
	s_cbranch_execnz .LBB1592_48
.LBB1592_68:
	s_or_b64 exec, exec, s[2:3]
                                        ; implicit-def: $vgpr28_vgpr29
	s_and_saveexec_b64 s[2:3], s[44:45]
	s_cbranch_execz .LBB1592_49
.LBB1592_69:
	v_lshlrev_b32_e32 v28, 3, v0
	v_mov_b32_e32 v29, s55
	v_add_co_u32_e32 v28, vcc, s7, v28
	v_addc_co_u32_e32 v29, vcc, 0, v29, vcc
	flat_load_dwordx2 v[28:29], v[28:29] offset:1536
	s_or_b64 exec, exec, s[2:3]
                                        ; implicit-def: $vgpr30_vgpr31
	s_and_saveexec_b64 s[2:3], s[8:9]
	s_cbranch_execnz .LBB1592_50
.LBB1592_70:
	s_or_b64 exec, exec, s[2:3]
                                        ; implicit-def: $vgpr32_vgpr33
	s_and_saveexec_b64 s[2:3], s[10:11]
	s_cbranch_execz .LBB1592_51
.LBB1592_71:
	v_lshlrev_b32_e32 v32, 3, v0
	v_mov_b32_e32 v33, s55
	v_add_co_u32_e32 v32, vcc, s7, v32
	v_addc_co_u32_e32 v33, vcc, 0, v33, vcc
	flat_load_dwordx2 v[32:33], v[32:33] offset:2560
	s_or_b64 exec, exec, s[2:3]
                                        ; implicit-def: $vgpr34_vgpr35
	s_and_saveexec_b64 s[2:3], s[12:13]
	s_cbranch_execnz .LBB1592_52
.LBB1592_72:
	s_or_b64 exec, exec, s[2:3]
                                        ; implicit-def: $vgpr36_vgpr37
	s_and_saveexec_b64 s[2:3], s[14:15]
	s_cbranch_execz .LBB1592_53
.LBB1592_73:
	v_lshlrev_b32_e32 v36, 3, v0
	v_mov_b32_e32 v37, s55
	v_add_co_u32_e32 v36, vcc, s7, v36
	v_addc_co_u32_e32 v37, vcc, 0, v37, vcc
	flat_load_dwordx2 v[36:37], v[36:37] offset:3584
	s_or_b64 exec, exec, s[2:3]
                                        ; implicit-def: $vgpr38_vgpr39
	s_and_saveexec_b64 s[2:3], s[16:17]
	s_cbranch_execnz .LBB1592_54
.LBB1592_74:
	s_or_b64 exec, exec, s[2:3]
                                        ; implicit-def: $vgpr40_vgpr41
	s_and_saveexec_b64 s[2:3], s[18:19]
	s_cbranch_execz .LBB1592_55
.LBB1592_75:
	v_lshlrev_b32_e32 v1, 3, v42
	v_mov_b32_e32 v41, s55
	v_add_co_u32_e32 v40, vcc, s7, v1
	v_addc_co_u32_e32 v41, vcc, 0, v41, vcc
	flat_load_dwordx2 v[40:41], v[40:41]
	s_or_b64 exec, exec, s[2:3]
                                        ; implicit-def: $vgpr42_vgpr43
	s_and_saveexec_b64 s[2:3], s[20:21]
	s_cbranch_execnz .LBB1592_56
.LBB1592_76:
	s_or_b64 exec, exec, s[2:3]
                                        ; implicit-def: $vgpr44_vgpr45
	s_and_saveexec_b64 s[2:3], s[22:23]
	s_cbranch_execz .LBB1592_57
.LBB1592_77:
	v_lshlrev_b32_e32 v1, 3, v46
	v_mov_b32_e32 v45, s55
	v_add_co_u32_e32 v44, vcc, s7, v1
	v_addc_co_u32_e32 v45, vcc, 0, v45, vcc
	flat_load_dwordx2 v[44:45], v[44:45]
	s_or_b64 exec, exec, s[2:3]
                                        ; implicit-def: $vgpr46_vgpr47
	s_and_saveexec_b64 s[2:3], s[24:25]
	s_cbranch_execnz .LBB1592_58
.LBB1592_78:
	s_or_b64 exec, exec, s[2:3]
                                        ; implicit-def: $vgpr48_vgpr49
	s_and_saveexec_b64 s[2:3], s[26:27]
	s_cbranch_execz .LBB1592_59
.LBB1592_79:
	v_lshlrev_b32_e32 v1, 3, v50
	v_mov_b32_e32 v49, s55
	v_add_co_u32_e32 v48, vcc, s7, v1
	v_addc_co_u32_e32 v49, vcc, 0, v49, vcc
	flat_load_dwordx2 v[48:49], v[48:49]
	s_or_b64 exec, exec, s[2:3]
                                        ; implicit-def: $vgpr50_vgpr51
	s_and_saveexec_b64 s[2:3], s[28:29]
	s_cbranch_execnz .LBB1592_60
.LBB1592_80:
	s_or_b64 exec, exec, s[2:3]
                                        ; implicit-def: $vgpr52_vgpr53
	s_and_saveexec_b64 s[2:3], s[30:31]
	s_cbranch_execz .LBB1592_61
.LBB1592_81:
	v_lshlrev_b32_e32 v1, 3, v54
	v_mov_b32_e32 v53, s55
	v_add_co_u32_e32 v52, vcc, s7, v1
	v_addc_co_u32_e32 v53, vcc, 0, v53, vcc
	flat_load_dwordx2 v[52:53], v[52:53]
	s_or_b64 exec, exec, s[2:3]
                                        ; implicit-def: $vgpr54_vgpr55
	s_and_saveexec_b64 s[2:3], s[34:35]
	s_cbranch_execnz .LBB1592_62
.LBB1592_82:
	s_or_b64 exec, exec, s[2:3]
                                        ; implicit-def: $vgpr56_vgpr57
	s_and_saveexec_b64 s[2:3], s[36:37]
	s_cbranch_execz .LBB1592_63
.LBB1592_83:
	v_lshlrev_b32_e32 v1, 3, v58
	v_mov_b32_e32 v57, s55
	v_add_co_u32_e32 v56, vcc, s7, v1
	v_addc_co_u32_e32 v57, vcc, 0, v57, vcc
	flat_load_dwordx2 v[56:57], v[56:57]
	s_or_b64 exec, exec, s[2:3]
                                        ; implicit-def: $vgpr58_vgpr59
	s_and_saveexec_b64 s[2:3], s[38:39]
	s_cbranch_execnz .LBB1592_64
.LBB1592_84:
	s_or_b64 exec, exec, s[2:3]
                                        ; implicit-def: $vgpr60_vgpr61
	s_and_saveexec_b64 s[2:3], s[40:41]
	s_cbranch_execz .LBB1592_86
.LBB1592_85:
	v_lshlrev_b32_e32 v1, 3, v62
	v_mov_b32_e32 v61, s55
	v_add_co_u32_e32 v60, vcc, s7, v1
	v_addc_co_u32_e32 v61, vcc, 0, v61, vcc
	flat_load_dwordx2 v[60:61], v[60:61]
.LBB1592_86:
	s_or_b64 exec, exec, s[2:3]
	v_mul_u32_u24_e32 v83, 21, v0
                                        ; implicit-def: $vgpr62_vgpr63
	s_and_saveexec_b64 s[2:3], s[42:43]
	s_cbranch_execz .LBB1592_88
; %bb.87:
	v_lshlrev_b32_e32 v1, 3, v64
	v_mov_b32_e32 v63, s55
	v_add_co_u32_e32 v62, vcc, s7, v1
	v_addc_co_u32_e32 v63, vcc, 0, v63, vcc
	flat_load_dwordx2 v[62:63], v[62:63]
.LBB1592_88:
	s_or_b64 exec, exec, s[2:3]
	v_lshl_add_u32 v85, v0, 2, v65
	s_waitcnt vmcnt(0) lgkmcnt(0)
	ds_write2st64_b64 v85, v[2:3], v[4:5] offset1:1
	ds_write2st64_b64 v85, v[26:27], v[28:29] offset0:2 offset1:3
	ds_write2st64_b64 v85, v[30:31], v[32:33] offset0:4 offset1:5
	;; [unrolled: 1-line block ×9, first 2 shown]
	ds_write_b64 v85, v[62:63] offset:10240
	v_pk_mov_b32 v[42:43], 0, 0
	v_cmp_gt_u32_e32 vcc, s74, v83
	s_mov_b64 s[10:11], 0
	s_mov_b32 s76, 0
	s_mov_b64 s[2:3], 0
	v_mov_b32_e32 v108, 0
	v_pk_mov_b32 v[44:45], v[42:43], v[42:43] op_sel:[0,1]
	v_mov_b32_e32 v124, 0
	v_pk_mov_b32 v[80:81], v[42:43], v[42:43] op_sel:[0,1]
	;; [unrolled: 2-line block ×19, first 2 shown]
	v_mov_b32_e32 v1, 0
	s_waitcnt lgkmcnt(0)
	; wave barrier
	s_waitcnt lgkmcnt(0)
                                        ; implicit-def: $sgpr8_sgpr9
                                        ; implicit-def: $vgpr2_vgpr3
	s_and_saveexec_b64 s[4:5], vcc
	s_cbranch_execz .LBB1592_130
; %bb.89:
	s_movk_i32 s8, 0xa0
	v_mad_u32_u24 v1, v0, s8, v85
	ds_read_b64 v[2:3], v1
	v_cmp_ne_u32_e32 vcc, v84, v24
	v_mov_b32_e32 v5, s69
	v_add_u32_e32 v4, 1, v83
	v_pk_mov_b32 v[44:45], 0, 0
	s_waitcnt lgkmcnt(0)
	v_cndmask_b32_e32 v43, v3, v5, vcc
	v_mov_b32_e32 v3, s68
	v_cndmask_b32_e64 v1, 0, 1, vcc
	v_cndmask_b32_e32 v42, v2, v3, vcc
	v_cmp_gt_u32_e32 vcc, s74, v4
	s_mov_b64 s[12:13], 0
	v_mov_b32_e32 v108, 0
	v_mov_b32_e32 v124, 0
	v_pk_mov_b32 v[80:81], v[44:45], v[44:45] op_sel:[0,1]
	v_mov_b32_e32 v123, 0
	v_pk_mov_b32 v[78:79], v[44:45], v[44:45] op_sel:[0,1]
	;; [unrolled: 2-line block ×18, first 2 shown]
                                        ; implicit-def: $sgpr14_sgpr15
                                        ; implicit-def: $vgpr2_vgpr3
	s_and_saveexec_b64 s[8:9], vcc
	s_cbranch_execz .LBB1592_129
; %bb.90:
	v_mul_u32_u24_e32 v2, 0xa0, v0
	v_add_u32_e32 v26, v85, v2
	ds_read2_b64 v[2:5], v26 offset0:1 offset1:2
	v_cmp_ne_u32_e32 vcc, v24, v25
	v_mov_b32_e32 v24, s69
	v_add_u32_e32 v27, 2, v83
	v_pk_mov_b32 v[44:45], 0, 0
	s_waitcnt lgkmcnt(0)
	v_cndmask_b32_e32 v47, v3, v24, vcc
	v_mov_b32_e32 v3, s68
	v_cndmask_b32_e64 v106, 0, 1, vcc
	v_cndmask_b32_e32 v46, v2, v3, vcc
	v_cmp_gt_u32_e32 vcc, s74, v27
	s_mov_b64 s[14:15], 0
	v_mov_b32_e32 v108, 0
	v_mov_b32_e32 v124, 0
	v_pk_mov_b32 v[80:81], v[44:45], v[44:45] op_sel:[0,1]
	v_mov_b32_e32 v123, 0
	v_pk_mov_b32 v[78:79], v[44:45], v[44:45] op_sel:[0,1]
	;; [unrolled: 2-line block ×17, first 2 shown]
                                        ; implicit-def: $sgpr16_sgpr17
                                        ; implicit-def: $vgpr2_vgpr3
	s_and_saveexec_b64 s[10:11], vcc
	s_cbranch_execz .LBB1592_128
; %bb.91:
	v_cmp_ne_u32_e32 vcc, v25, v22
	v_mov_b32_e32 v3, s69
	v_add_u32_e32 v2, 3, v83
	v_cndmask_b32_e32 v49, v5, v3, vcc
	v_mov_b32_e32 v3, s68
	v_pk_mov_b32 v[44:45], 0, 0
	v_cndmask_b32_e64 v107, 0, 1, vcc
	v_cndmask_b32_e32 v48, v4, v3, vcc
	v_cmp_gt_u32_e32 vcc, s74, v2
	s_mov_b64 s[16:17], 0
	v_mov_b32_e32 v108, 0
	v_mov_b32_e32 v124, 0
	v_pk_mov_b32 v[80:81], v[44:45], v[44:45] op_sel:[0,1]
	v_mov_b32_e32 v123, 0
	v_pk_mov_b32 v[78:79], v[44:45], v[44:45] op_sel:[0,1]
	;; [unrolled: 2-line block ×16, first 2 shown]
                                        ; implicit-def: $sgpr18_sgpr19
                                        ; implicit-def: $vgpr2_vgpr3
	s_and_saveexec_b64 s[12:13], vcc
	s_cbranch_execz .LBB1592_127
; %bb.92:
	ds_read2_b64 v[2:5], v26 offset0:3 offset1:4
	v_cmp_ne_u32_e32 vcc, v22, v23
	v_mov_b32_e32 v22, s69
	v_add_u32_e32 v24, 4, v83
	v_pk_mov_b32 v[44:45], 0, 0
	s_waitcnt lgkmcnt(0)
	v_cndmask_b32_e32 v51, v3, v22, vcc
	v_mov_b32_e32 v3, s68
	v_cndmask_b32_e64 v109, 0, 1, vcc
	v_cndmask_b32_e32 v50, v2, v3, vcc
	v_cmp_gt_u32_e32 vcc, s74, v24
	s_mov_b64 s[18:19], 0
	v_mov_b32_e32 v108, 0
	v_mov_b32_e32 v124, 0
	v_pk_mov_b32 v[80:81], v[44:45], v[44:45] op_sel:[0,1]
	v_mov_b32_e32 v123, 0
	v_pk_mov_b32 v[78:79], v[44:45], v[44:45] op_sel:[0,1]
	;; [unrolled: 2-line block ×15, first 2 shown]
                                        ; implicit-def: $sgpr20_sgpr21
                                        ; implicit-def: $vgpr2_vgpr3
	s_and_saveexec_b64 s[14:15], vcc
	s_cbranch_execz .LBB1592_126
; %bb.93:
	v_cmp_ne_u32_e32 vcc, v23, v20
	v_mov_b32_e32 v3, s69
	v_add_u32_e32 v2, 5, v83
	v_cndmask_b32_e32 v53, v5, v3, vcc
	v_mov_b32_e32 v3, s68
	v_pk_mov_b32 v[44:45], 0, 0
	v_cndmask_b32_e64 v110, 0, 1, vcc
	v_cndmask_b32_e32 v52, v4, v3, vcc
	v_cmp_gt_u32_e32 vcc, s74, v2
	s_mov_b64 s[20:21], 0
	v_mov_b32_e32 v108, 0
	v_mov_b32_e32 v124, 0
	v_pk_mov_b32 v[80:81], v[44:45], v[44:45] op_sel:[0,1]
	v_mov_b32_e32 v123, 0
	v_pk_mov_b32 v[78:79], v[44:45], v[44:45] op_sel:[0,1]
	v_mov_b32_e32 v122, 0
	v_pk_mov_b32 v[76:77], v[44:45], v[44:45] op_sel:[0,1]
	v_mov_b32_e32 v121, 0
	v_pk_mov_b32 v[74:75], v[44:45], v[44:45] op_sel:[0,1]
	v_mov_b32_e32 v120, 0
	v_pk_mov_b32 v[72:73], v[44:45], v[44:45] op_sel:[0,1]
	v_mov_b32_e32 v119, 0
	v_pk_mov_b32 v[70:71], v[44:45], v[44:45] op_sel:[0,1]
	v_mov_b32_e32 v118, 0
	v_pk_mov_b32 v[68:69], v[44:45], v[44:45] op_sel:[0,1]
	v_mov_b32_e32 v117, 0
	v_pk_mov_b32 v[66:67], v[44:45], v[44:45] op_sel:[0,1]
	v_mov_b32_e32 v116, 0
	v_pk_mov_b32 v[64:65], v[44:45], v[44:45] op_sel:[0,1]
	v_mov_b32_e32 v115, 0
	v_pk_mov_b32 v[62:63], v[44:45], v[44:45] op_sel:[0,1]
	v_mov_b32_e32 v114, 0
	v_pk_mov_b32 v[60:61], v[44:45], v[44:45] op_sel:[0,1]
	v_mov_b32_e32 v113, 0
	v_pk_mov_b32 v[58:59], v[44:45], v[44:45] op_sel:[0,1]
	v_mov_b32_e32 v112, 0
	v_pk_mov_b32 v[56:57], v[44:45], v[44:45] op_sel:[0,1]
	v_mov_b32_e32 v111, 0
	v_pk_mov_b32 v[54:55], v[44:45], v[44:45] op_sel:[0,1]
                                        ; implicit-def: $sgpr22_sgpr23
                                        ; implicit-def: $vgpr2_vgpr3
	s_and_saveexec_b64 s[16:17], vcc
	s_cbranch_execz .LBB1592_125
; %bb.94:
	ds_read2_b64 v[2:5], v26 offset0:5 offset1:6
	v_cmp_ne_u32_e32 vcc, v20, v21
	v_mov_b32_e32 v20, s69
	v_add_u32_e32 v22, 6, v83
	v_pk_mov_b32 v[44:45], 0, 0
	s_waitcnt lgkmcnt(0)
	v_cndmask_b32_e32 v55, v3, v20, vcc
	v_mov_b32_e32 v3, s68
	v_cndmask_b32_e64 v111, 0, 1, vcc
	v_cndmask_b32_e32 v54, v2, v3, vcc
	v_cmp_gt_u32_e32 vcc, s74, v22
	s_mov_b64 s[22:23], 0
	v_mov_b32_e32 v108, 0
	v_mov_b32_e32 v124, 0
	v_pk_mov_b32 v[80:81], v[44:45], v[44:45] op_sel:[0,1]
	v_mov_b32_e32 v123, 0
	v_pk_mov_b32 v[78:79], v[44:45], v[44:45] op_sel:[0,1]
	v_mov_b32_e32 v122, 0
	v_pk_mov_b32 v[76:77], v[44:45], v[44:45] op_sel:[0,1]
	v_mov_b32_e32 v121, 0
	v_pk_mov_b32 v[74:75], v[44:45], v[44:45] op_sel:[0,1]
	v_mov_b32_e32 v120, 0
	v_pk_mov_b32 v[72:73], v[44:45], v[44:45] op_sel:[0,1]
	v_mov_b32_e32 v119, 0
	v_pk_mov_b32 v[70:71], v[44:45], v[44:45] op_sel:[0,1]
	v_mov_b32_e32 v118, 0
	v_pk_mov_b32 v[68:69], v[44:45], v[44:45] op_sel:[0,1]
	v_mov_b32_e32 v117, 0
	v_pk_mov_b32 v[66:67], v[44:45], v[44:45] op_sel:[0,1]
	v_mov_b32_e32 v116, 0
	v_pk_mov_b32 v[64:65], v[44:45], v[44:45] op_sel:[0,1]
	v_mov_b32_e32 v115, 0
	v_pk_mov_b32 v[62:63], v[44:45], v[44:45] op_sel:[0,1]
	v_mov_b32_e32 v114, 0
	v_pk_mov_b32 v[60:61], v[44:45], v[44:45] op_sel:[0,1]
	v_mov_b32_e32 v113, 0
	v_pk_mov_b32 v[58:59], v[44:45], v[44:45] op_sel:[0,1]
	v_mov_b32_e32 v112, 0
	v_pk_mov_b32 v[56:57], v[44:45], v[44:45] op_sel:[0,1]
                                        ; implicit-def: $sgpr24_sgpr25
                                        ; implicit-def: $vgpr2_vgpr3
	s_and_saveexec_b64 s[18:19], vcc
	s_cbranch_execz .LBB1592_124
; %bb.95:
	v_cmp_ne_u32_e32 vcc, v21, v18
	v_mov_b32_e32 v3, s69
	v_add_u32_e32 v2, 7, v83
	v_cndmask_b32_e32 v57, v5, v3, vcc
	v_mov_b32_e32 v3, s68
	v_pk_mov_b32 v[44:45], 0, 0
	v_cndmask_b32_e64 v112, 0, 1, vcc
	v_cndmask_b32_e32 v56, v4, v3, vcc
	v_cmp_gt_u32_e32 vcc, s74, v2
	s_mov_b64 s[24:25], 0
	v_mov_b32_e32 v108, 0
	v_mov_b32_e32 v124, 0
	v_pk_mov_b32 v[80:81], v[44:45], v[44:45] op_sel:[0,1]
	v_mov_b32_e32 v123, 0
	v_pk_mov_b32 v[78:79], v[44:45], v[44:45] op_sel:[0,1]
	;; [unrolled: 2-line block ×12, first 2 shown]
                                        ; implicit-def: $sgpr26_sgpr27
                                        ; implicit-def: $vgpr2_vgpr3
	s_and_saveexec_b64 s[20:21], vcc
	s_cbranch_execz .LBB1592_123
; %bb.96:
	ds_read2_b64 v[2:5], v26 offset0:7 offset1:8
	v_cmp_ne_u32_e32 vcc, v18, v19
	v_mov_b32_e32 v18, s69
	v_add_u32_e32 v20, 8, v83
	v_pk_mov_b32 v[44:45], 0, 0
	s_waitcnt lgkmcnt(0)
	v_cndmask_b32_e32 v59, v3, v18, vcc
	v_mov_b32_e32 v3, s68
	v_cndmask_b32_e64 v113, 0, 1, vcc
	v_cndmask_b32_e32 v58, v2, v3, vcc
	v_cmp_gt_u32_e32 vcc, s74, v20
	s_mov_b64 s[26:27], 0
	v_mov_b32_e32 v108, 0
	v_mov_b32_e32 v124, 0
	v_pk_mov_b32 v[80:81], v[44:45], v[44:45] op_sel:[0,1]
	v_mov_b32_e32 v123, 0
	v_pk_mov_b32 v[78:79], v[44:45], v[44:45] op_sel:[0,1]
	;; [unrolled: 2-line block ×11, first 2 shown]
                                        ; implicit-def: $sgpr28_sgpr29
                                        ; implicit-def: $vgpr2_vgpr3
	s_and_saveexec_b64 s[22:23], vcc
	s_cbranch_execz .LBB1592_122
; %bb.97:
	v_cmp_ne_u32_e32 vcc, v19, v16
	v_mov_b32_e32 v3, s69
	v_add_u32_e32 v2, 9, v83
	v_cndmask_b32_e32 v61, v5, v3, vcc
	v_mov_b32_e32 v3, s68
	v_pk_mov_b32 v[44:45], 0, 0
	v_cndmask_b32_e64 v114, 0, 1, vcc
	v_cndmask_b32_e32 v60, v4, v3, vcc
	v_cmp_gt_u32_e32 vcc, s74, v2
	s_mov_b64 s[28:29], 0
	v_mov_b32_e32 v108, 0
	v_mov_b32_e32 v124, 0
	v_pk_mov_b32 v[80:81], v[44:45], v[44:45] op_sel:[0,1]
	v_mov_b32_e32 v123, 0
	v_pk_mov_b32 v[78:79], v[44:45], v[44:45] op_sel:[0,1]
	v_mov_b32_e32 v122, 0
	v_pk_mov_b32 v[76:77], v[44:45], v[44:45] op_sel:[0,1]
	v_mov_b32_e32 v121, 0
	v_pk_mov_b32 v[74:75], v[44:45], v[44:45] op_sel:[0,1]
	v_mov_b32_e32 v120, 0
	v_pk_mov_b32 v[72:73], v[44:45], v[44:45] op_sel:[0,1]
	v_mov_b32_e32 v119, 0
	v_pk_mov_b32 v[70:71], v[44:45], v[44:45] op_sel:[0,1]
	v_mov_b32_e32 v118, 0
	v_pk_mov_b32 v[68:69], v[44:45], v[44:45] op_sel:[0,1]
	v_mov_b32_e32 v117, 0
	v_pk_mov_b32 v[66:67], v[44:45], v[44:45] op_sel:[0,1]
	v_mov_b32_e32 v116, 0
	v_pk_mov_b32 v[64:65], v[44:45], v[44:45] op_sel:[0,1]
	v_mov_b32_e32 v115, 0
	v_pk_mov_b32 v[62:63], v[44:45], v[44:45] op_sel:[0,1]
                                        ; implicit-def: $sgpr30_sgpr31
                                        ; implicit-def: $vgpr2_vgpr3
	s_and_saveexec_b64 s[24:25], vcc
	s_cbranch_execz .LBB1592_121
; %bb.98:
	ds_read2_b64 v[2:5], v26 offset0:9 offset1:10
	v_cmp_ne_u32_e32 vcc, v16, v17
	v_mov_b32_e32 v16, s69
	v_add_u32_e32 v18, 10, v83
	v_pk_mov_b32 v[44:45], 0, 0
	s_waitcnt lgkmcnt(0)
	v_cndmask_b32_e32 v63, v3, v16, vcc
	v_mov_b32_e32 v3, s68
	v_cndmask_b32_e64 v115, 0, 1, vcc
	v_cndmask_b32_e32 v62, v2, v3, vcc
	v_cmp_gt_u32_e32 vcc, s74, v18
	s_mov_b64 s[30:31], 0
	v_mov_b32_e32 v108, 0
	v_mov_b32_e32 v124, 0
	v_pk_mov_b32 v[80:81], v[44:45], v[44:45] op_sel:[0,1]
	v_mov_b32_e32 v123, 0
	v_pk_mov_b32 v[78:79], v[44:45], v[44:45] op_sel:[0,1]
	;; [unrolled: 2-line block ×9, first 2 shown]
                                        ; implicit-def: $sgpr34_sgpr35
                                        ; implicit-def: $vgpr2_vgpr3
	s_and_saveexec_b64 s[26:27], vcc
	s_cbranch_execz .LBB1592_120
; %bb.99:
	v_cmp_ne_u32_e32 vcc, v17, v14
	v_mov_b32_e32 v3, s69
	v_add_u32_e32 v2, 11, v83
	v_cndmask_b32_e32 v65, v5, v3, vcc
	v_mov_b32_e32 v3, s68
	v_pk_mov_b32 v[44:45], 0, 0
	v_cndmask_b32_e64 v116, 0, 1, vcc
	v_cndmask_b32_e32 v64, v4, v3, vcc
	v_cmp_gt_u32_e32 vcc, s74, v2
	s_mov_b64 s[34:35], 0
	v_mov_b32_e32 v108, 0
	v_mov_b32_e32 v124, 0
	v_pk_mov_b32 v[80:81], v[44:45], v[44:45] op_sel:[0,1]
	v_mov_b32_e32 v123, 0
	v_pk_mov_b32 v[78:79], v[44:45], v[44:45] op_sel:[0,1]
	;; [unrolled: 2-line block ×8, first 2 shown]
                                        ; implicit-def: $sgpr36_sgpr37
                                        ; implicit-def: $vgpr2_vgpr3
	s_and_saveexec_b64 s[28:29], vcc
	s_cbranch_execz .LBB1592_119
; %bb.100:
	ds_read2_b64 v[2:5], v26 offset0:11 offset1:12
	v_cmp_ne_u32_e32 vcc, v14, v15
	v_mov_b32_e32 v14, s69
	v_add_u32_e32 v16, 12, v83
	v_pk_mov_b32 v[44:45], 0, 0
	s_waitcnt lgkmcnt(0)
	v_cndmask_b32_e32 v67, v3, v14, vcc
	v_mov_b32_e32 v3, s68
	v_cndmask_b32_e64 v117, 0, 1, vcc
	v_cndmask_b32_e32 v66, v2, v3, vcc
	v_cmp_gt_u32_e32 vcc, s74, v16
	s_mov_b64 s[36:37], 0
	v_mov_b32_e32 v108, 0
	v_mov_b32_e32 v124, 0
	v_pk_mov_b32 v[80:81], v[44:45], v[44:45] op_sel:[0,1]
	v_mov_b32_e32 v123, 0
	v_pk_mov_b32 v[78:79], v[44:45], v[44:45] op_sel:[0,1]
	;; [unrolled: 2-line block ×7, first 2 shown]
                                        ; implicit-def: $sgpr38_sgpr39
                                        ; implicit-def: $vgpr2_vgpr3
	s_and_saveexec_b64 s[30:31], vcc
	s_cbranch_execz .LBB1592_118
; %bb.101:
	v_cmp_ne_u32_e32 vcc, v15, v12
	v_mov_b32_e32 v3, s69
	v_add_u32_e32 v2, 13, v83
	v_cndmask_b32_e32 v69, v5, v3, vcc
	v_mov_b32_e32 v3, s68
	v_pk_mov_b32 v[44:45], 0, 0
	v_cndmask_b32_e64 v118, 0, 1, vcc
	v_cndmask_b32_e32 v68, v4, v3, vcc
	v_cmp_gt_u32_e32 vcc, s74, v2
	s_mov_b64 s[38:39], 0
	v_mov_b32_e32 v108, 0
	v_mov_b32_e32 v124, 0
	v_pk_mov_b32 v[80:81], v[44:45], v[44:45] op_sel:[0,1]
	v_mov_b32_e32 v123, 0
	v_pk_mov_b32 v[78:79], v[44:45], v[44:45] op_sel:[0,1]
	;; [unrolled: 2-line block ×6, first 2 shown]
                                        ; implicit-def: $sgpr40_sgpr41
                                        ; implicit-def: $vgpr2_vgpr3
	s_and_saveexec_b64 s[34:35], vcc
	s_cbranch_execz .LBB1592_117
; %bb.102:
	ds_read2_b64 v[2:5], v26 offset0:13 offset1:14
	v_cmp_ne_u32_e32 vcc, v12, v13
	v_mov_b32_e32 v12, s69
	v_add_u32_e32 v14, 14, v83
	v_pk_mov_b32 v[44:45], 0, 0
	s_waitcnt lgkmcnt(0)
	v_cndmask_b32_e32 v71, v3, v12, vcc
	v_mov_b32_e32 v3, s68
	v_cndmask_b32_e64 v119, 0, 1, vcc
	v_cndmask_b32_e32 v70, v2, v3, vcc
	v_cmp_gt_u32_e32 vcc, s74, v14
	s_mov_b64 s[40:41], 0
	v_mov_b32_e32 v108, 0
	v_mov_b32_e32 v124, 0
	v_pk_mov_b32 v[80:81], v[44:45], v[44:45] op_sel:[0,1]
	v_mov_b32_e32 v123, 0
	v_pk_mov_b32 v[78:79], v[44:45], v[44:45] op_sel:[0,1]
	;; [unrolled: 2-line block ×5, first 2 shown]
                                        ; implicit-def: $sgpr42_sgpr43
                                        ; implicit-def: $vgpr2_vgpr3
	s_and_saveexec_b64 s[36:37], vcc
	s_cbranch_execz .LBB1592_116
; %bb.103:
	v_cmp_ne_u32_e32 vcc, v13, v10
	v_mov_b32_e32 v3, s69
	v_add_u32_e32 v2, 15, v83
	v_cndmask_b32_e32 v73, v5, v3, vcc
	v_mov_b32_e32 v3, s68
	v_pk_mov_b32 v[44:45], 0, 0
	v_cndmask_b32_e64 v120, 0, 1, vcc
	v_cndmask_b32_e32 v72, v4, v3, vcc
	v_cmp_gt_u32_e32 vcc, s74, v2
	s_mov_b64 s[42:43], 0
	v_mov_b32_e32 v108, 0
	v_mov_b32_e32 v124, 0
	v_pk_mov_b32 v[80:81], v[44:45], v[44:45] op_sel:[0,1]
	v_mov_b32_e32 v123, 0
	v_pk_mov_b32 v[78:79], v[44:45], v[44:45] op_sel:[0,1]
	v_mov_b32_e32 v122, 0
	v_pk_mov_b32 v[76:77], v[44:45], v[44:45] op_sel:[0,1]
	v_mov_b32_e32 v121, 0
	v_pk_mov_b32 v[74:75], v[44:45], v[44:45] op_sel:[0,1]
                                        ; implicit-def: $sgpr44_sgpr45
                                        ; implicit-def: $vgpr2_vgpr3
	s_and_saveexec_b64 s[38:39], vcc
	s_cbranch_execz .LBB1592_115
; %bb.104:
	ds_read2_b64 v[2:5], v26 offset0:15 offset1:16
	v_cmp_ne_u32_e32 vcc, v10, v11
	v_mov_b32_e32 v10, s69
	v_add_u32_e32 v12, 16, v83
	v_pk_mov_b32 v[44:45], 0, 0
	s_waitcnt lgkmcnt(0)
	v_cndmask_b32_e32 v75, v3, v10, vcc
	v_mov_b32_e32 v3, s68
	v_cndmask_b32_e64 v121, 0, 1, vcc
	v_cndmask_b32_e32 v74, v2, v3, vcc
	v_cmp_gt_u32_e32 vcc, s74, v12
	s_mov_b64 s[44:45], 0
	v_mov_b32_e32 v108, 0
	v_mov_b32_e32 v124, 0
	v_pk_mov_b32 v[80:81], v[44:45], v[44:45] op_sel:[0,1]
	v_mov_b32_e32 v123, 0
	v_pk_mov_b32 v[78:79], v[44:45], v[44:45] op_sel:[0,1]
	;; [unrolled: 2-line block ×3, first 2 shown]
                                        ; implicit-def: $sgpr46_sgpr47
                                        ; implicit-def: $vgpr2_vgpr3
	s_and_saveexec_b64 s[40:41], vcc
	s_cbranch_execz .LBB1592_114
; %bb.105:
	v_cmp_ne_u32_e32 vcc, v11, v8
	v_mov_b32_e32 v3, s69
	v_add_u32_e32 v2, 17, v83
	v_cndmask_b32_e32 v77, v5, v3, vcc
	v_mov_b32_e32 v3, s68
	v_pk_mov_b32 v[44:45], 0, 0
	v_cndmask_b32_e64 v122, 0, 1, vcc
	v_cndmask_b32_e32 v76, v4, v3, vcc
	v_cmp_gt_u32_e32 vcc, s74, v2
	s_mov_b64 s[46:47], 0
	v_mov_b32_e32 v108, 0
	v_mov_b32_e32 v124, 0
	v_pk_mov_b32 v[80:81], v[44:45], v[44:45] op_sel:[0,1]
	v_mov_b32_e32 v123, 0
	v_pk_mov_b32 v[78:79], v[44:45], v[44:45] op_sel:[0,1]
                                        ; implicit-def: $sgpr64_sgpr65
                                        ; implicit-def: $vgpr2_vgpr3
	s_and_saveexec_b64 s[42:43], vcc
	s_cbranch_execz .LBB1592_113
; %bb.106:
	ds_read2_b64 v[2:5], v26 offset0:17 offset1:18
	v_cmp_ne_u32_e32 vcc, v8, v9
	v_mov_b32_e32 v8, s69
	v_add_u32_e32 v10, 18, v83
	v_pk_mov_b32 v[44:45], 0, 0
	s_waitcnt lgkmcnt(0)
	v_cndmask_b32_e32 v79, v3, v8, vcc
	v_mov_b32_e32 v3, s68
	v_cndmask_b32_e64 v123, 0, 1, vcc
	v_cndmask_b32_e32 v78, v2, v3, vcc
	v_cmp_gt_u32_e32 vcc, s74, v10
	s_mov_b64 s[64:65], 0
	v_mov_b32_e32 v108, 0
	v_mov_b32_e32 v124, 0
	v_pk_mov_b32 v[80:81], v[44:45], v[44:45] op_sel:[0,1]
                                        ; implicit-def: $sgpr72_sgpr73
                                        ; implicit-def: $vgpr2_vgpr3
	s_and_saveexec_b64 s[44:45], vcc
	s_cbranch_execz .LBB1592_112
; %bb.107:
	v_cmp_ne_u32_e32 vcc, v9, v6
	v_mov_b32_e32 v3, s69
	v_add_u32_e32 v2, 19, v83
	v_cndmask_b32_e32 v81, v5, v3, vcc
	v_mov_b32_e32 v3, s68
	v_cndmask_b32_e64 v124, 0, 1, vcc
	v_cndmask_b32_e32 v80, v4, v3, vcc
	v_cmp_gt_u32_e32 vcc, s74, v2
	v_mov_b32_e32 v108, 0
	v_pk_mov_b32 v[44:45], 0, 0
                                        ; implicit-def: $sgpr72_sgpr73
                                        ; implicit-def: $vgpr2_vgpr3
	s_and_saveexec_b64 s[46:47], vcc
	s_cbranch_execz .LBB1592_111
; %bb.108:
	ds_read2_b64 v[2:5], v26 offset0:19 offset1:20
	v_cmp_ne_u32_e32 vcc, v6, v7
	v_mov_b32_e32 v6, s69
	v_add_u32_e32 v8, 20, v83
	v_cndmask_b32_e64 v108, 0, 1, vcc
	s_waitcnt lgkmcnt(0)
	v_cndmask_b32_e32 v45, v3, v6, vcc
	v_mov_b32_e32 v3, s68
	v_cndmask_b32_e32 v44, v2, v3, vcc
	v_cmp_gt_u32_e32 vcc, s74, v8
                                        ; implicit-def: $sgpr72_sgpr73
                                        ; implicit-def: $vgpr2_vgpr3
	s_and_saveexec_b64 s[74:75], vcc
	s_xor_b64 s[74:75], exec, s[74:75]
; %bb.109:
	v_mov_b32_e32 v2, s69
	v_cmp_ne_u32_e32 vcc, v7, v82
	v_cndmask_b32_e32 v3, v5, v2, vcc
	v_mov_b32_e32 v2, s68
	s_mov_b64 s[64:65], exec
	v_cndmask_b32_e32 v2, v4, v2, vcc
	s_and_b64 s[72:73], vcc, exec
; %bb.110:
	s_or_b64 exec, exec, s[74:75]
	s_and_b64 s[72:73], s[72:73], exec
	s_and_b64 s[64:65], s[64:65], exec
.LBB1592_111:
	s_or_b64 exec, exec, s[46:47]
	s_and_b64 s[72:73], s[72:73], exec
	s_and_b64 s[46:47], s[64:65], exec
.LBB1592_112:
	s_or_b64 exec, exec, s[44:45]
	s_and_b64 s[64:65], s[72:73], exec
	s_and_b64 s[44:45], s[46:47], exec
.LBB1592_113:
	s_or_b64 exec, exec, s[42:43]
	s_and_b64 s[46:47], s[64:65], exec
	s_and_b64 s[42:43], s[44:45], exec
.LBB1592_114:
	s_or_b64 exec, exec, s[40:41]
	s_and_b64 s[44:45], s[46:47], exec
	s_and_b64 s[40:41], s[42:43], exec
.LBB1592_115:
	s_or_b64 exec, exec, s[38:39]
	s_and_b64 s[42:43], s[44:45], exec
	s_and_b64 s[38:39], s[40:41], exec
.LBB1592_116:
	s_or_b64 exec, exec, s[36:37]
	s_and_b64 s[40:41], s[42:43], exec
	s_and_b64 s[36:37], s[38:39], exec
.LBB1592_117:
	s_or_b64 exec, exec, s[34:35]
	s_and_b64 s[38:39], s[40:41], exec
	s_and_b64 s[34:35], s[36:37], exec
.LBB1592_118:
	s_or_b64 exec, exec, s[30:31]
	s_and_b64 s[36:37], s[38:39], exec
	s_and_b64 s[30:31], s[34:35], exec
.LBB1592_119:
	s_or_b64 exec, exec, s[28:29]
	s_and_b64 s[34:35], s[36:37], exec
	s_and_b64 s[28:29], s[30:31], exec
.LBB1592_120:
	s_or_b64 exec, exec, s[26:27]
	s_and_b64 s[30:31], s[34:35], exec
	s_and_b64 s[26:27], s[28:29], exec
.LBB1592_121:
	s_or_b64 exec, exec, s[24:25]
	s_and_b64 s[28:29], s[30:31], exec
	s_and_b64 s[24:25], s[26:27], exec
.LBB1592_122:
	s_or_b64 exec, exec, s[22:23]
	s_and_b64 s[26:27], s[28:29], exec
	s_and_b64 s[22:23], s[24:25], exec
.LBB1592_123:
	s_or_b64 exec, exec, s[20:21]
	s_and_b64 s[24:25], s[26:27], exec
	s_and_b64 s[20:21], s[22:23], exec
.LBB1592_124:
	s_or_b64 exec, exec, s[18:19]
	s_and_b64 s[22:23], s[24:25], exec
	s_and_b64 s[18:19], s[20:21], exec
.LBB1592_125:
	s_or_b64 exec, exec, s[16:17]
	s_and_b64 s[20:21], s[22:23], exec
	s_and_b64 s[16:17], s[18:19], exec
.LBB1592_126:
	s_or_b64 exec, exec, s[14:15]
	s_and_b64 s[18:19], s[20:21], exec
	s_and_b64 s[14:15], s[16:17], exec
.LBB1592_127:
	s_or_b64 exec, exec, s[12:13]
	s_and_b64 s[16:17], s[18:19], exec
	s_and_b64 s[12:13], s[14:15], exec
.LBB1592_128:
	s_or_b64 exec, exec, s[10:11]
	s_and_b64 s[14:15], s[16:17], exec
	s_and_b64 s[10:11], s[12:13], exec
.LBB1592_129:
	s_or_b64 exec, exec, s[8:9]
	s_and_b64 s[8:9], s[14:15], exec
	s_and_b64 s[10:11], s[10:11], exec
.LBB1592_130:
	s_or_b64 exec, exec, s[4:5]
	s_mov_b64 s[4:5], 0
	s_and_b64 vcc, exec, s[2:3]
	s_cbranch_vccz .LBB1592_136
.LBB1592_131:
	v_lshlrev_b32_e32 v2, 2, v0
	v_mov_b32_e32 v1, s61
	v_add_co_u32_e32 v4, vcc, s60, v2
	v_addc_co_u32_e32 v5, vcc, 0, v1, vcc
	s_movk_i32 s4, 0x1000
	flat_load_dword v1, v[4:5]
	flat_load_dword v3, v[4:5] offset:256
	flat_load_dword v6, v[4:5] offset:512
	;; [unrolled: 1-line block ×15, first 2 shown]
	v_add_co_u32_e32 v4, vcc, s4, v4
	v_addc_co_u32_e32 v5, vcc, 0, v5, vcc
	flat_load_dword v20, v[4:5]
	flat_load_dword v21, v[4:5] offset:256
	flat_load_dword v22, v[4:5] offset:512
	;; [unrolled: 1-line block ×4, first 2 shown]
	v_mov_b32_e32 v4, s60
	v_mov_b32_e32 v5, s61
	v_add_co_u32_e32 v4, vcc, 0x1000, v4
	v_addc_co_u32_e32 v5, vcc, 0, v5, vcc
	s_movk_i32 s2, 0x50
	v_cmp_ne_u32_e32 vcc, 63, v0
	s_waitcnt vmcnt(0) lgkmcnt(0)
	ds_write2st64_b32 v2, v1, v3 offset1:1
	ds_write2st64_b32 v2, v6, v7 offset0:2 offset1:3
	ds_write2st64_b32 v2, v8, v9 offset0:4 offset1:5
	;; [unrolled: 1-line block ×9, first 2 shown]
	ds_write_b32 v2, v24 offset:5120
	s_waitcnt lgkmcnt(0)
	; wave barrier
	s_waitcnt lgkmcnt(0)
	flat_load_dword v84, v[4:5] offset:1280
	v_mad_u32_u24 v3, v0, s2, v2
	s_movk_i32 s2, 0xffb0
	ds_read_b32 v1, v3
	ds_read2_b32 v[60:61], v3 offset0:1 offset1:2
	ds_read2_b32 v[58:59], v3 offset0:3 offset1:4
	;; [unrolled: 1-line block ×10, first 2 shown]
	v_mad_i32_i24 v3, v0, s2, v3
	s_waitcnt lgkmcnt(0)
	ds_write_b32 v3, v1 offset:5632
	s_waitcnt lgkmcnt(0)
	; wave barrier
	s_waitcnt lgkmcnt(0)
	s_and_saveexec_b64 s[2:3], vcc
	s_cbranch_execz .LBB1592_133
; %bb.132:
	s_waitcnt vmcnt(0)
	ds_read_b32 v84, v2 offset:5636
.LBB1592_133:
	s_or_b64 exec, exec, s[2:3]
	v_lshlrev_b32_e32 v2, 3, v0
	v_mov_b32_e32 v5, s55
	v_add_co_u32_e32 v4, vcc, s7, v2
	v_addc_co_u32_e32 v5, vcc, 0, v5, vcc
	v_add_co_u32_e32 v22, vcc, s4, v4
	v_addc_co_u32_e32 v23, vcc, 0, v5, vcc
	s_movk_i32 s2, 0x2000
	s_waitcnt lgkmcnt(0)
	; wave barrier
	s_waitcnt lgkmcnt(0)
	flat_load_dwordx2 v[6:7], v[4:5]
	flat_load_dwordx2 v[8:9], v[4:5] offset:512
	flat_load_dwordx2 v[10:11], v[4:5] offset:1024
	flat_load_dwordx2 v[12:13], v[4:5] offset:1536
	flat_load_dwordx2 v[14:15], v[4:5] offset:2048
	flat_load_dwordx2 v[16:17], v[4:5] offset:2560
	flat_load_dwordx2 v[18:19], v[4:5] offset:3072
	flat_load_dwordx2 v[20:21], v[4:5] offset:3584
	v_add_co_u32_e32 v4, vcc, s2, v4
	v_addc_co_u32_e32 v5, vcc, 0, v5, vcc
	flat_load_dwordx2 v[24:25], v[22:23]
	flat_load_dwordx2 v[26:27], v[22:23] offset:512
	flat_load_dwordx2 v[28:29], v[22:23] offset:1024
	;; [unrolled: 1-line block ×7, first 2 shown]
	s_nop 0
	flat_load_dwordx2 v[22:23], v[4:5]
	flat_load_dwordx2 v[40:41], v[4:5] offset:512
	flat_load_dwordx2 v[42:43], v[4:5] offset:1024
	;; [unrolled: 1-line block ×4, first 2 shown]
	v_lshl_add_u32 v62, v0, 2, v3
	s_movk_i32 s2, 0xa0
	v_mad_u32_u24 v2, v0, s2, v62
	v_cmp_ne_u32_e32 vcc, v1, v60
	v_cmp_eq_u32_e64 s[2:3], v1, v60
	s_waitcnt vmcnt(0) lgkmcnt(0)
	ds_write2st64_b64 v62, v[6:7], v[8:9] offset1:1
	ds_write2st64_b64 v62, v[10:11], v[12:13] offset0:2 offset1:3
	ds_write2st64_b64 v62, v[14:15], v[16:17] offset0:4 offset1:5
	;; [unrolled: 1-line block ×9, first 2 shown]
	ds_write_b64 v62, v[66:67] offset:10240
	s_waitcnt lgkmcnt(0)
	; wave barrier
	s_waitcnt lgkmcnt(0)
	ds_read2_b64 v[38:41], v2 offset0:1 offset1:2
	ds_read2_b64 v[34:37], v2 offset0:3 offset1:4
	ds_read2_b64 v[30:33], v2 offset0:5 offset1:6
	ds_read2_b64 v[26:29], v2 offset0:7 offset1:8
	ds_read2_b64 v[22:25], v2 offset0:9 offset1:10
	ds_read2_b64 v[18:21], v2 offset0:11 offset1:12
	ds_read2_b64 v[14:17], v2 offset0:13 offset1:14
	ds_read2_b64 v[10:13], v2 offset0:15 offset1:16
	ds_read2_b64 v[6:9], v2 offset0:17 offset1:18
	ds_read2_b64 v[2:5], v2 offset0:19 offset1:20
	v_pk_mov_b32 v[42:43], s[68:69], s[68:69] op_sel:[0,1]
	s_and_saveexec_b64 s[4:5], s[2:3]
	s_cbranch_execz .LBB1592_135
; %bb.134:
	v_mul_u32_u24_e32 v1, 0xa0, v0
	v_add_u32_e32 v1, v62, v1
	ds_read_b64 v[42:43], v1
.LBB1592_135:
	s_or_b64 exec, exec, s[4:5]
	v_cndmask_b32_e64 v1, 0, 1, vcc
	v_cmp_ne_u32_e32 vcc, v60, v61
	v_cmp_ne_u32_e64 s[38:39], v45, v82
	v_cmp_ne_u32_e64 s[40:41], v82, v83
	v_mov_b32_e32 v82, s69
	v_cmp_ne_u32_e64 s[8:9], v59, v56
	v_cmp_ne_u32_e64 s[30:31], v46, v47
	;; [unrolled: 1-line block ×3, first 2 shown]
	s_waitcnt lgkmcnt(9)
	v_cndmask_b32_e32 v47, v39, v82, vcc
	v_mov_b32_e32 v39, s68
	v_cmp_ne_u32_e64 s[2:3], v61, v58
	v_cmp_ne_u32_e64 s[4:5], v58, v59
	v_cndmask_b32_e64 v110, 0, 1, s[8:9]
	v_cmp_ne_u32_e64 s[10:11], v56, v57
	v_cmp_ne_u32_e64 s[12:13], v57, v54
	v_cmp_ne_u32_e64 s[14:15], v54, v55
	v_cmp_ne_u32_e64 s[16:17], v55, v52
	v_cmp_ne_u32_e64 s[18:19], v52, v53
	v_cmp_ne_u32_e64 s[20:21], v53, v50
	v_cmp_ne_u32_e64 s[22:23], v50, v51
	v_cmp_ne_u32_e64 s[24:25], v51, v48
	v_cmp_ne_u32_e64 s[26:27], v48, v49
	v_cmp_ne_u32_e64 s[28:29], v49, v46
	v_cmp_ne_u32_e64 s[36:37], v44, v45
	s_waitcnt lgkmcnt(8)
	v_cndmask_b32_e64 v53, v37, v82, s[8:9]
	v_cndmask_b32_e64 v52, v36, v39, s[8:9]
	v_cmp_ne_u32_e64 s[8:9], v83, v84
	v_cndmask_b32_e64 v106, 0, 1, vcc
	v_cndmask_b32_e64 v107, 0, 1, s[2:3]
	v_cndmask_b32_e64 v109, 0, 1, s[4:5]
	;; [unrolled: 1-line block ×17, first 2 shown]
	v_cndmask_b32_e32 v46, v38, v39, vcc
	v_cndmask_b32_e64 v49, v41, v82, s[2:3]
	v_cndmask_b32_e64 v48, v40, v39, s[2:3]
	v_cndmask_b32_e64 v51, v35, v82, s[4:5]
	v_cndmask_b32_e64 v50, v34, v39, s[4:5]
	s_waitcnt lgkmcnt(7)
	v_cndmask_b32_e64 v55, v31, v82, s[10:11]
	v_cndmask_b32_e64 v54, v30, v39, s[10:11]
	v_cndmask_b32_e64 v57, v33, v82, s[12:13]
	v_cndmask_b32_e64 v56, v32, v39, s[12:13]
	s_waitcnt lgkmcnt(6)
	;; [unrolled: 5-line block ×8, first 2 shown]
	v_cndmask_b32_e64 v45, v3, v82, s[40:41]
	v_cndmask_b32_e64 v44, v2, v39, s[40:41]
	;; [unrolled: 1-line block ×4, first 2 shown]
	s_mov_b64 s[10:11], -1
                                        ; implicit-def: $sgpr76
                                        ; implicit-def: $sgpr4_sgpr5
.LBB1592_136:
	v_pk_mov_b32 v[82:83], s[4:5], s[4:5] op_sel:[0,1]
	v_mov_b32_e32 v125, s76
	s_and_saveexec_b64 s[2:3], s[10:11]
; %bb.137:
	v_cndmask_b32_e64 v125, 0, 1, s[8:9]
	v_pk_mov_b32 v[82:83], v[2:3], v[2:3] op_sel:[0,1]
; %bb.138:
	s_or_b64 exec, exec, s[2:3]
	v_or_b32_e32 v2, v125, v108
	s_cmp_lg_u32 s6, 0
	v_or_b32_e32 v127, v2, v124
	v_mbcnt_lo_u32_b32 v126, -1, 0
	s_waitcnt lgkmcnt(0)
	; wave barrier
	s_waitcnt lgkmcnt(0)
	s_cbranch_scc0 .LBB1592_201
; %bb.139:
	v_mov_b32_e32 v2, 0
	v_cmp_eq_u16_sdwa s[40:41], v106, v2 src0_sel:BYTE_0 src1_sel:DWORD
	v_cndmask_b32_e64 v4, 0, v42, s[40:41]
	v_cndmask_b32_e64 v3, 0, v43, s[40:41]
	v_add_co_u32_e32 v4, vcc, v4, v46
	v_cmp_eq_u16_sdwa s[38:39], v107, v2 src0_sel:BYTE_0 src1_sel:DWORD
	v_addc_co_u32_e32 v3, vcc, v3, v47, vcc
	v_cndmask_b32_e64 v4, 0, v4, s[38:39]
	v_cndmask_b32_e64 v3, 0, v3, s[38:39]
	v_add_co_u32_e32 v4, vcc, v4, v48
	v_cmp_eq_u16_sdwa s[36:37], v109, v2 src0_sel:BYTE_0 src1_sel:DWORD
	v_addc_co_u32_e32 v3, vcc, v3, v49, vcc
	;; [unrolled: 5-line block ×18, first 2 shown]
	v_cndmask_b32_e64 v4, 0, v4, s[2:3]
	v_cndmask_b32_e64 v3, 0, v3, s[2:3]
	v_add_co_u32_e32 v4, vcc, v4, v44
	v_addc_co_u32_e32 v3, vcc, v3, v45, vcc
	v_cmp_eq_u16_sdwa vcc, v125, v2 src0_sel:BYTE_0 src1_sel:DWORD
	v_cndmask_b32_e32 v2, 0, v4, vcc
	v_or_b32_e32 v4, v127, v123
	v_or_b32_e32 v4, v4, v122
	;; [unrolled: 1-line block ×17, first 2 shown]
	v_cndmask_b32_e32 v3, 0, v3, vcc
	v_add_co_u32_e32 v2, vcc, v2, v82
	v_or_b32_e32 v4, v4, v1
	v_mbcnt_hi_u32_b32 v5, -1, v126
	v_addc_co_u32_e32 v3, vcc, v3, v83, vcc
	v_and_b32_e32 v4, 1, v4
	v_and_b32_e32 v7, 15, v5
	v_cmp_eq_u32_e32 vcc, 1, v4
	v_mov_b32_dpp v9, v2 row_shr:1 row_mask:0xf bank_mask:0xf
	v_mov_b32_dpp v10, v3 row_shr:1 row_mask:0xf bank_mask:0xf
	;; [unrolled: 1-line block ×3, first 2 shown]
	v_cmp_ne_u32_e64 s[42:43], 0, v7
	v_mov_b32_e32 v6, v4
	s_and_saveexec_b64 s[46:47], s[42:43]
; %bb.140:
	v_cndmask_b32_e64 v9, v9, 0, vcc
	v_cndmask_b32_e64 v6, v10, 0, vcc
	v_add_co_u32_e32 v2, vcc, v9, v2
	v_addc_co_u32_e32 v3, vcc, v6, v3, vcc
	v_and_b32_e32 v6, 1, v8
	v_or_b32_e32 v4, v6, v4
	v_and_b32_e32 v6, 0xffff, v4
; %bb.141:
	s_or_b64 exec, exec, s[46:47]
	v_mov_b32_dpp v9, v2 row_shr:2 row_mask:0xf bank_mask:0xf
	v_mov_b32_dpp v10, v3 row_shr:2 row_mask:0xf bank_mask:0xf
	v_mov_b32_dpp v8, v6 row_shr:2 row_mask:0xf bank_mask:0xf
	v_cmp_lt_u32_e32 vcc, 1, v7
	s_and_saveexec_b64 s[46:47], vcc
	s_cbranch_execz .LBB1592_143
; %bb.142:
	v_cmp_eq_u16_e32 vcc, 0, v4
	v_cndmask_b32_e32 v9, 0, v9, vcc
	v_cndmask_b32_e32 v6, 0, v10, vcc
	v_add_co_u32_e32 v2, vcc, v9, v2
	v_addc_co_u32_e32 v3, vcc, v6, v3, vcc
	v_and_b32_e32 v4, 1, v4
	v_cmp_eq_u32_e32 vcc, 1, v4
	v_and_b32_e32 v4, 1, v8
	v_cmp_eq_u32_e64 s[42:43], 1, v4
	s_or_b64 s[42:43], vcc, s[42:43]
	v_cndmask_b32_e64 v4, 0, 1, s[42:43]
	v_cndmask_b32_e64 v6, 0, 1, s[42:43]
.LBB1592_143:
	s_or_b64 exec, exec, s[46:47]
	v_mov_b32_dpp v9, v2 row_shr:4 row_mask:0xf bank_mask:0xf
	v_mov_b32_dpp v10, v3 row_shr:4 row_mask:0xf bank_mask:0xf
	v_mov_b32_dpp v8, v6 row_shr:4 row_mask:0xf bank_mask:0xf
	v_cmp_lt_u32_e32 vcc, 3, v7
	s_and_saveexec_b64 s[46:47], vcc
	s_cbranch_execz .LBB1592_145
; %bb.144:
	v_cmp_eq_u16_e32 vcc, 0, v4
	v_cndmask_b32_e32 v9, 0, v9, vcc
	v_cndmask_b32_e32 v6, 0, v10, vcc
	v_add_co_u32_e32 v2, vcc, v9, v2
	v_addc_co_u32_e32 v3, vcc, v6, v3, vcc
	v_and_b32_e32 v4, 1, v4
	v_cmp_eq_u32_e32 vcc, 1, v4
	v_and_b32_e32 v4, 1, v8
	v_cmp_eq_u32_e64 s[42:43], 1, v4
	s_or_b64 s[42:43], vcc, s[42:43]
	v_cndmask_b32_e64 v4, 0, 1, s[42:43]
	v_cndmask_b32_e64 v6, 0, 1, s[42:43]
.LBB1592_145:
	;; [unrolled: 21-line block ×3, first 2 shown]
	s_or_b64 exec, exec, s[46:47]
	v_and_b32_e32 v10, 16, v5
	v_mov_b32_dpp v8, v2 row_bcast:15 row_mask:0xf bank_mask:0xf
	v_mov_b32_dpp v9, v3 row_bcast:15 row_mask:0xf bank_mask:0xf
	;; [unrolled: 1-line block ×3, first 2 shown]
	v_cmp_ne_u32_e32 vcc, 0, v10
	s_and_saveexec_b64 s[46:47], vcc
	s_cbranch_execz .LBB1592_149
; %bb.148:
	v_cmp_eq_u16_e32 vcc, 0, v4
	v_cndmask_b32_e32 v8, 0, v8, vcc
	v_cndmask_b32_e32 v6, 0, v9, vcc
	v_add_co_u32_e32 v2, vcc, v8, v2
	v_addc_co_u32_e32 v3, vcc, v6, v3, vcc
	v_and_b32_e32 v4, 1, v4
	v_cmp_eq_u32_e32 vcc, 1, v4
	v_and_b32_e32 v4, 1, v7
	v_cmp_eq_u32_e64 s[42:43], 1, v4
	s_or_b64 s[42:43], vcc, s[42:43]
	v_cndmask_b32_e64 v4, 0, 1, s[42:43]
	v_cndmask_b32_e64 v6, 0, 1, s[42:43]
.LBB1592_149:
	s_or_b64 exec, exec, s[46:47]
	v_mov_b32_dpp v7, v2 row_bcast:31 row_mask:0xf bank_mask:0xf
	v_mov_b32_dpp v8, v3 row_bcast:31 row_mask:0xf bank_mask:0xf
	;; [unrolled: 1-line block ×3, first 2 shown]
	v_cmp_lt_u32_e32 vcc, 31, v5
	s_and_saveexec_b64 s[46:47], vcc
; %bb.150:
	v_cmp_eq_u16_e32 vcc, 0, v4
	v_cndmask_b32_e32 v7, 0, v7, vcc
	v_cndmask_b32_e32 v8, 0, v8, vcc
	v_add_co_u32_e32 v2, vcc, v7, v2
	v_addc_co_u32_e32 v3, vcc, v8, v3, vcc
	v_and_b32_e32 v4, 1, v4
	v_cmp_eq_u32_e32 vcc, 1, v4
	v_and_b32_e32 v4, 1, v6
	v_cmp_eq_u32_e64 s[42:43], 1, v4
	s_or_b64 s[42:43], vcc, s[42:43]
	v_cndmask_b32_e64 v4, 0, 1, s[42:43]
; %bb.151:
	s_or_b64 exec, exec, s[46:47]
	v_cmp_eq_u32_e32 vcc, 63, v0
	s_and_saveexec_b64 s[42:43], vcc
	s_cbranch_execz .LBB1592_153
; %bb.152:
	v_mov_b32_e32 v6, 0
	ds_write_b64 v6, v[2:3]
	ds_write_b8 v6, v4 offset:8
.LBB1592_153:
	s_or_b64 exec, exec, s[42:43]
	v_add_u32_e32 v6, -1, v5
	v_and_b32_e32 v7, 64, v5
	v_cmp_lt_i32_e32 vcc, v6, v7
	v_cndmask_b32_e32 v6, v6, v5, vcc
	v_lshlrev_b32_e32 v6, 2, v6
	ds_bpermute_b32 v12, v6, v2
	v_and_b32_e32 v2, 0xffff, v4
	ds_bpermute_b32 v13, v6, v3
	ds_bpermute_b32 v14, v6, v2
	v_cmp_gt_u32_e32 vcc, 64, v0
	s_waitcnt lgkmcnt(0)
	; wave barrier
	s_waitcnt lgkmcnt(0)
	s_and_saveexec_b64 s[60:61], vcc
	s_cbranch_execz .LBB1592_200
; %bb.154:
	v_mov_b32_e32 v7, 0
	ds_read_b64 v[2:3], v7
	ds_read_u8 v15, v7 offset:8
	s_mov_b32 s65, 0
	v_cmp_eq_u32_e64 s[42:43], 0, v5
	s_and_saveexec_b64 s[46:47], s[42:43]
	s_cbranch_execz .LBB1592_156
; %bb.155:
	s_add_i32 s64, s6, 64
	s_lshl_b64 s[72:73], s[64:65], 4
	s_add_u32 s72, s48, s72
	s_addc_u32 s73, s49, s73
	v_mov_b32_e32 v4, s64
	v_mov_b32_e32 v6, 1
	s_waitcnt lgkmcnt(1)
	global_store_dwordx2 v7, v[2:3], s[72:73]
	s_waitcnt lgkmcnt(0)
	global_store_byte v7, v15, s[72:73] offset:8
	s_waitcnt vmcnt(0)
	buffer_wbinvl1_vol
	global_store_byte v4, v6, s[52:53]
.LBB1592_156:
	s_or_b64 exec, exec, s[46:47]
	v_xad_u32 v4, v5, -1, s6
	v_add_u32_e32 v6, 64, v4
	global_load_ubyte v16, v6, s[52:53] glc
	s_waitcnt vmcnt(0)
	v_cmp_eq_u16_e32 vcc, 0, v16
	s_and_saveexec_b64 s[46:47], vcc
	s_cbranch_execz .LBB1592_162
; %bb.157:
	v_mov_b32_e32 v9, s53
	v_add_co_u32_e32 v8, vcc, s52, v6
	v_addc_co_u32_e32 v9, vcc, 0, v9, vcc
	s_mov_b32 s7, 1
	s_mov_b64 s[64:65], 0
.LBB1592_158:                           ; =>This Loop Header: Depth=1
                                        ;     Child Loop BB1592_159 Depth 2
	s_max_u32 s55, s7, 1
.LBB1592_159:                           ;   Parent Loop BB1592_158 Depth=1
                                        ; =>  This Inner Loop Header: Depth=2
	s_add_i32 s55, s55, -1
	s_cmp_eq_u32 s55, 0
	s_sleep 1
	s_cbranch_scc0 .LBB1592_159
; %bb.160:                              ;   in Loop: Header=BB1592_158 Depth=1
	global_load_ubyte v16, v[8:9], off glc
	s_cmp_lt_u32 s7, 32
	s_cselect_b64 s[72:73], -1, 0
	s_cmp_lg_u64 s[72:73], 0
	s_addc_u32 s7, s7, 0
	s_waitcnt vmcnt(0)
	v_cmp_ne_u16_e32 vcc, 0, v16
	s_or_b64 s[64:65], vcc, s[64:65]
	s_andn2_b64 exec, exec, s[64:65]
	s_cbranch_execnz .LBB1592_158
; %bb.161:
	s_or_b64 exec, exec, s[64:65]
.LBB1592_162:
	s_or_b64 exec, exec, s[46:47]
	v_mov_b32_e32 v8, s51
	v_mov_b32_e32 v9, s49
	v_cmp_eq_u16_e32 vcc, 1, v16
	v_cndmask_b32_e32 v8, v8, v9, vcc
	v_mov_b32_e32 v9, s50
	v_mov_b32_e32 v10, s48
	v_cndmask_b32_e32 v9, v9, v10, vcc
	v_lshlrev_b64 v[6:7], 4, v[6:7]
	v_add_co_u32_e32 v6, vcc, v9, v6
	v_addc_co_u32_e32 v7, vcc, v8, v7, vcc
	s_waitcnt lgkmcnt(0)
	buffer_wbinvl1_vol
	global_load_dwordx2 v[10:11], v[6:7], off
	global_load_ubyte v31, v[6:7], off offset:8
	v_cmp_eq_u16_e32 vcc, 2, v16
	v_lshlrev_b64 v[6:7], v5, -1
	v_and_b32_e32 v17, 63, v5
	v_and_b32_e32 v8, vcc_hi, v7
	v_and_b32_e32 v22, vcc_lo, v6
	v_cmp_ne_u32_e32 vcc, 63, v17
	v_addc_co_u32_e32 v9, vcc, 0, v5, vcc
	v_lshlrev_b32_e32 v18, 2, v9
	v_or_b32_e32 v8, 0x80000000, v8
	v_ffbl_b32_e32 v8, v8
	v_add_u32_e32 v8, 32, v8
	v_ffbl_b32_e32 v22, v22
	v_min_u32_e32 v8, v22, v8
	v_cmp_lt_u32_e32 vcc, v17, v8
	s_waitcnt vmcnt(1)
	ds_bpermute_b32 v20, v18, v10
	s_waitcnt vmcnt(0)
	v_and_b32_e32 v9, 1, v31
	ds_bpermute_b32 v21, v18, v11
	ds_bpermute_b32 v19, v18, v9
	s_and_saveexec_b64 s[46:47], vcc
	s_cbranch_execz .LBB1592_164
; %bb.163:
	v_mov_b32_e32 v9, 0
	v_cmp_eq_u16_sdwa vcc, v31, v9 src0_sel:BYTE_0 src1_sel:DWORD
	s_waitcnt lgkmcnt(2)
	v_cndmask_b32_e32 v20, 0, v20, vcc
	s_waitcnt lgkmcnt(1)
	v_cndmask_b32_e32 v9, 0, v21, vcc
	v_add_co_u32_e32 v10, vcc, v20, v10
	v_addc_co_u32_e32 v11, vcc, v9, v11, vcc
	s_waitcnt lgkmcnt(0)
	v_and_b32_e32 v9, 1, v19
	v_or_b32_e32 v31, v9, v31
	v_and_b32_e32 v9, 0xff, v31
.LBB1592_164:
	s_or_b64 exec, exec, s[46:47]
	v_cmp_gt_u32_e32 vcc, 62, v17
	s_waitcnt lgkmcnt(0)
	v_cndmask_b32_e64 v19, 0, 1, vcc
	v_lshlrev_b32_e32 v19, 1, v19
	v_add_lshl_u32 v19, v19, v5, 2
	ds_bpermute_b32 v22, v19, v10
	ds_bpermute_b32 v23, v19, v11
	ds_bpermute_b32 v21, v19, v9
	v_add_u32_e32 v20, 2, v17
	v_cmp_le_u32_e32 vcc, v20, v8
	s_and_saveexec_b64 s[64:65], vcc
	s_cbranch_execz .LBB1592_166
; %bb.165:
	v_mov_b32_e32 v9, 0
	v_cmp_eq_u16_sdwa vcc, v31, v9 src0_sel:BYTE_0 src1_sel:DWORD
	s_waitcnt lgkmcnt(2)
	v_cndmask_b32_e32 v22, 0, v22, vcc
	s_waitcnt lgkmcnt(1)
	v_cndmask_b32_e32 v9, 0, v23, vcc
	v_add_co_u32_e32 v10, vcc, v22, v10
	v_addc_co_u32_e32 v11, vcc, v9, v11, vcc
	v_and_b32_e32 v9, 1, v31
	v_cmp_eq_u32_e32 vcc, 1, v9
	s_waitcnt lgkmcnt(0)
	v_and_b32_e32 v9, 1, v21
	v_cmp_eq_u32_e64 s[46:47], 1, v9
	s_or_b64 s[46:47], vcc, s[46:47]
	v_cndmask_b32_e64 v31, 0, 1, s[46:47]
	v_cndmask_b32_e64 v9, 0, 1, s[46:47]
.LBB1592_166:
	s_or_b64 exec, exec, s[64:65]
	v_cmp_gt_u32_e32 vcc, 60, v17
	s_waitcnt lgkmcnt(0)
	v_cndmask_b32_e64 v21, 0, 1, vcc
	v_lshlrev_b32_e32 v21, 2, v21
	v_add_lshl_u32 v21, v21, v5, 2
	ds_bpermute_b32 v24, v21, v10
	ds_bpermute_b32 v25, v21, v11
	ds_bpermute_b32 v23, v21, v9
	v_add_u32_e32 v22, 4, v17
	v_cmp_le_u32_e32 vcc, v22, v8
	s_and_saveexec_b64 s[64:65], vcc
	s_cbranch_execz .LBB1592_168
; %bb.167:
	v_mov_b32_e32 v9, 0
	v_cmp_eq_u16_sdwa vcc, v31, v9 src0_sel:BYTE_0 src1_sel:DWORD
	s_waitcnt lgkmcnt(2)
	v_cndmask_b32_e32 v24, 0, v24, vcc
	s_waitcnt lgkmcnt(1)
	v_cndmask_b32_e32 v9, 0, v25, vcc
	v_add_co_u32_e32 v10, vcc, v24, v10
	v_addc_co_u32_e32 v11, vcc, v9, v11, vcc
	v_and_b32_e32 v9, 1, v31
	v_cmp_eq_u32_e32 vcc, 1, v9
	s_waitcnt lgkmcnt(0)
	v_and_b32_e32 v9, 1, v23
	v_cmp_eq_u32_e64 s[46:47], 1, v9
	s_or_b64 s[46:47], vcc, s[46:47]
	v_cndmask_b32_e64 v31, 0, 1, s[46:47]
	v_cndmask_b32_e64 v9, 0, 1, s[46:47]
.LBB1592_168:
	;; [unrolled: 31-line block ×4, first 2 shown]
	s_or_b64 exec, exec, s[64:65]
	v_cmp_gt_u32_e32 vcc, 32, v17
	s_waitcnt lgkmcnt(0)
	v_cndmask_b32_e64 v27, 0, 1, vcc
	v_lshlrev_b32_e32 v27, 5, v27
	v_add_lshl_u32 v28, v27, v5, 2
	ds_bpermute_b32 v27, v28, v10
	ds_bpermute_b32 v30, v28, v11
	;; [unrolled: 1-line block ×3, first 2 shown]
	v_add_u32_e32 v29, 32, v17
	v_cmp_le_u32_e32 vcc, v29, v8
	s_and_saveexec_b64 s[64:65], vcc
	s_cbranch_execz .LBB1592_174
; %bb.173:
	v_mov_b32_e32 v8, 0
	v_cmp_eq_u16_sdwa vcc, v31, v8 src0_sel:BYTE_0 src1_sel:DWORD
	s_waitcnt lgkmcnt(2)
	v_cndmask_b32_e32 v9, 0, v27, vcc
	s_waitcnt lgkmcnt(1)
	v_cndmask_b32_e32 v8, 0, v30, vcc
	v_add_co_u32_e32 v10, vcc, v9, v10
	v_addc_co_u32_e32 v11, vcc, v8, v11, vcc
	v_and_b32_e32 v8, 1, v31
	s_waitcnt lgkmcnt(0)
	v_and_b32_e32 v5, 1, v5
	v_cmp_eq_u32_e32 vcc, 1, v8
	v_cmp_eq_u32_e64 s[46:47], 1, v5
	s_or_b64 s[46:47], vcc, s[46:47]
	v_cndmask_b32_e64 v31, 0, 1, s[46:47]
.LBB1592_174:
	s_or_b64 exec, exec, s[64:65]
	s_waitcnt lgkmcnt(0)
	v_mov_b32_e32 v5, 0
	v_mov_b32_e32 v30, 2
	s_branch .LBB1592_176
.LBB1592_175:                           ;   in Loop: Header=BB1592_176 Depth=1
	s_or_b64 exec, exec, s[72:73]
	v_cmp_eq_u16_sdwa vcc, v27, v5 src0_sel:BYTE_0 src1_sel:DWORD
	v_cndmask_b32_e32 v10, 0, v10, vcc
	v_cndmask_b32_e32 v11, 0, v11, vcc
	v_add_co_u32_e32 v10, vcc, v10, v8
	v_addc_co_u32_e32 v11, vcc, v11, v9, vcc
	v_and_b32_e32 v31, 1, v27
	v_cmp_eq_u32_e32 vcc, 1, v31
	s_or_b64 s[46:47], vcc, s[64:65]
	v_subrev_u32_e32 v4, 64, v4
	v_cndmask_b32_e64 v31, 0, 1, s[46:47]
.LBB1592_176:                           ; =>This Loop Header: Depth=1
                                        ;     Child Loop BB1592_179 Depth 2
                                        ;       Child Loop BB1592_180 Depth 3
	v_cmp_ne_u16_sdwa s[46:47], v16, v30 src0_sel:BYTE_0 src1_sel:DWORD
	v_cndmask_b32_e64 v8, 0, 1, s[46:47]
	;;#ASMSTART
	;;#ASMEND
	v_cmp_ne_u32_e32 vcc, 0, v8
	v_mov_b32_e32 v27, v31
	s_cmp_lg_u64 vcc, exec
	v_pk_mov_b32 v[8:9], v[10:11], v[10:11] op_sel:[0,1]
	s_cbranch_scc1 .LBB1592_195
; %bb.177:                              ;   in Loop: Header=BB1592_176 Depth=1
	global_load_ubyte v16, v4, s[52:53] glc
	s_waitcnt vmcnt(0)
	v_cmp_eq_u16_e32 vcc, 0, v16
	s_and_saveexec_b64 s[46:47], vcc
	s_cbranch_execz .LBB1592_183
; %bb.178:                              ;   in Loop: Header=BB1592_176 Depth=1
	v_mov_b32_e32 v11, s53
	v_add_co_u32_e32 v10, vcc, s52, v4
	v_addc_co_u32_e32 v11, vcc, 0, v11, vcc
	s_mov_b32 s7, 1
	s_mov_b64 s[64:65], 0
.LBB1592_179:                           ;   Parent Loop BB1592_176 Depth=1
                                        ; =>  This Loop Header: Depth=2
                                        ;       Child Loop BB1592_180 Depth 3
	s_max_u32 s55, s7, 1
.LBB1592_180:                           ;   Parent Loop BB1592_176 Depth=1
                                        ;     Parent Loop BB1592_179 Depth=2
                                        ; =>    This Inner Loop Header: Depth=3
	s_add_i32 s55, s55, -1
	s_cmp_eq_u32 s55, 0
	s_sleep 1
	s_cbranch_scc0 .LBB1592_180
; %bb.181:                              ;   in Loop: Header=BB1592_179 Depth=2
	global_load_ubyte v16, v[10:11], off glc
	s_cmp_lt_u32 s7, 32
	s_cselect_b64 s[72:73], -1, 0
	s_cmp_lg_u64 s[72:73], 0
	s_addc_u32 s7, s7, 0
	s_waitcnt vmcnt(0)
	v_cmp_ne_u16_e32 vcc, 0, v16
	s_or_b64 s[64:65], vcc, s[64:65]
	s_andn2_b64 exec, exec, s[64:65]
	s_cbranch_execnz .LBB1592_179
; %bb.182:                              ;   in Loop: Header=BB1592_176 Depth=1
	s_or_b64 exec, exec, s[64:65]
.LBB1592_183:                           ;   in Loop: Header=BB1592_176 Depth=1
	s_or_b64 exec, exec, s[46:47]
	v_mov_b32_e32 v10, s51
	v_mov_b32_e32 v11, s49
	v_cmp_eq_u16_e32 vcc, 1, v16
	v_cndmask_b32_e32 v31, v10, v11, vcc
	v_mov_b32_e32 v10, s50
	v_mov_b32_e32 v11, s48
	v_cndmask_b32_e32 v32, v10, v11, vcc
	v_lshlrev_b64 v[10:11], 4, v[4:5]
	v_add_co_u32_e32 v32, vcc, v32, v10
	s_waitcnt lgkmcnt(0)
	v_addc_co_u32_e32 v33, vcc, v31, v11, vcc
	buffer_wbinvl1_vol
	global_load_dwordx2 v[10:11], v[32:33], off
	global_load_ubyte v31, v[32:33], off offset:8
	v_cmp_eq_u16_e32 vcc, 2, v16
	v_and_b32_e32 v32, vcc_hi, v7
	v_or_b32_e32 v32, 0x80000000, v32
	v_and_b32_e32 v37, vcc_lo, v6
	v_ffbl_b32_e32 v32, v32
	v_add_u32_e32 v32, 32, v32
	v_ffbl_b32_e32 v37, v37
	v_min_u32_e32 v32, v37, v32
	v_cmp_lt_u32_e32 vcc, v17, v32
	s_waitcnt vmcnt(1)
	ds_bpermute_b32 v35, v18, v10
	s_waitcnt vmcnt(0)
	v_and_b32_e32 v33, 1, v31
	ds_bpermute_b32 v36, v18, v11
	ds_bpermute_b32 v34, v18, v33
	s_and_saveexec_b64 s[46:47], vcc
	s_cbranch_execz .LBB1592_185
; %bb.184:                              ;   in Loop: Header=BB1592_176 Depth=1
	v_cmp_eq_u16_sdwa vcc, v31, v5 src0_sel:BYTE_0 src1_sel:DWORD
	s_waitcnt lgkmcnt(2)
	v_cndmask_b32_e32 v35, 0, v35, vcc
	s_waitcnt lgkmcnt(1)
	v_cndmask_b32_e32 v33, 0, v36, vcc
	v_add_co_u32_e32 v10, vcc, v35, v10
	v_addc_co_u32_e32 v11, vcc, v33, v11, vcc
	s_waitcnt lgkmcnt(0)
	v_and_b32_e32 v33, 1, v34
	v_or_b32_e32 v31, v33, v31
	v_and_b32_e32 v33, 0xff, v31
.LBB1592_185:                           ;   in Loop: Header=BB1592_176 Depth=1
	s_or_b64 exec, exec, s[46:47]
	s_waitcnt lgkmcnt(2)
	ds_bpermute_b32 v35, v19, v10
	s_waitcnt lgkmcnt(2)
	ds_bpermute_b32 v36, v19, v11
	s_waitcnt lgkmcnt(2)
	ds_bpermute_b32 v34, v19, v33
	v_and_b32_e32 v37, 1, v31
	v_cmp_le_u32_e32 vcc, v20, v32
	v_cmp_eq_u32_e64 s[64:65], 1, v37
	s_and_saveexec_b64 s[46:47], vcc
	s_cbranch_execz .LBB1592_187
; %bb.186:                              ;   in Loop: Header=BB1592_176 Depth=1
	v_cmp_eq_u16_sdwa vcc, v31, v5 src0_sel:BYTE_0 src1_sel:DWORD
	s_waitcnt lgkmcnt(2)
	v_cndmask_b32_e32 v33, 0, v35, vcc
	s_waitcnt lgkmcnt(1)
	v_cndmask_b32_e32 v31, 0, v36, vcc
	v_add_co_u32_e32 v10, vcc, v33, v10
	v_addc_co_u32_e32 v11, vcc, v31, v11, vcc
	s_waitcnt lgkmcnt(0)
	v_and_b32_e32 v31, 1, v34
	v_cmp_eq_u32_e32 vcc, 1, v31
	s_or_b64 s[72:73], s[64:65], vcc
	v_cndmask_b32_e64 v31, 0, 1, s[72:73]
	v_cndmask_b32_e64 v33, 0, 1, s[72:73]
	s_andn2_b64 s[64:65], s[64:65], exec
	s_and_b64 s[72:73], s[72:73], exec
	s_or_b64 s[64:65], s[64:65], s[72:73]
.LBB1592_187:                           ;   in Loop: Header=BB1592_176 Depth=1
	s_or_b64 exec, exec, s[46:47]
	s_waitcnt lgkmcnt(2)
	ds_bpermute_b32 v35, v21, v10
	s_waitcnt lgkmcnt(2)
	ds_bpermute_b32 v36, v21, v11
	s_waitcnt lgkmcnt(2)
	ds_bpermute_b32 v34, v21, v33
	v_cmp_le_u32_e32 vcc, v22, v32
	s_and_saveexec_b64 s[72:73], vcc
	s_cbranch_execz .LBB1592_189
; %bb.188:                              ;   in Loop: Header=BB1592_176 Depth=1
	v_cmp_eq_u16_sdwa vcc, v31, v5 src0_sel:BYTE_0 src1_sel:DWORD
	s_waitcnt lgkmcnt(2)
	v_cndmask_b32_e32 v35, 0, v35, vcc
	s_waitcnt lgkmcnt(1)
	v_cndmask_b32_e32 v33, 0, v36, vcc
	v_add_co_u32_e32 v10, vcc, v35, v10
	v_addc_co_u32_e32 v11, vcc, v33, v11, vcc
	v_and_b32_e32 v31, 1, v31
	v_cmp_eq_u32_e32 vcc, 1, v31
	s_waitcnt lgkmcnt(0)
	v_and_b32_e32 v31, 1, v34
	v_cmp_eq_u32_e64 s[46:47], 1, v31
	s_or_b64 s[46:47], vcc, s[46:47]
	v_cndmask_b32_e64 v31, 0, 1, s[46:47]
	v_cndmask_b32_e64 v33, 0, 1, s[46:47]
	s_andn2_b64 s[64:65], s[64:65], exec
	s_and_b64 s[46:47], s[46:47], exec
	s_or_b64 s[64:65], s[64:65], s[46:47]
.LBB1592_189:                           ;   in Loop: Header=BB1592_176 Depth=1
	s_or_b64 exec, exec, s[72:73]
	s_waitcnt lgkmcnt(2)
	ds_bpermute_b32 v35, v23, v10
	s_waitcnt lgkmcnt(2)
	ds_bpermute_b32 v36, v23, v11
	s_waitcnt lgkmcnt(2)
	ds_bpermute_b32 v34, v23, v33
	v_cmp_le_u32_e32 vcc, v24, v32
	s_and_saveexec_b64 s[72:73], vcc
	s_cbranch_execz .LBB1592_191
; %bb.190:                              ;   in Loop: Header=BB1592_176 Depth=1
	v_cmp_eq_u16_sdwa vcc, v31, v5 src0_sel:BYTE_0 src1_sel:DWORD
	s_waitcnt lgkmcnt(2)
	v_cndmask_b32_e32 v35, 0, v35, vcc
	s_waitcnt lgkmcnt(1)
	v_cndmask_b32_e32 v33, 0, v36, vcc
	v_add_co_u32_e32 v10, vcc, v35, v10
	v_addc_co_u32_e32 v11, vcc, v33, v11, vcc
	v_and_b32_e32 v31, 1, v31
	v_cmp_eq_u32_e32 vcc, 1, v31
	s_waitcnt lgkmcnt(0)
	v_and_b32_e32 v31, 1, v34
	v_cmp_eq_u32_e64 s[46:47], 1, v31
	s_or_b64 s[46:47], vcc, s[46:47]
	v_cndmask_b32_e64 v31, 0, 1, s[46:47]
	v_cndmask_b32_e64 v33, 0, 1, s[46:47]
	s_andn2_b64 s[64:65], s[64:65], exec
	s_and_b64 s[46:47], s[46:47], exec
	s_or_b64 s[64:65], s[64:65], s[46:47]
.LBB1592_191:                           ;   in Loop: Header=BB1592_176 Depth=1
	;; [unrolled: 30-line block ×3, first 2 shown]
	s_or_b64 exec, exec, s[72:73]
	s_waitcnt lgkmcnt(0)
	ds_bpermute_b32 v34, v28, v10
	ds_bpermute_b32 v35, v28, v11
	;; [unrolled: 1-line block ×3, first 2 shown]
	v_cmp_le_u32_e32 vcc, v29, v32
	s_and_saveexec_b64 s[72:73], vcc
	s_cbranch_execz .LBB1592_175
; %bb.194:                              ;   in Loop: Header=BB1592_176 Depth=1
	v_cmp_eq_u16_sdwa vcc, v31, v5 src0_sel:BYTE_0 src1_sel:DWORD
	s_waitcnt lgkmcnt(2)
	v_cndmask_b32_e32 v34, 0, v34, vcc
	s_waitcnt lgkmcnt(1)
	v_cndmask_b32_e32 v32, 0, v35, vcc
	v_add_co_u32_e32 v10, vcc, v34, v10
	v_addc_co_u32_e32 v11, vcc, v32, v11, vcc
	v_and_b32_e32 v31, 1, v31
	v_cmp_eq_u32_e32 vcc, 1, v31
	s_waitcnt lgkmcnt(0)
	v_and_b32_e32 v31, 1, v33
	v_cmp_eq_u32_e64 s[46:47], 1, v31
	s_or_b64 s[46:47], vcc, s[46:47]
	s_andn2_b64 s[64:65], s[64:65], exec
	s_and_b64 s[46:47], s[46:47], exec
	s_or_b64 s[64:65], s[64:65], s[46:47]
	s_branch .LBB1592_175
.LBB1592_195:                           ;   in Loop: Header=BB1592_176 Depth=1
                                        ; implicit-def: $vgpr31
                                        ; implicit-def: $vgpr10_vgpr11
                                        ; implicit-def: $vgpr16
	s_cbranch_execz .LBB1592_176
; %bb.196:
	s_and_saveexec_b64 s[46:47], s[42:43]
	s_cbranch_execz .LBB1592_198
; %bb.197:
	v_mov_b32_e32 v4, 0
	s_mov_b32 s7, 0
	v_cmp_eq_u16_sdwa vcc, v15, v4 src0_sel:BYTE_0 src1_sel:DWORD
	s_add_i32 s6, s6, 64
	v_cndmask_b32_e32 v6, 0, v8, vcc
	s_lshl_b64 s[42:43], s[6:7], 4
	v_cndmask_b32_e32 v5, 0, v9, vcc
	v_add_co_u32_e32 v2, vcc, v6, v2
	s_add_u32 s42, s50, s42
	v_addc_co_u32_e32 v3, vcc, v5, v3, vcc
	v_or_b32_e32 v5, v15, v27
	s_addc_u32 s43, s51, s43
	v_and_b32_e32 v5, 1, v5
	global_store_dwordx2 v4, v[2:3], s[42:43]
	global_store_byte v4, v5, s[42:43] offset:8
	v_mov_b32_e32 v2, s6
	v_mov_b32_e32 v3, 2
	s_waitcnt vmcnt(0) lgkmcnt(0)
	buffer_wbinvl1_vol
	global_store_byte v2, v3, s[52:53]
.LBB1592_198:
	s_or_b64 exec, exec, s[46:47]
	v_cmp_eq_u32_e32 vcc, 0, v0
	s_and_b64 exec, exec, vcc
	s_cbranch_execz .LBB1592_200
; %bb.199:
	v_mov_b32_e32 v2, 0
	ds_write_b64 v2, v[8:9]
	ds_write_b8 v2, v27 offset:8
.LBB1592_200:
	s_or_b64 exec, exec, s[60:61]
	v_mov_b32_e32 v4, 0
	s_waitcnt lgkmcnt(0)
	; wave barrier
	s_waitcnt lgkmcnt(0)
	ds_read_b64 v[2:3], v4
	v_cmp_eq_u32_sdwa vcc, v14, v4 src0_sel:BYTE_0 src1_sel:DWORD
	s_waitcnt lgkmcnt(0)
	v_cndmask_b32_e32 v6, 0, v2, vcc
	v_cndmask_b32_e32 v5, 0, v3, vcc
	v_add_co_u32_e32 v6, vcc, v12, v6
	v_addc_co_u32_e32 v5, vcc, v13, v5, vcc
	v_cmp_eq_u32_e32 vcc, 0, v0
	v_cndmask_b32_e32 v85, v5, v3, vcc
	v_cndmask_b32_e32 v84, v6, v2, vcc
	v_cmp_eq_u16_sdwa vcc, v1, v4 src0_sel:BYTE_0 src1_sel:DWORD
	v_cndmask_b32_e32 v3, 0, v84, vcc
	v_cndmask_b32_e32 v2, 0, v85, vcc
	v_add_co_u32_e32 v4, vcc, v3, v42
	v_addc_co_u32_e32 v5, vcc, v2, v43, vcc
	v_cndmask_b32_e64 v3, 0, v4, s[40:41]
	v_cndmask_b32_e64 v2, 0, v5, s[40:41]
	v_add_co_u32_e32 v6, vcc, v3, v46
	v_addc_co_u32_e32 v7, vcc, v2, v47, vcc
	v_cndmask_b32_e64 v3, 0, v6, s[38:39]
	v_cndmask_b32_e64 v2, 0, v7, s[38:39]
	;; [unrolled: 4-line block ×19, first 2 shown]
	s_branch .LBB1592_221
.LBB1592_201:
                                        ; implicit-def: $vgpr84_vgpr85
                                        ; implicit-def: $vgpr104_vgpr105
                                        ; implicit-def: $vgpr102_vgpr103
                                        ; implicit-def: $vgpr100_vgpr101
                                        ; implicit-def: $vgpr98_vgpr99
                                        ; implicit-def: $vgpr96_vgpr97
                                        ; implicit-def: $vgpr94_vgpr95
                                        ; implicit-def: $vgpr92_vgpr93
                                        ; implicit-def: $vgpr90_vgpr91
                                        ; implicit-def: $vgpr88_vgpr89
                                        ; implicit-def: $vgpr86_vgpr87
                                        ; implicit-def: $vgpr38_vgpr39_vgpr40_vgpr41
                                        ; implicit-def: $vgpr34_vgpr35_vgpr36_vgpr37
                                        ; implicit-def: $vgpr30_vgpr31_vgpr32_vgpr33
                                        ; implicit-def: $vgpr26_vgpr27_vgpr28_vgpr29
                                        ; implicit-def: $vgpr22_vgpr23_vgpr24_vgpr25
                                        ; implicit-def: $vgpr18_vgpr19_vgpr20_vgpr21
                                        ; implicit-def: $vgpr14_vgpr15_vgpr16_vgpr17
                                        ; implicit-def: $vgpr10_vgpr11_vgpr12_vgpr13
                                        ; implicit-def: $vgpr6_vgpr7_vgpr8_vgpr9
                                        ; implicit-def: $vgpr2_vgpr3_vgpr4_vgpr5
	s_cbranch_execz .LBB1592_221
; %bb.202:
	s_cmp_lg_u64 s[70:71], 0
	s_cselect_b32 s3, s67, 0
	s_cselect_b32 s2, s66, 0
	s_cmp_eq_u64 s[2:3], 0
	v_pk_mov_b32 v[2:3], s[68:69], s[68:69] op_sel:[0,1]
	s_cbranch_scc1 .LBB1592_204
; %bb.203:
	v_mov_b32_e32 v2, 0
	global_load_dwordx2 v[2:3], v2, s[2:3]
.LBB1592_204:
	v_mov_b32_e32 v4, 0
	v_cmp_eq_u16_sdwa s[38:39], v106, v4 src0_sel:BYTE_0 src1_sel:DWORD
	v_cndmask_b32_e64 v6, 0, v42, s[38:39]
	v_cndmask_b32_e64 v5, 0, v43, s[38:39]
	v_add_co_u32_e32 v6, vcc, v6, v46
	v_cmp_eq_u16_sdwa s[36:37], v107, v4 src0_sel:BYTE_0 src1_sel:DWORD
	v_addc_co_u32_e32 v5, vcc, v5, v47, vcc
	v_cndmask_b32_e64 v6, 0, v6, s[36:37]
	v_cndmask_b32_e64 v5, 0, v5, s[36:37]
	v_add_co_u32_e32 v6, vcc, v6, v48
	v_cmp_eq_u16_sdwa s[34:35], v109, v4 src0_sel:BYTE_0 src1_sel:DWORD
	v_addc_co_u32_e32 v5, vcc, v5, v49, vcc
	v_cndmask_b32_e64 v6, 0, v6, s[34:35]
	v_cndmask_b32_e64 v5, 0, v5, s[34:35]
	v_add_co_u32_e32 v6, vcc, v6, v50
	v_cmp_eq_u16_sdwa s[30:31], v110, v4 src0_sel:BYTE_0 src1_sel:DWORD
	v_addc_co_u32_e32 v5, vcc, v5, v51, vcc
	v_cndmask_b32_e64 v6, 0, v6, s[30:31]
	v_cndmask_b32_e64 v5, 0, v5, s[30:31]
	v_add_co_u32_e32 v6, vcc, v6, v52
	v_cmp_eq_u16_sdwa s[28:29], v111, v4 src0_sel:BYTE_0 src1_sel:DWORD
	v_addc_co_u32_e32 v5, vcc, v5, v53, vcc
	v_cndmask_b32_e64 v6, 0, v6, s[28:29]
	v_cndmask_b32_e64 v5, 0, v5, s[28:29]
	v_add_co_u32_e32 v6, vcc, v6, v54
	v_cmp_eq_u16_sdwa s[26:27], v112, v4 src0_sel:BYTE_0 src1_sel:DWORD
	v_addc_co_u32_e32 v5, vcc, v5, v55, vcc
	v_cndmask_b32_e64 v6, 0, v6, s[26:27]
	v_cndmask_b32_e64 v5, 0, v5, s[26:27]
	v_add_co_u32_e32 v6, vcc, v6, v56
	v_cmp_eq_u16_sdwa s[24:25], v113, v4 src0_sel:BYTE_0 src1_sel:DWORD
	v_addc_co_u32_e32 v5, vcc, v5, v57, vcc
	v_cndmask_b32_e64 v6, 0, v6, s[24:25]
	v_cndmask_b32_e64 v5, 0, v5, s[24:25]
	v_add_co_u32_e32 v6, vcc, v6, v58
	v_cmp_eq_u16_sdwa s[22:23], v114, v4 src0_sel:BYTE_0 src1_sel:DWORD
	v_addc_co_u32_e32 v5, vcc, v5, v59, vcc
	v_cndmask_b32_e64 v6, 0, v6, s[22:23]
	v_cndmask_b32_e64 v5, 0, v5, s[22:23]
	v_add_co_u32_e32 v6, vcc, v6, v60
	v_cmp_eq_u16_sdwa s[20:21], v115, v4 src0_sel:BYTE_0 src1_sel:DWORD
	v_addc_co_u32_e32 v5, vcc, v5, v61, vcc
	v_cndmask_b32_e64 v6, 0, v6, s[20:21]
	v_cndmask_b32_e64 v5, 0, v5, s[20:21]
	v_add_co_u32_e32 v6, vcc, v6, v62
	v_cmp_eq_u16_sdwa s[18:19], v116, v4 src0_sel:BYTE_0 src1_sel:DWORD
	v_addc_co_u32_e32 v5, vcc, v5, v63, vcc
	v_cndmask_b32_e64 v6, 0, v6, s[18:19]
	v_cndmask_b32_e64 v5, 0, v5, s[18:19]
	v_add_co_u32_e32 v6, vcc, v6, v64
	v_cmp_eq_u16_sdwa s[16:17], v117, v4 src0_sel:BYTE_0 src1_sel:DWORD
	v_addc_co_u32_e32 v5, vcc, v5, v65, vcc
	v_cndmask_b32_e64 v6, 0, v6, s[16:17]
	v_cndmask_b32_e64 v5, 0, v5, s[16:17]
	v_add_co_u32_e32 v6, vcc, v6, v66
	v_cmp_eq_u16_sdwa s[14:15], v118, v4 src0_sel:BYTE_0 src1_sel:DWORD
	v_addc_co_u32_e32 v5, vcc, v5, v67, vcc
	v_cndmask_b32_e64 v6, 0, v6, s[14:15]
	v_cndmask_b32_e64 v5, 0, v5, s[14:15]
	v_add_co_u32_e32 v6, vcc, v6, v68
	v_cmp_eq_u16_sdwa s[12:13], v119, v4 src0_sel:BYTE_0 src1_sel:DWORD
	v_addc_co_u32_e32 v5, vcc, v5, v69, vcc
	v_cndmask_b32_e64 v6, 0, v6, s[12:13]
	v_cndmask_b32_e64 v5, 0, v5, s[12:13]
	v_add_co_u32_e32 v6, vcc, v6, v70
	v_cmp_eq_u16_sdwa s[10:11], v120, v4 src0_sel:BYTE_0 src1_sel:DWORD
	v_addc_co_u32_e32 v5, vcc, v5, v71, vcc
	v_cndmask_b32_e64 v6, 0, v6, s[10:11]
	v_cndmask_b32_e64 v5, 0, v5, s[10:11]
	v_add_co_u32_e32 v6, vcc, v6, v72
	v_cmp_eq_u16_sdwa s[8:9], v121, v4 src0_sel:BYTE_0 src1_sel:DWORD
	v_addc_co_u32_e32 v5, vcc, v5, v73, vcc
	v_cndmask_b32_e64 v6, 0, v6, s[8:9]
	v_cndmask_b32_e64 v5, 0, v5, s[8:9]
	v_add_co_u32_e32 v6, vcc, v6, v74
	v_cmp_eq_u16_sdwa s[6:7], v122, v4 src0_sel:BYTE_0 src1_sel:DWORD
	v_addc_co_u32_e32 v5, vcc, v5, v75, vcc
	v_cndmask_b32_e64 v6, 0, v6, s[6:7]
	v_cndmask_b32_e64 v5, 0, v5, s[6:7]
	v_add_co_u32_e32 v6, vcc, v6, v76
	v_cmp_eq_u16_sdwa s[4:5], v123, v4 src0_sel:BYTE_0 src1_sel:DWORD
	v_addc_co_u32_e32 v5, vcc, v5, v77, vcc
	v_cndmask_b32_e64 v6, 0, v6, s[4:5]
	v_cndmask_b32_e64 v5, 0, v5, s[4:5]
	v_add_co_u32_e32 v6, vcc, v6, v78
	v_cmp_eq_u16_sdwa s[2:3], v124, v4 src0_sel:BYTE_0 src1_sel:DWORD
	v_addc_co_u32_e32 v5, vcc, v5, v79, vcc
	v_cndmask_b32_e64 v6, 0, v6, s[2:3]
	v_cndmask_b32_e64 v5, 0, v5, s[2:3]
	v_add_co_u32_e32 v6, vcc, v6, v80
	v_addc_co_u32_e32 v5, vcc, v5, v81, vcc
	v_cmp_eq_u16_sdwa vcc, v108, v4 src0_sel:BYTE_0 src1_sel:DWORD
	v_cndmask_b32_e32 v6, 0, v6, vcc
	v_cndmask_b32_e32 v5, 0, v5, vcc
	v_add_co_u32_e64 v6, s[40:41], v6, v44
	v_addc_co_u32_e64 v5, s[40:41], v5, v45, s[40:41]
	v_cmp_eq_u16_sdwa s[40:41], v125, v4 src0_sel:BYTE_0 src1_sel:DWORD
	v_cndmask_b32_e64 v4, 0, v6, s[40:41]
	v_or_b32_e32 v6, v127, v123
	v_or_b32_e32 v6, v6, v122
	;; [unrolled: 1-line block ×18, first 2 shown]
	v_cndmask_b32_e64 v5, 0, v5, s[40:41]
	v_add_co_u32_e64 v4, s[40:41], v4, v82
	v_and_b32_e32 v7, 1, v6
	v_mbcnt_hi_u32_b32 v6, -1, v126
	v_addc_co_u32_e64 v5, s[40:41], v5, v83, s[40:41]
	v_and_b32_e32 v9, 15, v6
	v_cmp_eq_u32_e64 s[40:41], 1, v7
	v_mov_b32_dpp v11, v4 row_shr:1 row_mask:0xf bank_mask:0xf
	v_mov_b32_dpp v12, v5 row_shr:1 row_mask:0xf bank_mask:0xf
	;; [unrolled: 1-line block ×3, first 2 shown]
	v_cmp_ne_u32_e64 s[42:43], 0, v9
	v_mov_b32_e32 v8, v7
	s_and_saveexec_b64 s[44:45], s[42:43]
; %bb.205:
	v_cndmask_b32_e64 v11, v11, 0, s[40:41]
	v_cndmask_b32_e64 v8, v12, 0, s[40:41]
	v_add_co_u32_e64 v4, s[40:41], v11, v4
	v_addc_co_u32_e64 v5, s[40:41], v8, v5, s[40:41]
	v_and_b32_e32 v8, 1, v10
	v_or_b32_e32 v7, v8, v7
	v_and_b32_e32 v8, 0xffff, v7
; %bb.206:
	s_or_b64 exec, exec, s[44:45]
	v_mov_b32_dpp v11, v4 row_shr:2 row_mask:0xf bank_mask:0xf
	v_mov_b32_dpp v12, v5 row_shr:2 row_mask:0xf bank_mask:0xf
	v_mov_b32_dpp v10, v8 row_shr:2 row_mask:0xf bank_mask:0xf
	v_cmp_lt_u32_e64 s[40:41], 1, v9
	s_and_saveexec_b64 s[44:45], s[40:41]
	s_cbranch_execz .LBB1592_208
; %bb.207:
	v_cmp_eq_u16_e64 s[40:41], 0, v7
	v_cndmask_b32_e64 v11, 0, v11, s[40:41]
	v_cndmask_b32_e64 v8, 0, v12, s[40:41]
	v_add_co_u32_e64 v4, s[40:41], v11, v4
	v_addc_co_u32_e64 v5, s[40:41], v8, v5, s[40:41]
	v_and_b32_e32 v7, 1, v7
	v_cmp_eq_u32_e64 s[40:41], 1, v7
	v_and_b32_e32 v7, 1, v10
	v_cmp_eq_u32_e64 s[42:43], 1, v7
	s_or_b64 s[40:41], s[40:41], s[42:43]
	v_cndmask_b32_e64 v7, 0, 1, s[40:41]
	v_cndmask_b32_e64 v8, 0, 1, s[40:41]
.LBB1592_208:
	s_or_b64 exec, exec, s[44:45]
	v_mov_b32_dpp v11, v4 row_shr:4 row_mask:0xf bank_mask:0xf
	v_mov_b32_dpp v12, v5 row_shr:4 row_mask:0xf bank_mask:0xf
	v_mov_b32_dpp v10, v8 row_shr:4 row_mask:0xf bank_mask:0xf
	v_cmp_lt_u32_e64 s[40:41], 3, v9
	s_and_saveexec_b64 s[44:45], s[40:41]
	s_cbranch_execz .LBB1592_210
; %bb.209:
	v_cmp_eq_u16_e64 s[40:41], 0, v7
	v_cndmask_b32_e64 v11, 0, v11, s[40:41]
	v_cndmask_b32_e64 v8, 0, v12, s[40:41]
	v_add_co_u32_e64 v4, s[40:41], v11, v4
	v_addc_co_u32_e64 v5, s[40:41], v8, v5, s[40:41]
	v_and_b32_e32 v7, 1, v7
	v_cmp_eq_u32_e64 s[40:41], 1, v7
	v_and_b32_e32 v7, 1, v10
	v_cmp_eq_u32_e64 s[42:43], 1, v7
	s_or_b64 s[40:41], s[40:41], s[42:43]
	v_cndmask_b32_e64 v7, 0, 1, s[40:41]
	v_cndmask_b32_e64 v8, 0, 1, s[40:41]
.LBB1592_210:
	;; [unrolled: 21-line block ×3, first 2 shown]
	s_or_b64 exec, exec, s[44:45]
	v_and_b32_e32 v12, 16, v6
	v_mov_b32_dpp v10, v4 row_bcast:15 row_mask:0xf bank_mask:0xf
	v_mov_b32_dpp v11, v5 row_bcast:15 row_mask:0xf bank_mask:0xf
	;; [unrolled: 1-line block ×3, first 2 shown]
	v_cmp_ne_u32_e64 s[40:41], 0, v12
	s_and_saveexec_b64 s[44:45], s[40:41]
	s_cbranch_execz .LBB1592_214
; %bb.213:
	v_cmp_eq_u16_e64 s[40:41], 0, v7
	v_cndmask_b32_e64 v10, 0, v10, s[40:41]
	v_cndmask_b32_e64 v8, 0, v11, s[40:41]
	v_add_co_u32_e64 v4, s[40:41], v10, v4
	v_addc_co_u32_e64 v5, s[40:41], v8, v5, s[40:41]
	v_and_b32_e32 v7, 1, v7
	v_cmp_eq_u32_e64 s[40:41], 1, v7
	v_and_b32_e32 v7, 1, v9
	v_cmp_eq_u32_e64 s[42:43], 1, v7
	s_or_b64 s[40:41], s[40:41], s[42:43]
	v_cndmask_b32_e64 v7, 0, 1, s[40:41]
	v_cndmask_b32_e64 v8, 0, 1, s[40:41]
.LBB1592_214:
	s_or_b64 exec, exec, s[44:45]
	v_mov_b32_dpp v9, v4 row_bcast:31 row_mask:0xf bank_mask:0xf
	v_mov_b32_dpp v10, v5 row_bcast:31 row_mask:0xf bank_mask:0xf
	;; [unrolled: 1-line block ×3, first 2 shown]
	v_cmp_lt_u32_e64 s[40:41], 31, v6
	s_and_saveexec_b64 s[44:45], s[40:41]
; %bb.215:
	v_cmp_eq_u16_e64 s[40:41], 0, v7
	v_cndmask_b32_e64 v9, 0, v9, s[40:41]
	v_cndmask_b32_e64 v10, 0, v10, s[40:41]
	v_add_co_u32_e64 v4, s[40:41], v9, v4
	v_addc_co_u32_e64 v5, s[40:41], v10, v5, s[40:41]
	v_and_b32_e32 v7, 1, v7
	v_cmp_eq_u32_e64 s[40:41], 1, v7
	v_and_b32_e32 v7, 1, v8
	v_cmp_eq_u32_e64 s[42:43], 1, v7
	s_or_b64 s[40:41], s[40:41], s[42:43]
	v_cndmask_b32_e64 v7, 0, 1, s[40:41]
; %bb.216:
	s_or_b64 exec, exec, s[44:45]
	v_cmp_eq_u32_e64 s[40:41], 63, v0
	s_and_saveexec_b64 s[42:43], s[40:41]
	s_cbranch_execz .LBB1592_218
; %bb.217:
	v_mov_b32_e32 v8, 0
	ds_write_b64 v8, v[4:5]
	ds_write_b8 v8, v7 offset:8
.LBB1592_218:
	s_or_b64 exec, exec, s[42:43]
	v_cmp_eq_u16_e64 s[40:41], 0, v7
	s_waitcnt vmcnt(0)
	v_cndmask_b32_e64 v8, 0, v2, s[40:41]
	v_cndmask_b32_e64 v7, 0, v3, s[40:41]
	v_add_co_u32_e64 v4, s[40:41], v8, v4
	v_addc_co_u32_e64 v5, s[40:41], v7, v5, s[40:41]
	v_add_u32_e32 v7, -1, v6
	v_and_b32_e32 v8, 64, v6
	v_cmp_lt_i32_e64 s[40:41], v7, v8
	v_cndmask_b32_e64 v7, v7, v6, s[40:41]
	v_lshlrev_b32_e32 v7, 2, v7
	ds_bpermute_b32 v5, v7, v5
	ds_bpermute_b32 v4, v7, v4
	v_cmp_eq_u32_e64 s[42:43], 0, v6
	v_cmp_eq_u32_e64 s[40:41], 0, v0
	s_or_b64 s[42:43], s[40:41], s[42:43]
	v_mov_b32_e32 v8, 0
	s_waitcnt lgkmcnt(1)
	v_cndmask_b32_e64 v85, v5, v3, s[42:43]
	s_waitcnt lgkmcnt(0)
	v_cndmask_b32_e64 v84, v4, v2, s[42:43]
	v_cmp_eq_u16_sdwa s[42:43], v1, v8 src0_sel:BYTE_0 src1_sel:DWORD
	v_cndmask_b32_e64 v4, 0, v84, s[42:43]
	v_cndmask_b32_e64 v1, 0, v85, s[42:43]
	v_add_co_u32_e64 v4, s[42:43], v4, v42
	v_addc_co_u32_e64 v5, s[42:43], v1, v43, s[42:43]
	v_cndmask_b32_e64 v6, 0, v4, s[38:39]
	v_cndmask_b32_e64 v1, 0, v5, s[38:39]
	v_add_co_u32_e64 v6, s[38:39], v6, v46
	v_addc_co_u32_e64 v7, s[38:39], v1, v47, s[38:39]
	;; [unrolled: 4-line block ×19, first 2 shown]
	v_cndmask_b32_e32 v105, 0, v103, vcc
	v_cndmask_b32_e32 v104, 0, v102, vcc
	s_waitcnt lgkmcnt(0)
	; wave barrier
	s_and_saveexec_b64 s[2:3], s[40:41]
	s_cbranch_execz .LBB1592_220
; %bb.219:
	ds_read_u8 v1, v8 offset:8
	ds_read_b64 v[12:13], v8
	v_pk_mov_b32 v[84:85], v[2:3], v[2:3] op_sel:[0,1]
	s_waitcnt lgkmcnt(1)
	v_cmp_eq_u16_e32 vcc, 0, v1
	v_cndmask_b32_e32 v16, 0, v2, vcc
	v_cndmask_b32_e32 v9, 0, v3, vcc
	s_waitcnt lgkmcnt(0)
	v_add_co_u32_e32 v12, vcc, v16, v12
	v_addc_co_u32_e32 v13, vcc, v9, v13, vcc
	global_store_dwordx2 v8, v[12:13], s[50:51] offset:1024
	global_store_byte v8, v1, s[50:51] offset:1032
	v_mov_b32_e32 v1, 2
	s_waitcnt vmcnt(0)
	buffer_wbinvl1_vol
	global_store_byte v8, v1, s[52:53] offset:64
.LBB1592_220:
	s_or_b64 exec, exec, s[2:3]
.LBB1592_221:
	s_add_u32 s2, s62, s56
	s_addc_u32 s3, s63, s57
	v_add_co_u32_e32 v2, vcc, v104, v44
	v_addc_co_u32_e32 v3, vcc, v105, v45, vcc
	s_add_u32 s4, s2, s58
	s_addc_u32 s5, s3, s59
	s_and_b64 vcc, exec, s[0:1]
	v_lshlrev_b32_e32 v12, 3, v0
	s_cbranch_vccz .LBB1592_263
; %bb.222:
	s_movk_i32 s0, 0xa8
	v_mul_i32_i24_e32 v16, 0xffffff60, v0
	v_mul_u32_u24_e32 v13, 0xa8, v0
	v_mad_u32_u24 v8, v0, s0, v16
	s_waitcnt lgkmcnt(0)
	; wave barrier
	ds_write2_b64 v13, v[84:85], v[4:5] offset1:1
	ds_write2_b64 v13, v[6:7], v[86:87] offset0:2 offset1:3
	ds_write2_b64 v13, v[10:11], v[88:89] offset0:4 offset1:5
	;; [unrolled: 1-line block ×9, first 2 shown]
	ds_write_b64 v13, v[2:3] offset:160
	s_waitcnt lgkmcnt(0)
	; wave barrier
	s_waitcnt lgkmcnt(0)
	ds_read2st64_b64 v[76:79], v8 offset0:1 offset1:2
	ds_read2st64_b64 v[72:75], v8 offset0:3 offset1:4
	;; [unrolled: 1-line block ×10, first 2 shown]
	v_mov_b32_e32 v9, s5
	v_add_co_u32_e32 v8, vcc, s4, v12
	s_add_i32 s33, s33, s54
	v_addc_co_u32_e32 v9, vcc, 0, v9, vcc
	v_mov_b32_e32 v1, 0
	v_cmp_gt_u32_e32 vcc, s33, v0
	s_and_saveexec_b64 s[0:1], vcc
	s_cbranch_execz .LBB1592_224
; %bb.223:
	v_add_u32_e32 v13, v13, v16
	ds_read_b64 v[16:17], v13
	s_waitcnt lgkmcnt(0)
	flat_store_dwordx2 v[8:9], v[16:17]
.LBB1592_224:
	s_or_b64 exec, exec, s[0:1]
	v_or_b32_e32 v13, 64, v0
	v_cmp_gt_u32_e32 vcc, s33, v13
	s_and_saveexec_b64 s[0:1], vcc
	s_cbranch_execz .LBB1592_226
; %bb.225:
	s_waitcnt lgkmcnt(0)
	flat_store_dwordx2 v[8:9], v[76:77] offset:512
.LBB1592_226:
	s_or_b64 exec, exec, s[0:1]
	v_or_b32_e32 v13, 0x80, v0
	v_cmp_gt_u32_e32 vcc, s33, v13
	s_and_saveexec_b64 s[0:1], vcc
	s_cbranch_execz .LBB1592_228
; %bb.227:
	s_waitcnt lgkmcnt(0)
	flat_store_dwordx2 v[8:9], v[78:79] offset:1024
.LBB1592_228:
	;; [unrolled: 9-line block ×7, first 2 shown]
	s_or_b64 exec, exec, s[0:1]
	v_or_b32_e32 v13, 0x200, v0
	v_cmp_gt_u32_e32 vcc, s33, v13
	s_and_saveexec_b64 s[0:1], vcc
	s_cbranch_execz .LBB1592_240
; %bb.239:
	v_add_co_u32_e32 v16, vcc, 0x1000, v8
	v_addc_co_u32_e32 v17, vcc, 0, v9, vcc
	s_waitcnt lgkmcnt(0)
	flat_store_dwordx2 v[16:17], v[66:67]
.LBB1592_240:
	s_or_b64 exec, exec, s[0:1]
	v_or_b32_e32 v13, 0x240, v0
	v_cmp_gt_u32_e32 vcc, s33, v13
	s_and_saveexec_b64 s[0:1], vcc
	s_cbranch_execz .LBB1592_242
; %bb.241:
	v_add_co_u32_e32 v16, vcc, 0x1000, v8
	v_addc_co_u32_e32 v17, vcc, 0, v9, vcc
	s_waitcnt lgkmcnt(0)
	flat_store_dwordx2 v[16:17], v[60:61] offset:512
.LBB1592_242:
	s_or_b64 exec, exec, s[0:1]
	v_or_b32_e32 v13, 0x280, v0
	v_cmp_gt_u32_e32 vcc, s33, v13
	s_and_saveexec_b64 s[0:1], vcc
	s_cbranch_execz .LBB1592_244
; %bb.243:
	v_add_co_u32_e32 v16, vcc, 0x1000, v8
	v_addc_co_u32_e32 v17, vcc, 0, v9, vcc
	s_waitcnt lgkmcnt(0)
	flat_store_dwordx2 v[16:17], v[62:63] offset:1024
.LBB1592_244:
	;; [unrolled: 11-line block ×7, first 2 shown]
	s_or_b64 exec, exec, s[0:1]
	v_or_b32_e32 v13, 0x400, v0
	v_cmp_gt_u32_e32 vcc, s33, v13
	s_and_saveexec_b64 s[0:1], vcc
	s_cbranch_execz .LBB1592_256
; %bb.255:
	v_add_co_u32_e32 v16, vcc, 0x2000, v8
	v_addc_co_u32_e32 v17, vcc, 0, v9, vcc
	s_waitcnt lgkmcnt(0)
	flat_store_dwordx2 v[16:17], v[50:51]
.LBB1592_256:
	s_or_b64 exec, exec, s[0:1]
	v_or_b32_e32 v13, 0x440, v0
	v_cmp_gt_u32_e32 vcc, s33, v13
	s_and_saveexec_b64 s[0:1], vcc
	s_cbranch_execz .LBB1592_258
; %bb.257:
	v_add_co_u32_e32 v16, vcc, 0x2000, v8
	v_addc_co_u32_e32 v17, vcc, 0, v9, vcc
	s_waitcnt lgkmcnt(0)
	flat_store_dwordx2 v[16:17], v[44:45] offset:512
.LBB1592_258:
	s_or_b64 exec, exec, s[0:1]
	v_or_b32_e32 v13, 0x480, v0
	v_cmp_gt_u32_e32 vcc, s33, v13
	s_and_saveexec_b64 s[0:1], vcc
	s_cbranch_execz .LBB1592_260
; %bb.259:
	v_add_co_u32_e32 v16, vcc, 0x2000, v8
	v_addc_co_u32_e32 v17, vcc, 0, v9, vcc
	s_waitcnt lgkmcnt(0)
	flat_store_dwordx2 v[16:17], v[46:47] offset:1024
.LBB1592_260:
	;; [unrolled: 11-line block ×3, first 2 shown]
	s_or_b64 exec, exec, s[0:1]
	v_or_b32_e32 v8, 0x500, v0
	v_cmp_gt_u32_e64 s[0:1], s33, v8
	s_branch .LBB1592_265
.LBB1592_263:
	s_mov_b64 s[0:1], 0
                                        ; implicit-def: $vgpr42_vgpr43
	s_cbranch_execz .LBB1592_265
; %bb.264:
	v_mul_u32_u24_e32 v1, 0xa8, v0
	s_waitcnt lgkmcnt(0)
	; wave barrier
	s_waitcnt lgkmcnt(0)
	s_movk_i32 s2, 0xa8
	ds_write2_b64 v1, v[84:85], v[4:5] offset1:1
	ds_write2_b64 v1, v[6:7], v[86:87] offset0:2 offset1:3
	ds_write2_b64 v1, v[10:11], v[88:89] offset0:4 offset1:5
	;; [unrolled: 1-line block ×9, first 2 shown]
	ds_write_b64 v1, v[2:3] offset:160
	v_mul_i32_i24_e32 v2, 0xffffff60, v0
	v_mad_u32_u24 v10, v0, s2, v2
	s_waitcnt lgkmcnt(0)
	; wave barrier
	s_waitcnt lgkmcnt(0)
	ds_read2st64_b64 v[2:5], v10 offset1:1
	ds_read2st64_b64 v[6:9], v10 offset0:2 offset1:3
	ds_read2st64_b64 v[14:17], v10 offset0:4 offset1:5
	;; [unrolled: 1-line block ×9, first 2 shown]
	ds_read_b64 v[42:43], v10 offset:10240
	v_mov_b32_e32 v11, s5
	v_add_co_u32_e32 v10, vcc, s4, v12
	v_addc_co_u32_e32 v11, vcc, 0, v11, vcc
	s_movk_i32 s2, 0x1000
	s_waitcnt lgkmcnt(0)
	flat_store_dwordx2 v[10:11], v[2:3]
	flat_store_dwordx2 v[10:11], v[4:5] offset:512
	flat_store_dwordx2 v[10:11], v[6:7] offset:1024
	;; [unrolled: 1-line block ×7, first 2 shown]
	v_add_co_u32_e32 v2, vcc, s2, v10
	v_addc_co_u32_e32 v3, vcc, 0, v11, vcc
	flat_store_dwordx2 v[2:3], v[22:23]
	flat_store_dwordx2 v[2:3], v[24:25] offset:512
	flat_store_dwordx2 v[2:3], v[26:27] offset:1024
	;; [unrolled: 1-line block ×7, first 2 shown]
	v_add_co_u32_e32 v2, vcc, 0x2000, v10
	v_mov_b32_e32 v1, 0
	v_addc_co_u32_e32 v3, vcc, 0, v11, vcc
	s_or_b64 s[0:1], s[0:1], exec
	flat_store_dwordx2 v[2:3], v[38:39]
	flat_store_dwordx2 v[2:3], v[40:41] offset:512
	flat_store_dwordx2 v[2:3], v[44:45] offset:1024
	;; [unrolled: 1-line block ×3, first 2 shown]
.LBB1592_265:
	s_and_saveexec_b64 s[2:3], s[0:1]
	s_cbranch_execz .LBB1592_267
; %bb.266:
	v_lshlrev_b64 v[0:1], 3, v[0:1]
	v_mov_b32_e32 v2, s5
	v_add_co_u32_e32 v0, vcc, s4, v0
	v_addc_co_u32_e32 v1, vcc, v2, v1, vcc
	v_add_co_u32_e32 v0, vcc, 0x2000, v0
	v_addc_co_u32_e32 v1, vcc, 0, v1, vcc
	s_waitcnt lgkmcnt(0)
	flat_store_dwordx2 v[0:1], v[42:43] offset:2048
	s_endpgm
.LBB1592_267:
	s_endpgm
	.section	.rodata,"a",@progbits
	.p2align	6, 0x0
	.amdhsa_kernel _ZN7rocprim17ROCPRIM_400000_NS6detail17trampoline_kernelINS0_14default_configENS1_27scan_by_key_config_selectorIixEEZZNS1_16scan_by_key_implILNS1_25lookback_scan_determinismE0ELb1ES3_N6thrust23THRUST_200600_302600_NS6detail15normal_iteratorINS9_10device_ptrIiEEEENSB_INSC_IxEEEESG_xNS9_4plusIvEENS9_8equal_toIvEExEE10hipError_tPvRmT2_T3_T4_T5_mT6_T7_P12ihipStream_tbENKUlT_T0_E_clISt17integral_constantIbLb1EES10_IbLb0EEEEDaSW_SX_EUlSW_E_NS1_11comp_targetILNS1_3genE4ELNS1_11target_archE910ELNS1_3gpuE8ELNS1_3repE0EEENS1_30default_config_static_selectorELNS0_4arch9wavefront6targetE1EEEvT1_
		.amdhsa_group_segment_fixed_size 10752
		.amdhsa_private_segment_fixed_size 0
		.amdhsa_kernarg_size 136
		.amdhsa_user_sgpr_count 6
		.amdhsa_user_sgpr_private_segment_buffer 1
		.amdhsa_user_sgpr_dispatch_ptr 0
		.amdhsa_user_sgpr_queue_ptr 0
		.amdhsa_user_sgpr_kernarg_segment_ptr 1
		.amdhsa_user_sgpr_dispatch_id 0
		.amdhsa_user_sgpr_flat_scratch_init 0
		.amdhsa_user_sgpr_kernarg_preload_length 0
		.amdhsa_user_sgpr_kernarg_preload_offset 0
		.amdhsa_user_sgpr_private_segment_size 0
		.amdhsa_uses_dynamic_stack 0
		.amdhsa_system_sgpr_private_segment_wavefront_offset 0
		.amdhsa_system_sgpr_workgroup_id_x 1
		.amdhsa_system_sgpr_workgroup_id_y 0
		.amdhsa_system_sgpr_workgroup_id_z 0
		.amdhsa_system_sgpr_workgroup_info 0
		.amdhsa_system_vgpr_workitem_id 0
		.amdhsa_next_free_vgpr 128
		.amdhsa_next_free_sgpr 77
		.amdhsa_accum_offset 128
		.amdhsa_reserve_vcc 1
		.amdhsa_reserve_flat_scratch 0
		.amdhsa_float_round_mode_32 0
		.amdhsa_float_round_mode_16_64 0
		.amdhsa_float_denorm_mode_32 3
		.amdhsa_float_denorm_mode_16_64 3
		.amdhsa_dx10_clamp 1
		.amdhsa_ieee_mode 1
		.amdhsa_fp16_overflow 0
		.amdhsa_tg_split 0
		.amdhsa_exception_fp_ieee_invalid_op 0
		.amdhsa_exception_fp_denorm_src 0
		.amdhsa_exception_fp_ieee_div_zero 0
		.amdhsa_exception_fp_ieee_overflow 0
		.amdhsa_exception_fp_ieee_underflow 0
		.amdhsa_exception_fp_ieee_inexact 0
		.amdhsa_exception_int_div_zero 0
	.end_amdhsa_kernel
	.section	.text._ZN7rocprim17ROCPRIM_400000_NS6detail17trampoline_kernelINS0_14default_configENS1_27scan_by_key_config_selectorIixEEZZNS1_16scan_by_key_implILNS1_25lookback_scan_determinismE0ELb1ES3_N6thrust23THRUST_200600_302600_NS6detail15normal_iteratorINS9_10device_ptrIiEEEENSB_INSC_IxEEEESG_xNS9_4plusIvEENS9_8equal_toIvEExEE10hipError_tPvRmT2_T3_T4_T5_mT6_T7_P12ihipStream_tbENKUlT_T0_E_clISt17integral_constantIbLb1EES10_IbLb0EEEEDaSW_SX_EUlSW_E_NS1_11comp_targetILNS1_3genE4ELNS1_11target_archE910ELNS1_3gpuE8ELNS1_3repE0EEENS1_30default_config_static_selectorELNS0_4arch9wavefront6targetE1EEEvT1_,"axG",@progbits,_ZN7rocprim17ROCPRIM_400000_NS6detail17trampoline_kernelINS0_14default_configENS1_27scan_by_key_config_selectorIixEEZZNS1_16scan_by_key_implILNS1_25lookback_scan_determinismE0ELb1ES3_N6thrust23THRUST_200600_302600_NS6detail15normal_iteratorINS9_10device_ptrIiEEEENSB_INSC_IxEEEESG_xNS9_4plusIvEENS9_8equal_toIvEExEE10hipError_tPvRmT2_T3_T4_T5_mT6_T7_P12ihipStream_tbENKUlT_T0_E_clISt17integral_constantIbLb1EES10_IbLb0EEEEDaSW_SX_EUlSW_E_NS1_11comp_targetILNS1_3genE4ELNS1_11target_archE910ELNS1_3gpuE8ELNS1_3repE0EEENS1_30default_config_static_selectorELNS0_4arch9wavefront6targetE1EEEvT1_,comdat
.Lfunc_end1592:
	.size	_ZN7rocprim17ROCPRIM_400000_NS6detail17trampoline_kernelINS0_14default_configENS1_27scan_by_key_config_selectorIixEEZZNS1_16scan_by_key_implILNS1_25lookback_scan_determinismE0ELb1ES3_N6thrust23THRUST_200600_302600_NS6detail15normal_iteratorINS9_10device_ptrIiEEEENSB_INSC_IxEEEESG_xNS9_4plusIvEENS9_8equal_toIvEExEE10hipError_tPvRmT2_T3_T4_T5_mT6_T7_P12ihipStream_tbENKUlT_T0_E_clISt17integral_constantIbLb1EES10_IbLb0EEEEDaSW_SX_EUlSW_E_NS1_11comp_targetILNS1_3genE4ELNS1_11target_archE910ELNS1_3gpuE8ELNS1_3repE0EEENS1_30default_config_static_selectorELNS0_4arch9wavefront6targetE1EEEvT1_, .Lfunc_end1592-_ZN7rocprim17ROCPRIM_400000_NS6detail17trampoline_kernelINS0_14default_configENS1_27scan_by_key_config_selectorIixEEZZNS1_16scan_by_key_implILNS1_25lookback_scan_determinismE0ELb1ES3_N6thrust23THRUST_200600_302600_NS6detail15normal_iteratorINS9_10device_ptrIiEEEENSB_INSC_IxEEEESG_xNS9_4plusIvEENS9_8equal_toIvEExEE10hipError_tPvRmT2_T3_T4_T5_mT6_T7_P12ihipStream_tbENKUlT_T0_E_clISt17integral_constantIbLb1EES10_IbLb0EEEEDaSW_SX_EUlSW_E_NS1_11comp_targetILNS1_3genE4ELNS1_11target_archE910ELNS1_3gpuE8ELNS1_3repE0EEENS1_30default_config_static_selectorELNS0_4arch9wavefront6targetE1EEEvT1_
                                        ; -- End function
	.section	.AMDGPU.csdata,"",@progbits
; Kernel info:
; codeLenInByte = 17088
; NumSgprs: 81
; NumVgprs: 128
; NumAgprs: 0
; TotalNumVgprs: 128
; ScratchSize: 0
; MemoryBound: 0
; FloatMode: 240
; IeeeMode: 1
; LDSByteSize: 10752 bytes/workgroup (compile time only)
; SGPRBlocks: 10
; VGPRBlocks: 15
; NumSGPRsForWavesPerEU: 81
; NumVGPRsForWavesPerEU: 128
; AccumOffset: 128
; Occupancy: 2
; WaveLimiterHint : 1
; COMPUTE_PGM_RSRC2:SCRATCH_EN: 0
; COMPUTE_PGM_RSRC2:USER_SGPR: 6
; COMPUTE_PGM_RSRC2:TRAP_HANDLER: 0
; COMPUTE_PGM_RSRC2:TGID_X_EN: 1
; COMPUTE_PGM_RSRC2:TGID_Y_EN: 0
; COMPUTE_PGM_RSRC2:TGID_Z_EN: 0
; COMPUTE_PGM_RSRC2:TIDIG_COMP_CNT: 0
; COMPUTE_PGM_RSRC3_GFX90A:ACCUM_OFFSET: 31
; COMPUTE_PGM_RSRC3_GFX90A:TG_SPLIT: 0
	.section	.text._ZN7rocprim17ROCPRIM_400000_NS6detail17trampoline_kernelINS0_14default_configENS1_27scan_by_key_config_selectorIixEEZZNS1_16scan_by_key_implILNS1_25lookback_scan_determinismE0ELb1ES3_N6thrust23THRUST_200600_302600_NS6detail15normal_iteratorINS9_10device_ptrIiEEEENSB_INSC_IxEEEESG_xNS9_4plusIvEENS9_8equal_toIvEExEE10hipError_tPvRmT2_T3_T4_T5_mT6_T7_P12ihipStream_tbENKUlT_T0_E_clISt17integral_constantIbLb1EES10_IbLb0EEEEDaSW_SX_EUlSW_E_NS1_11comp_targetILNS1_3genE3ELNS1_11target_archE908ELNS1_3gpuE7ELNS1_3repE0EEENS1_30default_config_static_selectorELNS0_4arch9wavefront6targetE1EEEvT1_,"axG",@progbits,_ZN7rocprim17ROCPRIM_400000_NS6detail17trampoline_kernelINS0_14default_configENS1_27scan_by_key_config_selectorIixEEZZNS1_16scan_by_key_implILNS1_25lookback_scan_determinismE0ELb1ES3_N6thrust23THRUST_200600_302600_NS6detail15normal_iteratorINS9_10device_ptrIiEEEENSB_INSC_IxEEEESG_xNS9_4plusIvEENS9_8equal_toIvEExEE10hipError_tPvRmT2_T3_T4_T5_mT6_T7_P12ihipStream_tbENKUlT_T0_E_clISt17integral_constantIbLb1EES10_IbLb0EEEEDaSW_SX_EUlSW_E_NS1_11comp_targetILNS1_3genE3ELNS1_11target_archE908ELNS1_3gpuE7ELNS1_3repE0EEENS1_30default_config_static_selectorELNS0_4arch9wavefront6targetE1EEEvT1_,comdat
	.protected	_ZN7rocprim17ROCPRIM_400000_NS6detail17trampoline_kernelINS0_14default_configENS1_27scan_by_key_config_selectorIixEEZZNS1_16scan_by_key_implILNS1_25lookback_scan_determinismE0ELb1ES3_N6thrust23THRUST_200600_302600_NS6detail15normal_iteratorINS9_10device_ptrIiEEEENSB_INSC_IxEEEESG_xNS9_4plusIvEENS9_8equal_toIvEExEE10hipError_tPvRmT2_T3_T4_T5_mT6_T7_P12ihipStream_tbENKUlT_T0_E_clISt17integral_constantIbLb1EES10_IbLb0EEEEDaSW_SX_EUlSW_E_NS1_11comp_targetILNS1_3genE3ELNS1_11target_archE908ELNS1_3gpuE7ELNS1_3repE0EEENS1_30default_config_static_selectorELNS0_4arch9wavefront6targetE1EEEvT1_ ; -- Begin function _ZN7rocprim17ROCPRIM_400000_NS6detail17trampoline_kernelINS0_14default_configENS1_27scan_by_key_config_selectorIixEEZZNS1_16scan_by_key_implILNS1_25lookback_scan_determinismE0ELb1ES3_N6thrust23THRUST_200600_302600_NS6detail15normal_iteratorINS9_10device_ptrIiEEEENSB_INSC_IxEEEESG_xNS9_4plusIvEENS9_8equal_toIvEExEE10hipError_tPvRmT2_T3_T4_T5_mT6_T7_P12ihipStream_tbENKUlT_T0_E_clISt17integral_constantIbLb1EES10_IbLb0EEEEDaSW_SX_EUlSW_E_NS1_11comp_targetILNS1_3genE3ELNS1_11target_archE908ELNS1_3gpuE7ELNS1_3repE0EEENS1_30default_config_static_selectorELNS0_4arch9wavefront6targetE1EEEvT1_
	.globl	_ZN7rocprim17ROCPRIM_400000_NS6detail17trampoline_kernelINS0_14default_configENS1_27scan_by_key_config_selectorIixEEZZNS1_16scan_by_key_implILNS1_25lookback_scan_determinismE0ELb1ES3_N6thrust23THRUST_200600_302600_NS6detail15normal_iteratorINS9_10device_ptrIiEEEENSB_INSC_IxEEEESG_xNS9_4plusIvEENS9_8equal_toIvEExEE10hipError_tPvRmT2_T3_T4_T5_mT6_T7_P12ihipStream_tbENKUlT_T0_E_clISt17integral_constantIbLb1EES10_IbLb0EEEEDaSW_SX_EUlSW_E_NS1_11comp_targetILNS1_3genE3ELNS1_11target_archE908ELNS1_3gpuE7ELNS1_3repE0EEENS1_30default_config_static_selectorELNS0_4arch9wavefront6targetE1EEEvT1_
	.p2align	8
	.type	_ZN7rocprim17ROCPRIM_400000_NS6detail17trampoline_kernelINS0_14default_configENS1_27scan_by_key_config_selectorIixEEZZNS1_16scan_by_key_implILNS1_25lookback_scan_determinismE0ELb1ES3_N6thrust23THRUST_200600_302600_NS6detail15normal_iteratorINS9_10device_ptrIiEEEENSB_INSC_IxEEEESG_xNS9_4plusIvEENS9_8equal_toIvEExEE10hipError_tPvRmT2_T3_T4_T5_mT6_T7_P12ihipStream_tbENKUlT_T0_E_clISt17integral_constantIbLb1EES10_IbLb0EEEEDaSW_SX_EUlSW_E_NS1_11comp_targetILNS1_3genE3ELNS1_11target_archE908ELNS1_3gpuE7ELNS1_3repE0EEENS1_30default_config_static_selectorELNS0_4arch9wavefront6targetE1EEEvT1_,@function
_ZN7rocprim17ROCPRIM_400000_NS6detail17trampoline_kernelINS0_14default_configENS1_27scan_by_key_config_selectorIixEEZZNS1_16scan_by_key_implILNS1_25lookback_scan_determinismE0ELb1ES3_N6thrust23THRUST_200600_302600_NS6detail15normal_iteratorINS9_10device_ptrIiEEEENSB_INSC_IxEEEESG_xNS9_4plusIvEENS9_8equal_toIvEExEE10hipError_tPvRmT2_T3_T4_T5_mT6_T7_P12ihipStream_tbENKUlT_T0_E_clISt17integral_constantIbLb1EES10_IbLb0EEEEDaSW_SX_EUlSW_E_NS1_11comp_targetILNS1_3genE3ELNS1_11target_archE908ELNS1_3gpuE7ELNS1_3repE0EEENS1_30default_config_static_selectorELNS0_4arch9wavefront6targetE1EEEvT1_: ; @_ZN7rocprim17ROCPRIM_400000_NS6detail17trampoline_kernelINS0_14default_configENS1_27scan_by_key_config_selectorIixEEZZNS1_16scan_by_key_implILNS1_25lookback_scan_determinismE0ELb1ES3_N6thrust23THRUST_200600_302600_NS6detail15normal_iteratorINS9_10device_ptrIiEEEENSB_INSC_IxEEEESG_xNS9_4plusIvEENS9_8equal_toIvEExEE10hipError_tPvRmT2_T3_T4_T5_mT6_T7_P12ihipStream_tbENKUlT_T0_E_clISt17integral_constantIbLb1EES10_IbLb0EEEEDaSW_SX_EUlSW_E_NS1_11comp_targetILNS1_3genE3ELNS1_11target_archE908ELNS1_3gpuE7ELNS1_3repE0EEENS1_30default_config_static_selectorELNS0_4arch9wavefront6targetE1EEEvT1_
; %bb.0:
	.section	.rodata,"a",@progbits
	.p2align	6, 0x0
	.amdhsa_kernel _ZN7rocprim17ROCPRIM_400000_NS6detail17trampoline_kernelINS0_14default_configENS1_27scan_by_key_config_selectorIixEEZZNS1_16scan_by_key_implILNS1_25lookback_scan_determinismE0ELb1ES3_N6thrust23THRUST_200600_302600_NS6detail15normal_iteratorINS9_10device_ptrIiEEEENSB_INSC_IxEEEESG_xNS9_4plusIvEENS9_8equal_toIvEExEE10hipError_tPvRmT2_T3_T4_T5_mT6_T7_P12ihipStream_tbENKUlT_T0_E_clISt17integral_constantIbLb1EES10_IbLb0EEEEDaSW_SX_EUlSW_E_NS1_11comp_targetILNS1_3genE3ELNS1_11target_archE908ELNS1_3gpuE7ELNS1_3repE0EEENS1_30default_config_static_selectorELNS0_4arch9wavefront6targetE1EEEvT1_
		.amdhsa_group_segment_fixed_size 0
		.amdhsa_private_segment_fixed_size 0
		.amdhsa_kernarg_size 136
		.amdhsa_user_sgpr_count 6
		.amdhsa_user_sgpr_private_segment_buffer 1
		.amdhsa_user_sgpr_dispatch_ptr 0
		.amdhsa_user_sgpr_queue_ptr 0
		.amdhsa_user_sgpr_kernarg_segment_ptr 1
		.amdhsa_user_sgpr_dispatch_id 0
		.amdhsa_user_sgpr_flat_scratch_init 0
		.amdhsa_user_sgpr_kernarg_preload_length 0
		.amdhsa_user_sgpr_kernarg_preload_offset 0
		.amdhsa_user_sgpr_private_segment_size 0
		.amdhsa_uses_dynamic_stack 0
		.amdhsa_system_sgpr_private_segment_wavefront_offset 0
		.amdhsa_system_sgpr_workgroup_id_x 1
		.amdhsa_system_sgpr_workgroup_id_y 0
		.amdhsa_system_sgpr_workgroup_id_z 0
		.amdhsa_system_sgpr_workgroup_info 0
		.amdhsa_system_vgpr_workitem_id 0
		.amdhsa_next_free_vgpr 1
		.amdhsa_next_free_sgpr 0
		.amdhsa_accum_offset 4
		.amdhsa_reserve_vcc 0
		.amdhsa_reserve_flat_scratch 0
		.amdhsa_float_round_mode_32 0
		.amdhsa_float_round_mode_16_64 0
		.amdhsa_float_denorm_mode_32 3
		.amdhsa_float_denorm_mode_16_64 3
		.amdhsa_dx10_clamp 1
		.amdhsa_ieee_mode 1
		.amdhsa_fp16_overflow 0
		.amdhsa_tg_split 0
		.amdhsa_exception_fp_ieee_invalid_op 0
		.amdhsa_exception_fp_denorm_src 0
		.amdhsa_exception_fp_ieee_div_zero 0
		.amdhsa_exception_fp_ieee_overflow 0
		.amdhsa_exception_fp_ieee_underflow 0
		.amdhsa_exception_fp_ieee_inexact 0
		.amdhsa_exception_int_div_zero 0
	.end_amdhsa_kernel
	.section	.text._ZN7rocprim17ROCPRIM_400000_NS6detail17trampoline_kernelINS0_14default_configENS1_27scan_by_key_config_selectorIixEEZZNS1_16scan_by_key_implILNS1_25lookback_scan_determinismE0ELb1ES3_N6thrust23THRUST_200600_302600_NS6detail15normal_iteratorINS9_10device_ptrIiEEEENSB_INSC_IxEEEESG_xNS9_4plusIvEENS9_8equal_toIvEExEE10hipError_tPvRmT2_T3_T4_T5_mT6_T7_P12ihipStream_tbENKUlT_T0_E_clISt17integral_constantIbLb1EES10_IbLb0EEEEDaSW_SX_EUlSW_E_NS1_11comp_targetILNS1_3genE3ELNS1_11target_archE908ELNS1_3gpuE7ELNS1_3repE0EEENS1_30default_config_static_selectorELNS0_4arch9wavefront6targetE1EEEvT1_,"axG",@progbits,_ZN7rocprim17ROCPRIM_400000_NS6detail17trampoline_kernelINS0_14default_configENS1_27scan_by_key_config_selectorIixEEZZNS1_16scan_by_key_implILNS1_25lookback_scan_determinismE0ELb1ES3_N6thrust23THRUST_200600_302600_NS6detail15normal_iteratorINS9_10device_ptrIiEEEENSB_INSC_IxEEEESG_xNS9_4plusIvEENS9_8equal_toIvEExEE10hipError_tPvRmT2_T3_T4_T5_mT6_T7_P12ihipStream_tbENKUlT_T0_E_clISt17integral_constantIbLb1EES10_IbLb0EEEEDaSW_SX_EUlSW_E_NS1_11comp_targetILNS1_3genE3ELNS1_11target_archE908ELNS1_3gpuE7ELNS1_3repE0EEENS1_30default_config_static_selectorELNS0_4arch9wavefront6targetE1EEEvT1_,comdat
.Lfunc_end1593:
	.size	_ZN7rocprim17ROCPRIM_400000_NS6detail17trampoline_kernelINS0_14default_configENS1_27scan_by_key_config_selectorIixEEZZNS1_16scan_by_key_implILNS1_25lookback_scan_determinismE0ELb1ES3_N6thrust23THRUST_200600_302600_NS6detail15normal_iteratorINS9_10device_ptrIiEEEENSB_INSC_IxEEEESG_xNS9_4plusIvEENS9_8equal_toIvEExEE10hipError_tPvRmT2_T3_T4_T5_mT6_T7_P12ihipStream_tbENKUlT_T0_E_clISt17integral_constantIbLb1EES10_IbLb0EEEEDaSW_SX_EUlSW_E_NS1_11comp_targetILNS1_3genE3ELNS1_11target_archE908ELNS1_3gpuE7ELNS1_3repE0EEENS1_30default_config_static_selectorELNS0_4arch9wavefront6targetE1EEEvT1_, .Lfunc_end1593-_ZN7rocprim17ROCPRIM_400000_NS6detail17trampoline_kernelINS0_14default_configENS1_27scan_by_key_config_selectorIixEEZZNS1_16scan_by_key_implILNS1_25lookback_scan_determinismE0ELb1ES3_N6thrust23THRUST_200600_302600_NS6detail15normal_iteratorINS9_10device_ptrIiEEEENSB_INSC_IxEEEESG_xNS9_4plusIvEENS9_8equal_toIvEExEE10hipError_tPvRmT2_T3_T4_T5_mT6_T7_P12ihipStream_tbENKUlT_T0_E_clISt17integral_constantIbLb1EES10_IbLb0EEEEDaSW_SX_EUlSW_E_NS1_11comp_targetILNS1_3genE3ELNS1_11target_archE908ELNS1_3gpuE7ELNS1_3repE0EEENS1_30default_config_static_selectorELNS0_4arch9wavefront6targetE1EEEvT1_
                                        ; -- End function
	.section	.AMDGPU.csdata,"",@progbits
; Kernel info:
; codeLenInByte = 0
; NumSgprs: 4
; NumVgprs: 0
; NumAgprs: 0
; TotalNumVgprs: 0
; ScratchSize: 0
; MemoryBound: 0
; FloatMode: 240
; IeeeMode: 1
; LDSByteSize: 0 bytes/workgroup (compile time only)
; SGPRBlocks: 0
; VGPRBlocks: 0
; NumSGPRsForWavesPerEU: 4
; NumVGPRsForWavesPerEU: 1
; AccumOffset: 4
; Occupancy: 8
; WaveLimiterHint : 0
; COMPUTE_PGM_RSRC2:SCRATCH_EN: 0
; COMPUTE_PGM_RSRC2:USER_SGPR: 6
; COMPUTE_PGM_RSRC2:TRAP_HANDLER: 0
; COMPUTE_PGM_RSRC2:TGID_X_EN: 1
; COMPUTE_PGM_RSRC2:TGID_Y_EN: 0
; COMPUTE_PGM_RSRC2:TGID_Z_EN: 0
; COMPUTE_PGM_RSRC2:TIDIG_COMP_CNT: 0
; COMPUTE_PGM_RSRC3_GFX90A:ACCUM_OFFSET: 0
; COMPUTE_PGM_RSRC3_GFX90A:TG_SPLIT: 0
	.section	.text._ZN7rocprim17ROCPRIM_400000_NS6detail17trampoline_kernelINS0_14default_configENS1_27scan_by_key_config_selectorIixEEZZNS1_16scan_by_key_implILNS1_25lookback_scan_determinismE0ELb1ES3_N6thrust23THRUST_200600_302600_NS6detail15normal_iteratorINS9_10device_ptrIiEEEENSB_INSC_IxEEEESG_xNS9_4plusIvEENS9_8equal_toIvEExEE10hipError_tPvRmT2_T3_T4_T5_mT6_T7_P12ihipStream_tbENKUlT_T0_E_clISt17integral_constantIbLb1EES10_IbLb0EEEEDaSW_SX_EUlSW_E_NS1_11comp_targetILNS1_3genE2ELNS1_11target_archE906ELNS1_3gpuE6ELNS1_3repE0EEENS1_30default_config_static_selectorELNS0_4arch9wavefront6targetE1EEEvT1_,"axG",@progbits,_ZN7rocprim17ROCPRIM_400000_NS6detail17trampoline_kernelINS0_14default_configENS1_27scan_by_key_config_selectorIixEEZZNS1_16scan_by_key_implILNS1_25lookback_scan_determinismE0ELb1ES3_N6thrust23THRUST_200600_302600_NS6detail15normal_iteratorINS9_10device_ptrIiEEEENSB_INSC_IxEEEESG_xNS9_4plusIvEENS9_8equal_toIvEExEE10hipError_tPvRmT2_T3_T4_T5_mT6_T7_P12ihipStream_tbENKUlT_T0_E_clISt17integral_constantIbLb1EES10_IbLb0EEEEDaSW_SX_EUlSW_E_NS1_11comp_targetILNS1_3genE2ELNS1_11target_archE906ELNS1_3gpuE6ELNS1_3repE0EEENS1_30default_config_static_selectorELNS0_4arch9wavefront6targetE1EEEvT1_,comdat
	.protected	_ZN7rocprim17ROCPRIM_400000_NS6detail17trampoline_kernelINS0_14default_configENS1_27scan_by_key_config_selectorIixEEZZNS1_16scan_by_key_implILNS1_25lookback_scan_determinismE0ELb1ES3_N6thrust23THRUST_200600_302600_NS6detail15normal_iteratorINS9_10device_ptrIiEEEENSB_INSC_IxEEEESG_xNS9_4plusIvEENS9_8equal_toIvEExEE10hipError_tPvRmT2_T3_T4_T5_mT6_T7_P12ihipStream_tbENKUlT_T0_E_clISt17integral_constantIbLb1EES10_IbLb0EEEEDaSW_SX_EUlSW_E_NS1_11comp_targetILNS1_3genE2ELNS1_11target_archE906ELNS1_3gpuE6ELNS1_3repE0EEENS1_30default_config_static_selectorELNS0_4arch9wavefront6targetE1EEEvT1_ ; -- Begin function _ZN7rocprim17ROCPRIM_400000_NS6detail17trampoline_kernelINS0_14default_configENS1_27scan_by_key_config_selectorIixEEZZNS1_16scan_by_key_implILNS1_25lookback_scan_determinismE0ELb1ES3_N6thrust23THRUST_200600_302600_NS6detail15normal_iteratorINS9_10device_ptrIiEEEENSB_INSC_IxEEEESG_xNS9_4plusIvEENS9_8equal_toIvEExEE10hipError_tPvRmT2_T3_T4_T5_mT6_T7_P12ihipStream_tbENKUlT_T0_E_clISt17integral_constantIbLb1EES10_IbLb0EEEEDaSW_SX_EUlSW_E_NS1_11comp_targetILNS1_3genE2ELNS1_11target_archE906ELNS1_3gpuE6ELNS1_3repE0EEENS1_30default_config_static_selectorELNS0_4arch9wavefront6targetE1EEEvT1_
	.globl	_ZN7rocprim17ROCPRIM_400000_NS6detail17trampoline_kernelINS0_14default_configENS1_27scan_by_key_config_selectorIixEEZZNS1_16scan_by_key_implILNS1_25lookback_scan_determinismE0ELb1ES3_N6thrust23THRUST_200600_302600_NS6detail15normal_iteratorINS9_10device_ptrIiEEEENSB_INSC_IxEEEESG_xNS9_4plusIvEENS9_8equal_toIvEExEE10hipError_tPvRmT2_T3_T4_T5_mT6_T7_P12ihipStream_tbENKUlT_T0_E_clISt17integral_constantIbLb1EES10_IbLb0EEEEDaSW_SX_EUlSW_E_NS1_11comp_targetILNS1_3genE2ELNS1_11target_archE906ELNS1_3gpuE6ELNS1_3repE0EEENS1_30default_config_static_selectorELNS0_4arch9wavefront6targetE1EEEvT1_
	.p2align	8
	.type	_ZN7rocprim17ROCPRIM_400000_NS6detail17trampoline_kernelINS0_14default_configENS1_27scan_by_key_config_selectorIixEEZZNS1_16scan_by_key_implILNS1_25lookback_scan_determinismE0ELb1ES3_N6thrust23THRUST_200600_302600_NS6detail15normal_iteratorINS9_10device_ptrIiEEEENSB_INSC_IxEEEESG_xNS9_4plusIvEENS9_8equal_toIvEExEE10hipError_tPvRmT2_T3_T4_T5_mT6_T7_P12ihipStream_tbENKUlT_T0_E_clISt17integral_constantIbLb1EES10_IbLb0EEEEDaSW_SX_EUlSW_E_NS1_11comp_targetILNS1_3genE2ELNS1_11target_archE906ELNS1_3gpuE6ELNS1_3repE0EEENS1_30default_config_static_selectorELNS0_4arch9wavefront6targetE1EEEvT1_,@function
_ZN7rocprim17ROCPRIM_400000_NS6detail17trampoline_kernelINS0_14default_configENS1_27scan_by_key_config_selectorIixEEZZNS1_16scan_by_key_implILNS1_25lookback_scan_determinismE0ELb1ES3_N6thrust23THRUST_200600_302600_NS6detail15normal_iteratorINS9_10device_ptrIiEEEENSB_INSC_IxEEEESG_xNS9_4plusIvEENS9_8equal_toIvEExEE10hipError_tPvRmT2_T3_T4_T5_mT6_T7_P12ihipStream_tbENKUlT_T0_E_clISt17integral_constantIbLb1EES10_IbLb0EEEEDaSW_SX_EUlSW_E_NS1_11comp_targetILNS1_3genE2ELNS1_11target_archE906ELNS1_3gpuE6ELNS1_3repE0EEENS1_30default_config_static_selectorELNS0_4arch9wavefront6targetE1EEEvT1_: ; @_ZN7rocprim17ROCPRIM_400000_NS6detail17trampoline_kernelINS0_14default_configENS1_27scan_by_key_config_selectorIixEEZZNS1_16scan_by_key_implILNS1_25lookback_scan_determinismE0ELb1ES3_N6thrust23THRUST_200600_302600_NS6detail15normal_iteratorINS9_10device_ptrIiEEEENSB_INSC_IxEEEESG_xNS9_4plusIvEENS9_8equal_toIvEExEE10hipError_tPvRmT2_T3_T4_T5_mT6_T7_P12ihipStream_tbENKUlT_T0_E_clISt17integral_constantIbLb1EES10_IbLb0EEEEDaSW_SX_EUlSW_E_NS1_11comp_targetILNS1_3genE2ELNS1_11target_archE906ELNS1_3gpuE6ELNS1_3repE0EEENS1_30default_config_static_selectorELNS0_4arch9wavefront6targetE1EEEvT1_
; %bb.0:
	.section	.rodata,"a",@progbits
	.p2align	6, 0x0
	.amdhsa_kernel _ZN7rocprim17ROCPRIM_400000_NS6detail17trampoline_kernelINS0_14default_configENS1_27scan_by_key_config_selectorIixEEZZNS1_16scan_by_key_implILNS1_25lookback_scan_determinismE0ELb1ES3_N6thrust23THRUST_200600_302600_NS6detail15normal_iteratorINS9_10device_ptrIiEEEENSB_INSC_IxEEEESG_xNS9_4plusIvEENS9_8equal_toIvEExEE10hipError_tPvRmT2_T3_T4_T5_mT6_T7_P12ihipStream_tbENKUlT_T0_E_clISt17integral_constantIbLb1EES10_IbLb0EEEEDaSW_SX_EUlSW_E_NS1_11comp_targetILNS1_3genE2ELNS1_11target_archE906ELNS1_3gpuE6ELNS1_3repE0EEENS1_30default_config_static_selectorELNS0_4arch9wavefront6targetE1EEEvT1_
		.amdhsa_group_segment_fixed_size 0
		.amdhsa_private_segment_fixed_size 0
		.amdhsa_kernarg_size 136
		.amdhsa_user_sgpr_count 6
		.amdhsa_user_sgpr_private_segment_buffer 1
		.amdhsa_user_sgpr_dispatch_ptr 0
		.amdhsa_user_sgpr_queue_ptr 0
		.amdhsa_user_sgpr_kernarg_segment_ptr 1
		.amdhsa_user_sgpr_dispatch_id 0
		.amdhsa_user_sgpr_flat_scratch_init 0
		.amdhsa_user_sgpr_kernarg_preload_length 0
		.amdhsa_user_sgpr_kernarg_preload_offset 0
		.amdhsa_user_sgpr_private_segment_size 0
		.amdhsa_uses_dynamic_stack 0
		.amdhsa_system_sgpr_private_segment_wavefront_offset 0
		.amdhsa_system_sgpr_workgroup_id_x 1
		.amdhsa_system_sgpr_workgroup_id_y 0
		.amdhsa_system_sgpr_workgroup_id_z 0
		.amdhsa_system_sgpr_workgroup_info 0
		.amdhsa_system_vgpr_workitem_id 0
		.amdhsa_next_free_vgpr 1
		.amdhsa_next_free_sgpr 0
		.amdhsa_accum_offset 4
		.amdhsa_reserve_vcc 0
		.amdhsa_reserve_flat_scratch 0
		.amdhsa_float_round_mode_32 0
		.amdhsa_float_round_mode_16_64 0
		.amdhsa_float_denorm_mode_32 3
		.amdhsa_float_denorm_mode_16_64 3
		.amdhsa_dx10_clamp 1
		.amdhsa_ieee_mode 1
		.amdhsa_fp16_overflow 0
		.amdhsa_tg_split 0
		.amdhsa_exception_fp_ieee_invalid_op 0
		.amdhsa_exception_fp_denorm_src 0
		.amdhsa_exception_fp_ieee_div_zero 0
		.amdhsa_exception_fp_ieee_overflow 0
		.amdhsa_exception_fp_ieee_underflow 0
		.amdhsa_exception_fp_ieee_inexact 0
		.amdhsa_exception_int_div_zero 0
	.end_amdhsa_kernel
	.section	.text._ZN7rocprim17ROCPRIM_400000_NS6detail17trampoline_kernelINS0_14default_configENS1_27scan_by_key_config_selectorIixEEZZNS1_16scan_by_key_implILNS1_25lookback_scan_determinismE0ELb1ES3_N6thrust23THRUST_200600_302600_NS6detail15normal_iteratorINS9_10device_ptrIiEEEENSB_INSC_IxEEEESG_xNS9_4plusIvEENS9_8equal_toIvEExEE10hipError_tPvRmT2_T3_T4_T5_mT6_T7_P12ihipStream_tbENKUlT_T0_E_clISt17integral_constantIbLb1EES10_IbLb0EEEEDaSW_SX_EUlSW_E_NS1_11comp_targetILNS1_3genE2ELNS1_11target_archE906ELNS1_3gpuE6ELNS1_3repE0EEENS1_30default_config_static_selectorELNS0_4arch9wavefront6targetE1EEEvT1_,"axG",@progbits,_ZN7rocprim17ROCPRIM_400000_NS6detail17trampoline_kernelINS0_14default_configENS1_27scan_by_key_config_selectorIixEEZZNS1_16scan_by_key_implILNS1_25lookback_scan_determinismE0ELb1ES3_N6thrust23THRUST_200600_302600_NS6detail15normal_iteratorINS9_10device_ptrIiEEEENSB_INSC_IxEEEESG_xNS9_4plusIvEENS9_8equal_toIvEExEE10hipError_tPvRmT2_T3_T4_T5_mT6_T7_P12ihipStream_tbENKUlT_T0_E_clISt17integral_constantIbLb1EES10_IbLb0EEEEDaSW_SX_EUlSW_E_NS1_11comp_targetILNS1_3genE2ELNS1_11target_archE906ELNS1_3gpuE6ELNS1_3repE0EEENS1_30default_config_static_selectorELNS0_4arch9wavefront6targetE1EEEvT1_,comdat
.Lfunc_end1594:
	.size	_ZN7rocprim17ROCPRIM_400000_NS6detail17trampoline_kernelINS0_14default_configENS1_27scan_by_key_config_selectorIixEEZZNS1_16scan_by_key_implILNS1_25lookback_scan_determinismE0ELb1ES3_N6thrust23THRUST_200600_302600_NS6detail15normal_iteratorINS9_10device_ptrIiEEEENSB_INSC_IxEEEESG_xNS9_4plusIvEENS9_8equal_toIvEExEE10hipError_tPvRmT2_T3_T4_T5_mT6_T7_P12ihipStream_tbENKUlT_T0_E_clISt17integral_constantIbLb1EES10_IbLb0EEEEDaSW_SX_EUlSW_E_NS1_11comp_targetILNS1_3genE2ELNS1_11target_archE906ELNS1_3gpuE6ELNS1_3repE0EEENS1_30default_config_static_selectorELNS0_4arch9wavefront6targetE1EEEvT1_, .Lfunc_end1594-_ZN7rocprim17ROCPRIM_400000_NS6detail17trampoline_kernelINS0_14default_configENS1_27scan_by_key_config_selectorIixEEZZNS1_16scan_by_key_implILNS1_25lookback_scan_determinismE0ELb1ES3_N6thrust23THRUST_200600_302600_NS6detail15normal_iteratorINS9_10device_ptrIiEEEENSB_INSC_IxEEEESG_xNS9_4plusIvEENS9_8equal_toIvEExEE10hipError_tPvRmT2_T3_T4_T5_mT6_T7_P12ihipStream_tbENKUlT_T0_E_clISt17integral_constantIbLb1EES10_IbLb0EEEEDaSW_SX_EUlSW_E_NS1_11comp_targetILNS1_3genE2ELNS1_11target_archE906ELNS1_3gpuE6ELNS1_3repE0EEENS1_30default_config_static_selectorELNS0_4arch9wavefront6targetE1EEEvT1_
                                        ; -- End function
	.section	.AMDGPU.csdata,"",@progbits
; Kernel info:
; codeLenInByte = 0
; NumSgprs: 4
; NumVgprs: 0
; NumAgprs: 0
; TotalNumVgprs: 0
; ScratchSize: 0
; MemoryBound: 0
; FloatMode: 240
; IeeeMode: 1
; LDSByteSize: 0 bytes/workgroup (compile time only)
; SGPRBlocks: 0
; VGPRBlocks: 0
; NumSGPRsForWavesPerEU: 4
; NumVGPRsForWavesPerEU: 1
; AccumOffset: 4
; Occupancy: 8
; WaveLimiterHint : 0
; COMPUTE_PGM_RSRC2:SCRATCH_EN: 0
; COMPUTE_PGM_RSRC2:USER_SGPR: 6
; COMPUTE_PGM_RSRC2:TRAP_HANDLER: 0
; COMPUTE_PGM_RSRC2:TGID_X_EN: 1
; COMPUTE_PGM_RSRC2:TGID_Y_EN: 0
; COMPUTE_PGM_RSRC2:TGID_Z_EN: 0
; COMPUTE_PGM_RSRC2:TIDIG_COMP_CNT: 0
; COMPUTE_PGM_RSRC3_GFX90A:ACCUM_OFFSET: 0
; COMPUTE_PGM_RSRC3_GFX90A:TG_SPLIT: 0
	.section	.text._ZN7rocprim17ROCPRIM_400000_NS6detail17trampoline_kernelINS0_14default_configENS1_27scan_by_key_config_selectorIixEEZZNS1_16scan_by_key_implILNS1_25lookback_scan_determinismE0ELb1ES3_N6thrust23THRUST_200600_302600_NS6detail15normal_iteratorINS9_10device_ptrIiEEEENSB_INSC_IxEEEESG_xNS9_4plusIvEENS9_8equal_toIvEExEE10hipError_tPvRmT2_T3_T4_T5_mT6_T7_P12ihipStream_tbENKUlT_T0_E_clISt17integral_constantIbLb1EES10_IbLb0EEEEDaSW_SX_EUlSW_E_NS1_11comp_targetILNS1_3genE10ELNS1_11target_archE1200ELNS1_3gpuE4ELNS1_3repE0EEENS1_30default_config_static_selectorELNS0_4arch9wavefront6targetE1EEEvT1_,"axG",@progbits,_ZN7rocprim17ROCPRIM_400000_NS6detail17trampoline_kernelINS0_14default_configENS1_27scan_by_key_config_selectorIixEEZZNS1_16scan_by_key_implILNS1_25lookback_scan_determinismE0ELb1ES3_N6thrust23THRUST_200600_302600_NS6detail15normal_iteratorINS9_10device_ptrIiEEEENSB_INSC_IxEEEESG_xNS9_4plusIvEENS9_8equal_toIvEExEE10hipError_tPvRmT2_T3_T4_T5_mT6_T7_P12ihipStream_tbENKUlT_T0_E_clISt17integral_constantIbLb1EES10_IbLb0EEEEDaSW_SX_EUlSW_E_NS1_11comp_targetILNS1_3genE10ELNS1_11target_archE1200ELNS1_3gpuE4ELNS1_3repE0EEENS1_30default_config_static_selectorELNS0_4arch9wavefront6targetE1EEEvT1_,comdat
	.protected	_ZN7rocprim17ROCPRIM_400000_NS6detail17trampoline_kernelINS0_14default_configENS1_27scan_by_key_config_selectorIixEEZZNS1_16scan_by_key_implILNS1_25lookback_scan_determinismE0ELb1ES3_N6thrust23THRUST_200600_302600_NS6detail15normal_iteratorINS9_10device_ptrIiEEEENSB_INSC_IxEEEESG_xNS9_4plusIvEENS9_8equal_toIvEExEE10hipError_tPvRmT2_T3_T4_T5_mT6_T7_P12ihipStream_tbENKUlT_T0_E_clISt17integral_constantIbLb1EES10_IbLb0EEEEDaSW_SX_EUlSW_E_NS1_11comp_targetILNS1_3genE10ELNS1_11target_archE1200ELNS1_3gpuE4ELNS1_3repE0EEENS1_30default_config_static_selectorELNS0_4arch9wavefront6targetE1EEEvT1_ ; -- Begin function _ZN7rocprim17ROCPRIM_400000_NS6detail17trampoline_kernelINS0_14default_configENS1_27scan_by_key_config_selectorIixEEZZNS1_16scan_by_key_implILNS1_25lookback_scan_determinismE0ELb1ES3_N6thrust23THRUST_200600_302600_NS6detail15normal_iteratorINS9_10device_ptrIiEEEENSB_INSC_IxEEEESG_xNS9_4plusIvEENS9_8equal_toIvEExEE10hipError_tPvRmT2_T3_T4_T5_mT6_T7_P12ihipStream_tbENKUlT_T0_E_clISt17integral_constantIbLb1EES10_IbLb0EEEEDaSW_SX_EUlSW_E_NS1_11comp_targetILNS1_3genE10ELNS1_11target_archE1200ELNS1_3gpuE4ELNS1_3repE0EEENS1_30default_config_static_selectorELNS0_4arch9wavefront6targetE1EEEvT1_
	.globl	_ZN7rocprim17ROCPRIM_400000_NS6detail17trampoline_kernelINS0_14default_configENS1_27scan_by_key_config_selectorIixEEZZNS1_16scan_by_key_implILNS1_25lookback_scan_determinismE0ELb1ES3_N6thrust23THRUST_200600_302600_NS6detail15normal_iteratorINS9_10device_ptrIiEEEENSB_INSC_IxEEEESG_xNS9_4plusIvEENS9_8equal_toIvEExEE10hipError_tPvRmT2_T3_T4_T5_mT6_T7_P12ihipStream_tbENKUlT_T0_E_clISt17integral_constantIbLb1EES10_IbLb0EEEEDaSW_SX_EUlSW_E_NS1_11comp_targetILNS1_3genE10ELNS1_11target_archE1200ELNS1_3gpuE4ELNS1_3repE0EEENS1_30default_config_static_selectorELNS0_4arch9wavefront6targetE1EEEvT1_
	.p2align	8
	.type	_ZN7rocprim17ROCPRIM_400000_NS6detail17trampoline_kernelINS0_14default_configENS1_27scan_by_key_config_selectorIixEEZZNS1_16scan_by_key_implILNS1_25lookback_scan_determinismE0ELb1ES3_N6thrust23THRUST_200600_302600_NS6detail15normal_iteratorINS9_10device_ptrIiEEEENSB_INSC_IxEEEESG_xNS9_4plusIvEENS9_8equal_toIvEExEE10hipError_tPvRmT2_T3_T4_T5_mT6_T7_P12ihipStream_tbENKUlT_T0_E_clISt17integral_constantIbLb1EES10_IbLb0EEEEDaSW_SX_EUlSW_E_NS1_11comp_targetILNS1_3genE10ELNS1_11target_archE1200ELNS1_3gpuE4ELNS1_3repE0EEENS1_30default_config_static_selectorELNS0_4arch9wavefront6targetE1EEEvT1_,@function
_ZN7rocprim17ROCPRIM_400000_NS6detail17trampoline_kernelINS0_14default_configENS1_27scan_by_key_config_selectorIixEEZZNS1_16scan_by_key_implILNS1_25lookback_scan_determinismE0ELb1ES3_N6thrust23THRUST_200600_302600_NS6detail15normal_iteratorINS9_10device_ptrIiEEEENSB_INSC_IxEEEESG_xNS9_4plusIvEENS9_8equal_toIvEExEE10hipError_tPvRmT2_T3_T4_T5_mT6_T7_P12ihipStream_tbENKUlT_T0_E_clISt17integral_constantIbLb1EES10_IbLb0EEEEDaSW_SX_EUlSW_E_NS1_11comp_targetILNS1_3genE10ELNS1_11target_archE1200ELNS1_3gpuE4ELNS1_3repE0EEENS1_30default_config_static_selectorELNS0_4arch9wavefront6targetE1EEEvT1_: ; @_ZN7rocprim17ROCPRIM_400000_NS6detail17trampoline_kernelINS0_14default_configENS1_27scan_by_key_config_selectorIixEEZZNS1_16scan_by_key_implILNS1_25lookback_scan_determinismE0ELb1ES3_N6thrust23THRUST_200600_302600_NS6detail15normal_iteratorINS9_10device_ptrIiEEEENSB_INSC_IxEEEESG_xNS9_4plusIvEENS9_8equal_toIvEExEE10hipError_tPvRmT2_T3_T4_T5_mT6_T7_P12ihipStream_tbENKUlT_T0_E_clISt17integral_constantIbLb1EES10_IbLb0EEEEDaSW_SX_EUlSW_E_NS1_11comp_targetILNS1_3genE10ELNS1_11target_archE1200ELNS1_3gpuE4ELNS1_3repE0EEENS1_30default_config_static_selectorELNS0_4arch9wavefront6targetE1EEEvT1_
; %bb.0:
	.section	.rodata,"a",@progbits
	.p2align	6, 0x0
	.amdhsa_kernel _ZN7rocprim17ROCPRIM_400000_NS6detail17trampoline_kernelINS0_14default_configENS1_27scan_by_key_config_selectorIixEEZZNS1_16scan_by_key_implILNS1_25lookback_scan_determinismE0ELb1ES3_N6thrust23THRUST_200600_302600_NS6detail15normal_iteratorINS9_10device_ptrIiEEEENSB_INSC_IxEEEESG_xNS9_4plusIvEENS9_8equal_toIvEExEE10hipError_tPvRmT2_T3_T4_T5_mT6_T7_P12ihipStream_tbENKUlT_T0_E_clISt17integral_constantIbLb1EES10_IbLb0EEEEDaSW_SX_EUlSW_E_NS1_11comp_targetILNS1_3genE10ELNS1_11target_archE1200ELNS1_3gpuE4ELNS1_3repE0EEENS1_30default_config_static_selectorELNS0_4arch9wavefront6targetE1EEEvT1_
		.amdhsa_group_segment_fixed_size 0
		.amdhsa_private_segment_fixed_size 0
		.amdhsa_kernarg_size 136
		.amdhsa_user_sgpr_count 6
		.amdhsa_user_sgpr_private_segment_buffer 1
		.amdhsa_user_sgpr_dispatch_ptr 0
		.amdhsa_user_sgpr_queue_ptr 0
		.amdhsa_user_sgpr_kernarg_segment_ptr 1
		.amdhsa_user_sgpr_dispatch_id 0
		.amdhsa_user_sgpr_flat_scratch_init 0
		.amdhsa_user_sgpr_kernarg_preload_length 0
		.amdhsa_user_sgpr_kernarg_preload_offset 0
		.amdhsa_user_sgpr_private_segment_size 0
		.amdhsa_uses_dynamic_stack 0
		.amdhsa_system_sgpr_private_segment_wavefront_offset 0
		.amdhsa_system_sgpr_workgroup_id_x 1
		.amdhsa_system_sgpr_workgroup_id_y 0
		.amdhsa_system_sgpr_workgroup_id_z 0
		.amdhsa_system_sgpr_workgroup_info 0
		.amdhsa_system_vgpr_workitem_id 0
		.amdhsa_next_free_vgpr 1
		.amdhsa_next_free_sgpr 0
		.amdhsa_accum_offset 4
		.amdhsa_reserve_vcc 0
		.amdhsa_reserve_flat_scratch 0
		.amdhsa_float_round_mode_32 0
		.amdhsa_float_round_mode_16_64 0
		.amdhsa_float_denorm_mode_32 3
		.amdhsa_float_denorm_mode_16_64 3
		.amdhsa_dx10_clamp 1
		.amdhsa_ieee_mode 1
		.amdhsa_fp16_overflow 0
		.amdhsa_tg_split 0
		.amdhsa_exception_fp_ieee_invalid_op 0
		.amdhsa_exception_fp_denorm_src 0
		.amdhsa_exception_fp_ieee_div_zero 0
		.amdhsa_exception_fp_ieee_overflow 0
		.amdhsa_exception_fp_ieee_underflow 0
		.amdhsa_exception_fp_ieee_inexact 0
		.amdhsa_exception_int_div_zero 0
	.end_amdhsa_kernel
	.section	.text._ZN7rocprim17ROCPRIM_400000_NS6detail17trampoline_kernelINS0_14default_configENS1_27scan_by_key_config_selectorIixEEZZNS1_16scan_by_key_implILNS1_25lookback_scan_determinismE0ELb1ES3_N6thrust23THRUST_200600_302600_NS6detail15normal_iteratorINS9_10device_ptrIiEEEENSB_INSC_IxEEEESG_xNS9_4plusIvEENS9_8equal_toIvEExEE10hipError_tPvRmT2_T3_T4_T5_mT6_T7_P12ihipStream_tbENKUlT_T0_E_clISt17integral_constantIbLb1EES10_IbLb0EEEEDaSW_SX_EUlSW_E_NS1_11comp_targetILNS1_3genE10ELNS1_11target_archE1200ELNS1_3gpuE4ELNS1_3repE0EEENS1_30default_config_static_selectorELNS0_4arch9wavefront6targetE1EEEvT1_,"axG",@progbits,_ZN7rocprim17ROCPRIM_400000_NS6detail17trampoline_kernelINS0_14default_configENS1_27scan_by_key_config_selectorIixEEZZNS1_16scan_by_key_implILNS1_25lookback_scan_determinismE0ELb1ES3_N6thrust23THRUST_200600_302600_NS6detail15normal_iteratorINS9_10device_ptrIiEEEENSB_INSC_IxEEEESG_xNS9_4plusIvEENS9_8equal_toIvEExEE10hipError_tPvRmT2_T3_T4_T5_mT6_T7_P12ihipStream_tbENKUlT_T0_E_clISt17integral_constantIbLb1EES10_IbLb0EEEEDaSW_SX_EUlSW_E_NS1_11comp_targetILNS1_3genE10ELNS1_11target_archE1200ELNS1_3gpuE4ELNS1_3repE0EEENS1_30default_config_static_selectorELNS0_4arch9wavefront6targetE1EEEvT1_,comdat
.Lfunc_end1595:
	.size	_ZN7rocprim17ROCPRIM_400000_NS6detail17trampoline_kernelINS0_14default_configENS1_27scan_by_key_config_selectorIixEEZZNS1_16scan_by_key_implILNS1_25lookback_scan_determinismE0ELb1ES3_N6thrust23THRUST_200600_302600_NS6detail15normal_iteratorINS9_10device_ptrIiEEEENSB_INSC_IxEEEESG_xNS9_4plusIvEENS9_8equal_toIvEExEE10hipError_tPvRmT2_T3_T4_T5_mT6_T7_P12ihipStream_tbENKUlT_T0_E_clISt17integral_constantIbLb1EES10_IbLb0EEEEDaSW_SX_EUlSW_E_NS1_11comp_targetILNS1_3genE10ELNS1_11target_archE1200ELNS1_3gpuE4ELNS1_3repE0EEENS1_30default_config_static_selectorELNS0_4arch9wavefront6targetE1EEEvT1_, .Lfunc_end1595-_ZN7rocprim17ROCPRIM_400000_NS6detail17trampoline_kernelINS0_14default_configENS1_27scan_by_key_config_selectorIixEEZZNS1_16scan_by_key_implILNS1_25lookback_scan_determinismE0ELb1ES3_N6thrust23THRUST_200600_302600_NS6detail15normal_iteratorINS9_10device_ptrIiEEEENSB_INSC_IxEEEESG_xNS9_4plusIvEENS9_8equal_toIvEExEE10hipError_tPvRmT2_T3_T4_T5_mT6_T7_P12ihipStream_tbENKUlT_T0_E_clISt17integral_constantIbLb1EES10_IbLb0EEEEDaSW_SX_EUlSW_E_NS1_11comp_targetILNS1_3genE10ELNS1_11target_archE1200ELNS1_3gpuE4ELNS1_3repE0EEENS1_30default_config_static_selectorELNS0_4arch9wavefront6targetE1EEEvT1_
                                        ; -- End function
	.section	.AMDGPU.csdata,"",@progbits
; Kernel info:
; codeLenInByte = 0
; NumSgprs: 4
; NumVgprs: 0
; NumAgprs: 0
; TotalNumVgprs: 0
; ScratchSize: 0
; MemoryBound: 0
; FloatMode: 240
; IeeeMode: 1
; LDSByteSize: 0 bytes/workgroup (compile time only)
; SGPRBlocks: 0
; VGPRBlocks: 0
; NumSGPRsForWavesPerEU: 4
; NumVGPRsForWavesPerEU: 1
; AccumOffset: 4
; Occupancy: 8
; WaveLimiterHint : 0
; COMPUTE_PGM_RSRC2:SCRATCH_EN: 0
; COMPUTE_PGM_RSRC2:USER_SGPR: 6
; COMPUTE_PGM_RSRC2:TRAP_HANDLER: 0
; COMPUTE_PGM_RSRC2:TGID_X_EN: 1
; COMPUTE_PGM_RSRC2:TGID_Y_EN: 0
; COMPUTE_PGM_RSRC2:TGID_Z_EN: 0
; COMPUTE_PGM_RSRC2:TIDIG_COMP_CNT: 0
; COMPUTE_PGM_RSRC3_GFX90A:ACCUM_OFFSET: 0
; COMPUTE_PGM_RSRC3_GFX90A:TG_SPLIT: 0
	.section	.text._ZN7rocprim17ROCPRIM_400000_NS6detail17trampoline_kernelINS0_14default_configENS1_27scan_by_key_config_selectorIixEEZZNS1_16scan_by_key_implILNS1_25lookback_scan_determinismE0ELb1ES3_N6thrust23THRUST_200600_302600_NS6detail15normal_iteratorINS9_10device_ptrIiEEEENSB_INSC_IxEEEESG_xNS9_4plusIvEENS9_8equal_toIvEExEE10hipError_tPvRmT2_T3_T4_T5_mT6_T7_P12ihipStream_tbENKUlT_T0_E_clISt17integral_constantIbLb1EES10_IbLb0EEEEDaSW_SX_EUlSW_E_NS1_11comp_targetILNS1_3genE9ELNS1_11target_archE1100ELNS1_3gpuE3ELNS1_3repE0EEENS1_30default_config_static_selectorELNS0_4arch9wavefront6targetE1EEEvT1_,"axG",@progbits,_ZN7rocprim17ROCPRIM_400000_NS6detail17trampoline_kernelINS0_14default_configENS1_27scan_by_key_config_selectorIixEEZZNS1_16scan_by_key_implILNS1_25lookback_scan_determinismE0ELb1ES3_N6thrust23THRUST_200600_302600_NS6detail15normal_iteratorINS9_10device_ptrIiEEEENSB_INSC_IxEEEESG_xNS9_4plusIvEENS9_8equal_toIvEExEE10hipError_tPvRmT2_T3_T4_T5_mT6_T7_P12ihipStream_tbENKUlT_T0_E_clISt17integral_constantIbLb1EES10_IbLb0EEEEDaSW_SX_EUlSW_E_NS1_11comp_targetILNS1_3genE9ELNS1_11target_archE1100ELNS1_3gpuE3ELNS1_3repE0EEENS1_30default_config_static_selectorELNS0_4arch9wavefront6targetE1EEEvT1_,comdat
	.protected	_ZN7rocprim17ROCPRIM_400000_NS6detail17trampoline_kernelINS0_14default_configENS1_27scan_by_key_config_selectorIixEEZZNS1_16scan_by_key_implILNS1_25lookback_scan_determinismE0ELb1ES3_N6thrust23THRUST_200600_302600_NS6detail15normal_iteratorINS9_10device_ptrIiEEEENSB_INSC_IxEEEESG_xNS9_4plusIvEENS9_8equal_toIvEExEE10hipError_tPvRmT2_T3_T4_T5_mT6_T7_P12ihipStream_tbENKUlT_T0_E_clISt17integral_constantIbLb1EES10_IbLb0EEEEDaSW_SX_EUlSW_E_NS1_11comp_targetILNS1_3genE9ELNS1_11target_archE1100ELNS1_3gpuE3ELNS1_3repE0EEENS1_30default_config_static_selectorELNS0_4arch9wavefront6targetE1EEEvT1_ ; -- Begin function _ZN7rocprim17ROCPRIM_400000_NS6detail17trampoline_kernelINS0_14default_configENS1_27scan_by_key_config_selectorIixEEZZNS1_16scan_by_key_implILNS1_25lookback_scan_determinismE0ELb1ES3_N6thrust23THRUST_200600_302600_NS6detail15normal_iteratorINS9_10device_ptrIiEEEENSB_INSC_IxEEEESG_xNS9_4plusIvEENS9_8equal_toIvEExEE10hipError_tPvRmT2_T3_T4_T5_mT6_T7_P12ihipStream_tbENKUlT_T0_E_clISt17integral_constantIbLb1EES10_IbLb0EEEEDaSW_SX_EUlSW_E_NS1_11comp_targetILNS1_3genE9ELNS1_11target_archE1100ELNS1_3gpuE3ELNS1_3repE0EEENS1_30default_config_static_selectorELNS0_4arch9wavefront6targetE1EEEvT1_
	.globl	_ZN7rocprim17ROCPRIM_400000_NS6detail17trampoline_kernelINS0_14default_configENS1_27scan_by_key_config_selectorIixEEZZNS1_16scan_by_key_implILNS1_25lookback_scan_determinismE0ELb1ES3_N6thrust23THRUST_200600_302600_NS6detail15normal_iteratorINS9_10device_ptrIiEEEENSB_INSC_IxEEEESG_xNS9_4plusIvEENS9_8equal_toIvEExEE10hipError_tPvRmT2_T3_T4_T5_mT6_T7_P12ihipStream_tbENKUlT_T0_E_clISt17integral_constantIbLb1EES10_IbLb0EEEEDaSW_SX_EUlSW_E_NS1_11comp_targetILNS1_3genE9ELNS1_11target_archE1100ELNS1_3gpuE3ELNS1_3repE0EEENS1_30default_config_static_selectorELNS0_4arch9wavefront6targetE1EEEvT1_
	.p2align	8
	.type	_ZN7rocprim17ROCPRIM_400000_NS6detail17trampoline_kernelINS0_14default_configENS1_27scan_by_key_config_selectorIixEEZZNS1_16scan_by_key_implILNS1_25lookback_scan_determinismE0ELb1ES3_N6thrust23THRUST_200600_302600_NS6detail15normal_iteratorINS9_10device_ptrIiEEEENSB_INSC_IxEEEESG_xNS9_4plusIvEENS9_8equal_toIvEExEE10hipError_tPvRmT2_T3_T4_T5_mT6_T7_P12ihipStream_tbENKUlT_T0_E_clISt17integral_constantIbLb1EES10_IbLb0EEEEDaSW_SX_EUlSW_E_NS1_11comp_targetILNS1_3genE9ELNS1_11target_archE1100ELNS1_3gpuE3ELNS1_3repE0EEENS1_30default_config_static_selectorELNS0_4arch9wavefront6targetE1EEEvT1_,@function
_ZN7rocprim17ROCPRIM_400000_NS6detail17trampoline_kernelINS0_14default_configENS1_27scan_by_key_config_selectorIixEEZZNS1_16scan_by_key_implILNS1_25lookback_scan_determinismE0ELb1ES3_N6thrust23THRUST_200600_302600_NS6detail15normal_iteratorINS9_10device_ptrIiEEEENSB_INSC_IxEEEESG_xNS9_4plusIvEENS9_8equal_toIvEExEE10hipError_tPvRmT2_T3_T4_T5_mT6_T7_P12ihipStream_tbENKUlT_T0_E_clISt17integral_constantIbLb1EES10_IbLb0EEEEDaSW_SX_EUlSW_E_NS1_11comp_targetILNS1_3genE9ELNS1_11target_archE1100ELNS1_3gpuE3ELNS1_3repE0EEENS1_30default_config_static_selectorELNS0_4arch9wavefront6targetE1EEEvT1_: ; @_ZN7rocprim17ROCPRIM_400000_NS6detail17trampoline_kernelINS0_14default_configENS1_27scan_by_key_config_selectorIixEEZZNS1_16scan_by_key_implILNS1_25lookback_scan_determinismE0ELb1ES3_N6thrust23THRUST_200600_302600_NS6detail15normal_iteratorINS9_10device_ptrIiEEEENSB_INSC_IxEEEESG_xNS9_4plusIvEENS9_8equal_toIvEExEE10hipError_tPvRmT2_T3_T4_T5_mT6_T7_P12ihipStream_tbENKUlT_T0_E_clISt17integral_constantIbLb1EES10_IbLb0EEEEDaSW_SX_EUlSW_E_NS1_11comp_targetILNS1_3genE9ELNS1_11target_archE1100ELNS1_3gpuE3ELNS1_3repE0EEENS1_30default_config_static_selectorELNS0_4arch9wavefront6targetE1EEEvT1_
; %bb.0:
	.section	.rodata,"a",@progbits
	.p2align	6, 0x0
	.amdhsa_kernel _ZN7rocprim17ROCPRIM_400000_NS6detail17trampoline_kernelINS0_14default_configENS1_27scan_by_key_config_selectorIixEEZZNS1_16scan_by_key_implILNS1_25lookback_scan_determinismE0ELb1ES3_N6thrust23THRUST_200600_302600_NS6detail15normal_iteratorINS9_10device_ptrIiEEEENSB_INSC_IxEEEESG_xNS9_4plusIvEENS9_8equal_toIvEExEE10hipError_tPvRmT2_T3_T4_T5_mT6_T7_P12ihipStream_tbENKUlT_T0_E_clISt17integral_constantIbLb1EES10_IbLb0EEEEDaSW_SX_EUlSW_E_NS1_11comp_targetILNS1_3genE9ELNS1_11target_archE1100ELNS1_3gpuE3ELNS1_3repE0EEENS1_30default_config_static_selectorELNS0_4arch9wavefront6targetE1EEEvT1_
		.amdhsa_group_segment_fixed_size 0
		.amdhsa_private_segment_fixed_size 0
		.amdhsa_kernarg_size 136
		.amdhsa_user_sgpr_count 6
		.amdhsa_user_sgpr_private_segment_buffer 1
		.amdhsa_user_sgpr_dispatch_ptr 0
		.amdhsa_user_sgpr_queue_ptr 0
		.amdhsa_user_sgpr_kernarg_segment_ptr 1
		.amdhsa_user_sgpr_dispatch_id 0
		.amdhsa_user_sgpr_flat_scratch_init 0
		.amdhsa_user_sgpr_kernarg_preload_length 0
		.amdhsa_user_sgpr_kernarg_preload_offset 0
		.amdhsa_user_sgpr_private_segment_size 0
		.amdhsa_uses_dynamic_stack 0
		.amdhsa_system_sgpr_private_segment_wavefront_offset 0
		.amdhsa_system_sgpr_workgroup_id_x 1
		.amdhsa_system_sgpr_workgroup_id_y 0
		.amdhsa_system_sgpr_workgroup_id_z 0
		.amdhsa_system_sgpr_workgroup_info 0
		.amdhsa_system_vgpr_workitem_id 0
		.amdhsa_next_free_vgpr 1
		.amdhsa_next_free_sgpr 0
		.amdhsa_accum_offset 4
		.amdhsa_reserve_vcc 0
		.amdhsa_reserve_flat_scratch 0
		.amdhsa_float_round_mode_32 0
		.amdhsa_float_round_mode_16_64 0
		.amdhsa_float_denorm_mode_32 3
		.amdhsa_float_denorm_mode_16_64 3
		.amdhsa_dx10_clamp 1
		.amdhsa_ieee_mode 1
		.amdhsa_fp16_overflow 0
		.amdhsa_tg_split 0
		.amdhsa_exception_fp_ieee_invalid_op 0
		.amdhsa_exception_fp_denorm_src 0
		.amdhsa_exception_fp_ieee_div_zero 0
		.amdhsa_exception_fp_ieee_overflow 0
		.amdhsa_exception_fp_ieee_underflow 0
		.amdhsa_exception_fp_ieee_inexact 0
		.amdhsa_exception_int_div_zero 0
	.end_amdhsa_kernel
	.section	.text._ZN7rocprim17ROCPRIM_400000_NS6detail17trampoline_kernelINS0_14default_configENS1_27scan_by_key_config_selectorIixEEZZNS1_16scan_by_key_implILNS1_25lookback_scan_determinismE0ELb1ES3_N6thrust23THRUST_200600_302600_NS6detail15normal_iteratorINS9_10device_ptrIiEEEENSB_INSC_IxEEEESG_xNS9_4plusIvEENS9_8equal_toIvEExEE10hipError_tPvRmT2_T3_T4_T5_mT6_T7_P12ihipStream_tbENKUlT_T0_E_clISt17integral_constantIbLb1EES10_IbLb0EEEEDaSW_SX_EUlSW_E_NS1_11comp_targetILNS1_3genE9ELNS1_11target_archE1100ELNS1_3gpuE3ELNS1_3repE0EEENS1_30default_config_static_selectorELNS0_4arch9wavefront6targetE1EEEvT1_,"axG",@progbits,_ZN7rocprim17ROCPRIM_400000_NS6detail17trampoline_kernelINS0_14default_configENS1_27scan_by_key_config_selectorIixEEZZNS1_16scan_by_key_implILNS1_25lookback_scan_determinismE0ELb1ES3_N6thrust23THRUST_200600_302600_NS6detail15normal_iteratorINS9_10device_ptrIiEEEENSB_INSC_IxEEEESG_xNS9_4plusIvEENS9_8equal_toIvEExEE10hipError_tPvRmT2_T3_T4_T5_mT6_T7_P12ihipStream_tbENKUlT_T0_E_clISt17integral_constantIbLb1EES10_IbLb0EEEEDaSW_SX_EUlSW_E_NS1_11comp_targetILNS1_3genE9ELNS1_11target_archE1100ELNS1_3gpuE3ELNS1_3repE0EEENS1_30default_config_static_selectorELNS0_4arch9wavefront6targetE1EEEvT1_,comdat
.Lfunc_end1596:
	.size	_ZN7rocprim17ROCPRIM_400000_NS6detail17trampoline_kernelINS0_14default_configENS1_27scan_by_key_config_selectorIixEEZZNS1_16scan_by_key_implILNS1_25lookback_scan_determinismE0ELb1ES3_N6thrust23THRUST_200600_302600_NS6detail15normal_iteratorINS9_10device_ptrIiEEEENSB_INSC_IxEEEESG_xNS9_4plusIvEENS9_8equal_toIvEExEE10hipError_tPvRmT2_T3_T4_T5_mT6_T7_P12ihipStream_tbENKUlT_T0_E_clISt17integral_constantIbLb1EES10_IbLb0EEEEDaSW_SX_EUlSW_E_NS1_11comp_targetILNS1_3genE9ELNS1_11target_archE1100ELNS1_3gpuE3ELNS1_3repE0EEENS1_30default_config_static_selectorELNS0_4arch9wavefront6targetE1EEEvT1_, .Lfunc_end1596-_ZN7rocprim17ROCPRIM_400000_NS6detail17trampoline_kernelINS0_14default_configENS1_27scan_by_key_config_selectorIixEEZZNS1_16scan_by_key_implILNS1_25lookback_scan_determinismE0ELb1ES3_N6thrust23THRUST_200600_302600_NS6detail15normal_iteratorINS9_10device_ptrIiEEEENSB_INSC_IxEEEESG_xNS9_4plusIvEENS9_8equal_toIvEExEE10hipError_tPvRmT2_T3_T4_T5_mT6_T7_P12ihipStream_tbENKUlT_T0_E_clISt17integral_constantIbLb1EES10_IbLb0EEEEDaSW_SX_EUlSW_E_NS1_11comp_targetILNS1_3genE9ELNS1_11target_archE1100ELNS1_3gpuE3ELNS1_3repE0EEENS1_30default_config_static_selectorELNS0_4arch9wavefront6targetE1EEEvT1_
                                        ; -- End function
	.section	.AMDGPU.csdata,"",@progbits
; Kernel info:
; codeLenInByte = 0
; NumSgprs: 4
; NumVgprs: 0
; NumAgprs: 0
; TotalNumVgprs: 0
; ScratchSize: 0
; MemoryBound: 0
; FloatMode: 240
; IeeeMode: 1
; LDSByteSize: 0 bytes/workgroup (compile time only)
; SGPRBlocks: 0
; VGPRBlocks: 0
; NumSGPRsForWavesPerEU: 4
; NumVGPRsForWavesPerEU: 1
; AccumOffset: 4
; Occupancy: 8
; WaveLimiterHint : 0
; COMPUTE_PGM_RSRC2:SCRATCH_EN: 0
; COMPUTE_PGM_RSRC2:USER_SGPR: 6
; COMPUTE_PGM_RSRC2:TRAP_HANDLER: 0
; COMPUTE_PGM_RSRC2:TGID_X_EN: 1
; COMPUTE_PGM_RSRC2:TGID_Y_EN: 0
; COMPUTE_PGM_RSRC2:TGID_Z_EN: 0
; COMPUTE_PGM_RSRC2:TIDIG_COMP_CNT: 0
; COMPUTE_PGM_RSRC3_GFX90A:ACCUM_OFFSET: 0
; COMPUTE_PGM_RSRC3_GFX90A:TG_SPLIT: 0
	.section	.text._ZN7rocprim17ROCPRIM_400000_NS6detail17trampoline_kernelINS0_14default_configENS1_27scan_by_key_config_selectorIixEEZZNS1_16scan_by_key_implILNS1_25lookback_scan_determinismE0ELb1ES3_N6thrust23THRUST_200600_302600_NS6detail15normal_iteratorINS9_10device_ptrIiEEEENSB_INSC_IxEEEESG_xNS9_4plusIvEENS9_8equal_toIvEExEE10hipError_tPvRmT2_T3_T4_T5_mT6_T7_P12ihipStream_tbENKUlT_T0_E_clISt17integral_constantIbLb1EES10_IbLb0EEEEDaSW_SX_EUlSW_E_NS1_11comp_targetILNS1_3genE8ELNS1_11target_archE1030ELNS1_3gpuE2ELNS1_3repE0EEENS1_30default_config_static_selectorELNS0_4arch9wavefront6targetE1EEEvT1_,"axG",@progbits,_ZN7rocprim17ROCPRIM_400000_NS6detail17trampoline_kernelINS0_14default_configENS1_27scan_by_key_config_selectorIixEEZZNS1_16scan_by_key_implILNS1_25lookback_scan_determinismE0ELb1ES3_N6thrust23THRUST_200600_302600_NS6detail15normal_iteratorINS9_10device_ptrIiEEEENSB_INSC_IxEEEESG_xNS9_4plusIvEENS9_8equal_toIvEExEE10hipError_tPvRmT2_T3_T4_T5_mT6_T7_P12ihipStream_tbENKUlT_T0_E_clISt17integral_constantIbLb1EES10_IbLb0EEEEDaSW_SX_EUlSW_E_NS1_11comp_targetILNS1_3genE8ELNS1_11target_archE1030ELNS1_3gpuE2ELNS1_3repE0EEENS1_30default_config_static_selectorELNS0_4arch9wavefront6targetE1EEEvT1_,comdat
	.protected	_ZN7rocprim17ROCPRIM_400000_NS6detail17trampoline_kernelINS0_14default_configENS1_27scan_by_key_config_selectorIixEEZZNS1_16scan_by_key_implILNS1_25lookback_scan_determinismE0ELb1ES3_N6thrust23THRUST_200600_302600_NS6detail15normal_iteratorINS9_10device_ptrIiEEEENSB_INSC_IxEEEESG_xNS9_4plusIvEENS9_8equal_toIvEExEE10hipError_tPvRmT2_T3_T4_T5_mT6_T7_P12ihipStream_tbENKUlT_T0_E_clISt17integral_constantIbLb1EES10_IbLb0EEEEDaSW_SX_EUlSW_E_NS1_11comp_targetILNS1_3genE8ELNS1_11target_archE1030ELNS1_3gpuE2ELNS1_3repE0EEENS1_30default_config_static_selectorELNS0_4arch9wavefront6targetE1EEEvT1_ ; -- Begin function _ZN7rocprim17ROCPRIM_400000_NS6detail17trampoline_kernelINS0_14default_configENS1_27scan_by_key_config_selectorIixEEZZNS1_16scan_by_key_implILNS1_25lookback_scan_determinismE0ELb1ES3_N6thrust23THRUST_200600_302600_NS6detail15normal_iteratorINS9_10device_ptrIiEEEENSB_INSC_IxEEEESG_xNS9_4plusIvEENS9_8equal_toIvEExEE10hipError_tPvRmT2_T3_T4_T5_mT6_T7_P12ihipStream_tbENKUlT_T0_E_clISt17integral_constantIbLb1EES10_IbLb0EEEEDaSW_SX_EUlSW_E_NS1_11comp_targetILNS1_3genE8ELNS1_11target_archE1030ELNS1_3gpuE2ELNS1_3repE0EEENS1_30default_config_static_selectorELNS0_4arch9wavefront6targetE1EEEvT1_
	.globl	_ZN7rocprim17ROCPRIM_400000_NS6detail17trampoline_kernelINS0_14default_configENS1_27scan_by_key_config_selectorIixEEZZNS1_16scan_by_key_implILNS1_25lookback_scan_determinismE0ELb1ES3_N6thrust23THRUST_200600_302600_NS6detail15normal_iteratorINS9_10device_ptrIiEEEENSB_INSC_IxEEEESG_xNS9_4plusIvEENS9_8equal_toIvEExEE10hipError_tPvRmT2_T3_T4_T5_mT6_T7_P12ihipStream_tbENKUlT_T0_E_clISt17integral_constantIbLb1EES10_IbLb0EEEEDaSW_SX_EUlSW_E_NS1_11comp_targetILNS1_3genE8ELNS1_11target_archE1030ELNS1_3gpuE2ELNS1_3repE0EEENS1_30default_config_static_selectorELNS0_4arch9wavefront6targetE1EEEvT1_
	.p2align	8
	.type	_ZN7rocprim17ROCPRIM_400000_NS6detail17trampoline_kernelINS0_14default_configENS1_27scan_by_key_config_selectorIixEEZZNS1_16scan_by_key_implILNS1_25lookback_scan_determinismE0ELb1ES3_N6thrust23THRUST_200600_302600_NS6detail15normal_iteratorINS9_10device_ptrIiEEEENSB_INSC_IxEEEESG_xNS9_4plusIvEENS9_8equal_toIvEExEE10hipError_tPvRmT2_T3_T4_T5_mT6_T7_P12ihipStream_tbENKUlT_T0_E_clISt17integral_constantIbLb1EES10_IbLb0EEEEDaSW_SX_EUlSW_E_NS1_11comp_targetILNS1_3genE8ELNS1_11target_archE1030ELNS1_3gpuE2ELNS1_3repE0EEENS1_30default_config_static_selectorELNS0_4arch9wavefront6targetE1EEEvT1_,@function
_ZN7rocprim17ROCPRIM_400000_NS6detail17trampoline_kernelINS0_14default_configENS1_27scan_by_key_config_selectorIixEEZZNS1_16scan_by_key_implILNS1_25lookback_scan_determinismE0ELb1ES3_N6thrust23THRUST_200600_302600_NS6detail15normal_iteratorINS9_10device_ptrIiEEEENSB_INSC_IxEEEESG_xNS9_4plusIvEENS9_8equal_toIvEExEE10hipError_tPvRmT2_T3_T4_T5_mT6_T7_P12ihipStream_tbENKUlT_T0_E_clISt17integral_constantIbLb1EES10_IbLb0EEEEDaSW_SX_EUlSW_E_NS1_11comp_targetILNS1_3genE8ELNS1_11target_archE1030ELNS1_3gpuE2ELNS1_3repE0EEENS1_30default_config_static_selectorELNS0_4arch9wavefront6targetE1EEEvT1_: ; @_ZN7rocprim17ROCPRIM_400000_NS6detail17trampoline_kernelINS0_14default_configENS1_27scan_by_key_config_selectorIixEEZZNS1_16scan_by_key_implILNS1_25lookback_scan_determinismE0ELb1ES3_N6thrust23THRUST_200600_302600_NS6detail15normal_iteratorINS9_10device_ptrIiEEEENSB_INSC_IxEEEESG_xNS9_4plusIvEENS9_8equal_toIvEExEE10hipError_tPvRmT2_T3_T4_T5_mT6_T7_P12ihipStream_tbENKUlT_T0_E_clISt17integral_constantIbLb1EES10_IbLb0EEEEDaSW_SX_EUlSW_E_NS1_11comp_targetILNS1_3genE8ELNS1_11target_archE1030ELNS1_3gpuE2ELNS1_3repE0EEENS1_30default_config_static_selectorELNS0_4arch9wavefront6targetE1EEEvT1_
; %bb.0:
	.section	.rodata,"a",@progbits
	.p2align	6, 0x0
	.amdhsa_kernel _ZN7rocprim17ROCPRIM_400000_NS6detail17trampoline_kernelINS0_14default_configENS1_27scan_by_key_config_selectorIixEEZZNS1_16scan_by_key_implILNS1_25lookback_scan_determinismE0ELb1ES3_N6thrust23THRUST_200600_302600_NS6detail15normal_iteratorINS9_10device_ptrIiEEEENSB_INSC_IxEEEESG_xNS9_4plusIvEENS9_8equal_toIvEExEE10hipError_tPvRmT2_T3_T4_T5_mT6_T7_P12ihipStream_tbENKUlT_T0_E_clISt17integral_constantIbLb1EES10_IbLb0EEEEDaSW_SX_EUlSW_E_NS1_11comp_targetILNS1_3genE8ELNS1_11target_archE1030ELNS1_3gpuE2ELNS1_3repE0EEENS1_30default_config_static_selectorELNS0_4arch9wavefront6targetE1EEEvT1_
		.amdhsa_group_segment_fixed_size 0
		.amdhsa_private_segment_fixed_size 0
		.amdhsa_kernarg_size 136
		.amdhsa_user_sgpr_count 6
		.amdhsa_user_sgpr_private_segment_buffer 1
		.amdhsa_user_sgpr_dispatch_ptr 0
		.amdhsa_user_sgpr_queue_ptr 0
		.amdhsa_user_sgpr_kernarg_segment_ptr 1
		.amdhsa_user_sgpr_dispatch_id 0
		.amdhsa_user_sgpr_flat_scratch_init 0
		.amdhsa_user_sgpr_kernarg_preload_length 0
		.amdhsa_user_sgpr_kernarg_preload_offset 0
		.amdhsa_user_sgpr_private_segment_size 0
		.amdhsa_uses_dynamic_stack 0
		.amdhsa_system_sgpr_private_segment_wavefront_offset 0
		.amdhsa_system_sgpr_workgroup_id_x 1
		.amdhsa_system_sgpr_workgroup_id_y 0
		.amdhsa_system_sgpr_workgroup_id_z 0
		.amdhsa_system_sgpr_workgroup_info 0
		.amdhsa_system_vgpr_workitem_id 0
		.amdhsa_next_free_vgpr 1
		.amdhsa_next_free_sgpr 0
		.amdhsa_accum_offset 4
		.amdhsa_reserve_vcc 0
		.amdhsa_reserve_flat_scratch 0
		.amdhsa_float_round_mode_32 0
		.amdhsa_float_round_mode_16_64 0
		.amdhsa_float_denorm_mode_32 3
		.amdhsa_float_denorm_mode_16_64 3
		.amdhsa_dx10_clamp 1
		.amdhsa_ieee_mode 1
		.amdhsa_fp16_overflow 0
		.amdhsa_tg_split 0
		.amdhsa_exception_fp_ieee_invalid_op 0
		.amdhsa_exception_fp_denorm_src 0
		.amdhsa_exception_fp_ieee_div_zero 0
		.amdhsa_exception_fp_ieee_overflow 0
		.amdhsa_exception_fp_ieee_underflow 0
		.amdhsa_exception_fp_ieee_inexact 0
		.amdhsa_exception_int_div_zero 0
	.end_amdhsa_kernel
	.section	.text._ZN7rocprim17ROCPRIM_400000_NS6detail17trampoline_kernelINS0_14default_configENS1_27scan_by_key_config_selectorIixEEZZNS1_16scan_by_key_implILNS1_25lookback_scan_determinismE0ELb1ES3_N6thrust23THRUST_200600_302600_NS6detail15normal_iteratorINS9_10device_ptrIiEEEENSB_INSC_IxEEEESG_xNS9_4plusIvEENS9_8equal_toIvEExEE10hipError_tPvRmT2_T3_T4_T5_mT6_T7_P12ihipStream_tbENKUlT_T0_E_clISt17integral_constantIbLb1EES10_IbLb0EEEEDaSW_SX_EUlSW_E_NS1_11comp_targetILNS1_3genE8ELNS1_11target_archE1030ELNS1_3gpuE2ELNS1_3repE0EEENS1_30default_config_static_selectorELNS0_4arch9wavefront6targetE1EEEvT1_,"axG",@progbits,_ZN7rocprim17ROCPRIM_400000_NS6detail17trampoline_kernelINS0_14default_configENS1_27scan_by_key_config_selectorIixEEZZNS1_16scan_by_key_implILNS1_25lookback_scan_determinismE0ELb1ES3_N6thrust23THRUST_200600_302600_NS6detail15normal_iteratorINS9_10device_ptrIiEEEENSB_INSC_IxEEEESG_xNS9_4plusIvEENS9_8equal_toIvEExEE10hipError_tPvRmT2_T3_T4_T5_mT6_T7_P12ihipStream_tbENKUlT_T0_E_clISt17integral_constantIbLb1EES10_IbLb0EEEEDaSW_SX_EUlSW_E_NS1_11comp_targetILNS1_3genE8ELNS1_11target_archE1030ELNS1_3gpuE2ELNS1_3repE0EEENS1_30default_config_static_selectorELNS0_4arch9wavefront6targetE1EEEvT1_,comdat
.Lfunc_end1597:
	.size	_ZN7rocprim17ROCPRIM_400000_NS6detail17trampoline_kernelINS0_14default_configENS1_27scan_by_key_config_selectorIixEEZZNS1_16scan_by_key_implILNS1_25lookback_scan_determinismE0ELb1ES3_N6thrust23THRUST_200600_302600_NS6detail15normal_iteratorINS9_10device_ptrIiEEEENSB_INSC_IxEEEESG_xNS9_4plusIvEENS9_8equal_toIvEExEE10hipError_tPvRmT2_T3_T4_T5_mT6_T7_P12ihipStream_tbENKUlT_T0_E_clISt17integral_constantIbLb1EES10_IbLb0EEEEDaSW_SX_EUlSW_E_NS1_11comp_targetILNS1_3genE8ELNS1_11target_archE1030ELNS1_3gpuE2ELNS1_3repE0EEENS1_30default_config_static_selectorELNS0_4arch9wavefront6targetE1EEEvT1_, .Lfunc_end1597-_ZN7rocprim17ROCPRIM_400000_NS6detail17trampoline_kernelINS0_14default_configENS1_27scan_by_key_config_selectorIixEEZZNS1_16scan_by_key_implILNS1_25lookback_scan_determinismE0ELb1ES3_N6thrust23THRUST_200600_302600_NS6detail15normal_iteratorINS9_10device_ptrIiEEEENSB_INSC_IxEEEESG_xNS9_4plusIvEENS9_8equal_toIvEExEE10hipError_tPvRmT2_T3_T4_T5_mT6_T7_P12ihipStream_tbENKUlT_T0_E_clISt17integral_constantIbLb1EES10_IbLb0EEEEDaSW_SX_EUlSW_E_NS1_11comp_targetILNS1_3genE8ELNS1_11target_archE1030ELNS1_3gpuE2ELNS1_3repE0EEENS1_30default_config_static_selectorELNS0_4arch9wavefront6targetE1EEEvT1_
                                        ; -- End function
	.section	.AMDGPU.csdata,"",@progbits
; Kernel info:
; codeLenInByte = 0
; NumSgprs: 4
; NumVgprs: 0
; NumAgprs: 0
; TotalNumVgprs: 0
; ScratchSize: 0
; MemoryBound: 0
; FloatMode: 240
; IeeeMode: 1
; LDSByteSize: 0 bytes/workgroup (compile time only)
; SGPRBlocks: 0
; VGPRBlocks: 0
; NumSGPRsForWavesPerEU: 4
; NumVGPRsForWavesPerEU: 1
; AccumOffset: 4
; Occupancy: 8
; WaveLimiterHint : 0
; COMPUTE_PGM_RSRC2:SCRATCH_EN: 0
; COMPUTE_PGM_RSRC2:USER_SGPR: 6
; COMPUTE_PGM_RSRC2:TRAP_HANDLER: 0
; COMPUTE_PGM_RSRC2:TGID_X_EN: 1
; COMPUTE_PGM_RSRC2:TGID_Y_EN: 0
; COMPUTE_PGM_RSRC2:TGID_Z_EN: 0
; COMPUTE_PGM_RSRC2:TIDIG_COMP_CNT: 0
; COMPUTE_PGM_RSRC3_GFX90A:ACCUM_OFFSET: 0
; COMPUTE_PGM_RSRC3_GFX90A:TG_SPLIT: 0
	.section	.text._ZN7rocprim17ROCPRIM_400000_NS6detail17trampoline_kernelINS0_14default_configENS1_27scan_by_key_config_selectorIixEEZZNS1_16scan_by_key_implILNS1_25lookback_scan_determinismE0ELb1ES3_N6thrust23THRUST_200600_302600_NS6detail15normal_iteratorINS9_10device_ptrIiEEEENSB_INSC_IxEEEESG_xNS9_4plusIvEENS9_8equal_toIvEExEE10hipError_tPvRmT2_T3_T4_T5_mT6_T7_P12ihipStream_tbENKUlT_T0_E_clISt17integral_constantIbLb0EES10_IbLb1EEEEDaSW_SX_EUlSW_E_NS1_11comp_targetILNS1_3genE0ELNS1_11target_archE4294967295ELNS1_3gpuE0ELNS1_3repE0EEENS1_30default_config_static_selectorELNS0_4arch9wavefront6targetE1EEEvT1_,"axG",@progbits,_ZN7rocprim17ROCPRIM_400000_NS6detail17trampoline_kernelINS0_14default_configENS1_27scan_by_key_config_selectorIixEEZZNS1_16scan_by_key_implILNS1_25lookback_scan_determinismE0ELb1ES3_N6thrust23THRUST_200600_302600_NS6detail15normal_iteratorINS9_10device_ptrIiEEEENSB_INSC_IxEEEESG_xNS9_4plusIvEENS9_8equal_toIvEExEE10hipError_tPvRmT2_T3_T4_T5_mT6_T7_P12ihipStream_tbENKUlT_T0_E_clISt17integral_constantIbLb0EES10_IbLb1EEEEDaSW_SX_EUlSW_E_NS1_11comp_targetILNS1_3genE0ELNS1_11target_archE4294967295ELNS1_3gpuE0ELNS1_3repE0EEENS1_30default_config_static_selectorELNS0_4arch9wavefront6targetE1EEEvT1_,comdat
	.protected	_ZN7rocprim17ROCPRIM_400000_NS6detail17trampoline_kernelINS0_14default_configENS1_27scan_by_key_config_selectorIixEEZZNS1_16scan_by_key_implILNS1_25lookback_scan_determinismE0ELb1ES3_N6thrust23THRUST_200600_302600_NS6detail15normal_iteratorINS9_10device_ptrIiEEEENSB_INSC_IxEEEESG_xNS9_4plusIvEENS9_8equal_toIvEExEE10hipError_tPvRmT2_T3_T4_T5_mT6_T7_P12ihipStream_tbENKUlT_T0_E_clISt17integral_constantIbLb0EES10_IbLb1EEEEDaSW_SX_EUlSW_E_NS1_11comp_targetILNS1_3genE0ELNS1_11target_archE4294967295ELNS1_3gpuE0ELNS1_3repE0EEENS1_30default_config_static_selectorELNS0_4arch9wavefront6targetE1EEEvT1_ ; -- Begin function _ZN7rocprim17ROCPRIM_400000_NS6detail17trampoline_kernelINS0_14default_configENS1_27scan_by_key_config_selectorIixEEZZNS1_16scan_by_key_implILNS1_25lookback_scan_determinismE0ELb1ES3_N6thrust23THRUST_200600_302600_NS6detail15normal_iteratorINS9_10device_ptrIiEEEENSB_INSC_IxEEEESG_xNS9_4plusIvEENS9_8equal_toIvEExEE10hipError_tPvRmT2_T3_T4_T5_mT6_T7_P12ihipStream_tbENKUlT_T0_E_clISt17integral_constantIbLb0EES10_IbLb1EEEEDaSW_SX_EUlSW_E_NS1_11comp_targetILNS1_3genE0ELNS1_11target_archE4294967295ELNS1_3gpuE0ELNS1_3repE0EEENS1_30default_config_static_selectorELNS0_4arch9wavefront6targetE1EEEvT1_
	.globl	_ZN7rocprim17ROCPRIM_400000_NS6detail17trampoline_kernelINS0_14default_configENS1_27scan_by_key_config_selectorIixEEZZNS1_16scan_by_key_implILNS1_25lookback_scan_determinismE0ELb1ES3_N6thrust23THRUST_200600_302600_NS6detail15normal_iteratorINS9_10device_ptrIiEEEENSB_INSC_IxEEEESG_xNS9_4plusIvEENS9_8equal_toIvEExEE10hipError_tPvRmT2_T3_T4_T5_mT6_T7_P12ihipStream_tbENKUlT_T0_E_clISt17integral_constantIbLb0EES10_IbLb1EEEEDaSW_SX_EUlSW_E_NS1_11comp_targetILNS1_3genE0ELNS1_11target_archE4294967295ELNS1_3gpuE0ELNS1_3repE0EEENS1_30default_config_static_selectorELNS0_4arch9wavefront6targetE1EEEvT1_
	.p2align	8
	.type	_ZN7rocprim17ROCPRIM_400000_NS6detail17trampoline_kernelINS0_14default_configENS1_27scan_by_key_config_selectorIixEEZZNS1_16scan_by_key_implILNS1_25lookback_scan_determinismE0ELb1ES3_N6thrust23THRUST_200600_302600_NS6detail15normal_iteratorINS9_10device_ptrIiEEEENSB_INSC_IxEEEESG_xNS9_4plusIvEENS9_8equal_toIvEExEE10hipError_tPvRmT2_T3_T4_T5_mT6_T7_P12ihipStream_tbENKUlT_T0_E_clISt17integral_constantIbLb0EES10_IbLb1EEEEDaSW_SX_EUlSW_E_NS1_11comp_targetILNS1_3genE0ELNS1_11target_archE4294967295ELNS1_3gpuE0ELNS1_3repE0EEENS1_30default_config_static_selectorELNS0_4arch9wavefront6targetE1EEEvT1_,@function
_ZN7rocprim17ROCPRIM_400000_NS6detail17trampoline_kernelINS0_14default_configENS1_27scan_by_key_config_selectorIixEEZZNS1_16scan_by_key_implILNS1_25lookback_scan_determinismE0ELb1ES3_N6thrust23THRUST_200600_302600_NS6detail15normal_iteratorINS9_10device_ptrIiEEEENSB_INSC_IxEEEESG_xNS9_4plusIvEENS9_8equal_toIvEExEE10hipError_tPvRmT2_T3_T4_T5_mT6_T7_P12ihipStream_tbENKUlT_T0_E_clISt17integral_constantIbLb0EES10_IbLb1EEEEDaSW_SX_EUlSW_E_NS1_11comp_targetILNS1_3genE0ELNS1_11target_archE4294967295ELNS1_3gpuE0ELNS1_3repE0EEENS1_30default_config_static_selectorELNS0_4arch9wavefront6targetE1EEEvT1_: ; @_ZN7rocprim17ROCPRIM_400000_NS6detail17trampoline_kernelINS0_14default_configENS1_27scan_by_key_config_selectorIixEEZZNS1_16scan_by_key_implILNS1_25lookback_scan_determinismE0ELb1ES3_N6thrust23THRUST_200600_302600_NS6detail15normal_iteratorINS9_10device_ptrIiEEEENSB_INSC_IxEEEESG_xNS9_4plusIvEENS9_8equal_toIvEExEE10hipError_tPvRmT2_T3_T4_T5_mT6_T7_P12ihipStream_tbENKUlT_T0_E_clISt17integral_constantIbLb0EES10_IbLb1EEEEDaSW_SX_EUlSW_E_NS1_11comp_targetILNS1_3genE0ELNS1_11target_archE4294967295ELNS1_3gpuE0ELNS1_3repE0EEENS1_30default_config_static_selectorELNS0_4arch9wavefront6targetE1EEEvT1_
; %bb.0:
	.section	.rodata,"a",@progbits
	.p2align	6, 0x0
	.amdhsa_kernel _ZN7rocprim17ROCPRIM_400000_NS6detail17trampoline_kernelINS0_14default_configENS1_27scan_by_key_config_selectorIixEEZZNS1_16scan_by_key_implILNS1_25lookback_scan_determinismE0ELb1ES3_N6thrust23THRUST_200600_302600_NS6detail15normal_iteratorINS9_10device_ptrIiEEEENSB_INSC_IxEEEESG_xNS9_4plusIvEENS9_8equal_toIvEExEE10hipError_tPvRmT2_T3_T4_T5_mT6_T7_P12ihipStream_tbENKUlT_T0_E_clISt17integral_constantIbLb0EES10_IbLb1EEEEDaSW_SX_EUlSW_E_NS1_11comp_targetILNS1_3genE0ELNS1_11target_archE4294967295ELNS1_3gpuE0ELNS1_3repE0EEENS1_30default_config_static_selectorELNS0_4arch9wavefront6targetE1EEEvT1_
		.amdhsa_group_segment_fixed_size 0
		.amdhsa_private_segment_fixed_size 0
		.amdhsa_kernarg_size 136
		.amdhsa_user_sgpr_count 6
		.amdhsa_user_sgpr_private_segment_buffer 1
		.amdhsa_user_sgpr_dispatch_ptr 0
		.amdhsa_user_sgpr_queue_ptr 0
		.amdhsa_user_sgpr_kernarg_segment_ptr 1
		.amdhsa_user_sgpr_dispatch_id 0
		.amdhsa_user_sgpr_flat_scratch_init 0
		.amdhsa_user_sgpr_kernarg_preload_length 0
		.amdhsa_user_sgpr_kernarg_preload_offset 0
		.amdhsa_user_sgpr_private_segment_size 0
		.amdhsa_uses_dynamic_stack 0
		.amdhsa_system_sgpr_private_segment_wavefront_offset 0
		.amdhsa_system_sgpr_workgroup_id_x 1
		.amdhsa_system_sgpr_workgroup_id_y 0
		.amdhsa_system_sgpr_workgroup_id_z 0
		.amdhsa_system_sgpr_workgroup_info 0
		.amdhsa_system_vgpr_workitem_id 0
		.amdhsa_next_free_vgpr 1
		.amdhsa_next_free_sgpr 0
		.amdhsa_accum_offset 4
		.amdhsa_reserve_vcc 0
		.amdhsa_reserve_flat_scratch 0
		.amdhsa_float_round_mode_32 0
		.amdhsa_float_round_mode_16_64 0
		.amdhsa_float_denorm_mode_32 3
		.amdhsa_float_denorm_mode_16_64 3
		.amdhsa_dx10_clamp 1
		.amdhsa_ieee_mode 1
		.amdhsa_fp16_overflow 0
		.amdhsa_tg_split 0
		.amdhsa_exception_fp_ieee_invalid_op 0
		.amdhsa_exception_fp_denorm_src 0
		.amdhsa_exception_fp_ieee_div_zero 0
		.amdhsa_exception_fp_ieee_overflow 0
		.amdhsa_exception_fp_ieee_underflow 0
		.amdhsa_exception_fp_ieee_inexact 0
		.amdhsa_exception_int_div_zero 0
	.end_amdhsa_kernel
	.section	.text._ZN7rocprim17ROCPRIM_400000_NS6detail17trampoline_kernelINS0_14default_configENS1_27scan_by_key_config_selectorIixEEZZNS1_16scan_by_key_implILNS1_25lookback_scan_determinismE0ELb1ES3_N6thrust23THRUST_200600_302600_NS6detail15normal_iteratorINS9_10device_ptrIiEEEENSB_INSC_IxEEEESG_xNS9_4plusIvEENS9_8equal_toIvEExEE10hipError_tPvRmT2_T3_T4_T5_mT6_T7_P12ihipStream_tbENKUlT_T0_E_clISt17integral_constantIbLb0EES10_IbLb1EEEEDaSW_SX_EUlSW_E_NS1_11comp_targetILNS1_3genE0ELNS1_11target_archE4294967295ELNS1_3gpuE0ELNS1_3repE0EEENS1_30default_config_static_selectorELNS0_4arch9wavefront6targetE1EEEvT1_,"axG",@progbits,_ZN7rocprim17ROCPRIM_400000_NS6detail17trampoline_kernelINS0_14default_configENS1_27scan_by_key_config_selectorIixEEZZNS1_16scan_by_key_implILNS1_25lookback_scan_determinismE0ELb1ES3_N6thrust23THRUST_200600_302600_NS6detail15normal_iteratorINS9_10device_ptrIiEEEENSB_INSC_IxEEEESG_xNS9_4plusIvEENS9_8equal_toIvEExEE10hipError_tPvRmT2_T3_T4_T5_mT6_T7_P12ihipStream_tbENKUlT_T0_E_clISt17integral_constantIbLb0EES10_IbLb1EEEEDaSW_SX_EUlSW_E_NS1_11comp_targetILNS1_3genE0ELNS1_11target_archE4294967295ELNS1_3gpuE0ELNS1_3repE0EEENS1_30default_config_static_selectorELNS0_4arch9wavefront6targetE1EEEvT1_,comdat
.Lfunc_end1598:
	.size	_ZN7rocprim17ROCPRIM_400000_NS6detail17trampoline_kernelINS0_14default_configENS1_27scan_by_key_config_selectorIixEEZZNS1_16scan_by_key_implILNS1_25lookback_scan_determinismE0ELb1ES3_N6thrust23THRUST_200600_302600_NS6detail15normal_iteratorINS9_10device_ptrIiEEEENSB_INSC_IxEEEESG_xNS9_4plusIvEENS9_8equal_toIvEExEE10hipError_tPvRmT2_T3_T4_T5_mT6_T7_P12ihipStream_tbENKUlT_T0_E_clISt17integral_constantIbLb0EES10_IbLb1EEEEDaSW_SX_EUlSW_E_NS1_11comp_targetILNS1_3genE0ELNS1_11target_archE4294967295ELNS1_3gpuE0ELNS1_3repE0EEENS1_30default_config_static_selectorELNS0_4arch9wavefront6targetE1EEEvT1_, .Lfunc_end1598-_ZN7rocprim17ROCPRIM_400000_NS6detail17trampoline_kernelINS0_14default_configENS1_27scan_by_key_config_selectorIixEEZZNS1_16scan_by_key_implILNS1_25lookback_scan_determinismE0ELb1ES3_N6thrust23THRUST_200600_302600_NS6detail15normal_iteratorINS9_10device_ptrIiEEEENSB_INSC_IxEEEESG_xNS9_4plusIvEENS9_8equal_toIvEExEE10hipError_tPvRmT2_T3_T4_T5_mT6_T7_P12ihipStream_tbENKUlT_T0_E_clISt17integral_constantIbLb0EES10_IbLb1EEEEDaSW_SX_EUlSW_E_NS1_11comp_targetILNS1_3genE0ELNS1_11target_archE4294967295ELNS1_3gpuE0ELNS1_3repE0EEENS1_30default_config_static_selectorELNS0_4arch9wavefront6targetE1EEEvT1_
                                        ; -- End function
	.section	.AMDGPU.csdata,"",@progbits
; Kernel info:
; codeLenInByte = 0
; NumSgprs: 4
; NumVgprs: 0
; NumAgprs: 0
; TotalNumVgprs: 0
; ScratchSize: 0
; MemoryBound: 0
; FloatMode: 240
; IeeeMode: 1
; LDSByteSize: 0 bytes/workgroup (compile time only)
; SGPRBlocks: 0
; VGPRBlocks: 0
; NumSGPRsForWavesPerEU: 4
; NumVGPRsForWavesPerEU: 1
; AccumOffset: 4
; Occupancy: 8
; WaveLimiterHint : 0
; COMPUTE_PGM_RSRC2:SCRATCH_EN: 0
; COMPUTE_PGM_RSRC2:USER_SGPR: 6
; COMPUTE_PGM_RSRC2:TRAP_HANDLER: 0
; COMPUTE_PGM_RSRC2:TGID_X_EN: 1
; COMPUTE_PGM_RSRC2:TGID_Y_EN: 0
; COMPUTE_PGM_RSRC2:TGID_Z_EN: 0
; COMPUTE_PGM_RSRC2:TIDIG_COMP_CNT: 0
; COMPUTE_PGM_RSRC3_GFX90A:ACCUM_OFFSET: 0
; COMPUTE_PGM_RSRC3_GFX90A:TG_SPLIT: 0
	.section	.text._ZN7rocprim17ROCPRIM_400000_NS6detail17trampoline_kernelINS0_14default_configENS1_27scan_by_key_config_selectorIixEEZZNS1_16scan_by_key_implILNS1_25lookback_scan_determinismE0ELb1ES3_N6thrust23THRUST_200600_302600_NS6detail15normal_iteratorINS9_10device_ptrIiEEEENSB_INSC_IxEEEESG_xNS9_4plusIvEENS9_8equal_toIvEExEE10hipError_tPvRmT2_T3_T4_T5_mT6_T7_P12ihipStream_tbENKUlT_T0_E_clISt17integral_constantIbLb0EES10_IbLb1EEEEDaSW_SX_EUlSW_E_NS1_11comp_targetILNS1_3genE10ELNS1_11target_archE1201ELNS1_3gpuE5ELNS1_3repE0EEENS1_30default_config_static_selectorELNS0_4arch9wavefront6targetE1EEEvT1_,"axG",@progbits,_ZN7rocprim17ROCPRIM_400000_NS6detail17trampoline_kernelINS0_14default_configENS1_27scan_by_key_config_selectorIixEEZZNS1_16scan_by_key_implILNS1_25lookback_scan_determinismE0ELb1ES3_N6thrust23THRUST_200600_302600_NS6detail15normal_iteratorINS9_10device_ptrIiEEEENSB_INSC_IxEEEESG_xNS9_4plusIvEENS9_8equal_toIvEExEE10hipError_tPvRmT2_T3_T4_T5_mT6_T7_P12ihipStream_tbENKUlT_T0_E_clISt17integral_constantIbLb0EES10_IbLb1EEEEDaSW_SX_EUlSW_E_NS1_11comp_targetILNS1_3genE10ELNS1_11target_archE1201ELNS1_3gpuE5ELNS1_3repE0EEENS1_30default_config_static_selectorELNS0_4arch9wavefront6targetE1EEEvT1_,comdat
	.protected	_ZN7rocprim17ROCPRIM_400000_NS6detail17trampoline_kernelINS0_14default_configENS1_27scan_by_key_config_selectorIixEEZZNS1_16scan_by_key_implILNS1_25lookback_scan_determinismE0ELb1ES3_N6thrust23THRUST_200600_302600_NS6detail15normal_iteratorINS9_10device_ptrIiEEEENSB_INSC_IxEEEESG_xNS9_4plusIvEENS9_8equal_toIvEExEE10hipError_tPvRmT2_T3_T4_T5_mT6_T7_P12ihipStream_tbENKUlT_T0_E_clISt17integral_constantIbLb0EES10_IbLb1EEEEDaSW_SX_EUlSW_E_NS1_11comp_targetILNS1_3genE10ELNS1_11target_archE1201ELNS1_3gpuE5ELNS1_3repE0EEENS1_30default_config_static_selectorELNS0_4arch9wavefront6targetE1EEEvT1_ ; -- Begin function _ZN7rocprim17ROCPRIM_400000_NS6detail17trampoline_kernelINS0_14default_configENS1_27scan_by_key_config_selectorIixEEZZNS1_16scan_by_key_implILNS1_25lookback_scan_determinismE0ELb1ES3_N6thrust23THRUST_200600_302600_NS6detail15normal_iteratorINS9_10device_ptrIiEEEENSB_INSC_IxEEEESG_xNS9_4plusIvEENS9_8equal_toIvEExEE10hipError_tPvRmT2_T3_T4_T5_mT6_T7_P12ihipStream_tbENKUlT_T0_E_clISt17integral_constantIbLb0EES10_IbLb1EEEEDaSW_SX_EUlSW_E_NS1_11comp_targetILNS1_3genE10ELNS1_11target_archE1201ELNS1_3gpuE5ELNS1_3repE0EEENS1_30default_config_static_selectorELNS0_4arch9wavefront6targetE1EEEvT1_
	.globl	_ZN7rocprim17ROCPRIM_400000_NS6detail17trampoline_kernelINS0_14default_configENS1_27scan_by_key_config_selectorIixEEZZNS1_16scan_by_key_implILNS1_25lookback_scan_determinismE0ELb1ES3_N6thrust23THRUST_200600_302600_NS6detail15normal_iteratorINS9_10device_ptrIiEEEENSB_INSC_IxEEEESG_xNS9_4plusIvEENS9_8equal_toIvEExEE10hipError_tPvRmT2_T3_T4_T5_mT6_T7_P12ihipStream_tbENKUlT_T0_E_clISt17integral_constantIbLb0EES10_IbLb1EEEEDaSW_SX_EUlSW_E_NS1_11comp_targetILNS1_3genE10ELNS1_11target_archE1201ELNS1_3gpuE5ELNS1_3repE0EEENS1_30default_config_static_selectorELNS0_4arch9wavefront6targetE1EEEvT1_
	.p2align	8
	.type	_ZN7rocprim17ROCPRIM_400000_NS6detail17trampoline_kernelINS0_14default_configENS1_27scan_by_key_config_selectorIixEEZZNS1_16scan_by_key_implILNS1_25lookback_scan_determinismE0ELb1ES3_N6thrust23THRUST_200600_302600_NS6detail15normal_iteratorINS9_10device_ptrIiEEEENSB_INSC_IxEEEESG_xNS9_4plusIvEENS9_8equal_toIvEExEE10hipError_tPvRmT2_T3_T4_T5_mT6_T7_P12ihipStream_tbENKUlT_T0_E_clISt17integral_constantIbLb0EES10_IbLb1EEEEDaSW_SX_EUlSW_E_NS1_11comp_targetILNS1_3genE10ELNS1_11target_archE1201ELNS1_3gpuE5ELNS1_3repE0EEENS1_30default_config_static_selectorELNS0_4arch9wavefront6targetE1EEEvT1_,@function
_ZN7rocprim17ROCPRIM_400000_NS6detail17trampoline_kernelINS0_14default_configENS1_27scan_by_key_config_selectorIixEEZZNS1_16scan_by_key_implILNS1_25lookback_scan_determinismE0ELb1ES3_N6thrust23THRUST_200600_302600_NS6detail15normal_iteratorINS9_10device_ptrIiEEEENSB_INSC_IxEEEESG_xNS9_4plusIvEENS9_8equal_toIvEExEE10hipError_tPvRmT2_T3_T4_T5_mT6_T7_P12ihipStream_tbENKUlT_T0_E_clISt17integral_constantIbLb0EES10_IbLb1EEEEDaSW_SX_EUlSW_E_NS1_11comp_targetILNS1_3genE10ELNS1_11target_archE1201ELNS1_3gpuE5ELNS1_3repE0EEENS1_30default_config_static_selectorELNS0_4arch9wavefront6targetE1EEEvT1_: ; @_ZN7rocprim17ROCPRIM_400000_NS6detail17trampoline_kernelINS0_14default_configENS1_27scan_by_key_config_selectorIixEEZZNS1_16scan_by_key_implILNS1_25lookback_scan_determinismE0ELb1ES3_N6thrust23THRUST_200600_302600_NS6detail15normal_iteratorINS9_10device_ptrIiEEEENSB_INSC_IxEEEESG_xNS9_4plusIvEENS9_8equal_toIvEExEE10hipError_tPvRmT2_T3_T4_T5_mT6_T7_P12ihipStream_tbENKUlT_T0_E_clISt17integral_constantIbLb0EES10_IbLb1EEEEDaSW_SX_EUlSW_E_NS1_11comp_targetILNS1_3genE10ELNS1_11target_archE1201ELNS1_3gpuE5ELNS1_3repE0EEENS1_30default_config_static_selectorELNS0_4arch9wavefront6targetE1EEEvT1_
; %bb.0:
	.section	.rodata,"a",@progbits
	.p2align	6, 0x0
	.amdhsa_kernel _ZN7rocprim17ROCPRIM_400000_NS6detail17trampoline_kernelINS0_14default_configENS1_27scan_by_key_config_selectorIixEEZZNS1_16scan_by_key_implILNS1_25lookback_scan_determinismE0ELb1ES3_N6thrust23THRUST_200600_302600_NS6detail15normal_iteratorINS9_10device_ptrIiEEEENSB_INSC_IxEEEESG_xNS9_4plusIvEENS9_8equal_toIvEExEE10hipError_tPvRmT2_T3_T4_T5_mT6_T7_P12ihipStream_tbENKUlT_T0_E_clISt17integral_constantIbLb0EES10_IbLb1EEEEDaSW_SX_EUlSW_E_NS1_11comp_targetILNS1_3genE10ELNS1_11target_archE1201ELNS1_3gpuE5ELNS1_3repE0EEENS1_30default_config_static_selectorELNS0_4arch9wavefront6targetE1EEEvT1_
		.amdhsa_group_segment_fixed_size 0
		.amdhsa_private_segment_fixed_size 0
		.amdhsa_kernarg_size 136
		.amdhsa_user_sgpr_count 6
		.amdhsa_user_sgpr_private_segment_buffer 1
		.amdhsa_user_sgpr_dispatch_ptr 0
		.amdhsa_user_sgpr_queue_ptr 0
		.amdhsa_user_sgpr_kernarg_segment_ptr 1
		.amdhsa_user_sgpr_dispatch_id 0
		.amdhsa_user_sgpr_flat_scratch_init 0
		.amdhsa_user_sgpr_kernarg_preload_length 0
		.amdhsa_user_sgpr_kernarg_preload_offset 0
		.amdhsa_user_sgpr_private_segment_size 0
		.amdhsa_uses_dynamic_stack 0
		.amdhsa_system_sgpr_private_segment_wavefront_offset 0
		.amdhsa_system_sgpr_workgroup_id_x 1
		.amdhsa_system_sgpr_workgroup_id_y 0
		.amdhsa_system_sgpr_workgroup_id_z 0
		.amdhsa_system_sgpr_workgroup_info 0
		.amdhsa_system_vgpr_workitem_id 0
		.amdhsa_next_free_vgpr 1
		.amdhsa_next_free_sgpr 0
		.amdhsa_accum_offset 4
		.amdhsa_reserve_vcc 0
		.amdhsa_reserve_flat_scratch 0
		.amdhsa_float_round_mode_32 0
		.amdhsa_float_round_mode_16_64 0
		.amdhsa_float_denorm_mode_32 3
		.amdhsa_float_denorm_mode_16_64 3
		.amdhsa_dx10_clamp 1
		.amdhsa_ieee_mode 1
		.amdhsa_fp16_overflow 0
		.amdhsa_tg_split 0
		.amdhsa_exception_fp_ieee_invalid_op 0
		.amdhsa_exception_fp_denorm_src 0
		.amdhsa_exception_fp_ieee_div_zero 0
		.amdhsa_exception_fp_ieee_overflow 0
		.amdhsa_exception_fp_ieee_underflow 0
		.amdhsa_exception_fp_ieee_inexact 0
		.amdhsa_exception_int_div_zero 0
	.end_amdhsa_kernel
	.section	.text._ZN7rocprim17ROCPRIM_400000_NS6detail17trampoline_kernelINS0_14default_configENS1_27scan_by_key_config_selectorIixEEZZNS1_16scan_by_key_implILNS1_25lookback_scan_determinismE0ELb1ES3_N6thrust23THRUST_200600_302600_NS6detail15normal_iteratorINS9_10device_ptrIiEEEENSB_INSC_IxEEEESG_xNS9_4plusIvEENS9_8equal_toIvEExEE10hipError_tPvRmT2_T3_T4_T5_mT6_T7_P12ihipStream_tbENKUlT_T0_E_clISt17integral_constantIbLb0EES10_IbLb1EEEEDaSW_SX_EUlSW_E_NS1_11comp_targetILNS1_3genE10ELNS1_11target_archE1201ELNS1_3gpuE5ELNS1_3repE0EEENS1_30default_config_static_selectorELNS0_4arch9wavefront6targetE1EEEvT1_,"axG",@progbits,_ZN7rocprim17ROCPRIM_400000_NS6detail17trampoline_kernelINS0_14default_configENS1_27scan_by_key_config_selectorIixEEZZNS1_16scan_by_key_implILNS1_25lookback_scan_determinismE0ELb1ES3_N6thrust23THRUST_200600_302600_NS6detail15normal_iteratorINS9_10device_ptrIiEEEENSB_INSC_IxEEEESG_xNS9_4plusIvEENS9_8equal_toIvEExEE10hipError_tPvRmT2_T3_T4_T5_mT6_T7_P12ihipStream_tbENKUlT_T0_E_clISt17integral_constantIbLb0EES10_IbLb1EEEEDaSW_SX_EUlSW_E_NS1_11comp_targetILNS1_3genE10ELNS1_11target_archE1201ELNS1_3gpuE5ELNS1_3repE0EEENS1_30default_config_static_selectorELNS0_4arch9wavefront6targetE1EEEvT1_,comdat
.Lfunc_end1599:
	.size	_ZN7rocprim17ROCPRIM_400000_NS6detail17trampoline_kernelINS0_14default_configENS1_27scan_by_key_config_selectorIixEEZZNS1_16scan_by_key_implILNS1_25lookback_scan_determinismE0ELb1ES3_N6thrust23THRUST_200600_302600_NS6detail15normal_iteratorINS9_10device_ptrIiEEEENSB_INSC_IxEEEESG_xNS9_4plusIvEENS9_8equal_toIvEExEE10hipError_tPvRmT2_T3_T4_T5_mT6_T7_P12ihipStream_tbENKUlT_T0_E_clISt17integral_constantIbLb0EES10_IbLb1EEEEDaSW_SX_EUlSW_E_NS1_11comp_targetILNS1_3genE10ELNS1_11target_archE1201ELNS1_3gpuE5ELNS1_3repE0EEENS1_30default_config_static_selectorELNS0_4arch9wavefront6targetE1EEEvT1_, .Lfunc_end1599-_ZN7rocprim17ROCPRIM_400000_NS6detail17trampoline_kernelINS0_14default_configENS1_27scan_by_key_config_selectorIixEEZZNS1_16scan_by_key_implILNS1_25lookback_scan_determinismE0ELb1ES3_N6thrust23THRUST_200600_302600_NS6detail15normal_iteratorINS9_10device_ptrIiEEEENSB_INSC_IxEEEESG_xNS9_4plusIvEENS9_8equal_toIvEExEE10hipError_tPvRmT2_T3_T4_T5_mT6_T7_P12ihipStream_tbENKUlT_T0_E_clISt17integral_constantIbLb0EES10_IbLb1EEEEDaSW_SX_EUlSW_E_NS1_11comp_targetILNS1_3genE10ELNS1_11target_archE1201ELNS1_3gpuE5ELNS1_3repE0EEENS1_30default_config_static_selectorELNS0_4arch9wavefront6targetE1EEEvT1_
                                        ; -- End function
	.section	.AMDGPU.csdata,"",@progbits
; Kernel info:
; codeLenInByte = 0
; NumSgprs: 4
; NumVgprs: 0
; NumAgprs: 0
; TotalNumVgprs: 0
; ScratchSize: 0
; MemoryBound: 0
; FloatMode: 240
; IeeeMode: 1
; LDSByteSize: 0 bytes/workgroup (compile time only)
; SGPRBlocks: 0
; VGPRBlocks: 0
; NumSGPRsForWavesPerEU: 4
; NumVGPRsForWavesPerEU: 1
; AccumOffset: 4
; Occupancy: 8
; WaveLimiterHint : 0
; COMPUTE_PGM_RSRC2:SCRATCH_EN: 0
; COMPUTE_PGM_RSRC2:USER_SGPR: 6
; COMPUTE_PGM_RSRC2:TRAP_HANDLER: 0
; COMPUTE_PGM_RSRC2:TGID_X_EN: 1
; COMPUTE_PGM_RSRC2:TGID_Y_EN: 0
; COMPUTE_PGM_RSRC2:TGID_Z_EN: 0
; COMPUTE_PGM_RSRC2:TIDIG_COMP_CNT: 0
; COMPUTE_PGM_RSRC3_GFX90A:ACCUM_OFFSET: 0
; COMPUTE_PGM_RSRC3_GFX90A:TG_SPLIT: 0
	.section	.text._ZN7rocprim17ROCPRIM_400000_NS6detail17trampoline_kernelINS0_14default_configENS1_27scan_by_key_config_selectorIixEEZZNS1_16scan_by_key_implILNS1_25lookback_scan_determinismE0ELb1ES3_N6thrust23THRUST_200600_302600_NS6detail15normal_iteratorINS9_10device_ptrIiEEEENSB_INSC_IxEEEESG_xNS9_4plusIvEENS9_8equal_toIvEExEE10hipError_tPvRmT2_T3_T4_T5_mT6_T7_P12ihipStream_tbENKUlT_T0_E_clISt17integral_constantIbLb0EES10_IbLb1EEEEDaSW_SX_EUlSW_E_NS1_11comp_targetILNS1_3genE5ELNS1_11target_archE942ELNS1_3gpuE9ELNS1_3repE0EEENS1_30default_config_static_selectorELNS0_4arch9wavefront6targetE1EEEvT1_,"axG",@progbits,_ZN7rocprim17ROCPRIM_400000_NS6detail17trampoline_kernelINS0_14default_configENS1_27scan_by_key_config_selectorIixEEZZNS1_16scan_by_key_implILNS1_25lookback_scan_determinismE0ELb1ES3_N6thrust23THRUST_200600_302600_NS6detail15normal_iteratorINS9_10device_ptrIiEEEENSB_INSC_IxEEEESG_xNS9_4plusIvEENS9_8equal_toIvEExEE10hipError_tPvRmT2_T3_T4_T5_mT6_T7_P12ihipStream_tbENKUlT_T0_E_clISt17integral_constantIbLb0EES10_IbLb1EEEEDaSW_SX_EUlSW_E_NS1_11comp_targetILNS1_3genE5ELNS1_11target_archE942ELNS1_3gpuE9ELNS1_3repE0EEENS1_30default_config_static_selectorELNS0_4arch9wavefront6targetE1EEEvT1_,comdat
	.protected	_ZN7rocprim17ROCPRIM_400000_NS6detail17trampoline_kernelINS0_14default_configENS1_27scan_by_key_config_selectorIixEEZZNS1_16scan_by_key_implILNS1_25lookback_scan_determinismE0ELb1ES3_N6thrust23THRUST_200600_302600_NS6detail15normal_iteratorINS9_10device_ptrIiEEEENSB_INSC_IxEEEESG_xNS9_4plusIvEENS9_8equal_toIvEExEE10hipError_tPvRmT2_T3_T4_T5_mT6_T7_P12ihipStream_tbENKUlT_T0_E_clISt17integral_constantIbLb0EES10_IbLb1EEEEDaSW_SX_EUlSW_E_NS1_11comp_targetILNS1_3genE5ELNS1_11target_archE942ELNS1_3gpuE9ELNS1_3repE0EEENS1_30default_config_static_selectorELNS0_4arch9wavefront6targetE1EEEvT1_ ; -- Begin function _ZN7rocprim17ROCPRIM_400000_NS6detail17trampoline_kernelINS0_14default_configENS1_27scan_by_key_config_selectorIixEEZZNS1_16scan_by_key_implILNS1_25lookback_scan_determinismE0ELb1ES3_N6thrust23THRUST_200600_302600_NS6detail15normal_iteratorINS9_10device_ptrIiEEEENSB_INSC_IxEEEESG_xNS9_4plusIvEENS9_8equal_toIvEExEE10hipError_tPvRmT2_T3_T4_T5_mT6_T7_P12ihipStream_tbENKUlT_T0_E_clISt17integral_constantIbLb0EES10_IbLb1EEEEDaSW_SX_EUlSW_E_NS1_11comp_targetILNS1_3genE5ELNS1_11target_archE942ELNS1_3gpuE9ELNS1_3repE0EEENS1_30default_config_static_selectorELNS0_4arch9wavefront6targetE1EEEvT1_
	.globl	_ZN7rocprim17ROCPRIM_400000_NS6detail17trampoline_kernelINS0_14default_configENS1_27scan_by_key_config_selectorIixEEZZNS1_16scan_by_key_implILNS1_25lookback_scan_determinismE0ELb1ES3_N6thrust23THRUST_200600_302600_NS6detail15normal_iteratorINS9_10device_ptrIiEEEENSB_INSC_IxEEEESG_xNS9_4plusIvEENS9_8equal_toIvEExEE10hipError_tPvRmT2_T3_T4_T5_mT6_T7_P12ihipStream_tbENKUlT_T0_E_clISt17integral_constantIbLb0EES10_IbLb1EEEEDaSW_SX_EUlSW_E_NS1_11comp_targetILNS1_3genE5ELNS1_11target_archE942ELNS1_3gpuE9ELNS1_3repE0EEENS1_30default_config_static_selectorELNS0_4arch9wavefront6targetE1EEEvT1_
	.p2align	8
	.type	_ZN7rocprim17ROCPRIM_400000_NS6detail17trampoline_kernelINS0_14default_configENS1_27scan_by_key_config_selectorIixEEZZNS1_16scan_by_key_implILNS1_25lookback_scan_determinismE0ELb1ES3_N6thrust23THRUST_200600_302600_NS6detail15normal_iteratorINS9_10device_ptrIiEEEENSB_INSC_IxEEEESG_xNS9_4plusIvEENS9_8equal_toIvEExEE10hipError_tPvRmT2_T3_T4_T5_mT6_T7_P12ihipStream_tbENKUlT_T0_E_clISt17integral_constantIbLb0EES10_IbLb1EEEEDaSW_SX_EUlSW_E_NS1_11comp_targetILNS1_3genE5ELNS1_11target_archE942ELNS1_3gpuE9ELNS1_3repE0EEENS1_30default_config_static_selectorELNS0_4arch9wavefront6targetE1EEEvT1_,@function
_ZN7rocprim17ROCPRIM_400000_NS6detail17trampoline_kernelINS0_14default_configENS1_27scan_by_key_config_selectorIixEEZZNS1_16scan_by_key_implILNS1_25lookback_scan_determinismE0ELb1ES3_N6thrust23THRUST_200600_302600_NS6detail15normal_iteratorINS9_10device_ptrIiEEEENSB_INSC_IxEEEESG_xNS9_4plusIvEENS9_8equal_toIvEExEE10hipError_tPvRmT2_T3_T4_T5_mT6_T7_P12ihipStream_tbENKUlT_T0_E_clISt17integral_constantIbLb0EES10_IbLb1EEEEDaSW_SX_EUlSW_E_NS1_11comp_targetILNS1_3genE5ELNS1_11target_archE942ELNS1_3gpuE9ELNS1_3repE0EEENS1_30default_config_static_selectorELNS0_4arch9wavefront6targetE1EEEvT1_: ; @_ZN7rocprim17ROCPRIM_400000_NS6detail17trampoline_kernelINS0_14default_configENS1_27scan_by_key_config_selectorIixEEZZNS1_16scan_by_key_implILNS1_25lookback_scan_determinismE0ELb1ES3_N6thrust23THRUST_200600_302600_NS6detail15normal_iteratorINS9_10device_ptrIiEEEENSB_INSC_IxEEEESG_xNS9_4plusIvEENS9_8equal_toIvEExEE10hipError_tPvRmT2_T3_T4_T5_mT6_T7_P12ihipStream_tbENKUlT_T0_E_clISt17integral_constantIbLb0EES10_IbLb1EEEEDaSW_SX_EUlSW_E_NS1_11comp_targetILNS1_3genE5ELNS1_11target_archE942ELNS1_3gpuE9ELNS1_3repE0EEENS1_30default_config_static_selectorELNS0_4arch9wavefront6targetE1EEEvT1_
; %bb.0:
	.section	.rodata,"a",@progbits
	.p2align	6, 0x0
	.amdhsa_kernel _ZN7rocprim17ROCPRIM_400000_NS6detail17trampoline_kernelINS0_14default_configENS1_27scan_by_key_config_selectorIixEEZZNS1_16scan_by_key_implILNS1_25lookback_scan_determinismE0ELb1ES3_N6thrust23THRUST_200600_302600_NS6detail15normal_iteratorINS9_10device_ptrIiEEEENSB_INSC_IxEEEESG_xNS9_4plusIvEENS9_8equal_toIvEExEE10hipError_tPvRmT2_T3_T4_T5_mT6_T7_P12ihipStream_tbENKUlT_T0_E_clISt17integral_constantIbLb0EES10_IbLb1EEEEDaSW_SX_EUlSW_E_NS1_11comp_targetILNS1_3genE5ELNS1_11target_archE942ELNS1_3gpuE9ELNS1_3repE0EEENS1_30default_config_static_selectorELNS0_4arch9wavefront6targetE1EEEvT1_
		.amdhsa_group_segment_fixed_size 0
		.amdhsa_private_segment_fixed_size 0
		.amdhsa_kernarg_size 136
		.amdhsa_user_sgpr_count 6
		.amdhsa_user_sgpr_private_segment_buffer 1
		.amdhsa_user_sgpr_dispatch_ptr 0
		.amdhsa_user_sgpr_queue_ptr 0
		.amdhsa_user_sgpr_kernarg_segment_ptr 1
		.amdhsa_user_sgpr_dispatch_id 0
		.amdhsa_user_sgpr_flat_scratch_init 0
		.amdhsa_user_sgpr_kernarg_preload_length 0
		.amdhsa_user_sgpr_kernarg_preload_offset 0
		.amdhsa_user_sgpr_private_segment_size 0
		.amdhsa_uses_dynamic_stack 0
		.amdhsa_system_sgpr_private_segment_wavefront_offset 0
		.amdhsa_system_sgpr_workgroup_id_x 1
		.amdhsa_system_sgpr_workgroup_id_y 0
		.amdhsa_system_sgpr_workgroup_id_z 0
		.amdhsa_system_sgpr_workgroup_info 0
		.amdhsa_system_vgpr_workitem_id 0
		.amdhsa_next_free_vgpr 1
		.amdhsa_next_free_sgpr 0
		.amdhsa_accum_offset 4
		.amdhsa_reserve_vcc 0
		.amdhsa_reserve_flat_scratch 0
		.amdhsa_float_round_mode_32 0
		.amdhsa_float_round_mode_16_64 0
		.amdhsa_float_denorm_mode_32 3
		.amdhsa_float_denorm_mode_16_64 3
		.amdhsa_dx10_clamp 1
		.amdhsa_ieee_mode 1
		.amdhsa_fp16_overflow 0
		.amdhsa_tg_split 0
		.amdhsa_exception_fp_ieee_invalid_op 0
		.amdhsa_exception_fp_denorm_src 0
		.amdhsa_exception_fp_ieee_div_zero 0
		.amdhsa_exception_fp_ieee_overflow 0
		.amdhsa_exception_fp_ieee_underflow 0
		.amdhsa_exception_fp_ieee_inexact 0
		.amdhsa_exception_int_div_zero 0
	.end_amdhsa_kernel
	.section	.text._ZN7rocprim17ROCPRIM_400000_NS6detail17trampoline_kernelINS0_14default_configENS1_27scan_by_key_config_selectorIixEEZZNS1_16scan_by_key_implILNS1_25lookback_scan_determinismE0ELb1ES3_N6thrust23THRUST_200600_302600_NS6detail15normal_iteratorINS9_10device_ptrIiEEEENSB_INSC_IxEEEESG_xNS9_4plusIvEENS9_8equal_toIvEExEE10hipError_tPvRmT2_T3_T4_T5_mT6_T7_P12ihipStream_tbENKUlT_T0_E_clISt17integral_constantIbLb0EES10_IbLb1EEEEDaSW_SX_EUlSW_E_NS1_11comp_targetILNS1_3genE5ELNS1_11target_archE942ELNS1_3gpuE9ELNS1_3repE0EEENS1_30default_config_static_selectorELNS0_4arch9wavefront6targetE1EEEvT1_,"axG",@progbits,_ZN7rocprim17ROCPRIM_400000_NS6detail17trampoline_kernelINS0_14default_configENS1_27scan_by_key_config_selectorIixEEZZNS1_16scan_by_key_implILNS1_25lookback_scan_determinismE0ELb1ES3_N6thrust23THRUST_200600_302600_NS6detail15normal_iteratorINS9_10device_ptrIiEEEENSB_INSC_IxEEEESG_xNS9_4plusIvEENS9_8equal_toIvEExEE10hipError_tPvRmT2_T3_T4_T5_mT6_T7_P12ihipStream_tbENKUlT_T0_E_clISt17integral_constantIbLb0EES10_IbLb1EEEEDaSW_SX_EUlSW_E_NS1_11comp_targetILNS1_3genE5ELNS1_11target_archE942ELNS1_3gpuE9ELNS1_3repE0EEENS1_30default_config_static_selectorELNS0_4arch9wavefront6targetE1EEEvT1_,comdat
.Lfunc_end1600:
	.size	_ZN7rocprim17ROCPRIM_400000_NS6detail17trampoline_kernelINS0_14default_configENS1_27scan_by_key_config_selectorIixEEZZNS1_16scan_by_key_implILNS1_25lookback_scan_determinismE0ELb1ES3_N6thrust23THRUST_200600_302600_NS6detail15normal_iteratorINS9_10device_ptrIiEEEENSB_INSC_IxEEEESG_xNS9_4plusIvEENS9_8equal_toIvEExEE10hipError_tPvRmT2_T3_T4_T5_mT6_T7_P12ihipStream_tbENKUlT_T0_E_clISt17integral_constantIbLb0EES10_IbLb1EEEEDaSW_SX_EUlSW_E_NS1_11comp_targetILNS1_3genE5ELNS1_11target_archE942ELNS1_3gpuE9ELNS1_3repE0EEENS1_30default_config_static_selectorELNS0_4arch9wavefront6targetE1EEEvT1_, .Lfunc_end1600-_ZN7rocprim17ROCPRIM_400000_NS6detail17trampoline_kernelINS0_14default_configENS1_27scan_by_key_config_selectorIixEEZZNS1_16scan_by_key_implILNS1_25lookback_scan_determinismE0ELb1ES3_N6thrust23THRUST_200600_302600_NS6detail15normal_iteratorINS9_10device_ptrIiEEEENSB_INSC_IxEEEESG_xNS9_4plusIvEENS9_8equal_toIvEExEE10hipError_tPvRmT2_T3_T4_T5_mT6_T7_P12ihipStream_tbENKUlT_T0_E_clISt17integral_constantIbLb0EES10_IbLb1EEEEDaSW_SX_EUlSW_E_NS1_11comp_targetILNS1_3genE5ELNS1_11target_archE942ELNS1_3gpuE9ELNS1_3repE0EEENS1_30default_config_static_selectorELNS0_4arch9wavefront6targetE1EEEvT1_
                                        ; -- End function
	.section	.AMDGPU.csdata,"",@progbits
; Kernel info:
; codeLenInByte = 0
; NumSgprs: 4
; NumVgprs: 0
; NumAgprs: 0
; TotalNumVgprs: 0
; ScratchSize: 0
; MemoryBound: 0
; FloatMode: 240
; IeeeMode: 1
; LDSByteSize: 0 bytes/workgroup (compile time only)
; SGPRBlocks: 0
; VGPRBlocks: 0
; NumSGPRsForWavesPerEU: 4
; NumVGPRsForWavesPerEU: 1
; AccumOffset: 4
; Occupancy: 8
; WaveLimiterHint : 0
; COMPUTE_PGM_RSRC2:SCRATCH_EN: 0
; COMPUTE_PGM_RSRC2:USER_SGPR: 6
; COMPUTE_PGM_RSRC2:TRAP_HANDLER: 0
; COMPUTE_PGM_RSRC2:TGID_X_EN: 1
; COMPUTE_PGM_RSRC2:TGID_Y_EN: 0
; COMPUTE_PGM_RSRC2:TGID_Z_EN: 0
; COMPUTE_PGM_RSRC2:TIDIG_COMP_CNT: 0
; COMPUTE_PGM_RSRC3_GFX90A:ACCUM_OFFSET: 0
; COMPUTE_PGM_RSRC3_GFX90A:TG_SPLIT: 0
	.section	.text._ZN7rocprim17ROCPRIM_400000_NS6detail17trampoline_kernelINS0_14default_configENS1_27scan_by_key_config_selectorIixEEZZNS1_16scan_by_key_implILNS1_25lookback_scan_determinismE0ELb1ES3_N6thrust23THRUST_200600_302600_NS6detail15normal_iteratorINS9_10device_ptrIiEEEENSB_INSC_IxEEEESG_xNS9_4plusIvEENS9_8equal_toIvEExEE10hipError_tPvRmT2_T3_T4_T5_mT6_T7_P12ihipStream_tbENKUlT_T0_E_clISt17integral_constantIbLb0EES10_IbLb1EEEEDaSW_SX_EUlSW_E_NS1_11comp_targetILNS1_3genE4ELNS1_11target_archE910ELNS1_3gpuE8ELNS1_3repE0EEENS1_30default_config_static_selectorELNS0_4arch9wavefront6targetE1EEEvT1_,"axG",@progbits,_ZN7rocprim17ROCPRIM_400000_NS6detail17trampoline_kernelINS0_14default_configENS1_27scan_by_key_config_selectorIixEEZZNS1_16scan_by_key_implILNS1_25lookback_scan_determinismE0ELb1ES3_N6thrust23THRUST_200600_302600_NS6detail15normal_iteratorINS9_10device_ptrIiEEEENSB_INSC_IxEEEESG_xNS9_4plusIvEENS9_8equal_toIvEExEE10hipError_tPvRmT2_T3_T4_T5_mT6_T7_P12ihipStream_tbENKUlT_T0_E_clISt17integral_constantIbLb0EES10_IbLb1EEEEDaSW_SX_EUlSW_E_NS1_11comp_targetILNS1_3genE4ELNS1_11target_archE910ELNS1_3gpuE8ELNS1_3repE0EEENS1_30default_config_static_selectorELNS0_4arch9wavefront6targetE1EEEvT1_,comdat
	.protected	_ZN7rocprim17ROCPRIM_400000_NS6detail17trampoline_kernelINS0_14default_configENS1_27scan_by_key_config_selectorIixEEZZNS1_16scan_by_key_implILNS1_25lookback_scan_determinismE0ELb1ES3_N6thrust23THRUST_200600_302600_NS6detail15normal_iteratorINS9_10device_ptrIiEEEENSB_INSC_IxEEEESG_xNS9_4plusIvEENS9_8equal_toIvEExEE10hipError_tPvRmT2_T3_T4_T5_mT6_T7_P12ihipStream_tbENKUlT_T0_E_clISt17integral_constantIbLb0EES10_IbLb1EEEEDaSW_SX_EUlSW_E_NS1_11comp_targetILNS1_3genE4ELNS1_11target_archE910ELNS1_3gpuE8ELNS1_3repE0EEENS1_30default_config_static_selectorELNS0_4arch9wavefront6targetE1EEEvT1_ ; -- Begin function _ZN7rocprim17ROCPRIM_400000_NS6detail17trampoline_kernelINS0_14default_configENS1_27scan_by_key_config_selectorIixEEZZNS1_16scan_by_key_implILNS1_25lookback_scan_determinismE0ELb1ES3_N6thrust23THRUST_200600_302600_NS6detail15normal_iteratorINS9_10device_ptrIiEEEENSB_INSC_IxEEEESG_xNS9_4plusIvEENS9_8equal_toIvEExEE10hipError_tPvRmT2_T3_T4_T5_mT6_T7_P12ihipStream_tbENKUlT_T0_E_clISt17integral_constantIbLb0EES10_IbLb1EEEEDaSW_SX_EUlSW_E_NS1_11comp_targetILNS1_3genE4ELNS1_11target_archE910ELNS1_3gpuE8ELNS1_3repE0EEENS1_30default_config_static_selectorELNS0_4arch9wavefront6targetE1EEEvT1_
	.globl	_ZN7rocprim17ROCPRIM_400000_NS6detail17trampoline_kernelINS0_14default_configENS1_27scan_by_key_config_selectorIixEEZZNS1_16scan_by_key_implILNS1_25lookback_scan_determinismE0ELb1ES3_N6thrust23THRUST_200600_302600_NS6detail15normal_iteratorINS9_10device_ptrIiEEEENSB_INSC_IxEEEESG_xNS9_4plusIvEENS9_8equal_toIvEExEE10hipError_tPvRmT2_T3_T4_T5_mT6_T7_P12ihipStream_tbENKUlT_T0_E_clISt17integral_constantIbLb0EES10_IbLb1EEEEDaSW_SX_EUlSW_E_NS1_11comp_targetILNS1_3genE4ELNS1_11target_archE910ELNS1_3gpuE8ELNS1_3repE0EEENS1_30default_config_static_selectorELNS0_4arch9wavefront6targetE1EEEvT1_
	.p2align	8
	.type	_ZN7rocprim17ROCPRIM_400000_NS6detail17trampoline_kernelINS0_14default_configENS1_27scan_by_key_config_selectorIixEEZZNS1_16scan_by_key_implILNS1_25lookback_scan_determinismE0ELb1ES3_N6thrust23THRUST_200600_302600_NS6detail15normal_iteratorINS9_10device_ptrIiEEEENSB_INSC_IxEEEESG_xNS9_4plusIvEENS9_8equal_toIvEExEE10hipError_tPvRmT2_T3_T4_T5_mT6_T7_P12ihipStream_tbENKUlT_T0_E_clISt17integral_constantIbLb0EES10_IbLb1EEEEDaSW_SX_EUlSW_E_NS1_11comp_targetILNS1_3genE4ELNS1_11target_archE910ELNS1_3gpuE8ELNS1_3repE0EEENS1_30default_config_static_selectorELNS0_4arch9wavefront6targetE1EEEvT1_,@function
_ZN7rocprim17ROCPRIM_400000_NS6detail17trampoline_kernelINS0_14default_configENS1_27scan_by_key_config_selectorIixEEZZNS1_16scan_by_key_implILNS1_25lookback_scan_determinismE0ELb1ES3_N6thrust23THRUST_200600_302600_NS6detail15normal_iteratorINS9_10device_ptrIiEEEENSB_INSC_IxEEEESG_xNS9_4plusIvEENS9_8equal_toIvEExEE10hipError_tPvRmT2_T3_T4_T5_mT6_T7_P12ihipStream_tbENKUlT_T0_E_clISt17integral_constantIbLb0EES10_IbLb1EEEEDaSW_SX_EUlSW_E_NS1_11comp_targetILNS1_3genE4ELNS1_11target_archE910ELNS1_3gpuE8ELNS1_3repE0EEENS1_30default_config_static_selectorELNS0_4arch9wavefront6targetE1EEEvT1_: ; @_ZN7rocprim17ROCPRIM_400000_NS6detail17trampoline_kernelINS0_14default_configENS1_27scan_by_key_config_selectorIixEEZZNS1_16scan_by_key_implILNS1_25lookback_scan_determinismE0ELb1ES3_N6thrust23THRUST_200600_302600_NS6detail15normal_iteratorINS9_10device_ptrIiEEEENSB_INSC_IxEEEESG_xNS9_4plusIvEENS9_8equal_toIvEExEE10hipError_tPvRmT2_T3_T4_T5_mT6_T7_P12ihipStream_tbENKUlT_T0_E_clISt17integral_constantIbLb0EES10_IbLb1EEEEDaSW_SX_EUlSW_E_NS1_11comp_targetILNS1_3genE4ELNS1_11target_archE910ELNS1_3gpuE8ELNS1_3repE0EEENS1_30default_config_static_selectorELNS0_4arch9wavefront6targetE1EEEvT1_
; %bb.0:
	s_load_dwordx8 s[56:63], s[4:5], 0x0
	s_load_dwordx2 s[68:69], s[4:5], 0x20
	s_load_dwordx8 s[48:55], s[4:5], 0x30
	s_load_dwordx2 s[70:71], s[4:5], 0x50
	v_cmp_eq_u32_e64 s[0:1], 0, v0
	s_and_saveexec_b64 s[2:3], s[0:1]
	s_cbranch_execz .LBB1601_4
; %bb.1:
	s_mov_b64 s[8:9], exec
	v_mbcnt_lo_u32_b32 v1, s8, 0
	v_mbcnt_hi_u32_b32 v1, s9, v1
	v_cmp_eq_u32_e32 vcc, 0, v1
                                        ; implicit-def: $vgpr2
	s_and_saveexec_b64 s[6:7], vcc
	s_cbranch_execz .LBB1601_3
; %bb.2:
	s_load_dwordx2 s[10:11], s[4:5], 0x80
	s_bcnt1_i32_b64 s8, s[8:9]
	v_mov_b32_e32 v2, 0
	v_mov_b32_e32 v3, s8
	s_waitcnt lgkmcnt(0)
	global_atomic_add v2, v2, v3, s[10:11] glc
.LBB1601_3:
	s_or_b64 exec, exec, s[6:7]
	s_waitcnt vmcnt(0)
	v_readfirstlane_b32 s6, v2
	v_add_u32_e32 v1, s6, v1
	v_mov_b32_e32 v2, 0
	ds_write_b32 v2, v1
.LBB1601_4:
	s_or_b64 exec, exec, s[2:3]
	s_load_dword s2, s[4:5], 0x58
	s_load_dwordx4 s[64:67], s[4:5], 0x60
	v_mov_b32_e32 v3, 0
	s_waitcnt lgkmcnt(0)
	s_lshl_b64 s[4:5], s[58:59], 2
	s_waitcnt lgkmcnt(0)
	; wave barrier
	ds_read_b32 v1, v3
	s_add_u32 s3, s56, s4
	s_addc_u32 s4, s57, s5
	s_lshl_b64 s[56:57], s[58:59], 3
	s_add_u32 s5, s60, s56
	s_mul_i32 s7, s71, s2
	s_mul_hi_u32 s8, s70, s2
	s_addc_u32 s6, s61, s57
	s_add_i32 s7, s8, s7
	s_movk_i32 s8, 0x540
	s_waitcnt lgkmcnt(0)
	v_mul_lo_u32 v2, v1, s8
	v_lshlrev_b64 v[4:5], 2, v[2:3]
	v_mov_b32_e32 v7, s4
	v_add_co_u32_e32 v6, vcc, s3, v4
	v_addc_co_u32_e32 v7, vcc, v7, v5, vcc
	v_lshlrev_b64 v[42:43], 3, v[2:3]
	v_mov_b32_e32 v2, s6
	v_add_co_u32_e32 v86, vcc, s5, v42
	s_mul_i32 s2, s70, s2
	v_addc_co_u32_e32 v87, vcc, v2, v43, vcc
	v_mov_b32_e32 v3, s7
	v_add_co_u32_e32 v2, vcc, s2, v1
	s_add_u32 s6, s64, -1
	v_addc_co_u32_e32 v3, vcc, 0, v3, vcc
	s_addc_u32 s7, s65, -1
	v_cmp_le_u64_e64 s[2:3], s[6:7], v[2:3]
	v_readfirstlane_b32 s55, v1
	s_mov_b64 s[4:5], -1
	s_and_b64 vcc, exec, s[2:3]
	s_mul_i32 s33, s6, 0xfffffac0
	s_waitcnt lgkmcnt(0)
	; wave barrier
	s_waitcnt lgkmcnt(0)
	s_waitcnt lgkmcnt(0)
	; wave barrier
	s_cbranch_vccz .LBB1601_69
; %bb.5:
	flat_load_dword v2, v[6:7]
	s_add_i32 s64, s33, s54
	v_cmp_gt_u32_e32 vcc, s64, v0
	s_waitcnt vmcnt(0) lgkmcnt(0)
	v_mov_b32_e32 v3, v2
	s_and_saveexec_b64 s[6:7], vcc
	s_cbranch_execz .LBB1601_7
; %bb.6:
	v_lshlrev_b32_e32 v1, 2, v0
	v_add_co_u32_e64 v4, s[4:5], v6, v1
	v_addc_co_u32_e64 v5, s[4:5], 0, v7, s[4:5]
	flat_load_dword v3, v[4:5]
.LBB1601_7:
	s_or_b64 exec, exec, s[6:7]
	v_or_b32_e32 v1, 64, v0
	v_cmp_gt_u32_e64 s[4:5], s64, v1
	v_mov_b32_e32 v4, v2
	s_and_saveexec_b64 s[8:9], s[4:5]
	s_cbranch_execz .LBB1601_9
; %bb.8:
	v_lshlrev_b32_e32 v1, 2, v0
	v_add_co_u32_e64 v4, s[6:7], v6, v1
	v_addc_co_u32_e64 v5, s[6:7], 0, v7, s[6:7]
	flat_load_dword v4, v[4:5] offset:256
.LBB1601_9:
	s_or_b64 exec, exec, s[8:9]
	v_or_b32_e32 v1, 0x80, v0
	v_cmp_gt_u32_e64 s[6:7], s64, v1
	v_mov_b32_e32 v5, v2
	s_and_saveexec_b64 s[10:11], s[6:7]
	s_cbranch_execz .LBB1601_11
; %bb.10:
	v_lshlrev_b32_e32 v1, 2, v0
	v_add_co_u32_e64 v8, s[8:9], v6, v1
	v_addc_co_u32_e64 v9, s[8:9], 0, v7, s[8:9]
	flat_load_dword v5, v[8:9] offset:512
.LBB1601_11:
	;; [unrolled: 12-line block ×15, first 2 shown]
	s_or_b64 exec, exec, s[38:39]
	v_or_b32_e32 v60, 0x400, v0
	v_cmp_gt_u32_e64 s[36:37], s64, v60
	v_mov_b32_e32 v21, v2
	s_and_saveexec_b64 s[40:41], s[36:37]
	s_cbranch_execz .LBB1601_39
; %bb.38:
	v_lshlrev_b32_e32 v21, 2, v60
	v_add_co_u32_e64 v22, s[38:39], v6, v21
	v_addc_co_u32_e64 v23, s[38:39], 0, v7, s[38:39]
	flat_load_dword v21, v[22:23]
.LBB1601_39:
	s_or_b64 exec, exec, s[40:41]
	v_or_b32_e32 v62, 0x440, v0
	v_cmp_gt_u32_e64 s[38:39], s64, v62
	v_mov_b32_e32 v22, v2
	s_and_saveexec_b64 s[42:43], s[38:39]
	s_cbranch_execz .LBB1601_41
; %bb.40:
	v_lshlrev_b32_e32 v22, 2, v62
	v_add_co_u32_e64 v22, s[40:41], v6, v22
	v_addc_co_u32_e64 v23, s[40:41], 0, v7, s[40:41]
	flat_load_dword v22, v[22:23]
.LBB1601_41:
	;; [unrolled: 12-line block ×4, first 2 shown]
	s_or_b64 exec, exec, s[46:47]
	v_or_b32_e32 v68, 0x500, v0
	v_cmp_gt_u32_e64 s[44:45], s64, v68
	s_and_saveexec_b64 s[58:59], s[44:45]
	s_cbranch_execz .LBB1601_47
; %bb.46:
	v_lshlrev_b32_e32 v2, 2, v68
	v_add_co_u32_e64 v26, s[46:47], v6, v2
	v_addc_co_u32_e64 v27, s[46:47], 0, v7, s[46:47]
	flat_load_dword v2, v[26:27]
.LBB1601_47:
	s_or_b64 exec, exec, s[58:59]
	v_lshlrev_b32_e32 v28, 2, v0
	s_waitcnt vmcnt(0) lgkmcnt(0)
	ds_write2st64_b32 v28, v3, v4 offset1:1
	ds_write2st64_b32 v28, v5, v8 offset0:2 offset1:3
	ds_write2st64_b32 v28, v9, v10 offset0:4 offset1:5
	;; [unrolled: 1-line block ×9, first 2 shown]
	ds_write_b32 v28, v2 offset:5120
	s_waitcnt lgkmcnt(0)
	; wave barrier
	s_waitcnt lgkmcnt(0)
	flat_load_dword v84, v[6:7]
	s_movk_i32 s46, 0x50
	v_mad_u32_u24 v2, v0, s46, v28
	s_movk_i32 s46, 0xffb0
	v_mad_i32_i24 v69, v0, s46, v2
	v_cmp_ne_u32_e64 s[46:47], 63, v0
	ds_read_b32 v88, v2
	ds_read2_b32 v[26:27], v2 offset0:1 offset1:2
	ds_read2_b32 v[24:25], v2 offset0:3 offset1:4
	;; [unrolled: 1-line block ×10, first 2 shown]
	s_waitcnt lgkmcnt(0)
	ds_write_b32 v69, v88 offset:5632
	s_waitcnt lgkmcnt(0)
	; wave barrier
	s_waitcnt lgkmcnt(0)
	s_and_saveexec_b64 s[58:59], s[46:47]
	s_cbranch_execz .LBB1601_49
; %bb.48:
	s_waitcnt vmcnt(0)
	ds_read_b32 v84, v28 offset:5636
.LBB1601_49:
	s_or_b64 exec, exec, s[58:59]
	s_waitcnt lgkmcnt(0)
	; wave barrier
	s_waitcnt lgkmcnt(0)
                                        ; implicit-def: $vgpr2_vgpr3
	s_and_saveexec_b64 s[46:47], vcc
	s_cbranch_execz .LBB1601_70
; %bb.50:
	v_lshlrev_b32_e32 v2, 3, v0
	v_add_co_u32_e32 v2, vcc, v86, v2
	v_addc_co_u32_e32 v3, vcc, 0, v87, vcc
	flat_load_dwordx2 v[2:3], v[2:3]
	s_or_b64 exec, exec, s[46:47]
                                        ; implicit-def: $vgpr4_vgpr5
	s_and_saveexec_b64 s[46:47], s[4:5]
	s_cbranch_execnz .LBB1601_71
.LBB1601_51:
	s_or_b64 exec, exec, s[46:47]
                                        ; implicit-def: $vgpr28_vgpr29
	s_and_saveexec_b64 s[4:5], s[6:7]
	s_cbranch_execz .LBB1601_72
.LBB1601_52:
	v_lshlrev_b32_e32 v28, 3, v0
	v_add_co_u32_e32 v28, vcc, v86, v28
	v_addc_co_u32_e32 v29, vcc, 0, v87, vcc
	flat_load_dwordx2 v[28:29], v[28:29] offset:1024
	s_or_b64 exec, exec, s[4:5]
                                        ; implicit-def: $vgpr30_vgpr31
	s_and_saveexec_b64 s[4:5], s[8:9]
	s_cbranch_execnz .LBB1601_73
.LBB1601_53:
	s_or_b64 exec, exec, s[4:5]
                                        ; implicit-def: $vgpr32_vgpr33
	s_and_saveexec_b64 s[4:5], s[10:11]
	s_cbranch_execz .LBB1601_74
.LBB1601_54:
	v_lshlrev_b32_e32 v32, 3, v0
	v_add_co_u32_e32 v32, vcc, v86, v32
	v_addc_co_u32_e32 v33, vcc, 0, v87, vcc
	flat_load_dwordx2 v[32:33], v[32:33] offset:2048
	s_or_b64 exec, exec, s[4:5]
                                        ; implicit-def: $vgpr34_vgpr35
	s_and_saveexec_b64 s[4:5], s[12:13]
	s_cbranch_execnz .LBB1601_75
.LBB1601_55:
	s_or_b64 exec, exec, s[4:5]
                                        ; implicit-def: $vgpr36_vgpr37
	s_and_saveexec_b64 s[4:5], s[14:15]
	s_cbranch_execz .LBB1601_76
.LBB1601_56:
	v_lshlrev_b32_e32 v36, 3, v0
	v_add_co_u32_e32 v36, vcc, v86, v36
	v_addc_co_u32_e32 v37, vcc, 0, v87, vcc
	flat_load_dwordx2 v[36:37], v[36:37] offset:3072
	s_or_b64 exec, exec, s[4:5]
                                        ; implicit-def: $vgpr38_vgpr39
	s_and_saveexec_b64 s[4:5], s[16:17]
	s_cbranch_execnz .LBB1601_77
.LBB1601_57:
	s_or_b64 exec, exec, s[4:5]
                                        ; implicit-def: $vgpr40_vgpr41
	s_and_saveexec_b64 s[4:5], s[18:19]
	s_cbranch_execz .LBB1601_78
.LBB1601_58:
	v_lshlrev_b32_e32 v1, 3, v1
	v_add_co_u32_e32 v40, vcc, v86, v1
	v_addc_co_u32_e32 v41, vcc, 0, v87, vcc
	flat_load_dwordx2 v[40:41], v[40:41]
	s_or_b64 exec, exec, s[4:5]
                                        ; implicit-def: $vgpr44_vgpr45
	s_and_saveexec_b64 s[4:5], s[20:21]
	s_cbranch_execnz .LBB1601_79
.LBB1601_59:
	s_or_b64 exec, exec, s[4:5]
                                        ; implicit-def: $vgpr46_vgpr47
	s_and_saveexec_b64 s[4:5], s[22:23]
	s_cbranch_execz .LBB1601_80
.LBB1601_60:
	v_lshlrev_b32_e32 v1, 3, v48
	v_add_co_u32_e32 v46, vcc, v86, v1
	v_addc_co_u32_e32 v47, vcc, 0, v87, vcc
	flat_load_dwordx2 v[46:47], v[46:47]
	s_or_b64 exec, exec, s[4:5]
                                        ; implicit-def: $vgpr48_vgpr49
	s_and_saveexec_b64 s[4:5], s[24:25]
	s_cbranch_execnz .LBB1601_81
.LBB1601_61:
	s_or_b64 exec, exec, s[4:5]
                                        ; implicit-def: $vgpr50_vgpr51
	s_and_saveexec_b64 s[4:5], s[26:27]
	s_cbranch_execz .LBB1601_82
.LBB1601_62:
	v_lshlrev_b32_e32 v1, 3, v52
	v_add_co_u32_e32 v50, vcc, v86, v1
	v_addc_co_u32_e32 v51, vcc, 0, v87, vcc
	flat_load_dwordx2 v[50:51], v[50:51]
	s_or_b64 exec, exec, s[4:5]
                                        ; implicit-def: $vgpr52_vgpr53
	s_and_saveexec_b64 s[4:5], s[28:29]
	s_cbranch_execnz .LBB1601_83
.LBB1601_63:
	s_or_b64 exec, exec, s[4:5]
                                        ; implicit-def: $vgpr54_vgpr55
	s_and_saveexec_b64 s[4:5], s[30:31]
	s_cbranch_execz .LBB1601_84
.LBB1601_64:
	v_lshlrev_b32_e32 v1, 3, v56
	v_add_co_u32_e32 v54, vcc, v86, v1
	v_addc_co_u32_e32 v55, vcc, 0, v87, vcc
	flat_load_dwordx2 v[54:55], v[54:55]
	s_or_b64 exec, exec, s[4:5]
                                        ; implicit-def: $vgpr56_vgpr57
	s_and_saveexec_b64 s[4:5], s[34:35]
	s_cbranch_execnz .LBB1601_85
.LBB1601_65:
	s_or_b64 exec, exec, s[4:5]
                                        ; implicit-def: $vgpr58_vgpr59
	s_and_saveexec_b64 s[4:5], s[36:37]
	s_cbranch_execz .LBB1601_86
.LBB1601_66:
	v_lshlrev_b32_e32 v1, 3, v60
	v_add_co_u32_e32 v58, vcc, v86, v1
	v_addc_co_u32_e32 v59, vcc, 0, v87, vcc
	flat_load_dwordx2 v[58:59], v[58:59]
	s_or_b64 exec, exec, s[4:5]
                                        ; implicit-def: $vgpr60_vgpr61
	s_and_saveexec_b64 s[4:5], s[38:39]
	s_cbranch_execnz .LBB1601_87
.LBB1601_67:
	s_or_b64 exec, exec, s[4:5]
                                        ; implicit-def: $vgpr62_vgpr63
	s_and_saveexec_b64 s[4:5], s[40:41]
	s_cbranch_execz .LBB1601_88
.LBB1601_68:
	v_lshlrev_b32_e32 v1, 3, v64
	v_add_co_u32_e32 v62, vcc, v86, v1
	v_addc_co_u32_e32 v63, vcc, 0, v87, vcc
	flat_load_dwordx2 v[62:63], v[62:63]
	s_or_b64 exec, exec, s[4:5]
                                        ; implicit-def: $vgpr64_vgpr65
	s_and_saveexec_b64 s[4:5], s[42:43]
	s_cbranch_execz .LBB1601_90
	s_branch .LBB1601_89
.LBB1601_69:
	s_mov_b64 s[10:11], 0
                                        ; implicit-def: $sgpr8_sgpr9
                                        ; implicit-def: $vgpr2_vgpr3
                                        ; implicit-def: $vgpr44_vgpr45
                                        ; implicit-def: $vgpr110
                                        ; implicit-def: $vgpr46_vgpr47
                                        ; implicit-def: $vgpr126
                                        ; implicit-def: $vgpr82_vgpr83
                                        ; implicit-def: $vgpr125
                                        ; implicit-def: $vgpr80_vgpr81
                                        ; implicit-def: $vgpr124
                                        ; implicit-def: $vgpr78_vgpr79
                                        ; implicit-def: $vgpr123
                                        ; implicit-def: $vgpr76_vgpr77
                                        ; implicit-def: $vgpr122
                                        ; implicit-def: $vgpr74_vgpr75
                                        ; implicit-def: $vgpr121
                                        ; implicit-def: $vgpr72_vgpr73
                                        ; implicit-def: $vgpr120
                                        ; implicit-def: $vgpr70_vgpr71
                                        ; implicit-def: $vgpr119
                                        ; implicit-def: $vgpr68_vgpr69
                                        ; implicit-def: $vgpr118
                                        ; implicit-def: $vgpr66_vgpr67
                                        ; implicit-def: $vgpr117
                                        ; implicit-def: $vgpr64_vgpr65
                                        ; implicit-def: $vgpr116
                                        ; implicit-def: $vgpr62_vgpr63
                                        ; implicit-def: $vgpr115
                                        ; implicit-def: $vgpr60_vgpr61
                                        ; implicit-def: $vgpr114
                                        ; implicit-def: $vgpr58_vgpr59
                                        ; implicit-def: $vgpr113
                                        ; implicit-def: $vgpr56_vgpr57
                                        ; implicit-def: $vgpr112
                                        ; implicit-def: $vgpr54_vgpr55
                                        ; implicit-def: $vgpr111
                                        ; implicit-def: $vgpr52_vgpr53
                                        ; implicit-def: $vgpr109
                                        ; implicit-def: $vgpr50_vgpr51
                                        ; implicit-def: $vgpr108
                                        ; implicit-def: $vgpr48_vgpr49
                                        ; implicit-def: $vgpr1
                                        ; implicit-def: $sgpr72
                                        ; implicit-def: $sgpr6_sgpr7
	s_and_b64 vcc, exec, s[4:5]
	s_cbranch_vccz .LBB1601_140
	s_branch .LBB1601_135
.LBB1601_70:
	s_or_b64 exec, exec, s[46:47]
                                        ; implicit-def: $vgpr4_vgpr5
	s_and_saveexec_b64 s[46:47], s[4:5]
	s_cbranch_execz .LBB1601_51
.LBB1601_71:
	v_lshlrev_b32_e32 v4, 3, v0
	v_add_co_u32_e32 v4, vcc, v86, v4
	v_addc_co_u32_e32 v5, vcc, 0, v87, vcc
	flat_load_dwordx2 v[4:5], v[4:5] offset:512
	s_or_b64 exec, exec, s[46:47]
                                        ; implicit-def: $vgpr28_vgpr29
	s_and_saveexec_b64 s[4:5], s[6:7]
	s_cbranch_execnz .LBB1601_52
.LBB1601_72:
	s_or_b64 exec, exec, s[4:5]
                                        ; implicit-def: $vgpr30_vgpr31
	s_and_saveexec_b64 s[4:5], s[8:9]
	s_cbranch_execz .LBB1601_53
.LBB1601_73:
	v_lshlrev_b32_e32 v30, 3, v0
	v_add_co_u32_e32 v30, vcc, v86, v30
	v_addc_co_u32_e32 v31, vcc, 0, v87, vcc
	flat_load_dwordx2 v[30:31], v[30:31] offset:1536
	s_or_b64 exec, exec, s[4:5]
                                        ; implicit-def: $vgpr32_vgpr33
	s_and_saveexec_b64 s[4:5], s[10:11]
	s_cbranch_execnz .LBB1601_54
.LBB1601_74:
	s_or_b64 exec, exec, s[4:5]
                                        ; implicit-def: $vgpr34_vgpr35
	s_and_saveexec_b64 s[4:5], s[12:13]
	s_cbranch_execz .LBB1601_55
.LBB1601_75:
	v_lshlrev_b32_e32 v34, 3, v0
	v_add_co_u32_e32 v34, vcc, v86, v34
	v_addc_co_u32_e32 v35, vcc, 0, v87, vcc
	flat_load_dwordx2 v[34:35], v[34:35] offset:2560
	s_or_b64 exec, exec, s[4:5]
                                        ; implicit-def: $vgpr36_vgpr37
	s_and_saveexec_b64 s[4:5], s[14:15]
	s_cbranch_execnz .LBB1601_56
.LBB1601_76:
	s_or_b64 exec, exec, s[4:5]
                                        ; implicit-def: $vgpr38_vgpr39
	s_and_saveexec_b64 s[4:5], s[16:17]
	s_cbranch_execz .LBB1601_57
.LBB1601_77:
	v_lshlrev_b32_e32 v38, 3, v0
	v_add_co_u32_e32 v38, vcc, v86, v38
	v_addc_co_u32_e32 v39, vcc, 0, v87, vcc
	flat_load_dwordx2 v[38:39], v[38:39] offset:3584
	s_or_b64 exec, exec, s[4:5]
                                        ; implicit-def: $vgpr40_vgpr41
	s_and_saveexec_b64 s[4:5], s[18:19]
	s_cbranch_execnz .LBB1601_58
.LBB1601_78:
	s_or_b64 exec, exec, s[4:5]
                                        ; implicit-def: $vgpr44_vgpr45
	s_and_saveexec_b64 s[4:5], s[20:21]
	s_cbranch_execz .LBB1601_59
.LBB1601_79:
	v_lshlrev_b32_e32 v1, 3, v46
	v_add_co_u32_e32 v44, vcc, v86, v1
	v_addc_co_u32_e32 v45, vcc, 0, v87, vcc
	flat_load_dwordx2 v[44:45], v[44:45]
	s_or_b64 exec, exec, s[4:5]
                                        ; implicit-def: $vgpr46_vgpr47
	s_and_saveexec_b64 s[4:5], s[22:23]
	s_cbranch_execnz .LBB1601_60
.LBB1601_80:
	s_or_b64 exec, exec, s[4:5]
                                        ; implicit-def: $vgpr48_vgpr49
	s_and_saveexec_b64 s[4:5], s[24:25]
	s_cbranch_execz .LBB1601_61
.LBB1601_81:
	v_lshlrev_b32_e32 v1, 3, v50
	v_add_co_u32_e32 v48, vcc, v86, v1
	v_addc_co_u32_e32 v49, vcc, 0, v87, vcc
	flat_load_dwordx2 v[48:49], v[48:49]
	s_or_b64 exec, exec, s[4:5]
                                        ; implicit-def: $vgpr50_vgpr51
	s_and_saveexec_b64 s[4:5], s[26:27]
	s_cbranch_execnz .LBB1601_62
.LBB1601_82:
	s_or_b64 exec, exec, s[4:5]
                                        ; implicit-def: $vgpr52_vgpr53
	s_and_saveexec_b64 s[4:5], s[28:29]
	s_cbranch_execz .LBB1601_63
.LBB1601_83:
	v_lshlrev_b32_e32 v1, 3, v54
	v_add_co_u32_e32 v52, vcc, v86, v1
	v_addc_co_u32_e32 v53, vcc, 0, v87, vcc
	flat_load_dwordx2 v[52:53], v[52:53]
	s_or_b64 exec, exec, s[4:5]
                                        ; implicit-def: $vgpr54_vgpr55
	s_and_saveexec_b64 s[4:5], s[30:31]
	s_cbranch_execnz .LBB1601_64
.LBB1601_84:
	s_or_b64 exec, exec, s[4:5]
                                        ; implicit-def: $vgpr56_vgpr57
	s_and_saveexec_b64 s[4:5], s[34:35]
	s_cbranch_execz .LBB1601_65
.LBB1601_85:
	v_lshlrev_b32_e32 v1, 3, v58
	v_add_co_u32_e32 v56, vcc, v86, v1
	v_addc_co_u32_e32 v57, vcc, 0, v87, vcc
	flat_load_dwordx2 v[56:57], v[56:57]
	s_or_b64 exec, exec, s[4:5]
                                        ; implicit-def: $vgpr58_vgpr59
	s_and_saveexec_b64 s[4:5], s[36:37]
	s_cbranch_execnz .LBB1601_66
.LBB1601_86:
	s_or_b64 exec, exec, s[4:5]
                                        ; implicit-def: $vgpr60_vgpr61
	s_and_saveexec_b64 s[4:5], s[38:39]
	s_cbranch_execz .LBB1601_67
.LBB1601_87:
	v_lshlrev_b32_e32 v1, 3, v62
	v_add_co_u32_e32 v60, vcc, v86, v1
	v_addc_co_u32_e32 v61, vcc, 0, v87, vcc
	flat_load_dwordx2 v[60:61], v[60:61]
	s_or_b64 exec, exec, s[4:5]
                                        ; implicit-def: $vgpr62_vgpr63
	s_and_saveexec_b64 s[4:5], s[40:41]
	s_cbranch_execnz .LBB1601_68
.LBB1601_88:
	s_or_b64 exec, exec, s[4:5]
                                        ; implicit-def: $vgpr64_vgpr65
	s_and_saveexec_b64 s[4:5], s[42:43]
	s_cbranch_execz .LBB1601_90
.LBB1601_89:
	v_lshlrev_b32_e32 v1, 3, v66
	v_add_co_u32_e32 v64, vcc, v86, v1
	v_addc_co_u32_e32 v65, vcc, 0, v87, vcc
	flat_load_dwordx2 v[64:65], v[64:65]
.LBB1601_90:
	s_or_b64 exec, exec, s[4:5]
	v_mul_u32_u24_e32 v85, 21, v0
                                        ; implicit-def: $vgpr66_vgpr67
	s_and_saveexec_b64 s[4:5], s[44:45]
	s_cbranch_execz .LBB1601_92
; %bb.91:
	v_lshlrev_b32_e32 v1, 3, v68
	v_add_co_u32_e32 v66, vcc, v86, v1
	v_addc_co_u32_e32 v67, vcc, 0, v87, vcc
	flat_load_dwordx2 v[66:67], v[66:67]
.LBB1601_92:
	s_or_b64 exec, exec, s[4:5]
	v_lshl_add_u32 v89, v0, 2, v69
	s_waitcnt vmcnt(0) lgkmcnt(0)
	ds_write2st64_b64 v89, v[2:3], v[4:5] offset1:1
	ds_write2st64_b64 v89, v[28:29], v[30:31] offset0:2 offset1:3
	ds_write2st64_b64 v89, v[32:33], v[34:35] offset0:4 offset1:5
	;; [unrolled: 1-line block ×9, first 2 shown]
	ds_write_b64 v89, v[66:67] offset:10240
	v_pk_mov_b32 v[44:45], 0, 0
	v_cmp_gt_u32_e32 vcc, s64, v85
	s_mov_b64 s[10:11], 0
	s_mov_b32 s72, 0
	s_mov_b64 s[4:5], 0
	v_mov_b32_e32 v110, 0
	v_pk_mov_b32 v[46:47], v[44:45], v[44:45] op_sel:[0,1]
	v_mov_b32_e32 v126, 0
	v_pk_mov_b32 v[82:83], v[44:45], v[44:45] op_sel:[0,1]
	;; [unrolled: 2-line block ×19, first 2 shown]
	v_mov_b32_e32 v1, 0
	s_waitcnt lgkmcnt(0)
	; wave barrier
	s_waitcnt lgkmcnt(0)
                                        ; implicit-def: $sgpr8_sgpr9
                                        ; implicit-def: $vgpr2_vgpr3
	s_and_saveexec_b64 s[6:7], vcc
	s_cbranch_execz .LBB1601_134
; %bb.93:
	s_movk_i32 s8, 0xa0
	v_mad_u32_u24 v1, v0, s8, v89
	ds_read_b64 v[2:3], v1
	v_cmp_ne_u32_e32 vcc, v88, v26
	v_mov_b32_e32 v5, s69
	v_add_u32_e32 v4, 1, v85
	v_pk_mov_b32 v[46:47], 0, 0
	s_waitcnt lgkmcnt(0)
	v_cndmask_b32_e32 v45, v3, v5, vcc
	v_mov_b32_e32 v3, s68
	v_cndmask_b32_e64 v1, 0, 1, vcc
	v_cndmask_b32_e32 v44, v2, v3, vcc
	v_cmp_gt_u32_e32 vcc, s64, v4
	s_mov_b64 s[12:13], 0
	v_mov_b32_e32 v110, 0
	v_mov_b32_e32 v126, 0
	v_pk_mov_b32 v[82:83], v[46:47], v[46:47] op_sel:[0,1]
	v_mov_b32_e32 v125, 0
	v_pk_mov_b32 v[80:81], v[46:47], v[46:47] op_sel:[0,1]
	;; [unrolled: 2-line block ×18, first 2 shown]
                                        ; implicit-def: $sgpr14_sgpr15
                                        ; implicit-def: $vgpr2_vgpr3
	s_and_saveexec_b64 s[8:9], vcc
	s_cbranch_execz .LBB1601_133
; %bb.94:
	v_mul_u32_u24_e32 v2, 0xa0, v0
	v_add_u32_e32 v28, v89, v2
	ds_read2_b64 v[2:5], v28 offset0:1 offset1:2
	v_cmp_ne_u32_e32 vcc, v26, v27
	v_mov_b32_e32 v26, s69
	v_add_u32_e32 v29, 2, v85
	v_pk_mov_b32 v[46:47], 0, 0
	s_waitcnt lgkmcnt(0)
	v_cndmask_b32_e32 v49, v3, v26, vcc
	v_mov_b32_e32 v3, s68
	v_cndmask_b32_e64 v108, 0, 1, vcc
	v_cndmask_b32_e32 v48, v2, v3, vcc
	v_cmp_gt_u32_e32 vcc, s64, v29
	s_mov_b64 s[14:15], 0
	v_mov_b32_e32 v110, 0
	v_mov_b32_e32 v126, 0
	v_pk_mov_b32 v[82:83], v[46:47], v[46:47] op_sel:[0,1]
	v_mov_b32_e32 v125, 0
	v_pk_mov_b32 v[80:81], v[46:47], v[46:47] op_sel:[0,1]
	;; [unrolled: 2-line block ×17, first 2 shown]
                                        ; implicit-def: $sgpr16_sgpr17
                                        ; implicit-def: $vgpr2_vgpr3
	s_and_saveexec_b64 s[10:11], vcc
	s_cbranch_execz .LBB1601_132
; %bb.95:
	v_cmp_ne_u32_e32 vcc, v27, v24
	v_mov_b32_e32 v3, s69
	v_add_u32_e32 v2, 3, v85
	v_cndmask_b32_e32 v51, v5, v3, vcc
	v_mov_b32_e32 v3, s68
	v_pk_mov_b32 v[46:47], 0, 0
	v_cndmask_b32_e64 v109, 0, 1, vcc
	v_cndmask_b32_e32 v50, v4, v3, vcc
	v_cmp_gt_u32_e32 vcc, s64, v2
	s_mov_b64 s[16:17], 0
	v_mov_b32_e32 v110, 0
	v_mov_b32_e32 v126, 0
	v_pk_mov_b32 v[82:83], v[46:47], v[46:47] op_sel:[0,1]
	v_mov_b32_e32 v125, 0
	v_pk_mov_b32 v[80:81], v[46:47], v[46:47] op_sel:[0,1]
	;; [unrolled: 2-line block ×16, first 2 shown]
                                        ; implicit-def: $sgpr18_sgpr19
                                        ; implicit-def: $vgpr2_vgpr3
	s_and_saveexec_b64 s[12:13], vcc
	s_cbranch_execz .LBB1601_131
; %bb.96:
	ds_read2_b64 v[2:5], v28 offset0:3 offset1:4
	v_cmp_ne_u32_e32 vcc, v24, v25
	v_mov_b32_e32 v24, s69
	v_add_u32_e32 v26, 4, v85
	v_pk_mov_b32 v[46:47], 0, 0
	s_waitcnt lgkmcnt(0)
	v_cndmask_b32_e32 v53, v3, v24, vcc
	v_mov_b32_e32 v3, s68
	v_cndmask_b32_e64 v111, 0, 1, vcc
	v_cndmask_b32_e32 v52, v2, v3, vcc
	v_cmp_gt_u32_e32 vcc, s64, v26
	s_mov_b64 s[18:19], 0
	v_mov_b32_e32 v110, 0
	v_mov_b32_e32 v126, 0
	v_pk_mov_b32 v[82:83], v[46:47], v[46:47] op_sel:[0,1]
	v_mov_b32_e32 v125, 0
	v_pk_mov_b32 v[80:81], v[46:47], v[46:47] op_sel:[0,1]
	;; [unrolled: 2-line block ×15, first 2 shown]
                                        ; implicit-def: $sgpr20_sgpr21
                                        ; implicit-def: $vgpr2_vgpr3
	s_and_saveexec_b64 s[14:15], vcc
	s_cbranch_execz .LBB1601_130
; %bb.97:
	v_cmp_ne_u32_e32 vcc, v25, v22
	v_mov_b32_e32 v3, s69
	v_add_u32_e32 v2, 5, v85
	v_cndmask_b32_e32 v55, v5, v3, vcc
	v_mov_b32_e32 v3, s68
	v_pk_mov_b32 v[46:47], 0, 0
	v_cndmask_b32_e64 v112, 0, 1, vcc
	v_cndmask_b32_e32 v54, v4, v3, vcc
	v_cmp_gt_u32_e32 vcc, s64, v2
	s_mov_b64 s[20:21], 0
	v_mov_b32_e32 v110, 0
	v_mov_b32_e32 v126, 0
	v_pk_mov_b32 v[82:83], v[46:47], v[46:47] op_sel:[0,1]
	v_mov_b32_e32 v125, 0
	v_pk_mov_b32 v[80:81], v[46:47], v[46:47] op_sel:[0,1]
	;; [unrolled: 2-line block ×14, first 2 shown]
                                        ; implicit-def: $sgpr22_sgpr23
                                        ; implicit-def: $vgpr2_vgpr3
	s_and_saveexec_b64 s[16:17], vcc
	s_cbranch_execz .LBB1601_129
; %bb.98:
	ds_read2_b64 v[2:5], v28 offset0:5 offset1:6
	v_cmp_ne_u32_e32 vcc, v22, v23
	v_mov_b32_e32 v22, s69
	v_add_u32_e32 v24, 6, v85
	v_pk_mov_b32 v[46:47], 0, 0
	s_waitcnt lgkmcnt(0)
	v_cndmask_b32_e32 v57, v3, v22, vcc
	v_mov_b32_e32 v3, s68
	v_cndmask_b32_e64 v113, 0, 1, vcc
	v_cndmask_b32_e32 v56, v2, v3, vcc
	v_cmp_gt_u32_e32 vcc, s64, v24
	s_mov_b64 s[22:23], 0
	v_mov_b32_e32 v110, 0
	v_mov_b32_e32 v126, 0
	v_pk_mov_b32 v[82:83], v[46:47], v[46:47] op_sel:[0,1]
	v_mov_b32_e32 v125, 0
	v_pk_mov_b32 v[80:81], v[46:47], v[46:47] op_sel:[0,1]
	;; [unrolled: 2-line block ×13, first 2 shown]
                                        ; implicit-def: $sgpr24_sgpr25
                                        ; implicit-def: $vgpr2_vgpr3
	s_and_saveexec_b64 s[18:19], vcc
	s_cbranch_execz .LBB1601_128
; %bb.99:
	v_cmp_ne_u32_e32 vcc, v23, v20
	v_mov_b32_e32 v3, s69
	v_add_u32_e32 v2, 7, v85
	v_cndmask_b32_e32 v59, v5, v3, vcc
	v_mov_b32_e32 v3, s68
	v_pk_mov_b32 v[46:47], 0, 0
	v_cndmask_b32_e64 v114, 0, 1, vcc
	v_cndmask_b32_e32 v58, v4, v3, vcc
	v_cmp_gt_u32_e32 vcc, s64, v2
	s_mov_b64 s[24:25], 0
	v_mov_b32_e32 v110, 0
	v_mov_b32_e32 v126, 0
	v_pk_mov_b32 v[82:83], v[46:47], v[46:47] op_sel:[0,1]
	v_mov_b32_e32 v125, 0
	v_pk_mov_b32 v[80:81], v[46:47], v[46:47] op_sel:[0,1]
	;; [unrolled: 2-line block ×12, first 2 shown]
                                        ; implicit-def: $sgpr26_sgpr27
                                        ; implicit-def: $vgpr2_vgpr3
	s_and_saveexec_b64 s[20:21], vcc
	s_cbranch_execz .LBB1601_127
; %bb.100:
	ds_read2_b64 v[2:5], v28 offset0:7 offset1:8
	v_cmp_ne_u32_e32 vcc, v20, v21
	v_mov_b32_e32 v20, s69
	v_add_u32_e32 v22, 8, v85
	v_pk_mov_b32 v[46:47], 0, 0
	s_waitcnt lgkmcnt(0)
	v_cndmask_b32_e32 v61, v3, v20, vcc
	v_mov_b32_e32 v3, s68
	v_cndmask_b32_e64 v115, 0, 1, vcc
	v_cndmask_b32_e32 v60, v2, v3, vcc
	v_cmp_gt_u32_e32 vcc, s64, v22
	s_mov_b64 s[26:27], 0
	v_mov_b32_e32 v110, 0
	v_mov_b32_e32 v126, 0
	v_pk_mov_b32 v[82:83], v[46:47], v[46:47] op_sel:[0,1]
	v_mov_b32_e32 v125, 0
	v_pk_mov_b32 v[80:81], v[46:47], v[46:47] op_sel:[0,1]
	;; [unrolled: 2-line block ×11, first 2 shown]
                                        ; implicit-def: $sgpr28_sgpr29
                                        ; implicit-def: $vgpr2_vgpr3
	s_and_saveexec_b64 s[22:23], vcc
	s_cbranch_execz .LBB1601_126
; %bb.101:
	v_cmp_ne_u32_e32 vcc, v21, v18
	v_mov_b32_e32 v3, s69
	v_add_u32_e32 v2, 9, v85
	v_cndmask_b32_e32 v63, v5, v3, vcc
	v_mov_b32_e32 v3, s68
	v_pk_mov_b32 v[46:47], 0, 0
	v_cndmask_b32_e64 v116, 0, 1, vcc
	v_cndmask_b32_e32 v62, v4, v3, vcc
	v_cmp_gt_u32_e32 vcc, s64, v2
	s_mov_b64 s[28:29], 0
	v_mov_b32_e32 v110, 0
	v_mov_b32_e32 v126, 0
	v_pk_mov_b32 v[82:83], v[46:47], v[46:47] op_sel:[0,1]
	v_mov_b32_e32 v125, 0
	v_pk_mov_b32 v[80:81], v[46:47], v[46:47] op_sel:[0,1]
	;; [unrolled: 2-line block ×10, first 2 shown]
                                        ; implicit-def: $sgpr30_sgpr31
                                        ; implicit-def: $vgpr2_vgpr3
	s_and_saveexec_b64 s[24:25], vcc
	s_cbranch_execz .LBB1601_125
; %bb.102:
	ds_read2_b64 v[2:5], v28 offset0:9 offset1:10
	v_cmp_ne_u32_e32 vcc, v18, v19
	v_mov_b32_e32 v18, s69
	v_add_u32_e32 v20, 10, v85
	v_pk_mov_b32 v[46:47], 0, 0
	s_waitcnt lgkmcnt(0)
	v_cndmask_b32_e32 v65, v3, v18, vcc
	v_mov_b32_e32 v3, s68
	v_cndmask_b32_e64 v117, 0, 1, vcc
	v_cndmask_b32_e32 v64, v2, v3, vcc
	v_cmp_gt_u32_e32 vcc, s64, v20
	s_mov_b64 s[30:31], 0
	v_mov_b32_e32 v110, 0
	v_mov_b32_e32 v126, 0
	v_pk_mov_b32 v[82:83], v[46:47], v[46:47] op_sel:[0,1]
	v_mov_b32_e32 v125, 0
	v_pk_mov_b32 v[80:81], v[46:47], v[46:47] op_sel:[0,1]
	;; [unrolled: 2-line block ×9, first 2 shown]
                                        ; implicit-def: $sgpr34_sgpr35
                                        ; implicit-def: $vgpr2_vgpr3
	s_and_saveexec_b64 s[26:27], vcc
	s_cbranch_execz .LBB1601_124
; %bb.103:
	v_cmp_ne_u32_e32 vcc, v19, v16
	v_mov_b32_e32 v3, s69
	v_add_u32_e32 v2, 11, v85
	v_cndmask_b32_e32 v67, v5, v3, vcc
	v_mov_b32_e32 v3, s68
	v_pk_mov_b32 v[46:47], 0, 0
	v_cndmask_b32_e64 v118, 0, 1, vcc
	v_cndmask_b32_e32 v66, v4, v3, vcc
	v_cmp_gt_u32_e32 vcc, s64, v2
	s_mov_b64 s[34:35], 0
	v_mov_b32_e32 v110, 0
	v_mov_b32_e32 v126, 0
	v_pk_mov_b32 v[82:83], v[46:47], v[46:47] op_sel:[0,1]
	v_mov_b32_e32 v125, 0
	v_pk_mov_b32 v[80:81], v[46:47], v[46:47] op_sel:[0,1]
	;; [unrolled: 2-line block ×8, first 2 shown]
                                        ; implicit-def: $sgpr36_sgpr37
                                        ; implicit-def: $vgpr2_vgpr3
	s_and_saveexec_b64 s[28:29], vcc
	s_cbranch_execz .LBB1601_123
; %bb.104:
	ds_read2_b64 v[2:5], v28 offset0:11 offset1:12
	v_cmp_ne_u32_e32 vcc, v16, v17
	v_mov_b32_e32 v16, s69
	v_add_u32_e32 v18, 12, v85
	v_pk_mov_b32 v[46:47], 0, 0
	s_waitcnt lgkmcnt(0)
	v_cndmask_b32_e32 v69, v3, v16, vcc
	v_mov_b32_e32 v3, s68
	v_cndmask_b32_e64 v119, 0, 1, vcc
	v_cndmask_b32_e32 v68, v2, v3, vcc
	v_cmp_gt_u32_e32 vcc, s64, v18
	s_mov_b64 s[36:37], 0
	v_mov_b32_e32 v110, 0
	v_mov_b32_e32 v126, 0
	v_pk_mov_b32 v[82:83], v[46:47], v[46:47] op_sel:[0,1]
	v_mov_b32_e32 v125, 0
	v_pk_mov_b32 v[80:81], v[46:47], v[46:47] op_sel:[0,1]
	;; [unrolled: 2-line block ×7, first 2 shown]
                                        ; implicit-def: $sgpr38_sgpr39
                                        ; implicit-def: $vgpr2_vgpr3
	s_and_saveexec_b64 s[30:31], vcc
	s_cbranch_execz .LBB1601_122
; %bb.105:
	v_cmp_ne_u32_e32 vcc, v17, v14
	v_mov_b32_e32 v3, s69
	v_add_u32_e32 v2, 13, v85
	v_cndmask_b32_e32 v71, v5, v3, vcc
	v_mov_b32_e32 v3, s68
	v_pk_mov_b32 v[46:47], 0, 0
	v_cndmask_b32_e64 v120, 0, 1, vcc
	v_cndmask_b32_e32 v70, v4, v3, vcc
	v_cmp_gt_u32_e32 vcc, s64, v2
	s_mov_b64 s[38:39], 0
	v_mov_b32_e32 v110, 0
	v_mov_b32_e32 v126, 0
	v_pk_mov_b32 v[82:83], v[46:47], v[46:47] op_sel:[0,1]
	v_mov_b32_e32 v125, 0
	v_pk_mov_b32 v[80:81], v[46:47], v[46:47] op_sel:[0,1]
	;; [unrolled: 2-line block ×6, first 2 shown]
                                        ; implicit-def: $sgpr40_sgpr41
                                        ; implicit-def: $vgpr2_vgpr3
	s_and_saveexec_b64 s[34:35], vcc
	s_cbranch_execz .LBB1601_121
; %bb.106:
	ds_read2_b64 v[2:5], v28 offset0:13 offset1:14
	v_cmp_ne_u32_e32 vcc, v14, v15
	v_mov_b32_e32 v14, s69
	v_add_u32_e32 v16, 14, v85
	v_pk_mov_b32 v[46:47], 0, 0
	s_waitcnt lgkmcnt(0)
	v_cndmask_b32_e32 v73, v3, v14, vcc
	v_mov_b32_e32 v3, s68
	v_cndmask_b32_e64 v121, 0, 1, vcc
	v_cndmask_b32_e32 v72, v2, v3, vcc
	v_cmp_gt_u32_e32 vcc, s64, v16
	s_mov_b64 s[40:41], 0
	v_mov_b32_e32 v110, 0
	v_mov_b32_e32 v126, 0
	v_pk_mov_b32 v[82:83], v[46:47], v[46:47] op_sel:[0,1]
	v_mov_b32_e32 v125, 0
	v_pk_mov_b32 v[80:81], v[46:47], v[46:47] op_sel:[0,1]
	;; [unrolled: 2-line block ×5, first 2 shown]
                                        ; implicit-def: $sgpr42_sgpr43
                                        ; implicit-def: $vgpr2_vgpr3
	s_and_saveexec_b64 s[36:37], vcc
	s_cbranch_execz .LBB1601_120
; %bb.107:
	v_cmp_ne_u32_e32 vcc, v15, v12
	v_mov_b32_e32 v3, s69
	v_add_u32_e32 v2, 15, v85
	v_cndmask_b32_e32 v75, v5, v3, vcc
	v_mov_b32_e32 v3, s68
	v_pk_mov_b32 v[46:47], 0, 0
	v_cndmask_b32_e64 v122, 0, 1, vcc
	v_cndmask_b32_e32 v74, v4, v3, vcc
	v_cmp_gt_u32_e32 vcc, s64, v2
	s_mov_b64 s[42:43], 0
	v_mov_b32_e32 v110, 0
	v_mov_b32_e32 v126, 0
	v_pk_mov_b32 v[82:83], v[46:47], v[46:47] op_sel:[0,1]
	v_mov_b32_e32 v125, 0
	v_pk_mov_b32 v[80:81], v[46:47], v[46:47] op_sel:[0,1]
	;; [unrolled: 2-line block ×4, first 2 shown]
                                        ; implicit-def: $sgpr44_sgpr45
                                        ; implicit-def: $vgpr2_vgpr3
	s_and_saveexec_b64 s[38:39], vcc
	s_cbranch_execz .LBB1601_119
; %bb.108:
	ds_read2_b64 v[2:5], v28 offset0:15 offset1:16
	v_cmp_ne_u32_e32 vcc, v12, v13
	v_mov_b32_e32 v12, s69
	v_add_u32_e32 v14, 16, v85
	v_pk_mov_b32 v[46:47], 0, 0
	s_waitcnt lgkmcnt(0)
	v_cndmask_b32_e32 v77, v3, v12, vcc
	v_mov_b32_e32 v3, s68
	v_cndmask_b32_e64 v123, 0, 1, vcc
	v_cndmask_b32_e32 v76, v2, v3, vcc
	v_cmp_gt_u32_e32 vcc, s64, v14
	s_mov_b64 s[44:45], 0
	v_mov_b32_e32 v110, 0
	v_mov_b32_e32 v126, 0
	v_pk_mov_b32 v[82:83], v[46:47], v[46:47] op_sel:[0,1]
	v_mov_b32_e32 v125, 0
	v_pk_mov_b32 v[80:81], v[46:47], v[46:47] op_sel:[0,1]
	;; [unrolled: 2-line block ×3, first 2 shown]
                                        ; implicit-def: $sgpr46_sgpr47
                                        ; implicit-def: $vgpr2_vgpr3
	s_and_saveexec_b64 s[40:41], vcc
	s_cbranch_execz .LBB1601_118
; %bb.109:
	v_cmp_ne_u32_e32 vcc, v13, v10
	v_mov_b32_e32 v3, s69
	v_add_u32_e32 v2, 17, v85
	v_cndmask_b32_e32 v79, v5, v3, vcc
	v_mov_b32_e32 v3, s68
	v_pk_mov_b32 v[46:47], 0, 0
	v_cndmask_b32_e64 v124, 0, 1, vcc
	v_cndmask_b32_e32 v78, v4, v3, vcc
	v_cmp_gt_u32_e32 vcc, s64, v2
	s_mov_b64 s[46:47], 0
	v_mov_b32_e32 v110, 0
	v_mov_b32_e32 v126, 0
	v_pk_mov_b32 v[82:83], v[46:47], v[46:47] op_sel:[0,1]
	v_mov_b32_e32 v125, 0
	v_pk_mov_b32 v[80:81], v[46:47], v[46:47] op_sel:[0,1]
                                        ; implicit-def: $sgpr58_sgpr59
                                        ; implicit-def: $vgpr2_vgpr3
	s_and_saveexec_b64 s[42:43], vcc
	s_cbranch_execz .LBB1601_117
; %bb.110:
	ds_read2_b64 v[2:5], v28 offset0:17 offset1:18
	v_cmp_ne_u32_e32 vcc, v10, v11
	v_mov_b32_e32 v10, s69
	v_add_u32_e32 v12, 18, v85
	v_pk_mov_b32 v[46:47], 0, 0
	s_waitcnt lgkmcnt(0)
	v_cndmask_b32_e32 v81, v3, v10, vcc
	v_mov_b32_e32 v3, s68
	v_cndmask_b32_e64 v125, 0, 1, vcc
	v_cndmask_b32_e32 v80, v2, v3, vcc
	v_cmp_gt_u32_e32 vcc, s64, v12
	s_mov_b64 s[58:59], 0
	v_mov_b32_e32 v110, 0
	v_mov_b32_e32 v126, 0
	v_pk_mov_b32 v[82:83], v[46:47], v[46:47] op_sel:[0,1]
                                        ; implicit-def: $sgpr60_sgpr61
                                        ; implicit-def: $vgpr2_vgpr3
	s_and_saveexec_b64 s[44:45], vcc
	s_cbranch_execz .LBB1601_116
; %bb.111:
	v_cmp_ne_u32_e32 vcc, v11, v8
	v_mov_b32_e32 v3, s69
	v_add_u32_e32 v2, 19, v85
	v_cndmask_b32_e32 v83, v5, v3, vcc
	v_mov_b32_e32 v3, s68
	v_cndmask_b32_e64 v126, 0, 1, vcc
	v_cndmask_b32_e32 v82, v4, v3, vcc
	v_cmp_gt_u32_e32 vcc, s64, v2
	v_mov_b32_e32 v110, 0
	v_pk_mov_b32 v[46:47], 0, 0
                                        ; implicit-def: $sgpr60_sgpr61
                                        ; implicit-def: $vgpr2_vgpr3
	s_and_saveexec_b64 s[46:47], vcc
	s_cbranch_execz .LBB1601_115
; %bb.112:
	ds_read2_b64 v[2:5], v28 offset0:19 offset1:20
	v_cmp_ne_u32_e32 vcc, v8, v9
	v_mov_b32_e32 v8, s69
	v_add_u32_e32 v10, 20, v85
	v_cndmask_b32_e64 v110, 0, 1, vcc
	s_waitcnt lgkmcnt(0)
	v_cndmask_b32_e32 v47, v3, v8, vcc
	v_mov_b32_e32 v3, s68
	v_cndmask_b32_e32 v46, v2, v3, vcc
	v_cmp_gt_u32_e32 vcc, s64, v10
                                        ; implicit-def: $sgpr60_sgpr61
                                        ; implicit-def: $vgpr2_vgpr3
	s_and_saveexec_b64 s[64:65], vcc
	s_xor_b64 s[64:65], exec, s[64:65]
; %bb.113:
	v_mov_b32_e32 v2, s69
	v_cmp_ne_u32_e32 vcc, v9, v84
	v_cndmask_b32_e32 v3, v5, v2, vcc
	v_mov_b32_e32 v2, s68
	s_mov_b64 s[58:59], exec
	v_cndmask_b32_e32 v2, v4, v2, vcc
	s_and_b64 s[60:61], vcc, exec
; %bb.114:
	s_or_b64 exec, exec, s[64:65]
	s_and_b64 s[60:61], s[60:61], exec
	s_and_b64 s[58:59], s[58:59], exec
.LBB1601_115:
	s_or_b64 exec, exec, s[46:47]
	s_and_b64 s[60:61], s[60:61], exec
	s_and_b64 s[46:47], s[58:59], exec
.LBB1601_116:
	s_or_b64 exec, exec, s[44:45]
	s_and_b64 s[58:59], s[60:61], exec
	s_and_b64 s[44:45], s[46:47], exec
.LBB1601_117:
	s_or_b64 exec, exec, s[42:43]
	s_and_b64 s[46:47], s[58:59], exec
	s_and_b64 s[42:43], s[44:45], exec
.LBB1601_118:
	s_or_b64 exec, exec, s[40:41]
	s_and_b64 s[44:45], s[46:47], exec
	s_and_b64 s[40:41], s[42:43], exec
.LBB1601_119:
	s_or_b64 exec, exec, s[38:39]
	s_and_b64 s[42:43], s[44:45], exec
	s_and_b64 s[38:39], s[40:41], exec
.LBB1601_120:
	s_or_b64 exec, exec, s[36:37]
	s_and_b64 s[40:41], s[42:43], exec
	s_and_b64 s[36:37], s[38:39], exec
.LBB1601_121:
	s_or_b64 exec, exec, s[34:35]
	s_and_b64 s[38:39], s[40:41], exec
	s_and_b64 s[34:35], s[36:37], exec
.LBB1601_122:
	s_or_b64 exec, exec, s[30:31]
	s_and_b64 s[36:37], s[38:39], exec
	s_and_b64 s[30:31], s[34:35], exec
.LBB1601_123:
	s_or_b64 exec, exec, s[28:29]
	s_and_b64 s[34:35], s[36:37], exec
	s_and_b64 s[28:29], s[30:31], exec
.LBB1601_124:
	s_or_b64 exec, exec, s[26:27]
	s_and_b64 s[30:31], s[34:35], exec
	s_and_b64 s[26:27], s[28:29], exec
.LBB1601_125:
	s_or_b64 exec, exec, s[24:25]
	s_and_b64 s[28:29], s[30:31], exec
	s_and_b64 s[24:25], s[26:27], exec
.LBB1601_126:
	s_or_b64 exec, exec, s[22:23]
	s_and_b64 s[26:27], s[28:29], exec
	s_and_b64 s[22:23], s[24:25], exec
.LBB1601_127:
	s_or_b64 exec, exec, s[20:21]
	s_and_b64 s[24:25], s[26:27], exec
	s_and_b64 s[20:21], s[22:23], exec
.LBB1601_128:
	s_or_b64 exec, exec, s[18:19]
	s_and_b64 s[22:23], s[24:25], exec
	s_and_b64 s[18:19], s[20:21], exec
.LBB1601_129:
	s_or_b64 exec, exec, s[16:17]
	s_and_b64 s[20:21], s[22:23], exec
	s_and_b64 s[16:17], s[18:19], exec
.LBB1601_130:
	s_or_b64 exec, exec, s[14:15]
	s_and_b64 s[18:19], s[20:21], exec
	s_and_b64 s[14:15], s[16:17], exec
.LBB1601_131:
	s_or_b64 exec, exec, s[12:13]
	s_and_b64 s[16:17], s[18:19], exec
	s_and_b64 s[12:13], s[14:15], exec
.LBB1601_132:
	s_or_b64 exec, exec, s[10:11]
	s_and_b64 s[14:15], s[16:17], exec
	s_and_b64 s[10:11], s[12:13], exec
.LBB1601_133:
	s_or_b64 exec, exec, s[8:9]
	s_and_b64 s[8:9], s[14:15], exec
	s_and_b64 s[10:11], s[10:11], exec
.LBB1601_134:
	s_or_b64 exec, exec, s[6:7]
	s_mov_b64 s[6:7], 0
	s_and_b64 vcc, exec, s[4:5]
	s_cbranch_vccz .LBB1601_140
.LBB1601_135:
	v_lshlrev_b32_e32 v2, 2, v0
	v_add_co_u32_e32 v4, vcc, v6, v2
	v_addc_co_u32_e32 v5, vcc, 0, v7, vcc
	s_movk_i32 s6, 0x1000
	flat_load_dword v1, v[4:5]
	flat_load_dword v3, v[4:5] offset:256
	flat_load_dword v8, v[4:5] offset:512
	;; [unrolled: 1-line block ×15, first 2 shown]
	v_add_co_u32_e32 v4, vcc, s6, v4
	v_addc_co_u32_e32 v5, vcc, 0, v5, vcc
	flat_load_dword v22, v[4:5]
	flat_load_dword v23, v[4:5] offset:256
	flat_load_dword v24, v[4:5] offset:512
	;; [unrolled: 1-line block ×4, first 2 shown]
	v_add_co_u32_e32 v4, vcc, 0x1000, v6
	v_addc_co_u32_e32 v5, vcc, 0, v7, vcc
	s_movk_i32 s4, 0x50
	v_cmp_ne_u32_e32 vcc, 63, v0
	s_waitcnt vmcnt(0) lgkmcnt(0)
	ds_write2st64_b32 v2, v1, v3 offset1:1
	ds_write2st64_b32 v2, v8, v9 offset0:2 offset1:3
	ds_write2st64_b32 v2, v10, v11 offset0:4 offset1:5
	;; [unrolled: 1-line block ×9, first 2 shown]
	ds_write_b32 v2, v26 offset:5120
	s_waitcnt lgkmcnt(0)
	; wave barrier
	s_waitcnt lgkmcnt(0)
	flat_load_dword v88, v[4:5] offset:1280
	v_mad_u32_u24 v3, v0, s4, v2
	s_movk_i32 s4, 0xffb0
	ds_read_b32 v1, v3
	ds_read2_b32 v[62:63], v3 offset0:1 offset1:2
	ds_read2_b32 v[60:61], v3 offset0:3 offset1:4
	;; [unrolled: 1-line block ×10, first 2 shown]
	v_mad_i32_i24 v3, v0, s4, v3
	s_waitcnt lgkmcnt(0)
	ds_write_b32 v3, v1 offset:5632
	s_waitcnt lgkmcnt(0)
	; wave barrier
	s_waitcnt lgkmcnt(0)
	s_and_saveexec_b64 s[4:5], vcc
	s_cbranch_execz .LBB1601_137
; %bb.136:
	s_waitcnt vmcnt(0)
	ds_read_b32 v88, v2 offset:5636
.LBB1601_137:
	s_or_b64 exec, exec, s[4:5]
	v_lshlrev_b32_e32 v2, 3, v0
	v_add_co_u32_e32 v4, vcc, v86, v2
	v_addc_co_u32_e32 v5, vcc, 0, v87, vcc
	v_add_co_u32_e32 v22, vcc, s6, v4
	v_addc_co_u32_e32 v23, vcc, 0, v5, vcc
	s_movk_i32 s4, 0x2000
	s_waitcnt lgkmcnt(0)
	; wave barrier
	s_waitcnt lgkmcnt(0)
	flat_load_dwordx2 v[6:7], v[4:5]
	flat_load_dwordx2 v[8:9], v[4:5] offset:512
	flat_load_dwordx2 v[10:11], v[4:5] offset:1024
	;; [unrolled: 1-line block ×7, first 2 shown]
	v_add_co_u32_e32 v4, vcc, s4, v4
	v_addc_co_u32_e32 v5, vcc, 0, v5, vcc
	flat_load_dwordx2 v[24:25], v[22:23]
	flat_load_dwordx2 v[26:27], v[22:23] offset:512
	flat_load_dwordx2 v[28:29], v[22:23] offset:1024
	;; [unrolled: 1-line block ×7, first 2 shown]
	s_nop 0
	flat_load_dwordx2 v[22:23], v[4:5]
	flat_load_dwordx2 v[40:41], v[4:5] offset:512
	flat_load_dwordx2 v[44:45], v[4:5] offset:1024
	flat_load_dwordx2 v[66:67], v[4:5] offset:1536
	flat_load_dwordx2 v[68:69], v[4:5] offset:2048
	v_lshl_add_u32 v64, v0, 2, v3
	s_movk_i32 s4, 0xa0
	v_mad_u32_u24 v2, v0, s4, v64
	v_cmp_ne_u32_e32 vcc, v1, v62
	v_cmp_eq_u32_e64 s[4:5], v1, v62
	s_waitcnt vmcnt(0) lgkmcnt(0)
	ds_write2st64_b64 v64, v[6:7], v[8:9] offset1:1
	ds_write2st64_b64 v64, v[10:11], v[12:13] offset0:2 offset1:3
	ds_write2st64_b64 v64, v[14:15], v[16:17] offset0:4 offset1:5
	;; [unrolled: 1-line block ×9, first 2 shown]
	ds_write_b64 v64, v[68:69] offset:10240
	s_waitcnt lgkmcnt(0)
	; wave barrier
	s_waitcnt lgkmcnt(0)
	ds_read2_b64 v[38:41], v2 offset0:1 offset1:2
	ds_read2_b64 v[34:37], v2 offset0:3 offset1:4
	;; [unrolled: 1-line block ×10, first 2 shown]
	v_pk_mov_b32 v[44:45], s[68:69], s[68:69] op_sel:[0,1]
	s_and_saveexec_b64 s[6:7], s[4:5]
	s_cbranch_execz .LBB1601_139
; %bb.138:
	v_mul_u32_u24_e32 v1, 0xa0, v0
	v_add_u32_e32 v1, v64, v1
	ds_read_b64 v[44:45], v1
.LBB1601_139:
	s_or_b64 exec, exec, s[6:7]
	v_cndmask_b32_e64 v1, 0, 1, vcc
	v_cmp_ne_u32_e32 vcc, v62, v63
	v_cmp_ne_u32_e64 s[38:39], v47, v84
	v_cmp_ne_u32_e64 s[40:41], v84, v85
	v_mov_b32_e32 v84, s69
	v_cmp_ne_u32_e64 s[8:9], v61, v58
	v_cmp_ne_u32_e64 s[30:31], v48, v49
	;; [unrolled: 1-line block ×3, first 2 shown]
	s_waitcnt lgkmcnt(9)
	v_cndmask_b32_e32 v49, v39, v84, vcc
	v_mov_b32_e32 v39, s68
	v_cmp_ne_u32_e64 s[4:5], v63, v60
	v_cmp_ne_u32_e64 s[6:7], v60, v61
	v_cndmask_b32_e64 v112, 0, 1, s[8:9]
	v_cmp_ne_u32_e64 s[10:11], v58, v59
	v_cmp_ne_u32_e64 s[12:13], v59, v56
	;; [unrolled: 1-line block ×11, first 2 shown]
	s_waitcnt lgkmcnt(8)
	v_cndmask_b32_e64 v55, v37, v84, s[8:9]
	v_cndmask_b32_e64 v54, v36, v39, s[8:9]
	v_cmp_ne_u32_e64 s[8:9], v85, v88
	v_cndmask_b32_e64 v108, 0, 1, vcc
	v_cndmask_b32_e64 v109, 0, 1, s[4:5]
	v_cndmask_b32_e64 v111, 0, 1, s[6:7]
	;; [unrolled: 1-line block ×17, first 2 shown]
	v_cndmask_b32_e32 v48, v38, v39, vcc
	v_cndmask_b32_e64 v51, v41, v84, s[4:5]
	v_cndmask_b32_e64 v50, v40, v39, s[4:5]
	v_cndmask_b32_e64 v53, v35, v84, s[6:7]
	v_cndmask_b32_e64 v52, v34, v39, s[6:7]
	s_waitcnt lgkmcnt(7)
	v_cndmask_b32_e64 v57, v31, v84, s[10:11]
	v_cndmask_b32_e64 v56, v30, v39, s[10:11]
	v_cndmask_b32_e64 v59, v33, v84, s[12:13]
	v_cndmask_b32_e64 v58, v32, v39, s[12:13]
	s_waitcnt lgkmcnt(6)
	;; [unrolled: 5-line block ×8, first 2 shown]
	v_cndmask_b32_e64 v47, v3, v84, s[40:41]
	v_cndmask_b32_e64 v46, v2, v39, s[40:41]
	;; [unrolled: 1-line block ×4, first 2 shown]
	s_mov_b64 s[10:11], -1
                                        ; implicit-def: $sgpr72
                                        ; implicit-def: $sgpr6_sgpr7
.LBB1601_140:
	v_pk_mov_b32 v[84:85], s[6:7], s[6:7] op_sel:[0,1]
	v_mov_b32_e32 v127, s72
	s_and_saveexec_b64 s[4:5], s[10:11]
; %bb.141:
	v_cndmask_b32_e64 v127, 0, 1, s[8:9]
	v_pk_mov_b32 v[84:85], v[2:3], v[2:3] op_sel:[0,1]
; %bb.142:
	s_or_b64 exec, exec, s[4:5]
	v_or_b32_e32 v2, v127, v110
	s_cmp_lg_u32 s55, 0
	v_or_b32_e32 v129, v2, v126
	v_mbcnt_lo_u32_b32 v128, -1, 0
	s_waitcnt lgkmcnt(0)
	; wave barrier
	s_waitcnt lgkmcnt(0)
	s_cbranch_scc0 .LBB1601_201
; %bb.143:
	v_mov_b32_e32 v2, 0
	v_cmp_eq_u16_sdwa s[42:43], v108, v2 src0_sel:BYTE_0 src1_sel:DWORD
	v_cndmask_b32_e64 v4, 0, v44, s[42:43]
	v_cndmask_b32_e64 v3, 0, v45, s[42:43]
	v_add_co_u32_e32 v4, vcc, v4, v48
	v_cmp_eq_u16_sdwa s[40:41], v109, v2 src0_sel:BYTE_0 src1_sel:DWORD
	v_addc_co_u32_e32 v3, vcc, v3, v49, vcc
	v_cndmask_b32_e64 v4, 0, v4, s[40:41]
	v_cndmask_b32_e64 v3, 0, v3, s[40:41]
	v_add_co_u32_e32 v4, vcc, v4, v50
	v_cmp_eq_u16_sdwa s[38:39], v111, v2 src0_sel:BYTE_0 src1_sel:DWORD
	v_addc_co_u32_e32 v3, vcc, v3, v51, vcc
	;; [unrolled: 5-line block ×18, first 2 shown]
	v_cndmask_b32_e64 v4, 0, v4, s[4:5]
	v_cndmask_b32_e64 v3, 0, v3, s[4:5]
	v_add_co_u32_e32 v4, vcc, v4, v46
	v_addc_co_u32_e32 v3, vcc, v3, v47, vcc
	v_cmp_eq_u16_sdwa vcc, v127, v2 src0_sel:BYTE_0 src1_sel:DWORD
	v_cndmask_b32_e32 v2, 0, v4, vcc
	v_or_b32_e32 v4, v129, v125
	v_or_b32_e32 v4, v4, v124
	;; [unrolled: 1-line block ×17, first 2 shown]
	v_cndmask_b32_e32 v3, 0, v3, vcc
	v_add_co_u32_e32 v2, vcc, v2, v84
	v_or_b32_e32 v4, v4, v1
	v_mbcnt_hi_u32_b32 v5, -1, v128
	v_addc_co_u32_e32 v3, vcc, v3, v85, vcc
	v_and_b32_e32 v4, 1, v4
	v_and_b32_e32 v7, 15, v5
	v_cmp_eq_u32_e32 vcc, 1, v4
	v_mov_b32_dpp v9, v2 row_shr:1 row_mask:0xf bank_mask:0xf
	v_mov_b32_dpp v10, v3 row_shr:1 row_mask:0xf bank_mask:0xf
	;; [unrolled: 1-line block ×3, first 2 shown]
	v_cmp_ne_u32_e64 s[44:45], 0, v7
	v_mov_b32_e32 v6, v4
	s_and_saveexec_b64 s[46:47], s[44:45]
; %bb.144:
	v_cndmask_b32_e64 v9, v9, 0, vcc
	v_cndmask_b32_e64 v6, v10, 0, vcc
	v_add_co_u32_e32 v2, vcc, v9, v2
	v_addc_co_u32_e32 v3, vcc, v6, v3, vcc
	v_and_b32_e32 v6, 1, v8
	v_or_b32_e32 v4, v6, v4
	v_and_b32_e32 v6, 0xffff, v4
; %bb.145:
	s_or_b64 exec, exec, s[46:47]
	v_mov_b32_dpp v9, v2 row_shr:2 row_mask:0xf bank_mask:0xf
	v_mov_b32_dpp v10, v3 row_shr:2 row_mask:0xf bank_mask:0xf
	v_mov_b32_dpp v8, v6 row_shr:2 row_mask:0xf bank_mask:0xf
	v_cmp_lt_u32_e32 vcc, 1, v7
	s_and_saveexec_b64 s[46:47], vcc
	s_cbranch_execz .LBB1601_147
; %bb.146:
	v_cmp_eq_u16_e32 vcc, 0, v4
	v_cndmask_b32_e32 v9, 0, v9, vcc
	v_cndmask_b32_e32 v6, 0, v10, vcc
	v_add_co_u32_e32 v2, vcc, v9, v2
	v_addc_co_u32_e32 v3, vcc, v6, v3, vcc
	v_and_b32_e32 v4, 1, v4
	v_cmp_eq_u32_e32 vcc, 1, v4
	v_and_b32_e32 v4, 1, v8
	v_cmp_eq_u32_e64 s[44:45], 1, v4
	s_or_b64 s[44:45], vcc, s[44:45]
	v_cndmask_b32_e64 v4, 0, 1, s[44:45]
	v_cndmask_b32_e64 v6, 0, 1, s[44:45]
.LBB1601_147:
	s_or_b64 exec, exec, s[46:47]
	v_mov_b32_dpp v9, v2 row_shr:4 row_mask:0xf bank_mask:0xf
	v_mov_b32_dpp v10, v3 row_shr:4 row_mask:0xf bank_mask:0xf
	v_mov_b32_dpp v8, v6 row_shr:4 row_mask:0xf bank_mask:0xf
	v_cmp_lt_u32_e32 vcc, 3, v7
	s_and_saveexec_b64 s[46:47], vcc
	s_cbranch_execz .LBB1601_149
; %bb.148:
	v_cmp_eq_u16_e32 vcc, 0, v4
	v_cndmask_b32_e32 v9, 0, v9, vcc
	v_cndmask_b32_e32 v6, 0, v10, vcc
	v_add_co_u32_e32 v2, vcc, v9, v2
	v_addc_co_u32_e32 v3, vcc, v6, v3, vcc
	v_and_b32_e32 v4, 1, v4
	v_cmp_eq_u32_e32 vcc, 1, v4
	v_and_b32_e32 v4, 1, v8
	v_cmp_eq_u32_e64 s[44:45], 1, v4
	s_or_b64 s[44:45], vcc, s[44:45]
	v_cndmask_b32_e64 v4, 0, 1, s[44:45]
	v_cndmask_b32_e64 v6, 0, 1, s[44:45]
.LBB1601_149:
	;; [unrolled: 21-line block ×3, first 2 shown]
	s_or_b64 exec, exec, s[46:47]
	v_and_b32_e32 v10, 16, v5
	v_mov_b32_dpp v8, v2 row_bcast:15 row_mask:0xf bank_mask:0xf
	v_mov_b32_dpp v9, v3 row_bcast:15 row_mask:0xf bank_mask:0xf
	v_mov_b32_dpp v7, v6 row_bcast:15 row_mask:0xf bank_mask:0xf
	v_cmp_ne_u32_e32 vcc, 0, v10
	s_and_saveexec_b64 s[46:47], vcc
	s_cbranch_execz .LBB1601_153
; %bb.152:
	v_cmp_eq_u16_e32 vcc, 0, v4
	v_cndmask_b32_e32 v8, 0, v8, vcc
	v_cndmask_b32_e32 v6, 0, v9, vcc
	v_add_co_u32_e32 v2, vcc, v8, v2
	v_addc_co_u32_e32 v3, vcc, v6, v3, vcc
	v_and_b32_e32 v4, 1, v4
	v_cmp_eq_u32_e32 vcc, 1, v4
	v_and_b32_e32 v4, 1, v7
	v_cmp_eq_u32_e64 s[44:45], 1, v4
	s_or_b64 s[44:45], vcc, s[44:45]
	v_cndmask_b32_e64 v4, 0, 1, s[44:45]
	v_cndmask_b32_e64 v6, 0, 1, s[44:45]
.LBB1601_153:
	s_or_b64 exec, exec, s[46:47]
	v_mov_b32_dpp v7, v2 row_bcast:31 row_mask:0xf bank_mask:0xf
	v_mov_b32_dpp v8, v3 row_bcast:31 row_mask:0xf bank_mask:0xf
	;; [unrolled: 1-line block ×3, first 2 shown]
	v_cmp_lt_u32_e32 vcc, 31, v5
	s_and_saveexec_b64 s[46:47], vcc
; %bb.154:
	v_cmp_eq_u16_e32 vcc, 0, v4
	v_cndmask_b32_e32 v7, 0, v7, vcc
	v_cndmask_b32_e32 v8, 0, v8, vcc
	v_add_co_u32_e32 v2, vcc, v7, v2
	v_addc_co_u32_e32 v3, vcc, v8, v3, vcc
	v_and_b32_e32 v4, 1, v4
	v_cmp_eq_u32_e32 vcc, 1, v4
	v_and_b32_e32 v4, 1, v6
	v_cmp_eq_u32_e64 s[44:45], 1, v4
	s_or_b64 s[44:45], vcc, s[44:45]
	v_cndmask_b32_e64 v4, 0, 1, s[44:45]
; %bb.155:
	s_or_b64 exec, exec, s[46:47]
	v_cmp_eq_u32_e32 vcc, 63, v0
	s_and_saveexec_b64 s[44:45], vcc
	s_cbranch_execz .LBB1601_157
; %bb.156:
	v_mov_b32_e32 v6, 0
	ds_write_b64 v6, v[2:3]
	ds_write_b8 v6, v4 offset:8
.LBB1601_157:
	s_or_b64 exec, exec, s[44:45]
	v_add_u32_e32 v6, -1, v5
	v_and_b32_e32 v7, 64, v5
	v_cmp_lt_i32_e32 vcc, v6, v7
	v_cndmask_b32_e32 v6, v6, v5, vcc
	v_lshlrev_b32_e32 v6, 2, v6
	ds_bpermute_b32 v12, v6, v2
	v_and_b32_e32 v2, 0xffff, v4
	ds_bpermute_b32 v13, v6, v3
	ds_bpermute_b32 v14, v6, v2
	v_cmp_gt_u32_e32 vcc, 64, v0
	s_waitcnt lgkmcnt(0)
	; wave barrier
	s_waitcnt lgkmcnt(0)
	s_and_saveexec_b64 s[58:59], vcc
	s_cbranch_execz .LBB1601_200
; %bb.158:
	v_mov_b32_e32 v7, 0
	ds_read_b64 v[2:3], v7
	ds_read_u8 v15, v7 offset:8
	s_mov_b32 s61, 0
	v_cmp_eq_u32_e64 s[44:45], 0, v5
	s_and_saveexec_b64 s[46:47], s[44:45]
	s_cbranch_execz .LBB1601_160
; %bb.159:
	s_add_i32 s60, s55, 64
	s_lshl_b64 s[64:65], s[60:61], 4
	s_add_u32 s64, s48, s64
	s_addc_u32 s65, s49, s65
	v_mov_b32_e32 v4, s60
	v_mov_b32_e32 v6, 1
	s_waitcnt lgkmcnt(1)
	global_store_dwordx2 v7, v[2:3], s[64:65]
	s_waitcnt lgkmcnt(0)
	global_store_byte v7, v15, s[64:65] offset:8
	s_waitcnt vmcnt(0)
	buffer_wbinvl1_vol
	global_store_byte v4, v6, s[52:53]
.LBB1601_160:
	s_or_b64 exec, exec, s[46:47]
	v_xad_u32 v4, v5, -1, s55
	v_add_u32_e32 v6, 64, v4
	global_load_ubyte v16, v6, s[52:53] glc
	s_waitcnt vmcnt(0)
	v_cmp_eq_u16_e32 vcc, 0, v16
	s_and_saveexec_b64 s[46:47], vcc
	s_cbranch_execz .LBB1601_164
; %bb.161:
	v_mov_b32_e32 v9, s53
	v_add_co_u32_e32 v8, vcc, s52, v6
	v_addc_co_u32_e32 v9, vcc, 0, v9, vcc
	s_mov_b64 s[60:61], 0
.LBB1601_162:                           ; =>This Inner Loop Header: Depth=1
	global_load_ubyte v16, v[8:9], off glc
	s_waitcnt vmcnt(0)
	v_cmp_ne_u16_e32 vcc, 0, v16
	s_or_b64 s[60:61], vcc, s[60:61]
	s_andn2_b64 exec, exec, s[60:61]
	s_cbranch_execnz .LBB1601_162
; %bb.163:
	s_or_b64 exec, exec, s[60:61]
.LBB1601_164:
	s_or_b64 exec, exec, s[46:47]
	v_mov_b32_e32 v8, s51
	v_mov_b32_e32 v9, s49
	v_cmp_eq_u16_e32 vcc, 1, v16
	v_cndmask_b32_e32 v8, v8, v9, vcc
	v_mov_b32_e32 v9, s50
	v_mov_b32_e32 v10, s48
	v_cndmask_b32_e32 v9, v9, v10, vcc
	v_lshlrev_b64 v[6:7], 4, v[6:7]
	v_add_co_u32_e32 v6, vcc, v9, v6
	v_addc_co_u32_e32 v7, vcc, v8, v7, vcc
	s_waitcnt lgkmcnt(0)
	buffer_wbinvl1_vol
	global_load_dwordx2 v[10:11], v[6:7], off
	global_load_ubyte v31, v[6:7], off offset:8
	v_cmp_eq_u16_e32 vcc, 2, v16
	v_lshlrev_b64 v[6:7], v5, -1
	v_and_b32_e32 v17, 63, v5
	v_and_b32_e32 v8, vcc_hi, v7
	v_and_b32_e32 v22, vcc_lo, v6
	v_cmp_ne_u32_e32 vcc, 63, v17
	v_addc_co_u32_e32 v9, vcc, 0, v5, vcc
	v_lshlrev_b32_e32 v18, 2, v9
	v_or_b32_e32 v8, 0x80000000, v8
	v_ffbl_b32_e32 v8, v8
	v_add_u32_e32 v8, 32, v8
	v_ffbl_b32_e32 v22, v22
	v_min_u32_e32 v8, v22, v8
	v_cmp_lt_u32_e32 vcc, v17, v8
	s_waitcnt vmcnt(1)
	ds_bpermute_b32 v20, v18, v10
	s_waitcnt vmcnt(0)
	v_and_b32_e32 v9, 1, v31
	ds_bpermute_b32 v21, v18, v11
	ds_bpermute_b32 v19, v18, v9
	s_and_saveexec_b64 s[46:47], vcc
	s_cbranch_execz .LBB1601_166
; %bb.165:
	v_mov_b32_e32 v9, 0
	v_cmp_eq_u16_sdwa vcc, v31, v9 src0_sel:BYTE_0 src1_sel:DWORD
	s_waitcnt lgkmcnt(2)
	v_cndmask_b32_e32 v20, 0, v20, vcc
	s_waitcnt lgkmcnt(1)
	v_cndmask_b32_e32 v9, 0, v21, vcc
	v_add_co_u32_e32 v10, vcc, v20, v10
	v_addc_co_u32_e32 v11, vcc, v9, v11, vcc
	s_waitcnt lgkmcnt(0)
	v_and_b32_e32 v9, 1, v19
	v_or_b32_e32 v31, v9, v31
	v_and_b32_e32 v9, 0xff, v31
.LBB1601_166:
	s_or_b64 exec, exec, s[46:47]
	v_cmp_gt_u32_e32 vcc, 62, v17
	s_waitcnt lgkmcnt(0)
	v_cndmask_b32_e64 v19, 0, 1, vcc
	v_lshlrev_b32_e32 v19, 1, v19
	v_add_lshl_u32 v19, v19, v5, 2
	ds_bpermute_b32 v22, v19, v10
	ds_bpermute_b32 v23, v19, v11
	ds_bpermute_b32 v21, v19, v9
	v_add_u32_e32 v20, 2, v17
	v_cmp_le_u32_e32 vcc, v20, v8
	s_and_saveexec_b64 s[60:61], vcc
	s_cbranch_execz .LBB1601_168
; %bb.167:
	v_mov_b32_e32 v9, 0
	v_cmp_eq_u16_sdwa vcc, v31, v9 src0_sel:BYTE_0 src1_sel:DWORD
	s_waitcnt lgkmcnt(2)
	v_cndmask_b32_e32 v22, 0, v22, vcc
	s_waitcnt lgkmcnt(1)
	v_cndmask_b32_e32 v9, 0, v23, vcc
	v_add_co_u32_e32 v10, vcc, v22, v10
	v_addc_co_u32_e32 v11, vcc, v9, v11, vcc
	v_and_b32_e32 v9, 1, v31
	v_cmp_eq_u32_e32 vcc, 1, v9
	s_waitcnt lgkmcnt(0)
	v_and_b32_e32 v9, 1, v21
	v_cmp_eq_u32_e64 s[46:47], 1, v9
	s_or_b64 s[46:47], vcc, s[46:47]
	v_cndmask_b32_e64 v31, 0, 1, s[46:47]
	v_cndmask_b32_e64 v9, 0, 1, s[46:47]
.LBB1601_168:
	s_or_b64 exec, exec, s[60:61]
	v_cmp_gt_u32_e32 vcc, 60, v17
	s_waitcnt lgkmcnt(0)
	v_cndmask_b32_e64 v21, 0, 1, vcc
	v_lshlrev_b32_e32 v21, 2, v21
	v_add_lshl_u32 v21, v21, v5, 2
	ds_bpermute_b32 v24, v21, v10
	ds_bpermute_b32 v25, v21, v11
	ds_bpermute_b32 v23, v21, v9
	v_add_u32_e32 v22, 4, v17
	v_cmp_le_u32_e32 vcc, v22, v8
	s_and_saveexec_b64 s[60:61], vcc
	s_cbranch_execz .LBB1601_170
; %bb.169:
	v_mov_b32_e32 v9, 0
	v_cmp_eq_u16_sdwa vcc, v31, v9 src0_sel:BYTE_0 src1_sel:DWORD
	s_waitcnt lgkmcnt(2)
	v_cndmask_b32_e32 v24, 0, v24, vcc
	s_waitcnt lgkmcnt(1)
	v_cndmask_b32_e32 v9, 0, v25, vcc
	v_add_co_u32_e32 v10, vcc, v24, v10
	v_addc_co_u32_e32 v11, vcc, v9, v11, vcc
	v_and_b32_e32 v9, 1, v31
	v_cmp_eq_u32_e32 vcc, 1, v9
	s_waitcnt lgkmcnt(0)
	v_and_b32_e32 v9, 1, v23
	v_cmp_eq_u32_e64 s[46:47], 1, v9
	s_or_b64 s[46:47], vcc, s[46:47]
	v_cndmask_b32_e64 v31, 0, 1, s[46:47]
	v_cndmask_b32_e64 v9, 0, 1, s[46:47]
.LBB1601_170:
	;; [unrolled: 31-line block ×4, first 2 shown]
	s_or_b64 exec, exec, s[60:61]
	v_cmp_gt_u32_e32 vcc, 32, v17
	s_waitcnt lgkmcnt(0)
	v_cndmask_b32_e64 v27, 0, 1, vcc
	v_lshlrev_b32_e32 v27, 5, v27
	v_add_lshl_u32 v28, v27, v5, 2
	ds_bpermute_b32 v27, v28, v10
	ds_bpermute_b32 v30, v28, v11
	;; [unrolled: 1-line block ×3, first 2 shown]
	v_add_u32_e32 v29, 32, v17
	v_cmp_le_u32_e32 vcc, v29, v8
	s_and_saveexec_b64 s[60:61], vcc
	s_cbranch_execz .LBB1601_176
; %bb.175:
	v_mov_b32_e32 v8, 0
	v_cmp_eq_u16_sdwa vcc, v31, v8 src0_sel:BYTE_0 src1_sel:DWORD
	s_waitcnt lgkmcnt(2)
	v_cndmask_b32_e32 v9, 0, v27, vcc
	s_waitcnt lgkmcnt(1)
	v_cndmask_b32_e32 v8, 0, v30, vcc
	v_add_co_u32_e32 v10, vcc, v9, v10
	v_addc_co_u32_e32 v11, vcc, v8, v11, vcc
	v_and_b32_e32 v8, 1, v31
	s_waitcnt lgkmcnt(0)
	v_and_b32_e32 v5, 1, v5
	v_cmp_eq_u32_e32 vcc, 1, v8
	v_cmp_eq_u32_e64 s[46:47], 1, v5
	s_or_b64 s[46:47], vcc, s[46:47]
	v_cndmask_b32_e64 v31, 0, 1, s[46:47]
.LBB1601_176:
	s_or_b64 exec, exec, s[60:61]
	s_waitcnt lgkmcnt(0)
	v_mov_b32_e32 v5, 0
	v_mov_b32_e32 v30, 2
	s_branch .LBB1601_178
.LBB1601_177:                           ;   in Loop: Header=BB1601_178 Depth=1
	s_or_b64 exec, exec, s[64:65]
	v_cmp_eq_u16_sdwa vcc, v27, v5 src0_sel:BYTE_0 src1_sel:DWORD
	v_cndmask_b32_e32 v10, 0, v10, vcc
	v_cndmask_b32_e32 v11, 0, v11, vcc
	v_add_co_u32_e32 v10, vcc, v10, v8
	v_addc_co_u32_e32 v11, vcc, v11, v9, vcc
	v_and_b32_e32 v31, 1, v27
	v_cmp_eq_u32_e32 vcc, 1, v31
	s_or_b64 s[46:47], vcc, s[60:61]
	v_subrev_u32_e32 v4, 64, v4
	v_cndmask_b32_e64 v31, 0, 1, s[46:47]
.LBB1601_178:                           ; =>This Loop Header: Depth=1
                                        ;     Child Loop BB1601_181 Depth 2
	v_cmp_ne_u16_sdwa s[46:47], v16, v30 src0_sel:BYTE_0 src1_sel:DWORD
	v_cndmask_b32_e64 v8, 0, 1, s[46:47]
	;;#ASMSTART
	;;#ASMEND
	v_cmp_ne_u32_e32 vcc, 0, v8
	v_mov_b32_e32 v27, v31
	s_cmp_lg_u64 vcc, exec
	v_pk_mov_b32 v[8:9], v[10:11], v[10:11] op_sel:[0,1]
	s_cbranch_scc1 .LBB1601_195
; %bb.179:                              ;   in Loop: Header=BB1601_178 Depth=1
	global_load_ubyte v16, v4, s[52:53] glc
	s_waitcnt vmcnt(0)
	v_cmp_eq_u16_e32 vcc, 0, v16
	s_and_saveexec_b64 s[46:47], vcc
	s_cbranch_execz .LBB1601_183
; %bb.180:                              ;   in Loop: Header=BB1601_178 Depth=1
	v_mov_b32_e32 v11, s53
	v_add_co_u32_e32 v10, vcc, s52, v4
	v_addc_co_u32_e32 v11, vcc, 0, v11, vcc
	s_mov_b64 s[60:61], 0
.LBB1601_181:                           ;   Parent Loop BB1601_178 Depth=1
                                        ; =>  This Inner Loop Header: Depth=2
	global_load_ubyte v16, v[10:11], off glc
	s_waitcnt vmcnt(0)
	v_cmp_ne_u16_e32 vcc, 0, v16
	s_or_b64 s[60:61], vcc, s[60:61]
	s_andn2_b64 exec, exec, s[60:61]
	s_cbranch_execnz .LBB1601_181
; %bb.182:                              ;   in Loop: Header=BB1601_178 Depth=1
	s_or_b64 exec, exec, s[60:61]
.LBB1601_183:                           ;   in Loop: Header=BB1601_178 Depth=1
	s_or_b64 exec, exec, s[46:47]
	v_mov_b32_e32 v10, s51
	v_mov_b32_e32 v11, s49
	v_cmp_eq_u16_e32 vcc, 1, v16
	v_cndmask_b32_e32 v31, v10, v11, vcc
	v_mov_b32_e32 v10, s50
	v_mov_b32_e32 v11, s48
	v_cndmask_b32_e32 v32, v10, v11, vcc
	v_lshlrev_b64 v[10:11], 4, v[4:5]
	v_add_co_u32_e32 v32, vcc, v32, v10
	s_waitcnt lgkmcnt(0)
	v_addc_co_u32_e32 v33, vcc, v31, v11, vcc
	buffer_wbinvl1_vol
	global_load_dwordx2 v[10:11], v[32:33], off
	global_load_ubyte v31, v[32:33], off offset:8
	v_cmp_eq_u16_e32 vcc, 2, v16
	v_and_b32_e32 v32, vcc_hi, v7
	v_or_b32_e32 v32, 0x80000000, v32
	v_and_b32_e32 v37, vcc_lo, v6
	v_ffbl_b32_e32 v32, v32
	v_add_u32_e32 v32, 32, v32
	v_ffbl_b32_e32 v37, v37
	v_min_u32_e32 v32, v37, v32
	v_cmp_lt_u32_e32 vcc, v17, v32
	s_waitcnt vmcnt(1)
	ds_bpermute_b32 v35, v18, v10
	s_waitcnt vmcnt(0)
	v_and_b32_e32 v33, 1, v31
	ds_bpermute_b32 v36, v18, v11
	ds_bpermute_b32 v34, v18, v33
	s_and_saveexec_b64 s[46:47], vcc
	s_cbranch_execz .LBB1601_185
; %bb.184:                              ;   in Loop: Header=BB1601_178 Depth=1
	v_cmp_eq_u16_sdwa vcc, v31, v5 src0_sel:BYTE_0 src1_sel:DWORD
	s_waitcnt lgkmcnt(2)
	v_cndmask_b32_e32 v35, 0, v35, vcc
	s_waitcnt lgkmcnt(1)
	v_cndmask_b32_e32 v33, 0, v36, vcc
	v_add_co_u32_e32 v10, vcc, v35, v10
	v_addc_co_u32_e32 v11, vcc, v33, v11, vcc
	s_waitcnt lgkmcnt(0)
	v_and_b32_e32 v33, 1, v34
	v_or_b32_e32 v31, v33, v31
	v_and_b32_e32 v33, 0xff, v31
.LBB1601_185:                           ;   in Loop: Header=BB1601_178 Depth=1
	s_or_b64 exec, exec, s[46:47]
	s_waitcnt lgkmcnt(2)
	ds_bpermute_b32 v35, v19, v10
	s_waitcnt lgkmcnt(2)
	ds_bpermute_b32 v36, v19, v11
	;; [unrolled: 2-line block ×3, first 2 shown]
	v_and_b32_e32 v37, 1, v31
	v_cmp_le_u32_e32 vcc, v20, v32
	v_cmp_eq_u32_e64 s[60:61], 1, v37
	s_and_saveexec_b64 s[46:47], vcc
	s_cbranch_execz .LBB1601_187
; %bb.186:                              ;   in Loop: Header=BB1601_178 Depth=1
	v_cmp_eq_u16_sdwa vcc, v31, v5 src0_sel:BYTE_0 src1_sel:DWORD
	s_waitcnt lgkmcnt(2)
	v_cndmask_b32_e32 v33, 0, v35, vcc
	s_waitcnt lgkmcnt(1)
	v_cndmask_b32_e32 v31, 0, v36, vcc
	v_add_co_u32_e32 v10, vcc, v33, v10
	v_addc_co_u32_e32 v11, vcc, v31, v11, vcc
	s_waitcnt lgkmcnt(0)
	v_and_b32_e32 v31, 1, v34
	v_cmp_eq_u32_e32 vcc, 1, v31
	s_or_b64 s[64:65], s[60:61], vcc
	v_cndmask_b32_e64 v31, 0, 1, s[64:65]
	v_cndmask_b32_e64 v33, 0, 1, s[64:65]
	s_andn2_b64 s[60:61], s[60:61], exec
	s_and_b64 s[64:65], s[64:65], exec
	s_or_b64 s[60:61], s[60:61], s[64:65]
.LBB1601_187:                           ;   in Loop: Header=BB1601_178 Depth=1
	s_or_b64 exec, exec, s[46:47]
	s_waitcnt lgkmcnt(2)
	ds_bpermute_b32 v35, v21, v10
	s_waitcnt lgkmcnt(2)
	ds_bpermute_b32 v36, v21, v11
	s_waitcnt lgkmcnt(2)
	ds_bpermute_b32 v34, v21, v33
	v_cmp_le_u32_e32 vcc, v22, v32
	s_and_saveexec_b64 s[64:65], vcc
	s_cbranch_execz .LBB1601_189
; %bb.188:                              ;   in Loop: Header=BB1601_178 Depth=1
	v_cmp_eq_u16_sdwa vcc, v31, v5 src0_sel:BYTE_0 src1_sel:DWORD
	s_waitcnt lgkmcnt(2)
	v_cndmask_b32_e32 v35, 0, v35, vcc
	s_waitcnt lgkmcnt(1)
	v_cndmask_b32_e32 v33, 0, v36, vcc
	v_add_co_u32_e32 v10, vcc, v35, v10
	v_addc_co_u32_e32 v11, vcc, v33, v11, vcc
	v_and_b32_e32 v31, 1, v31
	v_cmp_eq_u32_e32 vcc, 1, v31
	s_waitcnt lgkmcnt(0)
	v_and_b32_e32 v31, 1, v34
	v_cmp_eq_u32_e64 s[46:47], 1, v31
	s_or_b64 s[46:47], vcc, s[46:47]
	v_cndmask_b32_e64 v31, 0, 1, s[46:47]
	v_cndmask_b32_e64 v33, 0, 1, s[46:47]
	s_andn2_b64 s[60:61], s[60:61], exec
	s_and_b64 s[46:47], s[46:47], exec
	s_or_b64 s[60:61], s[60:61], s[46:47]
.LBB1601_189:                           ;   in Loop: Header=BB1601_178 Depth=1
	s_or_b64 exec, exec, s[64:65]
	s_waitcnt lgkmcnt(2)
	ds_bpermute_b32 v35, v23, v10
	s_waitcnt lgkmcnt(2)
	ds_bpermute_b32 v36, v23, v11
	s_waitcnt lgkmcnt(2)
	ds_bpermute_b32 v34, v23, v33
	v_cmp_le_u32_e32 vcc, v24, v32
	s_and_saveexec_b64 s[64:65], vcc
	s_cbranch_execz .LBB1601_191
; %bb.190:                              ;   in Loop: Header=BB1601_178 Depth=1
	v_cmp_eq_u16_sdwa vcc, v31, v5 src0_sel:BYTE_0 src1_sel:DWORD
	s_waitcnt lgkmcnt(2)
	v_cndmask_b32_e32 v35, 0, v35, vcc
	s_waitcnt lgkmcnt(1)
	v_cndmask_b32_e32 v33, 0, v36, vcc
	v_add_co_u32_e32 v10, vcc, v35, v10
	v_addc_co_u32_e32 v11, vcc, v33, v11, vcc
	v_and_b32_e32 v31, 1, v31
	v_cmp_eq_u32_e32 vcc, 1, v31
	s_waitcnt lgkmcnt(0)
	v_and_b32_e32 v31, 1, v34
	v_cmp_eq_u32_e64 s[46:47], 1, v31
	s_or_b64 s[46:47], vcc, s[46:47]
	v_cndmask_b32_e64 v31, 0, 1, s[46:47]
	v_cndmask_b32_e64 v33, 0, 1, s[46:47]
	s_andn2_b64 s[60:61], s[60:61], exec
	s_and_b64 s[46:47], s[46:47], exec
	s_or_b64 s[60:61], s[60:61], s[46:47]
.LBB1601_191:                           ;   in Loop: Header=BB1601_178 Depth=1
	;; [unrolled: 30-line block ×3, first 2 shown]
	s_or_b64 exec, exec, s[64:65]
	s_waitcnt lgkmcnt(0)
	ds_bpermute_b32 v34, v28, v10
	ds_bpermute_b32 v35, v28, v11
	;; [unrolled: 1-line block ×3, first 2 shown]
	v_cmp_le_u32_e32 vcc, v29, v32
	s_and_saveexec_b64 s[64:65], vcc
	s_cbranch_execz .LBB1601_177
; %bb.194:                              ;   in Loop: Header=BB1601_178 Depth=1
	v_cmp_eq_u16_sdwa vcc, v31, v5 src0_sel:BYTE_0 src1_sel:DWORD
	s_waitcnt lgkmcnt(2)
	v_cndmask_b32_e32 v34, 0, v34, vcc
	s_waitcnt lgkmcnt(1)
	v_cndmask_b32_e32 v32, 0, v35, vcc
	v_add_co_u32_e32 v10, vcc, v34, v10
	v_addc_co_u32_e32 v11, vcc, v32, v11, vcc
	v_and_b32_e32 v31, 1, v31
	v_cmp_eq_u32_e32 vcc, 1, v31
	s_waitcnt lgkmcnt(0)
	v_and_b32_e32 v31, 1, v33
	v_cmp_eq_u32_e64 s[46:47], 1, v31
	s_or_b64 s[46:47], vcc, s[46:47]
	s_andn2_b64 s[60:61], s[60:61], exec
	s_and_b64 s[46:47], s[46:47], exec
	s_or_b64 s[60:61], s[60:61], s[46:47]
	s_branch .LBB1601_177
.LBB1601_195:                           ;   in Loop: Header=BB1601_178 Depth=1
                                        ; implicit-def: $vgpr31
                                        ; implicit-def: $vgpr10_vgpr11
                                        ; implicit-def: $vgpr16
	s_cbranch_execz .LBB1601_178
; %bb.196:
	s_and_saveexec_b64 s[46:47], s[44:45]
	s_cbranch_execz .LBB1601_198
; %bb.197:
	v_mov_b32_e32 v4, 0
	s_mov_b32 s45, 0
	v_cmp_eq_u16_sdwa vcc, v15, v4 src0_sel:BYTE_0 src1_sel:DWORD
	s_add_i32 s44, s55, 64
	v_cndmask_b32_e32 v6, 0, v8, vcc
	s_lshl_b64 s[48:49], s[44:45], 4
	v_cndmask_b32_e32 v5, 0, v9, vcc
	v_add_co_u32_e32 v2, vcc, v6, v2
	s_add_u32 s48, s50, s48
	v_addc_co_u32_e32 v3, vcc, v5, v3, vcc
	v_or_b32_e32 v5, v15, v27
	s_addc_u32 s49, s51, s49
	v_and_b32_e32 v5, 1, v5
	global_store_dwordx2 v4, v[2:3], s[48:49]
	global_store_byte v4, v5, s[48:49] offset:8
	v_mov_b32_e32 v2, s44
	v_mov_b32_e32 v3, 2
	s_waitcnt vmcnt(0) lgkmcnt(0)
	buffer_wbinvl1_vol
	global_store_byte v2, v3, s[52:53]
.LBB1601_198:
	s_or_b64 exec, exec, s[46:47]
	s_and_b64 exec, exec, s[0:1]
	s_cbranch_execz .LBB1601_200
; %bb.199:
	v_mov_b32_e32 v2, 0
	ds_write_b64 v2, v[8:9]
	ds_write_b8 v2, v27 offset:8
.LBB1601_200:
	s_or_b64 exec, exec, s[58:59]
	v_mov_b32_e32 v4, 0
	s_waitcnt lgkmcnt(0)
	; wave barrier
	s_waitcnt lgkmcnt(0)
	ds_read_b64 v[2:3], v4
	v_cmp_eq_u32_sdwa vcc, v14, v4 src0_sel:BYTE_0 src1_sel:DWORD
	s_waitcnt lgkmcnt(0)
	v_cndmask_b32_e32 v6, 0, v2, vcc
	v_cndmask_b32_e32 v5, 0, v3, vcc
	v_add_co_u32_e32 v6, vcc, v12, v6
	v_addc_co_u32_e32 v5, vcc, v13, v5, vcc
	v_cndmask_b32_e64 v86, v6, v2, s[0:1]
	v_cmp_eq_u16_sdwa vcc, v1, v4 src0_sel:BYTE_0 src1_sel:DWORD
	v_cndmask_b32_e64 v87, v5, v3, s[0:1]
	v_cndmask_b32_e32 v3, 0, v86, vcc
	v_cndmask_b32_e32 v2, 0, v87, vcc
	v_add_co_u32_e32 v4, vcc, v3, v44
	v_addc_co_u32_e32 v5, vcc, v2, v45, vcc
	v_cndmask_b32_e64 v3, 0, v4, s[42:43]
	v_cndmask_b32_e64 v2, 0, v5, s[42:43]
	v_add_co_u32_e32 v6, vcc, v3, v48
	v_addc_co_u32_e32 v7, vcc, v2, v49, vcc
	v_cndmask_b32_e64 v3, 0, v6, s[40:41]
	v_cndmask_b32_e64 v2, 0, v7, s[40:41]
	;; [unrolled: 4-line block ×19, first 2 shown]
	s_branch .LBB1601_221
.LBB1601_201:
                                        ; implicit-def: $vgpr86_vgpr87
                                        ; implicit-def: $vgpr106_vgpr107
                                        ; implicit-def: $vgpr104_vgpr105
                                        ; implicit-def: $vgpr102_vgpr103
                                        ; implicit-def: $vgpr100_vgpr101
                                        ; implicit-def: $vgpr98_vgpr99
                                        ; implicit-def: $vgpr96_vgpr97
                                        ; implicit-def: $vgpr94_vgpr95
                                        ; implicit-def: $vgpr92_vgpr93
                                        ; implicit-def: $vgpr90_vgpr91
                                        ; implicit-def: $vgpr88_vgpr89
                                        ; implicit-def: $vgpr38_vgpr39_vgpr40_vgpr41
                                        ; implicit-def: $vgpr34_vgpr35_vgpr36_vgpr37
                                        ; implicit-def: $vgpr30_vgpr31_vgpr32_vgpr33
                                        ; implicit-def: $vgpr26_vgpr27_vgpr28_vgpr29
                                        ; implicit-def: $vgpr22_vgpr23_vgpr24_vgpr25
                                        ; implicit-def: $vgpr18_vgpr19_vgpr20_vgpr21
                                        ; implicit-def: $vgpr14_vgpr15_vgpr16_vgpr17
                                        ; implicit-def: $vgpr10_vgpr11_vgpr12_vgpr13
                                        ; implicit-def: $vgpr6_vgpr7_vgpr8_vgpr9
                                        ; implicit-def: $vgpr2_vgpr3_vgpr4_vgpr5
	s_cbranch_execz .LBB1601_221
; %bb.202:
	s_cmp_lg_u64 s[70:71], 0
	s_cselect_b32 s5, s67, 0
	s_cselect_b32 s4, s66, 0
	s_cmp_eq_u64 s[4:5], 0
	v_pk_mov_b32 v[2:3], s[68:69], s[68:69] op_sel:[0,1]
	s_cbranch_scc1 .LBB1601_204
; %bb.203:
	v_mov_b32_e32 v2, 0
	global_load_dwordx2 v[2:3], v2, s[4:5]
.LBB1601_204:
	v_mov_b32_e32 v4, 0
	v_cmp_eq_u16_sdwa s[40:41], v108, v4 src0_sel:BYTE_0 src1_sel:DWORD
	v_cndmask_b32_e64 v6, 0, v44, s[40:41]
	v_cndmask_b32_e64 v5, 0, v45, s[40:41]
	v_add_co_u32_e32 v6, vcc, v6, v48
	v_cmp_eq_u16_sdwa s[38:39], v109, v4 src0_sel:BYTE_0 src1_sel:DWORD
	v_addc_co_u32_e32 v5, vcc, v5, v49, vcc
	v_cndmask_b32_e64 v6, 0, v6, s[38:39]
	v_cndmask_b32_e64 v5, 0, v5, s[38:39]
	v_add_co_u32_e32 v6, vcc, v6, v50
	v_cmp_eq_u16_sdwa s[36:37], v111, v4 src0_sel:BYTE_0 src1_sel:DWORD
	v_addc_co_u32_e32 v5, vcc, v5, v51, vcc
	;; [unrolled: 5-line block ×17, first 2 shown]
	v_cndmask_b32_e64 v6, 0, v6, s[4:5]
	v_cndmask_b32_e64 v5, 0, v5, s[4:5]
	v_add_co_u32_e32 v6, vcc, v6, v82
	v_addc_co_u32_e32 v5, vcc, v5, v83, vcc
	v_cmp_eq_u16_sdwa vcc, v110, v4 src0_sel:BYTE_0 src1_sel:DWORD
	v_cndmask_b32_e32 v6, 0, v6, vcc
	v_cndmask_b32_e32 v5, 0, v5, vcc
	v_add_co_u32_e64 v6, s[42:43], v6, v46
	v_addc_co_u32_e64 v5, s[42:43], v5, v47, s[42:43]
	v_cmp_eq_u16_sdwa s[42:43], v127, v4 src0_sel:BYTE_0 src1_sel:DWORD
	v_cndmask_b32_e64 v4, 0, v6, s[42:43]
	v_or_b32_e32 v6, v129, v125
	v_or_b32_e32 v6, v6, v124
	;; [unrolled: 1-line block ×18, first 2 shown]
	v_cndmask_b32_e64 v5, 0, v5, s[42:43]
	v_add_co_u32_e64 v4, s[42:43], v4, v84
	v_and_b32_e32 v7, 1, v6
	v_mbcnt_hi_u32_b32 v6, -1, v128
	v_addc_co_u32_e64 v5, s[42:43], v5, v85, s[42:43]
	v_and_b32_e32 v9, 15, v6
	v_cmp_eq_u32_e64 s[42:43], 1, v7
	v_mov_b32_dpp v11, v4 row_shr:1 row_mask:0xf bank_mask:0xf
	v_mov_b32_dpp v12, v5 row_shr:1 row_mask:0xf bank_mask:0xf
	;; [unrolled: 1-line block ×3, first 2 shown]
	v_cmp_ne_u32_e64 s[44:45], 0, v9
	v_mov_b32_e32 v8, v7
	s_and_saveexec_b64 s[46:47], s[44:45]
; %bb.205:
	v_cndmask_b32_e64 v11, v11, 0, s[42:43]
	v_cndmask_b32_e64 v8, v12, 0, s[42:43]
	v_add_co_u32_e64 v4, s[42:43], v11, v4
	v_addc_co_u32_e64 v5, s[42:43], v8, v5, s[42:43]
	v_and_b32_e32 v8, 1, v10
	v_or_b32_e32 v7, v8, v7
	v_and_b32_e32 v8, 0xffff, v7
; %bb.206:
	s_or_b64 exec, exec, s[46:47]
	v_mov_b32_dpp v11, v4 row_shr:2 row_mask:0xf bank_mask:0xf
	v_mov_b32_dpp v12, v5 row_shr:2 row_mask:0xf bank_mask:0xf
	v_mov_b32_dpp v10, v8 row_shr:2 row_mask:0xf bank_mask:0xf
	v_cmp_lt_u32_e64 s[42:43], 1, v9
	s_and_saveexec_b64 s[46:47], s[42:43]
	s_cbranch_execz .LBB1601_208
; %bb.207:
	v_cmp_eq_u16_e64 s[42:43], 0, v7
	v_cndmask_b32_e64 v11, 0, v11, s[42:43]
	v_cndmask_b32_e64 v8, 0, v12, s[42:43]
	v_add_co_u32_e64 v4, s[42:43], v11, v4
	v_addc_co_u32_e64 v5, s[42:43], v8, v5, s[42:43]
	v_and_b32_e32 v7, 1, v7
	v_cmp_eq_u32_e64 s[42:43], 1, v7
	v_and_b32_e32 v7, 1, v10
	v_cmp_eq_u32_e64 s[44:45], 1, v7
	s_or_b64 s[42:43], s[42:43], s[44:45]
	v_cndmask_b32_e64 v7, 0, 1, s[42:43]
	v_cndmask_b32_e64 v8, 0, 1, s[42:43]
.LBB1601_208:
	s_or_b64 exec, exec, s[46:47]
	v_mov_b32_dpp v11, v4 row_shr:4 row_mask:0xf bank_mask:0xf
	v_mov_b32_dpp v12, v5 row_shr:4 row_mask:0xf bank_mask:0xf
	v_mov_b32_dpp v10, v8 row_shr:4 row_mask:0xf bank_mask:0xf
	v_cmp_lt_u32_e64 s[42:43], 3, v9
	s_and_saveexec_b64 s[46:47], s[42:43]
	s_cbranch_execz .LBB1601_210
; %bb.209:
	v_cmp_eq_u16_e64 s[42:43], 0, v7
	v_cndmask_b32_e64 v11, 0, v11, s[42:43]
	v_cndmask_b32_e64 v8, 0, v12, s[42:43]
	v_add_co_u32_e64 v4, s[42:43], v11, v4
	v_addc_co_u32_e64 v5, s[42:43], v8, v5, s[42:43]
	v_and_b32_e32 v7, 1, v7
	v_cmp_eq_u32_e64 s[42:43], 1, v7
	v_and_b32_e32 v7, 1, v10
	v_cmp_eq_u32_e64 s[44:45], 1, v7
	s_or_b64 s[42:43], s[42:43], s[44:45]
	v_cndmask_b32_e64 v7, 0, 1, s[42:43]
	v_cndmask_b32_e64 v8, 0, 1, s[42:43]
.LBB1601_210:
	;; [unrolled: 21-line block ×3, first 2 shown]
	s_or_b64 exec, exec, s[46:47]
	v_and_b32_e32 v12, 16, v6
	v_mov_b32_dpp v10, v4 row_bcast:15 row_mask:0xf bank_mask:0xf
	v_mov_b32_dpp v11, v5 row_bcast:15 row_mask:0xf bank_mask:0xf
	;; [unrolled: 1-line block ×3, first 2 shown]
	v_cmp_ne_u32_e64 s[42:43], 0, v12
	s_and_saveexec_b64 s[46:47], s[42:43]
	s_cbranch_execz .LBB1601_214
; %bb.213:
	v_cmp_eq_u16_e64 s[42:43], 0, v7
	v_cndmask_b32_e64 v10, 0, v10, s[42:43]
	v_cndmask_b32_e64 v8, 0, v11, s[42:43]
	v_add_co_u32_e64 v4, s[42:43], v10, v4
	v_addc_co_u32_e64 v5, s[42:43], v8, v5, s[42:43]
	v_and_b32_e32 v7, 1, v7
	v_cmp_eq_u32_e64 s[42:43], 1, v7
	v_and_b32_e32 v7, 1, v9
	v_cmp_eq_u32_e64 s[44:45], 1, v7
	s_or_b64 s[42:43], s[42:43], s[44:45]
	v_cndmask_b32_e64 v7, 0, 1, s[42:43]
	v_cndmask_b32_e64 v8, 0, 1, s[42:43]
.LBB1601_214:
	s_or_b64 exec, exec, s[46:47]
	v_mov_b32_dpp v9, v4 row_bcast:31 row_mask:0xf bank_mask:0xf
	v_mov_b32_dpp v10, v5 row_bcast:31 row_mask:0xf bank_mask:0xf
	;; [unrolled: 1-line block ×3, first 2 shown]
	v_cmp_lt_u32_e64 s[42:43], 31, v6
	s_and_saveexec_b64 s[46:47], s[42:43]
; %bb.215:
	v_cmp_eq_u16_e64 s[42:43], 0, v7
	v_cndmask_b32_e64 v9, 0, v9, s[42:43]
	v_cndmask_b32_e64 v10, 0, v10, s[42:43]
	v_add_co_u32_e64 v4, s[42:43], v9, v4
	v_addc_co_u32_e64 v5, s[42:43], v10, v5, s[42:43]
	v_and_b32_e32 v7, 1, v7
	v_cmp_eq_u32_e64 s[42:43], 1, v7
	v_and_b32_e32 v7, 1, v8
	v_cmp_eq_u32_e64 s[44:45], 1, v7
	s_or_b64 s[42:43], s[42:43], s[44:45]
	v_cndmask_b32_e64 v7, 0, 1, s[42:43]
; %bb.216:
	s_or_b64 exec, exec, s[46:47]
	v_cmp_eq_u32_e64 s[42:43], 63, v0
	s_and_saveexec_b64 s[44:45], s[42:43]
	s_cbranch_execz .LBB1601_218
; %bb.217:
	v_mov_b32_e32 v8, 0
	ds_write_b64 v8, v[4:5]
	ds_write_b8 v8, v7 offset:8
.LBB1601_218:
	s_or_b64 exec, exec, s[44:45]
	v_cmp_eq_u16_e64 s[42:43], 0, v7
	s_waitcnt vmcnt(0)
	v_cndmask_b32_e64 v8, 0, v2, s[42:43]
	v_cndmask_b32_e64 v7, 0, v3, s[42:43]
	v_add_co_u32_e64 v4, s[42:43], v8, v4
	v_addc_co_u32_e64 v5, s[42:43], v7, v5, s[42:43]
	v_add_u32_e32 v7, -1, v6
	v_and_b32_e32 v8, 64, v6
	v_cmp_lt_i32_e64 s[42:43], v7, v8
	v_cndmask_b32_e64 v7, v7, v6, s[42:43]
	v_lshlrev_b32_e32 v7, 2, v7
	ds_bpermute_b32 v5, v7, v5
	ds_bpermute_b32 v4, v7, v4
	v_cmp_eq_u32_e64 s[42:43], 0, v6
	s_or_b64 s[42:43], s[0:1], s[42:43]
	v_mov_b32_e32 v8, 0
	s_waitcnt lgkmcnt(1)
	v_cndmask_b32_e64 v87, v5, v3, s[42:43]
	s_waitcnt lgkmcnt(0)
	v_cndmask_b32_e64 v86, v4, v2, s[42:43]
	v_cmp_eq_u16_sdwa s[42:43], v1, v8 src0_sel:BYTE_0 src1_sel:DWORD
	v_cndmask_b32_e64 v4, 0, v86, s[42:43]
	v_cndmask_b32_e64 v1, 0, v87, s[42:43]
	v_add_co_u32_e64 v4, s[42:43], v4, v44
	v_addc_co_u32_e64 v5, s[42:43], v1, v45, s[42:43]
	v_cndmask_b32_e64 v6, 0, v4, s[40:41]
	v_cndmask_b32_e64 v1, 0, v5, s[40:41]
	v_add_co_u32_e64 v6, s[40:41], v6, v48
	v_addc_co_u32_e64 v7, s[40:41], v1, v49, s[40:41]
	v_cndmask_b32_e64 v9, 0, v6, s[38:39]
	v_cndmask_b32_e64 v1, 0, v7, s[38:39]
	v_add_co_u32_e64 v88, s[38:39], v9, v50
	v_addc_co_u32_e64 v89, s[38:39], v1, v51, s[38:39]
	v_cndmask_b32_e64 v9, 0, v88, s[36:37]
	v_cndmask_b32_e64 v1, 0, v89, s[36:37]
	v_add_co_u32_e64 v10, s[36:37], v9, v52
	v_addc_co_u32_e64 v11, s[36:37], v1, v53, s[36:37]
	v_cndmask_b32_e64 v9, 0, v10, s[34:35]
	v_cndmask_b32_e64 v1, 0, v11, s[34:35]
	v_add_co_u32_e64 v90, s[34:35], v9, v54
	v_addc_co_u32_e64 v91, s[34:35], v1, v55, s[34:35]
	v_cndmask_b32_e64 v9, 0, v90, s[30:31]
	v_cndmask_b32_e64 v1, 0, v91, s[30:31]
	v_add_co_u32_e64 v14, s[30:31], v9, v56
	v_addc_co_u32_e64 v15, s[30:31], v1, v57, s[30:31]
	v_cndmask_b32_e64 v9, 0, v14, s[28:29]
	v_cndmask_b32_e64 v1, 0, v15, s[28:29]
	v_add_co_u32_e64 v92, s[28:29], v9, v58
	v_addc_co_u32_e64 v93, s[28:29], v1, v59, s[28:29]
	v_cndmask_b32_e64 v9, 0, v92, s[26:27]
	v_cndmask_b32_e64 v1, 0, v93, s[26:27]
	v_add_co_u32_e64 v18, s[26:27], v9, v60
	v_addc_co_u32_e64 v19, s[26:27], v1, v61, s[26:27]
	v_cndmask_b32_e64 v9, 0, v18, s[24:25]
	v_cndmask_b32_e64 v1, 0, v19, s[24:25]
	v_add_co_u32_e64 v94, s[24:25], v9, v62
	v_addc_co_u32_e64 v95, s[24:25], v1, v63, s[24:25]
	v_cndmask_b32_e64 v9, 0, v94, s[22:23]
	v_cndmask_b32_e64 v1, 0, v95, s[22:23]
	v_add_co_u32_e64 v22, s[22:23], v9, v64
	v_addc_co_u32_e64 v23, s[22:23], v1, v65, s[22:23]
	v_cndmask_b32_e64 v9, 0, v22, s[20:21]
	v_cndmask_b32_e64 v1, 0, v23, s[20:21]
	v_add_co_u32_e64 v96, s[20:21], v9, v66
	v_addc_co_u32_e64 v97, s[20:21], v1, v67, s[20:21]
	v_cndmask_b32_e64 v9, 0, v96, s[18:19]
	v_cndmask_b32_e64 v1, 0, v97, s[18:19]
	v_add_co_u32_e64 v26, s[18:19], v9, v68
	v_addc_co_u32_e64 v27, s[18:19], v1, v69, s[18:19]
	v_cndmask_b32_e64 v9, 0, v26, s[16:17]
	v_cndmask_b32_e64 v1, 0, v27, s[16:17]
	v_add_co_u32_e64 v98, s[16:17], v9, v70
	v_addc_co_u32_e64 v99, s[16:17], v1, v71, s[16:17]
	v_cndmask_b32_e64 v9, 0, v98, s[14:15]
	v_cndmask_b32_e64 v1, 0, v99, s[14:15]
	v_add_co_u32_e64 v30, s[14:15], v9, v72
	v_addc_co_u32_e64 v31, s[14:15], v1, v73, s[14:15]
	v_cndmask_b32_e64 v9, 0, v30, s[12:13]
	v_cndmask_b32_e64 v1, 0, v31, s[12:13]
	v_add_co_u32_e64 v100, s[12:13], v9, v74
	v_addc_co_u32_e64 v101, s[12:13], v1, v75, s[12:13]
	v_cndmask_b32_e64 v9, 0, v100, s[10:11]
	v_cndmask_b32_e64 v1, 0, v101, s[10:11]
	v_add_co_u32_e64 v34, s[10:11], v9, v76
	v_addc_co_u32_e64 v35, s[10:11], v1, v77, s[10:11]
	v_cndmask_b32_e64 v9, 0, v34, s[8:9]
	v_cndmask_b32_e64 v1, 0, v35, s[8:9]
	v_add_co_u32_e64 v102, s[8:9], v9, v78
	v_addc_co_u32_e64 v103, s[8:9], v1, v79, s[8:9]
	v_cndmask_b32_e64 v9, 0, v102, s[6:7]
	v_cndmask_b32_e64 v1, 0, v103, s[6:7]
	v_add_co_u32_e64 v38, s[6:7], v9, v80
	v_addc_co_u32_e64 v39, s[6:7], v1, v81, s[6:7]
	v_cndmask_b32_e64 v9, 0, v38, s[4:5]
	v_cndmask_b32_e64 v1, 0, v39, s[4:5]
	v_add_co_u32_e64 v104, s[4:5], v9, v82
	v_addc_co_u32_e64 v105, s[4:5], v1, v83, s[4:5]
	v_cndmask_b32_e32 v107, 0, v105, vcc
	v_cndmask_b32_e32 v106, 0, v104, vcc
	s_waitcnt lgkmcnt(0)
	; wave barrier
	s_and_saveexec_b64 s[4:5], s[0:1]
	s_cbranch_execz .LBB1601_220
; %bb.219:
	ds_read_u8 v1, v8 offset:8
	ds_read_b64 v[12:13], v8
	v_pk_mov_b32 v[86:87], v[2:3], v[2:3] op_sel:[0,1]
	s_waitcnt lgkmcnt(1)
	v_cmp_eq_u16_e32 vcc, 0, v1
	v_cndmask_b32_e32 v16, 0, v2, vcc
	v_cndmask_b32_e32 v9, 0, v3, vcc
	s_waitcnt lgkmcnt(0)
	v_add_co_u32_e32 v12, vcc, v16, v12
	v_addc_co_u32_e32 v13, vcc, v9, v13, vcc
	global_store_dwordx2 v8, v[12:13], s[50:51] offset:1024
	global_store_byte v8, v1, s[50:51] offset:1032
	v_mov_b32_e32 v1, 2
	s_waitcnt vmcnt(0)
	buffer_wbinvl1_vol
	global_store_byte v8, v1, s[52:53] offset:64
.LBB1601_220:
	s_or_b64 exec, exec, s[4:5]
.LBB1601_221:
	s_add_u32 s0, s62, s56
	v_add_co_u32_e32 v2, vcc, v106, v46
	s_addc_u32 s1, s63, s57
	v_addc_co_u32_e32 v3, vcc, v107, v47, vcc
	v_mov_b32_e32 v1, s1
	v_add_co_u32_e32 v12, vcc, s0, v42
	v_addc_co_u32_e32 v13, vcc, v1, v43, vcc
	s_and_b64 vcc, exec, s[2:3]
	v_lshlrev_b32_e32 v16, 3, v0
	s_cbranch_vccz .LBB1601_263
; %bb.222:
	s_movk_i32 s0, 0xa8
	v_mul_i32_i24_e32 v20, 0xffffff60, v0
	v_mul_u32_u24_e32 v17, 0xa8, v0
	v_mad_u32_u24 v8, v0, s0, v20
	s_waitcnt lgkmcnt(0)
	; wave barrier
	ds_write2_b64 v17, v[86:87], v[4:5] offset1:1
	ds_write2_b64 v17, v[6:7], v[88:89] offset0:2 offset1:3
	ds_write2_b64 v17, v[10:11], v[90:91] offset0:4 offset1:5
	;; [unrolled: 1-line block ×9, first 2 shown]
	ds_write_b64 v17, v[2:3] offset:160
	s_waitcnt lgkmcnt(0)
	; wave barrier
	s_waitcnt lgkmcnt(0)
	ds_read2st64_b64 v[76:79], v8 offset0:1 offset1:2
	ds_read2st64_b64 v[72:75], v8 offset0:3 offset1:4
	;; [unrolled: 1-line block ×10, first 2 shown]
	v_add_co_u32_e32 v8, vcc, v12, v16
	s_add_i32 s33, s33, s54
	v_addc_co_u32_e32 v9, vcc, 0, v13, vcc
	v_mov_b32_e32 v1, 0
	v_cmp_gt_u32_e32 vcc, s33, v0
	s_and_saveexec_b64 s[0:1], vcc
	s_cbranch_execz .LBB1601_224
; %bb.223:
	v_add_u32_e32 v17, v17, v20
	ds_read_b64 v[20:21], v17
	s_waitcnt lgkmcnt(0)
	flat_store_dwordx2 v[8:9], v[20:21]
.LBB1601_224:
	s_or_b64 exec, exec, s[0:1]
	v_or_b32_e32 v17, 64, v0
	v_cmp_gt_u32_e32 vcc, s33, v17
	s_and_saveexec_b64 s[0:1], vcc
	s_cbranch_execz .LBB1601_226
; %bb.225:
	s_waitcnt lgkmcnt(0)
	flat_store_dwordx2 v[8:9], v[76:77] offset:512
.LBB1601_226:
	s_or_b64 exec, exec, s[0:1]
	v_or_b32_e32 v17, 0x80, v0
	v_cmp_gt_u32_e32 vcc, s33, v17
	s_and_saveexec_b64 s[0:1], vcc
	s_cbranch_execz .LBB1601_228
; %bb.227:
	s_waitcnt lgkmcnt(0)
	flat_store_dwordx2 v[8:9], v[78:79] offset:1024
.LBB1601_228:
	;; [unrolled: 9-line block ×7, first 2 shown]
	s_or_b64 exec, exec, s[0:1]
	v_or_b32_e32 v17, 0x200, v0
	v_cmp_gt_u32_e32 vcc, s33, v17
	s_and_saveexec_b64 s[0:1], vcc
	s_cbranch_execz .LBB1601_240
; %bb.239:
	v_add_co_u32_e32 v20, vcc, 0x1000, v8
	v_addc_co_u32_e32 v21, vcc, 0, v9, vcc
	s_waitcnt lgkmcnt(0)
	flat_store_dwordx2 v[20:21], v[66:67]
.LBB1601_240:
	s_or_b64 exec, exec, s[0:1]
	v_or_b32_e32 v17, 0x240, v0
	v_cmp_gt_u32_e32 vcc, s33, v17
	s_and_saveexec_b64 s[0:1], vcc
	s_cbranch_execz .LBB1601_242
; %bb.241:
	v_add_co_u32_e32 v20, vcc, 0x1000, v8
	v_addc_co_u32_e32 v21, vcc, 0, v9, vcc
	s_waitcnt lgkmcnt(0)
	flat_store_dwordx2 v[20:21], v[60:61] offset:512
.LBB1601_242:
	s_or_b64 exec, exec, s[0:1]
	v_or_b32_e32 v17, 0x280, v0
	v_cmp_gt_u32_e32 vcc, s33, v17
	s_and_saveexec_b64 s[0:1], vcc
	s_cbranch_execz .LBB1601_244
; %bb.243:
	v_add_co_u32_e32 v20, vcc, 0x1000, v8
	v_addc_co_u32_e32 v21, vcc, 0, v9, vcc
	s_waitcnt lgkmcnt(0)
	flat_store_dwordx2 v[20:21], v[62:63] offset:1024
.LBB1601_244:
	;; [unrolled: 11-line block ×7, first 2 shown]
	s_or_b64 exec, exec, s[0:1]
	v_or_b32_e32 v17, 0x400, v0
	v_cmp_gt_u32_e32 vcc, s33, v17
	s_and_saveexec_b64 s[0:1], vcc
	s_cbranch_execz .LBB1601_256
; %bb.255:
	v_add_co_u32_e32 v20, vcc, 0x2000, v8
	v_addc_co_u32_e32 v21, vcc, 0, v9, vcc
	s_waitcnt lgkmcnt(0)
	flat_store_dwordx2 v[20:21], v[50:51]
.LBB1601_256:
	s_or_b64 exec, exec, s[0:1]
	v_or_b32_e32 v17, 0x440, v0
	v_cmp_gt_u32_e32 vcc, s33, v17
	s_and_saveexec_b64 s[0:1], vcc
	s_cbranch_execz .LBB1601_258
; %bb.257:
	v_add_co_u32_e32 v20, vcc, 0x2000, v8
	v_addc_co_u32_e32 v21, vcc, 0, v9, vcc
	s_waitcnt lgkmcnt(0)
	flat_store_dwordx2 v[20:21], v[44:45] offset:512
.LBB1601_258:
	s_or_b64 exec, exec, s[0:1]
	v_or_b32_e32 v17, 0x480, v0
	v_cmp_gt_u32_e32 vcc, s33, v17
	s_and_saveexec_b64 s[0:1], vcc
	s_cbranch_execz .LBB1601_260
; %bb.259:
	v_add_co_u32_e32 v20, vcc, 0x2000, v8
	v_addc_co_u32_e32 v21, vcc, 0, v9, vcc
	s_waitcnt lgkmcnt(0)
	flat_store_dwordx2 v[20:21], v[46:47] offset:1024
.LBB1601_260:
	;; [unrolled: 11-line block ×3, first 2 shown]
	s_or_b64 exec, exec, s[0:1]
	v_or_b32_e32 v8, 0x500, v0
	v_cmp_gt_u32_e64 s[0:1], s33, v8
	s_branch .LBB1601_265
.LBB1601_263:
	s_mov_b64 s[0:1], 0
                                        ; implicit-def: $vgpr42_vgpr43
	s_cbranch_execz .LBB1601_265
; %bb.264:
	v_mul_u32_u24_e32 v1, 0xa8, v0
	s_waitcnt lgkmcnt(0)
	; wave barrier
	s_waitcnt lgkmcnt(0)
	s_movk_i32 s2, 0xa8
	ds_write2_b64 v1, v[86:87], v[4:5] offset1:1
	ds_write2_b64 v1, v[6:7], v[88:89] offset0:2 offset1:3
	ds_write2_b64 v1, v[10:11], v[90:91] offset0:4 offset1:5
	;; [unrolled: 1-line block ×9, first 2 shown]
	ds_write_b64 v1, v[2:3] offset:160
	v_mul_i32_i24_e32 v2, 0xffffff60, v0
	v_mad_u32_u24 v10, v0, s2, v2
	s_waitcnt lgkmcnt(0)
	; wave barrier
	s_waitcnt lgkmcnt(0)
	ds_read2st64_b64 v[2:5], v10 offset1:1
	ds_read2st64_b64 v[6:9], v10 offset0:2 offset1:3
	ds_read2st64_b64 v[18:21], v10 offset0:4 offset1:5
	;; [unrolled: 1-line block ×9, first 2 shown]
	ds_read_b64 v[42:43], v10 offset:10240
	v_add_co_u32_e32 v10, vcc, v12, v16
	v_addc_co_u32_e32 v11, vcc, 0, v13, vcc
	s_movk_i32 s2, 0x1000
	s_waitcnt lgkmcnt(0)
	flat_store_dwordx2 v[10:11], v[2:3]
	flat_store_dwordx2 v[10:11], v[4:5] offset:512
	flat_store_dwordx2 v[10:11], v[6:7] offset:1024
	;; [unrolled: 1-line block ×7, first 2 shown]
	v_add_co_u32_e32 v2, vcc, s2, v10
	v_addc_co_u32_e32 v3, vcc, 0, v11, vcc
	flat_store_dwordx2 v[2:3], v[26:27]
	flat_store_dwordx2 v[2:3], v[28:29] offset:512
	flat_store_dwordx2 v[2:3], v[30:31] offset:1024
	flat_store_dwordx2 v[2:3], v[32:33] offset:1536
	flat_store_dwordx2 v[2:3], v[34:35] offset:2048
	flat_store_dwordx2 v[2:3], v[36:37] offset:2560
	flat_store_dwordx2 v[2:3], v[38:39] offset:3072
	flat_store_dwordx2 v[2:3], v[40:41] offset:3584
	v_add_co_u32_e32 v2, vcc, 0x2000, v10
	v_mov_b32_e32 v1, 0
	v_addc_co_u32_e32 v3, vcc, 0, v11, vcc
	s_or_b64 s[0:1], s[0:1], exec
	flat_store_dwordx2 v[2:3], v[44:45]
	flat_store_dwordx2 v[2:3], v[46:47] offset:512
	flat_store_dwordx2 v[2:3], v[48:49] offset:1024
	;; [unrolled: 1-line block ×3, first 2 shown]
.LBB1601_265:
	s_and_saveexec_b64 s[2:3], s[0:1]
	s_cbranch_execz .LBB1601_267
; %bb.266:
	v_lshlrev_b64 v[0:1], 3, v[0:1]
	v_add_co_u32_e32 v0, vcc, v12, v0
	v_addc_co_u32_e32 v1, vcc, v13, v1, vcc
	v_add_co_u32_e32 v0, vcc, 0x2000, v0
	v_addc_co_u32_e32 v1, vcc, 0, v1, vcc
	s_waitcnt lgkmcnt(0)
	flat_store_dwordx2 v[0:1], v[42:43] offset:2048
	s_endpgm
.LBB1601_267:
	s_endpgm
	.section	.rodata,"a",@progbits
	.p2align	6, 0x0
	.amdhsa_kernel _ZN7rocprim17ROCPRIM_400000_NS6detail17trampoline_kernelINS0_14default_configENS1_27scan_by_key_config_selectorIixEEZZNS1_16scan_by_key_implILNS1_25lookback_scan_determinismE0ELb1ES3_N6thrust23THRUST_200600_302600_NS6detail15normal_iteratorINS9_10device_ptrIiEEEENSB_INSC_IxEEEESG_xNS9_4plusIvEENS9_8equal_toIvEExEE10hipError_tPvRmT2_T3_T4_T5_mT6_T7_P12ihipStream_tbENKUlT_T0_E_clISt17integral_constantIbLb0EES10_IbLb1EEEEDaSW_SX_EUlSW_E_NS1_11comp_targetILNS1_3genE4ELNS1_11target_archE910ELNS1_3gpuE8ELNS1_3repE0EEENS1_30default_config_static_selectorELNS0_4arch9wavefront6targetE1EEEvT1_
		.amdhsa_group_segment_fixed_size 10752
		.amdhsa_private_segment_fixed_size 0
		.amdhsa_kernarg_size 136
		.amdhsa_user_sgpr_count 6
		.amdhsa_user_sgpr_private_segment_buffer 1
		.amdhsa_user_sgpr_dispatch_ptr 0
		.amdhsa_user_sgpr_queue_ptr 0
		.amdhsa_user_sgpr_kernarg_segment_ptr 1
		.amdhsa_user_sgpr_dispatch_id 0
		.amdhsa_user_sgpr_flat_scratch_init 0
		.amdhsa_user_sgpr_kernarg_preload_length 0
		.amdhsa_user_sgpr_kernarg_preload_offset 0
		.amdhsa_user_sgpr_private_segment_size 0
		.amdhsa_uses_dynamic_stack 0
		.amdhsa_system_sgpr_private_segment_wavefront_offset 0
		.amdhsa_system_sgpr_workgroup_id_x 1
		.amdhsa_system_sgpr_workgroup_id_y 0
		.amdhsa_system_sgpr_workgroup_id_z 0
		.amdhsa_system_sgpr_workgroup_info 0
		.amdhsa_system_vgpr_workitem_id 0
		.amdhsa_next_free_vgpr 130
		.amdhsa_next_free_sgpr 73
		.amdhsa_accum_offset 132
		.amdhsa_reserve_vcc 1
		.amdhsa_reserve_flat_scratch 0
		.amdhsa_float_round_mode_32 0
		.amdhsa_float_round_mode_16_64 0
		.amdhsa_float_denorm_mode_32 3
		.amdhsa_float_denorm_mode_16_64 3
		.amdhsa_dx10_clamp 1
		.amdhsa_ieee_mode 1
		.amdhsa_fp16_overflow 0
		.amdhsa_tg_split 0
		.amdhsa_exception_fp_ieee_invalid_op 0
		.amdhsa_exception_fp_denorm_src 0
		.amdhsa_exception_fp_ieee_div_zero 0
		.amdhsa_exception_fp_ieee_overflow 0
		.amdhsa_exception_fp_ieee_underflow 0
		.amdhsa_exception_fp_ieee_inexact 0
		.amdhsa_exception_int_div_zero 0
	.end_amdhsa_kernel
	.section	.text._ZN7rocprim17ROCPRIM_400000_NS6detail17trampoline_kernelINS0_14default_configENS1_27scan_by_key_config_selectorIixEEZZNS1_16scan_by_key_implILNS1_25lookback_scan_determinismE0ELb1ES3_N6thrust23THRUST_200600_302600_NS6detail15normal_iteratorINS9_10device_ptrIiEEEENSB_INSC_IxEEEESG_xNS9_4plusIvEENS9_8equal_toIvEExEE10hipError_tPvRmT2_T3_T4_T5_mT6_T7_P12ihipStream_tbENKUlT_T0_E_clISt17integral_constantIbLb0EES10_IbLb1EEEEDaSW_SX_EUlSW_E_NS1_11comp_targetILNS1_3genE4ELNS1_11target_archE910ELNS1_3gpuE8ELNS1_3repE0EEENS1_30default_config_static_selectorELNS0_4arch9wavefront6targetE1EEEvT1_,"axG",@progbits,_ZN7rocprim17ROCPRIM_400000_NS6detail17trampoline_kernelINS0_14default_configENS1_27scan_by_key_config_selectorIixEEZZNS1_16scan_by_key_implILNS1_25lookback_scan_determinismE0ELb1ES3_N6thrust23THRUST_200600_302600_NS6detail15normal_iteratorINS9_10device_ptrIiEEEENSB_INSC_IxEEEESG_xNS9_4plusIvEENS9_8equal_toIvEExEE10hipError_tPvRmT2_T3_T4_T5_mT6_T7_P12ihipStream_tbENKUlT_T0_E_clISt17integral_constantIbLb0EES10_IbLb1EEEEDaSW_SX_EUlSW_E_NS1_11comp_targetILNS1_3genE4ELNS1_11target_archE910ELNS1_3gpuE8ELNS1_3repE0EEENS1_30default_config_static_selectorELNS0_4arch9wavefront6targetE1EEEvT1_,comdat
.Lfunc_end1601:
	.size	_ZN7rocprim17ROCPRIM_400000_NS6detail17trampoline_kernelINS0_14default_configENS1_27scan_by_key_config_selectorIixEEZZNS1_16scan_by_key_implILNS1_25lookback_scan_determinismE0ELb1ES3_N6thrust23THRUST_200600_302600_NS6detail15normal_iteratorINS9_10device_ptrIiEEEENSB_INSC_IxEEEESG_xNS9_4plusIvEENS9_8equal_toIvEExEE10hipError_tPvRmT2_T3_T4_T5_mT6_T7_P12ihipStream_tbENKUlT_T0_E_clISt17integral_constantIbLb0EES10_IbLb1EEEEDaSW_SX_EUlSW_E_NS1_11comp_targetILNS1_3genE4ELNS1_11target_archE910ELNS1_3gpuE8ELNS1_3repE0EEENS1_30default_config_static_selectorELNS0_4arch9wavefront6targetE1EEEvT1_, .Lfunc_end1601-_ZN7rocprim17ROCPRIM_400000_NS6detail17trampoline_kernelINS0_14default_configENS1_27scan_by_key_config_selectorIixEEZZNS1_16scan_by_key_implILNS1_25lookback_scan_determinismE0ELb1ES3_N6thrust23THRUST_200600_302600_NS6detail15normal_iteratorINS9_10device_ptrIiEEEENSB_INSC_IxEEEESG_xNS9_4plusIvEENS9_8equal_toIvEExEE10hipError_tPvRmT2_T3_T4_T5_mT6_T7_P12ihipStream_tbENKUlT_T0_E_clISt17integral_constantIbLb0EES10_IbLb1EEEEDaSW_SX_EUlSW_E_NS1_11comp_targetILNS1_3genE4ELNS1_11target_archE910ELNS1_3gpuE8ELNS1_3repE0EEENS1_30default_config_static_selectorELNS0_4arch9wavefront6targetE1EEEvT1_
                                        ; -- End function
	.section	.AMDGPU.csdata,"",@progbits
; Kernel info:
; codeLenInByte = 16948
; NumSgprs: 77
; NumVgprs: 130
; NumAgprs: 0
; TotalNumVgprs: 130
; ScratchSize: 0
; MemoryBound: 0
; FloatMode: 240
; IeeeMode: 1
; LDSByteSize: 10752 bytes/workgroup (compile time only)
; SGPRBlocks: 9
; VGPRBlocks: 16
; NumSGPRsForWavesPerEU: 77
; NumVGPRsForWavesPerEU: 130
; AccumOffset: 132
; Occupancy: 2
; WaveLimiterHint : 1
; COMPUTE_PGM_RSRC2:SCRATCH_EN: 0
; COMPUTE_PGM_RSRC2:USER_SGPR: 6
; COMPUTE_PGM_RSRC2:TRAP_HANDLER: 0
; COMPUTE_PGM_RSRC2:TGID_X_EN: 1
; COMPUTE_PGM_RSRC2:TGID_Y_EN: 0
; COMPUTE_PGM_RSRC2:TGID_Z_EN: 0
; COMPUTE_PGM_RSRC2:TIDIG_COMP_CNT: 0
; COMPUTE_PGM_RSRC3_GFX90A:ACCUM_OFFSET: 32
; COMPUTE_PGM_RSRC3_GFX90A:TG_SPLIT: 0
	.section	.text._ZN7rocprim17ROCPRIM_400000_NS6detail17trampoline_kernelINS0_14default_configENS1_27scan_by_key_config_selectorIixEEZZNS1_16scan_by_key_implILNS1_25lookback_scan_determinismE0ELb1ES3_N6thrust23THRUST_200600_302600_NS6detail15normal_iteratorINS9_10device_ptrIiEEEENSB_INSC_IxEEEESG_xNS9_4plusIvEENS9_8equal_toIvEExEE10hipError_tPvRmT2_T3_T4_T5_mT6_T7_P12ihipStream_tbENKUlT_T0_E_clISt17integral_constantIbLb0EES10_IbLb1EEEEDaSW_SX_EUlSW_E_NS1_11comp_targetILNS1_3genE3ELNS1_11target_archE908ELNS1_3gpuE7ELNS1_3repE0EEENS1_30default_config_static_selectorELNS0_4arch9wavefront6targetE1EEEvT1_,"axG",@progbits,_ZN7rocprim17ROCPRIM_400000_NS6detail17trampoline_kernelINS0_14default_configENS1_27scan_by_key_config_selectorIixEEZZNS1_16scan_by_key_implILNS1_25lookback_scan_determinismE0ELb1ES3_N6thrust23THRUST_200600_302600_NS6detail15normal_iteratorINS9_10device_ptrIiEEEENSB_INSC_IxEEEESG_xNS9_4plusIvEENS9_8equal_toIvEExEE10hipError_tPvRmT2_T3_T4_T5_mT6_T7_P12ihipStream_tbENKUlT_T0_E_clISt17integral_constantIbLb0EES10_IbLb1EEEEDaSW_SX_EUlSW_E_NS1_11comp_targetILNS1_3genE3ELNS1_11target_archE908ELNS1_3gpuE7ELNS1_3repE0EEENS1_30default_config_static_selectorELNS0_4arch9wavefront6targetE1EEEvT1_,comdat
	.protected	_ZN7rocprim17ROCPRIM_400000_NS6detail17trampoline_kernelINS0_14default_configENS1_27scan_by_key_config_selectorIixEEZZNS1_16scan_by_key_implILNS1_25lookback_scan_determinismE0ELb1ES3_N6thrust23THRUST_200600_302600_NS6detail15normal_iteratorINS9_10device_ptrIiEEEENSB_INSC_IxEEEESG_xNS9_4plusIvEENS9_8equal_toIvEExEE10hipError_tPvRmT2_T3_T4_T5_mT6_T7_P12ihipStream_tbENKUlT_T0_E_clISt17integral_constantIbLb0EES10_IbLb1EEEEDaSW_SX_EUlSW_E_NS1_11comp_targetILNS1_3genE3ELNS1_11target_archE908ELNS1_3gpuE7ELNS1_3repE0EEENS1_30default_config_static_selectorELNS0_4arch9wavefront6targetE1EEEvT1_ ; -- Begin function _ZN7rocprim17ROCPRIM_400000_NS6detail17trampoline_kernelINS0_14default_configENS1_27scan_by_key_config_selectorIixEEZZNS1_16scan_by_key_implILNS1_25lookback_scan_determinismE0ELb1ES3_N6thrust23THRUST_200600_302600_NS6detail15normal_iteratorINS9_10device_ptrIiEEEENSB_INSC_IxEEEESG_xNS9_4plusIvEENS9_8equal_toIvEExEE10hipError_tPvRmT2_T3_T4_T5_mT6_T7_P12ihipStream_tbENKUlT_T0_E_clISt17integral_constantIbLb0EES10_IbLb1EEEEDaSW_SX_EUlSW_E_NS1_11comp_targetILNS1_3genE3ELNS1_11target_archE908ELNS1_3gpuE7ELNS1_3repE0EEENS1_30default_config_static_selectorELNS0_4arch9wavefront6targetE1EEEvT1_
	.globl	_ZN7rocprim17ROCPRIM_400000_NS6detail17trampoline_kernelINS0_14default_configENS1_27scan_by_key_config_selectorIixEEZZNS1_16scan_by_key_implILNS1_25lookback_scan_determinismE0ELb1ES3_N6thrust23THRUST_200600_302600_NS6detail15normal_iteratorINS9_10device_ptrIiEEEENSB_INSC_IxEEEESG_xNS9_4plusIvEENS9_8equal_toIvEExEE10hipError_tPvRmT2_T3_T4_T5_mT6_T7_P12ihipStream_tbENKUlT_T0_E_clISt17integral_constantIbLb0EES10_IbLb1EEEEDaSW_SX_EUlSW_E_NS1_11comp_targetILNS1_3genE3ELNS1_11target_archE908ELNS1_3gpuE7ELNS1_3repE0EEENS1_30default_config_static_selectorELNS0_4arch9wavefront6targetE1EEEvT1_
	.p2align	8
	.type	_ZN7rocprim17ROCPRIM_400000_NS6detail17trampoline_kernelINS0_14default_configENS1_27scan_by_key_config_selectorIixEEZZNS1_16scan_by_key_implILNS1_25lookback_scan_determinismE0ELb1ES3_N6thrust23THRUST_200600_302600_NS6detail15normal_iteratorINS9_10device_ptrIiEEEENSB_INSC_IxEEEESG_xNS9_4plusIvEENS9_8equal_toIvEExEE10hipError_tPvRmT2_T3_T4_T5_mT6_T7_P12ihipStream_tbENKUlT_T0_E_clISt17integral_constantIbLb0EES10_IbLb1EEEEDaSW_SX_EUlSW_E_NS1_11comp_targetILNS1_3genE3ELNS1_11target_archE908ELNS1_3gpuE7ELNS1_3repE0EEENS1_30default_config_static_selectorELNS0_4arch9wavefront6targetE1EEEvT1_,@function
_ZN7rocprim17ROCPRIM_400000_NS6detail17trampoline_kernelINS0_14default_configENS1_27scan_by_key_config_selectorIixEEZZNS1_16scan_by_key_implILNS1_25lookback_scan_determinismE0ELb1ES3_N6thrust23THRUST_200600_302600_NS6detail15normal_iteratorINS9_10device_ptrIiEEEENSB_INSC_IxEEEESG_xNS9_4plusIvEENS9_8equal_toIvEExEE10hipError_tPvRmT2_T3_T4_T5_mT6_T7_P12ihipStream_tbENKUlT_T0_E_clISt17integral_constantIbLb0EES10_IbLb1EEEEDaSW_SX_EUlSW_E_NS1_11comp_targetILNS1_3genE3ELNS1_11target_archE908ELNS1_3gpuE7ELNS1_3repE0EEENS1_30default_config_static_selectorELNS0_4arch9wavefront6targetE1EEEvT1_: ; @_ZN7rocprim17ROCPRIM_400000_NS6detail17trampoline_kernelINS0_14default_configENS1_27scan_by_key_config_selectorIixEEZZNS1_16scan_by_key_implILNS1_25lookback_scan_determinismE0ELb1ES3_N6thrust23THRUST_200600_302600_NS6detail15normal_iteratorINS9_10device_ptrIiEEEENSB_INSC_IxEEEESG_xNS9_4plusIvEENS9_8equal_toIvEExEE10hipError_tPvRmT2_T3_T4_T5_mT6_T7_P12ihipStream_tbENKUlT_T0_E_clISt17integral_constantIbLb0EES10_IbLb1EEEEDaSW_SX_EUlSW_E_NS1_11comp_targetILNS1_3genE3ELNS1_11target_archE908ELNS1_3gpuE7ELNS1_3repE0EEENS1_30default_config_static_selectorELNS0_4arch9wavefront6targetE1EEEvT1_
; %bb.0:
	.section	.rodata,"a",@progbits
	.p2align	6, 0x0
	.amdhsa_kernel _ZN7rocprim17ROCPRIM_400000_NS6detail17trampoline_kernelINS0_14default_configENS1_27scan_by_key_config_selectorIixEEZZNS1_16scan_by_key_implILNS1_25lookback_scan_determinismE0ELb1ES3_N6thrust23THRUST_200600_302600_NS6detail15normal_iteratorINS9_10device_ptrIiEEEENSB_INSC_IxEEEESG_xNS9_4plusIvEENS9_8equal_toIvEExEE10hipError_tPvRmT2_T3_T4_T5_mT6_T7_P12ihipStream_tbENKUlT_T0_E_clISt17integral_constantIbLb0EES10_IbLb1EEEEDaSW_SX_EUlSW_E_NS1_11comp_targetILNS1_3genE3ELNS1_11target_archE908ELNS1_3gpuE7ELNS1_3repE0EEENS1_30default_config_static_selectorELNS0_4arch9wavefront6targetE1EEEvT1_
		.amdhsa_group_segment_fixed_size 0
		.amdhsa_private_segment_fixed_size 0
		.amdhsa_kernarg_size 136
		.amdhsa_user_sgpr_count 6
		.amdhsa_user_sgpr_private_segment_buffer 1
		.amdhsa_user_sgpr_dispatch_ptr 0
		.amdhsa_user_sgpr_queue_ptr 0
		.amdhsa_user_sgpr_kernarg_segment_ptr 1
		.amdhsa_user_sgpr_dispatch_id 0
		.amdhsa_user_sgpr_flat_scratch_init 0
		.amdhsa_user_sgpr_kernarg_preload_length 0
		.amdhsa_user_sgpr_kernarg_preload_offset 0
		.amdhsa_user_sgpr_private_segment_size 0
		.amdhsa_uses_dynamic_stack 0
		.amdhsa_system_sgpr_private_segment_wavefront_offset 0
		.amdhsa_system_sgpr_workgroup_id_x 1
		.amdhsa_system_sgpr_workgroup_id_y 0
		.amdhsa_system_sgpr_workgroup_id_z 0
		.amdhsa_system_sgpr_workgroup_info 0
		.amdhsa_system_vgpr_workitem_id 0
		.amdhsa_next_free_vgpr 1
		.amdhsa_next_free_sgpr 0
		.amdhsa_accum_offset 4
		.amdhsa_reserve_vcc 0
		.amdhsa_reserve_flat_scratch 0
		.amdhsa_float_round_mode_32 0
		.amdhsa_float_round_mode_16_64 0
		.amdhsa_float_denorm_mode_32 3
		.amdhsa_float_denorm_mode_16_64 3
		.amdhsa_dx10_clamp 1
		.amdhsa_ieee_mode 1
		.amdhsa_fp16_overflow 0
		.amdhsa_tg_split 0
		.amdhsa_exception_fp_ieee_invalid_op 0
		.amdhsa_exception_fp_denorm_src 0
		.amdhsa_exception_fp_ieee_div_zero 0
		.amdhsa_exception_fp_ieee_overflow 0
		.amdhsa_exception_fp_ieee_underflow 0
		.amdhsa_exception_fp_ieee_inexact 0
		.amdhsa_exception_int_div_zero 0
	.end_amdhsa_kernel
	.section	.text._ZN7rocprim17ROCPRIM_400000_NS6detail17trampoline_kernelINS0_14default_configENS1_27scan_by_key_config_selectorIixEEZZNS1_16scan_by_key_implILNS1_25lookback_scan_determinismE0ELb1ES3_N6thrust23THRUST_200600_302600_NS6detail15normal_iteratorINS9_10device_ptrIiEEEENSB_INSC_IxEEEESG_xNS9_4plusIvEENS9_8equal_toIvEExEE10hipError_tPvRmT2_T3_T4_T5_mT6_T7_P12ihipStream_tbENKUlT_T0_E_clISt17integral_constantIbLb0EES10_IbLb1EEEEDaSW_SX_EUlSW_E_NS1_11comp_targetILNS1_3genE3ELNS1_11target_archE908ELNS1_3gpuE7ELNS1_3repE0EEENS1_30default_config_static_selectorELNS0_4arch9wavefront6targetE1EEEvT1_,"axG",@progbits,_ZN7rocprim17ROCPRIM_400000_NS6detail17trampoline_kernelINS0_14default_configENS1_27scan_by_key_config_selectorIixEEZZNS1_16scan_by_key_implILNS1_25lookback_scan_determinismE0ELb1ES3_N6thrust23THRUST_200600_302600_NS6detail15normal_iteratorINS9_10device_ptrIiEEEENSB_INSC_IxEEEESG_xNS9_4plusIvEENS9_8equal_toIvEExEE10hipError_tPvRmT2_T3_T4_T5_mT6_T7_P12ihipStream_tbENKUlT_T0_E_clISt17integral_constantIbLb0EES10_IbLb1EEEEDaSW_SX_EUlSW_E_NS1_11comp_targetILNS1_3genE3ELNS1_11target_archE908ELNS1_3gpuE7ELNS1_3repE0EEENS1_30default_config_static_selectorELNS0_4arch9wavefront6targetE1EEEvT1_,comdat
.Lfunc_end1602:
	.size	_ZN7rocprim17ROCPRIM_400000_NS6detail17trampoline_kernelINS0_14default_configENS1_27scan_by_key_config_selectorIixEEZZNS1_16scan_by_key_implILNS1_25lookback_scan_determinismE0ELb1ES3_N6thrust23THRUST_200600_302600_NS6detail15normal_iteratorINS9_10device_ptrIiEEEENSB_INSC_IxEEEESG_xNS9_4plusIvEENS9_8equal_toIvEExEE10hipError_tPvRmT2_T3_T4_T5_mT6_T7_P12ihipStream_tbENKUlT_T0_E_clISt17integral_constantIbLb0EES10_IbLb1EEEEDaSW_SX_EUlSW_E_NS1_11comp_targetILNS1_3genE3ELNS1_11target_archE908ELNS1_3gpuE7ELNS1_3repE0EEENS1_30default_config_static_selectorELNS0_4arch9wavefront6targetE1EEEvT1_, .Lfunc_end1602-_ZN7rocprim17ROCPRIM_400000_NS6detail17trampoline_kernelINS0_14default_configENS1_27scan_by_key_config_selectorIixEEZZNS1_16scan_by_key_implILNS1_25lookback_scan_determinismE0ELb1ES3_N6thrust23THRUST_200600_302600_NS6detail15normal_iteratorINS9_10device_ptrIiEEEENSB_INSC_IxEEEESG_xNS9_4plusIvEENS9_8equal_toIvEExEE10hipError_tPvRmT2_T3_T4_T5_mT6_T7_P12ihipStream_tbENKUlT_T0_E_clISt17integral_constantIbLb0EES10_IbLb1EEEEDaSW_SX_EUlSW_E_NS1_11comp_targetILNS1_3genE3ELNS1_11target_archE908ELNS1_3gpuE7ELNS1_3repE0EEENS1_30default_config_static_selectorELNS0_4arch9wavefront6targetE1EEEvT1_
                                        ; -- End function
	.section	.AMDGPU.csdata,"",@progbits
; Kernel info:
; codeLenInByte = 0
; NumSgprs: 4
; NumVgprs: 0
; NumAgprs: 0
; TotalNumVgprs: 0
; ScratchSize: 0
; MemoryBound: 0
; FloatMode: 240
; IeeeMode: 1
; LDSByteSize: 0 bytes/workgroup (compile time only)
; SGPRBlocks: 0
; VGPRBlocks: 0
; NumSGPRsForWavesPerEU: 4
; NumVGPRsForWavesPerEU: 1
; AccumOffset: 4
; Occupancy: 8
; WaveLimiterHint : 0
; COMPUTE_PGM_RSRC2:SCRATCH_EN: 0
; COMPUTE_PGM_RSRC2:USER_SGPR: 6
; COMPUTE_PGM_RSRC2:TRAP_HANDLER: 0
; COMPUTE_PGM_RSRC2:TGID_X_EN: 1
; COMPUTE_PGM_RSRC2:TGID_Y_EN: 0
; COMPUTE_PGM_RSRC2:TGID_Z_EN: 0
; COMPUTE_PGM_RSRC2:TIDIG_COMP_CNT: 0
; COMPUTE_PGM_RSRC3_GFX90A:ACCUM_OFFSET: 0
; COMPUTE_PGM_RSRC3_GFX90A:TG_SPLIT: 0
	.section	.text._ZN7rocprim17ROCPRIM_400000_NS6detail17trampoline_kernelINS0_14default_configENS1_27scan_by_key_config_selectorIixEEZZNS1_16scan_by_key_implILNS1_25lookback_scan_determinismE0ELb1ES3_N6thrust23THRUST_200600_302600_NS6detail15normal_iteratorINS9_10device_ptrIiEEEENSB_INSC_IxEEEESG_xNS9_4plusIvEENS9_8equal_toIvEExEE10hipError_tPvRmT2_T3_T4_T5_mT6_T7_P12ihipStream_tbENKUlT_T0_E_clISt17integral_constantIbLb0EES10_IbLb1EEEEDaSW_SX_EUlSW_E_NS1_11comp_targetILNS1_3genE2ELNS1_11target_archE906ELNS1_3gpuE6ELNS1_3repE0EEENS1_30default_config_static_selectorELNS0_4arch9wavefront6targetE1EEEvT1_,"axG",@progbits,_ZN7rocprim17ROCPRIM_400000_NS6detail17trampoline_kernelINS0_14default_configENS1_27scan_by_key_config_selectorIixEEZZNS1_16scan_by_key_implILNS1_25lookback_scan_determinismE0ELb1ES3_N6thrust23THRUST_200600_302600_NS6detail15normal_iteratorINS9_10device_ptrIiEEEENSB_INSC_IxEEEESG_xNS9_4plusIvEENS9_8equal_toIvEExEE10hipError_tPvRmT2_T3_T4_T5_mT6_T7_P12ihipStream_tbENKUlT_T0_E_clISt17integral_constantIbLb0EES10_IbLb1EEEEDaSW_SX_EUlSW_E_NS1_11comp_targetILNS1_3genE2ELNS1_11target_archE906ELNS1_3gpuE6ELNS1_3repE0EEENS1_30default_config_static_selectorELNS0_4arch9wavefront6targetE1EEEvT1_,comdat
	.protected	_ZN7rocprim17ROCPRIM_400000_NS6detail17trampoline_kernelINS0_14default_configENS1_27scan_by_key_config_selectorIixEEZZNS1_16scan_by_key_implILNS1_25lookback_scan_determinismE0ELb1ES3_N6thrust23THRUST_200600_302600_NS6detail15normal_iteratorINS9_10device_ptrIiEEEENSB_INSC_IxEEEESG_xNS9_4plusIvEENS9_8equal_toIvEExEE10hipError_tPvRmT2_T3_T4_T5_mT6_T7_P12ihipStream_tbENKUlT_T0_E_clISt17integral_constantIbLb0EES10_IbLb1EEEEDaSW_SX_EUlSW_E_NS1_11comp_targetILNS1_3genE2ELNS1_11target_archE906ELNS1_3gpuE6ELNS1_3repE0EEENS1_30default_config_static_selectorELNS0_4arch9wavefront6targetE1EEEvT1_ ; -- Begin function _ZN7rocprim17ROCPRIM_400000_NS6detail17trampoline_kernelINS0_14default_configENS1_27scan_by_key_config_selectorIixEEZZNS1_16scan_by_key_implILNS1_25lookback_scan_determinismE0ELb1ES3_N6thrust23THRUST_200600_302600_NS6detail15normal_iteratorINS9_10device_ptrIiEEEENSB_INSC_IxEEEESG_xNS9_4plusIvEENS9_8equal_toIvEExEE10hipError_tPvRmT2_T3_T4_T5_mT6_T7_P12ihipStream_tbENKUlT_T0_E_clISt17integral_constantIbLb0EES10_IbLb1EEEEDaSW_SX_EUlSW_E_NS1_11comp_targetILNS1_3genE2ELNS1_11target_archE906ELNS1_3gpuE6ELNS1_3repE0EEENS1_30default_config_static_selectorELNS0_4arch9wavefront6targetE1EEEvT1_
	.globl	_ZN7rocprim17ROCPRIM_400000_NS6detail17trampoline_kernelINS0_14default_configENS1_27scan_by_key_config_selectorIixEEZZNS1_16scan_by_key_implILNS1_25lookback_scan_determinismE0ELb1ES3_N6thrust23THRUST_200600_302600_NS6detail15normal_iteratorINS9_10device_ptrIiEEEENSB_INSC_IxEEEESG_xNS9_4plusIvEENS9_8equal_toIvEExEE10hipError_tPvRmT2_T3_T4_T5_mT6_T7_P12ihipStream_tbENKUlT_T0_E_clISt17integral_constantIbLb0EES10_IbLb1EEEEDaSW_SX_EUlSW_E_NS1_11comp_targetILNS1_3genE2ELNS1_11target_archE906ELNS1_3gpuE6ELNS1_3repE0EEENS1_30default_config_static_selectorELNS0_4arch9wavefront6targetE1EEEvT1_
	.p2align	8
	.type	_ZN7rocprim17ROCPRIM_400000_NS6detail17trampoline_kernelINS0_14default_configENS1_27scan_by_key_config_selectorIixEEZZNS1_16scan_by_key_implILNS1_25lookback_scan_determinismE0ELb1ES3_N6thrust23THRUST_200600_302600_NS6detail15normal_iteratorINS9_10device_ptrIiEEEENSB_INSC_IxEEEESG_xNS9_4plusIvEENS9_8equal_toIvEExEE10hipError_tPvRmT2_T3_T4_T5_mT6_T7_P12ihipStream_tbENKUlT_T0_E_clISt17integral_constantIbLb0EES10_IbLb1EEEEDaSW_SX_EUlSW_E_NS1_11comp_targetILNS1_3genE2ELNS1_11target_archE906ELNS1_3gpuE6ELNS1_3repE0EEENS1_30default_config_static_selectorELNS0_4arch9wavefront6targetE1EEEvT1_,@function
_ZN7rocprim17ROCPRIM_400000_NS6detail17trampoline_kernelINS0_14default_configENS1_27scan_by_key_config_selectorIixEEZZNS1_16scan_by_key_implILNS1_25lookback_scan_determinismE0ELb1ES3_N6thrust23THRUST_200600_302600_NS6detail15normal_iteratorINS9_10device_ptrIiEEEENSB_INSC_IxEEEESG_xNS9_4plusIvEENS9_8equal_toIvEExEE10hipError_tPvRmT2_T3_T4_T5_mT6_T7_P12ihipStream_tbENKUlT_T0_E_clISt17integral_constantIbLb0EES10_IbLb1EEEEDaSW_SX_EUlSW_E_NS1_11comp_targetILNS1_3genE2ELNS1_11target_archE906ELNS1_3gpuE6ELNS1_3repE0EEENS1_30default_config_static_selectorELNS0_4arch9wavefront6targetE1EEEvT1_: ; @_ZN7rocprim17ROCPRIM_400000_NS6detail17trampoline_kernelINS0_14default_configENS1_27scan_by_key_config_selectorIixEEZZNS1_16scan_by_key_implILNS1_25lookback_scan_determinismE0ELb1ES3_N6thrust23THRUST_200600_302600_NS6detail15normal_iteratorINS9_10device_ptrIiEEEENSB_INSC_IxEEEESG_xNS9_4plusIvEENS9_8equal_toIvEExEE10hipError_tPvRmT2_T3_T4_T5_mT6_T7_P12ihipStream_tbENKUlT_T0_E_clISt17integral_constantIbLb0EES10_IbLb1EEEEDaSW_SX_EUlSW_E_NS1_11comp_targetILNS1_3genE2ELNS1_11target_archE906ELNS1_3gpuE6ELNS1_3repE0EEENS1_30default_config_static_selectorELNS0_4arch9wavefront6targetE1EEEvT1_
; %bb.0:
	.section	.rodata,"a",@progbits
	.p2align	6, 0x0
	.amdhsa_kernel _ZN7rocprim17ROCPRIM_400000_NS6detail17trampoline_kernelINS0_14default_configENS1_27scan_by_key_config_selectorIixEEZZNS1_16scan_by_key_implILNS1_25lookback_scan_determinismE0ELb1ES3_N6thrust23THRUST_200600_302600_NS6detail15normal_iteratorINS9_10device_ptrIiEEEENSB_INSC_IxEEEESG_xNS9_4plusIvEENS9_8equal_toIvEExEE10hipError_tPvRmT2_T3_T4_T5_mT6_T7_P12ihipStream_tbENKUlT_T0_E_clISt17integral_constantIbLb0EES10_IbLb1EEEEDaSW_SX_EUlSW_E_NS1_11comp_targetILNS1_3genE2ELNS1_11target_archE906ELNS1_3gpuE6ELNS1_3repE0EEENS1_30default_config_static_selectorELNS0_4arch9wavefront6targetE1EEEvT1_
		.amdhsa_group_segment_fixed_size 0
		.amdhsa_private_segment_fixed_size 0
		.amdhsa_kernarg_size 136
		.amdhsa_user_sgpr_count 6
		.amdhsa_user_sgpr_private_segment_buffer 1
		.amdhsa_user_sgpr_dispatch_ptr 0
		.amdhsa_user_sgpr_queue_ptr 0
		.amdhsa_user_sgpr_kernarg_segment_ptr 1
		.amdhsa_user_sgpr_dispatch_id 0
		.amdhsa_user_sgpr_flat_scratch_init 0
		.amdhsa_user_sgpr_kernarg_preload_length 0
		.amdhsa_user_sgpr_kernarg_preload_offset 0
		.amdhsa_user_sgpr_private_segment_size 0
		.amdhsa_uses_dynamic_stack 0
		.amdhsa_system_sgpr_private_segment_wavefront_offset 0
		.amdhsa_system_sgpr_workgroup_id_x 1
		.amdhsa_system_sgpr_workgroup_id_y 0
		.amdhsa_system_sgpr_workgroup_id_z 0
		.amdhsa_system_sgpr_workgroup_info 0
		.amdhsa_system_vgpr_workitem_id 0
		.amdhsa_next_free_vgpr 1
		.amdhsa_next_free_sgpr 0
		.amdhsa_accum_offset 4
		.amdhsa_reserve_vcc 0
		.amdhsa_reserve_flat_scratch 0
		.amdhsa_float_round_mode_32 0
		.amdhsa_float_round_mode_16_64 0
		.amdhsa_float_denorm_mode_32 3
		.amdhsa_float_denorm_mode_16_64 3
		.amdhsa_dx10_clamp 1
		.amdhsa_ieee_mode 1
		.amdhsa_fp16_overflow 0
		.amdhsa_tg_split 0
		.amdhsa_exception_fp_ieee_invalid_op 0
		.amdhsa_exception_fp_denorm_src 0
		.amdhsa_exception_fp_ieee_div_zero 0
		.amdhsa_exception_fp_ieee_overflow 0
		.amdhsa_exception_fp_ieee_underflow 0
		.amdhsa_exception_fp_ieee_inexact 0
		.amdhsa_exception_int_div_zero 0
	.end_amdhsa_kernel
	.section	.text._ZN7rocprim17ROCPRIM_400000_NS6detail17trampoline_kernelINS0_14default_configENS1_27scan_by_key_config_selectorIixEEZZNS1_16scan_by_key_implILNS1_25lookback_scan_determinismE0ELb1ES3_N6thrust23THRUST_200600_302600_NS6detail15normal_iteratorINS9_10device_ptrIiEEEENSB_INSC_IxEEEESG_xNS9_4plusIvEENS9_8equal_toIvEExEE10hipError_tPvRmT2_T3_T4_T5_mT6_T7_P12ihipStream_tbENKUlT_T0_E_clISt17integral_constantIbLb0EES10_IbLb1EEEEDaSW_SX_EUlSW_E_NS1_11comp_targetILNS1_3genE2ELNS1_11target_archE906ELNS1_3gpuE6ELNS1_3repE0EEENS1_30default_config_static_selectorELNS0_4arch9wavefront6targetE1EEEvT1_,"axG",@progbits,_ZN7rocprim17ROCPRIM_400000_NS6detail17trampoline_kernelINS0_14default_configENS1_27scan_by_key_config_selectorIixEEZZNS1_16scan_by_key_implILNS1_25lookback_scan_determinismE0ELb1ES3_N6thrust23THRUST_200600_302600_NS6detail15normal_iteratorINS9_10device_ptrIiEEEENSB_INSC_IxEEEESG_xNS9_4plusIvEENS9_8equal_toIvEExEE10hipError_tPvRmT2_T3_T4_T5_mT6_T7_P12ihipStream_tbENKUlT_T0_E_clISt17integral_constantIbLb0EES10_IbLb1EEEEDaSW_SX_EUlSW_E_NS1_11comp_targetILNS1_3genE2ELNS1_11target_archE906ELNS1_3gpuE6ELNS1_3repE0EEENS1_30default_config_static_selectorELNS0_4arch9wavefront6targetE1EEEvT1_,comdat
.Lfunc_end1603:
	.size	_ZN7rocprim17ROCPRIM_400000_NS6detail17trampoline_kernelINS0_14default_configENS1_27scan_by_key_config_selectorIixEEZZNS1_16scan_by_key_implILNS1_25lookback_scan_determinismE0ELb1ES3_N6thrust23THRUST_200600_302600_NS6detail15normal_iteratorINS9_10device_ptrIiEEEENSB_INSC_IxEEEESG_xNS9_4plusIvEENS9_8equal_toIvEExEE10hipError_tPvRmT2_T3_T4_T5_mT6_T7_P12ihipStream_tbENKUlT_T0_E_clISt17integral_constantIbLb0EES10_IbLb1EEEEDaSW_SX_EUlSW_E_NS1_11comp_targetILNS1_3genE2ELNS1_11target_archE906ELNS1_3gpuE6ELNS1_3repE0EEENS1_30default_config_static_selectorELNS0_4arch9wavefront6targetE1EEEvT1_, .Lfunc_end1603-_ZN7rocprim17ROCPRIM_400000_NS6detail17trampoline_kernelINS0_14default_configENS1_27scan_by_key_config_selectorIixEEZZNS1_16scan_by_key_implILNS1_25lookback_scan_determinismE0ELb1ES3_N6thrust23THRUST_200600_302600_NS6detail15normal_iteratorINS9_10device_ptrIiEEEENSB_INSC_IxEEEESG_xNS9_4plusIvEENS9_8equal_toIvEExEE10hipError_tPvRmT2_T3_T4_T5_mT6_T7_P12ihipStream_tbENKUlT_T0_E_clISt17integral_constantIbLb0EES10_IbLb1EEEEDaSW_SX_EUlSW_E_NS1_11comp_targetILNS1_3genE2ELNS1_11target_archE906ELNS1_3gpuE6ELNS1_3repE0EEENS1_30default_config_static_selectorELNS0_4arch9wavefront6targetE1EEEvT1_
                                        ; -- End function
	.section	.AMDGPU.csdata,"",@progbits
; Kernel info:
; codeLenInByte = 0
; NumSgprs: 4
; NumVgprs: 0
; NumAgprs: 0
; TotalNumVgprs: 0
; ScratchSize: 0
; MemoryBound: 0
; FloatMode: 240
; IeeeMode: 1
; LDSByteSize: 0 bytes/workgroup (compile time only)
; SGPRBlocks: 0
; VGPRBlocks: 0
; NumSGPRsForWavesPerEU: 4
; NumVGPRsForWavesPerEU: 1
; AccumOffset: 4
; Occupancy: 8
; WaveLimiterHint : 0
; COMPUTE_PGM_RSRC2:SCRATCH_EN: 0
; COMPUTE_PGM_RSRC2:USER_SGPR: 6
; COMPUTE_PGM_RSRC2:TRAP_HANDLER: 0
; COMPUTE_PGM_RSRC2:TGID_X_EN: 1
; COMPUTE_PGM_RSRC2:TGID_Y_EN: 0
; COMPUTE_PGM_RSRC2:TGID_Z_EN: 0
; COMPUTE_PGM_RSRC2:TIDIG_COMP_CNT: 0
; COMPUTE_PGM_RSRC3_GFX90A:ACCUM_OFFSET: 0
; COMPUTE_PGM_RSRC3_GFX90A:TG_SPLIT: 0
	.section	.text._ZN7rocprim17ROCPRIM_400000_NS6detail17trampoline_kernelINS0_14default_configENS1_27scan_by_key_config_selectorIixEEZZNS1_16scan_by_key_implILNS1_25lookback_scan_determinismE0ELb1ES3_N6thrust23THRUST_200600_302600_NS6detail15normal_iteratorINS9_10device_ptrIiEEEENSB_INSC_IxEEEESG_xNS9_4plusIvEENS9_8equal_toIvEExEE10hipError_tPvRmT2_T3_T4_T5_mT6_T7_P12ihipStream_tbENKUlT_T0_E_clISt17integral_constantIbLb0EES10_IbLb1EEEEDaSW_SX_EUlSW_E_NS1_11comp_targetILNS1_3genE10ELNS1_11target_archE1200ELNS1_3gpuE4ELNS1_3repE0EEENS1_30default_config_static_selectorELNS0_4arch9wavefront6targetE1EEEvT1_,"axG",@progbits,_ZN7rocprim17ROCPRIM_400000_NS6detail17trampoline_kernelINS0_14default_configENS1_27scan_by_key_config_selectorIixEEZZNS1_16scan_by_key_implILNS1_25lookback_scan_determinismE0ELb1ES3_N6thrust23THRUST_200600_302600_NS6detail15normal_iteratorINS9_10device_ptrIiEEEENSB_INSC_IxEEEESG_xNS9_4plusIvEENS9_8equal_toIvEExEE10hipError_tPvRmT2_T3_T4_T5_mT6_T7_P12ihipStream_tbENKUlT_T0_E_clISt17integral_constantIbLb0EES10_IbLb1EEEEDaSW_SX_EUlSW_E_NS1_11comp_targetILNS1_3genE10ELNS1_11target_archE1200ELNS1_3gpuE4ELNS1_3repE0EEENS1_30default_config_static_selectorELNS0_4arch9wavefront6targetE1EEEvT1_,comdat
	.protected	_ZN7rocprim17ROCPRIM_400000_NS6detail17trampoline_kernelINS0_14default_configENS1_27scan_by_key_config_selectorIixEEZZNS1_16scan_by_key_implILNS1_25lookback_scan_determinismE0ELb1ES3_N6thrust23THRUST_200600_302600_NS6detail15normal_iteratorINS9_10device_ptrIiEEEENSB_INSC_IxEEEESG_xNS9_4plusIvEENS9_8equal_toIvEExEE10hipError_tPvRmT2_T3_T4_T5_mT6_T7_P12ihipStream_tbENKUlT_T0_E_clISt17integral_constantIbLb0EES10_IbLb1EEEEDaSW_SX_EUlSW_E_NS1_11comp_targetILNS1_3genE10ELNS1_11target_archE1200ELNS1_3gpuE4ELNS1_3repE0EEENS1_30default_config_static_selectorELNS0_4arch9wavefront6targetE1EEEvT1_ ; -- Begin function _ZN7rocprim17ROCPRIM_400000_NS6detail17trampoline_kernelINS0_14default_configENS1_27scan_by_key_config_selectorIixEEZZNS1_16scan_by_key_implILNS1_25lookback_scan_determinismE0ELb1ES3_N6thrust23THRUST_200600_302600_NS6detail15normal_iteratorINS9_10device_ptrIiEEEENSB_INSC_IxEEEESG_xNS9_4plusIvEENS9_8equal_toIvEExEE10hipError_tPvRmT2_T3_T4_T5_mT6_T7_P12ihipStream_tbENKUlT_T0_E_clISt17integral_constantIbLb0EES10_IbLb1EEEEDaSW_SX_EUlSW_E_NS1_11comp_targetILNS1_3genE10ELNS1_11target_archE1200ELNS1_3gpuE4ELNS1_3repE0EEENS1_30default_config_static_selectorELNS0_4arch9wavefront6targetE1EEEvT1_
	.globl	_ZN7rocprim17ROCPRIM_400000_NS6detail17trampoline_kernelINS0_14default_configENS1_27scan_by_key_config_selectorIixEEZZNS1_16scan_by_key_implILNS1_25lookback_scan_determinismE0ELb1ES3_N6thrust23THRUST_200600_302600_NS6detail15normal_iteratorINS9_10device_ptrIiEEEENSB_INSC_IxEEEESG_xNS9_4plusIvEENS9_8equal_toIvEExEE10hipError_tPvRmT2_T3_T4_T5_mT6_T7_P12ihipStream_tbENKUlT_T0_E_clISt17integral_constantIbLb0EES10_IbLb1EEEEDaSW_SX_EUlSW_E_NS1_11comp_targetILNS1_3genE10ELNS1_11target_archE1200ELNS1_3gpuE4ELNS1_3repE0EEENS1_30default_config_static_selectorELNS0_4arch9wavefront6targetE1EEEvT1_
	.p2align	8
	.type	_ZN7rocprim17ROCPRIM_400000_NS6detail17trampoline_kernelINS0_14default_configENS1_27scan_by_key_config_selectorIixEEZZNS1_16scan_by_key_implILNS1_25lookback_scan_determinismE0ELb1ES3_N6thrust23THRUST_200600_302600_NS6detail15normal_iteratorINS9_10device_ptrIiEEEENSB_INSC_IxEEEESG_xNS9_4plusIvEENS9_8equal_toIvEExEE10hipError_tPvRmT2_T3_T4_T5_mT6_T7_P12ihipStream_tbENKUlT_T0_E_clISt17integral_constantIbLb0EES10_IbLb1EEEEDaSW_SX_EUlSW_E_NS1_11comp_targetILNS1_3genE10ELNS1_11target_archE1200ELNS1_3gpuE4ELNS1_3repE0EEENS1_30default_config_static_selectorELNS0_4arch9wavefront6targetE1EEEvT1_,@function
_ZN7rocprim17ROCPRIM_400000_NS6detail17trampoline_kernelINS0_14default_configENS1_27scan_by_key_config_selectorIixEEZZNS1_16scan_by_key_implILNS1_25lookback_scan_determinismE0ELb1ES3_N6thrust23THRUST_200600_302600_NS6detail15normal_iteratorINS9_10device_ptrIiEEEENSB_INSC_IxEEEESG_xNS9_4plusIvEENS9_8equal_toIvEExEE10hipError_tPvRmT2_T3_T4_T5_mT6_T7_P12ihipStream_tbENKUlT_T0_E_clISt17integral_constantIbLb0EES10_IbLb1EEEEDaSW_SX_EUlSW_E_NS1_11comp_targetILNS1_3genE10ELNS1_11target_archE1200ELNS1_3gpuE4ELNS1_3repE0EEENS1_30default_config_static_selectorELNS0_4arch9wavefront6targetE1EEEvT1_: ; @_ZN7rocprim17ROCPRIM_400000_NS6detail17trampoline_kernelINS0_14default_configENS1_27scan_by_key_config_selectorIixEEZZNS1_16scan_by_key_implILNS1_25lookback_scan_determinismE0ELb1ES3_N6thrust23THRUST_200600_302600_NS6detail15normal_iteratorINS9_10device_ptrIiEEEENSB_INSC_IxEEEESG_xNS9_4plusIvEENS9_8equal_toIvEExEE10hipError_tPvRmT2_T3_T4_T5_mT6_T7_P12ihipStream_tbENKUlT_T0_E_clISt17integral_constantIbLb0EES10_IbLb1EEEEDaSW_SX_EUlSW_E_NS1_11comp_targetILNS1_3genE10ELNS1_11target_archE1200ELNS1_3gpuE4ELNS1_3repE0EEENS1_30default_config_static_selectorELNS0_4arch9wavefront6targetE1EEEvT1_
; %bb.0:
	.section	.rodata,"a",@progbits
	.p2align	6, 0x0
	.amdhsa_kernel _ZN7rocprim17ROCPRIM_400000_NS6detail17trampoline_kernelINS0_14default_configENS1_27scan_by_key_config_selectorIixEEZZNS1_16scan_by_key_implILNS1_25lookback_scan_determinismE0ELb1ES3_N6thrust23THRUST_200600_302600_NS6detail15normal_iteratorINS9_10device_ptrIiEEEENSB_INSC_IxEEEESG_xNS9_4plusIvEENS9_8equal_toIvEExEE10hipError_tPvRmT2_T3_T4_T5_mT6_T7_P12ihipStream_tbENKUlT_T0_E_clISt17integral_constantIbLb0EES10_IbLb1EEEEDaSW_SX_EUlSW_E_NS1_11comp_targetILNS1_3genE10ELNS1_11target_archE1200ELNS1_3gpuE4ELNS1_3repE0EEENS1_30default_config_static_selectorELNS0_4arch9wavefront6targetE1EEEvT1_
		.amdhsa_group_segment_fixed_size 0
		.amdhsa_private_segment_fixed_size 0
		.amdhsa_kernarg_size 136
		.amdhsa_user_sgpr_count 6
		.amdhsa_user_sgpr_private_segment_buffer 1
		.amdhsa_user_sgpr_dispatch_ptr 0
		.amdhsa_user_sgpr_queue_ptr 0
		.amdhsa_user_sgpr_kernarg_segment_ptr 1
		.amdhsa_user_sgpr_dispatch_id 0
		.amdhsa_user_sgpr_flat_scratch_init 0
		.amdhsa_user_sgpr_kernarg_preload_length 0
		.amdhsa_user_sgpr_kernarg_preload_offset 0
		.amdhsa_user_sgpr_private_segment_size 0
		.amdhsa_uses_dynamic_stack 0
		.amdhsa_system_sgpr_private_segment_wavefront_offset 0
		.amdhsa_system_sgpr_workgroup_id_x 1
		.amdhsa_system_sgpr_workgroup_id_y 0
		.amdhsa_system_sgpr_workgroup_id_z 0
		.amdhsa_system_sgpr_workgroup_info 0
		.amdhsa_system_vgpr_workitem_id 0
		.amdhsa_next_free_vgpr 1
		.amdhsa_next_free_sgpr 0
		.amdhsa_accum_offset 4
		.amdhsa_reserve_vcc 0
		.amdhsa_reserve_flat_scratch 0
		.amdhsa_float_round_mode_32 0
		.amdhsa_float_round_mode_16_64 0
		.amdhsa_float_denorm_mode_32 3
		.amdhsa_float_denorm_mode_16_64 3
		.amdhsa_dx10_clamp 1
		.amdhsa_ieee_mode 1
		.amdhsa_fp16_overflow 0
		.amdhsa_tg_split 0
		.amdhsa_exception_fp_ieee_invalid_op 0
		.amdhsa_exception_fp_denorm_src 0
		.amdhsa_exception_fp_ieee_div_zero 0
		.amdhsa_exception_fp_ieee_overflow 0
		.amdhsa_exception_fp_ieee_underflow 0
		.amdhsa_exception_fp_ieee_inexact 0
		.amdhsa_exception_int_div_zero 0
	.end_amdhsa_kernel
	.section	.text._ZN7rocprim17ROCPRIM_400000_NS6detail17trampoline_kernelINS0_14default_configENS1_27scan_by_key_config_selectorIixEEZZNS1_16scan_by_key_implILNS1_25lookback_scan_determinismE0ELb1ES3_N6thrust23THRUST_200600_302600_NS6detail15normal_iteratorINS9_10device_ptrIiEEEENSB_INSC_IxEEEESG_xNS9_4plusIvEENS9_8equal_toIvEExEE10hipError_tPvRmT2_T3_T4_T5_mT6_T7_P12ihipStream_tbENKUlT_T0_E_clISt17integral_constantIbLb0EES10_IbLb1EEEEDaSW_SX_EUlSW_E_NS1_11comp_targetILNS1_3genE10ELNS1_11target_archE1200ELNS1_3gpuE4ELNS1_3repE0EEENS1_30default_config_static_selectorELNS0_4arch9wavefront6targetE1EEEvT1_,"axG",@progbits,_ZN7rocprim17ROCPRIM_400000_NS6detail17trampoline_kernelINS0_14default_configENS1_27scan_by_key_config_selectorIixEEZZNS1_16scan_by_key_implILNS1_25lookback_scan_determinismE0ELb1ES3_N6thrust23THRUST_200600_302600_NS6detail15normal_iteratorINS9_10device_ptrIiEEEENSB_INSC_IxEEEESG_xNS9_4plusIvEENS9_8equal_toIvEExEE10hipError_tPvRmT2_T3_T4_T5_mT6_T7_P12ihipStream_tbENKUlT_T0_E_clISt17integral_constantIbLb0EES10_IbLb1EEEEDaSW_SX_EUlSW_E_NS1_11comp_targetILNS1_3genE10ELNS1_11target_archE1200ELNS1_3gpuE4ELNS1_3repE0EEENS1_30default_config_static_selectorELNS0_4arch9wavefront6targetE1EEEvT1_,comdat
.Lfunc_end1604:
	.size	_ZN7rocprim17ROCPRIM_400000_NS6detail17trampoline_kernelINS0_14default_configENS1_27scan_by_key_config_selectorIixEEZZNS1_16scan_by_key_implILNS1_25lookback_scan_determinismE0ELb1ES3_N6thrust23THRUST_200600_302600_NS6detail15normal_iteratorINS9_10device_ptrIiEEEENSB_INSC_IxEEEESG_xNS9_4plusIvEENS9_8equal_toIvEExEE10hipError_tPvRmT2_T3_T4_T5_mT6_T7_P12ihipStream_tbENKUlT_T0_E_clISt17integral_constantIbLb0EES10_IbLb1EEEEDaSW_SX_EUlSW_E_NS1_11comp_targetILNS1_3genE10ELNS1_11target_archE1200ELNS1_3gpuE4ELNS1_3repE0EEENS1_30default_config_static_selectorELNS0_4arch9wavefront6targetE1EEEvT1_, .Lfunc_end1604-_ZN7rocprim17ROCPRIM_400000_NS6detail17trampoline_kernelINS0_14default_configENS1_27scan_by_key_config_selectorIixEEZZNS1_16scan_by_key_implILNS1_25lookback_scan_determinismE0ELb1ES3_N6thrust23THRUST_200600_302600_NS6detail15normal_iteratorINS9_10device_ptrIiEEEENSB_INSC_IxEEEESG_xNS9_4plusIvEENS9_8equal_toIvEExEE10hipError_tPvRmT2_T3_T4_T5_mT6_T7_P12ihipStream_tbENKUlT_T0_E_clISt17integral_constantIbLb0EES10_IbLb1EEEEDaSW_SX_EUlSW_E_NS1_11comp_targetILNS1_3genE10ELNS1_11target_archE1200ELNS1_3gpuE4ELNS1_3repE0EEENS1_30default_config_static_selectorELNS0_4arch9wavefront6targetE1EEEvT1_
                                        ; -- End function
	.section	.AMDGPU.csdata,"",@progbits
; Kernel info:
; codeLenInByte = 0
; NumSgprs: 4
; NumVgprs: 0
; NumAgprs: 0
; TotalNumVgprs: 0
; ScratchSize: 0
; MemoryBound: 0
; FloatMode: 240
; IeeeMode: 1
; LDSByteSize: 0 bytes/workgroup (compile time only)
; SGPRBlocks: 0
; VGPRBlocks: 0
; NumSGPRsForWavesPerEU: 4
; NumVGPRsForWavesPerEU: 1
; AccumOffset: 4
; Occupancy: 8
; WaveLimiterHint : 0
; COMPUTE_PGM_RSRC2:SCRATCH_EN: 0
; COMPUTE_PGM_RSRC2:USER_SGPR: 6
; COMPUTE_PGM_RSRC2:TRAP_HANDLER: 0
; COMPUTE_PGM_RSRC2:TGID_X_EN: 1
; COMPUTE_PGM_RSRC2:TGID_Y_EN: 0
; COMPUTE_PGM_RSRC2:TGID_Z_EN: 0
; COMPUTE_PGM_RSRC2:TIDIG_COMP_CNT: 0
; COMPUTE_PGM_RSRC3_GFX90A:ACCUM_OFFSET: 0
; COMPUTE_PGM_RSRC3_GFX90A:TG_SPLIT: 0
	.section	.text._ZN7rocprim17ROCPRIM_400000_NS6detail17trampoline_kernelINS0_14default_configENS1_27scan_by_key_config_selectorIixEEZZNS1_16scan_by_key_implILNS1_25lookback_scan_determinismE0ELb1ES3_N6thrust23THRUST_200600_302600_NS6detail15normal_iteratorINS9_10device_ptrIiEEEENSB_INSC_IxEEEESG_xNS9_4plusIvEENS9_8equal_toIvEExEE10hipError_tPvRmT2_T3_T4_T5_mT6_T7_P12ihipStream_tbENKUlT_T0_E_clISt17integral_constantIbLb0EES10_IbLb1EEEEDaSW_SX_EUlSW_E_NS1_11comp_targetILNS1_3genE9ELNS1_11target_archE1100ELNS1_3gpuE3ELNS1_3repE0EEENS1_30default_config_static_selectorELNS0_4arch9wavefront6targetE1EEEvT1_,"axG",@progbits,_ZN7rocprim17ROCPRIM_400000_NS6detail17trampoline_kernelINS0_14default_configENS1_27scan_by_key_config_selectorIixEEZZNS1_16scan_by_key_implILNS1_25lookback_scan_determinismE0ELb1ES3_N6thrust23THRUST_200600_302600_NS6detail15normal_iteratorINS9_10device_ptrIiEEEENSB_INSC_IxEEEESG_xNS9_4plusIvEENS9_8equal_toIvEExEE10hipError_tPvRmT2_T3_T4_T5_mT6_T7_P12ihipStream_tbENKUlT_T0_E_clISt17integral_constantIbLb0EES10_IbLb1EEEEDaSW_SX_EUlSW_E_NS1_11comp_targetILNS1_3genE9ELNS1_11target_archE1100ELNS1_3gpuE3ELNS1_3repE0EEENS1_30default_config_static_selectorELNS0_4arch9wavefront6targetE1EEEvT1_,comdat
	.protected	_ZN7rocprim17ROCPRIM_400000_NS6detail17trampoline_kernelINS0_14default_configENS1_27scan_by_key_config_selectorIixEEZZNS1_16scan_by_key_implILNS1_25lookback_scan_determinismE0ELb1ES3_N6thrust23THRUST_200600_302600_NS6detail15normal_iteratorINS9_10device_ptrIiEEEENSB_INSC_IxEEEESG_xNS9_4plusIvEENS9_8equal_toIvEExEE10hipError_tPvRmT2_T3_T4_T5_mT6_T7_P12ihipStream_tbENKUlT_T0_E_clISt17integral_constantIbLb0EES10_IbLb1EEEEDaSW_SX_EUlSW_E_NS1_11comp_targetILNS1_3genE9ELNS1_11target_archE1100ELNS1_3gpuE3ELNS1_3repE0EEENS1_30default_config_static_selectorELNS0_4arch9wavefront6targetE1EEEvT1_ ; -- Begin function _ZN7rocprim17ROCPRIM_400000_NS6detail17trampoline_kernelINS0_14default_configENS1_27scan_by_key_config_selectorIixEEZZNS1_16scan_by_key_implILNS1_25lookback_scan_determinismE0ELb1ES3_N6thrust23THRUST_200600_302600_NS6detail15normal_iteratorINS9_10device_ptrIiEEEENSB_INSC_IxEEEESG_xNS9_4plusIvEENS9_8equal_toIvEExEE10hipError_tPvRmT2_T3_T4_T5_mT6_T7_P12ihipStream_tbENKUlT_T0_E_clISt17integral_constantIbLb0EES10_IbLb1EEEEDaSW_SX_EUlSW_E_NS1_11comp_targetILNS1_3genE9ELNS1_11target_archE1100ELNS1_3gpuE3ELNS1_3repE0EEENS1_30default_config_static_selectorELNS0_4arch9wavefront6targetE1EEEvT1_
	.globl	_ZN7rocprim17ROCPRIM_400000_NS6detail17trampoline_kernelINS0_14default_configENS1_27scan_by_key_config_selectorIixEEZZNS1_16scan_by_key_implILNS1_25lookback_scan_determinismE0ELb1ES3_N6thrust23THRUST_200600_302600_NS6detail15normal_iteratorINS9_10device_ptrIiEEEENSB_INSC_IxEEEESG_xNS9_4plusIvEENS9_8equal_toIvEExEE10hipError_tPvRmT2_T3_T4_T5_mT6_T7_P12ihipStream_tbENKUlT_T0_E_clISt17integral_constantIbLb0EES10_IbLb1EEEEDaSW_SX_EUlSW_E_NS1_11comp_targetILNS1_3genE9ELNS1_11target_archE1100ELNS1_3gpuE3ELNS1_3repE0EEENS1_30default_config_static_selectorELNS0_4arch9wavefront6targetE1EEEvT1_
	.p2align	8
	.type	_ZN7rocprim17ROCPRIM_400000_NS6detail17trampoline_kernelINS0_14default_configENS1_27scan_by_key_config_selectorIixEEZZNS1_16scan_by_key_implILNS1_25lookback_scan_determinismE0ELb1ES3_N6thrust23THRUST_200600_302600_NS6detail15normal_iteratorINS9_10device_ptrIiEEEENSB_INSC_IxEEEESG_xNS9_4plusIvEENS9_8equal_toIvEExEE10hipError_tPvRmT2_T3_T4_T5_mT6_T7_P12ihipStream_tbENKUlT_T0_E_clISt17integral_constantIbLb0EES10_IbLb1EEEEDaSW_SX_EUlSW_E_NS1_11comp_targetILNS1_3genE9ELNS1_11target_archE1100ELNS1_3gpuE3ELNS1_3repE0EEENS1_30default_config_static_selectorELNS0_4arch9wavefront6targetE1EEEvT1_,@function
_ZN7rocprim17ROCPRIM_400000_NS6detail17trampoline_kernelINS0_14default_configENS1_27scan_by_key_config_selectorIixEEZZNS1_16scan_by_key_implILNS1_25lookback_scan_determinismE0ELb1ES3_N6thrust23THRUST_200600_302600_NS6detail15normal_iteratorINS9_10device_ptrIiEEEENSB_INSC_IxEEEESG_xNS9_4plusIvEENS9_8equal_toIvEExEE10hipError_tPvRmT2_T3_T4_T5_mT6_T7_P12ihipStream_tbENKUlT_T0_E_clISt17integral_constantIbLb0EES10_IbLb1EEEEDaSW_SX_EUlSW_E_NS1_11comp_targetILNS1_3genE9ELNS1_11target_archE1100ELNS1_3gpuE3ELNS1_3repE0EEENS1_30default_config_static_selectorELNS0_4arch9wavefront6targetE1EEEvT1_: ; @_ZN7rocprim17ROCPRIM_400000_NS6detail17trampoline_kernelINS0_14default_configENS1_27scan_by_key_config_selectorIixEEZZNS1_16scan_by_key_implILNS1_25lookback_scan_determinismE0ELb1ES3_N6thrust23THRUST_200600_302600_NS6detail15normal_iteratorINS9_10device_ptrIiEEEENSB_INSC_IxEEEESG_xNS9_4plusIvEENS9_8equal_toIvEExEE10hipError_tPvRmT2_T3_T4_T5_mT6_T7_P12ihipStream_tbENKUlT_T0_E_clISt17integral_constantIbLb0EES10_IbLb1EEEEDaSW_SX_EUlSW_E_NS1_11comp_targetILNS1_3genE9ELNS1_11target_archE1100ELNS1_3gpuE3ELNS1_3repE0EEENS1_30default_config_static_selectorELNS0_4arch9wavefront6targetE1EEEvT1_
; %bb.0:
	.section	.rodata,"a",@progbits
	.p2align	6, 0x0
	.amdhsa_kernel _ZN7rocprim17ROCPRIM_400000_NS6detail17trampoline_kernelINS0_14default_configENS1_27scan_by_key_config_selectorIixEEZZNS1_16scan_by_key_implILNS1_25lookback_scan_determinismE0ELb1ES3_N6thrust23THRUST_200600_302600_NS6detail15normal_iteratorINS9_10device_ptrIiEEEENSB_INSC_IxEEEESG_xNS9_4plusIvEENS9_8equal_toIvEExEE10hipError_tPvRmT2_T3_T4_T5_mT6_T7_P12ihipStream_tbENKUlT_T0_E_clISt17integral_constantIbLb0EES10_IbLb1EEEEDaSW_SX_EUlSW_E_NS1_11comp_targetILNS1_3genE9ELNS1_11target_archE1100ELNS1_3gpuE3ELNS1_3repE0EEENS1_30default_config_static_selectorELNS0_4arch9wavefront6targetE1EEEvT1_
		.amdhsa_group_segment_fixed_size 0
		.amdhsa_private_segment_fixed_size 0
		.amdhsa_kernarg_size 136
		.amdhsa_user_sgpr_count 6
		.amdhsa_user_sgpr_private_segment_buffer 1
		.amdhsa_user_sgpr_dispatch_ptr 0
		.amdhsa_user_sgpr_queue_ptr 0
		.amdhsa_user_sgpr_kernarg_segment_ptr 1
		.amdhsa_user_sgpr_dispatch_id 0
		.amdhsa_user_sgpr_flat_scratch_init 0
		.amdhsa_user_sgpr_kernarg_preload_length 0
		.amdhsa_user_sgpr_kernarg_preload_offset 0
		.amdhsa_user_sgpr_private_segment_size 0
		.amdhsa_uses_dynamic_stack 0
		.amdhsa_system_sgpr_private_segment_wavefront_offset 0
		.amdhsa_system_sgpr_workgroup_id_x 1
		.amdhsa_system_sgpr_workgroup_id_y 0
		.amdhsa_system_sgpr_workgroup_id_z 0
		.amdhsa_system_sgpr_workgroup_info 0
		.amdhsa_system_vgpr_workitem_id 0
		.amdhsa_next_free_vgpr 1
		.amdhsa_next_free_sgpr 0
		.amdhsa_accum_offset 4
		.amdhsa_reserve_vcc 0
		.amdhsa_reserve_flat_scratch 0
		.amdhsa_float_round_mode_32 0
		.amdhsa_float_round_mode_16_64 0
		.amdhsa_float_denorm_mode_32 3
		.amdhsa_float_denorm_mode_16_64 3
		.amdhsa_dx10_clamp 1
		.amdhsa_ieee_mode 1
		.amdhsa_fp16_overflow 0
		.amdhsa_tg_split 0
		.amdhsa_exception_fp_ieee_invalid_op 0
		.amdhsa_exception_fp_denorm_src 0
		.amdhsa_exception_fp_ieee_div_zero 0
		.amdhsa_exception_fp_ieee_overflow 0
		.amdhsa_exception_fp_ieee_underflow 0
		.amdhsa_exception_fp_ieee_inexact 0
		.amdhsa_exception_int_div_zero 0
	.end_amdhsa_kernel
	.section	.text._ZN7rocprim17ROCPRIM_400000_NS6detail17trampoline_kernelINS0_14default_configENS1_27scan_by_key_config_selectorIixEEZZNS1_16scan_by_key_implILNS1_25lookback_scan_determinismE0ELb1ES3_N6thrust23THRUST_200600_302600_NS6detail15normal_iteratorINS9_10device_ptrIiEEEENSB_INSC_IxEEEESG_xNS9_4plusIvEENS9_8equal_toIvEExEE10hipError_tPvRmT2_T3_T4_T5_mT6_T7_P12ihipStream_tbENKUlT_T0_E_clISt17integral_constantIbLb0EES10_IbLb1EEEEDaSW_SX_EUlSW_E_NS1_11comp_targetILNS1_3genE9ELNS1_11target_archE1100ELNS1_3gpuE3ELNS1_3repE0EEENS1_30default_config_static_selectorELNS0_4arch9wavefront6targetE1EEEvT1_,"axG",@progbits,_ZN7rocprim17ROCPRIM_400000_NS6detail17trampoline_kernelINS0_14default_configENS1_27scan_by_key_config_selectorIixEEZZNS1_16scan_by_key_implILNS1_25lookback_scan_determinismE0ELb1ES3_N6thrust23THRUST_200600_302600_NS6detail15normal_iteratorINS9_10device_ptrIiEEEENSB_INSC_IxEEEESG_xNS9_4plusIvEENS9_8equal_toIvEExEE10hipError_tPvRmT2_T3_T4_T5_mT6_T7_P12ihipStream_tbENKUlT_T0_E_clISt17integral_constantIbLb0EES10_IbLb1EEEEDaSW_SX_EUlSW_E_NS1_11comp_targetILNS1_3genE9ELNS1_11target_archE1100ELNS1_3gpuE3ELNS1_3repE0EEENS1_30default_config_static_selectorELNS0_4arch9wavefront6targetE1EEEvT1_,comdat
.Lfunc_end1605:
	.size	_ZN7rocprim17ROCPRIM_400000_NS6detail17trampoline_kernelINS0_14default_configENS1_27scan_by_key_config_selectorIixEEZZNS1_16scan_by_key_implILNS1_25lookback_scan_determinismE0ELb1ES3_N6thrust23THRUST_200600_302600_NS6detail15normal_iteratorINS9_10device_ptrIiEEEENSB_INSC_IxEEEESG_xNS9_4plusIvEENS9_8equal_toIvEExEE10hipError_tPvRmT2_T3_T4_T5_mT6_T7_P12ihipStream_tbENKUlT_T0_E_clISt17integral_constantIbLb0EES10_IbLb1EEEEDaSW_SX_EUlSW_E_NS1_11comp_targetILNS1_3genE9ELNS1_11target_archE1100ELNS1_3gpuE3ELNS1_3repE0EEENS1_30default_config_static_selectorELNS0_4arch9wavefront6targetE1EEEvT1_, .Lfunc_end1605-_ZN7rocprim17ROCPRIM_400000_NS6detail17trampoline_kernelINS0_14default_configENS1_27scan_by_key_config_selectorIixEEZZNS1_16scan_by_key_implILNS1_25lookback_scan_determinismE0ELb1ES3_N6thrust23THRUST_200600_302600_NS6detail15normal_iteratorINS9_10device_ptrIiEEEENSB_INSC_IxEEEESG_xNS9_4plusIvEENS9_8equal_toIvEExEE10hipError_tPvRmT2_T3_T4_T5_mT6_T7_P12ihipStream_tbENKUlT_T0_E_clISt17integral_constantIbLb0EES10_IbLb1EEEEDaSW_SX_EUlSW_E_NS1_11comp_targetILNS1_3genE9ELNS1_11target_archE1100ELNS1_3gpuE3ELNS1_3repE0EEENS1_30default_config_static_selectorELNS0_4arch9wavefront6targetE1EEEvT1_
                                        ; -- End function
	.section	.AMDGPU.csdata,"",@progbits
; Kernel info:
; codeLenInByte = 0
; NumSgprs: 4
; NumVgprs: 0
; NumAgprs: 0
; TotalNumVgprs: 0
; ScratchSize: 0
; MemoryBound: 0
; FloatMode: 240
; IeeeMode: 1
; LDSByteSize: 0 bytes/workgroup (compile time only)
; SGPRBlocks: 0
; VGPRBlocks: 0
; NumSGPRsForWavesPerEU: 4
; NumVGPRsForWavesPerEU: 1
; AccumOffset: 4
; Occupancy: 8
; WaveLimiterHint : 0
; COMPUTE_PGM_RSRC2:SCRATCH_EN: 0
; COMPUTE_PGM_RSRC2:USER_SGPR: 6
; COMPUTE_PGM_RSRC2:TRAP_HANDLER: 0
; COMPUTE_PGM_RSRC2:TGID_X_EN: 1
; COMPUTE_PGM_RSRC2:TGID_Y_EN: 0
; COMPUTE_PGM_RSRC2:TGID_Z_EN: 0
; COMPUTE_PGM_RSRC2:TIDIG_COMP_CNT: 0
; COMPUTE_PGM_RSRC3_GFX90A:ACCUM_OFFSET: 0
; COMPUTE_PGM_RSRC3_GFX90A:TG_SPLIT: 0
	.section	.text._ZN7rocprim17ROCPRIM_400000_NS6detail17trampoline_kernelINS0_14default_configENS1_27scan_by_key_config_selectorIixEEZZNS1_16scan_by_key_implILNS1_25lookback_scan_determinismE0ELb1ES3_N6thrust23THRUST_200600_302600_NS6detail15normal_iteratorINS9_10device_ptrIiEEEENSB_INSC_IxEEEESG_xNS9_4plusIvEENS9_8equal_toIvEExEE10hipError_tPvRmT2_T3_T4_T5_mT6_T7_P12ihipStream_tbENKUlT_T0_E_clISt17integral_constantIbLb0EES10_IbLb1EEEEDaSW_SX_EUlSW_E_NS1_11comp_targetILNS1_3genE8ELNS1_11target_archE1030ELNS1_3gpuE2ELNS1_3repE0EEENS1_30default_config_static_selectorELNS0_4arch9wavefront6targetE1EEEvT1_,"axG",@progbits,_ZN7rocprim17ROCPRIM_400000_NS6detail17trampoline_kernelINS0_14default_configENS1_27scan_by_key_config_selectorIixEEZZNS1_16scan_by_key_implILNS1_25lookback_scan_determinismE0ELb1ES3_N6thrust23THRUST_200600_302600_NS6detail15normal_iteratorINS9_10device_ptrIiEEEENSB_INSC_IxEEEESG_xNS9_4plusIvEENS9_8equal_toIvEExEE10hipError_tPvRmT2_T3_T4_T5_mT6_T7_P12ihipStream_tbENKUlT_T0_E_clISt17integral_constantIbLb0EES10_IbLb1EEEEDaSW_SX_EUlSW_E_NS1_11comp_targetILNS1_3genE8ELNS1_11target_archE1030ELNS1_3gpuE2ELNS1_3repE0EEENS1_30default_config_static_selectorELNS0_4arch9wavefront6targetE1EEEvT1_,comdat
	.protected	_ZN7rocprim17ROCPRIM_400000_NS6detail17trampoline_kernelINS0_14default_configENS1_27scan_by_key_config_selectorIixEEZZNS1_16scan_by_key_implILNS1_25lookback_scan_determinismE0ELb1ES3_N6thrust23THRUST_200600_302600_NS6detail15normal_iteratorINS9_10device_ptrIiEEEENSB_INSC_IxEEEESG_xNS9_4plusIvEENS9_8equal_toIvEExEE10hipError_tPvRmT2_T3_T4_T5_mT6_T7_P12ihipStream_tbENKUlT_T0_E_clISt17integral_constantIbLb0EES10_IbLb1EEEEDaSW_SX_EUlSW_E_NS1_11comp_targetILNS1_3genE8ELNS1_11target_archE1030ELNS1_3gpuE2ELNS1_3repE0EEENS1_30default_config_static_selectorELNS0_4arch9wavefront6targetE1EEEvT1_ ; -- Begin function _ZN7rocprim17ROCPRIM_400000_NS6detail17trampoline_kernelINS0_14default_configENS1_27scan_by_key_config_selectorIixEEZZNS1_16scan_by_key_implILNS1_25lookback_scan_determinismE0ELb1ES3_N6thrust23THRUST_200600_302600_NS6detail15normal_iteratorINS9_10device_ptrIiEEEENSB_INSC_IxEEEESG_xNS9_4plusIvEENS9_8equal_toIvEExEE10hipError_tPvRmT2_T3_T4_T5_mT6_T7_P12ihipStream_tbENKUlT_T0_E_clISt17integral_constantIbLb0EES10_IbLb1EEEEDaSW_SX_EUlSW_E_NS1_11comp_targetILNS1_3genE8ELNS1_11target_archE1030ELNS1_3gpuE2ELNS1_3repE0EEENS1_30default_config_static_selectorELNS0_4arch9wavefront6targetE1EEEvT1_
	.globl	_ZN7rocprim17ROCPRIM_400000_NS6detail17trampoline_kernelINS0_14default_configENS1_27scan_by_key_config_selectorIixEEZZNS1_16scan_by_key_implILNS1_25lookback_scan_determinismE0ELb1ES3_N6thrust23THRUST_200600_302600_NS6detail15normal_iteratorINS9_10device_ptrIiEEEENSB_INSC_IxEEEESG_xNS9_4plusIvEENS9_8equal_toIvEExEE10hipError_tPvRmT2_T3_T4_T5_mT6_T7_P12ihipStream_tbENKUlT_T0_E_clISt17integral_constantIbLb0EES10_IbLb1EEEEDaSW_SX_EUlSW_E_NS1_11comp_targetILNS1_3genE8ELNS1_11target_archE1030ELNS1_3gpuE2ELNS1_3repE0EEENS1_30default_config_static_selectorELNS0_4arch9wavefront6targetE1EEEvT1_
	.p2align	8
	.type	_ZN7rocprim17ROCPRIM_400000_NS6detail17trampoline_kernelINS0_14default_configENS1_27scan_by_key_config_selectorIixEEZZNS1_16scan_by_key_implILNS1_25lookback_scan_determinismE0ELb1ES3_N6thrust23THRUST_200600_302600_NS6detail15normal_iteratorINS9_10device_ptrIiEEEENSB_INSC_IxEEEESG_xNS9_4plusIvEENS9_8equal_toIvEExEE10hipError_tPvRmT2_T3_T4_T5_mT6_T7_P12ihipStream_tbENKUlT_T0_E_clISt17integral_constantIbLb0EES10_IbLb1EEEEDaSW_SX_EUlSW_E_NS1_11comp_targetILNS1_3genE8ELNS1_11target_archE1030ELNS1_3gpuE2ELNS1_3repE0EEENS1_30default_config_static_selectorELNS0_4arch9wavefront6targetE1EEEvT1_,@function
_ZN7rocprim17ROCPRIM_400000_NS6detail17trampoline_kernelINS0_14default_configENS1_27scan_by_key_config_selectorIixEEZZNS1_16scan_by_key_implILNS1_25lookback_scan_determinismE0ELb1ES3_N6thrust23THRUST_200600_302600_NS6detail15normal_iteratorINS9_10device_ptrIiEEEENSB_INSC_IxEEEESG_xNS9_4plusIvEENS9_8equal_toIvEExEE10hipError_tPvRmT2_T3_T4_T5_mT6_T7_P12ihipStream_tbENKUlT_T0_E_clISt17integral_constantIbLb0EES10_IbLb1EEEEDaSW_SX_EUlSW_E_NS1_11comp_targetILNS1_3genE8ELNS1_11target_archE1030ELNS1_3gpuE2ELNS1_3repE0EEENS1_30default_config_static_selectorELNS0_4arch9wavefront6targetE1EEEvT1_: ; @_ZN7rocprim17ROCPRIM_400000_NS6detail17trampoline_kernelINS0_14default_configENS1_27scan_by_key_config_selectorIixEEZZNS1_16scan_by_key_implILNS1_25lookback_scan_determinismE0ELb1ES3_N6thrust23THRUST_200600_302600_NS6detail15normal_iteratorINS9_10device_ptrIiEEEENSB_INSC_IxEEEESG_xNS9_4plusIvEENS9_8equal_toIvEExEE10hipError_tPvRmT2_T3_T4_T5_mT6_T7_P12ihipStream_tbENKUlT_T0_E_clISt17integral_constantIbLb0EES10_IbLb1EEEEDaSW_SX_EUlSW_E_NS1_11comp_targetILNS1_3genE8ELNS1_11target_archE1030ELNS1_3gpuE2ELNS1_3repE0EEENS1_30default_config_static_selectorELNS0_4arch9wavefront6targetE1EEEvT1_
; %bb.0:
	.section	.rodata,"a",@progbits
	.p2align	6, 0x0
	.amdhsa_kernel _ZN7rocprim17ROCPRIM_400000_NS6detail17trampoline_kernelINS0_14default_configENS1_27scan_by_key_config_selectorIixEEZZNS1_16scan_by_key_implILNS1_25lookback_scan_determinismE0ELb1ES3_N6thrust23THRUST_200600_302600_NS6detail15normal_iteratorINS9_10device_ptrIiEEEENSB_INSC_IxEEEESG_xNS9_4plusIvEENS9_8equal_toIvEExEE10hipError_tPvRmT2_T3_T4_T5_mT6_T7_P12ihipStream_tbENKUlT_T0_E_clISt17integral_constantIbLb0EES10_IbLb1EEEEDaSW_SX_EUlSW_E_NS1_11comp_targetILNS1_3genE8ELNS1_11target_archE1030ELNS1_3gpuE2ELNS1_3repE0EEENS1_30default_config_static_selectorELNS0_4arch9wavefront6targetE1EEEvT1_
		.amdhsa_group_segment_fixed_size 0
		.amdhsa_private_segment_fixed_size 0
		.amdhsa_kernarg_size 136
		.amdhsa_user_sgpr_count 6
		.amdhsa_user_sgpr_private_segment_buffer 1
		.amdhsa_user_sgpr_dispatch_ptr 0
		.amdhsa_user_sgpr_queue_ptr 0
		.amdhsa_user_sgpr_kernarg_segment_ptr 1
		.amdhsa_user_sgpr_dispatch_id 0
		.amdhsa_user_sgpr_flat_scratch_init 0
		.amdhsa_user_sgpr_kernarg_preload_length 0
		.amdhsa_user_sgpr_kernarg_preload_offset 0
		.amdhsa_user_sgpr_private_segment_size 0
		.amdhsa_uses_dynamic_stack 0
		.amdhsa_system_sgpr_private_segment_wavefront_offset 0
		.amdhsa_system_sgpr_workgroup_id_x 1
		.amdhsa_system_sgpr_workgroup_id_y 0
		.amdhsa_system_sgpr_workgroup_id_z 0
		.amdhsa_system_sgpr_workgroup_info 0
		.amdhsa_system_vgpr_workitem_id 0
		.amdhsa_next_free_vgpr 1
		.amdhsa_next_free_sgpr 0
		.amdhsa_accum_offset 4
		.amdhsa_reserve_vcc 0
		.amdhsa_reserve_flat_scratch 0
		.amdhsa_float_round_mode_32 0
		.amdhsa_float_round_mode_16_64 0
		.amdhsa_float_denorm_mode_32 3
		.amdhsa_float_denorm_mode_16_64 3
		.amdhsa_dx10_clamp 1
		.amdhsa_ieee_mode 1
		.amdhsa_fp16_overflow 0
		.amdhsa_tg_split 0
		.amdhsa_exception_fp_ieee_invalid_op 0
		.amdhsa_exception_fp_denorm_src 0
		.amdhsa_exception_fp_ieee_div_zero 0
		.amdhsa_exception_fp_ieee_overflow 0
		.amdhsa_exception_fp_ieee_underflow 0
		.amdhsa_exception_fp_ieee_inexact 0
		.amdhsa_exception_int_div_zero 0
	.end_amdhsa_kernel
	.section	.text._ZN7rocprim17ROCPRIM_400000_NS6detail17trampoline_kernelINS0_14default_configENS1_27scan_by_key_config_selectorIixEEZZNS1_16scan_by_key_implILNS1_25lookback_scan_determinismE0ELb1ES3_N6thrust23THRUST_200600_302600_NS6detail15normal_iteratorINS9_10device_ptrIiEEEENSB_INSC_IxEEEESG_xNS9_4plusIvEENS9_8equal_toIvEExEE10hipError_tPvRmT2_T3_T4_T5_mT6_T7_P12ihipStream_tbENKUlT_T0_E_clISt17integral_constantIbLb0EES10_IbLb1EEEEDaSW_SX_EUlSW_E_NS1_11comp_targetILNS1_3genE8ELNS1_11target_archE1030ELNS1_3gpuE2ELNS1_3repE0EEENS1_30default_config_static_selectorELNS0_4arch9wavefront6targetE1EEEvT1_,"axG",@progbits,_ZN7rocprim17ROCPRIM_400000_NS6detail17trampoline_kernelINS0_14default_configENS1_27scan_by_key_config_selectorIixEEZZNS1_16scan_by_key_implILNS1_25lookback_scan_determinismE0ELb1ES3_N6thrust23THRUST_200600_302600_NS6detail15normal_iteratorINS9_10device_ptrIiEEEENSB_INSC_IxEEEESG_xNS9_4plusIvEENS9_8equal_toIvEExEE10hipError_tPvRmT2_T3_T4_T5_mT6_T7_P12ihipStream_tbENKUlT_T0_E_clISt17integral_constantIbLb0EES10_IbLb1EEEEDaSW_SX_EUlSW_E_NS1_11comp_targetILNS1_3genE8ELNS1_11target_archE1030ELNS1_3gpuE2ELNS1_3repE0EEENS1_30default_config_static_selectorELNS0_4arch9wavefront6targetE1EEEvT1_,comdat
.Lfunc_end1606:
	.size	_ZN7rocprim17ROCPRIM_400000_NS6detail17trampoline_kernelINS0_14default_configENS1_27scan_by_key_config_selectorIixEEZZNS1_16scan_by_key_implILNS1_25lookback_scan_determinismE0ELb1ES3_N6thrust23THRUST_200600_302600_NS6detail15normal_iteratorINS9_10device_ptrIiEEEENSB_INSC_IxEEEESG_xNS9_4plusIvEENS9_8equal_toIvEExEE10hipError_tPvRmT2_T3_T4_T5_mT6_T7_P12ihipStream_tbENKUlT_T0_E_clISt17integral_constantIbLb0EES10_IbLb1EEEEDaSW_SX_EUlSW_E_NS1_11comp_targetILNS1_3genE8ELNS1_11target_archE1030ELNS1_3gpuE2ELNS1_3repE0EEENS1_30default_config_static_selectorELNS0_4arch9wavefront6targetE1EEEvT1_, .Lfunc_end1606-_ZN7rocprim17ROCPRIM_400000_NS6detail17trampoline_kernelINS0_14default_configENS1_27scan_by_key_config_selectorIixEEZZNS1_16scan_by_key_implILNS1_25lookback_scan_determinismE0ELb1ES3_N6thrust23THRUST_200600_302600_NS6detail15normal_iteratorINS9_10device_ptrIiEEEENSB_INSC_IxEEEESG_xNS9_4plusIvEENS9_8equal_toIvEExEE10hipError_tPvRmT2_T3_T4_T5_mT6_T7_P12ihipStream_tbENKUlT_T0_E_clISt17integral_constantIbLb0EES10_IbLb1EEEEDaSW_SX_EUlSW_E_NS1_11comp_targetILNS1_3genE8ELNS1_11target_archE1030ELNS1_3gpuE2ELNS1_3repE0EEENS1_30default_config_static_selectorELNS0_4arch9wavefront6targetE1EEEvT1_
                                        ; -- End function
	.section	.AMDGPU.csdata,"",@progbits
; Kernel info:
; codeLenInByte = 0
; NumSgprs: 4
; NumVgprs: 0
; NumAgprs: 0
; TotalNumVgprs: 0
; ScratchSize: 0
; MemoryBound: 0
; FloatMode: 240
; IeeeMode: 1
; LDSByteSize: 0 bytes/workgroup (compile time only)
; SGPRBlocks: 0
; VGPRBlocks: 0
; NumSGPRsForWavesPerEU: 4
; NumVGPRsForWavesPerEU: 1
; AccumOffset: 4
; Occupancy: 8
; WaveLimiterHint : 0
; COMPUTE_PGM_RSRC2:SCRATCH_EN: 0
; COMPUTE_PGM_RSRC2:USER_SGPR: 6
; COMPUTE_PGM_RSRC2:TRAP_HANDLER: 0
; COMPUTE_PGM_RSRC2:TGID_X_EN: 1
; COMPUTE_PGM_RSRC2:TGID_Y_EN: 0
; COMPUTE_PGM_RSRC2:TGID_Z_EN: 0
; COMPUTE_PGM_RSRC2:TIDIG_COMP_CNT: 0
; COMPUTE_PGM_RSRC3_GFX90A:ACCUM_OFFSET: 0
; COMPUTE_PGM_RSRC3_GFX90A:TG_SPLIT: 0
	.section	.text._ZN7rocprim17ROCPRIM_400000_NS6detail17trampoline_kernelINS0_14default_configENS1_27scan_by_key_config_selectorIisEEZZNS1_16scan_by_key_implILNS1_25lookback_scan_determinismE0ELb1ES3_N6thrust23THRUST_200600_302600_NS6detail15normal_iteratorINS9_10device_ptrIiEEEENSB_INSC_IsEEEESG_sNS9_4plusIvEENS9_8equal_toIvEEsEE10hipError_tPvRmT2_T3_T4_T5_mT6_T7_P12ihipStream_tbENKUlT_T0_E_clISt17integral_constantIbLb0EES11_EEDaSW_SX_EUlSW_E_NS1_11comp_targetILNS1_3genE0ELNS1_11target_archE4294967295ELNS1_3gpuE0ELNS1_3repE0EEENS1_30default_config_static_selectorELNS0_4arch9wavefront6targetE1EEEvT1_,"axG",@progbits,_ZN7rocprim17ROCPRIM_400000_NS6detail17trampoline_kernelINS0_14default_configENS1_27scan_by_key_config_selectorIisEEZZNS1_16scan_by_key_implILNS1_25lookback_scan_determinismE0ELb1ES3_N6thrust23THRUST_200600_302600_NS6detail15normal_iteratorINS9_10device_ptrIiEEEENSB_INSC_IsEEEESG_sNS9_4plusIvEENS9_8equal_toIvEEsEE10hipError_tPvRmT2_T3_T4_T5_mT6_T7_P12ihipStream_tbENKUlT_T0_E_clISt17integral_constantIbLb0EES11_EEDaSW_SX_EUlSW_E_NS1_11comp_targetILNS1_3genE0ELNS1_11target_archE4294967295ELNS1_3gpuE0ELNS1_3repE0EEENS1_30default_config_static_selectorELNS0_4arch9wavefront6targetE1EEEvT1_,comdat
	.protected	_ZN7rocprim17ROCPRIM_400000_NS6detail17trampoline_kernelINS0_14default_configENS1_27scan_by_key_config_selectorIisEEZZNS1_16scan_by_key_implILNS1_25lookback_scan_determinismE0ELb1ES3_N6thrust23THRUST_200600_302600_NS6detail15normal_iteratorINS9_10device_ptrIiEEEENSB_INSC_IsEEEESG_sNS9_4plusIvEENS9_8equal_toIvEEsEE10hipError_tPvRmT2_T3_T4_T5_mT6_T7_P12ihipStream_tbENKUlT_T0_E_clISt17integral_constantIbLb0EES11_EEDaSW_SX_EUlSW_E_NS1_11comp_targetILNS1_3genE0ELNS1_11target_archE4294967295ELNS1_3gpuE0ELNS1_3repE0EEENS1_30default_config_static_selectorELNS0_4arch9wavefront6targetE1EEEvT1_ ; -- Begin function _ZN7rocprim17ROCPRIM_400000_NS6detail17trampoline_kernelINS0_14default_configENS1_27scan_by_key_config_selectorIisEEZZNS1_16scan_by_key_implILNS1_25lookback_scan_determinismE0ELb1ES3_N6thrust23THRUST_200600_302600_NS6detail15normal_iteratorINS9_10device_ptrIiEEEENSB_INSC_IsEEEESG_sNS9_4plusIvEENS9_8equal_toIvEEsEE10hipError_tPvRmT2_T3_T4_T5_mT6_T7_P12ihipStream_tbENKUlT_T0_E_clISt17integral_constantIbLb0EES11_EEDaSW_SX_EUlSW_E_NS1_11comp_targetILNS1_3genE0ELNS1_11target_archE4294967295ELNS1_3gpuE0ELNS1_3repE0EEENS1_30default_config_static_selectorELNS0_4arch9wavefront6targetE1EEEvT1_
	.globl	_ZN7rocprim17ROCPRIM_400000_NS6detail17trampoline_kernelINS0_14default_configENS1_27scan_by_key_config_selectorIisEEZZNS1_16scan_by_key_implILNS1_25lookback_scan_determinismE0ELb1ES3_N6thrust23THRUST_200600_302600_NS6detail15normal_iteratorINS9_10device_ptrIiEEEENSB_INSC_IsEEEESG_sNS9_4plusIvEENS9_8equal_toIvEEsEE10hipError_tPvRmT2_T3_T4_T5_mT6_T7_P12ihipStream_tbENKUlT_T0_E_clISt17integral_constantIbLb0EES11_EEDaSW_SX_EUlSW_E_NS1_11comp_targetILNS1_3genE0ELNS1_11target_archE4294967295ELNS1_3gpuE0ELNS1_3repE0EEENS1_30default_config_static_selectorELNS0_4arch9wavefront6targetE1EEEvT1_
	.p2align	8
	.type	_ZN7rocprim17ROCPRIM_400000_NS6detail17trampoline_kernelINS0_14default_configENS1_27scan_by_key_config_selectorIisEEZZNS1_16scan_by_key_implILNS1_25lookback_scan_determinismE0ELb1ES3_N6thrust23THRUST_200600_302600_NS6detail15normal_iteratorINS9_10device_ptrIiEEEENSB_INSC_IsEEEESG_sNS9_4plusIvEENS9_8equal_toIvEEsEE10hipError_tPvRmT2_T3_T4_T5_mT6_T7_P12ihipStream_tbENKUlT_T0_E_clISt17integral_constantIbLb0EES11_EEDaSW_SX_EUlSW_E_NS1_11comp_targetILNS1_3genE0ELNS1_11target_archE4294967295ELNS1_3gpuE0ELNS1_3repE0EEENS1_30default_config_static_selectorELNS0_4arch9wavefront6targetE1EEEvT1_,@function
_ZN7rocprim17ROCPRIM_400000_NS6detail17trampoline_kernelINS0_14default_configENS1_27scan_by_key_config_selectorIisEEZZNS1_16scan_by_key_implILNS1_25lookback_scan_determinismE0ELb1ES3_N6thrust23THRUST_200600_302600_NS6detail15normal_iteratorINS9_10device_ptrIiEEEENSB_INSC_IsEEEESG_sNS9_4plusIvEENS9_8equal_toIvEEsEE10hipError_tPvRmT2_T3_T4_T5_mT6_T7_P12ihipStream_tbENKUlT_T0_E_clISt17integral_constantIbLb0EES11_EEDaSW_SX_EUlSW_E_NS1_11comp_targetILNS1_3genE0ELNS1_11target_archE4294967295ELNS1_3gpuE0ELNS1_3repE0EEENS1_30default_config_static_selectorELNS0_4arch9wavefront6targetE1EEEvT1_: ; @_ZN7rocprim17ROCPRIM_400000_NS6detail17trampoline_kernelINS0_14default_configENS1_27scan_by_key_config_selectorIisEEZZNS1_16scan_by_key_implILNS1_25lookback_scan_determinismE0ELb1ES3_N6thrust23THRUST_200600_302600_NS6detail15normal_iteratorINS9_10device_ptrIiEEEENSB_INSC_IsEEEESG_sNS9_4plusIvEENS9_8equal_toIvEEsEE10hipError_tPvRmT2_T3_T4_T5_mT6_T7_P12ihipStream_tbENKUlT_T0_E_clISt17integral_constantIbLb0EES11_EEDaSW_SX_EUlSW_E_NS1_11comp_targetILNS1_3genE0ELNS1_11target_archE4294967295ELNS1_3gpuE0ELNS1_3repE0EEENS1_30default_config_static_selectorELNS0_4arch9wavefront6targetE1EEEvT1_
; %bb.0:
	.section	.rodata,"a",@progbits
	.p2align	6, 0x0
	.amdhsa_kernel _ZN7rocprim17ROCPRIM_400000_NS6detail17trampoline_kernelINS0_14default_configENS1_27scan_by_key_config_selectorIisEEZZNS1_16scan_by_key_implILNS1_25lookback_scan_determinismE0ELb1ES3_N6thrust23THRUST_200600_302600_NS6detail15normal_iteratorINS9_10device_ptrIiEEEENSB_INSC_IsEEEESG_sNS9_4plusIvEENS9_8equal_toIvEEsEE10hipError_tPvRmT2_T3_T4_T5_mT6_T7_P12ihipStream_tbENKUlT_T0_E_clISt17integral_constantIbLb0EES11_EEDaSW_SX_EUlSW_E_NS1_11comp_targetILNS1_3genE0ELNS1_11target_archE4294967295ELNS1_3gpuE0ELNS1_3repE0EEENS1_30default_config_static_selectorELNS0_4arch9wavefront6targetE1EEEvT1_
		.amdhsa_group_segment_fixed_size 0
		.amdhsa_private_segment_fixed_size 0
		.amdhsa_kernarg_size 112
		.amdhsa_user_sgpr_count 6
		.amdhsa_user_sgpr_private_segment_buffer 1
		.amdhsa_user_sgpr_dispatch_ptr 0
		.amdhsa_user_sgpr_queue_ptr 0
		.amdhsa_user_sgpr_kernarg_segment_ptr 1
		.amdhsa_user_sgpr_dispatch_id 0
		.amdhsa_user_sgpr_flat_scratch_init 0
		.amdhsa_user_sgpr_kernarg_preload_length 0
		.amdhsa_user_sgpr_kernarg_preload_offset 0
		.amdhsa_user_sgpr_private_segment_size 0
		.amdhsa_uses_dynamic_stack 0
		.amdhsa_system_sgpr_private_segment_wavefront_offset 0
		.amdhsa_system_sgpr_workgroup_id_x 1
		.amdhsa_system_sgpr_workgroup_id_y 0
		.amdhsa_system_sgpr_workgroup_id_z 0
		.amdhsa_system_sgpr_workgroup_info 0
		.amdhsa_system_vgpr_workitem_id 0
		.amdhsa_next_free_vgpr 1
		.amdhsa_next_free_sgpr 0
		.amdhsa_accum_offset 4
		.amdhsa_reserve_vcc 0
		.amdhsa_reserve_flat_scratch 0
		.amdhsa_float_round_mode_32 0
		.amdhsa_float_round_mode_16_64 0
		.amdhsa_float_denorm_mode_32 3
		.amdhsa_float_denorm_mode_16_64 3
		.amdhsa_dx10_clamp 1
		.amdhsa_ieee_mode 1
		.amdhsa_fp16_overflow 0
		.amdhsa_tg_split 0
		.amdhsa_exception_fp_ieee_invalid_op 0
		.amdhsa_exception_fp_denorm_src 0
		.amdhsa_exception_fp_ieee_div_zero 0
		.amdhsa_exception_fp_ieee_overflow 0
		.amdhsa_exception_fp_ieee_underflow 0
		.amdhsa_exception_fp_ieee_inexact 0
		.amdhsa_exception_int_div_zero 0
	.end_amdhsa_kernel
	.section	.text._ZN7rocprim17ROCPRIM_400000_NS6detail17trampoline_kernelINS0_14default_configENS1_27scan_by_key_config_selectorIisEEZZNS1_16scan_by_key_implILNS1_25lookback_scan_determinismE0ELb1ES3_N6thrust23THRUST_200600_302600_NS6detail15normal_iteratorINS9_10device_ptrIiEEEENSB_INSC_IsEEEESG_sNS9_4plusIvEENS9_8equal_toIvEEsEE10hipError_tPvRmT2_T3_T4_T5_mT6_T7_P12ihipStream_tbENKUlT_T0_E_clISt17integral_constantIbLb0EES11_EEDaSW_SX_EUlSW_E_NS1_11comp_targetILNS1_3genE0ELNS1_11target_archE4294967295ELNS1_3gpuE0ELNS1_3repE0EEENS1_30default_config_static_selectorELNS0_4arch9wavefront6targetE1EEEvT1_,"axG",@progbits,_ZN7rocprim17ROCPRIM_400000_NS6detail17trampoline_kernelINS0_14default_configENS1_27scan_by_key_config_selectorIisEEZZNS1_16scan_by_key_implILNS1_25lookback_scan_determinismE0ELb1ES3_N6thrust23THRUST_200600_302600_NS6detail15normal_iteratorINS9_10device_ptrIiEEEENSB_INSC_IsEEEESG_sNS9_4plusIvEENS9_8equal_toIvEEsEE10hipError_tPvRmT2_T3_T4_T5_mT6_T7_P12ihipStream_tbENKUlT_T0_E_clISt17integral_constantIbLb0EES11_EEDaSW_SX_EUlSW_E_NS1_11comp_targetILNS1_3genE0ELNS1_11target_archE4294967295ELNS1_3gpuE0ELNS1_3repE0EEENS1_30default_config_static_selectorELNS0_4arch9wavefront6targetE1EEEvT1_,comdat
.Lfunc_end1607:
	.size	_ZN7rocprim17ROCPRIM_400000_NS6detail17trampoline_kernelINS0_14default_configENS1_27scan_by_key_config_selectorIisEEZZNS1_16scan_by_key_implILNS1_25lookback_scan_determinismE0ELb1ES3_N6thrust23THRUST_200600_302600_NS6detail15normal_iteratorINS9_10device_ptrIiEEEENSB_INSC_IsEEEESG_sNS9_4plusIvEENS9_8equal_toIvEEsEE10hipError_tPvRmT2_T3_T4_T5_mT6_T7_P12ihipStream_tbENKUlT_T0_E_clISt17integral_constantIbLb0EES11_EEDaSW_SX_EUlSW_E_NS1_11comp_targetILNS1_3genE0ELNS1_11target_archE4294967295ELNS1_3gpuE0ELNS1_3repE0EEENS1_30default_config_static_selectorELNS0_4arch9wavefront6targetE1EEEvT1_, .Lfunc_end1607-_ZN7rocprim17ROCPRIM_400000_NS6detail17trampoline_kernelINS0_14default_configENS1_27scan_by_key_config_selectorIisEEZZNS1_16scan_by_key_implILNS1_25lookback_scan_determinismE0ELb1ES3_N6thrust23THRUST_200600_302600_NS6detail15normal_iteratorINS9_10device_ptrIiEEEENSB_INSC_IsEEEESG_sNS9_4plusIvEENS9_8equal_toIvEEsEE10hipError_tPvRmT2_T3_T4_T5_mT6_T7_P12ihipStream_tbENKUlT_T0_E_clISt17integral_constantIbLb0EES11_EEDaSW_SX_EUlSW_E_NS1_11comp_targetILNS1_3genE0ELNS1_11target_archE4294967295ELNS1_3gpuE0ELNS1_3repE0EEENS1_30default_config_static_selectorELNS0_4arch9wavefront6targetE1EEEvT1_
                                        ; -- End function
	.section	.AMDGPU.csdata,"",@progbits
; Kernel info:
; codeLenInByte = 0
; NumSgprs: 4
; NumVgprs: 0
; NumAgprs: 0
; TotalNumVgprs: 0
; ScratchSize: 0
; MemoryBound: 0
; FloatMode: 240
; IeeeMode: 1
; LDSByteSize: 0 bytes/workgroup (compile time only)
; SGPRBlocks: 0
; VGPRBlocks: 0
; NumSGPRsForWavesPerEU: 4
; NumVGPRsForWavesPerEU: 1
; AccumOffset: 4
; Occupancy: 8
; WaveLimiterHint : 0
; COMPUTE_PGM_RSRC2:SCRATCH_EN: 0
; COMPUTE_PGM_RSRC2:USER_SGPR: 6
; COMPUTE_PGM_RSRC2:TRAP_HANDLER: 0
; COMPUTE_PGM_RSRC2:TGID_X_EN: 1
; COMPUTE_PGM_RSRC2:TGID_Y_EN: 0
; COMPUTE_PGM_RSRC2:TGID_Z_EN: 0
; COMPUTE_PGM_RSRC2:TIDIG_COMP_CNT: 0
; COMPUTE_PGM_RSRC3_GFX90A:ACCUM_OFFSET: 0
; COMPUTE_PGM_RSRC3_GFX90A:TG_SPLIT: 0
	.section	.text._ZN7rocprim17ROCPRIM_400000_NS6detail17trampoline_kernelINS0_14default_configENS1_27scan_by_key_config_selectorIisEEZZNS1_16scan_by_key_implILNS1_25lookback_scan_determinismE0ELb1ES3_N6thrust23THRUST_200600_302600_NS6detail15normal_iteratorINS9_10device_ptrIiEEEENSB_INSC_IsEEEESG_sNS9_4plusIvEENS9_8equal_toIvEEsEE10hipError_tPvRmT2_T3_T4_T5_mT6_T7_P12ihipStream_tbENKUlT_T0_E_clISt17integral_constantIbLb0EES11_EEDaSW_SX_EUlSW_E_NS1_11comp_targetILNS1_3genE10ELNS1_11target_archE1201ELNS1_3gpuE5ELNS1_3repE0EEENS1_30default_config_static_selectorELNS0_4arch9wavefront6targetE1EEEvT1_,"axG",@progbits,_ZN7rocprim17ROCPRIM_400000_NS6detail17trampoline_kernelINS0_14default_configENS1_27scan_by_key_config_selectorIisEEZZNS1_16scan_by_key_implILNS1_25lookback_scan_determinismE0ELb1ES3_N6thrust23THRUST_200600_302600_NS6detail15normal_iteratorINS9_10device_ptrIiEEEENSB_INSC_IsEEEESG_sNS9_4plusIvEENS9_8equal_toIvEEsEE10hipError_tPvRmT2_T3_T4_T5_mT6_T7_P12ihipStream_tbENKUlT_T0_E_clISt17integral_constantIbLb0EES11_EEDaSW_SX_EUlSW_E_NS1_11comp_targetILNS1_3genE10ELNS1_11target_archE1201ELNS1_3gpuE5ELNS1_3repE0EEENS1_30default_config_static_selectorELNS0_4arch9wavefront6targetE1EEEvT1_,comdat
	.protected	_ZN7rocprim17ROCPRIM_400000_NS6detail17trampoline_kernelINS0_14default_configENS1_27scan_by_key_config_selectorIisEEZZNS1_16scan_by_key_implILNS1_25lookback_scan_determinismE0ELb1ES3_N6thrust23THRUST_200600_302600_NS6detail15normal_iteratorINS9_10device_ptrIiEEEENSB_INSC_IsEEEESG_sNS9_4plusIvEENS9_8equal_toIvEEsEE10hipError_tPvRmT2_T3_T4_T5_mT6_T7_P12ihipStream_tbENKUlT_T0_E_clISt17integral_constantIbLb0EES11_EEDaSW_SX_EUlSW_E_NS1_11comp_targetILNS1_3genE10ELNS1_11target_archE1201ELNS1_3gpuE5ELNS1_3repE0EEENS1_30default_config_static_selectorELNS0_4arch9wavefront6targetE1EEEvT1_ ; -- Begin function _ZN7rocprim17ROCPRIM_400000_NS6detail17trampoline_kernelINS0_14default_configENS1_27scan_by_key_config_selectorIisEEZZNS1_16scan_by_key_implILNS1_25lookback_scan_determinismE0ELb1ES3_N6thrust23THRUST_200600_302600_NS6detail15normal_iteratorINS9_10device_ptrIiEEEENSB_INSC_IsEEEESG_sNS9_4plusIvEENS9_8equal_toIvEEsEE10hipError_tPvRmT2_T3_T4_T5_mT6_T7_P12ihipStream_tbENKUlT_T0_E_clISt17integral_constantIbLb0EES11_EEDaSW_SX_EUlSW_E_NS1_11comp_targetILNS1_3genE10ELNS1_11target_archE1201ELNS1_3gpuE5ELNS1_3repE0EEENS1_30default_config_static_selectorELNS0_4arch9wavefront6targetE1EEEvT1_
	.globl	_ZN7rocprim17ROCPRIM_400000_NS6detail17trampoline_kernelINS0_14default_configENS1_27scan_by_key_config_selectorIisEEZZNS1_16scan_by_key_implILNS1_25lookback_scan_determinismE0ELb1ES3_N6thrust23THRUST_200600_302600_NS6detail15normal_iteratorINS9_10device_ptrIiEEEENSB_INSC_IsEEEESG_sNS9_4plusIvEENS9_8equal_toIvEEsEE10hipError_tPvRmT2_T3_T4_T5_mT6_T7_P12ihipStream_tbENKUlT_T0_E_clISt17integral_constantIbLb0EES11_EEDaSW_SX_EUlSW_E_NS1_11comp_targetILNS1_3genE10ELNS1_11target_archE1201ELNS1_3gpuE5ELNS1_3repE0EEENS1_30default_config_static_selectorELNS0_4arch9wavefront6targetE1EEEvT1_
	.p2align	8
	.type	_ZN7rocprim17ROCPRIM_400000_NS6detail17trampoline_kernelINS0_14default_configENS1_27scan_by_key_config_selectorIisEEZZNS1_16scan_by_key_implILNS1_25lookback_scan_determinismE0ELb1ES3_N6thrust23THRUST_200600_302600_NS6detail15normal_iteratorINS9_10device_ptrIiEEEENSB_INSC_IsEEEESG_sNS9_4plusIvEENS9_8equal_toIvEEsEE10hipError_tPvRmT2_T3_T4_T5_mT6_T7_P12ihipStream_tbENKUlT_T0_E_clISt17integral_constantIbLb0EES11_EEDaSW_SX_EUlSW_E_NS1_11comp_targetILNS1_3genE10ELNS1_11target_archE1201ELNS1_3gpuE5ELNS1_3repE0EEENS1_30default_config_static_selectorELNS0_4arch9wavefront6targetE1EEEvT1_,@function
_ZN7rocprim17ROCPRIM_400000_NS6detail17trampoline_kernelINS0_14default_configENS1_27scan_by_key_config_selectorIisEEZZNS1_16scan_by_key_implILNS1_25lookback_scan_determinismE0ELb1ES3_N6thrust23THRUST_200600_302600_NS6detail15normal_iteratorINS9_10device_ptrIiEEEENSB_INSC_IsEEEESG_sNS9_4plusIvEENS9_8equal_toIvEEsEE10hipError_tPvRmT2_T3_T4_T5_mT6_T7_P12ihipStream_tbENKUlT_T0_E_clISt17integral_constantIbLb0EES11_EEDaSW_SX_EUlSW_E_NS1_11comp_targetILNS1_3genE10ELNS1_11target_archE1201ELNS1_3gpuE5ELNS1_3repE0EEENS1_30default_config_static_selectorELNS0_4arch9wavefront6targetE1EEEvT1_: ; @_ZN7rocprim17ROCPRIM_400000_NS6detail17trampoline_kernelINS0_14default_configENS1_27scan_by_key_config_selectorIisEEZZNS1_16scan_by_key_implILNS1_25lookback_scan_determinismE0ELb1ES3_N6thrust23THRUST_200600_302600_NS6detail15normal_iteratorINS9_10device_ptrIiEEEENSB_INSC_IsEEEESG_sNS9_4plusIvEENS9_8equal_toIvEEsEE10hipError_tPvRmT2_T3_T4_T5_mT6_T7_P12ihipStream_tbENKUlT_T0_E_clISt17integral_constantIbLb0EES11_EEDaSW_SX_EUlSW_E_NS1_11comp_targetILNS1_3genE10ELNS1_11target_archE1201ELNS1_3gpuE5ELNS1_3repE0EEENS1_30default_config_static_selectorELNS0_4arch9wavefront6targetE1EEEvT1_
; %bb.0:
	.section	.rodata,"a",@progbits
	.p2align	6, 0x0
	.amdhsa_kernel _ZN7rocprim17ROCPRIM_400000_NS6detail17trampoline_kernelINS0_14default_configENS1_27scan_by_key_config_selectorIisEEZZNS1_16scan_by_key_implILNS1_25lookback_scan_determinismE0ELb1ES3_N6thrust23THRUST_200600_302600_NS6detail15normal_iteratorINS9_10device_ptrIiEEEENSB_INSC_IsEEEESG_sNS9_4plusIvEENS9_8equal_toIvEEsEE10hipError_tPvRmT2_T3_T4_T5_mT6_T7_P12ihipStream_tbENKUlT_T0_E_clISt17integral_constantIbLb0EES11_EEDaSW_SX_EUlSW_E_NS1_11comp_targetILNS1_3genE10ELNS1_11target_archE1201ELNS1_3gpuE5ELNS1_3repE0EEENS1_30default_config_static_selectorELNS0_4arch9wavefront6targetE1EEEvT1_
		.amdhsa_group_segment_fixed_size 0
		.amdhsa_private_segment_fixed_size 0
		.amdhsa_kernarg_size 112
		.amdhsa_user_sgpr_count 6
		.amdhsa_user_sgpr_private_segment_buffer 1
		.amdhsa_user_sgpr_dispatch_ptr 0
		.amdhsa_user_sgpr_queue_ptr 0
		.amdhsa_user_sgpr_kernarg_segment_ptr 1
		.amdhsa_user_sgpr_dispatch_id 0
		.amdhsa_user_sgpr_flat_scratch_init 0
		.amdhsa_user_sgpr_kernarg_preload_length 0
		.amdhsa_user_sgpr_kernarg_preload_offset 0
		.amdhsa_user_sgpr_private_segment_size 0
		.amdhsa_uses_dynamic_stack 0
		.amdhsa_system_sgpr_private_segment_wavefront_offset 0
		.amdhsa_system_sgpr_workgroup_id_x 1
		.amdhsa_system_sgpr_workgroup_id_y 0
		.amdhsa_system_sgpr_workgroup_id_z 0
		.amdhsa_system_sgpr_workgroup_info 0
		.amdhsa_system_vgpr_workitem_id 0
		.amdhsa_next_free_vgpr 1
		.amdhsa_next_free_sgpr 0
		.amdhsa_accum_offset 4
		.amdhsa_reserve_vcc 0
		.amdhsa_reserve_flat_scratch 0
		.amdhsa_float_round_mode_32 0
		.amdhsa_float_round_mode_16_64 0
		.amdhsa_float_denorm_mode_32 3
		.amdhsa_float_denorm_mode_16_64 3
		.amdhsa_dx10_clamp 1
		.amdhsa_ieee_mode 1
		.amdhsa_fp16_overflow 0
		.amdhsa_tg_split 0
		.amdhsa_exception_fp_ieee_invalid_op 0
		.amdhsa_exception_fp_denorm_src 0
		.amdhsa_exception_fp_ieee_div_zero 0
		.amdhsa_exception_fp_ieee_overflow 0
		.amdhsa_exception_fp_ieee_underflow 0
		.amdhsa_exception_fp_ieee_inexact 0
		.amdhsa_exception_int_div_zero 0
	.end_amdhsa_kernel
	.section	.text._ZN7rocprim17ROCPRIM_400000_NS6detail17trampoline_kernelINS0_14default_configENS1_27scan_by_key_config_selectorIisEEZZNS1_16scan_by_key_implILNS1_25lookback_scan_determinismE0ELb1ES3_N6thrust23THRUST_200600_302600_NS6detail15normal_iteratorINS9_10device_ptrIiEEEENSB_INSC_IsEEEESG_sNS9_4plusIvEENS9_8equal_toIvEEsEE10hipError_tPvRmT2_T3_T4_T5_mT6_T7_P12ihipStream_tbENKUlT_T0_E_clISt17integral_constantIbLb0EES11_EEDaSW_SX_EUlSW_E_NS1_11comp_targetILNS1_3genE10ELNS1_11target_archE1201ELNS1_3gpuE5ELNS1_3repE0EEENS1_30default_config_static_selectorELNS0_4arch9wavefront6targetE1EEEvT1_,"axG",@progbits,_ZN7rocprim17ROCPRIM_400000_NS6detail17trampoline_kernelINS0_14default_configENS1_27scan_by_key_config_selectorIisEEZZNS1_16scan_by_key_implILNS1_25lookback_scan_determinismE0ELb1ES3_N6thrust23THRUST_200600_302600_NS6detail15normal_iteratorINS9_10device_ptrIiEEEENSB_INSC_IsEEEESG_sNS9_4plusIvEENS9_8equal_toIvEEsEE10hipError_tPvRmT2_T3_T4_T5_mT6_T7_P12ihipStream_tbENKUlT_T0_E_clISt17integral_constantIbLb0EES11_EEDaSW_SX_EUlSW_E_NS1_11comp_targetILNS1_3genE10ELNS1_11target_archE1201ELNS1_3gpuE5ELNS1_3repE0EEENS1_30default_config_static_selectorELNS0_4arch9wavefront6targetE1EEEvT1_,comdat
.Lfunc_end1608:
	.size	_ZN7rocprim17ROCPRIM_400000_NS6detail17trampoline_kernelINS0_14default_configENS1_27scan_by_key_config_selectorIisEEZZNS1_16scan_by_key_implILNS1_25lookback_scan_determinismE0ELb1ES3_N6thrust23THRUST_200600_302600_NS6detail15normal_iteratorINS9_10device_ptrIiEEEENSB_INSC_IsEEEESG_sNS9_4plusIvEENS9_8equal_toIvEEsEE10hipError_tPvRmT2_T3_T4_T5_mT6_T7_P12ihipStream_tbENKUlT_T0_E_clISt17integral_constantIbLb0EES11_EEDaSW_SX_EUlSW_E_NS1_11comp_targetILNS1_3genE10ELNS1_11target_archE1201ELNS1_3gpuE5ELNS1_3repE0EEENS1_30default_config_static_selectorELNS0_4arch9wavefront6targetE1EEEvT1_, .Lfunc_end1608-_ZN7rocprim17ROCPRIM_400000_NS6detail17trampoline_kernelINS0_14default_configENS1_27scan_by_key_config_selectorIisEEZZNS1_16scan_by_key_implILNS1_25lookback_scan_determinismE0ELb1ES3_N6thrust23THRUST_200600_302600_NS6detail15normal_iteratorINS9_10device_ptrIiEEEENSB_INSC_IsEEEESG_sNS9_4plusIvEENS9_8equal_toIvEEsEE10hipError_tPvRmT2_T3_T4_T5_mT6_T7_P12ihipStream_tbENKUlT_T0_E_clISt17integral_constantIbLb0EES11_EEDaSW_SX_EUlSW_E_NS1_11comp_targetILNS1_3genE10ELNS1_11target_archE1201ELNS1_3gpuE5ELNS1_3repE0EEENS1_30default_config_static_selectorELNS0_4arch9wavefront6targetE1EEEvT1_
                                        ; -- End function
	.section	.AMDGPU.csdata,"",@progbits
; Kernel info:
; codeLenInByte = 0
; NumSgprs: 4
; NumVgprs: 0
; NumAgprs: 0
; TotalNumVgprs: 0
; ScratchSize: 0
; MemoryBound: 0
; FloatMode: 240
; IeeeMode: 1
; LDSByteSize: 0 bytes/workgroup (compile time only)
; SGPRBlocks: 0
; VGPRBlocks: 0
; NumSGPRsForWavesPerEU: 4
; NumVGPRsForWavesPerEU: 1
; AccumOffset: 4
; Occupancy: 8
; WaveLimiterHint : 0
; COMPUTE_PGM_RSRC2:SCRATCH_EN: 0
; COMPUTE_PGM_RSRC2:USER_SGPR: 6
; COMPUTE_PGM_RSRC2:TRAP_HANDLER: 0
; COMPUTE_PGM_RSRC2:TGID_X_EN: 1
; COMPUTE_PGM_RSRC2:TGID_Y_EN: 0
; COMPUTE_PGM_RSRC2:TGID_Z_EN: 0
; COMPUTE_PGM_RSRC2:TIDIG_COMP_CNT: 0
; COMPUTE_PGM_RSRC3_GFX90A:ACCUM_OFFSET: 0
; COMPUTE_PGM_RSRC3_GFX90A:TG_SPLIT: 0
	.section	.text._ZN7rocprim17ROCPRIM_400000_NS6detail17trampoline_kernelINS0_14default_configENS1_27scan_by_key_config_selectorIisEEZZNS1_16scan_by_key_implILNS1_25lookback_scan_determinismE0ELb1ES3_N6thrust23THRUST_200600_302600_NS6detail15normal_iteratorINS9_10device_ptrIiEEEENSB_INSC_IsEEEESG_sNS9_4plusIvEENS9_8equal_toIvEEsEE10hipError_tPvRmT2_T3_T4_T5_mT6_T7_P12ihipStream_tbENKUlT_T0_E_clISt17integral_constantIbLb0EES11_EEDaSW_SX_EUlSW_E_NS1_11comp_targetILNS1_3genE5ELNS1_11target_archE942ELNS1_3gpuE9ELNS1_3repE0EEENS1_30default_config_static_selectorELNS0_4arch9wavefront6targetE1EEEvT1_,"axG",@progbits,_ZN7rocprim17ROCPRIM_400000_NS6detail17trampoline_kernelINS0_14default_configENS1_27scan_by_key_config_selectorIisEEZZNS1_16scan_by_key_implILNS1_25lookback_scan_determinismE0ELb1ES3_N6thrust23THRUST_200600_302600_NS6detail15normal_iteratorINS9_10device_ptrIiEEEENSB_INSC_IsEEEESG_sNS9_4plusIvEENS9_8equal_toIvEEsEE10hipError_tPvRmT2_T3_T4_T5_mT6_T7_P12ihipStream_tbENKUlT_T0_E_clISt17integral_constantIbLb0EES11_EEDaSW_SX_EUlSW_E_NS1_11comp_targetILNS1_3genE5ELNS1_11target_archE942ELNS1_3gpuE9ELNS1_3repE0EEENS1_30default_config_static_selectorELNS0_4arch9wavefront6targetE1EEEvT1_,comdat
	.protected	_ZN7rocprim17ROCPRIM_400000_NS6detail17trampoline_kernelINS0_14default_configENS1_27scan_by_key_config_selectorIisEEZZNS1_16scan_by_key_implILNS1_25lookback_scan_determinismE0ELb1ES3_N6thrust23THRUST_200600_302600_NS6detail15normal_iteratorINS9_10device_ptrIiEEEENSB_INSC_IsEEEESG_sNS9_4plusIvEENS9_8equal_toIvEEsEE10hipError_tPvRmT2_T3_T4_T5_mT6_T7_P12ihipStream_tbENKUlT_T0_E_clISt17integral_constantIbLb0EES11_EEDaSW_SX_EUlSW_E_NS1_11comp_targetILNS1_3genE5ELNS1_11target_archE942ELNS1_3gpuE9ELNS1_3repE0EEENS1_30default_config_static_selectorELNS0_4arch9wavefront6targetE1EEEvT1_ ; -- Begin function _ZN7rocprim17ROCPRIM_400000_NS6detail17trampoline_kernelINS0_14default_configENS1_27scan_by_key_config_selectorIisEEZZNS1_16scan_by_key_implILNS1_25lookback_scan_determinismE0ELb1ES3_N6thrust23THRUST_200600_302600_NS6detail15normal_iteratorINS9_10device_ptrIiEEEENSB_INSC_IsEEEESG_sNS9_4plusIvEENS9_8equal_toIvEEsEE10hipError_tPvRmT2_T3_T4_T5_mT6_T7_P12ihipStream_tbENKUlT_T0_E_clISt17integral_constantIbLb0EES11_EEDaSW_SX_EUlSW_E_NS1_11comp_targetILNS1_3genE5ELNS1_11target_archE942ELNS1_3gpuE9ELNS1_3repE0EEENS1_30default_config_static_selectorELNS0_4arch9wavefront6targetE1EEEvT1_
	.globl	_ZN7rocprim17ROCPRIM_400000_NS6detail17trampoline_kernelINS0_14default_configENS1_27scan_by_key_config_selectorIisEEZZNS1_16scan_by_key_implILNS1_25lookback_scan_determinismE0ELb1ES3_N6thrust23THRUST_200600_302600_NS6detail15normal_iteratorINS9_10device_ptrIiEEEENSB_INSC_IsEEEESG_sNS9_4plusIvEENS9_8equal_toIvEEsEE10hipError_tPvRmT2_T3_T4_T5_mT6_T7_P12ihipStream_tbENKUlT_T0_E_clISt17integral_constantIbLb0EES11_EEDaSW_SX_EUlSW_E_NS1_11comp_targetILNS1_3genE5ELNS1_11target_archE942ELNS1_3gpuE9ELNS1_3repE0EEENS1_30default_config_static_selectorELNS0_4arch9wavefront6targetE1EEEvT1_
	.p2align	8
	.type	_ZN7rocprim17ROCPRIM_400000_NS6detail17trampoline_kernelINS0_14default_configENS1_27scan_by_key_config_selectorIisEEZZNS1_16scan_by_key_implILNS1_25lookback_scan_determinismE0ELb1ES3_N6thrust23THRUST_200600_302600_NS6detail15normal_iteratorINS9_10device_ptrIiEEEENSB_INSC_IsEEEESG_sNS9_4plusIvEENS9_8equal_toIvEEsEE10hipError_tPvRmT2_T3_T4_T5_mT6_T7_P12ihipStream_tbENKUlT_T0_E_clISt17integral_constantIbLb0EES11_EEDaSW_SX_EUlSW_E_NS1_11comp_targetILNS1_3genE5ELNS1_11target_archE942ELNS1_3gpuE9ELNS1_3repE0EEENS1_30default_config_static_selectorELNS0_4arch9wavefront6targetE1EEEvT1_,@function
_ZN7rocprim17ROCPRIM_400000_NS6detail17trampoline_kernelINS0_14default_configENS1_27scan_by_key_config_selectorIisEEZZNS1_16scan_by_key_implILNS1_25lookback_scan_determinismE0ELb1ES3_N6thrust23THRUST_200600_302600_NS6detail15normal_iteratorINS9_10device_ptrIiEEEENSB_INSC_IsEEEESG_sNS9_4plusIvEENS9_8equal_toIvEEsEE10hipError_tPvRmT2_T3_T4_T5_mT6_T7_P12ihipStream_tbENKUlT_T0_E_clISt17integral_constantIbLb0EES11_EEDaSW_SX_EUlSW_E_NS1_11comp_targetILNS1_3genE5ELNS1_11target_archE942ELNS1_3gpuE9ELNS1_3repE0EEENS1_30default_config_static_selectorELNS0_4arch9wavefront6targetE1EEEvT1_: ; @_ZN7rocprim17ROCPRIM_400000_NS6detail17trampoline_kernelINS0_14default_configENS1_27scan_by_key_config_selectorIisEEZZNS1_16scan_by_key_implILNS1_25lookback_scan_determinismE0ELb1ES3_N6thrust23THRUST_200600_302600_NS6detail15normal_iteratorINS9_10device_ptrIiEEEENSB_INSC_IsEEEESG_sNS9_4plusIvEENS9_8equal_toIvEEsEE10hipError_tPvRmT2_T3_T4_T5_mT6_T7_P12ihipStream_tbENKUlT_T0_E_clISt17integral_constantIbLb0EES11_EEDaSW_SX_EUlSW_E_NS1_11comp_targetILNS1_3genE5ELNS1_11target_archE942ELNS1_3gpuE9ELNS1_3repE0EEENS1_30default_config_static_selectorELNS0_4arch9wavefront6targetE1EEEvT1_
; %bb.0:
	.section	.rodata,"a",@progbits
	.p2align	6, 0x0
	.amdhsa_kernel _ZN7rocprim17ROCPRIM_400000_NS6detail17trampoline_kernelINS0_14default_configENS1_27scan_by_key_config_selectorIisEEZZNS1_16scan_by_key_implILNS1_25lookback_scan_determinismE0ELb1ES3_N6thrust23THRUST_200600_302600_NS6detail15normal_iteratorINS9_10device_ptrIiEEEENSB_INSC_IsEEEESG_sNS9_4plusIvEENS9_8equal_toIvEEsEE10hipError_tPvRmT2_T3_T4_T5_mT6_T7_P12ihipStream_tbENKUlT_T0_E_clISt17integral_constantIbLb0EES11_EEDaSW_SX_EUlSW_E_NS1_11comp_targetILNS1_3genE5ELNS1_11target_archE942ELNS1_3gpuE9ELNS1_3repE0EEENS1_30default_config_static_selectorELNS0_4arch9wavefront6targetE1EEEvT1_
		.amdhsa_group_segment_fixed_size 0
		.amdhsa_private_segment_fixed_size 0
		.amdhsa_kernarg_size 112
		.amdhsa_user_sgpr_count 6
		.amdhsa_user_sgpr_private_segment_buffer 1
		.amdhsa_user_sgpr_dispatch_ptr 0
		.amdhsa_user_sgpr_queue_ptr 0
		.amdhsa_user_sgpr_kernarg_segment_ptr 1
		.amdhsa_user_sgpr_dispatch_id 0
		.amdhsa_user_sgpr_flat_scratch_init 0
		.amdhsa_user_sgpr_kernarg_preload_length 0
		.amdhsa_user_sgpr_kernarg_preload_offset 0
		.amdhsa_user_sgpr_private_segment_size 0
		.amdhsa_uses_dynamic_stack 0
		.amdhsa_system_sgpr_private_segment_wavefront_offset 0
		.amdhsa_system_sgpr_workgroup_id_x 1
		.amdhsa_system_sgpr_workgroup_id_y 0
		.amdhsa_system_sgpr_workgroup_id_z 0
		.amdhsa_system_sgpr_workgroup_info 0
		.amdhsa_system_vgpr_workitem_id 0
		.amdhsa_next_free_vgpr 1
		.amdhsa_next_free_sgpr 0
		.amdhsa_accum_offset 4
		.amdhsa_reserve_vcc 0
		.amdhsa_reserve_flat_scratch 0
		.amdhsa_float_round_mode_32 0
		.amdhsa_float_round_mode_16_64 0
		.amdhsa_float_denorm_mode_32 3
		.amdhsa_float_denorm_mode_16_64 3
		.amdhsa_dx10_clamp 1
		.amdhsa_ieee_mode 1
		.amdhsa_fp16_overflow 0
		.amdhsa_tg_split 0
		.amdhsa_exception_fp_ieee_invalid_op 0
		.amdhsa_exception_fp_denorm_src 0
		.amdhsa_exception_fp_ieee_div_zero 0
		.amdhsa_exception_fp_ieee_overflow 0
		.amdhsa_exception_fp_ieee_underflow 0
		.amdhsa_exception_fp_ieee_inexact 0
		.amdhsa_exception_int_div_zero 0
	.end_amdhsa_kernel
	.section	.text._ZN7rocprim17ROCPRIM_400000_NS6detail17trampoline_kernelINS0_14default_configENS1_27scan_by_key_config_selectorIisEEZZNS1_16scan_by_key_implILNS1_25lookback_scan_determinismE0ELb1ES3_N6thrust23THRUST_200600_302600_NS6detail15normal_iteratorINS9_10device_ptrIiEEEENSB_INSC_IsEEEESG_sNS9_4plusIvEENS9_8equal_toIvEEsEE10hipError_tPvRmT2_T3_T4_T5_mT6_T7_P12ihipStream_tbENKUlT_T0_E_clISt17integral_constantIbLb0EES11_EEDaSW_SX_EUlSW_E_NS1_11comp_targetILNS1_3genE5ELNS1_11target_archE942ELNS1_3gpuE9ELNS1_3repE0EEENS1_30default_config_static_selectorELNS0_4arch9wavefront6targetE1EEEvT1_,"axG",@progbits,_ZN7rocprim17ROCPRIM_400000_NS6detail17trampoline_kernelINS0_14default_configENS1_27scan_by_key_config_selectorIisEEZZNS1_16scan_by_key_implILNS1_25lookback_scan_determinismE0ELb1ES3_N6thrust23THRUST_200600_302600_NS6detail15normal_iteratorINS9_10device_ptrIiEEEENSB_INSC_IsEEEESG_sNS9_4plusIvEENS9_8equal_toIvEEsEE10hipError_tPvRmT2_T3_T4_T5_mT6_T7_P12ihipStream_tbENKUlT_T0_E_clISt17integral_constantIbLb0EES11_EEDaSW_SX_EUlSW_E_NS1_11comp_targetILNS1_3genE5ELNS1_11target_archE942ELNS1_3gpuE9ELNS1_3repE0EEENS1_30default_config_static_selectorELNS0_4arch9wavefront6targetE1EEEvT1_,comdat
.Lfunc_end1609:
	.size	_ZN7rocprim17ROCPRIM_400000_NS6detail17trampoline_kernelINS0_14default_configENS1_27scan_by_key_config_selectorIisEEZZNS1_16scan_by_key_implILNS1_25lookback_scan_determinismE0ELb1ES3_N6thrust23THRUST_200600_302600_NS6detail15normal_iteratorINS9_10device_ptrIiEEEENSB_INSC_IsEEEESG_sNS9_4plusIvEENS9_8equal_toIvEEsEE10hipError_tPvRmT2_T3_T4_T5_mT6_T7_P12ihipStream_tbENKUlT_T0_E_clISt17integral_constantIbLb0EES11_EEDaSW_SX_EUlSW_E_NS1_11comp_targetILNS1_3genE5ELNS1_11target_archE942ELNS1_3gpuE9ELNS1_3repE0EEENS1_30default_config_static_selectorELNS0_4arch9wavefront6targetE1EEEvT1_, .Lfunc_end1609-_ZN7rocprim17ROCPRIM_400000_NS6detail17trampoline_kernelINS0_14default_configENS1_27scan_by_key_config_selectorIisEEZZNS1_16scan_by_key_implILNS1_25lookback_scan_determinismE0ELb1ES3_N6thrust23THRUST_200600_302600_NS6detail15normal_iteratorINS9_10device_ptrIiEEEENSB_INSC_IsEEEESG_sNS9_4plusIvEENS9_8equal_toIvEEsEE10hipError_tPvRmT2_T3_T4_T5_mT6_T7_P12ihipStream_tbENKUlT_T0_E_clISt17integral_constantIbLb0EES11_EEDaSW_SX_EUlSW_E_NS1_11comp_targetILNS1_3genE5ELNS1_11target_archE942ELNS1_3gpuE9ELNS1_3repE0EEENS1_30default_config_static_selectorELNS0_4arch9wavefront6targetE1EEEvT1_
                                        ; -- End function
	.section	.AMDGPU.csdata,"",@progbits
; Kernel info:
; codeLenInByte = 0
; NumSgprs: 4
; NumVgprs: 0
; NumAgprs: 0
; TotalNumVgprs: 0
; ScratchSize: 0
; MemoryBound: 0
; FloatMode: 240
; IeeeMode: 1
; LDSByteSize: 0 bytes/workgroup (compile time only)
; SGPRBlocks: 0
; VGPRBlocks: 0
; NumSGPRsForWavesPerEU: 4
; NumVGPRsForWavesPerEU: 1
; AccumOffset: 4
; Occupancy: 8
; WaveLimiterHint : 0
; COMPUTE_PGM_RSRC2:SCRATCH_EN: 0
; COMPUTE_PGM_RSRC2:USER_SGPR: 6
; COMPUTE_PGM_RSRC2:TRAP_HANDLER: 0
; COMPUTE_PGM_RSRC2:TGID_X_EN: 1
; COMPUTE_PGM_RSRC2:TGID_Y_EN: 0
; COMPUTE_PGM_RSRC2:TGID_Z_EN: 0
; COMPUTE_PGM_RSRC2:TIDIG_COMP_CNT: 0
; COMPUTE_PGM_RSRC3_GFX90A:ACCUM_OFFSET: 0
; COMPUTE_PGM_RSRC3_GFX90A:TG_SPLIT: 0
	.section	.text._ZN7rocprim17ROCPRIM_400000_NS6detail17trampoline_kernelINS0_14default_configENS1_27scan_by_key_config_selectorIisEEZZNS1_16scan_by_key_implILNS1_25lookback_scan_determinismE0ELb1ES3_N6thrust23THRUST_200600_302600_NS6detail15normal_iteratorINS9_10device_ptrIiEEEENSB_INSC_IsEEEESG_sNS9_4plusIvEENS9_8equal_toIvEEsEE10hipError_tPvRmT2_T3_T4_T5_mT6_T7_P12ihipStream_tbENKUlT_T0_E_clISt17integral_constantIbLb0EES11_EEDaSW_SX_EUlSW_E_NS1_11comp_targetILNS1_3genE4ELNS1_11target_archE910ELNS1_3gpuE8ELNS1_3repE0EEENS1_30default_config_static_selectorELNS0_4arch9wavefront6targetE1EEEvT1_,"axG",@progbits,_ZN7rocprim17ROCPRIM_400000_NS6detail17trampoline_kernelINS0_14default_configENS1_27scan_by_key_config_selectorIisEEZZNS1_16scan_by_key_implILNS1_25lookback_scan_determinismE0ELb1ES3_N6thrust23THRUST_200600_302600_NS6detail15normal_iteratorINS9_10device_ptrIiEEEENSB_INSC_IsEEEESG_sNS9_4plusIvEENS9_8equal_toIvEEsEE10hipError_tPvRmT2_T3_T4_T5_mT6_T7_P12ihipStream_tbENKUlT_T0_E_clISt17integral_constantIbLb0EES11_EEDaSW_SX_EUlSW_E_NS1_11comp_targetILNS1_3genE4ELNS1_11target_archE910ELNS1_3gpuE8ELNS1_3repE0EEENS1_30default_config_static_selectorELNS0_4arch9wavefront6targetE1EEEvT1_,comdat
	.protected	_ZN7rocprim17ROCPRIM_400000_NS6detail17trampoline_kernelINS0_14default_configENS1_27scan_by_key_config_selectorIisEEZZNS1_16scan_by_key_implILNS1_25lookback_scan_determinismE0ELb1ES3_N6thrust23THRUST_200600_302600_NS6detail15normal_iteratorINS9_10device_ptrIiEEEENSB_INSC_IsEEEESG_sNS9_4plusIvEENS9_8equal_toIvEEsEE10hipError_tPvRmT2_T3_T4_T5_mT6_T7_P12ihipStream_tbENKUlT_T0_E_clISt17integral_constantIbLb0EES11_EEDaSW_SX_EUlSW_E_NS1_11comp_targetILNS1_3genE4ELNS1_11target_archE910ELNS1_3gpuE8ELNS1_3repE0EEENS1_30default_config_static_selectorELNS0_4arch9wavefront6targetE1EEEvT1_ ; -- Begin function _ZN7rocprim17ROCPRIM_400000_NS6detail17trampoline_kernelINS0_14default_configENS1_27scan_by_key_config_selectorIisEEZZNS1_16scan_by_key_implILNS1_25lookback_scan_determinismE0ELb1ES3_N6thrust23THRUST_200600_302600_NS6detail15normal_iteratorINS9_10device_ptrIiEEEENSB_INSC_IsEEEESG_sNS9_4plusIvEENS9_8equal_toIvEEsEE10hipError_tPvRmT2_T3_T4_T5_mT6_T7_P12ihipStream_tbENKUlT_T0_E_clISt17integral_constantIbLb0EES11_EEDaSW_SX_EUlSW_E_NS1_11comp_targetILNS1_3genE4ELNS1_11target_archE910ELNS1_3gpuE8ELNS1_3repE0EEENS1_30default_config_static_selectorELNS0_4arch9wavefront6targetE1EEEvT1_
	.globl	_ZN7rocprim17ROCPRIM_400000_NS6detail17trampoline_kernelINS0_14default_configENS1_27scan_by_key_config_selectorIisEEZZNS1_16scan_by_key_implILNS1_25lookback_scan_determinismE0ELb1ES3_N6thrust23THRUST_200600_302600_NS6detail15normal_iteratorINS9_10device_ptrIiEEEENSB_INSC_IsEEEESG_sNS9_4plusIvEENS9_8equal_toIvEEsEE10hipError_tPvRmT2_T3_T4_T5_mT6_T7_P12ihipStream_tbENKUlT_T0_E_clISt17integral_constantIbLb0EES11_EEDaSW_SX_EUlSW_E_NS1_11comp_targetILNS1_3genE4ELNS1_11target_archE910ELNS1_3gpuE8ELNS1_3repE0EEENS1_30default_config_static_selectorELNS0_4arch9wavefront6targetE1EEEvT1_
	.p2align	8
	.type	_ZN7rocprim17ROCPRIM_400000_NS6detail17trampoline_kernelINS0_14default_configENS1_27scan_by_key_config_selectorIisEEZZNS1_16scan_by_key_implILNS1_25lookback_scan_determinismE0ELb1ES3_N6thrust23THRUST_200600_302600_NS6detail15normal_iteratorINS9_10device_ptrIiEEEENSB_INSC_IsEEEESG_sNS9_4plusIvEENS9_8equal_toIvEEsEE10hipError_tPvRmT2_T3_T4_T5_mT6_T7_P12ihipStream_tbENKUlT_T0_E_clISt17integral_constantIbLb0EES11_EEDaSW_SX_EUlSW_E_NS1_11comp_targetILNS1_3genE4ELNS1_11target_archE910ELNS1_3gpuE8ELNS1_3repE0EEENS1_30default_config_static_selectorELNS0_4arch9wavefront6targetE1EEEvT1_,@function
_ZN7rocprim17ROCPRIM_400000_NS6detail17trampoline_kernelINS0_14default_configENS1_27scan_by_key_config_selectorIisEEZZNS1_16scan_by_key_implILNS1_25lookback_scan_determinismE0ELb1ES3_N6thrust23THRUST_200600_302600_NS6detail15normal_iteratorINS9_10device_ptrIiEEEENSB_INSC_IsEEEESG_sNS9_4plusIvEENS9_8equal_toIvEEsEE10hipError_tPvRmT2_T3_T4_T5_mT6_T7_P12ihipStream_tbENKUlT_T0_E_clISt17integral_constantIbLb0EES11_EEDaSW_SX_EUlSW_E_NS1_11comp_targetILNS1_3genE4ELNS1_11target_archE910ELNS1_3gpuE8ELNS1_3repE0EEENS1_30default_config_static_selectorELNS0_4arch9wavefront6targetE1EEEvT1_: ; @_ZN7rocprim17ROCPRIM_400000_NS6detail17trampoline_kernelINS0_14default_configENS1_27scan_by_key_config_selectorIisEEZZNS1_16scan_by_key_implILNS1_25lookback_scan_determinismE0ELb1ES3_N6thrust23THRUST_200600_302600_NS6detail15normal_iteratorINS9_10device_ptrIiEEEENSB_INSC_IsEEEESG_sNS9_4plusIvEENS9_8equal_toIvEEsEE10hipError_tPvRmT2_T3_T4_T5_mT6_T7_P12ihipStream_tbENKUlT_T0_E_clISt17integral_constantIbLb0EES11_EEDaSW_SX_EUlSW_E_NS1_11comp_targetILNS1_3genE4ELNS1_11target_archE910ELNS1_3gpuE8ELNS1_3repE0EEENS1_30default_config_static_selectorELNS0_4arch9wavefront6targetE1EEEvT1_
; %bb.0:
	s_load_dwordx8 s[48:55], s[4:5], 0x0
	s_load_dword s7, s[4:5], 0x20
	s_load_dwordx4 s[56:59], s[4:5], 0x28
	s_load_dwordx2 s[68:69], s[4:5], 0x38
	s_load_dword s2, s[4:5], 0x40
	s_load_dwordx4 s[60:63], s[4:5], 0x48
	s_waitcnt lgkmcnt(0)
	s_lshl_b64 s[0:1], s[50:51], 2
	s_add_u32 s4, s48, s0
	s_addc_u32 s5, s49, s1
	s_lshl_b64 s[64:65], s[50:51], 1
	s_add_u32 s8, s52, s64
	s_mul_i32 s0, s69, s2
	s_mul_hi_u32 s1, s68, s2
	s_addc_u32 s9, s53, s65
	s_add_i32 s10, s1, s0
	s_mul_i32 s0, s6, 0x600
	s_mov_b32 s1, 0
	s_mul_i32 s11, s68, s2
	s_lshl_b64 s[2:3], s[0:1], 2
	s_add_u32 s70, s4, s2
	s_addc_u32 s71, s5, s3
	s_lshl_b64 s[66:67], s[0:1], 1
	s_add_u32 s59, s8, s66
	s_addc_u32 s78, s9, s67
	s_add_u32 s0, s11, s6
	s_addc_u32 s1, s10, 0
	s_add_u32 s4, s60, -1
	s_addc_u32 s5, s61, -1
	v_pk_mov_b32 v[2:3], s[4:5], s[4:5] op_sel:[0,1]
	v_cmp_ge_u64_e64 s[0:1], s[0:1], v[2:3]
	s_mov_b64 s[2:3], -1
	s_and_b64 vcc, exec, s[0:1]
	s_mul_i32 s33, s4, 0xfffffa00
	s_waitcnt lgkmcnt(0)
	; wave barrier
	s_cbranch_vccz .LBB1610_126
; %bb.1:
	v_pk_mov_b32 v[2:3], s[70:71], s[70:71] op_sel:[0,1]
	flat_load_dword v1, v[2:3]
	s_add_i32 s76, s33, s58
	v_cmp_gt_u32_e32 vcc, s76, v0
	s_waitcnt vmcnt(0) lgkmcnt(0)
	v_mov_b32_e32 v2, v1
	s_and_saveexec_b64 s[4:5], vcc
	s_cbranch_execz .LBB1610_3
; %bb.2:
	v_lshlrev_b32_e32 v2, 2, v0
	v_mov_b32_e32 v3, s71
	v_add_co_u32_e64 v2, s[2:3], s70, v2
	v_addc_co_u32_e64 v3, s[2:3], 0, v3, s[2:3]
	flat_load_dword v2, v[2:3]
.LBB1610_3:
	s_or_b64 exec, exec, s[4:5]
	v_or_b32_e32 v3, 64, v0
	v_cmp_gt_u32_e64 s[2:3], s76, v3
	v_mov_b32_e32 v3, v1
	s_and_saveexec_b64 s[8:9], s[2:3]
	s_cbranch_execz .LBB1610_5
; %bb.4:
	v_lshlrev_b32_e32 v3, 2, v0
	v_mov_b32_e32 v5, s71
	v_add_co_u32_e64 v4, s[4:5], s70, v3
	v_addc_co_u32_e64 v5, s[4:5], 0, v5, s[4:5]
	flat_load_dword v3, v[4:5] offset:256
.LBB1610_5:
	s_or_b64 exec, exec, s[8:9]
	v_or_b32_e32 v4, 0x80, v0
	v_cmp_gt_u32_e64 s[4:5], s76, v4
	v_mov_b32_e32 v4, v1
	s_and_saveexec_b64 s[10:11], s[4:5]
	s_cbranch_execz .LBB1610_7
; %bb.6:
	v_lshlrev_b32_e32 v4, 2, v0
	v_mov_b32_e32 v5, s71
	v_add_co_u32_e64 v4, s[8:9], s70, v4
	v_addc_co_u32_e64 v5, s[8:9], 0, v5, s[8:9]
	flat_load_dword v4, v[4:5] offset:512
.LBB1610_7:
	;; [unrolled: 13-line block ×15, first 2 shown]
	s_or_b64 exec, exec, s[36:37]
	v_or_b32_e32 v19, 0x400, v0
	v_cmp_gt_u32_e64 s[34:35], s76, v19
	v_mov_b32_e32 v18, v1
	s_and_saveexec_b64 s[38:39], s[34:35]
	s_cbranch_execz .LBB1610_35
; %bb.34:
	v_lshlrev_b32_e32 v18, 2, v19
	v_mov_b32_e32 v19, s71
	v_add_co_u32_e64 v18, s[36:37], s70, v18
	v_addc_co_u32_e64 v19, s[36:37], 0, v19, s[36:37]
	flat_load_dword v18, v[18:19]
.LBB1610_35:
	s_or_b64 exec, exec, s[38:39]
	v_or_b32_e32 v20, 0x440, v0
	v_cmp_gt_u32_e64 s[36:37], s76, v20
	v_mov_b32_e32 v19, v1
	s_and_saveexec_b64 s[40:41], s[36:37]
	s_cbranch_execz .LBB1610_37
; %bb.36:
	v_lshlrev_b32_e32 v19, 2, v20
	v_mov_b32_e32 v21, s71
	v_add_co_u32_e64 v20, s[38:39], s70, v19
	v_addc_co_u32_e64 v21, s[38:39], 0, v21, s[38:39]
	flat_load_dword v19, v[20:21]
.LBB1610_37:
	s_or_b64 exec, exec, s[40:41]
	v_or_b32_e32 v21, 0x480, v0
	v_cmp_gt_u32_e64 s[38:39], s76, v21
	v_mov_b32_e32 v20, v1
	s_and_saveexec_b64 s[42:43], s[38:39]
	s_cbranch_execz .LBB1610_39
; %bb.38:
	v_lshlrev_b32_e32 v20, 2, v21
	v_mov_b32_e32 v21, s71
	v_add_co_u32_e64 v20, s[40:41], s70, v20
	v_addc_co_u32_e64 v21, s[40:41], 0, v21, s[40:41]
	flat_load_dword v20, v[20:21]
.LBB1610_39:
	s_or_b64 exec, exec, s[42:43]
	v_or_b32_e32 v22, 0x4c0, v0
	v_cmp_gt_u32_e64 s[40:41], s76, v22
	v_mov_b32_e32 v21, v1
	s_and_saveexec_b64 s[44:45], s[40:41]
	s_cbranch_execz .LBB1610_41
; %bb.40:
	v_lshlrev_b32_e32 v21, 2, v22
	v_mov_b32_e32 v23, s71
	v_add_co_u32_e64 v22, s[42:43], s70, v21
	v_addc_co_u32_e64 v23, s[42:43], 0, v23, s[42:43]
	flat_load_dword v21, v[22:23]
.LBB1610_41:
	s_or_b64 exec, exec, s[44:45]
	v_or_b32_e32 v23, 0x500, v0
	v_cmp_gt_u32_e64 s[42:43], s76, v23
	v_mov_b32_e32 v22, v1
	s_and_saveexec_b64 s[46:47], s[42:43]
	s_cbranch_execz .LBB1610_43
; %bb.42:
	v_lshlrev_b32_e32 v22, 2, v23
	v_mov_b32_e32 v23, s71
	v_add_co_u32_e64 v22, s[44:45], s70, v22
	v_addc_co_u32_e64 v23, s[44:45], 0, v23, s[44:45]
	flat_load_dword v22, v[22:23]
.LBB1610_43:
	s_or_b64 exec, exec, s[46:47]
	v_or_b32_e32 v24, 0x540, v0
	v_cmp_gt_u32_e64 s[44:45], s76, v24
	v_mov_b32_e32 v23, v1
	s_and_saveexec_b64 s[48:49], s[44:45]
	s_cbranch_execz .LBB1610_45
; %bb.44:
	v_lshlrev_b32_e32 v23, 2, v24
	v_mov_b32_e32 v25, s71
	v_add_co_u32_e64 v24, s[46:47], s70, v23
	v_addc_co_u32_e64 v25, s[46:47], 0, v25, s[46:47]
	flat_load_dword v23, v[24:25]
.LBB1610_45:
	s_or_b64 exec, exec, s[48:49]
	v_or_b32_e32 v25, 0x580, v0
	v_cmp_gt_u32_e64 s[46:47], s76, v25
	v_mov_b32_e32 v24, v1
	s_and_saveexec_b64 s[52:53], s[46:47]
	s_cbranch_execz .LBB1610_47
; %bb.46:
	v_lshlrev_b32_e32 v24, 2, v25
	v_mov_b32_e32 v25, s71
	v_add_co_u32_e64 v24, s[48:49], s70, v24
	v_addc_co_u32_e64 v25, s[48:49], 0, v25, s[48:49]
	flat_load_dword v24, v[24:25]
.LBB1610_47:
	s_or_b64 exec, exec, s[52:53]
	v_or_b32_e32 v25, 0x5c0, v0
	v_cmp_gt_u32_e64 s[48:49], s76, v25
	s_and_saveexec_b64 s[60:61], s[48:49]
	s_cbranch_execz .LBB1610_49
; %bb.48:
	v_lshlrev_b32_e32 v1, 2, v25
	v_mov_b32_e32 v25, s71
	v_add_co_u32_e64 v26, s[52:53], s70, v1
	v_addc_co_u32_e64 v27, s[52:53], 0, v25, s[52:53]
	flat_load_dword v1, v[26:27]
.LBB1610_49:
	s_or_b64 exec, exec, s[60:61]
	v_lshlrev_b32_e32 v46, 2, v0
	s_waitcnt vmcnt(0) lgkmcnt(0)
	ds_write2st64_b32 v46, v2, v3 offset1:1
	ds_write2st64_b32 v46, v4, v5 offset0:2 offset1:3
	ds_write2st64_b32 v46, v6, v7 offset0:4 offset1:5
	;; [unrolled: 1-line block ×11, first 2 shown]
	v_pk_mov_b32 v[2:3], s[70:71], s[70:71] op_sel:[0,1]
	s_waitcnt lgkmcnt(0)
	; wave barrier
	s_waitcnt lgkmcnt(0)
	flat_load_dword v52, v[2:3]
	s_movk_i32 s52, 0x5c
	v_mad_u32_u24 v1, v0, s52, v46
	s_movk_i32 s52, 0xffa4
	ds_read_b128 v[42:45], v1
	ds_read_b128 v[38:41], v1 offset:16
	ds_read_b128 v[34:37], v1 offset:32
	;; [unrolled: 1-line block ×5, first 2 shown]
	v_mad_i32_i24 v1, v0, s52, v1
	v_cmp_ne_u32_e64 s[52:53], 63, v0
	s_waitcnt lgkmcnt(0)
	ds_write_b32 v1, v42 offset:6400
	s_waitcnt lgkmcnt(0)
	; wave barrier
	s_waitcnt lgkmcnt(0)
	s_and_saveexec_b64 s[60:61], s[52:53]
	s_cbranch_execz .LBB1610_51
; %bb.50:
	s_waitcnt vmcnt(0)
	ds_read_b32 v52, v46 offset:6404
.LBB1610_51:
	s_or_b64 exec, exec, s[60:61]
	s_waitcnt lgkmcnt(0)
	; wave barrier
	s_waitcnt lgkmcnt(0)
                                        ; implicit-def: $vgpr2
	s_and_saveexec_b64 s[52:53], vcc
	s_cbranch_execz .LBB1610_193
; %bb.52:
	v_lshlrev_b32_e32 v2, 1, v0
	v_mov_b32_e32 v3, s78
	v_add_co_u32_e32 v2, vcc, s59, v2
	v_addc_co_u32_e32 v3, vcc, 0, v3, vcc
	flat_load_ushort v2, v[2:3]
	s_or_b64 exec, exec, s[52:53]
                                        ; implicit-def: $vgpr3
	s_and_saveexec_b64 s[52:53], s[2:3]
	s_cbranch_execnz .LBB1610_194
.LBB1610_53:
	s_or_b64 exec, exec, s[52:53]
                                        ; implicit-def: $vgpr4
	s_and_saveexec_b64 s[2:3], s[4:5]
	s_cbranch_execz .LBB1610_195
.LBB1610_54:
	v_lshlrev_b32_e32 v4, 1, v0
	v_mov_b32_e32 v5, s78
	v_add_co_u32_e32 v4, vcc, s59, v4
	v_addc_co_u32_e32 v5, vcc, 0, v5, vcc
	flat_load_ushort v4, v[4:5] offset:256
	s_or_b64 exec, exec, s[2:3]
                                        ; implicit-def: $vgpr5
	s_and_saveexec_b64 s[2:3], s[50:51]
	s_cbranch_execnz .LBB1610_196
.LBB1610_55:
	s_or_b64 exec, exec, s[2:3]
                                        ; implicit-def: $vgpr6
	s_and_saveexec_b64 s[2:3], s[8:9]
	s_cbranch_execz .LBB1610_197
.LBB1610_56:
	v_lshlrev_b32_e32 v6, 1, v0
	v_mov_b32_e32 v7, s78
	v_add_co_u32_e32 v6, vcc, s59, v6
	v_addc_co_u32_e32 v7, vcc, 0, v7, vcc
	flat_load_ushort v6, v[6:7] offset:512
	s_or_b64 exec, exec, s[2:3]
                                        ; implicit-def: $vgpr7
	s_and_saveexec_b64 s[2:3], s[10:11]
	s_cbranch_execnz .LBB1610_198
.LBB1610_57:
	s_or_b64 exec, exec, s[2:3]
                                        ; implicit-def: $vgpr8
	s_and_saveexec_b64 s[2:3], s[12:13]
	s_cbranch_execz .LBB1610_199
.LBB1610_58:
	v_lshlrev_b32_e32 v8, 1, v0
	v_mov_b32_e32 v9, s78
	v_add_co_u32_e32 v8, vcc, s59, v8
	v_addc_co_u32_e32 v9, vcc, 0, v9, vcc
	flat_load_ushort v8, v[8:9] offset:768
	s_or_b64 exec, exec, s[2:3]
                                        ; implicit-def: $vgpr9
	s_and_saveexec_b64 s[2:3], s[14:15]
	s_cbranch_execnz .LBB1610_200
.LBB1610_59:
	s_or_b64 exec, exec, s[2:3]
                                        ; implicit-def: $vgpr10
	s_and_saveexec_b64 s[2:3], s[16:17]
	s_cbranch_execz .LBB1610_201
.LBB1610_60:
	v_lshlrev_b32_e32 v10, 1, v0
	v_mov_b32_e32 v11, s78
	v_add_co_u32_e32 v10, vcc, s59, v10
	v_addc_co_u32_e32 v11, vcc, 0, v11, vcc
	flat_load_ushort v10, v[10:11] offset:1024
	s_or_b64 exec, exec, s[2:3]
                                        ; implicit-def: $vgpr11
	s_and_saveexec_b64 s[2:3], s[18:19]
	s_cbranch_execnz .LBB1610_202
.LBB1610_61:
	s_or_b64 exec, exec, s[2:3]
                                        ; implicit-def: $vgpr12
	s_and_saveexec_b64 s[2:3], s[20:21]
	s_cbranch_execz .LBB1610_203
.LBB1610_62:
	v_lshlrev_b32_e32 v12, 1, v0
	v_mov_b32_e32 v13, s78
	v_add_co_u32_e32 v12, vcc, s59, v12
	v_addc_co_u32_e32 v13, vcc, 0, v13, vcc
	flat_load_ushort v12, v[12:13] offset:1280
	s_or_b64 exec, exec, s[2:3]
                                        ; implicit-def: $vgpr13
	s_and_saveexec_b64 s[2:3], s[22:23]
	s_cbranch_execnz .LBB1610_204
.LBB1610_63:
	s_or_b64 exec, exec, s[2:3]
                                        ; implicit-def: $vgpr14
	s_and_saveexec_b64 s[2:3], s[24:25]
	s_cbranch_execz .LBB1610_205
.LBB1610_64:
	v_lshlrev_b32_e32 v14, 1, v0
	v_mov_b32_e32 v15, s78
	v_add_co_u32_e32 v14, vcc, s59, v14
	v_addc_co_u32_e32 v15, vcc, 0, v15, vcc
	flat_load_ushort v14, v[14:15] offset:1536
	s_or_b64 exec, exec, s[2:3]
                                        ; implicit-def: $vgpr15
	s_and_saveexec_b64 s[2:3], s[26:27]
	s_cbranch_execnz .LBB1610_206
.LBB1610_65:
	s_or_b64 exec, exec, s[2:3]
                                        ; implicit-def: $vgpr16
	s_and_saveexec_b64 s[2:3], s[28:29]
	s_cbranch_execz .LBB1610_207
.LBB1610_66:
	v_lshlrev_b32_e32 v16, 1, v0
	v_mov_b32_e32 v17, s78
	v_add_co_u32_e32 v16, vcc, s59, v16
	v_addc_co_u32_e32 v17, vcc, 0, v17, vcc
	flat_load_ushort v16, v[16:17] offset:1792
	s_or_b64 exec, exec, s[2:3]
                                        ; implicit-def: $vgpr17
	s_and_saveexec_b64 s[2:3], s[30:31]
	s_cbranch_execnz .LBB1610_208
.LBB1610_67:
	s_or_b64 exec, exec, s[2:3]
                                        ; implicit-def: $vgpr18
	s_and_saveexec_b64 s[2:3], s[34:35]
	s_cbranch_execz .LBB1610_209
.LBB1610_68:
	v_lshlrev_b32_e32 v18, 1, v0
	v_mov_b32_e32 v19, s78
	v_add_co_u32_e32 v18, vcc, s59, v18
	v_addc_co_u32_e32 v19, vcc, 0, v19, vcc
	flat_load_ushort v18, v[18:19] offset:2048
	s_or_b64 exec, exec, s[2:3]
                                        ; implicit-def: $vgpr19
	s_and_saveexec_b64 s[2:3], s[36:37]
	s_cbranch_execnz .LBB1610_210
.LBB1610_69:
	s_or_b64 exec, exec, s[2:3]
                                        ; implicit-def: $vgpr20
	s_and_saveexec_b64 s[2:3], s[38:39]
	s_cbranch_execz .LBB1610_211
.LBB1610_70:
	v_lshlrev_b32_e32 v20, 1, v0
	v_mov_b32_e32 v21, s78
	v_add_co_u32_e32 v20, vcc, s59, v20
	v_addc_co_u32_e32 v21, vcc, 0, v21, vcc
	flat_load_ushort v20, v[20:21] offset:2304
	s_or_b64 exec, exec, s[2:3]
                                        ; implicit-def: $vgpr21
	s_and_saveexec_b64 s[2:3], s[40:41]
	s_cbranch_execnz .LBB1610_212
.LBB1610_71:
	s_or_b64 exec, exec, s[2:3]
                                        ; implicit-def: $vgpr47
	s_and_saveexec_b64 s[2:3], s[42:43]
	s_cbranch_execz .LBB1610_213
.LBB1610_72:
	v_lshlrev_b32_e32 v46, 1, v0
	v_mov_b32_e32 v47, s78
	v_add_co_u32_e32 v46, vcc, s59, v46
	v_addc_co_u32_e32 v47, vcc, 0, v47, vcc
	flat_load_ushort v47, v[46:47] offset:2560
	s_or_b64 exec, exec, s[2:3]
                                        ; implicit-def: $vgpr48
	s_and_saveexec_b64 s[2:3], s[44:45]
	s_cbranch_execnz .LBB1610_214
.LBB1610_73:
	s_or_b64 exec, exec, s[2:3]
                                        ; implicit-def: $vgpr49
	s_and_saveexec_b64 s[2:3], s[46:47]
	s_cbranch_execz .LBB1610_75
.LBB1610_74:
	v_lshlrev_b32_e32 v46, 1, v0
	v_mov_b32_e32 v49, s78
	v_add_co_u32_e32 v50, vcc, s59, v46
	v_addc_co_u32_e32 v51, vcc, 0, v49, vcc
	flat_load_ushort v49, v[50:51] offset:2816
.LBB1610_75:
	s_or_b64 exec, exec, s[2:3]
	v_mul_u32_u24_e32 v54, 24, v0
                                        ; implicit-def: $vgpr50
	s_and_saveexec_b64 s[2:3], s[48:49]
	s_cbranch_execz .LBB1610_77
; %bb.76:
	v_lshlrev_b32_e32 v46, 1, v0
	v_mov_b32_e32 v51, s78
	v_add_co_u32_e32 v50, vcc, s59, v46
	v_addc_co_u32_e32 v51, vcc, 0, v51, vcc
	flat_load_ushort v50, v[50:51] offset:2944
.LBB1610_77:
	s_or_b64 exec, exec, s[2:3]
	v_lshlrev_b32_e32 v46, 1, v0
	s_mov_b32 s8, 0
	v_sub_u32_e32 v46, v1, v46
	s_mov_b32 s9, s8
	s_waitcnt vmcnt(0) lgkmcnt(0)
	ds_write_b16 v46, v2
	ds_write_b16 v46, v3 offset:128
	ds_write_b16 v46, v4 offset:256
	;; [unrolled: 1-line block ×23, first 2 shown]
	s_mov_b32 s10, s8
	s_mov_b32 s11, s8
	;; [unrolled: 1-line block ×6, first 2 shown]
	v_pk_mov_b32 v[2:3], s[8:9], s[8:9] op_sel:[0,1]
	s_mov_b32 s18, s8
	s_mov_b32 s19, s8
	v_pk_mov_b32 v[8:9], s[14:15], s[14:15] op_sel:[0,1]
	s_mov_b32 s16, s8
	s_mov_b32 s17, s8
	v_pk_mov_b32 v[20:21], s[18:19], s[18:19] op_sel:[0,1]
	v_pk_mov_b32 v[4:5], s[10:11], s[10:11] op_sel:[0,1]
	;; [unrolled: 1-line block ×4, first 2 shown]
	v_cmp_gt_u32_e32 vcc, s76, v54
	s_mov_b64 s[2:3], 0
	v_pk_mov_b32 v[18:19], s[16:17], s[16:17] op_sel:[0,1]
	v_mov_b32_e32 v1, 0
	s_mov_b64 s[12:13], 0
	v_pk_mov_b32 v[14:15], v[6:7], v[6:7] op_sel:[0,1]
	v_pk_mov_b32 v[12:13], v[4:5], v[4:5] op_sel:[0,1]
	v_pk_mov_b32 v[10:11], v[2:3], v[2:3] op_sel:[0,1]
	v_mov_b32_e32 v50, 0
	v_mov_b32_e32 v51, 0
	s_waitcnt lgkmcnt(0)
	; wave barrier
	s_waitcnt lgkmcnt(0)
                                        ; implicit-def: $sgpr10_sgpr11
                                        ; implicit-def: $vgpr53
	s_and_saveexec_b64 s[4:5], vcc
	s_cbranch_execz .LBB1610_125
; %bb.78:
	v_mad_u32_u24 v1, v0, 46, v46
	ds_read_u16 v1, v1
	v_mov_b32_e32 v3, s7
	v_cmp_eq_u32_e32 vcc, v42, v43
	s_mov_b32 s12, 0
	v_or_b32_e32 v2, 1, v54
	s_waitcnt lgkmcnt(0)
	v_cndmask_b32_e32 v1, v3, v1, vcc
	v_cmp_ne_u32_e32 vcc, v42, v43
	v_and_b32_e32 v1, 0xffff, v1
	v_cndmask_b32_e64 v3, 0, 1, vcc
	s_mov_b32 s13, s12
	v_lshl_or_b32 v1, v3, 16, v1
	v_cmp_gt_u32_e32 vcc, s76, v2
	s_mov_b32 s14, s12
	s_mov_b32 s15, s12
	;; [unrolled: 1-line block ×6, first 2 shown]
	v_pk_mov_b32 v[2:3], s[12:13], s[12:13] op_sel:[0,1]
	s_mov_b32 s20, s12
	s_mov_b32 s21, s12
	v_pk_mov_b32 v[8:9], s[18:19], s[18:19] op_sel:[0,1]
	s_mov_b32 s22, s12
	s_mov_b32 s23, s12
	v_pk_mov_b32 v[18:19], s[20:21], s[20:21] op_sel:[0,1]
	v_pk_mov_b32 v[4:5], s[14:15], s[14:15] op_sel:[0,1]
	;; [unrolled: 1-line block ×4, first 2 shown]
	s_mov_b64 s[24:25], 0
	v_pk_mov_b32 v[20:21], s[22:23], s[22:23] op_sel:[0,1]
	v_mov_b32_e32 v50, 0
	v_pk_mov_b32 v[14:15], v[6:7], v[6:7] op_sel:[0,1]
	v_pk_mov_b32 v[12:13], v[4:5], v[4:5] op_sel:[0,1]
	;; [unrolled: 1-line block ×3, first 2 shown]
	v_mov_b32_e32 v51, 0
                                        ; implicit-def: $sgpr26_sgpr27
                                        ; implicit-def: $vgpr53
	s_and_saveexec_b64 s[10:11], vcc
	s_cbranch_execz .LBB1610_124
; %bb.79:
	v_mul_u32_u24_e32 v2, 46, v0
	v_add_u32_e32 v42, v46, v2
	ds_read_b128 v[46:49], v42 offset:2
	v_mov_b32_e32 v3, s7
	v_cmp_eq_u32_e32 vcc, v43, v44
	v_or_b32_e32 v2, 2, v54
	v_pk_mov_b32 v[18:19], s[20:21], s[20:21] op_sel:[0,1]
	s_waitcnt lgkmcnt(0)
	v_cndmask_b32_e32 v3, v3, v46, vcc
	v_cmp_ne_u32_e32 vcc, v43, v44
	v_and_b32_e32 v3, 0xffff, v3
	v_cndmask_b32_e64 v4, 0, 1, vcc
	v_lshl_or_b32 v50, v4, 16, v3
	v_cmp_gt_u32_e32 vcc, s76, v2
	v_pk_mov_b32 v[2:3], s[12:13], s[12:13] op_sel:[0,1]
	v_pk_mov_b32 v[8:9], s[18:19], s[18:19] op_sel:[0,1]
	;; [unrolled: 1-line block ×6, first 2 shown]
	v_mov_b32_e32 v51, 0
	v_pk_mov_b32 v[14:15], v[6:7], v[6:7] op_sel:[0,1]
	v_pk_mov_b32 v[12:13], v[4:5], v[4:5] op_sel:[0,1]
	;; [unrolled: 1-line block ×3, first 2 shown]
                                        ; implicit-def: $sgpr12_sgpr13
                                        ; implicit-def: $vgpr53
	s_and_saveexec_b64 s[20:21], vcc
	s_cbranch_execz .LBB1610_123
; %bb.80:
	v_lshrrev_b32_e32 v2, 16, v46
	v_mov_b32_e32 v4, s7
	v_cmp_eq_u32_e32 vcc, v44, v45
	v_cndmask_b32_e32 v2, v4, v2, vcc
	v_cmp_ne_u32_e32 vcc, v44, v45
	s_mov_b32 s12, 0
	v_or_b32_e32 v3, 3, v54
	v_and_b32_e32 v2, 0xffff, v2
	v_cndmask_b32_e64 v4, 0, 1, vcc
	s_mov_b32 s13, s12
	v_lshl_or_b32 v21, v4, 16, v2
	v_cmp_gt_u32_e32 vcc, s76, v3
	s_mov_b32 s14, s12
	s_mov_b32 s15, s12
	;; [unrolled: 1-line block ×6, first 2 shown]
	v_pk_mov_b32 v[2:3], s[12:13], s[12:13] op_sel:[0,1]
	v_pk_mov_b32 v[8:9], s[18:19], s[18:19] op_sel:[0,1]
	v_mov_b32_e32 v18, 0
	v_pk_mov_b32 v[4:5], s[14:15], s[14:15] op_sel:[0,1]
	v_pk_mov_b32 v[6:7], s[16:17], s[16:17] op_sel:[0,1]
	;; [unrolled: 1-line block ×3, first 2 shown]
	v_mov_b32_e32 v19, v18
	v_mov_b32_e32 v20, v18
	v_pk_mov_b32 v[14:15], v[6:7], v[6:7] op_sel:[0,1]
	v_pk_mov_b32 v[12:13], v[4:5], v[4:5] op_sel:[0,1]
	;; [unrolled: 1-line block ×3, first 2 shown]
	v_mov_b32_e32 v51, v18
                                        ; implicit-def: $sgpr28_sgpr29
                                        ; implicit-def: $vgpr53
	s_and_saveexec_b64 s[22:23], vcc
	s_cbranch_execz .LBB1610_122
; %bb.81:
	v_mov_b32_e32 v3, s7
	v_cmp_eq_u32_e32 vcc, v45, v38
	v_cndmask_b32_e32 v3, v3, v47, vcc
	v_cmp_ne_u32_e32 vcc, v45, v38
	v_or_b32_e32 v2, 4, v54
	v_and_b32_e32 v3, 0xffff, v3
	v_cndmask_b32_e64 v4, 0, 1, vcc
	v_lshl_or_b32 v20, v4, 16, v3
	v_cmp_gt_u32_e32 vcc, s76, v2
	v_pk_mov_b32 v[2:3], s[12:13], s[12:13] op_sel:[0,1]
	v_pk_mov_b32 v[8:9], s[18:19], s[18:19] op_sel:[0,1]
	v_mov_b32_e32 v18, 0
	v_pk_mov_b32 v[4:5], s[14:15], s[14:15] op_sel:[0,1]
	v_pk_mov_b32 v[6:7], s[16:17], s[16:17] op_sel:[0,1]
	;; [unrolled: 1-line block ×3, first 2 shown]
	v_mov_b32_e32 v19, v18
	s_mov_b64 s[26:27], 0
	v_pk_mov_b32 v[14:15], v[6:7], v[6:7] op_sel:[0,1]
	v_pk_mov_b32 v[12:13], v[4:5], v[4:5] op_sel:[0,1]
	;; [unrolled: 1-line block ×3, first 2 shown]
	v_mov_b32_e32 v51, v18
                                        ; implicit-def: $sgpr12_sgpr13
                                        ; implicit-def: $vgpr53
	s_and_saveexec_b64 s[24:25], vcc
	s_cbranch_execz .LBB1610_121
; %bb.82:
	v_lshrrev_b32_e32 v2, 16, v47
	v_mov_b32_e32 v4, s7
	v_cmp_eq_u32_e32 vcc, v38, v39
	v_cndmask_b32_e32 v2, v4, v2, vcc
	v_cmp_ne_u32_e32 vcc, v38, v39
	s_mov_b32 s12, 0
	v_or_b32_e32 v3, 5, v54
	v_and_b32_e32 v2, 0xffff, v2
	v_cndmask_b32_e64 v4, 0, 1, vcc
	s_mov_b32 s13, s12
	v_lshl_or_b32 v19, v4, 16, v2
	v_cmp_gt_u32_e32 vcc, s76, v3
	s_mov_b32 s14, s12
	s_mov_b32 s15, s12
	;; [unrolled: 1-line block ×6, first 2 shown]
	v_pk_mov_b32 v[2:3], s[12:13], s[12:13] op_sel:[0,1]
	v_pk_mov_b32 v[8:9], s[18:19], s[18:19] op_sel:[0,1]
	;; [unrolled: 1-line block ×5, first 2 shown]
	v_mov_b32_e32 v18, s12
	s_mov_b64 s[28:29], 0
	v_mov_b32_e32 v51, 0
	v_pk_mov_b32 v[14:15], v[6:7], v[6:7] op_sel:[0,1]
	v_pk_mov_b32 v[12:13], v[4:5], v[4:5] op_sel:[0,1]
	;; [unrolled: 1-line block ×3, first 2 shown]
                                        ; implicit-def: $sgpr34_sgpr35
                                        ; implicit-def: $vgpr53
	s_and_saveexec_b64 s[26:27], vcc
	s_cbranch_execz .LBB1610_120
; %bb.83:
	v_mov_b32_e32 v3, s7
	v_cmp_eq_u32_e32 vcc, v39, v40
	v_cndmask_b32_e32 v3, v3, v48, vcc
	v_cmp_ne_u32_e32 vcc, v39, v40
	v_or_b32_e32 v2, 6, v54
	v_and_b32_e32 v3, 0xffff, v3
	v_cndmask_b32_e64 v4, 0, 1, vcc
	v_lshl_or_b32 v18, v4, 16, v3
	v_cmp_gt_u32_e32 vcc, s76, v2
	v_pk_mov_b32 v[2:3], s[12:13], s[12:13] op_sel:[0,1]
	v_pk_mov_b32 v[8:9], s[18:19], s[18:19] op_sel:[0,1]
	;; [unrolled: 1-line block ×5, first 2 shown]
	s_mov_b64 s[30:31], 0
	v_mov_b32_e32 v51, 0
	v_pk_mov_b32 v[14:15], v[6:7], v[6:7] op_sel:[0,1]
	v_pk_mov_b32 v[12:13], v[4:5], v[4:5] op_sel:[0,1]
	v_pk_mov_b32 v[10:11], v[2:3], v[2:3] op_sel:[0,1]
                                        ; implicit-def: $sgpr12_sgpr13
                                        ; implicit-def: $vgpr53
	s_and_saveexec_b64 s[28:29], vcc
	s_cbranch_execz .LBB1610_119
; %bb.84:
	v_lshrrev_b32_e32 v2, 16, v48
	v_mov_b32_e32 v4, s7
	v_cmp_eq_u32_e32 vcc, v40, v41
	v_cndmask_b32_e32 v2, v4, v2, vcc
	v_cmp_ne_u32_e32 vcc, v40, v41
	s_mov_b32 s12, 0
	v_or_b32_e32 v3, 7, v54
	v_and_b32_e32 v2, 0xffff, v2
	v_cndmask_b32_e64 v4, 0, 1, vcc
	s_mov_b32 s13, s12
	v_lshl_or_b32 v51, v4, 16, v2
	v_cmp_gt_u32_e32 vcc, s76, v3
	s_mov_b32 s14, s12
	s_mov_b32 s15, s12
	;; [unrolled: 1-line block ×6, first 2 shown]
	v_pk_mov_b32 v[2:3], s[12:13], s[12:13] op_sel:[0,1]
	v_pk_mov_b32 v[8:9], s[18:19], s[18:19] op_sel:[0,1]
	;; [unrolled: 1-line block ×5, first 2 shown]
	s_mov_b64 s[34:35], 0
	v_pk_mov_b32 v[14:15], v[6:7], v[6:7] op_sel:[0,1]
	v_pk_mov_b32 v[12:13], v[4:5], v[4:5] op_sel:[0,1]
	;; [unrolled: 1-line block ×3, first 2 shown]
                                        ; implicit-def: $sgpr38_sgpr39
                                        ; implicit-def: $vgpr53
	s_and_saveexec_b64 s[30:31], vcc
	s_cbranch_execz .LBB1610_118
; %bb.85:
	v_mov_b32_e32 v3, s7
	v_cmp_eq_u32_e32 vcc, v41, v34
	v_add_u32_e32 v2, 8, v54
	v_cndmask_b32_e32 v3, v3, v49, vcc
	v_cmp_ne_u32_e32 vcc, v41, v34
	v_and_b32_e32 v3, 0xffff, v3
	v_cndmask_b32_e64 v4, 0, 1, vcc
	v_cmp_gt_u32_e32 vcc, s76, v2
	v_mov_b32_e32 v2, 0
	v_pk_mov_b32 v[10:11], s[12:13], s[12:13] op_sel:[0,1]
	v_lshl_or_b32 v9, v4, 16, v3
	v_mov_b32_e32 v3, v2
	v_mov_b32_e32 v4, v2
	v_mov_b32_e32 v5, v2
	v_mov_b32_e32 v6, v2
	v_mov_b32_e32 v7, v2
	v_mov_b32_e32 v8, v2
	s_mov_b64 s[36:37], 0
	v_pk_mov_b32 v[12:13], s[14:15], s[14:15] op_sel:[0,1]
	v_pk_mov_b32 v[14:15], s[16:17], s[16:17] op_sel:[0,1]
	v_pk_mov_b32 v[16:17], s[18:19], s[18:19] op_sel:[0,1]
                                        ; implicit-def: $sgpr12_sgpr13
                                        ; implicit-def: $vgpr53
	s_and_saveexec_b64 s[34:35], vcc
	s_cbranch_execz .LBB1610_117
; %bb.86:
	v_lshrrev_b32_e32 v3, 16, v49
	v_mov_b32_e32 v5, s7
	v_cmp_eq_u32_e32 vcc, v34, v35
	s_mov_b32 s12, 0
	v_cndmask_b32_e32 v3, v5, v3, vcc
	v_cmp_ne_u32_e32 vcc, v34, v35
	s_mov_b32 s13, s12
	v_add_u32_e32 v4, 9, v54
	v_and_b32_e32 v3, 0xffff, v3
	v_cndmask_b32_e64 v5, 0, 1, vcc
	s_mov_b32 s14, s12
	s_mov_b32 s15, s12
	;; [unrolled: 1-line block ×6, first 2 shown]
	v_pk_mov_b32 v[10:11], s[12:13], s[12:13] op_sel:[0,1]
	v_lshl_or_b32 v8, v5, 16, v3
	v_cmp_gt_u32_e32 vcc, s76, v4
	v_mov_b32_e32 v3, v2
	v_mov_b32_e32 v4, v2
	;; [unrolled: 1-line block ×5, first 2 shown]
	s_mov_b64 s[38:39], 0
	v_pk_mov_b32 v[12:13], s[14:15], s[14:15] op_sel:[0,1]
	v_pk_mov_b32 v[14:15], s[16:17], s[16:17] op_sel:[0,1]
	;; [unrolled: 1-line block ×3, first 2 shown]
                                        ; implicit-def: $sgpr42_sgpr43
                                        ; implicit-def: $vgpr53
	s_and_saveexec_b64 s[36:37], vcc
	s_cbranch_execz .LBB1610_116
; %bb.87:
	ds_read_b128 v[38:41], v42 offset:18
	v_mov_b32_e32 v3, s7
	v_cmp_eq_u32_e32 vcc, v35, v36
	v_add_u32_e32 v2, 10, v54
	v_pk_mov_b32 v[10:11], s[12:13], s[12:13] op_sel:[0,1]
	s_waitcnt lgkmcnt(0)
	v_cndmask_b32_e32 v3, v3, v38, vcc
	v_cmp_ne_u32_e32 vcc, v35, v36
	v_and_b32_e32 v3, 0xffff, v3
	v_cndmask_b32_e64 v4, 0, 1, vcc
	v_cmp_gt_u32_e32 vcc, s76, v2
	v_mov_b32_e32 v2, 0
	v_lshl_or_b32 v7, v4, 16, v3
	v_mov_b32_e32 v3, v2
	v_mov_b32_e32 v4, v2
	;; [unrolled: 1-line block ×4, first 2 shown]
	s_mov_b64 s[40:41], 0
	v_pk_mov_b32 v[12:13], s[14:15], s[14:15] op_sel:[0,1]
	v_pk_mov_b32 v[14:15], s[16:17], s[16:17] op_sel:[0,1]
	;; [unrolled: 1-line block ×3, first 2 shown]
                                        ; implicit-def: $sgpr12_sgpr13
                                        ; implicit-def: $vgpr53
	s_and_saveexec_b64 s[38:39], vcc
	s_cbranch_execz .LBB1610_115
; %bb.88:
	v_lshrrev_b32_e32 v3, 16, v38
	v_mov_b32_e32 v5, s7
	v_cmp_eq_u32_e32 vcc, v36, v37
	s_mov_b32 s12, 0
	v_cndmask_b32_e32 v3, v5, v3, vcc
	v_cmp_ne_u32_e32 vcc, v36, v37
	s_mov_b32 s13, s12
	v_add_u32_e32 v4, 11, v54
	v_and_b32_e32 v3, 0xffff, v3
	v_cndmask_b32_e64 v5, 0, 1, vcc
	s_mov_b32 s14, s12
	s_mov_b32 s15, s12
	;; [unrolled: 1-line block ×6, first 2 shown]
	v_pk_mov_b32 v[10:11], s[12:13], s[12:13] op_sel:[0,1]
	v_lshl_or_b32 v6, v5, 16, v3
	v_cmp_gt_u32_e32 vcc, s76, v4
	v_mov_b32_e32 v3, v2
	v_mov_b32_e32 v4, v2
	;; [unrolled: 1-line block ×3, first 2 shown]
	s_mov_b64 s[42:43], 0
	v_pk_mov_b32 v[12:13], s[14:15], s[14:15] op_sel:[0,1]
	v_pk_mov_b32 v[14:15], s[16:17], s[16:17] op_sel:[0,1]
	;; [unrolled: 1-line block ×3, first 2 shown]
                                        ; implicit-def: $sgpr46_sgpr47
                                        ; implicit-def: $vgpr53
	s_and_saveexec_b64 s[40:41], vcc
	s_cbranch_execz .LBB1610_114
; %bb.89:
	v_mov_b32_e32 v3, s7
	v_cmp_eq_u32_e32 vcc, v37, v30
	v_add_u32_e32 v2, 12, v54
	v_cndmask_b32_e32 v3, v3, v39, vcc
	v_cmp_ne_u32_e32 vcc, v37, v30
	v_and_b32_e32 v3, 0xffff, v3
	v_cndmask_b32_e64 v4, 0, 1, vcc
	v_cmp_gt_u32_e32 vcc, s76, v2
	v_mov_b32_e32 v2, 0
	v_pk_mov_b32 v[10:11], s[12:13], s[12:13] op_sel:[0,1]
	v_lshl_or_b32 v5, v4, 16, v3
	v_mov_b32_e32 v3, v2
	v_mov_b32_e32 v4, v2
	s_mov_b64 s[44:45], 0
	v_pk_mov_b32 v[12:13], s[14:15], s[14:15] op_sel:[0,1]
	v_pk_mov_b32 v[14:15], s[16:17], s[16:17] op_sel:[0,1]
	;; [unrolled: 1-line block ×3, first 2 shown]
                                        ; implicit-def: $sgpr12_sgpr13
                                        ; implicit-def: $vgpr53
	s_and_saveexec_b64 s[42:43], vcc
	s_cbranch_execz .LBB1610_113
; %bb.90:
	v_lshrrev_b32_e32 v3, 16, v39
	v_mov_b32_e32 v4, s7
	v_cmp_eq_u32_e32 vcc, v30, v31
	s_mov_b32 s12, 0
	v_add_u32_e32 v10, 13, v54
	v_cndmask_b32_e32 v3, v4, v3, vcc
	v_cmp_ne_u32_e32 vcc, v30, v31
	s_mov_b32 s13, s12
	v_and_b32_e32 v3, 0xffff, v3
	v_cndmask_b32_e64 v4, 0, 1, vcc
	v_cmp_gt_u32_e32 vcc, s76, v10
	s_mov_b32 s14, s12
	s_mov_b32 s15, s12
	s_mov_b32 s16, s12
	s_mov_b32 s17, s12
	s_mov_b32 s18, s12
	s_mov_b32 s19, s12
	v_pk_mov_b32 v[10:11], s[12:13], s[12:13] op_sel:[0,1]
	v_lshl_or_b32 v4, v4, 16, v3
	v_mov_b32_e32 v3, v2
	s_mov_b64 s[46:47], 0
	v_pk_mov_b32 v[12:13], s[14:15], s[14:15] op_sel:[0,1]
	v_pk_mov_b32 v[14:15], s[16:17], s[16:17] op_sel:[0,1]
	;; [unrolled: 1-line block ×3, first 2 shown]
                                        ; implicit-def: $sgpr48_sgpr49
                                        ; implicit-def: $vgpr53
	s_and_saveexec_b64 s[44:45], vcc
	s_cbranch_execz .LBB1610_112
; %bb.91:
	v_mov_b32_e32 v3, s7
	v_cmp_eq_u32_e32 vcc, v31, v32
	v_cndmask_b32_e32 v3, v3, v40, vcc
	v_cmp_ne_u32_e32 vcc, v31, v32
	v_and_b32_e32 v3, 0xffff, v3
	v_cndmask_b32_e64 v10, 0, 1, vcc
	v_add_u32_e32 v2, 14, v54
	v_lshl_or_b32 v3, v10, 16, v3
	v_pk_mov_b32 v[10:11], s[12:13], s[12:13] op_sel:[0,1]
	v_cmp_gt_u32_e32 vcc, s76, v2
	v_mov_b32_e32 v2, s12
	v_pk_mov_b32 v[12:13], s[14:15], s[14:15] op_sel:[0,1]
	v_pk_mov_b32 v[14:15], s[16:17], s[16:17] op_sel:[0,1]
	;; [unrolled: 1-line block ×3, first 2 shown]
                                        ; implicit-def: $sgpr14_sgpr15
                                        ; implicit-def: $vgpr53
	s_and_saveexec_b64 s[12:13], vcc
	s_cbranch_execz .LBB1610_111
; %bb.92:
	v_lshrrev_b32_e32 v2, 16, v40
	v_mov_b32_e32 v11, s7
	v_cmp_eq_u32_e32 vcc, v32, v33
	v_cndmask_b32_e32 v2, v11, v2, vcc
	v_cmp_ne_u32_e32 vcc, v32, v33
	s_mov_b32 s80, 0
	v_add_u32_e32 v10, 15, v54
	v_and_b32_e32 v2, 0xffff, v2
	v_cndmask_b32_e64 v11, 0, 1, vcc
	s_mov_b32 s81, s80
	v_lshl_or_b32 v2, v11, 16, v2
	v_cmp_gt_u32_e32 vcc, s76, v10
	s_mov_b32 s82, s80
	s_mov_b32 s83, s80
	;; [unrolled: 1-line block ×6, first 2 shown]
	v_pk_mov_b32 v[10:11], s[80:81], s[80:81] op_sel:[0,1]
	s_mov_b64 s[16:17], 0
	v_pk_mov_b32 v[12:13], s[82:83], s[82:83] op_sel:[0,1]
	v_pk_mov_b32 v[14:15], s[84:85], s[84:85] op_sel:[0,1]
	;; [unrolled: 1-line block ×3, first 2 shown]
                                        ; implicit-def: $sgpr46_sgpr47
                                        ; implicit-def: $vgpr53
	s_and_saveexec_b64 s[14:15], vcc
	s_cbranch_execz .LBB1610_110
; %bb.93:
	v_mov_b32_e32 v10, s7
	v_cmp_eq_u32_e32 vcc, v33, v26
	v_cndmask_b32_e32 v10, v10, v41, vcc
	v_cmp_ne_u32_e32 vcc, v33, v26
	v_and_b32_e32 v10, 0xffff, v10
	v_cndmask_b32_e64 v12, 0, 1, vcc
	v_add_u32_e32 v11, 16, v54
	v_lshl_or_b32 v10, v12, 16, v10
	v_mov_b32_e32 v12, 0
	v_cmp_gt_u32_e32 vcc, s76, v11
	v_mov_b32_e32 v11, v12
	v_mov_b32_e32 v13, v12
	;; [unrolled: 1-line block ×6, first 2 shown]
	s_mov_b64 s[18:19], 0
                                        ; implicit-def: $sgpr48_sgpr49
                                        ; implicit-def: $vgpr53
	s_and_saveexec_b64 s[16:17], vcc
	s_cbranch_execz .LBB1610_109
; %bb.94:
	v_lshrrev_b32_e32 v11, 16, v41
	v_mov_b32_e32 v14, s7
	v_cmp_eq_u32_e32 vcc, v26, v27
	v_cndmask_b32_e32 v11, v14, v11, vcc
	v_cmp_ne_u32_e32 vcc, v26, v27
	v_add_u32_e32 v13, 17, v54
	v_and_b32_e32 v11, 0xffff, v11
	v_cndmask_b32_e64 v14, 0, 1, vcc
	v_lshl_or_b32 v11, v14, 16, v11
	v_cmp_gt_u32_e32 vcc, s76, v13
	v_mov_b32_e32 v13, v12
	v_mov_b32_e32 v14, v12
	;; [unrolled: 1-line block ×5, first 2 shown]
	s_mov_b64 s[46:47], 0
                                        ; implicit-def: $sgpr50_sgpr51
                                        ; implicit-def: $vgpr53
	s_and_saveexec_b64 s[18:19], vcc
	s_cbranch_execz .LBB1610_108
; %bb.95:
	ds_read_b96 v[30:32], v42 offset:34
	v_mov_b32_e32 v12, s7
	v_cmp_eq_u32_e32 vcc, v27, v28
	v_add_u32_e32 v13, 18, v54
	s_mov_b64 s[48:49], 0
	s_waitcnt lgkmcnt(0)
	v_cndmask_b32_e32 v12, v12, v30, vcc
	v_cmp_ne_u32_e32 vcc, v27, v28
	v_and_b32_e32 v12, 0xffff, v12
	v_cndmask_b32_e64 v14, 0, 1, vcc
	v_lshl_or_b32 v12, v14, 16, v12
	v_mov_b32_e32 v14, 0
	v_cmp_gt_u32_e32 vcc, s76, v13
	v_mov_b32_e32 v13, v14
	v_mov_b32_e32 v15, v14
	;; [unrolled: 1-line block ×4, first 2 shown]
                                        ; implicit-def: $sgpr52_sgpr53
                                        ; implicit-def: $vgpr53
	s_and_saveexec_b64 s[46:47], vcc
	s_cbranch_execz .LBB1610_107
; %bb.96:
	v_lshrrev_b32_e32 v13, 16, v30
	v_mov_b32_e32 v16, s7
	v_cmp_eq_u32_e32 vcc, v28, v29
	v_cndmask_b32_e32 v13, v16, v13, vcc
	v_cmp_ne_u32_e32 vcc, v28, v29
	v_add_u32_e32 v15, 19, v54
	v_and_b32_e32 v13, 0xffff, v13
	v_cndmask_b32_e64 v16, 0, 1, vcc
	v_lshl_or_b32 v13, v16, 16, v13
	v_cmp_gt_u32_e32 vcc, s76, v15
	v_mov_b32_e32 v15, v14
	v_mov_b32_e32 v16, v14
	;; [unrolled: 1-line block ×3, first 2 shown]
	s_mov_b64 s[50:51], 0
                                        ; implicit-def: $sgpr60_sgpr61
                                        ; implicit-def: $vgpr53
	s_and_saveexec_b64 s[48:49], vcc
	s_cbranch_execz .LBB1610_106
; %bb.97:
	v_mov_b32_e32 v14, s7
	v_cmp_eq_u32_e32 vcc, v29, v22
	v_cndmask_b32_e32 v14, v14, v31, vcc
	v_cmp_ne_u32_e32 vcc, v29, v22
	v_and_b32_e32 v14, 0xffff, v14
	v_cndmask_b32_e64 v16, 0, 1, vcc
	v_add_u32_e32 v15, 20, v54
	v_lshl_or_b32 v14, v16, 16, v14
	v_mov_b32_e32 v16, 0
	v_cmp_gt_u32_e32 vcc, s76, v15
	v_mov_b32_e32 v15, v16
	v_mov_b32_e32 v17, v16
	s_mov_b64 s[52:53], 0
                                        ; implicit-def: $sgpr72_sgpr73
                                        ; implicit-def: $vgpr53
	s_and_saveexec_b64 s[50:51], vcc
	s_cbranch_execz .LBB1610_105
; %bb.98:
	v_lshrrev_b32_e32 v15, 16, v31
	v_mov_b32_e32 v26, s7
	v_cmp_eq_u32_e32 vcc, v22, v23
	v_cndmask_b32_e32 v15, v26, v15, vcc
	v_cmp_ne_u32_e32 vcc, v22, v23
	v_add_u32_e32 v17, 21, v54
	v_and_b32_e32 v15, 0xffff, v15
	v_cndmask_b32_e64 v22, 0, 1, vcc
	v_lshl_or_b32 v15, v22, 16, v15
	v_cmp_gt_u32_e32 vcc, s76, v17
	s_mov_b32 s9, 0
	v_mov_b32_e32 v17, v16
	s_mov_b64 s[60:61], 0
                                        ; implicit-def: $sgpr74_sgpr75
                                        ; implicit-def: $vgpr53
	s_and_saveexec_b64 s[52:53], vcc
	s_cbranch_execz .LBB1610_104
; %bb.99:
	v_mov_b32_e32 v16, s7
	v_cmp_eq_u32_e32 vcc, v23, v24
	v_cndmask_b32_e32 v16, v16, v32, vcc
	v_cmp_ne_u32_e32 vcc, v23, v24
	v_add_u32_e32 v17, 22, v54
	v_and_b32_e32 v16, 0xffff, v16
	v_cndmask_b32_e64 v22, 0, 1, vcc
	v_lshl_or_b32 v16, v22, 16, v16
	v_cmp_gt_u32_e32 vcc, s76, v17
	v_mov_b32_e32 v17, s9
	s_mov_b64 s[72:73], 0
                                        ; implicit-def: $sgpr74_sgpr75
                                        ; implicit-def: $vgpr53
	s_and_saveexec_b64 s[60:61], vcc
	s_cbranch_execz .LBB1610_103
; %bb.100:
	v_lshrrev_b32_e32 v17, 16, v32
	v_mov_b32_e32 v23, s7
	v_cmp_eq_u32_e32 vcc, v24, v25
	v_cndmask_b32_e32 v17, v23, v17, vcc
	v_cmp_ne_u32_e32 vcc, v24, v25
	v_add_u32_e32 v22, 23, v54
	v_and_b32_e32 v17, 0xffff, v17
	v_cndmask_b32_e64 v23, 0, 1, vcc
	v_lshl_or_b32 v17, v23, 16, v17
	v_cmp_gt_u32_e32 vcc, s76, v22
                                        ; implicit-def: $sgpr74_sgpr75
                                        ; implicit-def: $vgpr53
	s_and_saveexec_b64 s[76:77], vcc
	s_xor_b64 s[76:77], exec, s[76:77]
	s_cbranch_execz .LBB1610_102
; %bb.101:
	ds_read_u16 v22, v42 offset:46
	v_mov_b32_e32 v23, s7
	v_cmp_ne_u32_e32 vcc, v25, v52
	s_mov_b64 s[72:73], exec
	s_and_b64 s[74:75], vcc, exec
	s_waitcnt lgkmcnt(0)
	v_cndmask_b32_e32 v53, v22, v23, vcc
.LBB1610_102:
	s_or_b64 exec, exec, s[76:77]
	s_and_b64 s[74:75], s[74:75], exec
	s_and_b64 s[72:73], s[72:73], exec
.LBB1610_103:
	s_or_b64 exec, exec, s[60:61]
	s_and_b64 s[74:75], s[74:75], exec
	s_and_b64 s[60:61], s[72:73], exec
.LBB1610_104:
	s_or_b64 exec, exec, s[52:53]
	s_and_b64 s[72:73], s[74:75], exec
	s_and_b64 s[52:53], s[60:61], exec
.LBB1610_105:
	s_or_b64 exec, exec, s[50:51]
	s_and_b64 s[60:61], s[72:73], exec
	s_and_b64 s[50:51], s[52:53], exec
.LBB1610_106:
	s_or_b64 exec, exec, s[48:49]
	s_and_b64 s[52:53], s[60:61], exec
	s_and_b64 s[48:49], s[50:51], exec
.LBB1610_107:
	s_or_b64 exec, exec, s[46:47]
	s_and_b64 s[50:51], s[52:53], exec
	s_and_b64 s[46:47], s[48:49], exec
.LBB1610_108:
	s_or_b64 exec, exec, s[18:19]
	s_and_b64 s[48:49], s[50:51], exec
	s_and_b64 s[18:19], s[46:47], exec
.LBB1610_109:
	s_or_b64 exec, exec, s[16:17]
	s_and_b64 s[46:47], s[48:49], exec
	s_and_b64 s[16:17], s[18:19], exec
.LBB1610_110:
	s_or_b64 exec, exec, s[14:15]
	s_and_b64 s[14:15], s[46:47], exec
	s_and_b64 s[46:47], s[16:17], exec
.LBB1610_111:
	s_or_b64 exec, exec, s[12:13]
	s_and_b64 s[48:49], s[14:15], exec
	s_and_b64 s[46:47], s[46:47], exec
.LBB1610_112:
	s_or_b64 exec, exec, s[44:45]
	s_and_b64 s[12:13], s[48:49], exec
	s_and_b64 s[44:45], s[46:47], exec
.LBB1610_113:
	s_or_b64 exec, exec, s[42:43]
	s_and_b64 s[46:47], s[12:13], exec
	s_and_b64 s[42:43], s[44:45], exec
.LBB1610_114:
	s_or_b64 exec, exec, s[40:41]
	s_and_b64 s[12:13], s[46:47], exec
	s_and_b64 s[40:41], s[42:43], exec
.LBB1610_115:
	s_or_b64 exec, exec, s[38:39]
	s_and_b64 s[42:43], s[12:13], exec
	s_and_b64 s[38:39], s[40:41], exec
.LBB1610_116:
	s_or_b64 exec, exec, s[36:37]
	s_and_b64 s[12:13], s[42:43], exec
	s_and_b64 s[36:37], s[38:39], exec
.LBB1610_117:
	s_or_b64 exec, exec, s[34:35]
	s_and_b64 s[38:39], s[12:13], exec
	s_and_b64 s[34:35], s[36:37], exec
.LBB1610_118:
	s_or_b64 exec, exec, s[30:31]
	s_and_b64 s[12:13], s[38:39], exec
	s_and_b64 s[30:31], s[34:35], exec
.LBB1610_119:
	s_or_b64 exec, exec, s[28:29]
	s_and_b64 s[34:35], s[12:13], exec
	s_and_b64 s[28:29], s[30:31], exec
.LBB1610_120:
	s_or_b64 exec, exec, s[26:27]
	s_and_b64 s[12:13], s[34:35], exec
	s_and_b64 s[26:27], s[28:29], exec
.LBB1610_121:
	s_or_b64 exec, exec, s[24:25]
	s_and_b64 s[28:29], s[12:13], exec
	s_and_b64 s[24:25], s[26:27], exec
.LBB1610_122:
	s_or_b64 exec, exec, s[22:23]
	s_and_b64 s[12:13], s[28:29], exec
	s_and_b64 s[24:25], s[24:25], exec
.LBB1610_123:
	s_or_b64 exec, exec, s[20:21]
	s_and_b64 s[26:27], s[12:13], exec
	s_and_b64 s[24:25], s[24:25], exec
.LBB1610_124:
	s_or_b64 exec, exec, s[10:11]
	s_and_b64 s[10:11], s[26:27], exec
	s_and_b64 s[12:13], s[24:25], exec
.LBB1610_125:
	s_or_b64 exec, exec, s[4:5]
	s_and_b64 vcc, exec, s[2:3]
	s_cbranch_vccnz .LBB1610_127
	s_branch .LBB1610_132
.LBB1610_126:
	s_mov_b64 s[12:13], 0
                                        ; implicit-def: $sgpr10_sgpr11
                                        ; implicit-def: $vgpr18_vgpr19_vgpr20_vgpr21
                                        ; implicit-def: $vgpr2_vgpr3_vgpr4_vgpr5_vgpr6_vgpr7_vgpr8_vgpr9
                                        ; implicit-def: $vgpr10_vgpr11_vgpr12_vgpr13_vgpr14_vgpr15_vgpr16_vgpr17
                                        ; implicit-def: $vgpr53
                                        ; implicit-def: $vgpr1
                                        ; implicit-def: $vgpr50
                                        ; implicit-def: $vgpr51
                                        ; implicit-def: $sgpr8
	s_and_b64 vcc, exec, s[2:3]
	s_cbranch_vccz .LBB1610_132
.LBB1610_127:
	v_lshlrev_b32_e32 v1, 2, v0
	v_mov_b32_e32 v3, s71
	v_add_co_u32_e32 v2, vcc, s70, v1
	v_addc_co_u32_e32 v3, vcc, 0, v3, vcc
	s_movk_i32 s2, 0x1000
	flat_load_dword v4, v[2:3]
	flat_load_dword v5, v[2:3] offset:256
	flat_load_dword v6, v[2:3] offset:512
	;; [unrolled: 1-line block ×15, first 2 shown]
	v_add_co_u32_e32 v2, vcc, s2, v2
	v_addc_co_u32_e32 v3, vcc, 0, v3, vcc
	flat_load_dword v20, v[2:3]
	flat_load_dword v21, v[2:3] offset:256
	flat_load_dword v22, v[2:3] offset:512
	;; [unrolled: 1-line block ×7, first 2 shown]
	v_mov_b32_e32 v2, s70
	v_mov_b32_e32 v3, s71
	v_add_co_u32_e32 v2, vcc, s2, v2
	v_addc_co_u32_e32 v3, vcc, 0, v3, vcc
	s_movk_i32 s2, 0x5c
	v_cmp_ne_u32_e32 vcc, 63, v0
	s_waitcnt vmcnt(0) lgkmcnt(0)
	ds_write2st64_b32 v1, v4, v5 offset1:1
	ds_write2st64_b32 v1, v6, v7 offset0:2 offset1:3
	ds_write2st64_b32 v1, v8, v9 offset0:4 offset1:5
	;; [unrolled: 1-line block ×11, first 2 shown]
	s_waitcnt lgkmcnt(0)
	; wave barrier
	s_waitcnt lgkmcnt(0)
	flat_load_dword v40, v[2:3] offset:2048
	v_mad_u32_u24 v6, v0, s2, v1
	s_movk_i32 s2, 0xffa4
	ds_read2_b32 v[22:23], v6 offset0:6 offset1:23
	ds_read_b64 v[18:19], v6
	ds_read2_b64 v[2:5], v6 offset0:1 offset1:2
	ds_read2_b32 v[32:33], v6 offset0:13 offset1:14
	ds_read2_b32 v[34:35], v6 offset0:11 offset1:12
	;; [unrolled: 1-line block ×8, first 2 shown]
	v_mad_i32_i24 v6, v0, s2, v6
	s_waitcnt lgkmcnt(0)
	ds_write_b32 v6, v18 offset:6400
	s_waitcnt lgkmcnt(0)
	; wave barrier
	s_waitcnt lgkmcnt(0)
	s_and_saveexec_b64 s[2:3], vcc
	s_cbranch_execz .LBB1610_129
; %bb.128:
	s_waitcnt vmcnt(0)
	ds_read_b32 v40, v1 offset:6404
.LBB1610_129:
	s_or_b64 exec, exec, s[2:3]
	v_lshlrev_b32_e32 v1, 1, v0
	v_mov_b32_e32 v7, s78
	v_add_co_u32_e32 v8, vcc, s59, v1
	v_addc_co_u32_e32 v9, vcc, 0, v7, vcc
	s_waitcnt lgkmcnt(0)
	; wave barrier
	s_waitcnt lgkmcnt(0)
	flat_load_ushort v7, v[8:9]
	flat_load_ushort v10, v[8:9] offset:128
	flat_load_ushort v11, v[8:9] offset:256
	;; [unrolled: 1-line block ×23, first 2 shown]
	v_sub_u32_e32 v1, v6, v1
	v_mad_u32_u24 v54, v0, 46, v1
	v_cmp_eq_u32_e32 vcc, v18, v19
	v_mov_b32_e32 v18, s7
	s_waitcnt vmcnt(0) lgkmcnt(0)
	ds_write_b16 v1, v7
	ds_write_b16 v1, v10 offset:128
	ds_write_b16 v1, v11 offset:256
	ds_write_b16 v1, v12 offset:384
	ds_write_b16 v1, v13 offset:512
	ds_write_b16 v1, v14 offset:640
	ds_write_b16 v1, v15 offset:768
	ds_write_b16 v1, v16 offset:896
	ds_write_b16 v1, v17 offset:1024
	ds_write_b16 v1, v20 offset:1152
	ds_write_b16 v1, v21 offset:1280
	ds_write_b16 v1, v41 offset:1408
	ds_write_b16 v1, v42 offset:1536
	ds_write_b16 v1, v43 offset:1664
	ds_write_b16 v1, v44 offset:1792
	ds_write_b16 v1, v45 offset:1920
	ds_write_b16 v1, v46 offset:2048
	ds_write_b16 v1, v47 offset:2176
	ds_write_b16 v1, v48 offset:2304
	ds_write_b16 v1, v49 offset:2432
	ds_write_b16 v1, v50 offset:2560
	ds_write_b16 v1, v51 offset:2688
	ds_write_b16 v1, v52 offset:2816
	ds_write_b16 v1, v53 offset:2944
	s_waitcnt lgkmcnt(0)
	; wave barrier
	s_waitcnt lgkmcnt(0)
	ds_read_b96 v[14:16], v54 offset:2
	ds_read_b128 v[6:9], v54 offset:14
	ds_read_b128 v[10:13], v54 offset:30
	ds_read_u16 v41, v54 offset:46
	v_mov_b32_e32 v17, 0x10000
	s_and_saveexec_b64 s[2:3], vcc
	s_cbranch_execz .LBB1610_131
; %bb.130:
	v_mul_u32_u24_e32 v17, 46, v0
	v_add_u32_e32 v1, v1, v17
	ds_read_u16 v18, v1
	v_mov_b32_e32 v17, 0
.LBB1610_131:
	s_or_b64 exec, exec, s[2:3]
	v_mov_b32_e32 v47, s7
	v_cmp_eq_u32_e32 vcc, v19, v2
	s_waitcnt lgkmcnt(3)
	v_lshrrev_b32_e32 v21, 16, v14
	v_cndmask_b32_e32 v14, v47, v14, vcc
	v_cmp_ne_u32_e32 vcc, v19, v2
	s_waitcnt lgkmcnt(0)
	v_or_b32_sdwa v1, v17, v18 dst_sel:DWORD dst_unused:UNUSED_PAD src0_sel:DWORD src1_sel:WORD_0
	v_and_b32_e32 v14, 0xffff, v14
	v_cndmask_b32_e64 v17, 0, 1, vcc
	v_cmp_eq_u32_e32 vcc, v2, v3
	v_lshrrev_b32_e32 v20, 16, v15
	v_lshl_or_b32 v50, v17, 16, v14
	v_cndmask_b32_e32 v14, v47, v21, vcc
	v_cmp_eq_u32_e32 vcc, v4, v5
	v_cndmask_b32_e32 v17, v47, v20, vcc
	v_cmp_eq_u32_e32 vcc, v3, v4
	v_cndmask_b32_e32 v15, v47, v15, vcc
	v_cmp_eq_u32_e32 vcc, v5, v22
	v_lshrrev_b32_e32 v42, 16, v16
	v_cndmask_b32_e32 v16, v47, v16, vcc
	v_cmp_ne_u32_e32 vcc, v3, v4
	v_and_b32_e32 v15, 0xffff, v15
	v_cndmask_b32_e64 v18, 0, 1, vcc
	v_cmp_ne_u32_e32 vcc, v5, v22
	v_lshl_or_b32 v20, v18, 16, v15
	v_cndmask_b32_e64 v15, 0, 1, vcc
	v_cmp_ne_u32_e32 vcc, v2, v3
	v_and_b32_e32 v14, 0xffff, v14
	v_cndmask_b32_e64 v2, 0, 1, vcc
	v_cmp_ne_u32_e32 vcc, v4, v5
	v_and_b32_e32 v17, 0xffff, v17
	v_lshl_or_b32 v21, v2, 16, v14
	v_cndmask_b32_e64 v2, 0, 1, vcc
	v_cmp_eq_u32_e32 vcc, v22, v38
	v_lshl_or_b32 v19, v2, 16, v17
	v_cndmask_b32_e32 v2, v47, v42, vcc
	v_cmp_ne_u32_e32 vcc, v22, v38
	v_lshrrev_b32_e32 v46, 16, v6
	v_and_b32_e32 v2, 0xffff, v2
	v_cndmask_b32_e64 v3, 0, 1, vcc
	v_cmp_eq_u32_e32 vcc, v39, v36
	v_lshrrev_b32_e32 v45, 16, v7
	v_lshl_or_b32 v51, v3, 16, v2
	v_cndmask_b32_e32 v2, v47, v46, vcc
	v_cmp_eq_u32_e32 vcc, v37, v34
	v_lshrrev_b32_e32 v44, 16, v8
	v_cndmask_b32_e32 v3, v47, v45, vcc
	v_cmp_eq_u32_e32 vcc, v35, v32
	v_lshrrev_b32_e32 v43, 16, v9
	v_cndmask_b32_e32 v4, v47, v44, vcc
	v_cmp_eq_u32_e32 vcc, v33, v26
	v_cndmask_b32_e32 v5, v47, v43, vcc
	v_cmp_eq_u32_e32 vcc, v38, v39
	;; [unrolled: 2-line block ×5, first 2 shown]
	v_cndmask_b32_e32 v9, v47, v9, vcc
	v_cmp_ne_u32_e32 vcc, v38, v39
	v_and_b32_e32 v16, 0xffff, v16
	v_and_b32_e32 v14, 0xffff, v5
	;; [unrolled: 1-line block ×4, first 2 shown]
	v_cndmask_b32_e64 v8, 0, 1, vcc
	v_cmp_ne_u32_e32 vcc, v36, v37
	v_lshl_or_b32 v18, v15, 16, v16
	v_and_b32_e32 v15, 0xffff, v3
	v_and_b32_e32 v3, 0xffff, v9
	v_and_b32_e32 v7, 0xffff, v7
	v_lshl_or_b32 v9, v8, 16, v6
	v_cndmask_b32_e64 v6, 0, 1, vcc
	v_cmp_ne_u32_e32 vcc, v34, v35
	v_lshl_or_b32 v7, v6, 16, v7
	v_cndmask_b32_e64 v6, 0, 1, vcc
	v_cmp_ne_u32_e32 vcc, v32, v33
	;; [unrolled: 3-line block ×3, first 2 shown]
	v_and_b32_e32 v2, 0xffff, v2
	v_lshl_or_b32 v3, v6, 16, v3
	v_cndmask_b32_e64 v6, 0, 1, vcc
	v_cmp_ne_u32_e32 vcc, v37, v34
	v_lshl_or_b32 v8, v6, 16, v2
	v_cndmask_b32_e64 v2, 0, 1, vcc
	v_cmp_ne_u32_e32 vcc, v35, v32
	v_and_b32_e32 v4, 0xffff, v4
	v_lshl_or_b32 v6, v2, 16, v15
	v_cndmask_b32_e64 v2, 0, 1, vcc
	v_cmp_ne_u32_e32 vcc, v33, v26
	v_lshl_or_b32 v4, v2, 16, v4
	v_cndmask_b32_e64 v2, 0, 1, vcc
	v_lshl_or_b32 v2, v2, 16, v14
	v_lshrrev_b32_e32 v14, 16, v13
	v_cmp_eq_u32_e32 vcc, v31, v23
	v_cndmask_b32_e32 v14, v47, v14, vcc
	v_lshrrev_b32_e32 v15, 16, v12
	v_cmp_eq_u32_e32 vcc, v29, v30
	v_cndmask_b32_e32 v15, v47, v15, vcc
	;; [unrolled: 3-line block ×4, first 2 shown]
	v_cmp_eq_u32_e32 vcc, v30, v31
	v_cndmask_b32_e32 v13, v47, v13, vcc
	v_cmp_eq_u32_e32 vcc, v28, v29
	v_cndmask_b32_e32 v12, v47, v12, vcc
	v_cmp_eq_u32_e32 vcc, v24, v25
	v_cndmask_b32_e32 v11, v47, v11, vcc
	v_cmp_eq_u32_e32 vcc, v26, v27
	v_cndmask_b32_e32 v10, v47, v10, vcc
	v_cmp_ne_u32_e32 vcc, v30, v31
	v_and_b32_e32 v22, 0xffff, v17
	v_and_b32_e32 v17, 0xffff, v14
	;; [unrolled: 1-line block ×3, first 2 shown]
	v_cndmask_b32_e64 v14, 0, 1, vcc
	v_cmp_ne_u32_e32 vcc, v28, v29
	v_and_b32_e32 v32, 0xffff, v16
	v_and_b32_e32 v12, 0xffff, v12
	v_lshl_or_b32 v16, v14, 16, v13
	v_cndmask_b32_e64 v13, 0, 1, vcc
	v_cmp_ne_u32_e32 vcc, v24, v25
	v_and_b32_e32 v11, 0xffff, v11
	v_lshl_or_b32 v14, v13, 16, v12
	v_cndmask_b32_e64 v12, 0, 1, vcc
	v_cmp_ne_u32_e32 vcc, v26, v27
	;; [unrolled: 4-line block ×3, first 2 shown]
	v_lshl_or_b32 v10, v11, 16, v10
	v_cndmask_b32_e64 v11, 0, 1, vcc
	v_cmp_ne_u32_e32 vcc, v29, v30
	v_and_b32_e32 v15, 0xffff, v15
	v_lshl_or_b32 v17, v11, 16, v17
	v_cndmask_b32_e64 v11, 0, 1, vcc
	v_cmp_ne_u32_e32 vcc, v25, v28
	v_lshl_or_b32 v15, v11, 16, v15
	v_cndmask_b32_e64 v11, 0, 1, vcc
	v_cmp_ne_u32_e32 vcc, v27, v24
	v_lshl_or_b32 v13, v11, 16, v32
	v_cndmask_b32_e64 v11, 0, 1, vcc
	v_cmp_ne_u32_e64 s[10:11], v23, v40
	v_lshl_or_b32 v11, v11, 16, v22
	v_cndmask_b32_e64 v53, v41, v47, s[10:11]
	s_mov_b64 s[12:13], -1
                                        ; implicit-def: $sgpr8
.LBB1610_132:
	v_mov_b32_e32 v32, s8
	s_and_saveexec_b64 s[2:3], s[12:13]
; %bb.133:
	v_mov_b32_e32 v22, 0x10000
	v_cndmask_b32_e64 v22, 0, v22, s[10:11]
	v_or_b32_sdwa v32, v22, v53 dst_sel:DWORD dst_unused:UNUSED_PAD src0_sel:DWORD src1_sel:WORD_0
; %bb.134:
	s_or_b64 exec, exec, s[2:3]
	s_cmp_lg_u32 s6, 0
	v_mbcnt_lo_u32_b32 v33, -1, 0
	s_waitcnt lgkmcnt(0)
	; wave barrier
	s_waitcnt lgkmcnt(0)
	s_cbranch_scc0 .LBB1610_215
; %bb.135:
	s_mov_b32 s48, 0x10000
	v_cmp_gt_u32_e64 s[2:3], s48, v50
	v_cndmask_b32_e64 v22, 0, v1, s[2:3]
	v_add_u16_e32 v22, v22, v50
	v_cmp_gt_u32_e64 s[4:5], s48, v21
	v_cndmask_b32_e64 v22, 0, v22, s[4:5]
	v_add_u16_e32 v22, v22, v21
	;; [unrolled: 3-line block ×16, first 2 shown]
	v_cmp_gt_u32_e64 s[36:37], s48, v12
	v_cndmask_b32_e64 v22, 0, v22, s[36:37]
	v_or3_b32 v24, v32, v17, v16
	v_add_u16_e32 v22, v22, v12
	v_cmp_gt_u32_e64 s[38:39], s48, v13
	v_or3_b32 v24, v24, v15, v14
	v_cndmask_b32_e64 v22, 0, v22, s[38:39]
	v_or3_b32 v24, v24, v13, v12
	v_add_u16_e32 v22, v22, v13
	v_cmp_gt_u32_e64 s[40:41], s48, v14
	v_or3_b32 v24, v24, v11, v10
	;; [unrolled: 5-line block ×5, first 2 shown]
	v_cndmask_b32_e64 v22, 0, v22, s[46:47]
	v_or3_b32 v24, v24, v21, v50
	v_add_u16_e32 v22, v22, v17
	v_cmp_gt_u32_e32 vcc, s48, v32
	v_and_b32_e32 v24, 0x10000, v24
	v_and_b32_e32 v23, 0x10000, v1
	v_cndmask_b32_e32 v25, 0, v22, vcc
	v_mov_b32_e32 v26, 0x10000
	v_cmp_ne_u32_e32 vcc, 0, v24
	v_add_u16_e32 v22, v25, v32
	v_cndmask_b32_e32 v24, v23, v26, vcc
	v_add_u16_e32 v26, v25, v32
	v_mbcnt_hi_u32_b32 v25, -1, v33
	v_and_b32_e32 v27, 15, v25
	v_or_b32_e32 v26, v24, v26
	v_lshrrev_b32_e32 v23, 16, v24
	v_cmp_ne_u32_e32 vcc, 0, v27
	v_mov_b32_dpp v28, v26 row_shr:1 row_mask:0xf bank_mask:0xf
	s_and_saveexec_b64 s[48:49], vcc
	s_cbranch_execz .LBB1610_137
; %bb.136:
	v_cmp_eq_u32_e32 vcc, 0, v24
	v_and_b32_e32 v23, 0x10000, v24
	v_mov_b32_e32 v24, 1
	v_cndmask_b32_e32 v26, 0, v28, vcc
	v_and_b32_sdwa v24, v28, v24 dst_sel:DWORD dst_unused:UNUSED_PAD src0_sel:WORD_1 src1_sel:DWORD
	v_cmp_ne_u32_e32 vcc, 0, v23
	v_cndmask_b32_e64 v23, v24, 1, vcc
	v_add_u16_e32 v29, v26, v22
	v_lshlrev_b32_e32 v24, 16, v23
	v_add_u16_e32 v22, v26, v22
	v_or_b32_e32 v26, v24, v22
	v_mov_b32_e32 v22, v29
.LBB1610_137:
	s_or_b64 exec, exec, s[48:49]
	v_lshrrev_b32_e32 v24, 16, v26
	v_mov_b32_dpp v28, v26 row_shr:2 row_mask:0xf bank_mask:0xf
	v_cmp_lt_u32_e32 vcc, 1, v27
	s_and_saveexec_b64 s[48:49], vcc
	s_cbranch_execz .LBB1610_139
; %bb.138:
	s_mov_b32 s52, 0x10000
	v_cmp_gt_u32_e32 vcc, s52, v26
	v_and_b32_e32 v23, 0x10000, v26
	v_mov_b32_e32 v26, 1
	v_cndmask_b32_e32 v24, 0, v28, vcc
	v_and_b32_sdwa v26, v28, v26 dst_sel:DWORD dst_unused:UNUSED_PAD src0_sel:WORD_1 src1_sel:DWORD
	v_cmp_ne_u32_e32 vcc, 0, v23
	v_cndmask_b32_e64 v23, v26, 1, vcc
	v_add_u16_e32 v29, v24, v22
	v_lshlrev_b32_e32 v26, 16, v23
	v_add_u16_e32 v22, v24, v22
	v_or_b32_e32 v26, v26, v22
	v_mov_b32_e32 v22, v29
	v_mov_b32_e32 v24, v23
.LBB1610_139:
	s_or_b64 exec, exec, s[48:49]
	v_mov_b32_dpp v28, v26 row_shr:4 row_mask:0xf bank_mask:0xf
	v_cmp_lt_u32_e32 vcc, 3, v27
	s_and_saveexec_b64 s[48:49], vcc
	s_cbranch_execz .LBB1610_141
; %bb.140:
	v_cmp_eq_u16_e32 vcc, 0, v24
	v_and_b32_e32 v23, 1, v24
	v_mov_b32_e32 v24, 1
	v_cndmask_b32_e32 v26, 0, v28, vcc
	v_and_b32_sdwa v24, v28, v24 dst_sel:DWORD dst_unused:UNUSED_PAD src0_sel:WORD_1 src1_sel:DWORD
	v_cmp_eq_u32_e32 vcc, 1, v23
	v_cndmask_b32_e64 v23, v24, 1, vcc
	v_add_u16_e32 v29, v26, v22
	v_lshlrev_b32_e32 v24, 16, v23
	v_add_u16_e32 v22, v26, v22
	v_or_b32_e32 v26, v24, v22
	v_mov_b32_e32 v22, v29
	v_mov_b32_e32 v24, v23
.LBB1610_141:
	s_or_b64 exec, exec, s[48:49]
	v_mov_b32_dpp v28, v26 row_shr:8 row_mask:0xf bank_mask:0xf
	v_cmp_lt_u32_e32 vcc, 7, v27
	s_and_saveexec_b64 s[48:49], vcc
	s_cbranch_execz .LBB1610_143
; %bb.142:
	v_cmp_eq_u16_e32 vcc, 0, v24
	v_and_b32_e32 v23, 1, v24
	v_mov_b32_e32 v24, 1
	v_cndmask_b32_e32 v26, 0, v28, vcc
	v_and_b32_sdwa v24, v28, v24 dst_sel:DWORD dst_unused:UNUSED_PAD src0_sel:WORD_1 src1_sel:DWORD
	v_cmp_eq_u32_e32 vcc, 1, v23
	v_cndmask_b32_e64 v23, v24, 1, vcc
	v_add_u16_e32 v27, v26, v22
	v_lshlrev_b32_e32 v24, 16, v23
	v_add_u16_e32 v22, v26, v22
	v_or_b32_e32 v26, v24, v22
	v_mov_b32_e32 v22, v27
	v_mov_b32_e32 v24, v23
.LBB1610_143:
	s_or_b64 exec, exec, s[48:49]
	v_and_b32_e32 v28, 16, v25
	v_mov_b32_dpp v27, v26 row_bcast:15 row_mask:0xf bank_mask:0xf
	v_cmp_ne_u32_e32 vcc, 0, v28
	s_and_saveexec_b64 s[48:49], vcc
	s_cbranch_execz .LBB1610_145
; %bb.144:
	v_cmp_eq_u16_e32 vcc, 0, v24
	v_and_b32_e32 v23, 1, v24
	v_mov_b32_e32 v24, 1
	v_cndmask_b32_e32 v26, 0, v27, vcc
	v_and_b32_sdwa v24, v27, v24 dst_sel:DWORD dst_unused:UNUSED_PAD src0_sel:WORD_1 src1_sel:DWORD
	v_cmp_eq_u32_e32 vcc, 1, v23
	v_cndmask_b32_e64 v23, v24, 1, vcc
	v_add_u16_e32 v28, v26, v22
	v_lshlrev_b32_e32 v24, 16, v23
	v_add_u16_e32 v22, v26, v22
	v_or_b32_e32 v26, v24, v22
	v_mov_b32_e32 v22, v28
	v_mov_b32_e32 v24, v23
.LBB1610_145:
	s_or_b64 exec, exec, s[48:49]
	v_mov_b32_dpp v26, v26 row_bcast:31 row_mask:0xf bank_mask:0xf
	v_cmp_lt_u32_e32 vcc, 31, v25
	s_and_saveexec_b64 s[48:49], vcc
; %bb.146:
	v_cmp_eq_u16_e32 vcc, 0, v24
	v_cndmask_b32_e32 v23, 0, v26, vcc
	v_add_u16_e32 v22, v23, v22
	v_and_b32_e32 v23, 1, v24
	v_mov_b32_e32 v24, 1
	v_and_b32_sdwa v24, v26, v24 dst_sel:DWORD dst_unused:UNUSED_PAD src0_sel:WORD_1 src1_sel:DWORD
	v_cmp_eq_u32_e32 vcc, 1, v23
	v_cndmask_b32_e64 v23, v24, 1, vcc
	v_mov_b32_e32 v24, v23
; %bb.147:
	s_or_b64 exec, exec, s[48:49]
	v_cmp_eq_u32_e32 vcc, 63, v0
	s_and_saveexec_b64 s[48:49], vcc
	s_cbranch_execz .LBB1610_149
; %bb.148:
	v_mov_b32_e32 v26, 0
	ds_write_b16 v26, v22
	ds_write_b8 v26, v24 offset:2
.LBB1610_149:
	s_or_b64 exec, exec, s[48:49]
	v_lshlrev_b32_e32 v23, 16, v23
	v_or_b32_sdwa v22, v23, v22 dst_sel:DWORD dst_unused:UNUSED_PAD src0_sel:DWORD src1_sel:WORD_0
	v_add_u32_e32 v23, -1, v25
	v_and_b32_e32 v24, 64, v25
	v_cmp_lt_i32_e32 vcc, v23, v24
	v_cndmask_b32_e32 v23, v23, v25, vcc
	v_lshlrev_b32_e32 v23, 2, v23
	ds_bpermute_b32 v34, v23, v22
	v_cmp_gt_u32_e32 vcc, 64, v0
	s_waitcnt lgkmcnt(0)
	; wave barrier
	s_waitcnt lgkmcnt(0)
	s_and_saveexec_b64 s[52:53], vcc
	s_cbranch_execz .LBB1610_192
; %bb.150:
	v_mov_b32_e32 v29, 0
	ds_read_b32 v22, v29
	s_mov_b32 s71, 0
	v_cmp_eq_u32_e64 s[48:49], 0, v25
	s_and_saveexec_b64 s[60:61], s[48:49]
	s_cbranch_execz .LBB1610_152
; %bb.151:
	s_add_i32 s70, s6, 64
	s_lshl_b64 s[70:71], s[70:71], 3
	s_add_u32 s70, s56, s70
	v_mov_b32_e32 v23, 1
	s_addc_u32 s71, s57, s71
	s_waitcnt lgkmcnt(0)
	global_store_dwordx2 v29, v[22:23], s[70:71]
.LBB1610_152:
	s_or_b64 exec, exec, s[60:61]
	v_xad_u32 v24, v25, -1, s6
	v_add_u32_e32 v28, 64, v24
	v_lshlrev_b64 v[26:27], 3, v[28:29]
	v_mov_b32_e32 v23, s57
	v_add_co_u32_e32 v30, vcc, s56, v26
	v_addc_co_u32_e32 v31, vcc, v23, v27, vcc
	global_load_dwordx2 v[26:27], v[30:31], off glc
	s_waitcnt vmcnt(0)
	v_cmp_eq_u16_sdwa s[70:71], v27, v29 src0_sel:BYTE_0 src1_sel:DWORD
	s_and_saveexec_b64 s[60:61], s[70:71]
	s_cbranch_execz .LBB1610_156
; %bb.153:
	s_mov_b64 s[70:71], 0
	v_mov_b32_e32 v23, 0
.LBB1610_154:                           ; =>This Inner Loop Header: Depth=1
	global_load_dwordx2 v[26:27], v[30:31], off glc
	s_waitcnt vmcnt(0)
	v_cmp_ne_u16_sdwa s[72:73], v27, v23 src0_sel:BYTE_0 src1_sel:DWORD
	s_or_b64 s[70:71], s[72:73], s[70:71]
	s_andn2_b64 exec, exec, s[70:71]
	s_cbranch_execnz .LBB1610_154
; %bb.155:
	s_or_b64 exec, exec, s[70:71]
.LBB1610_156:
	s_or_b64 exec, exec, s[60:61]
	v_mov_b32_e32 v23, 2
	v_cmp_eq_u16_sdwa s[60:61], v27, v23 src0_sel:BYTE_0 src1_sel:DWORD
	v_lshlrev_b64 v[28:29], v25, -1
	v_and_b32_e32 v23, s61, v29
	v_or_b32_e32 v23, 0x80000000, v23
	v_ffbl_b32_e32 v23, v23
	v_add_u32_e32 v31, 32, v23
	v_and_b32_e32 v23, 63, v25
	v_cmp_ne_u32_e32 vcc, 63, v23
	v_addc_co_u32_e32 v35, vcc, 0, v25, vcc
	v_and_b32_e32 v46, 0xffffff, v26
	v_lshlrev_b32_e32 v35, 2, v35
	ds_bpermute_b32 v36, v35, v46
	v_and_b32_e32 v30, s60, v28
	v_ffbl_b32_e32 v30, v30
	v_min_u32_e32 v31, v30, v31
	v_lshrrev_b32_e32 v30, 16, v26
	v_cmp_lt_u32_e32 vcc, v23, v31
	v_bfe_u32 v44, v26, 16, 8
	s_and_saveexec_b64 s[60:61], vcc
	s_cbranch_execz .LBB1610_158
; %bb.157:
	v_and_b32_e32 v30, 0xff0000, v26
	v_cmp_eq_u32_e32 vcc, 0, v30
	v_and_b32_e32 v30, 0x10000, v30
	v_mov_b32_e32 v39, 1
	s_waitcnt lgkmcnt(0)
	v_cndmask_b32_e32 v37, 0, v36, vcc
	v_and_b32_sdwa v36, v36, v39 dst_sel:DWORD dst_unused:UNUSED_PAD src0_sel:WORD_1 src1_sel:DWORD
	v_cmp_ne_u32_e32 vcc, 0, v30
	v_cndmask_b32_e64 v30, v36, 1, vcc
	v_add_u16_e32 v38, v37, v26
	v_lshlrev_b32_e32 v36, 16, v30
	v_add_u16_e32 v26, v37, v26
	v_or_b32_e32 v46, v36, v26
	v_mov_b32_e32 v26, v38
	v_mov_b32_e32 v44, v30
.LBB1610_158:
	s_or_b64 exec, exec, s[60:61]
	v_cmp_gt_u32_e32 vcc, 62, v23
	s_waitcnt lgkmcnt(0)
	v_cndmask_b32_e64 v36, 0, 1, vcc
	v_lshlrev_b32_e32 v36, 1, v36
	v_add_lshl_u32 v36, v36, v25, 2
	ds_bpermute_b32 v38, v36, v46
	v_add_u32_e32 v37, 2, v23
	v_cmp_le_u32_e32 vcc, v37, v31
	s_and_saveexec_b64 s[60:61], vcc
	s_cbranch_execz .LBB1610_160
; %bb.159:
	v_cmp_eq_u16_e32 vcc, 0, v44
	v_and_b32_e32 v30, 1, v44
	v_mov_b32_e32 v41, 1
	s_waitcnt lgkmcnt(0)
	v_cndmask_b32_e32 v39, 0, v38, vcc
	v_and_b32_sdwa v38, v38, v41 dst_sel:DWORD dst_unused:UNUSED_PAD src0_sel:WORD_1 src1_sel:DWORD
	v_cmp_eq_u32_e32 vcc, 1, v30
	v_cndmask_b32_e64 v30, v38, 1, vcc
	v_add_u16_e32 v40, v39, v26
	v_lshlrev_b32_e32 v38, 16, v30
	v_add_u16_e32 v26, v39, v26
	v_or_b32_e32 v46, v38, v26
	v_mov_b32_e32 v26, v40
	v_mov_b32_e32 v44, v30
.LBB1610_160:
	s_or_b64 exec, exec, s[60:61]
	v_cmp_gt_u32_e32 vcc, 60, v23
	s_waitcnt lgkmcnt(0)
	v_cndmask_b32_e64 v38, 0, 1, vcc
	v_lshlrev_b32_e32 v38, 2, v38
	v_add_lshl_u32 v38, v38, v25, 2
	ds_bpermute_b32 v40, v38, v46
	v_add_u32_e32 v39, 4, v23
	v_cmp_le_u32_e32 vcc, v39, v31
	s_and_saveexec_b64 s[60:61], vcc
	s_cbranch_execz .LBB1610_162
; %bb.161:
	v_cmp_eq_u16_e32 vcc, 0, v44
	v_and_b32_e32 v30, 1, v44
	v_mov_b32_e32 v43, 1
	s_waitcnt lgkmcnt(0)
	v_cndmask_b32_e32 v41, 0, v40, vcc
	v_and_b32_sdwa v40, v40, v43 dst_sel:DWORD dst_unused:UNUSED_PAD src0_sel:WORD_1 src1_sel:DWORD
	v_cmp_eq_u32_e32 vcc, 1, v30
	v_cndmask_b32_e64 v30, v40, 1, vcc
	v_add_u16_e32 v42, v41, v26
	v_lshlrev_b32_e32 v40, 16, v30
	v_add_u16_e32 v26, v41, v26
	v_or_b32_e32 v46, v40, v26
	v_mov_b32_e32 v26, v42
	v_mov_b32_e32 v44, v30
.LBB1610_162:
	;; [unrolled: 27-line block ×4, first 2 shown]
	s_or_b64 exec, exec, s[60:61]
	v_cmp_gt_u32_e32 vcc, 32, v23
	s_waitcnt lgkmcnt(0)
	v_cndmask_b32_e64 v45, 0, 1, vcc
	v_lshlrev_b32_e32 v45, 5, v45
	v_add_lshl_u32 v45, v45, v25, 2
	ds_bpermute_b32 v25, v45, v46
	v_add_u32_e32 v47, 32, v23
	v_cmp_le_u32_e32 vcc, v47, v31
	s_and_saveexec_b64 s[60:61], vcc
	s_cbranch_execz .LBB1610_168
; %bb.167:
	v_cmp_eq_u16_e32 vcc, 0, v44
	s_waitcnt lgkmcnt(0)
	v_cndmask_b32_e32 v30, 0, v25, vcc
	v_add_u16_e32 v26, v30, v26
	v_and_b32_e32 v30, 1, v44
	v_mov_b32_e32 v31, 1
	v_and_b32_sdwa v25, v25, v31 dst_sel:DWORD dst_unused:UNUSED_PAD src0_sel:WORD_1 src1_sel:DWORD
	v_cmp_eq_u32_e32 vcc, 1, v30
	v_cndmask_b32_e64 v30, v25, 1, vcc
.LBB1610_168:
	s_or_b64 exec, exec, s[60:61]
	s_waitcnt lgkmcnt(0)
	v_mov_b32_e32 v25, 0
	v_mov_b32_e32 v48, 2
	;; [unrolled: 1-line block ×3, first 2 shown]
	s_branch .LBB1610_170
.LBB1610_169:                           ;   in Loop: Header=BB1610_170 Depth=1
	s_or_b64 exec, exec, s[60:61]
	v_cmp_eq_u16_sdwa vcc, v44, v25 src0_sel:BYTE_0 src1_sel:DWORD
	v_and_b32_e32 v30, 1, v44
	v_cndmask_b32_e32 v26, 0, v26, vcc
	v_and_b32_e32 v31, 1, v31
	v_cmp_eq_u32_e32 vcc, 1, v30
	v_subrev_u32_e32 v24, 64, v24
	v_add_u16_e32 v26, v26, v46
	v_cndmask_b32_e64 v30, v31, 1, vcc
.LBB1610_170:                           ; =>This Loop Header: Depth=1
                                        ;     Child Loop BB1610_173 Depth 2
	v_cmp_ne_u16_sdwa s[60:61], v27, v48 src0_sel:BYTE_0 src1_sel:DWORD
	v_cndmask_b32_e64 v27, 0, 1, s[60:61]
	;;#ASMSTART
	;;#ASMEND
	v_cmp_ne_u32_e32 vcc, 0, v27
	v_mov_b32_e32 v44, v30
	s_cmp_lg_u64 vcc, exec
	v_mov_b32_e32 v46, v26
	s_cbranch_scc1 .LBB1610_187
; %bb.171:                              ;   in Loop: Header=BB1610_170 Depth=1
	v_lshlrev_b64 v[26:27], 3, v[24:25]
	v_mov_b32_e32 v31, s57
	v_add_co_u32_e32 v30, vcc, s56, v26
	v_addc_co_u32_e32 v31, vcc, v31, v27, vcc
	global_load_dwordx2 v[26:27], v[30:31], off glc
	s_waitcnt vmcnt(0)
	v_cmp_eq_u16_sdwa s[70:71], v27, v25 src0_sel:BYTE_0 src1_sel:DWORD
	s_and_saveexec_b64 s[60:61], s[70:71]
	s_cbranch_execz .LBB1610_175
; %bb.172:                              ;   in Loop: Header=BB1610_170 Depth=1
	s_mov_b64 s[70:71], 0
.LBB1610_173:                           ;   Parent Loop BB1610_170 Depth=1
                                        ; =>  This Inner Loop Header: Depth=2
	global_load_dwordx2 v[26:27], v[30:31], off glc
	s_waitcnt vmcnt(0)
	v_cmp_ne_u16_sdwa s[72:73], v27, v25 src0_sel:BYTE_0 src1_sel:DWORD
	s_or_b64 s[70:71], s[72:73], s[70:71]
	s_andn2_b64 exec, exec, s[70:71]
	s_cbranch_execnz .LBB1610_173
; %bb.174:                              ;   in Loop: Header=BB1610_170 Depth=1
	s_or_b64 exec, exec, s[70:71]
.LBB1610_175:                           ;   in Loop: Header=BB1610_170 Depth=1
	s_or_b64 exec, exec, s[60:61]
	v_cmp_eq_u16_sdwa s[60:61], v27, v48 src0_sel:BYTE_0 src1_sel:DWORD
	v_and_b32_e32 v30, s61, v29
	s_waitcnt lgkmcnt(0)
	v_and_b32_e32 v53, 0xffffff, v26
	v_or_b32_e32 v30, 0x80000000, v30
	ds_bpermute_b32 v54, v35, v53
	v_and_b32_e32 v31, s60, v28
	v_ffbl_b32_e32 v30, v30
	v_add_u32_e32 v30, 32, v30
	v_ffbl_b32_e32 v31, v31
	v_min_u32_e32 v30, v31, v30
	v_lshrrev_b32_e32 v31, 16, v26
	v_cmp_lt_u32_e32 vcc, v23, v30
	v_bfe_u32 v52, v26, 16, 8
	s_and_saveexec_b64 s[60:61], vcc
	s_cbranch_execz .LBB1610_177
; %bb.176:                              ;   in Loop: Header=BB1610_170 Depth=1
	v_and_b32_e32 v31, 0xff0000, v26
	v_cmp_eq_u32_e32 vcc, 0, v31
	v_and_b32_e32 v31, 0x10000, v31
	s_waitcnt lgkmcnt(0)
	v_cndmask_b32_e32 v52, 0, v54, vcc
	v_and_b32_sdwa v53, v54, v49 dst_sel:DWORD dst_unused:UNUSED_PAD src0_sel:WORD_1 src1_sel:DWORD
	v_cmp_ne_u32_e32 vcc, 0, v31
	v_cndmask_b32_e64 v31, v53, 1, vcc
	v_add_u16_e32 v55, v52, v26
	v_lshlrev_b32_e32 v53, 16, v31
	v_add_u16_e32 v26, v52, v26
	v_or_b32_e32 v53, v53, v26
	v_mov_b32_e32 v26, v55
	v_mov_b32_e32 v52, v31
.LBB1610_177:                           ;   in Loop: Header=BB1610_170 Depth=1
	s_or_b64 exec, exec, s[60:61]
	s_waitcnt lgkmcnt(0)
	ds_bpermute_b32 v54, v36, v53
	v_cmp_le_u32_e32 vcc, v37, v30
	s_and_saveexec_b64 s[60:61], vcc
	s_cbranch_execz .LBB1610_179
; %bb.178:                              ;   in Loop: Header=BB1610_170 Depth=1
	v_cmp_eq_u16_e32 vcc, 0, v52
	v_and_b32_e32 v31, 1, v52
	s_waitcnt lgkmcnt(0)
	v_cndmask_b32_e32 v53, 0, v54, vcc
	v_and_b32_sdwa v52, v54, v49 dst_sel:DWORD dst_unused:UNUSED_PAD src0_sel:WORD_1 src1_sel:DWORD
	v_cmp_eq_u32_e32 vcc, 1, v31
	v_cndmask_b32_e64 v31, v52, 1, vcc
	v_add_u16_e32 v55, v53, v26
	v_lshlrev_b32_e32 v52, 16, v31
	v_add_u16_e32 v26, v53, v26
	v_or_b32_e32 v53, v52, v26
	v_mov_b32_e32 v26, v55
	v_mov_b32_e32 v52, v31
.LBB1610_179:                           ;   in Loop: Header=BB1610_170 Depth=1
	s_or_b64 exec, exec, s[60:61]
	s_waitcnt lgkmcnt(0)
	ds_bpermute_b32 v54, v38, v53
	v_cmp_le_u32_e32 vcc, v39, v30
	s_and_saveexec_b64 s[60:61], vcc
	s_cbranch_execz .LBB1610_181
; %bb.180:                              ;   in Loop: Header=BB1610_170 Depth=1
	v_cmp_eq_u16_e32 vcc, 0, v52
	v_and_b32_e32 v31, 1, v52
	s_waitcnt lgkmcnt(0)
	v_cndmask_b32_e32 v53, 0, v54, vcc
	v_and_b32_sdwa v52, v54, v49 dst_sel:DWORD dst_unused:UNUSED_PAD src0_sel:WORD_1 src1_sel:DWORD
	v_cmp_eq_u32_e32 vcc, 1, v31
	v_cndmask_b32_e64 v31, v52, 1, vcc
	v_add_u16_e32 v55, v53, v26
	v_lshlrev_b32_e32 v52, 16, v31
	v_add_u16_e32 v26, v53, v26
	v_or_b32_e32 v53, v52, v26
	v_mov_b32_e32 v26, v55
	v_mov_b32_e32 v52, v31
.LBB1610_181:                           ;   in Loop: Header=BB1610_170 Depth=1
	;; [unrolled: 21-line block ×4, first 2 shown]
	s_or_b64 exec, exec, s[60:61]
	ds_bpermute_b32 v53, v45, v53
	v_cmp_le_u32_e32 vcc, v47, v30
	s_and_saveexec_b64 s[60:61], vcc
	s_cbranch_execz .LBB1610_169
; %bb.186:                              ;   in Loop: Header=BB1610_170 Depth=1
	v_cmp_eq_u16_e32 vcc, 0, v52
	s_waitcnt lgkmcnt(0)
	v_cndmask_b32_e32 v30, 0, v53, vcc
	v_add_u16_e32 v26, v30, v26
	v_and_b32_e32 v30, 1, v52
	v_lshrrev_b32_e32 v31, 16, v53
	v_cmp_eq_u32_e32 vcc, 1, v30
	v_cndmask_b32_e64 v31, v31, 1, vcc
	s_branch .LBB1610_169
.LBB1610_187:                           ;   in Loop: Header=BB1610_170 Depth=1
                                        ; implicit-def: $vgpr30
                                        ; implicit-def: $vgpr26
	s_cbranch_execz .LBB1610_170
; %bb.188:
	s_and_saveexec_b64 s[60:61], s[48:49]
	s_cbranch_execz .LBB1610_190
; %bb.189:
	v_and_b32_e32 v23, 0xff0000, v22
	s_mov_b32 s49, 0
	v_cmp_eq_u32_e32 vcc, 0, v23
	v_and_b32_e32 v24, 0x10000, v22
	v_mov_b32_e32 v25, 1
	s_add_i32 s48, s6, 64
	v_cndmask_b32_e32 v23, 0, v46, vcc
	v_and_b32_sdwa v25, v44, v25 dst_sel:WORD_1 dst_unused:UNUSED_PAD src0_sel:DWORD src1_sel:DWORD
	v_mov_b32_e32 v26, 0x10000
	v_cmp_eq_u32_e32 vcc, 0, v24
	s_lshl_b64 s[48:49], s[48:49], 3
	v_cndmask_b32_e32 v24, v26, v25, vcc
	s_add_u32 s48, s56, s48
	v_add_u16_e32 v22, v23, v22
	s_addc_u32 s49, s57, s49
	v_mov_b32_e32 v25, 0
	v_or_b32_e32 v22, v24, v22
	v_mov_b32_e32 v23, 2
	global_store_dwordx2 v25, v[22:23], s[48:49]
.LBB1610_190:
	s_or_b64 exec, exec, s[60:61]
	v_cmp_eq_u32_e32 vcc, 0, v0
	s_and_b64 exec, exec, vcc
	s_cbranch_execz .LBB1610_192
; %bb.191:
	v_mov_b32_e32 v22, 0
	ds_write_b16 v22, v46
	ds_write_b8 v22, v44 offset:2
.LBB1610_192:
	s_or_b64 exec, exec, s[52:53]
	v_mov_b32_e32 v22, 0
	s_waitcnt lgkmcnt(0)
	; wave barrier
	s_waitcnt lgkmcnt(0)
	ds_read_b32 v22, v22
	v_and_b32_e32 v23, 0xff0000, v34
	v_cmp_eq_u32_e32 vcc, 0, v23
	s_waitcnt lgkmcnt(0)
	v_cndmask_b32_e32 v23, 0, v22, vcc
	v_add_u32_e32 v23, v23, v34
	v_cmp_eq_u32_e32 vcc, 0, v0
	v_cndmask_b32_e32 v39, v23, v22, vcc
	v_and_b32_e32 v22, 0xff0000, v1
	v_cmp_eq_u32_e32 vcc, 0, v22
	v_cndmask_b32_e32 v22, 0, v39, vcc
	v_add_u16_e32 v22, v22, v1
	v_cndmask_b32_e64 v23, 0, v22, s[2:3]
	v_add_u16_e32 v23, v23, v50
	v_cndmask_b32_e64 v24, 0, v23, s[4:5]
	;; [unrolled: 2-line block ×22, first 2 shown]
	v_add_u16_e32 v47, v47, v17
	s_branch .LBB1610_235
.LBB1610_193:
	s_or_b64 exec, exec, s[52:53]
                                        ; implicit-def: $vgpr3
	s_and_saveexec_b64 s[52:53], s[2:3]
	s_cbranch_execz .LBB1610_53
.LBB1610_194:
	v_lshlrev_b32_e32 v3, 1, v0
	v_mov_b32_e32 v5, s78
	v_add_co_u32_e32 v4, vcc, s59, v3
	v_addc_co_u32_e32 v5, vcc, 0, v5, vcc
	flat_load_ushort v3, v[4:5] offset:128
	s_or_b64 exec, exec, s[52:53]
                                        ; implicit-def: $vgpr4
	s_and_saveexec_b64 s[2:3], s[4:5]
	s_cbranch_execnz .LBB1610_54
.LBB1610_195:
	s_or_b64 exec, exec, s[2:3]
                                        ; implicit-def: $vgpr5
	s_and_saveexec_b64 s[2:3], s[50:51]
	s_cbranch_execz .LBB1610_55
.LBB1610_196:
	v_lshlrev_b32_e32 v5, 1, v0
	v_mov_b32_e32 v7, s78
	v_add_co_u32_e32 v6, vcc, s59, v5
	v_addc_co_u32_e32 v7, vcc, 0, v7, vcc
	flat_load_ushort v5, v[6:7] offset:384
	s_or_b64 exec, exec, s[2:3]
                                        ; implicit-def: $vgpr6
	s_and_saveexec_b64 s[2:3], s[8:9]
	s_cbranch_execnz .LBB1610_56
.LBB1610_197:
	s_or_b64 exec, exec, s[2:3]
                                        ; implicit-def: $vgpr7
	s_and_saveexec_b64 s[2:3], s[10:11]
	s_cbranch_execz .LBB1610_57
.LBB1610_198:
	v_lshlrev_b32_e32 v7, 1, v0
	v_mov_b32_e32 v9, s78
	v_add_co_u32_e32 v8, vcc, s59, v7
	v_addc_co_u32_e32 v9, vcc, 0, v9, vcc
	flat_load_ushort v7, v[8:9] offset:640
	s_or_b64 exec, exec, s[2:3]
                                        ; implicit-def: $vgpr8
	s_and_saveexec_b64 s[2:3], s[12:13]
	s_cbranch_execnz .LBB1610_58
.LBB1610_199:
	s_or_b64 exec, exec, s[2:3]
                                        ; implicit-def: $vgpr9
	s_and_saveexec_b64 s[2:3], s[14:15]
	s_cbranch_execz .LBB1610_59
.LBB1610_200:
	v_lshlrev_b32_e32 v9, 1, v0
	v_mov_b32_e32 v11, s78
	v_add_co_u32_e32 v10, vcc, s59, v9
	v_addc_co_u32_e32 v11, vcc, 0, v11, vcc
	flat_load_ushort v9, v[10:11] offset:896
	s_or_b64 exec, exec, s[2:3]
                                        ; implicit-def: $vgpr10
	s_and_saveexec_b64 s[2:3], s[16:17]
	s_cbranch_execnz .LBB1610_60
.LBB1610_201:
	s_or_b64 exec, exec, s[2:3]
                                        ; implicit-def: $vgpr11
	s_and_saveexec_b64 s[2:3], s[18:19]
	s_cbranch_execz .LBB1610_61
.LBB1610_202:
	v_lshlrev_b32_e32 v11, 1, v0
	v_mov_b32_e32 v13, s78
	v_add_co_u32_e32 v12, vcc, s59, v11
	v_addc_co_u32_e32 v13, vcc, 0, v13, vcc
	flat_load_ushort v11, v[12:13] offset:1152
	s_or_b64 exec, exec, s[2:3]
                                        ; implicit-def: $vgpr12
	s_and_saveexec_b64 s[2:3], s[20:21]
	s_cbranch_execnz .LBB1610_62
.LBB1610_203:
	s_or_b64 exec, exec, s[2:3]
                                        ; implicit-def: $vgpr13
	s_and_saveexec_b64 s[2:3], s[22:23]
	s_cbranch_execz .LBB1610_63
.LBB1610_204:
	v_lshlrev_b32_e32 v13, 1, v0
	v_mov_b32_e32 v15, s78
	v_add_co_u32_e32 v14, vcc, s59, v13
	v_addc_co_u32_e32 v15, vcc, 0, v15, vcc
	flat_load_ushort v13, v[14:15] offset:1408
	s_or_b64 exec, exec, s[2:3]
                                        ; implicit-def: $vgpr14
	s_and_saveexec_b64 s[2:3], s[24:25]
	s_cbranch_execnz .LBB1610_64
.LBB1610_205:
	s_or_b64 exec, exec, s[2:3]
                                        ; implicit-def: $vgpr15
	s_and_saveexec_b64 s[2:3], s[26:27]
	s_cbranch_execz .LBB1610_65
.LBB1610_206:
	v_lshlrev_b32_e32 v15, 1, v0
	v_mov_b32_e32 v17, s78
	v_add_co_u32_e32 v16, vcc, s59, v15
	v_addc_co_u32_e32 v17, vcc, 0, v17, vcc
	flat_load_ushort v15, v[16:17] offset:1664
	s_or_b64 exec, exec, s[2:3]
                                        ; implicit-def: $vgpr16
	s_and_saveexec_b64 s[2:3], s[28:29]
	s_cbranch_execnz .LBB1610_66
.LBB1610_207:
	s_or_b64 exec, exec, s[2:3]
                                        ; implicit-def: $vgpr17
	s_and_saveexec_b64 s[2:3], s[30:31]
	s_cbranch_execz .LBB1610_67
.LBB1610_208:
	v_lshlrev_b32_e32 v17, 1, v0
	v_mov_b32_e32 v19, s78
	v_add_co_u32_e32 v18, vcc, s59, v17
	v_addc_co_u32_e32 v19, vcc, 0, v19, vcc
	flat_load_ushort v17, v[18:19] offset:1920
	s_or_b64 exec, exec, s[2:3]
                                        ; implicit-def: $vgpr18
	s_and_saveexec_b64 s[2:3], s[34:35]
	s_cbranch_execnz .LBB1610_68
.LBB1610_209:
	s_or_b64 exec, exec, s[2:3]
                                        ; implicit-def: $vgpr19
	s_and_saveexec_b64 s[2:3], s[36:37]
	s_cbranch_execz .LBB1610_69
.LBB1610_210:
	v_lshlrev_b32_e32 v19, 1, v0
	v_mov_b32_e32 v21, s78
	v_add_co_u32_e32 v20, vcc, s59, v19
	v_addc_co_u32_e32 v21, vcc, 0, v21, vcc
	flat_load_ushort v19, v[20:21] offset:2176
	s_or_b64 exec, exec, s[2:3]
                                        ; implicit-def: $vgpr20
	s_and_saveexec_b64 s[2:3], s[38:39]
	s_cbranch_execnz .LBB1610_70
.LBB1610_211:
	s_or_b64 exec, exec, s[2:3]
                                        ; implicit-def: $vgpr21
	s_and_saveexec_b64 s[2:3], s[40:41]
	s_cbranch_execz .LBB1610_71
.LBB1610_212:
	v_lshlrev_b32_e32 v21, 1, v0
	v_mov_b32_e32 v47, s78
	v_add_co_u32_e32 v46, vcc, s59, v21
	v_addc_co_u32_e32 v47, vcc, 0, v47, vcc
	flat_load_ushort v21, v[46:47] offset:2432
	s_or_b64 exec, exec, s[2:3]
                                        ; implicit-def: $vgpr47
	s_and_saveexec_b64 s[2:3], s[42:43]
	s_cbranch_execnz .LBB1610_72
.LBB1610_213:
	s_or_b64 exec, exec, s[2:3]
                                        ; implicit-def: $vgpr48
	s_and_saveexec_b64 s[2:3], s[44:45]
	s_cbranch_execz .LBB1610_73
.LBB1610_214:
	v_lshlrev_b32_e32 v46, 1, v0
	v_mov_b32_e32 v49, s78
	v_add_co_u32_e32 v48, vcc, s59, v46
	v_addc_co_u32_e32 v49, vcc, 0, v49, vcc
	flat_load_ushort v48, v[48:49] offset:2688
	s_or_b64 exec, exec, s[2:3]
                                        ; implicit-def: $vgpr49
	s_and_saveexec_b64 s[2:3], s[46:47]
	s_cbranch_execz .LBB1610_75
	s_branch .LBB1610_74
.LBB1610_215:
                                        ; implicit-def: $vgpr39
                                        ; implicit-def: $vgpr22
                                        ; implicit-def: $vgpr23
                                        ; implicit-def: $vgpr24
                                        ; implicit-def: $vgpr25
                                        ; implicit-def: $vgpr26
                                        ; implicit-def: $vgpr28
                                        ; implicit-def: $vgpr30
                                        ; implicit-def: $vgpr27
                                        ; implicit-def: $vgpr29
                                        ; implicit-def: $vgpr31
                                        ; implicit-def: $vgpr34
                                        ; implicit-def: $vgpr35
                                        ; implicit-def: $vgpr36
                                        ; implicit-def: $vgpr38
                                        ; implicit-def: $vgpr41
                                        ; implicit-def: $vgpr37
                                        ; implicit-def: $vgpr40
                                        ; implicit-def: $vgpr42
                                        ; implicit-def: $vgpr43
                                        ; implicit-def: $vgpr44
                                        ; implicit-def: $vgpr45
                                        ; implicit-def: $vgpr46
                                        ; implicit-def: $vgpr47
	s_cbranch_execz .LBB1610_235
; %bb.216:
	s_cmp_lg_u64 s[68:69], 0
	s_cselect_b32 s3, s63, 0
	s_cselect_b32 s2, s62, 0
	s_cmp_eq_u64 s[2:3], 0
	v_mov_b32_e32 v39, s7
	s_cbranch_scc1 .LBB1610_218
; %bb.217:
	v_mov_b32_e32 v22, 0
	global_load_ushort v39, v22, s[2:3]
.LBB1610_218:
	s_mov_b32 s50, 0x10000
	v_cmp_gt_u32_e32 vcc, s50, v50
	v_cndmask_b32_e32 v22, 0, v1, vcc
	v_add_u16_e32 v22, v22, v50
	v_cmp_gt_u32_e64 s[2:3], s50, v21
	v_cndmask_b32_e64 v22, 0, v22, s[2:3]
	v_add_u16_e32 v22, v22, v21
	v_cmp_gt_u32_e64 s[4:5], s50, v20
	v_cndmask_b32_e64 v22, 0, v22, s[4:5]
	;; [unrolled: 3-line block ×18, first 2 shown]
	v_bfe_u32 v25, v19, 16, 1
	v_add_u16_e32 v22, v22, v14
	v_cmp_gt_u32_e64 s[40:41], s50, v15
	v_lshlrev_b16_e32 v26, 1, v25
	v_mov_b32_e32 v25, 1
	v_cndmask_b32_e64 v22, 0, v22, s[40:41]
	v_and_b32_sdwa v27, v18, v25 dst_sel:DWORD dst_unused:UNUSED_PAD src0_sel:WORD_1 src1_sel:DWORD
	v_add_u16_e32 v22, v22, v15
	v_cmp_gt_u32_e64 s[42:43], s50, v16
	v_or_b32_e32 v26, v27, v26
	v_bfe_u32 v27, v21, 16, 1
	v_and_b32_sdwa v28, v20, v25 dst_sel:DWORD dst_unused:UNUSED_PAD src0_sel:WORD_1 src1_sel:DWORD
	v_cndmask_b32_e64 v22, 0, v22, s[42:43]
	v_lshlrev_b16_e32 v27, 3, v27
	v_lshlrev_b16_e32 v28, 2, v28
	v_add_u16_e32 v22, v22, v16
	v_cmp_gt_u32_e64 s[44:45], s50, v17
	v_or_b32_e32 v27, v27, v28
	v_cndmask_b32_e64 v22, 0, v22, s[44:45]
	v_or_b32_e32 v26, v26, v27
	v_and_b32_e32 v27, 0x10000, v51
	v_add_u16_e32 v22, v22, v17
	v_cmp_gt_u32_e64 s[50:51], s50, v32
	v_and_b32_e32 v28, 0x10000, v32
	v_cmp_ne_u32_e64 s[48:49], 0, v27
	v_cndmask_b32_e64 v27, 0, v22, s[50:51]
	v_cmp_ne_u32_e64 s[50:51], 0, v28
	v_or_b32_e32 v28, v16, v8
	v_or_b32_e32 v29, v17, v9
	;; [unrolled: 1-line block ×7, first 2 shown]
	v_bfe_u32 v31, v31, 16, 1
	v_bfe_u32 v29, v29, 16, 1
	v_and_b32_sdwa v28, v28, v25 dst_sel:DWORD dst_unused:UNUSED_PAD src0_sel:WORD_1 src1_sel:DWORD
	v_or_b32_e32 v36, v10, v2
	v_bfe_u32 v37, v37, 16, 1
	v_bfe_u32 v35, v35, 16, 1
	v_and_b32_sdwa v34, v34, v25 dst_sel:DWORD dst_unused:UNUSED_PAD src0_sel:WORD_1 src1_sel:DWORD
	v_lshlrev_b16_e32 v31, 1, v31
	v_and_b32_sdwa v30, v30, v25 dst_sel:DWORD dst_unused:UNUSED_PAD src0_sel:WORD_1 src1_sel:DWORD
	v_lshlrev_b16_e32 v29, 3, v29
	v_lshlrev_b16_e32 v28, 2, v28
	;; [unrolled: 1-line block ×3, first 2 shown]
	v_and_b32_sdwa v36, v36, v25 dst_sel:DWORD dst_unused:UNUSED_PAD src0_sel:WORD_1 src1_sel:DWORD
	v_lshlrev_b16_e32 v35, 3, v35
	v_lshlrev_b16_e32 v34, 2, v34
	v_or_b32_e32 v30, v30, v31
	v_or_b32_e32 v28, v29, v28
	;; [unrolled: 1-line block ×6, first 2 shown]
	v_lshlrev_b16_e32 v28, 4, v28
	v_or_b32_e32 v28, v34, v28
	v_or_b32_e32 v26, v28, v26
	v_mov_b32_e32 v28, 0
	v_cmp_ne_u16_sdwa s[52:53], v26, v28 src0_sel:BYTE_0 src1_sel:DWORD
	v_and_b32_e32 v24, 0x10000, v50
	s_or_b64 s[50:51], s[50:51], s[52:53]
	v_cmp_ne_u32_e64 s[46:47], 0, v24
	s_or_b64 s[48:49], s[50:51], s[48:49]
	v_mov_b32_e32 v23, 0x10000
	v_and_b32_e32 v24, 0x10000, v1
	s_or_b64 s[46:47], s[48:49], s[46:47]
	v_cndmask_b32_e64 v28, v24, v23, s[46:47]
	v_add_u16_e32 v26, v27, v32
	v_mbcnt_hi_u32_b32 v23, -1, v33
	v_add_u16_e32 v22, v27, v32
	v_and_b32_e32 v27, 15, v23
	v_or_b32_e32 v26, v28, v26
	v_lshrrev_b32_e32 v24, 16, v28
	v_cmp_ne_u32_e64 s[46:47], 0, v27
	v_mov_b32_dpp v29, v26 row_shr:1 row_mask:0xf bank_mask:0xf
	s_and_saveexec_b64 s[48:49], s[46:47]
; %bb.219:
	v_cmp_eq_u32_e64 s[46:47], 0, v28
	v_and_b32_e32 v24, 0x10000, v28
	v_cndmask_b32_e64 v26, 0, v29, s[46:47]
	v_and_b32_sdwa v25, v29, v25 dst_sel:DWORD dst_unused:UNUSED_PAD src0_sel:WORD_1 src1_sel:DWORD
	v_cmp_ne_u32_e64 s[46:47], 0, v24
	v_cndmask_b32_e64 v24, v25, 1, s[46:47]
	v_add_u16_e32 v30, v26, v22
	v_lshlrev_b32_e32 v25, 16, v24
	v_add_u16_e32 v22, v26, v22
	v_or_b32_e32 v26, v25, v22
	v_mov_b32_e32 v22, v30
; %bb.220:
	s_or_b64 exec, exec, s[48:49]
	v_lshrrev_b32_e32 v25, 16, v26
	v_mov_b32_dpp v28, v26 row_shr:2 row_mask:0xf bank_mask:0xf
	v_cmp_lt_u32_e64 s[46:47], 1, v27
	s_and_saveexec_b64 s[48:49], s[46:47]
	s_cbranch_execz .LBB1610_222
; %bb.221:
	s_mov_b32 s46, 0x10000
	v_cmp_gt_u32_e64 s[46:47], s46, v26
	v_and_b32_e32 v24, 0x10000, v26
	v_mov_b32_e32 v26, 1
	v_cndmask_b32_e64 v25, 0, v28, s[46:47]
	v_and_b32_sdwa v26, v28, v26 dst_sel:DWORD dst_unused:UNUSED_PAD src0_sel:WORD_1 src1_sel:DWORD
	v_cmp_ne_u32_e64 s[46:47], 0, v24
	v_cndmask_b32_e64 v24, v26, 1, s[46:47]
	v_add_u16_e32 v29, v25, v22
	v_lshlrev_b32_e32 v26, 16, v24
	v_add_u16_e32 v22, v25, v22
	v_or_b32_e32 v26, v26, v22
	v_mov_b32_e32 v22, v29
	v_mov_b32_e32 v25, v24
.LBB1610_222:
	s_or_b64 exec, exec, s[48:49]
	v_mov_b32_dpp v28, v26 row_shr:4 row_mask:0xf bank_mask:0xf
	v_cmp_lt_u32_e64 s[46:47], 3, v27
	s_and_saveexec_b64 s[48:49], s[46:47]
	s_cbranch_execz .LBB1610_224
; %bb.223:
	v_cmp_eq_u16_e64 s[46:47], 0, v25
	v_and_b32_e32 v24, 1, v25
	v_mov_b32_e32 v25, 1
	v_cndmask_b32_e64 v26, 0, v28, s[46:47]
	v_and_b32_sdwa v25, v28, v25 dst_sel:DWORD dst_unused:UNUSED_PAD src0_sel:WORD_1 src1_sel:DWORD
	v_cmp_eq_u32_e64 s[46:47], 1, v24
	v_cndmask_b32_e64 v24, v25, 1, s[46:47]
	v_add_u16_e32 v29, v26, v22
	v_lshlrev_b32_e32 v25, 16, v24
	v_add_u16_e32 v22, v26, v22
	v_or_b32_e32 v26, v25, v22
	v_mov_b32_e32 v22, v29
	v_mov_b32_e32 v25, v24
.LBB1610_224:
	s_or_b64 exec, exec, s[48:49]
	v_mov_b32_dpp v28, v26 row_shr:8 row_mask:0xf bank_mask:0xf
	v_cmp_lt_u32_e64 s[46:47], 7, v27
	s_and_saveexec_b64 s[48:49], s[46:47]
	s_cbranch_execz .LBB1610_226
; %bb.225:
	v_cmp_eq_u16_e64 s[46:47], 0, v25
	v_and_b32_e32 v24, 1, v25
	v_mov_b32_e32 v25, 1
	v_cndmask_b32_e64 v26, 0, v28, s[46:47]
	v_and_b32_sdwa v25, v28, v25 dst_sel:DWORD dst_unused:UNUSED_PAD src0_sel:WORD_1 src1_sel:DWORD
	v_cmp_eq_u32_e64 s[46:47], 1, v24
	v_cndmask_b32_e64 v24, v25, 1, s[46:47]
	v_add_u16_e32 v27, v26, v22
	v_lshlrev_b32_e32 v25, 16, v24
	v_add_u16_e32 v22, v26, v22
	v_or_b32_e32 v26, v25, v22
	v_mov_b32_e32 v22, v27
	v_mov_b32_e32 v25, v24
.LBB1610_226:
	s_or_b64 exec, exec, s[48:49]
	v_and_b32_e32 v28, 16, v23
	v_mov_b32_dpp v27, v26 row_bcast:15 row_mask:0xf bank_mask:0xf
	v_cmp_ne_u32_e64 s[46:47], 0, v28
	s_and_saveexec_b64 s[48:49], s[46:47]
	s_cbranch_execz .LBB1610_228
; %bb.227:
	v_cmp_eq_u16_e64 s[46:47], 0, v25
	v_and_b32_e32 v24, 1, v25
	v_mov_b32_e32 v25, 1
	v_cndmask_b32_e64 v26, 0, v27, s[46:47]
	v_and_b32_sdwa v25, v27, v25 dst_sel:DWORD dst_unused:UNUSED_PAD src0_sel:WORD_1 src1_sel:DWORD
	v_cmp_eq_u32_e64 s[46:47], 1, v24
	v_cndmask_b32_e64 v24, v25, 1, s[46:47]
	v_add_u16_e32 v28, v26, v22
	v_lshlrev_b32_e32 v25, 16, v24
	v_add_u16_e32 v22, v26, v22
	v_or_b32_e32 v26, v25, v22
	v_mov_b32_e32 v22, v28
	v_mov_b32_e32 v25, v24
.LBB1610_228:
	s_or_b64 exec, exec, s[48:49]
	v_mov_b32_dpp v26, v26 row_bcast:31 row_mask:0xf bank_mask:0xf
	v_cmp_lt_u32_e64 s[46:47], 31, v23
	s_and_saveexec_b64 s[48:49], s[46:47]
; %bb.229:
	v_cmp_eq_u16_e64 s[46:47], 0, v25
	v_cndmask_b32_e64 v24, 0, v26, s[46:47]
	v_add_u16_e32 v22, v24, v22
	v_and_b32_e32 v24, 1, v25
	v_mov_b32_e32 v25, 1
	v_and_b32_sdwa v25, v26, v25 dst_sel:DWORD dst_unused:UNUSED_PAD src0_sel:WORD_1 src1_sel:DWORD
	v_cmp_eq_u32_e64 s[46:47], 1, v24
	v_cndmask_b32_e64 v24, v25, 1, s[46:47]
	v_mov_b32_e32 v25, v24
; %bb.230:
	s_or_b64 exec, exec, s[48:49]
	v_cmp_eq_u32_e64 s[46:47], 63, v0
	s_and_saveexec_b64 s[48:49], s[46:47]
	s_cbranch_execz .LBB1610_232
; %bb.231:
	v_mov_b32_e32 v26, 0
	ds_write_b16 v26, v22
	ds_write_b8 v26, v25 offset:2
.LBB1610_232:
	s_or_b64 exec, exec, s[48:49]
	v_cmp_eq_u16_e64 s[46:47], 0, v24
	v_and_b32_e32 v24, 1, v24
	s_waitcnt vmcnt(0)
	v_cndmask_b32_e64 v25, 0, v39, s[46:47]
	v_mov_b32_e32 v26, 0x10000
	v_cmp_eq_u32_e64 s[46:47], 1, v24
	v_cndmask_b32_e64 v24, 0, v26, s[46:47]
	v_add_u16_e32 v22, v25, v22
	v_or_b32_e32 v22, v24, v22
	v_add_u32_e32 v24, -1, v23
	v_and_b32_e32 v25, 64, v23
	v_cmp_lt_i32_e64 s[46:47], v24, v25
	v_cndmask_b32_e64 v24, v24, v23, s[46:47]
	v_lshlrev_b32_e32 v24, 2, v24
	ds_bpermute_b32 v22, v24, v22
	v_cmp_eq_u32_e64 s[46:47], 0, v23
	v_cmp_eq_u32_e64 s[48:49], 0, v0
	s_or_b64 s[46:47], s[48:49], s[46:47]
	s_waitcnt lgkmcnt(0)
	v_cndmask_b32_e64 v32, v22, v39, s[46:47]
	v_and_b32_e32 v22, 0xff0000, v1
	v_cmp_eq_u32_e64 s[46:47], 0, v22
	v_cndmask_b32_e64 v22, 0, v32, s[46:47]
	v_add_u16_e32 v22, v22, v1
	v_cndmask_b32_e32 v1, 0, v22, vcc
	v_add_u16_e32 v23, v1, v50
	v_cndmask_b32_e64 v1, 0, v23, s[2:3]
	v_add_u16_e32 v24, v1, v21
	v_cndmask_b32_e64 v1, 0, v24, s[4:5]
	;; [unrolled: 2-line block ×21, first 2 shown]
	; wave barrier
	s_and_saveexec_b64 s[2:3], s[48:49]
	s_cbranch_execz .LBB1610_234
; %bb.233:
	v_mov_b32_e32 v4, 0
	ds_read_u8 v2, v4 offset:2
	ds_read_u16 v3, v4
	s_waitcnt lgkmcnt(1)
	v_cmp_eq_u32_e32 vcc, 0, v2
	v_lshlrev_b32_e32 v5, 16, v2
	v_cndmask_b32_e32 v2, 0, v39, vcc
	s_waitcnt lgkmcnt(0)
	v_add_u32_e32 v2, v2, v3
	v_or_b32_sdwa v2, v5, v2 dst_sel:DWORD dst_unused:UNUSED_PAD src0_sel:DWORD src1_sel:WORD_0
	v_mov_b32_e32 v3, 2
	global_store_dwordx2 v4, v[2:3], s[56:57] offset:512
.LBB1610_234:
	s_or_b64 exec, exec, s[2:3]
	v_and_b32_e32 v39, 0xffff, v32
	v_add_u16_e32 v47, v1, v17
.LBB1610_235:
	s_add_u32 s2, s54, s64
	s_addc_u32 s3, s55, s65
	s_add_u32 s4, s2, s66
	s_addc_u32 s5, s3, s67
	s_and_b64 vcc, exec, s[0:1]
	v_mul_u32_u24_e32 v5, 24, v0
	v_lshlrev_b32_e32 v4, 1, v0
	s_cbranch_vccz .LBB1610_283
; %bb.236:
	s_mov_b32 s0, 0x5040100
	v_lshlrev_b32_e32 v50, 1, v5
	v_perm_b32 v9, v30, v28, s0
	v_perm_b32 v8, v26, v25, s0
	;; [unrolled: 1-line block ×4, first 2 shown]
	s_waitcnt lgkmcnt(0)
	; wave barrier
	ds_write_b128 v50, v[6:9]
	v_perm_b32 v9, v41, v38, s0
	v_perm_b32 v8, v36, v35, s0
	;; [unrolled: 1-line block ×4, first 2 shown]
	ds_write_b128 v50, v[6:9] offset:16
	v_perm_b32 v9, v47, v46, s0
	v_perm_b32 v8, v45, v44, s0
	;; [unrolled: 1-line block ×4, first 2 shown]
	s_movk_i32 s0, 0xffd2
	v_mad_i32_i24 v2, v0, s0, v50
	ds_write_b128 v50, v[6:9] offset:32
	s_waitcnt lgkmcnt(0)
	; wave barrier
	s_waitcnt lgkmcnt(0)
	ds_read_u16 v53, v2 offset:128
	ds_read_u16 v52, v2 offset:256
	;; [unrolled: 1-line block ×23, first 2 shown]
	v_mov_b32_e32 v3, s5
	v_add_co_u32_e32 v2, vcc, s4, v4
	s_add_i32 s33, s33, s58
	v_addc_co_u32_e32 v3, vcc, 0, v3, vcc
	v_mov_b32_e32 v1, 0
	v_cmp_gt_u32_e32 vcc, s33, v0
	s_and_saveexec_b64 s[0:1], vcc
	s_cbranch_execz .LBB1610_238
; %bb.237:
	v_mul_i32_i24_e32 v54, 0xffffffd2, v0
	v_add_u32_e32 v50, v50, v54
	ds_read_u16 v50, v50
	s_waitcnt lgkmcnt(0)
	flat_store_short v[2:3], v50
.LBB1610_238:
	s_or_b64 exec, exec, s[0:1]
	v_or_b32_e32 v50, 64, v0
	v_cmp_gt_u32_e32 vcc, s33, v50
	s_and_saveexec_b64 s[0:1], vcc
	s_cbranch_execz .LBB1610_240
; %bb.239:
	s_waitcnt lgkmcnt(0)
	flat_store_short v[2:3], v53 offset:128
.LBB1610_240:
	s_or_b64 exec, exec, s[0:1]
	v_or_b32_e32 v50, 0x80, v0
	v_cmp_gt_u32_e32 vcc, s33, v50
	s_and_saveexec_b64 s[0:1], vcc
	s_cbranch_execz .LBB1610_242
; %bb.241:
	s_waitcnt lgkmcnt(0)
	flat_store_short v[2:3], v52 offset:256
.LBB1610_242:
	;; [unrolled: 9-line block ×4, first 2 shown]
	s_or_b64 exec, exec, s[0:1]
	s_waitcnt lgkmcnt(0)
	v_or_b32_e32 v49, 0x140, v0
	v_cmp_gt_u32_e32 vcc, s33, v49
	s_and_saveexec_b64 s[0:1], vcc
	s_cbranch_execz .LBB1610_248
; %bb.247:
	flat_store_short v[2:3], v48 offset:640
.LBB1610_248:
	s_or_b64 exec, exec, s[0:1]
	v_or_b32_e32 v48, 0x180, v0
	v_cmp_gt_u32_e32 vcc, s33, v48
	s_and_saveexec_b64 s[0:1], vcc
	s_cbranch_execz .LBB1610_250
; %bb.249:
	flat_store_short v[2:3], v33 offset:768
.LBB1610_250:
	s_or_b64 exec, exec, s[0:1]
	;; [unrolled: 8-line block ×18, first 2 shown]
	v_or_b32_e32 v2, 0x5c0, v0
	v_cmp_gt_u32_e64 s[0:1], s33, v2
	s_branch .LBB1610_285
.LBB1610_283:
	s_mov_b64 s[0:1], 0
                                        ; implicit-def: $vgpr6
	s_cbranch_execz .LBB1610_285
; %bb.284:
	s_mov_b32 s2, 0x5040100
	v_lshlrev_b32_e32 v2, 1, v5
	v_perm_b32 v9, v30, v28, s2
	v_perm_b32 v8, v26, v25, s2
	v_perm_b32 v7, v24, v23, s2
	v_perm_b32 v6, v22, v39, s2
	s_waitcnt lgkmcnt(0)
	; wave barrier
	s_waitcnt lgkmcnt(0)
	ds_write_b128 v2, v[6:9]
	v_perm_b32 v9, v41, v38, s2
	v_perm_b32 v8, v36, v35, s2
	;; [unrolled: 1-line block ×4, first 2 shown]
	ds_write_b128 v2, v[6:9] offset:16
	v_perm_b32 v9, v47, v46, s2
	v_perm_b32 v8, v45, v44, s2
	v_perm_b32 v7, v43, v42, s2
	v_perm_b32 v6, v40, v37, s2
	s_movk_i32 s2, 0xffd2
	ds_write_b128 v2, v[6:9] offset:32
	v_mad_i32_i24 v2, v0, s2, v2
	s_waitcnt lgkmcnt(0)
	; wave barrier
	s_waitcnt lgkmcnt(0)
	ds_read_u16 v5, v2
	ds_read_u16 v7, v2 offset:128
	ds_read_u16 v8, v2 offset:256
	;; [unrolled: 1-line block ×23, first 2 shown]
	v_mov_b32_e32 v3, s5
	v_add_co_u32_e32 v2, vcc, s4, v4
	v_mov_b32_e32 v1, 0
	v_addc_co_u32_e32 v3, vcc, 0, v3, vcc
	s_or_b64 s[0:1], s[0:1], exec
	s_waitcnt lgkmcnt(0)
	flat_store_short v[2:3], v5
	flat_store_short v[2:3], v7 offset:128
	flat_store_short v[2:3], v8 offset:256
	;; [unrolled: 1-line block ×22, first 2 shown]
.LBB1610_285:
	s_and_saveexec_b64 s[2:3], s[0:1]
	s_cbranch_execz .LBB1610_287
; %bb.286:
	v_lshlrev_b64 v[0:1], 1, v[0:1]
	v_mov_b32_e32 v2, s5
	v_add_co_u32_e32 v0, vcc, s4, v0
	v_addc_co_u32_e32 v1, vcc, v2, v1, vcc
	flat_store_short v[0:1], v6 offset:2944
	s_endpgm
.LBB1610_287:
	s_endpgm
	.section	.rodata,"a",@progbits
	.p2align	6, 0x0
	.amdhsa_kernel _ZN7rocprim17ROCPRIM_400000_NS6detail17trampoline_kernelINS0_14default_configENS1_27scan_by_key_config_selectorIisEEZZNS1_16scan_by_key_implILNS1_25lookback_scan_determinismE0ELb1ES3_N6thrust23THRUST_200600_302600_NS6detail15normal_iteratorINS9_10device_ptrIiEEEENSB_INSC_IsEEEESG_sNS9_4plusIvEENS9_8equal_toIvEEsEE10hipError_tPvRmT2_T3_T4_T5_mT6_T7_P12ihipStream_tbENKUlT_T0_E_clISt17integral_constantIbLb0EES11_EEDaSW_SX_EUlSW_E_NS1_11comp_targetILNS1_3genE4ELNS1_11target_archE910ELNS1_3gpuE8ELNS1_3repE0EEENS1_30default_config_static_selectorELNS0_4arch9wavefront6targetE1EEEvT1_
		.amdhsa_group_segment_fixed_size 6656
		.amdhsa_private_segment_fixed_size 0
		.amdhsa_kernarg_size 112
		.amdhsa_user_sgpr_count 6
		.amdhsa_user_sgpr_private_segment_buffer 1
		.amdhsa_user_sgpr_dispatch_ptr 0
		.amdhsa_user_sgpr_queue_ptr 0
		.amdhsa_user_sgpr_kernarg_segment_ptr 1
		.amdhsa_user_sgpr_dispatch_id 0
		.amdhsa_user_sgpr_flat_scratch_init 0
		.amdhsa_user_sgpr_kernarg_preload_length 0
		.amdhsa_user_sgpr_kernarg_preload_offset 0
		.amdhsa_user_sgpr_private_segment_size 0
		.amdhsa_uses_dynamic_stack 0
		.amdhsa_system_sgpr_private_segment_wavefront_offset 0
		.amdhsa_system_sgpr_workgroup_id_x 1
		.amdhsa_system_sgpr_workgroup_id_y 0
		.amdhsa_system_sgpr_workgroup_id_z 0
		.amdhsa_system_sgpr_workgroup_info 0
		.amdhsa_system_vgpr_workitem_id 0
		.amdhsa_next_free_vgpr 56
		.amdhsa_next_free_sgpr 88
		.amdhsa_accum_offset 56
		.amdhsa_reserve_vcc 1
		.amdhsa_reserve_flat_scratch 0
		.amdhsa_float_round_mode_32 0
		.amdhsa_float_round_mode_16_64 0
		.amdhsa_float_denorm_mode_32 3
		.amdhsa_float_denorm_mode_16_64 3
		.amdhsa_dx10_clamp 1
		.amdhsa_ieee_mode 1
		.amdhsa_fp16_overflow 0
		.amdhsa_tg_split 0
		.amdhsa_exception_fp_ieee_invalid_op 0
		.amdhsa_exception_fp_denorm_src 0
		.amdhsa_exception_fp_ieee_div_zero 0
		.amdhsa_exception_fp_ieee_overflow 0
		.amdhsa_exception_fp_ieee_underflow 0
		.amdhsa_exception_fp_ieee_inexact 0
		.amdhsa_exception_int_div_zero 0
	.end_amdhsa_kernel
	.section	.text._ZN7rocprim17ROCPRIM_400000_NS6detail17trampoline_kernelINS0_14default_configENS1_27scan_by_key_config_selectorIisEEZZNS1_16scan_by_key_implILNS1_25lookback_scan_determinismE0ELb1ES3_N6thrust23THRUST_200600_302600_NS6detail15normal_iteratorINS9_10device_ptrIiEEEENSB_INSC_IsEEEESG_sNS9_4plusIvEENS9_8equal_toIvEEsEE10hipError_tPvRmT2_T3_T4_T5_mT6_T7_P12ihipStream_tbENKUlT_T0_E_clISt17integral_constantIbLb0EES11_EEDaSW_SX_EUlSW_E_NS1_11comp_targetILNS1_3genE4ELNS1_11target_archE910ELNS1_3gpuE8ELNS1_3repE0EEENS1_30default_config_static_selectorELNS0_4arch9wavefront6targetE1EEEvT1_,"axG",@progbits,_ZN7rocprim17ROCPRIM_400000_NS6detail17trampoline_kernelINS0_14default_configENS1_27scan_by_key_config_selectorIisEEZZNS1_16scan_by_key_implILNS1_25lookback_scan_determinismE0ELb1ES3_N6thrust23THRUST_200600_302600_NS6detail15normal_iteratorINS9_10device_ptrIiEEEENSB_INSC_IsEEEESG_sNS9_4plusIvEENS9_8equal_toIvEEsEE10hipError_tPvRmT2_T3_T4_T5_mT6_T7_P12ihipStream_tbENKUlT_T0_E_clISt17integral_constantIbLb0EES11_EEDaSW_SX_EUlSW_E_NS1_11comp_targetILNS1_3genE4ELNS1_11target_archE910ELNS1_3gpuE8ELNS1_3repE0EEENS1_30default_config_static_selectorELNS0_4arch9wavefront6targetE1EEEvT1_,comdat
.Lfunc_end1610:
	.size	_ZN7rocprim17ROCPRIM_400000_NS6detail17trampoline_kernelINS0_14default_configENS1_27scan_by_key_config_selectorIisEEZZNS1_16scan_by_key_implILNS1_25lookback_scan_determinismE0ELb1ES3_N6thrust23THRUST_200600_302600_NS6detail15normal_iteratorINS9_10device_ptrIiEEEENSB_INSC_IsEEEESG_sNS9_4plusIvEENS9_8equal_toIvEEsEE10hipError_tPvRmT2_T3_T4_T5_mT6_T7_P12ihipStream_tbENKUlT_T0_E_clISt17integral_constantIbLb0EES11_EEDaSW_SX_EUlSW_E_NS1_11comp_targetILNS1_3genE4ELNS1_11target_archE910ELNS1_3gpuE8ELNS1_3repE0EEENS1_30default_config_static_selectorELNS0_4arch9wavefront6targetE1EEEvT1_, .Lfunc_end1610-_ZN7rocprim17ROCPRIM_400000_NS6detail17trampoline_kernelINS0_14default_configENS1_27scan_by_key_config_selectorIisEEZZNS1_16scan_by_key_implILNS1_25lookback_scan_determinismE0ELb1ES3_N6thrust23THRUST_200600_302600_NS6detail15normal_iteratorINS9_10device_ptrIiEEEENSB_INSC_IsEEEESG_sNS9_4plusIvEENS9_8equal_toIvEEsEE10hipError_tPvRmT2_T3_T4_T5_mT6_T7_P12ihipStream_tbENKUlT_T0_E_clISt17integral_constantIbLb0EES11_EEDaSW_SX_EUlSW_E_NS1_11comp_targetILNS1_3genE4ELNS1_11target_archE910ELNS1_3gpuE8ELNS1_3repE0EEENS1_30default_config_static_selectorELNS0_4arch9wavefront6targetE1EEEvT1_
                                        ; -- End function
	.section	.AMDGPU.csdata,"",@progbits
; Kernel info:
; codeLenInByte = 15684
; NumSgprs: 92
; NumVgprs: 56
; NumAgprs: 0
; TotalNumVgprs: 56
; ScratchSize: 0
; MemoryBound: 0
; FloatMode: 240
; IeeeMode: 1
; LDSByteSize: 6656 bytes/workgroup (compile time only)
; SGPRBlocks: 11
; VGPRBlocks: 6
; NumSGPRsForWavesPerEU: 92
; NumVGPRsForWavesPerEU: 56
; AccumOffset: 56
; Occupancy: 3
; WaveLimiterHint : 1
; COMPUTE_PGM_RSRC2:SCRATCH_EN: 0
; COMPUTE_PGM_RSRC2:USER_SGPR: 6
; COMPUTE_PGM_RSRC2:TRAP_HANDLER: 0
; COMPUTE_PGM_RSRC2:TGID_X_EN: 1
; COMPUTE_PGM_RSRC2:TGID_Y_EN: 0
; COMPUTE_PGM_RSRC2:TGID_Z_EN: 0
; COMPUTE_PGM_RSRC2:TIDIG_COMP_CNT: 0
; COMPUTE_PGM_RSRC3_GFX90A:ACCUM_OFFSET: 13
; COMPUTE_PGM_RSRC3_GFX90A:TG_SPLIT: 0
	.section	.text._ZN7rocprim17ROCPRIM_400000_NS6detail17trampoline_kernelINS0_14default_configENS1_27scan_by_key_config_selectorIisEEZZNS1_16scan_by_key_implILNS1_25lookback_scan_determinismE0ELb1ES3_N6thrust23THRUST_200600_302600_NS6detail15normal_iteratorINS9_10device_ptrIiEEEENSB_INSC_IsEEEESG_sNS9_4plusIvEENS9_8equal_toIvEEsEE10hipError_tPvRmT2_T3_T4_T5_mT6_T7_P12ihipStream_tbENKUlT_T0_E_clISt17integral_constantIbLb0EES11_EEDaSW_SX_EUlSW_E_NS1_11comp_targetILNS1_3genE3ELNS1_11target_archE908ELNS1_3gpuE7ELNS1_3repE0EEENS1_30default_config_static_selectorELNS0_4arch9wavefront6targetE1EEEvT1_,"axG",@progbits,_ZN7rocprim17ROCPRIM_400000_NS6detail17trampoline_kernelINS0_14default_configENS1_27scan_by_key_config_selectorIisEEZZNS1_16scan_by_key_implILNS1_25lookback_scan_determinismE0ELb1ES3_N6thrust23THRUST_200600_302600_NS6detail15normal_iteratorINS9_10device_ptrIiEEEENSB_INSC_IsEEEESG_sNS9_4plusIvEENS9_8equal_toIvEEsEE10hipError_tPvRmT2_T3_T4_T5_mT6_T7_P12ihipStream_tbENKUlT_T0_E_clISt17integral_constantIbLb0EES11_EEDaSW_SX_EUlSW_E_NS1_11comp_targetILNS1_3genE3ELNS1_11target_archE908ELNS1_3gpuE7ELNS1_3repE0EEENS1_30default_config_static_selectorELNS0_4arch9wavefront6targetE1EEEvT1_,comdat
	.protected	_ZN7rocprim17ROCPRIM_400000_NS6detail17trampoline_kernelINS0_14default_configENS1_27scan_by_key_config_selectorIisEEZZNS1_16scan_by_key_implILNS1_25lookback_scan_determinismE0ELb1ES3_N6thrust23THRUST_200600_302600_NS6detail15normal_iteratorINS9_10device_ptrIiEEEENSB_INSC_IsEEEESG_sNS9_4plusIvEENS9_8equal_toIvEEsEE10hipError_tPvRmT2_T3_T4_T5_mT6_T7_P12ihipStream_tbENKUlT_T0_E_clISt17integral_constantIbLb0EES11_EEDaSW_SX_EUlSW_E_NS1_11comp_targetILNS1_3genE3ELNS1_11target_archE908ELNS1_3gpuE7ELNS1_3repE0EEENS1_30default_config_static_selectorELNS0_4arch9wavefront6targetE1EEEvT1_ ; -- Begin function _ZN7rocprim17ROCPRIM_400000_NS6detail17trampoline_kernelINS0_14default_configENS1_27scan_by_key_config_selectorIisEEZZNS1_16scan_by_key_implILNS1_25lookback_scan_determinismE0ELb1ES3_N6thrust23THRUST_200600_302600_NS6detail15normal_iteratorINS9_10device_ptrIiEEEENSB_INSC_IsEEEESG_sNS9_4plusIvEENS9_8equal_toIvEEsEE10hipError_tPvRmT2_T3_T4_T5_mT6_T7_P12ihipStream_tbENKUlT_T0_E_clISt17integral_constantIbLb0EES11_EEDaSW_SX_EUlSW_E_NS1_11comp_targetILNS1_3genE3ELNS1_11target_archE908ELNS1_3gpuE7ELNS1_3repE0EEENS1_30default_config_static_selectorELNS0_4arch9wavefront6targetE1EEEvT1_
	.globl	_ZN7rocprim17ROCPRIM_400000_NS6detail17trampoline_kernelINS0_14default_configENS1_27scan_by_key_config_selectorIisEEZZNS1_16scan_by_key_implILNS1_25lookback_scan_determinismE0ELb1ES3_N6thrust23THRUST_200600_302600_NS6detail15normal_iteratorINS9_10device_ptrIiEEEENSB_INSC_IsEEEESG_sNS9_4plusIvEENS9_8equal_toIvEEsEE10hipError_tPvRmT2_T3_T4_T5_mT6_T7_P12ihipStream_tbENKUlT_T0_E_clISt17integral_constantIbLb0EES11_EEDaSW_SX_EUlSW_E_NS1_11comp_targetILNS1_3genE3ELNS1_11target_archE908ELNS1_3gpuE7ELNS1_3repE0EEENS1_30default_config_static_selectorELNS0_4arch9wavefront6targetE1EEEvT1_
	.p2align	8
	.type	_ZN7rocprim17ROCPRIM_400000_NS6detail17trampoline_kernelINS0_14default_configENS1_27scan_by_key_config_selectorIisEEZZNS1_16scan_by_key_implILNS1_25lookback_scan_determinismE0ELb1ES3_N6thrust23THRUST_200600_302600_NS6detail15normal_iteratorINS9_10device_ptrIiEEEENSB_INSC_IsEEEESG_sNS9_4plusIvEENS9_8equal_toIvEEsEE10hipError_tPvRmT2_T3_T4_T5_mT6_T7_P12ihipStream_tbENKUlT_T0_E_clISt17integral_constantIbLb0EES11_EEDaSW_SX_EUlSW_E_NS1_11comp_targetILNS1_3genE3ELNS1_11target_archE908ELNS1_3gpuE7ELNS1_3repE0EEENS1_30default_config_static_selectorELNS0_4arch9wavefront6targetE1EEEvT1_,@function
_ZN7rocprim17ROCPRIM_400000_NS6detail17trampoline_kernelINS0_14default_configENS1_27scan_by_key_config_selectorIisEEZZNS1_16scan_by_key_implILNS1_25lookback_scan_determinismE0ELb1ES3_N6thrust23THRUST_200600_302600_NS6detail15normal_iteratorINS9_10device_ptrIiEEEENSB_INSC_IsEEEESG_sNS9_4plusIvEENS9_8equal_toIvEEsEE10hipError_tPvRmT2_T3_T4_T5_mT6_T7_P12ihipStream_tbENKUlT_T0_E_clISt17integral_constantIbLb0EES11_EEDaSW_SX_EUlSW_E_NS1_11comp_targetILNS1_3genE3ELNS1_11target_archE908ELNS1_3gpuE7ELNS1_3repE0EEENS1_30default_config_static_selectorELNS0_4arch9wavefront6targetE1EEEvT1_: ; @_ZN7rocprim17ROCPRIM_400000_NS6detail17trampoline_kernelINS0_14default_configENS1_27scan_by_key_config_selectorIisEEZZNS1_16scan_by_key_implILNS1_25lookback_scan_determinismE0ELb1ES3_N6thrust23THRUST_200600_302600_NS6detail15normal_iteratorINS9_10device_ptrIiEEEENSB_INSC_IsEEEESG_sNS9_4plusIvEENS9_8equal_toIvEEsEE10hipError_tPvRmT2_T3_T4_T5_mT6_T7_P12ihipStream_tbENKUlT_T0_E_clISt17integral_constantIbLb0EES11_EEDaSW_SX_EUlSW_E_NS1_11comp_targetILNS1_3genE3ELNS1_11target_archE908ELNS1_3gpuE7ELNS1_3repE0EEENS1_30default_config_static_selectorELNS0_4arch9wavefront6targetE1EEEvT1_
; %bb.0:
	.section	.rodata,"a",@progbits
	.p2align	6, 0x0
	.amdhsa_kernel _ZN7rocprim17ROCPRIM_400000_NS6detail17trampoline_kernelINS0_14default_configENS1_27scan_by_key_config_selectorIisEEZZNS1_16scan_by_key_implILNS1_25lookback_scan_determinismE0ELb1ES3_N6thrust23THRUST_200600_302600_NS6detail15normal_iteratorINS9_10device_ptrIiEEEENSB_INSC_IsEEEESG_sNS9_4plusIvEENS9_8equal_toIvEEsEE10hipError_tPvRmT2_T3_T4_T5_mT6_T7_P12ihipStream_tbENKUlT_T0_E_clISt17integral_constantIbLb0EES11_EEDaSW_SX_EUlSW_E_NS1_11comp_targetILNS1_3genE3ELNS1_11target_archE908ELNS1_3gpuE7ELNS1_3repE0EEENS1_30default_config_static_selectorELNS0_4arch9wavefront6targetE1EEEvT1_
		.amdhsa_group_segment_fixed_size 0
		.amdhsa_private_segment_fixed_size 0
		.amdhsa_kernarg_size 112
		.amdhsa_user_sgpr_count 6
		.amdhsa_user_sgpr_private_segment_buffer 1
		.amdhsa_user_sgpr_dispatch_ptr 0
		.amdhsa_user_sgpr_queue_ptr 0
		.amdhsa_user_sgpr_kernarg_segment_ptr 1
		.amdhsa_user_sgpr_dispatch_id 0
		.amdhsa_user_sgpr_flat_scratch_init 0
		.amdhsa_user_sgpr_kernarg_preload_length 0
		.amdhsa_user_sgpr_kernarg_preload_offset 0
		.amdhsa_user_sgpr_private_segment_size 0
		.amdhsa_uses_dynamic_stack 0
		.amdhsa_system_sgpr_private_segment_wavefront_offset 0
		.amdhsa_system_sgpr_workgroup_id_x 1
		.amdhsa_system_sgpr_workgroup_id_y 0
		.amdhsa_system_sgpr_workgroup_id_z 0
		.amdhsa_system_sgpr_workgroup_info 0
		.amdhsa_system_vgpr_workitem_id 0
		.amdhsa_next_free_vgpr 1
		.amdhsa_next_free_sgpr 0
		.amdhsa_accum_offset 4
		.amdhsa_reserve_vcc 0
		.amdhsa_reserve_flat_scratch 0
		.amdhsa_float_round_mode_32 0
		.amdhsa_float_round_mode_16_64 0
		.amdhsa_float_denorm_mode_32 3
		.amdhsa_float_denorm_mode_16_64 3
		.amdhsa_dx10_clamp 1
		.amdhsa_ieee_mode 1
		.amdhsa_fp16_overflow 0
		.amdhsa_tg_split 0
		.amdhsa_exception_fp_ieee_invalid_op 0
		.amdhsa_exception_fp_denorm_src 0
		.amdhsa_exception_fp_ieee_div_zero 0
		.amdhsa_exception_fp_ieee_overflow 0
		.amdhsa_exception_fp_ieee_underflow 0
		.amdhsa_exception_fp_ieee_inexact 0
		.amdhsa_exception_int_div_zero 0
	.end_amdhsa_kernel
	.section	.text._ZN7rocprim17ROCPRIM_400000_NS6detail17trampoline_kernelINS0_14default_configENS1_27scan_by_key_config_selectorIisEEZZNS1_16scan_by_key_implILNS1_25lookback_scan_determinismE0ELb1ES3_N6thrust23THRUST_200600_302600_NS6detail15normal_iteratorINS9_10device_ptrIiEEEENSB_INSC_IsEEEESG_sNS9_4plusIvEENS9_8equal_toIvEEsEE10hipError_tPvRmT2_T3_T4_T5_mT6_T7_P12ihipStream_tbENKUlT_T0_E_clISt17integral_constantIbLb0EES11_EEDaSW_SX_EUlSW_E_NS1_11comp_targetILNS1_3genE3ELNS1_11target_archE908ELNS1_3gpuE7ELNS1_3repE0EEENS1_30default_config_static_selectorELNS0_4arch9wavefront6targetE1EEEvT1_,"axG",@progbits,_ZN7rocprim17ROCPRIM_400000_NS6detail17trampoline_kernelINS0_14default_configENS1_27scan_by_key_config_selectorIisEEZZNS1_16scan_by_key_implILNS1_25lookback_scan_determinismE0ELb1ES3_N6thrust23THRUST_200600_302600_NS6detail15normal_iteratorINS9_10device_ptrIiEEEENSB_INSC_IsEEEESG_sNS9_4plusIvEENS9_8equal_toIvEEsEE10hipError_tPvRmT2_T3_T4_T5_mT6_T7_P12ihipStream_tbENKUlT_T0_E_clISt17integral_constantIbLb0EES11_EEDaSW_SX_EUlSW_E_NS1_11comp_targetILNS1_3genE3ELNS1_11target_archE908ELNS1_3gpuE7ELNS1_3repE0EEENS1_30default_config_static_selectorELNS0_4arch9wavefront6targetE1EEEvT1_,comdat
.Lfunc_end1611:
	.size	_ZN7rocprim17ROCPRIM_400000_NS6detail17trampoline_kernelINS0_14default_configENS1_27scan_by_key_config_selectorIisEEZZNS1_16scan_by_key_implILNS1_25lookback_scan_determinismE0ELb1ES3_N6thrust23THRUST_200600_302600_NS6detail15normal_iteratorINS9_10device_ptrIiEEEENSB_INSC_IsEEEESG_sNS9_4plusIvEENS9_8equal_toIvEEsEE10hipError_tPvRmT2_T3_T4_T5_mT6_T7_P12ihipStream_tbENKUlT_T0_E_clISt17integral_constantIbLb0EES11_EEDaSW_SX_EUlSW_E_NS1_11comp_targetILNS1_3genE3ELNS1_11target_archE908ELNS1_3gpuE7ELNS1_3repE0EEENS1_30default_config_static_selectorELNS0_4arch9wavefront6targetE1EEEvT1_, .Lfunc_end1611-_ZN7rocprim17ROCPRIM_400000_NS6detail17trampoline_kernelINS0_14default_configENS1_27scan_by_key_config_selectorIisEEZZNS1_16scan_by_key_implILNS1_25lookback_scan_determinismE0ELb1ES3_N6thrust23THRUST_200600_302600_NS6detail15normal_iteratorINS9_10device_ptrIiEEEENSB_INSC_IsEEEESG_sNS9_4plusIvEENS9_8equal_toIvEEsEE10hipError_tPvRmT2_T3_T4_T5_mT6_T7_P12ihipStream_tbENKUlT_T0_E_clISt17integral_constantIbLb0EES11_EEDaSW_SX_EUlSW_E_NS1_11comp_targetILNS1_3genE3ELNS1_11target_archE908ELNS1_3gpuE7ELNS1_3repE0EEENS1_30default_config_static_selectorELNS0_4arch9wavefront6targetE1EEEvT1_
                                        ; -- End function
	.section	.AMDGPU.csdata,"",@progbits
; Kernel info:
; codeLenInByte = 0
; NumSgprs: 4
; NumVgprs: 0
; NumAgprs: 0
; TotalNumVgprs: 0
; ScratchSize: 0
; MemoryBound: 0
; FloatMode: 240
; IeeeMode: 1
; LDSByteSize: 0 bytes/workgroup (compile time only)
; SGPRBlocks: 0
; VGPRBlocks: 0
; NumSGPRsForWavesPerEU: 4
; NumVGPRsForWavesPerEU: 1
; AccumOffset: 4
; Occupancy: 8
; WaveLimiterHint : 0
; COMPUTE_PGM_RSRC2:SCRATCH_EN: 0
; COMPUTE_PGM_RSRC2:USER_SGPR: 6
; COMPUTE_PGM_RSRC2:TRAP_HANDLER: 0
; COMPUTE_PGM_RSRC2:TGID_X_EN: 1
; COMPUTE_PGM_RSRC2:TGID_Y_EN: 0
; COMPUTE_PGM_RSRC2:TGID_Z_EN: 0
; COMPUTE_PGM_RSRC2:TIDIG_COMP_CNT: 0
; COMPUTE_PGM_RSRC3_GFX90A:ACCUM_OFFSET: 0
; COMPUTE_PGM_RSRC3_GFX90A:TG_SPLIT: 0
	.section	.text._ZN7rocprim17ROCPRIM_400000_NS6detail17trampoline_kernelINS0_14default_configENS1_27scan_by_key_config_selectorIisEEZZNS1_16scan_by_key_implILNS1_25lookback_scan_determinismE0ELb1ES3_N6thrust23THRUST_200600_302600_NS6detail15normal_iteratorINS9_10device_ptrIiEEEENSB_INSC_IsEEEESG_sNS9_4plusIvEENS9_8equal_toIvEEsEE10hipError_tPvRmT2_T3_T4_T5_mT6_T7_P12ihipStream_tbENKUlT_T0_E_clISt17integral_constantIbLb0EES11_EEDaSW_SX_EUlSW_E_NS1_11comp_targetILNS1_3genE2ELNS1_11target_archE906ELNS1_3gpuE6ELNS1_3repE0EEENS1_30default_config_static_selectorELNS0_4arch9wavefront6targetE1EEEvT1_,"axG",@progbits,_ZN7rocprim17ROCPRIM_400000_NS6detail17trampoline_kernelINS0_14default_configENS1_27scan_by_key_config_selectorIisEEZZNS1_16scan_by_key_implILNS1_25lookback_scan_determinismE0ELb1ES3_N6thrust23THRUST_200600_302600_NS6detail15normal_iteratorINS9_10device_ptrIiEEEENSB_INSC_IsEEEESG_sNS9_4plusIvEENS9_8equal_toIvEEsEE10hipError_tPvRmT2_T3_T4_T5_mT6_T7_P12ihipStream_tbENKUlT_T0_E_clISt17integral_constantIbLb0EES11_EEDaSW_SX_EUlSW_E_NS1_11comp_targetILNS1_3genE2ELNS1_11target_archE906ELNS1_3gpuE6ELNS1_3repE0EEENS1_30default_config_static_selectorELNS0_4arch9wavefront6targetE1EEEvT1_,comdat
	.protected	_ZN7rocprim17ROCPRIM_400000_NS6detail17trampoline_kernelINS0_14default_configENS1_27scan_by_key_config_selectorIisEEZZNS1_16scan_by_key_implILNS1_25lookback_scan_determinismE0ELb1ES3_N6thrust23THRUST_200600_302600_NS6detail15normal_iteratorINS9_10device_ptrIiEEEENSB_INSC_IsEEEESG_sNS9_4plusIvEENS9_8equal_toIvEEsEE10hipError_tPvRmT2_T3_T4_T5_mT6_T7_P12ihipStream_tbENKUlT_T0_E_clISt17integral_constantIbLb0EES11_EEDaSW_SX_EUlSW_E_NS1_11comp_targetILNS1_3genE2ELNS1_11target_archE906ELNS1_3gpuE6ELNS1_3repE0EEENS1_30default_config_static_selectorELNS0_4arch9wavefront6targetE1EEEvT1_ ; -- Begin function _ZN7rocprim17ROCPRIM_400000_NS6detail17trampoline_kernelINS0_14default_configENS1_27scan_by_key_config_selectorIisEEZZNS1_16scan_by_key_implILNS1_25lookback_scan_determinismE0ELb1ES3_N6thrust23THRUST_200600_302600_NS6detail15normal_iteratorINS9_10device_ptrIiEEEENSB_INSC_IsEEEESG_sNS9_4plusIvEENS9_8equal_toIvEEsEE10hipError_tPvRmT2_T3_T4_T5_mT6_T7_P12ihipStream_tbENKUlT_T0_E_clISt17integral_constantIbLb0EES11_EEDaSW_SX_EUlSW_E_NS1_11comp_targetILNS1_3genE2ELNS1_11target_archE906ELNS1_3gpuE6ELNS1_3repE0EEENS1_30default_config_static_selectorELNS0_4arch9wavefront6targetE1EEEvT1_
	.globl	_ZN7rocprim17ROCPRIM_400000_NS6detail17trampoline_kernelINS0_14default_configENS1_27scan_by_key_config_selectorIisEEZZNS1_16scan_by_key_implILNS1_25lookback_scan_determinismE0ELb1ES3_N6thrust23THRUST_200600_302600_NS6detail15normal_iteratorINS9_10device_ptrIiEEEENSB_INSC_IsEEEESG_sNS9_4plusIvEENS9_8equal_toIvEEsEE10hipError_tPvRmT2_T3_T4_T5_mT6_T7_P12ihipStream_tbENKUlT_T0_E_clISt17integral_constantIbLb0EES11_EEDaSW_SX_EUlSW_E_NS1_11comp_targetILNS1_3genE2ELNS1_11target_archE906ELNS1_3gpuE6ELNS1_3repE0EEENS1_30default_config_static_selectorELNS0_4arch9wavefront6targetE1EEEvT1_
	.p2align	8
	.type	_ZN7rocprim17ROCPRIM_400000_NS6detail17trampoline_kernelINS0_14default_configENS1_27scan_by_key_config_selectorIisEEZZNS1_16scan_by_key_implILNS1_25lookback_scan_determinismE0ELb1ES3_N6thrust23THRUST_200600_302600_NS6detail15normal_iteratorINS9_10device_ptrIiEEEENSB_INSC_IsEEEESG_sNS9_4plusIvEENS9_8equal_toIvEEsEE10hipError_tPvRmT2_T3_T4_T5_mT6_T7_P12ihipStream_tbENKUlT_T0_E_clISt17integral_constantIbLb0EES11_EEDaSW_SX_EUlSW_E_NS1_11comp_targetILNS1_3genE2ELNS1_11target_archE906ELNS1_3gpuE6ELNS1_3repE0EEENS1_30default_config_static_selectorELNS0_4arch9wavefront6targetE1EEEvT1_,@function
_ZN7rocprim17ROCPRIM_400000_NS6detail17trampoline_kernelINS0_14default_configENS1_27scan_by_key_config_selectorIisEEZZNS1_16scan_by_key_implILNS1_25lookback_scan_determinismE0ELb1ES3_N6thrust23THRUST_200600_302600_NS6detail15normal_iteratorINS9_10device_ptrIiEEEENSB_INSC_IsEEEESG_sNS9_4plusIvEENS9_8equal_toIvEEsEE10hipError_tPvRmT2_T3_T4_T5_mT6_T7_P12ihipStream_tbENKUlT_T0_E_clISt17integral_constantIbLb0EES11_EEDaSW_SX_EUlSW_E_NS1_11comp_targetILNS1_3genE2ELNS1_11target_archE906ELNS1_3gpuE6ELNS1_3repE0EEENS1_30default_config_static_selectorELNS0_4arch9wavefront6targetE1EEEvT1_: ; @_ZN7rocprim17ROCPRIM_400000_NS6detail17trampoline_kernelINS0_14default_configENS1_27scan_by_key_config_selectorIisEEZZNS1_16scan_by_key_implILNS1_25lookback_scan_determinismE0ELb1ES3_N6thrust23THRUST_200600_302600_NS6detail15normal_iteratorINS9_10device_ptrIiEEEENSB_INSC_IsEEEESG_sNS9_4plusIvEENS9_8equal_toIvEEsEE10hipError_tPvRmT2_T3_T4_T5_mT6_T7_P12ihipStream_tbENKUlT_T0_E_clISt17integral_constantIbLb0EES11_EEDaSW_SX_EUlSW_E_NS1_11comp_targetILNS1_3genE2ELNS1_11target_archE906ELNS1_3gpuE6ELNS1_3repE0EEENS1_30default_config_static_selectorELNS0_4arch9wavefront6targetE1EEEvT1_
; %bb.0:
	.section	.rodata,"a",@progbits
	.p2align	6, 0x0
	.amdhsa_kernel _ZN7rocprim17ROCPRIM_400000_NS6detail17trampoline_kernelINS0_14default_configENS1_27scan_by_key_config_selectorIisEEZZNS1_16scan_by_key_implILNS1_25lookback_scan_determinismE0ELb1ES3_N6thrust23THRUST_200600_302600_NS6detail15normal_iteratorINS9_10device_ptrIiEEEENSB_INSC_IsEEEESG_sNS9_4plusIvEENS9_8equal_toIvEEsEE10hipError_tPvRmT2_T3_T4_T5_mT6_T7_P12ihipStream_tbENKUlT_T0_E_clISt17integral_constantIbLb0EES11_EEDaSW_SX_EUlSW_E_NS1_11comp_targetILNS1_3genE2ELNS1_11target_archE906ELNS1_3gpuE6ELNS1_3repE0EEENS1_30default_config_static_selectorELNS0_4arch9wavefront6targetE1EEEvT1_
		.amdhsa_group_segment_fixed_size 0
		.amdhsa_private_segment_fixed_size 0
		.amdhsa_kernarg_size 112
		.amdhsa_user_sgpr_count 6
		.amdhsa_user_sgpr_private_segment_buffer 1
		.amdhsa_user_sgpr_dispatch_ptr 0
		.amdhsa_user_sgpr_queue_ptr 0
		.amdhsa_user_sgpr_kernarg_segment_ptr 1
		.amdhsa_user_sgpr_dispatch_id 0
		.amdhsa_user_sgpr_flat_scratch_init 0
		.amdhsa_user_sgpr_kernarg_preload_length 0
		.amdhsa_user_sgpr_kernarg_preload_offset 0
		.amdhsa_user_sgpr_private_segment_size 0
		.amdhsa_uses_dynamic_stack 0
		.amdhsa_system_sgpr_private_segment_wavefront_offset 0
		.amdhsa_system_sgpr_workgroup_id_x 1
		.amdhsa_system_sgpr_workgroup_id_y 0
		.amdhsa_system_sgpr_workgroup_id_z 0
		.amdhsa_system_sgpr_workgroup_info 0
		.amdhsa_system_vgpr_workitem_id 0
		.amdhsa_next_free_vgpr 1
		.amdhsa_next_free_sgpr 0
		.amdhsa_accum_offset 4
		.amdhsa_reserve_vcc 0
		.amdhsa_reserve_flat_scratch 0
		.amdhsa_float_round_mode_32 0
		.amdhsa_float_round_mode_16_64 0
		.amdhsa_float_denorm_mode_32 3
		.amdhsa_float_denorm_mode_16_64 3
		.amdhsa_dx10_clamp 1
		.amdhsa_ieee_mode 1
		.amdhsa_fp16_overflow 0
		.amdhsa_tg_split 0
		.amdhsa_exception_fp_ieee_invalid_op 0
		.amdhsa_exception_fp_denorm_src 0
		.amdhsa_exception_fp_ieee_div_zero 0
		.amdhsa_exception_fp_ieee_overflow 0
		.amdhsa_exception_fp_ieee_underflow 0
		.amdhsa_exception_fp_ieee_inexact 0
		.amdhsa_exception_int_div_zero 0
	.end_amdhsa_kernel
	.section	.text._ZN7rocprim17ROCPRIM_400000_NS6detail17trampoline_kernelINS0_14default_configENS1_27scan_by_key_config_selectorIisEEZZNS1_16scan_by_key_implILNS1_25lookback_scan_determinismE0ELb1ES3_N6thrust23THRUST_200600_302600_NS6detail15normal_iteratorINS9_10device_ptrIiEEEENSB_INSC_IsEEEESG_sNS9_4plusIvEENS9_8equal_toIvEEsEE10hipError_tPvRmT2_T3_T4_T5_mT6_T7_P12ihipStream_tbENKUlT_T0_E_clISt17integral_constantIbLb0EES11_EEDaSW_SX_EUlSW_E_NS1_11comp_targetILNS1_3genE2ELNS1_11target_archE906ELNS1_3gpuE6ELNS1_3repE0EEENS1_30default_config_static_selectorELNS0_4arch9wavefront6targetE1EEEvT1_,"axG",@progbits,_ZN7rocprim17ROCPRIM_400000_NS6detail17trampoline_kernelINS0_14default_configENS1_27scan_by_key_config_selectorIisEEZZNS1_16scan_by_key_implILNS1_25lookback_scan_determinismE0ELb1ES3_N6thrust23THRUST_200600_302600_NS6detail15normal_iteratorINS9_10device_ptrIiEEEENSB_INSC_IsEEEESG_sNS9_4plusIvEENS9_8equal_toIvEEsEE10hipError_tPvRmT2_T3_T4_T5_mT6_T7_P12ihipStream_tbENKUlT_T0_E_clISt17integral_constantIbLb0EES11_EEDaSW_SX_EUlSW_E_NS1_11comp_targetILNS1_3genE2ELNS1_11target_archE906ELNS1_3gpuE6ELNS1_3repE0EEENS1_30default_config_static_selectorELNS0_4arch9wavefront6targetE1EEEvT1_,comdat
.Lfunc_end1612:
	.size	_ZN7rocprim17ROCPRIM_400000_NS6detail17trampoline_kernelINS0_14default_configENS1_27scan_by_key_config_selectorIisEEZZNS1_16scan_by_key_implILNS1_25lookback_scan_determinismE0ELb1ES3_N6thrust23THRUST_200600_302600_NS6detail15normal_iteratorINS9_10device_ptrIiEEEENSB_INSC_IsEEEESG_sNS9_4plusIvEENS9_8equal_toIvEEsEE10hipError_tPvRmT2_T3_T4_T5_mT6_T7_P12ihipStream_tbENKUlT_T0_E_clISt17integral_constantIbLb0EES11_EEDaSW_SX_EUlSW_E_NS1_11comp_targetILNS1_3genE2ELNS1_11target_archE906ELNS1_3gpuE6ELNS1_3repE0EEENS1_30default_config_static_selectorELNS0_4arch9wavefront6targetE1EEEvT1_, .Lfunc_end1612-_ZN7rocprim17ROCPRIM_400000_NS6detail17trampoline_kernelINS0_14default_configENS1_27scan_by_key_config_selectorIisEEZZNS1_16scan_by_key_implILNS1_25lookback_scan_determinismE0ELb1ES3_N6thrust23THRUST_200600_302600_NS6detail15normal_iteratorINS9_10device_ptrIiEEEENSB_INSC_IsEEEESG_sNS9_4plusIvEENS9_8equal_toIvEEsEE10hipError_tPvRmT2_T3_T4_T5_mT6_T7_P12ihipStream_tbENKUlT_T0_E_clISt17integral_constantIbLb0EES11_EEDaSW_SX_EUlSW_E_NS1_11comp_targetILNS1_3genE2ELNS1_11target_archE906ELNS1_3gpuE6ELNS1_3repE0EEENS1_30default_config_static_selectorELNS0_4arch9wavefront6targetE1EEEvT1_
                                        ; -- End function
	.section	.AMDGPU.csdata,"",@progbits
; Kernel info:
; codeLenInByte = 0
; NumSgprs: 4
; NumVgprs: 0
; NumAgprs: 0
; TotalNumVgprs: 0
; ScratchSize: 0
; MemoryBound: 0
; FloatMode: 240
; IeeeMode: 1
; LDSByteSize: 0 bytes/workgroup (compile time only)
; SGPRBlocks: 0
; VGPRBlocks: 0
; NumSGPRsForWavesPerEU: 4
; NumVGPRsForWavesPerEU: 1
; AccumOffset: 4
; Occupancy: 8
; WaveLimiterHint : 0
; COMPUTE_PGM_RSRC2:SCRATCH_EN: 0
; COMPUTE_PGM_RSRC2:USER_SGPR: 6
; COMPUTE_PGM_RSRC2:TRAP_HANDLER: 0
; COMPUTE_PGM_RSRC2:TGID_X_EN: 1
; COMPUTE_PGM_RSRC2:TGID_Y_EN: 0
; COMPUTE_PGM_RSRC2:TGID_Z_EN: 0
; COMPUTE_PGM_RSRC2:TIDIG_COMP_CNT: 0
; COMPUTE_PGM_RSRC3_GFX90A:ACCUM_OFFSET: 0
; COMPUTE_PGM_RSRC3_GFX90A:TG_SPLIT: 0
	.section	.text._ZN7rocprim17ROCPRIM_400000_NS6detail17trampoline_kernelINS0_14default_configENS1_27scan_by_key_config_selectorIisEEZZNS1_16scan_by_key_implILNS1_25lookback_scan_determinismE0ELb1ES3_N6thrust23THRUST_200600_302600_NS6detail15normal_iteratorINS9_10device_ptrIiEEEENSB_INSC_IsEEEESG_sNS9_4plusIvEENS9_8equal_toIvEEsEE10hipError_tPvRmT2_T3_T4_T5_mT6_T7_P12ihipStream_tbENKUlT_T0_E_clISt17integral_constantIbLb0EES11_EEDaSW_SX_EUlSW_E_NS1_11comp_targetILNS1_3genE10ELNS1_11target_archE1200ELNS1_3gpuE4ELNS1_3repE0EEENS1_30default_config_static_selectorELNS0_4arch9wavefront6targetE1EEEvT1_,"axG",@progbits,_ZN7rocprim17ROCPRIM_400000_NS6detail17trampoline_kernelINS0_14default_configENS1_27scan_by_key_config_selectorIisEEZZNS1_16scan_by_key_implILNS1_25lookback_scan_determinismE0ELb1ES3_N6thrust23THRUST_200600_302600_NS6detail15normal_iteratorINS9_10device_ptrIiEEEENSB_INSC_IsEEEESG_sNS9_4plusIvEENS9_8equal_toIvEEsEE10hipError_tPvRmT2_T3_T4_T5_mT6_T7_P12ihipStream_tbENKUlT_T0_E_clISt17integral_constantIbLb0EES11_EEDaSW_SX_EUlSW_E_NS1_11comp_targetILNS1_3genE10ELNS1_11target_archE1200ELNS1_3gpuE4ELNS1_3repE0EEENS1_30default_config_static_selectorELNS0_4arch9wavefront6targetE1EEEvT1_,comdat
	.protected	_ZN7rocprim17ROCPRIM_400000_NS6detail17trampoline_kernelINS0_14default_configENS1_27scan_by_key_config_selectorIisEEZZNS1_16scan_by_key_implILNS1_25lookback_scan_determinismE0ELb1ES3_N6thrust23THRUST_200600_302600_NS6detail15normal_iteratorINS9_10device_ptrIiEEEENSB_INSC_IsEEEESG_sNS9_4plusIvEENS9_8equal_toIvEEsEE10hipError_tPvRmT2_T3_T4_T5_mT6_T7_P12ihipStream_tbENKUlT_T0_E_clISt17integral_constantIbLb0EES11_EEDaSW_SX_EUlSW_E_NS1_11comp_targetILNS1_3genE10ELNS1_11target_archE1200ELNS1_3gpuE4ELNS1_3repE0EEENS1_30default_config_static_selectorELNS0_4arch9wavefront6targetE1EEEvT1_ ; -- Begin function _ZN7rocprim17ROCPRIM_400000_NS6detail17trampoline_kernelINS0_14default_configENS1_27scan_by_key_config_selectorIisEEZZNS1_16scan_by_key_implILNS1_25lookback_scan_determinismE0ELb1ES3_N6thrust23THRUST_200600_302600_NS6detail15normal_iteratorINS9_10device_ptrIiEEEENSB_INSC_IsEEEESG_sNS9_4plusIvEENS9_8equal_toIvEEsEE10hipError_tPvRmT2_T3_T4_T5_mT6_T7_P12ihipStream_tbENKUlT_T0_E_clISt17integral_constantIbLb0EES11_EEDaSW_SX_EUlSW_E_NS1_11comp_targetILNS1_3genE10ELNS1_11target_archE1200ELNS1_3gpuE4ELNS1_3repE0EEENS1_30default_config_static_selectorELNS0_4arch9wavefront6targetE1EEEvT1_
	.globl	_ZN7rocprim17ROCPRIM_400000_NS6detail17trampoline_kernelINS0_14default_configENS1_27scan_by_key_config_selectorIisEEZZNS1_16scan_by_key_implILNS1_25lookback_scan_determinismE0ELb1ES3_N6thrust23THRUST_200600_302600_NS6detail15normal_iteratorINS9_10device_ptrIiEEEENSB_INSC_IsEEEESG_sNS9_4plusIvEENS9_8equal_toIvEEsEE10hipError_tPvRmT2_T3_T4_T5_mT6_T7_P12ihipStream_tbENKUlT_T0_E_clISt17integral_constantIbLb0EES11_EEDaSW_SX_EUlSW_E_NS1_11comp_targetILNS1_3genE10ELNS1_11target_archE1200ELNS1_3gpuE4ELNS1_3repE0EEENS1_30default_config_static_selectorELNS0_4arch9wavefront6targetE1EEEvT1_
	.p2align	8
	.type	_ZN7rocprim17ROCPRIM_400000_NS6detail17trampoline_kernelINS0_14default_configENS1_27scan_by_key_config_selectorIisEEZZNS1_16scan_by_key_implILNS1_25lookback_scan_determinismE0ELb1ES3_N6thrust23THRUST_200600_302600_NS6detail15normal_iteratorINS9_10device_ptrIiEEEENSB_INSC_IsEEEESG_sNS9_4plusIvEENS9_8equal_toIvEEsEE10hipError_tPvRmT2_T3_T4_T5_mT6_T7_P12ihipStream_tbENKUlT_T0_E_clISt17integral_constantIbLb0EES11_EEDaSW_SX_EUlSW_E_NS1_11comp_targetILNS1_3genE10ELNS1_11target_archE1200ELNS1_3gpuE4ELNS1_3repE0EEENS1_30default_config_static_selectorELNS0_4arch9wavefront6targetE1EEEvT1_,@function
_ZN7rocprim17ROCPRIM_400000_NS6detail17trampoline_kernelINS0_14default_configENS1_27scan_by_key_config_selectorIisEEZZNS1_16scan_by_key_implILNS1_25lookback_scan_determinismE0ELb1ES3_N6thrust23THRUST_200600_302600_NS6detail15normal_iteratorINS9_10device_ptrIiEEEENSB_INSC_IsEEEESG_sNS9_4plusIvEENS9_8equal_toIvEEsEE10hipError_tPvRmT2_T3_T4_T5_mT6_T7_P12ihipStream_tbENKUlT_T0_E_clISt17integral_constantIbLb0EES11_EEDaSW_SX_EUlSW_E_NS1_11comp_targetILNS1_3genE10ELNS1_11target_archE1200ELNS1_3gpuE4ELNS1_3repE0EEENS1_30default_config_static_selectorELNS0_4arch9wavefront6targetE1EEEvT1_: ; @_ZN7rocprim17ROCPRIM_400000_NS6detail17trampoline_kernelINS0_14default_configENS1_27scan_by_key_config_selectorIisEEZZNS1_16scan_by_key_implILNS1_25lookback_scan_determinismE0ELb1ES3_N6thrust23THRUST_200600_302600_NS6detail15normal_iteratorINS9_10device_ptrIiEEEENSB_INSC_IsEEEESG_sNS9_4plusIvEENS9_8equal_toIvEEsEE10hipError_tPvRmT2_T3_T4_T5_mT6_T7_P12ihipStream_tbENKUlT_T0_E_clISt17integral_constantIbLb0EES11_EEDaSW_SX_EUlSW_E_NS1_11comp_targetILNS1_3genE10ELNS1_11target_archE1200ELNS1_3gpuE4ELNS1_3repE0EEENS1_30default_config_static_selectorELNS0_4arch9wavefront6targetE1EEEvT1_
; %bb.0:
	.section	.rodata,"a",@progbits
	.p2align	6, 0x0
	.amdhsa_kernel _ZN7rocprim17ROCPRIM_400000_NS6detail17trampoline_kernelINS0_14default_configENS1_27scan_by_key_config_selectorIisEEZZNS1_16scan_by_key_implILNS1_25lookback_scan_determinismE0ELb1ES3_N6thrust23THRUST_200600_302600_NS6detail15normal_iteratorINS9_10device_ptrIiEEEENSB_INSC_IsEEEESG_sNS9_4plusIvEENS9_8equal_toIvEEsEE10hipError_tPvRmT2_T3_T4_T5_mT6_T7_P12ihipStream_tbENKUlT_T0_E_clISt17integral_constantIbLb0EES11_EEDaSW_SX_EUlSW_E_NS1_11comp_targetILNS1_3genE10ELNS1_11target_archE1200ELNS1_3gpuE4ELNS1_3repE0EEENS1_30default_config_static_selectorELNS0_4arch9wavefront6targetE1EEEvT1_
		.amdhsa_group_segment_fixed_size 0
		.amdhsa_private_segment_fixed_size 0
		.amdhsa_kernarg_size 112
		.amdhsa_user_sgpr_count 6
		.amdhsa_user_sgpr_private_segment_buffer 1
		.amdhsa_user_sgpr_dispatch_ptr 0
		.amdhsa_user_sgpr_queue_ptr 0
		.amdhsa_user_sgpr_kernarg_segment_ptr 1
		.amdhsa_user_sgpr_dispatch_id 0
		.amdhsa_user_sgpr_flat_scratch_init 0
		.amdhsa_user_sgpr_kernarg_preload_length 0
		.amdhsa_user_sgpr_kernarg_preload_offset 0
		.amdhsa_user_sgpr_private_segment_size 0
		.amdhsa_uses_dynamic_stack 0
		.amdhsa_system_sgpr_private_segment_wavefront_offset 0
		.amdhsa_system_sgpr_workgroup_id_x 1
		.amdhsa_system_sgpr_workgroup_id_y 0
		.amdhsa_system_sgpr_workgroup_id_z 0
		.amdhsa_system_sgpr_workgroup_info 0
		.amdhsa_system_vgpr_workitem_id 0
		.amdhsa_next_free_vgpr 1
		.amdhsa_next_free_sgpr 0
		.amdhsa_accum_offset 4
		.amdhsa_reserve_vcc 0
		.amdhsa_reserve_flat_scratch 0
		.amdhsa_float_round_mode_32 0
		.amdhsa_float_round_mode_16_64 0
		.amdhsa_float_denorm_mode_32 3
		.amdhsa_float_denorm_mode_16_64 3
		.amdhsa_dx10_clamp 1
		.amdhsa_ieee_mode 1
		.amdhsa_fp16_overflow 0
		.amdhsa_tg_split 0
		.amdhsa_exception_fp_ieee_invalid_op 0
		.amdhsa_exception_fp_denorm_src 0
		.amdhsa_exception_fp_ieee_div_zero 0
		.amdhsa_exception_fp_ieee_overflow 0
		.amdhsa_exception_fp_ieee_underflow 0
		.amdhsa_exception_fp_ieee_inexact 0
		.amdhsa_exception_int_div_zero 0
	.end_amdhsa_kernel
	.section	.text._ZN7rocprim17ROCPRIM_400000_NS6detail17trampoline_kernelINS0_14default_configENS1_27scan_by_key_config_selectorIisEEZZNS1_16scan_by_key_implILNS1_25lookback_scan_determinismE0ELb1ES3_N6thrust23THRUST_200600_302600_NS6detail15normal_iteratorINS9_10device_ptrIiEEEENSB_INSC_IsEEEESG_sNS9_4plusIvEENS9_8equal_toIvEEsEE10hipError_tPvRmT2_T3_T4_T5_mT6_T7_P12ihipStream_tbENKUlT_T0_E_clISt17integral_constantIbLb0EES11_EEDaSW_SX_EUlSW_E_NS1_11comp_targetILNS1_3genE10ELNS1_11target_archE1200ELNS1_3gpuE4ELNS1_3repE0EEENS1_30default_config_static_selectorELNS0_4arch9wavefront6targetE1EEEvT1_,"axG",@progbits,_ZN7rocprim17ROCPRIM_400000_NS6detail17trampoline_kernelINS0_14default_configENS1_27scan_by_key_config_selectorIisEEZZNS1_16scan_by_key_implILNS1_25lookback_scan_determinismE0ELb1ES3_N6thrust23THRUST_200600_302600_NS6detail15normal_iteratorINS9_10device_ptrIiEEEENSB_INSC_IsEEEESG_sNS9_4plusIvEENS9_8equal_toIvEEsEE10hipError_tPvRmT2_T3_T4_T5_mT6_T7_P12ihipStream_tbENKUlT_T0_E_clISt17integral_constantIbLb0EES11_EEDaSW_SX_EUlSW_E_NS1_11comp_targetILNS1_3genE10ELNS1_11target_archE1200ELNS1_3gpuE4ELNS1_3repE0EEENS1_30default_config_static_selectorELNS0_4arch9wavefront6targetE1EEEvT1_,comdat
.Lfunc_end1613:
	.size	_ZN7rocprim17ROCPRIM_400000_NS6detail17trampoline_kernelINS0_14default_configENS1_27scan_by_key_config_selectorIisEEZZNS1_16scan_by_key_implILNS1_25lookback_scan_determinismE0ELb1ES3_N6thrust23THRUST_200600_302600_NS6detail15normal_iteratorINS9_10device_ptrIiEEEENSB_INSC_IsEEEESG_sNS9_4plusIvEENS9_8equal_toIvEEsEE10hipError_tPvRmT2_T3_T4_T5_mT6_T7_P12ihipStream_tbENKUlT_T0_E_clISt17integral_constantIbLb0EES11_EEDaSW_SX_EUlSW_E_NS1_11comp_targetILNS1_3genE10ELNS1_11target_archE1200ELNS1_3gpuE4ELNS1_3repE0EEENS1_30default_config_static_selectorELNS0_4arch9wavefront6targetE1EEEvT1_, .Lfunc_end1613-_ZN7rocprim17ROCPRIM_400000_NS6detail17trampoline_kernelINS0_14default_configENS1_27scan_by_key_config_selectorIisEEZZNS1_16scan_by_key_implILNS1_25lookback_scan_determinismE0ELb1ES3_N6thrust23THRUST_200600_302600_NS6detail15normal_iteratorINS9_10device_ptrIiEEEENSB_INSC_IsEEEESG_sNS9_4plusIvEENS9_8equal_toIvEEsEE10hipError_tPvRmT2_T3_T4_T5_mT6_T7_P12ihipStream_tbENKUlT_T0_E_clISt17integral_constantIbLb0EES11_EEDaSW_SX_EUlSW_E_NS1_11comp_targetILNS1_3genE10ELNS1_11target_archE1200ELNS1_3gpuE4ELNS1_3repE0EEENS1_30default_config_static_selectorELNS0_4arch9wavefront6targetE1EEEvT1_
                                        ; -- End function
	.section	.AMDGPU.csdata,"",@progbits
; Kernel info:
; codeLenInByte = 0
; NumSgprs: 4
; NumVgprs: 0
; NumAgprs: 0
; TotalNumVgprs: 0
; ScratchSize: 0
; MemoryBound: 0
; FloatMode: 240
; IeeeMode: 1
; LDSByteSize: 0 bytes/workgroup (compile time only)
; SGPRBlocks: 0
; VGPRBlocks: 0
; NumSGPRsForWavesPerEU: 4
; NumVGPRsForWavesPerEU: 1
; AccumOffset: 4
; Occupancy: 8
; WaveLimiterHint : 0
; COMPUTE_PGM_RSRC2:SCRATCH_EN: 0
; COMPUTE_PGM_RSRC2:USER_SGPR: 6
; COMPUTE_PGM_RSRC2:TRAP_HANDLER: 0
; COMPUTE_PGM_RSRC2:TGID_X_EN: 1
; COMPUTE_PGM_RSRC2:TGID_Y_EN: 0
; COMPUTE_PGM_RSRC2:TGID_Z_EN: 0
; COMPUTE_PGM_RSRC2:TIDIG_COMP_CNT: 0
; COMPUTE_PGM_RSRC3_GFX90A:ACCUM_OFFSET: 0
; COMPUTE_PGM_RSRC3_GFX90A:TG_SPLIT: 0
	.section	.text._ZN7rocprim17ROCPRIM_400000_NS6detail17trampoline_kernelINS0_14default_configENS1_27scan_by_key_config_selectorIisEEZZNS1_16scan_by_key_implILNS1_25lookback_scan_determinismE0ELb1ES3_N6thrust23THRUST_200600_302600_NS6detail15normal_iteratorINS9_10device_ptrIiEEEENSB_INSC_IsEEEESG_sNS9_4plusIvEENS9_8equal_toIvEEsEE10hipError_tPvRmT2_T3_T4_T5_mT6_T7_P12ihipStream_tbENKUlT_T0_E_clISt17integral_constantIbLb0EES11_EEDaSW_SX_EUlSW_E_NS1_11comp_targetILNS1_3genE9ELNS1_11target_archE1100ELNS1_3gpuE3ELNS1_3repE0EEENS1_30default_config_static_selectorELNS0_4arch9wavefront6targetE1EEEvT1_,"axG",@progbits,_ZN7rocprim17ROCPRIM_400000_NS6detail17trampoline_kernelINS0_14default_configENS1_27scan_by_key_config_selectorIisEEZZNS1_16scan_by_key_implILNS1_25lookback_scan_determinismE0ELb1ES3_N6thrust23THRUST_200600_302600_NS6detail15normal_iteratorINS9_10device_ptrIiEEEENSB_INSC_IsEEEESG_sNS9_4plusIvEENS9_8equal_toIvEEsEE10hipError_tPvRmT2_T3_T4_T5_mT6_T7_P12ihipStream_tbENKUlT_T0_E_clISt17integral_constantIbLb0EES11_EEDaSW_SX_EUlSW_E_NS1_11comp_targetILNS1_3genE9ELNS1_11target_archE1100ELNS1_3gpuE3ELNS1_3repE0EEENS1_30default_config_static_selectorELNS0_4arch9wavefront6targetE1EEEvT1_,comdat
	.protected	_ZN7rocprim17ROCPRIM_400000_NS6detail17trampoline_kernelINS0_14default_configENS1_27scan_by_key_config_selectorIisEEZZNS1_16scan_by_key_implILNS1_25lookback_scan_determinismE0ELb1ES3_N6thrust23THRUST_200600_302600_NS6detail15normal_iteratorINS9_10device_ptrIiEEEENSB_INSC_IsEEEESG_sNS9_4plusIvEENS9_8equal_toIvEEsEE10hipError_tPvRmT2_T3_T4_T5_mT6_T7_P12ihipStream_tbENKUlT_T0_E_clISt17integral_constantIbLb0EES11_EEDaSW_SX_EUlSW_E_NS1_11comp_targetILNS1_3genE9ELNS1_11target_archE1100ELNS1_3gpuE3ELNS1_3repE0EEENS1_30default_config_static_selectorELNS0_4arch9wavefront6targetE1EEEvT1_ ; -- Begin function _ZN7rocprim17ROCPRIM_400000_NS6detail17trampoline_kernelINS0_14default_configENS1_27scan_by_key_config_selectorIisEEZZNS1_16scan_by_key_implILNS1_25lookback_scan_determinismE0ELb1ES3_N6thrust23THRUST_200600_302600_NS6detail15normal_iteratorINS9_10device_ptrIiEEEENSB_INSC_IsEEEESG_sNS9_4plusIvEENS9_8equal_toIvEEsEE10hipError_tPvRmT2_T3_T4_T5_mT6_T7_P12ihipStream_tbENKUlT_T0_E_clISt17integral_constantIbLb0EES11_EEDaSW_SX_EUlSW_E_NS1_11comp_targetILNS1_3genE9ELNS1_11target_archE1100ELNS1_3gpuE3ELNS1_3repE0EEENS1_30default_config_static_selectorELNS0_4arch9wavefront6targetE1EEEvT1_
	.globl	_ZN7rocprim17ROCPRIM_400000_NS6detail17trampoline_kernelINS0_14default_configENS1_27scan_by_key_config_selectorIisEEZZNS1_16scan_by_key_implILNS1_25lookback_scan_determinismE0ELb1ES3_N6thrust23THRUST_200600_302600_NS6detail15normal_iteratorINS9_10device_ptrIiEEEENSB_INSC_IsEEEESG_sNS9_4plusIvEENS9_8equal_toIvEEsEE10hipError_tPvRmT2_T3_T4_T5_mT6_T7_P12ihipStream_tbENKUlT_T0_E_clISt17integral_constantIbLb0EES11_EEDaSW_SX_EUlSW_E_NS1_11comp_targetILNS1_3genE9ELNS1_11target_archE1100ELNS1_3gpuE3ELNS1_3repE0EEENS1_30default_config_static_selectorELNS0_4arch9wavefront6targetE1EEEvT1_
	.p2align	8
	.type	_ZN7rocprim17ROCPRIM_400000_NS6detail17trampoline_kernelINS0_14default_configENS1_27scan_by_key_config_selectorIisEEZZNS1_16scan_by_key_implILNS1_25lookback_scan_determinismE0ELb1ES3_N6thrust23THRUST_200600_302600_NS6detail15normal_iteratorINS9_10device_ptrIiEEEENSB_INSC_IsEEEESG_sNS9_4plusIvEENS9_8equal_toIvEEsEE10hipError_tPvRmT2_T3_T4_T5_mT6_T7_P12ihipStream_tbENKUlT_T0_E_clISt17integral_constantIbLb0EES11_EEDaSW_SX_EUlSW_E_NS1_11comp_targetILNS1_3genE9ELNS1_11target_archE1100ELNS1_3gpuE3ELNS1_3repE0EEENS1_30default_config_static_selectorELNS0_4arch9wavefront6targetE1EEEvT1_,@function
_ZN7rocprim17ROCPRIM_400000_NS6detail17trampoline_kernelINS0_14default_configENS1_27scan_by_key_config_selectorIisEEZZNS1_16scan_by_key_implILNS1_25lookback_scan_determinismE0ELb1ES3_N6thrust23THRUST_200600_302600_NS6detail15normal_iteratorINS9_10device_ptrIiEEEENSB_INSC_IsEEEESG_sNS9_4plusIvEENS9_8equal_toIvEEsEE10hipError_tPvRmT2_T3_T4_T5_mT6_T7_P12ihipStream_tbENKUlT_T0_E_clISt17integral_constantIbLb0EES11_EEDaSW_SX_EUlSW_E_NS1_11comp_targetILNS1_3genE9ELNS1_11target_archE1100ELNS1_3gpuE3ELNS1_3repE0EEENS1_30default_config_static_selectorELNS0_4arch9wavefront6targetE1EEEvT1_: ; @_ZN7rocprim17ROCPRIM_400000_NS6detail17trampoline_kernelINS0_14default_configENS1_27scan_by_key_config_selectorIisEEZZNS1_16scan_by_key_implILNS1_25lookback_scan_determinismE0ELb1ES3_N6thrust23THRUST_200600_302600_NS6detail15normal_iteratorINS9_10device_ptrIiEEEENSB_INSC_IsEEEESG_sNS9_4plusIvEENS9_8equal_toIvEEsEE10hipError_tPvRmT2_T3_T4_T5_mT6_T7_P12ihipStream_tbENKUlT_T0_E_clISt17integral_constantIbLb0EES11_EEDaSW_SX_EUlSW_E_NS1_11comp_targetILNS1_3genE9ELNS1_11target_archE1100ELNS1_3gpuE3ELNS1_3repE0EEENS1_30default_config_static_selectorELNS0_4arch9wavefront6targetE1EEEvT1_
; %bb.0:
	.section	.rodata,"a",@progbits
	.p2align	6, 0x0
	.amdhsa_kernel _ZN7rocprim17ROCPRIM_400000_NS6detail17trampoline_kernelINS0_14default_configENS1_27scan_by_key_config_selectorIisEEZZNS1_16scan_by_key_implILNS1_25lookback_scan_determinismE0ELb1ES3_N6thrust23THRUST_200600_302600_NS6detail15normal_iteratorINS9_10device_ptrIiEEEENSB_INSC_IsEEEESG_sNS9_4plusIvEENS9_8equal_toIvEEsEE10hipError_tPvRmT2_T3_T4_T5_mT6_T7_P12ihipStream_tbENKUlT_T0_E_clISt17integral_constantIbLb0EES11_EEDaSW_SX_EUlSW_E_NS1_11comp_targetILNS1_3genE9ELNS1_11target_archE1100ELNS1_3gpuE3ELNS1_3repE0EEENS1_30default_config_static_selectorELNS0_4arch9wavefront6targetE1EEEvT1_
		.amdhsa_group_segment_fixed_size 0
		.amdhsa_private_segment_fixed_size 0
		.amdhsa_kernarg_size 112
		.amdhsa_user_sgpr_count 6
		.amdhsa_user_sgpr_private_segment_buffer 1
		.amdhsa_user_sgpr_dispatch_ptr 0
		.amdhsa_user_sgpr_queue_ptr 0
		.amdhsa_user_sgpr_kernarg_segment_ptr 1
		.amdhsa_user_sgpr_dispatch_id 0
		.amdhsa_user_sgpr_flat_scratch_init 0
		.amdhsa_user_sgpr_kernarg_preload_length 0
		.amdhsa_user_sgpr_kernarg_preload_offset 0
		.amdhsa_user_sgpr_private_segment_size 0
		.amdhsa_uses_dynamic_stack 0
		.amdhsa_system_sgpr_private_segment_wavefront_offset 0
		.amdhsa_system_sgpr_workgroup_id_x 1
		.amdhsa_system_sgpr_workgroup_id_y 0
		.amdhsa_system_sgpr_workgroup_id_z 0
		.amdhsa_system_sgpr_workgroup_info 0
		.amdhsa_system_vgpr_workitem_id 0
		.amdhsa_next_free_vgpr 1
		.amdhsa_next_free_sgpr 0
		.amdhsa_accum_offset 4
		.amdhsa_reserve_vcc 0
		.amdhsa_reserve_flat_scratch 0
		.amdhsa_float_round_mode_32 0
		.amdhsa_float_round_mode_16_64 0
		.amdhsa_float_denorm_mode_32 3
		.amdhsa_float_denorm_mode_16_64 3
		.amdhsa_dx10_clamp 1
		.amdhsa_ieee_mode 1
		.amdhsa_fp16_overflow 0
		.amdhsa_tg_split 0
		.amdhsa_exception_fp_ieee_invalid_op 0
		.amdhsa_exception_fp_denorm_src 0
		.amdhsa_exception_fp_ieee_div_zero 0
		.amdhsa_exception_fp_ieee_overflow 0
		.amdhsa_exception_fp_ieee_underflow 0
		.amdhsa_exception_fp_ieee_inexact 0
		.amdhsa_exception_int_div_zero 0
	.end_amdhsa_kernel
	.section	.text._ZN7rocprim17ROCPRIM_400000_NS6detail17trampoline_kernelINS0_14default_configENS1_27scan_by_key_config_selectorIisEEZZNS1_16scan_by_key_implILNS1_25lookback_scan_determinismE0ELb1ES3_N6thrust23THRUST_200600_302600_NS6detail15normal_iteratorINS9_10device_ptrIiEEEENSB_INSC_IsEEEESG_sNS9_4plusIvEENS9_8equal_toIvEEsEE10hipError_tPvRmT2_T3_T4_T5_mT6_T7_P12ihipStream_tbENKUlT_T0_E_clISt17integral_constantIbLb0EES11_EEDaSW_SX_EUlSW_E_NS1_11comp_targetILNS1_3genE9ELNS1_11target_archE1100ELNS1_3gpuE3ELNS1_3repE0EEENS1_30default_config_static_selectorELNS0_4arch9wavefront6targetE1EEEvT1_,"axG",@progbits,_ZN7rocprim17ROCPRIM_400000_NS6detail17trampoline_kernelINS0_14default_configENS1_27scan_by_key_config_selectorIisEEZZNS1_16scan_by_key_implILNS1_25lookback_scan_determinismE0ELb1ES3_N6thrust23THRUST_200600_302600_NS6detail15normal_iteratorINS9_10device_ptrIiEEEENSB_INSC_IsEEEESG_sNS9_4plusIvEENS9_8equal_toIvEEsEE10hipError_tPvRmT2_T3_T4_T5_mT6_T7_P12ihipStream_tbENKUlT_T0_E_clISt17integral_constantIbLb0EES11_EEDaSW_SX_EUlSW_E_NS1_11comp_targetILNS1_3genE9ELNS1_11target_archE1100ELNS1_3gpuE3ELNS1_3repE0EEENS1_30default_config_static_selectorELNS0_4arch9wavefront6targetE1EEEvT1_,comdat
.Lfunc_end1614:
	.size	_ZN7rocprim17ROCPRIM_400000_NS6detail17trampoline_kernelINS0_14default_configENS1_27scan_by_key_config_selectorIisEEZZNS1_16scan_by_key_implILNS1_25lookback_scan_determinismE0ELb1ES3_N6thrust23THRUST_200600_302600_NS6detail15normal_iteratorINS9_10device_ptrIiEEEENSB_INSC_IsEEEESG_sNS9_4plusIvEENS9_8equal_toIvEEsEE10hipError_tPvRmT2_T3_T4_T5_mT6_T7_P12ihipStream_tbENKUlT_T0_E_clISt17integral_constantIbLb0EES11_EEDaSW_SX_EUlSW_E_NS1_11comp_targetILNS1_3genE9ELNS1_11target_archE1100ELNS1_3gpuE3ELNS1_3repE0EEENS1_30default_config_static_selectorELNS0_4arch9wavefront6targetE1EEEvT1_, .Lfunc_end1614-_ZN7rocprim17ROCPRIM_400000_NS6detail17trampoline_kernelINS0_14default_configENS1_27scan_by_key_config_selectorIisEEZZNS1_16scan_by_key_implILNS1_25lookback_scan_determinismE0ELb1ES3_N6thrust23THRUST_200600_302600_NS6detail15normal_iteratorINS9_10device_ptrIiEEEENSB_INSC_IsEEEESG_sNS9_4plusIvEENS9_8equal_toIvEEsEE10hipError_tPvRmT2_T3_T4_T5_mT6_T7_P12ihipStream_tbENKUlT_T0_E_clISt17integral_constantIbLb0EES11_EEDaSW_SX_EUlSW_E_NS1_11comp_targetILNS1_3genE9ELNS1_11target_archE1100ELNS1_3gpuE3ELNS1_3repE0EEENS1_30default_config_static_selectorELNS0_4arch9wavefront6targetE1EEEvT1_
                                        ; -- End function
	.section	.AMDGPU.csdata,"",@progbits
; Kernel info:
; codeLenInByte = 0
; NumSgprs: 4
; NumVgprs: 0
; NumAgprs: 0
; TotalNumVgprs: 0
; ScratchSize: 0
; MemoryBound: 0
; FloatMode: 240
; IeeeMode: 1
; LDSByteSize: 0 bytes/workgroup (compile time only)
; SGPRBlocks: 0
; VGPRBlocks: 0
; NumSGPRsForWavesPerEU: 4
; NumVGPRsForWavesPerEU: 1
; AccumOffset: 4
; Occupancy: 8
; WaveLimiterHint : 0
; COMPUTE_PGM_RSRC2:SCRATCH_EN: 0
; COMPUTE_PGM_RSRC2:USER_SGPR: 6
; COMPUTE_PGM_RSRC2:TRAP_HANDLER: 0
; COMPUTE_PGM_RSRC2:TGID_X_EN: 1
; COMPUTE_PGM_RSRC2:TGID_Y_EN: 0
; COMPUTE_PGM_RSRC2:TGID_Z_EN: 0
; COMPUTE_PGM_RSRC2:TIDIG_COMP_CNT: 0
; COMPUTE_PGM_RSRC3_GFX90A:ACCUM_OFFSET: 0
; COMPUTE_PGM_RSRC3_GFX90A:TG_SPLIT: 0
	.section	.text._ZN7rocprim17ROCPRIM_400000_NS6detail17trampoline_kernelINS0_14default_configENS1_27scan_by_key_config_selectorIisEEZZNS1_16scan_by_key_implILNS1_25lookback_scan_determinismE0ELb1ES3_N6thrust23THRUST_200600_302600_NS6detail15normal_iteratorINS9_10device_ptrIiEEEENSB_INSC_IsEEEESG_sNS9_4plusIvEENS9_8equal_toIvEEsEE10hipError_tPvRmT2_T3_T4_T5_mT6_T7_P12ihipStream_tbENKUlT_T0_E_clISt17integral_constantIbLb0EES11_EEDaSW_SX_EUlSW_E_NS1_11comp_targetILNS1_3genE8ELNS1_11target_archE1030ELNS1_3gpuE2ELNS1_3repE0EEENS1_30default_config_static_selectorELNS0_4arch9wavefront6targetE1EEEvT1_,"axG",@progbits,_ZN7rocprim17ROCPRIM_400000_NS6detail17trampoline_kernelINS0_14default_configENS1_27scan_by_key_config_selectorIisEEZZNS1_16scan_by_key_implILNS1_25lookback_scan_determinismE0ELb1ES3_N6thrust23THRUST_200600_302600_NS6detail15normal_iteratorINS9_10device_ptrIiEEEENSB_INSC_IsEEEESG_sNS9_4plusIvEENS9_8equal_toIvEEsEE10hipError_tPvRmT2_T3_T4_T5_mT6_T7_P12ihipStream_tbENKUlT_T0_E_clISt17integral_constantIbLb0EES11_EEDaSW_SX_EUlSW_E_NS1_11comp_targetILNS1_3genE8ELNS1_11target_archE1030ELNS1_3gpuE2ELNS1_3repE0EEENS1_30default_config_static_selectorELNS0_4arch9wavefront6targetE1EEEvT1_,comdat
	.protected	_ZN7rocprim17ROCPRIM_400000_NS6detail17trampoline_kernelINS0_14default_configENS1_27scan_by_key_config_selectorIisEEZZNS1_16scan_by_key_implILNS1_25lookback_scan_determinismE0ELb1ES3_N6thrust23THRUST_200600_302600_NS6detail15normal_iteratorINS9_10device_ptrIiEEEENSB_INSC_IsEEEESG_sNS9_4plusIvEENS9_8equal_toIvEEsEE10hipError_tPvRmT2_T3_T4_T5_mT6_T7_P12ihipStream_tbENKUlT_T0_E_clISt17integral_constantIbLb0EES11_EEDaSW_SX_EUlSW_E_NS1_11comp_targetILNS1_3genE8ELNS1_11target_archE1030ELNS1_3gpuE2ELNS1_3repE0EEENS1_30default_config_static_selectorELNS0_4arch9wavefront6targetE1EEEvT1_ ; -- Begin function _ZN7rocprim17ROCPRIM_400000_NS6detail17trampoline_kernelINS0_14default_configENS1_27scan_by_key_config_selectorIisEEZZNS1_16scan_by_key_implILNS1_25lookback_scan_determinismE0ELb1ES3_N6thrust23THRUST_200600_302600_NS6detail15normal_iteratorINS9_10device_ptrIiEEEENSB_INSC_IsEEEESG_sNS9_4plusIvEENS9_8equal_toIvEEsEE10hipError_tPvRmT2_T3_T4_T5_mT6_T7_P12ihipStream_tbENKUlT_T0_E_clISt17integral_constantIbLb0EES11_EEDaSW_SX_EUlSW_E_NS1_11comp_targetILNS1_3genE8ELNS1_11target_archE1030ELNS1_3gpuE2ELNS1_3repE0EEENS1_30default_config_static_selectorELNS0_4arch9wavefront6targetE1EEEvT1_
	.globl	_ZN7rocprim17ROCPRIM_400000_NS6detail17trampoline_kernelINS0_14default_configENS1_27scan_by_key_config_selectorIisEEZZNS1_16scan_by_key_implILNS1_25lookback_scan_determinismE0ELb1ES3_N6thrust23THRUST_200600_302600_NS6detail15normal_iteratorINS9_10device_ptrIiEEEENSB_INSC_IsEEEESG_sNS9_4plusIvEENS9_8equal_toIvEEsEE10hipError_tPvRmT2_T3_T4_T5_mT6_T7_P12ihipStream_tbENKUlT_T0_E_clISt17integral_constantIbLb0EES11_EEDaSW_SX_EUlSW_E_NS1_11comp_targetILNS1_3genE8ELNS1_11target_archE1030ELNS1_3gpuE2ELNS1_3repE0EEENS1_30default_config_static_selectorELNS0_4arch9wavefront6targetE1EEEvT1_
	.p2align	8
	.type	_ZN7rocprim17ROCPRIM_400000_NS6detail17trampoline_kernelINS0_14default_configENS1_27scan_by_key_config_selectorIisEEZZNS1_16scan_by_key_implILNS1_25lookback_scan_determinismE0ELb1ES3_N6thrust23THRUST_200600_302600_NS6detail15normal_iteratorINS9_10device_ptrIiEEEENSB_INSC_IsEEEESG_sNS9_4plusIvEENS9_8equal_toIvEEsEE10hipError_tPvRmT2_T3_T4_T5_mT6_T7_P12ihipStream_tbENKUlT_T0_E_clISt17integral_constantIbLb0EES11_EEDaSW_SX_EUlSW_E_NS1_11comp_targetILNS1_3genE8ELNS1_11target_archE1030ELNS1_3gpuE2ELNS1_3repE0EEENS1_30default_config_static_selectorELNS0_4arch9wavefront6targetE1EEEvT1_,@function
_ZN7rocprim17ROCPRIM_400000_NS6detail17trampoline_kernelINS0_14default_configENS1_27scan_by_key_config_selectorIisEEZZNS1_16scan_by_key_implILNS1_25lookback_scan_determinismE0ELb1ES3_N6thrust23THRUST_200600_302600_NS6detail15normal_iteratorINS9_10device_ptrIiEEEENSB_INSC_IsEEEESG_sNS9_4plusIvEENS9_8equal_toIvEEsEE10hipError_tPvRmT2_T3_T4_T5_mT6_T7_P12ihipStream_tbENKUlT_T0_E_clISt17integral_constantIbLb0EES11_EEDaSW_SX_EUlSW_E_NS1_11comp_targetILNS1_3genE8ELNS1_11target_archE1030ELNS1_3gpuE2ELNS1_3repE0EEENS1_30default_config_static_selectorELNS0_4arch9wavefront6targetE1EEEvT1_: ; @_ZN7rocprim17ROCPRIM_400000_NS6detail17trampoline_kernelINS0_14default_configENS1_27scan_by_key_config_selectorIisEEZZNS1_16scan_by_key_implILNS1_25lookback_scan_determinismE0ELb1ES3_N6thrust23THRUST_200600_302600_NS6detail15normal_iteratorINS9_10device_ptrIiEEEENSB_INSC_IsEEEESG_sNS9_4plusIvEENS9_8equal_toIvEEsEE10hipError_tPvRmT2_T3_T4_T5_mT6_T7_P12ihipStream_tbENKUlT_T0_E_clISt17integral_constantIbLb0EES11_EEDaSW_SX_EUlSW_E_NS1_11comp_targetILNS1_3genE8ELNS1_11target_archE1030ELNS1_3gpuE2ELNS1_3repE0EEENS1_30default_config_static_selectorELNS0_4arch9wavefront6targetE1EEEvT1_
; %bb.0:
	.section	.rodata,"a",@progbits
	.p2align	6, 0x0
	.amdhsa_kernel _ZN7rocprim17ROCPRIM_400000_NS6detail17trampoline_kernelINS0_14default_configENS1_27scan_by_key_config_selectorIisEEZZNS1_16scan_by_key_implILNS1_25lookback_scan_determinismE0ELb1ES3_N6thrust23THRUST_200600_302600_NS6detail15normal_iteratorINS9_10device_ptrIiEEEENSB_INSC_IsEEEESG_sNS9_4plusIvEENS9_8equal_toIvEEsEE10hipError_tPvRmT2_T3_T4_T5_mT6_T7_P12ihipStream_tbENKUlT_T0_E_clISt17integral_constantIbLb0EES11_EEDaSW_SX_EUlSW_E_NS1_11comp_targetILNS1_3genE8ELNS1_11target_archE1030ELNS1_3gpuE2ELNS1_3repE0EEENS1_30default_config_static_selectorELNS0_4arch9wavefront6targetE1EEEvT1_
		.amdhsa_group_segment_fixed_size 0
		.amdhsa_private_segment_fixed_size 0
		.amdhsa_kernarg_size 112
		.amdhsa_user_sgpr_count 6
		.amdhsa_user_sgpr_private_segment_buffer 1
		.amdhsa_user_sgpr_dispatch_ptr 0
		.amdhsa_user_sgpr_queue_ptr 0
		.amdhsa_user_sgpr_kernarg_segment_ptr 1
		.amdhsa_user_sgpr_dispatch_id 0
		.amdhsa_user_sgpr_flat_scratch_init 0
		.amdhsa_user_sgpr_kernarg_preload_length 0
		.amdhsa_user_sgpr_kernarg_preload_offset 0
		.amdhsa_user_sgpr_private_segment_size 0
		.amdhsa_uses_dynamic_stack 0
		.amdhsa_system_sgpr_private_segment_wavefront_offset 0
		.amdhsa_system_sgpr_workgroup_id_x 1
		.amdhsa_system_sgpr_workgroup_id_y 0
		.amdhsa_system_sgpr_workgroup_id_z 0
		.amdhsa_system_sgpr_workgroup_info 0
		.amdhsa_system_vgpr_workitem_id 0
		.amdhsa_next_free_vgpr 1
		.amdhsa_next_free_sgpr 0
		.amdhsa_accum_offset 4
		.amdhsa_reserve_vcc 0
		.amdhsa_reserve_flat_scratch 0
		.amdhsa_float_round_mode_32 0
		.amdhsa_float_round_mode_16_64 0
		.amdhsa_float_denorm_mode_32 3
		.amdhsa_float_denorm_mode_16_64 3
		.amdhsa_dx10_clamp 1
		.amdhsa_ieee_mode 1
		.amdhsa_fp16_overflow 0
		.amdhsa_tg_split 0
		.amdhsa_exception_fp_ieee_invalid_op 0
		.amdhsa_exception_fp_denorm_src 0
		.amdhsa_exception_fp_ieee_div_zero 0
		.amdhsa_exception_fp_ieee_overflow 0
		.amdhsa_exception_fp_ieee_underflow 0
		.amdhsa_exception_fp_ieee_inexact 0
		.amdhsa_exception_int_div_zero 0
	.end_amdhsa_kernel
	.section	.text._ZN7rocprim17ROCPRIM_400000_NS6detail17trampoline_kernelINS0_14default_configENS1_27scan_by_key_config_selectorIisEEZZNS1_16scan_by_key_implILNS1_25lookback_scan_determinismE0ELb1ES3_N6thrust23THRUST_200600_302600_NS6detail15normal_iteratorINS9_10device_ptrIiEEEENSB_INSC_IsEEEESG_sNS9_4plusIvEENS9_8equal_toIvEEsEE10hipError_tPvRmT2_T3_T4_T5_mT6_T7_P12ihipStream_tbENKUlT_T0_E_clISt17integral_constantIbLb0EES11_EEDaSW_SX_EUlSW_E_NS1_11comp_targetILNS1_3genE8ELNS1_11target_archE1030ELNS1_3gpuE2ELNS1_3repE0EEENS1_30default_config_static_selectorELNS0_4arch9wavefront6targetE1EEEvT1_,"axG",@progbits,_ZN7rocprim17ROCPRIM_400000_NS6detail17trampoline_kernelINS0_14default_configENS1_27scan_by_key_config_selectorIisEEZZNS1_16scan_by_key_implILNS1_25lookback_scan_determinismE0ELb1ES3_N6thrust23THRUST_200600_302600_NS6detail15normal_iteratorINS9_10device_ptrIiEEEENSB_INSC_IsEEEESG_sNS9_4plusIvEENS9_8equal_toIvEEsEE10hipError_tPvRmT2_T3_T4_T5_mT6_T7_P12ihipStream_tbENKUlT_T0_E_clISt17integral_constantIbLb0EES11_EEDaSW_SX_EUlSW_E_NS1_11comp_targetILNS1_3genE8ELNS1_11target_archE1030ELNS1_3gpuE2ELNS1_3repE0EEENS1_30default_config_static_selectorELNS0_4arch9wavefront6targetE1EEEvT1_,comdat
.Lfunc_end1615:
	.size	_ZN7rocprim17ROCPRIM_400000_NS6detail17trampoline_kernelINS0_14default_configENS1_27scan_by_key_config_selectorIisEEZZNS1_16scan_by_key_implILNS1_25lookback_scan_determinismE0ELb1ES3_N6thrust23THRUST_200600_302600_NS6detail15normal_iteratorINS9_10device_ptrIiEEEENSB_INSC_IsEEEESG_sNS9_4plusIvEENS9_8equal_toIvEEsEE10hipError_tPvRmT2_T3_T4_T5_mT6_T7_P12ihipStream_tbENKUlT_T0_E_clISt17integral_constantIbLb0EES11_EEDaSW_SX_EUlSW_E_NS1_11comp_targetILNS1_3genE8ELNS1_11target_archE1030ELNS1_3gpuE2ELNS1_3repE0EEENS1_30default_config_static_selectorELNS0_4arch9wavefront6targetE1EEEvT1_, .Lfunc_end1615-_ZN7rocprim17ROCPRIM_400000_NS6detail17trampoline_kernelINS0_14default_configENS1_27scan_by_key_config_selectorIisEEZZNS1_16scan_by_key_implILNS1_25lookback_scan_determinismE0ELb1ES3_N6thrust23THRUST_200600_302600_NS6detail15normal_iteratorINS9_10device_ptrIiEEEENSB_INSC_IsEEEESG_sNS9_4plusIvEENS9_8equal_toIvEEsEE10hipError_tPvRmT2_T3_T4_T5_mT6_T7_P12ihipStream_tbENKUlT_T0_E_clISt17integral_constantIbLb0EES11_EEDaSW_SX_EUlSW_E_NS1_11comp_targetILNS1_3genE8ELNS1_11target_archE1030ELNS1_3gpuE2ELNS1_3repE0EEENS1_30default_config_static_selectorELNS0_4arch9wavefront6targetE1EEEvT1_
                                        ; -- End function
	.section	.AMDGPU.csdata,"",@progbits
; Kernel info:
; codeLenInByte = 0
; NumSgprs: 4
; NumVgprs: 0
; NumAgprs: 0
; TotalNumVgprs: 0
; ScratchSize: 0
; MemoryBound: 0
; FloatMode: 240
; IeeeMode: 1
; LDSByteSize: 0 bytes/workgroup (compile time only)
; SGPRBlocks: 0
; VGPRBlocks: 0
; NumSGPRsForWavesPerEU: 4
; NumVGPRsForWavesPerEU: 1
; AccumOffset: 4
; Occupancy: 8
; WaveLimiterHint : 0
; COMPUTE_PGM_RSRC2:SCRATCH_EN: 0
; COMPUTE_PGM_RSRC2:USER_SGPR: 6
; COMPUTE_PGM_RSRC2:TRAP_HANDLER: 0
; COMPUTE_PGM_RSRC2:TGID_X_EN: 1
; COMPUTE_PGM_RSRC2:TGID_Y_EN: 0
; COMPUTE_PGM_RSRC2:TGID_Z_EN: 0
; COMPUTE_PGM_RSRC2:TIDIG_COMP_CNT: 0
; COMPUTE_PGM_RSRC3_GFX90A:ACCUM_OFFSET: 0
; COMPUTE_PGM_RSRC3_GFX90A:TG_SPLIT: 0
	.section	.text._ZN7rocprim17ROCPRIM_400000_NS6detail17trampoline_kernelINS0_14default_configENS1_27scan_by_key_config_selectorIisEEZZNS1_16scan_by_key_implILNS1_25lookback_scan_determinismE0ELb1ES3_N6thrust23THRUST_200600_302600_NS6detail15normal_iteratorINS9_10device_ptrIiEEEENSB_INSC_IsEEEESG_sNS9_4plusIvEENS9_8equal_toIvEEsEE10hipError_tPvRmT2_T3_T4_T5_mT6_T7_P12ihipStream_tbENKUlT_T0_E_clISt17integral_constantIbLb1EES11_EEDaSW_SX_EUlSW_E_NS1_11comp_targetILNS1_3genE0ELNS1_11target_archE4294967295ELNS1_3gpuE0ELNS1_3repE0EEENS1_30default_config_static_selectorELNS0_4arch9wavefront6targetE1EEEvT1_,"axG",@progbits,_ZN7rocprim17ROCPRIM_400000_NS6detail17trampoline_kernelINS0_14default_configENS1_27scan_by_key_config_selectorIisEEZZNS1_16scan_by_key_implILNS1_25lookback_scan_determinismE0ELb1ES3_N6thrust23THRUST_200600_302600_NS6detail15normal_iteratorINS9_10device_ptrIiEEEENSB_INSC_IsEEEESG_sNS9_4plusIvEENS9_8equal_toIvEEsEE10hipError_tPvRmT2_T3_T4_T5_mT6_T7_P12ihipStream_tbENKUlT_T0_E_clISt17integral_constantIbLb1EES11_EEDaSW_SX_EUlSW_E_NS1_11comp_targetILNS1_3genE0ELNS1_11target_archE4294967295ELNS1_3gpuE0ELNS1_3repE0EEENS1_30default_config_static_selectorELNS0_4arch9wavefront6targetE1EEEvT1_,comdat
	.protected	_ZN7rocprim17ROCPRIM_400000_NS6detail17trampoline_kernelINS0_14default_configENS1_27scan_by_key_config_selectorIisEEZZNS1_16scan_by_key_implILNS1_25lookback_scan_determinismE0ELb1ES3_N6thrust23THRUST_200600_302600_NS6detail15normal_iteratorINS9_10device_ptrIiEEEENSB_INSC_IsEEEESG_sNS9_4plusIvEENS9_8equal_toIvEEsEE10hipError_tPvRmT2_T3_T4_T5_mT6_T7_P12ihipStream_tbENKUlT_T0_E_clISt17integral_constantIbLb1EES11_EEDaSW_SX_EUlSW_E_NS1_11comp_targetILNS1_3genE0ELNS1_11target_archE4294967295ELNS1_3gpuE0ELNS1_3repE0EEENS1_30default_config_static_selectorELNS0_4arch9wavefront6targetE1EEEvT1_ ; -- Begin function _ZN7rocprim17ROCPRIM_400000_NS6detail17trampoline_kernelINS0_14default_configENS1_27scan_by_key_config_selectorIisEEZZNS1_16scan_by_key_implILNS1_25lookback_scan_determinismE0ELb1ES3_N6thrust23THRUST_200600_302600_NS6detail15normal_iteratorINS9_10device_ptrIiEEEENSB_INSC_IsEEEESG_sNS9_4plusIvEENS9_8equal_toIvEEsEE10hipError_tPvRmT2_T3_T4_T5_mT6_T7_P12ihipStream_tbENKUlT_T0_E_clISt17integral_constantIbLb1EES11_EEDaSW_SX_EUlSW_E_NS1_11comp_targetILNS1_3genE0ELNS1_11target_archE4294967295ELNS1_3gpuE0ELNS1_3repE0EEENS1_30default_config_static_selectorELNS0_4arch9wavefront6targetE1EEEvT1_
	.globl	_ZN7rocprim17ROCPRIM_400000_NS6detail17trampoline_kernelINS0_14default_configENS1_27scan_by_key_config_selectorIisEEZZNS1_16scan_by_key_implILNS1_25lookback_scan_determinismE0ELb1ES3_N6thrust23THRUST_200600_302600_NS6detail15normal_iteratorINS9_10device_ptrIiEEEENSB_INSC_IsEEEESG_sNS9_4plusIvEENS9_8equal_toIvEEsEE10hipError_tPvRmT2_T3_T4_T5_mT6_T7_P12ihipStream_tbENKUlT_T0_E_clISt17integral_constantIbLb1EES11_EEDaSW_SX_EUlSW_E_NS1_11comp_targetILNS1_3genE0ELNS1_11target_archE4294967295ELNS1_3gpuE0ELNS1_3repE0EEENS1_30default_config_static_selectorELNS0_4arch9wavefront6targetE1EEEvT1_
	.p2align	8
	.type	_ZN7rocprim17ROCPRIM_400000_NS6detail17trampoline_kernelINS0_14default_configENS1_27scan_by_key_config_selectorIisEEZZNS1_16scan_by_key_implILNS1_25lookback_scan_determinismE0ELb1ES3_N6thrust23THRUST_200600_302600_NS6detail15normal_iteratorINS9_10device_ptrIiEEEENSB_INSC_IsEEEESG_sNS9_4plusIvEENS9_8equal_toIvEEsEE10hipError_tPvRmT2_T3_T4_T5_mT6_T7_P12ihipStream_tbENKUlT_T0_E_clISt17integral_constantIbLb1EES11_EEDaSW_SX_EUlSW_E_NS1_11comp_targetILNS1_3genE0ELNS1_11target_archE4294967295ELNS1_3gpuE0ELNS1_3repE0EEENS1_30default_config_static_selectorELNS0_4arch9wavefront6targetE1EEEvT1_,@function
_ZN7rocprim17ROCPRIM_400000_NS6detail17trampoline_kernelINS0_14default_configENS1_27scan_by_key_config_selectorIisEEZZNS1_16scan_by_key_implILNS1_25lookback_scan_determinismE0ELb1ES3_N6thrust23THRUST_200600_302600_NS6detail15normal_iteratorINS9_10device_ptrIiEEEENSB_INSC_IsEEEESG_sNS9_4plusIvEENS9_8equal_toIvEEsEE10hipError_tPvRmT2_T3_T4_T5_mT6_T7_P12ihipStream_tbENKUlT_T0_E_clISt17integral_constantIbLb1EES11_EEDaSW_SX_EUlSW_E_NS1_11comp_targetILNS1_3genE0ELNS1_11target_archE4294967295ELNS1_3gpuE0ELNS1_3repE0EEENS1_30default_config_static_selectorELNS0_4arch9wavefront6targetE1EEEvT1_: ; @_ZN7rocprim17ROCPRIM_400000_NS6detail17trampoline_kernelINS0_14default_configENS1_27scan_by_key_config_selectorIisEEZZNS1_16scan_by_key_implILNS1_25lookback_scan_determinismE0ELb1ES3_N6thrust23THRUST_200600_302600_NS6detail15normal_iteratorINS9_10device_ptrIiEEEENSB_INSC_IsEEEESG_sNS9_4plusIvEENS9_8equal_toIvEEsEE10hipError_tPvRmT2_T3_T4_T5_mT6_T7_P12ihipStream_tbENKUlT_T0_E_clISt17integral_constantIbLb1EES11_EEDaSW_SX_EUlSW_E_NS1_11comp_targetILNS1_3genE0ELNS1_11target_archE4294967295ELNS1_3gpuE0ELNS1_3repE0EEENS1_30default_config_static_selectorELNS0_4arch9wavefront6targetE1EEEvT1_
; %bb.0:
	.section	.rodata,"a",@progbits
	.p2align	6, 0x0
	.amdhsa_kernel _ZN7rocprim17ROCPRIM_400000_NS6detail17trampoline_kernelINS0_14default_configENS1_27scan_by_key_config_selectorIisEEZZNS1_16scan_by_key_implILNS1_25lookback_scan_determinismE0ELb1ES3_N6thrust23THRUST_200600_302600_NS6detail15normal_iteratorINS9_10device_ptrIiEEEENSB_INSC_IsEEEESG_sNS9_4plusIvEENS9_8equal_toIvEEsEE10hipError_tPvRmT2_T3_T4_T5_mT6_T7_P12ihipStream_tbENKUlT_T0_E_clISt17integral_constantIbLb1EES11_EEDaSW_SX_EUlSW_E_NS1_11comp_targetILNS1_3genE0ELNS1_11target_archE4294967295ELNS1_3gpuE0ELNS1_3repE0EEENS1_30default_config_static_selectorELNS0_4arch9wavefront6targetE1EEEvT1_
		.amdhsa_group_segment_fixed_size 0
		.amdhsa_private_segment_fixed_size 0
		.amdhsa_kernarg_size 112
		.amdhsa_user_sgpr_count 6
		.amdhsa_user_sgpr_private_segment_buffer 1
		.amdhsa_user_sgpr_dispatch_ptr 0
		.amdhsa_user_sgpr_queue_ptr 0
		.amdhsa_user_sgpr_kernarg_segment_ptr 1
		.amdhsa_user_sgpr_dispatch_id 0
		.amdhsa_user_sgpr_flat_scratch_init 0
		.amdhsa_user_sgpr_kernarg_preload_length 0
		.amdhsa_user_sgpr_kernarg_preload_offset 0
		.amdhsa_user_sgpr_private_segment_size 0
		.amdhsa_uses_dynamic_stack 0
		.amdhsa_system_sgpr_private_segment_wavefront_offset 0
		.amdhsa_system_sgpr_workgroup_id_x 1
		.amdhsa_system_sgpr_workgroup_id_y 0
		.amdhsa_system_sgpr_workgroup_id_z 0
		.amdhsa_system_sgpr_workgroup_info 0
		.amdhsa_system_vgpr_workitem_id 0
		.amdhsa_next_free_vgpr 1
		.amdhsa_next_free_sgpr 0
		.amdhsa_accum_offset 4
		.amdhsa_reserve_vcc 0
		.amdhsa_reserve_flat_scratch 0
		.amdhsa_float_round_mode_32 0
		.amdhsa_float_round_mode_16_64 0
		.amdhsa_float_denorm_mode_32 3
		.amdhsa_float_denorm_mode_16_64 3
		.amdhsa_dx10_clamp 1
		.amdhsa_ieee_mode 1
		.amdhsa_fp16_overflow 0
		.amdhsa_tg_split 0
		.amdhsa_exception_fp_ieee_invalid_op 0
		.amdhsa_exception_fp_denorm_src 0
		.amdhsa_exception_fp_ieee_div_zero 0
		.amdhsa_exception_fp_ieee_overflow 0
		.amdhsa_exception_fp_ieee_underflow 0
		.amdhsa_exception_fp_ieee_inexact 0
		.amdhsa_exception_int_div_zero 0
	.end_amdhsa_kernel
	.section	.text._ZN7rocprim17ROCPRIM_400000_NS6detail17trampoline_kernelINS0_14default_configENS1_27scan_by_key_config_selectorIisEEZZNS1_16scan_by_key_implILNS1_25lookback_scan_determinismE0ELb1ES3_N6thrust23THRUST_200600_302600_NS6detail15normal_iteratorINS9_10device_ptrIiEEEENSB_INSC_IsEEEESG_sNS9_4plusIvEENS9_8equal_toIvEEsEE10hipError_tPvRmT2_T3_T4_T5_mT6_T7_P12ihipStream_tbENKUlT_T0_E_clISt17integral_constantIbLb1EES11_EEDaSW_SX_EUlSW_E_NS1_11comp_targetILNS1_3genE0ELNS1_11target_archE4294967295ELNS1_3gpuE0ELNS1_3repE0EEENS1_30default_config_static_selectorELNS0_4arch9wavefront6targetE1EEEvT1_,"axG",@progbits,_ZN7rocprim17ROCPRIM_400000_NS6detail17trampoline_kernelINS0_14default_configENS1_27scan_by_key_config_selectorIisEEZZNS1_16scan_by_key_implILNS1_25lookback_scan_determinismE0ELb1ES3_N6thrust23THRUST_200600_302600_NS6detail15normal_iteratorINS9_10device_ptrIiEEEENSB_INSC_IsEEEESG_sNS9_4plusIvEENS9_8equal_toIvEEsEE10hipError_tPvRmT2_T3_T4_T5_mT6_T7_P12ihipStream_tbENKUlT_T0_E_clISt17integral_constantIbLb1EES11_EEDaSW_SX_EUlSW_E_NS1_11comp_targetILNS1_3genE0ELNS1_11target_archE4294967295ELNS1_3gpuE0ELNS1_3repE0EEENS1_30default_config_static_selectorELNS0_4arch9wavefront6targetE1EEEvT1_,comdat
.Lfunc_end1616:
	.size	_ZN7rocprim17ROCPRIM_400000_NS6detail17trampoline_kernelINS0_14default_configENS1_27scan_by_key_config_selectorIisEEZZNS1_16scan_by_key_implILNS1_25lookback_scan_determinismE0ELb1ES3_N6thrust23THRUST_200600_302600_NS6detail15normal_iteratorINS9_10device_ptrIiEEEENSB_INSC_IsEEEESG_sNS9_4plusIvEENS9_8equal_toIvEEsEE10hipError_tPvRmT2_T3_T4_T5_mT6_T7_P12ihipStream_tbENKUlT_T0_E_clISt17integral_constantIbLb1EES11_EEDaSW_SX_EUlSW_E_NS1_11comp_targetILNS1_3genE0ELNS1_11target_archE4294967295ELNS1_3gpuE0ELNS1_3repE0EEENS1_30default_config_static_selectorELNS0_4arch9wavefront6targetE1EEEvT1_, .Lfunc_end1616-_ZN7rocprim17ROCPRIM_400000_NS6detail17trampoline_kernelINS0_14default_configENS1_27scan_by_key_config_selectorIisEEZZNS1_16scan_by_key_implILNS1_25lookback_scan_determinismE0ELb1ES3_N6thrust23THRUST_200600_302600_NS6detail15normal_iteratorINS9_10device_ptrIiEEEENSB_INSC_IsEEEESG_sNS9_4plusIvEENS9_8equal_toIvEEsEE10hipError_tPvRmT2_T3_T4_T5_mT6_T7_P12ihipStream_tbENKUlT_T0_E_clISt17integral_constantIbLb1EES11_EEDaSW_SX_EUlSW_E_NS1_11comp_targetILNS1_3genE0ELNS1_11target_archE4294967295ELNS1_3gpuE0ELNS1_3repE0EEENS1_30default_config_static_selectorELNS0_4arch9wavefront6targetE1EEEvT1_
                                        ; -- End function
	.section	.AMDGPU.csdata,"",@progbits
; Kernel info:
; codeLenInByte = 0
; NumSgprs: 4
; NumVgprs: 0
; NumAgprs: 0
; TotalNumVgprs: 0
; ScratchSize: 0
; MemoryBound: 0
; FloatMode: 240
; IeeeMode: 1
; LDSByteSize: 0 bytes/workgroup (compile time only)
; SGPRBlocks: 0
; VGPRBlocks: 0
; NumSGPRsForWavesPerEU: 4
; NumVGPRsForWavesPerEU: 1
; AccumOffset: 4
; Occupancy: 8
; WaveLimiterHint : 0
; COMPUTE_PGM_RSRC2:SCRATCH_EN: 0
; COMPUTE_PGM_RSRC2:USER_SGPR: 6
; COMPUTE_PGM_RSRC2:TRAP_HANDLER: 0
; COMPUTE_PGM_RSRC2:TGID_X_EN: 1
; COMPUTE_PGM_RSRC2:TGID_Y_EN: 0
; COMPUTE_PGM_RSRC2:TGID_Z_EN: 0
; COMPUTE_PGM_RSRC2:TIDIG_COMP_CNT: 0
; COMPUTE_PGM_RSRC3_GFX90A:ACCUM_OFFSET: 0
; COMPUTE_PGM_RSRC3_GFX90A:TG_SPLIT: 0
	.section	.text._ZN7rocprim17ROCPRIM_400000_NS6detail17trampoline_kernelINS0_14default_configENS1_27scan_by_key_config_selectorIisEEZZNS1_16scan_by_key_implILNS1_25lookback_scan_determinismE0ELb1ES3_N6thrust23THRUST_200600_302600_NS6detail15normal_iteratorINS9_10device_ptrIiEEEENSB_INSC_IsEEEESG_sNS9_4plusIvEENS9_8equal_toIvEEsEE10hipError_tPvRmT2_T3_T4_T5_mT6_T7_P12ihipStream_tbENKUlT_T0_E_clISt17integral_constantIbLb1EES11_EEDaSW_SX_EUlSW_E_NS1_11comp_targetILNS1_3genE10ELNS1_11target_archE1201ELNS1_3gpuE5ELNS1_3repE0EEENS1_30default_config_static_selectorELNS0_4arch9wavefront6targetE1EEEvT1_,"axG",@progbits,_ZN7rocprim17ROCPRIM_400000_NS6detail17trampoline_kernelINS0_14default_configENS1_27scan_by_key_config_selectorIisEEZZNS1_16scan_by_key_implILNS1_25lookback_scan_determinismE0ELb1ES3_N6thrust23THRUST_200600_302600_NS6detail15normal_iteratorINS9_10device_ptrIiEEEENSB_INSC_IsEEEESG_sNS9_4plusIvEENS9_8equal_toIvEEsEE10hipError_tPvRmT2_T3_T4_T5_mT6_T7_P12ihipStream_tbENKUlT_T0_E_clISt17integral_constantIbLb1EES11_EEDaSW_SX_EUlSW_E_NS1_11comp_targetILNS1_3genE10ELNS1_11target_archE1201ELNS1_3gpuE5ELNS1_3repE0EEENS1_30default_config_static_selectorELNS0_4arch9wavefront6targetE1EEEvT1_,comdat
	.protected	_ZN7rocprim17ROCPRIM_400000_NS6detail17trampoline_kernelINS0_14default_configENS1_27scan_by_key_config_selectorIisEEZZNS1_16scan_by_key_implILNS1_25lookback_scan_determinismE0ELb1ES3_N6thrust23THRUST_200600_302600_NS6detail15normal_iteratorINS9_10device_ptrIiEEEENSB_INSC_IsEEEESG_sNS9_4plusIvEENS9_8equal_toIvEEsEE10hipError_tPvRmT2_T3_T4_T5_mT6_T7_P12ihipStream_tbENKUlT_T0_E_clISt17integral_constantIbLb1EES11_EEDaSW_SX_EUlSW_E_NS1_11comp_targetILNS1_3genE10ELNS1_11target_archE1201ELNS1_3gpuE5ELNS1_3repE0EEENS1_30default_config_static_selectorELNS0_4arch9wavefront6targetE1EEEvT1_ ; -- Begin function _ZN7rocprim17ROCPRIM_400000_NS6detail17trampoline_kernelINS0_14default_configENS1_27scan_by_key_config_selectorIisEEZZNS1_16scan_by_key_implILNS1_25lookback_scan_determinismE0ELb1ES3_N6thrust23THRUST_200600_302600_NS6detail15normal_iteratorINS9_10device_ptrIiEEEENSB_INSC_IsEEEESG_sNS9_4plusIvEENS9_8equal_toIvEEsEE10hipError_tPvRmT2_T3_T4_T5_mT6_T7_P12ihipStream_tbENKUlT_T0_E_clISt17integral_constantIbLb1EES11_EEDaSW_SX_EUlSW_E_NS1_11comp_targetILNS1_3genE10ELNS1_11target_archE1201ELNS1_3gpuE5ELNS1_3repE0EEENS1_30default_config_static_selectorELNS0_4arch9wavefront6targetE1EEEvT1_
	.globl	_ZN7rocprim17ROCPRIM_400000_NS6detail17trampoline_kernelINS0_14default_configENS1_27scan_by_key_config_selectorIisEEZZNS1_16scan_by_key_implILNS1_25lookback_scan_determinismE0ELb1ES3_N6thrust23THRUST_200600_302600_NS6detail15normal_iteratorINS9_10device_ptrIiEEEENSB_INSC_IsEEEESG_sNS9_4plusIvEENS9_8equal_toIvEEsEE10hipError_tPvRmT2_T3_T4_T5_mT6_T7_P12ihipStream_tbENKUlT_T0_E_clISt17integral_constantIbLb1EES11_EEDaSW_SX_EUlSW_E_NS1_11comp_targetILNS1_3genE10ELNS1_11target_archE1201ELNS1_3gpuE5ELNS1_3repE0EEENS1_30default_config_static_selectorELNS0_4arch9wavefront6targetE1EEEvT1_
	.p2align	8
	.type	_ZN7rocprim17ROCPRIM_400000_NS6detail17trampoline_kernelINS0_14default_configENS1_27scan_by_key_config_selectorIisEEZZNS1_16scan_by_key_implILNS1_25lookback_scan_determinismE0ELb1ES3_N6thrust23THRUST_200600_302600_NS6detail15normal_iteratorINS9_10device_ptrIiEEEENSB_INSC_IsEEEESG_sNS9_4plusIvEENS9_8equal_toIvEEsEE10hipError_tPvRmT2_T3_T4_T5_mT6_T7_P12ihipStream_tbENKUlT_T0_E_clISt17integral_constantIbLb1EES11_EEDaSW_SX_EUlSW_E_NS1_11comp_targetILNS1_3genE10ELNS1_11target_archE1201ELNS1_3gpuE5ELNS1_3repE0EEENS1_30default_config_static_selectorELNS0_4arch9wavefront6targetE1EEEvT1_,@function
_ZN7rocprim17ROCPRIM_400000_NS6detail17trampoline_kernelINS0_14default_configENS1_27scan_by_key_config_selectorIisEEZZNS1_16scan_by_key_implILNS1_25lookback_scan_determinismE0ELb1ES3_N6thrust23THRUST_200600_302600_NS6detail15normal_iteratorINS9_10device_ptrIiEEEENSB_INSC_IsEEEESG_sNS9_4plusIvEENS9_8equal_toIvEEsEE10hipError_tPvRmT2_T3_T4_T5_mT6_T7_P12ihipStream_tbENKUlT_T0_E_clISt17integral_constantIbLb1EES11_EEDaSW_SX_EUlSW_E_NS1_11comp_targetILNS1_3genE10ELNS1_11target_archE1201ELNS1_3gpuE5ELNS1_3repE0EEENS1_30default_config_static_selectorELNS0_4arch9wavefront6targetE1EEEvT1_: ; @_ZN7rocprim17ROCPRIM_400000_NS6detail17trampoline_kernelINS0_14default_configENS1_27scan_by_key_config_selectorIisEEZZNS1_16scan_by_key_implILNS1_25lookback_scan_determinismE0ELb1ES3_N6thrust23THRUST_200600_302600_NS6detail15normal_iteratorINS9_10device_ptrIiEEEENSB_INSC_IsEEEESG_sNS9_4plusIvEENS9_8equal_toIvEEsEE10hipError_tPvRmT2_T3_T4_T5_mT6_T7_P12ihipStream_tbENKUlT_T0_E_clISt17integral_constantIbLb1EES11_EEDaSW_SX_EUlSW_E_NS1_11comp_targetILNS1_3genE10ELNS1_11target_archE1201ELNS1_3gpuE5ELNS1_3repE0EEENS1_30default_config_static_selectorELNS0_4arch9wavefront6targetE1EEEvT1_
; %bb.0:
	.section	.rodata,"a",@progbits
	.p2align	6, 0x0
	.amdhsa_kernel _ZN7rocprim17ROCPRIM_400000_NS6detail17trampoline_kernelINS0_14default_configENS1_27scan_by_key_config_selectorIisEEZZNS1_16scan_by_key_implILNS1_25lookback_scan_determinismE0ELb1ES3_N6thrust23THRUST_200600_302600_NS6detail15normal_iteratorINS9_10device_ptrIiEEEENSB_INSC_IsEEEESG_sNS9_4plusIvEENS9_8equal_toIvEEsEE10hipError_tPvRmT2_T3_T4_T5_mT6_T7_P12ihipStream_tbENKUlT_T0_E_clISt17integral_constantIbLb1EES11_EEDaSW_SX_EUlSW_E_NS1_11comp_targetILNS1_3genE10ELNS1_11target_archE1201ELNS1_3gpuE5ELNS1_3repE0EEENS1_30default_config_static_selectorELNS0_4arch9wavefront6targetE1EEEvT1_
		.amdhsa_group_segment_fixed_size 0
		.amdhsa_private_segment_fixed_size 0
		.amdhsa_kernarg_size 112
		.amdhsa_user_sgpr_count 6
		.amdhsa_user_sgpr_private_segment_buffer 1
		.amdhsa_user_sgpr_dispatch_ptr 0
		.amdhsa_user_sgpr_queue_ptr 0
		.amdhsa_user_sgpr_kernarg_segment_ptr 1
		.amdhsa_user_sgpr_dispatch_id 0
		.amdhsa_user_sgpr_flat_scratch_init 0
		.amdhsa_user_sgpr_kernarg_preload_length 0
		.amdhsa_user_sgpr_kernarg_preload_offset 0
		.amdhsa_user_sgpr_private_segment_size 0
		.amdhsa_uses_dynamic_stack 0
		.amdhsa_system_sgpr_private_segment_wavefront_offset 0
		.amdhsa_system_sgpr_workgroup_id_x 1
		.amdhsa_system_sgpr_workgroup_id_y 0
		.amdhsa_system_sgpr_workgroup_id_z 0
		.amdhsa_system_sgpr_workgroup_info 0
		.amdhsa_system_vgpr_workitem_id 0
		.amdhsa_next_free_vgpr 1
		.amdhsa_next_free_sgpr 0
		.amdhsa_accum_offset 4
		.amdhsa_reserve_vcc 0
		.amdhsa_reserve_flat_scratch 0
		.amdhsa_float_round_mode_32 0
		.amdhsa_float_round_mode_16_64 0
		.amdhsa_float_denorm_mode_32 3
		.amdhsa_float_denorm_mode_16_64 3
		.amdhsa_dx10_clamp 1
		.amdhsa_ieee_mode 1
		.amdhsa_fp16_overflow 0
		.amdhsa_tg_split 0
		.amdhsa_exception_fp_ieee_invalid_op 0
		.amdhsa_exception_fp_denorm_src 0
		.amdhsa_exception_fp_ieee_div_zero 0
		.amdhsa_exception_fp_ieee_overflow 0
		.amdhsa_exception_fp_ieee_underflow 0
		.amdhsa_exception_fp_ieee_inexact 0
		.amdhsa_exception_int_div_zero 0
	.end_amdhsa_kernel
	.section	.text._ZN7rocprim17ROCPRIM_400000_NS6detail17trampoline_kernelINS0_14default_configENS1_27scan_by_key_config_selectorIisEEZZNS1_16scan_by_key_implILNS1_25lookback_scan_determinismE0ELb1ES3_N6thrust23THRUST_200600_302600_NS6detail15normal_iteratorINS9_10device_ptrIiEEEENSB_INSC_IsEEEESG_sNS9_4plusIvEENS9_8equal_toIvEEsEE10hipError_tPvRmT2_T3_T4_T5_mT6_T7_P12ihipStream_tbENKUlT_T0_E_clISt17integral_constantIbLb1EES11_EEDaSW_SX_EUlSW_E_NS1_11comp_targetILNS1_3genE10ELNS1_11target_archE1201ELNS1_3gpuE5ELNS1_3repE0EEENS1_30default_config_static_selectorELNS0_4arch9wavefront6targetE1EEEvT1_,"axG",@progbits,_ZN7rocprim17ROCPRIM_400000_NS6detail17trampoline_kernelINS0_14default_configENS1_27scan_by_key_config_selectorIisEEZZNS1_16scan_by_key_implILNS1_25lookback_scan_determinismE0ELb1ES3_N6thrust23THRUST_200600_302600_NS6detail15normal_iteratorINS9_10device_ptrIiEEEENSB_INSC_IsEEEESG_sNS9_4plusIvEENS9_8equal_toIvEEsEE10hipError_tPvRmT2_T3_T4_T5_mT6_T7_P12ihipStream_tbENKUlT_T0_E_clISt17integral_constantIbLb1EES11_EEDaSW_SX_EUlSW_E_NS1_11comp_targetILNS1_3genE10ELNS1_11target_archE1201ELNS1_3gpuE5ELNS1_3repE0EEENS1_30default_config_static_selectorELNS0_4arch9wavefront6targetE1EEEvT1_,comdat
.Lfunc_end1617:
	.size	_ZN7rocprim17ROCPRIM_400000_NS6detail17trampoline_kernelINS0_14default_configENS1_27scan_by_key_config_selectorIisEEZZNS1_16scan_by_key_implILNS1_25lookback_scan_determinismE0ELb1ES3_N6thrust23THRUST_200600_302600_NS6detail15normal_iteratorINS9_10device_ptrIiEEEENSB_INSC_IsEEEESG_sNS9_4plusIvEENS9_8equal_toIvEEsEE10hipError_tPvRmT2_T3_T4_T5_mT6_T7_P12ihipStream_tbENKUlT_T0_E_clISt17integral_constantIbLb1EES11_EEDaSW_SX_EUlSW_E_NS1_11comp_targetILNS1_3genE10ELNS1_11target_archE1201ELNS1_3gpuE5ELNS1_3repE0EEENS1_30default_config_static_selectorELNS0_4arch9wavefront6targetE1EEEvT1_, .Lfunc_end1617-_ZN7rocprim17ROCPRIM_400000_NS6detail17trampoline_kernelINS0_14default_configENS1_27scan_by_key_config_selectorIisEEZZNS1_16scan_by_key_implILNS1_25lookback_scan_determinismE0ELb1ES3_N6thrust23THRUST_200600_302600_NS6detail15normal_iteratorINS9_10device_ptrIiEEEENSB_INSC_IsEEEESG_sNS9_4plusIvEENS9_8equal_toIvEEsEE10hipError_tPvRmT2_T3_T4_T5_mT6_T7_P12ihipStream_tbENKUlT_T0_E_clISt17integral_constantIbLb1EES11_EEDaSW_SX_EUlSW_E_NS1_11comp_targetILNS1_3genE10ELNS1_11target_archE1201ELNS1_3gpuE5ELNS1_3repE0EEENS1_30default_config_static_selectorELNS0_4arch9wavefront6targetE1EEEvT1_
                                        ; -- End function
	.section	.AMDGPU.csdata,"",@progbits
; Kernel info:
; codeLenInByte = 0
; NumSgprs: 4
; NumVgprs: 0
; NumAgprs: 0
; TotalNumVgprs: 0
; ScratchSize: 0
; MemoryBound: 0
; FloatMode: 240
; IeeeMode: 1
; LDSByteSize: 0 bytes/workgroup (compile time only)
; SGPRBlocks: 0
; VGPRBlocks: 0
; NumSGPRsForWavesPerEU: 4
; NumVGPRsForWavesPerEU: 1
; AccumOffset: 4
; Occupancy: 8
; WaveLimiterHint : 0
; COMPUTE_PGM_RSRC2:SCRATCH_EN: 0
; COMPUTE_PGM_RSRC2:USER_SGPR: 6
; COMPUTE_PGM_RSRC2:TRAP_HANDLER: 0
; COMPUTE_PGM_RSRC2:TGID_X_EN: 1
; COMPUTE_PGM_RSRC2:TGID_Y_EN: 0
; COMPUTE_PGM_RSRC2:TGID_Z_EN: 0
; COMPUTE_PGM_RSRC2:TIDIG_COMP_CNT: 0
; COMPUTE_PGM_RSRC3_GFX90A:ACCUM_OFFSET: 0
; COMPUTE_PGM_RSRC3_GFX90A:TG_SPLIT: 0
	.section	.text._ZN7rocprim17ROCPRIM_400000_NS6detail17trampoline_kernelINS0_14default_configENS1_27scan_by_key_config_selectorIisEEZZNS1_16scan_by_key_implILNS1_25lookback_scan_determinismE0ELb1ES3_N6thrust23THRUST_200600_302600_NS6detail15normal_iteratorINS9_10device_ptrIiEEEENSB_INSC_IsEEEESG_sNS9_4plusIvEENS9_8equal_toIvEEsEE10hipError_tPvRmT2_T3_T4_T5_mT6_T7_P12ihipStream_tbENKUlT_T0_E_clISt17integral_constantIbLb1EES11_EEDaSW_SX_EUlSW_E_NS1_11comp_targetILNS1_3genE5ELNS1_11target_archE942ELNS1_3gpuE9ELNS1_3repE0EEENS1_30default_config_static_selectorELNS0_4arch9wavefront6targetE1EEEvT1_,"axG",@progbits,_ZN7rocprim17ROCPRIM_400000_NS6detail17trampoline_kernelINS0_14default_configENS1_27scan_by_key_config_selectorIisEEZZNS1_16scan_by_key_implILNS1_25lookback_scan_determinismE0ELb1ES3_N6thrust23THRUST_200600_302600_NS6detail15normal_iteratorINS9_10device_ptrIiEEEENSB_INSC_IsEEEESG_sNS9_4plusIvEENS9_8equal_toIvEEsEE10hipError_tPvRmT2_T3_T4_T5_mT6_T7_P12ihipStream_tbENKUlT_T0_E_clISt17integral_constantIbLb1EES11_EEDaSW_SX_EUlSW_E_NS1_11comp_targetILNS1_3genE5ELNS1_11target_archE942ELNS1_3gpuE9ELNS1_3repE0EEENS1_30default_config_static_selectorELNS0_4arch9wavefront6targetE1EEEvT1_,comdat
	.protected	_ZN7rocprim17ROCPRIM_400000_NS6detail17trampoline_kernelINS0_14default_configENS1_27scan_by_key_config_selectorIisEEZZNS1_16scan_by_key_implILNS1_25lookback_scan_determinismE0ELb1ES3_N6thrust23THRUST_200600_302600_NS6detail15normal_iteratorINS9_10device_ptrIiEEEENSB_INSC_IsEEEESG_sNS9_4plusIvEENS9_8equal_toIvEEsEE10hipError_tPvRmT2_T3_T4_T5_mT6_T7_P12ihipStream_tbENKUlT_T0_E_clISt17integral_constantIbLb1EES11_EEDaSW_SX_EUlSW_E_NS1_11comp_targetILNS1_3genE5ELNS1_11target_archE942ELNS1_3gpuE9ELNS1_3repE0EEENS1_30default_config_static_selectorELNS0_4arch9wavefront6targetE1EEEvT1_ ; -- Begin function _ZN7rocprim17ROCPRIM_400000_NS6detail17trampoline_kernelINS0_14default_configENS1_27scan_by_key_config_selectorIisEEZZNS1_16scan_by_key_implILNS1_25lookback_scan_determinismE0ELb1ES3_N6thrust23THRUST_200600_302600_NS6detail15normal_iteratorINS9_10device_ptrIiEEEENSB_INSC_IsEEEESG_sNS9_4plusIvEENS9_8equal_toIvEEsEE10hipError_tPvRmT2_T3_T4_T5_mT6_T7_P12ihipStream_tbENKUlT_T0_E_clISt17integral_constantIbLb1EES11_EEDaSW_SX_EUlSW_E_NS1_11comp_targetILNS1_3genE5ELNS1_11target_archE942ELNS1_3gpuE9ELNS1_3repE0EEENS1_30default_config_static_selectorELNS0_4arch9wavefront6targetE1EEEvT1_
	.globl	_ZN7rocprim17ROCPRIM_400000_NS6detail17trampoline_kernelINS0_14default_configENS1_27scan_by_key_config_selectorIisEEZZNS1_16scan_by_key_implILNS1_25lookback_scan_determinismE0ELb1ES3_N6thrust23THRUST_200600_302600_NS6detail15normal_iteratorINS9_10device_ptrIiEEEENSB_INSC_IsEEEESG_sNS9_4plusIvEENS9_8equal_toIvEEsEE10hipError_tPvRmT2_T3_T4_T5_mT6_T7_P12ihipStream_tbENKUlT_T0_E_clISt17integral_constantIbLb1EES11_EEDaSW_SX_EUlSW_E_NS1_11comp_targetILNS1_3genE5ELNS1_11target_archE942ELNS1_3gpuE9ELNS1_3repE0EEENS1_30default_config_static_selectorELNS0_4arch9wavefront6targetE1EEEvT1_
	.p2align	8
	.type	_ZN7rocprim17ROCPRIM_400000_NS6detail17trampoline_kernelINS0_14default_configENS1_27scan_by_key_config_selectorIisEEZZNS1_16scan_by_key_implILNS1_25lookback_scan_determinismE0ELb1ES3_N6thrust23THRUST_200600_302600_NS6detail15normal_iteratorINS9_10device_ptrIiEEEENSB_INSC_IsEEEESG_sNS9_4plusIvEENS9_8equal_toIvEEsEE10hipError_tPvRmT2_T3_T4_T5_mT6_T7_P12ihipStream_tbENKUlT_T0_E_clISt17integral_constantIbLb1EES11_EEDaSW_SX_EUlSW_E_NS1_11comp_targetILNS1_3genE5ELNS1_11target_archE942ELNS1_3gpuE9ELNS1_3repE0EEENS1_30default_config_static_selectorELNS0_4arch9wavefront6targetE1EEEvT1_,@function
_ZN7rocprim17ROCPRIM_400000_NS6detail17trampoline_kernelINS0_14default_configENS1_27scan_by_key_config_selectorIisEEZZNS1_16scan_by_key_implILNS1_25lookback_scan_determinismE0ELb1ES3_N6thrust23THRUST_200600_302600_NS6detail15normal_iteratorINS9_10device_ptrIiEEEENSB_INSC_IsEEEESG_sNS9_4plusIvEENS9_8equal_toIvEEsEE10hipError_tPvRmT2_T3_T4_T5_mT6_T7_P12ihipStream_tbENKUlT_T0_E_clISt17integral_constantIbLb1EES11_EEDaSW_SX_EUlSW_E_NS1_11comp_targetILNS1_3genE5ELNS1_11target_archE942ELNS1_3gpuE9ELNS1_3repE0EEENS1_30default_config_static_selectorELNS0_4arch9wavefront6targetE1EEEvT1_: ; @_ZN7rocprim17ROCPRIM_400000_NS6detail17trampoline_kernelINS0_14default_configENS1_27scan_by_key_config_selectorIisEEZZNS1_16scan_by_key_implILNS1_25lookback_scan_determinismE0ELb1ES3_N6thrust23THRUST_200600_302600_NS6detail15normal_iteratorINS9_10device_ptrIiEEEENSB_INSC_IsEEEESG_sNS9_4plusIvEENS9_8equal_toIvEEsEE10hipError_tPvRmT2_T3_T4_T5_mT6_T7_P12ihipStream_tbENKUlT_T0_E_clISt17integral_constantIbLb1EES11_EEDaSW_SX_EUlSW_E_NS1_11comp_targetILNS1_3genE5ELNS1_11target_archE942ELNS1_3gpuE9ELNS1_3repE0EEENS1_30default_config_static_selectorELNS0_4arch9wavefront6targetE1EEEvT1_
; %bb.0:
	.section	.rodata,"a",@progbits
	.p2align	6, 0x0
	.amdhsa_kernel _ZN7rocprim17ROCPRIM_400000_NS6detail17trampoline_kernelINS0_14default_configENS1_27scan_by_key_config_selectorIisEEZZNS1_16scan_by_key_implILNS1_25lookback_scan_determinismE0ELb1ES3_N6thrust23THRUST_200600_302600_NS6detail15normal_iteratorINS9_10device_ptrIiEEEENSB_INSC_IsEEEESG_sNS9_4plusIvEENS9_8equal_toIvEEsEE10hipError_tPvRmT2_T3_T4_T5_mT6_T7_P12ihipStream_tbENKUlT_T0_E_clISt17integral_constantIbLb1EES11_EEDaSW_SX_EUlSW_E_NS1_11comp_targetILNS1_3genE5ELNS1_11target_archE942ELNS1_3gpuE9ELNS1_3repE0EEENS1_30default_config_static_selectorELNS0_4arch9wavefront6targetE1EEEvT1_
		.amdhsa_group_segment_fixed_size 0
		.amdhsa_private_segment_fixed_size 0
		.amdhsa_kernarg_size 112
		.amdhsa_user_sgpr_count 6
		.amdhsa_user_sgpr_private_segment_buffer 1
		.amdhsa_user_sgpr_dispatch_ptr 0
		.amdhsa_user_sgpr_queue_ptr 0
		.amdhsa_user_sgpr_kernarg_segment_ptr 1
		.amdhsa_user_sgpr_dispatch_id 0
		.amdhsa_user_sgpr_flat_scratch_init 0
		.amdhsa_user_sgpr_kernarg_preload_length 0
		.amdhsa_user_sgpr_kernarg_preload_offset 0
		.amdhsa_user_sgpr_private_segment_size 0
		.amdhsa_uses_dynamic_stack 0
		.amdhsa_system_sgpr_private_segment_wavefront_offset 0
		.amdhsa_system_sgpr_workgroup_id_x 1
		.amdhsa_system_sgpr_workgroup_id_y 0
		.amdhsa_system_sgpr_workgroup_id_z 0
		.amdhsa_system_sgpr_workgroup_info 0
		.amdhsa_system_vgpr_workitem_id 0
		.amdhsa_next_free_vgpr 1
		.amdhsa_next_free_sgpr 0
		.amdhsa_accum_offset 4
		.amdhsa_reserve_vcc 0
		.amdhsa_reserve_flat_scratch 0
		.amdhsa_float_round_mode_32 0
		.amdhsa_float_round_mode_16_64 0
		.amdhsa_float_denorm_mode_32 3
		.amdhsa_float_denorm_mode_16_64 3
		.amdhsa_dx10_clamp 1
		.amdhsa_ieee_mode 1
		.amdhsa_fp16_overflow 0
		.amdhsa_tg_split 0
		.amdhsa_exception_fp_ieee_invalid_op 0
		.amdhsa_exception_fp_denorm_src 0
		.amdhsa_exception_fp_ieee_div_zero 0
		.amdhsa_exception_fp_ieee_overflow 0
		.amdhsa_exception_fp_ieee_underflow 0
		.amdhsa_exception_fp_ieee_inexact 0
		.amdhsa_exception_int_div_zero 0
	.end_amdhsa_kernel
	.section	.text._ZN7rocprim17ROCPRIM_400000_NS6detail17trampoline_kernelINS0_14default_configENS1_27scan_by_key_config_selectorIisEEZZNS1_16scan_by_key_implILNS1_25lookback_scan_determinismE0ELb1ES3_N6thrust23THRUST_200600_302600_NS6detail15normal_iteratorINS9_10device_ptrIiEEEENSB_INSC_IsEEEESG_sNS9_4plusIvEENS9_8equal_toIvEEsEE10hipError_tPvRmT2_T3_T4_T5_mT6_T7_P12ihipStream_tbENKUlT_T0_E_clISt17integral_constantIbLb1EES11_EEDaSW_SX_EUlSW_E_NS1_11comp_targetILNS1_3genE5ELNS1_11target_archE942ELNS1_3gpuE9ELNS1_3repE0EEENS1_30default_config_static_selectorELNS0_4arch9wavefront6targetE1EEEvT1_,"axG",@progbits,_ZN7rocprim17ROCPRIM_400000_NS6detail17trampoline_kernelINS0_14default_configENS1_27scan_by_key_config_selectorIisEEZZNS1_16scan_by_key_implILNS1_25lookback_scan_determinismE0ELb1ES3_N6thrust23THRUST_200600_302600_NS6detail15normal_iteratorINS9_10device_ptrIiEEEENSB_INSC_IsEEEESG_sNS9_4plusIvEENS9_8equal_toIvEEsEE10hipError_tPvRmT2_T3_T4_T5_mT6_T7_P12ihipStream_tbENKUlT_T0_E_clISt17integral_constantIbLb1EES11_EEDaSW_SX_EUlSW_E_NS1_11comp_targetILNS1_3genE5ELNS1_11target_archE942ELNS1_3gpuE9ELNS1_3repE0EEENS1_30default_config_static_selectorELNS0_4arch9wavefront6targetE1EEEvT1_,comdat
.Lfunc_end1618:
	.size	_ZN7rocprim17ROCPRIM_400000_NS6detail17trampoline_kernelINS0_14default_configENS1_27scan_by_key_config_selectorIisEEZZNS1_16scan_by_key_implILNS1_25lookback_scan_determinismE0ELb1ES3_N6thrust23THRUST_200600_302600_NS6detail15normal_iteratorINS9_10device_ptrIiEEEENSB_INSC_IsEEEESG_sNS9_4plusIvEENS9_8equal_toIvEEsEE10hipError_tPvRmT2_T3_T4_T5_mT6_T7_P12ihipStream_tbENKUlT_T0_E_clISt17integral_constantIbLb1EES11_EEDaSW_SX_EUlSW_E_NS1_11comp_targetILNS1_3genE5ELNS1_11target_archE942ELNS1_3gpuE9ELNS1_3repE0EEENS1_30default_config_static_selectorELNS0_4arch9wavefront6targetE1EEEvT1_, .Lfunc_end1618-_ZN7rocprim17ROCPRIM_400000_NS6detail17trampoline_kernelINS0_14default_configENS1_27scan_by_key_config_selectorIisEEZZNS1_16scan_by_key_implILNS1_25lookback_scan_determinismE0ELb1ES3_N6thrust23THRUST_200600_302600_NS6detail15normal_iteratorINS9_10device_ptrIiEEEENSB_INSC_IsEEEESG_sNS9_4plusIvEENS9_8equal_toIvEEsEE10hipError_tPvRmT2_T3_T4_T5_mT6_T7_P12ihipStream_tbENKUlT_T0_E_clISt17integral_constantIbLb1EES11_EEDaSW_SX_EUlSW_E_NS1_11comp_targetILNS1_3genE5ELNS1_11target_archE942ELNS1_3gpuE9ELNS1_3repE0EEENS1_30default_config_static_selectorELNS0_4arch9wavefront6targetE1EEEvT1_
                                        ; -- End function
	.section	.AMDGPU.csdata,"",@progbits
; Kernel info:
; codeLenInByte = 0
; NumSgprs: 4
; NumVgprs: 0
; NumAgprs: 0
; TotalNumVgprs: 0
; ScratchSize: 0
; MemoryBound: 0
; FloatMode: 240
; IeeeMode: 1
; LDSByteSize: 0 bytes/workgroup (compile time only)
; SGPRBlocks: 0
; VGPRBlocks: 0
; NumSGPRsForWavesPerEU: 4
; NumVGPRsForWavesPerEU: 1
; AccumOffset: 4
; Occupancy: 8
; WaveLimiterHint : 0
; COMPUTE_PGM_RSRC2:SCRATCH_EN: 0
; COMPUTE_PGM_RSRC2:USER_SGPR: 6
; COMPUTE_PGM_RSRC2:TRAP_HANDLER: 0
; COMPUTE_PGM_RSRC2:TGID_X_EN: 1
; COMPUTE_PGM_RSRC2:TGID_Y_EN: 0
; COMPUTE_PGM_RSRC2:TGID_Z_EN: 0
; COMPUTE_PGM_RSRC2:TIDIG_COMP_CNT: 0
; COMPUTE_PGM_RSRC3_GFX90A:ACCUM_OFFSET: 0
; COMPUTE_PGM_RSRC3_GFX90A:TG_SPLIT: 0
	.section	.text._ZN7rocprim17ROCPRIM_400000_NS6detail17trampoline_kernelINS0_14default_configENS1_27scan_by_key_config_selectorIisEEZZNS1_16scan_by_key_implILNS1_25lookback_scan_determinismE0ELb1ES3_N6thrust23THRUST_200600_302600_NS6detail15normal_iteratorINS9_10device_ptrIiEEEENSB_INSC_IsEEEESG_sNS9_4plusIvEENS9_8equal_toIvEEsEE10hipError_tPvRmT2_T3_T4_T5_mT6_T7_P12ihipStream_tbENKUlT_T0_E_clISt17integral_constantIbLb1EES11_EEDaSW_SX_EUlSW_E_NS1_11comp_targetILNS1_3genE4ELNS1_11target_archE910ELNS1_3gpuE8ELNS1_3repE0EEENS1_30default_config_static_selectorELNS0_4arch9wavefront6targetE1EEEvT1_,"axG",@progbits,_ZN7rocprim17ROCPRIM_400000_NS6detail17trampoline_kernelINS0_14default_configENS1_27scan_by_key_config_selectorIisEEZZNS1_16scan_by_key_implILNS1_25lookback_scan_determinismE0ELb1ES3_N6thrust23THRUST_200600_302600_NS6detail15normal_iteratorINS9_10device_ptrIiEEEENSB_INSC_IsEEEESG_sNS9_4plusIvEENS9_8equal_toIvEEsEE10hipError_tPvRmT2_T3_T4_T5_mT6_T7_P12ihipStream_tbENKUlT_T0_E_clISt17integral_constantIbLb1EES11_EEDaSW_SX_EUlSW_E_NS1_11comp_targetILNS1_3genE4ELNS1_11target_archE910ELNS1_3gpuE8ELNS1_3repE0EEENS1_30default_config_static_selectorELNS0_4arch9wavefront6targetE1EEEvT1_,comdat
	.protected	_ZN7rocprim17ROCPRIM_400000_NS6detail17trampoline_kernelINS0_14default_configENS1_27scan_by_key_config_selectorIisEEZZNS1_16scan_by_key_implILNS1_25lookback_scan_determinismE0ELb1ES3_N6thrust23THRUST_200600_302600_NS6detail15normal_iteratorINS9_10device_ptrIiEEEENSB_INSC_IsEEEESG_sNS9_4plusIvEENS9_8equal_toIvEEsEE10hipError_tPvRmT2_T3_T4_T5_mT6_T7_P12ihipStream_tbENKUlT_T0_E_clISt17integral_constantIbLb1EES11_EEDaSW_SX_EUlSW_E_NS1_11comp_targetILNS1_3genE4ELNS1_11target_archE910ELNS1_3gpuE8ELNS1_3repE0EEENS1_30default_config_static_selectorELNS0_4arch9wavefront6targetE1EEEvT1_ ; -- Begin function _ZN7rocprim17ROCPRIM_400000_NS6detail17trampoline_kernelINS0_14default_configENS1_27scan_by_key_config_selectorIisEEZZNS1_16scan_by_key_implILNS1_25lookback_scan_determinismE0ELb1ES3_N6thrust23THRUST_200600_302600_NS6detail15normal_iteratorINS9_10device_ptrIiEEEENSB_INSC_IsEEEESG_sNS9_4plusIvEENS9_8equal_toIvEEsEE10hipError_tPvRmT2_T3_T4_T5_mT6_T7_P12ihipStream_tbENKUlT_T0_E_clISt17integral_constantIbLb1EES11_EEDaSW_SX_EUlSW_E_NS1_11comp_targetILNS1_3genE4ELNS1_11target_archE910ELNS1_3gpuE8ELNS1_3repE0EEENS1_30default_config_static_selectorELNS0_4arch9wavefront6targetE1EEEvT1_
	.globl	_ZN7rocprim17ROCPRIM_400000_NS6detail17trampoline_kernelINS0_14default_configENS1_27scan_by_key_config_selectorIisEEZZNS1_16scan_by_key_implILNS1_25lookback_scan_determinismE0ELb1ES3_N6thrust23THRUST_200600_302600_NS6detail15normal_iteratorINS9_10device_ptrIiEEEENSB_INSC_IsEEEESG_sNS9_4plusIvEENS9_8equal_toIvEEsEE10hipError_tPvRmT2_T3_T4_T5_mT6_T7_P12ihipStream_tbENKUlT_T0_E_clISt17integral_constantIbLb1EES11_EEDaSW_SX_EUlSW_E_NS1_11comp_targetILNS1_3genE4ELNS1_11target_archE910ELNS1_3gpuE8ELNS1_3repE0EEENS1_30default_config_static_selectorELNS0_4arch9wavefront6targetE1EEEvT1_
	.p2align	8
	.type	_ZN7rocprim17ROCPRIM_400000_NS6detail17trampoline_kernelINS0_14default_configENS1_27scan_by_key_config_selectorIisEEZZNS1_16scan_by_key_implILNS1_25lookback_scan_determinismE0ELb1ES3_N6thrust23THRUST_200600_302600_NS6detail15normal_iteratorINS9_10device_ptrIiEEEENSB_INSC_IsEEEESG_sNS9_4plusIvEENS9_8equal_toIvEEsEE10hipError_tPvRmT2_T3_T4_T5_mT6_T7_P12ihipStream_tbENKUlT_T0_E_clISt17integral_constantIbLb1EES11_EEDaSW_SX_EUlSW_E_NS1_11comp_targetILNS1_3genE4ELNS1_11target_archE910ELNS1_3gpuE8ELNS1_3repE0EEENS1_30default_config_static_selectorELNS0_4arch9wavefront6targetE1EEEvT1_,@function
_ZN7rocprim17ROCPRIM_400000_NS6detail17trampoline_kernelINS0_14default_configENS1_27scan_by_key_config_selectorIisEEZZNS1_16scan_by_key_implILNS1_25lookback_scan_determinismE0ELb1ES3_N6thrust23THRUST_200600_302600_NS6detail15normal_iteratorINS9_10device_ptrIiEEEENSB_INSC_IsEEEESG_sNS9_4plusIvEENS9_8equal_toIvEEsEE10hipError_tPvRmT2_T3_T4_T5_mT6_T7_P12ihipStream_tbENKUlT_T0_E_clISt17integral_constantIbLb1EES11_EEDaSW_SX_EUlSW_E_NS1_11comp_targetILNS1_3genE4ELNS1_11target_archE910ELNS1_3gpuE8ELNS1_3repE0EEENS1_30default_config_static_selectorELNS0_4arch9wavefront6targetE1EEEvT1_: ; @_ZN7rocprim17ROCPRIM_400000_NS6detail17trampoline_kernelINS0_14default_configENS1_27scan_by_key_config_selectorIisEEZZNS1_16scan_by_key_implILNS1_25lookback_scan_determinismE0ELb1ES3_N6thrust23THRUST_200600_302600_NS6detail15normal_iteratorINS9_10device_ptrIiEEEENSB_INSC_IsEEEESG_sNS9_4plusIvEENS9_8equal_toIvEEsEE10hipError_tPvRmT2_T3_T4_T5_mT6_T7_P12ihipStream_tbENKUlT_T0_E_clISt17integral_constantIbLb1EES11_EEDaSW_SX_EUlSW_E_NS1_11comp_targetILNS1_3genE4ELNS1_11target_archE910ELNS1_3gpuE8ELNS1_3repE0EEENS1_30default_config_static_selectorELNS0_4arch9wavefront6targetE1EEEvT1_
; %bb.0:
	s_load_dword s74, s[4:5], 0x20
	s_load_dwordx4 s[56:59], s[4:5], 0x28
	s_load_dwordx2 s[66:67], s[4:5], 0x38
	v_cmp_eq_u32_e64 s[0:1], 0, v0
	s_and_saveexec_b64 s[2:3], s[0:1]
	s_cbranch_execz .LBB1619_4
; %bb.1:
	s_mov_b64 s[8:9], exec
	v_mbcnt_lo_u32_b32 v1, s8, 0
	v_mbcnt_hi_u32_b32 v1, s9, v1
	v_cmp_eq_u32_e32 vcc, 0, v1
                                        ; implicit-def: $vgpr2
	s_and_saveexec_b64 s[6:7], vcc
	s_cbranch_execz .LBB1619_3
; %bb.2:
	s_load_dwordx2 s[10:11], s[4:5], 0x68
	s_bcnt1_i32_b64 s8, s[8:9]
	v_mov_b32_e32 v2, 0
	v_mov_b32_e32 v3, s8
	s_waitcnt lgkmcnt(0)
	global_atomic_add v2, v2, v3, s[10:11] glc
.LBB1619_3:
	s_or_b64 exec, exec, s[6:7]
	s_waitcnt vmcnt(0)
	v_readfirstlane_b32 s6, v2
	v_add_u32_e32 v1, s6, v1
	v_mov_b32_e32 v2, 0
	ds_write_b32 v2, v1
.LBB1619_4:
	s_or_b64 exec, exec, s[2:3]
	s_load_dwordx8 s[48:55], s[4:5], 0x0
	s_load_dword s2, s[4:5], 0x40
	s_load_dwordx4 s[60:63], s[4:5], 0x48
	v_mov_b32_e32 v3, 0
	s_waitcnt lgkmcnt(0)
	s_lshl_b64 s[4:5], s[50:51], 2
	; wave barrier
	ds_read_b32 v1, v3
	s_add_u32 s3, s48, s4
	s_addc_u32 s4, s49, s5
	s_lshl_b64 s[64:65], s[50:51], 1
	s_add_u32 s5, s52, s64
	s_mul_i32 s7, s67, s2
	s_mul_hi_u32 s8, s66, s2
	s_addc_u32 s6, s53, s65
	s_add_i32 s7, s8, s7
	s_movk_i32 s8, 0x600
	s_waitcnt lgkmcnt(0)
	v_mul_lo_u32 v2, v1, s8
	v_lshlrev_b64 v[4:5], 2, v[2:3]
	v_mov_b32_e32 v6, s4
	v_add_co_u32_e32 v52, vcc, s3, v4
	v_addc_co_u32_e32 v53, vcc, v6, v5, vcc
	v_lshlrev_b64 v[50:51], 1, v[2:3]
	v_mov_b32_e32 v2, s6
	v_add_co_u32_e32 v56, vcc, s5, v50
	s_mul_i32 s2, s66, s2
	v_addc_co_u32_e32 v57, vcc, v2, v51, vcc
	v_mov_b32_e32 v3, s7
	v_add_co_u32_e32 v2, vcc, s2, v1
	s_add_u32 s4, s60, -1
	v_addc_co_u32_e32 v3, vcc, 0, v3, vcc
	s_addc_u32 s5, s61, -1
	v_cmp_le_u64_e64 s[2:3], s[4:5], v[2:3]
	v_readfirstlane_b32 s59, v1
	s_mov_b64 s[20:21], -1
	s_and_b64 vcc, exec, s[2:3]
	s_mul_i32 s33, s4, 0xfffffa00
	s_waitcnt lgkmcnt(0)
	; wave barrier
	s_waitcnt lgkmcnt(0)
	s_waitcnt lgkmcnt(0)
	; wave barrier
	s_cbranch_vccz .LBB1619_130
; %bb.5:
	flat_load_dword v1, v[52:53]
	s_add_i32 s72, s33, s58
	v_cmp_gt_u32_e32 vcc, s72, v0
	s_waitcnt vmcnt(0) lgkmcnt(0)
	v_mov_b32_e32 v2, v1
	s_and_saveexec_b64 s[6:7], vcc
	s_cbranch_execz .LBB1619_7
; %bb.6:
	v_lshlrev_b32_e32 v2, 2, v0
	v_add_co_u32_e64 v2, s[4:5], v52, v2
	v_addc_co_u32_e64 v3, s[4:5], 0, v53, s[4:5]
	flat_load_dword v2, v[2:3]
.LBB1619_7:
	s_or_b64 exec, exec, s[6:7]
	v_or_b32_e32 v3, 64, v0
	v_cmp_gt_u32_e64 s[4:5], s72, v3
	v_mov_b32_e32 v3, v1
	s_and_saveexec_b64 s[8:9], s[4:5]
	s_cbranch_execz .LBB1619_9
; %bb.8:
	v_lshlrev_b32_e32 v3, 2, v0
	v_add_co_u32_e64 v4, s[6:7], v52, v3
	v_addc_co_u32_e64 v5, s[6:7], 0, v53, s[6:7]
	flat_load_dword v3, v[4:5] offset:256
.LBB1619_9:
	s_or_b64 exec, exec, s[8:9]
	v_or_b32_e32 v4, 0x80, v0
	v_cmp_gt_u32_e64 s[6:7], s72, v4
	v_mov_b32_e32 v4, v1
	s_and_saveexec_b64 s[10:11], s[6:7]
	s_cbranch_execz .LBB1619_11
; %bb.10:
	v_lshlrev_b32_e32 v4, 2, v0
	v_add_co_u32_e64 v4, s[8:9], v52, v4
	v_addc_co_u32_e64 v5, s[8:9], 0, v53, s[8:9]
	flat_load_dword v4, v[4:5] offset:512
.LBB1619_11:
	;; [unrolled: 12-line block ×15, first 2 shown]
	s_or_b64 exec, exec, s[38:39]
	v_or_b32_e32 v19, 0x400, v0
	v_cmp_gt_u32_e64 s[36:37], s72, v19
	v_mov_b32_e32 v18, v1
	s_and_saveexec_b64 s[40:41], s[36:37]
	s_cbranch_execz .LBB1619_39
; %bb.38:
	v_lshlrev_b32_e32 v18, 2, v19
	v_add_co_u32_e64 v18, s[38:39], v52, v18
	v_addc_co_u32_e64 v19, s[38:39], 0, v53, s[38:39]
	flat_load_dword v18, v[18:19]
.LBB1619_39:
	s_or_b64 exec, exec, s[40:41]
	v_or_b32_e32 v20, 0x440, v0
	v_cmp_gt_u32_e64 s[38:39], s72, v20
	v_mov_b32_e32 v19, v1
	s_and_saveexec_b64 s[42:43], s[38:39]
	s_cbranch_execz .LBB1619_41
; %bb.40:
	v_lshlrev_b32_e32 v19, 2, v20
	v_add_co_u32_e64 v20, s[40:41], v52, v19
	v_addc_co_u32_e64 v21, s[40:41], 0, v53, s[40:41]
	flat_load_dword v19, v[20:21]
.LBB1619_41:
	;; [unrolled: 12-line block ×7, first 2 shown]
	s_or_b64 exec, exec, s[52:53]
	v_or_b32_e32 v25, 0x5c0, v0
	v_cmp_gt_u32_e64 s[50:51], s72, v25
	s_and_saveexec_b64 s[60:61], s[50:51]
	s_cbranch_execz .LBB1619_53
; %bb.52:
	v_lshlrev_b32_e32 v1, 2, v25
	v_add_co_u32_e64 v26, s[52:53], v52, v1
	v_addc_co_u32_e64 v27, s[52:53], 0, v53, s[52:53]
	flat_load_dword v1, v[26:27]
.LBB1619_53:
	s_or_b64 exec, exec, s[60:61]
	v_lshlrev_b32_e32 v46, 2, v0
	s_waitcnt vmcnt(0) lgkmcnt(0)
	ds_write2st64_b32 v46, v2, v3 offset1:1
	ds_write2st64_b32 v46, v4, v5 offset0:2 offset1:3
	ds_write2st64_b32 v46, v6, v7 offset0:4 offset1:5
	;; [unrolled: 1-line block ×11, first 2 shown]
	s_waitcnt lgkmcnt(0)
	; wave barrier
	s_waitcnt lgkmcnt(0)
	flat_load_dword v58, v[52:53]
	s_movk_i32 s52, 0x5c
	v_mad_u32_u24 v1, v0, s52, v46
	s_movk_i32 s52, 0xffa4
	ds_read_b128 v[42:45], v1
	ds_read_b128 v[38:41], v1 offset:16
	ds_read_b128 v[34:37], v1 offset:32
	;; [unrolled: 1-line block ×5, first 2 shown]
	v_mad_i32_i24 v1, v0, s52, v1
	v_cmp_ne_u32_e64 s[52:53], 63, v0
	s_waitcnt lgkmcnt(0)
	ds_write_b32 v1, v42 offset:6400
	s_waitcnt lgkmcnt(0)
	; wave barrier
	s_waitcnt lgkmcnt(0)
	s_and_saveexec_b64 s[60:61], s[52:53]
	s_cbranch_execz .LBB1619_55
; %bb.54:
	s_waitcnt vmcnt(0)
	ds_read_b32 v58, v46 offset:6404
.LBB1619_55:
	s_or_b64 exec, exec, s[60:61]
	s_waitcnt lgkmcnt(0)
	; wave barrier
	s_waitcnt lgkmcnt(0)
                                        ; implicit-def: $vgpr2
	s_and_saveexec_b64 s[52:53], vcc
	s_cbranch_execz .LBB1619_201
; %bb.56:
	v_lshlrev_b32_e32 v2, 1, v0
	v_add_co_u32_e32 v2, vcc, v56, v2
	v_addc_co_u32_e32 v3, vcc, 0, v57, vcc
	flat_load_ushort v2, v[2:3]
	s_or_b64 exec, exec, s[52:53]
                                        ; implicit-def: $vgpr3
	s_and_saveexec_b64 s[52:53], s[4:5]
	s_cbranch_execnz .LBB1619_202
.LBB1619_57:
	s_or_b64 exec, exec, s[52:53]
                                        ; implicit-def: $vgpr4
	s_and_saveexec_b64 s[4:5], s[6:7]
	s_cbranch_execz .LBB1619_203
.LBB1619_58:
	v_lshlrev_b32_e32 v4, 1, v0
	v_add_co_u32_e32 v4, vcc, v56, v4
	v_addc_co_u32_e32 v5, vcc, 0, v57, vcc
	flat_load_ushort v4, v[4:5] offset:256
	s_or_b64 exec, exec, s[4:5]
                                        ; implicit-def: $vgpr5
	s_and_saveexec_b64 s[4:5], s[8:9]
	s_cbranch_execnz .LBB1619_204
.LBB1619_59:
	s_or_b64 exec, exec, s[4:5]
                                        ; implicit-def: $vgpr6
	s_and_saveexec_b64 s[4:5], s[10:11]
	s_cbranch_execz .LBB1619_205
.LBB1619_60:
	v_lshlrev_b32_e32 v6, 1, v0
	v_add_co_u32_e32 v6, vcc, v56, v6
	v_addc_co_u32_e32 v7, vcc, 0, v57, vcc
	flat_load_ushort v6, v[6:7] offset:512
	s_or_b64 exec, exec, s[4:5]
                                        ; implicit-def: $vgpr7
	s_and_saveexec_b64 s[4:5], s[12:13]
	s_cbranch_execnz .LBB1619_206
.LBB1619_61:
	s_or_b64 exec, exec, s[4:5]
                                        ; implicit-def: $vgpr8
	s_and_saveexec_b64 s[4:5], s[14:15]
	s_cbranch_execz .LBB1619_207
.LBB1619_62:
	v_lshlrev_b32_e32 v8, 1, v0
	v_add_co_u32_e32 v8, vcc, v56, v8
	v_addc_co_u32_e32 v9, vcc, 0, v57, vcc
	flat_load_ushort v8, v[8:9] offset:768
	s_or_b64 exec, exec, s[4:5]
                                        ; implicit-def: $vgpr9
	s_and_saveexec_b64 s[4:5], s[16:17]
	s_cbranch_execnz .LBB1619_208
.LBB1619_63:
	s_or_b64 exec, exec, s[4:5]
                                        ; implicit-def: $vgpr10
	s_and_saveexec_b64 s[4:5], s[18:19]
	s_cbranch_execz .LBB1619_209
.LBB1619_64:
	v_lshlrev_b32_e32 v10, 1, v0
	v_add_co_u32_e32 v10, vcc, v56, v10
	v_addc_co_u32_e32 v11, vcc, 0, v57, vcc
	flat_load_ushort v10, v[10:11] offset:1024
	s_or_b64 exec, exec, s[4:5]
                                        ; implicit-def: $vgpr11
	s_and_saveexec_b64 s[4:5], s[20:21]
	s_cbranch_execnz .LBB1619_210
.LBB1619_65:
	s_or_b64 exec, exec, s[4:5]
                                        ; implicit-def: $vgpr12
	s_and_saveexec_b64 s[4:5], s[22:23]
	s_cbranch_execz .LBB1619_211
.LBB1619_66:
	v_lshlrev_b32_e32 v12, 1, v0
	v_add_co_u32_e32 v12, vcc, v56, v12
	v_addc_co_u32_e32 v13, vcc, 0, v57, vcc
	flat_load_ushort v12, v[12:13] offset:1280
	s_or_b64 exec, exec, s[4:5]
                                        ; implicit-def: $vgpr13
	s_and_saveexec_b64 s[4:5], s[24:25]
	s_cbranch_execnz .LBB1619_212
.LBB1619_67:
	s_or_b64 exec, exec, s[4:5]
                                        ; implicit-def: $vgpr14
	s_and_saveexec_b64 s[4:5], s[26:27]
	s_cbranch_execz .LBB1619_213
.LBB1619_68:
	v_lshlrev_b32_e32 v14, 1, v0
	v_add_co_u32_e32 v14, vcc, v56, v14
	v_addc_co_u32_e32 v15, vcc, 0, v57, vcc
	flat_load_ushort v14, v[14:15] offset:1536
	s_or_b64 exec, exec, s[4:5]
                                        ; implicit-def: $vgpr15
	s_and_saveexec_b64 s[4:5], s[28:29]
	s_cbranch_execnz .LBB1619_214
.LBB1619_69:
	s_or_b64 exec, exec, s[4:5]
                                        ; implicit-def: $vgpr16
	s_and_saveexec_b64 s[4:5], s[30:31]
	s_cbranch_execz .LBB1619_215
.LBB1619_70:
	v_lshlrev_b32_e32 v16, 1, v0
	v_add_co_u32_e32 v16, vcc, v56, v16
	v_addc_co_u32_e32 v17, vcc, 0, v57, vcc
	flat_load_ushort v16, v[16:17] offset:1792
	s_or_b64 exec, exec, s[4:5]
                                        ; implicit-def: $vgpr17
	s_and_saveexec_b64 s[4:5], s[34:35]
	s_cbranch_execnz .LBB1619_216
.LBB1619_71:
	s_or_b64 exec, exec, s[4:5]
                                        ; implicit-def: $vgpr18
	s_and_saveexec_b64 s[4:5], s[36:37]
	s_cbranch_execz .LBB1619_217
.LBB1619_72:
	v_lshlrev_b32_e32 v18, 1, v0
	v_add_co_u32_e32 v18, vcc, v56, v18
	v_addc_co_u32_e32 v19, vcc, 0, v57, vcc
	flat_load_ushort v18, v[18:19] offset:2048
	s_or_b64 exec, exec, s[4:5]
                                        ; implicit-def: $vgpr19
	s_and_saveexec_b64 s[4:5], s[38:39]
	s_cbranch_execnz .LBB1619_218
.LBB1619_73:
	s_or_b64 exec, exec, s[4:5]
                                        ; implicit-def: $vgpr20
	s_and_saveexec_b64 s[4:5], s[40:41]
	s_cbranch_execz .LBB1619_219
.LBB1619_74:
	v_lshlrev_b32_e32 v20, 1, v0
	v_add_co_u32_e32 v20, vcc, v56, v20
	v_addc_co_u32_e32 v21, vcc, 0, v57, vcc
	flat_load_ushort v20, v[20:21] offset:2304
	s_or_b64 exec, exec, s[4:5]
                                        ; implicit-def: $vgpr21
	s_and_saveexec_b64 s[4:5], s[42:43]
	s_cbranch_execnz .LBB1619_220
.LBB1619_75:
	s_or_b64 exec, exec, s[4:5]
                                        ; implicit-def: $vgpr47
	s_and_saveexec_b64 s[4:5], s[44:45]
	s_cbranch_execz .LBB1619_221
.LBB1619_76:
	v_lshlrev_b32_e32 v46, 1, v0
	v_add_co_u32_e32 v46, vcc, v56, v46
	v_addc_co_u32_e32 v47, vcc, 0, v57, vcc
	flat_load_ushort v47, v[46:47] offset:2560
	s_or_b64 exec, exec, s[4:5]
                                        ; implicit-def: $vgpr48
	s_and_saveexec_b64 s[4:5], s[46:47]
	s_cbranch_execnz .LBB1619_222
.LBB1619_77:
	s_or_b64 exec, exec, s[4:5]
                                        ; implicit-def: $vgpr49
	s_and_saveexec_b64 s[4:5], s[48:49]
	s_cbranch_execz .LBB1619_79
.LBB1619_78:
	v_lshlrev_b32_e32 v46, 1, v0
	v_add_co_u32_e32 v54, vcc, v56, v46
	v_addc_co_u32_e32 v55, vcc, 0, v57, vcc
	flat_load_ushort v49, v[54:55] offset:2816
.LBB1619_79:
	s_or_b64 exec, exec, s[4:5]
	v_mul_u32_u24_e32 v60, 24, v0
                                        ; implicit-def: $vgpr54
	s_and_saveexec_b64 s[4:5], s[50:51]
	s_cbranch_execz .LBB1619_81
; %bb.80:
	v_lshlrev_b32_e32 v46, 1, v0
	v_add_co_u32_e32 v54, vcc, v56, v46
	v_addc_co_u32_e32 v55, vcc, 0, v57, vcc
	flat_load_ushort v54, v[54:55] offset:2944
.LBB1619_81:
	s_or_b64 exec, exec, s[4:5]
	v_lshlrev_b32_e32 v46, 1, v0
	s_mov_b32 s4, 0
	v_sub_u32_e32 v46, v1, v46
	s_mov_b32 s5, s4
	s_waitcnt vmcnt(0) lgkmcnt(0)
	ds_write_b16 v46, v2
	ds_write_b16 v46, v3 offset:128
	ds_write_b16 v46, v4 offset:256
	;; [unrolled: 1-line block ×23, first 2 shown]
	s_mov_b32 s6, s4
	s_mov_b32 s7, s4
	;; [unrolled: 1-line block ×6, first 2 shown]
	v_pk_mov_b32 v[2:3], s[4:5], s[4:5] op_sel:[0,1]
	s_mov_b32 s14, s4
	s_mov_b32 s15, s4
	v_pk_mov_b32 v[8:9], s[10:11], s[10:11] op_sel:[0,1]
	s_mov_b32 s12, s4
	s_mov_b32 s13, s4
	v_pk_mov_b32 v[20:21], s[14:15], s[14:15] op_sel:[0,1]
	v_pk_mov_b32 v[4:5], s[6:7], s[6:7] op_sel:[0,1]
	;; [unrolled: 1-line block ×4, first 2 shown]
	v_cmp_gt_u32_e32 vcc, s72, v60
	s_mov_b64 s[20:21], 0
	v_pk_mov_b32 v[18:19], s[12:13], s[12:13] op_sel:[0,1]
	v_mov_b32_e32 v1, 0
	s_mov_b64 s[10:11], 0
	v_pk_mov_b32 v[14:15], v[6:7], v[6:7] op_sel:[0,1]
	v_pk_mov_b32 v[12:13], v[4:5], v[4:5] op_sel:[0,1]
	;; [unrolled: 1-line block ×3, first 2 shown]
	v_mov_b32_e32 v54, 0
	v_mov_b32_e32 v55, 0
	s_waitcnt lgkmcnt(0)
	; wave barrier
	s_waitcnt lgkmcnt(0)
                                        ; implicit-def: $sgpr8_sgpr9
                                        ; implicit-def: $vgpr59
	s_and_saveexec_b64 s[6:7], vcc
	s_cbranch_execz .LBB1619_129
; %bb.82:
	v_mad_u32_u24 v1, v0, 46, v46
	ds_read_u16 v1, v1
	v_mov_b32_e32 v3, s74
	v_cmp_eq_u32_e32 vcc, v42, v43
	s_mov_b32 s8, 0
	v_or_b32_e32 v2, 1, v60
	s_waitcnt lgkmcnt(0)
	v_cndmask_b32_e32 v1, v3, v1, vcc
	v_cmp_ne_u32_e32 vcc, v42, v43
	v_and_b32_e32 v1, 0xffff, v1
	v_cndmask_b32_e64 v3, 0, 1, vcc
	s_mov_b32 s9, s8
	v_lshl_or_b32 v1, v3, 16, v1
	v_cmp_gt_u32_e32 vcc, s72, v2
	s_mov_b32 s10, s8
	s_mov_b32 s11, s8
	;; [unrolled: 1-line block ×6, first 2 shown]
	v_pk_mov_b32 v[2:3], s[8:9], s[8:9] op_sel:[0,1]
	s_mov_b32 s18, s8
	s_mov_b32 s19, s8
	v_pk_mov_b32 v[8:9], s[14:15], s[14:15] op_sel:[0,1]
	s_mov_b32 s16, s8
	s_mov_b32 s17, s8
	v_pk_mov_b32 v[20:21], s[18:19], s[18:19] op_sel:[0,1]
	v_pk_mov_b32 v[4:5], s[10:11], s[10:11] op_sel:[0,1]
	;; [unrolled: 1-line block ×4, first 2 shown]
	s_mov_b64 s[24:25], 0
	v_pk_mov_b32 v[18:19], s[16:17], s[16:17] op_sel:[0,1]
	v_mov_b32_e32 v54, 0
	v_pk_mov_b32 v[14:15], v[6:7], v[6:7] op_sel:[0,1]
	v_pk_mov_b32 v[12:13], v[4:5], v[4:5] op_sel:[0,1]
	;; [unrolled: 1-line block ×3, first 2 shown]
	v_mov_b32_e32 v55, 0
                                        ; implicit-def: $sgpr26_sgpr27
                                        ; implicit-def: $vgpr59
	s_and_saveexec_b64 s[22:23], vcc
	s_cbranch_execz .LBB1619_128
; %bb.83:
	v_mul_u32_u24_e32 v2, 46, v0
	v_add_u32_e32 v42, v46, v2
	ds_read_b128 v[46:49], v42 offset:2
	v_mov_b32_e32 v3, s74
	v_cmp_eq_u32_e32 vcc, v43, v44
	v_or_b32_e32 v2, 2, v60
	v_pk_mov_b32 v[20:21], s[18:19], s[18:19] op_sel:[0,1]
	s_waitcnt lgkmcnt(0)
	v_cndmask_b32_e32 v3, v3, v46, vcc
	v_cmp_ne_u32_e32 vcc, v43, v44
	v_and_b32_e32 v3, 0xffff, v3
	v_cndmask_b32_e64 v4, 0, 1, vcc
	v_lshl_or_b32 v54, v4, 16, v3
	v_cmp_gt_u32_e32 vcc, s72, v2
	v_pk_mov_b32 v[2:3], s[8:9], s[8:9] op_sel:[0,1]
	v_pk_mov_b32 v[8:9], s[14:15], s[14:15] op_sel:[0,1]
	;; [unrolled: 1-line block ×6, first 2 shown]
	v_mov_b32_e32 v55, 0
	v_pk_mov_b32 v[14:15], v[6:7], v[6:7] op_sel:[0,1]
	v_pk_mov_b32 v[12:13], v[4:5], v[4:5] op_sel:[0,1]
	;; [unrolled: 1-line block ×3, first 2 shown]
                                        ; implicit-def: $sgpr8_sgpr9
                                        ; implicit-def: $vgpr59
	s_and_saveexec_b64 s[16:17], vcc
	s_cbranch_execz .LBB1619_127
; %bb.84:
	v_lshrrev_b32_e32 v2, 16, v46
	v_mov_b32_e32 v4, s74
	v_cmp_eq_u32_e32 vcc, v44, v45
	v_cndmask_b32_e32 v2, v4, v2, vcc
	v_cmp_ne_u32_e32 vcc, v44, v45
	s_mov_b32 s8, 0
	v_or_b32_e32 v3, 3, v60
	v_and_b32_e32 v2, 0xffff, v2
	v_cndmask_b32_e64 v4, 0, 1, vcc
	s_mov_b32 s9, s8
	v_lshl_or_b32 v21, v4, 16, v2
	v_cmp_gt_u32_e32 vcc, s72, v3
	s_mov_b32 s10, s8
	s_mov_b32 s11, s8
	;; [unrolled: 1-line block ×6, first 2 shown]
	v_pk_mov_b32 v[2:3], s[8:9], s[8:9] op_sel:[0,1]
	v_pk_mov_b32 v[8:9], s[14:15], s[14:15] op_sel:[0,1]
	v_mov_b32_e32 v18, 0
	v_pk_mov_b32 v[4:5], s[10:11], s[10:11] op_sel:[0,1]
	v_pk_mov_b32 v[6:7], s[12:13], s[12:13] op_sel:[0,1]
	;; [unrolled: 1-line block ×3, first 2 shown]
	v_mov_b32_e32 v19, v18
	v_mov_b32_e32 v20, v18
	v_pk_mov_b32 v[14:15], v[6:7], v[6:7] op_sel:[0,1]
	v_pk_mov_b32 v[12:13], v[4:5], v[4:5] op_sel:[0,1]
	;; [unrolled: 1-line block ×3, first 2 shown]
	v_mov_b32_e32 v55, v18
                                        ; implicit-def: $sgpr28_sgpr29
                                        ; implicit-def: $vgpr59
	s_and_saveexec_b64 s[18:19], vcc
	s_cbranch_execz .LBB1619_126
; %bb.85:
	v_mov_b32_e32 v3, s74
	v_cmp_eq_u32_e32 vcc, v45, v38
	v_cndmask_b32_e32 v3, v3, v47, vcc
	v_cmp_ne_u32_e32 vcc, v45, v38
	v_or_b32_e32 v2, 4, v60
	v_and_b32_e32 v3, 0xffff, v3
	v_cndmask_b32_e64 v4, 0, 1, vcc
	v_lshl_or_b32 v20, v4, 16, v3
	v_cmp_gt_u32_e32 vcc, s72, v2
	v_pk_mov_b32 v[2:3], s[8:9], s[8:9] op_sel:[0,1]
	v_pk_mov_b32 v[8:9], s[14:15], s[14:15] op_sel:[0,1]
	v_mov_b32_e32 v18, 0
	v_pk_mov_b32 v[4:5], s[10:11], s[10:11] op_sel:[0,1]
	v_pk_mov_b32 v[6:7], s[12:13], s[12:13] op_sel:[0,1]
	;; [unrolled: 1-line block ×3, first 2 shown]
	v_mov_b32_e32 v19, v18
	s_mov_b64 s[26:27], 0
	v_pk_mov_b32 v[14:15], v[6:7], v[6:7] op_sel:[0,1]
	v_pk_mov_b32 v[12:13], v[4:5], v[4:5] op_sel:[0,1]
	;; [unrolled: 1-line block ×3, first 2 shown]
	v_mov_b32_e32 v55, v18
                                        ; implicit-def: $sgpr8_sgpr9
                                        ; implicit-def: $vgpr59
	s_and_saveexec_b64 s[24:25], vcc
	s_cbranch_execz .LBB1619_125
; %bb.86:
	v_lshrrev_b32_e32 v2, 16, v47
	v_mov_b32_e32 v4, s74
	v_cmp_eq_u32_e32 vcc, v38, v39
	v_cndmask_b32_e32 v2, v4, v2, vcc
	v_cmp_ne_u32_e32 vcc, v38, v39
	s_mov_b32 s8, 0
	v_or_b32_e32 v3, 5, v60
	v_and_b32_e32 v2, 0xffff, v2
	v_cndmask_b32_e64 v4, 0, 1, vcc
	s_mov_b32 s9, s8
	v_lshl_or_b32 v19, v4, 16, v2
	v_cmp_gt_u32_e32 vcc, s72, v3
	s_mov_b32 s10, s8
	s_mov_b32 s11, s8
	;; [unrolled: 1-line block ×6, first 2 shown]
	v_pk_mov_b32 v[2:3], s[8:9], s[8:9] op_sel:[0,1]
	v_pk_mov_b32 v[8:9], s[14:15], s[14:15] op_sel:[0,1]
	;; [unrolled: 1-line block ×5, first 2 shown]
	v_mov_b32_e32 v18, s8
	s_mov_b64 s[28:29], 0
	v_mov_b32_e32 v55, 0
	v_pk_mov_b32 v[14:15], v[6:7], v[6:7] op_sel:[0,1]
	v_pk_mov_b32 v[12:13], v[4:5], v[4:5] op_sel:[0,1]
	;; [unrolled: 1-line block ×3, first 2 shown]
                                        ; implicit-def: $sgpr34_sgpr35
                                        ; implicit-def: $vgpr59
	s_and_saveexec_b64 s[26:27], vcc
	s_cbranch_execz .LBB1619_124
; %bb.87:
	v_mov_b32_e32 v3, s74
	v_cmp_eq_u32_e32 vcc, v39, v40
	v_cndmask_b32_e32 v3, v3, v48, vcc
	v_cmp_ne_u32_e32 vcc, v39, v40
	v_or_b32_e32 v2, 6, v60
	v_and_b32_e32 v3, 0xffff, v3
	v_cndmask_b32_e64 v4, 0, 1, vcc
	v_lshl_or_b32 v18, v4, 16, v3
	v_cmp_gt_u32_e32 vcc, s72, v2
	v_pk_mov_b32 v[2:3], s[8:9], s[8:9] op_sel:[0,1]
	v_pk_mov_b32 v[8:9], s[14:15], s[14:15] op_sel:[0,1]
	;; [unrolled: 1-line block ×5, first 2 shown]
	s_mov_b64 s[30:31], 0
	v_mov_b32_e32 v55, 0
	v_pk_mov_b32 v[14:15], v[6:7], v[6:7] op_sel:[0,1]
	v_pk_mov_b32 v[12:13], v[4:5], v[4:5] op_sel:[0,1]
	;; [unrolled: 1-line block ×3, first 2 shown]
                                        ; implicit-def: $sgpr8_sgpr9
                                        ; implicit-def: $vgpr59
	s_and_saveexec_b64 s[28:29], vcc
	s_cbranch_execz .LBB1619_123
; %bb.88:
	v_lshrrev_b32_e32 v2, 16, v48
	v_mov_b32_e32 v4, s74
	v_cmp_eq_u32_e32 vcc, v40, v41
	v_cndmask_b32_e32 v2, v4, v2, vcc
	v_cmp_ne_u32_e32 vcc, v40, v41
	s_mov_b32 s8, 0
	v_or_b32_e32 v3, 7, v60
	v_and_b32_e32 v2, 0xffff, v2
	v_cndmask_b32_e64 v4, 0, 1, vcc
	s_mov_b32 s9, s8
	v_lshl_or_b32 v55, v4, 16, v2
	v_cmp_gt_u32_e32 vcc, s72, v3
	s_mov_b32 s10, s8
	s_mov_b32 s11, s8
	;; [unrolled: 1-line block ×6, first 2 shown]
	v_pk_mov_b32 v[2:3], s[8:9], s[8:9] op_sel:[0,1]
	v_pk_mov_b32 v[8:9], s[14:15], s[14:15] op_sel:[0,1]
	;; [unrolled: 1-line block ×5, first 2 shown]
	s_mov_b64 s[34:35], 0
	v_pk_mov_b32 v[14:15], v[6:7], v[6:7] op_sel:[0,1]
	v_pk_mov_b32 v[12:13], v[4:5], v[4:5] op_sel:[0,1]
	;; [unrolled: 1-line block ×3, first 2 shown]
                                        ; implicit-def: $sgpr38_sgpr39
                                        ; implicit-def: $vgpr59
	s_and_saveexec_b64 s[30:31], vcc
	s_cbranch_execz .LBB1619_122
; %bb.89:
	v_mov_b32_e32 v3, s74
	v_cmp_eq_u32_e32 vcc, v41, v34
	v_add_u32_e32 v2, 8, v60
	v_cndmask_b32_e32 v3, v3, v49, vcc
	v_cmp_ne_u32_e32 vcc, v41, v34
	v_and_b32_e32 v3, 0xffff, v3
	v_cndmask_b32_e64 v4, 0, 1, vcc
	v_cmp_gt_u32_e32 vcc, s72, v2
	v_mov_b32_e32 v2, 0
	v_pk_mov_b32 v[16:17], s[14:15], s[14:15] op_sel:[0,1]
	v_lshl_or_b32 v9, v4, 16, v3
	v_mov_b32_e32 v3, v2
	v_mov_b32_e32 v4, v2
	;; [unrolled: 1-line block ×6, first 2 shown]
	s_mov_b64 s[36:37], 0
	v_pk_mov_b32 v[14:15], s[12:13], s[12:13] op_sel:[0,1]
	v_pk_mov_b32 v[12:13], s[10:11], s[10:11] op_sel:[0,1]
	;; [unrolled: 1-line block ×3, first 2 shown]
                                        ; implicit-def: $sgpr8_sgpr9
                                        ; implicit-def: $vgpr59
	s_and_saveexec_b64 s[34:35], vcc
	s_cbranch_execz .LBB1619_121
; %bb.90:
	v_lshrrev_b32_e32 v3, 16, v49
	v_mov_b32_e32 v5, s74
	v_cmp_eq_u32_e32 vcc, v34, v35
	s_mov_b32 s8, 0
	v_cndmask_b32_e32 v3, v5, v3, vcc
	v_cmp_ne_u32_e32 vcc, v34, v35
	s_mov_b32 s14, s8
	s_mov_b32 s15, s8
	v_add_u32_e32 v4, 9, v60
	v_and_b32_e32 v3, 0xffff, v3
	v_cndmask_b32_e64 v5, 0, 1, vcc
	s_mov_b32 s9, s8
	s_mov_b32 s10, s8
	;; [unrolled: 1-line block ×5, first 2 shown]
	v_pk_mov_b32 v[16:17], s[14:15], s[14:15] op_sel:[0,1]
	v_lshl_or_b32 v8, v5, 16, v3
	v_cmp_gt_u32_e32 vcc, s72, v4
	v_mov_b32_e32 v3, v2
	v_mov_b32_e32 v4, v2
	;; [unrolled: 1-line block ×5, first 2 shown]
	s_mov_b64 s[38:39], 0
	v_pk_mov_b32 v[14:15], s[12:13], s[12:13] op_sel:[0,1]
	v_pk_mov_b32 v[12:13], s[10:11], s[10:11] op_sel:[0,1]
	;; [unrolled: 1-line block ×3, first 2 shown]
                                        ; implicit-def: $sgpr42_sgpr43
                                        ; implicit-def: $vgpr59
	s_and_saveexec_b64 s[36:37], vcc
	s_cbranch_execz .LBB1619_120
; %bb.91:
	ds_read_b128 v[38:41], v42 offset:18
	v_mov_b32_e32 v3, s74
	v_cmp_eq_u32_e32 vcc, v35, v36
	v_add_u32_e32 v2, 10, v60
	v_pk_mov_b32 v[16:17], s[14:15], s[14:15] op_sel:[0,1]
	s_waitcnt lgkmcnt(0)
	v_cndmask_b32_e32 v3, v3, v38, vcc
	v_cmp_ne_u32_e32 vcc, v35, v36
	v_and_b32_e32 v3, 0xffff, v3
	v_cndmask_b32_e64 v4, 0, 1, vcc
	v_cmp_gt_u32_e32 vcc, s72, v2
	v_mov_b32_e32 v2, 0
	v_lshl_or_b32 v7, v4, 16, v3
	v_mov_b32_e32 v3, v2
	v_mov_b32_e32 v4, v2
	;; [unrolled: 1-line block ×4, first 2 shown]
	s_mov_b64 s[40:41], 0
	v_pk_mov_b32 v[14:15], s[12:13], s[12:13] op_sel:[0,1]
	v_pk_mov_b32 v[12:13], s[10:11], s[10:11] op_sel:[0,1]
	;; [unrolled: 1-line block ×3, first 2 shown]
                                        ; implicit-def: $sgpr8_sgpr9
                                        ; implicit-def: $vgpr59
	s_and_saveexec_b64 s[38:39], vcc
	s_cbranch_execz .LBB1619_119
; %bb.92:
	v_lshrrev_b32_e32 v3, 16, v38
	v_mov_b32_e32 v5, s74
	v_cmp_eq_u32_e32 vcc, v36, v37
	s_mov_b32 s8, 0
	v_cndmask_b32_e32 v3, v5, v3, vcc
	v_cmp_ne_u32_e32 vcc, v36, v37
	s_mov_b32 s14, s8
	s_mov_b32 s15, s8
	v_add_u32_e32 v4, 11, v60
	v_and_b32_e32 v3, 0xffff, v3
	v_cndmask_b32_e64 v5, 0, 1, vcc
	s_mov_b32 s9, s8
	s_mov_b32 s10, s8
	;; [unrolled: 1-line block ×5, first 2 shown]
	v_pk_mov_b32 v[16:17], s[14:15], s[14:15] op_sel:[0,1]
	v_lshl_or_b32 v6, v5, 16, v3
	v_cmp_gt_u32_e32 vcc, s72, v4
	v_mov_b32_e32 v3, v2
	v_mov_b32_e32 v4, v2
	;; [unrolled: 1-line block ×3, first 2 shown]
	s_mov_b64 s[42:43], 0
	v_pk_mov_b32 v[14:15], s[12:13], s[12:13] op_sel:[0,1]
	v_pk_mov_b32 v[12:13], s[10:11], s[10:11] op_sel:[0,1]
	;; [unrolled: 1-line block ×3, first 2 shown]
                                        ; implicit-def: $sgpr46_sgpr47
                                        ; implicit-def: $vgpr59
	s_and_saveexec_b64 s[40:41], vcc
	s_cbranch_execz .LBB1619_118
; %bb.93:
	v_mov_b32_e32 v3, s74
	v_cmp_eq_u32_e32 vcc, v37, v30
	v_add_u32_e32 v2, 12, v60
	v_cndmask_b32_e32 v3, v3, v39, vcc
	v_cmp_ne_u32_e32 vcc, v37, v30
	v_and_b32_e32 v3, 0xffff, v3
	v_cndmask_b32_e64 v4, 0, 1, vcc
	v_cmp_gt_u32_e32 vcc, s72, v2
	v_mov_b32_e32 v2, 0
	v_pk_mov_b32 v[16:17], s[14:15], s[14:15] op_sel:[0,1]
	v_lshl_or_b32 v5, v4, 16, v3
	v_mov_b32_e32 v3, v2
	v_mov_b32_e32 v4, v2
	s_mov_b64 s[44:45], 0
	v_pk_mov_b32 v[14:15], s[12:13], s[12:13] op_sel:[0,1]
	v_pk_mov_b32 v[12:13], s[10:11], s[10:11] op_sel:[0,1]
	;; [unrolled: 1-line block ×3, first 2 shown]
                                        ; implicit-def: $sgpr8_sgpr9
                                        ; implicit-def: $vgpr59
	s_and_saveexec_b64 s[42:43], vcc
	s_cbranch_execz .LBB1619_117
; %bb.94:
	v_lshrrev_b32_e32 v3, 16, v39
	v_mov_b32_e32 v4, s74
	v_cmp_eq_u32_e32 vcc, v30, v31
	s_mov_b32 s8, 0
	v_add_u32_e32 v10, 13, v60
	v_cndmask_b32_e32 v3, v4, v3, vcc
	v_cmp_ne_u32_e32 vcc, v30, v31
	s_mov_b32 s14, s8
	s_mov_b32 s15, s8
	v_and_b32_e32 v3, 0xffff, v3
	v_cndmask_b32_e64 v4, 0, 1, vcc
	v_cmp_gt_u32_e32 vcc, s72, v10
	s_mov_b32 s9, s8
	s_mov_b32 s10, s8
	;; [unrolled: 1-line block ×5, first 2 shown]
	v_pk_mov_b32 v[16:17], s[14:15], s[14:15] op_sel:[0,1]
	v_lshl_or_b32 v4, v4, 16, v3
	v_mov_b32_e32 v3, v2
	s_mov_b64 s[46:47], 0
	v_pk_mov_b32 v[14:15], s[12:13], s[12:13] op_sel:[0,1]
	v_pk_mov_b32 v[12:13], s[10:11], s[10:11] op_sel:[0,1]
	v_pk_mov_b32 v[10:11], s[8:9], s[8:9] op_sel:[0,1]
                                        ; implicit-def: $sgpr48_sgpr49
                                        ; implicit-def: $vgpr59
	s_and_saveexec_b64 s[44:45], vcc
	s_cbranch_execz .LBB1619_116
; %bb.95:
	v_mov_b32_e32 v3, s74
	v_cmp_eq_u32_e32 vcc, v31, v32
	v_cndmask_b32_e32 v3, v3, v40, vcc
	v_cmp_ne_u32_e32 vcc, v31, v32
	v_and_b32_e32 v3, 0xffff, v3
	v_cndmask_b32_e64 v10, 0, 1, vcc
	v_add_u32_e32 v2, 14, v60
	v_lshl_or_b32 v3, v10, 16, v3
	v_pk_mov_b32 v[16:17], s[14:15], s[14:15] op_sel:[0,1]
	v_cmp_gt_u32_e32 vcc, s72, v2
	v_mov_b32_e32 v2, s8
	v_pk_mov_b32 v[14:15], s[12:13], s[12:13] op_sel:[0,1]
	v_pk_mov_b32 v[12:13], s[10:11], s[10:11] op_sel:[0,1]
	;; [unrolled: 1-line block ×3, first 2 shown]
                                        ; implicit-def: $sgpr10_sgpr11
                                        ; implicit-def: $vgpr59
	s_and_saveexec_b64 s[8:9], vcc
	s_cbranch_execz .LBB1619_115
; %bb.96:
	v_lshrrev_b32_e32 v2, 16, v40
	v_mov_b32_e32 v11, s74
	v_cmp_eq_u32_e32 vcc, v32, v33
	v_cndmask_b32_e32 v2, v11, v2, vcc
	v_cmp_ne_u32_e32 vcc, v32, v33
	s_mov_b32 s76, 0
	v_add_u32_e32 v10, 15, v60
	v_and_b32_e32 v2, 0xffff, v2
	v_cndmask_b32_e64 v11, 0, 1, vcc
	s_mov_b32 s77, s76
	v_lshl_or_b32 v2, v11, 16, v2
	v_cmp_gt_u32_e32 vcc, s72, v10
	s_mov_b32 s78, s76
	s_mov_b32 s79, s76
	;; [unrolled: 1-line block ×6, first 2 shown]
	v_pk_mov_b32 v[10:11], s[76:77], s[76:77] op_sel:[0,1]
	s_mov_b64 s[12:13], 0
	v_pk_mov_b32 v[12:13], s[78:79], s[78:79] op_sel:[0,1]
	v_pk_mov_b32 v[14:15], s[80:81], s[80:81] op_sel:[0,1]
	;; [unrolled: 1-line block ×3, first 2 shown]
                                        ; implicit-def: $sgpr46_sgpr47
                                        ; implicit-def: $vgpr59
	s_and_saveexec_b64 s[10:11], vcc
	s_cbranch_execz .LBB1619_114
; %bb.97:
	v_mov_b32_e32 v10, s74
	v_cmp_eq_u32_e32 vcc, v33, v26
	v_cndmask_b32_e32 v10, v10, v41, vcc
	v_cmp_ne_u32_e32 vcc, v33, v26
	v_and_b32_e32 v10, 0xffff, v10
	v_cndmask_b32_e64 v12, 0, 1, vcc
	v_add_u32_e32 v11, 16, v60
	v_lshl_or_b32 v10, v12, 16, v10
	v_mov_b32_e32 v12, 0
	v_cmp_gt_u32_e32 vcc, s72, v11
	v_mov_b32_e32 v11, v12
	v_mov_b32_e32 v13, v12
	;; [unrolled: 1-line block ×6, first 2 shown]
	s_mov_b64 s[14:15], 0
                                        ; implicit-def: $sgpr48_sgpr49
                                        ; implicit-def: $vgpr59
	s_and_saveexec_b64 s[12:13], vcc
	s_cbranch_execz .LBB1619_113
; %bb.98:
	v_lshrrev_b32_e32 v11, 16, v41
	v_mov_b32_e32 v14, s74
	v_cmp_eq_u32_e32 vcc, v26, v27
	v_cndmask_b32_e32 v11, v14, v11, vcc
	v_cmp_ne_u32_e32 vcc, v26, v27
	v_add_u32_e32 v13, 17, v60
	v_and_b32_e32 v11, 0xffff, v11
	v_cndmask_b32_e64 v14, 0, 1, vcc
	v_lshl_or_b32 v11, v14, 16, v11
	v_cmp_gt_u32_e32 vcc, s72, v13
	v_mov_b32_e32 v13, v12
	v_mov_b32_e32 v14, v12
	v_mov_b32_e32 v15, v12
	v_mov_b32_e32 v16, v12
	v_mov_b32_e32 v17, v12
	s_mov_b64 s[46:47], 0
                                        ; implicit-def: $sgpr50_sgpr51
                                        ; implicit-def: $vgpr59
	s_and_saveexec_b64 s[14:15], vcc
	s_cbranch_execz .LBB1619_112
; %bb.99:
	ds_read_b96 v[30:32], v42 offset:34
	v_mov_b32_e32 v12, s74
	v_cmp_eq_u32_e32 vcc, v27, v28
	v_add_u32_e32 v13, 18, v60
	s_mov_b64 s[48:49], 0
	s_waitcnt lgkmcnt(0)
	v_cndmask_b32_e32 v12, v12, v30, vcc
	v_cmp_ne_u32_e32 vcc, v27, v28
	v_and_b32_e32 v12, 0xffff, v12
	v_cndmask_b32_e64 v14, 0, 1, vcc
	v_lshl_or_b32 v12, v14, 16, v12
	v_mov_b32_e32 v14, 0
	v_cmp_gt_u32_e32 vcc, s72, v13
	v_mov_b32_e32 v13, v14
	v_mov_b32_e32 v15, v14
	;; [unrolled: 1-line block ×4, first 2 shown]
                                        ; implicit-def: $sgpr52_sgpr53
                                        ; implicit-def: $vgpr59
	s_and_saveexec_b64 s[46:47], vcc
	s_cbranch_execz .LBB1619_111
; %bb.100:
	v_lshrrev_b32_e32 v13, 16, v30
	v_mov_b32_e32 v16, s74
	v_cmp_eq_u32_e32 vcc, v28, v29
	v_cndmask_b32_e32 v13, v16, v13, vcc
	v_cmp_ne_u32_e32 vcc, v28, v29
	v_add_u32_e32 v15, 19, v60
	v_and_b32_e32 v13, 0xffff, v13
	v_cndmask_b32_e64 v16, 0, 1, vcc
	v_lshl_or_b32 v13, v16, 16, v13
	v_cmp_gt_u32_e32 vcc, s72, v15
	v_mov_b32_e32 v15, v14
	v_mov_b32_e32 v16, v14
	;; [unrolled: 1-line block ×3, first 2 shown]
	s_mov_b64 s[50:51], 0
                                        ; implicit-def: $sgpr60_sgpr61
                                        ; implicit-def: $vgpr59
	s_and_saveexec_b64 s[48:49], vcc
	s_cbranch_execz .LBB1619_110
; %bb.101:
	v_mov_b32_e32 v14, s74
	v_cmp_eq_u32_e32 vcc, v29, v22
	v_cndmask_b32_e32 v14, v14, v31, vcc
	v_cmp_ne_u32_e32 vcc, v29, v22
	v_and_b32_e32 v14, 0xffff, v14
	v_cndmask_b32_e64 v16, 0, 1, vcc
	v_add_u32_e32 v15, 20, v60
	v_lshl_or_b32 v14, v16, 16, v14
	v_mov_b32_e32 v16, 0
	v_cmp_gt_u32_e32 vcc, s72, v15
	v_mov_b32_e32 v15, v16
	v_mov_b32_e32 v17, v16
	s_mov_b64 s[52:53], 0
                                        ; implicit-def: $sgpr68_sgpr69
                                        ; implicit-def: $vgpr59
	s_and_saveexec_b64 s[50:51], vcc
	s_cbranch_execz .LBB1619_109
; %bb.102:
	v_lshrrev_b32_e32 v15, 16, v31
	v_mov_b32_e32 v26, s74
	v_cmp_eq_u32_e32 vcc, v22, v23
	v_cndmask_b32_e32 v15, v26, v15, vcc
	v_cmp_ne_u32_e32 vcc, v22, v23
	v_add_u32_e32 v17, 21, v60
	v_and_b32_e32 v15, 0xffff, v15
	v_cndmask_b32_e64 v22, 0, 1, vcc
	v_lshl_or_b32 v15, v22, 16, v15
	v_cmp_gt_u32_e32 vcc, s72, v17
	s_mov_b32 s5, 0
	v_mov_b32_e32 v17, v16
	s_mov_b64 s[60:61], 0
                                        ; implicit-def: $sgpr70_sgpr71
                                        ; implicit-def: $vgpr59
	s_and_saveexec_b64 s[52:53], vcc
	s_cbranch_execz .LBB1619_108
; %bb.103:
	v_mov_b32_e32 v16, s74
	v_cmp_eq_u32_e32 vcc, v23, v24
	v_cndmask_b32_e32 v16, v16, v32, vcc
	v_cmp_ne_u32_e32 vcc, v23, v24
	v_add_u32_e32 v17, 22, v60
	v_and_b32_e32 v16, 0xffff, v16
	v_cndmask_b32_e64 v22, 0, 1, vcc
	v_lshl_or_b32 v16, v22, 16, v16
	v_cmp_gt_u32_e32 vcc, s72, v17
	v_mov_b32_e32 v17, s5
	s_mov_b64 s[68:69], 0
                                        ; implicit-def: $sgpr70_sgpr71
                                        ; implicit-def: $vgpr59
	s_and_saveexec_b64 s[60:61], vcc
	s_cbranch_execz .LBB1619_107
; %bb.104:
	v_lshrrev_b32_e32 v17, 16, v32
	v_mov_b32_e32 v23, s74
	v_cmp_eq_u32_e32 vcc, v24, v25
	v_cndmask_b32_e32 v17, v23, v17, vcc
	v_cmp_ne_u32_e32 vcc, v24, v25
	v_add_u32_e32 v22, 23, v60
	v_and_b32_e32 v17, 0xffff, v17
	v_cndmask_b32_e64 v23, 0, 1, vcc
	v_lshl_or_b32 v17, v23, 16, v17
	v_cmp_gt_u32_e32 vcc, s72, v22
                                        ; implicit-def: $sgpr70_sgpr71
                                        ; implicit-def: $vgpr59
	s_and_saveexec_b64 s[72:73], vcc
	s_xor_b64 s[72:73], exec, s[72:73]
	s_cbranch_execz .LBB1619_106
; %bb.105:
	ds_read_u16 v22, v42 offset:46
	v_mov_b32_e32 v23, s74
	v_cmp_ne_u32_e32 vcc, v25, v58
	s_mov_b64 s[68:69], exec
	s_and_b64 s[70:71], vcc, exec
	s_waitcnt lgkmcnt(0)
	v_cndmask_b32_e32 v59, v22, v23, vcc
.LBB1619_106:
	s_or_b64 exec, exec, s[72:73]
	s_and_b64 s[70:71], s[70:71], exec
	s_and_b64 s[68:69], s[68:69], exec
.LBB1619_107:
	s_or_b64 exec, exec, s[60:61]
	s_and_b64 s[70:71], s[70:71], exec
	s_and_b64 s[60:61], s[68:69], exec
.LBB1619_108:
	s_or_b64 exec, exec, s[52:53]
	s_and_b64 s[68:69], s[70:71], exec
	s_and_b64 s[52:53], s[60:61], exec
.LBB1619_109:
	s_or_b64 exec, exec, s[50:51]
	s_and_b64 s[60:61], s[68:69], exec
	s_and_b64 s[50:51], s[52:53], exec
.LBB1619_110:
	s_or_b64 exec, exec, s[48:49]
	s_and_b64 s[52:53], s[60:61], exec
	s_and_b64 s[48:49], s[50:51], exec
.LBB1619_111:
	s_or_b64 exec, exec, s[46:47]
	s_and_b64 s[50:51], s[52:53], exec
	s_and_b64 s[46:47], s[48:49], exec
.LBB1619_112:
	s_or_b64 exec, exec, s[14:15]
	s_and_b64 s[48:49], s[50:51], exec
	s_and_b64 s[14:15], s[46:47], exec
.LBB1619_113:
	s_or_b64 exec, exec, s[12:13]
	s_and_b64 s[46:47], s[48:49], exec
	s_and_b64 s[12:13], s[14:15], exec
.LBB1619_114:
	s_or_b64 exec, exec, s[10:11]
	s_and_b64 s[10:11], s[46:47], exec
	s_and_b64 s[46:47], s[12:13], exec
.LBB1619_115:
	s_or_b64 exec, exec, s[8:9]
	s_and_b64 s[48:49], s[10:11], exec
	s_and_b64 s[46:47], s[46:47], exec
.LBB1619_116:
	s_or_b64 exec, exec, s[44:45]
	s_and_b64 s[8:9], s[48:49], exec
	s_and_b64 s[44:45], s[46:47], exec
.LBB1619_117:
	s_or_b64 exec, exec, s[42:43]
	s_and_b64 s[46:47], s[8:9], exec
	s_and_b64 s[42:43], s[44:45], exec
.LBB1619_118:
	s_or_b64 exec, exec, s[40:41]
	s_and_b64 s[8:9], s[46:47], exec
	s_and_b64 s[40:41], s[42:43], exec
.LBB1619_119:
	s_or_b64 exec, exec, s[38:39]
	s_and_b64 s[42:43], s[8:9], exec
	s_and_b64 s[38:39], s[40:41], exec
.LBB1619_120:
	s_or_b64 exec, exec, s[36:37]
	s_and_b64 s[8:9], s[42:43], exec
	s_and_b64 s[36:37], s[38:39], exec
.LBB1619_121:
	s_or_b64 exec, exec, s[34:35]
	s_and_b64 s[38:39], s[8:9], exec
	s_and_b64 s[34:35], s[36:37], exec
.LBB1619_122:
	s_or_b64 exec, exec, s[30:31]
	s_and_b64 s[8:9], s[38:39], exec
	s_and_b64 s[30:31], s[34:35], exec
.LBB1619_123:
	s_or_b64 exec, exec, s[28:29]
	s_and_b64 s[34:35], s[8:9], exec
	s_and_b64 s[28:29], s[30:31], exec
.LBB1619_124:
	s_or_b64 exec, exec, s[26:27]
	s_and_b64 s[8:9], s[34:35], exec
	s_and_b64 s[26:27], s[28:29], exec
.LBB1619_125:
	s_or_b64 exec, exec, s[24:25]
	s_and_b64 s[28:29], s[8:9], exec
	s_and_b64 s[24:25], s[26:27], exec
.LBB1619_126:
	s_or_b64 exec, exec, s[18:19]
	s_and_b64 s[8:9], s[28:29], exec
	s_and_b64 s[24:25], s[24:25], exec
.LBB1619_127:
	s_or_b64 exec, exec, s[16:17]
	s_and_b64 s[26:27], s[8:9], exec
	s_and_b64 s[24:25], s[24:25], exec
.LBB1619_128:
	s_or_b64 exec, exec, s[22:23]
	s_and_b64 s[8:9], s[26:27], exec
	s_and_b64 s[10:11], s[24:25], exec
.LBB1619_129:
	s_or_b64 exec, exec, s[6:7]
	s_and_b64 vcc, exec, s[20:21]
	s_cbranch_vccnz .LBB1619_131
	s_branch .LBB1619_136
.LBB1619_130:
	s_mov_b64 s[10:11], 0
                                        ; implicit-def: $sgpr8_sgpr9
                                        ; implicit-def: $vgpr18_vgpr19_vgpr20_vgpr21
                                        ; implicit-def: $vgpr2_vgpr3_vgpr4_vgpr5_vgpr6_vgpr7_vgpr8_vgpr9
                                        ; implicit-def: $vgpr10_vgpr11_vgpr12_vgpr13_vgpr14_vgpr15_vgpr16_vgpr17
                                        ; implicit-def: $vgpr59
                                        ; implicit-def: $vgpr1
                                        ; implicit-def: $vgpr54
                                        ; implicit-def: $vgpr55
                                        ; implicit-def: $sgpr4
	s_and_b64 vcc, exec, s[20:21]
	s_cbranch_vccz .LBB1619_136
.LBB1619_131:
	v_lshlrev_b32_e32 v1, 2, v0
	v_add_co_u32_e32 v2, vcc, v52, v1
	v_addc_co_u32_e32 v3, vcc, 0, v53, vcc
	s_movk_i32 s4, 0x1000
	flat_load_dword v4, v[2:3]
	flat_load_dword v5, v[2:3] offset:256
	flat_load_dword v6, v[2:3] offset:512
	;; [unrolled: 1-line block ×15, first 2 shown]
	v_add_co_u32_e32 v2, vcc, s4, v2
	v_addc_co_u32_e32 v3, vcc, 0, v3, vcc
	flat_load_dword v20, v[2:3]
	flat_load_dword v21, v[2:3] offset:256
	flat_load_dword v22, v[2:3] offset:512
	;; [unrolled: 1-line block ×7, first 2 shown]
	v_add_co_u32_e32 v2, vcc, 0x1000, v52
	v_addc_co_u32_e32 v3, vcc, 0, v53, vcc
	s_movk_i32 s4, 0x5c
	v_cmp_ne_u32_e32 vcc, 63, v0
	s_waitcnt vmcnt(0) lgkmcnt(0)
	ds_write2st64_b32 v1, v4, v5 offset1:1
	ds_write2st64_b32 v1, v6, v7 offset0:2 offset1:3
	ds_write2st64_b32 v1, v8, v9 offset0:4 offset1:5
	;; [unrolled: 1-line block ×11, first 2 shown]
	s_waitcnt lgkmcnt(0)
	; wave barrier
	s_waitcnt lgkmcnt(0)
	flat_load_dword v40, v[2:3] offset:2048
	v_mad_u32_u24 v6, v0, s4, v1
	s_movk_i32 s4, 0xffa4
	ds_read2_b32 v[22:23], v6 offset0:6 offset1:23
	ds_read_b64 v[18:19], v6
	ds_read2_b64 v[2:5], v6 offset0:1 offset1:2
	ds_read2_b32 v[32:33], v6 offset0:13 offset1:14
	ds_read2_b32 v[34:35], v6 offset0:11 offset1:12
	;; [unrolled: 1-line block ×8, first 2 shown]
	v_mad_i32_i24 v6, v0, s4, v6
	s_waitcnt lgkmcnt(0)
	ds_write_b32 v6, v18 offset:6400
	s_waitcnt lgkmcnt(0)
	; wave barrier
	s_waitcnt lgkmcnt(0)
	s_and_saveexec_b64 s[4:5], vcc
	s_cbranch_execz .LBB1619_133
; %bb.132:
	s_waitcnt vmcnt(0)
	ds_read_b32 v40, v1 offset:6404
.LBB1619_133:
	s_or_b64 exec, exec, s[4:5]
	v_lshlrev_b32_e32 v1, 1, v0
	v_add_co_u32_e32 v8, vcc, v56, v1
	v_addc_co_u32_e32 v9, vcc, 0, v57, vcc
	s_waitcnt lgkmcnt(0)
	; wave barrier
	s_waitcnt lgkmcnt(0)
	flat_load_ushort v7, v[8:9]
	flat_load_ushort v10, v[8:9] offset:128
	flat_load_ushort v11, v[8:9] offset:256
	flat_load_ushort v12, v[8:9] offset:384
	flat_load_ushort v13, v[8:9] offset:512
	flat_load_ushort v14, v[8:9] offset:640
	flat_load_ushort v15, v[8:9] offset:768
	flat_load_ushort v16, v[8:9] offset:896
	flat_load_ushort v17, v[8:9] offset:1024
	flat_load_ushort v20, v[8:9] offset:1152
	flat_load_ushort v21, v[8:9] offset:1280
	flat_load_ushort v41, v[8:9] offset:1408
	flat_load_ushort v42, v[8:9] offset:1536
	flat_load_ushort v43, v[8:9] offset:1664
	flat_load_ushort v44, v[8:9] offset:1792
	flat_load_ushort v45, v[8:9] offset:1920
	flat_load_ushort v46, v[8:9] offset:2048
	flat_load_ushort v47, v[8:9] offset:2176
	flat_load_ushort v48, v[8:9] offset:2304
	flat_load_ushort v49, v[8:9] offset:2432
	flat_load_ushort v52, v[8:9] offset:2560
	flat_load_ushort v53, v[8:9] offset:2688
	flat_load_ushort v54, v[8:9] offset:2816
	flat_load_ushort v55, v[8:9] offset:2944
	v_sub_u32_e32 v1, v6, v1
	v_mad_u32_u24 v56, v0, 46, v1
	v_cmp_eq_u32_e32 vcc, v18, v19
	v_mov_b32_e32 v18, s74
	s_waitcnt vmcnt(0) lgkmcnt(0)
	ds_write_b16 v1, v7
	ds_write_b16 v1, v10 offset:128
	ds_write_b16 v1, v11 offset:256
	;; [unrolled: 1-line block ×23, first 2 shown]
	s_waitcnt lgkmcnt(0)
	; wave barrier
	s_waitcnt lgkmcnt(0)
	ds_read_b96 v[14:16], v56 offset:2
	ds_read_b128 v[6:9], v56 offset:14
	ds_read_b128 v[10:13], v56 offset:30
	ds_read_u16 v41, v56 offset:46
	v_mov_b32_e32 v17, 0x10000
	s_and_saveexec_b64 s[4:5], vcc
	s_cbranch_execz .LBB1619_135
; %bb.134:
	v_mul_u32_u24_e32 v17, 46, v0
	v_add_u32_e32 v1, v1, v17
	ds_read_u16 v18, v1
	v_mov_b32_e32 v17, 0
.LBB1619_135:
	s_or_b64 exec, exec, s[4:5]
	v_mov_b32_e32 v47, s74
	v_cmp_eq_u32_e32 vcc, v19, v2
	s_waitcnt lgkmcnt(3)
	v_lshrrev_b32_e32 v21, 16, v14
	v_cndmask_b32_e32 v14, v47, v14, vcc
	v_cmp_ne_u32_e32 vcc, v19, v2
	s_waitcnt lgkmcnt(0)
	v_or_b32_sdwa v1, v17, v18 dst_sel:DWORD dst_unused:UNUSED_PAD src0_sel:DWORD src1_sel:WORD_0
	v_and_b32_e32 v14, 0xffff, v14
	v_cndmask_b32_e64 v17, 0, 1, vcc
	v_cmp_eq_u32_e32 vcc, v2, v3
	v_lshrrev_b32_e32 v20, 16, v15
	v_lshl_or_b32 v54, v17, 16, v14
	v_cndmask_b32_e32 v14, v47, v21, vcc
	v_cmp_eq_u32_e32 vcc, v4, v5
	v_cndmask_b32_e32 v17, v47, v20, vcc
	v_cmp_eq_u32_e32 vcc, v3, v4
	;; [unrolled: 2-line block ×3, first 2 shown]
	v_lshrrev_b32_e32 v42, 16, v16
	v_cndmask_b32_e32 v16, v47, v16, vcc
	v_cmp_ne_u32_e32 vcc, v3, v4
	v_and_b32_e32 v15, 0xffff, v15
	v_cndmask_b32_e64 v18, 0, 1, vcc
	v_cmp_ne_u32_e32 vcc, v5, v22
	v_lshl_or_b32 v20, v18, 16, v15
	v_cndmask_b32_e64 v15, 0, 1, vcc
	v_cmp_ne_u32_e32 vcc, v2, v3
	v_and_b32_e32 v14, 0xffff, v14
	v_cndmask_b32_e64 v2, 0, 1, vcc
	v_cmp_ne_u32_e32 vcc, v4, v5
	v_and_b32_e32 v17, 0xffff, v17
	v_lshl_or_b32 v21, v2, 16, v14
	v_cndmask_b32_e64 v2, 0, 1, vcc
	v_cmp_eq_u32_e32 vcc, v22, v38
	v_lshl_or_b32 v19, v2, 16, v17
	v_cndmask_b32_e32 v2, v47, v42, vcc
	v_cmp_ne_u32_e32 vcc, v22, v38
	v_lshrrev_b32_e32 v46, 16, v6
	v_and_b32_e32 v2, 0xffff, v2
	v_cndmask_b32_e64 v3, 0, 1, vcc
	v_cmp_eq_u32_e32 vcc, v39, v36
	v_lshrrev_b32_e32 v45, 16, v7
	v_lshl_or_b32 v55, v3, 16, v2
	v_cndmask_b32_e32 v2, v47, v46, vcc
	v_cmp_eq_u32_e32 vcc, v37, v34
	v_lshrrev_b32_e32 v44, 16, v8
	v_cndmask_b32_e32 v3, v47, v45, vcc
	v_cmp_eq_u32_e32 vcc, v35, v32
	v_lshrrev_b32_e32 v43, 16, v9
	v_cndmask_b32_e32 v4, v47, v44, vcc
	v_cmp_eq_u32_e32 vcc, v33, v26
	v_cndmask_b32_e32 v5, v47, v43, vcc
	v_cmp_eq_u32_e32 vcc, v38, v39
	;; [unrolled: 2-line block ×5, first 2 shown]
	v_cndmask_b32_e32 v9, v47, v9, vcc
	v_cmp_ne_u32_e32 vcc, v38, v39
	v_and_b32_e32 v16, 0xffff, v16
	v_and_b32_e32 v14, 0xffff, v5
	;; [unrolled: 1-line block ×4, first 2 shown]
	v_cndmask_b32_e64 v8, 0, 1, vcc
	v_cmp_ne_u32_e32 vcc, v36, v37
	v_lshl_or_b32 v18, v15, 16, v16
	v_and_b32_e32 v15, 0xffff, v3
	v_and_b32_e32 v3, 0xffff, v9
	;; [unrolled: 1-line block ×3, first 2 shown]
	v_lshl_or_b32 v9, v8, 16, v6
	v_cndmask_b32_e64 v6, 0, 1, vcc
	v_cmp_ne_u32_e32 vcc, v34, v35
	v_lshl_or_b32 v7, v6, 16, v7
	v_cndmask_b32_e64 v6, 0, 1, vcc
	v_cmp_ne_u32_e32 vcc, v32, v33
	;; [unrolled: 3-line block ×3, first 2 shown]
	v_and_b32_e32 v2, 0xffff, v2
	v_lshl_or_b32 v3, v6, 16, v3
	v_cndmask_b32_e64 v6, 0, 1, vcc
	v_cmp_ne_u32_e32 vcc, v37, v34
	v_lshl_or_b32 v8, v6, 16, v2
	v_cndmask_b32_e64 v2, 0, 1, vcc
	v_cmp_ne_u32_e32 vcc, v35, v32
	v_and_b32_e32 v4, 0xffff, v4
	v_lshl_or_b32 v6, v2, 16, v15
	v_cndmask_b32_e64 v2, 0, 1, vcc
	v_cmp_ne_u32_e32 vcc, v33, v26
	v_lshl_or_b32 v4, v2, 16, v4
	v_cndmask_b32_e64 v2, 0, 1, vcc
	v_lshl_or_b32 v2, v2, 16, v14
	v_lshrrev_b32_e32 v14, 16, v13
	v_cmp_eq_u32_e32 vcc, v31, v23
	v_cndmask_b32_e32 v14, v47, v14, vcc
	v_lshrrev_b32_e32 v15, 16, v12
	v_cmp_eq_u32_e32 vcc, v29, v30
	v_cndmask_b32_e32 v15, v47, v15, vcc
	;; [unrolled: 3-line block ×4, first 2 shown]
	v_cmp_eq_u32_e32 vcc, v30, v31
	v_cndmask_b32_e32 v13, v47, v13, vcc
	v_cmp_eq_u32_e32 vcc, v28, v29
	v_cndmask_b32_e32 v12, v47, v12, vcc
	;; [unrolled: 2-line block ×4, first 2 shown]
	v_cmp_ne_u32_e32 vcc, v30, v31
	v_and_b32_e32 v22, 0xffff, v17
	v_and_b32_e32 v17, 0xffff, v14
	;; [unrolled: 1-line block ×3, first 2 shown]
	v_cndmask_b32_e64 v14, 0, 1, vcc
	v_cmp_ne_u32_e32 vcc, v28, v29
	v_and_b32_e32 v32, 0xffff, v16
	v_and_b32_e32 v12, 0xffff, v12
	v_lshl_or_b32 v16, v14, 16, v13
	v_cndmask_b32_e64 v13, 0, 1, vcc
	v_cmp_ne_u32_e32 vcc, v24, v25
	v_and_b32_e32 v11, 0xffff, v11
	v_lshl_or_b32 v14, v13, 16, v12
	v_cndmask_b32_e64 v12, 0, 1, vcc
	v_cmp_ne_u32_e32 vcc, v26, v27
	;; [unrolled: 4-line block ×3, first 2 shown]
	v_lshl_or_b32 v10, v11, 16, v10
	v_cndmask_b32_e64 v11, 0, 1, vcc
	v_cmp_ne_u32_e32 vcc, v29, v30
	v_and_b32_e32 v15, 0xffff, v15
	v_lshl_or_b32 v17, v11, 16, v17
	v_cndmask_b32_e64 v11, 0, 1, vcc
	v_cmp_ne_u32_e32 vcc, v25, v28
	v_lshl_or_b32 v15, v11, 16, v15
	v_cndmask_b32_e64 v11, 0, 1, vcc
	v_cmp_ne_u32_e32 vcc, v27, v24
	v_lshl_or_b32 v13, v11, 16, v32
	v_cndmask_b32_e64 v11, 0, 1, vcc
	v_cmp_ne_u32_e64 s[8:9], v23, v40
	v_lshl_or_b32 v11, v11, 16, v22
	v_cndmask_b32_e64 v59, v41, v47, s[8:9]
	s_mov_b64 s[10:11], -1
                                        ; implicit-def: $sgpr4
.LBB1619_136:
	v_mov_b32_e32 v32, s4
	s_and_saveexec_b64 s[4:5], s[10:11]
; %bb.137:
	v_mov_b32_e32 v22, 0x10000
	v_cndmask_b32_e64 v22, 0, v22, s[8:9]
	v_or_b32_sdwa v32, v22, v59 dst_sel:DWORD dst_unused:UNUSED_PAD src0_sel:DWORD src1_sel:WORD_0
; %bb.138:
	s_or_b64 exec, exec, s[4:5]
	s_cmp_lg_u32 s59, 0
	v_mbcnt_lo_u32_b32 v33, -1, 0
	s_waitcnt lgkmcnt(0)
	; wave barrier
	s_waitcnt lgkmcnt(0)
	s_cbranch_scc0 .LBB1619_223
; %bb.139:
	s_mov_b32 s50, 0x10000
	v_cmp_gt_u32_e64 s[4:5], s50, v54
	v_cndmask_b32_e64 v22, 0, v1, s[4:5]
	v_add_u16_e32 v22, v22, v54
	v_cmp_gt_u32_e64 s[6:7], s50, v21
	v_cndmask_b32_e64 v22, 0, v22, s[6:7]
	v_add_u16_e32 v22, v22, v21
	;; [unrolled: 3-line block ×16, first 2 shown]
	v_cmp_gt_u32_e64 s[38:39], s50, v12
	v_cndmask_b32_e64 v22, 0, v22, s[38:39]
	v_or3_b32 v24, v32, v17, v16
	v_add_u16_e32 v22, v22, v12
	v_cmp_gt_u32_e64 s[40:41], s50, v13
	v_or3_b32 v24, v24, v15, v14
	v_cndmask_b32_e64 v22, 0, v22, s[40:41]
	v_or3_b32 v24, v24, v13, v12
	v_add_u16_e32 v22, v22, v13
	v_cmp_gt_u32_e64 s[42:43], s50, v14
	v_or3_b32 v24, v24, v11, v10
	;; [unrolled: 5-line block ×5, first 2 shown]
	v_cndmask_b32_e64 v22, 0, v22, s[48:49]
	v_or3_b32 v24, v24, v21, v54
	v_add_u16_e32 v22, v22, v17
	v_cmp_gt_u32_e32 vcc, s50, v32
	v_and_b32_e32 v24, 0x10000, v24
	v_and_b32_e32 v23, 0x10000, v1
	v_cndmask_b32_e32 v25, 0, v22, vcc
	v_mov_b32_e32 v26, 0x10000
	v_cmp_ne_u32_e32 vcc, 0, v24
	v_add_u16_e32 v22, v25, v32
	v_cndmask_b32_e32 v24, v23, v26, vcc
	v_add_u16_e32 v26, v25, v32
	v_mbcnt_hi_u32_b32 v25, -1, v33
	v_and_b32_e32 v27, 15, v25
	v_or_b32_e32 v26, v24, v26
	v_lshrrev_b32_e32 v23, 16, v24
	v_cmp_ne_u32_e32 vcc, 0, v27
	v_mov_b32_dpp v28, v26 row_shr:1 row_mask:0xf bank_mask:0xf
	s_and_saveexec_b64 s[50:51], vcc
	s_cbranch_execz .LBB1619_141
; %bb.140:
	v_cmp_eq_u32_e32 vcc, 0, v24
	v_and_b32_e32 v23, 0x10000, v24
	v_mov_b32_e32 v24, 1
	v_cndmask_b32_e32 v26, 0, v28, vcc
	v_and_b32_sdwa v24, v28, v24 dst_sel:DWORD dst_unused:UNUSED_PAD src0_sel:WORD_1 src1_sel:DWORD
	v_cmp_ne_u32_e32 vcc, 0, v23
	v_cndmask_b32_e64 v23, v24, 1, vcc
	v_add_u16_e32 v29, v26, v22
	v_lshlrev_b32_e32 v24, 16, v23
	v_add_u16_e32 v22, v26, v22
	v_or_b32_e32 v26, v24, v22
	v_mov_b32_e32 v22, v29
.LBB1619_141:
	s_or_b64 exec, exec, s[50:51]
	v_lshrrev_b32_e32 v24, 16, v26
	v_mov_b32_dpp v28, v26 row_shr:2 row_mask:0xf bank_mask:0xf
	v_cmp_lt_u32_e32 vcc, 1, v27
	s_and_saveexec_b64 s[50:51], vcc
	s_cbranch_execz .LBB1619_143
; %bb.142:
	s_mov_b32 s52, 0x10000
	v_cmp_gt_u32_e32 vcc, s52, v26
	v_and_b32_e32 v23, 0x10000, v26
	v_mov_b32_e32 v26, 1
	v_cndmask_b32_e32 v24, 0, v28, vcc
	v_and_b32_sdwa v26, v28, v26 dst_sel:DWORD dst_unused:UNUSED_PAD src0_sel:WORD_1 src1_sel:DWORD
	v_cmp_ne_u32_e32 vcc, 0, v23
	v_cndmask_b32_e64 v23, v26, 1, vcc
	v_add_u16_e32 v29, v24, v22
	v_lshlrev_b32_e32 v26, 16, v23
	v_add_u16_e32 v22, v24, v22
	v_or_b32_e32 v26, v26, v22
	v_mov_b32_e32 v22, v29
	v_mov_b32_e32 v24, v23
.LBB1619_143:
	s_or_b64 exec, exec, s[50:51]
	v_mov_b32_dpp v28, v26 row_shr:4 row_mask:0xf bank_mask:0xf
	v_cmp_lt_u32_e32 vcc, 3, v27
	s_and_saveexec_b64 s[50:51], vcc
	s_cbranch_execz .LBB1619_145
; %bb.144:
	v_cmp_eq_u16_e32 vcc, 0, v24
	v_and_b32_e32 v23, 1, v24
	v_mov_b32_e32 v24, 1
	v_cndmask_b32_e32 v26, 0, v28, vcc
	v_and_b32_sdwa v24, v28, v24 dst_sel:DWORD dst_unused:UNUSED_PAD src0_sel:WORD_1 src1_sel:DWORD
	v_cmp_eq_u32_e32 vcc, 1, v23
	v_cndmask_b32_e64 v23, v24, 1, vcc
	v_add_u16_e32 v29, v26, v22
	v_lshlrev_b32_e32 v24, 16, v23
	v_add_u16_e32 v22, v26, v22
	v_or_b32_e32 v26, v24, v22
	v_mov_b32_e32 v22, v29
	v_mov_b32_e32 v24, v23
.LBB1619_145:
	s_or_b64 exec, exec, s[50:51]
	v_mov_b32_dpp v28, v26 row_shr:8 row_mask:0xf bank_mask:0xf
	v_cmp_lt_u32_e32 vcc, 7, v27
	s_and_saveexec_b64 s[50:51], vcc
	s_cbranch_execz .LBB1619_147
; %bb.146:
	v_cmp_eq_u16_e32 vcc, 0, v24
	v_and_b32_e32 v23, 1, v24
	v_mov_b32_e32 v24, 1
	v_cndmask_b32_e32 v26, 0, v28, vcc
	v_and_b32_sdwa v24, v28, v24 dst_sel:DWORD dst_unused:UNUSED_PAD src0_sel:WORD_1 src1_sel:DWORD
	v_cmp_eq_u32_e32 vcc, 1, v23
	v_cndmask_b32_e64 v23, v24, 1, vcc
	v_add_u16_e32 v27, v26, v22
	v_lshlrev_b32_e32 v24, 16, v23
	v_add_u16_e32 v22, v26, v22
	v_or_b32_e32 v26, v24, v22
	v_mov_b32_e32 v22, v27
	v_mov_b32_e32 v24, v23
.LBB1619_147:
	s_or_b64 exec, exec, s[50:51]
	v_and_b32_e32 v28, 16, v25
	v_mov_b32_dpp v27, v26 row_bcast:15 row_mask:0xf bank_mask:0xf
	v_cmp_ne_u32_e32 vcc, 0, v28
	s_and_saveexec_b64 s[50:51], vcc
	s_cbranch_execz .LBB1619_149
; %bb.148:
	v_cmp_eq_u16_e32 vcc, 0, v24
	v_and_b32_e32 v23, 1, v24
	v_mov_b32_e32 v24, 1
	v_cndmask_b32_e32 v26, 0, v27, vcc
	v_and_b32_sdwa v24, v27, v24 dst_sel:DWORD dst_unused:UNUSED_PAD src0_sel:WORD_1 src1_sel:DWORD
	v_cmp_eq_u32_e32 vcc, 1, v23
	v_cndmask_b32_e64 v23, v24, 1, vcc
	v_add_u16_e32 v28, v26, v22
	v_lshlrev_b32_e32 v24, 16, v23
	v_add_u16_e32 v22, v26, v22
	v_or_b32_e32 v26, v24, v22
	v_mov_b32_e32 v22, v28
	v_mov_b32_e32 v24, v23
.LBB1619_149:
	s_or_b64 exec, exec, s[50:51]
	v_mov_b32_dpp v26, v26 row_bcast:31 row_mask:0xf bank_mask:0xf
	v_cmp_lt_u32_e32 vcc, 31, v25
	s_and_saveexec_b64 s[50:51], vcc
; %bb.150:
	v_cmp_eq_u16_e32 vcc, 0, v24
	v_cndmask_b32_e32 v23, 0, v26, vcc
	v_add_u16_e32 v22, v23, v22
	v_and_b32_e32 v23, 1, v24
	v_mov_b32_e32 v24, 1
	v_and_b32_sdwa v24, v26, v24 dst_sel:DWORD dst_unused:UNUSED_PAD src0_sel:WORD_1 src1_sel:DWORD
	v_cmp_eq_u32_e32 vcc, 1, v23
	v_cndmask_b32_e64 v23, v24, 1, vcc
	v_mov_b32_e32 v24, v23
; %bb.151:
	s_or_b64 exec, exec, s[50:51]
	v_cmp_eq_u32_e32 vcc, 63, v0
	s_and_saveexec_b64 s[50:51], vcc
	s_cbranch_execz .LBB1619_153
; %bb.152:
	v_mov_b32_e32 v26, 0
	ds_write_b16 v26, v22
	ds_write_b8 v26, v24 offset:2
.LBB1619_153:
	s_or_b64 exec, exec, s[50:51]
	v_lshlrev_b32_e32 v23, 16, v23
	v_or_b32_sdwa v22, v23, v22 dst_sel:DWORD dst_unused:UNUSED_PAD src0_sel:DWORD src1_sel:WORD_0
	v_add_u32_e32 v23, -1, v25
	v_and_b32_e32 v24, 64, v25
	v_cmp_lt_i32_e32 vcc, v23, v24
	v_cndmask_b32_e32 v23, v23, v25, vcc
	v_lshlrev_b32_e32 v23, 2, v23
	ds_bpermute_b32 v34, v23, v22
	v_cmp_gt_u32_e32 vcc, 64, v0
	s_waitcnt lgkmcnt(0)
	; wave barrier
	s_waitcnt lgkmcnt(0)
	s_and_saveexec_b64 s[52:53], vcc
	s_cbranch_execz .LBB1619_200
; %bb.154:
	v_mov_b32_e32 v31, 0
	ds_read_b32 v22, v31
	s_mov_b32 s69, 0
	v_cmp_eq_u32_e64 s[50:51], 0, v25
	s_and_saveexec_b64 s[60:61], s[50:51]
	s_cbranch_execz .LBB1619_156
; %bb.155:
	s_add_i32 s68, s59, 64
	s_lshl_b64 s[68:69], s[68:69], 3
	s_add_u32 s68, s56, s68
	v_mov_b32_e32 v23, 1
	s_addc_u32 s69, s57, s69
	s_waitcnt lgkmcnt(0)
	global_store_dwordx2 v31, v[22:23], s[68:69]
.LBB1619_156:
	s_or_b64 exec, exec, s[60:61]
	v_xad_u32 v24, v25, -1, s59
	v_add_u32_e32 v30, 64, v24
	v_lshlrev_b64 v[26:27], 3, v[30:31]
	v_mov_b32_e32 v23, s57
	v_add_co_u32_e32 v26, vcc, s56, v26
	v_addc_co_u32_e32 v27, vcc, v23, v27, vcc
	global_load_dwordx2 v[28:29], v[26:27], off glc
	s_waitcnt vmcnt(0)
	v_cmp_eq_u16_sdwa s[68:69], v29, v31 src0_sel:BYTE_0 src1_sel:DWORD
	s_and_saveexec_b64 s[60:61], s[68:69]
	s_cbranch_execz .LBB1619_162
; %bb.157:
	s_mov_b32 s70, 1
	s_mov_b64 s[68:69], 0
	v_mov_b32_e32 v23, 0
.LBB1619_158:                           ; =>This Loop Header: Depth=1
                                        ;     Child Loop BB1619_159 Depth 2
	s_max_u32 s71, s70, 1
.LBB1619_159:                           ;   Parent Loop BB1619_158 Depth=1
                                        ; =>  This Inner Loop Header: Depth=2
	s_add_i32 s71, s71, -1
	s_cmp_eq_u32 s71, 0
	s_sleep 1
	s_cbranch_scc0 .LBB1619_159
; %bb.160:                              ;   in Loop: Header=BB1619_158 Depth=1
	global_load_dwordx2 v[28:29], v[26:27], off glc
	s_cmp_lt_u32 s70, 32
	s_cselect_b64 s[72:73], -1, 0
	s_cmp_lg_u64 s[72:73], 0
	s_addc_u32 s70, s70, 0
	s_waitcnt vmcnt(0)
	v_cmp_ne_u16_sdwa s[72:73], v29, v23 src0_sel:BYTE_0 src1_sel:DWORD
	s_or_b64 s[68:69], s[72:73], s[68:69]
	s_andn2_b64 exec, exec, s[68:69]
	s_cbranch_execnz .LBB1619_158
; %bb.161:
	s_or_b64 exec, exec, s[68:69]
.LBB1619_162:
	s_or_b64 exec, exec, s[60:61]
	v_mov_b32_e32 v23, 2
	v_cmp_eq_u16_sdwa s[60:61], v29, v23 src0_sel:BYTE_0 src1_sel:DWORD
	v_lshlrev_b64 v[26:27], v25, -1
	v_and_b32_e32 v23, s61, v27
	v_or_b32_e32 v23, 0x80000000, v23
	v_ffbl_b32_e32 v23, v23
	v_add_u32_e32 v31, 32, v23
	v_and_b32_e32 v23, 63, v25
	v_cmp_ne_u32_e32 vcc, 63, v23
	v_addc_co_u32_e32 v35, vcc, 0, v25, vcc
	v_and_b32_e32 v46, 0xffffff, v28
	v_lshlrev_b32_e32 v35, 2, v35
	ds_bpermute_b32 v36, v35, v46
	v_and_b32_e32 v30, s60, v26
	v_ffbl_b32_e32 v30, v30
	v_min_u32_e32 v31, v30, v31
	v_lshrrev_b32_e32 v30, 16, v28
	v_cmp_lt_u32_e32 vcc, v23, v31
	v_bfe_u32 v44, v28, 16, 8
	s_and_saveexec_b64 s[60:61], vcc
	s_cbranch_execz .LBB1619_164
; %bb.163:
	v_and_b32_e32 v30, 0xff0000, v28
	v_cmp_eq_u32_e32 vcc, 0, v30
	v_and_b32_e32 v30, 0x10000, v30
	v_mov_b32_e32 v39, 1
	s_waitcnt lgkmcnt(0)
	v_cndmask_b32_e32 v37, 0, v36, vcc
	v_and_b32_sdwa v36, v36, v39 dst_sel:DWORD dst_unused:UNUSED_PAD src0_sel:WORD_1 src1_sel:DWORD
	v_cmp_ne_u32_e32 vcc, 0, v30
	v_cndmask_b32_e64 v30, v36, 1, vcc
	v_add_u16_e32 v38, v37, v28
	v_lshlrev_b32_e32 v36, 16, v30
	v_add_u16_e32 v28, v37, v28
	v_or_b32_e32 v46, v36, v28
	v_mov_b32_e32 v28, v38
	v_mov_b32_e32 v44, v30
.LBB1619_164:
	s_or_b64 exec, exec, s[60:61]
	v_cmp_gt_u32_e32 vcc, 62, v23
	s_waitcnt lgkmcnt(0)
	v_cndmask_b32_e64 v36, 0, 1, vcc
	v_lshlrev_b32_e32 v36, 1, v36
	v_add_lshl_u32 v36, v36, v25, 2
	ds_bpermute_b32 v38, v36, v46
	v_add_u32_e32 v37, 2, v23
	v_cmp_le_u32_e32 vcc, v37, v31
	s_and_saveexec_b64 s[60:61], vcc
	s_cbranch_execz .LBB1619_166
; %bb.165:
	v_cmp_eq_u16_e32 vcc, 0, v44
	v_and_b32_e32 v30, 1, v44
	v_mov_b32_e32 v41, 1
	s_waitcnt lgkmcnt(0)
	v_cndmask_b32_e32 v39, 0, v38, vcc
	v_and_b32_sdwa v38, v38, v41 dst_sel:DWORD dst_unused:UNUSED_PAD src0_sel:WORD_1 src1_sel:DWORD
	v_cmp_eq_u32_e32 vcc, 1, v30
	v_cndmask_b32_e64 v30, v38, 1, vcc
	v_add_u16_e32 v40, v39, v28
	v_lshlrev_b32_e32 v38, 16, v30
	v_add_u16_e32 v28, v39, v28
	v_or_b32_e32 v46, v38, v28
	v_mov_b32_e32 v28, v40
	v_mov_b32_e32 v44, v30
.LBB1619_166:
	s_or_b64 exec, exec, s[60:61]
	v_cmp_gt_u32_e32 vcc, 60, v23
	s_waitcnt lgkmcnt(0)
	v_cndmask_b32_e64 v38, 0, 1, vcc
	v_lshlrev_b32_e32 v38, 2, v38
	v_add_lshl_u32 v38, v38, v25, 2
	ds_bpermute_b32 v40, v38, v46
	v_add_u32_e32 v39, 4, v23
	v_cmp_le_u32_e32 vcc, v39, v31
	s_and_saveexec_b64 s[60:61], vcc
	s_cbranch_execz .LBB1619_168
; %bb.167:
	v_cmp_eq_u16_e32 vcc, 0, v44
	v_and_b32_e32 v30, 1, v44
	v_mov_b32_e32 v43, 1
	s_waitcnt lgkmcnt(0)
	v_cndmask_b32_e32 v41, 0, v40, vcc
	v_and_b32_sdwa v40, v40, v43 dst_sel:DWORD dst_unused:UNUSED_PAD src0_sel:WORD_1 src1_sel:DWORD
	v_cmp_eq_u32_e32 vcc, 1, v30
	v_cndmask_b32_e64 v30, v40, 1, vcc
	v_add_u16_e32 v42, v41, v28
	v_lshlrev_b32_e32 v40, 16, v30
	v_add_u16_e32 v28, v41, v28
	v_or_b32_e32 v46, v40, v28
	v_mov_b32_e32 v28, v42
	v_mov_b32_e32 v44, v30
.LBB1619_168:
	;; [unrolled: 27-line block ×4, first 2 shown]
	s_or_b64 exec, exec, s[60:61]
	v_cmp_gt_u32_e32 vcc, 32, v23
	s_waitcnt lgkmcnt(0)
	v_cndmask_b32_e64 v45, 0, 1, vcc
	v_lshlrev_b32_e32 v45, 5, v45
	v_add_lshl_u32 v45, v45, v25, 2
	ds_bpermute_b32 v25, v45, v46
	v_add_u32_e32 v46, 32, v23
	v_cmp_le_u32_e32 vcc, v46, v31
	s_and_saveexec_b64 s[60:61], vcc
	s_cbranch_execz .LBB1619_174
; %bb.173:
	v_cmp_eq_u16_e32 vcc, 0, v44
	s_waitcnt lgkmcnt(0)
	v_cndmask_b32_e32 v30, 0, v25, vcc
	v_add_u16_e32 v28, v30, v28
	v_and_b32_e32 v30, 1, v44
	v_mov_b32_e32 v31, 1
	v_and_b32_sdwa v25, v25, v31 dst_sel:DWORD dst_unused:UNUSED_PAD src0_sel:WORD_1 src1_sel:DWORD
	v_cmp_eq_u32_e32 vcc, 1, v30
	v_cndmask_b32_e64 v30, v25, 1, vcc
.LBB1619_174:
	s_or_b64 exec, exec, s[60:61]
	s_waitcnt lgkmcnt(0)
	v_mov_b32_e32 v25, 0
	v_mov_b32_e32 v48, 2
	;; [unrolled: 1-line block ×3, first 2 shown]
	s_branch .LBB1619_176
.LBB1619_175:                           ;   in Loop: Header=BB1619_176 Depth=1
	s_or_b64 exec, exec, s[60:61]
	v_cmp_eq_u16_sdwa vcc, v44, v25 src0_sel:BYTE_0 src1_sel:DWORD
	v_and_b32_e32 v30, 1, v44
	v_cndmask_b32_e32 v28, 0, v28, vcc
	v_and_b32_e32 v31, 1, v31
	v_cmp_eq_u32_e32 vcc, 1, v30
	v_subrev_u32_e32 v24, 64, v24
	v_add_u16_e32 v28, v28, v47
	v_cndmask_b32_e64 v30, v31, 1, vcc
.LBB1619_176:                           ; =>This Loop Header: Depth=1
                                        ;     Child Loop BB1619_179 Depth 2
                                        ;       Child Loop BB1619_180 Depth 3
	v_cmp_ne_u16_sdwa s[60:61], v29, v48 src0_sel:BYTE_0 src1_sel:DWORD
	v_cndmask_b32_e64 v29, 0, 1, s[60:61]
	;;#ASMSTART
	;;#ASMEND
	v_cmp_ne_u32_e32 vcc, 0, v29
	v_mov_b32_e32 v44, v30
	s_cmp_lg_u64 vcc, exec
	v_mov_b32_e32 v47, v28
	s_cbranch_scc1 .LBB1619_195
; %bb.177:                              ;   in Loop: Header=BB1619_176 Depth=1
	v_lshlrev_b64 v[28:29], 3, v[24:25]
	v_mov_b32_e32 v31, s57
	v_add_co_u32_e32 v30, vcc, s56, v28
	v_addc_co_u32_e32 v31, vcc, v31, v29, vcc
	global_load_dwordx2 v[28:29], v[30:31], off glc
	s_waitcnt vmcnt(0)
	v_cmp_eq_u16_sdwa s[68:69], v29, v25 src0_sel:BYTE_0 src1_sel:DWORD
	s_and_saveexec_b64 s[60:61], s[68:69]
	s_cbranch_execz .LBB1619_183
; %bb.178:                              ;   in Loop: Header=BB1619_176 Depth=1
	s_mov_b32 s70, 1
	s_mov_b64 s[68:69], 0
.LBB1619_179:                           ;   Parent Loop BB1619_176 Depth=1
                                        ; =>  This Loop Header: Depth=2
                                        ;       Child Loop BB1619_180 Depth 3
	s_max_u32 s71, s70, 1
.LBB1619_180:                           ;   Parent Loop BB1619_176 Depth=1
                                        ;     Parent Loop BB1619_179 Depth=2
                                        ; =>    This Inner Loop Header: Depth=3
	s_add_i32 s71, s71, -1
	s_cmp_eq_u32 s71, 0
	s_sleep 1
	s_cbranch_scc0 .LBB1619_180
; %bb.181:                              ;   in Loop: Header=BB1619_179 Depth=2
	global_load_dwordx2 v[28:29], v[30:31], off glc
	s_cmp_lt_u32 s70, 32
	s_cselect_b64 s[72:73], -1, 0
	s_cmp_lg_u64 s[72:73], 0
	s_addc_u32 s70, s70, 0
	s_waitcnt vmcnt(0)
	v_cmp_ne_u16_sdwa s[72:73], v29, v25 src0_sel:BYTE_0 src1_sel:DWORD
	s_or_b64 s[68:69], s[72:73], s[68:69]
	s_andn2_b64 exec, exec, s[68:69]
	s_cbranch_execnz .LBB1619_179
; %bb.182:                              ;   in Loop: Header=BB1619_176 Depth=1
	s_or_b64 exec, exec, s[68:69]
.LBB1619_183:                           ;   in Loop: Header=BB1619_176 Depth=1
	s_or_b64 exec, exec, s[60:61]
	v_cmp_eq_u16_sdwa s[60:61], v29, v48 src0_sel:BYTE_0 src1_sel:DWORD
	v_and_b32_e32 v30, s61, v27
	s_waitcnt lgkmcnt(0)
	v_and_b32_e32 v53, 0xffffff, v28
	v_or_b32_e32 v30, 0x80000000, v30
	ds_bpermute_b32 v56, v35, v53
	v_and_b32_e32 v31, s60, v26
	v_ffbl_b32_e32 v30, v30
	v_add_u32_e32 v30, 32, v30
	v_ffbl_b32_e32 v31, v31
	v_min_u32_e32 v30, v31, v30
	v_lshrrev_b32_e32 v31, 16, v28
	v_cmp_lt_u32_e32 vcc, v23, v30
	v_bfe_u32 v52, v28, 16, 8
	s_and_saveexec_b64 s[60:61], vcc
	s_cbranch_execz .LBB1619_185
; %bb.184:                              ;   in Loop: Header=BB1619_176 Depth=1
	v_and_b32_e32 v31, 0xff0000, v28
	v_cmp_eq_u32_e32 vcc, 0, v31
	v_and_b32_e32 v31, 0x10000, v31
	s_waitcnt lgkmcnt(0)
	v_cndmask_b32_e32 v52, 0, v56, vcc
	v_and_b32_sdwa v53, v56, v49 dst_sel:DWORD dst_unused:UNUSED_PAD src0_sel:WORD_1 src1_sel:DWORD
	v_cmp_ne_u32_e32 vcc, 0, v31
	v_cndmask_b32_e64 v31, v53, 1, vcc
	v_add_u16_e32 v57, v52, v28
	v_lshlrev_b32_e32 v53, 16, v31
	v_add_u16_e32 v28, v52, v28
	v_or_b32_e32 v53, v53, v28
	v_mov_b32_e32 v28, v57
	v_mov_b32_e32 v52, v31
.LBB1619_185:                           ;   in Loop: Header=BB1619_176 Depth=1
	s_or_b64 exec, exec, s[60:61]
	s_waitcnt lgkmcnt(0)
	ds_bpermute_b32 v56, v36, v53
	v_cmp_le_u32_e32 vcc, v37, v30
	s_and_saveexec_b64 s[60:61], vcc
	s_cbranch_execz .LBB1619_187
; %bb.186:                              ;   in Loop: Header=BB1619_176 Depth=1
	v_cmp_eq_u16_e32 vcc, 0, v52
	v_and_b32_e32 v31, 1, v52
	s_waitcnt lgkmcnt(0)
	v_cndmask_b32_e32 v53, 0, v56, vcc
	v_and_b32_sdwa v52, v56, v49 dst_sel:DWORD dst_unused:UNUSED_PAD src0_sel:WORD_1 src1_sel:DWORD
	v_cmp_eq_u32_e32 vcc, 1, v31
	v_cndmask_b32_e64 v31, v52, 1, vcc
	v_add_u16_e32 v57, v53, v28
	v_lshlrev_b32_e32 v52, 16, v31
	v_add_u16_e32 v28, v53, v28
	v_or_b32_e32 v53, v52, v28
	v_mov_b32_e32 v28, v57
	v_mov_b32_e32 v52, v31
.LBB1619_187:                           ;   in Loop: Header=BB1619_176 Depth=1
	s_or_b64 exec, exec, s[60:61]
	s_waitcnt lgkmcnt(0)
	ds_bpermute_b32 v56, v38, v53
	v_cmp_le_u32_e32 vcc, v39, v30
	s_and_saveexec_b64 s[60:61], vcc
	s_cbranch_execz .LBB1619_189
; %bb.188:                              ;   in Loop: Header=BB1619_176 Depth=1
	v_cmp_eq_u16_e32 vcc, 0, v52
	v_and_b32_e32 v31, 1, v52
	s_waitcnt lgkmcnt(0)
	v_cndmask_b32_e32 v53, 0, v56, vcc
	v_and_b32_sdwa v52, v56, v49 dst_sel:DWORD dst_unused:UNUSED_PAD src0_sel:WORD_1 src1_sel:DWORD
	v_cmp_eq_u32_e32 vcc, 1, v31
	v_cndmask_b32_e64 v31, v52, 1, vcc
	v_add_u16_e32 v57, v53, v28
	v_lshlrev_b32_e32 v52, 16, v31
	v_add_u16_e32 v28, v53, v28
	v_or_b32_e32 v53, v52, v28
	v_mov_b32_e32 v28, v57
	v_mov_b32_e32 v52, v31
.LBB1619_189:                           ;   in Loop: Header=BB1619_176 Depth=1
	;; [unrolled: 21-line block ×4, first 2 shown]
	s_or_b64 exec, exec, s[60:61]
	ds_bpermute_b32 v53, v45, v53
	v_cmp_le_u32_e32 vcc, v46, v30
	s_and_saveexec_b64 s[60:61], vcc
	s_cbranch_execz .LBB1619_175
; %bb.194:                              ;   in Loop: Header=BB1619_176 Depth=1
	v_cmp_eq_u16_e32 vcc, 0, v52
	s_waitcnt lgkmcnt(0)
	v_cndmask_b32_e32 v30, 0, v53, vcc
	v_add_u16_e32 v28, v30, v28
	v_and_b32_e32 v30, 1, v52
	v_lshrrev_b32_e32 v31, 16, v53
	v_cmp_eq_u32_e32 vcc, 1, v30
	v_cndmask_b32_e64 v31, v31, 1, vcc
	s_branch .LBB1619_175
.LBB1619_195:                           ;   in Loop: Header=BB1619_176 Depth=1
                                        ; implicit-def: $vgpr30
                                        ; implicit-def: $vgpr28
	s_cbranch_execz .LBB1619_176
; %bb.196:
	s_and_saveexec_b64 s[60:61], s[50:51]
	s_cbranch_execz .LBB1619_198
; %bb.197:
	v_and_b32_e32 v23, 0xff0000, v22
	s_mov_b32 s51, 0
	v_cmp_eq_u32_e32 vcc, 0, v23
	v_and_b32_e32 v24, 0x10000, v22
	v_mov_b32_e32 v25, 1
	s_add_i32 s50, s59, 64
	v_cndmask_b32_e32 v23, 0, v47, vcc
	v_and_b32_sdwa v25, v44, v25 dst_sel:WORD_1 dst_unused:UNUSED_PAD src0_sel:DWORD src1_sel:DWORD
	v_mov_b32_e32 v26, 0x10000
	v_cmp_eq_u32_e32 vcc, 0, v24
	s_lshl_b64 s[50:51], s[50:51], 3
	v_cndmask_b32_e32 v24, v26, v25, vcc
	s_add_u32 s50, s56, s50
	v_add_u16_e32 v22, v23, v22
	s_addc_u32 s51, s57, s51
	v_mov_b32_e32 v25, 0
	v_or_b32_e32 v22, v24, v22
	v_mov_b32_e32 v23, 2
	global_store_dwordx2 v25, v[22:23], s[50:51]
.LBB1619_198:
	s_or_b64 exec, exec, s[60:61]
	s_and_b64 exec, exec, s[0:1]
	s_cbranch_execz .LBB1619_200
; %bb.199:
	v_mov_b32_e32 v22, 0
	ds_write_b16 v22, v47
	ds_write_b8 v22, v44 offset:2
.LBB1619_200:
	s_or_b64 exec, exec, s[52:53]
	v_mov_b32_e32 v22, 0
	s_waitcnt lgkmcnt(0)
	; wave barrier
	s_waitcnt lgkmcnt(0)
	ds_read_b32 v22, v22
	v_and_b32_e32 v23, 0xff0000, v34
	v_cmp_eq_u32_e32 vcc, 0, v23
	s_waitcnt lgkmcnt(0)
	v_cndmask_b32_e32 v23, 0, v22, vcc
	v_add_u32_e32 v23, v23, v34
	v_cndmask_b32_e64 v39, v23, v22, s[0:1]
	v_and_b32_e32 v22, 0xff0000, v1
	v_cmp_eq_u32_e32 vcc, 0, v22
	v_cndmask_b32_e32 v22, 0, v39, vcc
	v_add_u16_e32 v22, v22, v1
	v_cndmask_b32_e64 v23, 0, v22, s[4:5]
	v_add_u16_e32 v23, v23, v54
	v_cndmask_b32_e64 v24, 0, v23, s[6:7]
	;; [unrolled: 2-line block ×22, first 2 shown]
	v_add_u16_e32 v47, v47, v17
	s_branch .LBB1619_243
.LBB1619_201:
	s_or_b64 exec, exec, s[52:53]
                                        ; implicit-def: $vgpr3
	s_and_saveexec_b64 s[52:53], s[4:5]
	s_cbranch_execz .LBB1619_57
.LBB1619_202:
	v_lshlrev_b32_e32 v3, 1, v0
	v_add_co_u32_e32 v4, vcc, v56, v3
	v_addc_co_u32_e32 v5, vcc, 0, v57, vcc
	flat_load_ushort v3, v[4:5] offset:128
	s_or_b64 exec, exec, s[52:53]
                                        ; implicit-def: $vgpr4
	s_and_saveexec_b64 s[4:5], s[6:7]
	s_cbranch_execnz .LBB1619_58
.LBB1619_203:
	s_or_b64 exec, exec, s[4:5]
                                        ; implicit-def: $vgpr5
	s_and_saveexec_b64 s[4:5], s[8:9]
	s_cbranch_execz .LBB1619_59
.LBB1619_204:
	v_lshlrev_b32_e32 v5, 1, v0
	v_add_co_u32_e32 v6, vcc, v56, v5
	v_addc_co_u32_e32 v7, vcc, 0, v57, vcc
	flat_load_ushort v5, v[6:7] offset:384
	s_or_b64 exec, exec, s[4:5]
                                        ; implicit-def: $vgpr6
	s_and_saveexec_b64 s[4:5], s[10:11]
	s_cbranch_execnz .LBB1619_60
.LBB1619_205:
	s_or_b64 exec, exec, s[4:5]
                                        ; implicit-def: $vgpr7
	s_and_saveexec_b64 s[4:5], s[12:13]
	s_cbranch_execz .LBB1619_61
.LBB1619_206:
	v_lshlrev_b32_e32 v7, 1, v0
	v_add_co_u32_e32 v8, vcc, v56, v7
	v_addc_co_u32_e32 v9, vcc, 0, v57, vcc
	flat_load_ushort v7, v[8:9] offset:640
	s_or_b64 exec, exec, s[4:5]
                                        ; implicit-def: $vgpr8
	s_and_saveexec_b64 s[4:5], s[14:15]
	s_cbranch_execnz .LBB1619_62
.LBB1619_207:
	s_or_b64 exec, exec, s[4:5]
                                        ; implicit-def: $vgpr9
	s_and_saveexec_b64 s[4:5], s[16:17]
	s_cbranch_execz .LBB1619_63
.LBB1619_208:
	v_lshlrev_b32_e32 v9, 1, v0
	v_add_co_u32_e32 v10, vcc, v56, v9
	v_addc_co_u32_e32 v11, vcc, 0, v57, vcc
	flat_load_ushort v9, v[10:11] offset:896
	s_or_b64 exec, exec, s[4:5]
                                        ; implicit-def: $vgpr10
	s_and_saveexec_b64 s[4:5], s[18:19]
	s_cbranch_execnz .LBB1619_64
.LBB1619_209:
	s_or_b64 exec, exec, s[4:5]
                                        ; implicit-def: $vgpr11
	s_and_saveexec_b64 s[4:5], s[20:21]
	s_cbranch_execz .LBB1619_65
.LBB1619_210:
	v_lshlrev_b32_e32 v11, 1, v0
	v_add_co_u32_e32 v12, vcc, v56, v11
	v_addc_co_u32_e32 v13, vcc, 0, v57, vcc
	flat_load_ushort v11, v[12:13] offset:1152
	s_or_b64 exec, exec, s[4:5]
                                        ; implicit-def: $vgpr12
	s_and_saveexec_b64 s[4:5], s[22:23]
	s_cbranch_execnz .LBB1619_66
.LBB1619_211:
	s_or_b64 exec, exec, s[4:5]
                                        ; implicit-def: $vgpr13
	s_and_saveexec_b64 s[4:5], s[24:25]
	s_cbranch_execz .LBB1619_67
.LBB1619_212:
	v_lshlrev_b32_e32 v13, 1, v0
	v_add_co_u32_e32 v14, vcc, v56, v13
	v_addc_co_u32_e32 v15, vcc, 0, v57, vcc
	flat_load_ushort v13, v[14:15] offset:1408
	s_or_b64 exec, exec, s[4:5]
                                        ; implicit-def: $vgpr14
	s_and_saveexec_b64 s[4:5], s[26:27]
	s_cbranch_execnz .LBB1619_68
.LBB1619_213:
	s_or_b64 exec, exec, s[4:5]
                                        ; implicit-def: $vgpr15
	s_and_saveexec_b64 s[4:5], s[28:29]
	s_cbranch_execz .LBB1619_69
.LBB1619_214:
	v_lshlrev_b32_e32 v15, 1, v0
	v_add_co_u32_e32 v16, vcc, v56, v15
	v_addc_co_u32_e32 v17, vcc, 0, v57, vcc
	flat_load_ushort v15, v[16:17] offset:1664
	s_or_b64 exec, exec, s[4:5]
                                        ; implicit-def: $vgpr16
	s_and_saveexec_b64 s[4:5], s[30:31]
	s_cbranch_execnz .LBB1619_70
.LBB1619_215:
	s_or_b64 exec, exec, s[4:5]
                                        ; implicit-def: $vgpr17
	s_and_saveexec_b64 s[4:5], s[34:35]
	s_cbranch_execz .LBB1619_71
.LBB1619_216:
	v_lshlrev_b32_e32 v17, 1, v0
	v_add_co_u32_e32 v18, vcc, v56, v17
	v_addc_co_u32_e32 v19, vcc, 0, v57, vcc
	flat_load_ushort v17, v[18:19] offset:1920
	s_or_b64 exec, exec, s[4:5]
                                        ; implicit-def: $vgpr18
	s_and_saveexec_b64 s[4:5], s[36:37]
	s_cbranch_execnz .LBB1619_72
.LBB1619_217:
	s_or_b64 exec, exec, s[4:5]
                                        ; implicit-def: $vgpr19
	s_and_saveexec_b64 s[4:5], s[38:39]
	s_cbranch_execz .LBB1619_73
.LBB1619_218:
	v_lshlrev_b32_e32 v19, 1, v0
	v_add_co_u32_e32 v20, vcc, v56, v19
	v_addc_co_u32_e32 v21, vcc, 0, v57, vcc
	flat_load_ushort v19, v[20:21] offset:2176
	s_or_b64 exec, exec, s[4:5]
                                        ; implicit-def: $vgpr20
	s_and_saveexec_b64 s[4:5], s[40:41]
	s_cbranch_execnz .LBB1619_74
.LBB1619_219:
	s_or_b64 exec, exec, s[4:5]
                                        ; implicit-def: $vgpr21
	s_and_saveexec_b64 s[4:5], s[42:43]
	s_cbranch_execz .LBB1619_75
.LBB1619_220:
	v_lshlrev_b32_e32 v21, 1, v0
	v_add_co_u32_e32 v46, vcc, v56, v21
	v_addc_co_u32_e32 v47, vcc, 0, v57, vcc
	flat_load_ushort v21, v[46:47] offset:2432
	s_or_b64 exec, exec, s[4:5]
                                        ; implicit-def: $vgpr47
	s_and_saveexec_b64 s[4:5], s[44:45]
	s_cbranch_execnz .LBB1619_76
.LBB1619_221:
	s_or_b64 exec, exec, s[4:5]
                                        ; implicit-def: $vgpr48
	s_and_saveexec_b64 s[4:5], s[46:47]
	s_cbranch_execz .LBB1619_77
.LBB1619_222:
	v_lshlrev_b32_e32 v46, 1, v0
	v_add_co_u32_e32 v48, vcc, v56, v46
	v_addc_co_u32_e32 v49, vcc, 0, v57, vcc
	flat_load_ushort v48, v[48:49] offset:2688
	s_or_b64 exec, exec, s[4:5]
                                        ; implicit-def: $vgpr49
	s_and_saveexec_b64 s[4:5], s[48:49]
	s_cbranch_execz .LBB1619_79
	s_branch .LBB1619_78
.LBB1619_223:
                                        ; implicit-def: $vgpr39
                                        ; implicit-def: $vgpr22
                                        ; implicit-def: $vgpr23
                                        ; implicit-def: $vgpr24
                                        ; implicit-def: $vgpr25
                                        ; implicit-def: $vgpr26
                                        ; implicit-def: $vgpr28
                                        ; implicit-def: $vgpr30
                                        ; implicit-def: $vgpr27
                                        ; implicit-def: $vgpr29
                                        ; implicit-def: $vgpr31
                                        ; implicit-def: $vgpr34
                                        ; implicit-def: $vgpr35
                                        ; implicit-def: $vgpr36
                                        ; implicit-def: $vgpr38
                                        ; implicit-def: $vgpr41
                                        ; implicit-def: $vgpr37
                                        ; implicit-def: $vgpr40
                                        ; implicit-def: $vgpr42
                                        ; implicit-def: $vgpr43
                                        ; implicit-def: $vgpr44
                                        ; implicit-def: $vgpr45
                                        ; implicit-def: $vgpr46
                                        ; implicit-def: $vgpr47
	s_cbranch_execz .LBB1619_243
; %bb.224:
	s_cmp_lg_u64 s[66:67], 0
	s_cselect_b32 s5, s63, 0
	s_cselect_b32 s4, s62, 0
	s_cmp_eq_u64 s[4:5], 0
	v_mov_b32_e32 v39, s74
	s_cbranch_scc1 .LBB1619_226
; %bb.225:
	v_mov_b32_e32 v22, 0
	global_load_ushort v39, v22, s[4:5]
.LBB1619_226:
	s_mov_b32 s52, 0x10000
	v_cmp_gt_u32_e32 vcc, s52, v54
	v_cndmask_b32_e32 v22, 0, v1, vcc
	v_add_u16_e32 v22, v22, v54
	v_cmp_gt_u32_e64 s[4:5], s52, v21
	v_cndmask_b32_e64 v22, 0, v22, s[4:5]
	v_add_u16_e32 v22, v22, v21
	v_cmp_gt_u32_e64 s[6:7], s52, v20
	v_cndmask_b32_e64 v22, 0, v22, s[6:7]
	;; [unrolled: 3-line block ×18, first 2 shown]
	v_bfe_u32 v25, v19, 16, 1
	v_add_u16_e32 v22, v22, v14
	v_cmp_gt_u32_e64 s[42:43], s52, v15
	v_lshlrev_b16_e32 v26, 1, v25
	v_mov_b32_e32 v25, 1
	v_cndmask_b32_e64 v22, 0, v22, s[42:43]
	v_and_b32_sdwa v27, v18, v25 dst_sel:DWORD dst_unused:UNUSED_PAD src0_sel:WORD_1 src1_sel:DWORD
	v_add_u16_e32 v22, v22, v15
	v_cmp_gt_u32_e64 s[44:45], s52, v16
	v_or_b32_e32 v26, v27, v26
	v_bfe_u32 v27, v21, 16, 1
	v_and_b32_sdwa v28, v20, v25 dst_sel:DWORD dst_unused:UNUSED_PAD src0_sel:WORD_1 src1_sel:DWORD
	v_cndmask_b32_e64 v22, 0, v22, s[44:45]
	v_lshlrev_b16_e32 v27, 3, v27
	v_lshlrev_b16_e32 v28, 2, v28
	v_add_u16_e32 v22, v22, v16
	v_cmp_gt_u32_e64 s[46:47], s52, v17
	v_or_b32_e32 v27, v27, v28
	v_cndmask_b32_e64 v22, 0, v22, s[46:47]
	v_or_b32_e32 v26, v26, v27
	v_and_b32_e32 v27, 0x10000, v55
	v_add_u16_e32 v22, v22, v17
	v_cmp_gt_u32_e64 s[52:53], s52, v32
	v_and_b32_e32 v28, 0x10000, v32
	v_cmp_ne_u32_e64 s[50:51], 0, v27
	v_cndmask_b32_e64 v27, 0, v22, s[52:53]
	v_cmp_ne_u32_e64 s[52:53], 0, v28
	v_or_b32_e32 v28, v16, v8
	v_or_b32_e32 v29, v17, v9
	;; [unrolled: 1-line block ×7, first 2 shown]
	v_bfe_u32 v31, v31, 16, 1
	v_bfe_u32 v29, v29, 16, 1
	v_and_b32_sdwa v28, v28, v25 dst_sel:DWORD dst_unused:UNUSED_PAD src0_sel:WORD_1 src1_sel:DWORD
	v_or_b32_e32 v36, v10, v2
	v_bfe_u32 v37, v37, 16, 1
	v_bfe_u32 v35, v35, 16, 1
	v_and_b32_sdwa v34, v34, v25 dst_sel:DWORD dst_unused:UNUSED_PAD src0_sel:WORD_1 src1_sel:DWORD
	v_lshlrev_b16_e32 v31, 1, v31
	v_and_b32_sdwa v30, v30, v25 dst_sel:DWORD dst_unused:UNUSED_PAD src0_sel:WORD_1 src1_sel:DWORD
	v_lshlrev_b16_e32 v29, 3, v29
	v_lshlrev_b16_e32 v28, 2, v28
	;; [unrolled: 1-line block ×3, first 2 shown]
	v_and_b32_sdwa v36, v36, v25 dst_sel:DWORD dst_unused:UNUSED_PAD src0_sel:WORD_1 src1_sel:DWORD
	v_lshlrev_b16_e32 v35, 3, v35
	v_lshlrev_b16_e32 v34, 2, v34
	v_or_b32_e32 v30, v30, v31
	v_or_b32_e32 v28, v29, v28
	;; [unrolled: 1-line block ×6, first 2 shown]
	v_lshlrev_b16_e32 v28, 4, v28
	v_or_b32_e32 v28, v34, v28
	v_or_b32_e32 v26, v28, v26
	v_mov_b32_e32 v28, 0
	v_cmp_ne_u16_sdwa s[60:61], v26, v28 src0_sel:BYTE_0 src1_sel:DWORD
	v_and_b32_e32 v24, 0x10000, v54
	s_or_b64 s[52:53], s[52:53], s[60:61]
	v_cmp_ne_u32_e64 s[48:49], 0, v24
	s_or_b64 s[50:51], s[52:53], s[50:51]
	v_mov_b32_e32 v23, 0x10000
	v_and_b32_e32 v24, 0x10000, v1
	s_or_b64 s[48:49], s[50:51], s[48:49]
	v_cndmask_b32_e64 v28, v24, v23, s[48:49]
	v_add_u16_e32 v26, v27, v32
	v_mbcnt_hi_u32_b32 v23, -1, v33
	v_add_u16_e32 v22, v27, v32
	v_and_b32_e32 v27, 15, v23
	v_or_b32_e32 v26, v28, v26
	v_lshrrev_b32_e32 v24, 16, v28
	v_cmp_ne_u32_e64 s[48:49], 0, v27
	v_mov_b32_dpp v29, v26 row_shr:1 row_mask:0xf bank_mask:0xf
	s_and_saveexec_b64 s[50:51], s[48:49]
; %bb.227:
	v_cmp_eq_u32_e64 s[48:49], 0, v28
	v_and_b32_e32 v24, 0x10000, v28
	v_cndmask_b32_e64 v26, 0, v29, s[48:49]
	v_and_b32_sdwa v25, v29, v25 dst_sel:DWORD dst_unused:UNUSED_PAD src0_sel:WORD_1 src1_sel:DWORD
	v_cmp_ne_u32_e64 s[48:49], 0, v24
	v_cndmask_b32_e64 v24, v25, 1, s[48:49]
	v_add_u16_e32 v30, v26, v22
	v_lshlrev_b32_e32 v25, 16, v24
	v_add_u16_e32 v22, v26, v22
	v_or_b32_e32 v26, v25, v22
	v_mov_b32_e32 v22, v30
; %bb.228:
	s_or_b64 exec, exec, s[50:51]
	v_lshrrev_b32_e32 v25, 16, v26
	v_mov_b32_dpp v28, v26 row_shr:2 row_mask:0xf bank_mask:0xf
	v_cmp_lt_u32_e64 s[48:49], 1, v27
	s_and_saveexec_b64 s[50:51], s[48:49]
	s_cbranch_execz .LBB1619_230
; %bb.229:
	s_mov_b32 s48, 0x10000
	v_cmp_gt_u32_e64 s[48:49], s48, v26
	v_and_b32_e32 v24, 0x10000, v26
	v_mov_b32_e32 v26, 1
	v_cndmask_b32_e64 v25, 0, v28, s[48:49]
	v_and_b32_sdwa v26, v28, v26 dst_sel:DWORD dst_unused:UNUSED_PAD src0_sel:WORD_1 src1_sel:DWORD
	v_cmp_ne_u32_e64 s[48:49], 0, v24
	v_cndmask_b32_e64 v24, v26, 1, s[48:49]
	v_add_u16_e32 v29, v25, v22
	v_lshlrev_b32_e32 v26, 16, v24
	v_add_u16_e32 v22, v25, v22
	v_or_b32_e32 v26, v26, v22
	v_mov_b32_e32 v22, v29
	v_mov_b32_e32 v25, v24
.LBB1619_230:
	s_or_b64 exec, exec, s[50:51]
	v_mov_b32_dpp v28, v26 row_shr:4 row_mask:0xf bank_mask:0xf
	v_cmp_lt_u32_e64 s[48:49], 3, v27
	s_and_saveexec_b64 s[50:51], s[48:49]
	s_cbranch_execz .LBB1619_232
; %bb.231:
	v_cmp_eq_u16_e64 s[48:49], 0, v25
	v_and_b32_e32 v24, 1, v25
	v_mov_b32_e32 v25, 1
	v_cndmask_b32_e64 v26, 0, v28, s[48:49]
	v_and_b32_sdwa v25, v28, v25 dst_sel:DWORD dst_unused:UNUSED_PAD src0_sel:WORD_1 src1_sel:DWORD
	v_cmp_eq_u32_e64 s[48:49], 1, v24
	v_cndmask_b32_e64 v24, v25, 1, s[48:49]
	v_add_u16_e32 v29, v26, v22
	v_lshlrev_b32_e32 v25, 16, v24
	v_add_u16_e32 v22, v26, v22
	v_or_b32_e32 v26, v25, v22
	v_mov_b32_e32 v22, v29
	v_mov_b32_e32 v25, v24
.LBB1619_232:
	s_or_b64 exec, exec, s[50:51]
	v_mov_b32_dpp v28, v26 row_shr:8 row_mask:0xf bank_mask:0xf
	v_cmp_lt_u32_e64 s[48:49], 7, v27
	s_and_saveexec_b64 s[50:51], s[48:49]
	s_cbranch_execz .LBB1619_234
; %bb.233:
	v_cmp_eq_u16_e64 s[48:49], 0, v25
	v_and_b32_e32 v24, 1, v25
	v_mov_b32_e32 v25, 1
	v_cndmask_b32_e64 v26, 0, v28, s[48:49]
	v_and_b32_sdwa v25, v28, v25 dst_sel:DWORD dst_unused:UNUSED_PAD src0_sel:WORD_1 src1_sel:DWORD
	v_cmp_eq_u32_e64 s[48:49], 1, v24
	v_cndmask_b32_e64 v24, v25, 1, s[48:49]
	v_add_u16_e32 v27, v26, v22
	v_lshlrev_b32_e32 v25, 16, v24
	v_add_u16_e32 v22, v26, v22
	v_or_b32_e32 v26, v25, v22
	v_mov_b32_e32 v22, v27
	v_mov_b32_e32 v25, v24
.LBB1619_234:
	s_or_b64 exec, exec, s[50:51]
	v_and_b32_e32 v28, 16, v23
	v_mov_b32_dpp v27, v26 row_bcast:15 row_mask:0xf bank_mask:0xf
	v_cmp_ne_u32_e64 s[48:49], 0, v28
	s_and_saveexec_b64 s[50:51], s[48:49]
	s_cbranch_execz .LBB1619_236
; %bb.235:
	v_cmp_eq_u16_e64 s[48:49], 0, v25
	v_and_b32_e32 v24, 1, v25
	v_mov_b32_e32 v25, 1
	v_cndmask_b32_e64 v26, 0, v27, s[48:49]
	v_and_b32_sdwa v25, v27, v25 dst_sel:DWORD dst_unused:UNUSED_PAD src0_sel:WORD_1 src1_sel:DWORD
	v_cmp_eq_u32_e64 s[48:49], 1, v24
	v_cndmask_b32_e64 v24, v25, 1, s[48:49]
	v_add_u16_e32 v28, v26, v22
	v_lshlrev_b32_e32 v25, 16, v24
	v_add_u16_e32 v22, v26, v22
	v_or_b32_e32 v26, v25, v22
	v_mov_b32_e32 v22, v28
	v_mov_b32_e32 v25, v24
.LBB1619_236:
	s_or_b64 exec, exec, s[50:51]
	v_mov_b32_dpp v26, v26 row_bcast:31 row_mask:0xf bank_mask:0xf
	v_cmp_lt_u32_e64 s[48:49], 31, v23
	s_and_saveexec_b64 s[50:51], s[48:49]
; %bb.237:
	v_cmp_eq_u16_e64 s[48:49], 0, v25
	v_cndmask_b32_e64 v24, 0, v26, s[48:49]
	v_add_u16_e32 v22, v24, v22
	v_and_b32_e32 v24, 1, v25
	v_mov_b32_e32 v25, 1
	v_and_b32_sdwa v25, v26, v25 dst_sel:DWORD dst_unused:UNUSED_PAD src0_sel:WORD_1 src1_sel:DWORD
	v_cmp_eq_u32_e64 s[48:49], 1, v24
	v_cndmask_b32_e64 v24, v25, 1, s[48:49]
	v_mov_b32_e32 v25, v24
; %bb.238:
	s_or_b64 exec, exec, s[50:51]
	v_cmp_eq_u32_e64 s[48:49], 63, v0
	s_and_saveexec_b64 s[50:51], s[48:49]
	s_cbranch_execz .LBB1619_240
; %bb.239:
	v_mov_b32_e32 v26, 0
	ds_write_b16 v26, v22
	ds_write_b8 v26, v25 offset:2
.LBB1619_240:
	s_or_b64 exec, exec, s[50:51]
	v_cmp_eq_u16_e64 s[48:49], 0, v24
	v_and_b32_e32 v24, 1, v24
	s_waitcnt vmcnt(0)
	v_cndmask_b32_e64 v25, 0, v39, s[48:49]
	v_mov_b32_e32 v26, 0x10000
	v_cmp_eq_u32_e64 s[48:49], 1, v24
	v_cndmask_b32_e64 v24, 0, v26, s[48:49]
	v_add_u16_e32 v22, v25, v22
	v_or_b32_e32 v22, v24, v22
	v_add_u32_e32 v24, -1, v23
	v_and_b32_e32 v25, 64, v23
	v_cmp_lt_i32_e64 s[48:49], v24, v25
	v_cndmask_b32_e64 v24, v24, v23, s[48:49]
	v_lshlrev_b32_e32 v24, 2, v24
	ds_bpermute_b32 v22, v24, v22
	v_cmp_eq_u32_e64 s[48:49], 0, v23
	s_or_b64 s[48:49], s[0:1], s[48:49]
	s_waitcnt lgkmcnt(0)
	; wave barrier
	s_waitcnt lgkmcnt(0)
	v_cndmask_b32_e64 v32, v22, v39, s[48:49]
	v_and_b32_e32 v22, 0xff0000, v1
	v_cmp_eq_u32_e64 s[48:49], 0, v22
	v_cndmask_b32_e64 v22, 0, v32, s[48:49]
	v_add_u16_e32 v22, v22, v1
	v_cndmask_b32_e32 v1, 0, v22, vcc
	v_add_u16_e32 v23, v1, v54
	v_cndmask_b32_e64 v1, 0, v23, s[4:5]
	v_add_u16_e32 v24, v1, v21
	v_cndmask_b32_e64 v1, 0, v24, s[6:7]
	;; [unrolled: 2-line block ×21, first 2 shown]
	s_and_saveexec_b64 s[4:5], s[0:1]
	s_cbranch_execz .LBB1619_242
; %bb.241:
	v_mov_b32_e32 v4, 0
	ds_read_u8 v2, v4 offset:2
	ds_read_u16 v3, v4
	s_waitcnt lgkmcnt(1)
	v_cmp_eq_u32_e32 vcc, 0, v2
	v_lshlrev_b32_e32 v5, 16, v2
	v_cndmask_b32_e32 v2, 0, v39, vcc
	s_waitcnt lgkmcnt(0)
	v_add_u32_e32 v2, v2, v3
	v_or_b32_sdwa v2, v5, v2 dst_sel:DWORD dst_unused:UNUSED_PAD src0_sel:DWORD src1_sel:WORD_0
	v_mov_b32_e32 v3, 2
	global_store_dwordx2 v4, v[2:3], s[56:57] offset:512
.LBB1619_242:
	s_or_b64 exec, exec, s[4:5]
	v_and_b32_e32 v39, 0xffff, v32
	v_add_u16_e32 v47, v1, v17
.LBB1619_243:
	s_add_u32 s0, s54, s64
	s_addc_u32 s1, s55, s65
	v_mov_b32_e32 v1, s1
	v_add_co_u32_e32 v4, vcc, s0, v50
	v_addc_co_u32_e32 v5, vcc, v1, v51, vcc
	s_and_b64 vcc, exec, s[2:3]
	v_mul_u32_u24_e32 v7, 24, v0
	v_lshlrev_b32_e32 v6, 1, v0
	s_cbranch_vccz .LBB1619_291
; %bb.244:
	s_mov_b32 s0, 0x5040100
	v_lshlrev_b32_e32 v52, 1, v7
	v_perm_b32 v11, v30, v28, s0
	v_perm_b32 v10, v26, v25, s0
	v_perm_b32 v9, v24, v23, s0
	v_perm_b32 v8, v22, v39, s0
	s_waitcnt lgkmcnt(0)
	; wave barrier
	ds_write_b128 v52, v[8:11]
	v_perm_b32 v11, v41, v38, s0
	v_perm_b32 v10, v36, v35, s0
	;; [unrolled: 1-line block ×4, first 2 shown]
	ds_write_b128 v52, v[8:11] offset:16
	v_perm_b32 v11, v47, v46, s0
	v_perm_b32 v10, v45, v44, s0
	v_perm_b32 v9, v43, v42, s0
	v_perm_b32 v8, v40, v37, s0
	s_movk_i32 s0, 0xffd2
	v_mad_i32_i24 v2, v0, s0, v52
	ds_write_b128 v52, v[8:11] offset:32
	s_waitcnt lgkmcnt(0)
	; wave barrier
	s_waitcnt lgkmcnt(0)
	ds_read_u16 v55, v2 offset:128
	ds_read_u16 v54, v2 offset:256
	;; [unrolled: 1-line block ×23, first 2 shown]
	v_add_co_u32_e32 v2, vcc, v4, v6
	s_add_i32 s33, s33, s58
	v_addc_co_u32_e32 v3, vcc, 0, v5, vcc
	v_mov_b32_e32 v1, 0
	v_cmp_gt_u32_e32 vcc, s33, v0
	s_and_saveexec_b64 s[0:1], vcc
	s_cbranch_execz .LBB1619_246
; %bb.245:
	v_mul_i32_i24_e32 v56, 0xffffffd2, v0
	v_add_u32_e32 v52, v52, v56
	ds_read_u16 v52, v52
	s_waitcnt lgkmcnt(0)
	flat_store_short v[2:3], v52
.LBB1619_246:
	s_or_b64 exec, exec, s[0:1]
	v_or_b32_e32 v52, 64, v0
	v_cmp_gt_u32_e32 vcc, s33, v52
	s_and_saveexec_b64 s[0:1], vcc
	s_cbranch_execz .LBB1619_248
; %bb.247:
	s_waitcnt lgkmcnt(0)
	flat_store_short v[2:3], v55 offset:128
.LBB1619_248:
	s_or_b64 exec, exec, s[0:1]
	v_or_b32_e32 v52, 0x80, v0
	v_cmp_gt_u32_e32 vcc, s33, v52
	s_and_saveexec_b64 s[0:1], vcc
	s_cbranch_execz .LBB1619_250
; %bb.249:
	s_waitcnt lgkmcnt(0)
	flat_store_short v[2:3], v54 offset:256
.LBB1619_250:
	;; [unrolled: 9-line block ×4, first 2 shown]
	s_or_b64 exec, exec, s[0:1]
	s_waitcnt lgkmcnt(0)
	v_or_b32_e32 v51, 0x140, v0
	v_cmp_gt_u32_e32 vcc, s33, v51
	s_and_saveexec_b64 s[0:1], vcc
	s_cbranch_execz .LBB1619_256
; %bb.255:
	flat_store_short v[2:3], v50 offset:640
.LBB1619_256:
	s_or_b64 exec, exec, s[0:1]
	v_or_b32_e32 v50, 0x180, v0
	v_cmp_gt_u32_e32 vcc, s33, v50
	s_and_saveexec_b64 s[0:1], vcc
	s_cbranch_execz .LBB1619_258
; %bb.257:
	flat_store_short v[2:3], v49 offset:768
.LBB1619_258:
	s_or_b64 exec, exec, s[0:1]
	;; [unrolled: 8-line block ×18, first 2 shown]
	v_or_b32_e32 v2, 0x5c0, v0
	v_cmp_gt_u32_e64 s[0:1], s33, v2
	s_branch .LBB1619_293
.LBB1619_291:
	s_mov_b64 s[0:1], 0
                                        ; implicit-def: $vgpr8
	s_cbranch_execz .LBB1619_293
; %bb.292:
	s_mov_b32 s2, 0x5040100
	v_lshlrev_b32_e32 v2, 1, v7
	v_perm_b32 v11, v30, v28, s2
	v_perm_b32 v10, v26, v25, s2
	;; [unrolled: 1-line block ×4, first 2 shown]
	s_waitcnt lgkmcnt(0)
	; wave barrier
	s_waitcnt lgkmcnt(0)
	ds_write_b128 v2, v[8:11]
	v_perm_b32 v11, v41, v38, s2
	v_perm_b32 v10, v36, v35, s2
	;; [unrolled: 1-line block ×4, first 2 shown]
	ds_write_b128 v2, v[8:11] offset:16
	v_perm_b32 v11, v47, v46, s2
	v_perm_b32 v10, v45, v44, s2
	;; [unrolled: 1-line block ×4, first 2 shown]
	s_movk_i32 s2, 0xffd2
	ds_write_b128 v2, v[8:11] offset:32
	v_mad_i32_i24 v2, v0, s2, v2
	s_waitcnt lgkmcnt(0)
	; wave barrier
	s_waitcnt lgkmcnt(0)
	ds_read_u16 v7, v2
	ds_read_u16 v9, v2 offset:128
	ds_read_u16 v10, v2 offset:256
	;; [unrolled: 1-line block ×23, first 2 shown]
	v_add_co_u32_e32 v2, vcc, v4, v6
	v_mov_b32_e32 v1, 0
	v_addc_co_u32_e32 v3, vcc, 0, v5, vcc
	s_or_b64 s[0:1], s[0:1], exec
	s_waitcnt lgkmcnt(0)
	flat_store_short v[2:3], v7
	flat_store_short v[2:3], v9 offset:128
	flat_store_short v[2:3], v10 offset:256
	;; [unrolled: 1-line block ×22, first 2 shown]
.LBB1619_293:
	s_and_saveexec_b64 s[2:3], s[0:1]
	s_cbranch_execz .LBB1619_295
; %bb.294:
	v_lshlrev_b64 v[0:1], 1, v[0:1]
	v_add_co_u32_e32 v0, vcc, v4, v0
	v_addc_co_u32_e32 v1, vcc, v5, v1, vcc
	flat_store_short v[0:1], v8 offset:2944
	s_endpgm
.LBB1619_295:
	s_endpgm
	.section	.rodata,"a",@progbits
	.p2align	6, 0x0
	.amdhsa_kernel _ZN7rocprim17ROCPRIM_400000_NS6detail17trampoline_kernelINS0_14default_configENS1_27scan_by_key_config_selectorIisEEZZNS1_16scan_by_key_implILNS1_25lookback_scan_determinismE0ELb1ES3_N6thrust23THRUST_200600_302600_NS6detail15normal_iteratorINS9_10device_ptrIiEEEENSB_INSC_IsEEEESG_sNS9_4plusIvEENS9_8equal_toIvEEsEE10hipError_tPvRmT2_T3_T4_T5_mT6_T7_P12ihipStream_tbENKUlT_T0_E_clISt17integral_constantIbLb1EES11_EEDaSW_SX_EUlSW_E_NS1_11comp_targetILNS1_3genE4ELNS1_11target_archE910ELNS1_3gpuE8ELNS1_3repE0EEENS1_30default_config_static_selectorELNS0_4arch9wavefront6targetE1EEEvT1_
		.amdhsa_group_segment_fixed_size 6656
		.amdhsa_private_segment_fixed_size 0
		.amdhsa_kernarg_size 112
		.amdhsa_user_sgpr_count 6
		.amdhsa_user_sgpr_private_segment_buffer 1
		.amdhsa_user_sgpr_dispatch_ptr 0
		.amdhsa_user_sgpr_queue_ptr 0
		.amdhsa_user_sgpr_kernarg_segment_ptr 1
		.amdhsa_user_sgpr_dispatch_id 0
		.amdhsa_user_sgpr_flat_scratch_init 0
		.amdhsa_user_sgpr_kernarg_preload_length 0
		.amdhsa_user_sgpr_kernarg_preload_offset 0
		.amdhsa_user_sgpr_private_segment_size 0
		.amdhsa_uses_dynamic_stack 0
		.amdhsa_system_sgpr_private_segment_wavefront_offset 0
		.amdhsa_system_sgpr_workgroup_id_x 1
		.amdhsa_system_sgpr_workgroup_id_y 0
		.amdhsa_system_sgpr_workgroup_id_z 0
		.amdhsa_system_sgpr_workgroup_info 0
		.amdhsa_system_vgpr_workitem_id 0
		.amdhsa_next_free_vgpr 61
		.amdhsa_next_free_sgpr 84
		.amdhsa_accum_offset 64
		.amdhsa_reserve_vcc 1
		.amdhsa_reserve_flat_scratch 0
		.amdhsa_float_round_mode_32 0
		.amdhsa_float_round_mode_16_64 0
		.amdhsa_float_denorm_mode_32 3
		.amdhsa_float_denorm_mode_16_64 3
		.amdhsa_dx10_clamp 1
		.amdhsa_ieee_mode 1
		.amdhsa_fp16_overflow 0
		.amdhsa_tg_split 0
		.amdhsa_exception_fp_ieee_invalid_op 0
		.amdhsa_exception_fp_denorm_src 0
		.amdhsa_exception_fp_ieee_div_zero 0
		.amdhsa_exception_fp_ieee_overflow 0
		.amdhsa_exception_fp_ieee_underflow 0
		.amdhsa_exception_fp_ieee_inexact 0
		.amdhsa_exception_int_div_zero 0
	.end_amdhsa_kernel
	.section	.text._ZN7rocprim17ROCPRIM_400000_NS6detail17trampoline_kernelINS0_14default_configENS1_27scan_by_key_config_selectorIisEEZZNS1_16scan_by_key_implILNS1_25lookback_scan_determinismE0ELb1ES3_N6thrust23THRUST_200600_302600_NS6detail15normal_iteratorINS9_10device_ptrIiEEEENSB_INSC_IsEEEESG_sNS9_4plusIvEENS9_8equal_toIvEEsEE10hipError_tPvRmT2_T3_T4_T5_mT6_T7_P12ihipStream_tbENKUlT_T0_E_clISt17integral_constantIbLb1EES11_EEDaSW_SX_EUlSW_E_NS1_11comp_targetILNS1_3genE4ELNS1_11target_archE910ELNS1_3gpuE8ELNS1_3repE0EEENS1_30default_config_static_selectorELNS0_4arch9wavefront6targetE1EEEvT1_,"axG",@progbits,_ZN7rocprim17ROCPRIM_400000_NS6detail17trampoline_kernelINS0_14default_configENS1_27scan_by_key_config_selectorIisEEZZNS1_16scan_by_key_implILNS1_25lookback_scan_determinismE0ELb1ES3_N6thrust23THRUST_200600_302600_NS6detail15normal_iteratorINS9_10device_ptrIiEEEENSB_INSC_IsEEEESG_sNS9_4plusIvEENS9_8equal_toIvEEsEE10hipError_tPvRmT2_T3_T4_T5_mT6_T7_P12ihipStream_tbENKUlT_T0_E_clISt17integral_constantIbLb1EES11_EEDaSW_SX_EUlSW_E_NS1_11comp_targetILNS1_3genE4ELNS1_11target_archE910ELNS1_3gpuE8ELNS1_3repE0EEENS1_30default_config_static_selectorELNS0_4arch9wavefront6targetE1EEEvT1_,comdat
.Lfunc_end1619:
	.size	_ZN7rocprim17ROCPRIM_400000_NS6detail17trampoline_kernelINS0_14default_configENS1_27scan_by_key_config_selectorIisEEZZNS1_16scan_by_key_implILNS1_25lookback_scan_determinismE0ELb1ES3_N6thrust23THRUST_200600_302600_NS6detail15normal_iteratorINS9_10device_ptrIiEEEENSB_INSC_IsEEEESG_sNS9_4plusIvEENS9_8equal_toIvEEsEE10hipError_tPvRmT2_T3_T4_T5_mT6_T7_P12ihipStream_tbENKUlT_T0_E_clISt17integral_constantIbLb1EES11_EEDaSW_SX_EUlSW_E_NS1_11comp_targetILNS1_3genE4ELNS1_11target_archE910ELNS1_3gpuE8ELNS1_3repE0EEENS1_30default_config_static_selectorELNS0_4arch9wavefront6targetE1EEEvT1_, .Lfunc_end1619-_ZN7rocprim17ROCPRIM_400000_NS6detail17trampoline_kernelINS0_14default_configENS1_27scan_by_key_config_selectorIisEEZZNS1_16scan_by_key_implILNS1_25lookback_scan_determinismE0ELb1ES3_N6thrust23THRUST_200600_302600_NS6detail15normal_iteratorINS9_10device_ptrIiEEEENSB_INSC_IsEEEESG_sNS9_4plusIvEENS9_8equal_toIvEEsEE10hipError_tPvRmT2_T3_T4_T5_mT6_T7_P12ihipStream_tbENKUlT_T0_E_clISt17integral_constantIbLb1EES11_EEDaSW_SX_EUlSW_E_NS1_11comp_targetILNS1_3genE4ELNS1_11target_archE910ELNS1_3gpuE8ELNS1_3repE0EEENS1_30default_config_static_selectorELNS0_4arch9wavefront6targetE1EEEvT1_
                                        ; -- End function
	.section	.AMDGPU.csdata,"",@progbits
; Kernel info:
; codeLenInByte = 15680
; NumSgprs: 88
; NumVgprs: 61
; NumAgprs: 0
; TotalNumVgprs: 61
; ScratchSize: 0
; MemoryBound: 0
; FloatMode: 240
; IeeeMode: 1
; LDSByteSize: 6656 bytes/workgroup (compile time only)
; SGPRBlocks: 10
; VGPRBlocks: 7
; NumSGPRsForWavesPerEU: 88
; NumVGPRsForWavesPerEU: 61
; AccumOffset: 64
; Occupancy: 3
; WaveLimiterHint : 1
; COMPUTE_PGM_RSRC2:SCRATCH_EN: 0
; COMPUTE_PGM_RSRC2:USER_SGPR: 6
; COMPUTE_PGM_RSRC2:TRAP_HANDLER: 0
; COMPUTE_PGM_RSRC2:TGID_X_EN: 1
; COMPUTE_PGM_RSRC2:TGID_Y_EN: 0
; COMPUTE_PGM_RSRC2:TGID_Z_EN: 0
; COMPUTE_PGM_RSRC2:TIDIG_COMP_CNT: 0
; COMPUTE_PGM_RSRC3_GFX90A:ACCUM_OFFSET: 15
; COMPUTE_PGM_RSRC3_GFX90A:TG_SPLIT: 0
	.section	.text._ZN7rocprim17ROCPRIM_400000_NS6detail17trampoline_kernelINS0_14default_configENS1_27scan_by_key_config_selectorIisEEZZNS1_16scan_by_key_implILNS1_25lookback_scan_determinismE0ELb1ES3_N6thrust23THRUST_200600_302600_NS6detail15normal_iteratorINS9_10device_ptrIiEEEENSB_INSC_IsEEEESG_sNS9_4plusIvEENS9_8equal_toIvEEsEE10hipError_tPvRmT2_T3_T4_T5_mT6_T7_P12ihipStream_tbENKUlT_T0_E_clISt17integral_constantIbLb1EES11_EEDaSW_SX_EUlSW_E_NS1_11comp_targetILNS1_3genE3ELNS1_11target_archE908ELNS1_3gpuE7ELNS1_3repE0EEENS1_30default_config_static_selectorELNS0_4arch9wavefront6targetE1EEEvT1_,"axG",@progbits,_ZN7rocprim17ROCPRIM_400000_NS6detail17trampoline_kernelINS0_14default_configENS1_27scan_by_key_config_selectorIisEEZZNS1_16scan_by_key_implILNS1_25lookback_scan_determinismE0ELb1ES3_N6thrust23THRUST_200600_302600_NS6detail15normal_iteratorINS9_10device_ptrIiEEEENSB_INSC_IsEEEESG_sNS9_4plusIvEENS9_8equal_toIvEEsEE10hipError_tPvRmT2_T3_T4_T5_mT6_T7_P12ihipStream_tbENKUlT_T0_E_clISt17integral_constantIbLb1EES11_EEDaSW_SX_EUlSW_E_NS1_11comp_targetILNS1_3genE3ELNS1_11target_archE908ELNS1_3gpuE7ELNS1_3repE0EEENS1_30default_config_static_selectorELNS0_4arch9wavefront6targetE1EEEvT1_,comdat
	.protected	_ZN7rocprim17ROCPRIM_400000_NS6detail17trampoline_kernelINS0_14default_configENS1_27scan_by_key_config_selectorIisEEZZNS1_16scan_by_key_implILNS1_25lookback_scan_determinismE0ELb1ES3_N6thrust23THRUST_200600_302600_NS6detail15normal_iteratorINS9_10device_ptrIiEEEENSB_INSC_IsEEEESG_sNS9_4plusIvEENS9_8equal_toIvEEsEE10hipError_tPvRmT2_T3_T4_T5_mT6_T7_P12ihipStream_tbENKUlT_T0_E_clISt17integral_constantIbLb1EES11_EEDaSW_SX_EUlSW_E_NS1_11comp_targetILNS1_3genE3ELNS1_11target_archE908ELNS1_3gpuE7ELNS1_3repE0EEENS1_30default_config_static_selectorELNS0_4arch9wavefront6targetE1EEEvT1_ ; -- Begin function _ZN7rocprim17ROCPRIM_400000_NS6detail17trampoline_kernelINS0_14default_configENS1_27scan_by_key_config_selectorIisEEZZNS1_16scan_by_key_implILNS1_25lookback_scan_determinismE0ELb1ES3_N6thrust23THRUST_200600_302600_NS6detail15normal_iteratorINS9_10device_ptrIiEEEENSB_INSC_IsEEEESG_sNS9_4plusIvEENS9_8equal_toIvEEsEE10hipError_tPvRmT2_T3_T4_T5_mT6_T7_P12ihipStream_tbENKUlT_T0_E_clISt17integral_constantIbLb1EES11_EEDaSW_SX_EUlSW_E_NS1_11comp_targetILNS1_3genE3ELNS1_11target_archE908ELNS1_3gpuE7ELNS1_3repE0EEENS1_30default_config_static_selectorELNS0_4arch9wavefront6targetE1EEEvT1_
	.globl	_ZN7rocprim17ROCPRIM_400000_NS6detail17trampoline_kernelINS0_14default_configENS1_27scan_by_key_config_selectorIisEEZZNS1_16scan_by_key_implILNS1_25lookback_scan_determinismE0ELb1ES3_N6thrust23THRUST_200600_302600_NS6detail15normal_iteratorINS9_10device_ptrIiEEEENSB_INSC_IsEEEESG_sNS9_4plusIvEENS9_8equal_toIvEEsEE10hipError_tPvRmT2_T3_T4_T5_mT6_T7_P12ihipStream_tbENKUlT_T0_E_clISt17integral_constantIbLb1EES11_EEDaSW_SX_EUlSW_E_NS1_11comp_targetILNS1_3genE3ELNS1_11target_archE908ELNS1_3gpuE7ELNS1_3repE0EEENS1_30default_config_static_selectorELNS0_4arch9wavefront6targetE1EEEvT1_
	.p2align	8
	.type	_ZN7rocprim17ROCPRIM_400000_NS6detail17trampoline_kernelINS0_14default_configENS1_27scan_by_key_config_selectorIisEEZZNS1_16scan_by_key_implILNS1_25lookback_scan_determinismE0ELb1ES3_N6thrust23THRUST_200600_302600_NS6detail15normal_iteratorINS9_10device_ptrIiEEEENSB_INSC_IsEEEESG_sNS9_4plusIvEENS9_8equal_toIvEEsEE10hipError_tPvRmT2_T3_T4_T5_mT6_T7_P12ihipStream_tbENKUlT_T0_E_clISt17integral_constantIbLb1EES11_EEDaSW_SX_EUlSW_E_NS1_11comp_targetILNS1_3genE3ELNS1_11target_archE908ELNS1_3gpuE7ELNS1_3repE0EEENS1_30default_config_static_selectorELNS0_4arch9wavefront6targetE1EEEvT1_,@function
_ZN7rocprim17ROCPRIM_400000_NS6detail17trampoline_kernelINS0_14default_configENS1_27scan_by_key_config_selectorIisEEZZNS1_16scan_by_key_implILNS1_25lookback_scan_determinismE0ELb1ES3_N6thrust23THRUST_200600_302600_NS6detail15normal_iteratorINS9_10device_ptrIiEEEENSB_INSC_IsEEEESG_sNS9_4plusIvEENS9_8equal_toIvEEsEE10hipError_tPvRmT2_T3_T4_T5_mT6_T7_P12ihipStream_tbENKUlT_T0_E_clISt17integral_constantIbLb1EES11_EEDaSW_SX_EUlSW_E_NS1_11comp_targetILNS1_3genE3ELNS1_11target_archE908ELNS1_3gpuE7ELNS1_3repE0EEENS1_30default_config_static_selectorELNS0_4arch9wavefront6targetE1EEEvT1_: ; @_ZN7rocprim17ROCPRIM_400000_NS6detail17trampoline_kernelINS0_14default_configENS1_27scan_by_key_config_selectorIisEEZZNS1_16scan_by_key_implILNS1_25lookback_scan_determinismE0ELb1ES3_N6thrust23THRUST_200600_302600_NS6detail15normal_iteratorINS9_10device_ptrIiEEEENSB_INSC_IsEEEESG_sNS9_4plusIvEENS9_8equal_toIvEEsEE10hipError_tPvRmT2_T3_T4_T5_mT6_T7_P12ihipStream_tbENKUlT_T0_E_clISt17integral_constantIbLb1EES11_EEDaSW_SX_EUlSW_E_NS1_11comp_targetILNS1_3genE3ELNS1_11target_archE908ELNS1_3gpuE7ELNS1_3repE0EEENS1_30default_config_static_selectorELNS0_4arch9wavefront6targetE1EEEvT1_
; %bb.0:
	.section	.rodata,"a",@progbits
	.p2align	6, 0x0
	.amdhsa_kernel _ZN7rocprim17ROCPRIM_400000_NS6detail17trampoline_kernelINS0_14default_configENS1_27scan_by_key_config_selectorIisEEZZNS1_16scan_by_key_implILNS1_25lookback_scan_determinismE0ELb1ES3_N6thrust23THRUST_200600_302600_NS6detail15normal_iteratorINS9_10device_ptrIiEEEENSB_INSC_IsEEEESG_sNS9_4plusIvEENS9_8equal_toIvEEsEE10hipError_tPvRmT2_T3_T4_T5_mT6_T7_P12ihipStream_tbENKUlT_T0_E_clISt17integral_constantIbLb1EES11_EEDaSW_SX_EUlSW_E_NS1_11comp_targetILNS1_3genE3ELNS1_11target_archE908ELNS1_3gpuE7ELNS1_3repE0EEENS1_30default_config_static_selectorELNS0_4arch9wavefront6targetE1EEEvT1_
		.amdhsa_group_segment_fixed_size 0
		.amdhsa_private_segment_fixed_size 0
		.amdhsa_kernarg_size 112
		.amdhsa_user_sgpr_count 6
		.amdhsa_user_sgpr_private_segment_buffer 1
		.amdhsa_user_sgpr_dispatch_ptr 0
		.amdhsa_user_sgpr_queue_ptr 0
		.amdhsa_user_sgpr_kernarg_segment_ptr 1
		.amdhsa_user_sgpr_dispatch_id 0
		.amdhsa_user_sgpr_flat_scratch_init 0
		.amdhsa_user_sgpr_kernarg_preload_length 0
		.amdhsa_user_sgpr_kernarg_preload_offset 0
		.amdhsa_user_sgpr_private_segment_size 0
		.amdhsa_uses_dynamic_stack 0
		.amdhsa_system_sgpr_private_segment_wavefront_offset 0
		.amdhsa_system_sgpr_workgroup_id_x 1
		.amdhsa_system_sgpr_workgroup_id_y 0
		.amdhsa_system_sgpr_workgroup_id_z 0
		.amdhsa_system_sgpr_workgroup_info 0
		.amdhsa_system_vgpr_workitem_id 0
		.amdhsa_next_free_vgpr 1
		.amdhsa_next_free_sgpr 0
		.amdhsa_accum_offset 4
		.amdhsa_reserve_vcc 0
		.amdhsa_reserve_flat_scratch 0
		.amdhsa_float_round_mode_32 0
		.amdhsa_float_round_mode_16_64 0
		.amdhsa_float_denorm_mode_32 3
		.amdhsa_float_denorm_mode_16_64 3
		.amdhsa_dx10_clamp 1
		.amdhsa_ieee_mode 1
		.amdhsa_fp16_overflow 0
		.amdhsa_tg_split 0
		.amdhsa_exception_fp_ieee_invalid_op 0
		.amdhsa_exception_fp_denorm_src 0
		.amdhsa_exception_fp_ieee_div_zero 0
		.amdhsa_exception_fp_ieee_overflow 0
		.amdhsa_exception_fp_ieee_underflow 0
		.amdhsa_exception_fp_ieee_inexact 0
		.amdhsa_exception_int_div_zero 0
	.end_amdhsa_kernel
	.section	.text._ZN7rocprim17ROCPRIM_400000_NS6detail17trampoline_kernelINS0_14default_configENS1_27scan_by_key_config_selectorIisEEZZNS1_16scan_by_key_implILNS1_25lookback_scan_determinismE0ELb1ES3_N6thrust23THRUST_200600_302600_NS6detail15normal_iteratorINS9_10device_ptrIiEEEENSB_INSC_IsEEEESG_sNS9_4plusIvEENS9_8equal_toIvEEsEE10hipError_tPvRmT2_T3_T4_T5_mT6_T7_P12ihipStream_tbENKUlT_T0_E_clISt17integral_constantIbLb1EES11_EEDaSW_SX_EUlSW_E_NS1_11comp_targetILNS1_3genE3ELNS1_11target_archE908ELNS1_3gpuE7ELNS1_3repE0EEENS1_30default_config_static_selectorELNS0_4arch9wavefront6targetE1EEEvT1_,"axG",@progbits,_ZN7rocprim17ROCPRIM_400000_NS6detail17trampoline_kernelINS0_14default_configENS1_27scan_by_key_config_selectorIisEEZZNS1_16scan_by_key_implILNS1_25lookback_scan_determinismE0ELb1ES3_N6thrust23THRUST_200600_302600_NS6detail15normal_iteratorINS9_10device_ptrIiEEEENSB_INSC_IsEEEESG_sNS9_4plusIvEENS9_8equal_toIvEEsEE10hipError_tPvRmT2_T3_T4_T5_mT6_T7_P12ihipStream_tbENKUlT_T0_E_clISt17integral_constantIbLb1EES11_EEDaSW_SX_EUlSW_E_NS1_11comp_targetILNS1_3genE3ELNS1_11target_archE908ELNS1_3gpuE7ELNS1_3repE0EEENS1_30default_config_static_selectorELNS0_4arch9wavefront6targetE1EEEvT1_,comdat
.Lfunc_end1620:
	.size	_ZN7rocprim17ROCPRIM_400000_NS6detail17trampoline_kernelINS0_14default_configENS1_27scan_by_key_config_selectorIisEEZZNS1_16scan_by_key_implILNS1_25lookback_scan_determinismE0ELb1ES3_N6thrust23THRUST_200600_302600_NS6detail15normal_iteratorINS9_10device_ptrIiEEEENSB_INSC_IsEEEESG_sNS9_4plusIvEENS9_8equal_toIvEEsEE10hipError_tPvRmT2_T3_T4_T5_mT6_T7_P12ihipStream_tbENKUlT_T0_E_clISt17integral_constantIbLb1EES11_EEDaSW_SX_EUlSW_E_NS1_11comp_targetILNS1_3genE3ELNS1_11target_archE908ELNS1_3gpuE7ELNS1_3repE0EEENS1_30default_config_static_selectorELNS0_4arch9wavefront6targetE1EEEvT1_, .Lfunc_end1620-_ZN7rocprim17ROCPRIM_400000_NS6detail17trampoline_kernelINS0_14default_configENS1_27scan_by_key_config_selectorIisEEZZNS1_16scan_by_key_implILNS1_25lookback_scan_determinismE0ELb1ES3_N6thrust23THRUST_200600_302600_NS6detail15normal_iteratorINS9_10device_ptrIiEEEENSB_INSC_IsEEEESG_sNS9_4plusIvEENS9_8equal_toIvEEsEE10hipError_tPvRmT2_T3_T4_T5_mT6_T7_P12ihipStream_tbENKUlT_T0_E_clISt17integral_constantIbLb1EES11_EEDaSW_SX_EUlSW_E_NS1_11comp_targetILNS1_3genE3ELNS1_11target_archE908ELNS1_3gpuE7ELNS1_3repE0EEENS1_30default_config_static_selectorELNS0_4arch9wavefront6targetE1EEEvT1_
                                        ; -- End function
	.section	.AMDGPU.csdata,"",@progbits
; Kernel info:
; codeLenInByte = 0
; NumSgprs: 4
; NumVgprs: 0
; NumAgprs: 0
; TotalNumVgprs: 0
; ScratchSize: 0
; MemoryBound: 0
; FloatMode: 240
; IeeeMode: 1
; LDSByteSize: 0 bytes/workgroup (compile time only)
; SGPRBlocks: 0
; VGPRBlocks: 0
; NumSGPRsForWavesPerEU: 4
; NumVGPRsForWavesPerEU: 1
; AccumOffset: 4
; Occupancy: 8
; WaveLimiterHint : 0
; COMPUTE_PGM_RSRC2:SCRATCH_EN: 0
; COMPUTE_PGM_RSRC2:USER_SGPR: 6
; COMPUTE_PGM_RSRC2:TRAP_HANDLER: 0
; COMPUTE_PGM_RSRC2:TGID_X_EN: 1
; COMPUTE_PGM_RSRC2:TGID_Y_EN: 0
; COMPUTE_PGM_RSRC2:TGID_Z_EN: 0
; COMPUTE_PGM_RSRC2:TIDIG_COMP_CNT: 0
; COMPUTE_PGM_RSRC3_GFX90A:ACCUM_OFFSET: 0
; COMPUTE_PGM_RSRC3_GFX90A:TG_SPLIT: 0
	.section	.text._ZN7rocprim17ROCPRIM_400000_NS6detail17trampoline_kernelINS0_14default_configENS1_27scan_by_key_config_selectorIisEEZZNS1_16scan_by_key_implILNS1_25lookback_scan_determinismE0ELb1ES3_N6thrust23THRUST_200600_302600_NS6detail15normal_iteratorINS9_10device_ptrIiEEEENSB_INSC_IsEEEESG_sNS9_4plusIvEENS9_8equal_toIvEEsEE10hipError_tPvRmT2_T3_T4_T5_mT6_T7_P12ihipStream_tbENKUlT_T0_E_clISt17integral_constantIbLb1EES11_EEDaSW_SX_EUlSW_E_NS1_11comp_targetILNS1_3genE2ELNS1_11target_archE906ELNS1_3gpuE6ELNS1_3repE0EEENS1_30default_config_static_selectorELNS0_4arch9wavefront6targetE1EEEvT1_,"axG",@progbits,_ZN7rocprim17ROCPRIM_400000_NS6detail17trampoline_kernelINS0_14default_configENS1_27scan_by_key_config_selectorIisEEZZNS1_16scan_by_key_implILNS1_25lookback_scan_determinismE0ELb1ES3_N6thrust23THRUST_200600_302600_NS6detail15normal_iteratorINS9_10device_ptrIiEEEENSB_INSC_IsEEEESG_sNS9_4plusIvEENS9_8equal_toIvEEsEE10hipError_tPvRmT2_T3_T4_T5_mT6_T7_P12ihipStream_tbENKUlT_T0_E_clISt17integral_constantIbLb1EES11_EEDaSW_SX_EUlSW_E_NS1_11comp_targetILNS1_3genE2ELNS1_11target_archE906ELNS1_3gpuE6ELNS1_3repE0EEENS1_30default_config_static_selectorELNS0_4arch9wavefront6targetE1EEEvT1_,comdat
	.protected	_ZN7rocprim17ROCPRIM_400000_NS6detail17trampoline_kernelINS0_14default_configENS1_27scan_by_key_config_selectorIisEEZZNS1_16scan_by_key_implILNS1_25lookback_scan_determinismE0ELb1ES3_N6thrust23THRUST_200600_302600_NS6detail15normal_iteratorINS9_10device_ptrIiEEEENSB_INSC_IsEEEESG_sNS9_4plusIvEENS9_8equal_toIvEEsEE10hipError_tPvRmT2_T3_T4_T5_mT6_T7_P12ihipStream_tbENKUlT_T0_E_clISt17integral_constantIbLb1EES11_EEDaSW_SX_EUlSW_E_NS1_11comp_targetILNS1_3genE2ELNS1_11target_archE906ELNS1_3gpuE6ELNS1_3repE0EEENS1_30default_config_static_selectorELNS0_4arch9wavefront6targetE1EEEvT1_ ; -- Begin function _ZN7rocprim17ROCPRIM_400000_NS6detail17trampoline_kernelINS0_14default_configENS1_27scan_by_key_config_selectorIisEEZZNS1_16scan_by_key_implILNS1_25lookback_scan_determinismE0ELb1ES3_N6thrust23THRUST_200600_302600_NS6detail15normal_iteratorINS9_10device_ptrIiEEEENSB_INSC_IsEEEESG_sNS9_4plusIvEENS9_8equal_toIvEEsEE10hipError_tPvRmT2_T3_T4_T5_mT6_T7_P12ihipStream_tbENKUlT_T0_E_clISt17integral_constantIbLb1EES11_EEDaSW_SX_EUlSW_E_NS1_11comp_targetILNS1_3genE2ELNS1_11target_archE906ELNS1_3gpuE6ELNS1_3repE0EEENS1_30default_config_static_selectorELNS0_4arch9wavefront6targetE1EEEvT1_
	.globl	_ZN7rocprim17ROCPRIM_400000_NS6detail17trampoline_kernelINS0_14default_configENS1_27scan_by_key_config_selectorIisEEZZNS1_16scan_by_key_implILNS1_25lookback_scan_determinismE0ELb1ES3_N6thrust23THRUST_200600_302600_NS6detail15normal_iteratorINS9_10device_ptrIiEEEENSB_INSC_IsEEEESG_sNS9_4plusIvEENS9_8equal_toIvEEsEE10hipError_tPvRmT2_T3_T4_T5_mT6_T7_P12ihipStream_tbENKUlT_T0_E_clISt17integral_constantIbLb1EES11_EEDaSW_SX_EUlSW_E_NS1_11comp_targetILNS1_3genE2ELNS1_11target_archE906ELNS1_3gpuE6ELNS1_3repE0EEENS1_30default_config_static_selectorELNS0_4arch9wavefront6targetE1EEEvT1_
	.p2align	8
	.type	_ZN7rocprim17ROCPRIM_400000_NS6detail17trampoline_kernelINS0_14default_configENS1_27scan_by_key_config_selectorIisEEZZNS1_16scan_by_key_implILNS1_25lookback_scan_determinismE0ELb1ES3_N6thrust23THRUST_200600_302600_NS6detail15normal_iteratorINS9_10device_ptrIiEEEENSB_INSC_IsEEEESG_sNS9_4plusIvEENS9_8equal_toIvEEsEE10hipError_tPvRmT2_T3_T4_T5_mT6_T7_P12ihipStream_tbENKUlT_T0_E_clISt17integral_constantIbLb1EES11_EEDaSW_SX_EUlSW_E_NS1_11comp_targetILNS1_3genE2ELNS1_11target_archE906ELNS1_3gpuE6ELNS1_3repE0EEENS1_30default_config_static_selectorELNS0_4arch9wavefront6targetE1EEEvT1_,@function
_ZN7rocprim17ROCPRIM_400000_NS6detail17trampoline_kernelINS0_14default_configENS1_27scan_by_key_config_selectorIisEEZZNS1_16scan_by_key_implILNS1_25lookback_scan_determinismE0ELb1ES3_N6thrust23THRUST_200600_302600_NS6detail15normal_iteratorINS9_10device_ptrIiEEEENSB_INSC_IsEEEESG_sNS9_4plusIvEENS9_8equal_toIvEEsEE10hipError_tPvRmT2_T3_T4_T5_mT6_T7_P12ihipStream_tbENKUlT_T0_E_clISt17integral_constantIbLb1EES11_EEDaSW_SX_EUlSW_E_NS1_11comp_targetILNS1_3genE2ELNS1_11target_archE906ELNS1_3gpuE6ELNS1_3repE0EEENS1_30default_config_static_selectorELNS0_4arch9wavefront6targetE1EEEvT1_: ; @_ZN7rocprim17ROCPRIM_400000_NS6detail17trampoline_kernelINS0_14default_configENS1_27scan_by_key_config_selectorIisEEZZNS1_16scan_by_key_implILNS1_25lookback_scan_determinismE0ELb1ES3_N6thrust23THRUST_200600_302600_NS6detail15normal_iteratorINS9_10device_ptrIiEEEENSB_INSC_IsEEEESG_sNS9_4plusIvEENS9_8equal_toIvEEsEE10hipError_tPvRmT2_T3_T4_T5_mT6_T7_P12ihipStream_tbENKUlT_T0_E_clISt17integral_constantIbLb1EES11_EEDaSW_SX_EUlSW_E_NS1_11comp_targetILNS1_3genE2ELNS1_11target_archE906ELNS1_3gpuE6ELNS1_3repE0EEENS1_30default_config_static_selectorELNS0_4arch9wavefront6targetE1EEEvT1_
; %bb.0:
	.section	.rodata,"a",@progbits
	.p2align	6, 0x0
	.amdhsa_kernel _ZN7rocprim17ROCPRIM_400000_NS6detail17trampoline_kernelINS0_14default_configENS1_27scan_by_key_config_selectorIisEEZZNS1_16scan_by_key_implILNS1_25lookback_scan_determinismE0ELb1ES3_N6thrust23THRUST_200600_302600_NS6detail15normal_iteratorINS9_10device_ptrIiEEEENSB_INSC_IsEEEESG_sNS9_4plusIvEENS9_8equal_toIvEEsEE10hipError_tPvRmT2_T3_T4_T5_mT6_T7_P12ihipStream_tbENKUlT_T0_E_clISt17integral_constantIbLb1EES11_EEDaSW_SX_EUlSW_E_NS1_11comp_targetILNS1_3genE2ELNS1_11target_archE906ELNS1_3gpuE6ELNS1_3repE0EEENS1_30default_config_static_selectorELNS0_4arch9wavefront6targetE1EEEvT1_
		.amdhsa_group_segment_fixed_size 0
		.amdhsa_private_segment_fixed_size 0
		.amdhsa_kernarg_size 112
		.amdhsa_user_sgpr_count 6
		.amdhsa_user_sgpr_private_segment_buffer 1
		.amdhsa_user_sgpr_dispatch_ptr 0
		.amdhsa_user_sgpr_queue_ptr 0
		.amdhsa_user_sgpr_kernarg_segment_ptr 1
		.amdhsa_user_sgpr_dispatch_id 0
		.amdhsa_user_sgpr_flat_scratch_init 0
		.amdhsa_user_sgpr_kernarg_preload_length 0
		.amdhsa_user_sgpr_kernarg_preload_offset 0
		.amdhsa_user_sgpr_private_segment_size 0
		.amdhsa_uses_dynamic_stack 0
		.amdhsa_system_sgpr_private_segment_wavefront_offset 0
		.amdhsa_system_sgpr_workgroup_id_x 1
		.amdhsa_system_sgpr_workgroup_id_y 0
		.amdhsa_system_sgpr_workgroup_id_z 0
		.amdhsa_system_sgpr_workgroup_info 0
		.amdhsa_system_vgpr_workitem_id 0
		.amdhsa_next_free_vgpr 1
		.amdhsa_next_free_sgpr 0
		.amdhsa_accum_offset 4
		.amdhsa_reserve_vcc 0
		.amdhsa_reserve_flat_scratch 0
		.amdhsa_float_round_mode_32 0
		.amdhsa_float_round_mode_16_64 0
		.amdhsa_float_denorm_mode_32 3
		.amdhsa_float_denorm_mode_16_64 3
		.amdhsa_dx10_clamp 1
		.amdhsa_ieee_mode 1
		.amdhsa_fp16_overflow 0
		.amdhsa_tg_split 0
		.amdhsa_exception_fp_ieee_invalid_op 0
		.amdhsa_exception_fp_denorm_src 0
		.amdhsa_exception_fp_ieee_div_zero 0
		.amdhsa_exception_fp_ieee_overflow 0
		.amdhsa_exception_fp_ieee_underflow 0
		.amdhsa_exception_fp_ieee_inexact 0
		.amdhsa_exception_int_div_zero 0
	.end_amdhsa_kernel
	.section	.text._ZN7rocprim17ROCPRIM_400000_NS6detail17trampoline_kernelINS0_14default_configENS1_27scan_by_key_config_selectorIisEEZZNS1_16scan_by_key_implILNS1_25lookback_scan_determinismE0ELb1ES3_N6thrust23THRUST_200600_302600_NS6detail15normal_iteratorINS9_10device_ptrIiEEEENSB_INSC_IsEEEESG_sNS9_4plusIvEENS9_8equal_toIvEEsEE10hipError_tPvRmT2_T3_T4_T5_mT6_T7_P12ihipStream_tbENKUlT_T0_E_clISt17integral_constantIbLb1EES11_EEDaSW_SX_EUlSW_E_NS1_11comp_targetILNS1_3genE2ELNS1_11target_archE906ELNS1_3gpuE6ELNS1_3repE0EEENS1_30default_config_static_selectorELNS0_4arch9wavefront6targetE1EEEvT1_,"axG",@progbits,_ZN7rocprim17ROCPRIM_400000_NS6detail17trampoline_kernelINS0_14default_configENS1_27scan_by_key_config_selectorIisEEZZNS1_16scan_by_key_implILNS1_25lookback_scan_determinismE0ELb1ES3_N6thrust23THRUST_200600_302600_NS6detail15normal_iteratorINS9_10device_ptrIiEEEENSB_INSC_IsEEEESG_sNS9_4plusIvEENS9_8equal_toIvEEsEE10hipError_tPvRmT2_T3_T4_T5_mT6_T7_P12ihipStream_tbENKUlT_T0_E_clISt17integral_constantIbLb1EES11_EEDaSW_SX_EUlSW_E_NS1_11comp_targetILNS1_3genE2ELNS1_11target_archE906ELNS1_3gpuE6ELNS1_3repE0EEENS1_30default_config_static_selectorELNS0_4arch9wavefront6targetE1EEEvT1_,comdat
.Lfunc_end1621:
	.size	_ZN7rocprim17ROCPRIM_400000_NS6detail17trampoline_kernelINS0_14default_configENS1_27scan_by_key_config_selectorIisEEZZNS1_16scan_by_key_implILNS1_25lookback_scan_determinismE0ELb1ES3_N6thrust23THRUST_200600_302600_NS6detail15normal_iteratorINS9_10device_ptrIiEEEENSB_INSC_IsEEEESG_sNS9_4plusIvEENS9_8equal_toIvEEsEE10hipError_tPvRmT2_T3_T4_T5_mT6_T7_P12ihipStream_tbENKUlT_T0_E_clISt17integral_constantIbLb1EES11_EEDaSW_SX_EUlSW_E_NS1_11comp_targetILNS1_3genE2ELNS1_11target_archE906ELNS1_3gpuE6ELNS1_3repE0EEENS1_30default_config_static_selectorELNS0_4arch9wavefront6targetE1EEEvT1_, .Lfunc_end1621-_ZN7rocprim17ROCPRIM_400000_NS6detail17trampoline_kernelINS0_14default_configENS1_27scan_by_key_config_selectorIisEEZZNS1_16scan_by_key_implILNS1_25lookback_scan_determinismE0ELb1ES3_N6thrust23THRUST_200600_302600_NS6detail15normal_iteratorINS9_10device_ptrIiEEEENSB_INSC_IsEEEESG_sNS9_4plusIvEENS9_8equal_toIvEEsEE10hipError_tPvRmT2_T3_T4_T5_mT6_T7_P12ihipStream_tbENKUlT_T0_E_clISt17integral_constantIbLb1EES11_EEDaSW_SX_EUlSW_E_NS1_11comp_targetILNS1_3genE2ELNS1_11target_archE906ELNS1_3gpuE6ELNS1_3repE0EEENS1_30default_config_static_selectorELNS0_4arch9wavefront6targetE1EEEvT1_
                                        ; -- End function
	.section	.AMDGPU.csdata,"",@progbits
; Kernel info:
; codeLenInByte = 0
; NumSgprs: 4
; NumVgprs: 0
; NumAgprs: 0
; TotalNumVgprs: 0
; ScratchSize: 0
; MemoryBound: 0
; FloatMode: 240
; IeeeMode: 1
; LDSByteSize: 0 bytes/workgroup (compile time only)
; SGPRBlocks: 0
; VGPRBlocks: 0
; NumSGPRsForWavesPerEU: 4
; NumVGPRsForWavesPerEU: 1
; AccumOffset: 4
; Occupancy: 8
; WaveLimiterHint : 0
; COMPUTE_PGM_RSRC2:SCRATCH_EN: 0
; COMPUTE_PGM_RSRC2:USER_SGPR: 6
; COMPUTE_PGM_RSRC2:TRAP_HANDLER: 0
; COMPUTE_PGM_RSRC2:TGID_X_EN: 1
; COMPUTE_PGM_RSRC2:TGID_Y_EN: 0
; COMPUTE_PGM_RSRC2:TGID_Z_EN: 0
; COMPUTE_PGM_RSRC2:TIDIG_COMP_CNT: 0
; COMPUTE_PGM_RSRC3_GFX90A:ACCUM_OFFSET: 0
; COMPUTE_PGM_RSRC3_GFX90A:TG_SPLIT: 0
	.section	.text._ZN7rocprim17ROCPRIM_400000_NS6detail17trampoline_kernelINS0_14default_configENS1_27scan_by_key_config_selectorIisEEZZNS1_16scan_by_key_implILNS1_25lookback_scan_determinismE0ELb1ES3_N6thrust23THRUST_200600_302600_NS6detail15normal_iteratorINS9_10device_ptrIiEEEENSB_INSC_IsEEEESG_sNS9_4plusIvEENS9_8equal_toIvEEsEE10hipError_tPvRmT2_T3_T4_T5_mT6_T7_P12ihipStream_tbENKUlT_T0_E_clISt17integral_constantIbLb1EES11_EEDaSW_SX_EUlSW_E_NS1_11comp_targetILNS1_3genE10ELNS1_11target_archE1200ELNS1_3gpuE4ELNS1_3repE0EEENS1_30default_config_static_selectorELNS0_4arch9wavefront6targetE1EEEvT1_,"axG",@progbits,_ZN7rocprim17ROCPRIM_400000_NS6detail17trampoline_kernelINS0_14default_configENS1_27scan_by_key_config_selectorIisEEZZNS1_16scan_by_key_implILNS1_25lookback_scan_determinismE0ELb1ES3_N6thrust23THRUST_200600_302600_NS6detail15normal_iteratorINS9_10device_ptrIiEEEENSB_INSC_IsEEEESG_sNS9_4plusIvEENS9_8equal_toIvEEsEE10hipError_tPvRmT2_T3_T4_T5_mT6_T7_P12ihipStream_tbENKUlT_T0_E_clISt17integral_constantIbLb1EES11_EEDaSW_SX_EUlSW_E_NS1_11comp_targetILNS1_3genE10ELNS1_11target_archE1200ELNS1_3gpuE4ELNS1_3repE0EEENS1_30default_config_static_selectorELNS0_4arch9wavefront6targetE1EEEvT1_,comdat
	.protected	_ZN7rocprim17ROCPRIM_400000_NS6detail17trampoline_kernelINS0_14default_configENS1_27scan_by_key_config_selectorIisEEZZNS1_16scan_by_key_implILNS1_25lookback_scan_determinismE0ELb1ES3_N6thrust23THRUST_200600_302600_NS6detail15normal_iteratorINS9_10device_ptrIiEEEENSB_INSC_IsEEEESG_sNS9_4plusIvEENS9_8equal_toIvEEsEE10hipError_tPvRmT2_T3_T4_T5_mT6_T7_P12ihipStream_tbENKUlT_T0_E_clISt17integral_constantIbLb1EES11_EEDaSW_SX_EUlSW_E_NS1_11comp_targetILNS1_3genE10ELNS1_11target_archE1200ELNS1_3gpuE4ELNS1_3repE0EEENS1_30default_config_static_selectorELNS0_4arch9wavefront6targetE1EEEvT1_ ; -- Begin function _ZN7rocprim17ROCPRIM_400000_NS6detail17trampoline_kernelINS0_14default_configENS1_27scan_by_key_config_selectorIisEEZZNS1_16scan_by_key_implILNS1_25lookback_scan_determinismE0ELb1ES3_N6thrust23THRUST_200600_302600_NS6detail15normal_iteratorINS9_10device_ptrIiEEEENSB_INSC_IsEEEESG_sNS9_4plusIvEENS9_8equal_toIvEEsEE10hipError_tPvRmT2_T3_T4_T5_mT6_T7_P12ihipStream_tbENKUlT_T0_E_clISt17integral_constantIbLb1EES11_EEDaSW_SX_EUlSW_E_NS1_11comp_targetILNS1_3genE10ELNS1_11target_archE1200ELNS1_3gpuE4ELNS1_3repE0EEENS1_30default_config_static_selectorELNS0_4arch9wavefront6targetE1EEEvT1_
	.globl	_ZN7rocprim17ROCPRIM_400000_NS6detail17trampoline_kernelINS0_14default_configENS1_27scan_by_key_config_selectorIisEEZZNS1_16scan_by_key_implILNS1_25lookback_scan_determinismE0ELb1ES3_N6thrust23THRUST_200600_302600_NS6detail15normal_iteratorINS9_10device_ptrIiEEEENSB_INSC_IsEEEESG_sNS9_4plusIvEENS9_8equal_toIvEEsEE10hipError_tPvRmT2_T3_T4_T5_mT6_T7_P12ihipStream_tbENKUlT_T0_E_clISt17integral_constantIbLb1EES11_EEDaSW_SX_EUlSW_E_NS1_11comp_targetILNS1_3genE10ELNS1_11target_archE1200ELNS1_3gpuE4ELNS1_3repE0EEENS1_30default_config_static_selectorELNS0_4arch9wavefront6targetE1EEEvT1_
	.p2align	8
	.type	_ZN7rocprim17ROCPRIM_400000_NS6detail17trampoline_kernelINS0_14default_configENS1_27scan_by_key_config_selectorIisEEZZNS1_16scan_by_key_implILNS1_25lookback_scan_determinismE0ELb1ES3_N6thrust23THRUST_200600_302600_NS6detail15normal_iteratorINS9_10device_ptrIiEEEENSB_INSC_IsEEEESG_sNS9_4plusIvEENS9_8equal_toIvEEsEE10hipError_tPvRmT2_T3_T4_T5_mT6_T7_P12ihipStream_tbENKUlT_T0_E_clISt17integral_constantIbLb1EES11_EEDaSW_SX_EUlSW_E_NS1_11comp_targetILNS1_3genE10ELNS1_11target_archE1200ELNS1_3gpuE4ELNS1_3repE0EEENS1_30default_config_static_selectorELNS0_4arch9wavefront6targetE1EEEvT1_,@function
_ZN7rocprim17ROCPRIM_400000_NS6detail17trampoline_kernelINS0_14default_configENS1_27scan_by_key_config_selectorIisEEZZNS1_16scan_by_key_implILNS1_25lookback_scan_determinismE0ELb1ES3_N6thrust23THRUST_200600_302600_NS6detail15normal_iteratorINS9_10device_ptrIiEEEENSB_INSC_IsEEEESG_sNS9_4plusIvEENS9_8equal_toIvEEsEE10hipError_tPvRmT2_T3_T4_T5_mT6_T7_P12ihipStream_tbENKUlT_T0_E_clISt17integral_constantIbLb1EES11_EEDaSW_SX_EUlSW_E_NS1_11comp_targetILNS1_3genE10ELNS1_11target_archE1200ELNS1_3gpuE4ELNS1_3repE0EEENS1_30default_config_static_selectorELNS0_4arch9wavefront6targetE1EEEvT1_: ; @_ZN7rocprim17ROCPRIM_400000_NS6detail17trampoline_kernelINS0_14default_configENS1_27scan_by_key_config_selectorIisEEZZNS1_16scan_by_key_implILNS1_25lookback_scan_determinismE0ELb1ES3_N6thrust23THRUST_200600_302600_NS6detail15normal_iteratorINS9_10device_ptrIiEEEENSB_INSC_IsEEEESG_sNS9_4plusIvEENS9_8equal_toIvEEsEE10hipError_tPvRmT2_T3_T4_T5_mT6_T7_P12ihipStream_tbENKUlT_T0_E_clISt17integral_constantIbLb1EES11_EEDaSW_SX_EUlSW_E_NS1_11comp_targetILNS1_3genE10ELNS1_11target_archE1200ELNS1_3gpuE4ELNS1_3repE0EEENS1_30default_config_static_selectorELNS0_4arch9wavefront6targetE1EEEvT1_
; %bb.0:
	.section	.rodata,"a",@progbits
	.p2align	6, 0x0
	.amdhsa_kernel _ZN7rocprim17ROCPRIM_400000_NS6detail17trampoline_kernelINS0_14default_configENS1_27scan_by_key_config_selectorIisEEZZNS1_16scan_by_key_implILNS1_25lookback_scan_determinismE0ELb1ES3_N6thrust23THRUST_200600_302600_NS6detail15normal_iteratorINS9_10device_ptrIiEEEENSB_INSC_IsEEEESG_sNS9_4plusIvEENS9_8equal_toIvEEsEE10hipError_tPvRmT2_T3_T4_T5_mT6_T7_P12ihipStream_tbENKUlT_T0_E_clISt17integral_constantIbLb1EES11_EEDaSW_SX_EUlSW_E_NS1_11comp_targetILNS1_3genE10ELNS1_11target_archE1200ELNS1_3gpuE4ELNS1_3repE0EEENS1_30default_config_static_selectorELNS0_4arch9wavefront6targetE1EEEvT1_
		.amdhsa_group_segment_fixed_size 0
		.amdhsa_private_segment_fixed_size 0
		.amdhsa_kernarg_size 112
		.amdhsa_user_sgpr_count 6
		.amdhsa_user_sgpr_private_segment_buffer 1
		.amdhsa_user_sgpr_dispatch_ptr 0
		.amdhsa_user_sgpr_queue_ptr 0
		.amdhsa_user_sgpr_kernarg_segment_ptr 1
		.amdhsa_user_sgpr_dispatch_id 0
		.amdhsa_user_sgpr_flat_scratch_init 0
		.amdhsa_user_sgpr_kernarg_preload_length 0
		.amdhsa_user_sgpr_kernarg_preload_offset 0
		.amdhsa_user_sgpr_private_segment_size 0
		.amdhsa_uses_dynamic_stack 0
		.amdhsa_system_sgpr_private_segment_wavefront_offset 0
		.amdhsa_system_sgpr_workgroup_id_x 1
		.amdhsa_system_sgpr_workgroup_id_y 0
		.amdhsa_system_sgpr_workgroup_id_z 0
		.amdhsa_system_sgpr_workgroup_info 0
		.amdhsa_system_vgpr_workitem_id 0
		.amdhsa_next_free_vgpr 1
		.amdhsa_next_free_sgpr 0
		.amdhsa_accum_offset 4
		.amdhsa_reserve_vcc 0
		.amdhsa_reserve_flat_scratch 0
		.amdhsa_float_round_mode_32 0
		.amdhsa_float_round_mode_16_64 0
		.amdhsa_float_denorm_mode_32 3
		.amdhsa_float_denorm_mode_16_64 3
		.amdhsa_dx10_clamp 1
		.amdhsa_ieee_mode 1
		.amdhsa_fp16_overflow 0
		.amdhsa_tg_split 0
		.amdhsa_exception_fp_ieee_invalid_op 0
		.amdhsa_exception_fp_denorm_src 0
		.amdhsa_exception_fp_ieee_div_zero 0
		.amdhsa_exception_fp_ieee_overflow 0
		.amdhsa_exception_fp_ieee_underflow 0
		.amdhsa_exception_fp_ieee_inexact 0
		.amdhsa_exception_int_div_zero 0
	.end_amdhsa_kernel
	.section	.text._ZN7rocprim17ROCPRIM_400000_NS6detail17trampoline_kernelINS0_14default_configENS1_27scan_by_key_config_selectorIisEEZZNS1_16scan_by_key_implILNS1_25lookback_scan_determinismE0ELb1ES3_N6thrust23THRUST_200600_302600_NS6detail15normal_iteratorINS9_10device_ptrIiEEEENSB_INSC_IsEEEESG_sNS9_4plusIvEENS9_8equal_toIvEEsEE10hipError_tPvRmT2_T3_T4_T5_mT6_T7_P12ihipStream_tbENKUlT_T0_E_clISt17integral_constantIbLb1EES11_EEDaSW_SX_EUlSW_E_NS1_11comp_targetILNS1_3genE10ELNS1_11target_archE1200ELNS1_3gpuE4ELNS1_3repE0EEENS1_30default_config_static_selectorELNS0_4arch9wavefront6targetE1EEEvT1_,"axG",@progbits,_ZN7rocprim17ROCPRIM_400000_NS6detail17trampoline_kernelINS0_14default_configENS1_27scan_by_key_config_selectorIisEEZZNS1_16scan_by_key_implILNS1_25lookback_scan_determinismE0ELb1ES3_N6thrust23THRUST_200600_302600_NS6detail15normal_iteratorINS9_10device_ptrIiEEEENSB_INSC_IsEEEESG_sNS9_4plusIvEENS9_8equal_toIvEEsEE10hipError_tPvRmT2_T3_T4_T5_mT6_T7_P12ihipStream_tbENKUlT_T0_E_clISt17integral_constantIbLb1EES11_EEDaSW_SX_EUlSW_E_NS1_11comp_targetILNS1_3genE10ELNS1_11target_archE1200ELNS1_3gpuE4ELNS1_3repE0EEENS1_30default_config_static_selectorELNS0_4arch9wavefront6targetE1EEEvT1_,comdat
.Lfunc_end1622:
	.size	_ZN7rocprim17ROCPRIM_400000_NS6detail17trampoline_kernelINS0_14default_configENS1_27scan_by_key_config_selectorIisEEZZNS1_16scan_by_key_implILNS1_25lookback_scan_determinismE0ELb1ES3_N6thrust23THRUST_200600_302600_NS6detail15normal_iteratorINS9_10device_ptrIiEEEENSB_INSC_IsEEEESG_sNS9_4plusIvEENS9_8equal_toIvEEsEE10hipError_tPvRmT2_T3_T4_T5_mT6_T7_P12ihipStream_tbENKUlT_T0_E_clISt17integral_constantIbLb1EES11_EEDaSW_SX_EUlSW_E_NS1_11comp_targetILNS1_3genE10ELNS1_11target_archE1200ELNS1_3gpuE4ELNS1_3repE0EEENS1_30default_config_static_selectorELNS0_4arch9wavefront6targetE1EEEvT1_, .Lfunc_end1622-_ZN7rocprim17ROCPRIM_400000_NS6detail17trampoline_kernelINS0_14default_configENS1_27scan_by_key_config_selectorIisEEZZNS1_16scan_by_key_implILNS1_25lookback_scan_determinismE0ELb1ES3_N6thrust23THRUST_200600_302600_NS6detail15normal_iteratorINS9_10device_ptrIiEEEENSB_INSC_IsEEEESG_sNS9_4plusIvEENS9_8equal_toIvEEsEE10hipError_tPvRmT2_T3_T4_T5_mT6_T7_P12ihipStream_tbENKUlT_T0_E_clISt17integral_constantIbLb1EES11_EEDaSW_SX_EUlSW_E_NS1_11comp_targetILNS1_3genE10ELNS1_11target_archE1200ELNS1_3gpuE4ELNS1_3repE0EEENS1_30default_config_static_selectorELNS0_4arch9wavefront6targetE1EEEvT1_
                                        ; -- End function
	.section	.AMDGPU.csdata,"",@progbits
; Kernel info:
; codeLenInByte = 0
; NumSgprs: 4
; NumVgprs: 0
; NumAgprs: 0
; TotalNumVgprs: 0
; ScratchSize: 0
; MemoryBound: 0
; FloatMode: 240
; IeeeMode: 1
; LDSByteSize: 0 bytes/workgroup (compile time only)
; SGPRBlocks: 0
; VGPRBlocks: 0
; NumSGPRsForWavesPerEU: 4
; NumVGPRsForWavesPerEU: 1
; AccumOffset: 4
; Occupancy: 8
; WaveLimiterHint : 0
; COMPUTE_PGM_RSRC2:SCRATCH_EN: 0
; COMPUTE_PGM_RSRC2:USER_SGPR: 6
; COMPUTE_PGM_RSRC2:TRAP_HANDLER: 0
; COMPUTE_PGM_RSRC2:TGID_X_EN: 1
; COMPUTE_PGM_RSRC2:TGID_Y_EN: 0
; COMPUTE_PGM_RSRC2:TGID_Z_EN: 0
; COMPUTE_PGM_RSRC2:TIDIG_COMP_CNT: 0
; COMPUTE_PGM_RSRC3_GFX90A:ACCUM_OFFSET: 0
; COMPUTE_PGM_RSRC3_GFX90A:TG_SPLIT: 0
	.section	.text._ZN7rocprim17ROCPRIM_400000_NS6detail17trampoline_kernelINS0_14default_configENS1_27scan_by_key_config_selectorIisEEZZNS1_16scan_by_key_implILNS1_25lookback_scan_determinismE0ELb1ES3_N6thrust23THRUST_200600_302600_NS6detail15normal_iteratorINS9_10device_ptrIiEEEENSB_INSC_IsEEEESG_sNS9_4plusIvEENS9_8equal_toIvEEsEE10hipError_tPvRmT2_T3_T4_T5_mT6_T7_P12ihipStream_tbENKUlT_T0_E_clISt17integral_constantIbLb1EES11_EEDaSW_SX_EUlSW_E_NS1_11comp_targetILNS1_3genE9ELNS1_11target_archE1100ELNS1_3gpuE3ELNS1_3repE0EEENS1_30default_config_static_selectorELNS0_4arch9wavefront6targetE1EEEvT1_,"axG",@progbits,_ZN7rocprim17ROCPRIM_400000_NS6detail17trampoline_kernelINS0_14default_configENS1_27scan_by_key_config_selectorIisEEZZNS1_16scan_by_key_implILNS1_25lookback_scan_determinismE0ELb1ES3_N6thrust23THRUST_200600_302600_NS6detail15normal_iteratorINS9_10device_ptrIiEEEENSB_INSC_IsEEEESG_sNS9_4plusIvEENS9_8equal_toIvEEsEE10hipError_tPvRmT2_T3_T4_T5_mT6_T7_P12ihipStream_tbENKUlT_T0_E_clISt17integral_constantIbLb1EES11_EEDaSW_SX_EUlSW_E_NS1_11comp_targetILNS1_3genE9ELNS1_11target_archE1100ELNS1_3gpuE3ELNS1_3repE0EEENS1_30default_config_static_selectorELNS0_4arch9wavefront6targetE1EEEvT1_,comdat
	.protected	_ZN7rocprim17ROCPRIM_400000_NS6detail17trampoline_kernelINS0_14default_configENS1_27scan_by_key_config_selectorIisEEZZNS1_16scan_by_key_implILNS1_25lookback_scan_determinismE0ELb1ES3_N6thrust23THRUST_200600_302600_NS6detail15normal_iteratorINS9_10device_ptrIiEEEENSB_INSC_IsEEEESG_sNS9_4plusIvEENS9_8equal_toIvEEsEE10hipError_tPvRmT2_T3_T4_T5_mT6_T7_P12ihipStream_tbENKUlT_T0_E_clISt17integral_constantIbLb1EES11_EEDaSW_SX_EUlSW_E_NS1_11comp_targetILNS1_3genE9ELNS1_11target_archE1100ELNS1_3gpuE3ELNS1_3repE0EEENS1_30default_config_static_selectorELNS0_4arch9wavefront6targetE1EEEvT1_ ; -- Begin function _ZN7rocprim17ROCPRIM_400000_NS6detail17trampoline_kernelINS0_14default_configENS1_27scan_by_key_config_selectorIisEEZZNS1_16scan_by_key_implILNS1_25lookback_scan_determinismE0ELb1ES3_N6thrust23THRUST_200600_302600_NS6detail15normal_iteratorINS9_10device_ptrIiEEEENSB_INSC_IsEEEESG_sNS9_4plusIvEENS9_8equal_toIvEEsEE10hipError_tPvRmT2_T3_T4_T5_mT6_T7_P12ihipStream_tbENKUlT_T0_E_clISt17integral_constantIbLb1EES11_EEDaSW_SX_EUlSW_E_NS1_11comp_targetILNS1_3genE9ELNS1_11target_archE1100ELNS1_3gpuE3ELNS1_3repE0EEENS1_30default_config_static_selectorELNS0_4arch9wavefront6targetE1EEEvT1_
	.globl	_ZN7rocprim17ROCPRIM_400000_NS6detail17trampoline_kernelINS0_14default_configENS1_27scan_by_key_config_selectorIisEEZZNS1_16scan_by_key_implILNS1_25lookback_scan_determinismE0ELb1ES3_N6thrust23THRUST_200600_302600_NS6detail15normal_iteratorINS9_10device_ptrIiEEEENSB_INSC_IsEEEESG_sNS9_4plusIvEENS9_8equal_toIvEEsEE10hipError_tPvRmT2_T3_T4_T5_mT6_T7_P12ihipStream_tbENKUlT_T0_E_clISt17integral_constantIbLb1EES11_EEDaSW_SX_EUlSW_E_NS1_11comp_targetILNS1_3genE9ELNS1_11target_archE1100ELNS1_3gpuE3ELNS1_3repE0EEENS1_30default_config_static_selectorELNS0_4arch9wavefront6targetE1EEEvT1_
	.p2align	8
	.type	_ZN7rocprim17ROCPRIM_400000_NS6detail17trampoline_kernelINS0_14default_configENS1_27scan_by_key_config_selectorIisEEZZNS1_16scan_by_key_implILNS1_25lookback_scan_determinismE0ELb1ES3_N6thrust23THRUST_200600_302600_NS6detail15normal_iteratorINS9_10device_ptrIiEEEENSB_INSC_IsEEEESG_sNS9_4plusIvEENS9_8equal_toIvEEsEE10hipError_tPvRmT2_T3_T4_T5_mT6_T7_P12ihipStream_tbENKUlT_T0_E_clISt17integral_constantIbLb1EES11_EEDaSW_SX_EUlSW_E_NS1_11comp_targetILNS1_3genE9ELNS1_11target_archE1100ELNS1_3gpuE3ELNS1_3repE0EEENS1_30default_config_static_selectorELNS0_4arch9wavefront6targetE1EEEvT1_,@function
_ZN7rocprim17ROCPRIM_400000_NS6detail17trampoline_kernelINS0_14default_configENS1_27scan_by_key_config_selectorIisEEZZNS1_16scan_by_key_implILNS1_25lookback_scan_determinismE0ELb1ES3_N6thrust23THRUST_200600_302600_NS6detail15normal_iteratorINS9_10device_ptrIiEEEENSB_INSC_IsEEEESG_sNS9_4plusIvEENS9_8equal_toIvEEsEE10hipError_tPvRmT2_T3_T4_T5_mT6_T7_P12ihipStream_tbENKUlT_T0_E_clISt17integral_constantIbLb1EES11_EEDaSW_SX_EUlSW_E_NS1_11comp_targetILNS1_3genE9ELNS1_11target_archE1100ELNS1_3gpuE3ELNS1_3repE0EEENS1_30default_config_static_selectorELNS0_4arch9wavefront6targetE1EEEvT1_: ; @_ZN7rocprim17ROCPRIM_400000_NS6detail17trampoline_kernelINS0_14default_configENS1_27scan_by_key_config_selectorIisEEZZNS1_16scan_by_key_implILNS1_25lookback_scan_determinismE0ELb1ES3_N6thrust23THRUST_200600_302600_NS6detail15normal_iteratorINS9_10device_ptrIiEEEENSB_INSC_IsEEEESG_sNS9_4plusIvEENS9_8equal_toIvEEsEE10hipError_tPvRmT2_T3_T4_T5_mT6_T7_P12ihipStream_tbENKUlT_T0_E_clISt17integral_constantIbLb1EES11_EEDaSW_SX_EUlSW_E_NS1_11comp_targetILNS1_3genE9ELNS1_11target_archE1100ELNS1_3gpuE3ELNS1_3repE0EEENS1_30default_config_static_selectorELNS0_4arch9wavefront6targetE1EEEvT1_
; %bb.0:
	.section	.rodata,"a",@progbits
	.p2align	6, 0x0
	.amdhsa_kernel _ZN7rocprim17ROCPRIM_400000_NS6detail17trampoline_kernelINS0_14default_configENS1_27scan_by_key_config_selectorIisEEZZNS1_16scan_by_key_implILNS1_25lookback_scan_determinismE0ELb1ES3_N6thrust23THRUST_200600_302600_NS6detail15normal_iteratorINS9_10device_ptrIiEEEENSB_INSC_IsEEEESG_sNS9_4plusIvEENS9_8equal_toIvEEsEE10hipError_tPvRmT2_T3_T4_T5_mT6_T7_P12ihipStream_tbENKUlT_T0_E_clISt17integral_constantIbLb1EES11_EEDaSW_SX_EUlSW_E_NS1_11comp_targetILNS1_3genE9ELNS1_11target_archE1100ELNS1_3gpuE3ELNS1_3repE0EEENS1_30default_config_static_selectorELNS0_4arch9wavefront6targetE1EEEvT1_
		.amdhsa_group_segment_fixed_size 0
		.amdhsa_private_segment_fixed_size 0
		.amdhsa_kernarg_size 112
		.amdhsa_user_sgpr_count 6
		.amdhsa_user_sgpr_private_segment_buffer 1
		.amdhsa_user_sgpr_dispatch_ptr 0
		.amdhsa_user_sgpr_queue_ptr 0
		.amdhsa_user_sgpr_kernarg_segment_ptr 1
		.amdhsa_user_sgpr_dispatch_id 0
		.amdhsa_user_sgpr_flat_scratch_init 0
		.amdhsa_user_sgpr_kernarg_preload_length 0
		.amdhsa_user_sgpr_kernarg_preload_offset 0
		.amdhsa_user_sgpr_private_segment_size 0
		.amdhsa_uses_dynamic_stack 0
		.amdhsa_system_sgpr_private_segment_wavefront_offset 0
		.amdhsa_system_sgpr_workgroup_id_x 1
		.amdhsa_system_sgpr_workgroup_id_y 0
		.amdhsa_system_sgpr_workgroup_id_z 0
		.amdhsa_system_sgpr_workgroup_info 0
		.amdhsa_system_vgpr_workitem_id 0
		.amdhsa_next_free_vgpr 1
		.amdhsa_next_free_sgpr 0
		.amdhsa_accum_offset 4
		.amdhsa_reserve_vcc 0
		.amdhsa_reserve_flat_scratch 0
		.amdhsa_float_round_mode_32 0
		.amdhsa_float_round_mode_16_64 0
		.amdhsa_float_denorm_mode_32 3
		.amdhsa_float_denorm_mode_16_64 3
		.amdhsa_dx10_clamp 1
		.amdhsa_ieee_mode 1
		.amdhsa_fp16_overflow 0
		.amdhsa_tg_split 0
		.amdhsa_exception_fp_ieee_invalid_op 0
		.amdhsa_exception_fp_denorm_src 0
		.amdhsa_exception_fp_ieee_div_zero 0
		.amdhsa_exception_fp_ieee_overflow 0
		.amdhsa_exception_fp_ieee_underflow 0
		.amdhsa_exception_fp_ieee_inexact 0
		.amdhsa_exception_int_div_zero 0
	.end_amdhsa_kernel
	.section	.text._ZN7rocprim17ROCPRIM_400000_NS6detail17trampoline_kernelINS0_14default_configENS1_27scan_by_key_config_selectorIisEEZZNS1_16scan_by_key_implILNS1_25lookback_scan_determinismE0ELb1ES3_N6thrust23THRUST_200600_302600_NS6detail15normal_iteratorINS9_10device_ptrIiEEEENSB_INSC_IsEEEESG_sNS9_4plusIvEENS9_8equal_toIvEEsEE10hipError_tPvRmT2_T3_T4_T5_mT6_T7_P12ihipStream_tbENKUlT_T0_E_clISt17integral_constantIbLb1EES11_EEDaSW_SX_EUlSW_E_NS1_11comp_targetILNS1_3genE9ELNS1_11target_archE1100ELNS1_3gpuE3ELNS1_3repE0EEENS1_30default_config_static_selectorELNS0_4arch9wavefront6targetE1EEEvT1_,"axG",@progbits,_ZN7rocprim17ROCPRIM_400000_NS6detail17trampoline_kernelINS0_14default_configENS1_27scan_by_key_config_selectorIisEEZZNS1_16scan_by_key_implILNS1_25lookback_scan_determinismE0ELb1ES3_N6thrust23THRUST_200600_302600_NS6detail15normal_iteratorINS9_10device_ptrIiEEEENSB_INSC_IsEEEESG_sNS9_4plusIvEENS9_8equal_toIvEEsEE10hipError_tPvRmT2_T3_T4_T5_mT6_T7_P12ihipStream_tbENKUlT_T0_E_clISt17integral_constantIbLb1EES11_EEDaSW_SX_EUlSW_E_NS1_11comp_targetILNS1_3genE9ELNS1_11target_archE1100ELNS1_3gpuE3ELNS1_3repE0EEENS1_30default_config_static_selectorELNS0_4arch9wavefront6targetE1EEEvT1_,comdat
.Lfunc_end1623:
	.size	_ZN7rocprim17ROCPRIM_400000_NS6detail17trampoline_kernelINS0_14default_configENS1_27scan_by_key_config_selectorIisEEZZNS1_16scan_by_key_implILNS1_25lookback_scan_determinismE0ELb1ES3_N6thrust23THRUST_200600_302600_NS6detail15normal_iteratorINS9_10device_ptrIiEEEENSB_INSC_IsEEEESG_sNS9_4plusIvEENS9_8equal_toIvEEsEE10hipError_tPvRmT2_T3_T4_T5_mT6_T7_P12ihipStream_tbENKUlT_T0_E_clISt17integral_constantIbLb1EES11_EEDaSW_SX_EUlSW_E_NS1_11comp_targetILNS1_3genE9ELNS1_11target_archE1100ELNS1_3gpuE3ELNS1_3repE0EEENS1_30default_config_static_selectorELNS0_4arch9wavefront6targetE1EEEvT1_, .Lfunc_end1623-_ZN7rocprim17ROCPRIM_400000_NS6detail17trampoline_kernelINS0_14default_configENS1_27scan_by_key_config_selectorIisEEZZNS1_16scan_by_key_implILNS1_25lookback_scan_determinismE0ELb1ES3_N6thrust23THRUST_200600_302600_NS6detail15normal_iteratorINS9_10device_ptrIiEEEENSB_INSC_IsEEEESG_sNS9_4plusIvEENS9_8equal_toIvEEsEE10hipError_tPvRmT2_T3_T4_T5_mT6_T7_P12ihipStream_tbENKUlT_T0_E_clISt17integral_constantIbLb1EES11_EEDaSW_SX_EUlSW_E_NS1_11comp_targetILNS1_3genE9ELNS1_11target_archE1100ELNS1_3gpuE3ELNS1_3repE0EEENS1_30default_config_static_selectorELNS0_4arch9wavefront6targetE1EEEvT1_
                                        ; -- End function
	.section	.AMDGPU.csdata,"",@progbits
; Kernel info:
; codeLenInByte = 0
; NumSgprs: 4
; NumVgprs: 0
; NumAgprs: 0
; TotalNumVgprs: 0
; ScratchSize: 0
; MemoryBound: 0
; FloatMode: 240
; IeeeMode: 1
; LDSByteSize: 0 bytes/workgroup (compile time only)
; SGPRBlocks: 0
; VGPRBlocks: 0
; NumSGPRsForWavesPerEU: 4
; NumVGPRsForWavesPerEU: 1
; AccumOffset: 4
; Occupancy: 8
; WaveLimiterHint : 0
; COMPUTE_PGM_RSRC2:SCRATCH_EN: 0
; COMPUTE_PGM_RSRC2:USER_SGPR: 6
; COMPUTE_PGM_RSRC2:TRAP_HANDLER: 0
; COMPUTE_PGM_RSRC2:TGID_X_EN: 1
; COMPUTE_PGM_RSRC2:TGID_Y_EN: 0
; COMPUTE_PGM_RSRC2:TGID_Z_EN: 0
; COMPUTE_PGM_RSRC2:TIDIG_COMP_CNT: 0
; COMPUTE_PGM_RSRC3_GFX90A:ACCUM_OFFSET: 0
; COMPUTE_PGM_RSRC3_GFX90A:TG_SPLIT: 0
	.section	.text._ZN7rocprim17ROCPRIM_400000_NS6detail17trampoline_kernelINS0_14default_configENS1_27scan_by_key_config_selectorIisEEZZNS1_16scan_by_key_implILNS1_25lookback_scan_determinismE0ELb1ES3_N6thrust23THRUST_200600_302600_NS6detail15normal_iteratorINS9_10device_ptrIiEEEENSB_INSC_IsEEEESG_sNS9_4plusIvEENS9_8equal_toIvEEsEE10hipError_tPvRmT2_T3_T4_T5_mT6_T7_P12ihipStream_tbENKUlT_T0_E_clISt17integral_constantIbLb1EES11_EEDaSW_SX_EUlSW_E_NS1_11comp_targetILNS1_3genE8ELNS1_11target_archE1030ELNS1_3gpuE2ELNS1_3repE0EEENS1_30default_config_static_selectorELNS0_4arch9wavefront6targetE1EEEvT1_,"axG",@progbits,_ZN7rocprim17ROCPRIM_400000_NS6detail17trampoline_kernelINS0_14default_configENS1_27scan_by_key_config_selectorIisEEZZNS1_16scan_by_key_implILNS1_25lookback_scan_determinismE0ELb1ES3_N6thrust23THRUST_200600_302600_NS6detail15normal_iteratorINS9_10device_ptrIiEEEENSB_INSC_IsEEEESG_sNS9_4plusIvEENS9_8equal_toIvEEsEE10hipError_tPvRmT2_T3_T4_T5_mT6_T7_P12ihipStream_tbENKUlT_T0_E_clISt17integral_constantIbLb1EES11_EEDaSW_SX_EUlSW_E_NS1_11comp_targetILNS1_3genE8ELNS1_11target_archE1030ELNS1_3gpuE2ELNS1_3repE0EEENS1_30default_config_static_selectorELNS0_4arch9wavefront6targetE1EEEvT1_,comdat
	.protected	_ZN7rocprim17ROCPRIM_400000_NS6detail17trampoline_kernelINS0_14default_configENS1_27scan_by_key_config_selectorIisEEZZNS1_16scan_by_key_implILNS1_25lookback_scan_determinismE0ELb1ES3_N6thrust23THRUST_200600_302600_NS6detail15normal_iteratorINS9_10device_ptrIiEEEENSB_INSC_IsEEEESG_sNS9_4plusIvEENS9_8equal_toIvEEsEE10hipError_tPvRmT2_T3_T4_T5_mT6_T7_P12ihipStream_tbENKUlT_T0_E_clISt17integral_constantIbLb1EES11_EEDaSW_SX_EUlSW_E_NS1_11comp_targetILNS1_3genE8ELNS1_11target_archE1030ELNS1_3gpuE2ELNS1_3repE0EEENS1_30default_config_static_selectorELNS0_4arch9wavefront6targetE1EEEvT1_ ; -- Begin function _ZN7rocprim17ROCPRIM_400000_NS6detail17trampoline_kernelINS0_14default_configENS1_27scan_by_key_config_selectorIisEEZZNS1_16scan_by_key_implILNS1_25lookback_scan_determinismE0ELb1ES3_N6thrust23THRUST_200600_302600_NS6detail15normal_iteratorINS9_10device_ptrIiEEEENSB_INSC_IsEEEESG_sNS9_4plusIvEENS9_8equal_toIvEEsEE10hipError_tPvRmT2_T3_T4_T5_mT6_T7_P12ihipStream_tbENKUlT_T0_E_clISt17integral_constantIbLb1EES11_EEDaSW_SX_EUlSW_E_NS1_11comp_targetILNS1_3genE8ELNS1_11target_archE1030ELNS1_3gpuE2ELNS1_3repE0EEENS1_30default_config_static_selectorELNS0_4arch9wavefront6targetE1EEEvT1_
	.globl	_ZN7rocprim17ROCPRIM_400000_NS6detail17trampoline_kernelINS0_14default_configENS1_27scan_by_key_config_selectorIisEEZZNS1_16scan_by_key_implILNS1_25lookback_scan_determinismE0ELb1ES3_N6thrust23THRUST_200600_302600_NS6detail15normal_iteratorINS9_10device_ptrIiEEEENSB_INSC_IsEEEESG_sNS9_4plusIvEENS9_8equal_toIvEEsEE10hipError_tPvRmT2_T3_T4_T5_mT6_T7_P12ihipStream_tbENKUlT_T0_E_clISt17integral_constantIbLb1EES11_EEDaSW_SX_EUlSW_E_NS1_11comp_targetILNS1_3genE8ELNS1_11target_archE1030ELNS1_3gpuE2ELNS1_3repE0EEENS1_30default_config_static_selectorELNS0_4arch9wavefront6targetE1EEEvT1_
	.p2align	8
	.type	_ZN7rocprim17ROCPRIM_400000_NS6detail17trampoline_kernelINS0_14default_configENS1_27scan_by_key_config_selectorIisEEZZNS1_16scan_by_key_implILNS1_25lookback_scan_determinismE0ELb1ES3_N6thrust23THRUST_200600_302600_NS6detail15normal_iteratorINS9_10device_ptrIiEEEENSB_INSC_IsEEEESG_sNS9_4plusIvEENS9_8equal_toIvEEsEE10hipError_tPvRmT2_T3_T4_T5_mT6_T7_P12ihipStream_tbENKUlT_T0_E_clISt17integral_constantIbLb1EES11_EEDaSW_SX_EUlSW_E_NS1_11comp_targetILNS1_3genE8ELNS1_11target_archE1030ELNS1_3gpuE2ELNS1_3repE0EEENS1_30default_config_static_selectorELNS0_4arch9wavefront6targetE1EEEvT1_,@function
_ZN7rocprim17ROCPRIM_400000_NS6detail17trampoline_kernelINS0_14default_configENS1_27scan_by_key_config_selectorIisEEZZNS1_16scan_by_key_implILNS1_25lookback_scan_determinismE0ELb1ES3_N6thrust23THRUST_200600_302600_NS6detail15normal_iteratorINS9_10device_ptrIiEEEENSB_INSC_IsEEEESG_sNS9_4plusIvEENS9_8equal_toIvEEsEE10hipError_tPvRmT2_T3_T4_T5_mT6_T7_P12ihipStream_tbENKUlT_T0_E_clISt17integral_constantIbLb1EES11_EEDaSW_SX_EUlSW_E_NS1_11comp_targetILNS1_3genE8ELNS1_11target_archE1030ELNS1_3gpuE2ELNS1_3repE0EEENS1_30default_config_static_selectorELNS0_4arch9wavefront6targetE1EEEvT1_: ; @_ZN7rocprim17ROCPRIM_400000_NS6detail17trampoline_kernelINS0_14default_configENS1_27scan_by_key_config_selectorIisEEZZNS1_16scan_by_key_implILNS1_25lookback_scan_determinismE0ELb1ES3_N6thrust23THRUST_200600_302600_NS6detail15normal_iteratorINS9_10device_ptrIiEEEENSB_INSC_IsEEEESG_sNS9_4plusIvEENS9_8equal_toIvEEsEE10hipError_tPvRmT2_T3_T4_T5_mT6_T7_P12ihipStream_tbENKUlT_T0_E_clISt17integral_constantIbLb1EES11_EEDaSW_SX_EUlSW_E_NS1_11comp_targetILNS1_3genE8ELNS1_11target_archE1030ELNS1_3gpuE2ELNS1_3repE0EEENS1_30default_config_static_selectorELNS0_4arch9wavefront6targetE1EEEvT1_
; %bb.0:
	.section	.rodata,"a",@progbits
	.p2align	6, 0x0
	.amdhsa_kernel _ZN7rocprim17ROCPRIM_400000_NS6detail17trampoline_kernelINS0_14default_configENS1_27scan_by_key_config_selectorIisEEZZNS1_16scan_by_key_implILNS1_25lookback_scan_determinismE0ELb1ES3_N6thrust23THRUST_200600_302600_NS6detail15normal_iteratorINS9_10device_ptrIiEEEENSB_INSC_IsEEEESG_sNS9_4plusIvEENS9_8equal_toIvEEsEE10hipError_tPvRmT2_T3_T4_T5_mT6_T7_P12ihipStream_tbENKUlT_T0_E_clISt17integral_constantIbLb1EES11_EEDaSW_SX_EUlSW_E_NS1_11comp_targetILNS1_3genE8ELNS1_11target_archE1030ELNS1_3gpuE2ELNS1_3repE0EEENS1_30default_config_static_selectorELNS0_4arch9wavefront6targetE1EEEvT1_
		.amdhsa_group_segment_fixed_size 0
		.amdhsa_private_segment_fixed_size 0
		.amdhsa_kernarg_size 112
		.amdhsa_user_sgpr_count 6
		.amdhsa_user_sgpr_private_segment_buffer 1
		.amdhsa_user_sgpr_dispatch_ptr 0
		.amdhsa_user_sgpr_queue_ptr 0
		.amdhsa_user_sgpr_kernarg_segment_ptr 1
		.amdhsa_user_sgpr_dispatch_id 0
		.amdhsa_user_sgpr_flat_scratch_init 0
		.amdhsa_user_sgpr_kernarg_preload_length 0
		.amdhsa_user_sgpr_kernarg_preload_offset 0
		.amdhsa_user_sgpr_private_segment_size 0
		.amdhsa_uses_dynamic_stack 0
		.amdhsa_system_sgpr_private_segment_wavefront_offset 0
		.amdhsa_system_sgpr_workgroup_id_x 1
		.amdhsa_system_sgpr_workgroup_id_y 0
		.amdhsa_system_sgpr_workgroup_id_z 0
		.amdhsa_system_sgpr_workgroup_info 0
		.amdhsa_system_vgpr_workitem_id 0
		.amdhsa_next_free_vgpr 1
		.amdhsa_next_free_sgpr 0
		.amdhsa_accum_offset 4
		.amdhsa_reserve_vcc 0
		.amdhsa_reserve_flat_scratch 0
		.amdhsa_float_round_mode_32 0
		.amdhsa_float_round_mode_16_64 0
		.amdhsa_float_denorm_mode_32 3
		.amdhsa_float_denorm_mode_16_64 3
		.amdhsa_dx10_clamp 1
		.amdhsa_ieee_mode 1
		.amdhsa_fp16_overflow 0
		.amdhsa_tg_split 0
		.amdhsa_exception_fp_ieee_invalid_op 0
		.amdhsa_exception_fp_denorm_src 0
		.amdhsa_exception_fp_ieee_div_zero 0
		.amdhsa_exception_fp_ieee_overflow 0
		.amdhsa_exception_fp_ieee_underflow 0
		.amdhsa_exception_fp_ieee_inexact 0
		.amdhsa_exception_int_div_zero 0
	.end_amdhsa_kernel
	.section	.text._ZN7rocprim17ROCPRIM_400000_NS6detail17trampoline_kernelINS0_14default_configENS1_27scan_by_key_config_selectorIisEEZZNS1_16scan_by_key_implILNS1_25lookback_scan_determinismE0ELb1ES3_N6thrust23THRUST_200600_302600_NS6detail15normal_iteratorINS9_10device_ptrIiEEEENSB_INSC_IsEEEESG_sNS9_4plusIvEENS9_8equal_toIvEEsEE10hipError_tPvRmT2_T3_T4_T5_mT6_T7_P12ihipStream_tbENKUlT_T0_E_clISt17integral_constantIbLb1EES11_EEDaSW_SX_EUlSW_E_NS1_11comp_targetILNS1_3genE8ELNS1_11target_archE1030ELNS1_3gpuE2ELNS1_3repE0EEENS1_30default_config_static_selectorELNS0_4arch9wavefront6targetE1EEEvT1_,"axG",@progbits,_ZN7rocprim17ROCPRIM_400000_NS6detail17trampoline_kernelINS0_14default_configENS1_27scan_by_key_config_selectorIisEEZZNS1_16scan_by_key_implILNS1_25lookback_scan_determinismE0ELb1ES3_N6thrust23THRUST_200600_302600_NS6detail15normal_iteratorINS9_10device_ptrIiEEEENSB_INSC_IsEEEESG_sNS9_4plusIvEENS9_8equal_toIvEEsEE10hipError_tPvRmT2_T3_T4_T5_mT6_T7_P12ihipStream_tbENKUlT_T0_E_clISt17integral_constantIbLb1EES11_EEDaSW_SX_EUlSW_E_NS1_11comp_targetILNS1_3genE8ELNS1_11target_archE1030ELNS1_3gpuE2ELNS1_3repE0EEENS1_30default_config_static_selectorELNS0_4arch9wavefront6targetE1EEEvT1_,comdat
.Lfunc_end1624:
	.size	_ZN7rocprim17ROCPRIM_400000_NS6detail17trampoline_kernelINS0_14default_configENS1_27scan_by_key_config_selectorIisEEZZNS1_16scan_by_key_implILNS1_25lookback_scan_determinismE0ELb1ES3_N6thrust23THRUST_200600_302600_NS6detail15normal_iteratorINS9_10device_ptrIiEEEENSB_INSC_IsEEEESG_sNS9_4plusIvEENS9_8equal_toIvEEsEE10hipError_tPvRmT2_T3_T4_T5_mT6_T7_P12ihipStream_tbENKUlT_T0_E_clISt17integral_constantIbLb1EES11_EEDaSW_SX_EUlSW_E_NS1_11comp_targetILNS1_3genE8ELNS1_11target_archE1030ELNS1_3gpuE2ELNS1_3repE0EEENS1_30default_config_static_selectorELNS0_4arch9wavefront6targetE1EEEvT1_, .Lfunc_end1624-_ZN7rocprim17ROCPRIM_400000_NS6detail17trampoline_kernelINS0_14default_configENS1_27scan_by_key_config_selectorIisEEZZNS1_16scan_by_key_implILNS1_25lookback_scan_determinismE0ELb1ES3_N6thrust23THRUST_200600_302600_NS6detail15normal_iteratorINS9_10device_ptrIiEEEENSB_INSC_IsEEEESG_sNS9_4plusIvEENS9_8equal_toIvEEsEE10hipError_tPvRmT2_T3_T4_T5_mT6_T7_P12ihipStream_tbENKUlT_T0_E_clISt17integral_constantIbLb1EES11_EEDaSW_SX_EUlSW_E_NS1_11comp_targetILNS1_3genE8ELNS1_11target_archE1030ELNS1_3gpuE2ELNS1_3repE0EEENS1_30default_config_static_selectorELNS0_4arch9wavefront6targetE1EEEvT1_
                                        ; -- End function
	.section	.AMDGPU.csdata,"",@progbits
; Kernel info:
; codeLenInByte = 0
; NumSgprs: 4
; NumVgprs: 0
; NumAgprs: 0
; TotalNumVgprs: 0
; ScratchSize: 0
; MemoryBound: 0
; FloatMode: 240
; IeeeMode: 1
; LDSByteSize: 0 bytes/workgroup (compile time only)
; SGPRBlocks: 0
; VGPRBlocks: 0
; NumSGPRsForWavesPerEU: 4
; NumVGPRsForWavesPerEU: 1
; AccumOffset: 4
; Occupancy: 8
; WaveLimiterHint : 0
; COMPUTE_PGM_RSRC2:SCRATCH_EN: 0
; COMPUTE_PGM_RSRC2:USER_SGPR: 6
; COMPUTE_PGM_RSRC2:TRAP_HANDLER: 0
; COMPUTE_PGM_RSRC2:TGID_X_EN: 1
; COMPUTE_PGM_RSRC2:TGID_Y_EN: 0
; COMPUTE_PGM_RSRC2:TGID_Z_EN: 0
; COMPUTE_PGM_RSRC2:TIDIG_COMP_CNT: 0
; COMPUTE_PGM_RSRC3_GFX90A:ACCUM_OFFSET: 0
; COMPUTE_PGM_RSRC3_GFX90A:TG_SPLIT: 0
	.section	.text._ZN7rocprim17ROCPRIM_400000_NS6detail17trampoline_kernelINS0_14default_configENS1_27scan_by_key_config_selectorIisEEZZNS1_16scan_by_key_implILNS1_25lookback_scan_determinismE0ELb1ES3_N6thrust23THRUST_200600_302600_NS6detail15normal_iteratorINS9_10device_ptrIiEEEENSB_INSC_IsEEEESG_sNS9_4plusIvEENS9_8equal_toIvEEsEE10hipError_tPvRmT2_T3_T4_T5_mT6_T7_P12ihipStream_tbENKUlT_T0_E_clISt17integral_constantIbLb1EES10_IbLb0EEEEDaSW_SX_EUlSW_E_NS1_11comp_targetILNS1_3genE0ELNS1_11target_archE4294967295ELNS1_3gpuE0ELNS1_3repE0EEENS1_30default_config_static_selectorELNS0_4arch9wavefront6targetE1EEEvT1_,"axG",@progbits,_ZN7rocprim17ROCPRIM_400000_NS6detail17trampoline_kernelINS0_14default_configENS1_27scan_by_key_config_selectorIisEEZZNS1_16scan_by_key_implILNS1_25lookback_scan_determinismE0ELb1ES3_N6thrust23THRUST_200600_302600_NS6detail15normal_iteratorINS9_10device_ptrIiEEEENSB_INSC_IsEEEESG_sNS9_4plusIvEENS9_8equal_toIvEEsEE10hipError_tPvRmT2_T3_T4_T5_mT6_T7_P12ihipStream_tbENKUlT_T0_E_clISt17integral_constantIbLb1EES10_IbLb0EEEEDaSW_SX_EUlSW_E_NS1_11comp_targetILNS1_3genE0ELNS1_11target_archE4294967295ELNS1_3gpuE0ELNS1_3repE0EEENS1_30default_config_static_selectorELNS0_4arch9wavefront6targetE1EEEvT1_,comdat
	.protected	_ZN7rocprim17ROCPRIM_400000_NS6detail17trampoline_kernelINS0_14default_configENS1_27scan_by_key_config_selectorIisEEZZNS1_16scan_by_key_implILNS1_25lookback_scan_determinismE0ELb1ES3_N6thrust23THRUST_200600_302600_NS6detail15normal_iteratorINS9_10device_ptrIiEEEENSB_INSC_IsEEEESG_sNS9_4plusIvEENS9_8equal_toIvEEsEE10hipError_tPvRmT2_T3_T4_T5_mT6_T7_P12ihipStream_tbENKUlT_T0_E_clISt17integral_constantIbLb1EES10_IbLb0EEEEDaSW_SX_EUlSW_E_NS1_11comp_targetILNS1_3genE0ELNS1_11target_archE4294967295ELNS1_3gpuE0ELNS1_3repE0EEENS1_30default_config_static_selectorELNS0_4arch9wavefront6targetE1EEEvT1_ ; -- Begin function _ZN7rocprim17ROCPRIM_400000_NS6detail17trampoline_kernelINS0_14default_configENS1_27scan_by_key_config_selectorIisEEZZNS1_16scan_by_key_implILNS1_25lookback_scan_determinismE0ELb1ES3_N6thrust23THRUST_200600_302600_NS6detail15normal_iteratorINS9_10device_ptrIiEEEENSB_INSC_IsEEEESG_sNS9_4plusIvEENS9_8equal_toIvEEsEE10hipError_tPvRmT2_T3_T4_T5_mT6_T7_P12ihipStream_tbENKUlT_T0_E_clISt17integral_constantIbLb1EES10_IbLb0EEEEDaSW_SX_EUlSW_E_NS1_11comp_targetILNS1_3genE0ELNS1_11target_archE4294967295ELNS1_3gpuE0ELNS1_3repE0EEENS1_30default_config_static_selectorELNS0_4arch9wavefront6targetE1EEEvT1_
	.globl	_ZN7rocprim17ROCPRIM_400000_NS6detail17trampoline_kernelINS0_14default_configENS1_27scan_by_key_config_selectorIisEEZZNS1_16scan_by_key_implILNS1_25lookback_scan_determinismE0ELb1ES3_N6thrust23THRUST_200600_302600_NS6detail15normal_iteratorINS9_10device_ptrIiEEEENSB_INSC_IsEEEESG_sNS9_4plusIvEENS9_8equal_toIvEEsEE10hipError_tPvRmT2_T3_T4_T5_mT6_T7_P12ihipStream_tbENKUlT_T0_E_clISt17integral_constantIbLb1EES10_IbLb0EEEEDaSW_SX_EUlSW_E_NS1_11comp_targetILNS1_3genE0ELNS1_11target_archE4294967295ELNS1_3gpuE0ELNS1_3repE0EEENS1_30default_config_static_selectorELNS0_4arch9wavefront6targetE1EEEvT1_
	.p2align	8
	.type	_ZN7rocprim17ROCPRIM_400000_NS6detail17trampoline_kernelINS0_14default_configENS1_27scan_by_key_config_selectorIisEEZZNS1_16scan_by_key_implILNS1_25lookback_scan_determinismE0ELb1ES3_N6thrust23THRUST_200600_302600_NS6detail15normal_iteratorINS9_10device_ptrIiEEEENSB_INSC_IsEEEESG_sNS9_4plusIvEENS9_8equal_toIvEEsEE10hipError_tPvRmT2_T3_T4_T5_mT6_T7_P12ihipStream_tbENKUlT_T0_E_clISt17integral_constantIbLb1EES10_IbLb0EEEEDaSW_SX_EUlSW_E_NS1_11comp_targetILNS1_3genE0ELNS1_11target_archE4294967295ELNS1_3gpuE0ELNS1_3repE0EEENS1_30default_config_static_selectorELNS0_4arch9wavefront6targetE1EEEvT1_,@function
_ZN7rocprim17ROCPRIM_400000_NS6detail17trampoline_kernelINS0_14default_configENS1_27scan_by_key_config_selectorIisEEZZNS1_16scan_by_key_implILNS1_25lookback_scan_determinismE0ELb1ES3_N6thrust23THRUST_200600_302600_NS6detail15normal_iteratorINS9_10device_ptrIiEEEENSB_INSC_IsEEEESG_sNS9_4plusIvEENS9_8equal_toIvEEsEE10hipError_tPvRmT2_T3_T4_T5_mT6_T7_P12ihipStream_tbENKUlT_T0_E_clISt17integral_constantIbLb1EES10_IbLb0EEEEDaSW_SX_EUlSW_E_NS1_11comp_targetILNS1_3genE0ELNS1_11target_archE4294967295ELNS1_3gpuE0ELNS1_3repE0EEENS1_30default_config_static_selectorELNS0_4arch9wavefront6targetE1EEEvT1_: ; @_ZN7rocprim17ROCPRIM_400000_NS6detail17trampoline_kernelINS0_14default_configENS1_27scan_by_key_config_selectorIisEEZZNS1_16scan_by_key_implILNS1_25lookback_scan_determinismE0ELb1ES3_N6thrust23THRUST_200600_302600_NS6detail15normal_iteratorINS9_10device_ptrIiEEEENSB_INSC_IsEEEESG_sNS9_4plusIvEENS9_8equal_toIvEEsEE10hipError_tPvRmT2_T3_T4_T5_mT6_T7_P12ihipStream_tbENKUlT_T0_E_clISt17integral_constantIbLb1EES10_IbLb0EEEEDaSW_SX_EUlSW_E_NS1_11comp_targetILNS1_3genE0ELNS1_11target_archE4294967295ELNS1_3gpuE0ELNS1_3repE0EEENS1_30default_config_static_selectorELNS0_4arch9wavefront6targetE1EEEvT1_
; %bb.0:
	.section	.rodata,"a",@progbits
	.p2align	6, 0x0
	.amdhsa_kernel _ZN7rocprim17ROCPRIM_400000_NS6detail17trampoline_kernelINS0_14default_configENS1_27scan_by_key_config_selectorIisEEZZNS1_16scan_by_key_implILNS1_25lookback_scan_determinismE0ELb1ES3_N6thrust23THRUST_200600_302600_NS6detail15normal_iteratorINS9_10device_ptrIiEEEENSB_INSC_IsEEEESG_sNS9_4plusIvEENS9_8equal_toIvEEsEE10hipError_tPvRmT2_T3_T4_T5_mT6_T7_P12ihipStream_tbENKUlT_T0_E_clISt17integral_constantIbLb1EES10_IbLb0EEEEDaSW_SX_EUlSW_E_NS1_11comp_targetILNS1_3genE0ELNS1_11target_archE4294967295ELNS1_3gpuE0ELNS1_3repE0EEENS1_30default_config_static_selectorELNS0_4arch9wavefront6targetE1EEEvT1_
		.amdhsa_group_segment_fixed_size 0
		.amdhsa_private_segment_fixed_size 0
		.amdhsa_kernarg_size 112
		.amdhsa_user_sgpr_count 6
		.amdhsa_user_sgpr_private_segment_buffer 1
		.amdhsa_user_sgpr_dispatch_ptr 0
		.amdhsa_user_sgpr_queue_ptr 0
		.amdhsa_user_sgpr_kernarg_segment_ptr 1
		.amdhsa_user_sgpr_dispatch_id 0
		.amdhsa_user_sgpr_flat_scratch_init 0
		.amdhsa_user_sgpr_kernarg_preload_length 0
		.amdhsa_user_sgpr_kernarg_preload_offset 0
		.amdhsa_user_sgpr_private_segment_size 0
		.amdhsa_uses_dynamic_stack 0
		.amdhsa_system_sgpr_private_segment_wavefront_offset 0
		.amdhsa_system_sgpr_workgroup_id_x 1
		.amdhsa_system_sgpr_workgroup_id_y 0
		.amdhsa_system_sgpr_workgroup_id_z 0
		.amdhsa_system_sgpr_workgroup_info 0
		.amdhsa_system_vgpr_workitem_id 0
		.amdhsa_next_free_vgpr 1
		.amdhsa_next_free_sgpr 0
		.amdhsa_accum_offset 4
		.amdhsa_reserve_vcc 0
		.amdhsa_reserve_flat_scratch 0
		.amdhsa_float_round_mode_32 0
		.amdhsa_float_round_mode_16_64 0
		.amdhsa_float_denorm_mode_32 3
		.amdhsa_float_denorm_mode_16_64 3
		.amdhsa_dx10_clamp 1
		.amdhsa_ieee_mode 1
		.amdhsa_fp16_overflow 0
		.amdhsa_tg_split 0
		.amdhsa_exception_fp_ieee_invalid_op 0
		.amdhsa_exception_fp_denorm_src 0
		.amdhsa_exception_fp_ieee_div_zero 0
		.amdhsa_exception_fp_ieee_overflow 0
		.amdhsa_exception_fp_ieee_underflow 0
		.amdhsa_exception_fp_ieee_inexact 0
		.amdhsa_exception_int_div_zero 0
	.end_amdhsa_kernel
	.section	.text._ZN7rocprim17ROCPRIM_400000_NS6detail17trampoline_kernelINS0_14default_configENS1_27scan_by_key_config_selectorIisEEZZNS1_16scan_by_key_implILNS1_25lookback_scan_determinismE0ELb1ES3_N6thrust23THRUST_200600_302600_NS6detail15normal_iteratorINS9_10device_ptrIiEEEENSB_INSC_IsEEEESG_sNS9_4plusIvEENS9_8equal_toIvEEsEE10hipError_tPvRmT2_T3_T4_T5_mT6_T7_P12ihipStream_tbENKUlT_T0_E_clISt17integral_constantIbLb1EES10_IbLb0EEEEDaSW_SX_EUlSW_E_NS1_11comp_targetILNS1_3genE0ELNS1_11target_archE4294967295ELNS1_3gpuE0ELNS1_3repE0EEENS1_30default_config_static_selectorELNS0_4arch9wavefront6targetE1EEEvT1_,"axG",@progbits,_ZN7rocprim17ROCPRIM_400000_NS6detail17trampoline_kernelINS0_14default_configENS1_27scan_by_key_config_selectorIisEEZZNS1_16scan_by_key_implILNS1_25lookback_scan_determinismE0ELb1ES3_N6thrust23THRUST_200600_302600_NS6detail15normal_iteratorINS9_10device_ptrIiEEEENSB_INSC_IsEEEESG_sNS9_4plusIvEENS9_8equal_toIvEEsEE10hipError_tPvRmT2_T3_T4_T5_mT6_T7_P12ihipStream_tbENKUlT_T0_E_clISt17integral_constantIbLb1EES10_IbLb0EEEEDaSW_SX_EUlSW_E_NS1_11comp_targetILNS1_3genE0ELNS1_11target_archE4294967295ELNS1_3gpuE0ELNS1_3repE0EEENS1_30default_config_static_selectorELNS0_4arch9wavefront6targetE1EEEvT1_,comdat
.Lfunc_end1625:
	.size	_ZN7rocprim17ROCPRIM_400000_NS6detail17trampoline_kernelINS0_14default_configENS1_27scan_by_key_config_selectorIisEEZZNS1_16scan_by_key_implILNS1_25lookback_scan_determinismE0ELb1ES3_N6thrust23THRUST_200600_302600_NS6detail15normal_iteratorINS9_10device_ptrIiEEEENSB_INSC_IsEEEESG_sNS9_4plusIvEENS9_8equal_toIvEEsEE10hipError_tPvRmT2_T3_T4_T5_mT6_T7_P12ihipStream_tbENKUlT_T0_E_clISt17integral_constantIbLb1EES10_IbLb0EEEEDaSW_SX_EUlSW_E_NS1_11comp_targetILNS1_3genE0ELNS1_11target_archE4294967295ELNS1_3gpuE0ELNS1_3repE0EEENS1_30default_config_static_selectorELNS0_4arch9wavefront6targetE1EEEvT1_, .Lfunc_end1625-_ZN7rocprim17ROCPRIM_400000_NS6detail17trampoline_kernelINS0_14default_configENS1_27scan_by_key_config_selectorIisEEZZNS1_16scan_by_key_implILNS1_25lookback_scan_determinismE0ELb1ES3_N6thrust23THRUST_200600_302600_NS6detail15normal_iteratorINS9_10device_ptrIiEEEENSB_INSC_IsEEEESG_sNS9_4plusIvEENS9_8equal_toIvEEsEE10hipError_tPvRmT2_T3_T4_T5_mT6_T7_P12ihipStream_tbENKUlT_T0_E_clISt17integral_constantIbLb1EES10_IbLb0EEEEDaSW_SX_EUlSW_E_NS1_11comp_targetILNS1_3genE0ELNS1_11target_archE4294967295ELNS1_3gpuE0ELNS1_3repE0EEENS1_30default_config_static_selectorELNS0_4arch9wavefront6targetE1EEEvT1_
                                        ; -- End function
	.section	.AMDGPU.csdata,"",@progbits
; Kernel info:
; codeLenInByte = 0
; NumSgprs: 4
; NumVgprs: 0
; NumAgprs: 0
; TotalNumVgprs: 0
; ScratchSize: 0
; MemoryBound: 0
; FloatMode: 240
; IeeeMode: 1
; LDSByteSize: 0 bytes/workgroup (compile time only)
; SGPRBlocks: 0
; VGPRBlocks: 0
; NumSGPRsForWavesPerEU: 4
; NumVGPRsForWavesPerEU: 1
; AccumOffset: 4
; Occupancy: 8
; WaveLimiterHint : 0
; COMPUTE_PGM_RSRC2:SCRATCH_EN: 0
; COMPUTE_PGM_RSRC2:USER_SGPR: 6
; COMPUTE_PGM_RSRC2:TRAP_HANDLER: 0
; COMPUTE_PGM_RSRC2:TGID_X_EN: 1
; COMPUTE_PGM_RSRC2:TGID_Y_EN: 0
; COMPUTE_PGM_RSRC2:TGID_Z_EN: 0
; COMPUTE_PGM_RSRC2:TIDIG_COMP_CNT: 0
; COMPUTE_PGM_RSRC3_GFX90A:ACCUM_OFFSET: 0
; COMPUTE_PGM_RSRC3_GFX90A:TG_SPLIT: 0
	.section	.text._ZN7rocprim17ROCPRIM_400000_NS6detail17trampoline_kernelINS0_14default_configENS1_27scan_by_key_config_selectorIisEEZZNS1_16scan_by_key_implILNS1_25lookback_scan_determinismE0ELb1ES3_N6thrust23THRUST_200600_302600_NS6detail15normal_iteratorINS9_10device_ptrIiEEEENSB_INSC_IsEEEESG_sNS9_4plusIvEENS9_8equal_toIvEEsEE10hipError_tPvRmT2_T3_T4_T5_mT6_T7_P12ihipStream_tbENKUlT_T0_E_clISt17integral_constantIbLb1EES10_IbLb0EEEEDaSW_SX_EUlSW_E_NS1_11comp_targetILNS1_3genE10ELNS1_11target_archE1201ELNS1_3gpuE5ELNS1_3repE0EEENS1_30default_config_static_selectorELNS0_4arch9wavefront6targetE1EEEvT1_,"axG",@progbits,_ZN7rocprim17ROCPRIM_400000_NS6detail17trampoline_kernelINS0_14default_configENS1_27scan_by_key_config_selectorIisEEZZNS1_16scan_by_key_implILNS1_25lookback_scan_determinismE0ELb1ES3_N6thrust23THRUST_200600_302600_NS6detail15normal_iteratorINS9_10device_ptrIiEEEENSB_INSC_IsEEEESG_sNS9_4plusIvEENS9_8equal_toIvEEsEE10hipError_tPvRmT2_T3_T4_T5_mT6_T7_P12ihipStream_tbENKUlT_T0_E_clISt17integral_constantIbLb1EES10_IbLb0EEEEDaSW_SX_EUlSW_E_NS1_11comp_targetILNS1_3genE10ELNS1_11target_archE1201ELNS1_3gpuE5ELNS1_3repE0EEENS1_30default_config_static_selectorELNS0_4arch9wavefront6targetE1EEEvT1_,comdat
	.protected	_ZN7rocprim17ROCPRIM_400000_NS6detail17trampoline_kernelINS0_14default_configENS1_27scan_by_key_config_selectorIisEEZZNS1_16scan_by_key_implILNS1_25lookback_scan_determinismE0ELb1ES3_N6thrust23THRUST_200600_302600_NS6detail15normal_iteratorINS9_10device_ptrIiEEEENSB_INSC_IsEEEESG_sNS9_4plusIvEENS9_8equal_toIvEEsEE10hipError_tPvRmT2_T3_T4_T5_mT6_T7_P12ihipStream_tbENKUlT_T0_E_clISt17integral_constantIbLb1EES10_IbLb0EEEEDaSW_SX_EUlSW_E_NS1_11comp_targetILNS1_3genE10ELNS1_11target_archE1201ELNS1_3gpuE5ELNS1_3repE0EEENS1_30default_config_static_selectorELNS0_4arch9wavefront6targetE1EEEvT1_ ; -- Begin function _ZN7rocprim17ROCPRIM_400000_NS6detail17trampoline_kernelINS0_14default_configENS1_27scan_by_key_config_selectorIisEEZZNS1_16scan_by_key_implILNS1_25lookback_scan_determinismE0ELb1ES3_N6thrust23THRUST_200600_302600_NS6detail15normal_iteratorINS9_10device_ptrIiEEEENSB_INSC_IsEEEESG_sNS9_4plusIvEENS9_8equal_toIvEEsEE10hipError_tPvRmT2_T3_T4_T5_mT6_T7_P12ihipStream_tbENKUlT_T0_E_clISt17integral_constantIbLb1EES10_IbLb0EEEEDaSW_SX_EUlSW_E_NS1_11comp_targetILNS1_3genE10ELNS1_11target_archE1201ELNS1_3gpuE5ELNS1_3repE0EEENS1_30default_config_static_selectorELNS0_4arch9wavefront6targetE1EEEvT1_
	.globl	_ZN7rocprim17ROCPRIM_400000_NS6detail17trampoline_kernelINS0_14default_configENS1_27scan_by_key_config_selectorIisEEZZNS1_16scan_by_key_implILNS1_25lookback_scan_determinismE0ELb1ES3_N6thrust23THRUST_200600_302600_NS6detail15normal_iteratorINS9_10device_ptrIiEEEENSB_INSC_IsEEEESG_sNS9_4plusIvEENS9_8equal_toIvEEsEE10hipError_tPvRmT2_T3_T4_T5_mT6_T7_P12ihipStream_tbENKUlT_T0_E_clISt17integral_constantIbLb1EES10_IbLb0EEEEDaSW_SX_EUlSW_E_NS1_11comp_targetILNS1_3genE10ELNS1_11target_archE1201ELNS1_3gpuE5ELNS1_3repE0EEENS1_30default_config_static_selectorELNS0_4arch9wavefront6targetE1EEEvT1_
	.p2align	8
	.type	_ZN7rocprim17ROCPRIM_400000_NS6detail17trampoline_kernelINS0_14default_configENS1_27scan_by_key_config_selectorIisEEZZNS1_16scan_by_key_implILNS1_25lookback_scan_determinismE0ELb1ES3_N6thrust23THRUST_200600_302600_NS6detail15normal_iteratorINS9_10device_ptrIiEEEENSB_INSC_IsEEEESG_sNS9_4plusIvEENS9_8equal_toIvEEsEE10hipError_tPvRmT2_T3_T4_T5_mT6_T7_P12ihipStream_tbENKUlT_T0_E_clISt17integral_constantIbLb1EES10_IbLb0EEEEDaSW_SX_EUlSW_E_NS1_11comp_targetILNS1_3genE10ELNS1_11target_archE1201ELNS1_3gpuE5ELNS1_3repE0EEENS1_30default_config_static_selectorELNS0_4arch9wavefront6targetE1EEEvT1_,@function
_ZN7rocprim17ROCPRIM_400000_NS6detail17trampoline_kernelINS0_14default_configENS1_27scan_by_key_config_selectorIisEEZZNS1_16scan_by_key_implILNS1_25lookback_scan_determinismE0ELb1ES3_N6thrust23THRUST_200600_302600_NS6detail15normal_iteratorINS9_10device_ptrIiEEEENSB_INSC_IsEEEESG_sNS9_4plusIvEENS9_8equal_toIvEEsEE10hipError_tPvRmT2_T3_T4_T5_mT6_T7_P12ihipStream_tbENKUlT_T0_E_clISt17integral_constantIbLb1EES10_IbLb0EEEEDaSW_SX_EUlSW_E_NS1_11comp_targetILNS1_3genE10ELNS1_11target_archE1201ELNS1_3gpuE5ELNS1_3repE0EEENS1_30default_config_static_selectorELNS0_4arch9wavefront6targetE1EEEvT1_: ; @_ZN7rocprim17ROCPRIM_400000_NS6detail17trampoline_kernelINS0_14default_configENS1_27scan_by_key_config_selectorIisEEZZNS1_16scan_by_key_implILNS1_25lookback_scan_determinismE0ELb1ES3_N6thrust23THRUST_200600_302600_NS6detail15normal_iteratorINS9_10device_ptrIiEEEENSB_INSC_IsEEEESG_sNS9_4plusIvEENS9_8equal_toIvEEsEE10hipError_tPvRmT2_T3_T4_T5_mT6_T7_P12ihipStream_tbENKUlT_T0_E_clISt17integral_constantIbLb1EES10_IbLb0EEEEDaSW_SX_EUlSW_E_NS1_11comp_targetILNS1_3genE10ELNS1_11target_archE1201ELNS1_3gpuE5ELNS1_3repE0EEENS1_30default_config_static_selectorELNS0_4arch9wavefront6targetE1EEEvT1_
; %bb.0:
	.section	.rodata,"a",@progbits
	.p2align	6, 0x0
	.amdhsa_kernel _ZN7rocprim17ROCPRIM_400000_NS6detail17trampoline_kernelINS0_14default_configENS1_27scan_by_key_config_selectorIisEEZZNS1_16scan_by_key_implILNS1_25lookback_scan_determinismE0ELb1ES3_N6thrust23THRUST_200600_302600_NS6detail15normal_iteratorINS9_10device_ptrIiEEEENSB_INSC_IsEEEESG_sNS9_4plusIvEENS9_8equal_toIvEEsEE10hipError_tPvRmT2_T3_T4_T5_mT6_T7_P12ihipStream_tbENKUlT_T0_E_clISt17integral_constantIbLb1EES10_IbLb0EEEEDaSW_SX_EUlSW_E_NS1_11comp_targetILNS1_3genE10ELNS1_11target_archE1201ELNS1_3gpuE5ELNS1_3repE0EEENS1_30default_config_static_selectorELNS0_4arch9wavefront6targetE1EEEvT1_
		.amdhsa_group_segment_fixed_size 0
		.amdhsa_private_segment_fixed_size 0
		.amdhsa_kernarg_size 112
		.amdhsa_user_sgpr_count 6
		.amdhsa_user_sgpr_private_segment_buffer 1
		.amdhsa_user_sgpr_dispatch_ptr 0
		.amdhsa_user_sgpr_queue_ptr 0
		.amdhsa_user_sgpr_kernarg_segment_ptr 1
		.amdhsa_user_sgpr_dispatch_id 0
		.amdhsa_user_sgpr_flat_scratch_init 0
		.amdhsa_user_sgpr_kernarg_preload_length 0
		.amdhsa_user_sgpr_kernarg_preload_offset 0
		.amdhsa_user_sgpr_private_segment_size 0
		.amdhsa_uses_dynamic_stack 0
		.amdhsa_system_sgpr_private_segment_wavefront_offset 0
		.amdhsa_system_sgpr_workgroup_id_x 1
		.amdhsa_system_sgpr_workgroup_id_y 0
		.amdhsa_system_sgpr_workgroup_id_z 0
		.amdhsa_system_sgpr_workgroup_info 0
		.amdhsa_system_vgpr_workitem_id 0
		.amdhsa_next_free_vgpr 1
		.amdhsa_next_free_sgpr 0
		.amdhsa_accum_offset 4
		.amdhsa_reserve_vcc 0
		.amdhsa_reserve_flat_scratch 0
		.amdhsa_float_round_mode_32 0
		.amdhsa_float_round_mode_16_64 0
		.amdhsa_float_denorm_mode_32 3
		.amdhsa_float_denorm_mode_16_64 3
		.amdhsa_dx10_clamp 1
		.amdhsa_ieee_mode 1
		.amdhsa_fp16_overflow 0
		.amdhsa_tg_split 0
		.amdhsa_exception_fp_ieee_invalid_op 0
		.amdhsa_exception_fp_denorm_src 0
		.amdhsa_exception_fp_ieee_div_zero 0
		.amdhsa_exception_fp_ieee_overflow 0
		.amdhsa_exception_fp_ieee_underflow 0
		.amdhsa_exception_fp_ieee_inexact 0
		.amdhsa_exception_int_div_zero 0
	.end_amdhsa_kernel
	.section	.text._ZN7rocprim17ROCPRIM_400000_NS6detail17trampoline_kernelINS0_14default_configENS1_27scan_by_key_config_selectorIisEEZZNS1_16scan_by_key_implILNS1_25lookback_scan_determinismE0ELb1ES3_N6thrust23THRUST_200600_302600_NS6detail15normal_iteratorINS9_10device_ptrIiEEEENSB_INSC_IsEEEESG_sNS9_4plusIvEENS9_8equal_toIvEEsEE10hipError_tPvRmT2_T3_T4_T5_mT6_T7_P12ihipStream_tbENKUlT_T0_E_clISt17integral_constantIbLb1EES10_IbLb0EEEEDaSW_SX_EUlSW_E_NS1_11comp_targetILNS1_3genE10ELNS1_11target_archE1201ELNS1_3gpuE5ELNS1_3repE0EEENS1_30default_config_static_selectorELNS0_4arch9wavefront6targetE1EEEvT1_,"axG",@progbits,_ZN7rocprim17ROCPRIM_400000_NS6detail17trampoline_kernelINS0_14default_configENS1_27scan_by_key_config_selectorIisEEZZNS1_16scan_by_key_implILNS1_25lookback_scan_determinismE0ELb1ES3_N6thrust23THRUST_200600_302600_NS6detail15normal_iteratorINS9_10device_ptrIiEEEENSB_INSC_IsEEEESG_sNS9_4plusIvEENS9_8equal_toIvEEsEE10hipError_tPvRmT2_T3_T4_T5_mT6_T7_P12ihipStream_tbENKUlT_T0_E_clISt17integral_constantIbLb1EES10_IbLb0EEEEDaSW_SX_EUlSW_E_NS1_11comp_targetILNS1_3genE10ELNS1_11target_archE1201ELNS1_3gpuE5ELNS1_3repE0EEENS1_30default_config_static_selectorELNS0_4arch9wavefront6targetE1EEEvT1_,comdat
.Lfunc_end1626:
	.size	_ZN7rocprim17ROCPRIM_400000_NS6detail17trampoline_kernelINS0_14default_configENS1_27scan_by_key_config_selectorIisEEZZNS1_16scan_by_key_implILNS1_25lookback_scan_determinismE0ELb1ES3_N6thrust23THRUST_200600_302600_NS6detail15normal_iteratorINS9_10device_ptrIiEEEENSB_INSC_IsEEEESG_sNS9_4plusIvEENS9_8equal_toIvEEsEE10hipError_tPvRmT2_T3_T4_T5_mT6_T7_P12ihipStream_tbENKUlT_T0_E_clISt17integral_constantIbLb1EES10_IbLb0EEEEDaSW_SX_EUlSW_E_NS1_11comp_targetILNS1_3genE10ELNS1_11target_archE1201ELNS1_3gpuE5ELNS1_3repE0EEENS1_30default_config_static_selectorELNS0_4arch9wavefront6targetE1EEEvT1_, .Lfunc_end1626-_ZN7rocprim17ROCPRIM_400000_NS6detail17trampoline_kernelINS0_14default_configENS1_27scan_by_key_config_selectorIisEEZZNS1_16scan_by_key_implILNS1_25lookback_scan_determinismE0ELb1ES3_N6thrust23THRUST_200600_302600_NS6detail15normal_iteratorINS9_10device_ptrIiEEEENSB_INSC_IsEEEESG_sNS9_4plusIvEENS9_8equal_toIvEEsEE10hipError_tPvRmT2_T3_T4_T5_mT6_T7_P12ihipStream_tbENKUlT_T0_E_clISt17integral_constantIbLb1EES10_IbLb0EEEEDaSW_SX_EUlSW_E_NS1_11comp_targetILNS1_3genE10ELNS1_11target_archE1201ELNS1_3gpuE5ELNS1_3repE0EEENS1_30default_config_static_selectorELNS0_4arch9wavefront6targetE1EEEvT1_
                                        ; -- End function
	.section	.AMDGPU.csdata,"",@progbits
; Kernel info:
; codeLenInByte = 0
; NumSgprs: 4
; NumVgprs: 0
; NumAgprs: 0
; TotalNumVgprs: 0
; ScratchSize: 0
; MemoryBound: 0
; FloatMode: 240
; IeeeMode: 1
; LDSByteSize: 0 bytes/workgroup (compile time only)
; SGPRBlocks: 0
; VGPRBlocks: 0
; NumSGPRsForWavesPerEU: 4
; NumVGPRsForWavesPerEU: 1
; AccumOffset: 4
; Occupancy: 8
; WaveLimiterHint : 0
; COMPUTE_PGM_RSRC2:SCRATCH_EN: 0
; COMPUTE_PGM_RSRC2:USER_SGPR: 6
; COMPUTE_PGM_RSRC2:TRAP_HANDLER: 0
; COMPUTE_PGM_RSRC2:TGID_X_EN: 1
; COMPUTE_PGM_RSRC2:TGID_Y_EN: 0
; COMPUTE_PGM_RSRC2:TGID_Z_EN: 0
; COMPUTE_PGM_RSRC2:TIDIG_COMP_CNT: 0
; COMPUTE_PGM_RSRC3_GFX90A:ACCUM_OFFSET: 0
; COMPUTE_PGM_RSRC3_GFX90A:TG_SPLIT: 0
	.section	.text._ZN7rocprim17ROCPRIM_400000_NS6detail17trampoline_kernelINS0_14default_configENS1_27scan_by_key_config_selectorIisEEZZNS1_16scan_by_key_implILNS1_25lookback_scan_determinismE0ELb1ES3_N6thrust23THRUST_200600_302600_NS6detail15normal_iteratorINS9_10device_ptrIiEEEENSB_INSC_IsEEEESG_sNS9_4plusIvEENS9_8equal_toIvEEsEE10hipError_tPvRmT2_T3_T4_T5_mT6_T7_P12ihipStream_tbENKUlT_T0_E_clISt17integral_constantIbLb1EES10_IbLb0EEEEDaSW_SX_EUlSW_E_NS1_11comp_targetILNS1_3genE5ELNS1_11target_archE942ELNS1_3gpuE9ELNS1_3repE0EEENS1_30default_config_static_selectorELNS0_4arch9wavefront6targetE1EEEvT1_,"axG",@progbits,_ZN7rocprim17ROCPRIM_400000_NS6detail17trampoline_kernelINS0_14default_configENS1_27scan_by_key_config_selectorIisEEZZNS1_16scan_by_key_implILNS1_25lookback_scan_determinismE0ELb1ES3_N6thrust23THRUST_200600_302600_NS6detail15normal_iteratorINS9_10device_ptrIiEEEENSB_INSC_IsEEEESG_sNS9_4plusIvEENS9_8equal_toIvEEsEE10hipError_tPvRmT2_T3_T4_T5_mT6_T7_P12ihipStream_tbENKUlT_T0_E_clISt17integral_constantIbLb1EES10_IbLb0EEEEDaSW_SX_EUlSW_E_NS1_11comp_targetILNS1_3genE5ELNS1_11target_archE942ELNS1_3gpuE9ELNS1_3repE0EEENS1_30default_config_static_selectorELNS0_4arch9wavefront6targetE1EEEvT1_,comdat
	.protected	_ZN7rocprim17ROCPRIM_400000_NS6detail17trampoline_kernelINS0_14default_configENS1_27scan_by_key_config_selectorIisEEZZNS1_16scan_by_key_implILNS1_25lookback_scan_determinismE0ELb1ES3_N6thrust23THRUST_200600_302600_NS6detail15normal_iteratorINS9_10device_ptrIiEEEENSB_INSC_IsEEEESG_sNS9_4plusIvEENS9_8equal_toIvEEsEE10hipError_tPvRmT2_T3_T4_T5_mT6_T7_P12ihipStream_tbENKUlT_T0_E_clISt17integral_constantIbLb1EES10_IbLb0EEEEDaSW_SX_EUlSW_E_NS1_11comp_targetILNS1_3genE5ELNS1_11target_archE942ELNS1_3gpuE9ELNS1_3repE0EEENS1_30default_config_static_selectorELNS0_4arch9wavefront6targetE1EEEvT1_ ; -- Begin function _ZN7rocprim17ROCPRIM_400000_NS6detail17trampoline_kernelINS0_14default_configENS1_27scan_by_key_config_selectorIisEEZZNS1_16scan_by_key_implILNS1_25lookback_scan_determinismE0ELb1ES3_N6thrust23THRUST_200600_302600_NS6detail15normal_iteratorINS9_10device_ptrIiEEEENSB_INSC_IsEEEESG_sNS9_4plusIvEENS9_8equal_toIvEEsEE10hipError_tPvRmT2_T3_T4_T5_mT6_T7_P12ihipStream_tbENKUlT_T0_E_clISt17integral_constantIbLb1EES10_IbLb0EEEEDaSW_SX_EUlSW_E_NS1_11comp_targetILNS1_3genE5ELNS1_11target_archE942ELNS1_3gpuE9ELNS1_3repE0EEENS1_30default_config_static_selectorELNS0_4arch9wavefront6targetE1EEEvT1_
	.globl	_ZN7rocprim17ROCPRIM_400000_NS6detail17trampoline_kernelINS0_14default_configENS1_27scan_by_key_config_selectorIisEEZZNS1_16scan_by_key_implILNS1_25lookback_scan_determinismE0ELb1ES3_N6thrust23THRUST_200600_302600_NS6detail15normal_iteratorINS9_10device_ptrIiEEEENSB_INSC_IsEEEESG_sNS9_4plusIvEENS9_8equal_toIvEEsEE10hipError_tPvRmT2_T3_T4_T5_mT6_T7_P12ihipStream_tbENKUlT_T0_E_clISt17integral_constantIbLb1EES10_IbLb0EEEEDaSW_SX_EUlSW_E_NS1_11comp_targetILNS1_3genE5ELNS1_11target_archE942ELNS1_3gpuE9ELNS1_3repE0EEENS1_30default_config_static_selectorELNS0_4arch9wavefront6targetE1EEEvT1_
	.p2align	8
	.type	_ZN7rocprim17ROCPRIM_400000_NS6detail17trampoline_kernelINS0_14default_configENS1_27scan_by_key_config_selectorIisEEZZNS1_16scan_by_key_implILNS1_25lookback_scan_determinismE0ELb1ES3_N6thrust23THRUST_200600_302600_NS6detail15normal_iteratorINS9_10device_ptrIiEEEENSB_INSC_IsEEEESG_sNS9_4plusIvEENS9_8equal_toIvEEsEE10hipError_tPvRmT2_T3_T4_T5_mT6_T7_P12ihipStream_tbENKUlT_T0_E_clISt17integral_constantIbLb1EES10_IbLb0EEEEDaSW_SX_EUlSW_E_NS1_11comp_targetILNS1_3genE5ELNS1_11target_archE942ELNS1_3gpuE9ELNS1_3repE0EEENS1_30default_config_static_selectorELNS0_4arch9wavefront6targetE1EEEvT1_,@function
_ZN7rocprim17ROCPRIM_400000_NS6detail17trampoline_kernelINS0_14default_configENS1_27scan_by_key_config_selectorIisEEZZNS1_16scan_by_key_implILNS1_25lookback_scan_determinismE0ELb1ES3_N6thrust23THRUST_200600_302600_NS6detail15normal_iteratorINS9_10device_ptrIiEEEENSB_INSC_IsEEEESG_sNS9_4plusIvEENS9_8equal_toIvEEsEE10hipError_tPvRmT2_T3_T4_T5_mT6_T7_P12ihipStream_tbENKUlT_T0_E_clISt17integral_constantIbLb1EES10_IbLb0EEEEDaSW_SX_EUlSW_E_NS1_11comp_targetILNS1_3genE5ELNS1_11target_archE942ELNS1_3gpuE9ELNS1_3repE0EEENS1_30default_config_static_selectorELNS0_4arch9wavefront6targetE1EEEvT1_: ; @_ZN7rocprim17ROCPRIM_400000_NS6detail17trampoline_kernelINS0_14default_configENS1_27scan_by_key_config_selectorIisEEZZNS1_16scan_by_key_implILNS1_25lookback_scan_determinismE0ELb1ES3_N6thrust23THRUST_200600_302600_NS6detail15normal_iteratorINS9_10device_ptrIiEEEENSB_INSC_IsEEEESG_sNS9_4plusIvEENS9_8equal_toIvEEsEE10hipError_tPvRmT2_T3_T4_T5_mT6_T7_P12ihipStream_tbENKUlT_T0_E_clISt17integral_constantIbLb1EES10_IbLb0EEEEDaSW_SX_EUlSW_E_NS1_11comp_targetILNS1_3genE5ELNS1_11target_archE942ELNS1_3gpuE9ELNS1_3repE0EEENS1_30default_config_static_selectorELNS0_4arch9wavefront6targetE1EEEvT1_
; %bb.0:
	.section	.rodata,"a",@progbits
	.p2align	6, 0x0
	.amdhsa_kernel _ZN7rocprim17ROCPRIM_400000_NS6detail17trampoline_kernelINS0_14default_configENS1_27scan_by_key_config_selectorIisEEZZNS1_16scan_by_key_implILNS1_25lookback_scan_determinismE0ELb1ES3_N6thrust23THRUST_200600_302600_NS6detail15normal_iteratorINS9_10device_ptrIiEEEENSB_INSC_IsEEEESG_sNS9_4plusIvEENS9_8equal_toIvEEsEE10hipError_tPvRmT2_T3_T4_T5_mT6_T7_P12ihipStream_tbENKUlT_T0_E_clISt17integral_constantIbLb1EES10_IbLb0EEEEDaSW_SX_EUlSW_E_NS1_11comp_targetILNS1_3genE5ELNS1_11target_archE942ELNS1_3gpuE9ELNS1_3repE0EEENS1_30default_config_static_selectorELNS0_4arch9wavefront6targetE1EEEvT1_
		.amdhsa_group_segment_fixed_size 0
		.amdhsa_private_segment_fixed_size 0
		.amdhsa_kernarg_size 112
		.amdhsa_user_sgpr_count 6
		.amdhsa_user_sgpr_private_segment_buffer 1
		.amdhsa_user_sgpr_dispatch_ptr 0
		.amdhsa_user_sgpr_queue_ptr 0
		.amdhsa_user_sgpr_kernarg_segment_ptr 1
		.amdhsa_user_sgpr_dispatch_id 0
		.amdhsa_user_sgpr_flat_scratch_init 0
		.amdhsa_user_sgpr_kernarg_preload_length 0
		.amdhsa_user_sgpr_kernarg_preload_offset 0
		.amdhsa_user_sgpr_private_segment_size 0
		.amdhsa_uses_dynamic_stack 0
		.amdhsa_system_sgpr_private_segment_wavefront_offset 0
		.amdhsa_system_sgpr_workgroup_id_x 1
		.amdhsa_system_sgpr_workgroup_id_y 0
		.amdhsa_system_sgpr_workgroup_id_z 0
		.amdhsa_system_sgpr_workgroup_info 0
		.amdhsa_system_vgpr_workitem_id 0
		.amdhsa_next_free_vgpr 1
		.amdhsa_next_free_sgpr 0
		.amdhsa_accum_offset 4
		.amdhsa_reserve_vcc 0
		.amdhsa_reserve_flat_scratch 0
		.amdhsa_float_round_mode_32 0
		.amdhsa_float_round_mode_16_64 0
		.amdhsa_float_denorm_mode_32 3
		.amdhsa_float_denorm_mode_16_64 3
		.amdhsa_dx10_clamp 1
		.amdhsa_ieee_mode 1
		.amdhsa_fp16_overflow 0
		.amdhsa_tg_split 0
		.amdhsa_exception_fp_ieee_invalid_op 0
		.amdhsa_exception_fp_denorm_src 0
		.amdhsa_exception_fp_ieee_div_zero 0
		.amdhsa_exception_fp_ieee_overflow 0
		.amdhsa_exception_fp_ieee_underflow 0
		.amdhsa_exception_fp_ieee_inexact 0
		.amdhsa_exception_int_div_zero 0
	.end_amdhsa_kernel
	.section	.text._ZN7rocprim17ROCPRIM_400000_NS6detail17trampoline_kernelINS0_14default_configENS1_27scan_by_key_config_selectorIisEEZZNS1_16scan_by_key_implILNS1_25lookback_scan_determinismE0ELb1ES3_N6thrust23THRUST_200600_302600_NS6detail15normal_iteratorINS9_10device_ptrIiEEEENSB_INSC_IsEEEESG_sNS9_4plusIvEENS9_8equal_toIvEEsEE10hipError_tPvRmT2_T3_T4_T5_mT6_T7_P12ihipStream_tbENKUlT_T0_E_clISt17integral_constantIbLb1EES10_IbLb0EEEEDaSW_SX_EUlSW_E_NS1_11comp_targetILNS1_3genE5ELNS1_11target_archE942ELNS1_3gpuE9ELNS1_3repE0EEENS1_30default_config_static_selectorELNS0_4arch9wavefront6targetE1EEEvT1_,"axG",@progbits,_ZN7rocprim17ROCPRIM_400000_NS6detail17trampoline_kernelINS0_14default_configENS1_27scan_by_key_config_selectorIisEEZZNS1_16scan_by_key_implILNS1_25lookback_scan_determinismE0ELb1ES3_N6thrust23THRUST_200600_302600_NS6detail15normal_iteratorINS9_10device_ptrIiEEEENSB_INSC_IsEEEESG_sNS9_4plusIvEENS9_8equal_toIvEEsEE10hipError_tPvRmT2_T3_T4_T5_mT6_T7_P12ihipStream_tbENKUlT_T0_E_clISt17integral_constantIbLb1EES10_IbLb0EEEEDaSW_SX_EUlSW_E_NS1_11comp_targetILNS1_3genE5ELNS1_11target_archE942ELNS1_3gpuE9ELNS1_3repE0EEENS1_30default_config_static_selectorELNS0_4arch9wavefront6targetE1EEEvT1_,comdat
.Lfunc_end1627:
	.size	_ZN7rocprim17ROCPRIM_400000_NS6detail17trampoline_kernelINS0_14default_configENS1_27scan_by_key_config_selectorIisEEZZNS1_16scan_by_key_implILNS1_25lookback_scan_determinismE0ELb1ES3_N6thrust23THRUST_200600_302600_NS6detail15normal_iteratorINS9_10device_ptrIiEEEENSB_INSC_IsEEEESG_sNS9_4plusIvEENS9_8equal_toIvEEsEE10hipError_tPvRmT2_T3_T4_T5_mT6_T7_P12ihipStream_tbENKUlT_T0_E_clISt17integral_constantIbLb1EES10_IbLb0EEEEDaSW_SX_EUlSW_E_NS1_11comp_targetILNS1_3genE5ELNS1_11target_archE942ELNS1_3gpuE9ELNS1_3repE0EEENS1_30default_config_static_selectorELNS0_4arch9wavefront6targetE1EEEvT1_, .Lfunc_end1627-_ZN7rocprim17ROCPRIM_400000_NS6detail17trampoline_kernelINS0_14default_configENS1_27scan_by_key_config_selectorIisEEZZNS1_16scan_by_key_implILNS1_25lookback_scan_determinismE0ELb1ES3_N6thrust23THRUST_200600_302600_NS6detail15normal_iteratorINS9_10device_ptrIiEEEENSB_INSC_IsEEEESG_sNS9_4plusIvEENS9_8equal_toIvEEsEE10hipError_tPvRmT2_T3_T4_T5_mT6_T7_P12ihipStream_tbENKUlT_T0_E_clISt17integral_constantIbLb1EES10_IbLb0EEEEDaSW_SX_EUlSW_E_NS1_11comp_targetILNS1_3genE5ELNS1_11target_archE942ELNS1_3gpuE9ELNS1_3repE0EEENS1_30default_config_static_selectorELNS0_4arch9wavefront6targetE1EEEvT1_
                                        ; -- End function
	.section	.AMDGPU.csdata,"",@progbits
; Kernel info:
; codeLenInByte = 0
; NumSgprs: 4
; NumVgprs: 0
; NumAgprs: 0
; TotalNumVgprs: 0
; ScratchSize: 0
; MemoryBound: 0
; FloatMode: 240
; IeeeMode: 1
; LDSByteSize: 0 bytes/workgroup (compile time only)
; SGPRBlocks: 0
; VGPRBlocks: 0
; NumSGPRsForWavesPerEU: 4
; NumVGPRsForWavesPerEU: 1
; AccumOffset: 4
; Occupancy: 8
; WaveLimiterHint : 0
; COMPUTE_PGM_RSRC2:SCRATCH_EN: 0
; COMPUTE_PGM_RSRC2:USER_SGPR: 6
; COMPUTE_PGM_RSRC2:TRAP_HANDLER: 0
; COMPUTE_PGM_RSRC2:TGID_X_EN: 1
; COMPUTE_PGM_RSRC2:TGID_Y_EN: 0
; COMPUTE_PGM_RSRC2:TGID_Z_EN: 0
; COMPUTE_PGM_RSRC2:TIDIG_COMP_CNT: 0
; COMPUTE_PGM_RSRC3_GFX90A:ACCUM_OFFSET: 0
; COMPUTE_PGM_RSRC3_GFX90A:TG_SPLIT: 0
	.section	.text._ZN7rocprim17ROCPRIM_400000_NS6detail17trampoline_kernelINS0_14default_configENS1_27scan_by_key_config_selectorIisEEZZNS1_16scan_by_key_implILNS1_25lookback_scan_determinismE0ELb1ES3_N6thrust23THRUST_200600_302600_NS6detail15normal_iteratorINS9_10device_ptrIiEEEENSB_INSC_IsEEEESG_sNS9_4plusIvEENS9_8equal_toIvEEsEE10hipError_tPvRmT2_T3_T4_T5_mT6_T7_P12ihipStream_tbENKUlT_T0_E_clISt17integral_constantIbLb1EES10_IbLb0EEEEDaSW_SX_EUlSW_E_NS1_11comp_targetILNS1_3genE4ELNS1_11target_archE910ELNS1_3gpuE8ELNS1_3repE0EEENS1_30default_config_static_selectorELNS0_4arch9wavefront6targetE1EEEvT1_,"axG",@progbits,_ZN7rocprim17ROCPRIM_400000_NS6detail17trampoline_kernelINS0_14default_configENS1_27scan_by_key_config_selectorIisEEZZNS1_16scan_by_key_implILNS1_25lookback_scan_determinismE0ELb1ES3_N6thrust23THRUST_200600_302600_NS6detail15normal_iteratorINS9_10device_ptrIiEEEENSB_INSC_IsEEEESG_sNS9_4plusIvEENS9_8equal_toIvEEsEE10hipError_tPvRmT2_T3_T4_T5_mT6_T7_P12ihipStream_tbENKUlT_T0_E_clISt17integral_constantIbLb1EES10_IbLb0EEEEDaSW_SX_EUlSW_E_NS1_11comp_targetILNS1_3genE4ELNS1_11target_archE910ELNS1_3gpuE8ELNS1_3repE0EEENS1_30default_config_static_selectorELNS0_4arch9wavefront6targetE1EEEvT1_,comdat
	.protected	_ZN7rocprim17ROCPRIM_400000_NS6detail17trampoline_kernelINS0_14default_configENS1_27scan_by_key_config_selectorIisEEZZNS1_16scan_by_key_implILNS1_25lookback_scan_determinismE0ELb1ES3_N6thrust23THRUST_200600_302600_NS6detail15normal_iteratorINS9_10device_ptrIiEEEENSB_INSC_IsEEEESG_sNS9_4plusIvEENS9_8equal_toIvEEsEE10hipError_tPvRmT2_T3_T4_T5_mT6_T7_P12ihipStream_tbENKUlT_T0_E_clISt17integral_constantIbLb1EES10_IbLb0EEEEDaSW_SX_EUlSW_E_NS1_11comp_targetILNS1_3genE4ELNS1_11target_archE910ELNS1_3gpuE8ELNS1_3repE0EEENS1_30default_config_static_selectorELNS0_4arch9wavefront6targetE1EEEvT1_ ; -- Begin function _ZN7rocprim17ROCPRIM_400000_NS6detail17trampoline_kernelINS0_14default_configENS1_27scan_by_key_config_selectorIisEEZZNS1_16scan_by_key_implILNS1_25lookback_scan_determinismE0ELb1ES3_N6thrust23THRUST_200600_302600_NS6detail15normal_iteratorINS9_10device_ptrIiEEEENSB_INSC_IsEEEESG_sNS9_4plusIvEENS9_8equal_toIvEEsEE10hipError_tPvRmT2_T3_T4_T5_mT6_T7_P12ihipStream_tbENKUlT_T0_E_clISt17integral_constantIbLb1EES10_IbLb0EEEEDaSW_SX_EUlSW_E_NS1_11comp_targetILNS1_3genE4ELNS1_11target_archE910ELNS1_3gpuE8ELNS1_3repE0EEENS1_30default_config_static_selectorELNS0_4arch9wavefront6targetE1EEEvT1_
	.globl	_ZN7rocprim17ROCPRIM_400000_NS6detail17trampoline_kernelINS0_14default_configENS1_27scan_by_key_config_selectorIisEEZZNS1_16scan_by_key_implILNS1_25lookback_scan_determinismE0ELb1ES3_N6thrust23THRUST_200600_302600_NS6detail15normal_iteratorINS9_10device_ptrIiEEEENSB_INSC_IsEEEESG_sNS9_4plusIvEENS9_8equal_toIvEEsEE10hipError_tPvRmT2_T3_T4_T5_mT6_T7_P12ihipStream_tbENKUlT_T0_E_clISt17integral_constantIbLb1EES10_IbLb0EEEEDaSW_SX_EUlSW_E_NS1_11comp_targetILNS1_3genE4ELNS1_11target_archE910ELNS1_3gpuE8ELNS1_3repE0EEENS1_30default_config_static_selectorELNS0_4arch9wavefront6targetE1EEEvT1_
	.p2align	8
	.type	_ZN7rocprim17ROCPRIM_400000_NS6detail17trampoline_kernelINS0_14default_configENS1_27scan_by_key_config_selectorIisEEZZNS1_16scan_by_key_implILNS1_25lookback_scan_determinismE0ELb1ES3_N6thrust23THRUST_200600_302600_NS6detail15normal_iteratorINS9_10device_ptrIiEEEENSB_INSC_IsEEEESG_sNS9_4plusIvEENS9_8equal_toIvEEsEE10hipError_tPvRmT2_T3_T4_T5_mT6_T7_P12ihipStream_tbENKUlT_T0_E_clISt17integral_constantIbLb1EES10_IbLb0EEEEDaSW_SX_EUlSW_E_NS1_11comp_targetILNS1_3genE4ELNS1_11target_archE910ELNS1_3gpuE8ELNS1_3repE0EEENS1_30default_config_static_selectorELNS0_4arch9wavefront6targetE1EEEvT1_,@function
_ZN7rocprim17ROCPRIM_400000_NS6detail17trampoline_kernelINS0_14default_configENS1_27scan_by_key_config_selectorIisEEZZNS1_16scan_by_key_implILNS1_25lookback_scan_determinismE0ELb1ES3_N6thrust23THRUST_200600_302600_NS6detail15normal_iteratorINS9_10device_ptrIiEEEENSB_INSC_IsEEEESG_sNS9_4plusIvEENS9_8equal_toIvEEsEE10hipError_tPvRmT2_T3_T4_T5_mT6_T7_P12ihipStream_tbENKUlT_T0_E_clISt17integral_constantIbLb1EES10_IbLb0EEEEDaSW_SX_EUlSW_E_NS1_11comp_targetILNS1_3genE4ELNS1_11target_archE910ELNS1_3gpuE8ELNS1_3repE0EEENS1_30default_config_static_selectorELNS0_4arch9wavefront6targetE1EEEvT1_: ; @_ZN7rocprim17ROCPRIM_400000_NS6detail17trampoline_kernelINS0_14default_configENS1_27scan_by_key_config_selectorIisEEZZNS1_16scan_by_key_implILNS1_25lookback_scan_determinismE0ELb1ES3_N6thrust23THRUST_200600_302600_NS6detail15normal_iteratorINS9_10device_ptrIiEEEENSB_INSC_IsEEEESG_sNS9_4plusIvEENS9_8equal_toIvEEsEE10hipError_tPvRmT2_T3_T4_T5_mT6_T7_P12ihipStream_tbENKUlT_T0_E_clISt17integral_constantIbLb1EES10_IbLb0EEEEDaSW_SX_EUlSW_E_NS1_11comp_targetILNS1_3genE4ELNS1_11target_archE910ELNS1_3gpuE8ELNS1_3repE0EEENS1_30default_config_static_selectorELNS0_4arch9wavefront6targetE1EEEvT1_
; %bb.0:
	s_load_dwordx8 s[48:55], s[4:5], 0x0
	s_load_dword s7, s[4:5], 0x20
	s_load_dwordx4 s[56:59], s[4:5], 0x28
	s_load_dwordx2 s[68:69], s[4:5], 0x38
	s_load_dword s2, s[4:5], 0x40
	s_load_dwordx4 s[60:63], s[4:5], 0x48
	s_waitcnt lgkmcnt(0)
	s_lshl_b64 s[0:1], s[50:51], 2
	s_add_u32 s4, s48, s0
	s_addc_u32 s5, s49, s1
	s_lshl_b64 s[64:65], s[50:51], 1
	s_add_u32 s8, s52, s64
	s_mul_i32 s0, s69, s2
	s_mul_hi_u32 s1, s68, s2
	s_addc_u32 s9, s53, s65
	s_add_i32 s10, s1, s0
	s_mul_i32 s0, s6, 0x600
	s_mov_b32 s1, 0
	s_mul_i32 s11, s68, s2
	s_lshl_b64 s[2:3], s[0:1], 2
	s_add_u32 s70, s4, s2
	s_addc_u32 s71, s5, s3
	s_lshl_b64 s[66:67], s[0:1], 1
	s_add_u32 s59, s8, s66
	s_addc_u32 s78, s9, s67
	s_add_u32 s0, s11, s6
	s_addc_u32 s1, s10, 0
	s_add_u32 s4, s60, -1
	s_addc_u32 s5, s61, -1
	v_pk_mov_b32 v[2:3], s[4:5], s[4:5] op_sel:[0,1]
	v_cmp_ge_u64_e64 s[0:1], s[0:1], v[2:3]
	s_mov_b64 s[2:3], -1
	s_and_b64 vcc, exec, s[0:1]
	s_mul_i32 s33, s4, 0xfffffa00
	s_waitcnt lgkmcnt(0)
	; wave barrier
	s_cbranch_vccz .LBB1628_126
; %bb.1:
	v_pk_mov_b32 v[2:3], s[70:71], s[70:71] op_sel:[0,1]
	flat_load_dword v1, v[2:3]
	s_add_i32 s76, s33, s58
	v_cmp_gt_u32_e32 vcc, s76, v0
	s_waitcnt vmcnt(0) lgkmcnt(0)
	v_mov_b32_e32 v2, v1
	s_and_saveexec_b64 s[4:5], vcc
	s_cbranch_execz .LBB1628_3
; %bb.2:
	v_lshlrev_b32_e32 v2, 2, v0
	v_mov_b32_e32 v3, s71
	v_add_co_u32_e64 v2, s[2:3], s70, v2
	v_addc_co_u32_e64 v3, s[2:3], 0, v3, s[2:3]
	flat_load_dword v2, v[2:3]
.LBB1628_3:
	s_or_b64 exec, exec, s[4:5]
	v_or_b32_e32 v3, 64, v0
	v_cmp_gt_u32_e64 s[2:3], s76, v3
	v_mov_b32_e32 v3, v1
	s_and_saveexec_b64 s[8:9], s[2:3]
	s_cbranch_execz .LBB1628_5
; %bb.4:
	v_lshlrev_b32_e32 v3, 2, v0
	v_mov_b32_e32 v5, s71
	v_add_co_u32_e64 v4, s[4:5], s70, v3
	v_addc_co_u32_e64 v5, s[4:5], 0, v5, s[4:5]
	flat_load_dword v3, v[4:5] offset:256
.LBB1628_5:
	s_or_b64 exec, exec, s[8:9]
	v_or_b32_e32 v4, 0x80, v0
	v_cmp_gt_u32_e64 s[4:5], s76, v4
	v_mov_b32_e32 v4, v1
	s_and_saveexec_b64 s[10:11], s[4:5]
	s_cbranch_execz .LBB1628_7
; %bb.6:
	v_lshlrev_b32_e32 v4, 2, v0
	v_mov_b32_e32 v5, s71
	v_add_co_u32_e64 v4, s[8:9], s70, v4
	v_addc_co_u32_e64 v5, s[8:9], 0, v5, s[8:9]
	flat_load_dword v4, v[4:5] offset:512
.LBB1628_7:
	;; [unrolled: 13-line block ×15, first 2 shown]
	s_or_b64 exec, exec, s[36:37]
	v_or_b32_e32 v19, 0x400, v0
	v_cmp_gt_u32_e64 s[34:35], s76, v19
	v_mov_b32_e32 v18, v1
	s_and_saveexec_b64 s[38:39], s[34:35]
	s_cbranch_execz .LBB1628_35
; %bb.34:
	v_lshlrev_b32_e32 v18, 2, v19
	v_mov_b32_e32 v19, s71
	v_add_co_u32_e64 v18, s[36:37], s70, v18
	v_addc_co_u32_e64 v19, s[36:37], 0, v19, s[36:37]
	flat_load_dword v18, v[18:19]
.LBB1628_35:
	s_or_b64 exec, exec, s[38:39]
	v_or_b32_e32 v20, 0x440, v0
	v_cmp_gt_u32_e64 s[36:37], s76, v20
	v_mov_b32_e32 v19, v1
	s_and_saveexec_b64 s[40:41], s[36:37]
	s_cbranch_execz .LBB1628_37
; %bb.36:
	v_lshlrev_b32_e32 v19, 2, v20
	v_mov_b32_e32 v21, s71
	v_add_co_u32_e64 v20, s[38:39], s70, v19
	v_addc_co_u32_e64 v21, s[38:39], 0, v21, s[38:39]
	flat_load_dword v19, v[20:21]
.LBB1628_37:
	;; [unrolled: 13-line block ×7, first 2 shown]
	s_or_b64 exec, exec, s[52:53]
	v_or_b32_e32 v25, 0x5c0, v0
	v_cmp_gt_u32_e64 s[48:49], s76, v25
	s_and_saveexec_b64 s[60:61], s[48:49]
	s_cbranch_execz .LBB1628_49
; %bb.48:
	v_lshlrev_b32_e32 v1, 2, v25
	v_mov_b32_e32 v25, s71
	v_add_co_u32_e64 v26, s[52:53], s70, v1
	v_addc_co_u32_e64 v27, s[52:53], 0, v25, s[52:53]
	flat_load_dword v1, v[26:27]
.LBB1628_49:
	s_or_b64 exec, exec, s[60:61]
	v_lshlrev_b32_e32 v46, 2, v0
	s_waitcnt vmcnt(0) lgkmcnt(0)
	ds_write2st64_b32 v46, v2, v3 offset1:1
	ds_write2st64_b32 v46, v4, v5 offset0:2 offset1:3
	ds_write2st64_b32 v46, v6, v7 offset0:4 offset1:5
	;; [unrolled: 1-line block ×11, first 2 shown]
	v_pk_mov_b32 v[2:3], s[70:71], s[70:71] op_sel:[0,1]
	s_waitcnt lgkmcnt(0)
	; wave barrier
	s_waitcnt lgkmcnt(0)
	flat_load_dword v52, v[2:3]
	s_movk_i32 s52, 0x5c
	v_mad_u32_u24 v1, v0, s52, v46
	s_movk_i32 s52, 0xffa4
	ds_read_b128 v[42:45], v1
	ds_read_b128 v[38:41], v1 offset:16
	ds_read_b128 v[34:37], v1 offset:32
	;; [unrolled: 1-line block ×5, first 2 shown]
	v_mad_i32_i24 v1, v0, s52, v1
	v_cmp_ne_u32_e64 s[52:53], 63, v0
	s_waitcnt lgkmcnt(0)
	ds_write_b32 v1, v42 offset:6400
	s_waitcnt lgkmcnt(0)
	; wave barrier
	s_waitcnt lgkmcnt(0)
	s_and_saveexec_b64 s[60:61], s[52:53]
	s_cbranch_execz .LBB1628_51
; %bb.50:
	s_waitcnt vmcnt(0)
	ds_read_b32 v52, v46 offset:6404
.LBB1628_51:
	s_or_b64 exec, exec, s[60:61]
	s_waitcnt lgkmcnt(0)
	; wave barrier
	s_waitcnt lgkmcnt(0)
                                        ; implicit-def: $vgpr2
	s_and_saveexec_b64 s[52:53], vcc
	s_cbranch_execz .LBB1628_197
; %bb.52:
	v_lshlrev_b32_e32 v2, 1, v0
	v_mov_b32_e32 v3, s78
	v_add_co_u32_e32 v2, vcc, s59, v2
	v_addc_co_u32_e32 v3, vcc, 0, v3, vcc
	flat_load_ushort v2, v[2:3]
	s_or_b64 exec, exec, s[52:53]
                                        ; implicit-def: $vgpr3
	s_and_saveexec_b64 s[52:53], s[2:3]
	s_cbranch_execnz .LBB1628_198
.LBB1628_53:
	s_or_b64 exec, exec, s[52:53]
                                        ; implicit-def: $vgpr4
	s_and_saveexec_b64 s[2:3], s[4:5]
	s_cbranch_execz .LBB1628_199
.LBB1628_54:
	v_lshlrev_b32_e32 v4, 1, v0
	v_mov_b32_e32 v5, s78
	v_add_co_u32_e32 v4, vcc, s59, v4
	v_addc_co_u32_e32 v5, vcc, 0, v5, vcc
	flat_load_ushort v4, v[4:5] offset:256
	s_or_b64 exec, exec, s[2:3]
                                        ; implicit-def: $vgpr5
	s_and_saveexec_b64 s[2:3], s[50:51]
	s_cbranch_execnz .LBB1628_200
.LBB1628_55:
	s_or_b64 exec, exec, s[2:3]
                                        ; implicit-def: $vgpr6
	s_and_saveexec_b64 s[2:3], s[8:9]
	s_cbranch_execz .LBB1628_201
.LBB1628_56:
	v_lshlrev_b32_e32 v6, 1, v0
	v_mov_b32_e32 v7, s78
	v_add_co_u32_e32 v6, vcc, s59, v6
	v_addc_co_u32_e32 v7, vcc, 0, v7, vcc
	flat_load_ushort v6, v[6:7] offset:512
	s_or_b64 exec, exec, s[2:3]
                                        ; implicit-def: $vgpr7
	s_and_saveexec_b64 s[2:3], s[10:11]
	s_cbranch_execnz .LBB1628_202
.LBB1628_57:
	s_or_b64 exec, exec, s[2:3]
                                        ; implicit-def: $vgpr8
	s_and_saveexec_b64 s[2:3], s[12:13]
	s_cbranch_execz .LBB1628_203
.LBB1628_58:
	v_lshlrev_b32_e32 v8, 1, v0
	v_mov_b32_e32 v9, s78
	v_add_co_u32_e32 v8, vcc, s59, v8
	v_addc_co_u32_e32 v9, vcc, 0, v9, vcc
	flat_load_ushort v8, v[8:9] offset:768
	s_or_b64 exec, exec, s[2:3]
                                        ; implicit-def: $vgpr9
	s_and_saveexec_b64 s[2:3], s[14:15]
	s_cbranch_execnz .LBB1628_204
.LBB1628_59:
	s_or_b64 exec, exec, s[2:3]
                                        ; implicit-def: $vgpr10
	s_and_saveexec_b64 s[2:3], s[16:17]
	s_cbranch_execz .LBB1628_205
.LBB1628_60:
	v_lshlrev_b32_e32 v10, 1, v0
	v_mov_b32_e32 v11, s78
	v_add_co_u32_e32 v10, vcc, s59, v10
	v_addc_co_u32_e32 v11, vcc, 0, v11, vcc
	flat_load_ushort v10, v[10:11] offset:1024
	s_or_b64 exec, exec, s[2:3]
                                        ; implicit-def: $vgpr11
	s_and_saveexec_b64 s[2:3], s[18:19]
	s_cbranch_execnz .LBB1628_206
.LBB1628_61:
	s_or_b64 exec, exec, s[2:3]
                                        ; implicit-def: $vgpr12
	s_and_saveexec_b64 s[2:3], s[20:21]
	s_cbranch_execz .LBB1628_207
.LBB1628_62:
	v_lshlrev_b32_e32 v12, 1, v0
	v_mov_b32_e32 v13, s78
	v_add_co_u32_e32 v12, vcc, s59, v12
	v_addc_co_u32_e32 v13, vcc, 0, v13, vcc
	flat_load_ushort v12, v[12:13] offset:1280
	s_or_b64 exec, exec, s[2:3]
                                        ; implicit-def: $vgpr13
	s_and_saveexec_b64 s[2:3], s[22:23]
	s_cbranch_execnz .LBB1628_208
.LBB1628_63:
	s_or_b64 exec, exec, s[2:3]
                                        ; implicit-def: $vgpr14
	s_and_saveexec_b64 s[2:3], s[24:25]
	s_cbranch_execz .LBB1628_209
.LBB1628_64:
	v_lshlrev_b32_e32 v14, 1, v0
	v_mov_b32_e32 v15, s78
	v_add_co_u32_e32 v14, vcc, s59, v14
	v_addc_co_u32_e32 v15, vcc, 0, v15, vcc
	flat_load_ushort v14, v[14:15] offset:1536
	s_or_b64 exec, exec, s[2:3]
                                        ; implicit-def: $vgpr15
	s_and_saveexec_b64 s[2:3], s[26:27]
	s_cbranch_execnz .LBB1628_210
.LBB1628_65:
	s_or_b64 exec, exec, s[2:3]
                                        ; implicit-def: $vgpr16
	s_and_saveexec_b64 s[2:3], s[28:29]
	s_cbranch_execz .LBB1628_211
.LBB1628_66:
	v_lshlrev_b32_e32 v16, 1, v0
	v_mov_b32_e32 v17, s78
	v_add_co_u32_e32 v16, vcc, s59, v16
	v_addc_co_u32_e32 v17, vcc, 0, v17, vcc
	flat_load_ushort v16, v[16:17] offset:1792
	s_or_b64 exec, exec, s[2:3]
                                        ; implicit-def: $vgpr17
	s_and_saveexec_b64 s[2:3], s[30:31]
	s_cbranch_execnz .LBB1628_212
.LBB1628_67:
	s_or_b64 exec, exec, s[2:3]
                                        ; implicit-def: $vgpr18
	s_and_saveexec_b64 s[2:3], s[34:35]
	s_cbranch_execz .LBB1628_213
.LBB1628_68:
	v_lshlrev_b32_e32 v18, 1, v0
	v_mov_b32_e32 v19, s78
	v_add_co_u32_e32 v18, vcc, s59, v18
	v_addc_co_u32_e32 v19, vcc, 0, v19, vcc
	flat_load_ushort v18, v[18:19] offset:2048
	s_or_b64 exec, exec, s[2:3]
                                        ; implicit-def: $vgpr19
	s_and_saveexec_b64 s[2:3], s[36:37]
	s_cbranch_execnz .LBB1628_214
.LBB1628_69:
	s_or_b64 exec, exec, s[2:3]
                                        ; implicit-def: $vgpr20
	s_and_saveexec_b64 s[2:3], s[38:39]
	s_cbranch_execz .LBB1628_215
.LBB1628_70:
	v_lshlrev_b32_e32 v20, 1, v0
	v_mov_b32_e32 v21, s78
	v_add_co_u32_e32 v20, vcc, s59, v20
	v_addc_co_u32_e32 v21, vcc, 0, v21, vcc
	flat_load_ushort v20, v[20:21] offset:2304
	s_or_b64 exec, exec, s[2:3]
                                        ; implicit-def: $vgpr21
	s_and_saveexec_b64 s[2:3], s[40:41]
	s_cbranch_execnz .LBB1628_216
.LBB1628_71:
	s_or_b64 exec, exec, s[2:3]
                                        ; implicit-def: $vgpr47
	s_and_saveexec_b64 s[2:3], s[42:43]
	s_cbranch_execz .LBB1628_217
.LBB1628_72:
	v_lshlrev_b32_e32 v46, 1, v0
	v_mov_b32_e32 v47, s78
	v_add_co_u32_e32 v46, vcc, s59, v46
	v_addc_co_u32_e32 v47, vcc, 0, v47, vcc
	flat_load_ushort v47, v[46:47] offset:2560
	s_or_b64 exec, exec, s[2:3]
                                        ; implicit-def: $vgpr48
	s_and_saveexec_b64 s[2:3], s[44:45]
	s_cbranch_execnz .LBB1628_218
.LBB1628_73:
	s_or_b64 exec, exec, s[2:3]
                                        ; implicit-def: $vgpr49
	s_and_saveexec_b64 s[2:3], s[46:47]
	s_cbranch_execz .LBB1628_75
.LBB1628_74:
	v_lshlrev_b32_e32 v46, 1, v0
	v_mov_b32_e32 v49, s78
	v_add_co_u32_e32 v50, vcc, s59, v46
	v_addc_co_u32_e32 v51, vcc, 0, v49, vcc
	flat_load_ushort v49, v[50:51] offset:2816
.LBB1628_75:
	s_or_b64 exec, exec, s[2:3]
	v_mul_u32_u24_e32 v54, 24, v0
                                        ; implicit-def: $vgpr50
	s_and_saveexec_b64 s[2:3], s[48:49]
	s_cbranch_execz .LBB1628_77
; %bb.76:
	v_lshlrev_b32_e32 v46, 1, v0
	v_mov_b32_e32 v51, s78
	v_add_co_u32_e32 v50, vcc, s59, v46
	v_addc_co_u32_e32 v51, vcc, 0, v51, vcc
	flat_load_ushort v50, v[50:51] offset:2944
.LBB1628_77:
	s_or_b64 exec, exec, s[2:3]
	v_lshlrev_b32_e32 v46, 1, v0
	s_mov_b32 s8, 0
	v_sub_u32_e32 v46, v1, v46
	s_mov_b32 s9, s8
	s_waitcnt vmcnt(0) lgkmcnt(0)
	ds_write_b16 v46, v2
	ds_write_b16 v46, v3 offset:128
	ds_write_b16 v46, v4 offset:256
	;; [unrolled: 1-line block ×23, first 2 shown]
	s_mov_b32 s10, s8
	s_mov_b32 s11, s8
	;; [unrolled: 1-line block ×6, first 2 shown]
	v_pk_mov_b32 v[2:3], s[8:9], s[8:9] op_sel:[0,1]
	s_mov_b32 s18, s8
	s_mov_b32 s19, s8
	v_pk_mov_b32 v[8:9], s[14:15], s[14:15] op_sel:[0,1]
	s_mov_b32 s16, s8
	s_mov_b32 s17, s8
	v_pk_mov_b32 v[20:21], s[18:19], s[18:19] op_sel:[0,1]
	v_pk_mov_b32 v[4:5], s[10:11], s[10:11] op_sel:[0,1]
	;; [unrolled: 1-line block ×4, first 2 shown]
	v_cmp_gt_u32_e32 vcc, s76, v54
	s_mov_b64 s[2:3], 0
	v_pk_mov_b32 v[18:19], s[16:17], s[16:17] op_sel:[0,1]
	v_mov_b32_e32 v1, 0
	s_mov_b64 s[12:13], 0
	v_pk_mov_b32 v[14:15], v[6:7], v[6:7] op_sel:[0,1]
	v_pk_mov_b32 v[12:13], v[4:5], v[4:5] op_sel:[0,1]
	;; [unrolled: 1-line block ×3, first 2 shown]
	v_mov_b32_e32 v50, 0
	v_mov_b32_e32 v51, 0
	s_waitcnt lgkmcnt(0)
	; wave barrier
	s_waitcnt lgkmcnt(0)
                                        ; implicit-def: $sgpr10_sgpr11
                                        ; implicit-def: $vgpr53
	s_and_saveexec_b64 s[4:5], vcc
	s_cbranch_execz .LBB1628_125
; %bb.78:
	v_mad_u32_u24 v1, v0, 46, v46
	ds_read_u16 v1, v1
	v_mov_b32_e32 v3, s7
	v_cmp_eq_u32_e32 vcc, v42, v43
	s_mov_b32 s12, 0
	v_or_b32_e32 v2, 1, v54
	s_waitcnt lgkmcnt(0)
	v_cndmask_b32_e32 v1, v3, v1, vcc
	v_cmp_ne_u32_e32 vcc, v42, v43
	v_and_b32_e32 v1, 0xffff, v1
	v_cndmask_b32_e64 v3, 0, 1, vcc
	s_mov_b32 s13, s12
	v_lshl_or_b32 v1, v3, 16, v1
	v_cmp_gt_u32_e32 vcc, s76, v2
	s_mov_b32 s14, s12
	s_mov_b32 s15, s12
	s_mov_b32 s16, s12
	s_mov_b32 s17, s12
	s_mov_b32 s18, s12
	s_mov_b32 s19, s12
	v_pk_mov_b32 v[2:3], s[12:13], s[12:13] op_sel:[0,1]
	s_mov_b32 s20, s12
	s_mov_b32 s21, s12
	v_pk_mov_b32 v[8:9], s[18:19], s[18:19] op_sel:[0,1]
	s_mov_b32 s22, s12
	s_mov_b32 s23, s12
	v_pk_mov_b32 v[18:19], s[20:21], s[20:21] op_sel:[0,1]
	v_pk_mov_b32 v[4:5], s[14:15], s[14:15] op_sel:[0,1]
	;; [unrolled: 1-line block ×4, first 2 shown]
	s_mov_b64 s[24:25], 0
	v_pk_mov_b32 v[20:21], s[22:23], s[22:23] op_sel:[0,1]
	v_mov_b32_e32 v50, 0
	v_pk_mov_b32 v[14:15], v[6:7], v[6:7] op_sel:[0,1]
	v_pk_mov_b32 v[12:13], v[4:5], v[4:5] op_sel:[0,1]
	;; [unrolled: 1-line block ×3, first 2 shown]
	v_mov_b32_e32 v51, 0
                                        ; implicit-def: $sgpr26_sgpr27
                                        ; implicit-def: $vgpr53
	s_and_saveexec_b64 s[10:11], vcc
	s_cbranch_execz .LBB1628_124
; %bb.79:
	v_mul_u32_u24_e32 v2, 46, v0
	v_add_u32_e32 v42, v46, v2
	ds_read_b128 v[46:49], v42 offset:2
	v_mov_b32_e32 v3, s7
	v_cmp_eq_u32_e32 vcc, v43, v44
	v_or_b32_e32 v2, 2, v54
	v_pk_mov_b32 v[18:19], s[20:21], s[20:21] op_sel:[0,1]
	s_waitcnt lgkmcnt(0)
	v_cndmask_b32_e32 v3, v3, v46, vcc
	v_cmp_ne_u32_e32 vcc, v43, v44
	v_and_b32_e32 v3, 0xffff, v3
	v_cndmask_b32_e64 v4, 0, 1, vcc
	v_lshl_or_b32 v50, v4, 16, v3
	v_cmp_gt_u32_e32 vcc, s76, v2
	v_pk_mov_b32 v[2:3], s[12:13], s[12:13] op_sel:[0,1]
	v_pk_mov_b32 v[8:9], s[18:19], s[18:19] op_sel:[0,1]
	;; [unrolled: 1-line block ×6, first 2 shown]
	v_mov_b32_e32 v51, 0
	v_pk_mov_b32 v[14:15], v[6:7], v[6:7] op_sel:[0,1]
	v_pk_mov_b32 v[12:13], v[4:5], v[4:5] op_sel:[0,1]
	;; [unrolled: 1-line block ×3, first 2 shown]
                                        ; implicit-def: $sgpr12_sgpr13
                                        ; implicit-def: $vgpr53
	s_and_saveexec_b64 s[20:21], vcc
	s_cbranch_execz .LBB1628_123
; %bb.80:
	v_lshrrev_b32_e32 v2, 16, v46
	v_mov_b32_e32 v4, s7
	v_cmp_eq_u32_e32 vcc, v44, v45
	v_cndmask_b32_e32 v2, v4, v2, vcc
	v_cmp_ne_u32_e32 vcc, v44, v45
	s_mov_b32 s12, 0
	v_or_b32_e32 v3, 3, v54
	v_and_b32_e32 v2, 0xffff, v2
	v_cndmask_b32_e64 v4, 0, 1, vcc
	s_mov_b32 s13, s12
	v_lshl_or_b32 v21, v4, 16, v2
	v_cmp_gt_u32_e32 vcc, s76, v3
	s_mov_b32 s14, s12
	s_mov_b32 s15, s12
	s_mov_b32 s16, s12
	s_mov_b32 s17, s12
	s_mov_b32 s18, s12
	s_mov_b32 s19, s12
	v_pk_mov_b32 v[2:3], s[12:13], s[12:13] op_sel:[0,1]
	v_pk_mov_b32 v[8:9], s[18:19], s[18:19] op_sel:[0,1]
	v_mov_b32_e32 v18, 0
	v_pk_mov_b32 v[4:5], s[14:15], s[14:15] op_sel:[0,1]
	v_pk_mov_b32 v[6:7], s[16:17], s[16:17] op_sel:[0,1]
	;; [unrolled: 1-line block ×3, first 2 shown]
	v_mov_b32_e32 v19, v18
	v_mov_b32_e32 v20, v18
	v_pk_mov_b32 v[14:15], v[6:7], v[6:7] op_sel:[0,1]
	v_pk_mov_b32 v[12:13], v[4:5], v[4:5] op_sel:[0,1]
	v_pk_mov_b32 v[10:11], v[2:3], v[2:3] op_sel:[0,1]
	v_mov_b32_e32 v51, v18
                                        ; implicit-def: $sgpr28_sgpr29
                                        ; implicit-def: $vgpr53
	s_and_saveexec_b64 s[22:23], vcc
	s_cbranch_execz .LBB1628_122
; %bb.81:
	v_mov_b32_e32 v3, s7
	v_cmp_eq_u32_e32 vcc, v45, v38
	v_cndmask_b32_e32 v3, v3, v47, vcc
	v_cmp_ne_u32_e32 vcc, v45, v38
	v_or_b32_e32 v2, 4, v54
	v_and_b32_e32 v3, 0xffff, v3
	v_cndmask_b32_e64 v4, 0, 1, vcc
	v_lshl_or_b32 v20, v4, 16, v3
	v_cmp_gt_u32_e32 vcc, s76, v2
	v_pk_mov_b32 v[2:3], s[12:13], s[12:13] op_sel:[0,1]
	v_pk_mov_b32 v[8:9], s[18:19], s[18:19] op_sel:[0,1]
	v_mov_b32_e32 v18, 0
	v_pk_mov_b32 v[4:5], s[14:15], s[14:15] op_sel:[0,1]
	v_pk_mov_b32 v[6:7], s[16:17], s[16:17] op_sel:[0,1]
	;; [unrolled: 1-line block ×3, first 2 shown]
	v_mov_b32_e32 v19, v18
	s_mov_b64 s[26:27], 0
	v_pk_mov_b32 v[14:15], v[6:7], v[6:7] op_sel:[0,1]
	v_pk_mov_b32 v[12:13], v[4:5], v[4:5] op_sel:[0,1]
	;; [unrolled: 1-line block ×3, first 2 shown]
	v_mov_b32_e32 v51, v18
                                        ; implicit-def: $sgpr12_sgpr13
                                        ; implicit-def: $vgpr53
	s_and_saveexec_b64 s[24:25], vcc
	s_cbranch_execz .LBB1628_121
; %bb.82:
	v_lshrrev_b32_e32 v2, 16, v47
	v_mov_b32_e32 v4, s7
	v_cmp_eq_u32_e32 vcc, v38, v39
	v_cndmask_b32_e32 v2, v4, v2, vcc
	v_cmp_ne_u32_e32 vcc, v38, v39
	s_mov_b32 s12, 0
	v_or_b32_e32 v3, 5, v54
	v_and_b32_e32 v2, 0xffff, v2
	v_cndmask_b32_e64 v4, 0, 1, vcc
	s_mov_b32 s13, s12
	v_lshl_or_b32 v19, v4, 16, v2
	v_cmp_gt_u32_e32 vcc, s76, v3
	s_mov_b32 s14, s12
	s_mov_b32 s15, s12
	;; [unrolled: 1-line block ×6, first 2 shown]
	v_pk_mov_b32 v[2:3], s[12:13], s[12:13] op_sel:[0,1]
	v_pk_mov_b32 v[8:9], s[18:19], s[18:19] op_sel:[0,1]
	;; [unrolled: 1-line block ×5, first 2 shown]
	v_mov_b32_e32 v18, s12
	s_mov_b64 s[28:29], 0
	v_mov_b32_e32 v51, 0
	v_pk_mov_b32 v[14:15], v[6:7], v[6:7] op_sel:[0,1]
	v_pk_mov_b32 v[12:13], v[4:5], v[4:5] op_sel:[0,1]
	v_pk_mov_b32 v[10:11], v[2:3], v[2:3] op_sel:[0,1]
                                        ; implicit-def: $sgpr34_sgpr35
                                        ; implicit-def: $vgpr53
	s_and_saveexec_b64 s[26:27], vcc
	s_cbranch_execz .LBB1628_120
; %bb.83:
	v_mov_b32_e32 v3, s7
	v_cmp_eq_u32_e32 vcc, v39, v40
	v_cndmask_b32_e32 v3, v3, v48, vcc
	v_cmp_ne_u32_e32 vcc, v39, v40
	v_or_b32_e32 v2, 6, v54
	v_and_b32_e32 v3, 0xffff, v3
	v_cndmask_b32_e64 v4, 0, 1, vcc
	v_lshl_or_b32 v18, v4, 16, v3
	v_cmp_gt_u32_e32 vcc, s76, v2
	v_pk_mov_b32 v[2:3], s[12:13], s[12:13] op_sel:[0,1]
	v_pk_mov_b32 v[8:9], s[18:19], s[18:19] op_sel:[0,1]
	;; [unrolled: 1-line block ×5, first 2 shown]
	s_mov_b64 s[30:31], 0
	v_mov_b32_e32 v51, 0
	v_pk_mov_b32 v[14:15], v[6:7], v[6:7] op_sel:[0,1]
	v_pk_mov_b32 v[12:13], v[4:5], v[4:5] op_sel:[0,1]
	;; [unrolled: 1-line block ×3, first 2 shown]
                                        ; implicit-def: $sgpr12_sgpr13
                                        ; implicit-def: $vgpr53
	s_and_saveexec_b64 s[28:29], vcc
	s_cbranch_execz .LBB1628_119
; %bb.84:
	v_lshrrev_b32_e32 v2, 16, v48
	v_mov_b32_e32 v4, s7
	v_cmp_eq_u32_e32 vcc, v40, v41
	v_cndmask_b32_e32 v2, v4, v2, vcc
	v_cmp_ne_u32_e32 vcc, v40, v41
	s_mov_b32 s12, 0
	v_or_b32_e32 v3, 7, v54
	v_and_b32_e32 v2, 0xffff, v2
	v_cndmask_b32_e64 v4, 0, 1, vcc
	s_mov_b32 s13, s12
	v_lshl_or_b32 v51, v4, 16, v2
	v_cmp_gt_u32_e32 vcc, s76, v3
	s_mov_b32 s14, s12
	s_mov_b32 s15, s12
	s_mov_b32 s16, s12
	s_mov_b32 s17, s12
	s_mov_b32 s18, s12
	s_mov_b32 s19, s12
	v_pk_mov_b32 v[2:3], s[12:13], s[12:13] op_sel:[0,1]
	v_pk_mov_b32 v[8:9], s[18:19], s[18:19] op_sel:[0,1]
	v_pk_mov_b32 v[4:5], s[14:15], s[14:15] op_sel:[0,1]
	v_pk_mov_b32 v[6:7], s[16:17], s[16:17] op_sel:[0,1]
	v_pk_mov_b32 v[16:17], v[8:9], v[8:9] op_sel:[0,1]
	s_mov_b64 s[34:35], 0
	v_pk_mov_b32 v[14:15], v[6:7], v[6:7] op_sel:[0,1]
	v_pk_mov_b32 v[12:13], v[4:5], v[4:5] op_sel:[0,1]
	;; [unrolled: 1-line block ×3, first 2 shown]
                                        ; implicit-def: $sgpr38_sgpr39
                                        ; implicit-def: $vgpr53
	s_and_saveexec_b64 s[30:31], vcc
	s_cbranch_execz .LBB1628_118
; %bb.85:
	v_mov_b32_e32 v3, s7
	v_cmp_eq_u32_e32 vcc, v41, v34
	v_add_u32_e32 v2, 8, v54
	v_cndmask_b32_e32 v3, v3, v49, vcc
	v_cmp_ne_u32_e32 vcc, v41, v34
	v_and_b32_e32 v3, 0xffff, v3
	v_cndmask_b32_e64 v4, 0, 1, vcc
	v_cmp_gt_u32_e32 vcc, s76, v2
	v_mov_b32_e32 v2, 0
	v_pk_mov_b32 v[10:11], s[12:13], s[12:13] op_sel:[0,1]
	v_lshl_or_b32 v9, v4, 16, v3
	v_mov_b32_e32 v3, v2
	v_mov_b32_e32 v4, v2
	;; [unrolled: 1-line block ×6, first 2 shown]
	s_mov_b64 s[36:37], 0
	v_pk_mov_b32 v[12:13], s[14:15], s[14:15] op_sel:[0,1]
	v_pk_mov_b32 v[14:15], s[16:17], s[16:17] op_sel:[0,1]
	;; [unrolled: 1-line block ×3, first 2 shown]
                                        ; implicit-def: $sgpr12_sgpr13
                                        ; implicit-def: $vgpr53
	s_and_saveexec_b64 s[34:35], vcc
	s_cbranch_execz .LBB1628_117
; %bb.86:
	v_lshrrev_b32_e32 v3, 16, v49
	v_mov_b32_e32 v5, s7
	v_cmp_eq_u32_e32 vcc, v34, v35
	s_mov_b32 s12, 0
	v_cndmask_b32_e32 v3, v5, v3, vcc
	v_cmp_ne_u32_e32 vcc, v34, v35
	s_mov_b32 s13, s12
	v_add_u32_e32 v4, 9, v54
	v_and_b32_e32 v3, 0xffff, v3
	v_cndmask_b32_e64 v5, 0, 1, vcc
	s_mov_b32 s14, s12
	s_mov_b32 s15, s12
	;; [unrolled: 1-line block ×6, first 2 shown]
	v_pk_mov_b32 v[10:11], s[12:13], s[12:13] op_sel:[0,1]
	v_lshl_or_b32 v8, v5, 16, v3
	v_cmp_gt_u32_e32 vcc, s76, v4
	v_mov_b32_e32 v3, v2
	v_mov_b32_e32 v4, v2
	;; [unrolled: 1-line block ×5, first 2 shown]
	s_mov_b64 s[38:39], 0
	v_pk_mov_b32 v[12:13], s[14:15], s[14:15] op_sel:[0,1]
	v_pk_mov_b32 v[14:15], s[16:17], s[16:17] op_sel:[0,1]
	;; [unrolled: 1-line block ×3, first 2 shown]
                                        ; implicit-def: $sgpr42_sgpr43
                                        ; implicit-def: $vgpr53
	s_and_saveexec_b64 s[36:37], vcc
	s_cbranch_execz .LBB1628_116
; %bb.87:
	ds_read_b128 v[38:41], v42 offset:18
	v_mov_b32_e32 v3, s7
	v_cmp_eq_u32_e32 vcc, v35, v36
	v_add_u32_e32 v2, 10, v54
	v_pk_mov_b32 v[10:11], s[12:13], s[12:13] op_sel:[0,1]
	s_waitcnt lgkmcnt(0)
	v_cndmask_b32_e32 v3, v3, v38, vcc
	v_cmp_ne_u32_e32 vcc, v35, v36
	v_and_b32_e32 v3, 0xffff, v3
	v_cndmask_b32_e64 v4, 0, 1, vcc
	v_cmp_gt_u32_e32 vcc, s76, v2
	v_mov_b32_e32 v2, 0
	v_lshl_or_b32 v7, v4, 16, v3
	v_mov_b32_e32 v3, v2
	v_mov_b32_e32 v4, v2
	;; [unrolled: 1-line block ×4, first 2 shown]
	s_mov_b64 s[40:41], 0
	v_pk_mov_b32 v[12:13], s[14:15], s[14:15] op_sel:[0,1]
	v_pk_mov_b32 v[14:15], s[16:17], s[16:17] op_sel:[0,1]
	;; [unrolled: 1-line block ×3, first 2 shown]
                                        ; implicit-def: $sgpr12_sgpr13
                                        ; implicit-def: $vgpr53
	s_and_saveexec_b64 s[38:39], vcc
	s_cbranch_execz .LBB1628_115
; %bb.88:
	v_lshrrev_b32_e32 v3, 16, v38
	v_mov_b32_e32 v5, s7
	v_cmp_eq_u32_e32 vcc, v36, v37
	s_mov_b32 s12, 0
	v_cndmask_b32_e32 v3, v5, v3, vcc
	v_cmp_ne_u32_e32 vcc, v36, v37
	s_mov_b32 s13, s12
	v_add_u32_e32 v4, 11, v54
	v_and_b32_e32 v3, 0xffff, v3
	v_cndmask_b32_e64 v5, 0, 1, vcc
	s_mov_b32 s14, s12
	s_mov_b32 s15, s12
	;; [unrolled: 1-line block ×6, first 2 shown]
	v_pk_mov_b32 v[10:11], s[12:13], s[12:13] op_sel:[0,1]
	v_lshl_or_b32 v6, v5, 16, v3
	v_cmp_gt_u32_e32 vcc, s76, v4
	v_mov_b32_e32 v3, v2
	v_mov_b32_e32 v4, v2
	;; [unrolled: 1-line block ×3, first 2 shown]
	s_mov_b64 s[42:43], 0
	v_pk_mov_b32 v[12:13], s[14:15], s[14:15] op_sel:[0,1]
	v_pk_mov_b32 v[14:15], s[16:17], s[16:17] op_sel:[0,1]
	;; [unrolled: 1-line block ×3, first 2 shown]
                                        ; implicit-def: $sgpr46_sgpr47
                                        ; implicit-def: $vgpr53
	s_and_saveexec_b64 s[40:41], vcc
	s_cbranch_execz .LBB1628_114
; %bb.89:
	v_mov_b32_e32 v3, s7
	v_cmp_eq_u32_e32 vcc, v37, v30
	v_add_u32_e32 v2, 12, v54
	v_cndmask_b32_e32 v3, v3, v39, vcc
	v_cmp_ne_u32_e32 vcc, v37, v30
	v_and_b32_e32 v3, 0xffff, v3
	v_cndmask_b32_e64 v4, 0, 1, vcc
	v_cmp_gt_u32_e32 vcc, s76, v2
	v_mov_b32_e32 v2, 0
	v_pk_mov_b32 v[10:11], s[12:13], s[12:13] op_sel:[0,1]
	v_lshl_or_b32 v5, v4, 16, v3
	v_mov_b32_e32 v3, v2
	v_mov_b32_e32 v4, v2
	s_mov_b64 s[44:45], 0
	v_pk_mov_b32 v[12:13], s[14:15], s[14:15] op_sel:[0,1]
	v_pk_mov_b32 v[14:15], s[16:17], s[16:17] op_sel:[0,1]
	;; [unrolled: 1-line block ×3, first 2 shown]
                                        ; implicit-def: $sgpr12_sgpr13
                                        ; implicit-def: $vgpr53
	s_and_saveexec_b64 s[42:43], vcc
	s_cbranch_execz .LBB1628_113
; %bb.90:
	v_lshrrev_b32_e32 v3, 16, v39
	v_mov_b32_e32 v4, s7
	v_cmp_eq_u32_e32 vcc, v30, v31
	s_mov_b32 s12, 0
	v_add_u32_e32 v10, 13, v54
	v_cndmask_b32_e32 v3, v4, v3, vcc
	v_cmp_ne_u32_e32 vcc, v30, v31
	s_mov_b32 s13, s12
	v_and_b32_e32 v3, 0xffff, v3
	v_cndmask_b32_e64 v4, 0, 1, vcc
	v_cmp_gt_u32_e32 vcc, s76, v10
	s_mov_b32 s14, s12
	s_mov_b32 s15, s12
	s_mov_b32 s16, s12
	s_mov_b32 s17, s12
	s_mov_b32 s18, s12
	s_mov_b32 s19, s12
	v_pk_mov_b32 v[10:11], s[12:13], s[12:13] op_sel:[0,1]
	v_lshl_or_b32 v4, v4, 16, v3
	v_mov_b32_e32 v3, v2
	s_mov_b64 s[46:47], 0
	v_pk_mov_b32 v[12:13], s[14:15], s[14:15] op_sel:[0,1]
	v_pk_mov_b32 v[14:15], s[16:17], s[16:17] op_sel:[0,1]
	;; [unrolled: 1-line block ×3, first 2 shown]
                                        ; implicit-def: $sgpr48_sgpr49
                                        ; implicit-def: $vgpr53
	s_and_saveexec_b64 s[44:45], vcc
	s_cbranch_execz .LBB1628_112
; %bb.91:
	v_mov_b32_e32 v3, s7
	v_cmp_eq_u32_e32 vcc, v31, v32
	v_cndmask_b32_e32 v3, v3, v40, vcc
	v_cmp_ne_u32_e32 vcc, v31, v32
	v_and_b32_e32 v3, 0xffff, v3
	v_cndmask_b32_e64 v10, 0, 1, vcc
	v_add_u32_e32 v2, 14, v54
	v_lshl_or_b32 v3, v10, 16, v3
	v_pk_mov_b32 v[10:11], s[12:13], s[12:13] op_sel:[0,1]
	v_cmp_gt_u32_e32 vcc, s76, v2
	v_mov_b32_e32 v2, s12
	v_pk_mov_b32 v[12:13], s[14:15], s[14:15] op_sel:[0,1]
	v_pk_mov_b32 v[14:15], s[16:17], s[16:17] op_sel:[0,1]
	;; [unrolled: 1-line block ×3, first 2 shown]
                                        ; implicit-def: $sgpr14_sgpr15
                                        ; implicit-def: $vgpr53
	s_and_saveexec_b64 s[12:13], vcc
	s_cbranch_execz .LBB1628_111
; %bb.92:
	v_lshrrev_b32_e32 v2, 16, v40
	v_mov_b32_e32 v11, s7
	v_cmp_eq_u32_e32 vcc, v32, v33
	v_cndmask_b32_e32 v2, v11, v2, vcc
	v_cmp_ne_u32_e32 vcc, v32, v33
	s_mov_b32 s80, 0
	v_add_u32_e32 v10, 15, v54
	v_and_b32_e32 v2, 0xffff, v2
	v_cndmask_b32_e64 v11, 0, 1, vcc
	s_mov_b32 s81, s80
	v_lshl_or_b32 v2, v11, 16, v2
	v_cmp_gt_u32_e32 vcc, s76, v10
	s_mov_b32 s82, s80
	s_mov_b32 s83, s80
	;; [unrolled: 1-line block ×6, first 2 shown]
	v_pk_mov_b32 v[10:11], s[80:81], s[80:81] op_sel:[0,1]
	s_mov_b64 s[16:17], 0
	v_pk_mov_b32 v[12:13], s[82:83], s[82:83] op_sel:[0,1]
	v_pk_mov_b32 v[14:15], s[84:85], s[84:85] op_sel:[0,1]
	v_pk_mov_b32 v[16:17], s[86:87], s[86:87] op_sel:[0,1]
                                        ; implicit-def: $sgpr46_sgpr47
                                        ; implicit-def: $vgpr53
	s_and_saveexec_b64 s[14:15], vcc
	s_cbranch_execz .LBB1628_110
; %bb.93:
	v_mov_b32_e32 v10, s7
	v_cmp_eq_u32_e32 vcc, v33, v26
	v_cndmask_b32_e32 v10, v10, v41, vcc
	v_cmp_ne_u32_e32 vcc, v33, v26
	v_and_b32_e32 v10, 0xffff, v10
	v_cndmask_b32_e64 v12, 0, 1, vcc
	v_add_u32_e32 v11, 16, v54
	v_lshl_or_b32 v10, v12, 16, v10
	v_mov_b32_e32 v12, 0
	v_cmp_gt_u32_e32 vcc, s76, v11
	v_mov_b32_e32 v11, v12
	v_mov_b32_e32 v13, v12
	;; [unrolled: 1-line block ×6, first 2 shown]
	s_mov_b64 s[18:19], 0
                                        ; implicit-def: $sgpr48_sgpr49
                                        ; implicit-def: $vgpr53
	s_and_saveexec_b64 s[16:17], vcc
	s_cbranch_execz .LBB1628_109
; %bb.94:
	v_lshrrev_b32_e32 v11, 16, v41
	v_mov_b32_e32 v14, s7
	v_cmp_eq_u32_e32 vcc, v26, v27
	v_cndmask_b32_e32 v11, v14, v11, vcc
	v_cmp_ne_u32_e32 vcc, v26, v27
	v_add_u32_e32 v13, 17, v54
	v_and_b32_e32 v11, 0xffff, v11
	v_cndmask_b32_e64 v14, 0, 1, vcc
	v_lshl_or_b32 v11, v14, 16, v11
	v_cmp_gt_u32_e32 vcc, s76, v13
	v_mov_b32_e32 v13, v12
	v_mov_b32_e32 v14, v12
	;; [unrolled: 1-line block ×5, first 2 shown]
	s_mov_b64 s[46:47], 0
                                        ; implicit-def: $sgpr50_sgpr51
                                        ; implicit-def: $vgpr53
	s_and_saveexec_b64 s[18:19], vcc
	s_cbranch_execz .LBB1628_108
; %bb.95:
	ds_read_b96 v[30:32], v42 offset:34
	v_mov_b32_e32 v12, s7
	v_cmp_eq_u32_e32 vcc, v27, v28
	v_add_u32_e32 v13, 18, v54
	s_mov_b64 s[48:49], 0
	s_waitcnt lgkmcnt(0)
	v_cndmask_b32_e32 v12, v12, v30, vcc
	v_cmp_ne_u32_e32 vcc, v27, v28
	v_and_b32_e32 v12, 0xffff, v12
	v_cndmask_b32_e64 v14, 0, 1, vcc
	v_lshl_or_b32 v12, v14, 16, v12
	v_mov_b32_e32 v14, 0
	v_cmp_gt_u32_e32 vcc, s76, v13
	v_mov_b32_e32 v13, v14
	v_mov_b32_e32 v15, v14
	;; [unrolled: 1-line block ×4, first 2 shown]
                                        ; implicit-def: $sgpr52_sgpr53
                                        ; implicit-def: $vgpr53
	s_and_saveexec_b64 s[46:47], vcc
	s_cbranch_execz .LBB1628_107
; %bb.96:
	v_lshrrev_b32_e32 v13, 16, v30
	v_mov_b32_e32 v16, s7
	v_cmp_eq_u32_e32 vcc, v28, v29
	v_cndmask_b32_e32 v13, v16, v13, vcc
	v_cmp_ne_u32_e32 vcc, v28, v29
	v_add_u32_e32 v15, 19, v54
	v_and_b32_e32 v13, 0xffff, v13
	v_cndmask_b32_e64 v16, 0, 1, vcc
	v_lshl_or_b32 v13, v16, 16, v13
	v_cmp_gt_u32_e32 vcc, s76, v15
	v_mov_b32_e32 v15, v14
	v_mov_b32_e32 v16, v14
	;; [unrolled: 1-line block ×3, first 2 shown]
	s_mov_b64 s[50:51], 0
                                        ; implicit-def: $sgpr60_sgpr61
                                        ; implicit-def: $vgpr53
	s_and_saveexec_b64 s[48:49], vcc
	s_cbranch_execz .LBB1628_106
; %bb.97:
	v_mov_b32_e32 v14, s7
	v_cmp_eq_u32_e32 vcc, v29, v22
	v_cndmask_b32_e32 v14, v14, v31, vcc
	v_cmp_ne_u32_e32 vcc, v29, v22
	v_and_b32_e32 v14, 0xffff, v14
	v_cndmask_b32_e64 v16, 0, 1, vcc
	v_add_u32_e32 v15, 20, v54
	v_lshl_or_b32 v14, v16, 16, v14
	v_mov_b32_e32 v16, 0
	v_cmp_gt_u32_e32 vcc, s76, v15
	v_mov_b32_e32 v15, v16
	v_mov_b32_e32 v17, v16
	s_mov_b64 s[52:53], 0
                                        ; implicit-def: $sgpr72_sgpr73
                                        ; implicit-def: $vgpr53
	s_and_saveexec_b64 s[50:51], vcc
	s_cbranch_execz .LBB1628_105
; %bb.98:
	v_lshrrev_b32_e32 v15, 16, v31
	v_mov_b32_e32 v26, s7
	v_cmp_eq_u32_e32 vcc, v22, v23
	v_cndmask_b32_e32 v15, v26, v15, vcc
	v_cmp_ne_u32_e32 vcc, v22, v23
	v_add_u32_e32 v17, 21, v54
	v_and_b32_e32 v15, 0xffff, v15
	v_cndmask_b32_e64 v22, 0, 1, vcc
	v_lshl_or_b32 v15, v22, 16, v15
	v_cmp_gt_u32_e32 vcc, s76, v17
	s_mov_b32 s9, 0
	v_mov_b32_e32 v17, v16
	s_mov_b64 s[60:61], 0
                                        ; implicit-def: $sgpr74_sgpr75
                                        ; implicit-def: $vgpr53
	s_and_saveexec_b64 s[52:53], vcc
	s_cbranch_execz .LBB1628_104
; %bb.99:
	v_mov_b32_e32 v16, s7
	v_cmp_eq_u32_e32 vcc, v23, v24
	v_cndmask_b32_e32 v16, v16, v32, vcc
	v_cmp_ne_u32_e32 vcc, v23, v24
	v_add_u32_e32 v17, 22, v54
	v_and_b32_e32 v16, 0xffff, v16
	v_cndmask_b32_e64 v22, 0, 1, vcc
	v_lshl_or_b32 v16, v22, 16, v16
	v_cmp_gt_u32_e32 vcc, s76, v17
	v_mov_b32_e32 v17, s9
	s_mov_b64 s[72:73], 0
                                        ; implicit-def: $sgpr74_sgpr75
                                        ; implicit-def: $vgpr53
	s_and_saveexec_b64 s[60:61], vcc
	s_cbranch_execz .LBB1628_103
; %bb.100:
	v_lshrrev_b32_e32 v17, 16, v32
	v_mov_b32_e32 v23, s7
	v_cmp_eq_u32_e32 vcc, v24, v25
	v_cndmask_b32_e32 v17, v23, v17, vcc
	v_cmp_ne_u32_e32 vcc, v24, v25
	v_add_u32_e32 v22, 23, v54
	v_and_b32_e32 v17, 0xffff, v17
	v_cndmask_b32_e64 v23, 0, 1, vcc
	v_lshl_or_b32 v17, v23, 16, v17
	v_cmp_gt_u32_e32 vcc, s76, v22
                                        ; implicit-def: $sgpr74_sgpr75
                                        ; implicit-def: $vgpr53
	s_and_saveexec_b64 s[76:77], vcc
	s_xor_b64 s[76:77], exec, s[76:77]
	s_cbranch_execz .LBB1628_102
; %bb.101:
	ds_read_u16 v22, v42 offset:46
	v_mov_b32_e32 v23, s7
	v_cmp_ne_u32_e32 vcc, v25, v52
	s_mov_b64 s[72:73], exec
	s_and_b64 s[74:75], vcc, exec
	s_waitcnt lgkmcnt(0)
	v_cndmask_b32_e32 v53, v22, v23, vcc
.LBB1628_102:
	s_or_b64 exec, exec, s[76:77]
	s_and_b64 s[74:75], s[74:75], exec
	s_and_b64 s[72:73], s[72:73], exec
.LBB1628_103:
	s_or_b64 exec, exec, s[60:61]
	s_and_b64 s[74:75], s[74:75], exec
	s_and_b64 s[60:61], s[72:73], exec
.LBB1628_104:
	s_or_b64 exec, exec, s[52:53]
	s_and_b64 s[72:73], s[74:75], exec
	s_and_b64 s[52:53], s[60:61], exec
.LBB1628_105:
	s_or_b64 exec, exec, s[50:51]
	s_and_b64 s[60:61], s[72:73], exec
	s_and_b64 s[50:51], s[52:53], exec
.LBB1628_106:
	s_or_b64 exec, exec, s[48:49]
	s_and_b64 s[52:53], s[60:61], exec
	s_and_b64 s[48:49], s[50:51], exec
.LBB1628_107:
	s_or_b64 exec, exec, s[46:47]
	s_and_b64 s[50:51], s[52:53], exec
	s_and_b64 s[46:47], s[48:49], exec
.LBB1628_108:
	s_or_b64 exec, exec, s[18:19]
	s_and_b64 s[48:49], s[50:51], exec
	s_and_b64 s[18:19], s[46:47], exec
.LBB1628_109:
	s_or_b64 exec, exec, s[16:17]
	s_and_b64 s[46:47], s[48:49], exec
	s_and_b64 s[16:17], s[18:19], exec
.LBB1628_110:
	s_or_b64 exec, exec, s[14:15]
	s_and_b64 s[14:15], s[46:47], exec
	s_and_b64 s[46:47], s[16:17], exec
.LBB1628_111:
	s_or_b64 exec, exec, s[12:13]
	s_and_b64 s[48:49], s[14:15], exec
	s_and_b64 s[46:47], s[46:47], exec
.LBB1628_112:
	s_or_b64 exec, exec, s[44:45]
	s_and_b64 s[12:13], s[48:49], exec
	s_and_b64 s[44:45], s[46:47], exec
.LBB1628_113:
	s_or_b64 exec, exec, s[42:43]
	s_and_b64 s[46:47], s[12:13], exec
	s_and_b64 s[42:43], s[44:45], exec
.LBB1628_114:
	s_or_b64 exec, exec, s[40:41]
	s_and_b64 s[12:13], s[46:47], exec
	s_and_b64 s[40:41], s[42:43], exec
.LBB1628_115:
	s_or_b64 exec, exec, s[38:39]
	s_and_b64 s[42:43], s[12:13], exec
	s_and_b64 s[38:39], s[40:41], exec
.LBB1628_116:
	s_or_b64 exec, exec, s[36:37]
	s_and_b64 s[12:13], s[42:43], exec
	s_and_b64 s[36:37], s[38:39], exec
.LBB1628_117:
	s_or_b64 exec, exec, s[34:35]
	s_and_b64 s[38:39], s[12:13], exec
	s_and_b64 s[34:35], s[36:37], exec
.LBB1628_118:
	s_or_b64 exec, exec, s[30:31]
	s_and_b64 s[12:13], s[38:39], exec
	s_and_b64 s[30:31], s[34:35], exec
.LBB1628_119:
	s_or_b64 exec, exec, s[28:29]
	s_and_b64 s[34:35], s[12:13], exec
	s_and_b64 s[28:29], s[30:31], exec
.LBB1628_120:
	s_or_b64 exec, exec, s[26:27]
	s_and_b64 s[12:13], s[34:35], exec
	s_and_b64 s[26:27], s[28:29], exec
.LBB1628_121:
	s_or_b64 exec, exec, s[24:25]
	s_and_b64 s[28:29], s[12:13], exec
	s_and_b64 s[24:25], s[26:27], exec
.LBB1628_122:
	s_or_b64 exec, exec, s[22:23]
	s_and_b64 s[12:13], s[28:29], exec
	s_and_b64 s[24:25], s[24:25], exec
.LBB1628_123:
	s_or_b64 exec, exec, s[20:21]
	s_and_b64 s[26:27], s[12:13], exec
	s_and_b64 s[24:25], s[24:25], exec
.LBB1628_124:
	s_or_b64 exec, exec, s[10:11]
	s_and_b64 s[10:11], s[26:27], exec
	s_and_b64 s[12:13], s[24:25], exec
.LBB1628_125:
	s_or_b64 exec, exec, s[4:5]
	s_and_b64 vcc, exec, s[2:3]
	s_cbranch_vccnz .LBB1628_127
	s_branch .LBB1628_132
.LBB1628_126:
	s_mov_b64 s[12:13], 0
                                        ; implicit-def: $sgpr10_sgpr11
                                        ; implicit-def: $vgpr18_vgpr19_vgpr20_vgpr21
                                        ; implicit-def: $vgpr2_vgpr3_vgpr4_vgpr5_vgpr6_vgpr7_vgpr8_vgpr9
                                        ; implicit-def: $vgpr10_vgpr11_vgpr12_vgpr13_vgpr14_vgpr15_vgpr16_vgpr17
                                        ; implicit-def: $vgpr53
                                        ; implicit-def: $vgpr1
                                        ; implicit-def: $vgpr50
                                        ; implicit-def: $vgpr51
                                        ; implicit-def: $sgpr8
	s_and_b64 vcc, exec, s[2:3]
	s_cbranch_vccz .LBB1628_132
.LBB1628_127:
	v_lshlrev_b32_e32 v1, 2, v0
	v_mov_b32_e32 v3, s71
	v_add_co_u32_e32 v2, vcc, s70, v1
	v_addc_co_u32_e32 v3, vcc, 0, v3, vcc
	s_movk_i32 s2, 0x1000
	flat_load_dword v4, v[2:3]
	flat_load_dword v5, v[2:3] offset:256
	flat_load_dword v6, v[2:3] offset:512
	flat_load_dword v7, v[2:3] offset:768
	flat_load_dword v8, v[2:3] offset:1024
	flat_load_dword v9, v[2:3] offset:1280
	flat_load_dword v10, v[2:3] offset:1536
	flat_load_dword v11, v[2:3] offset:1792
	flat_load_dword v12, v[2:3] offset:2048
	flat_load_dword v13, v[2:3] offset:2304
	flat_load_dword v14, v[2:3] offset:2560
	flat_load_dword v15, v[2:3] offset:2816
	flat_load_dword v16, v[2:3] offset:3072
	flat_load_dword v17, v[2:3] offset:3328
	flat_load_dword v18, v[2:3] offset:3584
	flat_load_dword v19, v[2:3] offset:3840
	v_add_co_u32_e32 v2, vcc, s2, v2
	v_addc_co_u32_e32 v3, vcc, 0, v3, vcc
	flat_load_dword v20, v[2:3]
	flat_load_dword v21, v[2:3] offset:256
	flat_load_dword v22, v[2:3] offset:512
	flat_load_dword v23, v[2:3] offset:768
	flat_load_dword v24, v[2:3] offset:1024
	flat_load_dword v25, v[2:3] offset:1280
	flat_load_dword v26, v[2:3] offset:1536
	flat_load_dword v27, v[2:3] offset:1792
	v_mov_b32_e32 v2, s70
	v_mov_b32_e32 v3, s71
	v_add_co_u32_e32 v2, vcc, s2, v2
	v_addc_co_u32_e32 v3, vcc, 0, v3, vcc
	s_movk_i32 s2, 0x5c
	v_cmp_ne_u32_e32 vcc, 63, v0
	s_waitcnt vmcnt(0) lgkmcnt(0)
	ds_write2st64_b32 v1, v4, v5 offset1:1
	ds_write2st64_b32 v1, v6, v7 offset0:2 offset1:3
	ds_write2st64_b32 v1, v8, v9 offset0:4 offset1:5
	;; [unrolled: 1-line block ×11, first 2 shown]
	s_waitcnt lgkmcnt(0)
	; wave barrier
	s_waitcnt lgkmcnt(0)
	flat_load_dword v40, v[2:3] offset:2048
	v_mad_u32_u24 v6, v0, s2, v1
	s_movk_i32 s2, 0xffa4
	ds_read2_b32 v[22:23], v6 offset0:6 offset1:23
	ds_read_b64 v[18:19], v6
	ds_read2_b64 v[2:5], v6 offset0:1 offset1:2
	ds_read2_b32 v[32:33], v6 offset0:13 offset1:14
	ds_read2_b32 v[34:35], v6 offset0:11 offset1:12
	;; [unrolled: 1-line block ×8, first 2 shown]
	v_mad_i32_i24 v6, v0, s2, v6
	s_waitcnt lgkmcnt(0)
	ds_write_b32 v6, v18 offset:6400
	s_waitcnt lgkmcnt(0)
	; wave barrier
	s_waitcnt lgkmcnt(0)
	s_and_saveexec_b64 s[2:3], vcc
	s_cbranch_execz .LBB1628_129
; %bb.128:
	s_waitcnt vmcnt(0)
	ds_read_b32 v40, v1 offset:6404
.LBB1628_129:
	s_or_b64 exec, exec, s[2:3]
	v_lshlrev_b32_e32 v1, 1, v0
	v_mov_b32_e32 v7, s78
	v_add_co_u32_e32 v8, vcc, s59, v1
	v_addc_co_u32_e32 v9, vcc, 0, v7, vcc
	s_waitcnt lgkmcnt(0)
	; wave barrier
	s_waitcnt lgkmcnt(0)
	flat_load_ushort v7, v[8:9]
	flat_load_ushort v10, v[8:9] offset:128
	flat_load_ushort v11, v[8:9] offset:256
	;; [unrolled: 1-line block ×23, first 2 shown]
	v_sub_u32_e32 v1, v6, v1
	v_mad_u32_u24 v54, v0, 46, v1
	v_cmp_eq_u32_e32 vcc, v18, v19
	v_mov_b32_e32 v18, s7
	s_waitcnt vmcnt(0) lgkmcnt(0)
	ds_write_b16 v1, v7
	ds_write_b16 v1, v10 offset:128
	ds_write_b16 v1, v11 offset:256
	;; [unrolled: 1-line block ×23, first 2 shown]
	s_waitcnt lgkmcnt(0)
	; wave barrier
	s_waitcnt lgkmcnt(0)
	ds_read_b96 v[14:16], v54 offset:2
	ds_read_b128 v[6:9], v54 offset:14
	ds_read_b128 v[10:13], v54 offset:30
	ds_read_u16 v41, v54 offset:46
	v_mov_b32_e32 v17, 0x10000
	s_and_saveexec_b64 s[2:3], vcc
	s_cbranch_execz .LBB1628_131
; %bb.130:
	v_mul_u32_u24_e32 v17, 46, v0
	v_add_u32_e32 v1, v1, v17
	ds_read_u16 v18, v1
	v_mov_b32_e32 v17, 0
.LBB1628_131:
	s_or_b64 exec, exec, s[2:3]
	v_mov_b32_e32 v47, s7
	v_cmp_eq_u32_e32 vcc, v19, v2
	s_waitcnt lgkmcnt(3)
	v_lshrrev_b32_e32 v21, 16, v14
	v_cndmask_b32_e32 v14, v47, v14, vcc
	v_cmp_ne_u32_e32 vcc, v19, v2
	s_waitcnt lgkmcnt(0)
	v_or_b32_sdwa v1, v17, v18 dst_sel:DWORD dst_unused:UNUSED_PAD src0_sel:DWORD src1_sel:WORD_0
	v_and_b32_e32 v14, 0xffff, v14
	v_cndmask_b32_e64 v17, 0, 1, vcc
	v_cmp_eq_u32_e32 vcc, v2, v3
	v_lshrrev_b32_e32 v20, 16, v15
	v_lshl_or_b32 v50, v17, 16, v14
	v_cndmask_b32_e32 v14, v47, v21, vcc
	v_cmp_eq_u32_e32 vcc, v4, v5
	v_cndmask_b32_e32 v17, v47, v20, vcc
	v_cmp_eq_u32_e32 vcc, v3, v4
	;; [unrolled: 2-line block ×3, first 2 shown]
	v_lshrrev_b32_e32 v42, 16, v16
	v_cndmask_b32_e32 v16, v47, v16, vcc
	v_cmp_ne_u32_e32 vcc, v3, v4
	v_and_b32_e32 v15, 0xffff, v15
	v_cndmask_b32_e64 v18, 0, 1, vcc
	v_cmp_ne_u32_e32 vcc, v5, v22
	v_lshl_or_b32 v20, v18, 16, v15
	v_cndmask_b32_e64 v15, 0, 1, vcc
	v_cmp_ne_u32_e32 vcc, v2, v3
	v_and_b32_e32 v14, 0xffff, v14
	v_cndmask_b32_e64 v2, 0, 1, vcc
	v_cmp_ne_u32_e32 vcc, v4, v5
	v_and_b32_e32 v17, 0xffff, v17
	v_lshl_or_b32 v21, v2, 16, v14
	v_cndmask_b32_e64 v2, 0, 1, vcc
	v_cmp_eq_u32_e32 vcc, v22, v38
	v_lshl_or_b32 v19, v2, 16, v17
	v_cndmask_b32_e32 v2, v47, v42, vcc
	v_cmp_ne_u32_e32 vcc, v22, v38
	v_lshrrev_b32_e32 v46, 16, v6
	v_and_b32_e32 v2, 0xffff, v2
	v_cndmask_b32_e64 v3, 0, 1, vcc
	v_cmp_eq_u32_e32 vcc, v39, v36
	v_lshrrev_b32_e32 v45, 16, v7
	v_lshl_or_b32 v51, v3, 16, v2
	v_cndmask_b32_e32 v2, v47, v46, vcc
	v_cmp_eq_u32_e32 vcc, v37, v34
	v_lshrrev_b32_e32 v44, 16, v8
	v_cndmask_b32_e32 v3, v47, v45, vcc
	v_cmp_eq_u32_e32 vcc, v35, v32
	v_lshrrev_b32_e32 v43, 16, v9
	v_cndmask_b32_e32 v4, v47, v44, vcc
	v_cmp_eq_u32_e32 vcc, v33, v26
	v_cndmask_b32_e32 v5, v47, v43, vcc
	v_cmp_eq_u32_e32 vcc, v38, v39
	v_cndmask_b32_e32 v6, v47, v6, vcc
	v_cmp_eq_u32_e32 vcc, v36, v37
	v_cndmask_b32_e32 v7, v47, v7, vcc
	v_cmp_eq_u32_e32 vcc, v34, v35
	v_cndmask_b32_e32 v8, v47, v8, vcc
	v_cmp_eq_u32_e32 vcc, v32, v33
	v_cndmask_b32_e32 v9, v47, v9, vcc
	v_cmp_ne_u32_e32 vcc, v38, v39
	v_and_b32_e32 v16, 0xffff, v16
	v_and_b32_e32 v14, 0xffff, v5
	;; [unrolled: 1-line block ×4, first 2 shown]
	v_cndmask_b32_e64 v8, 0, 1, vcc
	v_cmp_ne_u32_e32 vcc, v36, v37
	v_lshl_or_b32 v18, v15, 16, v16
	v_and_b32_e32 v15, 0xffff, v3
	v_and_b32_e32 v3, 0xffff, v9
	;; [unrolled: 1-line block ×3, first 2 shown]
	v_lshl_or_b32 v9, v8, 16, v6
	v_cndmask_b32_e64 v6, 0, 1, vcc
	v_cmp_ne_u32_e32 vcc, v34, v35
	v_lshl_or_b32 v7, v6, 16, v7
	v_cndmask_b32_e64 v6, 0, 1, vcc
	v_cmp_ne_u32_e32 vcc, v32, v33
	;; [unrolled: 3-line block ×3, first 2 shown]
	v_and_b32_e32 v2, 0xffff, v2
	v_lshl_or_b32 v3, v6, 16, v3
	v_cndmask_b32_e64 v6, 0, 1, vcc
	v_cmp_ne_u32_e32 vcc, v37, v34
	v_lshl_or_b32 v8, v6, 16, v2
	v_cndmask_b32_e64 v2, 0, 1, vcc
	v_cmp_ne_u32_e32 vcc, v35, v32
	v_and_b32_e32 v4, 0xffff, v4
	v_lshl_or_b32 v6, v2, 16, v15
	v_cndmask_b32_e64 v2, 0, 1, vcc
	v_cmp_ne_u32_e32 vcc, v33, v26
	v_lshl_or_b32 v4, v2, 16, v4
	v_cndmask_b32_e64 v2, 0, 1, vcc
	v_lshl_or_b32 v2, v2, 16, v14
	v_lshrrev_b32_e32 v14, 16, v13
	v_cmp_eq_u32_e32 vcc, v31, v23
	v_cndmask_b32_e32 v14, v47, v14, vcc
	v_lshrrev_b32_e32 v15, 16, v12
	v_cmp_eq_u32_e32 vcc, v29, v30
	v_cndmask_b32_e32 v15, v47, v15, vcc
	;; [unrolled: 3-line block ×4, first 2 shown]
	v_cmp_eq_u32_e32 vcc, v30, v31
	v_cndmask_b32_e32 v13, v47, v13, vcc
	v_cmp_eq_u32_e32 vcc, v28, v29
	v_cndmask_b32_e32 v12, v47, v12, vcc
	v_cmp_eq_u32_e32 vcc, v24, v25
	v_cndmask_b32_e32 v11, v47, v11, vcc
	v_cmp_eq_u32_e32 vcc, v26, v27
	v_cndmask_b32_e32 v10, v47, v10, vcc
	v_cmp_ne_u32_e32 vcc, v30, v31
	v_and_b32_e32 v22, 0xffff, v17
	v_and_b32_e32 v17, 0xffff, v14
	;; [unrolled: 1-line block ×3, first 2 shown]
	v_cndmask_b32_e64 v14, 0, 1, vcc
	v_cmp_ne_u32_e32 vcc, v28, v29
	v_and_b32_e32 v32, 0xffff, v16
	v_and_b32_e32 v12, 0xffff, v12
	v_lshl_or_b32 v16, v14, 16, v13
	v_cndmask_b32_e64 v13, 0, 1, vcc
	v_cmp_ne_u32_e32 vcc, v24, v25
	v_and_b32_e32 v11, 0xffff, v11
	v_lshl_or_b32 v14, v13, 16, v12
	v_cndmask_b32_e64 v12, 0, 1, vcc
	v_cmp_ne_u32_e32 vcc, v26, v27
	;; [unrolled: 4-line block ×3, first 2 shown]
	v_lshl_or_b32 v10, v11, 16, v10
	v_cndmask_b32_e64 v11, 0, 1, vcc
	v_cmp_ne_u32_e32 vcc, v29, v30
	v_and_b32_e32 v15, 0xffff, v15
	v_lshl_or_b32 v17, v11, 16, v17
	v_cndmask_b32_e64 v11, 0, 1, vcc
	v_cmp_ne_u32_e32 vcc, v25, v28
	v_lshl_or_b32 v15, v11, 16, v15
	v_cndmask_b32_e64 v11, 0, 1, vcc
	v_cmp_ne_u32_e32 vcc, v27, v24
	v_lshl_or_b32 v13, v11, 16, v32
	v_cndmask_b32_e64 v11, 0, 1, vcc
	v_cmp_ne_u32_e64 s[10:11], v23, v40
	v_lshl_or_b32 v11, v11, 16, v22
	v_cndmask_b32_e64 v53, v41, v47, s[10:11]
	s_mov_b64 s[12:13], -1
                                        ; implicit-def: $sgpr8
.LBB1628_132:
	v_mov_b32_e32 v32, s8
	s_and_saveexec_b64 s[2:3], s[12:13]
; %bb.133:
	v_mov_b32_e32 v22, 0x10000
	v_cndmask_b32_e64 v22, 0, v22, s[10:11]
	v_or_b32_sdwa v32, v22, v53 dst_sel:DWORD dst_unused:UNUSED_PAD src0_sel:DWORD src1_sel:WORD_0
; %bb.134:
	s_or_b64 exec, exec, s[2:3]
	s_cmp_lg_u32 s6, 0
	v_mbcnt_lo_u32_b32 v33, -1, 0
	s_waitcnt lgkmcnt(0)
	; wave barrier
	s_waitcnt lgkmcnt(0)
	s_cbranch_scc0 .LBB1628_219
; %bb.135:
	s_mov_b32 s48, 0x10000
	v_cmp_gt_u32_e64 s[2:3], s48, v50
	v_cndmask_b32_e64 v22, 0, v1, s[2:3]
	v_add_u16_e32 v22, v22, v50
	v_cmp_gt_u32_e64 s[4:5], s48, v21
	v_cndmask_b32_e64 v22, 0, v22, s[4:5]
	v_add_u16_e32 v22, v22, v21
	;; [unrolled: 3-line block ×16, first 2 shown]
	v_cmp_gt_u32_e64 s[36:37], s48, v12
	v_cndmask_b32_e64 v22, 0, v22, s[36:37]
	v_or3_b32 v24, v32, v17, v16
	v_add_u16_e32 v22, v22, v12
	v_cmp_gt_u32_e64 s[38:39], s48, v13
	v_or3_b32 v24, v24, v15, v14
	v_cndmask_b32_e64 v22, 0, v22, s[38:39]
	v_or3_b32 v24, v24, v13, v12
	v_add_u16_e32 v22, v22, v13
	v_cmp_gt_u32_e64 s[40:41], s48, v14
	v_or3_b32 v24, v24, v11, v10
	;; [unrolled: 5-line block ×5, first 2 shown]
	v_cndmask_b32_e64 v22, 0, v22, s[46:47]
	v_or3_b32 v24, v24, v21, v50
	v_add_u16_e32 v22, v22, v17
	v_cmp_gt_u32_e32 vcc, s48, v32
	v_and_b32_e32 v24, 0x10000, v24
	v_and_b32_e32 v23, 0x10000, v1
	v_cndmask_b32_e32 v25, 0, v22, vcc
	v_mov_b32_e32 v26, 0x10000
	v_cmp_ne_u32_e32 vcc, 0, v24
	v_add_u16_e32 v22, v25, v32
	v_cndmask_b32_e32 v24, v23, v26, vcc
	v_add_u16_e32 v26, v25, v32
	v_mbcnt_hi_u32_b32 v25, -1, v33
	v_and_b32_e32 v27, 15, v25
	v_or_b32_e32 v26, v24, v26
	v_lshrrev_b32_e32 v23, 16, v24
	v_cmp_ne_u32_e32 vcc, 0, v27
	v_mov_b32_dpp v28, v26 row_shr:1 row_mask:0xf bank_mask:0xf
	s_and_saveexec_b64 s[48:49], vcc
	s_cbranch_execz .LBB1628_137
; %bb.136:
	v_cmp_eq_u32_e32 vcc, 0, v24
	v_and_b32_e32 v23, 0x10000, v24
	v_mov_b32_e32 v24, 1
	v_cndmask_b32_e32 v26, 0, v28, vcc
	v_and_b32_sdwa v24, v28, v24 dst_sel:DWORD dst_unused:UNUSED_PAD src0_sel:WORD_1 src1_sel:DWORD
	v_cmp_ne_u32_e32 vcc, 0, v23
	v_cndmask_b32_e64 v23, v24, 1, vcc
	v_add_u16_e32 v29, v26, v22
	v_lshlrev_b32_e32 v24, 16, v23
	v_add_u16_e32 v22, v26, v22
	v_or_b32_e32 v26, v24, v22
	v_mov_b32_e32 v22, v29
.LBB1628_137:
	s_or_b64 exec, exec, s[48:49]
	v_lshrrev_b32_e32 v24, 16, v26
	v_mov_b32_dpp v28, v26 row_shr:2 row_mask:0xf bank_mask:0xf
	v_cmp_lt_u32_e32 vcc, 1, v27
	s_and_saveexec_b64 s[48:49], vcc
	s_cbranch_execz .LBB1628_139
; %bb.138:
	s_mov_b32 s52, 0x10000
	v_cmp_gt_u32_e32 vcc, s52, v26
	v_and_b32_e32 v23, 0x10000, v26
	v_mov_b32_e32 v26, 1
	v_cndmask_b32_e32 v24, 0, v28, vcc
	v_and_b32_sdwa v26, v28, v26 dst_sel:DWORD dst_unused:UNUSED_PAD src0_sel:WORD_1 src1_sel:DWORD
	v_cmp_ne_u32_e32 vcc, 0, v23
	v_cndmask_b32_e64 v23, v26, 1, vcc
	v_add_u16_e32 v29, v24, v22
	v_lshlrev_b32_e32 v26, 16, v23
	v_add_u16_e32 v22, v24, v22
	v_or_b32_e32 v26, v26, v22
	v_mov_b32_e32 v22, v29
	v_mov_b32_e32 v24, v23
.LBB1628_139:
	s_or_b64 exec, exec, s[48:49]
	v_mov_b32_dpp v28, v26 row_shr:4 row_mask:0xf bank_mask:0xf
	v_cmp_lt_u32_e32 vcc, 3, v27
	s_and_saveexec_b64 s[48:49], vcc
	s_cbranch_execz .LBB1628_141
; %bb.140:
	v_cmp_eq_u16_e32 vcc, 0, v24
	v_and_b32_e32 v23, 1, v24
	v_mov_b32_e32 v24, 1
	v_cndmask_b32_e32 v26, 0, v28, vcc
	v_and_b32_sdwa v24, v28, v24 dst_sel:DWORD dst_unused:UNUSED_PAD src0_sel:WORD_1 src1_sel:DWORD
	v_cmp_eq_u32_e32 vcc, 1, v23
	v_cndmask_b32_e64 v23, v24, 1, vcc
	v_add_u16_e32 v29, v26, v22
	v_lshlrev_b32_e32 v24, 16, v23
	v_add_u16_e32 v22, v26, v22
	v_or_b32_e32 v26, v24, v22
	v_mov_b32_e32 v22, v29
	v_mov_b32_e32 v24, v23
.LBB1628_141:
	s_or_b64 exec, exec, s[48:49]
	v_mov_b32_dpp v28, v26 row_shr:8 row_mask:0xf bank_mask:0xf
	v_cmp_lt_u32_e32 vcc, 7, v27
	s_and_saveexec_b64 s[48:49], vcc
	s_cbranch_execz .LBB1628_143
; %bb.142:
	v_cmp_eq_u16_e32 vcc, 0, v24
	v_and_b32_e32 v23, 1, v24
	v_mov_b32_e32 v24, 1
	v_cndmask_b32_e32 v26, 0, v28, vcc
	v_and_b32_sdwa v24, v28, v24 dst_sel:DWORD dst_unused:UNUSED_PAD src0_sel:WORD_1 src1_sel:DWORD
	v_cmp_eq_u32_e32 vcc, 1, v23
	v_cndmask_b32_e64 v23, v24, 1, vcc
	v_add_u16_e32 v27, v26, v22
	v_lshlrev_b32_e32 v24, 16, v23
	v_add_u16_e32 v22, v26, v22
	v_or_b32_e32 v26, v24, v22
	v_mov_b32_e32 v22, v27
	v_mov_b32_e32 v24, v23
.LBB1628_143:
	s_or_b64 exec, exec, s[48:49]
	v_and_b32_e32 v28, 16, v25
	v_mov_b32_dpp v27, v26 row_bcast:15 row_mask:0xf bank_mask:0xf
	v_cmp_ne_u32_e32 vcc, 0, v28
	s_and_saveexec_b64 s[48:49], vcc
	s_cbranch_execz .LBB1628_145
; %bb.144:
	v_cmp_eq_u16_e32 vcc, 0, v24
	v_and_b32_e32 v23, 1, v24
	v_mov_b32_e32 v24, 1
	v_cndmask_b32_e32 v26, 0, v27, vcc
	v_and_b32_sdwa v24, v27, v24 dst_sel:DWORD dst_unused:UNUSED_PAD src0_sel:WORD_1 src1_sel:DWORD
	v_cmp_eq_u32_e32 vcc, 1, v23
	v_cndmask_b32_e64 v23, v24, 1, vcc
	v_add_u16_e32 v28, v26, v22
	v_lshlrev_b32_e32 v24, 16, v23
	v_add_u16_e32 v22, v26, v22
	v_or_b32_e32 v26, v24, v22
	v_mov_b32_e32 v22, v28
	v_mov_b32_e32 v24, v23
.LBB1628_145:
	s_or_b64 exec, exec, s[48:49]
	v_mov_b32_dpp v26, v26 row_bcast:31 row_mask:0xf bank_mask:0xf
	v_cmp_lt_u32_e32 vcc, 31, v25
	s_and_saveexec_b64 s[48:49], vcc
; %bb.146:
	v_cmp_eq_u16_e32 vcc, 0, v24
	v_cndmask_b32_e32 v23, 0, v26, vcc
	v_add_u16_e32 v22, v23, v22
	v_and_b32_e32 v23, 1, v24
	v_mov_b32_e32 v24, 1
	v_and_b32_sdwa v24, v26, v24 dst_sel:DWORD dst_unused:UNUSED_PAD src0_sel:WORD_1 src1_sel:DWORD
	v_cmp_eq_u32_e32 vcc, 1, v23
	v_cndmask_b32_e64 v23, v24, 1, vcc
	v_mov_b32_e32 v24, v23
; %bb.147:
	s_or_b64 exec, exec, s[48:49]
	v_cmp_eq_u32_e32 vcc, 63, v0
	s_and_saveexec_b64 s[48:49], vcc
	s_cbranch_execz .LBB1628_149
; %bb.148:
	v_mov_b32_e32 v26, 0
	ds_write_b16 v26, v22
	ds_write_b8 v26, v24 offset:2
.LBB1628_149:
	s_or_b64 exec, exec, s[48:49]
	v_lshlrev_b32_e32 v23, 16, v23
	v_or_b32_sdwa v22, v23, v22 dst_sel:DWORD dst_unused:UNUSED_PAD src0_sel:DWORD src1_sel:WORD_0
	v_add_u32_e32 v23, -1, v25
	v_and_b32_e32 v24, 64, v25
	v_cmp_lt_i32_e32 vcc, v23, v24
	v_cndmask_b32_e32 v23, v23, v25, vcc
	v_lshlrev_b32_e32 v23, 2, v23
	ds_bpermute_b32 v34, v23, v22
	v_cmp_gt_u32_e32 vcc, 64, v0
	s_waitcnt lgkmcnt(0)
	; wave barrier
	s_waitcnt lgkmcnt(0)
	s_and_saveexec_b64 s[52:53], vcc
	s_cbranch_execz .LBB1628_196
; %bb.150:
	v_mov_b32_e32 v31, 0
	ds_read_b32 v22, v31
	s_mov_b32 s71, 0
	v_cmp_eq_u32_e64 s[48:49], 0, v25
	s_and_saveexec_b64 s[60:61], s[48:49]
	s_cbranch_execz .LBB1628_152
; %bb.151:
	s_add_i32 s70, s6, 64
	s_lshl_b64 s[70:71], s[70:71], 3
	s_add_u32 s70, s56, s70
	v_mov_b32_e32 v23, 1
	s_addc_u32 s71, s57, s71
	s_waitcnt lgkmcnt(0)
	global_store_dwordx2 v31, v[22:23], s[70:71]
.LBB1628_152:
	s_or_b64 exec, exec, s[60:61]
	v_xad_u32 v24, v25, -1, s6
	v_add_u32_e32 v30, 64, v24
	v_lshlrev_b64 v[26:27], 3, v[30:31]
	v_mov_b32_e32 v23, s57
	v_add_co_u32_e32 v26, vcc, s56, v26
	v_addc_co_u32_e32 v27, vcc, v23, v27, vcc
	global_load_dwordx2 v[28:29], v[26:27], off glc
	s_waitcnt vmcnt(0)
	v_cmp_eq_u16_sdwa s[70:71], v29, v31 src0_sel:BYTE_0 src1_sel:DWORD
	s_and_saveexec_b64 s[60:61], s[70:71]
	s_cbranch_execz .LBB1628_158
; %bb.153:
	s_mov_b32 s59, 1
	s_mov_b64 s[70:71], 0
	v_mov_b32_e32 v23, 0
.LBB1628_154:                           ; =>This Loop Header: Depth=1
                                        ;     Child Loop BB1628_155 Depth 2
	s_max_u32 s72, s59, 1
.LBB1628_155:                           ;   Parent Loop BB1628_154 Depth=1
                                        ; =>  This Inner Loop Header: Depth=2
	s_add_i32 s72, s72, -1
	s_cmp_eq_u32 s72, 0
	s_sleep 1
	s_cbranch_scc0 .LBB1628_155
; %bb.156:                              ;   in Loop: Header=BB1628_154 Depth=1
	global_load_dwordx2 v[28:29], v[26:27], off glc
	s_cmp_lt_u32 s59, 32
	s_cselect_b64 s[72:73], -1, 0
	s_cmp_lg_u64 s[72:73], 0
	s_addc_u32 s59, s59, 0
	s_waitcnt vmcnt(0)
	v_cmp_ne_u16_sdwa s[72:73], v29, v23 src0_sel:BYTE_0 src1_sel:DWORD
	s_or_b64 s[70:71], s[72:73], s[70:71]
	s_andn2_b64 exec, exec, s[70:71]
	s_cbranch_execnz .LBB1628_154
; %bb.157:
	s_or_b64 exec, exec, s[70:71]
.LBB1628_158:
	s_or_b64 exec, exec, s[60:61]
	v_mov_b32_e32 v23, 2
	v_cmp_eq_u16_sdwa s[60:61], v29, v23 src0_sel:BYTE_0 src1_sel:DWORD
	v_lshlrev_b64 v[26:27], v25, -1
	v_and_b32_e32 v23, s61, v27
	v_or_b32_e32 v23, 0x80000000, v23
	v_ffbl_b32_e32 v23, v23
	v_add_u32_e32 v31, 32, v23
	v_and_b32_e32 v23, 63, v25
	v_cmp_ne_u32_e32 vcc, 63, v23
	v_addc_co_u32_e32 v35, vcc, 0, v25, vcc
	v_and_b32_e32 v46, 0xffffff, v28
	v_lshlrev_b32_e32 v35, 2, v35
	ds_bpermute_b32 v36, v35, v46
	v_and_b32_e32 v30, s60, v26
	v_ffbl_b32_e32 v30, v30
	v_min_u32_e32 v31, v30, v31
	v_lshrrev_b32_e32 v30, 16, v28
	v_cmp_lt_u32_e32 vcc, v23, v31
	v_bfe_u32 v44, v28, 16, 8
	s_and_saveexec_b64 s[60:61], vcc
	s_cbranch_execz .LBB1628_160
; %bb.159:
	v_and_b32_e32 v30, 0xff0000, v28
	v_cmp_eq_u32_e32 vcc, 0, v30
	v_and_b32_e32 v30, 0x10000, v30
	v_mov_b32_e32 v39, 1
	s_waitcnt lgkmcnt(0)
	v_cndmask_b32_e32 v37, 0, v36, vcc
	v_and_b32_sdwa v36, v36, v39 dst_sel:DWORD dst_unused:UNUSED_PAD src0_sel:WORD_1 src1_sel:DWORD
	v_cmp_ne_u32_e32 vcc, 0, v30
	v_cndmask_b32_e64 v30, v36, 1, vcc
	v_add_u16_e32 v38, v37, v28
	v_lshlrev_b32_e32 v36, 16, v30
	v_add_u16_e32 v28, v37, v28
	v_or_b32_e32 v46, v36, v28
	v_mov_b32_e32 v28, v38
	v_mov_b32_e32 v44, v30
.LBB1628_160:
	s_or_b64 exec, exec, s[60:61]
	v_cmp_gt_u32_e32 vcc, 62, v23
	s_waitcnt lgkmcnt(0)
	v_cndmask_b32_e64 v36, 0, 1, vcc
	v_lshlrev_b32_e32 v36, 1, v36
	v_add_lshl_u32 v36, v36, v25, 2
	ds_bpermute_b32 v38, v36, v46
	v_add_u32_e32 v37, 2, v23
	v_cmp_le_u32_e32 vcc, v37, v31
	s_and_saveexec_b64 s[60:61], vcc
	s_cbranch_execz .LBB1628_162
; %bb.161:
	v_cmp_eq_u16_e32 vcc, 0, v44
	v_and_b32_e32 v30, 1, v44
	v_mov_b32_e32 v41, 1
	s_waitcnt lgkmcnt(0)
	v_cndmask_b32_e32 v39, 0, v38, vcc
	v_and_b32_sdwa v38, v38, v41 dst_sel:DWORD dst_unused:UNUSED_PAD src0_sel:WORD_1 src1_sel:DWORD
	v_cmp_eq_u32_e32 vcc, 1, v30
	v_cndmask_b32_e64 v30, v38, 1, vcc
	v_add_u16_e32 v40, v39, v28
	v_lshlrev_b32_e32 v38, 16, v30
	v_add_u16_e32 v28, v39, v28
	v_or_b32_e32 v46, v38, v28
	v_mov_b32_e32 v28, v40
	v_mov_b32_e32 v44, v30
.LBB1628_162:
	s_or_b64 exec, exec, s[60:61]
	v_cmp_gt_u32_e32 vcc, 60, v23
	s_waitcnt lgkmcnt(0)
	v_cndmask_b32_e64 v38, 0, 1, vcc
	v_lshlrev_b32_e32 v38, 2, v38
	v_add_lshl_u32 v38, v38, v25, 2
	ds_bpermute_b32 v40, v38, v46
	v_add_u32_e32 v39, 4, v23
	v_cmp_le_u32_e32 vcc, v39, v31
	s_and_saveexec_b64 s[60:61], vcc
	s_cbranch_execz .LBB1628_164
; %bb.163:
	v_cmp_eq_u16_e32 vcc, 0, v44
	v_and_b32_e32 v30, 1, v44
	v_mov_b32_e32 v43, 1
	s_waitcnt lgkmcnt(0)
	v_cndmask_b32_e32 v41, 0, v40, vcc
	v_and_b32_sdwa v40, v40, v43 dst_sel:DWORD dst_unused:UNUSED_PAD src0_sel:WORD_1 src1_sel:DWORD
	v_cmp_eq_u32_e32 vcc, 1, v30
	v_cndmask_b32_e64 v30, v40, 1, vcc
	v_add_u16_e32 v42, v41, v28
	v_lshlrev_b32_e32 v40, 16, v30
	v_add_u16_e32 v28, v41, v28
	v_or_b32_e32 v46, v40, v28
	v_mov_b32_e32 v28, v42
	v_mov_b32_e32 v44, v30
.LBB1628_164:
	;; [unrolled: 27-line block ×4, first 2 shown]
	s_or_b64 exec, exec, s[60:61]
	v_cmp_gt_u32_e32 vcc, 32, v23
	s_waitcnt lgkmcnt(0)
	v_cndmask_b32_e64 v45, 0, 1, vcc
	v_lshlrev_b32_e32 v45, 5, v45
	v_add_lshl_u32 v45, v45, v25, 2
	ds_bpermute_b32 v25, v45, v46
	v_add_u32_e32 v47, 32, v23
	v_cmp_le_u32_e32 vcc, v47, v31
	s_and_saveexec_b64 s[60:61], vcc
	s_cbranch_execz .LBB1628_170
; %bb.169:
	v_cmp_eq_u16_e32 vcc, 0, v44
	s_waitcnt lgkmcnt(0)
	v_cndmask_b32_e32 v30, 0, v25, vcc
	v_add_u16_e32 v28, v30, v28
	v_and_b32_e32 v30, 1, v44
	v_mov_b32_e32 v31, 1
	v_and_b32_sdwa v25, v25, v31 dst_sel:DWORD dst_unused:UNUSED_PAD src0_sel:WORD_1 src1_sel:DWORD
	v_cmp_eq_u32_e32 vcc, 1, v30
	v_cndmask_b32_e64 v30, v25, 1, vcc
.LBB1628_170:
	s_or_b64 exec, exec, s[60:61]
	s_waitcnt lgkmcnt(0)
	v_mov_b32_e32 v25, 0
	v_mov_b32_e32 v48, 2
	;; [unrolled: 1-line block ×3, first 2 shown]
	s_branch .LBB1628_172
.LBB1628_171:                           ;   in Loop: Header=BB1628_172 Depth=1
	s_or_b64 exec, exec, s[60:61]
	v_cmp_eq_u16_sdwa vcc, v44, v25 src0_sel:BYTE_0 src1_sel:DWORD
	v_and_b32_e32 v30, 1, v44
	v_cndmask_b32_e32 v28, 0, v28, vcc
	v_and_b32_e32 v31, 1, v31
	v_cmp_eq_u32_e32 vcc, 1, v30
	v_subrev_u32_e32 v24, 64, v24
	v_add_u16_e32 v28, v28, v46
	v_cndmask_b32_e64 v30, v31, 1, vcc
.LBB1628_172:                           ; =>This Loop Header: Depth=1
                                        ;     Child Loop BB1628_175 Depth 2
                                        ;       Child Loop BB1628_176 Depth 3
	v_cmp_ne_u16_sdwa s[60:61], v29, v48 src0_sel:BYTE_0 src1_sel:DWORD
	v_cndmask_b32_e64 v29, 0, 1, s[60:61]
	;;#ASMSTART
	;;#ASMEND
	v_cmp_ne_u32_e32 vcc, 0, v29
	v_mov_b32_e32 v44, v30
	s_cmp_lg_u64 vcc, exec
	v_mov_b32_e32 v46, v28
	s_cbranch_scc1 .LBB1628_191
; %bb.173:                              ;   in Loop: Header=BB1628_172 Depth=1
	v_lshlrev_b64 v[28:29], 3, v[24:25]
	v_mov_b32_e32 v31, s57
	v_add_co_u32_e32 v30, vcc, s56, v28
	v_addc_co_u32_e32 v31, vcc, v31, v29, vcc
	global_load_dwordx2 v[28:29], v[30:31], off glc
	s_waitcnt vmcnt(0)
	v_cmp_eq_u16_sdwa s[70:71], v29, v25 src0_sel:BYTE_0 src1_sel:DWORD
	s_and_saveexec_b64 s[60:61], s[70:71]
	s_cbranch_execz .LBB1628_179
; %bb.174:                              ;   in Loop: Header=BB1628_172 Depth=1
	s_mov_b32 s59, 1
	s_mov_b64 s[70:71], 0
.LBB1628_175:                           ;   Parent Loop BB1628_172 Depth=1
                                        ; =>  This Loop Header: Depth=2
                                        ;       Child Loop BB1628_176 Depth 3
	s_max_u32 s72, s59, 1
.LBB1628_176:                           ;   Parent Loop BB1628_172 Depth=1
                                        ;     Parent Loop BB1628_175 Depth=2
                                        ; =>    This Inner Loop Header: Depth=3
	s_add_i32 s72, s72, -1
	s_cmp_eq_u32 s72, 0
	s_sleep 1
	s_cbranch_scc0 .LBB1628_176
; %bb.177:                              ;   in Loop: Header=BB1628_175 Depth=2
	global_load_dwordx2 v[28:29], v[30:31], off glc
	s_cmp_lt_u32 s59, 32
	s_cselect_b64 s[72:73], -1, 0
	s_cmp_lg_u64 s[72:73], 0
	s_addc_u32 s59, s59, 0
	s_waitcnt vmcnt(0)
	v_cmp_ne_u16_sdwa s[72:73], v29, v25 src0_sel:BYTE_0 src1_sel:DWORD
	s_or_b64 s[70:71], s[72:73], s[70:71]
	s_andn2_b64 exec, exec, s[70:71]
	s_cbranch_execnz .LBB1628_175
; %bb.178:                              ;   in Loop: Header=BB1628_172 Depth=1
	s_or_b64 exec, exec, s[70:71]
.LBB1628_179:                           ;   in Loop: Header=BB1628_172 Depth=1
	s_or_b64 exec, exec, s[60:61]
	v_cmp_eq_u16_sdwa s[60:61], v29, v48 src0_sel:BYTE_0 src1_sel:DWORD
	v_and_b32_e32 v30, s61, v27
	s_waitcnt lgkmcnt(0)
	v_and_b32_e32 v53, 0xffffff, v28
	v_or_b32_e32 v30, 0x80000000, v30
	ds_bpermute_b32 v54, v35, v53
	v_and_b32_e32 v31, s60, v26
	v_ffbl_b32_e32 v30, v30
	v_add_u32_e32 v30, 32, v30
	v_ffbl_b32_e32 v31, v31
	v_min_u32_e32 v30, v31, v30
	v_lshrrev_b32_e32 v31, 16, v28
	v_cmp_lt_u32_e32 vcc, v23, v30
	v_bfe_u32 v52, v28, 16, 8
	s_and_saveexec_b64 s[60:61], vcc
	s_cbranch_execz .LBB1628_181
; %bb.180:                              ;   in Loop: Header=BB1628_172 Depth=1
	v_and_b32_e32 v31, 0xff0000, v28
	v_cmp_eq_u32_e32 vcc, 0, v31
	v_and_b32_e32 v31, 0x10000, v31
	s_waitcnt lgkmcnt(0)
	v_cndmask_b32_e32 v52, 0, v54, vcc
	v_and_b32_sdwa v53, v54, v49 dst_sel:DWORD dst_unused:UNUSED_PAD src0_sel:WORD_1 src1_sel:DWORD
	v_cmp_ne_u32_e32 vcc, 0, v31
	v_cndmask_b32_e64 v31, v53, 1, vcc
	v_add_u16_e32 v55, v52, v28
	v_lshlrev_b32_e32 v53, 16, v31
	v_add_u16_e32 v28, v52, v28
	v_or_b32_e32 v53, v53, v28
	v_mov_b32_e32 v28, v55
	v_mov_b32_e32 v52, v31
.LBB1628_181:                           ;   in Loop: Header=BB1628_172 Depth=1
	s_or_b64 exec, exec, s[60:61]
	s_waitcnt lgkmcnt(0)
	ds_bpermute_b32 v54, v36, v53
	v_cmp_le_u32_e32 vcc, v37, v30
	s_and_saveexec_b64 s[60:61], vcc
	s_cbranch_execz .LBB1628_183
; %bb.182:                              ;   in Loop: Header=BB1628_172 Depth=1
	v_cmp_eq_u16_e32 vcc, 0, v52
	v_and_b32_e32 v31, 1, v52
	s_waitcnt lgkmcnt(0)
	v_cndmask_b32_e32 v53, 0, v54, vcc
	v_and_b32_sdwa v52, v54, v49 dst_sel:DWORD dst_unused:UNUSED_PAD src0_sel:WORD_1 src1_sel:DWORD
	v_cmp_eq_u32_e32 vcc, 1, v31
	v_cndmask_b32_e64 v31, v52, 1, vcc
	v_add_u16_e32 v55, v53, v28
	v_lshlrev_b32_e32 v52, 16, v31
	v_add_u16_e32 v28, v53, v28
	v_or_b32_e32 v53, v52, v28
	v_mov_b32_e32 v28, v55
	v_mov_b32_e32 v52, v31
.LBB1628_183:                           ;   in Loop: Header=BB1628_172 Depth=1
	s_or_b64 exec, exec, s[60:61]
	s_waitcnt lgkmcnt(0)
	ds_bpermute_b32 v54, v38, v53
	v_cmp_le_u32_e32 vcc, v39, v30
	s_and_saveexec_b64 s[60:61], vcc
	s_cbranch_execz .LBB1628_185
; %bb.184:                              ;   in Loop: Header=BB1628_172 Depth=1
	v_cmp_eq_u16_e32 vcc, 0, v52
	v_and_b32_e32 v31, 1, v52
	s_waitcnt lgkmcnt(0)
	v_cndmask_b32_e32 v53, 0, v54, vcc
	v_and_b32_sdwa v52, v54, v49 dst_sel:DWORD dst_unused:UNUSED_PAD src0_sel:WORD_1 src1_sel:DWORD
	v_cmp_eq_u32_e32 vcc, 1, v31
	v_cndmask_b32_e64 v31, v52, 1, vcc
	v_add_u16_e32 v55, v53, v28
	v_lshlrev_b32_e32 v52, 16, v31
	v_add_u16_e32 v28, v53, v28
	v_or_b32_e32 v53, v52, v28
	v_mov_b32_e32 v28, v55
	v_mov_b32_e32 v52, v31
.LBB1628_185:                           ;   in Loop: Header=BB1628_172 Depth=1
	;; [unrolled: 21-line block ×4, first 2 shown]
	s_or_b64 exec, exec, s[60:61]
	ds_bpermute_b32 v53, v45, v53
	v_cmp_le_u32_e32 vcc, v47, v30
	s_and_saveexec_b64 s[60:61], vcc
	s_cbranch_execz .LBB1628_171
; %bb.190:                              ;   in Loop: Header=BB1628_172 Depth=1
	v_cmp_eq_u16_e32 vcc, 0, v52
	s_waitcnt lgkmcnt(0)
	v_cndmask_b32_e32 v30, 0, v53, vcc
	v_add_u16_e32 v28, v30, v28
	v_and_b32_e32 v30, 1, v52
	v_lshrrev_b32_e32 v31, 16, v53
	v_cmp_eq_u32_e32 vcc, 1, v30
	v_cndmask_b32_e64 v31, v31, 1, vcc
	s_branch .LBB1628_171
.LBB1628_191:                           ;   in Loop: Header=BB1628_172 Depth=1
                                        ; implicit-def: $vgpr30
                                        ; implicit-def: $vgpr28
	s_cbranch_execz .LBB1628_172
; %bb.192:
	s_and_saveexec_b64 s[60:61], s[48:49]
	s_cbranch_execz .LBB1628_194
; %bb.193:
	v_and_b32_e32 v23, 0xff0000, v22
	s_mov_b32 s49, 0
	v_cmp_eq_u32_e32 vcc, 0, v23
	v_and_b32_e32 v24, 0x10000, v22
	v_mov_b32_e32 v25, 1
	s_add_i32 s48, s6, 64
	v_cndmask_b32_e32 v23, 0, v46, vcc
	v_and_b32_sdwa v25, v44, v25 dst_sel:WORD_1 dst_unused:UNUSED_PAD src0_sel:DWORD src1_sel:DWORD
	v_mov_b32_e32 v26, 0x10000
	v_cmp_eq_u32_e32 vcc, 0, v24
	s_lshl_b64 s[48:49], s[48:49], 3
	v_cndmask_b32_e32 v24, v26, v25, vcc
	s_add_u32 s48, s56, s48
	v_add_u16_e32 v22, v23, v22
	s_addc_u32 s49, s57, s49
	v_mov_b32_e32 v25, 0
	v_or_b32_e32 v22, v24, v22
	v_mov_b32_e32 v23, 2
	global_store_dwordx2 v25, v[22:23], s[48:49]
.LBB1628_194:
	s_or_b64 exec, exec, s[60:61]
	v_cmp_eq_u32_e32 vcc, 0, v0
	s_and_b64 exec, exec, vcc
	s_cbranch_execz .LBB1628_196
; %bb.195:
	v_mov_b32_e32 v22, 0
	ds_write_b16 v22, v46
	ds_write_b8 v22, v44 offset:2
.LBB1628_196:
	s_or_b64 exec, exec, s[52:53]
	v_mov_b32_e32 v22, 0
	s_waitcnt lgkmcnt(0)
	; wave barrier
	s_waitcnt lgkmcnt(0)
	ds_read_b32 v22, v22
	v_and_b32_e32 v23, 0xff0000, v34
	v_cmp_eq_u32_e32 vcc, 0, v23
	s_waitcnt lgkmcnt(0)
	v_cndmask_b32_e32 v23, 0, v22, vcc
	v_add_u32_e32 v23, v23, v34
	v_cmp_eq_u32_e32 vcc, 0, v0
	v_cndmask_b32_e32 v39, v23, v22, vcc
	v_and_b32_e32 v22, 0xff0000, v1
	v_cmp_eq_u32_e32 vcc, 0, v22
	v_cndmask_b32_e32 v22, 0, v39, vcc
	v_add_u16_e32 v22, v22, v1
	v_cndmask_b32_e64 v23, 0, v22, s[2:3]
	v_add_u16_e32 v23, v23, v50
	v_cndmask_b32_e64 v24, 0, v23, s[4:5]
	;; [unrolled: 2-line block ×22, first 2 shown]
	v_add_u16_e32 v47, v47, v17
	s_branch .LBB1628_239
.LBB1628_197:
	s_or_b64 exec, exec, s[52:53]
                                        ; implicit-def: $vgpr3
	s_and_saveexec_b64 s[52:53], s[2:3]
	s_cbranch_execz .LBB1628_53
.LBB1628_198:
	v_lshlrev_b32_e32 v3, 1, v0
	v_mov_b32_e32 v5, s78
	v_add_co_u32_e32 v4, vcc, s59, v3
	v_addc_co_u32_e32 v5, vcc, 0, v5, vcc
	flat_load_ushort v3, v[4:5] offset:128
	s_or_b64 exec, exec, s[52:53]
                                        ; implicit-def: $vgpr4
	s_and_saveexec_b64 s[2:3], s[4:5]
	s_cbranch_execnz .LBB1628_54
.LBB1628_199:
	s_or_b64 exec, exec, s[2:3]
                                        ; implicit-def: $vgpr5
	s_and_saveexec_b64 s[2:3], s[50:51]
	s_cbranch_execz .LBB1628_55
.LBB1628_200:
	v_lshlrev_b32_e32 v5, 1, v0
	v_mov_b32_e32 v7, s78
	v_add_co_u32_e32 v6, vcc, s59, v5
	v_addc_co_u32_e32 v7, vcc, 0, v7, vcc
	flat_load_ushort v5, v[6:7] offset:384
	s_or_b64 exec, exec, s[2:3]
                                        ; implicit-def: $vgpr6
	s_and_saveexec_b64 s[2:3], s[8:9]
	s_cbranch_execnz .LBB1628_56
.LBB1628_201:
	s_or_b64 exec, exec, s[2:3]
                                        ; implicit-def: $vgpr7
	s_and_saveexec_b64 s[2:3], s[10:11]
	s_cbranch_execz .LBB1628_57
.LBB1628_202:
	v_lshlrev_b32_e32 v7, 1, v0
	v_mov_b32_e32 v9, s78
	v_add_co_u32_e32 v8, vcc, s59, v7
	v_addc_co_u32_e32 v9, vcc, 0, v9, vcc
	flat_load_ushort v7, v[8:9] offset:640
	s_or_b64 exec, exec, s[2:3]
                                        ; implicit-def: $vgpr8
	s_and_saveexec_b64 s[2:3], s[12:13]
	s_cbranch_execnz .LBB1628_58
.LBB1628_203:
	s_or_b64 exec, exec, s[2:3]
                                        ; implicit-def: $vgpr9
	s_and_saveexec_b64 s[2:3], s[14:15]
	s_cbranch_execz .LBB1628_59
.LBB1628_204:
	v_lshlrev_b32_e32 v9, 1, v0
	v_mov_b32_e32 v11, s78
	v_add_co_u32_e32 v10, vcc, s59, v9
	v_addc_co_u32_e32 v11, vcc, 0, v11, vcc
	flat_load_ushort v9, v[10:11] offset:896
	s_or_b64 exec, exec, s[2:3]
                                        ; implicit-def: $vgpr10
	s_and_saveexec_b64 s[2:3], s[16:17]
	s_cbranch_execnz .LBB1628_60
.LBB1628_205:
	s_or_b64 exec, exec, s[2:3]
                                        ; implicit-def: $vgpr11
	s_and_saveexec_b64 s[2:3], s[18:19]
	s_cbranch_execz .LBB1628_61
.LBB1628_206:
	v_lshlrev_b32_e32 v11, 1, v0
	v_mov_b32_e32 v13, s78
	v_add_co_u32_e32 v12, vcc, s59, v11
	v_addc_co_u32_e32 v13, vcc, 0, v13, vcc
	flat_load_ushort v11, v[12:13] offset:1152
	s_or_b64 exec, exec, s[2:3]
                                        ; implicit-def: $vgpr12
	s_and_saveexec_b64 s[2:3], s[20:21]
	s_cbranch_execnz .LBB1628_62
.LBB1628_207:
	s_or_b64 exec, exec, s[2:3]
                                        ; implicit-def: $vgpr13
	s_and_saveexec_b64 s[2:3], s[22:23]
	s_cbranch_execz .LBB1628_63
.LBB1628_208:
	v_lshlrev_b32_e32 v13, 1, v0
	v_mov_b32_e32 v15, s78
	v_add_co_u32_e32 v14, vcc, s59, v13
	v_addc_co_u32_e32 v15, vcc, 0, v15, vcc
	flat_load_ushort v13, v[14:15] offset:1408
	s_or_b64 exec, exec, s[2:3]
                                        ; implicit-def: $vgpr14
	s_and_saveexec_b64 s[2:3], s[24:25]
	s_cbranch_execnz .LBB1628_64
.LBB1628_209:
	s_or_b64 exec, exec, s[2:3]
                                        ; implicit-def: $vgpr15
	s_and_saveexec_b64 s[2:3], s[26:27]
	s_cbranch_execz .LBB1628_65
.LBB1628_210:
	v_lshlrev_b32_e32 v15, 1, v0
	v_mov_b32_e32 v17, s78
	v_add_co_u32_e32 v16, vcc, s59, v15
	v_addc_co_u32_e32 v17, vcc, 0, v17, vcc
	flat_load_ushort v15, v[16:17] offset:1664
	s_or_b64 exec, exec, s[2:3]
                                        ; implicit-def: $vgpr16
	s_and_saveexec_b64 s[2:3], s[28:29]
	s_cbranch_execnz .LBB1628_66
.LBB1628_211:
	s_or_b64 exec, exec, s[2:3]
                                        ; implicit-def: $vgpr17
	s_and_saveexec_b64 s[2:3], s[30:31]
	s_cbranch_execz .LBB1628_67
.LBB1628_212:
	v_lshlrev_b32_e32 v17, 1, v0
	v_mov_b32_e32 v19, s78
	v_add_co_u32_e32 v18, vcc, s59, v17
	v_addc_co_u32_e32 v19, vcc, 0, v19, vcc
	flat_load_ushort v17, v[18:19] offset:1920
	s_or_b64 exec, exec, s[2:3]
                                        ; implicit-def: $vgpr18
	s_and_saveexec_b64 s[2:3], s[34:35]
	s_cbranch_execnz .LBB1628_68
.LBB1628_213:
	s_or_b64 exec, exec, s[2:3]
                                        ; implicit-def: $vgpr19
	s_and_saveexec_b64 s[2:3], s[36:37]
	s_cbranch_execz .LBB1628_69
.LBB1628_214:
	v_lshlrev_b32_e32 v19, 1, v0
	v_mov_b32_e32 v21, s78
	v_add_co_u32_e32 v20, vcc, s59, v19
	v_addc_co_u32_e32 v21, vcc, 0, v21, vcc
	flat_load_ushort v19, v[20:21] offset:2176
	s_or_b64 exec, exec, s[2:3]
                                        ; implicit-def: $vgpr20
	s_and_saveexec_b64 s[2:3], s[38:39]
	s_cbranch_execnz .LBB1628_70
.LBB1628_215:
	s_or_b64 exec, exec, s[2:3]
                                        ; implicit-def: $vgpr21
	s_and_saveexec_b64 s[2:3], s[40:41]
	s_cbranch_execz .LBB1628_71
.LBB1628_216:
	v_lshlrev_b32_e32 v21, 1, v0
	v_mov_b32_e32 v47, s78
	v_add_co_u32_e32 v46, vcc, s59, v21
	v_addc_co_u32_e32 v47, vcc, 0, v47, vcc
	flat_load_ushort v21, v[46:47] offset:2432
	s_or_b64 exec, exec, s[2:3]
                                        ; implicit-def: $vgpr47
	s_and_saveexec_b64 s[2:3], s[42:43]
	s_cbranch_execnz .LBB1628_72
.LBB1628_217:
	s_or_b64 exec, exec, s[2:3]
                                        ; implicit-def: $vgpr48
	s_and_saveexec_b64 s[2:3], s[44:45]
	s_cbranch_execz .LBB1628_73
.LBB1628_218:
	v_lshlrev_b32_e32 v46, 1, v0
	v_mov_b32_e32 v49, s78
	v_add_co_u32_e32 v48, vcc, s59, v46
	v_addc_co_u32_e32 v49, vcc, 0, v49, vcc
	flat_load_ushort v48, v[48:49] offset:2688
	s_or_b64 exec, exec, s[2:3]
                                        ; implicit-def: $vgpr49
	s_and_saveexec_b64 s[2:3], s[46:47]
	s_cbranch_execz .LBB1628_75
	s_branch .LBB1628_74
.LBB1628_219:
                                        ; implicit-def: $vgpr39
                                        ; implicit-def: $vgpr22
                                        ; implicit-def: $vgpr23
                                        ; implicit-def: $vgpr24
                                        ; implicit-def: $vgpr25
                                        ; implicit-def: $vgpr26
                                        ; implicit-def: $vgpr28
                                        ; implicit-def: $vgpr30
                                        ; implicit-def: $vgpr27
                                        ; implicit-def: $vgpr29
                                        ; implicit-def: $vgpr31
                                        ; implicit-def: $vgpr34
                                        ; implicit-def: $vgpr35
                                        ; implicit-def: $vgpr36
                                        ; implicit-def: $vgpr38
                                        ; implicit-def: $vgpr41
                                        ; implicit-def: $vgpr37
                                        ; implicit-def: $vgpr40
                                        ; implicit-def: $vgpr42
                                        ; implicit-def: $vgpr43
                                        ; implicit-def: $vgpr44
                                        ; implicit-def: $vgpr45
                                        ; implicit-def: $vgpr46
                                        ; implicit-def: $vgpr47
	s_cbranch_execz .LBB1628_239
; %bb.220:
	s_cmp_lg_u64 s[68:69], 0
	s_cselect_b32 s3, s63, 0
	s_cselect_b32 s2, s62, 0
	s_cmp_eq_u64 s[2:3], 0
	v_mov_b32_e32 v39, s7
	s_cbranch_scc1 .LBB1628_222
; %bb.221:
	v_mov_b32_e32 v22, 0
	global_load_ushort v39, v22, s[2:3]
.LBB1628_222:
	s_mov_b32 s50, 0x10000
	v_cmp_gt_u32_e32 vcc, s50, v50
	v_cndmask_b32_e32 v22, 0, v1, vcc
	v_add_u16_e32 v22, v22, v50
	v_cmp_gt_u32_e64 s[2:3], s50, v21
	v_cndmask_b32_e64 v22, 0, v22, s[2:3]
	v_add_u16_e32 v22, v22, v21
	v_cmp_gt_u32_e64 s[4:5], s50, v20
	v_cndmask_b32_e64 v22, 0, v22, s[4:5]
	;; [unrolled: 3-line block ×18, first 2 shown]
	v_bfe_u32 v25, v19, 16, 1
	v_add_u16_e32 v22, v22, v14
	v_cmp_gt_u32_e64 s[40:41], s50, v15
	v_lshlrev_b16_e32 v26, 1, v25
	v_mov_b32_e32 v25, 1
	v_cndmask_b32_e64 v22, 0, v22, s[40:41]
	v_and_b32_sdwa v27, v18, v25 dst_sel:DWORD dst_unused:UNUSED_PAD src0_sel:WORD_1 src1_sel:DWORD
	v_add_u16_e32 v22, v22, v15
	v_cmp_gt_u32_e64 s[42:43], s50, v16
	v_or_b32_e32 v26, v27, v26
	v_bfe_u32 v27, v21, 16, 1
	v_and_b32_sdwa v28, v20, v25 dst_sel:DWORD dst_unused:UNUSED_PAD src0_sel:WORD_1 src1_sel:DWORD
	v_cndmask_b32_e64 v22, 0, v22, s[42:43]
	v_lshlrev_b16_e32 v27, 3, v27
	v_lshlrev_b16_e32 v28, 2, v28
	v_add_u16_e32 v22, v22, v16
	v_cmp_gt_u32_e64 s[44:45], s50, v17
	v_or_b32_e32 v27, v27, v28
	v_cndmask_b32_e64 v22, 0, v22, s[44:45]
	v_or_b32_e32 v26, v26, v27
	v_and_b32_e32 v27, 0x10000, v51
	v_add_u16_e32 v22, v22, v17
	v_cmp_gt_u32_e64 s[50:51], s50, v32
	v_and_b32_e32 v28, 0x10000, v32
	v_cmp_ne_u32_e64 s[48:49], 0, v27
	v_cndmask_b32_e64 v27, 0, v22, s[50:51]
	v_cmp_ne_u32_e64 s[50:51], 0, v28
	v_or_b32_e32 v28, v16, v8
	v_or_b32_e32 v29, v17, v9
	;; [unrolled: 1-line block ×7, first 2 shown]
	v_bfe_u32 v31, v31, 16, 1
	v_bfe_u32 v29, v29, 16, 1
	v_and_b32_sdwa v28, v28, v25 dst_sel:DWORD dst_unused:UNUSED_PAD src0_sel:WORD_1 src1_sel:DWORD
	v_or_b32_e32 v36, v10, v2
	v_bfe_u32 v37, v37, 16, 1
	v_bfe_u32 v35, v35, 16, 1
	v_and_b32_sdwa v34, v34, v25 dst_sel:DWORD dst_unused:UNUSED_PAD src0_sel:WORD_1 src1_sel:DWORD
	v_lshlrev_b16_e32 v31, 1, v31
	v_and_b32_sdwa v30, v30, v25 dst_sel:DWORD dst_unused:UNUSED_PAD src0_sel:WORD_1 src1_sel:DWORD
	v_lshlrev_b16_e32 v29, 3, v29
	v_lshlrev_b16_e32 v28, 2, v28
	;; [unrolled: 1-line block ×3, first 2 shown]
	v_and_b32_sdwa v36, v36, v25 dst_sel:DWORD dst_unused:UNUSED_PAD src0_sel:WORD_1 src1_sel:DWORD
	v_lshlrev_b16_e32 v35, 3, v35
	v_lshlrev_b16_e32 v34, 2, v34
	v_or_b32_e32 v30, v30, v31
	v_or_b32_e32 v28, v29, v28
	;; [unrolled: 1-line block ×6, first 2 shown]
	v_lshlrev_b16_e32 v28, 4, v28
	v_or_b32_e32 v28, v34, v28
	v_or_b32_e32 v26, v28, v26
	v_mov_b32_e32 v28, 0
	v_cmp_ne_u16_sdwa s[52:53], v26, v28 src0_sel:BYTE_0 src1_sel:DWORD
	v_and_b32_e32 v24, 0x10000, v50
	s_or_b64 s[50:51], s[50:51], s[52:53]
	v_cmp_ne_u32_e64 s[46:47], 0, v24
	s_or_b64 s[48:49], s[50:51], s[48:49]
	v_mov_b32_e32 v23, 0x10000
	v_and_b32_e32 v24, 0x10000, v1
	s_or_b64 s[46:47], s[48:49], s[46:47]
	v_cndmask_b32_e64 v28, v24, v23, s[46:47]
	v_add_u16_e32 v26, v27, v32
	v_mbcnt_hi_u32_b32 v23, -1, v33
	v_add_u16_e32 v22, v27, v32
	v_and_b32_e32 v27, 15, v23
	v_or_b32_e32 v26, v28, v26
	v_lshrrev_b32_e32 v24, 16, v28
	v_cmp_ne_u32_e64 s[46:47], 0, v27
	v_mov_b32_dpp v29, v26 row_shr:1 row_mask:0xf bank_mask:0xf
	s_and_saveexec_b64 s[48:49], s[46:47]
; %bb.223:
	v_cmp_eq_u32_e64 s[46:47], 0, v28
	v_and_b32_e32 v24, 0x10000, v28
	v_cndmask_b32_e64 v26, 0, v29, s[46:47]
	v_and_b32_sdwa v25, v29, v25 dst_sel:DWORD dst_unused:UNUSED_PAD src0_sel:WORD_1 src1_sel:DWORD
	v_cmp_ne_u32_e64 s[46:47], 0, v24
	v_cndmask_b32_e64 v24, v25, 1, s[46:47]
	v_add_u16_e32 v30, v26, v22
	v_lshlrev_b32_e32 v25, 16, v24
	v_add_u16_e32 v22, v26, v22
	v_or_b32_e32 v26, v25, v22
	v_mov_b32_e32 v22, v30
; %bb.224:
	s_or_b64 exec, exec, s[48:49]
	v_lshrrev_b32_e32 v25, 16, v26
	v_mov_b32_dpp v28, v26 row_shr:2 row_mask:0xf bank_mask:0xf
	v_cmp_lt_u32_e64 s[46:47], 1, v27
	s_and_saveexec_b64 s[48:49], s[46:47]
	s_cbranch_execz .LBB1628_226
; %bb.225:
	s_mov_b32 s46, 0x10000
	v_cmp_gt_u32_e64 s[46:47], s46, v26
	v_and_b32_e32 v24, 0x10000, v26
	v_mov_b32_e32 v26, 1
	v_cndmask_b32_e64 v25, 0, v28, s[46:47]
	v_and_b32_sdwa v26, v28, v26 dst_sel:DWORD dst_unused:UNUSED_PAD src0_sel:WORD_1 src1_sel:DWORD
	v_cmp_ne_u32_e64 s[46:47], 0, v24
	v_cndmask_b32_e64 v24, v26, 1, s[46:47]
	v_add_u16_e32 v29, v25, v22
	v_lshlrev_b32_e32 v26, 16, v24
	v_add_u16_e32 v22, v25, v22
	v_or_b32_e32 v26, v26, v22
	v_mov_b32_e32 v22, v29
	v_mov_b32_e32 v25, v24
.LBB1628_226:
	s_or_b64 exec, exec, s[48:49]
	v_mov_b32_dpp v28, v26 row_shr:4 row_mask:0xf bank_mask:0xf
	v_cmp_lt_u32_e64 s[46:47], 3, v27
	s_and_saveexec_b64 s[48:49], s[46:47]
	s_cbranch_execz .LBB1628_228
; %bb.227:
	v_cmp_eq_u16_e64 s[46:47], 0, v25
	v_and_b32_e32 v24, 1, v25
	v_mov_b32_e32 v25, 1
	v_cndmask_b32_e64 v26, 0, v28, s[46:47]
	v_and_b32_sdwa v25, v28, v25 dst_sel:DWORD dst_unused:UNUSED_PAD src0_sel:WORD_1 src1_sel:DWORD
	v_cmp_eq_u32_e64 s[46:47], 1, v24
	v_cndmask_b32_e64 v24, v25, 1, s[46:47]
	v_add_u16_e32 v29, v26, v22
	v_lshlrev_b32_e32 v25, 16, v24
	v_add_u16_e32 v22, v26, v22
	v_or_b32_e32 v26, v25, v22
	v_mov_b32_e32 v22, v29
	v_mov_b32_e32 v25, v24
.LBB1628_228:
	s_or_b64 exec, exec, s[48:49]
	v_mov_b32_dpp v28, v26 row_shr:8 row_mask:0xf bank_mask:0xf
	v_cmp_lt_u32_e64 s[46:47], 7, v27
	s_and_saveexec_b64 s[48:49], s[46:47]
	s_cbranch_execz .LBB1628_230
; %bb.229:
	v_cmp_eq_u16_e64 s[46:47], 0, v25
	v_and_b32_e32 v24, 1, v25
	v_mov_b32_e32 v25, 1
	v_cndmask_b32_e64 v26, 0, v28, s[46:47]
	v_and_b32_sdwa v25, v28, v25 dst_sel:DWORD dst_unused:UNUSED_PAD src0_sel:WORD_1 src1_sel:DWORD
	v_cmp_eq_u32_e64 s[46:47], 1, v24
	v_cndmask_b32_e64 v24, v25, 1, s[46:47]
	v_add_u16_e32 v27, v26, v22
	v_lshlrev_b32_e32 v25, 16, v24
	v_add_u16_e32 v22, v26, v22
	v_or_b32_e32 v26, v25, v22
	v_mov_b32_e32 v22, v27
	v_mov_b32_e32 v25, v24
.LBB1628_230:
	s_or_b64 exec, exec, s[48:49]
	v_and_b32_e32 v28, 16, v23
	v_mov_b32_dpp v27, v26 row_bcast:15 row_mask:0xf bank_mask:0xf
	v_cmp_ne_u32_e64 s[46:47], 0, v28
	s_and_saveexec_b64 s[48:49], s[46:47]
	s_cbranch_execz .LBB1628_232
; %bb.231:
	v_cmp_eq_u16_e64 s[46:47], 0, v25
	v_and_b32_e32 v24, 1, v25
	v_mov_b32_e32 v25, 1
	v_cndmask_b32_e64 v26, 0, v27, s[46:47]
	v_and_b32_sdwa v25, v27, v25 dst_sel:DWORD dst_unused:UNUSED_PAD src0_sel:WORD_1 src1_sel:DWORD
	v_cmp_eq_u32_e64 s[46:47], 1, v24
	v_cndmask_b32_e64 v24, v25, 1, s[46:47]
	v_add_u16_e32 v28, v26, v22
	v_lshlrev_b32_e32 v25, 16, v24
	v_add_u16_e32 v22, v26, v22
	v_or_b32_e32 v26, v25, v22
	v_mov_b32_e32 v22, v28
	v_mov_b32_e32 v25, v24
.LBB1628_232:
	s_or_b64 exec, exec, s[48:49]
	v_mov_b32_dpp v26, v26 row_bcast:31 row_mask:0xf bank_mask:0xf
	v_cmp_lt_u32_e64 s[46:47], 31, v23
	s_and_saveexec_b64 s[48:49], s[46:47]
; %bb.233:
	v_cmp_eq_u16_e64 s[46:47], 0, v25
	v_cndmask_b32_e64 v24, 0, v26, s[46:47]
	v_add_u16_e32 v22, v24, v22
	v_and_b32_e32 v24, 1, v25
	v_mov_b32_e32 v25, 1
	v_and_b32_sdwa v25, v26, v25 dst_sel:DWORD dst_unused:UNUSED_PAD src0_sel:WORD_1 src1_sel:DWORD
	v_cmp_eq_u32_e64 s[46:47], 1, v24
	v_cndmask_b32_e64 v24, v25, 1, s[46:47]
	v_mov_b32_e32 v25, v24
; %bb.234:
	s_or_b64 exec, exec, s[48:49]
	v_cmp_eq_u32_e64 s[46:47], 63, v0
	s_and_saveexec_b64 s[48:49], s[46:47]
	s_cbranch_execz .LBB1628_236
; %bb.235:
	v_mov_b32_e32 v26, 0
	ds_write_b16 v26, v22
	ds_write_b8 v26, v25 offset:2
.LBB1628_236:
	s_or_b64 exec, exec, s[48:49]
	v_cmp_eq_u16_e64 s[46:47], 0, v24
	v_and_b32_e32 v24, 1, v24
	s_waitcnt vmcnt(0)
	v_cndmask_b32_e64 v25, 0, v39, s[46:47]
	v_mov_b32_e32 v26, 0x10000
	v_cmp_eq_u32_e64 s[46:47], 1, v24
	v_cndmask_b32_e64 v24, 0, v26, s[46:47]
	v_add_u16_e32 v22, v25, v22
	v_or_b32_e32 v22, v24, v22
	v_add_u32_e32 v24, -1, v23
	v_and_b32_e32 v25, 64, v23
	v_cmp_lt_i32_e64 s[46:47], v24, v25
	v_cndmask_b32_e64 v24, v24, v23, s[46:47]
	v_lshlrev_b32_e32 v24, 2, v24
	ds_bpermute_b32 v22, v24, v22
	v_cmp_eq_u32_e64 s[46:47], 0, v23
	v_cmp_eq_u32_e64 s[48:49], 0, v0
	s_or_b64 s[46:47], s[48:49], s[46:47]
	s_waitcnt lgkmcnt(0)
	v_cndmask_b32_e64 v32, v22, v39, s[46:47]
	v_and_b32_e32 v22, 0xff0000, v1
	v_cmp_eq_u32_e64 s[46:47], 0, v22
	v_cndmask_b32_e64 v22, 0, v32, s[46:47]
	v_add_u16_e32 v22, v22, v1
	v_cndmask_b32_e32 v1, 0, v22, vcc
	v_add_u16_e32 v23, v1, v50
	v_cndmask_b32_e64 v1, 0, v23, s[2:3]
	v_add_u16_e32 v24, v1, v21
	v_cndmask_b32_e64 v1, 0, v24, s[4:5]
	v_add_u16_e32 v25, v1, v20
	v_cndmask_b32_e64 v1, 0, v25, s[6:7]
	v_add_u16_e32 v26, v1, v19
	v_cndmask_b32_e64 v1, 0, v26, s[8:9]
	v_add_u16_e32 v28, v1, v18
	v_cndmask_b32_e64 v1, 0, v28, s[10:11]
	v_add_u16_e32 v30, v1, v51
	v_cndmask_b32_e64 v1, 0, v30, s[12:13]
	v_add_u16_e32 v27, v1, v9
	v_cndmask_b32_e64 v1, 0, v27, s[14:15]
	v_add_u16_e32 v29, v1, v8
	v_cndmask_b32_e64 v1, 0, v29, s[16:17]
	v_add_u16_e32 v31, v1, v7
	v_cndmask_b32_e64 v1, 0, v31, s[18:19]
	v_add_u16_e32 v34, v1, v6
	v_cndmask_b32_e64 v1, 0, v34, s[20:21]
	v_add_u16_e32 v35, v1, v5
	v_cndmask_b32_e64 v1, 0, v35, s[22:23]
	v_add_u16_e32 v36, v1, v4
	v_cndmask_b32_e64 v1, 0, v36, s[24:25]
	v_add_u16_e32 v38, v1, v3
	v_cndmask_b32_e64 v1, 0, v38, s[26:27]
	v_add_u16_e32 v41, v1, v2
	v_cndmask_b32_e64 v1, 0, v41, s[28:29]
	v_add_u16_e32 v37, v1, v10
	v_cndmask_b32_e64 v1, 0, v37, s[30:31]
	v_add_u16_e32 v40, v1, v11
	v_cndmask_b32_e64 v1, 0, v40, s[34:35]
	v_add_u16_e32 v42, v1, v12
	v_cndmask_b32_e64 v1, 0, v42, s[36:37]
	v_add_u16_e32 v43, v1, v13
	v_cndmask_b32_e64 v1, 0, v43, s[38:39]
	v_add_u16_e32 v44, v1, v14
	v_cndmask_b32_e64 v1, 0, v44, s[40:41]
	v_add_u16_e32 v45, v1, v15
	v_cndmask_b32_e64 v1, 0, v45, s[42:43]
	v_add_u16_e32 v46, v1, v16
	v_cndmask_b32_e64 v1, 0, v46, s[44:45]
	; wave barrier
	s_and_saveexec_b64 s[2:3], s[48:49]
	s_cbranch_execz .LBB1628_238
; %bb.237:
	v_mov_b32_e32 v4, 0
	ds_read_u8 v2, v4 offset:2
	ds_read_u16 v3, v4
	s_waitcnt lgkmcnt(1)
	v_cmp_eq_u32_e32 vcc, 0, v2
	v_lshlrev_b32_e32 v5, 16, v2
	v_cndmask_b32_e32 v2, 0, v39, vcc
	s_waitcnt lgkmcnt(0)
	v_add_u32_e32 v2, v2, v3
	v_or_b32_sdwa v2, v5, v2 dst_sel:DWORD dst_unused:UNUSED_PAD src0_sel:DWORD src1_sel:WORD_0
	v_mov_b32_e32 v3, 2
	global_store_dwordx2 v4, v[2:3], s[56:57] offset:512
.LBB1628_238:
	s_or_b64 exec, exec, s[2:3]
	v_and_b32_e32 v39, 0xffff, v32
	v_add_u16_e32 v47, v1, v17
.LBB1628_239:
	s_add_u32 s2, s54, s64
	s_addc_u32 s3, s55, s65
	s_add_u32 s4, s2, s66
	s_addc_u32 s5, s3, s67
	s_and_b64 vcc, exec, s[0:1]
	v_mul_u32_u24_e32 v5, 24, v0
	v_lshlrev_b32_e32 v4, 1, v0
	s_cbranch_vccz .LBB1628_287
; %bb.240:
	s_mov_b32 s0, 0x5040100
	v_lshlrev_b32_e32 v50, 1, v5
	v_perm_b32 v9, v30, v28, s0
	v_perm_b32 v8, v26, v25, s0
	;; [unrolled: 1-line block ×4, first 2 shown]
	s_waitcnt lgkmcnt(0)
	; wave barrier
	ds_write_b128 v50, v[6:9]
	v_perm_b32 v9, v41, v38, s0
	v_perm_b32 v8, v36, v35, s0
	;; [unrolled: 1-line block ×4, first 2 shown]
	ds_write_b128 v50, v[6:9] offset:16
	v_perm_b32 v9, v47, v46, s0
	v_perm_b32 v8, v45, v44, s0
	;; [unrolled: 1-line block ×4, first 2 shown]
	s_movk_i32 s0, 0xffd2
	v_mad_i32_i24 v2, v0, s0, v50
	ds_write_b128 v50, v[6:9] offset:32
	s_waitcnt lgkmcnt(0)
	; wave barrier
	s_waitcnt lgkmcnt(0)
	ds_read_u16 v53, v2 offset:128
	ds_read_u16 v52, v2 offset:256
	;; [unrolled: 1-line block ×23, first 2 shown]
	v_mov_b32_e32 v3, s5
	v_add_co_u32_e32 v2, vcc, s4, v4
	s_add_i32 s33, s33, s58
	v_addc_co_u32_e32 v3, vcc, 0, v3, vcc
	v_mov_b32_e32 v1, 0
	v_cmp_gt_u32_e32 vcc, s33, v0
	s_and_saveexec_b64 s[0:1], vcc
	s_cbranch_execz .LBB1628_242
; %bb.241:
	v_mul_i32_i24_e32 v54, 0xffffffd2, v0
	v_add_u32_e32 v50, v50, v54
	ds_read_u16 v50, v50
	s_waitcnt lgkmcnt(0)
	flat_store_short v[2:3], v50
.LBB1628_242:
	s_or_b64 exec, exec, s[0:1]
	v_or_b32_e32 v50, 64, v0
	v_cmp_gt_u32_e32 vcc, s33, v50
	s_and_saveexec_b64 s[0:1], vcc
	s_cbranch_execz .LBB1628_244
; %bb.243:
	s_waitcnt lgkmcnt(0)
	flat_store_short v[2:3], v53 offset:128
.LBB1628_244:
	s_or_b64 exec, exec, s[0:1]
	v_or_b32_e32 v50, 0x80, v0
	v_cmp_gt_u32_e32 vcc, s33, v50
	s_and_saveexec_b64 s[0:1], vcc
	s_cbranch_execz .LBB1628_246
; %bb.245:
	s_waitcnt lgkmcnt(0)
	flat_store_short v[2:3], v52 offset:256
.LBB1628_246:
	;; [unrolled: 9-line block ×4, first 2 shown]
	s_or_b64 exec, exec, s[0:1]
	s_waitcnt lgkmcnt(0)
	v_or_b32_e32 v49, 0x140, v0
	v_cmp_gt_u32_e32 vcc, s33, v49
	s_and_saveexec_b64 s[0:1], vcc
	s_cbranch_execz .LBB1628_252
; %bb.251:
	flat_store_short v[2:3], v48 offset:640
.LBB1628_252:
	s_or_b64 exec, exec, s[0:1]
	v_or_b32_e32 v48, 0x180, v0
	v_cmp_gt_u32_e32 vcc, s33, v48
	s_and_saveexec_b64 s[0:1], vcc
	s_cbranch_execz .LBB1628_254
; %bb.253:
	flat_store_short v[2:3], v33 offset:768
.LBB1628_254:
	s_or_b64 exec, exec, s[0:1]
	;; [unrolled: 8-line block ×18, first 2 shown]
	v_or_b32_e32 v2, 0x5c0, v0
	v_cmp_gt_u32_e64 s[0:1], s33, v2
	s_branch .LBB1628_289
.LBB1628_287:
	s_mov_b64 s[0:1], 0
                                        ; implicit-def: $vgpr6
	s_cbranch_execz .LBB1628_289
; %bb.288:
	s_mov_b32 s2, 0x5040100
	v_lshlrev_b32_e32 v2, 1, v5
	v_perm_b32 v9, v30, v28, s2
	v_perm_b32 v8, v26, v25, s2
	v_perm_b32 v7, v24, v23, s2
	v_perm_b32 v6, v22, v39, s2
	s_waitcnt lgkmcnt(0)
	; wave barrier
	s_waitcnt lgkmcnt(0)
	ds_write_b128 v2, v[6:9]
	v_perm_b32 v9, v41, v38, s2
	v_perm_b32 v8, v36, v35, s2
	v_perm_b32 v7, v34, v31, s2
	v_perm_b32 v6, v29, v27, s2
	ds_write_b128 v2, v[6:9] offset:16
	v_perm_b32 v9, v47, v46, s2
	v_perm_b32 v8, v45, v44, s2
	;; [unrolled: 1-line block ×4, first 2 shown]
	s_movk_i32 s2, 0xffd2
	ds_write_b128 v2, v[6:9] offset:32
	v_mad_i32_i24 v2, v0, s2, v2
	s_waitcnt lgkmcnt(0)
	; wave barrier
	s_waitcnt lgkmcnt(0)
	ds_read_u16 v5, v2
	ds_read_u16 v7, v2 offset:128
	ds_read_u16 v8, v2 offset:256
	;; [unrolled: 1-line block ×23, first 2 shown]
	v_mov_b32_e32 v3, s5
	v_add_co_u32_e32 v2, vcc, s4, v4
	v_mov_b32_e32 v1, 0
	v_addc_co_u32_e32 v3, vcc, 0, v3, vcc
	s_or_b64 s[0:1], s[0:1], exec
	s_waitcnt lgkmcnt(0)
	flat_store_short v[2:3], v5
	flat_store_short v[2:3], v7 offset:128
	flat_store_short v[2:3], v8 offset:256
	;; [unrolled: 1-line block ×22, first 2 shown]
.LBB1628_289:
	s_and_saveexec_b64 s[2:3], s[0:1]
	s_cbranch_execz .LBB1628_291
; %bb.290:
	v_lshlrev_b64 v[0:1], 1, v[0:1]
	v_mov_b32_e32 v2, s5
	v_add_co_u32_e32 v0, vcc, s4, v0
	v_addc_co_u32_e32 v1, vcc, v2, v1, vcc
	flat_store_short v[0:1], v6 offset:2944
	s_endpgm
.LBB1628_291:
	s_endpgm
	.section	.rodata,"a",@progbits
	.p2align	6, 0x0
	.amdhsa_kernel _ZN7rocprim17ROCPRIM_400000_NS6detail17trampoline_kernelINS0_14default_configENS1_27scan_by_key_config_selectorIisEEZZNS1_16scan_by_key_implILNS1_25lookback_scan_determinismE0ELb1ES3_N6thrust23THRUST_200600_302600_NS6detail15normal_iteratorINS9_10device_ptrIiEEEENSB_INSC_IsEEEESG_sNS9_4plusIvEENS9_8equal_toIvEEsEE10hipError_tPvRmT2_T3_T4_T5_mT6_T7_P12ihipStream_tbENKUlT_T0_E_clISt17integral_constantIbLb1EES10_IbLb0EEEEDaSW_SX_EUlSW_E_NS1_11comp_targetILNS1_3genE4ELNS1_11target_archE910ELNS1_3gpuE8ELNS1_3repE0EEENS1_30default_config_static_selectorELNS0_4arch9wavefront6targetE1EEEvT1_
		.amdhsa_group_segment_fixed_size 6656
		.amdhsa_private_segment_fixed_size 0
		.amdhsa_kernarg_size 112
		.amdhsa_user_sgpr_count 6
		.amdhsa_user_sgpr_private_segment_buffer 1
		.amdhsa_user_sgpr_dispatch_ptr 0
		.amdhsa_user_sgpr_queue_ptr 0
		.amdhsa_user_sgpr_kernarg_segment_ptr 1
		.amdhsa_user_sgpr_dispatch_id 0
		.amdhsa_user_sgpr_flat_scratch_init 0
		.amdhsa_user_sgpr_kernarg_preload_length 0
		.amdhsa_user_sgpr_kernarg_preload_offset 0
		.amdhsa_user_sgpr_private_segment_size 0
		.amdhsa_uses_dynamic_stack 0
		.amdhsa_system_sgpr_private_segment_wavefront_offset 0
		.amdhsa_system_sgpr_workgroup_id_x 1
		.amdhsa_system_sgpr_workgroup_id_y 0
		.amdhsa_system_sgpr_workgroup_id_z 0
		.amdhsa_system_sgpr_workgroup_info 0
		.amdhsa_system_vgpr_workitem_id 0
		.amdhsa_next_free_vgpr 56
		.amdhsa_next_free_sgpr 88
		.amdhsa_accum_offset 56
		.amdhsa_reserve_vcc 1
		.amdhsa_reserve_flat_scratch 0
		.amdhsa_float_round_mode_32 0
		.amdhsa_float_round_mode_16_64 0
		.amdhsa_float_denorm_mode_32 3
		.amdhsa_float_denorm_mode_16_64 3
		.amdhsa_dx10_clamp 1
		.amdhsa_ieee_mode 1
		.amdhsa_fp16_overflow 0
		.amdhsa_tg_split 0
		.amdhsa_exception_fp_ieee_invalid_op 0
		.amdhsa_exception_fp_denorm_src 0
		.amdhsa_exception_fp_ieee_div_zero 0
		.amdhsa_exception_fp_ieee_overflow 0
		.amdhsa_exception_fp_ieee_underflow 0
		.amdhsa_exception_fp_ieee_inexact 0
		.amdhsa_exception_int_div_zero 0
	.end_amdhsa_kernel
	.section	.text._ZN7rocprim17ROCPRIM_400000_NS6detail17trampoline_kernelINS0_14default_configENS1_27scan_by_key_config_selectorIisEEZZNS1_16scan_by_key_implILNS1_25lookback_scan_determinismE0ELb1ES3_N6thrust23THRUST_200600_302600_NS6detail15normal_iteratorINS9_10device_ptrIiEEEENSB_INSC_IsEEEESG_sNS9_4plusIvEENS9_8equal_toIvEEsEE10hipError_tPvRmT2_T3_T4_T5_mT6_T7_P12ihipStream_tbENKUlT_T0_E_clISt17integral_constantIbLb1EES10_IbLb0EEEEDaSW_SX_EUlSW_E_NS1_11comp_targetILNS1_3genE4ELNS1_11target_archE910ELNS1_3gpuE8ELNS1_3repE0EEENS1_30default_config_static_selectorELNS0_4arch9wavefront6targetE1EEEvT1_,"axG",@progbits,_ZN7rocprim17ROCPRIM_400000_NS6detail17trampoline_kernelINS0_14default_configENS1_27scan_by_key_config_selectorIisEEZZNS1_16scan_by_key_implILNS1_25lookback_scan_determinismE0ELb1ES3_N6thrust23THRUST_200600_302600_NS6detail15normal_iteratorINS9_10device_ptrIiEEEENSB_INSC_IsEEEESG_sNS9_4plusIvEENS9_8equal_toIvEEsEE10hipError_tPvRmT2_T3_T4_T5_mT6_T7_P12ihipStream_tbENKUlT_T0_E_clISt17integral_constantIbLb1EES10_IbLb0EEEEDaSW_SX_EUlSW_E_NS1_11comp_targetILNS1_3genE4ELNS1_11target_archE910ELNS1_3gpuE8ELNS1_3repE0EEENS1_30default_config_static_selectorELNS0_4arch9wavefront6targetE1EEEvT1_,comdat
.Lfunc_end1628:
	.size	_ZN7rocprim17ROCPRIM_400000_NS6detail17trampoline_kernelINS0_14default_configENS1_27scan_by_key_config_selectorIisEEZZNS1_16scan_by_key_implILNS1_25lookback_scan_determinismE0ELb1ES3_N6thrust23THRUST_200600_302600_NS6detail15normal_iteratorINS9_10device_ptrIiEEEENSB_INSC_IsEEEESG_sNS9_4plusIvEENS9_8equal_toIvEEsEE10hipError_tPvRmT2_T3_T4_T5_mT6_T7_P12ihipStream_tbENKUlT_T0_E_clISt17integral_constantIbLb1EES10_IbLb0EEEEDaSW_SX_EUlSW_E_NS1_11comp_targetILNS1_3genE4ELNS1_11target_archE910ELNS1_3gpuE8ELNS1_3repE0EEENS1_30default_config_static_selectorELNS0_4arch9wavefront6targetE1EEEvT1_, .Lfunc_end1628-_ZN7rocprim17ROCPRIM_400000_NS6detail17trampoline_kernelINS0_14default_configENS1_27scan_by_key_config_selectorIisEEZZNS1_16scan_by_key_implILNS1_25lookback_scan_determinismE0ELb1ES3_N6thrust23THRUST_200600_302600_NS6detail15normal_iteratorINS9_10device_ptrIiEEEENSB_INSC_IsEEEESG_sNS9_4plusIvEENS9_8equal_toIvEEsEE10hipError_tPvRmT2_T3_T4_T5_mT6_T7_P12ihipStream_tbENKUlT_T0_E_clISt17integral_constantIbLb1EES10_IbLb0EEEEDaSW_SX_EUlSW_E_NS1_11comp_targetILNS1_3genE4ELNS1_11target_archE910ELNS1_3gpuE8ELNS1_3repE0EEENS1_30default_config_static_selectorELNS0_4arch9wavefront6targetE1EEEvT1_
                                        ; -- End function
	.section	.AMDGPU.csdata,"",@progbits
; Kernel info:
; codeLenInByte = 15764
; NumSgprs: 92
; NumVgprs: 56
; NumAgprs: 0
; TotalNumVgprs: 56
; ScratchSize: 0
; MemoryBound: 0
; FloatMode: 240
; IeeeMode: 1
; LDSByteSize: 6656 bytes/workgroup (compile time only)
; SGPRBlocks: 11
; VGPRBlocks: 6
; NumSGPRsForWavesPerEU: 92
; NumVGPRsForWavesPerEU: 56
; AccumOffset: 56
; Occupancy: 3
; WaveLimiterHint : 1
; COMPUTE_PGM_RSRC2:SCRATCH_EN: 0
; COMPUTE_PGM_RSRC2:USER_SGPR: 6
; COMPUTE_PGM_RSRC2:TRAP_HANDLER: 0
; COMPUTE_PGM_RSRC2:TGID_X_EN: 1
; COMPUTE_PGM_RSRC2:TGID_Y_EN: 0
; COMPUTE_PGM_RSRC2:TGID_Z_EN: 0
; COMPUTE_PGM_RSRC2:TIDIG_COMP_CNT: 0
; COMPUTE_PGM_RSRC3_GFX90A:ACCUM_OFFSET: 13
; COMPUTE_PGM_RSRC3_GFX90A:TG_SPLIT: 0
	.section	.text._ZN7rocprim17ROCPRIM_400000_NS6detail17trampoline_kernelINS0_14default_configENS1_27scan_by_key_config_selectorIisEEZZNS1_16scan_by_key_implILNS1_25lookback_scan_determinismE0ELb1ES3_N6thrust23THRUST_200600_302600_NS6detail15normal_iteratorINS9_10device_ptrIiEEEENSB_INSC_IsEEEESG_sNS9_4plusIvEENS9_8equal_toIvEEsEE10hipError_tPvRmT2_T3_T4_T5_mT6_T7_P12ihipStream_tbENKUlT_T0_E_clISt17integral_constantIbLb1EES10_IbLb0EEEEDaSW_SX_EUlSW_E_NS1_11comp_targetILNS1_3genE3ELNS1_11target_archE908ELNS1_3gpuE7ELNS1_3repE0EEENS1_30default_config_static_selectorELNS0_4arch9wavefront6targetE1EEEvT1_,"axG",@progbits,_ZN7rocprim17ROCPRIM_400000_NS6detail17trampoline_kernelINS0_14default_configENS1_27scan_by_key_config_selectorIisEEZZNS1_16scan_by_key_implILNS1_25lookback_scan_determinismE0ELb1ES3_N6thrust23THRUST_200600_302600_NS6detail15normal_iteratorINS9_10device_ptrIiEEEENSB_INSC_IsEEEESG_sNS9_4plusIvEENS9_8equal_toIvEEsEE10hipError_tPvRmT2_T3_T4_T5_mT6_T7_P12ihipStream_tbENKUlT_T0_E_clISt17integral_constantIbLb1EES10_IbLb0EEEEDaSW_SX_EUlSW_E_NS1_11comp_targetILNS1_3genE3ELNS1_11target_archE908ELNS1_3gpuE7ELNS1_3repE0EEENS1_30default_config_static_selectorELNS0_4arch9wavefront6targetE1EEEvT1_,comdat
	.protected	_ZN7rocprim17ROCPRIM_400000_NS6detail17trampoline_kernelINS0_14default_configENS1_27scan_by_key_config_selectorIisEEZZNS1_16scan_by_key_implILNS1_25lookback_scan_determinismE0ELb1ES3_N6thrust23THRUST_200600_302600_NS6detail15normal_iteratorINS9_10device_ptrIiEEEENSB_INSC_IsEEEESG_sNS9_4plusIvEENS9_8equal_toIvEEsEE10hipError_tPvRmT2_T3_T4_T5_mT6_T7_P12ihipStream_tbENKUlT_T0_E_clISt17integral_constantIbLb1EES10_IbLb0EEEEDaSW_SX_EUlSW_E_NS1_11comp_targetILNS1_3genE3ELNS1_11target_archE908ELNS1_3gpuE7ELNS1_3repE0EEENS1_30default_config_static_selectorELNS0_4arch9wavefront6targetE1EEEvT1_ ; -- Begin function _ZN7rocprim17ROCPRIM_400000_NS6detail17trampoline_kernelINS0_14default_configENS1_27scan_by_key_config_selectorIisEEZZNS1_16scan_by_key_implILNS1_25lookback_scan_determinismE0ELb1ES3_N6thrust23THRUST_200600_302600_NS6detail15normal_iteratorINS9_10device_ptrIiEEEENSB_INSC_IsEEEESG_sNS9_4plusIvEENS9_8equal_toIvEEsEE10hipError_tPvRmT2_T3_T4_T5_mT6_T7_P12ihipStream_tbENKUlT_T0_E_clISt17integral_constantIbLb1EES10_IbLb0EEEEDaSW_SX_EUlSW_E_NS1_11comp_targetILNS1_3genE3ELNS1_11target_archE908ELNS1_3gpuE7ELNS1_3repE0EEENS1_30default_config_static_selectorELNS0_4arch9wavefront6targetE1EEEvT1_
	.globl	_ZN7rocprim17ROCPRIM_400000_NS6detail17trampoline_kernelINS0_14default_configENS1_27scan_by_key_config_selectorIisEEZZNS1_16scan_by_key_implILNS1_25lookback_scan_determinismE0ELb1ES3_N6thrust23THRUST_200600_302600_NS6detail15normal_iteratorINS9_10device_ptrIiEEEENSB_INSC_IsEEEESG_sNS9_4plusIvEENS9_8equal_toIvEEsEE10hipError_tPvRmT2_T3_T4_T5_mT6_T7_P12ihipStream_tbENKUlT_T0_E_clISt17integral_constantIbLb1EES10_IbLb0EEEEDaSW_SX_EUlSW_E_NS1_11comp_targetILNS1_3genE3ELNS1_11target_archE908ELNS1_3gpuE7ELNS1_3repE0EEENS1_30default_config_static_selectorELNS0_4arch9wavefront6targetE1EEEvT1_
	.p2align	8
	.type	_ZN7rocprim17ROCPRIM_400000_NS6detail17trampoline_kernelINS0_14default_configENS1_27scan_by_key_config_selectorIisEEZZNS1_16scan_by_key_implILNS1_25lookback_scan_determinismE0ELb1ES3_N6thrust23THRUST_200600_302600_NS6detail15normal_iteratorINS9_10device_ptrIiEEEENSB_INSC_IsEEEESG_sNS9_4plusIvEENS9_8equal_toIvEEsEE10hipError_tPvRmT2_T3_T4_T5_mT6_T7_P12ihipStream_tbENKUlT_T0_E_clISt17integral_constantIbLb1EES10_IbLb0EEEEDaSW_SX_EUlSW_E_NS1_11comp_targetILNS1_3genE3ELNS1_11target_archE908ELNS1_3gpuE7ELNS1_3repE0EEENS1_30default_config_static_selectorELNS0_4arch9wavefront6targetE1EEEvT1_,@function
_ZN7rocprim17ROCPRIM_400000_NS6detail17trampoline_kernelINS0_14default_configENS1_27scan_by_key_config_selectorIisEEZZNS1_16scan_by_key_implILNS1_25lookback_scan_determinismE0ELb1ES3_N6thrust23THRUST_200600_302600_NS6detail15normal_iteratorINS9_10device_ptrIiEEEENSB_INSC_IsEEEESG_sNS9_4plusIvEENS9_8equal_toIvEEsEE10hipError_tPvRmT2_T3_T4_T5_mT6_T7_P12ihipStream_tbENKUlT_T0_E_clISt17integral_constantIbLb1EES10_IbLb0EEEEDaSW_SX_EUlSW_E_NS1_11comp_targetILNS1_3genE3ELNS1_11target_archE908ELNS1_3gpuE7ELNS1_3repE0EEENS1_30default_config_static_selectorELNS0_4arch9wavefront6targetE1EEEvT1_: ; @_ZN7rocprim17ROCPRIM_400000_NS6detail17trampoline_kernelINS0_14default_configENS1_27scan_by_key_config_selectorIisEEZZNS1_16scan_by_key_implILNS1_25lookback_scan_determinismE0ELb1ES3_N6thrust23THRUST_200600_302600_NS6detail15normal_iteratorINS9_10device_ptrIiEEEENSB_INSC_IsEEEESG_sNS9_4plusIvEENS9_8equal_toIvEEsEE10hipError_tPvRmT2_T3_T4_T5_mT6_T7_P12ihipStream_tbENKUlT_T0_E_clISt17integral_constantIbLb1EES10_IbLb0EEEEDaSW_SX_EUlSW_E_NS1_11comp_targetILNS1_3genE3ELNS1_11target_archE908ELNS1_3gpuE7ELNS1_3repE0EEENS1_30default_config_static_selectorELNS0_4arch9wavefront6targetE1EEEvT1_
; %bb.0:
	.section	.rodata,"a",@progbits
	.p2align	6, 0x0
	.amdhsa_kernel _ZN7rocprim17ROCPRIM_400000_NS6detail17trampoline_kernelINS0_14default_configENS1_27scan_by_key_config_selectorIisEEZZNS1_16scan_by_key_implILNS1_25lookback_scan_determinismE0ELb1ES3_N6thrust23THRUST_200600_302600_NS6detail15normal_iteratorINS9_10device_ptrIiEEEENSB_INSC_IsEEEESG_sNS9_4plusIvEENS9_8equal_toIvEEsEE10hipError_tPvRmT2_T3_T4_T5_mT6_T7_P12ihipStream_tbENKUlT_T0_E_clISt17integral_constantIbLb1EES10_IbLb0EEEEDaSW_SX_EUlSW_E_NS1_11comp_targetILNS1_3genE3ELNS1_11target_archE908ELNS1_3gpuE7ELNS1_3repE0EEENS1_30default_config_static_selectorELNS0_4arch9wavefront6targetE1EEEvT1_
		.amdhsa_group_segment_fixed_size 0
		.amdhsa_private_segment_fixed_size 0
		.amdhsa_kernarg_size 112
		.amdhsa_user_sgpr_count 6
		.amdhsa_user_sgpr_private_segment_buffer 1
		.amdhsa_user_sgpr_dispatch_ptr 0
		.amdhsa_user_sgpr_queue_ptr 0
		.amdhsa_user_sgpr_kernarg_segment_ptr 1
		.amdhsa_user_sgpr_dispatch_id 0
		.amdhsa_user_sgpr_flat_scratch_init 0
		.amdhsa_user_sgpr_kernarg_preload_length 0
		.amdhsa_user_sgpr_kernarg_preload_offset 0
		.amdhsa_user_sgpr_private_segment_size 0
		.amdhsa_uses_dynamic_stack 0
		.amdhsa_system_sgpr_private_segment_wavefront_offset 0
		.amdhsa_system_sgpr_workgroup_id_x 1
		.amdhsa_system_sgpr_workgroup_id_y 0
		.amdhsa_system_sgpr_workgroup_id_z 0
		.amdhsa_system_sgpr_workgroup_info 0
		.amdhsa_system_vgpr_workitem_id 0
		.amdhsa_next_free_vgpr 1
		.amdhsa_next_free_sgpr 0
		.amdhsa_accum_offset 4
		.amdhsa_reserve_vcc 0
		.amdhsa_reserve_flat_scratch 0
		.amdhsa_float_round_mode_32 0
		.amdhsa_float_round_mode_16_64 0
		.amdhsa_float_denorm_mode_32 3
		.amdhsa_float_denorm_mode_16_64 3
		.amdhsa_dx10_clamp 1
		.amdhsa_ieee_mode 1
		.amdhsa_fp16_overflow 0
		.amdhsa_tg_split 0
		.amdhsa_exception_fp_ieee_invalid_op 0
		.amdhsa_exception_fp_denorm_src 0
		.amdhsa_exception_fp_ieee_div_zero 0
		.amdhsa_exception_fp_ieee_overflow 0
		.amdhsa_exception_fp_ieee_underflow 0
		.amdhsa_exception_fp_ieee_inexact 0
		.amdhsa_exception_int_div_zero 0
	.end_amdhsa_kernel
	.section	.text._ZN7rocprim17ROCPRIM_400000_NS6detail17trampoline_kernelINS0_14default_configENS1_27scan_by_key_config_selectorIisEEZZNS1_16scan_by_key_implILNS1_25lookback_scan_determinismE0ELb1ES3_N6thrust23THRUST_200600_302600_NS6detail15normal_iteratorINS9_10device_ptrIiEEEENSB_INSC_IsEEEESG_sNS9_4plusIvEENS9_8equal_toIvEEsEE10hipError_tPvRmT2_T3_T4_T5_mT6_T7_P12ihipStream_tbENKUlT_T0_E_clISt17integral_constantIbLb1EES10_IbLb0EEEEDaSW_SX_EUlSW_E_NS1_11comp_targetILNS1_3genE3ELNS1_11target_archE908ELNS1_3gpuE7ELNS1_3repE0EEENS1_30default_config_static_selectorELNS0_4arch9wavefront6targetE1EEEvT1_,"axG",@progbits,_ZN7rocprim17ROCPRIM_400000_NS6detail17trampoline_kernelINS0_14default_configENS1_27scan_by_key_config_selectorIisEEZZNS1_16scan_by_key_implILNS1_25lookback_scan_determinismE0ELb1ES3_N6thrust23THRUST_200600_302600_NS6detail15normal_iteratorINS9_10device_ptrIiEEEENSB_INSC_IsEEEESG_sNS9_4plusIvEENS9_8equal_toIvEEsEE10hipError_tPvRmT2_T3_T4_T5_mT6_T7_P12ihipStream_tbENKUlT_T0_E_clISt17integral_constantIbLb1EES10_IbLb0EEEEDaSW_SX_EUlSW_E_NS1_11comp_targetILNS1_3genE3ELNS1_11target_archE908ELNS1_3gpuE7ELNS1_3repE0EEENS1_30default_config_static_selectorELNS0_4arch9wavefront6targetE1EEEvT1_,comdat
.Lfunc_end1629:
	.size	_ZN7rocprim17ROCPRIM_400000_NS6detail17trampoline_kernelINS0_14default_configENS1_27scan_by_key_config_selectorIisEEZZNS1_16scan_by_key_implILNS1_25lookback_scan_determinismE0ELb1ES3_N6thrust23THRUST_200600_302600_NS6detail15normal_iteratorINS9_10device_ptrIiEEEENSB_INSC_IsEEEESG_sNS9_4plusIvEENS9_8equal_toIvEEsEE10hipError_tPvRmT2_T3_T4_T5_mT6_T7_P12ihipStream_tbENKUlT_T0_E_clISt17integral_constantIbLb1EES10_IbLb0EEEEDaSW_SX_EUlSW_E_NS1_11comp_targetILNS1_3genE3ELNS1_11target_archE908ELNS1_3gpuE7ELNS1_3repE0EEENS1_30default_config_static_selectorELNS0_4arch9wavefront6targetE1EEEvT1_, .Lfunc_end1629-_ZN7rocprim17ROCPRIM_400000_NS6detail17trampoline_kernelINS0_14default_configENS1_27scan_by_key_config_selectorIisEEZZNS1_16scan_by_key_implILNS1_25lookback_scan_determinismE0ELb1ES3_N6thrust23THRUST_200600_302600_NS6detail15normal_iteratorINS9_10device_ptrIiEEEENSB_INSC_IsEEEESG_sNS9_4plusIvEENS9_8equal_toIvEEsEE10hipError_tPvRmT2_T3_T4_T5_mT6_T7_P12ihipStream_tbENKUlT_T0_E_clISt17integral_constantIbLb1EES10_IbLb0EEEEDaSW_SX_EUlSW_E_NS1_11comp_targetILNS1_3genE3ELNS1_11target_archE908ELNS1_3gpuE7ELNS1_3repE0EEENS1_30default_config_static_selectorELNS0_4arch9wavefront6targetE1EEEvT1_
                                        ; -- End function
	.section	.AMDGPU.csdata,"",@progbits
; Kernel info:
; codeLenInByte = 0
; NumSgprs: 4
; NumVgprs: 0
; NumAgprs: 0
; TotalNumVgprs: 0
; ScratchSize: 0
; MemoryBound: 0
; FloatMode: 240
; IeeeMode: 1
; LDSByteSize: 0 bytes/workgroup (compile time only)
; SGPRBlocks: 0
; VGPRBlocks: 0
; NumSGPRsForWavesPerEU: 4
; NumVGPRsForWavesPerEU: 1
; AccumOffset: 4
; Occupancy: 8
; WaveLimiterHint : 0
; COMPUTE_PGM_RSRC2:SCRATCH_EN: 0
; COMPUTE_PGM_RSRC2:USER_SGPR: 6
; COMPUTE_PGM_RSRC2:TRAP_HANDLER: 0
; COMPUTE_PGM_RSRC2:TGID_X_EN: 1
; COMPUTE_PGM_RSRC2:TGID_Y_EN: 0
; COMPUTE_PGM_RSRC2:TGID_Z_EN: 0
; COMPUTE_PGM_RSRC2:TIDIG_COMP_CNT: 0
; COMPUTE_PGM_RSRC3_GFX90A:ACCUM_OFFSET: 0
; COMPUTE_PGM_RSRC3_GFX90A:TG_SPLIT: 0
	.section	.text._ZN7rocprim17ROCPRIM_400000_NS6detail17trampoline_kernelINS0_14default_configENS1_27scan_by_key_config_selectorIisEEZZNS1_16scan_by_key_implILNS1_25lookback_scan_determinismE0ELb1ES3_N6thrust23THRUST_200600_302600_NS6detail15normal_iteratorINS9_10device_ptrIiEEEENSB_INSC_IsEEEESG_sNS9_4plusIvEENS9_8equal_toIvEEsEE10hipError_tPvRmT2_T3_T4_T5_mT6_T7_P12ihipStream_tbENKUlT_T0_E_clISt17integral_constantIbLb1EES10_IbLb0EEEEDaSW_SX_EUlSW_E_NS1_11comp_targetILNS1_3genE2ELNS1_11target_archE906ELNS1_3gpuE6ELNS1_3repE0EEENS1_30default_config_static_selectorELNS0_4arch9wavefront6targetE1EEEvT1_,"axG",@progbits,_ZN7rocprim17ROCPRIM_400000_NS6detail17trampoline_kernelINS0_14default_configENS1_27scan_by_key_config_selectorIisEEZZNS1_16scan_by_key_implILNS1_25lookback_scan_determinismE0ELb1ES3_N6thrust23THRUST_200600_302600_NS6detail15normal_iteratorINS9_10device_ptrIiEEEENSB_INSC_IsEEEESG_sNS9_4plusIvEENS9_8equal_toIvEEsEE10hipError_tPvRmT2_T3_T4_T5_mT6_T7_P12ihipStream_tbENKUlT_T0_E_clISt17integral_constantIbLb1EES10_IbLb0EEEEDaSW_SX_EUlSW_E_NS1_11comp_targetILNS1_3genE2ELNS1_11target_archE906ELNS1_3gpuE6ELNS1_3repE0EEENS1_30default_config_static_selectorELNS0_4arch9wavefront6targetE1EEEvT1_,comdat
	.protected	_ZN7rocprim17ROCPRIM_400000_NS6detail17trampoline_kernelINS0_14default_configENS1_27scan_by_key_config_selectorIisEEZZNS1_16scan_by_key_implILNS1_25lookback_scan_determinismE0ELb1ES3_N6thrust23THRUST_200600_302600_NS6detail15normal_iteratorINS9_10device_ptrIiEEEENSB_INSC_IsEEEESG_sNS9_4plusIvEENS9_8equal_toIvEEsEE10hipError_tPvRmT2_T3_T4_T5_mT6_T7_P12ihipStream_tbENKUlT_T0_E_clISt17integral_constantIbLb1EES10_IbLb0EEEEDaSW_SX_EUlSW_E_NS1_11comp_targetILNS1_3genE2ELNS1_11target_archE906ELNS1_3gpuE6ELNS1_3repE0EEENS1_30default_config_static_selectorELNS0_4arch9wavefront6targetE1EEEvT1_ ; -- Begin function _ZN7rocprim17ROCPRIM_400000_NS6detail17trampoline_kernelINS0_14default_configENS1_27scan_by_key_config_selectorIisEEZZNS1_16scan_by_key_implILNS1_25lookback_scan_determinismE0ELb1ES3_N6thrust23THRUST_200600_302600_NS6detail15normal_iteratorINS9_10device_ptrIiEEEENSB_INSC_IsEEEESG_sNS9_4plusIvEENS9_8equal_toIvEEsEE10hipError_tPvRmT2_T3_T4_T5_mT6_T7_P12ihipStream_tbENKUlT_T0_E_clISt17integral_constantIbLb1EES10_IbLb0EEEEDaSW_SX_EUlSW_E_NS1_11comp_targetILNS1_3genE2ELNS1_11target_archE906ELNS1_3gpuE6ELNS1_3repE0EEENS1_30default_config_static_selectorELNS0_4arch9wavefront6targetE1EEEvT1_
	.globl	_ZN7rocprim17ROCPRIM_400000_NS6detail17trampoline_kernelINS0_14default_configENS1_27scan_by_key_config_selectorIisEEZZNS1_16scan_by_key_implILNS1_25lookback_scan_determinismE0ELb1ES3_N6thrust23THRUST_200600_302600_NS6detail15normal_iteratorINS9_10device_ptrIiEEEENSB_INSC_IsEEEESG_sNS9_4plusIvEENS9_8equal_toIvEEsEE10hipError_tPvRmT2_T3_T4_T5_mT6_T7_P12ihipStream_tbENKUlT_T0_E_clISt17integral_constantIbLb1EES10_IbLb0EEEEDaSW_SX_EUlSW_E_NS1_11comp_targetILNS1_3genE2ELNS1_11target_archE906ELNS1_3gpuE6ELNS1_3repE0EEENS1_30default_config_static_selectorELNS0_4arch9wavefront6targetE1EEEvT1_
	.p2align	8
	.type	_ZN7rocprim17ROCPRIM_400000_NS6detail17trampoline_kernelINS0_14default_configENS1_27scan_by_key_config_selectorIisEEZZNS1_16scan_by_key_implILNS1_25lookback_scan_determinismE0ELb1ES3_N6thrust23THRUST_200600_302600_NS6detail15normal_iteratorINS9_10device_ptrIiEEEENSB_INSC_IsEEEESG_sNS9_4plusIvEENS9_8equal_toIvEEsEE10hipError_tPvRmT2_T3_T4_T5_mT6_T7_P12ihipStream_tbENKUlT_T0_E_clISt17integral_constantIbLb1EES10_IbLb0EEEEDaSW_SX_EUlSW_E_NS1_11comp_targetILNS1_3genE2ELNS1_11target_archE906ELNS1_3gpuE6ELNS1_3repE0EEENS1_30default_config_static_selectorELNS0_4arch9wavefront6targetE1EEEvT1_,@function
_ZN7rocprim17ROCPRIM_400000_NS6detail17trampoline_kernelINS0_14default_configENS1_27scan_by_key_config_selectorIisEEZZNS1_16scan_by_key_implILNS1_25lookback_scan_determinismE0ELb1ES3_N6thrust23THRUST_200600_302600_NS6detail15normal_iteratorINS9_10device_ptrIiEEEENSB_INSC_IsEEEESG_sNS9_4plusIvEENS9_8equal_toIvEEsEE10hipError_tPvRmT2_T3_T4_T5_mT6_T7_P12ihipStream_tbENKUlT_T0_E_clISt17integral_constantIbLb1EES10_IbLb0EEEEDaSW_SX_EUlSW_E_NS1_11comp_targetILNS1_3genE2ELNS1_11target_archE906ELNS1_3gpuE6ELNS1_3repE0EEENS1_30default_config_static_selectorELNS0_4arch9wavefront6targetE1EEEvT1_: ; @_ZN7rocprim17ROCPRIM_400000_NS6detail17trampoline_kernelINS0_14default_configENS1_27scan_by_key_config_selectorIisEEZZNS1_16scan_by_key_implILNS1_25lookback_scan_determinismE0ELb1ES3_N6thrust23THRUST_200600_302600_NS6detail15normal_iteratorINS9_10device_ptrIiEEEENSB_INSC_IsEEEESG_sNS9_4plusIvEENS9_8equal_toIvEEsEE10hipError_tPvRmT2_T3_T4_T5_mT6_T7_P12ihipStream_tbENKUlT_T0_E_clISt17integral_constantIbLb1EES10_IbLb0EEEEDaSW_SX_EUlSW_E_NS1_11comp_targetILNS1_3genE2ELNS1_11target_archE906ELNS1_3gpuE6ELNS1_3repE0EEENS1_30default_config_static_selectorELNS0_4arch9wavefront6targetE1EEEvT1_
; %bb.0:
	.section	.rodata,"a",@progbits
	.p2align	6, 0x0
	.amdhsa_kernel _ZN7rocprim17ROCPRIM_400000_NS6detail17trampoline_kernelINS0_14default_configENS1_27scan_by_key_config_selectorIisEEZZNS1_16scan_by_key_implILNS1_25lookback_scan_determinismE0ELb1ES3_N6thrust23THRUST_200600_302600_NS6detail15normal_iteratorINS9_10device_ptrIiEEEENSB_INSC_IsEEEESG_sNS9_4plusIvEENS9_8equal_toIvEEsEE10hipError_tPvRmT2_T3_T4_T5_mT6_T7_P12ihipStream_tbENKUlT_T0_E_clISt17integral_constantIbLb1EES10_IbLb0EEEEDaSW_SX_EUlSW_E_NS1_11comp_targetILNS1_3genE2ELNS1_11target_archE906ELNS1_3gpuE6ELNS1_3repE0EEENS1_30default_config_static_selectorELNS0_4arch9wavefront6targetE1EEEvT1_
		.amdhsa_group_segment_fixed_size 0
		.amdhsa_private_segment_fixed_size 0
		.amdhsa_kernarg_size 112
		.amdhsa_user_sgpr_count 6
		.amdhsa_user_sgpr_private_segment_buffer 1
		.amdhsa_user_sgpr_dispatch_ptr 0
		.amdhsa_user_sgpr_queue_ptr 0
		.amdhsa_user_sgpr_kernarg_segment_ptr 1
		.amdhsa_user_sgpr_dispatch_id 0
		.amdhsa_user_sgpr_flat_scratch_init 0
		.amdhsa_user_sgpr_kernarg_preload_length 0
		.amdhsa_user_sgpr_kernarg_preload_offset 0
		.amdhsa_user_sgpr_private_segment_size 0
		.amdhsa_uses_dynamic_stack 0
		.amdhsa_system_sgpr_private_segment_wavefront_offset 0
		.amdhsa_system_sgpr_workgroup_id_x 1
		.amdhsa_system_sgpr_workgroup_id_y 0
		.amdhsa_system_sgpr_workgroup_id_z 0
		.amdhsa_system_sgpr_workgroup_info 0
		.amdhsa_system_vgpr_workitem_id 0
		.amdhsa_next_free_vgpr 1
		.amdhsa_next_free_sgpr 0
		.amdhsa_accum_offset 4
		.amdhsa_reserve_vcc 0
		.amdhsa_reserve_flat_scratch 0
		.amdhsa_float_round_mode_32 0
		.amdhsa_float_round_mode_16_64 0
		.amdhsa_float_denorm_mode_32 3
		.amdhsa_float_denorm_mode_16_64 3
		.amdhsa_dx10_clamp 1
		.amdhsa_ieee_mode 1
		.amdhsa_fp16_overflow 0
		.amdhsa_tg_split 0
		.amdhsa_exception_fp_ieee_invalid_op 0
		.amdhsa_exception_fp_denorm_src 0
		.amdhsa_exception_fp_ieee_div_zero 0
		.amdhsa_exception_fp_ieee_overflow 0
		.amdhsa_exception_fp_ieee_underflow 0
		.amdhsa_exception_fp_ieee_inexact 0
		.amdhsa_exception_int_div_zero 0
	.end_amdhsa_kernel
	.section	.text._ZN7rocprim17ROCPRIM_400000_NS6detail17trampoline_kernelINS0_14default_configENS1_27scan_by_key_config_selectorIisEEZZNS1_16scan_by_key_implILNS1_25lookback_scan_determinismE0ELb1ES3_N6thrust23THRUST_200600_302600_NS6detail15normal_iteratorINS9_10device_ptrIiEEEENSB_INSC_IsEEEESG_sNS9_4plusIvEENS9_8equal_toIvEEsEE10hipError_tPvRmT2_T3_T4_T5_mT6_T7_P12ihipStream_tbENKUlT_T0_E_clISt17integral_constantIbLb1EES10_IbLb0EEEEDaSW_SX_EUlSW_E_NS1_11comp_targetILNS1_3genE2ELNS1_11target_archE906ELNS1_3gpuE6ELNS1_3repE0EEENS1_30default_config_static_selectorELNS0_4arch9wavefront6targetE1EEEvT1_,"axG",@progbits,_ZN7rocprim17ROCPRIM_400000_NS6detail17trampoline_kernelINS0_14default_configENS1_27scan_by_key_config_selectorIisEEZZNS1_16scan_by_key_implILNS1_25lookback_scan_determinismE0ELb1ES3_N6thrust23THRUST_200600_302600_NS6detail15normal_iteratorINS9_10device_ptrIiEEEENSB_INSC_IsEEEESG_sNS9_4plusIvEENS9_8equal_toIvEEsEE10hipError_tPvRmT2_T3_T4_T5_mT6_T7_P12ihipStream_tbENKUlT_T0_E_clISt17integral_constantIbLb1EES10_IbLb0EEEEDaSW_SX_EUlSW_E_NS1_11comp_targetILNS1_3genE2ELNS1_11target_archE906ELNS1_3gpuE6ELNS1_3repE0EEENS1_30default_config_static_selectorELNS0_4arch9wavefront6targetE1EEEvT1_,comdat
.Lfunc_end1630:
	.size	_ZN7rocprim17ROCPRIM_400000_NS6detail17trampoline_kernelINS0_14default_configENS1_27scan_by_key_config_selectorIisEEZZNS1_16scan_by_key_implILNS1_25lookback_scan_determinismE0ELb1ES3_N6thrust23THRUST_200600_302600_NS6detail15normal_iteratorINS9_10device_ptrIiEEEENSB_INSC_IsEEEESG_sNS9_4plusIvEENS9_8equal_toIvEEsEE10hipError_tPvRmT2_T3_T4_T5_mT6_T7_P12ihipStream_tbENKUlT_T0_E_clISt17integral_constantIbLb1EES10_IbLb0EEEEDaSW_SX_EUlSW_E_NS1_11comp_targetILNS1_3genE2ELNS1_11target_archE906ELNS1_3gpuE6ELNS1_3repE0EEENS1_30default_config_static_selectorELNS0_4arch9wavefront6targetE1EEEvT1_, .Lfunc_end1630-_ZN7rocprim17ROCPRIM_400000_NS6detail17trampoline_kernelINS0_14default_configENS1_27scan_by_key_config_selectorIisEEZZNS1_16scan_by_key_implILNS1_25lookback_scan_determinismE0ELb1ES3_N6thrust23THRUST_200600_302600_NS6detail15normal_iteratorINS9_10device_ptrIiEEEENSB_INSC_IsEEEESG_sNS9_4plusIvEENS9_8equal_toIvEEsEE10hipError_tPvRmT2_T3_T4_T5_mT6_T7_P12ihipStream_tbENKUlT_T0_E_clISt17integral_constantIbLb1EES10_IbLb0EEEEDaSW_SX_EUlSW_E_NS1_11comp_targetILNS1_3genE2ELNS1_11target_archE906ELNS1_3gpuE6ELNS1_3repE0EEENS1_30default_config_static_selectorELNS0_4arch9wavefront6targetE1EEEvT1_
                                        ; -- End function
	.section	.AMDGPU.csdata,"",@progbits
; Kernel info:
; codeLenInByte = 0
; NumSgprs: 4
; NumVgprs: 0
; NumAgprs: 0
; TotalNumVgprs: 0
; ScratchSize: 0
; MemoryBound: 0
; FloatMode: 240
; IeeeMode: 1
; LDSByteSize: 0 bytes/workgroup (compile time only)
; SGPRBlocks: 0
; VGPRBlocks: 0
; NumSGPRsForWavesPerEU: 4
; NumVGPRsForWavesPerEU: 1
; AccumOffset: 4
; Occupancy: 8
; WaveLimiterHint : 0
; COMPUTE_PGM_RSRC2:SCRATCH_EN: 0
; COMPUTE_PGM_RSRC2:USER_SGPR: 6
; COMPUTE_PGM_RSRC2:TRAP_HANDLER: 0
; COMPUTE_PGM_RSRC2:TGID_X_EN: 1
; COMPUTE_PGM_RSRC2:TGID_Y_EN: 0
; COMPUTE_PGM_RSRC2:TGID_Z_EN: 0
; COMPUTE_PGM_RSRC2:TIDIG_COMP_CNT: 0
; COMPUTE_PGM_RSRC3_GFX90A:ACCUM_OFFSET: 0
; COMPUTE_PGM_RSRC3_GFX90A:TG_SPLIT: 0
	.section	.text._ZN7rocprim17ROCPRIM_400000_NS6detail17trampoline_kernelINS0_14default_configENS1_27scan_by_key_config_selectorIisEEZZNS1_16scan_by_key_implILNS1_25lookback_scan_determinismE0ELb1ES3_N6thrust23THRUST_200600_302600_NS6detail15normal_iteratorINS9_10device_ptrIiEEEENSB_INSC_IsEEEESG_sNS9_4plusIvEENS9_8equal_toIvEEsEE10hipError_tPvRmT2_T3_T4_T5_mT6_T7_P12ihipStream_tbENKUlT_T0_E_clISt17integral_constantIbLb1EES10_IbLb0EEEEDaSW_SX_EUlSW_E_NS1_11comp_targetILNS1_3genE10ELNS1_11target_archE1200ELNS1_3gpuE4ELNS1_3repE0EEENS1_30default_config_static_selectorELNS0_4arch9wavefront6targetE1EEEvT1_,"axG",@progbits,_ZN7rocprim17ROCPRIM_400000_NS6detail17trampoline_kernelINS0_14default_configENS1_27scan_by_key_config_selectorIisEEZZNS1_16scan_by_key_implILNS1_25lookback_scan_determinismE0ELb1ES3_N6thrust23THRUST_200600_302600_NS6detail15normal_iteratorINS9_10device_ptrIiEEEENSB_INSC_IsEEEESG_sNS9_4plusIvEENS9_8equal_toIvEEsEE10hipError_tPvRmT2_T3_T4_T5_mT6_T7_P12ihipStream_tbENKUlT_T0_E_clISt17integral_constantIbLb1EES10_IbLb0EEEEDaSW_SX_EUlSW_E_NS1_11comp_targetILNS1_3genE10ELNS1_11target_archE1200ELNS1_3gpuE4ELNS1_3repE0EEENS1_30default_config_static_selectorELNS0_4arch9wavefront6targetE1EEEvT1_,comdat
	.protected	_ZN7rocprim17ROCPRIM_400000_NS6detail17trampoline_kernelINS0_14default_configENS1_27scan_by_key_config_selectorIisEEZZNS1_16scan_by_key_implILNS1_25lookback_scan_determinismE0ELb1ES3_N6thrust23THRUST_200600_302600_NS6detail15normal_iteratorINS9_10device_ptrIiEEEENSB_INSC_IsEEEESG_sNS9_4plusIvEENS9_8equal_toIvEEsEE10hipError_tPvRmT2_T3_T4_T5_mT6_T7_P12ihipStream_tbENKUlT_T0_E_clISt17integral_constantIbLb1EES10_IbLb0EEEEDaSW_SX_EUlSW_E_NS1_11comp_targetILNS1_3genE10ELNS1_11target_archE1200ELNS1_3gpuE4ELNS1_3repE0EEENS1_30default_config_static_selectorELNS0_4arch9wavefront6targetE1EEEvT1_ ; -- Begin function _ZN7rocprim17ROCPRIM_400000_NS6detail17trampoline_kernelINS0_14default_configENS1_27scan_by_key_config_selectorIisEEZZNS1_16scan_by_key_implILNS1_25lookback_scan_determinismE0ELb1ES3_N6thrust23THRUST_200600_302600_NS6detail15normal_iteratorINS9_10device_ptrIiEEEENSB_INSC_IsEEEESG_sNS9_4plusIvEENS9_8equal_toIvEEsEE10hipError_tPvRmT2_T3_T4_T5_mT6_T7_P12ihipStream_tbENKUlT_T0_E_clISt17integral_constantIbLb1EES10_IbLb0EEEEDaSW_SX_EUlSW_E_NS1_11comp_targetILNS1_3genE10ELNS1_11target_archE1200ELNS1_3gpuE4ELNS1_3repE0EEENS1_30default_config_static_selectorELNS0_4arch9wavefront6targetE1EEEvT1_
	.globl	_ZN7rocprim17ROCPRIM_400000_NS6detail17trampoline_kernelINS0_14default_configENS1_27scan_by_key_config_selectorIisEEZZNS1_16scan_by_key_implILNS1_25lookback_scan_determinismE0ELb1ES3_N6thrust23THRUST_200600_302600_NS6detail15normal_iteratorINS9_10device_ptrIiEEEENSB_INSC_IsEEEESG_sNS9_4plusIvEENS9_8equal_toIvEEsEE10hipError_tPvRmT2_T3_T4_T5_mT6_T7_P12ihipStream_tbENKUlT_T0_E_clISt17integral_constantIbLb1EES10_IbLb0EEEEDaSW_SX_EUlSW_E_NS1_11comp_targetILNS1_3genE10ELNS1_11target_archE1200ELNS1_3gpuE4ELNS1_3repE0EEENS1_30default_config_static_selectorELNS0_4arch9wavefront6targetE1EEEvT1_
	.p2align	8
	.type	_ZN7rocprim17ROCPRIM_400000_NS6detail17trampoline_kernelINS0_14default_configENS1_27scan_by_key_config_selectorIisEEZZNS1_16scan_by_key_implILNS1_25lookback_scan_determinismE0ELb1ES3_N6thrust23THRUST_200600_302600_NS6detail15normal_iteratorINS9_10device_ptrIiEEEENSB_INSC_IsEEEESG_sNS9_4plusIvEENS9_8equal_toIvEEsEE10hipError_tPvRmT2_T3_T4_T5_mT6_T7_P12ihipStream_tbENKUlT_T0_E_clISt17integral_constantIbLb1EES10_IbLb0EEEEDaSW_SX_EUlSW_E_NS1_11comp_targetILNS1_3genE10ELNS1_11target_archE1200ELNS1_3gpuE4ELNS1_3repE0EEENS1_30default_config_static_selectorELNS0_4arch9wavefront6targetE1EEEvT1_,@function
_ZN7rocprim17ROCPRIM_400000_NS6detail17trampoline_kernelINS0_14default_configENS1_27scan_by_key_config_selectorIisEEZZNS1_16scan_by_key_implILNS1_25lookback_scan_determinismE0ELb1ES3_N6thrust23THRUST_200600_302600_NS6detail15normal_iteratorINS9_10device_ptrIiEEEENSB_INSC_IsEEEESG_sNS9_4plusIvEENS9_8equal_toIvEEsEE10hipError_tPvRmT2_T3_T4_T5_mT6_T7_P12ihipStream_tbENKUlT_T0_E_clISt17integral_constantIbLb1EES10_IbLb0EEEEDaSW_SX_EUlSW_E_NS1_11comp_targetILNS1_3genE10ELNS1_11target_archE1200ELNS1_3gpuE4ELNS1_3repE0EEENS1_30default_config_static_selectorELNS0_4arch9wavefront6targetE1EEEvT1_: ; @_ZN7rocprim17ROCPRIM_400000_NS6detail17trampoline_kernelINS0_14default_configENS1_27scan_by_key_config_selectorIisEEZZNS1_16scan_by_key_implILNS1_25lookback_scan_determinismE0ELb1ES3_N6thrust23THRUST_200600_302600_NS6detail15normal_iteratorINS9_10device_ptrIiEEEENSB_INSC_IsEEEESG_sNS9_4plusIvEENS9_8equal_toIvEEsEE10hipError_tPvRmT2_T3_T4_T5_mT6_T7_P12ihipStream_tbENKUlT_T0_E_clISt17integral_constantIbLb1EES10_IbLb0EEEEDaSW_SX_EUlSW_E_NS1_11comp_targetILNS1_3genE10ELNS1_11target_archE1200ELNS1_3gpuE4ELNS1_3repE0EEENS1_30default_config_static_selectorELNS0_4arch9wavefront6targetE1EEEvT1_
; %bb.0:
	.section	.rodata,"a",@progbits
	.p2align	6, 0x0
	.amdhsa_kernel _ZN7rocprim17ROCPRIM_400000_NS6detail17trampoline_kernelINS0_14default_configENS1_27scan_by_key_config_selectorIisEEZZNS1_16scan_by_key_implILNS1_25lookback_scan_determinismE0ELb1ES3_N6thrust23THRUST_200600_302600_NS6detail15normal_iteratorINS9_10device_ptrIiEEEENSB_INSC_IsEEEESG_sNS9_4plusIvEENS9_8equal_toIvEEsEE10hipError_tPvRmT2_T3_T4_T5_mT6_T7_P12ihipStream_tbENKUlT_T0_E_clISt17integral_constantIbLb1EES10_IbLb0EEEEDaSW_SX_EUlSW_E_NS1_11comp_targetILNS1_3genE10ELNS1_11target_archE1200ELNS1_3gpuE4ELNS1_3repE0EEENS1_30default_config_static_selectorELNS0_4arch9wavefront6targetE1EEEvT1_
		.amdhsa_group_segment_fixed_size 0
		.amdhsa_private_segment_fixed_size 0
		.amdhsa_kernarg_size 112
		.amdhsa_user_sgpr_count 6
		.amdhsa_user_sgpr_private_segment_buffer 1
		.amdhsa_user_sgpr_dispatch_ptr 0
		.amdhsa_user_sgpr_queue_ptr 0
		.amdhsa_user_sgpr_kernarg_segment_ptr 1
		.amdhsa_user_sgpr_dispatch_id 0
		.amdhsa_user_sgpr_flat_scratch_init 0
		.amdhsa_user_sgpr_kernarg_preload_length 0
		.amdhsa_user_sgpr_kernarg_preload_offset 0
		.amdhsa_user_sgpr_private_segment_size 0
		.amdhsa_uses_dynamic_stack 0
		.amdhsa_system_sgpr_private_segment_wavefront_offset 0
		.amdhsa_system_sgpr_workgroup_id_x 1
		.amdhsa_system_sgpr_workgroup_id_y 0
		.amdhsa_system_sgpr_workgroup_id_z 0
		.amdhsa_system_sgpr_workgroup_info 0
		.amdhsa_system_vgpr_workitem_id 0
		.amdhsa_next_free_vgpr 1
		.amdhsa_next_free_sgpr 0
		.amdhsa_accum_offset 4
		.amdhsa_reserve_vcc 0
		.amdhsa_reserve_flat_scratch 0
		.amdhsa_float_round_mode_32 0
		.amdhsa_float_round_mode_16_64 0
		.amdhsa_float_denorm_mode_32 3
		.amdhsa_float_denorm_mode_16_64 3
		.amdhsa_dx10_clamp 1
		.amdhsa_ieee_mode 1
		.amdhsa_fp16_overflow 0
		.amdhsa_tg_split 0
		.amdhsa_exception_fp_ieee_invalid_op 0
		.amdhsa_exception_fp_denorm_src 0
		.amdhsa_exception_fp_ieee_div_zero 0
		.amdhsa_exception_fp_ieee_overflow 0
		.amdhsa_exception_fp_ieee_underflow 0
		.amdhsa_exception_fp_ieee_inexact 0
		.amdhsa_exception_int_div_zero 0
	.end_amdhsa_kernel
	.section	.text._ZN7rocprim17ROCPRIM_400000_NS6detail17trampoline_kernelINS0_14default_configENS1_27scan_by_key_config_selectorIisEEZZNS1_16scan_by_key_implILNS1_25lookback_scan_determinismE0ELb1ES3_N6thrust23THRUST_200600_302600_NS6detail15normal_iteratorINS9_10device_ptrIiEEEENSB_INSC_IsEEEESG_sNS9_4plusIvEENS9_8equal_toIvEEsEE10hipError_tPvRmT2_T3_T4_T5_mT6_T7_P12ihipStream_tbENKUlT_T0_E_clISt17integral_constantIbLb1EES10_IbLb0EEEEDaSW_SX_EUlSW_E_NS1_11comp_targetILNS1_3genE10ELNS1_11target_archE1200ELNS1_3gpuE4ELNS1_3repE0EEENS1_30default_config_static_selectorELNS0_4arch9wavefront6targetE1EEEvT1_,"axG",@progbits,_ZN7rocprim17ROCPRIM_400000_NS6detail17trampoline_kernelINS0_14default_configENS1_27scan_by_key_config_selectorIisEEZZNS1_16scan_by_key_implILNS1_25lookback_scan_determinismE0ELb1ES3_N6thrust23THRUST_200600_302600_NS6detail15normal_iteratorINS9_10device_ptrIiEEEENSB_INSC_IsEEEESG_sNS9_4plusIvEENS9_8equal_toIvEEsEE10hipError_tPvRmT2_T3_T4_T5_mT6_T7_P12ihipStream_tbENKUlT_T0_E_clISt17integral_constantIbLb1EES10_IbLb0EEEEDaSW_SX_EUlSW_E_NS1_11comp_targetILNS1_3genE10ELNS1_11target_archE1200ELNS1_3gpuE4ELNS1_3repE0EEENS1_30default_config_static_selectorELNS0_4arch9wavefront6targetE1EEEvT1_,comdat
.Lfunc_end1631:
	.size	_ZN7rocprim17ROCPRIM_400000_NS6detail17trampoline_kernelINS0_14default_configENS1_27scan_by_key_config_selectorIisEEZZNS1_16scan_by_key_implILNS1_25lookback_scan_determinismE0ELb1ES3_N6thrust23THRUST_200600_302600_NS6detail15normal_iteratorINS9_10device_ptrIiEEEENSB_INSC_IsEEEESG_sNS9_4plusIvEENS9_8equal_toIvEEsEE10hipError_tPvRmT2_T3_T4_T5_mT6_T7_P12ihipStream_tbENKUlT_T0_E_clISt17integral_constantIbLb1EES10_IbLb0EEEEDaSW_SX_EUlSW_E_NS1_11comp_targetILNS1_3genE10ELNS1_11target_archE1200ELNS1_3gpuE4ELNS1_3repE0EEENS1_30default_config_static_selectorELNS0_4arch9wavefront6targetE1EEEvT1_, .Lfunc_end1631-_ZN7rocprim17ROCPRIM_400000_NS6detail17trampoline_kernelINS0_14default_configENS1_27scan_by_key_config_selectorIisEEZZNS1_16scan_by_key_implILNS1_25lookback_scan_determinismE0ELb1ES3_N6thrust23THRUST_200600_302600_NS6detail15normal_iteratorINS9_10device_ptrIiEEEENSB_INSC_IsEEEESG_sNS9_4plusIvEENS9_8equal_toIvEEsEE10hipError_tPvRmT2_T3_T4_T5_mT6_T7_P12ihipStream_tbENKUlT_T0_E_clISt17integral_constantIbLb1EES10_IbLb0EEEEDaSW_SX_EUlSW_E_NS1_11comp_targetILNS1_3genE10ELNS1_11target_archE1200ELNS1_3gpuE4ELNS1_3repE0EEENS1_30default_config_static_selectorELNS0_4arch9wavefront6targetE1EEEvT1_
                                        ; -- End function
	.section	.AMDGPU.csdata,"",@progbits
; Kernel info:
; codeLenInByte = 0
; NumSgprs: 4
; NumVgprs: 0
; NumAgprs: 0
; TotalNumVgprs: 0
; ScratchSize: 0
; MemoryBound: 0
; FloatMode: 240
; IeeeMode: 1
; LDSByteSize: 0 bytes/workgroup (compile time only)
; SGPRBlocks: 0
; VGPRBlocks: 0
; NumSGPRsForWavesPerEU: 4
; NumVGPRsForWavesPerEU: 1
; AccumOffset: 4
; Occupancy: 8
; WaveLimiterHint : 0
; COMPUTE_PGM_RSRC2:SCRATCH_EN: 0
; COMPUTE_PGM_RSRC2:USER_SGPR: 6
; COMPUTE_PGM_RSRC2:TRAP_HANDLER: 0
; COMPUTE_PGM_RSRC2:TGID_X_EN: 1
; COMPUTE_PGM_RSRC2:TGID_Y_EN: 0
; COMPUTE_PGM_RSRC2:TGID_Z_EN: 0
; COMPUTE_PGM_RSRC2:TIDIG_COMP_CNT: 0
; COMPUTE_PGM_RSRC3_GFX90A:ACCUM_OFFSET: 0
; COMPUTE_PGM_RSRC3_GFX90A:TG_SPLIT: 0
	.section	.text._ZN7rocprim17ROCPRIM_400000_NS6detail17trampoline_kernelINS0_14default_configENS1_27scan_by_key_config_selectorIisEEZZNS1_16scan_by_key_implILNS1_25lookback_scan_determinismE0ELb1ES3_N6thrust23THRUST_200600_302600_NS6detail15normal_iteratorINS9_10device_ptrIiEEEENSB_INSC_IsEEEESG_sNS9_4plusIvEENS9_8equal_toIvEEsEE10hipError_tPvRmT2_T3_T4_T5_mT6_T7_P12ihipStream_tbENKUlT_T0_E_clISt17integral_constantIbLb1EES10_IbLb0EEEEDaSW_SX_EUlSW_E_NS1_11comp_targetILNS1_3genE9ELNS1_11target_archE1100ELNS1_3gpuE3ELNS1_3repE0EEENS1_30default_config_static_selectorELNS0_4arch9wavefront6targetE1EEEvT1_,"axG",@progbits,_ZN7rocprim17ROCPRIM_400000_NS6detail17trampoline_kernelINS0_14default_configENS1_27scan_by_key_config_selectorIisEEZZNS1_16scan_by_key_implILNS1_25lookback_scan_determinismE0ELb1ES3_N6thrust23THRUST_200600_302600_NS6detail15normal_iteratorINS9_10device_ptrIiEEEENSB_INSC_IsEEEESG_sNS9_4plusIvEENS9_8equal_toIvEEsEE10hipError_tPvRmT2_T3_T4_T5_mT6_T7_P12ihipStream_tbENKUlT_T0_E_clISt17integral_constantIbLb1EES10_IbLb0EEEEDaSW_SX_EUlSW_E_NS1_11comp_targetILNS1_3genE9ELNS1_11target_archE1100ELNS1_3gpuE3ELNS1_3repE0EEENS1_30default_config_static_selectorELNS0_4arch9wavefront6targetE1EEEvT1_,comdat
	.protected	_ZN7rocprim17ROCPRIM_400000_NS6detail17trampoline_kernelINS0_14default_configENS1_27scan_by_key_config_selectorIisEEZZNS1_16scan_by_key_implILNS1_25lookback_scan_determinismE0ELb1ES3_N6thrust23THRUST_200600_302600_NS6detail15normal_iteratorINS9_10device_ptrIiEEEENSB_INSC_IsEEEESG_sNS9_4plusIvEENS9_8equal_toIvEEsEE10hipError_tPvRmT2_T3_T4_T5_mT6_T7_P12ihipStream_tbENKUlT_T0_E_clISt17integral_constantIbLb1EES10_IbLb0EEEEDaSW_SX_EUlSW_E_NS1_11comp_targetILNS1_3genE9ELNS1_11target_archE1100ELNS1_3gpuE3ELNS1_3repE0EEENS1_30default_config_static_selectorELNS0_4arch9wavefront6targetE1EEEvT1_ ; -- Begin function _ZN7rocprim17ROCPRIM_400000_NS6detail17trampoline_kernelINS0_14default_configENS1_27scan_by_key_config_selectorIisEEZZNS1_16scan_by_key_implILNS1_25lookback_scan_determinismE0ELb1ES3_N6thrust23THRUST_200600_302600_NS6detail15normal_iteratorINS9_10device_ptrIiEEEENSB_INSC_IsEEEESG_sNS9_4plusIvEENS9_8equal_toIvEEsEE10hipError_tPvRmT2_T3_T4_T5_mT6_T7_P12ihipStream_tbENKUlT_T0_E_clISt17integral_constantIbLb1EES10_IbLb0EEEEDaSW_SX_EUlSW_E_NS1_11comp_targetILNS1_3genE9ELNS1_11target_archE1100ELNS1_3gpuE3ELNS1_3repE0EEENS1_30default_config_static_selectorELNS0_4arch9wavefront6targetE1EEEvT1_
	.globl	_ZN7rocprim17ROCPRIM_400000_NS6detail17trampoline_kernelINS0_14default_configENS1_27scan_by_key_config_selectorIisEEZZNS1_16scan_by_key_implILNS1_25lookback_scan_determinismE0ELb1ES3_N6thrust23THRUST_200600_302600_NS6detail15normal_iteratorINS9_10device_ptrIiEEEENSB_INSC_IsEEEESG_sNS9_4plusIvEENS9_8equal_toIvEEsEE10hipError_tPvRmT2_T3_T4_T5_mT6_T7_P12ihipStream_tbENKUlT_T0_E_clISt17integral_constantIbLb1EES10_IbLb0EEEEDaSW_SX_EUlSW_E_NS1_11comp_targetILNS1_3genE9ELNS1_11target_archE1100ELNS1_3gpuE3ELNS1_3repE0EEENS1_30default_config_static_selectorELNS0_4arch9wavefront6targetE1EEEvT1_
	.p2align	8
	.type	_ZN7rocprim17ROCPRIM_400000_NS6detail17trampoline_kernelINS0_14default_configENS1_27scan_by_key_config_selectorIisEEZZNS1_16scan_by_key_implILNS1_25lookback_scan_determinismE0ELb1ES3_N6thrust23THRUST_200600_302600_NS6detail15normal_iteratorINS9_10device_ptrIiEEEENSB_INSC_IsEEEESG_sNS9_4plusIvEENS9_8equal_toIvEEsEE10hipError_tPvRmT2_T3_T4_T5_mT6_T7_P12ihipStream_tbENKUlT_T0_E_clISt17integral_constantIbLb1EES10_IbLb0EEEEDaSW_SX_EUlSW_E_NS1_11comp_targetILNS1_3genE9ELNS1_11target_archE1100ELNS1_3gpuE3ELNS1_3repE0EEENS1_30default_config_static_selectorELNS0_4arch9wavefront6targetE1EEEvT1_,@function
_ZN7rocprim17ROCPRIM_400000_NS6detail17trampoline_kernelINS0_14default_configENS1_27scan_by_key_config_selectorIisEEZZNS1_16scan_by_key_implILNS1_25lookback_scan_determinismE0ELb1ES3_N6thrust23THRUST_200600_302600_NS6detail15normal_iteratorINS9_10device_ptrIiEEEENSB_INSC_IsEEEESG_sNS9_4plusIvEENS9_8equal_toIvEEsEE10hipError_tPvRmT2_T3_T4_T5_mT6_T7_P12ihipStream_tbENKUlT_T0_E_clISt17integral_constantIbLb1EES10_IbLb0EEEEDaSW_SX_EUlSW_E_NS1_11comp_targetILNS1_3genE9ELNS1_11target_archE1100ELNS1_3gpuE3ELNS1_3repE0EEENS1_30default_config_static_selectorELNS0_4arch9wavefront6targetE1EEEvT1_: ; @_ZN7rocprim17ROCPRIM_400000_NS6detail17trampoline_kernelINS0_14default_configENS1_27scan_by_key_config_selectorIisEEZZNS1_16scan_by_key_implILNS1_25lookback_scan_determinismE0ELb1ES3_N6thrust23THRUST_200600_302600_NS6detail15normal_iteratorINS9_10device_ptrIiEEEENSB_INSC_IsEEEESG_sNS9_4plusIvEENS9_8equal_toIvEEsEE10hipError_tPvRmT2_T3_T4_T5_mT6_T7_P12ihipStream_tbENKUlT_T0_E_clISt17integral_constantIbLb1EES10_IbLb0EEEEDaSW_SX_EUlSW_E_NS1_11comp_targetILNS1_3genE9ELNS1_11target_archE1100ELNS1_3gpuE3ELNS1_3repE0EEENS1_30default_config_static_selectorELNS0_4arch9wavefront6targetE1EEEvT1_
; %bb.0:
	.section	.rodata,"a",@progbits
	.p2align	6, 0x0
	.amdhsa_kernel _ZN7rocprim17ROCPRIM_400000_NS6detail17trampoline_kernelINS0_14default_configENS1_27scan_by_key_config_selectorIisEEZZNS1_16scan_by_key_implILNS1_25lookback_scan_determinismE0ELb1ES3_N6thrust23THRUST_200600_302600_NS6detail15normal_iteratorINS9_10device_ptrIiEEEENSB_INSC_IsEEEESG_sNS9_4plusIvEENS9_8equal_toIvEEsEE10hipError_tPvRmT2_T3_T4_T5_mT6_T7_P12ihipStream_tbENKUlT_T0_E_clISt17integral_constantIbLb1EES10_IbLb0EEEEDaSW_SX_EUlSW_E_NS1_11comp_targetILNS1_3genE9ELNS1_11target_archE1100ELNS1_3gpuE3ELNS1_3repE0EEENS1_30default_config_static_selectorELNS0_4arch9wavefront6targetE1EEEvT1_
		.amdhsa_group_segment_fixed_size 0
		.amdhsa_private_segment_fixed_size 0
		.amdhsa_kernarg_size 112
		.amdhsa_user_sgpr_count 6
		.amdhsa_user_sgpr_private_segment_buffer 1
		.amdhsa_user_sgpr_dispatch_ptr 0
		.amdhsa_user_sgpr_queue_ptr 0
		.amdhsa_user_sgpr_kernarg_segment_ptr 1
		.amdhsa_user_sgpr_dispatch_id 0
		.amdhsa_user_sgpr_flat_scratch_init 0
		.amdhsa_user_sgpr_kernarg_preload_length 0
		.amdhsa_user_sgpr_kernarg_preload_offset 0
		.amdhsa_user_sgpr_private_segment_size 0
		.amdhsa_uses_dynamic_stack 0
		.amdhsa_system_sgpr_private_segment_wavefront_offset 0
		.amdhsa_system_sgpr_workgroup_id_x 1
		.amdhsa_system_sgpr_workgroup_id_y 0
		.amdhsa_system_sgpr_workgroup_id_z 0
		.amdhsa_system_sgpr_workgroup_info 0
		.amdhsa_system_vgpr_workitem_id 0
		.amdhsa_next_free_vgpr 1
		.amdhsa_next_free_sgpr 0
		.amdhsa_accum_offset 4
		.amdhsa_reserve_vcc 0
		.amdhsa_reserve_flat_scratch 0
		.amdhsa_float_round_mode_32 0
		.amdhsa_float_round_mode_16_64 0
		.amdhsa_float_denorm_mode_32 3
		.amdhsa_float_denorm_mode_16_64 3
		.amdhsa_dx10_clamp 1
		.amdhsa_ieee_mode 1
		.amdhsa_fp16_overflow 0
		.amdhsa_tg_split 0
		.amdhsa_exception_fp_ieee_invalid_op 0
		.amdhsa_exception_fp_denorm_src 0
		.amdhsa_exception_fp_ieee_div_zero 0
		.amdhsa_exception_fp_ieee_overflow 0
		.amdhsa_exception_fp_ieee_underflow 0
		.amdhsa_exception_fp_ieee_inexact 0
		.amdhsa_exception_int_div_zero 0
	.end_amdhsa_kernel
	.section	.text._ZN7rocprim17ROCPRIM_400000_NS6detail17trampoline_kernelINS0_14default_configENS1_27scan_by_key_config_selectorIisEEZZNS1_16scan_by_key_implILNS1_25lookback_scan_determinismE0ELb1ES3_N6thrust23THRUST_200600_302600_NS6detail15normal_iteratorINS9_10device_ptrIiEEEENSB_INSC_IsEEEESG_sNS9_4plusIvEENS9_8equal_toIvEEsEE10hipError_tPvRmT2_T3_T4_T5_mT6_T7_P12ihipStream_tbENKUlT_T0_E_clISt17integral_constantIbLb1EES10_IbLb0EEEEDaSW_SX_EUlSW_E_NS1_11comp_targetILNS1_3genE9ELNS1_11target_archE1100ELNS1_3gpuE3ELNS1_3repE0EEENS1_30default_config_static_selectorELNS0_4arch9wavefront6targetE1EEEvT1_,"axG",@progbits,_ZN7rocprim17ROCPRIM_400000_NS6detail17trampoline_kernelINS0_14default_configENS1_27scan_by_key_config_selectorIisEEZZNS1_16scan_by_key_implILNS1_25lookback_scan_determinismE0ELb1ES3_N6thrust23THRUST_200600_302600_NS6detail15normal_iteratorINS9_10device_ptrIiEEEENSB_INSC_IsEEEESG_sNS9_4plusIvEENS9_8equal_toIvEEsEE10hipError_tPvRmT2_T3_T4_T5_mT6_T7_P12ihipStream_tbENKUlT_T0_E_clISt17integral_constantIbLb1EES10_IbLb0EEEEDaSW_SX_EUlSW_E_NS1_11comp_targetILNS1_3genE9ELNS1_11target_archE1100ELNS1_3gpuE3ELNS1_3repE0EEENS1_30default_config_static_selectorELNS0_4arch9wavefront6targetE1EEEvT1_,comdat
.Lfunc_end1632:
	.size	_ZN7rocprim17ROCPRIM_400000_NS6detail17trampoline_kernelINS0_14default_configENS1_27scan_by_key_config_selectorIisEEZZNS1_16scan_by_key_implILNS1_25lookback_scan_determinismE0ELb1ES3_N6thrust23THRUST_200600_302600_NS6detail15normal_iteratorINS9_10device_ptrIiEEEENSB_INSC_IsEEEESG_sNS9_4plusIvEENS9_8equal_toIvEEsEE10hipError_tPvRmT2_T3_T4_T5_mT6_T7_P12ihipStream_tbENKUlT_T0_E_clISt17integral_constantIbLb1EES10_IbLb0EEEEDaSW_SX_EUlSW_E_NS1_11comp_targetILNS1_3genE9ELNS1_11target_archE1100ELNS1_3gpuE3ELNS1_3repE0EEENS1_30default_config_static_selectorELNS0_4arch9wavefront6targetE1EEEvT1_, .Lfunc_end1632-_ZN7rocprim17ROCPRIM_400000_NS6detail17trampoline_kernelINS0_14default_configENS1_27scan_by_key_config_selectorIisEEZZNS1_16scan_by_key_implILNS1_25lookback_scan_determinismE0ELb1ES3_N6thrust23THRUST_200600_302600_NS6detail15normal_iteratorINS9_10device_ptrIiEEEENSB_INSC_IsEEEESG_sNS9_4plusIvEENS9_8equal_toIvEEsEE10hipError_tPvRmT2_T3_T4_T5_mT6_T7_P12ihipStream_tbENKUlT_T0_E_clISt17integral_constantIbLb1EES10_IbLb0EEEEDaSW_SX_EUlSW_E_NS1_11comp_targetILNS1_3genE9ELNS1_11target_archE1100ELNS1_3gpuE3ELNS1_3repE0EEENS1_30default_config_static_selectorELNS0_4arch9wavefront6targetE1EEEvT1_
                                        ; -- End function
	.section	.AMDGPU.csdata,"",@progbits
; Kernel info:
; codeLenInByte = 0
; NumSgprs: 4
; NumVgprs: 0
; NumAgprs: 0
; TotalNumVgprs: 0
; ScratchSize: 0
; MemoryBound: 0
; FloatMode: 240
; IeeeMode: 1
; LDSByteSize: 0 bytes/workgroup (compile time only)
; SGPRBlocks: 0
; VGPRBlocks: 0
; NumSGPRsForWavesPerEU: 4
; NumVGPRsForWavesPerEU: 1
; AccumOffset: 4
; Occupancy: 8
; WaveLimiterHint : 0
; COMPUTE_PGM_RSRC2:SCRATCH_EN: 0
; COMPUTE_PGM_RSRC2:USER_SGPR: 6
; COMPUTE_PGM_RSRC2:TRAP_HANDLER: 0
; COMPUTE_PGM_RSRC2:TGID_X_EN: 1
; COMPUTE_PGM_RSRC2:TGID_Y_EN: 0
; COMPUTE_PGM_RSRC2:TGID_Z_EN: 0
; COMPUTE_PGM_RSRC2:TIDIG_COMP_CNT: 0
; COMPUTE_PGM_RSRC3_GFX90A:ACCUM_OFFSET: 0
; COMPUTE_PGM_RSRC3_GFX90A:TG_SPLIT: 0
	.section	.text._ZN7rocprim17ROCPRIM_400000_NS6detail17trampoline_kernelINS0_14default_configENS1_27scan_by_key_config_selectorIisEEZZNS1_16scan_by_key_implILNS1_25lookback_scan_determinismE0ELb1ES3_N6thrust23THRUST_200600_302600_NS6detail15normal_iteratorINS9_10device_ptrIiEEEENSB_INSC_IsEEEESG_sNS9_4plusIvEENS9_8equal_toIvEEsEE10hipError_tPvRmT2_T3_T4_T5_mT6_T7_P12ihipStream_tbENKUlT_T0_E_clISt17integral_constantIbLb1EES10_IbLb0EEEEDaSW_SX_EUlSW_E_NS1_11comp_targetILNS1_3genE8ELNS1_11target_archE1030ELNS1_3gpuE2ELNS1_3repE0EEENS1_30default_config_static_selectorELNS0_4arch9wavefront6targetE1EEEvT1_,"axG",@progbits,_ZN7rocprim17ROCPRIM_400000_NS6detail17trampoline_kernelINS0_14default_configENS1_27scan_by_key_config_selectorIisEEZZNS1_16scan_by_key_implILNS1_25lookback_scan_determinismE0ELb1ES3_N6thrust23THRUST_200600_302600_NS6detail15normal_iteratorINS9_10device_ptrIiEEEENSB_INSC_IsEEEESG_sNS9_4plusIvEENS9_8equal_toIvEEsEE10hipError_tPvRmT2_T3_T4_T5_mT6_T7_P12ihipStream_tbENKUlT_T0_E_clISt17integral_constantIbLb1EES10_IbLb0EEEEDaSW_SX_EUlSW_E_NS1_11comp_targetILNS1_3genE8ELNS1_11target_archE1030ELNS1_3gpuE2ELNS1_3repE0EEENS1_30default_config_static_selectorELNS0_4arch9wavefront6targetE1EEEvT1_,comdat
	.protected	_ZN7rocprim17ROCPRIM_400000_NS6detail17trampoline_kernelINS0_14default_configENS1_27scan_by_key_config_selectorIisEEZZNS1_16scan_by_key_implILNS1_25lookback_scan_determinismE0ELb1ES3_N6thrust23THRUST_200600_302600_NS6detail15normal_iteratorINS9_10device_ptrIiEEEENSB_INSC_IsEEEESG_sNS9_4plusIvEENS9_8equal_toIvEEsEE10hipError_tPvRmT2_T3_T4_T5_mT6_T7_P12ihipStream_tbENKUlT_T0_E_clISt17integral_constantIbLb1EES10_IbLb0EEEEDaSW_SX_EUlSW_E_NS1_11comp_targetILNS1_3genE8ELNS1_11target_archE1030ELNS1_3gpuE2ELNS1_3repE0EEENS1_30default_config_static_selectorELNS0_4arch9wavefront6targetE1EEEvT1_ ; -- Begin function _ZN7rocprim17ROCPRIM_400000_NS6detail17trampoline_kernelINS0_14default_configENS1_27scan_by_key_config_selectorIisEEZZNS1_16scan_by_key_implILNS1_25lookback_scan_determinismE0ELb1ES3_N6thrust23THRUST_200600_302600_NS6detail15normal_iteratorINS9_10device_ptrIiEEEENSB_INSC_IsEEEESG_sNS9_4plusIvEENS9_8equal_toIvEEsEE10hipError_tPvRmT2_T3_T4_T5_mT6_T7_P12ihipStream_tbENKUlT_T0_E_clISt17integral_constantIbLb1EES10_IbLb0EEEEDaSW_SX_EUlSW_E_NS1_11comp_targetILNS1_3genE8ELNS1_11target_archE1030ELNS1_3gpuE2ELNS1_3repE0EEENS1_30default_config_static_selectorELNS0_4arch9wavefront6targetE1EEEvT1_
	.globl	_ZN7rocprim17ROCPRIM_400000_NS6detail17trampoline_kernelINS0_14default_configENS1_27scan_by_key_config_selectorIisEEZZNS1_16scan_by_key_implILNS1_25lookback_scan_determinismE0ELb1ES3_N6thrust23THRUST_200600_302600_NS6detail15normal_iteratorINS9_10device_ptrIiEEEENSB_INSC_IsEEEESG_sNS9_4plusIvEENS9_8equal_toIvEEsEE10hipError_tPvRmT2_T3_T4_T5_mT6_T7_P12ihipStream_tbENKUlT_T0_E_clISt17integral_constantIbLb1EES10_IbLb0EEEEDaSW_SX_EUlSW_E_NS1_11comp_targetILNS1_3genE8ELNS1_11target_archE1030ELNS1_3gpuE2ELNS1_3repE0EEENS1_30default_config_static_selectorELNS0_4arch9wavefront6targetE1EEEvT1_
	.p2align	8
	.type	_ZN7rocprim17ROCPRIM_400000_NS6detail17trampoline_kernelINS0_14default_configENS1_27scan_by_key_config_selectorIisEEZZNS1_16scan_by_key_implILNS1_25lookback_scan_determinismE0ELb1ES3_N6thrust23THRUST_200600_302600_NS6detail15normal_iteratorINS9_10device_ptrIiEEEENSB_INSC_IsEEEESG_sNS9_4plusIvEENS9_8equal_toIvEEsEE10hipError_tPvRmT2_T3_T4_T5_mT6_T7_P12ihipStream_tbENKUlT_T0_E_clISt17integral_constantIbLb1EES10_IbLb0EEEEDaSW_SX_EUlSW_E_NS1_11comp_targetILNS1_3genE8ELNS1_11target_archE1030ELNS1_3gpuE2ELNS1_3repE0EEENS1_30default_config_static_selectorELNS0_4arch9wavefront6targetE1EEEvT1_,@function
_ZN7rocprim17ROCPRIM_400000_NS6detail17trampoline_kernelINS0_14default_configENS1_27scan_by_key_config_selectorIisEEZZNS1_16scan_by_key_implILNS1_25lookback_scan_determinismE0ELb1ES3_N6thrust23THRUST_200600_302600_NS6detail15normal_iteratorINS9_10device_ptrIiEEEENSB_INSC_IsEEEESG_sNS9_4plusIvEENS9_8equal_toIvEEsEE10hipError_tPvRmT2_T3_T4_T5_mT6_T7_P12ihipStream_tbENKUlT_T0_E_clISt17integral_constantIbLb1EES10_IbLb0EEEEDaSW_SX_EUlSW_E_NS1_11comp_targetILNS1_3genE8ELNS1_11target_archE1030ELNS1_3gpuE2ELNS1_3repE0EEENS1_30default_config_static_selectorELNS0_4arch9wavefront6targetE1EEEvT1_: ; @_ZN7rocprim17ROCPRIM_400000_NS6detail17trampoline_kernelINS0_14default_configENS1_27scan_by_key_config_selectorIisEEZZNS1_16scan_by_key_implILNS1_25lookback_scan_determinismE0ELb1ES3_N6thrust23THRUST_200600_302600_NS6detail15normal_iteratorINS9_10device_ptrIiEEEENSB_INSC_IsEEEESG_sNS9_4plusIvEENS9_8equal_toIvEEsEE10hipError_tPvRmT2_T3_T4_T5_mT6_T7_P12ihipStream_tbENKUlT_T0_E_clISt17integral_constantIbLb1EES10_IbLb0EEEEDaSW_SX_EUlSW_E_NS1_11comp_targetILNS1_3genE8ELNS1_11target_archE1030ELNS1_3gpuE2ELNS1_3repE0EEENS1_30default_config_static_selectorELNS0_4arch9wavefront6targetE1EEEvT1_
; %bb.0:
	.section	.rodata,"a",@progbits
	.p2align	6, 0x0
	.amdhsa_kernel _ZN7rocprim17ROCPRIM_400000_NS6detail17trampoline_kernelINS0_14default_configENS1_27scan_by_key_config_selectorIisEEZZNS1_16scan_by_key_implILNS1_25lookback_scan_determinismE0ELb1ES3_N6thrust23THRUST_200600_302600_NS6detail15normal_iteratorINS9_10device_ptrIiEEEENSB_INSC_IsEEEESG_sNS9_4plusIvEENS9_8equal_toIvEEsEE10hipError_tPvRmT2_T3_T4_T5_mT6_T7_P12ihipStream_tbENKUlT_T0_E_clISt17integral_constantIbLb1EES10_IbLb0EEEEDaSW_SX_EUlSW_E_NS1_11comp_targetILNS1_3genE8ELNS1_11target_archE1030ELNS1_3gpuE2ELNS1_3repE0EEENS1_30default_config_static_selectorELNS0_4arch9wavefront6targetE1EEEvT1_
		.amdhsa_group_segment_fixed_size 0
		.amdhsa_private_segment_fixed_size 0
		.amdhsa_kernarg_size 112
		.amdhsa_user_sgpr_count 6
		.amdhsa_user_sgpr_private_segment_buffer 1
		.amdhsa_user_sgpr_dispatch_ptr 0
		.amdhsa_user_sgpr_queue_ptr 0
		.amdhsa_user_sgpr_kernarg_segment_ptr 1
		.amdhsa_user_sgpr_dispatch_id 0
		.amdhsa_user_sgpr_flat_scratch_init 0
		.amdhsa_user_sgpr_kernarg_preload_length 0
		.amdhsa_user_sgpr_kernarg_preload_offset 0
		.amdhsa_user_sgpr_private_segment_size 0
		.amdhsa_uses_dynamic_stack 0
		.amdhsa_system_sgpr_private_segment_wavefront_offset 0
		.amdhsa_system_sgpr_workgroup_id_x 1
		.amdhsa_system_sgpr_workgroup_id_y 0
		.amdhsa_system_sgpr_workgroup_id_z 0
		.amdhsa_system_sgpr_workgroup_info 0
		.amdhsa_system_vgpr_workitem_id 0
		.amdhsa_next_free_vgpr 1
		.amdhsa_next_free_sgpr 0
		.amdhsa_accum_offset 4
		.amdhsa_reserve_vcc 0
		.amdhsa_reserve_flat_scratch 0
		.amdhsa_float_round_mode_32 0
		.amdhsa_float_round_mode_16_64 0
		.amdhsa_float_denorm_mode_32 3
		.amdhsa_float_denorm_mode_16_64 3
		.amdhsa_dx10_clamp 1
		.amdhsa_ieee_mode 1
		.amdhsa_fp16_overflow 0
		.amdhsa_tg_split 0
		.amdhsa_exception_fp_ieee_invalid_op 0
		.amdhsa_exception_fp_denorm_src 0
		.amdhsa_exception_fp_ieee_div_zero 0
		.amdhsa_exception_fp_ieee_overflow 0
		.amdhsa_exception_fp_ieee_underflow 0
		.amdhsa_exception_fp_ieee_inexact 0
		.amdhsa_exception_int_div_zero 0
	.end_amdhsa_kernel
	.section	.text._ZN7rocprim17ROCPRIM_400000_NS6detail17trampoline_kernelINS0_14default_configENS1_27scan_by_key_config_selectorIisEEZZNS1_16scan_by_key_implILNS1_25lookback_scan_determinismE0ELb1ES3_N6thrust23THRUST_200600_302600_NS6detail15normal_iteratorINS9_10device_ptrIiEEEENSB_INSC_IsEEEESG_sNS9_4plusIvEENS9_8equal_toIvEEsEE10hipError_tPvRmT2_T3_T4_T5_mT6_T7_P12ihipStream_tbENKUlT_T0_E_clISt17integral_constantIbLb1EES10_IbLb0EEEEDaSW_SX_EUlSW_E_NS1_11comp_targetILNS1_3genE8ELNS1_11target_archE1030ELNS1_3gpuE2ELNS1_3repE0EEENS1_30default_config_static_selectorELNS0_4arch9wavefront6targetE1EEEvT1_,"axG",@progbits,_ZN7rocprim17ROCPRIM_400000_NS6detail17trampoline_kernelINS0_14default_configENS1_27scan_by_key_config_selectorIisEEZZNS1_16scan_by_key_implILNS1_25lookback_scan_determinismE0ELb1ES3_N6thrust23THRUST_200600_302600_NS6detail15normal_iteratorINS9_10device_ptrIiEEEENSB_INSC_IsEEEESG_sNS9_4plusIvEENS9_8equal_toIvEEsEE10hipError_tPvRmT2_T3_T4_T5_mT6_T7_P12ihipStream_tbENKUlT_T0_E_clISt17integral_constantIbLb1EES10_IbLb0EEEEDaSW_SX_EUlSW_E_NS1_11comp_targetILNS1_3genE8ELNS1_11target_archE1030ELNS1_3gpuE2ELNS1_3repE0EEENS1_30default_config_static_selectorELNS0_4arch9wavefront6targetE1EEEvT1_,comdat
.Lfunc_end1633:
	.size	_ZN7rocprim17ROCPRIM_400000_NS6detail17trampoline_kernelINS0_14default_configENS1_27scan_by_key_config_selectorIisEEZZNS1_16scan_by_key_implILNS1_25lookback_scan_determinismE0ELb1ES3_N6thrust23THRUST_200600_302600_NS6detail15normal_iteratorINS9_10device_ptrIiEEEENSB_INSC_IsEEEESG_sNS9_4plusIvEENS9_8equal_toIvEEsEE10hipError_tPvRmT2_T3_T4_T5_mT6_T7_P12ihipStream_tbENKUlT_T0_E_clISt17integral_constantIbLb1EES10_IbLb0EEEEDaSW_SX_EUlSW_E_NS1_11comp_targetILNS1_3genE8ELNS1_11target_archE1030ELNS1_3gpuE2ELNS1_3repE0EEENS1_30default_config_static_selectorELNS0_4arch9wavefront6targetE1EEEvT1_, .Lfunc_end1633-_ZN7rocprim17ROCPRIM_400000_NS6detail17trampoline_kernelINS0_14default_configENS1_27scan_by_key_config_selectorIisEEZZNS1_16scan_by_key_implILNS1_25lookback_scan_determinismE0ELb1ES3_N6thrust23THRUST_200600_302600_NS6detail15normal_iteratorINS9_10device_ptrIiEEEENSB_INSC_IsEEEESG_sNS9_4plusIvEENS9_8equal_toIvEEsEE10hipError_tPvRmT2_T3_T4_T5_mT6_T7_P12ihipStream_tbENKUlT_T0_E_clISt17integral_constantIbLb1EES10_IbLb0EEEEDaSW_SX_EUlSW_E_NS1_11comp_targetILNS1_3genE8ELNS1_11target_archE1030ELNS1_3gpuE2ELNS1_3repE0EEENS1_30default_config_static_selectorELNS0_4arch9wavefront6targetE1EEEvT1_
                                        ; -- End function
	.section	.AMDGPU.csdata,"",@progbits
; Kernel info:
; codeLenInByte = 0
; NumSgprs: 4
; NumVgprs: 0
; NumAgprs: 0
; TotalNumVgprs: 0
; ScratchSize: 0
; MemoryBound: 0
; FloatMode: 240
; IeeeMode: 1
; LDSByteSize: 0 bytes/workgroup (compile time only)
; SGPRBlocks: 0
; VGPRBlocks: 0
; NumSGPRsForWavesPerEU: 4
; NumVGPRsForWavesPerEU: 1
; AccumOffset: 4
; Occupancy: 8
; WaveLimiterHint : 0
; COMPUTE_PGM_RSRC2:SCRATCH_EN: 0
; COMPUTE_PGM_RSRC2:USER_SGPR: 6
; COMPUTE_PGM_RSRC2:TRAP_HANDLER: 0
; COMPUTE_PGM_RSRC2:TGID_X_EN: 1
; COMPUTE_PGM_RSRC2:TGID_Y_EN: 0
; COMPUTE_PGM_RSRC2:TGID_Z_EN: 0
; COMPUTE_PGM_RSRC2:TIDIG_COMP_CNT: 0
; COMPUTE_PGM_RSRC3_GFX90A:ACCUM_OFFSET: 0
; COMPUTE_PGM_RSRC3_GFX90A:TG_SPLIT: 0
	.section	.text._ZN7rocprim17ROCPRIM_400000_NS6detail17trampoline_kernelINS0_14default_configENS1_27scan_by_key_config_selectorIisEEZZNS1_16scan_by_key_implILNS1_25lookback_scan_determinismE0ELb1ES3_N6thrust23THRUST_200600_302600_NS6detail15normal_iteratorINS9_10device_ptrIiEEEENSB_INSC_IsEEEESG_sNS9_4plusIvEENS9_8equal_toIvEEsEE10hipError_tPvRmT2_T3_T4_T5_mT6_T7_P12ihipStream_tbENKUlT_T0_E_clISt17integral_constantIbLb0EES10_IbLb1EEEEDaSW_SX_EUlSW_E_NS1_11comp_targetILNS1_3genE0ELNS1_11target_archE4294967295ELNS1_3gpuE0ELNS1_3repE0EEENS1_30default_config_static_selectorELNS0_4arch9wavefront6targetE1EEEvT1_,"axG",@progbits,_ZN7rocprim17ROCPRIM_400000_NS6detail17trampoline_kernelINS0_14default_configENS1_27scan_by_key_config_selectorIisEEZZNS1_16scan_by_key_implILNS1_25lookback_scan_determinismE0ELb1ES3_N6thrust23THRUST_200600_302600_NS6detail15normal_iteratorINS9_10device_ptrIiEEEENSB_INSC_IsEEEESG_sNS9_4plusIvEENS9_8equal_toIvEEsEE10hipError_tPvRmT2_T3_T4_T5_mT6_T7_P12ihipStream_tbENKUlT_T0_E_clISt17integral_constantIbLb0EES10_IbLb1EEEEDaSW_SX_EUlSW_E_NS1_11comp_targetILNS1_3genE0ELNS1_11target_archE4294967295ELNS1_3gpuE0ELNS1_3repE0EEENS1_30default_config_static_selectorELNS0_4arch9wavefront6targetE1EEEvT1_,comdat
	.protected	_ZN7rocprim17ROCPRIM_400000_NS6detail17trampoline_kernelINS0_14default_configENS1_27scan_by_key_config_selectorIisEEZZNS1_16scan_by_key_implILNS1_25lookback_scan_determinismE0ELb1ES3_N6thrust23THRUST_200600_302600_NS6detail15normal_iteratorINS9_10device_ptrIiEEEENSB_INSC_IsEEEESG_sNS9_4plusIvEENS9_8equal_toIvEEsEE10hipError_tPvRmT2_T3_T4_T5_mT6_T7_P12ihipStream_tbENKUlT_T0_E_clISt17integral_constantIbLb0EES10_IbLb1EEEEDaSW_SX_EUlSW_E_NS1_11comp_targetILNS1_3genE0ELNS1_11target_archE4294967295ELNS1_3gpuE0ELNS1_3repE0EEENS1_30default_config_static_selectorELNS0_4arch9wavefront6targetE1EEEvT1_ ; -- Begin function _ZN7rocprim17ROCPRIM_400000_NS6detail17trampoline_kernelINS0_14default_configENS1_27scan_by_key_config_selectorIisEEZZNS1_16scan_by_key_implILNS1_25lookback_scan_determinismE0ELb1ES3_N6thrust23THRUST_200600_302600_NS6detail15normal_iteratorINS9_10device_ptrIiEEEENSB_INSC_IsEEEESG_sNS9_4plusIvEENS9_8equal_toIvEEsEE10hipError_tPvRmT2_T3_T4_T5_mT6_T7_P12ihipStream_tbENKUlT_T0_E_clISt17integral_constantIbLb0EES10_IbLb1EEEEDaSW_SX_EUlSW_E_NS1_11comp_targetILNS1_3genE0ELNS1_11target_archE4294967295ELNS1_3gpuE0ELNS1_3repE0EEENS1_30default_config_static_selectorELNS0_4arch9wavefront6targetE1EEEvT1_
	.globl	_ZN7rocprim17ROCPRIM_400000_NS6detail17trampoline_kernelINS0_14default_configENS1_27scan_by_key_config_selectorIisEEZZNS1_16scan_by_key_implILNS1_25lookback_scan_determinismE0ELb1ES3_N6thrust23THRUST_200600_302600_NS6detail15normal_iteratorINS9_10device_ptrIiEEEENSB_INSC_IsEEEESG_sNS9_4plusIvEENS9_8equal_toIvEEsEE10hipError_tPvRmT2_T3_T4_T5_mT6_T7_P12ihipStream_tbENKUlT_T0_E_clISt17integral_constantIbLb0EES10_IbLb1EEEEDaSW_SX_EUlSW_E_NS1_11comp_targetILNS1_3genE0ELNS1_11target_archE4294967295ELNS1_3gpuE0ELNS1_3repE0EEENS1_30default_config_static_selectorELNS0_4arch9wavefront6targetE1EEEvT1_
	.p2align	8
	.type	_ZN7rocprim17ROCPRIM_400000_NS6detail17trampoline_kernelINS0_14default_configENS1_27scan_by_key_config_selectorIisEEZZNS1_16scan_by_key_implILNS1_25lookback_scan_determinismE0ELb1ES3_N6thrust23THRUST_200600_302600_NS6detail15normal_iteratorINS9_10device_ptrIiEEEENSB_INSC_IsEEEESG_sNS9_4plusIvEENS9_8equal_toIvEEsEE10hipError_tPvRmT2_T3_T4_T5_mT6_T7_P12ihipStream_tbENKUlT_T0_E_clISt17integral_constantIbLb0EES10_IbLb1EEEEDaSW_SX_EUlSW_E_NS1_11comp_targetILNS1_3genE0ELNS1_11target_archE4294967295ELNS1_3gpuE0ELNS1_3repE0EEENS1_30default_config_static_selectorELNS0_4arch9wavefront6targetE1EEEvT1_,@function
_ZN7rocprim17ROCPRIM_400000_NS6detail17trampoline_kernelINS0_14default_configENS1_27scan_by_key_config_selectorIisEEZZNS1_16scan_by_key_implILNS1_25lookback_scan_determinismE0ELb1ES3_N6thrust23THRUST_200600_302600_NS6detail15normal_iteratorINS9_10device_ptrIiEEEENSB_INSC_IsEEEESG_sNS9_4plusIvEENS9_8equal_toIvEEsEE10hipError_tPvRmT2_T3_T4_T5_mT6_T7_P12ihipStream_tbENKUlT_T0_E_clISt17integral_constantIbLb0EES10_IbLb1EEEEDaSW_SX_EUlSW_E_NS1_11comp_targetILNS1_3genE0ELNS1_11target_archE4294967295ELNS1_3gpuE0ELNS1_3repE0EEENS1_30default_config_static_selectorELNS0_4arch9wavefront6targetE1EEEvT1_: ; @_ZN7rocprim17ROCPRIM_400000_NS6detail17trampoline_kernelINS0_14default_configENS1_27scan_by_key_config_selectorIisEEZZNS1_16scan_by_key_implILNS1_25lookback_scan_determinismE0ELb1ES3_N6thrust23THRUST_200600_302600_NS6detail15normal_iteratorINS9_10device_ptrIiEEEENSB_INSC_IsEEEESG_sNS9_4plusIvEENS9_8equal_toIvEEsEE10hipError_tPvRmT2_T3_T4_T5_mT6_T7_P12ihipStream_tbENKUlT_T0_E_clISt17integral_constantIbLb0EES10_IbLb1EEEEDaSW_SX_EUlSW_E_NS1_11comp_targetILNS1_3genE0ELNS1_11target_archE4294967295ELNS1_3gpuE0ELNS1_3repE0EEENS1_30default_config_static_selectorELNS0_4arch9wavefront6targetE1EEEvT1_
; %bb.0:
	.section	.rodata,"a",@progbits
	.p2align	6, 0x0
	.amdhsa_kernel _ZN7rocprim17ROCPRIM_400000_NS6detail17trampoline_kernelINS0_14default_configENS1_27scan_by_key_config_selectorIisEEZZNS1_16scan_by_key_implILNS1_25lookback_scan_determinismE0ELb1ES3_N6thrust23THRUST_200600_302600_NS6detail15normal_iteratorINS9_10device_ptrIiEEEENSB_INSC_IsEEEESG_sNS9_4plusIvEENS9_8equal_toIvEEsEE10hipError_tPvRmT2_T3_T4_T5_mT6_T7_P12ihipStream_tbENKUlT_T0_E_clISt17integral_constantIbLb0EES10_IbLb1EEEEDaSW_SX_EUlSW_E_NS1_11comp_targetILNS1_3genE0ELNS1_11target_archE4294967295ELNS1_3gpuE0ELNS1_3repE0EEENS1_30default_config_static_selectorELNS0_4arch9wavefront6targetE1EEEvT1_
		.amdhsa_group_segment_fixed_size 0
		.amdhsa_private_segment_fixed_size 0
		.amdhsa_kernarg_size 112
		.amdhsa_user_sgpr_count 6
		.amdhsa_user_sgpr_private_segment_buffer 1
		.amdhsa_user_sgpr_dispatch_ptr 0
		.amdhsa_user_sgpr_queue_ptr 0
		.amdhsa_user_sgpr_kernarg_segment_ptr 1
		.amdhsa_user_sgpr_dispatch_id 0
		.amdhsa_user_sgpr_flat_scratch_init 0
		.amdhsa_user_sgpr_kernarg_preload_length 0
		.amdhsa_user_sgpr_kernarg_preload_offset 0
		.amdhsa_user_sgpr_private_segment_size 0
		.amdhsa_uses_dynamic_stack 0
		.amdhsa_system_sgpr_private_segment_wavefront_offset 0
		.amdhsa_system_sgpr_workgroup_id_x 1
		.amdhsa_system_sgpr_workgroup_id_y 0
		.amdhsa_system_sgpr_workgroup_id_z 0
		.amdhsa_system_sgpr_workgroup_info 0
		.amdhsa_system_vgpr_workitem_id 0
		.amdhsa_next_free_vgpr 1
		.amdhsa_next_free_sgpr 0
		.amdhsa_accum_offset 4
		.amdhsa_reserve_vcc 0
		.amdhsa_reserve_flat_scratch 0
		.amdhsa_float_round_mode_32 0
		.amdhsa_float_round_mode_16_64 0
		.amdhsa_float_denorm_mode_32 3
		.amdhsa_float_denorm_mode_16_64 3
		.amdhsa_dx10_clamp 1
		.amdhsa_ieee_mode 1
		.amdhsa_fp16_overflow 0
		.amdhsa_tg_split 0
		.amdhsa_exception_fp_ieee_invalid_op 0
		.amdhsa_exception_fp_denorm_src 0
		.amdhsa_exception_fp_ieee_div_zero 0
		.amdhsa_exception_fp_ieee_overflow 0
		.amdhsa_exception_fp_ieee_underflow 0
		.amdhsa_exception_fp_ieee_inexact 0
		.amdhsa_exception_int_div_zero 0
	.end_amdhsa_kernel
	.section	.text._ZN7rocprim17ROCPRIM_400000_NS6detail17trampoline_kernelINS0_14default_configENS1_27scan_by_key_config_selectorIisEEZZNS1_16scan_by_key_implILNS1_25lookback_scan_determinismE0ELb1ES3_N6thrust23THRUST_200600_302600_NS6detail15normal_iteratorINS9_10device_ptrIiEEEENSB_INSC_IsEEEESG_sNS9_4plusIvEENS9_8equal_toIvEEsEE10hipError_tPvRmT2_T3_T4_T5_mT6_T7_P12ihipStream_tbENKUlT_T0_E_clISt17integral_constantIbLb0EES10_IbLb1EEEEDaSW_SX_EUlSW_E_NS1_11comp_targetILNS1_3genE0ELNS1_11target_archE4294967295ELNS1_3gpuE0ELNS1_3repE0EEENS1_30default_config_static_selectorELNS0_4arch9wavefront6targetE1EEEvT1_,"axG",@progbits,_ZN7rocprim17ROCPRIM_400000_NS6detail17trampoline_kernelINS0_14default_configENS1_27scan_by_key_config_selectorIisEEZZNS1_16scan_by_key_implILNS1_25lookback_scan_determinismE0ELb1ES3_N6thrust23THRUST_200600_302600_NS6detail15normal_iteratorINS9_10device_ptrIiEEEENSB_INSC_IsEEEESG_sNS9_4plusIvEENS9_8equal_toIvEEsEE10hipError_tPvRmT2_T3_T4_T5_mT6_T7_P12ihipStream_tbENKUlT_T0_E_clISt17integral_constantIbLb0EES10_IbLb1EEEEDaSW_SX_EUlSW_E_NS1_11comp_targetILNS1_3genE0ELNS1_11target_archE4294967295ELNS1_3gpuE0ELNS1_3repE0EEENS1_30default_config_static_selectorELNS0_4arch9wavefront6targetE1EEEvT1_,comdat
.Lfunc_end1634:
	.size	_ZN7rocprim17ROCPRIM_400000_NS6detail17trampoline_kernelINS0_14default_configENS1_27scan_by_key_config_selectorIisEEZZNS1_16scan_by_key_implILNS1_25lookback_scan_determinismE0ELb1ES3_N6thrust23THRUST_200600_302600_NS6detail15normal_iteratorINS9_10device_ptrIiEEEENSB_INSC_IsEEEESG_sNS9_4plusIvEENS9_8equal_toIvEEsEE10hipError_tPvRmT2_T3_T4_T5_mT6_T7_P12ihipStream_tbENKUlT_T0_E_clISt17integral_constantIbLb0EES10_IbLb1EEEEDaSW_SX_EUlSW_E_NS1_11comp_targetILNS1_3genE0ELNS1_11target_archE4294967295ELNS1_3gpuE0ELNS1_3repE0EEENS1_30default_config_static_selectorELNS0_4arch9wavefront6targetE1EEEvT1_, .Lfunc_end1634-_ZN7rocprim17ROCPRIM_400000_NS6detail17trampoline_kernelINS0_14default_configENS1_27scan_by_key_config_selectorIisEEZZNS1_16scan_by_key_implILNS1_25lookback_scan_determinismE0ELb1ES3_N6thrust23THRUST_200600_302600_NS6detail15normal_iteratorINS9_10device_ptrIiEEEENSB_INSC_IsEEEESG_sNS9_4plusIvEENS9_8equal_toIvEEsEE10hipError_tPvRmT2_T3_T4_T5_mT6_T7_P12ihipStream_tbENKUlT_T0_E_clISt17integral_constantIbLb0EES10_IbLb1EEEEDaSW_SX_EUlSW_E_NS1_11comp_targetILNS1_3genE0ELNS1_11target_archE4294967295ELNS1_3gpuE0ELNS1_3repE0EEENS1_30default_config_static_selectorELNS0_4arch9wavefront6targetE1EEEvT1_
                                        ; -- End function
	.section	.AMDGPU.csdata,"",@progbits
; Kernel info:
; codeLenInByte = 0
; NumSgprs: 4
; NumVgprs: 0
; NumAgprs: 0
; TotalNumVgprs: 0
; ScratchSize: 0
; MemoryBound: 0
; FloatMode: 240
; IeeeMode: 1
; LDSByteSize: 0 bytes/workgroup (compile time only)
; SGPRBlocks: 0
; VGPRBlocks: 0
; NumSGPRsForWavesPerEU: 4
; NumVGPRsForWavesPerEU: 1
; AccumOffset: 4
; Occupancy: 8
; WaveLimiterHint : 0
; COMPUTE_PGM_RSRC2:SCRATCH_EN: 0
; COMPUTE_PGM_RSRC2:USER_SGPR: 6
; COMPUTE_PGM_RSRC2:TRAP_HANDLER: 0
; COMPUTE_PGM_RSRC2:TGID_X_EN: 1
; COMPUTE_PGM_RSRC2:TGID_Y_EN: 0
; COMPUTE_PGM_RSRC2:TGID_Z_EN: 0
; COMPUTE_PGM_RSRC2:TIDIG_COMP_CNT: 0
; COMPUTE_PGM_RSRC3_GFX90A:ACCUM_OFFSET: 0
; COMPUTE_PGM_RSRC3_GFX90A:TG_SPLIT: 0
	.section	.text._ZN7rocprim17ROCPRIM_400000_NS6detail17trampoline_kernelINS0_14default_configENS1_27scan_by_key_config_selectorIisEEZZNS1_16scan_by_key_implILNS1_25lookback_scan_determinismE0ELb1ES3_N6thrust23THRUST_200600_302600_NS6detail15normal_iteratorINS9_10device_ptrIiEEEENSB_INSC_IsEEEESG_sNS9_4plusIvEENS9_8equal_toIvEEsEE10hipError_tPvRmT2_T3_T4_T5_mT6_T7_P12ihipStream_tbENKUlT_T0_E_clISt17integral_constantIbLb0EES10_IbLb1EEEEDaSW_SX_EUlSW_E_NS1_11comp_targetILNS1_3genE10ELNS1_11target_archE1201ELNS1_3gpuE5ELNS1_3repE0EEENS1_30default_config_static_selectorELNS0_4arch9wavefront6targetE1EEEvT1_,"axG",@progbits,_ZN7rocprim17ROCPRIM_400000_NS6detail17trampoline_kernelINS0_14default_configENS1_27scan_by_key_config_selectorIisEEZZNS1_16scan_by_key_implILNS1_25lookback_scan_determinismE0ELb1ES3_N6thrust23THRUST_200600_302600_NS6detail15normal_iteratorINS9_10device_ptrIiEEEENSB_INSC_IsEEEESG_sNS9_4plusIvEENS9_8equal_toIvEEsEE10hipError_tPvRmT2_T3_T4_T5_mT6_T7_P12ihipStream_tbENKUlT_T0_E_clISt17integral_constantIbLb0EES10_IbLb1EEEEDaSW_SX_EUlSW_E_NS1_11comp_targetILNS1_3genE10ELNS1_11target_archE1201ELNS1_3gpuE5ELNS1_3repE0EEENS1_30default_config_static_selectorELNS0_4arch9wavefront6targetE1EEEvT1_,comdat
	.protected	_ZN7rocprim17ROCPRIM_400000_NS6detail17trampoline_kernelINS0_14default_configENS1_27scan_by_key_config_selectorIisEEZZNS1_16scan_by_key_implILNS1_25lookback_scan_determinismE0ELb1ES3_N6thrust23THRUST_200600_302600_NS6detail15normal_iteratorINS9_10device_ptrIiEEEENSB_INSC_IsEEEESG_sNS9_4plusIvEENS9_8equal_toIvEEsEE10hipError_tPvRmT2_T3_T4_T5_mT6_T7_P12ihipStream_tbENKUlT_T0_E_clISt17integral_constantIbLb0EES10_IbLb1EEEEDaSW_SX_EUlSW_E_NS1_11comp_targetILNS1_3genE10ELNS1_11target_archE1201ELNS1_3gpuE5ELNS1_3repE0EEENS1_30default_config_static_selectorELNS0_4arch9wavefront6targetE1EEEvT1_ ; -- Begin function _ZN7rocprim17ROCPRIM_400000_NS6detail17trampoline_kernelINS0_14default_configENS1_27scan_by_key_config_selectorIisEEZZNS1_16scan_by_key_implILNS1_25lookback_scan_determinismE0ELb1ES3_N6thrust23THRUST_200600_302600_NS6detail15normal_iteratorINS9_10device_ptrIiEEEENSB_INSC_IsEEEESG_sNS9_4plusIvEENS9_8equal_toIvEEsEE10hipError_tPvRmT2_T3_T4_T5_mT6_T7_P12ihipStream_tbENKUlT_T0_E_clISt17integral_constantIbLb0EES10_IbLb1EEEEDaSW_SX_EUlSW_E_NS1_11comp_targetILNS1_3genE10ELNS1_11target_archE1201ELNS1_3gpuE5ELNS1_3repE0EEENS1_30default_config_static_selectorELNS0_4arch9wavefront6targetE1EEEvT1_
	.globl	_ZN7rocprim17ROCPRIM_400000_NS6detail17trampoline_kernelINS0_14default_configENS1_27scan_by_key_config_selectorIisEEZZNS1_16scan_by_key_implILNS1_25lookback_scan_determinismE0ELb1ES3_N6thrust23THRUST_200600_302600_NS6detail15normal_iteratorINS9_10device_ptrIiEEEENSB_INSC_IsEEEESG_sNS9_4plusIvEENS9_8equal_toIvEEsEE10hipError_tPvRmT2_T3_T4_T5_mT6_T7_P12ihipStream_tbENKUlT_T0_E_clISt17integral_constantIbLb0EES10_IbLb1EEEEDaSW_SX_EUlSW_E_NS1_11comp_targetILNS1_3genE10ELNS1_11target_archE1201ELNS1_3gpuE5ELNS1_3repE0EEENS1_30default_config_static_selectorELNS0_4arch9wavefront6targetE1EEEvT1_
	.p2align	8
	.type	_ZN7rocprim17ROCPRIM_400000_NS6detail17trampoline_kernelINS0_14default_configENS1_27scan_by_key_config_selectorIisEEZZNS1_16scan_by_key_implILNS1_25lookback_scan_determinismE0ELb1ES3_N6thrust23THRUST_200600_302600_NS6detail15normal_iteratorINS9_10device_ptrIiEEEENSB_INSC_IsEEEESG_sNS9_4plusIvEENS9_8equal_toIvEEsEE10hipError_tPvRmT2_T3_T4_T5_mT6_T7_P12ihipStream_tbENKUlT_T0_E_clISt17integral_constantIbLb0EES10_IbLb1EEEEDaSW_SX_EUlSW_E_NS1_11comp_targetILNS1_3genE10ELNS1_11target_archE1201ELNS1_3gpuE5ELNS1_3repE0EEENS1_30default_config_static_selectorELNS0_4arch9wavefront6targetE1EEEvT1_,@function
_ZN7rocprim17ROCPRIM_400000_NS6detail17trampoline_kernelINS0_14default_configENS1_27scan_by_key_config_selectorIisEEZZNS1_16scan_by_key_implILNS1_25lookback_scan_determinismE0ELb1ES3_N6thrust23THRUST_200600_302600_NS6detail15normal_iteratorINS9_10device_ptrIiEEEENSB_INSC_IsEEEESG_sNS9_4plusIvEENS9_8equal_toIvEEsEE10hipError_tPvRmT2_T3_T4_T5_mT6_T7_P12ihipStream_tbENKUlT_T0_E_clISt17integral_constantIbLb0EES10_IbLb1EEEEDaSW_SX_EUlSW_E_NS1_11comp_targetILNS1_3genE10ELNS1_11target_archE1201ELNS1_3gpuE5ELNS1_3repE0EEENS1_30default_config_static_selectorELNS0_4arch9wavefront6targetE1EEEvT1_: ; @_ZN7rocprim17ROCPRIM_400000_NS6detail17trampoline_kernelINS0_14default_configENS1_27scan_by_key_config_selectorIisEEZZNS1_16scan_by_key_implILNS1_25lookback_scan_determinismE0ELb1ES3_N6thrust23THRUST_200600_302600_NS6detail15normal_iteratorINS9_10device_ptrIiEEEENSB_INSC_IsEEEESG_sNS9_4plusIvEENS9_8equal_toIvEEsEE10hipError_tPvRmT2_T3_T4_T5_mT6_T7_P12ihipStream_tbENKUlT_T0_E_clISt17integral_constantIbLb0EES10_IbLb1EEEEDaSW_SX_EUlSW_E_NS1_11comp_targetILNS1_3genE10ELNS1_11target_archE1201ELNS1_3gpuE5ELNS1_3repE0EEENS1_30default_config_static_selectorELNS0_4arch9wavefront6targetE1EEEvT1_
; %bb.0:
	.section	.rodata,"a",@progbits
	.p2align	6, 0x0
	.amdhsa_kernel _ZN7rocprim17ROCPRIM_400000_NS6detail17trampoline_kernelINS0_14default_configENS1_27scan_by_key_config_selectorIisEEZZNS1_16scan_by_key_implILNS1_25lookback_scan_determinismE0ELb1ES3_N6thrust23THRUST_200600_302600_NS6detail15normal_iteratorINS9_10device_ptrIiEEEENSB_INSC_IsEEEESG_sNS9_4plusIvEENS9_8equal_toIvEEsEE10hipError_tPvRmT2_T3_T4_T5_mT6_T7_P12ihipStream_tbENKUlT_T0_E_clISt17integral_constantIbLb0EES10_IbLb1EEEEDaSW_SX_EUlSW_E_NS1_11comp_targetILNS1_3genE10ELNS1_11target_archE1201ELNS1_3gpuE5ELNS1_3repE0EEENS1_30default_config_static_selectorELNS0_4arch9wavefront6targetE1EEEvT1_
		.amdhsa_group_segment_fixed_size 0
		.amdhsa_private_segment_fixed_size 0
		.amdhsa_kernarg_size 112
		.amdhsa_user_sgpr_count 6
		.amdhsa_user_sgpr_private_segment_buffer 1
		.amdhsa_user_sgpr_dispatch_ptr 0
		.amdhsa_user_sgpr_queue_ptr 0
		.amdhsa_user_sgpr_kernarg_segment_ptr 1
		.amdhsa_user_sgpr_dispatch_id 0
		.amdhsa_user_sgpr_flat_scratch_init 0
		.amdhsa_user_sgpr_kernarg_preload_length 0
		.amdhsa_user_sgpr_kernarg_preload_offset 0
		.amdhsa_user_sgpr_private_segment_size 0
		.amdhsa_uses_dynamic_stack 0
		.amdhsa_system_sgpr_private_segment_wavefront_offset 0
		.amdhsa_system_sgpr_workgroup_id_x 1
		.amdhsa_system_sgpr_workgroup_id_y 0
		.amdhsa_system_sgpr_workgroup_id_z 0
		.amdhsa_system_sgpr_workgroup_info 0
		.amdhsa_system_vgpr_workitem_id 0
		.amdhsa_next_free_vgpr 1
		.amdhsa_next_free_sgpr 0
		.amdhsa_accum_offset 4
		.amdhsa_reserve_vcc 0
		.amdhsa_reserve_flat_scratch 0
		.amdhsa_float_round_mode_32 0
		.amdhsa_float_round_mode_16_64 0
		.amdhsa_float_denorm_mode_32 3
		.amdhsa_float_denorm_mode_16_64 3
		.amdhsa_dx10_clamp 1
		.amdhsa_ieee_mode 1
		.amdhsa_fp16_overflow 0
		.amdhsa_tg_split 0
		.amdhsa_exception_fp_ieee_invalid_op 0
		.amdhsa_exception_fp_denorm_src 0
		.amdhsa_exception_fp_ieee_div_zero 0
		.amdhsa_exception_fp_ieee_overflow 0
		.amdhsa_exception_fp_ieee_underflow 0
		.amdhsa_exception_fp_ieee_inexact 0
		.amdhsa_exception_int_div_zero 0
	.end_amdhsa_kernel
	.section	.text._ZN7rocprim17ROCPRIM_400000_NS6detail17trampoline_kernelINS0_14default_configENS1_27scan_by_key_config_selectorIisEEZZNS1_16scan_by_key_implILNS1_25lookback_scan_determinismE0ELb1ES3_N6thrust23THRUST_200600_302600_NS6detail15normal_iteratorINS9_10device_ptrIiEEEENSB_INSC_IsEEEESG_sNS9_4plusIvEENS9_8equal_toIvEEsEE10hipError_tPvRmT2_T3_T4_T5_mT6_T7_P12ihipStream_tbENKUlT_T0_E_clISt17integral_constantIbLb0EES10_IbLb1EEEEDaSW_SX_EUlSW_E_NS1_11comp_targetILNS1_3genE10ELNS1_11target_archE1201ELNS1_3gpuE5ELNS1_3repE0EEENS1_30default_config_static_selectorELNS0_4arch9wavefront6targetE1EEEvT1_,"axG",@progbits,_ZN7rocprim17ROCPRIM_400000_NS6detail17trampoline_kernelINS0_14default_configENS1_27scan_by_key_config_selectorIisEEZZNS1_16scan_by_key_implILNS1_25lookback_scan_determinismE0ELb1ES3_N6thrust23THRUST_200600_302600_NS6detail15normal_iteratorINS9_10device_ptrIiEEEENSB_INSC_IsEEEESG_sNS9_4plusIvEENS9_8equal_toIvEEsEE10hipError_tPvRmT2_T3_T4_T5_mT6_T7_P12ihipStream_tbENKUlT_T0_E_clISt17integral_constantIbLb0EES10_IbLb1EEEEDaSW_SX_EUlSW_E_NS1_11comp_targetILNS1_3genE10ELNS1_11target_archE1201ELNS1_3gpuE5ELNS1_3repE0EEENS1_30default_config_static_selectorELNS0_4arch9wavefront6targetE1EEEvT1_,comdat
.Lfunc_end1635:
	.size	_ZN7rocprim17ROCPRIM_400000_NS6detail17trampoline_kernelINS0_14default_configENS1_27scan_by_key_config_selectorIisEEZZNS1_16scan_by_key_implILNS1_25lookback_scan_determinismE0ELb1ES3_N6thrust23THRUST_200600_302600_NS6detail15normal_iteratorINS9_10device_ptrIiEEEENSB_INSC_IsEEEESG_sNS9_4plusIvEENS9_8equal_toIvEEsEE10hipError_tPvRmT2_T3_T4_T5_mT6_T7_P12ihipStream_tbENKUlT_T0_E_clISt17integral_constantIbLb0EES10_IbLb1EEEEDaSW_SX_EUlSW_E_NS1_11comp_targetILNS1_3genE10ELNS1_11target_archE1201ELNS1_3gpuE5ELNS1_3repE0EEENS1_30default_config_static_selectorELNS0_4arch9wavefront6targetE1EEEvT1_, .Lfunc_end1635-_ZN7rocprim17ROCPRIM_400000_NS6detail17trampoline_kernelINS0_14default_configENS1_27scan_by_key_config_selectorIisEEZZNS1_16scan_by_key_implILNS1_25lookback_scan_determinismE0ELb1ES3_N6thrust23THRUST_200600_302600_NS6detail15normal_iteratorINS9_10device_ptrIiEEEENSB_INSC_IsEEEESG_sNS9_4plusIvEENS9_8equal_toIvEEsEE10hipError_tPvRmT2_T3_T4_T5_mT6_T7_P12ihipStream_tbENKUlT_T0_E_clISt17integral_constantIbLb0EES10_IbLb1EEEEDaSW_SX_EUlSW_E_NS1_11comp_targetILNS1_3genE10ELNS1_11target_archE1201ELNS1_3gpuE5ELNS1_3repE0EEENS1_30default_config_static_selectorELNS0_4arch9wavefront6targetE1EEEvT1_
                                        ; -- End function
	.section	.AMDGPU.csdata,"",@progbits
; Kernel info:
; codeLenInByte = 0
; NumSgprs: 4
; NumVgprs: 0
; NumAgprs: 0
; TotalNumVgprs: 0
; ScratchSize: 0
; MemoryBound: 0
; FloatMode: 240
; IeeeMode: 1
; LDSByteSize: 0 bytes/workgroup (compile time only)
; SGPRBlocks: 0
; VGPRBlocks: 0
; NumSGPRsForWavesPerEU: 4
; NumVGPRsForWavesPerEU: 1
; AccumOffset: 4
; Occupancy: 8
; WaveLimiterHint : 0
; COMPUTE_PGM_RSRC2:SCRATCH_EN: 0
; COMPUTE_PGM_RSRC2:USER_SGPR: 6
; COMPUTE_PGM_RSRC2:TRAP_HANDLER: 0
; COMPUTE_PGM_RSRC2:TGID_X_EN: 1
; COMPUTE_PGM_RSRC2:TGID_Y_EN: 0
; COMPUTE_PGM_RSRC2:TGID_Z_EN: 0
; COMPUTE_PGM_RSRC2:TIDIG_COMP_CNT: 0
; COMPUTE_PGM_RSRC3_GFX90A:ACCUM_OFFSET: 0
; COMPUTE_PGM_RSRC3_GFX90A:TG_SPLIT: 0
	.section	.text._ZN7rocprim17ROCPRIM_400000_NS6detail17trampoline_kernelINS0_14default_configENS1_27scan_by_key_config_selectorIisEEZZNS1_16scan_by_key_implILNS1_25lookback_scan_determinismE0ELb1ES3_N6thrust23THRUST_200600_302600_NS6detail15normal_iteratorINS9_10device_ptrIiEEEENSB_INSC_IsEEEESG_sNS9_4plusIvEENS9_8equal_toIvEEsEE10hipError_tPvRmT2_T3_T4_T5_mT6_T7_P12ihipStream_tbENKUlT_T0_E_clISt17integral_constantIbLb0EES10_IbLb1EEEEDaSW_SX_EUlSW_E_NS1_11comp_targetILNS1_3genE5ELNS1_11target_archE942ELNS1_3gpuE9ELNS1_3repE0EEENS1_30default_config_static_selectorELNS0_4arch9wavefront6targetE1EEEvT1_,"axG",@progbits,_ZN7rocprim17ROCPRIM_400000_NS6detail17trampoline_kernelINS0_14default_configENS1_27scan_by_key_config_selectorIisEEZZNS1_16scan_by_key_implILNS1_25lookback_scan_determinismE0ELb1ES3_N6thrust23THRUST_200600_302600_NS6detail15normal_iteratorINS9_10device_ptrIiEEEENSB_INSC_IsEEEESG_sNS9_4plusIvEENS9_8equal_toIvEEsEE10hipError_tPvRmT2_T3_T4_T5_mT6_T7_P12ihipStream_tbENKUlT_T0_E_clISt17integral_constantIbLb0EES10_IbLb1EEEEDaSW_SX_EUlSW_E_NS1_11comp_targetILNS1_3genE5ELNS1_11target_archE942ELNS1_3gpuE9ELNS1_3repE0EEENS1_30default_config_static_selectorELNS0_4arch9wavefront6targetE1EEEvT1_,comdat
	.protected	_ZN7rocprim17ROCPRIM_400000_NS6detail17trampoline_kernelINS0_14default_configENS1_27scan_by_key_config_selectorIisEEZZNS1_16scan_by_key_implILNS1_25lookback_scan_determinismE0ELb1ES3_N6thrust23THRUST_200600_302600_NS6detail15normal_iteratorINS9_10device_ptrIiEEEENSB_INSC_IsEEEESG_sNS9_4plusIvEENS9_8equal_toIvEEsEE10hipError_tPvRmT2_T3_T4_T5_mT6_T7_P12ihipStream_tbENKUlT_T0_E_clISt17integral_constantIbLb0EES10_IbLb1EEEEDaSW_SX_EUlSW_E_NS1_11comp_targetILNS1_3genE5ELNS1_11target_archE942ELNS1_3gpuE9ELNS1_3repE0EEENS1_30default_config_static_selectorELNS0_4arch9wavefront6targetE1EEEvT1_ ; -- Begin function _ZN7rocprim17ROCPRIM_400000_NS6detail17trampoline_kernelINS0_14default_configENS1_27scan_by_key_config_selectorIisEEZZNS1_16scan_by_key_implILNS1_25lookback_scan_determinismE0ELb1ES3_N6thrust23THRUST_200600_302600_NS6detail15normal_iteratorINS9_10device_ptrIiEEEENSB_INSC_IsEEEESG_sNS9_4plusIvEENS9_8equal_toIvEEsEE10hipError_tPvRmT2_T3_T4_T5_mT6_T7_P12ihipStream_tbENKUlT_T0_E_clISt17integral_constantIbLb0EES10_IbLb1EEEEDaSW_SX_EUlSW_E_NS1_11comp_targetILNS1_3genE5ELNS1_11target_archE942ELNS1_3gpuE9ELNS1_3repE0EEENS1_30default_config_static_selectorELNS0_4arch9wavefront6targetE1EEEvT1_
	.globl	_ZN7rocprim17ROCPRIM_400000_NS6detail17trampoline_kernelINS0_14default_configENS1_27scan_by_key_config_selectorIisEEZZNS1_16scan_by_key_implILNS1_25lookback_scan_determinismE0ELb1ES3_N6thrust23THRUST_200600_302600_NS6detail15normal_iteratorINS9_10device_ptrIiEEEENSB_INSC_IsEEEESG_sNS9_4plusIvEENS9_8equal_toIvEEsEE10hipError_tPvRmT2_T3_T4_T5_mT6_T7_P12ihipStream_tbENKUlT_T0_E_clISt17integral_constantIbLb0EES10_IbLb1EEEEDaSW_SX_EUlSW_E_NS1_11comp_targetILNS1_3genE5ELNS1_11target_archE942ELNS1_3gpuE9ELNS1_3repE0EEENS1_30default_config_static_selectorELNS0_4arch9wavefront6targetE1EEEvT1_
	.p2align	8
	.type	_ZN7rocprim17ROCPRIM_400000_NS6detail17trampoline_kernelINS0_14default_configENS1_27scan_by_key_config_selectorIisEEZZNS1_16scan_by_key_implILNS1_25lookback_scan_determinismE0ELb1ES3_N6thrust23THRUST_200600_302600_NS6detail15normal_iteratorINS9_10device_ptrIiEEEENSB_INSC_IsEEEESG_sNS9_4plusIvEENS9_8equal_toIvEEsEE10hipError_tPvRmT2_T3_T4_T5_mT6_T7_P12ihipStream_tbENKUlT_T0_E_clISt17integral_constantIbLb0EES10_IbLb1EEEEDaSW_SX_EUlSW_E_NS1_11comp_targetILNS1_3genE5ELNS1_11target_archE942ELNS1_3gpuE9ELNS1_3repE0EEENS1_30default_config_static_selectorELNS0_4arch9wavefront6targetE1EEEvT1_,@function
_ZN7rocprim17ROCPRIM_400000_NS6detail17trampoline_kernelINS0_14default_configENS1_27scan_by_key_config_selectorIisEEZZNS1_16scan_by_key_implILNS1_25lookback_scan_determinismE0ELb1ES3_N6thrust23THRUST_200600_302600_NS6detail15normal_iteratorINS9_10device_ptrIiEEEENSB_INSC_IsEEEESG_sNS9_4plusIvEENS9_8equal_toIvEEsEE10hipError_tPvRmT2_T3_T4_T5_mT6_T7_P12ihipStream_tbENKUlT_T0_E_clISt17integral_constantIbLb0EES10_IbLb1EEEEDaSW_SX_EUlSW_E_NS1_11comp_targetILNS1_3genE5ELNS1_11target_archE942ELNS1_3gpuE9ELNS1_3repE0EEENS1_30default_config_static_selectorELNS0_4arch9wavefront6targetE1EEEvT1_: ; @_ZN7rocprim17ROCPRIM_400000_NS6detail17trampoline_kernelINS0_14default_configENS1_27scan_by_key_config_selectorIisEEZZNS1_16scan_by_key_implILNS1_25lookback_scan_determinismE0ELb1ES3_N6thrust23THRUST_200600_302600_NS6detail15normal_iteratorINS9_10device_ptrIiEEEENSB_INSC_IsEEEESG_sNS9_4plusIvEENS9_8equal_toIvEEsEE10hipError_tPvRmT2_T3_T4_T5_mT6_T7_P12ihipStream_tbENKUlT_T0_E_clISt17integral_constantIbLb0EES10_IbLb1EEEEDaSW_SX_EUlSW_E_NS1_11comp_targetILNS1_3genE5ELNS1_11target_archE942ELNS1_3gpuE9ELNS1_3repE0EEENS1_30default_config_static_selectorELNS0_4arch9wavefront6targetE1EEEvT1_
; %bb.0:
	.section	.rodata,"a",@progbits
	.p2align	6, 0x0
	.amdhsa_kernel _ZN7rocprim17ROCPRIM_400000_NS6detail17trampoline_kernelINS0_14default_configENS1_27scan_by_key_config_selectorIisEEZZNS1_16scan_by_key_implILNS1_25lookback_scan_determinismE0ELb1ES3_N6thrust23THRUST_200600_302600_NS6detail15normal_iteratorINS9_10device_ptrIiEEEENSB_INSC_IsEEEESG_sNS9_4plusIvEENS9_8equal_toIvEEsEE10hipError_tPvRmT2_T3_T4_T5_mT6_T7_P12ihipStream_tbENKUlT_T0_E_clISt17integral_constantIbLb0EES10_IbLb1EEEEDaSW_SX_EUlSW_E_NS1_11comp_targetILNS1_3genE5ELNS1_11target_archE942ELNS1_3gpuE9ELNS1_3repE0EEENS1_30default_config_static_selectorELNS0_4arch9wavefront6targetE1EEEvT1_
		.amdhsa_group_segment_fixed_size 0
		.amdhsa_private_segment_fixed_size 0
		.amdhsa_kernarg_size 112
		.amdhsa_user_sgpr_count 6
		.amdhsa_user_sgpr_private_segment_buffer 1
		.amdhsa_user_sgpr_dispatch_ptr 0
		.amdhsa_user_sgpr_queue_ptr 0
		.amdhsa_user_sgpr_kernarg_segment_ptr 1
		.amdhsa_user_sgpr_dispatch_id 0
		.amdhsa_user_sgpr_flat_scratch_init 0
		.amdhsa_user_sgpr_kernarg_preload_length 0
		.amdhsa_user_sgpr_kernarg_preload_offset 0
		.amdhsa_user_sgpr_private_segment_size 0
		.amdhsa_uses_dynamic_stack 0
		.amdhsa_system_sgpr_private_segment_wavefront_offset 0
		.amdhsa_system_sgpr_workgroup_id_x 1
		.amdhsa_system_sgpr_workgroup_id_y 0
		.amdhsa_system_sgpr_workgroup_id_z 0
		.amdhsa_system_sgpr_workgroup_info 0
		.amdhsa_system_vgpr_workitem_id 0
		.amdhsa_next_free_vgpr 1
		.amdhsa_next_free_sgpr 0
		.amdhsa_accum_offset 4
		.amdhsa_reserve_vcc 0
		.amdhsa_reserve_flat_scratch 0
		.amdhsa_float_round_mode_32 0
		.amdhsa_float_round_mode_16_64 0
		.amdhsa_float_denorm_mode_32 3
		.amdhsa_float_denorm_mode_16_64 3
		.amdhsa_dx10_clamp 1
		.amdhsa_ieee_mode 1
		.amdhsa_fp16_overflow 0
		.amdhsa_tg_split 0
		.amdhsa_exception_fp_ieee_invalid_op 0
		.amdhsa_exception_fp_denorm_src 0
		.amdhsa_exception_fp_ieee_div_zero 0
		.amdhsa_exception_fp_ieee_overflow 0
		.amdhsa_exception_fp_ieee_underflow 0
		.amdhsa_exception_fp_ieee_inexact 0
		.amdhsa_exception_int_div_zero 0
	.end_amdhsa_kernel
	.section	.text._ZN7rocprim17ROCPRIM_400000_NS6detail17trampoline_kernelINS0_14default_configENS1_27scan_by_key_config_selectorIisEEZZNS1_16scan_by_key_implILNS1_25lookback_scan_determinismE0ELb1ES3_N6thrust23THRUST_200600_302600_NS6detail15normal_iteratorINS9_10device_ptrIiEEEENSB_INSC_IsEEEESG_sNS9_4plusIvEENS9_8equal_toIvEEsEE10hipError_tPvRmT2_T3_T4_T5_mT6_T7_P12ihipStream_tbENKUlT_T0_E_clISt17integral_constantIbLb0EES10_IbLb1EEEEDaSW_SX_EUlSW_E_NS1_11comp_targetILNS1_3genE5ELNS1_11target_archE942ELNS1_3gpuE9ELNS1_3repE0EEENS1_30default_config_static_selectorELNS0_4arch9wavefront6targetE1EEEvT1_,"axG",@progbits,_ZN7rocprim17ROCPRIM_400000_NS6detail17trampoline_kernelINS0_14default_configENS1_27scan_by_key_config_selectorIisEEZZNS1_16scan_by_key_implILNS1_25lookback_scan_determinismE0ELb1ES3_N6thrust23THRUST_200600_302600_NS6detail15normal_iteratorINS9_10device_ptrIiEEEENSB_INSC_IsEEEESG_sNS9_4plusIvEENS9_8equal_toIvEEsEE10hipError_tPvRmT2_T3_T4_T5_mT6_T7_P12ihipStream_tbENKUlT_T0_E_clISt17integral_constantIbLb0EES10_IbLb1EEEEDaSW_SX_EUlSW_E_NS1_11comp_targetILNS1_3genE5ELNS1_11target_archE942ELNS1_3gpuE9ELNS1_3repE0EEENS1_30default_config_static_selectorELNS0_4arch9wavefront6targetE1EEEvT1_,comdat
.Lfunc_end1636:
	.size	_ZN7rocprim17ROCPRIM_400000_NS6detail17trampoline_kernelINS0_14default_configENS1_27scan_by_key_config_selectorIisEEZZNS1_16scan_by_key_implILNS1_25lookback_scan_determinismE0ELb1ES3_N6thrust23THRUST_200600_302600_NS6detail15normal_iteratorINS9_10device_ptrIiEEEENSB_INSC_IsEEEESG_sNS9_4plusIvEENS9_8equal_toIvEEsEE10hipError_tPvRmT2_T3_T4_T5_mT6_T7_P12ihipStream_tbENKUlT_T0_E_clISt17integral_constantIbLb0EES10_IbLb1EEEEDaSW_SX_EUlSW_E_NS1_11comp_targetILNS1_3genE5ELNS1_11target_archE942ELNS1_3gpuE9ELNS1_3repE0EEENS1_30default_config_static_selectorELNS0_4arch9wavefront6targetE1EEEvT1_, .Lfunc_end1636-_ZN7rocprim17ROCPRIM_400000_NS6detail17trampoline_kernelINS0_14default_configENS1_27scan_by_key_config_selectorIisEEZZNS1_16scan_by_key_implILNS1_25lookback_scan_determinismE0ELb1ES3_N6thrust23THRUST_200600_302600_NS6detail15normal_iteratorINS9_10device_ptrIiEEEENSB_INSC_IsEEEESG_sNS9_4plusIvEENS9_8equal_toIvEEsEE10hipError_tPvRmT2_T3_T4_T5_mT6_T7_P12ihipStream_tbENKUlT_T0_E_clISt17integral_constantIbLb0EES10_IbLb1EEEEDaSW_SX_EUlSW_E_NS1_11comp_targetILNS1_3genE5ELNS1_11target_archE942ELNS1_3gpuE9ELNS1_3repE0EEENS1_30default_config_static_selectorELNS0_4arch9wavefront6targetE1EEEvT1_
                                        ; -- End function
	.section	.AMDGPU.csdata,"",@progbits
; Kernel info:
; codeLenInByte = 0
; NumSgprs: 4
; NumVgprs: 0
; NumAgprs: 0
; TotalNumVgprs: 0
; ScratchSize: 0
; MemoryBound: 0
; FloatMode: 240
; IeeeMode: 1
; LDSByteSize: 0 bytes/workgroup (compile time only)
; SGPRBlocks: 0
; VGPRBlocks: 0
; NumSGPRsForWavesPerEU: 4
; NumVGPRsForWavesPerEU: 1
; AccumOffset: 4
; Occupancy: 8
; WaveLimiterHint : 0
; COMPUTE_PGM_RSRC2:SCRATCH_EN: 0
; COMPUTE_PGM_RSRC2:USER_SGPR: 6
; COMPUTE_PGM_RSRC2:TRAP_HANDLER: 0
; COMPUTE_PGM_RSRC2:TGID_X_EN: 1
; COMPUTE_PGM_RSRC2:TGID_Y_EN: 0
; COMPUTE_PGM_RSRC2:TGID_Z_EN: 0
; COMPUTE_PGM_RSRC2:TIDIG_COMP_CNT: 0
; COMPUTE_PGM_RSRC3_GFX90A:ACCUM_OFFSET: 0
; COMPUTE_PGM_RSRC3_GFX90A:TG_SPLIT: 0
	.section	.text._ZN7rocprim17ROCPRIM_400000_NS6detail17trampoline_kernelINS0_14default_configENS1_27scan_by_key_config_selectorIisEEZZNS1_16scan_by_key_implILNS1_25lookback_scan_determinismE0ELb1ES3_N6thrust23THRUST_200600_302600_NS6detail15normal_iteratorINS9_10device_ptrIiEEEENSB_INSC_IsEEEESG_sNS9_4plusIvEENS9_8equal_toIvEEsEE10hipError_tPvRmT2_T3_T4_T5_mT6_T7_P12ihipStream_tbENKUlT_T0_E_clISt17integral_constantIbLb0EES10_IbLb1EEEEDaSW_SX_EUlSW_E_NS1_11comp_targetILNS1_3genE4ELNS1_11target_archE910ELNS1_3gpuE8ELNS1_3repE0EEENS1_30default_config_static_selectorELNS0_4arch9wavefront6targetE1EEEvT1_,"axG",@progbits,_ZN7rocprim17ROCPRIM_400000_NS6detail17trampoline_kernelINS0_14default_configENS1_27scan_by_key_config_selectorIisEEZZNS1_16scan_by_key_implILNS1_25lookback_scan_determinismE0ELb1ES3_N6thrust23THRUST_200600_302600_NS6detail15normal_iteratorINS9_10device_ptrIiEEEENSB_INSC_IsEEEESG_sNS9_4plusIvEENS9_8equal_toIvEEsEE10hipError_tPvRmT2_T3_T4_T5_mT6_T7_P12ihipStream_tbENKUlT_T0_E_clISt17integral_constantIbLb0EES10_IbLb1EEEEDaSW_SX_EUlSW_E_NS1_11comp_targetILNS1_3genE4ELNS1_11target_archE910ELNS1_3gpuE8ELNS1_3repE0EEENS1_30default_config_static_selectorELNS0_4arch9wavefront6targetE1EEEvT1_,comdat
	.protected	_ZN7rocprim17ROCPRIM_400000_NS6detail17trampoline_kernelINS0_14default_configENS1_27scan_by_key_config_selectorIisEEZZNS1_16scan_by_key_implILNS1_25lookback_scan_determinismE0ELb1ES3_N6thrust23THRUST_200600_302600_NS6detail15normal_iteratorINS9_10device_ptrIiEEEENSB_INSC_IsEEEESG_sNS9_4plusIvEENS9_8equal_toIvEEsEE10hipError_tPvRmT2_T3_T4_T5_mT6_T7_P12ihipStream_tbENKUlT_T0_E_clISt17integral_constantIbLb0EES10_IbLb1EEEEDaSW_SX_EUlSW_E_NS1_11comp_targetILNS1_3genE4ELNS1_11target_archE910ELNS1_3gpuE8ELNS1_3repE0EEENS1_30default_config_static_selectorELNS0_4arch9wavefront6targetE1EEEvT1_ ; -- Begin function _ZN7rocprim17ROCPRIM_400000_NS6detail17trampoline_kernelINS0_14default_configENS1_27scan_by_key_config_selectorIisEEZZNS1_16scan_by_key_implILNS1_25lookback_scan_determinismE0ELb1ES3_N6thrust23THRUST_200600_302600_NS6detail15normal_iteratorINS9_10device_ptrIiEEEENSB_INSC_IsEEEESG_sNS9_4plusIvEENS9_8equal_toIvEEsEE10hipError_tPvRmT2_T3_T4_T5_mT6_T7_P12ihipStream_tbENKUlT_T0_E_clISt17integral_constantIbLb0EES10_IbLb1EEEEDaSW_SX_EUlSW_E_NS1_11comp_targetILNS1_3genE4ELNS1_11target_archE910ELNS1_3gpuE8ELNS1_3repE0EEENS1_30default_config_static_selectorELNS0_4arch9wavefront6targetE1EEEvT1_
	.globl	_ZN7rocprim17ROCPRIM_400000_NS6detail17trampoline_kernelINS0_14default_configENS1_27scan_by_key_config_selectorIisEEZZNS1_16scan_by_key_implILNS1_25lookback_scan_determinismE0ELb1ES3_N6thrust23THRUST_200600_302600_NS6detail15normal_iteratorINS9_10device_ptrIiEEEENSB_INSC_IsEEEESG_sNS9_4plusIvEENS9_8equal_toIvEEsEE10hipError_tPvRmT2_T3_T4_T5_mT6_T7_P12ihipStream_tbENKUlT_T0_E_clISt17integral_constantIbLb0EES10_IbLb1EEEEDaSW_SX_EUlSW_E_NS1_11comp_targetILNS1_3genE4ELNS1_11target_archE910ELNS1_3gpuE8ELNS1_3repE0EEENS1_30default_config_static_selectorELNS0_4arch9wavefront6targetE1EEEvT1_
	.p2align	8
	.type	_ZN7rocprim17ROCPRIM_400000_NS6detail17trampoline_kernelINS0_14default_configENS1_27scan_by_key_config_selectorIisEEZZNS1_16scan_by_key_implILNS1_25lookback_scan_determinismE0ELb1ES3_N6thrust23THRUST_200600_302600_NS6detail15normal_iteratorINS9_10device_ptrIiEEEENSB_INSC_IsEEEESG_sNS9_4plusIvEENS9_8equal_toIvEEsEE10hipError_tPvRmT2_T3_T4_T5_mT6_T7_P12ihipStream_tbENKUlT_T0_E_clISt17integral_constantIbLb0EES10_IbLb1EEEEDaSW_SX_EUlSW_E_NS1_11comp_targetILNS1_3genE4ELNS1_11target_archE910ELNS1_3gpuE8ELNS1_3repE0EEENS1_30default_config_static_selectorELNS0_4arch9wavefront6targetE1EEEvT1_,@function
_ZN7rocprim17ROCPRIM_400000_NS6detail17trampoline_kernelINS0_14default_configENS1_27scan_by_key_config_selectorIisEEZZNS1_16scan_by_key_implILNS1_25lookback_scan_determinismE0ELb1ES3_N6thrust23THRUST_200600_302600_NS6detail15normal_iteratorINS9_10device_ptrIiEEEENSB_INSC_IsEEEESG_sNS9_4plusIvEENS9_8equal_toIvEEsEE10hipError_tPvRmT2_T3_T4_T5_mT6_T7_P12ihipStream_tbENKUlT_T0_E_clISt17integral_constantIbLb0EES10_IbLb1EEEEDaSW_SX_EUlSW_E_NS1_11comp_targetILNS1_3genE4ELNS1_11target_archE910ELNS1_3gpuE8ELNS1_3repE0EEENS1_30default_config_static_selectorELNS0_4arch9wavefront6targetE1EEEvT1_: ; @_ZN7rocprim17ROCPRIM_400000_NS6detail17trampoline_kernelINS0_14default_configENS1_27scan_by_key_config_selectorIisEEZZNS1_16scan_by_key_implILNS1_25lookback_scan_determinismE0ELb1ES3_N6thrust23THRUST_200600_302600_NS6detail15normal_iteratorINS9_10device_ptrIiEEEENSB_INSC_IsEEEESG_sNS9_4plusIvEENS9_8equal_toIvEEsEE10hipError_tPvRmT2_T3_T4_T5_mT6_T7_P12ihipStream_tbENKUlT_T0_E_clISt17integral_constantIbLb0EES10_IbLb1EEEEDaSW_SX_EUlSW_E_NS1_11comp_targetILNS1_3genE4ELNS1_11target_archE910ELNS1_3gpuE8ELNS1_3repE0EEENS1_30default_config_static_selectorELNS0_4arch9wavefront6targetE1EEEvT1_
; %bb.0:
	s_load_dword s74, s[4:5], 0x20
	s_load_dwordx4 s[56:59], s[4:5], 0x28
	s_load_dwordx2 s[66:67], s[4:5], 0x38
	v_cmp_eq_u32_e64 s[0:1], 0, v0
	s_and_saveexec_b64 s[2:3], s[0:1]
	s_cbranch_execz .LBB1637_4
; %bb.1:
	s_mov_b64 s[8:9], exec
	v_mbcnt_lo_u32_b32 v1, s8, 0
	v_mbcnt_hi_u32_b32 v1, s9, v1
	v_cmp_eq_u32_e32 vcc, 0, v1
                                        ; implicit-def: $vgpr2
	s_and_saveexec_b64 s[6:7], vcc
	s_cbranch_execz .LBB1637_3
; %bb.2:
	s_load_dwordx2 s[10:11], s[4:5], 0x68
	s_bcnt1_i32_b64 s8, s[8:9]
	v_mov_b32_e32 v2, 0
	v_mov_b32_e32 v3, s8
	s_waitcnt lgkmcnt(0)
	global_atomic_add v2, v2, v3, s[10:11] glc
.LBB1637_3:
	s_or_b64 exec, exec, s[6:7]
	s_waitcnt vmcnt(0)
	v_readfirstlane_b32 s6, v2
	v_add_u32_e32 v1, s6, v1
	v_mov_b32_e32 v2, 0
	ds_write_b32 v2, v1
.LBB1637_4:
	s_or_b64 exec, exec, s[2:3]
	s_load_dwordx8 s[48:55], s[4:5], 0x0
	s_load_dword s2, s[4:5], 0x40
	s_load_dwordx4 s[60:63], s[4:5], 0x48
	v_mov_b32_e32 v3, 0
	s_waitcnt lgkmcnt(0)
	s_lshl_b64 s[4:5], s[50:51], 2
	; wave barrier
	ds_read_b32 v1, v3
	s_add_u32 s3, s48, s4
	s_addc_u32 s4, s49, s5
	s_lshl_b64 s[64:65], s[50:51], 1
	s_add_u32 s5, s52, s64
	s_mul_i32 s7, s67, s2
	s_mul_hi_u32 s8, s66, s2
	s_addc_u32 s6, s53, s65
	s_add_i32 s7, s8, s7
	s_movk_i32 s8, 0x600
	s_waitcnt lgkmcnt(0)
	v_mul_lo_u32 v2, v1, s8
	v_lshlrev_b64 v[4:5], 2, v[2:3]
	v_mov_b32_e32 v6, s4
	v_add_co_u32_e32 v52, vcc, s3, v4
	v_addc_co_u32_e32 v53, vcc, v6, v5, vcc
	v_lshlrev_b64 v[50:51], 1, v[2:3]
	v_mov_b32_e32 v2, s6
	v_add_co_u32_e32 v56, vcc, s5, v50
	s_mul_i32 s2, s66, s2
	v_addc_co_u32_e32 v57, vcc, v2, v51, vcc
	v_mov_b32_e32 v3, s7
	v_add_co_u32_e32 v2, vcc, s2, v1
	s_add_u32 s4, s60, -1
	v_addc_co_u32_e32 v3, vcc, 0, v3, vcc
	s_addc_u32 s5, s61, -1
	v_cmp_le_u64_e64 s[2:3], s[4:5], v[2:3]
	v_readfirstlane_b32 s59, v1
	s_mov_b64 s[20:21], -1
	s_and_b64 vcc, exec, s[2:3]
	s_mul_i32 s33, s4, 0xfffffa00
	s_waitcnt lgkmcnt(0)
	; wave barrier
	s_waitcnt lgkmcnt(0)
	s_waitcnt lgkmcnt(0)
	; wave barrier
	s_cbranch_vccz .LBB1637_130
; %bb.5:
	flat_load_dword v1, v[52:53]
	s_add_i32 s72, s33, s58
	v_cmp_gt_u32_e32 vcc, s72, v0
	s_waitcnt vmcnt(0) lgkmcnt(0)
	v_mov_b32_e32 v2, v1
	s_and_saveexec_b64 s[6:7], vcc
	s_cbranch_execz .LBB1637_7
; %bb.6:
	v_lshlrev_b32_e32 v2, 2, v0
	v_add_co_u32_e64 v2, s[4:5], v52, v2
	v_addc_co_u32_e64 v3, s[4:5], 0, v53, s[4:5]
	flat_load_dword v2, v[2:3]
.LBB1637_7:
	s_or_b64 exec, exec, s[6:7]
	v_or_b32_e32 v3, 64, v0
	v_cmp_gt_u32_e64 s[4:5], s72, v3
	v_mov_b32_e32 v3, v1
	s_and_saveexec_b64 s[8:9], s[4:5]
	s_cbranch_execz .LBB1637_9
; %bb.8:
	v_lshlrev_b32_e32 v3, 2, v0
	v_add_co_u32_e64 v4, s[6:7], v52, v3
	v_addc_co_u32_e64 v5, s[6:7], 0, v53, s[6:7]
	flat_load_dword v3, v[4:5] offset:256
.LBB1637_9:
	s_or_b64 exec, exec, s[8:9]
	v_or_b32_e32 v4, 0x80, v0
	v_cmp_gt_u32_e64 s[6:7], s72, v4
	v_mov_b32_e32 v4, v1
	s_and_saveexec_b64 s[10:11], s[6:7]
	s_cbranch_execz .LBB1637_11
; %bb.10:
	v_lshlrev_b32_e32 v4, 2, v0
	v_add_co_u32_e64 v4, s[8:9], v52, v4
	v_addc_co_u32_e64 v5, s[8:9], 0, v53, s[8:9]
	flat_load_dword v4, v[4:5] offset:512
.LBB1637_11:
	;; [unrolled: 12-line block ×15, first 2 shown]
	s_or_b64 exec, exec, s[38:39]
	v_or_b32_e32 v19, 0x400, v0
	v_cmp_gt_u32_e64 s[36:37], s72, v19
	v_mov_b32_e32 v18, v1
	s_and_saveexec_b64 s[40:41], s[36:37]
	s_cbranch_execz .LBB1637_39
; %bb.38:
	v_lshlrev_b32_e32 v18, 2, v19
	v_add_co_u32_e64 v18, s[38:39], v52, v18
	v_addc_co_u32_e64 v19, s[38:39], 0, v53, s[38:39]
	flat_load_dword v18, v[18:19]
.LBB1637_39:
	s_or_b64 exec, exec, s[40:41]
	v_or_b32_e32 v20, 0x440, v0
	v_cmp_gt_u32_e64 s[38:39], s72, v20
	v_mov_b32_e32 v19, v1
	s_and_saveexec_b64 s[42:43], s[38:39]
	s_cbranch_execz .LBB1637_41
; %bb.40:
	v_lshlrev_b32_e32 v19, 2, v20
	v_add_co_u32_e64 v20, s[40:41], v52, v19
	v_addc_co_u32_e64 v21, s[40:41], 0, v53, s[40:41]
	flat_load_dword v19, v[20:21]
.LBB1637_41:
	;; [unrolled: 12-line block ×7, first 2 shown]
	s_or_b64 exec, exec, s[52:53]
	v_or_b32_e32 v25, 0x5c0, v0
	v_cmp_gt_u32_e64 s[50:51], s72, v25
	s_and_saveexec_b64 s[60:61], s[50:51]
	s_cbranch_execz .LBB1637_53
; %bb.52:
	v_lshlrev_b32_e32 v1, 2, v25
	v_add_co_u32_e64 v26, s[52:53], v52, v1
	v_addc_co_u32_e64 v27, s[52:53], 0, v53, s[52:53]
	flat_load_dword v1, v[26:27]
.LBB1637_53:
	s_or_b64 exec, exec, s[60:61]
	v_lshlrev_b32_e32 v46, 2, v0
	s_waitcnt vmcnt(0) lgkmcnt(0)
	ds_write2st64_b32 v46, v2, v3 offset1:1
	ds_write2st64_b32 v46, v4, v5 offset0:2 offset1:3
	ds_write2st64_b32 v46, v6, v7 offset0:4 offset1:5
	;; [unrolled: 1-line block ×11, first 2 shown]
	s_waitcnt lgkmcnt(0)
	; wave barrier
	s_waitcnt lgkmcnt(0)
	flat_load_dword v58, v[52:53]
	s_movk_i32 s52, 0x5c
	v_mad_u32_u24 v1, v0, s52, v46
	s_movk_i32 s52, 0xffa4
	ds_read_b128 v[42:45], v1
	ds_read_b128 v[38:41], v1 offset:16
	ds_read_b128 v[34:37], v1 offset:32
	ds_read_b128 v[30:33], v1 offset:48
	ds_read_b128 v[26:29], v1 offset:64
	ds_read_b128 v[22:25], v1 offset:80
	v_mad_i32_i24 v1, v0, s52, v1
	v_cmp_ne_u32_e64 s[52:53], 63, v0
	s_waitcnt lgkmcnt(0)
	ds_write_b32 v1, v42 offset:6400
	s_waitcnt lgkmcnt(0)
	; wave barrier
	s_waitcnt lgkmcnt(0)
	s_and_saveexec_b64 s[60:61], s[52:53]
	s_cbranch_execz .LBB1637_55
; %bb.54:
	s_waitcnt vmcnt(0)
	ds_read_b32 v58, v46 offset:6404
.LBB1637_55:
	s_or_b64 exec, exec, s[60:61]
	s_waitcnt lgkmcnt(0)
	; wave barrier
	s_waitcnt lgkmcnt(0)
                                        ; implicit-def: $vgpr2
	s_and_saveexec_b64 s[52:53], vcc
	s_cbranch_execz .LBB1637_197
; %bb.56:
	v_lshlrev_b32_e32 v2, 1, v0
	v_add_co_u32_e32 v2, vcc, v56, v2
	v_addc_co_u32_e32 v3, vcc, 0, v57, vcc
	flat_load_ushort v2, v[2:3]
	s_or_b64 exec, exec, s[52:53]
                                        ; implicit-def: $vgpr3
	s_and_saveexec_b64 s[52:53], s[4:5]
	s_cbranch_execnz .LBB1637_198
.LBB1637_57:
	s_or_b64 exec, exec, s[52:53]
                                        ; implicit-def: $vgpr4
	s_and_saveexec_b64 s[4:5], s[6:7]
	s_cbranch_execz .LBB1637_199
.LBB1637_58:
	v_lshlrev_b32_e32 v4, 1, v0
	v_add_co_u32_e32 v4, vcc, v56, v4
	v_addc_co_u32_e32 v5, vcc, 0, v57, vcc
	flat_load_ushort v4, v[4:5] offset:256
	s_or_b64 exec, exec, s[4:5]
                                        ; implicit-def: $vgpr5
	s_and_saveexec_b64 s[4:5], s[8:9]
	s_cbranch_execnz .LBB1637_200
.LBB1637_59:
	s_or_b64 exec, exec, s[4:5]
                                        ; implicit-def: $vgpr6
	s_and_saveexec_b64 s[4:5], s[10:11]
	s_cbranch_execz .LBB1637_201
.LBB1637_60:
	v_lshlrev_b32_e32 v6, 1, v0
	v_add_co_u32_e32 v6, vcc, v56, v6
	v_addc_co_u32_e32 v7, vcc, 0, v57, vcc
	flat_load_ushort v6, v[6:7] offset:512
	s_or_b64 exec, exec, s[4:5]
                                        ; implicit-def: $vgpr7
	s_and_saveexec_b64 s[4:5], s[12:13]
	s_cbranch_execnz .LBB1637_202
.LBB1637_61:
	s_or_b64 exec, exec, s[4:5]
                                        ; implicit-def: $vgpr8
	s_and_saveexec_b64 s[4:5], s[14:15]
	s_cbranch_execz .LBB1637_203
.LBB1637_62:
	v_lshlrev_b32_e32 v8, 1, v0
	v_add_co_u32_e32 v8, vcc, v56, v8
	v_addc_co_u32_e32 v9, vcc, 0, v57, vcc
	flat_load_ushort v8, v[8:9] offset:768
	s_or_b64 exec, exec, s[4:5]
                                        ; implicit-def: $vgpr9
	s_and_saveexec_b64 s[4:5], s[16:17]
	s_cbranch_execnz .LBB1637_204
.LBB1637_63:
	s_or_b64 exec, exec, s[4:5]
                                        ; implicit-def: $vgpr10
	s_and_saveexec_b64 s[4:5], s[18:19]
	s_cbranch_execz .LBB1637_205
.LBB1637_64:
	v_lshlrev_b32_e32 v10, 1, v0
	v_add_co_u32_e32 v10, vcc, v56, v10
	v_addc_co_u32_e32 v11, vcc, 0, v57, vcc
	flat_load_ushort v10, v[10:11] offset:1024
	s_or_b64 exec, exec, s[4:5]
                                        ; implicit-def: $vgpr11
	s_and_saveexec_b64 s[4:5], s[20:21]
	s_cbranch_execnz .LBB1637_206
.LBB1637_65:
	s_or_b64 exec, exec, s[4:5]
                                        ; implicit-def: $vgpr12
	s_and_saveexec_b64 s[4:5], s[22:23]
	s_cbranch_execz .LBB1637_207
.LBB1637_66:
	v_lshlrev_b32_e32 v12, 1, v0
	v_add_co_u32_e32 v12, vcc, v56, v12
	v_addc_co_u32_e32 v13, vcc, 0, v57, vcc
	flat_load_ushort v12, v[12:13] offset:1280
	s_or_b64 exec, exec, s[4:5]
                                        ; implicit-def: $vgpr13
	s_and_saveexec_b64 s[4:5], s[24:25]
	s_cbranch_execnz .LBB1637_208
.LBB1637_67:
	s_or_b64 exec, exec, s[4:5]
                                        ; implicit-def: $vgpr14
	s_and_saveexec_b64 s[4:5], s[26:27]
	s_cbranch_execz .LBB1637_209
.LBB1637_68:
	v_lshlrev_b32_e32 v14, 1, v0
	v_add_co_u32_e32 v14, vcc, v56, v14
	v_addc_co_u32_e32 v15, vcc, 0, v57, vcc
	flat_load_ushort v14, v[14:15] offset:1536
	s_or_b64 exec, exec, s[4:5]
                                        ; implicit-def: $vgpr15
	s_and_saveexec_b64 s[4:5], s[28:29]
	s_cbranch_execnz .LBB1637_210
.LBB1637_69:
	s_or_b64 exec, exec, s[4:5]
                                        ; implicit-def: $vgpr16
	s_and_saveexec_b64 s[4:5], s[30:31]
	s_cbranch_execz .LBB1637_211
.LBB1637_70:
	v_lshlrev_b32_e32 v16, 1, v0
	v_add_co_u32_e32 v16, vcc, v56, v16
	v_addc_co_u32_e32 v17, vcc, 0, v57, vcc
	flat_load_ushort v16, v[16:17] offset:1792
	s_or_b64 exec, exec, s[4:5]
                                        ; implicit-def: $vgpr17
	s_and_saveexec_b64 s[4:5], s[34:35]
	s_cbranch_execnz .LBB1637_212
.LBB1637_71:
	s_or_b64 exec, exec, s[4:5]
                                        ; implicit-def: $vgpr18
	s_and_saveexec_b64 s[4:5], s[36:37]
	s_cbranch_execz .LBB1637_213
.LBB1637_72:
	v_lshlrev_b32_e32 v18, 1, v0
	v_add_co_u32_e32 v18, vcc, v56, v18
	v_addc_co_u32_e32 v19, vcc, 0, v57, vcc
	flat_load_ushort v18, v[18:19] offset:2048
	s_or_b64 exec, exec, s[4:5]
                                        ; implicit-def: $vgpr19
	s_and_saveexec_b64 s[4:5], s[38:39]
	s_cbranch_execnz .LBB1637_214
.LBB1637_73:
	s_or_b64 exec, exec, s[4:5]
                                        ; implicit-def: $vgpr20
	s_and_saveexec_b64 s[4:5], s[40:41]
	s_cbranch_execz .LBB1637_215
.LBB1637_74:
	v_lshlrev_b32_e32 v20, 1, v0
	v_add_co_u32_e32 v20, vcc, v56, v20
	v_addc_co_u32_e32 v21, vcc, 0, v57, vcc
	flat_load_ushort v20, v[20:21] offset:2304
	s_or_b64 exec, exec, s[4:5]
                                        ; implicit-def: $vgpr21
	s_and_saveexec_b64 s[4:5], s[42:43]
	s_cbranch_execnz .LBB1637_216
.LBB1637_75:
	s_or_b64 exec, exec, s[4:5]
                                        ; implicit-def: $vgpr47
	s_and_saveexec_b64 s[4:5], s[44:45]
	s_cbranch_execz .LBB1637_217
.LBB1637_76:
	v_lshlrev_b32_e32 v46, 1, v0
	v_add_co_u32_e32 v46, vcc, v56, v46
	v_addc_co_u32_e32 v47, vcc, 0, v57, vcc
	flat_load_ushort v47, v[46:47] offset:2560
	s_or_b64 exec, exec, s[4:5]
                                        ; implicit-def: $vgpr48
	s_and_saveexec_b64 s[4:5], s[46:47]
	s_cbranch_execnz .LBB1637_218
.LBB1637_77:
	s_or_b64 exec, exec, s[4:5]
                                        ; implicit-def: $vgpr49
	s_and_saveexec_b64 s[4:5], s[48:49]
	s_cbranch_execz .LBB1637_79
.LBB1637_78:
	v_lshlrev_b32_e32 v46, 1, v0
	v_add_co_u32_e32 v54, vcc, v56, v46
	v_addc_co_u32_e32 v55, vcc, 0, v57, vcc
	flat_load_ushort v49, v[54:55] offset:2816
.LBB1637_79:
	s_or_b64 exec, exec, s[4:5]
	v_mul_u32_u24_e32 v60, 24, v0
                                        ; implicit-def: $vgpr54
	s_and_saveexec_b64 s[4:5], s[50:51]
	s_cbranch_execz .LBB1637_81
; %bb.80:
	v_lshlrev_b32_e32 v46, 1, v0
	v_add_co_u32_e32 v54, vcc, v56, v46
	v_addc_co_u32_e32 v55, vcc, 0, v57, vcc
	flat_load_ushort v54, v[54:55] offset:2944
.LBB1637_81:
	s_or_b64 exec, exec, s[4:5]
	v_lshlrev_b32_e32 v46, 1, v0
	s_mov_b32 s4, 0
	v_sub_u32_e32 v46, v1, v46
	s_mov_b32 s5, s4
	s_waitcnt vmcnt(0) lgkmcnt(0)
	ds_write_b16 v46, v2
	ds_write_b16 v46, v3 offset:128
	ds_write_b16 v46, v4 offset:256
	;; [unrolled: 1-line block ×23, first 2 shown]
	s_mov_b32 s6, s4
	s_mov_b32 s7, s4
	;; [unrolled: 1-line block ×6, first 2 shown]
	v_pk_mov_b32 v[2:3], s[4:5], s[4:5] op_sel:[0,1]
	s_mov_b32 s14, s4
	s_mov_b32 s15, s4
	v_pk_mov_b32 v[8:9], s[10:11], s[10:11] op_sel:[0,1]
	s_mov_b32 s12, s4
	s_mov_b32 s13, s4
	v_pk_mov_b32 v[20:21], s[14:15], s[14:15] op_sel:[0,1]
	v_pk_mov_b32 v[4:5], s[6:7], s[6:7] op_sel:[0,1]
	;; [unrolled: 1-line block ×4, first 2 shown]
	v_cmp_gt_u32_e32 vcc, s72, v60
	s_mov_b64 s[20:21], 0
	v_pk_mov_b32 v[18:19], s[12:13], s[12:13] op_sel:[0,1]
	v_mov_b32_e32 v1, 0
	s_mov_b64 s[10:11], 0
	v_pk_mov_b32 v[14:15], v[6:7], v[6:7] op_sel:[0,1]
	v_pk_mov_b32 v[12:13], v[4:5], v[4:5] op_sel:[0,1]
	v_pk_mov_b32 v[10:11], v[2:3], v[2:3] op_sel:[0,1]
	v_mov_b32_e32 v54, 0
	v_mov_b32_e32 v55, 0
	s_waitcnt lgkmcnt(0)
	; wave barrier
	s_waitcnt lgkmcnt(0)
                                        ; implicit-def: $sgpr8_sgpr9
                                        ; implicit-def: $vgpr59
	s_and_saveexec_b64 s[6:7], vcc
	s_cbranch_execz .LBB1637_129
; %bb.82:
	v_mad_u32_u24 v1, v0, 46, v46
	ds_read_u16 v1, v1
	v_mov_b32_e32 v3, s74
	v_cmp_eq_u32_e32 vcc, v42, v43
	s_mov_b32 s8, 0
	v_or_b32_e32 v2, 1, v60
	s_waitcnt lgkmcnt(0)
	v_cndmask_b32_e32 v1, v3, v1, vcc
	v_cmp_ne_u32_e32 vcc, v42, v43
	v_and_b32_e32 v1, 0xffff, v1
	v_cndmask_b32_e64 v3, 0, 1, vcc
	s_mov_b32 s9, s8
	v_lshl_or_b32 v1, v3, 16, v1
	v_cmp_gt_u32_e32 vcc, s72, v2
	s_mov_b32 s10, s8
	s_mov_b32 s11, s8
	s_mov_b32 s12, s8
	s_mov_b32 s13, s8
	s_mov_b32 s14, s8
	s_mov_b32 s15, s8
	v_pk_mov_b32 v[2:3], s[8:9], s[8:9] op_sel:[0,1]
	s_mov_b32 s18, s8
	s_mov_b32 s19, s8
	v_pk_mov_b32 v[8:9], s[14:15], s[14:15] op_sel:[0,1]
	s_mov_b32 s16, s8
	s_mov_b32 s17, s8
	v_pk_mov_b32 v[20:21], s[18:19], s[18:19] op_sel:[0,1]
	v_pk_mov_b32 v[4:5], s[10:11], s[10:11] op_sel:[0,1]
	;; [unrolled: 1-line block ×4, first 2 shown]
	s_mov_b64 s[24:25], 0
	v_pk_mov_b32 v[18:19], s[16:17], s[16:17] op_sel:[0,1]
	v_mov_b32_e32 v54, 0
	v_pk_mov_b32 v[14:15], v[6:7], v[6:7] op_sel:[0,1]
	v_pk_mov_b32 v[12:13], v[4:5], v[4:5] op_sel:[0,1]
	;; [unrolled: 1-line block ×3, first 2 shown]
	v_mov_b32_e32 v55, 0
                                        ; implicit-def: $sgpr26_sgpr27
                                        ; implicit-def: $vgpr59
	s_and_saveexec_b64 s[22:23], vcc
	s_cbranch_execz .LBB1637_128
; %bb.83:
	v_mul_u32_u24_e32 v2, 46, v0
	v_add_u32_e32 v42, v46, v2
	ds_read_b128 v[46:49], v42 offset:2
	v_mov_b32_e32 v3, s74
	v_cmp_eq_u32_e32 vcc, v43, v44
	v_or_b32_e32 v2, 2, v60
	v_pk_mov_b32 v[20:21], s[18:19], s[18:19] op_sel:[0,1]
	s_waitcnt lgkmcnt(0)
	v_cndmask_b32_e32 v3, v3, v46, vcc
	v_cmp_ne_u32_e32 vcc, v43, v44
	v_and_b32_e32 v3, 0xffff, v3
	v_cndmask_b32_e64 v4, 0, 1, vcc
	v_lshl_or_b32 v54, v4, 16, v3
	v_cmp_gt_u32_e32 vcc, s72, v2
	v_pk_mov_b32 v[2:3], s[8:9], s[8:9] op_sel:[0,1]
	v_pk_mov_b32 v[8:9], s[14:15], s[14:15] op_sel:[0,1]
	;; [unrolled: 1-line block ×6, first 2 shown]
	v_mov_b32_e32 v55, 0
	v_pk_mov_b32 v[14:15], v[6:7], v[6:7] op_sel:[0,1]
	v_pk_mov_b32 v[12:13], v[4:5], v[4:5] op_sel:[0,1]
	;; [unrolled: 1-line block ×3, first 2 shown]
                                        ; implicit-def: $sgpr8_sgpr9
                                        ; implicit-def: $vgpr59
	s_and_saveexec_b64 s[16:17], vcc
	s_cbranch_execz .LBB1637_127
; %bb.84:
	v_lshrrev_b32_e32 v2, 16, v46
	v_mov_b32_e32 v4, s74
	v_cmp_eq_u32_e32 vcc, v44, v45
	v_cndmask_b32_e32 v2, v4, v2, vcc
	v_cmp_ne_u32_e32 vcc, v44, v45
	s_mov_b32 s8, 0
	v_or_b32_e32 v3, 3, v60
	v_and_b32_e32 v2, 0xffff, v2
	v_cndmask_b32_e64 v4, 0, 1, vcc
	s_mov_b32 s9, s8
	v_lshl_or_b32 v21, v4, 16, v2
	v_cmp_gt_u32_e32 vcc, s72, v3
	s_mov_b32 s10, s8
	s_mov_b32 s11, s8
	;; [unrolled: 1-line block ×6, first 2 shown]
	v_pk_mov_b32 v[2:3], s[8:9], s[8:9] op_sel:[0,1]
	v_pk_mov_b32 v[8:9], s[14:15], s[14:15] op_sel:[0,1]
	v_mov_b32_e32 v18, 0
	v_pk_mov_b32 v[4:5], s[10:11], s[10:11] op_sel:[0,1]
	v_pk_mov_b32 v[6:7], s[12:13], s[12:13] op_sel:[0,1]
	;; [unrolled: 1-line block ×3, first 2 shown]
	v_mov_b32_e32 v19, v18
	v_mov_b32_e32 v20, v18
	v_pk_mov_b32 v[14:15], v[6:7], v[6:7] op_sel:[0,1]
	v_pk_mov_b32 v[12:13], v[4:5], v[4:5] op_sel:[0,1]
	;; [unrolled: 1-line block ×3, first 2 shown]
	v_mov_b32_e32 v55, v18
                                        ; implicit-def: $sgpr28_sgpr29
                                        ; implicit-def: $vgpr59
	s_and_saveexec_b64 s[18:19], vcc
	s_cbranch_execz .LBB1637_126
; %bb.85:
	v_mov_b32_e32 v3, s74
	v_cmp_eq_u32_e32 vcc, v45, v38
	v_cndmask_b32_e32 v3, v3, v47, vcc
	v_cmp_ne_u32_e32 vcc, v45, v38
	v_or_b32_e32 v2, 4, v60
	v_and_b32_e32 v3, 0xffff, v3
	v_cndmask_b32_e64 v4, 0, 1, vcc
	v_lshl_or_b32 v20, v4, 16, v3
	v_cmp_gt_u32_e32 vcc, s72, v2
	v_pk_mov_b32 v[2:3], s[8:9], s[8:9] op_sel:[0,1]
	v_pk_mov_b32 v[8:9], s[14:15], s[14:15] op_sel:[0,1]
	v_mov_b32_e32 v18, 0
	v_pk_mov_b32 v[4:5], s[10:11], s[10:11] op_sel:[0,1]
	v_pk_mov_b32 v[6:7], s[12:13], s[12:13] op_sel:[0,1]
	;; [unrolled: 1-line block ×3, first 2 shown]
	v_mov_b32_e32 v19, v18
	s_mov_b64 s[26:27], 0
	v_pk_mov_b32 v[14:15], v[6:7], v[6:7] op_sel:[0,1]
	v_pk_mov_b32 v[12:13], v[4:5], v[4:5] op_sel:[0,1]
	;; [unrolled: 1-line block ×3, first 2 shown]
	v_mov_b32_e32 v55, v18
                                        ; implicit-def: $sgpr8_sgpr9
                                        ; implicit-def: $vgpr59
	s_and_saveexec_b64 s[24:25], vcc
	s_cbranch_execz .LBB1637_125
; %bb.86:
	v_lshrrev_b32_e32 v2, 16, v47
	v_mov_b32_e32 v4, s74
	v_cmp_eq_u32_e32 vcc, v38, v39
	v_cndmask_b32_e32 v2, v4, v2, vcc
	v_cmp_ne_u32_e32 vcc, v38, v39
	s_mov_b32 s8, 0
	v_or_b32_e32 v3, 5, v60
	v_and_b32_e32 v2, 0xffff, v2
	v_cndmask_b32_e64 v4, 0, 1, vcc
	s_mov_b32 s9, s8
	v_lshl_or_b32 v19, v4, 16, v2
	v_cmp_gt_u32_e32 vcc, s72, v3
	s_mov_b32 s10, s8
	s_mov_b32 s11, s8
	;; [unrolled: 1-line block ×6, first 2 shown]
	v_pk_mov_b32 v[2:3], s[8:9], s[8:9] op_sel:[0,1]
	v_pk_mov_b32 v[8:9], s[14:15], s[14:15] op_sel:[0,1]
	;; [unrolled: 1-line block ×5, first 2 shown]
	v_mov_b32_e32 v18, s8
	s_mov_b64 s[28:29], 0
	v_mov_b32_e32 v55, 0
	v_pk_mov_b32 v[14:15], v[6:7], v[6:7] op_sel:[0,1]
	v_pk_mov_b32 v[12:13], v[4:5], v[4:5] op_sel:[0,1]
	;; [unrolled: 1-line block ×3, first 2 shown]
                                        ; implicit-def: $sgpr34_sgpr35
                                        ; implicit-def: $vgpr59
	s_and_saveexec_b64 s[26:27], vcc
	s_cbranch_execz .LBB1637_124
; %bb.87:
	v_mov_b32_e32 v3, s74
	v_cmp_eq_u32_e32 vcc, v39, v40
	v_cndmask_b32_e32 v3, v3, v48, vcc
	v_cmp_ne_u32_e32 vcc, v39, v40
	v_or_b32_e32 v2, 6, v60
	v_and_b32_e32 v3, 0xffff, v3
	v_cndmask_b32_e64 v4, 0, 1, vcc
	v_lshl_or_b32 v18, v4, 16, v3
	v_cmp_gt_u32_e32 vcc, s72, v2
	v_pk_mov_b32 v[2:3], s[8:9], s[8:9] op_sel:[0,1]
	v_pk_mov_b32 v[8:9], s[14:15], s[14:15] op_sel:[0,1]
	;; [unrolled: 1-line block ×5, first 2 shown]
	s_mov_b64 s[30:31], 0
	v_mov_b32_e32 v55, 0
	v_pk_mov_b32 v[14:15], v[6:7], v[6:7] op_sel:[0,1]
	v_pk_mov_b32 v[12:13], v[4:5], v[4:5] op_sel:[0,1]
	;; [unrolled: 1-line block ×3, first 2 shown]
                                        ; implicit-def: $sgpr8_sgpr9
                                        ; implicit-def: $vgpr59
	s_and_saveexec_b64 s[28:29], vcc
	s_cbranch_execz .LBB1637_123
; %bb.88:
	v_lshrrev_b32_e32 v2, 16, v48
	v_mov_b32_e32 v4, s74
	v_cmp_eq_u32_e32 vcc, v40, v41
	v_cndmask_b32_e32 v2, v4, v2, vcc
	v_cmp_ne_u32_e32 vcc, v40, v41
	s_mov_b32 s8, 0
	v_or_b32_e32 v3, 7, v60
	v_and_b32_e32 v2, 0xffff, v2
	v_cndmask_b32_e64 v4, 0, 1, vcc
	s_mov_b32 s9, s8
	v_lshl_or_b32 v55, v4, 16, v2
	v_cmp_gt_u32_e32 vcc, s72, v3
	s_mov_b32 s10, s8
	s_mov_b32 s11, s8
	;; [unrolled: 1-line block ×6, first 2 shown]
	v_pk_mov_b32 v[2:3], s[8:9], s[8:9] op_sel:[0,1]
	v_pk_mov_b32 v[8:9], s[14:15], s[14:15] op_sel:[0,1]
	;; [unrolled: 1-line block ×5, first 2 shown]
	s_mov_b64 s[34:35], 0
	v_pk_mov_b32 v[14:15], v[6:7], v[6:7] op_sel:[0,1]
	v_pk_mov_b32 v[12:13], v[4:5], v[4:5] op_sel:[0,1]
	;; [unrolled: 1-line block ×3, first 2 shown]
                                        ; implicit-def: $sgpr38_sgpr39
                                        ; implicit-def: $vgpr59
	s_and_saveexec_b64 s[30:31], vcc
	s_cbranch_execz .LBB1637_122
; %bb.89:
	v_mov_b32_e32 v3, s74
	v_cmp_eq_u32_e32 vcc, v41, v34
	v_add_u32_e32 v2, 8, v60
	v_cndmask_b32_e32 v3, v3, v49, vcc
	v_cmp_ne_u32_e32 vcc, v41, v34
	v_and_b32_e32 v3, 0xffff, v3
	v_cndmask_b32_e64 v4, 0, 1, vcc
	v_cmp_gt_u32_e32 vcc, s72, v2
	v_mov_b32_e32 v2, 0
	v_pk_mov_b32 v[16:17], s[14:15], s[14:15] op_sel:[0,1]
	v_lshl_or_b32 v9, v4, 16, v3
	v_mov_b32_e32 v3, v2
	v_mov_b32_e32 v4, v2
	;; [unrolled: 1-line block ×6, first 2 shown]
	s_mov_b64 s[36:37], 0
	v_pk_mov_b32 v[14:15], s[12:13], s[12:13] op_sel:[0,1]
	v_pk_mov_b32 v[12:13], s[10:11], s[10:11] op_sel:[0,1]
	;; [unrolled: 1-line block ×3, first 2 shown]
                                        ; implicit-def: $sgpr8_sgpr9
                                        ; implicit-def: $vgpr59
	s_and_saveexec_b64 s[34:35], vcc
	s_cbranch_execz .LBB1637_121
; %bb.90:
	v_lshrrev_b32_e32 v3, 16, v49
	v_mov_b32_e32 v5, s74
	v_cmp_eq_u32_e32 vcc, v34, v35
	s_mov_b32 s8, 0
	v_cndmask_b32_e32 v3, v5, v3, vcc
	v_cmp_ne_u32_e32 vcc, v34, v35
	s_mov_b32 s14, s8
	s_mov_b32 s15, s8
	v_add_u32_e32 v4, 9, v60
	v_and_b32_e32 v3, 0xffff, v3
	v_cndmask_b32_e64 v5, 0, 1, vcc
	s_mov_b32 s9, s8
	s_mov_b32 s10, s8
	;; [unrolled: 1-line block ×5, first 2 shown]
	v_pk_mov_b32 v[16:17], s[14:15], s[14:15] op_sel:[0,1]
	v_lshl_or_b32 v8, v5, 16, v3
	v_cmp_gt_u32_e32 vcc, s72, v4
	v_mov_b32_e32 v3, v2
	v_mov_b32_e32 v4, v2
	;; [unrolled: 1-line block ×5, first 2 shown]
	s_mov_b64 s[38:39], 0
	v_pk_mov_b32 v[14:15], s[12:13], s[12:13] op_sel:[0,1]
	v_pk_mov_b32 v[12:13], s[10:11], s[10:11] op_sel:[0,1]
	;; [unrolled: 1-line block ×3, first 2 shown]
                                        ; implicit-def: $sgpr42_sgpr43
                                        ; implicit-def: $vgpr59
	s_and_saveexec_b64 s[36:37], vcc
	s_cbranch_execz .LBB1637_120
; %bb.91:
	ds_read_b128 v[38:41], v42 offset:18
	v_mov_b32_e32 v3, s74
	v_cmp_eq_u32_e32 vcc, v35, v36
	v_add_u32_e32 v2, 10, v60
	v_pk_mov_b32 v[16:17], s[14:15], s[14:15] op_sel:[0,1]
	s_waitcnt lgkmcnt(0)
	v_cndmask_b32_e32 v3, v3, v38, vcc
	v_cmp_ne_u32_e32 vcc, v35, v36
	v_and_b32_e32 v3, 0xffff, v3
	v_cndmask_b32_e64 v4, 0, 1, vcc
	v_cmp_gt_u32_e32 vcc, s72, v2
	v_mov_b32_e32 v2, 0
	v_lshl_or_b32 v7, v4, 16, v3
	v_mov_b32_e32 v3, v2
	v_mov_b32_e32 v4, v2
	;; [unrolled: 1-line block ×4, first 2 shown]
	s_mov_b64 s[40:41], 0
	v_pk_mov_b32 v[14:15], s[12:13], s[12:13] op_sel:[0,1]
	v_pk_mov_b32 v[12:13], s[10:11], s[10:11] op_sel:[0,1]
	;; [unrolled: 1-line block ×3, first 2 shown]
                                        ; implicit-def: $sgpr8_sgpr9
                                        ; implicit-def: $vgpr59
	s_and_saveexec_b64 s[38:39], vcc
	s_cbranch_execz .LBB1637_119
; %bb.92:
	v_lshrrev_b32_e32 v3, 16, v38
	v_mov_b32_e32 v5, s74
	v_cmp_eq_u32_e32 vcc, v36, v37
	s_mov_b32 s8, 0
	v_cndmask_b32_e32 v3, v5, v3, vcc
	v_cmp_ne_u32_e32 vcc, v36, v37
	s_mov_b32 s14, s8
	s_mov_b32 s15, s8
	v_add_u32_e32 v4, 11, v60
	v_and_b32_e32 v3, 0xffff, v3
	v_cndmask_b32_e64 v5, 0, 1, vcc
	s_mov_b32 s9, s8
	s_mov_b32 s10, s8
	;; [unrolled: 1-line block ×5, first 2 shown]
	v_pk_mov_b32 v[16:17], s[14:15], s[14:15] op_sel:[0,1]
	v_lshl_or_b32 v6, v5, 16, v3
	v_cmp_gt_u32_e32 vcc, s72, v4
	v_mov_b32_e32 v3, v2
	v_mov_b32_e32 v4, v2
	;; [unrolled: 1-line block ×3, first 2 shown]
	s_mov_b64 s[42:43], 0
	v_pk_mov_b32 v[14:15], s[12:13], s[12:13] op_sel:[0,1]
	v_pk_mov_b32 v[12:13], s[10:11], s[10:11] op_sel:[0,1]
	;; [unrolled: 1-line block ×3, first 2 shown]
                                        ; implicit-def: $sgpr46_sgpr47
                                        ; implicit-def: $vgpr59
	s_and_saveexec_b64 s[40:41], vcc
	s_cbranch_execz .LBB1637_118
; %bb.93:
	v_mov_b32_e32 v3, s74
	v_cmp_eq_u32_e32 vcc, v37, v30
	v_add_u32_e32 v2, 12, v60
	v_cndmask_b32_e32 v3, v3, v39, vcc
	v_cmp_ne_u32_e32 vcc, v37, v30
	v_and_b32_e32 v3, 0xffff, v3
	v_cndmask_b32_e64 v4, 0, 1, vcc
	v_cmp_gt_u32_e32 vcc, s72, v2
	v_mov_b32_e32 v2, 0
	v_pk_mov_b32 v[16:17], s[14:15], s[14:15] op_sel:[0,1]
	v_lshl_or_b32 v5, v4, 16, v3
	v_mov_b32_e32 v3, v2
	v_mov_b32_e32 v4, v2
	s_mov_b64 s[44:45], 0
	v_pk_mov_b32 v[14:15], s[12:13], s[12:13] op_sel:[0,1]
	v_pk_mov_b32 v[12:13], s[10:11], s[10:11] op_sel:[0,1]
	v_pk_mov_b32 v[10:11], s[8:9], s[8:9] op_sel:[0,1]
                                        ; implicit-def: $sgpr8_sgpr9
                                        ; implicit-def: $vgpr59
	s_and_saveexec_b64 s[42:43], vcc
	s_cbranch_execz .LBB1637_117
; %bb.94:
	v_lshrrev_b32_e32 v3, 16, v39
	v_mov_b32_e32 v4, s74
	v_cmp_eq_u32_e32 vcc, v30, v31
	s_mov_b32 s8, 0
	v_add_u32_e32 v10, 13, v60
	v_cndmask_b32_e32 v3, v4, v3, vcc
	v_cmp_ne_u32_e32 vcc, v30, v31
	s_mov_b32 s14, s8
	s_mov_b32 s15, s8
	v_and_b32_e32 v3, 0xffff, v3
	v_cndmask_b32_e64 v4, 0, 1, vcc
	v_cmp_gt_u32_e32 vcc, s72, v10
	s_mov_b32 s9, s8
	s_mov_b32 s10, s8
	;; [unrolled: 1-line block ×5, first 2 shown]
	v_pk_mov_b32 v[16:17], s[14:15], s[14:15] op_sel:[0,1]
	v_lshl_or_b32 v4, v4, 16, v3
	v_mov_b32_e32 v3, v2
	s_mov_b64 s[46:47], 0
	v_pk_mov_b32 v[14:15], s[12:13], s[12:13] op_sel:[0,1]
	v_pk_mov_b32 v[12:13], s[10:11], s[10:11] op_sel:[0,1]
	;; [unrolled: 1-line block ×3, first 2 shown]
                                        ; implicit-def: $sgpr48_sgpr49
                                        ; implicit-def: $vgpr59
	s_and_saveexec_b64 s[44:45], vcc
	s_cbranch_execz .LBB1637_116
; %bb.95:
	v_mov_b32_e32 v3, s74
	v_cmp_eq_u32_e32 vcc, v31, v32
	v_cndmask_b32_e32 v3, v3, v40, vcc
	v_cmp_ne_u32_e32 vcc, v31, v32
	v_and_b32_e32 v3, 0xffff, v3
	v_cndmask_b32_e64 v10, 0, 1, vcc
	v_add_u32_e32 v2, 14, v60
	v_lshl_or_b32 v3, v10, 16, v3
	v_pk_mov_b32 v[16:17], s[14:15], s[14:15] op_sel:[0,1]
	v_cmp_gt_u32_e32 vcc, s72, v2
	v_mov_b32_e32 v2, s8
	v_pk_mov_b32 v[14:15], s[12:13], s[12:13] op_sel:[0,1]
	v_pk_mov_b32 v[12:13], s[10:11], s[10:11] op_sel:[0,1]
	v_pk_mov_b32 v[10:11], s[8:9], s[8:9] op_sel:[0,1]
                                        ; implicit-def: $sgpr10_sgpr11
                                        ; implicit-def: $vgpr59
	s_and_saveexec_b64 s[8:9], vcc
	s_cbranch_execz .LBB1637_115
; %bb.96:
	v_lshrrev_b32_e32 v2, 16, v40
	v_mov_b32_e32 v11, s74
	v_cmp_eq_u32_e32 vcc, v32, v33
	v_cndmask_b32_e32 v2, v11, v2, vcc
	v_cmp_ne_u32_e32 vcc, v32, v33
	s_mov_b32 s76, 0
	v_add_u32_e32 v10, 15, v60
	v_and_b32_e32 v2, 0xffff, v2
	v_cndmask_b32_e64 v11, 0, 1, vcc
	s_mov_b32 s77, s76
	v_lshl_or_b32 v2, v11, 16, v2
	v_cmp_gt_u32_e32 vcc, s72, v10
	s_mov_b32 s78, s76
	s_mov_b32 s79, s76
	;; [unrolled: 1-line block ×6, first 2 shown]
	v_pk_mov_b32 v[10:11], s[76:77], s[76:77] op_sel:[0,1]
	s_mov_b64 s[12:13], 0
	v_pk_mov_b32 v[12:13], s[78:79], s[78:79] op_sel:[0,1]
	v_pk_mov_b32 v[14:15], s[80:81], s[80:81] op_sel:[0,1]
	;; [unrolled: 1-line block ×3, first 2 shown]
                                        ; implicit-def: $sgpr46_sgpr47
                                        ; implicit-def: $vgpr59
	s_and_saveexec_b64 s[10:11], vcc
	s_cbranch_execz .LBB1637_114
; %bb.97:
	v_mov_b32_e32 v10, s74
	v_cmp_eq_u32_e32 vcc, v33, v26
	v_cndmask_b32_e32 v10, v10, v41, vcc
	v_cmp_ne_u32_e32 vcc, v33, v26
	v_and_b32_e32 v10, 0xffff, v10
	v_cndmask_b32_e64 v12, 0, 1, vcc
	v_add_u32_e32 v11, 16, v60
	v_lshl_or_b32 v10, v12, 16, v10
	v_mov_b32_e32 v12, 0
	v_cmp_gt_u32_e32 vcc, s72, v11
	v_mov_b32_e32 v11, v12
	v_mov_b32_e32 v13, v12
	;; [unrolled: 1-line block ×6, first 2 shown]
	s_mov_b64 s[14:15], 0
                                        ; implicit-def: $sgpr48_sgpr49
                                        ; implicit-def: $vgpr59
	s_and_saveexec_b64 s[12:13], vcc
	s_cbranch_execz .LBB1637_113
; %bb.98:
	v_lshrrev_b32_e32 v11, 16, v41
	v_mov_b32_e32 v14, s74
	v_cmp_eq_u32_e32 vcc, v26, v27
	v_cndmask_b32_e32 v11, v14, v11, vcc
	v_cmp_ne_u32_e32 vcc, v26, v27
	v_add_u32_e32 v13, 17, v60
	v_and_b32_e32 v11, 0xffff, v11
	v_cndmask_b32_e64 v14, 0, 1, vcc
	v_lshl_or_b32 v11, v14, 16, v11
	v_cmp_gt_u32_e32 vcc, s72, v13
	v_mov_b32_e32 v13, v12
	v_mov_b32_e32 v14, v12
	;; [unrolled: 1-line block ×5, first 2 shown]
	s_mov_b64 s[46:47], 0
                                        ; implicit-def: $sgpr50_sgpr51
                                        ; implicit-def: $vgpr59
	s_and_saveexec_b64 s[14:15], vcc
	s_cbranch_execz .LBB1637_112
; %bb.99:
	ds_read_b96 v[30:32], v42 offset:34
	v_mov_b32_e32 v12, s74
	v_cmp_eq_u32_e32 vcc, v27, v28
	v_add_u32_e32 v13, 18, v60
	s_mov_b64 s[48:49], 0
	s_waitcnt lgkmcnt(0)
	v_cndmask_b32_e32 v12, v12, v30, vcc
	v_cmp_ne_u32_e32 vcc, v27, v28
	v_and_b32_e32 v12, 0xffff, v12
	v_cndmask_b32_e64 v14, 0, 1, vcc
	v_lshl_or_b32 v12, v14, 16, v12
	v_mov_b32_e32 v14, 0
	v_cmp_gt_u32_e32 vcc, s72, v13
	v_mov_b32_e32 v13, v14
	v_mov_b32_e32 v15, v14
	;; [unrolled: 1-line block ×4, first 2 shown]
                                        ; implicit-def: $sgpr52_sgpr53
                                        ; implicit-def: $vgpr59
	s_and_saveexec_b64 s[46:47], vcc
	s_cbranch_execz .LBB1637_111
; %bb.100:
	v_lshrrev_b32_e32 v13, 16, v30
	v_mov_b32_e32 v16, s74
	v_cmp_eq_u32_e32 vcc, v28, v29
	v_cndmask_b32_e32 v13, v16, v13, vcc
	v_cmp_ne_u32_e32 vcc, v28, v29
	v_add_u32_e32 v15, 19, v60
	v_and_b32_e32 v13, 0xffff, v13
	v_cndmask_b32_e64 v16, 0, 1, vcc
	v_lshl_or_b32 v13, v16, 16, v13
	v_cmp_gt_u32_e32 vcc, s72, v15
	v_mov_b32_e32 v15, v14
	v_mov_b32_e32 v16, v14
	;; [unrolled: 1-line block ×3, first 2 shown]
	s_mov_b64 s[50:51], 0
                                        ; implicit-def: $sgpr60_sgpr61
                                        ; implicit-def: $vgpr59
	s_and_saveexec_b64 s[48:49], vcc
	s_cbranch_execz .LBB1637_110
; %bb.101:
	v_mov_b32_e32 v14, s74
	v_cmp_eq_u32_e32 vcc, v29, v22
	v_cndmask_b32_e32 v14, v14, v31, vcc
	v_cmp_ne_u32_e32 vcc, v29, v22
	v_and_b32_e32 v14, 0xffff, v14
	v_cndmask_b32_e64 v16, 0, 1, vcc
	v_add_u32_e32 v15, 20, v60
	v_lshl_or_b32 v14, v16, 16, v14
	v_mov_b32_e32 v16, 0
	v_cmp_gt_u32_e32 vcc, s72, v15
	v_mov_b32_e32 v15, v16
	v_mov_b32_e32 v17, v16
	s_mov_b64 s[52:53], 0
                                        ; implicit-def: $sgpr68_sgpr69
                                        ; implicit-def: $vgpr59
	s_and_saveexec_b64 s[50:51], vcc
	s_cbranch_execz .LBB1637_109
; %bb.102:
	v_lshrrev_b32_e32 v15, 16, v31
	v_mov_b32_e32 v26, s74
	v_cmp_eq_u32_e32 vcc, v22, v23
	v_cndmask_b32_e32 v15, v26, v15, vcc
	v_cmp_ne_u32_e32 vcc, v22, v23
	v_add_u32_e32 v17, 21, v60
	v_and_b32_e32 v15, 0xffff, v15
	v_cndmask_b32_e64 v22, 0, 1, vcc
	v_lshl_or_b32 v15, v22, 16, v15
	v_cmp_gt_u32_e32 vcc, s72, v17
	s_mov_b32 s5, 0
	v_mov_b32_e32 v17, v16
	s_mov_b64 s[60:61], 0
                                        ; implicit-def: $sgpr70_sgpr71
                                        ; implicit-def: $vgpr59
	s_and_saveexec_b64 s[52:53], vcc
	s_cbranch_execz .LBB1637_108
; %bb.103:
	v_mov_b32_e32 v16, s74
	v_cmp_eq_u32_e32 vcc, v23, v24
	v_cndmask_b32_e32 v16, v16, v32, vcc
	v_cmp_ne_u32_e32 vcc, v23, v24
	v_add_u32_e32 v17, 22, v60
	v_and_b32_e32 v16, 0xffff, v16
	v_cndmask_b32_e64 v22, 0, 1, vcc
	v_lshl_or_b32 v16, v22, 16, v16
	v_cmp_gt_u32_e32 vcc, s72, v17
	v_mov_b32_e32 v17, s5
	s_mov_b64 s[68:69], 0
                                        ; implicit-def: $sgpr70_sgpr71
                                        ; implicit-def: $vgpr59
	s_and_saveexec_b64 s[60:61], vcc
	s_cbranch_execz .LBB1637_107
; %bb.104:
	v_lshrrev_b32_e32 v17, 16, v32
	v_mov_b32_e32 v23, s74
	v_cmp_eq_u32_e32 vcc, v24, v25
	v_cndmask_b32_e32 v17, v23, v17, vcc
	v_cmp_ne_u32_e32 vcc, v24, v25
	v_add_u32_e32 v22, 23, v60
	v_and_b32_e32 v17, 0xffff, v17
	v_cndmask_b32_e64 v23, 0, 1, vcc
	v_lshl_or_b32 v17, v23, 16, v17
	v_cmp_gt_u32_e32 vcc, s72, v22
                                        ; implicit-def: $sgpr70_sgpr71
                                        ; implicit-def: $vgpr59
	s_and_saveexec_b64 s[72:73], vcc
	s_xor_b64 s[72:73], exec, s[72:73]
	s_cbranch_execz .LBB1637_106
; %bb.105:
	ds_read_u16 v22, v42 offset:46
	v_mov_b32_e32 v23, s74
	v_cmp_ne_u32_e32 vcc, v25, v58
	s_mov_b64 s[68:69], exec
	s_and_b64 s[70:71], vcc, exec
	s_waitcnt lgkmcnt(0)
	v_cndmask_b32_e32 v59, v22, v23, vcc
.LBB1637_106:
	s_or_b64 exec, exec, s[72:73]
	s_and_b64 s[70:71], s[70:71], exec
	s_and_b64 s[68:69], s[68:69], exec
.LBB1637_107:
	s_or_b64 exec, exec, s[60:61]
	s_and_b64 s[70:71], s[70:71], exec
	s_and_b64 s[60:61], s[68:69], exec
.LBB1637_108:
	s_or_b64 exec, exec, s[52:53]
	s_and_b64 s[68:69], s[70:71], exec
	s_and_b64 s[52:53], s[60:61], exec
.LBB1637_109:
	s_or_b64 exec, exec, s[50:51]
	s_and_b64 s[60:61], s[68:69], exec
	s_and_b64 s[50:51], s[52:53], exec
.LBB1637_110:
	s_or_b64 exec, exec, s[48:49]
	s_and_b64 s[52:53], s[60:61], exec
	s_and_b64 s[48:49], s[50:51], exec
.LBB1637_111:
	s_or_b64 exec, exec, s[46:47]
	s_and_b64 s[50:51], s[52:53], exec
	s_and_b64 s[46:47], s[48:49], exec
.LBB1637_112:
	s_or_b64 exec, exec, s[14:15]
	s_and_b64 s[48:49], s[50:51], exec
	s_and_b64 s[14:15], s[46:47], exec
.LBB1637_113:
	s_or_b64 exec, exec, s[12:13]
	s_and_b64 s[46:47], s[48:49], exec
	s_and_b64 s[12:13], s[14:15], exec
.LBB1637_114:
	s_or_b64 exec, exec, s[10:11]
	s_and_b64 s[10:11], s[46:47], exec
	s_and_b64 s[46:47], s[12:13], exec
.LBB1637_115:
	s_or_b64 exec, exec, s[8:9]
	s_and_b64 s[48:49], s[10:11], exec
	s_and_b64 s[46:47], s[46:47], exec
.LBB1637_116:
	s_or_b64 exec, exec, s[44:45]
	s_and_b64 s[8:9], s[48:49], exec
	s_and_b64 s[44:45], s[46:47], exec
.LBB1637_117:
	s_or_b64 exec, exec, s[42:43]
	s_and_b64 s[46:47], s[8:9], exec
	s_and_b64 s[42:43], s[44:45], exec
.LBB1637_118:
	s_or_b64 exec, exec, s[40:41]
	s_and_b64 s[8:9], s[46:47], exec
	s_and_b64 s[40:41], s[42:43], exec
.LBB1637_119:
	s_or_b64 exec, exec, s[38:39]
	s_and_b64 s[42:43], s[8:9], exec
	s_and_b64 s[38:39], s[40:41], exec
.LBB1637_120:
	s_or_b64 exec, exec, s[36:37]
	s_and_b64 s[8:9], s[42:43], exec
	s_and_b64 s[36:37], s[38:39], exec
.LBB1637_121:
	s_or_b64 exec, exec, s[34:35]
	s_and_b64 s[38:39], s[8:9], exec
	s_and_b64 s[34:35], s[36:37], exec
.LBB1637_122:
	s_or_b64 exec, exec, s[30:31]
	s_and_b64 s[8:9], s[38:39], exec
	s_and_b64 s[30:31], s[34:35], exec
.LBB1637_123:
	s_or_b64 exec, exec, s[28:29]
	s_and_b64 s[34:35], s[8:9], exec
	s_and_b64 s[28:29], s[30:31], exec
.LBB1637_124:
	s_or_b64 exec, exec, s[26:27]
	s_and_b64 s[8:9], s[34:35], exec
	s_and_b64 s[26:27], s[28:29], exec
.LBB1637_125:
	s_or_b64 exec, exec, s[24:25]
	s_and_b64 s[28:29], s[8:9], exec
	s_and_b64 s[24:25], s[26:27], exec
.LBB1637_126:
	s_or_b64 exec, exec, s[18:19]
	s_and_b64 s[8:9], s[28:29], exec
	s_and_b64 s[24:25], s[24:25], exec
.LBB1637_127:
	s_or_b64 exec, exec, s[16:17]
	s_and_b64 s[26:27], s[8:9], exec
	s_and_b64 s[24:25], s[24:25], exec
.LBB1637_128:
	s_or_b64 exec, exec, s[22:23]
	s_and_b64 s[8:9], s[26:27], exec
	s_and_b64 s[10:11], s[24:25], exec
.LBB1637_129:
	s_or_b64 exec, exec, s[6:7]
	s_and_b64 vcc, exec, s[20:21]
	s_cbranch_vccnz .LBB1637_131
	s_branch .LBB1637_136
.LBB1637_130:
	s_mov_b64 s[10:11], 0
                                        ; implicit-def: $sgpr8_sgpr9
                                        ; implicit-def: $vgpr18_vgpr19_vgpr20_vgpr21
                                        ; implicit-def: $vgpr2_vgpr3_vgpr4_vgpr5_vgpr6_vgpr7_vgpr8_vgpr9
                                        ; implicit-def: $vgpr10_vgpr11_vgpr12_vgpr13_vgpr14_vgpr15_vgpr16_vgpr17
                                        ; implicit-def: $vgpr59
                                        ; implicit-def: $vgpr1
                                        ; implicit-def: $vgpr54
                                        ; implicit-def: $vgpr55
                                        ; implicit-def: $sgpr4
	s_and_b64 vcc, exec, s[20:21]
	s_cbranch_vccz .LBB1637_136
.LBB1637_131:
	v_lshlrev_b32_e32 v1, 2, v0
	v_add_co_u32_e32 v2, vcc, v52, v1
	v_addc_co_u32_e32 v3, vcc, 0, v53, vcc
	s_movk_i32 s4, 0x1000
	flat_load_dword v4, v[2:3]
	flat_load_dword v5, v[2:3] offset:256
	flat_load_dword v6, v[2:3] offset:512
	;; [unrolled: 1-line block ×15, first 2 shown]
	v_add_co_u32_e32 v2, vcc, s4, v2
	v_addc_co_u32_e32 v3, vcc, 0, v3, vcc
	flat_load_dword v20, v[2:3]
	flat_load_dword v21, v[2:3] offset:256
	flat_load_dword v22, v[2:3] offset:512
	;; [unrolled: 1-line block ×7, first 2 shown]
	v_add_co_u32_e32 v2, vcc, 0x1000, v52
	v_addc_co_u32_e32 v3, vcc, 0, v53, vcc
	s_movk_i32 s4, 0x5c
	v_cmp_ne_u32_e32 vcc, 63, v0
	s_waitcnt vmcnt(0) lgkmcnt(0)
	ds_write2st64_b32 v1, v4, v5 offset1:1
	ds_write2st64_b32 v1, v6, v7 offset0:2 offset1:3
	ds_write2st64_b32 v1, v8, v9 offset0:4 offset1:5
	;; [unrolled: 1-line block ×11, first 2 shown]
	s_waitcnt lgkmcnt(0)
	; wave barrier
	s_waitcnt lgkmcnt(0)
	flat_load_dword v40, v[2:3] offset:2048
	v_mad_u32_u24 v6, v0, s4, v1
	s_movk_i32 s4, 0xffa4
	ds_read2_b32 v[22:23], v6 offset0:6 offset1:23
	ds_read_b64 v[18:19], v6
	ds_read2_b64 v[2:5], v6 offset0:1 offset1:2
	ds_read2_b32 v[32:33], v6 offset0:13 offset1:14
	ds_read2_b32 v[34:35], v6 offset0:11 offset1:12
	;; [unrolled: 1-line block ×8, first 2 shown]
	v_mad_i32_i24 v6, v0, s4, v6
	s_waitcnt lgkmcnt(0)
	ds_write_b32 v6, v18 offset:6400
	s_waitcnt lgkmcnt(0)
	; wave barrier
	s_waitcnt lgkmcnt(0)
	s_and_saveexec_b64 s[4:5], vcc
	s_cbranch_execz .LBB1637_133
; %bb.132:
	s_waitcnt vmcnt(0)
	ds_read_b32 v40, v1 offset:6404
.LBB1637_133:
	s_or_b64 exec, exec, s[4:5]
	v_lshlrev_b32_e32 v1, 1, v0
	v_add_co_u32_e32 v8, vcc, v56, v1
	v_addc_co_u32_e32 v9, vcc, 0, v57, vcc
	s_waitcnt lgkmcnt(0)
	; wave barrier
	s_waitcnt lgkmcnt(0)
	flat_load_ushort v7, v[8:9]
	flat_load_ushort v10, v[8:9] offset:128
	flat_load_ushort v11, v[8:9] offset:256
	;; [unrolled: 1-line block ×23, first 2 shown]
	v_sub_u32_e32 v1, v6, v1
	v_mad_u32_u24 v56, v0, 46, v1
	v_cmp_eq_u32_e32 vcc, v18, v19
	v_mov_b32_e32 v18, s74
	s_waitcnt vmcnt(0) lgkmcnt(0)
	ds_write_b16 v1, v7
	ds_write_b16 v1, v10 offset:128
	ds_write_b16 v1, v11 offset:256
	;; [unrolled: 1-line block ×23, first 2 shown]
	s_waitcnt lgkmcnt(0)
	; wave barrier
	s_waitcnt lgkmcnt(0)
	ds_read_b96 v[14:16], v56 offset:2
	ds_read_b128 v[6:9], v56 offset:14
	ds_read_b128 v[10:13], v56 offset:30
	ds_read_u16 v41, v56 offset:46
	v_mov_b32_e32 v17, 0x10000
	s_and_saveexec_b64 s[4:5], vcc
	s_cbranch_execz .LBB1637_135
; %bb.134:
	v_mul_u32_u24_e32 v17, 46, v0
	v_add_u32_e32 v1, v1, v17
	ds_read_u16 v18, v1
	v_mov_b32_e32 v17, 0
.LBB1637_135:
	s_or_b64 exec, exec, s[4:5]
	v_mov_b32_e32 v47, s74
	v_cmp_eq_u32_e32 vcc, v19, v2
	s_waitcnt lgkmcnt(3)
	v_lshrrev_b32_e32 v21, 16, v14
	v_cndmask_b32_e32 v14, v47, v14, vcc
	v_cmp_ne_u32_e32 vcc, v19, v2
	s_waitcnt lgkmcnt(0)
	v_or_b32_sdwa v1, v17, v18 dst_sel:DWORD dst_unused:UNUSED_PAD src0_sel:DWORD src1_sel:WORD_0
	v_and_b32_e32 v14, 0xffff, v14
	v_cndmask_b32_e64 v17, 0, 1, vcc
	v_cmp_eq_u32_e32 vcc, v2, v3
	v_lshrrev_b32_e32 v20, 16, v15
	v_lshl_or_b32 v54, v17, 16, v14
	v_cndmask_b32_e32 v14, v47, v21, vcc
	v_cmp_eq_u32_e32 vcc, v4, v5
	v_cndmask_b32_e32 v17, v47, v20, vcc
	v_cmp_eq_u32_e32 vcc, v3, v4
	;; [unrolled: 2-line block ×3, first 2 shown]
	v_lshrrev_b32_e32 v42, 16, v16
	v_cndmask_b32_e32 v16, v47, v16, vcc
	v_cmp_ne_u32_e32 vcc, v3, v4
	v_and_b32_e32 v15, 0xffff, v15
	v_cndmask_b32_e64 v18, 0, 1, vcc
	v_cmp_ne_u32_e32 vcc, v5, v22
	v_lshl_or_b32 v20, v18, 16, v15
	v_cndmask_b32_e64 v15, 0, 1, vcc
	v_cmp_ne_u32_e32 vcc, v2, v3
	v_and_b32_e32 v14, 0xffff, v14
	v_cndmask_b32_e64 v2, 0, 1, vcc
	v_cmp_ne_u32_e32 vcc, v4, v5
	v_and_b32_e32 v17, 0xffff, v17
	v_lshl_or_b32 v21, v2, 16, v14
	v_cndmask_b32_e64 v2, 0, 1, vcc
	v_cmp_eq_u32_e32 vcc, v22, v38
	v_lshl_or_b32 v19, v2, 16, v17
	v_cndmask_b32_e32 v2, v47, v42, vcc
	v_cmp_ne_u32_e32 vcc, v22, v38
	v_lshrrev_b32_e32 v46, 16, v6
	v_and_b32_e32 v2, 0xffff, v2
	v_cndmask_b32_e64 v3, 0, 1, vcc
	v_cmp_eq_u32_e32 vcc, v39, v36
	v_lshrrev_b32_e32 v45, 16, v7
	v_lshl_or_b32 v55, v3, 16, v2
	v_cndmask_b32_e32 v2, v47, v46, vcc
	v_cmp_eq_u32_e32 vcc, v37, v34
	v_lshrrev_b32_e32 v44, 16, v8
	v_cndmask_b32_e32 v3, v47, v45, vcc
	v_cmp_eq_u32_e32 vcc, v35, v32
	v_lshrrev_b32_e32 v43, 16, v9
	v_cndmask_b32_e32 v4, v47, v44, vcc
	v_cmp_eq_u32_e32 vcc, v33, v26
	v_cndmask_b32_e32 v5, v47, v43, vcc
	v_cmp_eq_u32_e32 vcc, v38, v39
	v_cndmask_b32_e32 v6, v47, v6, vcc
	v_cmp_eq_u32_e32 vcc, v36, v37
	v_cndmask_b32_e32 v7, v47, v7, vcc
	v_cmp_eq_u32_e32 vcc, v34, v35
	v_cndmask_b32_e32 v8, v47, v8, vcc
	v_cmp_eq_u32_e32 vcc, v32, v33
	v_cndmask_b32_e32 v9, v47, v9, vcc
	v_cmp_ne_u32_e32 vcc, v38, v39
	v_and_b32_e32 v16, 0xffff, v16
	v_and_b32_e32 v14, 0xffff, v5
	;; [unrolled: 1-line block ×4, first 2 shown]
	v_cndmask_b32_e64 v8, 0, 1, vcc
	v_cmp_ne_u32_e32 vcc, v36, v37
	v_lshl_or_b32 v18, v15, 16, v16
	v_and_b32_e32 v15, 0xffff, v3
	v_and_b32_e32 v3, 0xffff, v9
	;; [unrolled: 1-line block ×3, first 2 shown]
	v_lshl_or_b32 v9, v8, 16, v6
	v_cndmask_b32_e64 v6, 0, 1, vcc
	v_cmp_ne_u32_e32 vcc, v34, v35
	v_lshl_or_b32 v7, v6, 16, v7
	v_cndmask_b32_e64 v6, 0, 1, vcc
	v_cmp_ne_u32_e32 vcc, v32, v33
	;; [unrolled: 3-line block ×3, first 2 shown]
	v_and_b32_e32 v2, 0xffff, v2
	v_lshl_or_b32 v3, v6, 16, v3
	v_cndmask_b32_e64 v6, 0, 1, vcc
	v_cmp_ne_u32_e32 vcc, v37, v34
	v_lshl_or_b32 v8, v6, 16, v2
	v_cndmask_b32_e64 v2, 0, 1, vcc
	v_cmp_ne_u32_e32 vcc, v35, v32
	v_and_b32_e32 v4, 0xffff, v4
	v_lshl_or_b32 v6, v2, 16, v15
	v_cndmask_b32_e64 v2, 0, 1, vcc
	v_cmp_ne_u32_e32 vcc, v33, v26
	v_lshl_or_b32 v4, v2, 16, v4
	v_cndmask_b32_e64 v2, 0, 1, vcc
	v_lshl_or_b32 v2, v2, 16, v14
	v_lshrrev_b32_e32 v14, 16, v13
	v_cmp_eq_u32_e32 vcc, v31, v23
	v_cndmask_b32_e32 v14, v47, v14, vcc
	v_lshrrev_b32_e32 v15, 16, v12
	v_cmp_eq_u32_e32 vcc, v29, v30
	v_cndmask_b32_e32 v15, v47, v15, vcc
	;; [unrolled: 3-line block ×4, first 2 shown]
	v_cmp_eq_u32_e32 vcc, v30, v31
	v_cndmask_b32_e32 v13, v47, v13, vcc
	v_cmp_eq_u32_e32 vcc, v28, v29
	v_cndmask_b32_e32 v12, v47, v12, vcc
	;; [unrolled: 2-line block ×4, first 2 shown]
	v_cmp_ne_u32_e32 vcc, v30, v31
	v_and_b32_e32 v22, 0xffff, v17
	v_and_b32_e32 v17, 0xffff, v14
	;; [unrolled: 1-line block ×3, first 2 shown]
	v_cndmask_b32_e64 v14, 0, 1, vcc
	v_cmp_ne_u32_e32 vcc, v28, v29
	v_and_b32_e32 v32, 0xffff, v16
	v_and_b32_e32 v12, 0xffff, v12
	v_lshl_or_b32 v16, v14, 16, v13
	v_cndmask_b32_e64 v13, 0, 1, vcc
	v_cmp_ne_u32_e32 vcc, v24, v25
	v_and_b32_e32 v11, 0xffff, v11
	v_lshl_or_b32 v14, v13, 16, v12
	v_cndmask_b32_e64 v12, 0, 1, vcc
	v_cmp_ne_u32_e32 vcc, v26, v27
	v_and_b32_e32 v10, 0xffff, v10
	v_lshl_or_b32 v12, v12, 16, v11
	v_cndmask_b32_e64 v11, 0, 1, vcc
	v_cmp_ne_u32_e32 vcc, v31, v23
	v_lshl_or_b32 v10, v11, 16, v10
	v_cndmask_b32_e64 v11, 0, 1, vcc
	v_cmp_ne_u32_e32 vcc, v29, v30
	v_and_b32_e32 v15, 0xffff, v15
	v_lshl_or_b32 v17, v11, 16, v17
	v_cndmask_b32_e64 v11, 0, 1, vcc
	v_cmp_ne_u32_e32 vcc, v25, v28
	v_lshl_or_b32 v15, v11, 16, v15
	v_cndmask_b32_e64 v11, 0, 1, vcc
	v_cmp_ne_u32_e32 vcc, v27, v24
	v_lshl_or_b32 v13, v11, 16, v32
	v_cndmask_b32_e64 v11, 0, 1, vcc
	v_cmp_ne_u32_e64 s[8:9], v23, v40
	v_lshl_or_b32 v11, v11, 16, v22
	v_cndmask_b32_e64 v59, v41, v47, s[8:9]
	s_mov_b64 s[10:11], -1
                                        ; implicit-def: $sgpr4
.LBB1637_136:
	v_mov_b32_e32 v32, s4
	s_and_saveexec_b64 s[4:5], s[10:11]
; %bb.137:
	v_mov_b32_e32 v22, 0x10000
	v_cndmask_b32_e64 v22, 0, v22, s[8:9]
	v_or_b32_sdwa v32, v22, v59 dst_sel:DWORD dst_unused:UNUSED_PAD src0_sel:DWORD src1_sel:WORD_0
; %bb.138:
	s_or_b64 exec, exec, s[4:5]
	s_cmp_lg_u32 s59, 0
	v_mbcnt_lo_u32_b32 v33, -1, 0
	s_waitcnt lgkmcnt(0)
	; wave barrier
	s_waitcnt lgkmcnt(0)
	s_cbranch_scc0 .LBB1637_219
; %bb.139:
	s_mov_b32 s50, 0x10000
	v_cmp_gt_u32_e64 s[4:5], s50, v54
	v_cndmask_b32_e64 v22, 0, v1, s[4:5]
	v_add_u16_e32 v22, v22, v54
	v_cmp_gt_u32_e64 s[6:7], s50, v21
	v_cndmask_b32_e64 v22, 0, v22, s[6:7]
	v_add_u16_e32 v22, v22, v21
	;; [unrolled: 3-line block ×16, first 2 shown]
	v_cmp_gt_u32_e64 s[38:39], s50, v12
	v_cndmask_b32_e64 v22, 0, v22, s[38:39]
	v_or3_b32 v24, v32, v17, v16
	v_add_u16_e32 v22, v22, v12
	v_cmp_gt_u32_e64 s[40:41], s50, v13
	v_or3_b32 v24, v24, v15, v14
	v_cndmask_b32_e64 v22, 0, v22, s[40:41]
	v_or3_b32 v24, v24, v13, v12
	v_add_u16_e32 v22, v22, v13
	v_cmp_gt_u32_e64 s[42:43], s50, v14
	v_or3_b32 v24, v24, v11, v10
	v_cndmask_b32_e64 v22, 0, v22, s[42:43]
	v_or3_b32 v24, v24, v2, v3
	v_add_u16_e32 v22, v22, v14
	v_cmp_gt_u32_e64 s[44:45], s50, v15
	v_or3_b32 v24, v24, v4, v5
	v_cndmask_b32_e64 v22, 0, v22, s[44:45]
	v_or3_b32 v24, v24, v6, v7
	v_add_u16_e32 v22, v22, v15
	v_cmp_gt_u32_e64 s[46:47], s50, v16
	v_or3_b32 v24, v24, v8, v9
	v_cndmask_b32_e64 v22, 0, v22, s[46:47]
	v_or3_b32 v24, v24, v55, v18
	v_add_u16_e32 v22, v22, v16
	v_cmp_gt_u32_e64 s[48:49], s50, v17
	v_or3_b32 v24, v24, v19, v20
	v_cndmask_b32_e64 v22, 0, v22, s[48:49]
	v_or3_b32 v24, v24, v21, v54
	v_add_u16_e32 v22, v22, v17
	v_cmp_gt_u32_e32 vcc, s50, v32
	v_and_b32_e32 v24, 0x10000, v24
	v_and_b32_e32 v23, 0x10000, v1
	v_cndmask_b32_e32 v25, 0, v22, vcc
	v_mov_b32_e32 v26, 0x10000
	v_cmp_ne_u32_e32 vcc, 0, v24
	v_add_u16_e32 v22, v25, v32
	v_cndmask_b32_e32 v24, v23, v26, vcc
	v_add_u16_e32 v26, v25, v32
	v_mbcnt_hi_u32_b32 v25, -1, v33
	v_and_b32_e32 v27, 15, v25
	v_or_b32_e32 v26, v24, v26
	v_lshrrev_b32_e32 v23, 16, v24
	v_cmp_ne_u32_e32 vcc, 0, v27
	v_mov_b32_dpp v28, v26 row_shr:1 row_mask:0xf bank_mask:0xf
	s_and_saveexec_b64 s[50:51], vcc
	s_cbranch_execz .LBB1637_141
; %bb.140:
	v_cmp_eq_u32_e32 vcc, 0, v24
	v_and_b32_e32 v23, 0x10000, v24
	v_mov_b32_e32 v24, 1
	v_cndmask_b32_e32 v26, 0, v28, vcc
	v_and_b32_sdwa v24, v28, v24 dst_sel:DWORD dst_unused:UNUSED_PAD src0_sel:WORD_1 src1_sel:DWORD
	v_cmp_ne_u32_e32 vcc, 0, v23
	v_cndmask_b32_e64 v23, v24, 1, vcc
	v_add_u16_e32 v29, v26, v22
	v_lshlrev_b32_e32 v24, 16, v23
	v_add_u16_e32 v22, v26, v22
	v_or_b32_e32 v26, v24, v22
	v_mov_b32_e32 v22, v29
.LBB1637_141:
	s_or_b64 exec, exec, s[50:51]
	v_lshrrev_b32_e32 v24, 16, v26
	v_mov_b32_dpp v28, v26 row_shr:2 row_mask:0xf bank_mask:0xf
	v_cmp_lt_u32_e32 vcc, 1, v27
	s_and_saveexec_b64 s[50:51], vcc
	s_cbranch_execz .LBB1637_143
; %bb.142:
	s_mov_b32 s52, 0x10000
	v_cmp_gt_u32_e32 vcc, s52, v26
	v_and_b32_e32 v23, 0x10000, v26
	v_mov_b32_e32 v26, 1
	v_cndmask_b32_e32 v24, 0, v28, vcc
	v_and_b32_sdwa v26, v28, v26 dst_sel:DWORD dst_unused:UNUSED_PAD src0_sel:WORD_1 src1_sel:DWORD
	v_cmp_ne_u32_e32 vcc, 0, v23
	v_cndmask_b32_e64 v23, v26, 1, vcc
	v_add_u16_e32 v29, v24, v22
	v_lshlrev_b32_e32 v26, 16, v23
	v_add_u16_e32 v22, v24, v22
	v_or_b32_e32 v26, v26, v22
	v_mov_b32_e32 v22, v29
	v_mov_b32_e32 v24, v23
.LBB1637_143:
	s_or_b64 exec, exec, s[50:51]
	v_mov_b32_dpp v28, v26 row_shr:4 row_mask:0xf bank_mask:0xf
	v_cmp_lt_u32_e32 vcc, 3, v27
	s_and_saveexec_b64 s[50:51], vcc
	s_cbranch_execz .LBB1637_145
; %bb.144:
	v_cmp_eq_u16_e32 vcc, 0, v24
	v_and_b32_e32 v23, 1, v24
	v_mov_b32_e32 v24, 1
	v_cndmask_b32_e32 v26, 0, v28, vcc
	v_and_b32_sdwa v24, v28, v24 dst_sel:DWORD dst_unused:UNUSED_PAD src0_sel:WORD_1 src1_sel:DWORD
	v_cmp_eq_u32_e32 vcc, 1, v23
	v_cndmask_b32_e64 v23, v24, 1, vcc
	v_add_u16_e32 v29, v26, v22
	v_lshlrev_b32_e32 v24, 16, v23
	v_add_u16_e32 v22, v26, v22
	v_or_b32_e32 v26, v24, v22
	v_mov_b32_e32 v22, v29
	v_mov_b32_e32 v24, v23
.LBB1637_145:
	s_or_b64 exec, exec, s[50:51]
	v_mov_b32_dpp v28, v26 row_shr:8 row_mask:0xf bank_mask:0xf
	v_cmp_lt_u32_e32 vcc, 7, v27
	s_and_saveexec_b64 s[50:51], vcc
	s_cbranch_execz .LBB1637_147
; %bb.146:
	v_cmp_eq_u16_e32 vcc, 0, v24
	v_and_b32_e32 v23, 1, v24
	v_mov_b32_e32 v24, 1
	v_cndmask_b32_e32 v26, 0, v28, vcc
	v_and_b32_sdwa v24, v28, v24 dst_sel:DWORD dst_unused:UNUSED_PAD src0_sel:WORD_1 src1_sel:DWORD
	v_cmp_eq_u32_e32 vcc, 1, v23
	v_cndmask_b32_e64 v23, v24, 1, vcc
	v_add_u16_e32 v27, v26, v22
	v_lshlrev_b32_e32 v24, 16, v23
	v_add_u16_e32 v22, v26, v22
	v_or_b32_e32 v26, v24, v22
	v_mov_b32_e32 v22, v27
	v_mov_b32_e32 v24, v23
.LBB1637_147:
	s_or_b64 exec, exec, s[50:51]
	v_and_b32_e32 v28, 16, v25
	v_mov_b32_dpp v27, v26 row_bcast:15 row_mask:0xf bank_mask:0xf
	v_cmp_ne_u32_e32 vcc, 0, v28
	s_and_saveexec_b64 s[50:51], vcc
	s_cbranch_execz .LBB1637_149
; %bb.148:
	v_cmp_eq_u16_e32 vcc, 0, v24
	v_and_b32_e32 v23, 1, v24
	v_mov_b32_e32 v24, 1
	v_cndmask_b32_e32 v26, 0, v27, vcc
	v_and_b32_sdwa v24, v27, v24 dst_sel:DWORD dst_unused:UNUSED_PAD src0_sel:WORD_1 src1_sel:DWORD
	v_cmp_eq_u32_e32 vcc, 1, v23
	v_cndmask_b32_e64 v23, v24, 1, vcc
	v_add_u16_e32 v28, v26, v22
	v_lshlrev_b32_e32 v24, 16, v23
	v_add_u16_e32 v22, v26, v22
	v_or_b32_e32 v26, v24, v22
	v_mov_b32_e32 v22, v28
	v_mov_b32_e32 v24, v23
.LBB1637_149:
	s_or_b64 exec, exec, s[50:51]
	v_mov_b32_dpp v26, v26 row_bcast:31 row_mask:0xf bank_mask:0xf
	v_cmp_lt_u32_e32 vcc, 31, v25
	s_and_saveexec_b64 s[50:51], vcc
; %bb.150:
	v_cmp_eq_u16_e32 vcc, 0, v24
	v_cndmask_b32_e32 v23, 0, v26, vcc
	v_add_u16_e32 v22, v23, v22
	v_and_b32_e32 v23, 1, v24
	v_mov_b32_e32 v24, 1
	v_and_b32_sdwa v24, v26, v24 dst_sel:DWORD dst_unused:UNUSED_PAD src0_sel:WORD_1 src1_sel:DWORD
	v_cmp_eq_u32_e32 vcc, 1, v23
	v_cndmask_b32_e64 v23, v24, 1, vcc
	v_mov_b32_e32 v24, v23
; %bb.151:
	s_or_b64 exec, exec, s[50:51]
	v_cmp_eq_u32_e32 vcc, 63, v0
	s_and_saveexec_b64 s[50:51], vcc
	s_cbranch_execz .LBB1637_153
; %bb.152:
	v_mov_b32_e32 v26, 0
	ds_write_b16 v26, v22
	ds_write_b8 v26, v24 offset:2
.LBB1637_153:
	s_or_b64 exec, exec, s[50:51]
	v_lshlrev_b32_e32 v23, 16, v23
	v_or_b32_sdwa v22, v23, v22 dst_sel:DWORD dst_unused:UNUSED_PAD src0_sel:DWORD src1_sel:WORD_0
	v_add_u32_e32 v23, -1, v25
	v_and_b32_e32 v24, 64, v25
	v_cmp_lt_i32_e32 vcc, v23, v24
	v_cndmask_b32_e32 v23, v23, v25, vcc
	v_lshlrev_b32_e32 v23, 2, v23
	ds_bpermute_b32 v34, v23, v22
	v_cmp_gt_u32_e32 vcc, 64, v0
	s_waitcnt lgkmcnt(0)
	; wave barrier
	s_waitcnt lgkmcnt(0)
	s_and_saveexec_b64 s[52:53], vcc
	s_cbranch_execz .LBB1637_196
; %bb.154:
	v_mov_b32_e32 v29, 0
	ds_read_b32 v22, v29
	s_mov_b32 s69, 0
	v_cmp_eq_u32_e64 s[50:51], 0, v25
	s_and_saveexec_b64 s[60:61], s[50:51]
	s_cbranch_execz .LBB1637_156
; %bb.155:
	s_add_i32 s68, s59, 64
	s_lshl_b64 s[68:69], s[68:69], 3
	s_add_u32 s68, s56, s68
	v_mov_b32_e32 v23, 1
	s_addc_u32 s69, s57, s69
	s_waitcnt lgkmcnt(0)
	global_store_dwordx2 v29, v[22:23], s[68:69]
.LBB1637_156:
	s_or_b64 exec, exec, s[60:61]
	v_xad_u32 v24, v25, -1, s59
	v_add_u32_e32 v28, 64, v24
	v_lshlrev_b64 v[26:27], 3, v[28:29]
	v_mov_b32_e32 v23, s57
	v_add_co_u32_e32 v30, vcc, s56, v26
	v_addc_co_u32_e32 v31, vcc, v23, v27, vcc
	global_load_dwordx2 v[26:27], v[30:31], off glc
	s_waitcnt vmcnt(0)
	v_cmp_eq_u16_sdwa s[68:69], v27, v29 src0_sel:BYTE_0 src1_sel:DWORD
	s_and_saveexec_b64 s[60:61], s[68:69]
	s_cbranch_execz .LBB1637_160
; %bb.157:
	s_mov_b64 s[68:69], 0
	v_mov_b32_e32 v23, 0
.LBB1637_158:                           ; =>This Inner Loop Header: Depth=1
	global_load_dwordx2 v[26:27], v[30:31], off glc
	s_waitcnt vmcnt(0)
	v_cmp_ne_u16_sdwa s[70:71], v27, v23 src0_sel:BYTE_0 src1_sel:DWORD
	s_or_b64 s[68:69], s[70:71], s[68:69]
	s_andn2_b64 exec, exec, s[68:69]
	s_cbranch_execnz .LBB1637_158
; %bb.159:
	s_or_b64 exec, exec, s[68:69]
.LBB1637_160:
	s_or_b64 exec, exec, s[60:61]
	v_mov_b32_e32 v23, 2
	v_cmp_eq_u16_sdwa s[60:61], v27, v23 src0_sel:BYTE_0 src1_sel:DWORD
	v_lshlrev_b64 v[28:29], v25, -1
	v_and_b32_e32 v23, s61, v29
	v_or_b32_e32 v23, 0x80000000, v23
	v_ffbl_b32_e32 v23, v23
	v_add_u32_e32 v31, 32, v23
	v_and_b32_e32 v23, 63, v25
	v_cmp_ne_u32_e32 vcc, 63, v23
	v_addc_co_u32_e32 v35, vcc, 0, v25, vcc
	v_and_b32_e32 v46, 0xffffff, v26
	v_lshlrev_b32_e32 v35, 2, v35
	ds_bpermute_b32 v36, v35, v46
	v_and_b32_e32 v30, s60, v28
	v_ffbl_b32_e32 v30, v30
	v_min_u32_e32 v31, v30, v31
	v_lshrrev_b32_e32 v30, 16, v26
	v_cmp_lt_u32_e32 vcc, v23, v31
	v_bfe_u32 v44, v26, 16, 8
	s_and_saveexec_b64 s[60:61], vcc
	s_cbranch_execz .LBB1637_162
; %bb.161:
	v_and_b32_e32 v30, 0xff0000, v26
	v_cmp_eq_u32_e32 vcc, 0, v30
	v_and_b32_e32 v30, 0x10000, v30
	v_mov_b32_e32 v39, 1
	s_waitcnt lgkmcnt(0)
	v_cndmask_b32_e32 v37, 0, v36, vcc
	v_and_b32_sdwa v36, v36, v39 dst_sel:DWORD dst_unused:UNUSED_PAD src0_sel:WORD_1 src1_sel:DWORD
	v_cmp_ne_u32_e32 vcc, 0, v30
	v_cndmask_b32_e64 v30, v36, 1, vcc
	v_add_u16_e32 v38, v37, v26
	v_lshlrev_b32_e32 v36, 16, v30
	v_add_u16_e32 v26, v37, v26
	v_or_b32_e32 v46, v36, v26
	v_mov_b32_e32 v26, v38
	v_mov_b32_e32 v44, v30
.LBB1637_162:
	s_or_b64 exec, exec, s[60:61]
	v_cmp_gt_u32_e32 vcc, 62, v23
	s_waitcnt lgkmcnt(0)
	v_cndmask_b32_e64 v36, 0, 1, vcc
	v_lshlrev_b32_e32 v36, 1, v36
	v_add_lshl_u32 v36, v36, v25, 2
	ds_bpermute_b32 v38, v36, v46
	v_add_u32_e32 v37, 2, v23
	v_cmp_le_u32_e32 vcc, v37, v31
	s_and_saveexec_b64 s[60:61], vcc
	s_cbranch_execz .LBB1637_164
; %bb.163:
	v_cmp_eq_u16_e32 vcc, 0, v44
	v_and_b32_e32 v30, 1, v44
	v_mov_b32_e32 v41, 1
	s_waitcnt lgkmcnt(0)
	v_cndmask_b32_e32 v39, 0, v38, vcc
	v_and_b32_sdwa v38, v38, v41 dst_sel:DWORD dst_unused:UNUSED_PAD src0_sel:WORD_1 src1_sel:DWORD
	v_cmp_eq_u32_e32 vcc, 1, v30
	v_cndmask_b32_e64 v30, v38, 1, vcc
	v_add_u16_e32 v40, v39, v26
	v_lshlrev_b32_e32 v38, 16, v30
	v_add_u16_e32 v26, v39, v26
	v_or_b32_e32 v46, v38, v26
	v_mov_b32_e32 v26, v40
	v_mov_b32_e32 v44, v30
.LBB1637_164:
	s_or_b64 exec, exec, s[60:61]
	v_cmp_gt_u32_e32 vcc, 60, v23
	s_waitcnt lgkmcnt(0)
	v_cndmask_b32_e64 v38, 0, 1, vcc
	v_lshlrev_b32_e32 v38, 2, v38
	v_add_lshl_u32 v38, v38, v25, 2
	ds_bpermute_b32 v40, v38, v46
	v_add_u32_e32 v39, 4, v23
	v_cmp_le_u32_e32 vcc, v39, v31
	s_and_saveexec_b64 s[60:61], vcc
	s_cbranch_execz .LBB1637_166
; %bb.165:
	v_cmp_eq_u16_e32 vcc, 0, v44
	v_and_b32_e32 v30, 1, v44
	v_mov_b32_e32 v43, 1
	s_waitcnt lgkmcnt(0)
	v_cndmask_b32_e32 v41, 0, v40, vcc
	v_and_b32_sdwa v40, v40, v43 dst_sel:DWORD dst_unused:UNUSED_PAD src0_sel:WORD_1 src1_sel:DWORD
	v_cmp_eq_u32_e32 vcc, 1, v30
	v_cndmask_b32_e64 v30, v40, 1, vcc
	v_add_u16_e32 v42, v41, v26
	v_lshlrev_b32_e32 v40, 16, v30
	v_add_u16_e32 v26, v41, v26
	v_or_b32_e32 v46, v40, v26
	v_mov_b32_e32 v26, v42
	v_mov_b32_e32 v44, v30
.LBB1637_166:
	;; [unrolled: 27-line block ×4, first 2 shown]
	s_or_b64 exec, exec, s[60:61]
	v_cmp_gt_u32_e32 vcc, 32, v23
	s_waitcnt lgkmcnt(0)
	v_cndmask_b32_e64 v45, 0, 1, vcc
	v_lshlrev_b32_e32 v45, 5, v45
	v_add_lshl_u32 v45, v45, v25, 2
	ds_bpermute_b32 v25, v45, v46
	v_add_u32_e32 v46, 32, v23
	v_cmp_le_u32_e32 vcc, v46, v31
	s_and_saveexec_b64 s[60:61], vcc
	s_cbranch_execz .LBB1637_172
; %bb.171:
	v_cmp_eq_u16_e32 vcc, 0, v44
	s_waitcnt lgkmcnt(0)
	v_cndmask_b32_e32 v30, 0, v25, vcc
	v_add_u16_e32 v26, v30, v26
	v_and_b32_e32 v30, 1, v44
	v_mov_b32_e32 v31, 1
	v_and_b32_sdwa v25, v25, v31 dst_sel:DWORD dst_unused:UNUSED_PAD src0_sel:WORD_1 src1_sel:DWORD
	v_cmp_eq_u32_e32 vcc, 1, v30
	v_cndmask_b32_e64 v30, v25, 1, vcc
.LBB1637_172:
	s_or_b64 exec, exec, s[60:61]
	s_waitcnt lgkmcnt(0)
	v_mov_b32_e32 v25, 0
	v_mov_b32_e32 v48, 2
	;; [unrolled: 1-line block ×3, first 2 shown]
	s_branch .LBB1637_174
.LBB1637_173:                           ;   in Loop: Header=BB1637_174 Depth=1
	s_or_b64 exec, exec, s[60:61]
	v_cmp_eq_u16_sdwa vcc, v44, v25 src0_sel:BYTE_0 src1_sel:DWORD
	v_and_b32_e32 v30, 1, v44
	v_cndmask_b32_e32 v26, 0, v26, vcc
	v_and_b32_e32 v31, 1, v31
	v_cmp_eq_u32_e32 vcc, 1, v30
	v_subrev_u32_e32 v24, 64, v24
	v_add_u16_e32 v26, v26, v47
	v_cndmask_b32_e64 v30, v31, 1, vcc
.LBB1637_174:                           ; =>This Loop Header: Depth=1
                                        ;     Child Loop BB1637_177 Depth 2
	v_cmp_ne_u16_sdwa s[60:61], v27, v48 src0_sel:BYTE_0 src1_sel:DWORD
	v_cndmask_b32_e64 v27, 0, 1, s[60:61]
	;;#ASMSTART
	;;#ASMEND
	v_cmp_ne_u32_e32 vcc, 0, v27
	v_mov_b32_e32 v44, v30
	s_cmp_lg_u64 vcc, exec
	v_mov_b32_e32 v47, v26
	s_cbranch_scc1 .LBB1637_191
; %bb.175:                              ;   in Loop: Header=BB1637_174 Depth=1
	v_lshlrev_b64 v[26:27], 3, v[24:25]
	v_mov_b32_e32 v31, s57
	v_add_co_u32_e32 v30, vcc, s56, v26
	v_addc_co_u32_e32 v31, vcc, v31, v27, vcc
	global_load_dwordx2 v[26:27], v[30:31], off glc
	s_waitcnt vmcnt(0)
	v_cmp_eq_u16_sdwa s[68:69], v27, v25 src0_sel:BYTE_0 src1_sel:DWORD
	s_and_saveexec_b64 s[60:61], s[68:69]
	s_cbranch_execz .LBB1637_179
; %bb.176:                              ;   in Loop: Header=BB1637_174 Depth=1
	s_mov_b64 s[68:69], 0
.LBB1637_177:                           ;   Parent Loop BB1637_174 Depth=1
                                        ; =>  This Inner Loop Header: Depth=2
	global_load_dwordx2 v[26:27], v[30:31], off glc
	s_waitcnt vmcnt(0)
	v_cmp_ne_u16_sdwa s[70:71], v27, v25 src0_sel:BYTE_0 src1_sel:DWORD
	s_or_b64 s[68:69], s[70:71], s[68:69]
	s_andn2_b64 exec, exec, s[68:69]
	s_cbranch_execnz .LBB1637_177
; %bb.178:                              ;   in Loop: Header=BB1637_174 Depth=1
	s_or_b64 exec, exec, s[68:69]
.LBB1637_179:                           ;   in Loop: Header=BB1637_174 Depth=1
	s_or_b64 exec, exec, s[60:61]
	v_cmp_eq_u16_sdwa s[60:61], v27, v48 src0_sel:BYTE_0 src1_sel:DWORD
	v_and_b32_e32 v30, s61, v29
	s_waitcnt lgkmcnt(0)
	v_and_b32_e32 v53, 0xffffff, v26
	v_or_b32_e32 v30, 0x80000000, v30
	ds_bpermute_b32 v56, v35, v53
	v_and_b32_e32 v31, s60, v28
	v_ffbl_b32_e32 v30, v30
	v_add_u32_e32 v30, 32, v30
	v_ffbl_b32_e32 v31, v31
	v_min_u32_e32 v30, v31, v30
	v_lshrrev_b32_e32 v31, 16, v26
	v_cmp_lt_u32_e32 vcc, v23, v30
	v_bfe_u32 v52, v26, 16, 8
	s_and_saveexec_b64 s[60:61], vcc
	s_cbranch_execz .LBB1637_181
; %bb.180:                              ;   in Loop: Header=BB1637_174 Depth=1
	v_and_b32_e32 v31, 0xff0000, v26
	v_cmp_eq_u32_e32 vcc, 0, v31
	v_and_b32_e32 v31, 0x10000, v31
	s_waitcnt lgkmcnt(0)
	v_cndmask_b32_e32 v52, 0, v56, vcc
	v_and_b32_sdwa v53, v56, v49 dst_sel:DWORD dst_unused:UNUSED_PAD src0_sel:WORD_1 src1_sel:DWORD
	v_cmp_ne_u32_e32 vcc, 0, v31
	v_cndmask_b32_e64 v31, v53, 1, vcc
	v_add_u16_e32 v57, v52, v26
	v_lshlrev_b32_e32 v53, 16, v31
	v_add_u16_e32 v26, v52, v26
	v_or_b32_e32 v53, v53, v26
	v_mov_b32_e32 v26, v57
	v_mov_b32_e32 v52, v31
.LBB1637_181:                           ;   in Loop: Header=BB1637_174 Depth=1
	s_or_b64 exec, exec, s[60:61]
	s_waitcnt lgkmcnt(0)
	ds_bpermute_b32 v56, v36, v53
	v_cmp_le_u32_e32 vcc, v37, v30
	s_and_saveexec_b64 s[60:61], vcc
	s_cbranch_execz .LBB1637_183
; %bb.182:                              ;   in Loop: Header=BB1637_174 Depth=1
	v_cmp_eq_u16_e32 vcc, 0, v52
	v_and_b32_e32 v31, 1, v52
	s_waitcnt lgkmcnt(0)
	v_cndmask_b32_e32 v53, 0, v56, vcc
	v_and_b32_sdwa v52, v56, v49 dst_sel:DWORD dst_unused:UNUSED_PAD src0_sel:WORD_1 src1_sel:DWORD
	v_cmp_eq_u32_e32 vcc, 1, v31
	v_cndmask_b32_e64 v31, v52, 1, vcc
	v_add_u16_e32 v57, v53, v26
	v_lshlrev_b32_e32 v52, 16, v31
	v_add_u16_e32 v26, v53, v26
	v_or_b32_e32 v53, v52, v26
	v_mov_b32_e32 v26, v57
	v_mov_b32_e32 v52, v31
.LBB1637_183:                           ;   in Loop: Header=BB1637_174 Depth=1
	s_or_b64 exec, exec, s[60:61]
	s_waitcnt lgkmcnt(0)
	ds_bpermute_b32 v56, v38, v53
	v_cmp_le_u32_e32 vcc, v39, v30
	s_and_saveexec_b64 s[60:61], vcc
	s_cbranch_execz .LBB1637_185
; %bb.184:                              ;   in Loop: Header=BB1637_174 Depth=1
	v_cmp_eq_u16_e32 vcc, 0, v52
	v_and_b32_e32 v31, 1, v52
	s_waitcnt lgkmcnt(0)
	v_cndmask_b32_e32 v53, 0, v56, vcc
	v_and_b32_sdwa v52, v56, v49 dst_sel:DWORD dst_unused:UNUSED_PAD src0_sel:WORD_1 src1_sel:DWORD
	v_cmp_eq_u32_e32 vcc, 1, v31
	v_cndmask_b32_e64 v31, v52, 1, vcc
	v_add_u16_e32 v57, v53, v26
	v_lshlrev_b32_e32 v52, 16, v31
	v_add_u16_e32 v26, v53, v26
	v_or_b32_e32 v53, v52, v26
	v_mov_b32_e32 v26, v57
	v_mov_b32_e32 v52, v31
.LBB1637_185:                           ;   in Loop: Header=BB1637_174 Depth=1
	;; [unrolled: 21-line block ×4, first 2 shown]
	s_or_b64 exec, exec, s[60:61]
	ds_bpermute_b32 v53, v45, v53
	v_cmp_le_u32_e32 vcc, v46, v30
	s_and_saveexec_b64 s[60:61], vcc
	s_cbranch_execz .LBB1637_173
; %bb.190:                              ;   in Loop: Header=BB1637_174 Depth=1
	v_cmp_eq_u16_e32 vcc, 0, v52
	s_waitcnt lgkmcnt(0)
	v_cndmask_b32_e32 v30, 0, v53, vcc
	v_add_u16_e32 v26, v30, v26
	v_and_b32_e32 v30, 1, v52
	v_lshrrev_b32_e32 v31, 16, v53
	v_cmp_eq_u32_e32 vcc, 1, v30
	v_cndmask_b32_e64 v31, v31, 1, vcc
	s_branch .LBB1637_173
.LBB1637_191:                           ;   in Loop: Header=BB1637_174 Depth=1
                                        ; implicit-def: $vgpr30
                                        ; implicit-def: $vgpr26
	s_cbranch_execz .LBB1637_174
; %bb.192:
	s_and_saveexec_b64 s[60:61], s[50:51]
	s_cbranch_execz .LBB1637_194
; %bb.193:
	v_and_b32_e32 v23, 0xff0000, v22
	s_mov_b32 s51, 0
	v_cmp_eq_u32_e32 vcc, 0, v23
	v_and_b32_e32 v24, 0x10000, v22
	v_mov_b32_e32 v25, 1
	s_add_i32 s50, s59, 64
	v_cndmask_b32_e32 v23, 0, v47, vcc
	v_and_b32_sdwa v25, v44, v25 dst_sel:WORD_1 dst_unused:UNUSED_PAD src0_sel:DWORD src1_sel:DWORD
	v_mov_b32_e32 v26, 0x10000
	v_cmp_eq_u32_e32 vcc, 0, v24
	s_lshl_b64 s[50:51], s[50:51], 3
	v_cndmask_b32_e32 v24, v26, v25, vcc
	s_add_u32 s50, s56, s50
	v_add_u16_e32 v22, v23, v22
	s_addc_u32 s51, s57, s51
	v_mov_b32_e32 v25, 0
	v_or_b32_e32 v22, v24, v22
	v_mov_b32_e32 v23, 2
	global_store_dwordx2 v25, v[22:23], s[50:51]
.LBB1637_194:
	s_or_b64 exec, exec, s[60:61]
	s_and_b64 exec, exec, s[0:1]
	s_cbranch_execz .LBB1637_196
; %bb.195:
	v_mov_b32_e32 v22, 0
	ds_write_b16 v22, v47
	ds_write_b8 v22, v44 offset:2
.LBB1637_196:
	s_or_b64 exec, exec, s[52:53]
	v_mov_b32_e32 v22, 0
	s_waitcnt lgkmcnt(0)
	; wave barrier
	s_waitcnt lgkmcnt(0)
	ds_read_b32 v22, v22
	v_and_b32_e32 v23, 0xff0000, v34
	v_cmp_eq_u32_e32 vcc, 0, v23
	s_waitcnt lgkmcnt(0)
	v_cndmask_b32_e32 v23, 0, v22, vcc
	v_add_u32_e32 v23, v23, v34
	v_cndmask_b32_e64 v39, v23, v22, s[0:1]
	v_and_b32_e32 v22, 0xff0000, v1
	v_cmp_eq_u32_e32 vcc, 0, v22
	v_cndmask_b32_e32 v22, 0, v39, vcc
	v_add_u16_e32 v22, v22, v1
	v_cndmask_b32_e64 v23, 0, v22, s[4:5]
	v_add_u16_e32 v23, v23, v54
	v_cndmask_b32_e64 v24, 0, v23, s[6:7]
	;; [unrolled: 2-line block ×22, first 2 shown]
	v_add_u16_e32 v47, v47, v17
	s_branch .LBB1637_239
.LBB1637_197:
	s_or_b64 exec, exec, s[52:53]
                                        ; implicit-def: $vgpr3
	s_and_saveexec_b64 s[52:53], s[4:5]
	s_cbranch_execz .LBB1637_57
.LBB1637_198:
	v_lshlrev_b32_e32 v3, 1, v0
	v_add_co_u32_e32 v4, vcc, v56, v3
	v_addc_co_u32_e32 v5, vcc, 0, v57, vcc
	flat_load_ushort v3, v[4:5] offset:128
	s_or_b64 exec, exec, s[52:53]
                                        ; implicit-def: $vgpr4
	s_and_saveexec_b64 s[4:5], s[6:7]
	s_cbranch_execnz .LBB1637_58
.LBB1637_199:
	s_or_b64 exec, exec, s[4:5]
                                        ; implicit-def: $vgpr5
	s_and_saveexec_b64 s[4:5], s[8:9]
	s_cbranch_execz .LBB1637_59
.LBB1637_200:
	v_lshlrev_b32_e32 v5, 1, v0
	v_add_co_u32_e32 v6, vcc, v56, v5
	v_addc_co_u32_e32 v7, vcc, 0, v57, vcc
	flat_load_ushort v5, v[6:7] offset:384
	s_or_b64 exec, exec, s[4:5]
                                        ; implicit-def: $vgpr6
	s_and_saveexec_b64 s[4:5], s[10:11]
	s_cbranch_execnz .LBB1637_60
.LBB1637_201:
	s_or_b64 exec, exec, s[4:5]
                                        ; implicit-def: $vgpr7
	s_and_saveexec_b64 s[4:5], s[12:13]
	s_cbranch_execz .LBB1637_61
.LBB1637_202:
	v_lshlrev_b32_e32 v7, 1, v0
	v_add_co_u32_e32 v8, vcc, v56, v7
	v_addc_co_u32_e32 v9, vcc, 0, v57, vcc
	flat_load_ushort v7, v[8:9] offset:640
	s_or_b64 exec, exec, s[4:5]
                                        ; implicit-def: $vgpr8
	s_and_saveexec_b64 s[4:5], s[14:15]
	s_cbranch_execnz .LBB1637_62
.LBB1637_203:
	s_or_b64 exec, exec, s[4:5]
                                        ; implicit-def: $vgpr9
	s_and_saveexec_b64 s[4:5], s[16:17]
	s_cbranch_execz .LBB1637_63
.LBB1637_204:
	v_lshlrev_b32_e32 v9, 1, v0
	v_add_co_u32_e32 v10, vcc, v56, v9
	v_addc_co_u32_e32 v11, vcc, 0, v57, vcc
	flat_load_ushort v9, v[10:11] offset:896
	s_or_b64 exec, exec, s[4:5]
                                        ; implicit-def: $vgpr10
	s_and_saveexec_b64 s[4:5], s[18:19]
	s_cbranch_execnz .LBB1637_64
.LBB1637_205:
	s_or_b64 exec, exec, s[4:5]
                                        ; implicit-def: $vgpr11
	s_and_saveexec_b64 s[4:5], s[20:21]
	s_cbranch_execz .LBB1637_65
.LBB1637_206:
	v_lshlrev_b32_e32 v11, 1, v0
	v_add_co_u32_e32 v12, vcc, v56, v11
	v_addc_co_u32_e32 v13, vcc, 0, v57, vcc
	flat_load_ushort v11, v[12:13] offset:1152
	s_or_b64 exec, exec, s[4:5]
                                        ; implicit-def: $vgpr12
	s_and_saveexec_b64 s[4:5], s[22:23]
	s_cbranch_execnz .LBB1637_66
.LBB1637_207:
	s_or_b64 exec, exec, s[4:5]
                                        ; implicit-def: $vgpr13
	s_and_saveexec_b64 s[4:5], s[24:25]
	s_cbranch_execz .LBB1637_67
.LBB1637_208:
	v_lshlrev_b32_e32 v13, 1, v0
	v_add_co_u32_e32 v14, vcc, v56, v13
	v_addc_co_u32_e32 v15, vcc, 0, v57, vcc
	flat_load_ushort v13, v[14:15] offset:1408
	s_or_b64 exec, exec, s[4:5]
                                        ; implicit-def: $vgpr14
	s_and_saveexec_b64 s[4:5], s[26:27]
	s_cbranch_execnz .LBB1637_68
.LBB1637_209:
	s_or_b64 exec, exec, s[4:5]
                                        ; implicit-def: $vgpr15
	s_and_saveexec_b64 s[4:5], s[28:29]
	s_cbranch_execz .LBB1637_69
.LBB1637_210:
	v_lshlrev_b32_e32 v15, 1, v0
	v_add_co_u32_e32 v16, vcc, v56, v15
	v_addc_co_u32_e32 v17, vcc, 0, v57, vcc
	flat_load_ushort v15, v[16:17] offset:1664
	s_or_b64 exec, exec, s[4:5]
                                        ; implicit-def: $vgpr16
	s_and_saveexec_b64 s[4:5], s[30:31]
	s_cbranch_execnz .LBB1637_70
.LBB1637_211:
	s_or_b64 exec, exec, s[4:5]
                                        ; implicit-def: $vgpr17
	s_and_saveexec_b64 s[4:5], s[34:35]
	s_cbranch_execz .LBB1637_71
.LBB1637_212:
	v_lshlrev_b32_e32 v17, 1, v0
	v_add_co_u32_e32 v18, vcc, v56, v17
	v_addc_co_u32_e32 v19, vcc, 0, v57, vcc
	flat_load_ushort v17, v[18:19] offset:1920
	s_or_b64 exec, exec, s[4:5]
                                        ; implicit-def: $vgpr18
	s_and_saveexec_b64 s[4:5], s[36:37]
	s_cbranch_execnz .LBB1637_72
.LBB1637_213:
	s_or_b64 exec, exec, s[4:5]
                                        ; implicit-def: $vgpr19
	s_and_saveexec_b64 s[4:5], s[38:39]
	s_cbranch_execz .LBB1637_73
.LBB1637_214:
	v_lshlrev_b32_e32 v19, 1, v0
	v_add_co_u32_e32 v20, vcc, v56, v19
	v_addc_co_u32_e32 v21, vcc, 0, v57, vcc
	flat_load_ushort v19, v[20:21] offset:2176
	s_or_b64 exec, exec, s[4:5]
                                        ; implicit-def: $vgpr20
	s_and_saveexec_b64 s[4:5], s[40:41]
	s_cbranch_execnz .LBB1637_74
.LBB1637_215:
	s_or_b64 exec, exec, s[4:5]
                                        ; implicit-def: $vgpr21
	s_and_saveexec_b64 s[4:5], s[42:43]
	s_cbranch_execz .LBB1637_75
.LBB1637_216:
	v_lshlrev_b32_e32 v21, 1, v0
	v_add_co_u32_e32 v46, vcc, v56, v21
	v_addc_co_u32_e32 v47, vcc, 0, v57, vcc
	flat_load_ushort v21, v[46:47] offset:2432
	s_or_b64 exec, exec, s[4:5]
                                        ; implicit-def: $vgpr47
	s_and_saveexec_b64 s[4:5], s[44:45]
	s_cbranch_execnz .LBB1637_76
.LBB1637_217:
	s_or_b64 exec, exec, s[4:5]
                                        ; implicit-def: $vgpr48
	s_and_saveexec_b64 s[4:5], s[46:47]
	s_cbranch_execz .LBB1637_77
.LBB1637_218:
	v_lshlrev_b32_e32 v46, 1, v0
	v_add_co_u32_e32 v48, vcc, v56, v46
	v_addc_co_u32_e32 v49, vcc, 0, v57, vcc
	flat_load_ushort v48, v[48:49] offset:2688
	s_or_b64 exec, exec, s[4:5]
                                        ; implicit-def: $vgpr49
	s_and_saveexec_b64 s[4:5], s[48:49]
	s_cbranch_execz .LBB1637_79
	s_branch .LBB1637_78
.LBB1637_219:
                                        ; implicit-def: $vgpr39
                                        ; implicit-def: $vgpr22
                                        ; implicit-def: $vgpr23
                                        ; implicit-def: $vgpr24
                                        ; implicit-def: $vgpr25
                                        ; implicit-def: $vgpr26
                                        ; implicit-def: $vgpr28
                                        ; implicit-def: $vgpr30
                                        ; implicit-def: $vgpr27
                                        ; implicit-def: $vgpr29
                                        ; implicit-def: $vgpr31
                                        ; implicit-def: $vgpr34
                                        ; implicit-def: $vgpr35
                                        ; implicit-def: $vgpr36
                                        ; implicit-def: $vgpr38
                                        ; implicit-def: $vgpr41
                                        ; implicit-def: $vgpr37
                                        ; implicit-def: $vgpr40
                                        ; implicit-def: $vgpr42
                                        ; implicit-def: $vgpr43
                                        ; implicit-def: $vgpr44
                                        ; implicit-def: $vgpr45
                                        ; implicit-def: $vgpr46
                                        ; implicit-def: $vgpr47
	s_cbranch_execz .LBB1637_239
; %bb.220:
	s_cmp_lg_u64 s[66:67], 0
	s_cselect_b32 s5, s63, 0
	s_cselect_b32 s4, s62, 0
	s_cmp_eq_u64 s[4:5], 0
	v_mov_b32_e32 v39, s74
	s_cbranch_scc1 .LBB1637_222
; %bb.221:
	v_mov_b32_e32 v22, 0
	global_load_ushort v39, v22, s[4:5]
.LBB1637_222:
	s_mov_b32 s52, 0x10000
	v_cmp_gt_u32_e32 vcc, s52, v54
	v_cndmask_b32_e32 v22, 0, v1, vcc
	v_add_u16_e32 v22, v22, v54
	v_cmp_gt_u32_e64 s[4:5], s52, v21
	v_cndmask_b32_e64 v22, 0, v22, s[4:5]
	v_add_u16_e32 v22, v22, v21
	v_cmp_gt_u32_e64 s[6:7], s52, v20
	v_cndmask_b32_e64 v22, 0, v22, s[6:7]
	;; [unrolled: 3-line block ×18, first 2 shown]
	v_bfe_u32 v25, v19, 16, 1
	v_add_u16_e32 v22, v22, v14
	v_cmp_gt_u32_e64 s[42:43], s52, v15
	v_lshlrev_b16_e32 v26, 1, v25
	v_mov_b32_e32 v25, 1
	v_cndmask_b32_e64 v22, 0, v22, s[42:43]
	v_and_b32_sdwa v27, v18, v25 dst_sel:DWORD dst_unused:UNUSED_PAD src0_sel:WORD_1 src1_sel:DWORD
	v_add_u16_e32 v22, v22, v15
	v_cmp_gt_u32_e64 s[44:45], s52, v16
	v_or_b32_e32 v26, v27, v26
	v_bfe_u32 v27, v21, 16, 1
	v_and_b32_sdwa v28, v20, v25 dst_sel:DWORD dst_unused:UNUSED_PAD src0_sel:WORD_1 src1_sel:DWORD
	v_cndmask_b32_e64 v22, 0, v22, s[44:45]
	v_lshlrev_b16_e32 v27, 3, v27
	v_lshlrev_b16_e32 v28, 2, v28
	v_add_u16_e32 v22, v22, v16
	v_cmp_gt_u32_e64 s[46:47], s52, v17
	v_or_b32_e32 v27, v27, v28
	v_cndmask_b32_e64 v22, 0, v22, s[46:47]
	v_or_b32_e32 v26, v26, v27
	v_and_b32_e32 v27, 0x10000, v55
	v_add_u16_e32 v22, v22, v17
	v_cmp_gt_u32_e64 s[52:53], s52, v32
	v_and_b32_e32 v28, 0x10000, v32
	v_cmp_ne_u32_e64 s[50:51], 0, v27
	v_cndmask_b32_e64 v27, 0, v22, s[52:53]
	v_cmp_ne_u32_e64 s[52:53], 0, v28
	v_or_b32_e32 v28, v16, v8
	v_or_b32_e32 v29, v17, v9
	;; [unrolled: 1-line block ×7, first 2 shown]
	v_bfe_u32 v31, v31, 16, 1
	v_bfe_u32 v29, v29, 16, 1
	v_and_b32_sdwa v28, v28, v25 dst_sel:DWORD dst_unused:UNUSED_PAD src0_sel:WORD_1 src1_sel:DWORD
	v_or_b32_e32 v36, v10, v2
	v_bfe_u32 v37, v37, 16, 1
	v_bfe_u32 v35, v35, 16, 1
	v_and_b32_sdwa v34, v34, v25 dst_sel:DWORD dst_unused:UNUSED_PAD src0_sel:WORD_1 src1_sel:DWORD
	v_lshlrev_b16_e32 v31, 1, v31
	v_and_b32_sdwa v30, v30, v25 dst_sel:DWORD dst_unused:UNUSED_PAD src0_sel:WORD_1 src1_sel:DWORD
	v_lshlrev_b16_e32 v29, 3, v29
	v_lshlrev_b16_e32 v28, 2, v28
	;; [unrolled: 1-line block ×3, first 2 shown]
	v_and_b32_sdwa v36, v36, v25 dst_sel:DWORD dst_unused:UNUSED_PAD src0_sel:WORD_1 src1_sel:DWORD
	v_lshlrev_b16_e32 v35, 3, v35
	v_lshlrev_b16_e32 v34, 2, v34
	v_or_b32_e32 v30, v30, v31
	v_or_b32_e32 v28, v29, v28
	;; [unrolled: 1-line block ×6, first 2 shown]
	v_lshlrev_b16_e32 v28, 4, v28
	v_or_b32_e32 v28, v34, v28
	v_or_b32_e32 v26, v28, v26
	v_mov_b32_e32 v28, 0
	v_cmp_ne_u16_sdwa s[60:61], v26, v28 src0_sel:BYTE_0 src1_sel:DWORD
	v_and_b32_e32 v24, 0x10000, v54
	s_or_b64 s[52:53], s[52:53], s[60:61]
	v_cmp_ne_u32_e64 s[48:49], 0, v24
	s_or_b64 s[50:51], s[52:53], s[50:51]
	v_mov_b32_e32 v23, 0x10000
	v_and_b32_e32 v24, 0x10000, v1
	s_or_b64 s[48:49], s[50:51], s[48:49]
	v_cndmask_b32_e64 v28, v24, v23, s[48:49]
	v_add_u16_e32 v26, v27, v32
	v_mbcnt_hi_u32_b32 v23, -1, v33
	v_add_u16_e32 v22, v27, v32
	v_and_b32_e32 v27, 15, v23
	v_or_b32_e32 v26, v28, v26
	v_lshrrev_b32_e32 v24, 16, v28
	v_cmp_ne_u32_e64 s[48:49], 0, v27
	v_mov_b32_dpp v29, v26 row_shr:1 row_mask:0xf bank_mask:0xf
	s_and_saveexec_b64 s[50:51], s[48:49]
; %bb.223:
	v_cmp_eq_u32_e64 s[48:49], 0, v28
	v_and_b32_e32 v24, 0x10000, v28
	v_cndmask_b32_e64 v26, 0, v29, s[48:49]
	v_and_b32_sdwa v25, v29, v25 dst_sel:DWORD dst_unused:UNUSED_PAD src0_sel:WORD_1 src1_sel:DWORD
	v_cmp_ne_u32_e64 s[48:49], 0, v24
	v_cndmask_b32_e64 v24, v25, 1, s[48:49]
	v_add_u16_e32 v30, v26, v22
	v_lshlrev_b32_e32 v25, 16, v24
	v_add_u16_e32 v22, v26, v22
	v_or_b32_e32 v26, v25, v22
	v_mov_b32_e32 v22, v30
; %bb.224:
	s_or_b64 exec, exec, s[50:51]
	v_lshrrev_b32_e32 v25, 16, v26
	v_mov_b32_dpp v28, v26 row_shr:2 row_mask:0xf bank_mask:0xf
	v_cmp_lt_u32_e64 s[48:49], 1, v27
	s_and_saveexec_b64 s[50:51], s[48:49]
	s_cbranch_execz .LBB1637_226
; %bb.225:
	s_mov_b32 s48, 0x10000
	v_cmp_gt_u32_e64 s[48:49], s48, v26
	v_and_b32_e32 v24, 0x10000, v26
	v_mov_b32_e32 v26, 1
	v_cndmask_b32_e64 v25, 0, v28, s[48:49]
	v_and_b32_sdwa v26, v28, v26 dst_sel:DWORD dst_unused:UNUSED_PAD src0_sel:WORD_1 src1_sel:DWORD
	v_cmp_ne_u32_e64 s[48:49], 0, v24
	v_cndmask_b32_e64 v24, v26, 1, s[48:49]
	v_add_u16_e32 v29, v25, v22
	v_lshlrev_b32_e32 v26, 16, v24
	v_add_u16_e32 v22, v25, v22
	v_or_b32_e32 v26, v26, v22
	v_mov_b32_e32 v22, v29
	v_mov_b32_e32 v25, v24
.LBB1637_226:
	s_or_b64 exec, exec, s[50:51]
	v_mov_b32_dpp v28, v26 row_shr:4 row_mask:0xf bank_mask:0xf
	v_cmp_lt_u32_e64 s[48:49], 3, v27
	s_and_saveexec_b64 s[50:51], s[48:49]
	s_cbranch_execz .LBB1637_228
; %bb.227:
	v_cmp_eq_u16_e64 s[48:49], 0, v25
	v_and_b32_e32 v24, 1, v25
	v_mov_b32_e32 v25, 1
	v_cndmask_b32_e64 v26, 0, v28, s[48:49]
	v_and_b32_sdwa v25, v28, v25 dst_sel:DWORD dst_unused:UNUSED_PAD src0_sel:WORD_1 src1_sel:DWORD
	v_cmp_eq_u32_e64 s[48:49], 1, v24
	v_cndmask_b32_e64 v24, v25, 1, s[48:49]
	v_add_u16_e32 v29, v26, v22
	v_lshlrev_b32_e32 v25, 16, v24
	v_add_u16_e32 v22, v26, v22
	v_or_b32_e32 v26, v25, v22
	v_mov_b32_e32 v22, v29
	v_mov_b32_e32 v25, v24
.LBB1637_228:
	s_or_b64 exec, exec, s[50:51]
	v_mov_b32_dpp v28, v26 row_shr:8 row_mask:0xf bank_mask:0xf
	v_cmp_lt_u32_e64 s[48:49], 7, v27
	s_and_saveexec_b64 s[50:51], s[48:49]
	s_cbranch_execz .LBB1637_230
; %bb.229:
	v_cmp_eq_u16_e64 s[48:49], 0, v25
	v_and_b32_e32 v24, 1, v25
	v_mov_b32_e32 v25, 1
	v_cndmask_b32_e64 v26, 0, v28, s[48:49]
	v_and_b32_sdwa v25, v28, v25 dst_sel:DWORD dst_unused:UNUSED_PAD src0_sel:WORD_1 src1_sel:DWORD
	v_cmp_eq_u32_e64 s[48:49], 1, v24
	v_cndmask_b32_e64 v24, v25, 1, s[48:49]
	v_add_u16_e32 v27, v26, v22
	v_lshlrev_b32_e32 v25, 16, v24
	v_add_u16_e32 v22, v26, v22
	v_or_b32_e32 v26, v25, v22
	v_mov_b32_e32 v22, v27
	v_mov_b32_e32 v25, v24
.LBB1637_230:
	s_or_b64 exec, exec, s[50:51]
	v_and_b32_e32 v28, 16, v23
	v_mov_b32_dpp v27, v26 row_bcast:15 row_mask:0xf bank_mask:0xf
	v_cmp_ne_u32_e64 s[48:49], 0, v28
	s_and_saveexec_b64 s[50:51], s[48:49]
	s_cbranch_execz .LBB1637_232
; %bb.231:
	v_cmp_eq_u16_e64 s[48:49], 0, v25
	v_and_b32_e32 v24, 1, v25
	v_mov_b32_e32 v25, 1
	v_cndmask_b32_e64 v26, 0, v27, s[48:49]
	v_and_b32_sdwa v25, v27, v25 dst_sel:DWORD dst_unused:UNUSED_PAD src0_sel:WORD_1 src1_sel:DWORD
	v_cmp_eq_u32_e64 s[48:49], 1, v24
	v_cndmask_b32_e64 v24, v25, 1, s[48:49]
	v_add_u16_e32 v28, v26, v22
	v_lshlrev_b32_e32 v25, 16, v24
	v_add_u16_e32 v22, v26, v22
	v_or_b32_e32 v26, v25, v22
	v_mov_b32_e32 v22, v28
	v_mov_b32_e32 v25, v24
.LBB1637_232:
	s_or_b64 exec, exec, s[50:51]
	v_mov_b32_dpp v26, v26 row_bcast:31 row_mask:0xf bank_mask:0xf
	v_cmp_lt_u32_e64 s[48:49], 31, v23
	s_and_saveexec_b64 s[50:51], s[48:49]
; %bb.233:
	v_cmp_eq_u16_e64 s[48:49], 0, v25
	v_cndmask_b32_e64 v24, 0, v26, s[48:49]
	v_add_u16_e32 v22, v24, v22
	v_and_b32_e32 v24, 1, v25
	v_mov_b32_e32 v25, 1
	v_and_b32_sdwa v25, v26, v25 dst_sel:DWORD dst_unused:UNUSED_PAD src0_sel:WORD_1 src1_sel:DWORD
	v_cmp_eq_u32_e64 s[48:49], 1, v24
	v_cndmask_b32_e64 v24, v25, 1, s[48:49]
	v_mov_b32_e32 v25, v24
; %bb.234:
	s_or_b64 exec, exec, s[50:51]
	v_cmp_eq_u32_e64 s[48:49], 63, v0
	s_and_saveexec_b64 s[50:51], s[48:49]
	s_cbranch_execz .LBB1637_236
; %bb.235:
	v_mov_b32_e32 v26, 0
	ds_write_b16 v26, v22
	ds_write_b8 v26, v25 offset:2
.LBB1637_236:
	s_or_b64 exec, exec, s[50:51]
	v_cmp_eq_u16_e64 s[48:49], 0, v24
	v_and_b32_e32 v24, 1, v24
	s_waitcnt vmcnt(0)
	v_cndmask_b32_e64 v25, 0, v39, s[48:49]
	v_mov_b32_e32 v26, 0x10000
	v_cmp_eq_u32_e64 s[48:49], 1, v24
	v_cndmask_b32_e64 v24, 0, v26, s[48:49]
	v_add_u16_e32 v22, v25, v22
	v_or_b32_e32 v22, v24, v22
	v_add_u32_e32 v24, -1, v23
	v_and_b32_e32 v25, 64, v23
	v_cmp_lt_i32_e64 s[48:49], v24, v25
	v_cndmask_b32_e64 v24, v24, v23, s[48:49]
	v_lshlrev_b32_e32 v24, 2, v24
	ds_bpermute_b32 v22, v24, v22
	v_cmp_eq_u32_e64 s[48:49], 0, v23
	s_or_b64 s[48:49], s[0:1], s[48:49]
	s_waitcnt lgkmcnt(0)
	; wave barrier
	s_waitcnt lgkmcnt(0)
	v_cndmask_b32_e64 v32, v22, v39, s[48:49]
	v_and_b32_e32 v22, 0xff0000, v1
	v_cmp_eq_u32_e64 s[48:49], 0, v22
	v_cndmask_b32_e64 v22, 0, v32, s[48:49]
	v_add_u16_e32 v22, v22, v1
	v_cndmask_b32_e32 v1, 0, v22, vcc
	v_add_u16_e32 v23, v1, v54
	v_cndmask_b32_e64 v1, 0, v23, s[4:5]
	v_add_u16_e32 v24, v1, v21
	v_cndmask_b32_e64 v1, 0, v24, s[6:7]
	;; [unrolled: 2-line block ×21, first 2 shown]
	s_and_saveexec_b64 s[4:5], s[0:1]
	s_cbranch_execz .LBB1637_238
; %bb.237:
	v_mov_b32_e32 v4, 0
	ds_read_u8 v2, v4 offset:2
	ds_read_u16 v3, v4
	s_waitcnt lgkmcnt(1)
	v_cmp_eq_u32_e32 vcc, 0, v2
	v_lshlrev_b32_e32 v5, 16, v2
	v_cndmask_b32_e32 v2, 0, v39, vcc
	s_waitcnt lgkmcnt(0)
	v_add_u32_e32 v2, v2, v3
	v_or_b32_sdwa v2, v5, v2 dst_sel:DWORD dst_unused:UNUSED_PAD src0_sel:DWORD src1_sel:WORD_0
	v_mov_b32_e32 v3, 2
	global_store_dwordx2 v4, v[2:3], s[56:57] offset:512
.LBB1637_238:
	s_or_b64 exec, exec, s[4:5]
	v_and_b32_e32 v39, 0xffff, v32
	v_add_u16_e32 v47, v1, v17
.LBB1637_239:
	s_add_u32 s0, s54, s64
	s_addc_u32 s1, s55, s65
	v_mov_b32_e32 v1, s1
	v_add_co_u32_e32 v4, vcc, s0, v50
	v_addc_co_u32_e32 v5, vcc, v1, v51, vcc
	s_and_b64 vcc, exec, s[2:3]
	v_mul_u32_u24_e32 v7, 24, v0
	v_lshlrev_b32_e32 v6, 1, v0
	s_cbranch_vccz .LBB1637_287
; %bb.240:
	s_mov_b32 s0, 0x5040100
	v_lshlrev_b32_e32 v52, 1, v7
	v_perm_b32 v11, v30, v28, s0
	v_perm_b32 v10, v26, v25, s0
	;; [unrolled: 1-line block ×4, first 2 shown]
	s_waitcnt lgkmcnt(0)
	; wave barrier
	ds_write_b128 v52, v[8:11]
	v_perm_b32 v11, v41, v38, s0
	v_perm_b32 v10, v36, v35, s0
	;; [unrolled: 1-line block ×4, first 2 shown]
	ds_write_b128 v52, v[8:11] offset:16
	v_perm_b32 v11, v47, v46, s0
	v_perm_b32 v10, v45, v44, s0
	;; [unrolled: 1-line block ×4, first 2 shown]
	s_movk_i32 s0, 0xffd2
	v_mad_i32_i24 v2, v0, s0, v52
	ds_write_b128 v52, v[8:11] offset:32
	s_waitcnt lgkmcnt(0)
	; wave barrier
	s_waitcnt lgkmcnt(0)
	ds_read_u16 v55, v2 offset:128
	ds_read_u16 v54, v2 offset:256
	;; [unrolled: 1-line block ×23, first 2 shown]
	v_add_co_u32_e32 v2, vcc, v4, v6
	s_add_i32 s33, s33, s58
	v_addc_co_u32_e32 v3, vcc, 0, v5, vcc
	v_mov_b32_e32 v1, 0
	v_cmp_gt_u32_e32 vcc, s33, v0
	s_and_saveexec_b64 s[0:1], vcc
	s_cbranch_execz .LBB1637_242
; %bb.241:
	v_mul_i32_i24_e32 v56, 0xffffffd2, v0
	v_add_u32_e32 v52, v52, v56
	ds_read_u16 v52, v52
	s_waitcnt lgkmcnt(0)
	flat_store_short v[2:3], v52
.LBB1637_242:
	s_or_b64 exec, exec, s[0:1]
	v_or_b32_e32 v52, 64, v0
	v_cmp_gt_u32_e32 vcc, s33, v52
	s_and_saveexec_b64 s[0:1], vcc
	s_cbranch_execz .LBB1637_244
; %bb.243:
	s_waitcnt lgkmcnt(0)
	flat_store_short v[2:3], v55 offset:128
.LBB1637_244:
	s_or_b64 exec, exec, s[0:1]
	v_or_b32_e32 v52, 0x80, v0
	v_cmp_gt_u32_e32 vcc, s33, v52
	s_and_saveexec_b64 s[0:1], vcc
	s_cbranch_execz .LBB1637_246
; %bb.245:
	s_waitcnt lgkmcnt(0)
	flat_store_short v[2:3], v54 offset:256
.LBB1637_246:
	;; [unrolled: 9-line block ×4, first 2 shown]
	s_or_b64 exec, exec, s[0:1]
	s_waitcnt lgkmcnt(0)
	v_or_b32_e32 v51, 0x140, v0
	v_cmp_gt_u32_e32 vcc, s33, v51
	s_and_saveexec_b64 s[0:1], vcc
	s_cbranch_execz .LBB1637_252
; %bb.251:
	flat_store_short v[2:3], v50 offset:640
.LBB1637_252:
	s_or_b64 exec, exec, s[0:1]
	v_or_b32_e32 v50, 0x180, v0
	v_cmp_gt_u32_e32 vcc, s33, v50
	s_and_saveexec_b64 s[0:1], vcc
	s_cbranch_execz .LBB1637_254
; %bb.253:
	flat_store_short v[2:3], v49 offset:768
.LBB1637_254:
	s_or_b64 exec, exec, s[0:1]
	;; [unrolled: 8-line block ×18, first 2 shown]
	v_or_b32_e32 v2, 0x5c0, v0
	v_cmp_gt_u32_e64 s[0:1], s33, v2
	s_branch .LBB1637_289
.LBB1637_287:
	s_mov_b64 s[0:1], 0
                                        ; implicit-def: $vgpr8
	s_cbranch_execz .LBB1637_289
; %bb.288:
	s_mov_b32 s2, 0x5040100
	v_lshlrev_b32_e32 v2, 1, v7
	v_perm_b32 v11, v30, v28, s2
	v_perm_b32 v10, v26, v25, s2
	v_perm_b32 v9, v24, v23, s2
	v_perm_b32 v8, v22, v39, s2
	s_waitcnt lgkmcnt(0)
	; wave barrier
	s_waitcnt lgkmcnt(0)
	ds_write_b128 v2, v[8:11]
	v_perm_b32 v11, v41, v38, s2
	v_perm_b32 v10, v36, v35, s2
	;; [unrolled: 1-line block ×4, first 2 shown]
	ds_write_b128 v2, v[8:11] offset:16
	v_perm_b32 v11, v47, v46, s2
	v_perm_b32 v10, v45, v44, s2
	;; [unrolled: 1-line block ×4, first 2 shown]
	s_movk_i32 s2, 0xffd2
	ds_write_b128 v2, v[8:11] offset:32
	v_mad_i32_i24 v2, v0, s2, v2
	s_waitcnt lgkmcnt(0)
	; wave barrier
	s_waitcnt lgkmcnt(0)
	ds_read_u16 v7, v2
	ds_read_u16 v9, v2 offset:128
	ds_read_u16 v10, v2 offset:256
	;; [unrolled: 1-line block ×23, first 2 shown]
	v_add_co_u32_e32 v2, vcc, v4, v6
	v_mov_b32_e32 v1, 0
	v_addc_co_u32_e32 v3, vcc, 0, v5, vcc
	s_or_b64 s[0:1], s[0:1], exec
	s_waitcnt lgkmcnt(0)
	flat_store_short v[2:3], v7
	flat_store_short v[2:3], v9 offset:128
	flat_store_short v[2:3], v10 offset:256
	;; [unrolled: 1-line block ×22, first 2 shown]
.LBB1637_289:
	s_and_saveexec_b64 s[2:3], s[0:1]
	s_cbranch_execz .LBB1637_291
; %bb.290:
	v_lshlrev_b64 v[0:1], 1, v[0:1]
	v_add_co_u32_e32 v0, vcc, v4, v0
	v_addc_co_u32_e32 v1, vcc, v5, v1, vcc
	flat_store_short v[0:1], v8 offset:2944
	s_endpgm
.LBB1637_291:
	s_endpgm
	.section	.rodata,"a",@progbits
	.p2align	6, 0x0
	.amdhsa_kernel _ZN7rocprim17ROCPRIM_400000_NS6detail17trampoline_kernelINS0_14default_configENS1_27scan_by_key_config_selectorIisEEZZNS1_16scan_by_key_implILNS1_25lookback_scan_determinismE0ELb1ES3_N6thrust23THRUST_200600_302600_NS6detail15normal_iteratorINS9_10device_ptrIiEEEENSB_INSC_IsEEEESG_sNS9_4plusIvEENS9_8equal_toIvEEsEE10hipError_tPvRmT2_T3_T4_T5_mT6_T7_P12ihipStream_tbENKUlT_T0_E_clISt17integral_constantIbLb0EES10_IbLb1EEEEDaSW_SX_EUlSW_E_NS1_11comp_targetILNS1_3genE4ELNS1_11target_archE910ELNS1_3gpuE8ELNS1_3repE0EEENS1_30default_config_static_selectorELNS0_4arch9wavefront6targetE1EEEvT1_
		.amdhsa_group_segment_fixed_size 6656
		.amdhsa_private_segment_fixed_size 0
		.amdhsa_kernarg_size 112
		.amdhsa_user_sgpr_count 6
		.amdhsa_user_sgpr_private_segment_buffer 1
		.amdhsa_user_sgpr_dispatch_ptr 0
		.amdhsa_user_sgpr_queue_ptr 0
		.amdhsa_user_sgpr_kernarg_segment_ptr 1
		.amdhsa_user_sgpr_dispatch_id 0
		.amdhsa_user_sgpr_flat_scratch_init 0
		.amdhsa_user_sgpr_kernarg_preload_length 0
		.amdhsa_user_sgpr_kernarg_preload_offset 0
		.amdhsa_user_sgpr_private_segment_size 0
		.amdhsa_uses_dynamic_stack 0
		.amdhsa_system_sgpr_private_segment_wavefront_offset 0
		.amdhsa_system_sgpr_workgroup_id_x 1
		.amdhsa_system_sgpr_workgroup_id_y 0
		.amdhsa_system_sgpr_workgroup_id_z 0
		.amdhsa_system_sgpr_workgroup_info 0
		.amdhsa_system_vgpr_workitem_id 0
		.amdhsa_next_free_vgpr 61
		.amdhsa_next_free_sgpr 84
		.amdhsa_accum_offset 64
		.amdhsa_reserve_vcc 1
		.amdhsa_reserve_flat_scratch 0
		.amdhsa_float_round_mode_32 0
		.amdhsa_float_round_mode_16_64 0
		.amdhsa_float_denorm_mode_32 3
		.amdhsa_float_denorm_mode_16_64 3
		.amdhsa_dx10_clamp 1
		.amdhsa_ieee_mode 1
		.amdhsa_fp16_overflow 0
		.amdhsa_tg_split 0
		.amdhsa_exception_fp_ieee_invalid_op 0
		.amdhsa_exception_fp_denorm_src 0
		.amdhsa_exception_fp_ieee_div_zero 0
		.amdhsa_exception_fp_ieee_overflow 0
		.amdhsa_exception_fp_ieee_underflow 0
		.amdhsa_exception_fp_ieee_inexact 0
		.amdhsa_exception_int_div_zero 0
	.end_amdhsa_kernel
	.section	.text._ZN7rocprim17ROCPRIM_400000_NS6detail17trampoline_kernelINS0_14default_configENS1_27scan_by_key_config_selectorIisEEZZNS1_16scan_by_key_implILNS1_25lookback_scan_determinismE0ELb1ES3_N6thrust23THRUST_200600_302600_NS6detail15normal_iteratorINS9_10device_ptrIiEEEENSB_INSC_IsEEEESG_sNS9_4plusIvEENS9_8equal_toIvEEsEE10hipError_tPvRmT2_T3_T4_T5_mT6_T7_P12ihipStream_tbENKUlT_T0_E_clISt17integral_constantIbLb0EES10_IbLb1EEEEDaSW_SX_EUlSW_E_NS1_11comp_targetILNS1_3genE4ELNS1_11target_archE910ELNS1_3gpuE8ELNS1_3repE0EEENS1_30default_config_static_selectorELNS0_4arch9wavefront6targetE1EEEvT1_,"axG",@progbits,_ZN7rocprim17ROCPRIM_400000_NS6detail17trampoline_kernelINS0_14default_configENS1_27scan_by_key_config_selectorIisEEZZNS1_16scan_by_key_implILNS1_25lookback_scan_determinismE0ELb1ES3_N6thrust23THRUST_200600_302600_NS6detail15normal_iteratorINS9_10device_ptrIiEEEENSB_INSC_IsEEEESG_sNS9_4plusIvEENS9_8equal_toIvEEsEE10hipError_tPvRmT2_T3_T4_T5_mT6_T7_P12ihipStream_tbENKUlT_T0_E_clISt17integral_constantIbLb0EES10_IbLb1EEEEDaSW_SX_EUlSW_E_NS1_11comp_targetILNS1_3genE4ELNS1_11target_archE910ELNS1_3gpuE8ELNS1_3repE0EEENS1_30default_config_static_selectorELNS0_4arch9wavefront6targetE1EEEvT1_,comdat
.Lfunc_end1637:
	.size	_ZN7rocprim17ROCPRIM_400000_NS6detail17trampoline_kernelINS0_14default_configENS1_27scan_by_key_config_selectorIisEEZZNS1_16scan_by_key_implILNS1_25lookback_scan_determinismE0ELb1ES3_N6thrust23THRUST_200600_302600_NS6detail15normal_iteratorINS9_10device_ptrIiEEEENSB_INSC_IsEEEESG_sNS9_4plusIvEENS9_8equal_toIvEEsEE10hipError_tPvRmT2_T3_T4_T5_mT6_T7_P12ihipStream_tbENKUlT_T0_E_clISt17integral_constantIbLb0EES10_IbLb1EEEEDaSW_SX_EUlSW_E_NS1_11comp_targetILNS1_3genE4ELNS1_11target_archE910ELNS1_3gpuE8ELNS1_3repE0EEENS1_30default_config_static_selectorELNS0_4arch9wavefront6targetE1EEEvT1_, .Lfunc_end1637-_ZN7rocprim17ROCPRIM_400000_NS6detail17trampoline_kernelINS0_14default_configENS1_27scan_by_key_config_selectorIisEEZZNS1_16scan_by_key_implILNS1_25lookback_scan_determinismE0ELb1ES3_N6thrust23THRUST_200600_302600_NS6detail15normal_iteratorINS9_10device_ptrIiEEEENSB_INSC_IsEEEESG_sNS9_4plusIvEENS9_8equal_toIvEEsEE10hipError_tPvRmT2_T3_T4_T5_mT6_T7_P12ihipStream_tbENKUlT_T0_E_clISt17integral_constantIbLb0EES10_IbLb1EEEEDaSW_SX_EUlSW_E_NS1_11comp_targetILNS1_3genE4ELNS1_11target_archE910ELNS1_3gpuE8ELNS1_3repE0EEENS1_30default_config_static_selectorELNS0_4arch9wavefront6targetE1EEEvT1_
                                        ; -- End function
	.section	.AMDGPU.csdata,"",@progbits
; Kernel info:
; codeLenInByte = 15600
; NumSgprs: 88
; NumVgprs: 61
; NumAgprs: 0
; TotalNumVgprs: 61
; ScratchSize: 0
; MemoryBound: 0
; FloatMode: 240
; IeeeMode: 1
; LDSByteSize: 6656 bytes/workgroup (compile time only)
; SGPRBlocks: 10
; VGPRBlocks: 7
; NumSGPRsForWavesPerEU: 88
; NumVGPRsForWavesPerEU: 61
; AccumOffset: 64
; Occupancy: 3
; WaveLimiterHint : 1
; COMPUTE_PGM_RSRC2:SCRATCH_EN: 0
; COMPUTE_PGM_RSRC2:USER_SGPR: 6
; COMPUTE_PGM_RSRC2:TRAP_HANDLER: 0
; COMPUTE_PGM_RSRC2:TGID_X_EN: 1
; COMPUTE_PGM_RSRC2:TGID_Y_EN: 0
; COMPUTE_PGM_RSRC2:TGID_Z_EN: 0
; COMPUTE_PGM_RSRC2:TIDIG_COMP_CNT: 0
; COMPUTE_PGM_RSRC3_GFX90A:ACCUM_OFFSET: 15
; COMPUTE_PGM_RSRC3_GFX90A:TG_SPLIT: 0
	.section	.text._ZN7rocprim17ROCPRIM_400000_NS6detail17trampoline_kernelINS0_14default_configENS1_27scan_by_key_config_selectorIisEEZZNS1_16scan_by_key_implILNS1_25lookback_scan_determinismE0ELb1ES3_N6thrust23THRUST_200600_302600_NS6detail15normal_iteratorINS9_10device_ptrIiEEEENSB_INSC_IsEEEESG_sNS9_4plusIvEENS9_8equal_toIvEEsEE10hipError_tPvRmT2_T3_T4_T5_mT6_T7_P12ihipStream_tbENKUlT_T0_E_clISt17integral_constantIbLb0EES10_IbLb1EEEEDaSW_SX_EUlSW_E_NS1_11comp_targetILNS1_3genE3ELNS1_11target_archE908ELNS1_3gpuE7ELNS1_3repE0EEENS1_30default_config_static_selectorELNS0_4arch9wavefront6targetE1EEEvT1_,"axG",@progbits,_ZN7rocprim17ROCPRIM_400000_NS6detail17trampoline_kernelINS0_14default_configENS1_27scan_by_key_config_selectorIisEEZZNS1_16scan_by_key_implILNS1_25lookback_scan_determinismE0ELb1ES3_N6thrust23THRUST_200600_302600_NS6detail15normal_iteratorINS9_10device_ptrIiEEEENSB_INSC_IsEEEESG_sNS9_4plusIvEENS9_8equal_toIvEEsEE10hipError_tPvRmT2_T3_T4_T5_mT6_T7_P12ihipStream_tbENKUlT_T0_E_clISt17integral_constantIbLb0EES10_IbLb1EEEEDaSW_SX_EUlSW_E_NS1_11comp_targetILNS1_3genE3ELNS1_11target_archE908ELNS1_3gpuE7ELNS1_3repE0EEENS1_30default_config_static_selectorELNS0_4arch9wavefront6targetE1EEEvT1_,comdat
	.protected	_ZN7rocprim17ROCPRIM_400000_NS6detail17trampoline_kernelINS0_14default_configENS1_27scan_by_key_config_selectorIisEEZZNS1_16scan_by_key_implILNS1_25lookback_scan_determinismE0ELb1ES3_N6thrust23THRUST_200600_302600_NS6detail15normal_iteratorINS9_10device_ptrIiEEEENSB_INSC_IsEEEESG_sNS9_4plusIvEENS9_8equal_toIvEEsEE10hipError_tPvRmT2_T3_T4_T5_mT6_T7_P12ihipStream_tbENKUlT_T0_E_clISt17integral_constantIbLb0EES10_IbLb1EEEEDaSW_SX_EUlSW_E_NS1_11comp_targetILNS1_3genE3ELNS1_11target_archE908ELNS1_3gpuE7ELNS1_3repE0EEENS1_30default_config_static_selectorELNS0_4arch9wavefront6targetE1EEEvT1_ ; -- Begin function _ZN7rocprim17ROCPRIM_400000_NS6detail17trampoline_kernelINS0_14default_configENS1_27scan_by_key_config_selectorIisEEZZNS1_16scan_by_key_implILNS1_25lookback_scan_determinismE0ELb1ES3_N6thrust23THRUST_200600_302600_NS6detail15normal_iteratorINS9_10device_ptrIiEEEENSB_INSC_IsEEEESG_sNS9_4plusIvEENS9_8equal_toIvEEsEE10hipError_tPvRmT2_T3_T4_T5_mT6_T7_P12ihipStream_tbENKUlT_T0_E_clISt17integral_constantIbLb0EES10_IbLb1EEEEDaSW_SX_EUlSW_E_NS1_11comp_targetILNS1_3genE3ELNS1_11target_archE908ELNS1_3gpuE7ELNS1_3repE0EEENS1_30default_config_static_selectorELNS0_4arch9wavefront6targetE1EEEvT1_
	.globl	_ZN7rocprim17ROCPRIM_400000_NS6detail17trampoline_kernelINS0_14default_configENS1_27scan_by_key_config_selectorIisEEZZNS1_16scan_by_key_implILNS1_25lookback_scan_determinismE0ELb1ES3_N6thrust23THRUST_200600_302600_NS6detail15normal_iteratorINS9_10device_ptrIiEEEENSB_INSC_IsEEEESG_sNS9_4plusIvEENS9_8equal_toIvEEsEE10hipError_tPvRmT2_T3_T4_T5_mT6_T7_P12ihipStream_tbENKUlT_T0_E_clISt17integral_constantIbLb0EES10_IbLb1EEEEDaSW_SX_EUlSW_E_NS1_11comp_targetILNS1_3genE3ELNS1_11target_archE908ELNS1_3gpuE7ELNS1_3repE0EEENS1_30default_config_static_selectorELNS0_4arch9wavefront6targetE1EEEvT1_
	.p2align	8
	.type	_ZN7rocprim17ROCPRIM_400000_NS6detail17trampoline_kernelINS0_14default_configENS1_27scan_by_key_config_selectorIisEEZZNS1_16scan_by_key_implILNS1_25lookback_scan_determinismE0ELb1ES3_N6thrust23THRUST_200600_302600_NS6detail15normal_iteratorINS9_10device_ptrIiEEEENSB_INSC_IsEEEESG_sNS9_4plusIvEENS9_8equal_toIvEEsEE10hipError_tPvRmT2_T3_T4_T5_mT6_T7_P12ihipStream_tbENKUlT_T0_E_clISt17integral_constantIbLb0EES10_IbLb1EEEEDaSW_SX_EUlSW_E_NS1_11comp_targetILNS1_3genE3ELNS1_11target_archE908ELNS1_3gpuE7ELNS1_3repE0EEENS1_30default_config_static_selectorELNS0_4arch9wavefront6targetE1EEEvT1_,@function
_ZN7rocprim17ROCPRIM_400000_NS6detail17trampoline_kernelINS0_14default_configENS1_27scan_by_key_config_selectorIisEEZZNS1_16scan_by_key_implILNS1_25lookback_scan_determinismE0ELb1ES3_N6thrust23THRUST_200600_302600_NS6detail15normal_iteratorINS9_10device_ptrIiEEEENSB_INSC_IsEEEESG_sNS9_4plusIvEENS9_8equal_toIvEEsEE10hipError_tPvRmT2_T3_T4_T5_mT6_T7_P12ihipStream_tbENKUlT_T0_E_clISt17integral_constantIbLb0EES10_IbLb1EEEEDaSW_SX_EUlSW_E_NS1_11comp_targetILNS1_3genE3ELNS1_11target_archE908ELNS1_3gpuE7ELNS1_3repE0EEENS1_30default_config_static_selectorELNS0_4arch9wavefront6targetE1EEEvT1_: ; @_ZN7rocprim17ROCPRIM_400000_NS6detail17trampoline_kernelINS0_14default_configENS1_27scan_by_key_config_selectorIisEEZZNS1_16scan_by_key_implILNS1_25lookback_scan_determinismE0ELb1ES3_N6thrust23THRUST_200600_302600_NS6detail15normal_iteratorINS9_10device_ptrIiEEEENSB_INSC_IsEEEESG_sNS9_4plusIvEENS9_8equal_toIvEEsEE10hipError_tPvRmT2_T3_T4_T5_mT6_T7_P12ihipStream_tbENKUlT_T0_E_clISt17integral_constantIbLb0EES10_IbLb1EEEEDaSW_SX_EUlSW_E_NS1_11comp_targetILNS1_3genE3ELNS1_11target_archE908ELNS1_3gpuE7ELNS1_3repE0EEENS1_30default_config_static_selectorELNS0_4arch9wavefront6targetE1EEEvT1_
; %bb.0:
	.section	.rodata,"a",@progbits
	.p2align	6, 0x0
	.amdhsa_kernel _ZN7rocprim17ROCPRIM_400000_NS6detail17trampoline_kernelINS0_14default_configENS1_27scan_by_key_config_selectorIisEEZZNS1_16scan_by_key_implILNS1_25lookback_scan_determinismE0ELb1ES3_N6thrust23THRUST_200600_302600_NS6detail15normal_iteratorINS9_10device_ptrIiEEEENSB_INSC_IsEEEESG_sNS9_4plusIvEENS9_8equal_toIvEEsEE10hipError_tPvRmT2_T3_T4_T5_mT6_T7_P12ihipStream_tbENKUlT_T0_E_clISt17integral_constantIbLb0EES10_IbLb1EEEEDaSW_SX_EUlSW_E_NS1_11comp_targetILNS1_3genE3ELNS1_11target_archE908ELNS1_3gpuE7ELNS1_3repE0EEENS1_30default_config_static_selectorELNS0_4arch9wavefront6targetE1EEEvT1_
		.amdhsa_group_segment_fixed_size 0
		.amdhsa_private_segment_fixed_size 0
		.amdhsa_kernarg_size 112
		.amdhsa_user_sgpr_count 6
		.amdhsa_user_sgpr_private_segment_buffer 1
		.amdhsa_user_sgpr_dispatch_ptr 0
		.amdhsa_user_sgpr_queue_ptr 0
		.amdhsa_user_sgpr_kernarg_segment_ptr 1
		.amdhsa_user_sgpr_dispatch_id 0
		.amdhsa_user_sgpr_flat_scratch_init 0
		.amdhsa_user_sgpr_kernarg_preload_length 0
		.amdhsa_user_sgpr_kernarg_preload_offset 0
		.amdhsa_user_sgpr_private_segment_size 0
		.amdhsa_uses_dynamic_stack 0
		.amdhsa_system_sgpr_private_segment_wavefront_offset 0
		.amdhsa_system_sgpr_workgroup_id_x 1
		.amdhsa_system_sgpr_workgroup_id_y 0
		.amdhsa_system_sgpr_workgroup_id_z 0
		.amdhsa_system_sgpr_workgroup_info 0
		.amdhsa_system_vgpr_workitem_id 0
		.amdhsa_next_free_vgpr 1
		.amdhsa_next_free_sgpr 0
		.amdhsa_accum_offset 4
		.amdhsa_reserve_vcc 0
		.amdhsa_reserve_flat_scratch 0
		.amdhsa_float_round_mode_32 0
		.amdhsa_float_round_mode_16_64 0
		.amdhsa_float_denorm_mode_32 3
		.amdhsa_float_denorm_mode_16_64 3
		.amdhsa_dx10_clamp 1
		.amdhsa_ieee_mode 1
		.amdhsa_fp16_overflow 0
		.amdhsa_tg_split 0
		.amdhsa_exception_fp_ieee_invalid_op 0
		.amdhsa_exception_fp_denorm_src 0
		.amdhsa_exception_fp_ieee_div_zero 0
		.amdhsa_exception_fp_ieee_overflow 0
		.amdhsa_exception_fp_ieee_underflow 0
		.amdhsa_exception_fp_ieee_inexact 0
		.amdhsa_exception_int_div_zero 0
	.end_amdhsa_kernel
	.section	.text._ZN7rocprim17ROCPRIM_400000_NS6detail17trampoline_kernelINS0_14default_configENS1_27scan_by_key_config_selectorIisEEZZNS1_16scan_by_key_implILNS1_25lookback_scan_determinismE0ELb1ES3_N6thrust23THRUST_200600_302600_NS6detail15normal_iteratorINS9_10device_ptrIiEEEENSB_INSC_IsEEEESG_sNS9_4plusIvEENS9_8equal_toIvEEsEE10hipError_tPvRmT2_T3_T4_T5_mT6_T7_P12ihipStream_tbENKUlT_T0_E_clISt17integral_constantIbLb0EES10_IbLb1EEEEDaSW_SX_EUlSW_E_NS1_11comp_targetILNS1_3genE3ELNS1_11target_archE908ELNS1_3gpuE7ELNS1_3repE0EEENS1_30default_config_static_selectorELNS0_4arch9wavefront6targetE1EEEvT1_,"axG",@progbits,_ZN7rocprim17ROCPRIM_400000_NS6detail17trampoline_kernelINS0_14default_configENS1_27scan_by_key_config_selectorIisEEZZNS1_16scan_by_key_implILNS1_25lookback_scan_determinismE0ELb1ES3_N6thrust23THRUST_200600_302600_NS6detail15normal_iteratorINS9_10device_ptrIiEEEENSB_INSC_IsEEEESG_sNS9_4plusIvEENS9_8equal_toIvEEsEE10hipError_tPvRmT2_T3_T4_T5_mT6_T7_P12ihipStream_tbENKUlT_T0_E_clISt17integral_constantIbLb0EES10_IbLb1EEEEDaSW_SX_EUlSW_E_NS1_11comp_targetILNS1_3genE3ELNS1_11target_archE908ELNS1_3gpuE7ELNS1_3repE0EEENS1_30default_config_static_selectorELNS0_4arch9wavefront6targetE1EEEvT1_,comdat
.Lfunc_end1638:
	.size	_ZN7rocprim17ROCPRIM_400000_NS6detail17trampoline_kernelINS0_14default_configENS1_27scan_by_key_config_selectorIisEEZZNS1_16scan_by_key_implILNS1_25lookback_scan_determinismE0ELb1ES3_N6thrust23THRUST_200600_302600_NS6detail15normal_iteratorINS9_10device_ptrIiEEEENSB_INSC_IsEEEESG_sNS9_4plusIvEENS9_8equal_toIvEEsEE10hipError_tPvRmT2_T3_T4_T5_mT6_T7_P12ihipStream_tbENKUlT_T0_E_clISt17integral_constantIbLb0EES10_IbLb1EEEEDaSW_SX_EUlSW_E_NS1_11comp_targetILNS1_3genE3ELNS1_11target_archE908ELNS1_3gpuE7ELNS1_3repE0EEENS1_30default_config_static_selectorELNS0_4arch9wavefront6targetE1EEEvT1_, .Lfunc_end1638-_ZN7rocprim17ROCPRIM_400000_NS6detail17trampoline_kernelINS0_14default_configENS1_27scan_by_key_config_selectorIisEEZZNS1_16scan_by_key_implILNS1_25lookback_scan_determinismE0ELb1ES3_N6thrust23THRUST_200600_302600_NS6detail15normal_iteratorINS9_10device_ptrIiEEEENSB_INSC_IsEEEESG_sNS9_4plusIvEENS9_8equal_toIvEEsEE10hipError_tPvRmT2_T3_T4_T5_mT6_T7_P12ihipStream_tbENKUlT_T0_E_clISt17integral_constantIbLb0EES10_IbLb1EEEEDaSW_SX_EUlSW_E_NS1_11comp_targetILNS1_3genE3ELNS1_11target_archE908ELNS1_3gpuE7ELNS1_3repE0EEENS1_30default_config_static_selectorELNS0_4arch9wavefront6targetE1EEEvT1_
                                        ; -- End function
	.section	.AMDGPU.csdata,"",@progbits
; Kernel info:
; codeLenInByte = 0
; NumSgprs: 4
; NumVgprs: 0
; NumAgprs: 0
; TotalNumVgprs: 0
; ScratchSize: 0
; MemoryBound: 0
; FloatMode: 240
; IeeeMode: 1
; LDSByteSize: 0 bytes/workgroup (compile time only)
; SGPRBlocks: 0
; VGPRBlocks: 0
; NumSGPRsForWavesPerEU: 4
; NumVGPRsForWavesPerEU: 1
; AccumOffset: 4
; Occupancy: 8
; WaveLimiterHint : 0
; COMPUTE_PGM_RSRC2:SCRATCH_EN: 0
; COMPUTE_PGM_RSRC2:USER_SGPR: 6
; COMPUTE_PGM_RSRC2:TRAP_HANDLER: 0
; COMPUTE_PGM_RSRC2:TGID_X_EN: 1
; COMPUTE_PGM_RSRC2:TGID_Y_EN: 0
; COMPUTE_PGM_RSRC2:TGID_Z_EN: 0
; COMPUTE_PGM_RSRC2:TIDIG_COMP_CNT: 0
; COMPUTE_PGM_RSRC3_GFX90A:ACCUM_OFFSET: 0
; COMPUTE_PGM_RSRC3_GFX90A:TG_SPLIT: 0
	.section	.text._ZN7rocprim17ROCPRIM_400000_NS6detail17trampoline_kernelINS0_14default_configENS1_27scan_by_key_config_selectorIisEEZZNS1_16scan_by_key_implILNS1_25lookback_scan_determinismE0ELb1ES3_N6thrust23THRUST_200600_302600_NS6detail15normal_iteratorINS9_10device_ptrIiEEEENSB_INSC_IsEEEESG_sNS9_4plusIvEENS9_8equal_toIvEEsEE10hipError_tPvRmT2_T3_T4_T5_mT6_T7_P12ihipStream_tbENKUlT_T0_E_clISt17integral_constantIbLb0EES10_IbLb1EEEEDaSW_SX_EUlSW_E_NS1_11comp_targetILNS1_3genE2ELNS1_11target_archE906ELNS1_3gpuE6ELNS1_3repE0EEENS1_30default_config_static_selectorELNS0_4arch9wavefront6targetE1EEEvT1_,"axG",@progbits,_ZN7rocprim17ROCPRIM_400000_NS6detail17trampoline_kernelINS0_14default_configENS1_27scan_by_key_config_selectorIisEEZZNS1_16scan_by_key_implILNS1_25lookback_scan_determinismE0ELb1ES3_N6thrust23THRUST_200600_302600_NS6detail15normal_iteratorINS9_10device_ptrIiEEEENSB_INSC_IsEEEESG_sNS9_4plusIvEENS9_8equal_toIvEEsEE10hipError_tPvRmT2_T3_T4_T5_mT6_T7_P12ihipStream_tbENKUlT_T0_E_clISt17integral_constantIbLb0EES10_IbLb1EEEEDaSW_SX_EUlSW_E_NS1_11comp_targetILNS1_3genE2ELNS1_11target_archE906ELNS1_3gpuE6ELNS1_3repE0EEENS1_30default_config_static_selectorELNS0_4arch9wavefront6targetE1EEEvT1_,comdat
	.protected	_ZN7rocprim17ROCPRIM_400000_NS6detail17trampoline_kernelINS0_14default_configENS1_27scan_by_key_config_selectorIisEEZZNS1_16scan_by_key_implILNS1_25lookback_scan_determinismE0ELb1ES3_N6thrust23THRUST_200600_302600_NS6detail15normal_iteratorINS9_10device_ptrIiEEEENSB_INSC_IsEEEESG_sNS9_4plusIvEENS9_8equal_toIvEEsEE10hipError_tPvRmT2_T3_T4_T5_mT6_T7_P12ihipStream_tbENKUlT_T0_E_clISt17integral_constantIbLb0EES10_IbLb1EEEEDaSW_SX_EUlSW_E_NS1_11comp_targetILNS1_3genE2ELNS1_11target_archE906ELNS1_3gpuE6ELNS1_3repE0EEENS1_30default_config_static_selectorELNS0_4arch9wavefront6targetE1EEEvT1_ ; -- Begin function _ZN7rocprim17ROCPRIM_400000_NS6detail17trampoline_kernelINS0_14default_configENS1_27scan_by_key_config_selectorIisEEZZNS1_16scan_by_key_implILNS1_25lookback_scan_determinismE0ELb1ES3_N6thrust23THRUST_200600_302600_NS6detail15normal_iteratorINS9_10device_ptrIiEEEENSB_INSC_IsEEEESG_sNS9_4plusIvEENS9_8equal_toIvEEsEE10hipError_tPvRmT2_T3_T4_T5_mT6_T7_P12ihipStream_tbENKUlT_T0_E_clISt17integral_constantIbLb0EES10_IbLb1EEEEDaSW_SX_EUlSW_E_NS1_11comp_targetILNS1_3genE2ELNS1_11target_archE906ELNS1_3gpuE6ELNS1_3repE0EEENS1_30default_config_static_selectorELNS0_4arch9wavefront6targetE1EEEvT1_
	.globl	_ZN7rocprim17ROCPRIM_400000_NS6detail17trampoline_kernelINS0_14default_configENS1_27scan_by_key_config_selectorIisEEZZNS1_16scan_by_key_implILNS1_25lookback_scan_determinismE0ELb1ES3_N6thrust23THRUST_200600_302600_NS6detail15normal_iteratorINS9_10device_ptrIiEEEENSB_INSC_IsEEEESG_sNS9_4plusIvEENS9_8equal_toIvEEsEE10hipError_tPvRmT2_T3_T4_T5_mT6_T7_P12ihipStream_tbENKUlT_T0_E_clISt17integral_constantIbLb0EES10_IbLb1EEEEDaSW_SX_EUlSW_E_NS1_11comp_targetILNS1_3genE2ELNS1_11target_archE906ELNS1_3gpuE6ELNS1_3repE0EEENS1_30default_config_static_selectorELNS0_4arch9wavefront6targetE1EEEvT1_
	.p2align	8
	.type	_ZN7rocprim17ROCPRIM_400000_NS6detail17trampoline_kernelINS0_14default_configENS1_27scan_by_key_config_selectorIisEEZZNS1_16scan_by_key_implILNS1_25lookback_scan_determinismE0ELb1ES3_N6thrust23THRUST_200600_302600_NS6detail15normal_iteratorINS9_10device_ptrIiEEEENSB_INSC_IsEEEESG_sNS9_4plusIvEENS9_8equal_toIvEEsEE10hipError_tPvRmT2_T3_T4_T5_mT6_T7_P12ihipStream_tbENKUlT_T0_E_clISt17integral_constantIbLb0EES10_IbLb1EEEEDaSW_SX_EUlSW_E_NS1_11comp_targetILNS1_3genE2ELNS1_11target_archE906ELNS1_3gpuE6ELNS1_3repE0EEENS1_30default_config_static_selectorELNS0_4arch9wavefront6targetE1EEEvT1_,@function
_ZN7rocprim17ROCPRIM_400000_NS6detail17trampoline_kernelINS0_14default_configENS1_27scan_by_key_config_selectorIisEEZZNS1_16scan_by_key_implILNS1_25lookback_scan_determinismE0ELb1ES3_N6thrust23THRUST_200600_302600_NS6detail15normal_iteratorINS9_10device_ptrIiEEEENSB_INSC_IsEEEESG_sNS9_4plusIvEENS9_8equal_toIvEEsEE10hipError_tPvRmT2_T3_T4_T5_mT6_T7_P12ihipStream_tbENKUlT_T0_E_clISt17integral_constantIbLb0EES10_IbLb1EEEEDaSW_SX_EUlSW_E_NS1_11comp_targetILNS1_3genE2ELNS1_11target_archE906ELNS1_3gpuE6ELNS1_3repE0EEENS1_30default_config_static_selectorELNS0_4arch9wavefront6targetE1EEEvT1_: ; @_ZN7rocprim17ROCPRIM_400000_NS6detail17trampoline_kernelINS0_14default_configENS1_27scan_by_key_config_selectorIisEEZZNS1_16scan_by_key_implILNS1_25lookback_scan_determinismE0ELb1ES3_N6thrust23THRUST_200600_302600_NS6detail15normal_iteratorINS9_10device_ptrIiEEEENSB_INSC_IsEEEESG_sNS9_4plusIvEENS9_8equal_toIvEEsEE10hipError_tPvRmT2_T3_T4_T5_mT6_T7_P12ihipStream_tbENKUlT_T0_E_clISt17integral_constantIbLb0EES10_IbLb1EEEEDaSW_SX_EUlSW_E_NS1_11comp_targetILNS1_3genE2ELNS1_11target_archE906ELNS1_3gpuE6ELNS1_3repE0EEENS1_30default_config_static_selectorELNS0_4arch9wavefront6targetE1EEEvT1_
; %bb.0:
	.section	.rodata,"a",@progbits
	.p2align	6, 0x0
	.amdhsa_kernel _ZN7rocprim17ROCPRIM_400000_NS6detail17trampoline_kernelINS0_14default_configENS1_27scan_by_key_config_selectorIisEEZZNS1_16scan_by_key_implILNS1_25lookback_scan_determinismE0ELb1ES3_N6thrust23THRUST_200600_302600_NS6detail15normal_iteratorINS9_10device_ptrIiEEEENSB_INSC_IsEEEESG_sNS9_4plusIvEENS9_8equal_toIvEEsEE10hipError_tPvRmT2_T3_T4_T5_mT6_T7_P12ihipStream_tbENKUlT_T0_E_clISt17integral_constantIbLb0EES10_IbLb1EEEEDaSW_SX_EUlSW_E_NS1_11comp_targetILNS1_3genE2ELNS1_11target_archE906ELNS1_3gpuE6ELNS1_3repE0EEENS1_30default_config_static_selectorELNS0_4arch9wavefront6targetE1EEEvT1_
		.amdhsa_group_segment_fixed_size 0
		.amdhsa_private_segment_fixed_size 0
		.amdhsa_kernarg_size 112
		.amdhsa_user_sgpr_count 6
		.amdhsa_user_sgpr_private_segment_buffer 1
		.amdhsa_user_sgpr_dispatch_ptr 0
		.amdhsa_user_sgpr_queue_ptr 0
		.amdhsa_user_sgpr_kernarg_segment_ptr 1
		.amdhsa_user_sgpr_dispatch_id 0
		.amdhsa_user_sgpr_flat_scratch_init 0
		.amdhsa_user_sgpr_kernarg_preload_length 0
		.amdhsa_user_sgpr_kernarg_preload_offset 0
		.amdhsa_user_sgpr_private_segment_size 0
		.amdhsa_uses_dynamic_stack 0
		.amdhsa_system_sgpr_private_segment_wavefront_offset 0
		.amdhsa_system_sgpr_workgroup_id_x 1
		.amdhsa_system_sgpr_workgroup_id_y 0
		.amdhsa_system_sgpr_workgroup_id_z 0
		.amdhsa_system_sgpr_workgroup_info 0
		.amdhsa_system_vgpr_workitem_id 0
		.amdhsa_next_free_vgpr 1
		.amdhsa_next_free_sgpr 0
		.amdhsa_accum_offset 4
		.amdhsa_reserve_vcc 0
		.amdhsa_reserve_flat_scratch 0
		.amdhsa_float_round_mode_32 0
		.amdhsa_float_round_mode_16_64 0
		.amdhsa_float_denorm_mode_32 3
		.amdhsa_float_denorm_mode_16_64 3
		.amdhsa_dx10_clamp 1
		.amdhsa_ieee_mode 1
		.amdhsa_fp16_overflow 0
		.amdhsa_tg_split 0
		.amdhsa_exception_fp_ieee_invalid_op 0
		.amdhsa_exception_fp_denorm_src 0
		.amdhsa_exception_fp_ieee_div_zero 0
		.amdhsa_exception_fp_ieee_overflow 0
		.amdhsa_exception_fp_ieee_underflow 0
		.amdhsa_exception_fp_ieee_inexact 0
		.amdhsa_exception_int_div_zero 0
	.end_amdhsa_kernel
	.section	.text._ZN7rocprim17ROCPRIM_400000_NS6detail17trampoline_kernelINS0_14default_configENS1_27scan_by_key_config_selectorIisEEZZNS1_16scan_by_key_implILNS1_25lookback_scan_determinismE0ELb1ES3_N6thrust23THRUST_200600_302600_NS6detail15normal_iteratorINS9_10device_ptrIiEEEENSB_INSC_IsEEEESG_sNS9_4plusIvEENS9_8equal_toIvEEsEE10hipError_tPvRmT2_T3_T4_T5_mT6_T7_P12ihipStream_tbENKUlT_T0_E_clISt17integral_constantIbLb0EES10_IbLb1EEEEDaSW_SX_EUlSW_E_NS1_11comp_targetILNS1_3genE2ELNS1_11target_archE906ELNS1_3gpuE6ELNS1_3repE0EEENS1_30default_config_static_selectorELNS0_4arch9wavefront6targetE1EEEvT1_,"axG",@progbits,_ZN7rocprim17ROCPRIM_400000_NS6detail17trampoline_kernelINS0_14default_configENS1_27scan_by_key_config_selectorIisEEZZNS1_16scan_by_key_implILNS1_25lookback_scan_determinismE0ELb1ES3_N6thrust23THRUST_200600_302600_NS6detail15normal_iteratorINS9_10device_ptrIiEEEENSB_INSC_IsEEEESG_sNS9_4plusIvEENS9_8equal_toIvEEsEE10hipError_tPvRmT2_T3_T4_T5_mT6_T7_P12ihipStream_tbENKUlT_T0_E_clISt17integral_constantIbLb0EES10_IbLb1EEEEDaSW_SX_EUlSW_E_NS1_11comp_targetILNS1_3genE2ELNS1_11target_archE906ELNS1_3gpuE6ELNS1_3repE0EEENS1_30default_config_static_selectorELNS0_4arch9wavefront6targetE1EEEvT1_,comdat
.Lfunc_end1639:
	.size	_ZN7rocprim17ROCPRIM_400000_NS6detail17trampoline_kernelINS0_14default_configENS1_27scan_by_key_config_selectorIisEEZZNS1_16scan_by_key_implILNS1_25lookback_scan_determinismE0ELb1ES3_N6thrust23THRUST_200600_302600_NS6detail15normal_iteratorINS9_10device_ptrIiEEEENSB_INSC_IsEEEESG_sNS9_4plusIvEENS9_8equal_toIvEEsEE10hipError_tPvRmT2_T3_T4_T5_mT6_T7_P12ihipStream_tbENKUlT_T0_E_clISt17integral_constantIbLb0EES10_IbLb1EEEEDaSW_SX_EUlSW_E_NS1_11comp_targetILNS1_3genE2ELNS1_11target_archE906ELNS1_3gpuE6ELNS1_3repE0EEENS1_30default_config_static_selectorELNS0_4arch9wavefront6targetE1EEEvT1_, .Lfunc_end1639-_ZN7rocprim17ROCPRIM_400000_NS6detail17trampoline_kernelINS0_14default_configENS1_27scan_by_key_config_selectorIisEEZZNS1_16scan_by_key_implILNS1_25lookback_scan_determinismE0ELb1ES3_N6thrust23THRUST_200600_302600_NS6detail15normal_iteratorINS9_10device_ptrIiEEEENSB_INSC_IsEEEESG_sNS9_4plusIvEENS9_8equal_toIvEEsEE10hipError_tPvRmT2_T3_T4_T5_mT6_T7_P12ihipStream_tbENKUlT_T0_E_clISt17integral_constantIbLb0EES10_IbLb1EEEEDaSW_SX_EUlSW_E_NS1_11comp_targetILNS1_3genE2ELNS1_11target_archE906ELNS1_3gpuE6ELNS1_3repE0EEENS1_30default_config_static_selectorELNS0_4arch9wavefront6targetE1EEEvT1_
                                        ; -- End function
	.section	.AMDGPU.csdata,"",@progbits
; Kernel info:
; codeLenInByte = 0
; NumSgprs: 4
; NumVgprs: 0
; NumAgprs: 0
; TotalNumVgprs: 0
; ScratchSize: 0
; MemoryBound: 0
; FloatMode: 240
; IeeeMode: 1
; LDSByteSize: 0 bytes/workgroup (compile time only)
; SGPRBlocks: 0
; VGPRBlocks: 0
; NumSGPRsForWavesPerEU: 4
; NumVGPRsForWavesPerEU: 1
; AccumOffset: 4
; Occupancy: 8
; WaveLimiterHint : 0
; COMPUTE_PGM_RSRC2:SCRATCH_EN: 0
; COMPUTE_PGM_RSRC2:USER_SGPR: 6
; COMPUTE_PGM_RSRC2:TRAP_HANDLER: 0
; COMPUTE_PGM_RSRC2:TGID_X_EN: 1
; COMPUTE_PGM_RSRC2:TGID_Y_EN: 0
; COMPUTE_PGM_RSRC2:TGID_Z_EN: 0
; COMPUTE_PGM_RSRC2:TIDIG_COMP_CNT: 0
; COMPUTE_PGM_RSRC3_GFX90A:ACCUM_OFFSET: 0
; COMPUTE_PGM_RSRC3_GFX90A:TG_SPLIT: 0
	.section	.text._ZN7rocprim17ROCPRIM_400000_NS6detail17trampoline_kernelINS0_14default_configENS1_27scan_by_key_config_selectorIisEEZZNS1_16scan_by_key_implILNS1_25lookback_scan_determinismE0ELb1ES3_N6thrust23THRUST_200600_302600_NS6detail15normal_iteratorINS9_10device_ptrIiEEEENSB_INSC_IsEEEESG_sNS9_4plusIvEENS9_8equal_toIvEEsEE10hipError_tPvRmT2_T3_T4_T5_mT6_T7_P12ihipStream_tbENKUlT_T0_E_clISt17integral_constantIbLb0EES10_IbLb1EEEEDaSW_SX_EUlSW_E_NS1_11comp_targetILNS1_3genE10ELNS1_11target_archE1200ELNS1_3gpuE4ELNS1_3repE0EEENS1_30default_config_static_selectorELNS0_4arch9wavefront6targetE1EEEvT1_,"axG",@progbits,_ZN7rocprim17ROCPRIM_400000_NS6detail17trampoline_kernelINS0_14default_configENS1_27scan_by_key_config_selectorIisEEZZNS1_16scan_by_key_implILNS1_25lookback_scan_determinismE0ELb1ES3_N6thrust23THRUST_200600_302600_NS6detail15normal_iteratorINS9_10device_ptrIiEEEENSB_INSC_IsEEEESG_sNS9_4plusIvEENS9_8equal_toIvEEsEE10hipError_tPvRmT2_T3_T4_T5_mT6_T7_P12ihipStream_tbENKUlT_T0_E_clISt17integral_constantIbLb0EES10_IbLb1EEEEDaSW_SX_EUlSW_E_NS1_11comp_targetILNS1_3genE10ELNS1_11target_archE1200ELNS1_3gpuE4ELNS1_3repE0EEENS1_30default_config_static_selectorELNS0_4arch9wavefront6targetE1EEEvT1_,comdat
	.protected	_ZN7rocprim17ROCPRIM_400000_NS6detail17trampoline_kernelINS0_14default_configENS1_27scan_by_key_config_selectorIisEEZZNS1_16scan_by_key_implILNS1_25lookback_scan_determinismE0ELb1ES3_N6thrust23THRUST_200600_302600_NS6detail15normal_iteratorINS9_10device_ptrIiEEEENSB_INSC_IsEEEESG_sNS9_4plusIvEENS9_8equal_toIvEEsEE10hipError_tPvRmT2_T3_T4_T5_mT6_T7_P12ihipStream_tbENKUlT_T0_E_clISt17integral_constantIbLb0EES10_IbLb1EEEEDaSW_SX_EUlSW_E_NS1_11comp_targetILNS1_3genE10ELNS1_11target_archE1200ELNS1_3gpuE4ELNS1_3repE0EEENS1_30default_config_static_selectorELNS0_4arch9wavefront6targetE1EEEvT1_ ; -- Begin function _ZN7rocprim17ROCPRIM_400000_NS6detail17trampoline_kernelINS0_14default_configENS1_27scan_by_key_config_selectorIisEEZZNS1_16scan_by_key_implILNS1_25lookback_scan_determinismE0ELb1ES3_N6thrust23THRUST_200600_302600_NS6detail15normal_iteratorINS9_10device_ptrIiEEEENSB_INSC_IsEEEESG_sNS9_4plusIvEENS9_8equal_toIvEEsEE10hipError_tPvRmT2_T3_T4_T5_mT6_T7_P12ihipStream_tbENKUlT_T0_E_clISt17integral_constantIbLb0EES10_IbLb1EEEEDaSW_SX_EUlSW_E_NS1_11comp_targetILNS1_3genE10ELNS1_11target_archE1200ELNS1_3gpuE4ELNS1_3repE0EEENS1_30default_config_static_selectorELNS0_4arch9wavefront6targetE1EEEvT1_
	.globl	_ZN7rocprim17ROCPRIM_400000_NS6detail17trampoline_kernelINS0_14default_configENS1_27scan_by_key_config_selectorIisEEZZNS1_16scan_by_key_implILNS1_25lookback_scan_determinismE0ELb1ES3_N6thrust23THRUST_200600_302600_NS6detail15normal_iteratorINS9_10device_ptrIiEEEENSB_INSC_IsEEEESG_sNS9_4plusIvEENS9_8equal_toIvEEsEE10hipError_tPvRmT2_T3_T4_T5_mT6_T7_P12ihipStream_tbENKUlT_T0_E_clISt17integral_constantIbLb0EES10_IbLb1EEEEDaSW_SX_EUlSW_E_NS1_11comp_targetILNS1_3genE10ELNS1_11target_archE1200ELNS1_3gpuE4ELNS1_3repE0EEENS1_30default_config_static_selectorELNS0_4arch9wavefront6targetE1EEEvT1_
	.p2align	8
	.type	_ZN7rocprim17ROCPRIM_400000_NS6detail17trampoline_kernelINS0_14default_configENS1_27scan_by_key_config_selectorIisEEZZNS1_16scan_by_key_implILNS1_25lookback_scan_determinismE0ELb1ES3_N6thrust23THRUST_200600_302600_NS6detail15normal_iteratorINS9_10device_ptrIiEEEENSB_INSC_IsEEEESG_sNS9_4plusIvEENS9_8equal_toIvEEsEE10hipError_tPvRmT2_T3_T4_T5_mT6_T7_P12ihipStream_tbENKUlT_T0_E_clISt17integral_constantIbLb0EES10_IbLb1EEEEDaSW_SX_EUlSW_E_NS1_11comp_targetILNS1_3genE10ELNS1_11target_archE1200ELNS1_3gpuE4ELNS1_3repE0EEENS1_30default_config_static_selectorELNS0_4arch9wavefront6targetE1EEEvT1_,@function
_ZN7rocprim17ROCPRIM_400000_NS6detail17trampoline_kernelINS0_14default_configENS1_27scan_by_key_config_selectorIisEEZZNS1_16scan_by_key_implILNS1_25lookback_scan_determinismE0ELb1ES3_N6thrust23THRUST_200600_302600_NS6detail15normal_iteratorINS9_10device_ptrIiEEEENSB_INSC_IsEEEESG_sNS9_4plusIvEENS9_8equal_toIvEEsEE10hipError_tPvRmT2_T3_T4_T5_mT6_T7_P12ihipStream_tbENKUlT_T0_E_clISt17integral_constantIbLb0EES10_IbLb1EEEEDaSW_SX_EUlSW_E_NS1_11comp_targetILNS1_3genE10ELNS1_11target_archE1200ELNS1_3gpuE4ELNS1_3repE0EEENS1_30default_config_static_selectorELNS0_4arch9wavefront6targetE1EEEvT1_: ; @_ZN7rocprim17ROCPRIM_400000_NS6detail17trampoline_kernelINS0_14default_configENS1_27scan_by_key_config_selectorIisEEZZNS1_16scan_by_key_implILNS1_25lookback_scan_determinismE0ELb1ES3_N6thrust23THRUST_200600_302600_NS6detail15normal_iteratorINS9_10device_ptrIiEEEENSB_INSC_IsEEEESG_sNS9_4plusIvEENS9_8equal_toIvEEsEE10hipError_tPvRmT2_T3_T4_T5_mT6_T7_P12ihipStream_tbENKUlT_T0_E_clISt17integral_constantIbLb0EES10_IbLb1EEEEDaSW_SX_EUlSW_E_NS1_11comp_targetILNS1_3genE10ELNS1_11target_archE1200ELNS1_3gpuE4ELNS1_3repE0EEENS1_30default_config_static_selectorELNS0_4arch9wavefront6targetE1EEEvT1_
; %bb.0:
	.section	.rodata,"a",@progbits
	.p2align	6, 0x0
	.amdhsa_kernel _ZN7rocprim17ROCPRIM_400000_NS6detail17trampoline_kernelINS0_14default_configENS1_27scan_by_key_config_selectorIisEEZZNS1_16scan_by_key_implILNS1_25lookback_scan_determinismE0ELb1ES3_N6thrust23THRUST_200600_302600_NS6detail15normal_iteratorINS9_10device_ptrIiEEEENSB_INSC_IsEEEESG_sNS9_4plusIvEENS9_8equal_toIvEEsEE10hipError_tPvRmT2_T3_T4_T5_mT6_T7_P12ihipStream_tbENKUlT_T0_E_clISt17integral_constantIbLb0EES10_IbLb1EEEEDaSW_SX_EUlSW_E_NS1_11comp_targetILNS1_3genE10ELNS1_11target_archE1200ELNS1_3gpuE4ELNS1_3repE0EEENS1_30default_config_static_selectorELNS0_4arch9wavefront6targetE1EEEvT1_
		.amdhsa_group_segment_fixed_size 0
		.amdhsa_private_segment_fixed_size 0
		.amdhsa_kernarg_size 112
		.amdhsa_user_sgpr_count 6
		.amdhsa_user_sgpr_private_segment_buffer 1
		.amdhsa_user_sgpr_dispatch_ptr 0
		.amdhsa_user_sgpr_queue_ptr 0
		.amdhsa_user_sgpr_kernarg_segment_ptr 1
		.amdhsa_user_sgpr_dispatch_id 0
		.amdhsa_user_sgpr_flat_scratch_init 0
		.amdhsa_user_sgpr_kernarg_preload_length 0
		.amdhsa_user_sgpr_kernarg_preload_offset 0
		.amdhsa_user_sgpr_private_segment_size 0
		.amdhsa_uses_dynamic_stack 0
		.amdhsa_system_sgpr_private_segment_wavefront_offset 0
		.amdhsa_system_sgpr_workgroup_id_x 1
		.amdhsa_system_sgpr_workgroup_id_y 0
		.amdhsa_system_sgpr_workgroup_id_z 0
		.amdhsa_system_sgpr_workgroup_info 0
		.amdhsa_system_vgpr_workitem_id 0
		.amdhsa_next_free_vgpr 1
		.amdhsa_next_free_sgpr 0
		.amdhsa_accum_offset 4
		.amdhsa_reserve_vcc 0
		.amdhsa_reserve_flat_scratch 0
		.amdhsa_float_round_mode_32 0
		.amdhsa_float_round_mode_16_64 0
		.amdhsa_float_denorm_mode_32 3
		.amdhsa_float_denorm_mode_16_64 3
		.amdhsa_dx10_clamp 1
		.amdhsa_ieee_mode 1
		.amdhsa_fp16_overflow 0
		.amdhsa_tg_split 0
		.amdhsa_exception_fp_ieee_invalid_op 0
		.amdhsa_exception_fp_denorm_src 0
		.amdhsa_exception_fp_ieee_div_zero 0
		.amdhsa_exception_fp_ieee_overflow 0
		.amdhsa_exception_fp_ieee_underflow 0
		.amdhsa_exception_fp_ieee_inexact 0
		.amdhsa_exception_int_div_zero 0
	.end_amdhsa_kernel
	.section	.text._ZN7rocprim17ROCPRIM_400000_NS6detail17trampoline_kernelINS0_14default_configENS1_27scan_by_key_config_selectorIisEEZZNS1_16scan_by_key_implILNS1_25lookback_scan_determinismE0ELb1ES3_N6thrust23THRUST_200600_302600_NS6detail15normal_iteratorINS9_10device_ptrIiEEEENSB_INSC_IsEEEESG_sNS9_4plusIvEENS9_8equal_toIvEEsEE10hipError_tPvRmT2_T3_T4_T5_mT6_T7_P12ihipStream_tbENKUlT_T0_E_clISt17integral_constantIbLb0EES10_IbLb1EEEEDaSW_SX_EUlSW_E_NS1_11comp_targetILNS1_3genE10ELNS1_11target_archE1200ELNS1_3gpuE4ELNS1_3repE0EEENS1_30default_config_static_selectorELNS0_4arch9wavefront6targetE1EEEvT1_,"axG",@progbits,_ZN7rocprim17ROCPRIM_400000_NS6detail17trampoline_kernelINS0_14default_configENS1_27scan_by_key_config_selectorIisEEZZNS1_16scan_by_key_implILNS1_25lookback_scan_determinismE0ELb1ES3_N6thrust23THRUST_200600_302600_NS6detail15normal_iteratorINS9_10device_ptrIiEEEENSB_INSC_IsEEEESG_sNS9_4plusIvEENS9_8equal_toIvEEsEE10hipError_tPvRmT2_T3_T4_T5_mT6_T7_P12ihipStream_tbENKUlT_T0_E_clISt17integral_constantIbLb0EES10_IbLb1EEEEDaSW_SX_EUlSW_E_NS1_11comp_targetILNS1_3genE10ELNS1_11target_archE1200ELNS1_3gpuE4ELNS1_3repE0EEENS1_30default_config_static_selectorELNS0_4arch9wavefront6targetE1EEEvT1_,comdat
.Lfunc_end1640:
	.size	_ZN7rocprim17ROCPRIM_400000_NS6detail17trampoline_kernelINS0_14default_configENS1_27scan_by_key_config_selectorIisEEZZNS1_16scan_by_key_implILNS1_25lookback_scan_determinismE0ELb1ES3_N6thrust23THRUST_200600_302600_NS6detail15normal_iteratorINS9_10device_ptrIiEEEENSB_INSC_IsEEEESG_sNS9_4plusIvEENS9_8equal_toIvEEsEE10hipError_tPvRmT2_T3_T4_T5_mT6_T7_P12ihipStream_tbENKUlT_T0_E_clISt17integral_constantIbLb0EES10_IbLb1EEEEDaSW_SX_EUlSW_E_NS1_11comp_targetILNS1_3genE10ELNS1_11target_archE1200ELNS1_3gpuE4ELNS1_3repE0EEENS1_30default_config_static_selectorELNS0_4arch9wavefront6targetE1EEEvT1_, .Lfunc_end1640-_ZN7rocprim17ROCPRIM_400000_NS6detail17trampoline_kernelINS0_14default_configENS1_27scan_by_key_config_selectorIisEEZZNS1_16scan_by_key_implILNS1_25lookback_scan_determinismE0ELb1ES3_N6thrust23THRUST_200600_302600_NS6detail15normal_iteratorINS9_10device_ptrIiEEEENSB_INSC_IsEEEESG_sNS9_4plusIvEENS9_8equal_toIvEEsEE10hipError_tPvRmT2_T3_T4_T5_mT6_T7_P12ihipStream_tbENKUlT_T0_E_clISt17integral_constantIbLb0EES10_IbLb1EEEEDaSW_SX_EUlSW_E_NS1_11comp_targetILNS1_3genE10ELNS1_11target_archE1200ELNS1_3gpuE4ELNS1_3repE0EEENS1_30default_config_static_selectorELNS0_4arch9wavefront6targetE1EEEvT1_
                                        ; -- End function
	.section	.AMDGPU.csdata,"",@progbits
; Kernel info:
; codeLenInByte = 0
; NumSgprs: 4
; NumVgprs: 0
; NumAgprs: 0
; TotalNumVgprs: 0
; ScratchSize: 0
; MemoryBound: 0
; FloatMode: 240
; IeeeMode: 1
; LDSByteSize: 0 bytes/workgroup (compile time only)
; SGPRBlocks: 0
; VGPRBlocks: 0
; NumSGPRsForWavesPerEU: 4
; NumVGPRsForWavesPerEU: 1
; AccumOffset: 4
; Occupancy: 8
; WaveLimiterHint : 0
; COMPUTE_PGM_RSRC2:SCRATCH_EN: 0
; COMPUTE_PGM_RSRC2:USER_SGPR: 6
; COMPUTE_PGM_RSRC2:TRAP_HANDLER: 0
; COMPUTE_PGM_RSRC2:TGID_X_EN: 1
; COMPUTE_PGM_RSRC2:TGID_Y_EN: 0
; COMPUTE_PGM_RSRC2:TGID_Z_EN: 0
; COMPUTE_PGM_RSRC2:TIDIG_COMP_CNT: 0
; COMPUTE_PGM_RSRC3_GFX90A:ACCUM_OFFSET: 0
; COMPUTE_PGM_RSRC3_GFX90A:TG_SPLIT: 0
	.section	.text._ZN7rocprim17ROCPRIM_400000_NS6detail17trampoline_kernelINS0_14default_configENS1_27scan_by_key_config_selectorIisEEZZNS1_16scan_by_key_implILNS1_25lookback_scan_determinismE0ELb1ES3_N6thrust23THRUST_200600_302600_NS6detail15normal_iteratorINS9_10device_ptrIiEEEENSB_INSC_IsEEEESG_sNS9_4plusIvEENS9_8equal_toIvEEsEE10hipError_tPvRmT2_T3_T4_T5_mT6_T7_P12ihipStream_tbENKUlT_T0_E_clISt17integral_constantIbLb0EES10_IbLb1EEEEDaSW_SX_EUlSW_E_NS1_11comp_targetILNS1_3genE9ELNS1_11target_archE1100ELNS1_3gpuE3ELNS1_3repE0EEENS1_30default_config_static_selectorELNS0_4arch9wavefront6targetE1EEEvT1_,"axG",@progbits,_ZN7rocprim17ROCPRIM_400000_NS6detail17trampoline_kernelINS0_14default_configENS1_27scan_by_key_config_selectorIisEEZZNS1_16scan_by_key_implILNS1_25lookback_scan_determinismE0ELb1ES3_N6thrust23THRUST_200600_302600_NS6detail15normal_iteratorINS9_10device_ptrIiEEEENSB_INSC_IsEEEESG_sNS9_4plusIvEENS9_8equal_toIvEEsEE10hipError_tPvRmT2_T3_T4_T5_mT6_T7_P12ihipStream_tbENKUlT_T0_E_clISt17integral_constantIbLb0EES10_IbLb1EEEEDaSW_SX_EUlSW_E_NS1_11comp_targetILNS1_3genE9ELNS1_11target_archE1100ELNS1_3gpuE3ELNS1_3repE0EEENS1_30default_config_static_selectorELNS0_4arch9wavefront6targetE1EEEvT1_,comdat
	.protected	_ZN7rocprim17ROCPRIM_400000_NS6detail17trampoline_kernelINS0_14default_configENS1_27scan_by_key_config_selectorIisEEZZNS1_16scan_by_key_implILNS1_25lookback_scan_determinismE0ELb1ES3_N6thrust23THRUST_200600_302600_NS6detail15normal_iteratorINS9_10device_ptrIiEEEENSB_INSC_IsEEEESG_sNS9_4plusIvEENS9_8equal_toIvEEsEE10hipError_tPvRmT2_T3_T4_T5_mT6_T7_P12ihipStream_tbENKUlT_T0_E_clISt17integral_constantIbLb0EES10_IbLb1EEEEDaSW_SX_EUlSW_E_NS1_11comp_targetILNS1_3genE9ELNS1_11target_archE1100ELNS1_3gpuE3ELNS1_3repE0EEENS1_30default_config_static_selectorELNS0_4arch9wavefront6targetE1EEEvT1_ ; -- Begin function _ZN7rocprim17ROCPRIM_400000_NS6detail17trampoline_kernelINS0_14default_configENS1_27scan_by_key_config_selectorIisEEZZNS1_16scan_by_key_implILNS1_25lookback_scan_determinismE0ELb1ES3_N6thrust23THRUST_200600_302600_NS6detail15normal_iteratorINS9_10device_ptrIiEEEENSB_INSC_IsEEEESG_sNS9_4plusIvEENS9_8equal_toIvEEsEE10hipError_tPvRmT2_T3_T4_T5_mT6_T7_P12ihipStream_tbENKUlT_T0_E_clISt17integral_constantIbLb0EES10_IbLb1EEEEDaSW_SX_EUlSW_E_NS1_11comp_targetILNS1_3genE9ELNS1_11target_archE1100ELNS1_3gpuE3ELNS1_3repE0EEENS1_30default_config_static_selectorELNS0_4arch9wavefront6targetE1EEEvT1_
	.globl	_ZN7rocprim17ROCPRIM_400000_NS6detail17trampoline_kernelINS0_14default_configENS1_27scan_by_key_config_selectorIisEEZZNS1_16scan_by_key_implILNS1_25lookback_scan_determinismE0ELb1ES3_N6thrust23THRUST_200600_302600_NS6detail15normal_iteratorINS9_10device_ptrIiEEEENSB_INSC_IsEEEESG_sNS9_4plusIvEENS9_8equal_toIvEEsEE10hipError_tPvRmT2_T3_T4_T5_mT6_T7_P12ihipStream_tbENKUlT_T0_E_clISt17integral_constantIbLb0EES10_IbLb1EEEEDaSW_SX_EUlSW_E_NS1_11comp_targetILNS1_3genE9ELNS1_11target_archE1100ELNS1_3gpuE3ELNS1_3repE0EEENS1_30default_config_static_selectorELNS0_4arch9wavefront6targetE1EEEvT1_
	.p2align	8
	.type	_ZN7rocprim17ROCPRIM_400000_NS6detail17trampoline_kernelINS0_14default_configENS1_27scan_by_key_config_selectorIisEEZZNS1_16scan_by_key_implILNS1_25lookback_scan_determinismE0ELb1ES3_N6thrust23THRUST_200600_302600_NS6detail15normal_iteratorINS9_10device_ptrIiEEEENSB_INSC_IsEEEESG_sNS9_4plusIvEENS9_8equal_toIvEEsEE10hipError_tPvRmT2_T3_T4_T5_mT6_T7_P12ihipStream_tbENKUlT_T0_E_clISt17integral_constantIbLb0EES10_IbLb1EEEEDaSW_SX_EUlSW_E_NS1_11comp_targetILNS1_3genE9ELNS1_11target_archE1100ELNS1_3gpuE3ELNS1_3repE0EEENS1_30default_config_static_selectorELNS0_4arch9wavefront6targetE1EEEvT1_,@function
_ZN7rocprim17ROCPRIM_400000_NS6detail17trampoline_kernelINS0_14default_configENS1_27scan_by_key_config_selectorIisEEZZNS1_16scan_by_key_implILNS1_25lookback_scan_determinismE0ELb1ES3_N6thrust23THRUST_200600_302600_NS6detail15normal_iteratorINS9_10device_ptrIiEEEENSB_INSC_IsEEEESG_sNS9_4plusIvEENS9_8equal_toIvEEsEE10hipError_tPvRmT2_T3_T4_T5_mT6_T7_P12ihipStream_tbENKUlT_T0_E_clISt17integral_constantIbLb0EES10_IbLb1EEEEDaSW_SX_EUlSW_E_NS1_11comp_targetILNS1_3genE9ELNS1_11target_archE1100ELNS1_3gpuE3ELNS1_3repE0EEENS1_30default_config_static_selectorELNS0_4arch9wavefront6targetE1EEEvT1_: ; @_ZN7rocprim17ROCPRIM_400000_NS6detail17trampoline_kernelINS0_14default_configENS1_27scan_by_key_config_selectorIisEEZZNS1_16scan_by_key_implILNS1_25lookback_scan_determinismE0ELb1ES3_N6thrust23THRUST_200600_302600_NS6detail15normal_iteratorINS9_10device_ptrIiEEEENSB_INSC_IsEEEESG_sNS9_4plusIvEENS9_8equal_toIvEEsEE10hipError_tPvRmT2_T3_T4_T5_mT6_T7_P12ihipStream_tbENKUlT_T0_E_clISt17integral_constantIbLb0EES10_IbLb1EEEEDaSW_SX_EUlSW_E_NS1_11comp_targetILNS1_3genE9ELNS1_11target_archE1100ELNS1_3gpuE3ELNS1_3repE0EEENS1_30default_config_static_selectorELNS0_4arch9wavefront6targetE1EEEvT1_
; %bb.0:
	.section	.rodata,"a",@progbits
	.p2align	6, 0x0
	.amdhsa_kernel _ZN7rocprim17ROCPRIM_400000_NS6detail17trampoline_kernelINS0_14default_configENS1_27scan_by_key_config_selectorIisEEZZNS1_16scan_by_key_implILNS1_25lookback_scan_determinismE0ELb1ES3_N6thrust23THRUST_200600_302600_NS6detail15normal_iteratorINS9_10device_ptrIiEEEENSB_INSC_IsEEEESG_sNS9_4plusIvEENS9_8equal_toIvEEsEE10hipError_tPvRmT2_T3_T4_T5_mT6_T7_P12ihipStream_tbENKUlT_T0_E_clISt17integral_constantIbLb0EES10_IbLb1EEEEDaSW_SX_EUlSW_E_NS1_11comp_targetILNS1_3genE9ELNS1_11target_archE1100ELNS1_3gpuE3ELNS1_3repE0EEENS1_30default_config_static_selectorELNS0_4arch9wavefront6targetE1EEEvT1_
		.amdhsa_group_segment_fixed_size 0
		.amdhsa_private_segment_fixed_size 0
		.amdhsa_kernarg_size 112
		.amdhsa_user_sgpr_count 6
		.amdhsa_user_sgpr_private_segment_buffer 1
		.amdhsa_user_sgpr_dispatch_ptr 0
		.amdhsa_user_sgpr_queue_ptr 0
		.amdhsa_user_sgpr_kernarg_segment_ptr 1
		.amdhsa_user_sgpr_dispatch_id 0
		.amdhsa_user_sgpr_flat_scratch_init 0
		.amdhsa_user_sgpr_kernarg_preload_length 0
		.amdhsa_user_sgpr_kernarg_preload_offset 0
		.amdhsa_user_sgpr_private_segment_size 0
		.amdhsa_uses_dynamic_stack 0
		.amdhsa_system_sgpr_private_segment_wavefront_offset 0
		.amdhsa_system_sgpr_workgroup_id_x 1
		.amdhsa_system_sgpr_workgroup_id_y 0
		.amdhsa_system_sgpr_workgroup_id_z 0
		.amdhsa_system_sgpr_workgroup_info 0
		.amdhsa_system_vgpr_workitem_id 0
		.amdhsa_next_free_vgpr 1
		.amdhsa_next_free_sgpr 0
		.amdhsa_accum_offset 4
		.amdhsa_reserve_vcc 0
		.amdhsa_reserve_flat_scratch 0
		.amdhsa_float_round_mode_32 0
		.amdhsa_float_round_mode_16_64 0
		.amdhsa_float_denorm_mode_32 3
		.amdhsa_float_denorm_mode_16_64 3
		.amdhsa_dx10_clamp 1
		.amdhsa_ieee_mode 1
		.amdhsa_fp16_overflow 0
		.amdhsa_tg_split 0
		.amdhsa_exception_fp_ieee_invalid_op 0
		.amdhsa_exception_fp_denorm_src 0
		.amdhsa_exception_fp_ieee_div_zero 0
		.amdhsa_exception_fp_ieee_overflow 0
		.amdhsa_exception_fp_ieee_underflow 0
		.amdhsa_exception_fp_ieee_inexact 0
		.amdhsa_exception_int_div_zero 0
	.end_amdhsa_kernel
	.section	.text._ZN7rocprim17ROCPRIM_400000_NS6detail17trampoline_kernelINS0_14default_configENS1_27scan_by_key_config_selectorIisEEZZNS1_16scan_by_key_implILNS1_25lookback_scan_determinismE0ELb1ES3_N6thrust23THRUST_200600_302600_NS6detail15normal_iteratorINS9_10device_ptrIiEEEENSB_INSC_IsEEEESG_sNS9_4plusIvEENS9_8equal_toIvEEsEE10hipError_tPvRmT2_T3_T4_T5_mT6_T7_P12ihipStream_tbENKUlT_T0_E_clISt17integral_constantIbLb0EES10_IbLb1EEEEDaSW_SX_EUlSW_E_NS1_11comp_targetILNS1_3genE9ELNS1_11target_archE1100ELNS1_3gpuE3ELNS1_3repE0EEENS1_30default_config_static_selectorELNS0_4arch9wavefront6targetE1EEEvT1_,"axG",@progbits,_ZN7rocprim17ROCPRIM_400000_NS6detail17trampoline_kernelINS0_14default_configENS1_27scan_by_key_config_selectorIisEEZZNS1_16scan_by_key_implILNS1_25lookback_scan_determinismE0ELb1ES3_N6thrust23THRUST_200600_302600_NS6detail15normal_iteratorINS9_10device_ptrIiEEEENSB_INSC_IsEEEESG_sNS9_4plusIvEENS9_8equal_toIvEEsEE10hipError_tPvRmT2_T3_T4_T5_mT6_T7_P12ihipStream_tbENKUlT_T0_E_clISt17integral_constantIbLb0EES10_IbLb1EEEEDaSW_SX_EUlSW_E_NS1_11comp_targetILNS1_3genE9ELNS1_11target_archE1100ELNS1_3gpuE3ELNS1_3repE0EEENS1_30default_config_static_selectorELNS0_4arch9wavefront6targetE1EEEvT1_,comdat
.Lfunc_end1641:
	.size	_ZN7rocprim17ROCPRIM_400000_NS6detail17trampoline_kernelINS0_14default_configENS1_27scan_by_key_config_selectorIisEEZZNS1_16scan_by_key_implILNS1_25lookback_scan_determinismE0ELb1ES3_N6thrust23THRUST_200600_302600_NS6detail15normal_iteratorINS9_10device_ptrIiEEEENSB_INSC_IsEEEESG_sNS9_4plusIvEENS9_8equal_toIvEEsEE10hipError_tPvRmT2_T3_T4_T5_mT6_T7_P12ihipStream_tbENKUlT_T0_E_clISt17integral_constantIbLb0EES10_IbLb1EEEEDaSW_SX_EUlSW_E_NS1_11comp_targetILNS1_3genE9ELNS1_11target_archE1100ELNS1_3gpuE3ELNS1_3repE0EEENS1_30default_config_static_selectorELNS0_4arch9wavefront6targetE1EEEvT1_, .Lfunc_end1641-_ZN7rocprim17ROCPRIM_400000_NS6detail17trampoline_kernelINS0_14default_configENS1_27scan_by_key_config_selectorIisEEZZNS1_16scan_by_key_implILNS1_25lookback_scan_determinismE0ELb1ES3_N6thrust23THRUST_200600_302600_NS6detail15normal_iteratorINS9_10device_ptrIiEEEENSB_INSC_IsEEEESG_sNS9_4plusIvEENS9_8equal_toIvEEsEE10hipError_tPvRmT2_T3_T4_T5_mT6_T7_P12ihipStream_tbENKUlT_T0_E_clISt17integral_constantIbLb0EES10_IbLb1EEEEDaSW_SX_EUlSW_E_NS1_11comp_targetILNS1_3genE9ELNS1_11target_archE1100ELNS1_3gpuE3ELNS1_3repE0EEENS1_30default_config_static_selectorELNS0_4arch9wavefront6targetE1EEEvT1_
                                        ; -- End function
	.section	.AMDGPU.csdata,"",@progbits
; Kernel info:
; codeLenInByte = 0
; NumSgprs: 4
; NumVgprs: 0
; NumAgprs: 0
; TotalNumVgprs: 0
; ScratchSize: 0
; MemoryBound: 0
; FloatMode: 240
; IeeeMode: 1
; LDSByteSize: 0 bytes/workgroup (compile time only)
; SGPRBlocks: 0
; VGPRBlocks: 0
; NumSGPRsForWavesPerEU: 4
; NumVGPRsForWavesPerEU: 1
; AccumOffset: 4
; Occupancy: 8
; WaveLimiterHint : 0
; COMPUTE_PGM_RSRC2:SCRATCH_EN: 0
; COMPUTE_PGM_RSRC2:USER_SGPR: 6
; COMPUTE_PGM_RSRC2:TRAP_HANDLER: 0
; COMPUTE_PGM_RSRC2:TGID_X_EN: 1
; COMPUTE_PGM_RSRC2:TGID_Y_EN: 0
; COMPUTE_PGM_RSRC2:TGID_Z_EN: 0
; COMPUTE_PGM_RSRC2:TIDIG_COMP_CNT: 0
; COMPUTE_PGM_RSRC3_GFX90A:ACCUM_OFFSET: 0
; COMPUTE_PGM_RSRC3_GFX90A:TG_SPLIT: 0
	.section	.text._ZN7rocprim17ROCPRIM_400000_NS6detail17trampoline_kernelINS0_14default_configENS1_27scan_by_key_config_selectorIisEEZZNS1_16scan_by_key_implILNS1_25lookback_scan_determinismE0ELb1ES3_N6thrust23THRUST_200600_302600_NS6detail15normal_iteratorINS9_10device_ptrIiEEEENSB_INSC_IsEEEESG_sNS9_4plusIvEENS9_8equal_toIvEEsEE10hipError_tPvRmT2_T3_T4_T5_mT6_T7_P12ihipStream_tbENKUlT_T0_E_clISt17integral_constantIbLb0EES10_IbLb1EEEEDaSW_SX_EUlSW_E_NS1_11comp_targetILNS1_3genE8ELNS1_11target_archE1030ELNS1_3gpuE2ELNS1_3repE0EEENS1_30default_config_static_selectorELNS0_4arch9wavefront6targetE1EEEvT1_,"axG",@progbits,_ZN7rocprim17ROCPRIM_400000_NS6detail17trampoline_kernelINS0_14default_configENS1_27scan_by_key_config_selectorIisEEZZNS1_16scan_by_key_implILNS1_25lookback_scan_determinismE0ELb1ES3_N6thrust23THRUST_200600_302600_NS6detail15normal_iteratorINS9_10device_ptrIiEEEENSB_INSC_IsEEEESG_sNS9_4plusIvEENS9_8equal_toIvEEsEE10hipError_tPvRmT2_T3_T4_T5_mT6_T7_P12ihipStream_tbENKUlT_T0_E_clISt17integral_constantIbLb0EES10_IbLb1EEEEDaSW_SX_EUlSW_E_NS1_11comp_targetILNS1_3genE8ELNS1_11target_archE1030ELNS1_3gpuE2ELNS1_3repE0EEENS1_30default_config_static_selectorELNS0_4arch9wavefront6targetE1EEEvT1_,comdat
	.protected	_ZN7rocprim17ROCPRIM_400000_NS6detail17trampoline_kernelINS0_14default_configENS1_27scan_by_key_config_selectorIisEEZZNS1_16scan_by_key_implILNS1_25lookback_scan_determinismE0ELb1ES3_N6thrust23THRUST_200600_302600_NS6detail15normal_iteratorINS9_10device_ptrIiEEEENSB_INSC_IsEEEESG_sNS9_4plusIvEENS9_8equal_toIvEEsEE10hipError_tPvRmT2_T3_T4_T5_mT6_T7_P12ihipStream_tbENKUlT_T0_E_clISt17integral_constantIbLb0EES10_IbLb1EEEEDaSW_SX_EUlSW_E_NS1_11comp_targetILNS1_3genE8ELNS1_11target_archE1030ELNS1_3gpuE2ELNS1_3repE0EEENS1_30default_config_static_selectorELNS0_4arch9wavefront6targetE1EEEvT1_ ; -- Begin function _ZN7rocprim17ROCPRIM_400000_NS6detail17trampoline_kernelINS0_14default_configENS1_27scan_by_key_config_selectorIisEEZZNS1_16scan_by_key_implILNS1_25lookback_scan_determinismE0ELb1ES3_N6thrust23THRUST_200600_302600_NS6detail15normal_iteratorINS9_10device_ptrIiEEEENSB_INSC_IsEEEESG_sNS9_4plusIvEENS9_8equal_toIvEEsEE10hipError_tPvRmT2_T3_T4_T5_mT6_T7_P12ihipStream_tbENKUlT_T0_E_clISt17integral_constantIbLb0EES10_IbLb1EEEEDaSW_SX_EUlSW_E_NS1_11comp_targetILNS1_3genE8ELNS1_11target_archE1030ELNS1_3gpuE2ELNS1_3repE0EEENS1_30default_config_static_selectorELNS0_4arch9wavefront6targetE1EEEvT1_
	.globl	_ZN7rocprim17ROCPRIM_400000_NS6detail17trampoline_kernelINS0_14default_configENS1_27scan_by_key_config_selectorIisEEZZNS1_16scan_by_key_implILNS1_25lookback_scan_determinismE0ELb1ES3_N6thrust23THRUST_200600_302600_NS6detail15normal_iteratorINS9_10device_ptrIiEEEENSB_INSC_IsEEEESG_sNS9_4plusIvEENS9_8equal_toIvEEsEE10hipError_tPvRmT2_T3_T4_T5_mT6_T7_P12ihipStream_tbENKUlT_T0_E_clISt17integral_constantIbLb0EES10_IbLb1EEEEDaSW_SX_EUlSW_E_NS1_11comp_targetILNS1_3genE8ELNS1_11target_archE1030ELNS1_3gpuE2ELNS1_3repE0EEENS1_30default_config_static_selectorELNS0_4arch9wavefront6targetE1EEEvT1_
	.p2align	8
	.type	_ZN7rocprim17ROCPRIM_400000_NS6detail17trampoline_kernelINS0_14default_configENS1_27scan_by_key_config_selectorIisEEZZNS1_16scan_by_key_implILNS1_25lookback_scan_determinismE0ELb1ES3_N6thrust23THRUST_200600_302600_NS6detail15normal_iteratorINS9_10device_ptrIiEEEENSB_INSC_IsEEEESG_sNS9_4plusIvEENS9_8equal_toIvEEsEE10hipError_tPvRmT2_T3_T4_T5_mT6_T7_P12ihipStream_tbENKUlT_T0_E_clISt17integral_constantIbLb0EES10_IbLb1EEEEDaSW_SX_EUlSW_E_NS1_11comp_targetILNS1_3genE8ELNS1_11target_archE1030ELNS1_3gpuE2ELNS1_3repE0EEENS1_30default_config_static_selectorELNS0_4arch9wavefront6targetE1EEEvT1_,@function
_ZN7rocprim17ROCPRIM_400000_NS6detail17trampoline_kernelINS0_14default_configENS1_27scan_by_key_config_selectorIisEEZZNS1_16scan_by_key_implILNS1_25lookback_scan_determinismE0ELb1ES3_N6thrust23THRUST_200600_302600_NS6detail15normal_iteratorINS9_10device_ptrIiEEEENSB_INSC_IsEEEESG_sNS9_4plusIvEENS9_8equal_toIvEEsEE10hipError_tPvRmT2_T3_T4_T5_mT6_T7_P12ihipStream_tbENKUlT_T0_E_clISt17integral_constantIbLb0EES10_IbLb1EEEEDaSW_SX_EUlSW_E_NS1_11comp_targetILNS1_3genE8ELNS1_11target_archE1030ELNS1_3gpuE2ELNS1_3repE0EEENS1_30default_config_static_selectorELNS0_4arch9wavefront6targetE1EEEvT1_: ; @_ZN7rocprim17ROCPRIM_400000_NS6detail17trampoline_kernelINS0_14default_configENS1_27scan_by_key_config_selectorIisEEZZNS1_16scan_by_key_implILNS1_25lookback_scan_determinismE0ELb1ES3_N6thrust23THRUST_200600_302600_NS6detail15normal_iteratorINS9_10device_ptrIiEEEENSB_INSC_IsEEEESG_sNS9_4plusIvEENS9_8equal_toIvEEsEE10hipError_tPvRmT2_T3_T4_T5_mT6_T7_P12ihipStream_tbENKUlT_T0_E_clISt17integral_constantIbLb0EES10_IbLb1EEEEDaSW_SX_EUlSW_E_NS1_11comp_targetILNS1_3genE8ELNS1_11target_archE1030ELNS1_3gpuE2ELNS1_3repE0EEENS1_30default_config_static_selectorELNS0_4arch9wavefront6targetE1EEEvT1_
; %bb.0:
	.section	.rodata,"a",@progbits
	.p2align	6, 0x0
	.amdhsa_kernel _ZN7rocprim17ROCPRIM_400000_NS6detail17trampoline_kernelINS0_14default_configENS1_27scan_by_key_config_selectorIisEEZZNS1_16scan_by_key_implILNS1_25lookback_scan_determinismE0ELb1ES3_N6thrust23THRUST_200600_302600_NS6detail15normal_iteratorINS9_10device_ptrIiEEEENSB_INSC_IsEEEESG_sNS9_4plusIvEENS9_8equal_toIvEEsEE10hipError_tPvRmT2_T3_T4_T5_mT6_T7_P12ihipStream_tbENKUlT_T0_E_clISt17integral_constantIbLb0EES10_IbLb1EEEEDaSW_SX_EUlSW_E_NS1_11comp_targetILNS1_3genE8ELNS1_11target_archE1030ELNS1_3gpuE2ELNS1_3repE0EEENS1_30default_config_static_selectorELNS0_4arch9wavefront6targetE1EEEvT1_
		.amdhsa_group_segment_fixed_size 0
		.amdhsa_private_segment_fixed_size 0
		.amdhsa_kernarg_size 112
		.amdhsa_user_sgpr_count 6
		.amdhsa_user_sgpr_private_segment_buffer 1
		.amdhsa_user_sgpr_dispatch_ptr 0
		.amdhsa_user_sgpr_queue_ptr 0
		.amdhsa_user_sgpr_kernarg_segment_ptr 1
		.amdhsa_user_sgpr_dispatch_id 0
		.amdhsa_user_sgpr_flat_scratch_init 0
		.amdhsa_user_sgpr_kernarg_preload_length 0
		.amdhsa_user_sgpr_kernarg_preload_offset 0
		.amdhsa_user_sgpr_private_segment_size 0
		.amdhsa_uses_dynamic_stack 0
		.amdhsa_system_sgpr_private_segment_wavefront_offset 0
		.amdhsa_system_sgpr_workgroup_id_x 1
		.amdhsa_system_sgpr_workgroup_id_y 0
		.amdhsa_system_sgpr_workgroup_id_z 0
		.amdhsa_system_sgpr_workgroup_info 0
		.amdhsa_system_vgpr_workitem_id 0
		.amdhsa_next_free_vgpr 1
		.amdhsa_next_free_sgpr 0
		.amdhsa_accum_offset 4
		.amdhsa_reserve_vcc 0
		.amdhsa_reserve_flat_scratch 0
		.amdhsa_float_round_mode_32 0
		.amdhsa_float_round_mode_16_64 0
		.amdhsa_float_denorm_mode_32 3
		.amdhsa_float_denorm_mode_16_64 3
		.amdhsa_dx10_clamp 1
		.amdhsa_ieee_mode 1
		.amdhsa_fp16_overflow 0
		.amdhsa_tg_split 0
		.amdhsa_exception_fp_ieee_invalid_op 0
		.amdhsa_exception_fp_denorm_src 0
		.amdhsa_exception_fp_ieee_div_zero 0
		.amdhsa_exception_fp_ieee_overflow 0
		.amdhsa_exception_fp_ieee_underflow 0
		.amdhsa_exception_fp_ieee_inexact 0
		.amdhsa_exception_int_div_zero 0
	.end_amdhsa_kernel
	.section	.text._ZN7rocprim17ROCPRIM_400000_NS6detail17trampoline_kernelINS0_14default_configENS1_27scan_by_key_config_selectorIisEEZZNS1_16scan_by_key_implILNS1_25lookback_scan_determinismE0ELb1ES3_N6thrust23THRUST_200600_302600_NS6detail15normal_iteratorINS9_10device_ptrIiEEEENSB_INSC_IsEEEESG_sNS9_4plusIvEENS9_8equal_toIvEEsEE10hipError_tPvRmT2_T3_T4_T5_mT6_T7_P12ihipStream_tbENKUlT_T0_E_clISt17integral_constantIbLb0EES10_IbLb1EEEEDaSW_SX_EUlSW_E_NS1_11comp_targetILNS1_3genE8ELNS1_11target_archE1030ELNS1_3gpuE2ELNS1_3repE0EEENS1_30default_config_static_selectorELNS0_4arch9wavefront6targetE1EEEvT1_,"axG",@progbits,_ZN7rocprim17ROCPRIM_400000_NS6detail17trampoline_kernelINS0_14default_configENS1_27scan_by_key_config_selectorIisEEZZNS1_16scan_by_key_implILNS1_25lookback_scan_determinismE0ELb1ES3_N6thrust23THRUST_200600_302600_NS6detail15normal_iteratorINS9_10device_ptrIiEEEENSB_INSC_IsEEEESG_sNS9_4plusIvEENS9_8equal_toIvEEsEE10hipError_tPvRmT2_T3_T4_T5_mT6_T7_P12ihipStream_tbENKUlT_T0_E_clISt17integral_constantIbLb0EES10_IbLb1EEEEDaSW_SX_EUlSW_E_NS1_11comp_targetILNS1_3genE8ELNS1_11target_archE1030ELNS1_3gpuE2ELNS1_3repE0EEENS1_30default_config_static_selectorELNS0_4arch9wavefront6targetE1EEEvT1_,comdat
.Lfunc_end1642:
	.size	_ZN7rocprim17ROCPRIM_400000_NS6detail17trampoline_kernelINS0_14default_configENS1_27scan_by_key_config_selectorIisEEZZNS1_16scan_by_key_implILNS1_25lookback_scan_determinismE0ELb1ES3_N6thrust23THRUST_200600_302600_NS6detail15normal_iteratorINS9_10device_ptrIiEEEENSB_INSC_IsEEEESG_sNS9_4plusIvEENS9_8equal_toIvEEsEE10hipError_tPvRmT2_T3_T4_T5_mT6_T7_P12ihipStream_tbENKUlT_T0_E_clISt17integral_constantIbLb0EES10_IbLb1EEEEDaSW_SX_EUlSW_E_NS1_11comp_targetILNS1_3genE8ELNS1_11target_archE1030ELNS1_3gpuE2ELNS1_3repE0EEENS1_30default_config_static_selectorELNS0_4arch9wavefront6targetE1EEEvT1_, .Lfunc_end1642-_ZN7rocprim17ROCPRIM_400000_NS6detail17trampoline_kernelINS0_14default_configENS1_27scan_by_key_config_selectorIisEEZZNS1_16scan_by_key_implILNS1_25lookback_scan_determinismE0ELb1ES3_N6thrust23THRUST_200600_302600_NS6detail15normal_iteratorINS9_10device_ptrIiEEEENSB_INSC_IsEEEESG_sNS9_4plusIvEENS9_8equal_toIvEEsEE10hipError_tPvRmT2_T3_T4_T5_mT6_T7_P12ihipStream_tbENKUlT_T0_E_clISt17integral_constantIbLb0EES10_IbLb1EEEEDaSW_SX_EUlSW_E_NS1_11comp_targetILNS1_3genE8ELNS1_11target_archE1030ELNS1_3gpuE2ELNS1_3repE0EEENS1_30default_config_static_selectorELNS0_4arch9wavefront6targetE1EEEvT1_
                                        ; -- End function
	.section	.AMDGPU.csdata,"",@progbits
; Kernel info:
; codeLenInByte = 0
; NumSgprs: 4
; NumVgprs: 0
; NumAgprs: 0
; TotalNumVgprs: 0
; ScratchSize: 0
; MemoryBound: 0
; FloatMode: 240
; IeeeMode: 1
; LDSByteSize: 0 bytes/workgroup (compile time only)
; SGPRBlocks: 0
; VGPRBlocks: 0
; NumSGPRsForWavesPerEU: 4
; NumVGPRsForWavesPerEU: 1
; AccumOffset: 4
; Occupancy: 8
; WaveLimiterHint : 0
; COMPUTE_PGM_RSRC2:SCRATCH_EN: 0
; COMPUTE_PGM_RSRC2:USER_SGPR: 6
; COMPUTE_PGM_RSRC2:TRAP_HANDLER: 0
; COMPUTE_PGM_RSRC2:TGID_X_EN: 1
; COMPUTE_PGM_RSRC2:TGID_Y_EN: 0
; COMPUTE_PGM_RSRC2:TGID_Z_EN: 0
; COMPUTE_PGM_RSRC2:TIDIG_COMP_CNT: 0
; COMPUTE_PGM_RSRC3_GFX90A:ACCUM_OFFSET: 0
; COMPUTE_PGM_RSRC3_GFX90A:TG_SPLIT: 0
	.section	.text._ZN6thrust23THRUST_200600_302600_NS11hip_rocprim14__parallel_for6kernelILj256ENS1_20__uninitialized_fill7functorINS0_10device_ptrIfEEfEEmLj1EEEvT0_T1_SA_,"axG",@progbits,_ZN6thrust23THRUST_200600_302600_NS11hip_rocprim14__parallel_for6kernelILj256ENS1_20__uninitialized_fill7functorINS0_10device_ptrIfEEfEEmLj1EEEvT0_T1_SA_,comdat
	.protected	_ZN6thrust23THRUST_200600_302600_NS11hip_rocprim14__parallel_for6kernelILj256ENS1_20__uninitialized_fill7functorINS0_10device_ptrIfEEfEEmLj1EEEvT0_T1_SA_ ; -- Begin function _ZN6thrust23THRUST_200600_302600_NS11hip_rocprim14__parallel_for6kernelILj256ENS1_20__uninitialized_fill7functorINS0_10device_ptrIfEEfEEmLj1EEEvT0_T1_SA_
	.globl	_ZN6thrust23THRUST_200600_302600_NS11hip_rocprim14__parallel_for6kernelILj256ENS1_20__uninitialized_fill7functorINS0_10device_ptrIfEEfEEmLj1EEEvT0_T1_SA_
	.p2align	8
	.type	_ZN6thrust23THRUST_200600_302600_NS11hip_rocprim14__parallel_for6kernelILj256ENS1_20__uninitialized_fill7functorINS0_10device_ptrIfEEfEEmLj1EEEvT0_T1_SA_,@function
_ZN6thrust23THRUST_200600_302600_NS11hip_rocprim14__parallel_for6kernelILj256ENS1_20__uninitialized_fill7functorINS0_10device_ptrIfEEfEEmLj1EEEvT0_T1_SA_: ; @_ZN6thrust23THRUST_200600_302600_NS11hip_rocprim14__parallel_for6kernelILj256ENS1_20__uninitialized_fill7functorINS0_10device_ptrIfEEfEEmLj1EEEvT0_T1_SA_
; %bb.0:
	s_load_dwordx4 s[8:11], s[4:5], 0x10
	s_lshl_b32 s0, s6, 8
	v_mov_b32_e32 v2, 0x100
	v_mov_b32_e32 v3, 0
	s_waitcnt lgkmcnt(0)
	s_add_u32 s0, s0, s10
	s_addc_u32 s1, 0, s11
	s_sub_u32 s2, s8, s0
	s_subb_u32 s3, s9, s1
	v_cmp_lt_u64_e32 vcc, s[2:3], v[2:3]
	s_cbranch_vccz .LBB1643_2
; %bb.1:
	v_cmp_gt_u32_e32 vcc, s2, v0
	s_and_b64 s[2:3], vcc, exec
	s_cbranch_execz .LBB1643_3
	s_branch .LBB1643_4
.LBB1643_2:
	s_mov_b64 s[2:3], 0
.LBB1643_3:
	s_or_b64 s[2:3], s[2:3], exec
.LBB1643_4:
	s_and_saveexec_b64 s[6:7], s[2:3]
	s_cbranch_execnz .LBB1643_6
; %bb.5:
	s_endpgm
.LBB1643_6:
	s_load_dwordx2 s[2:3], s[4:5], 0x0
	s_load_dword s6, s[4:5], 0x8
	s_lshl_b64 s[0:1], s[0:1], 2
	v_mov_b32_e32 v1, 0
	v_lshlrev_b64 v[0:1], 2, v[0:1]
	s_waitcnt lgkmcnt(0)
	s_add_u32 s0, s2, s0
	s_addc_u32 s1, s3, s1
	v_mov_b32_e32 v2, s1
	v_add_co_u32_e32 v0, vcc, s0, v0
	v_addc_co_u32_e32 v1, vcc, v2, v1, vcc
	v_mov_b32_e32 v2, s6
	flat_store_dword v[0:1], v2
	s_endpgm
	.section	.rodata,"a",@progbits
	.p2align	6, 0x0
	.amdhsa_kernel _ZN6thrust23THRUST_200600_302600_NS11hip_rocprim14__parallel_for6kernelILj256ENS1_20__uninitialized_fill7functorINS0_10device_ptrIfEEfEEmLj1EEEvT0_T1_SA_
		.amdhsa_group_segment_fixed_size 0
		.amdhsa_private_segment_fixed_size 0
		.amdhsa_kernarg_size 32
		.amdhsa_user_sgpr_count 6
		.amdhsa_user_sgpr_private_segment_buffer 1
		.amdhsa_user_sgpr_dispatch_ptr 0
		.amdhsa_user_sgpr_queue_ptr 0
		.amdhsa_user_sgpr_kernarg_segment_ptr 1
		.amdhsa_user_sgpr_dispatch_id 0
		.amdhsa_user_sgpr_flat_scratch_init 0
		.amdhsa_user_sgpr_kernarg_preload_length 0
		.amdhsa_user_sgpr_kernarg_preload_offset 0
		.amdhsa_user_sgpr_private_segment_size 0
		.amdhsa_uses_dynamic_stack 0
		.amdhsa_system_sgpr_private_segment_wavefront_offset 0
		.amdhsa_system_sgpr_workgroup_id_x 1
		.amdhsa_system_sgpr_workgroup_id_y 0
		.amdhsa_system_sgpr_workgroup_id_z 0
		.amdhsa_system_sgpr_workgroup_info 0
		.amdhsa_system_vgpr_workitem_id 0
		.amdhsa_next_free_vgpr 4
		.amdhsa_next_free_sgpr 12
		.amdhsa_accum_offset 4
		.amdhsa_reserve_vcc 1
		.amdhsa_reserve_flat_scratch 0
		.amdhsa_float_round_mode_32 0
		.amdhsa_float_round_mode_16_64 0
		.amdhsa_float_denorm_mode_32 3
		.amdhsa_float_denorm_mode_16_64 3
		.amdhsa_dx10_clamp 1
		.amdhsa_ieee_mode 1
		.amdhsa_fp16_overflow 0
		.amdhsa_tg_split 0
		.amdhsa_exception_fp_ieee_invalid_op 0
		.amdhsa_exception_fp_denorm_src 0
		.amdhsa_exception_fp_ieee_div_zero 0
		.amdhsa_exception_fp_ieee_overflow 0
		.amdhsa_exception_fp_ieee_underflow 0
		.amdhsa_exception_fp_ieee_inexact 0
		.amdhsa_exception_int_div_zero 0
	.end_amdhsa_kernel
	.section	.text._ZN6thrust23THRUST_200600_302600_NS11hip_rocprim14__parallel_for6kernelILj256ENS1_20__uninitialized_fill7functorINS0_10device_ptrIfEEfEEmLj1EEEvT0_T1_SA_,"axG",@progbits,_ZN6thrust23THRUST_200600_302600_NS11hip_rocprim14__parallel_for6kernelILj256ENS1_20__uninitialized_fill7functorINS0_10device_ptrIfEEfEEmLj1EEEvT0_T1_SA_,comdat
.Lfunc_end1643:
	.size	_ZN6thrust23THRUST_200600_302600_NS11hip_rocprim14__parallel_for6kernelILj256ENS1_20__uninitialized_fill7functorINS0_10device_ptrIfEEfEEmLj1EEEvT0_T1_SA_, .Lfunc_end1643-_ZN6thrust23THRUST_200600_302600_NS11hip_rocprim14__parallel_for6kernelILj256ENS1_20__uninitialized_fill7functorINS0_10device_ptrIfEEfEEmLj1EEEvT0_T1_SA_
                                        ; -- End function
	.section	.AMDGPU.csdata,"",@progbits
; Kernel info:
; codeLenInByte = 160
; NumSgprs: 16
; NumVgprs: 4
; NumAgprs: 0
; TotalNumVgprs: 4
; ScratchSize: 0
; MemoryBound: 0
; FloatMode: 240
; IeeeMode: 1
; LDSByteSize: 0 bytes/workgroup (compile time only)
; SGPRBlocks: 1
; VGPRBlocks: 0
; NumSGPRsForWavesPerEU: 16
; NumVGPRsForWavesPerEU: 4
; AccumOffset: 4
; Occupancy: 8
; WaveLimiterHint : 0
; COMPUTE_PGM_RSRC2:SCRATCH_EN: 0
; COMPUTE_PGM_RSRC2:USER_SGPR: 6
; COMPUTE_PGM_RSRC2:TRAP_HANDLER: 0
; COMPUTE_PGM_RSRC2:TGID_X_EN: 1
; COMPUTE_PGM_RSRC2:TGID_Y_EN: 0
; COMPUTE_PGM_RSRC2:TGID_Z_EN: 0
; COMPUTE_PGM_RSRC2:TIDIG_COMP_CNT: 0
; COMPUTE_PGM_RSRC3_GFX90A:ACCUM_OFFSET: 0
; COMPUTE_PGM_RSRC3_GFX90A:TG_SPLIT: 0
	.section	.text._ZN7rocprim17ROCPRIM_400000_NS6detail17trampoline_kernelINS0_14default_configENS1_27scan_by_key_config_selectorIijEEZZNS1_16scan_by_key_implILNS1_25lookback_scan_determinismE0ELb0ES3_N6thrust23THRUST_200600_302600_NS6detail15normal_iteratorINS9_10device_ptrIiEEEENSB_INSC_IjEEEENSB_INSC_IfEEEEjNS9_4plusIvEENS9_8equal_toIvEEjEE10hipError_tPvRmT2_T3_T4_T5_mT6_T7_P12ihipStream_tbENKUlT_T0_E_clISt17integral_constantIbLb0EES13_EEDaSY_SZ_EUlSY_E_NS1_11comp_targetILNS1_3genE0ELNS1_11target_archE4294967295ELNS1_3gpuE0ELNS1_3repE0EEENS1_30default_config_static_selectorELNS0_4arch9wavefront6targetE1EEEvT1_,"axG",@progbits,_ZN7rocprim17ROCPRIM_400000_NS6detail17trampoline_kernelINS0_14default_configENS1_27scan_by_key_config_selectorIijEEZZNS1_16scan_by_key_implILNS1_25lookback_scan_determinismE0ELb0ES3_N6thrust23THRUST_200600_302600_NS6detail15normal_iteratorINS9_10device_ptrIiEEEENSB_INSC_IjEEEENSB_INSC_IfEEEEjNS9_4plusIvEENS9_8equal_toIvEEjEE10hipError_tPvRmT2_T3_T4_T5_mT6_T7_P12ihipStream_tbENKUlT_T0_E_clISt17integral_constantIbLb0EES13_EEDaSY_SZ_EUlSY_E_NS1_11comp_targetILNS1_3genE0ELNS1_11target_archE4294967295ELNS1_3gpuE0ELNS1_3repE0EEENS1_30default_config_static_selectorELNS0_4arch9wavefront6targetE1EEEvT1_,comdat
	.protected	_ZN7rocprim17ROCPRIM_400000_NS6detail17trampoline_kernelINS0_14default_configENS1_27scan_by_key_config_selectorIijEEZZNS1_16scan_by_key_implILNS1_25lookback_scan_determinismE0ELb0ES3_N6thrust23THRUST_200600_302600_NS6detail15normal_iteratorINS9_10device_ptrIiEEEENSB_INSC_IjEEEENSB_INSC_IfEEEEjNS9_4plusIvEENS9_8equal_toIvEEjEE10hipError_tPvRmT2_T3_T4_T5_mT6_T7_P12ihipStream_tbENKUlT_T0_E_clISt17integral_constantIbLb0EES13_EEDaSY_SZ_EUlSY_E_NS1_11comp_targetILNS1_3genE0ELNS1_11target_archE4294967295ELNS1_3gpuE0ELNS1_3repE0EEENS1_30default_config_static_selectorELNS0_4arch9wavefront6targetE1EEEvT1_ ; -- Begin function _ZN7rocprim17ROCPRIM_400000_NS6detail17trampoline_kernelINS0_14default_configENS1_27scan_by_key_config_selectorIijEEZZNS1_16scan_by_key_implILNS1_25lookback_scan_determinismE0ELb0ES3_N6thrust23THRUST_200600_302600_NS6detail15normal_iteratorINS9_10device_ptrIiEEEENSB_INSC_IjEEEENSB_INSC_IfEEEEjNS9_4plusIvEENS9_8equal_toIvEEjEE10hipError_tPvRmT2_T3_T4_T5_mT6_T7_P12ihipStream_tbENKUlT_T0_E_clISt17integral_constantIbLb0EES13_EEDaSY_SZ_EUlSY_E_NS1_11comp_targetILNS1_3genE0ELNS1_11target_archE4294967295ELNS1_3gpuE0ELNS1_3repE0EEENS1_30default_config_static_selectorELNS0_4arch9wavefront6targetE1EEEvT1_
	.globl	_ZN7rocprim17ROCPRIM_400000_NS6detail17trampoline_kernelINS0_14default_configENS1_27scan_by_key_config_selectorIijEEZZNS1_16scan_by_key_implILNS1_25lookback_scan_determinismE0ELb0ES3_N6thrust23THRUST_200600_302600_NS6detail15normal_iteratorINS9_10device_ptrIiEEEENSB_INSC_IjEEEENSB_INSC_IfEEEEjNS9_4plusIvEENS9_8equal_toIvEEjEE10hipError_tPvRmT2_T3_T4_T5_mT6_T7_P12ihipStream_tbENKUlT_T0_E_clISt17integral_constantIbLb0EES13_EEDaSY_SZ_EUlSY_E_NS1_11comp_targetILNS1_3genE0ELNS1_11target_archE4294967295ELNS1_3gpuE0ELNS1_3repE0EEENS1_30default_config_static_selectorELNS0_4arch9wavefront6targetE1EEEvT1_
	.p2align	8
	.type	_ZN7rocprim17ROCPRIM_400000_NS6detail17trampoline_kernelINS0_14default_configENS1_27scan_by_key_config_selectorIijEEZZNS1_16scan_by_key_implILNS1_25lookback_scan_determinismE0ELb0ES3_N6thrust23THRUST_200600_302600_NS6detail15normal_iteratorINS9_10device_ptrIiEEEENSB_INSC_IjEEEENSB_INSC_IfEEEEjNS9_4plusIvEENS9_8equal_toIvEEjEE10hipError_tPvRmT2_T3_T4_T5_mT6_T7_P12ihipStream_tbENKUlT_T0_E_clISt17integral_constantIbLb0EES13_EEDaSY_SZ_EUlSY_E_NS1_11comp_targetILNS1_3genE0ELNS1_11target_archE4294967295ELNS1_3gpuE0ELNS1_3repE0EEENS1_30default_config_static_selectorELNS0_4arch9wavefront6targetE1EEEvT1_,@function
_ZN7rocprim17ROCPRIM_400000_NS6detail17trampoline_kernelINS0_14default_configENS1_27scan_by_key_config_selectorIijEEZZNS1_16scan_by_key_implILNS1_25lookback_scan_determinismE0ELb0ES3_N6thrust23THRUST_200600_302600_NS6detail15normal_iteratorINS9_10device_ptrIiEEEENSB_INSC_IjEEEENSB_INSC_IfEEEEjNS9_4plusIvEENS9_8equal_toIvEEjEE10hipError_tPvRmT2_T3_T4_T5_mT6_T7_P12ihipStream_tbENKUlT_T0_E_clISt17integral_constantIbLb0EES13_EEDaSY_SZ_EUlSY_E_NS1_11comp_targetILNS1_3genE0ELNS1_11target_archE4294967295ELNS1_3gpuE0ELNS1_3repE0EEENS1_30default_config_static_selectorELNS0_4arch9wavefront6targetE1EEEvT1_: ; @_ZN7rocprim17ROCPRIM_400000_NS6detail17trampoline_kernelINS0_14default_configENS1_27scan_by_key_config_selectorIijEEZZNS1_16scan_by_key_implILNS1_25lookback_scan_determinismE0ELb0ES3_N6thrust23THRUST_200600_302600_NS6detail15normal_iteratorINS9_10device_ptrIiEEEENSB_INSC_IjEEEENSB_INSC_IfEEEEjNS9_4plusIvEENS9_8equal_toIvEEjEE10hipError_tPvRmT2_T3_T4_T5_mT6_T7_P12ihipStream_tbENKUlT_T0_E_clISt17integral_constantIbLb0EES13_EEDaSY_SZ_EUlSY_E_NS1_11comp_targetILNS1_3genE0ELNS1_11target_archE4294967295ELNS1_3gpuE0ELNS1_3repE0EEENS1_30default_config_static_selectorELNS0_4arch9wavefront6targetE1EEEvT1_
; %bb.0:
	.section	.rodata,"a",@progbits
	.p2align	6, 0x0
	.amdhsa_kernel _ZN7rocprim17ROCPRIM_400000_NS6detail17trampoline_kernelINS0_14default_configENS1_27scan_by_key_config_selectorIijEEZZNS1_16scan_by_key_implILNS1_25lookback_scan_determinismE0ELb0ES3_N6thrust23THRUST_200600_302600_NS6detail15normal_iteratorINS9_10device_ptrIiEEEENSB_INSC_IjEEEENSB_INSC_IfEEEEjNS9_4plusIvEENS9_8equal_toIvEEjEE10hipError_tPvRmT2_T3_T4_T5_mT6_T7_P12ihipStream_tbENKUlT_T0_E_clISt17integral_constantIbLb0EES13_EEDaSY_SZ_EUlSY_E_NS1_11comp_targetILNS1_3genE0ELNS1_11target_archE4294967295ELNS1_3gpuE0ELNS1_3repE0EEENS1_30default_config_static_selectorELNS0_4arch9wavefront6targetE1EEEvT1_
		.amdhsa_group_segment_fixed_size 0
		.amdhsa_private_segment_fixed_size 0
		.amdhsa_kernarg_size 112
		.amdhsa_user_sgpr_count 6
		.amdhsa_user_sgpr_private_segment_buffer 1
		.amdhsa_user_sgpr_dispatch_ptr 0
		.amdhsa_user_sgpr_queue_ptr 0
		.amdhsa_user_sgpr_kernarg_segment_ptr 1
		.amdhsa_user_sgpr_dispatch_id 0
		.amdhsa_user_sgpr_flat_scratch_init 0
		.amdhsa_user_sgpr_kernarg_preload_length 0
		.amdhsa_user_sgpr_kernarg_preload_offset 0
		.amdhsa_user_sgpr_private_segment_size 0
		.amdhsa_uses_dynamic_stack 0
		.amdhsa_system_sgpr_private_segment_wavefront_offset 0
		.amdhsa_system_sgpr_workgroup_id_x 1
		.amdhsa_system_sgpr_workgroup_id_y 0
		.amdhsa_system_sgpr_workgroup_id_z 0
		.amdhsa_system_sgpr_workgroup_info 0
		.amdhsa_system_vgpr_workitem_id 0
		.amdhsa_next_free_vgpr 1
		.amdhsa_next_free_sgpr 0
		.amdhsa_accum_offset 4
		.amdhsa_reserve_vcc 0
		.amdhsa_reserve_flat_scratch 0
		.amdhsa_float_round_mode_32 0
		.amdhsa_float_round_mode_16_64 0
		.amdhsa_float_denorm_mode_32 3
		.amdhsa_float_denorm_mode_16_64 3
		.amdhsa_dx10_clamp 1
		.amdhsa_ieee_mode 1
		.amdhsa_fp16_overflow 0
		.amdhsa_tg_split 0
		.amdhsa_exception_fp_ieee_invalid_op 0
		.amdhsa_exception_fp_denorm_src 0
		.amdhsa_exception_fp_ieee_div_zero 0
		.amdhsa_exception_fp_ieee_overflow 0
		.amdhsa_exception_fp_ieee_underflow 0
		.amdhsa_exception_fp_ieee_inexact 0
		.amdhsa_exception_int_div_zero 0
	.end_amdhsa_kernel
	.section	.text._ZN7rocprim17ROCPRIM_400000_NS6detail17trampoline_kernelINS0_14default_configENS1_27scan_by_key_config_selectorIijEEZZNS1_16scan_by_key_implILNS1_25lookback_scan_determinismE0ELb0ES3_N6thrust23THRUST_200600_302600_NS6detail15normal_iteratorINS9_10device_ptrIiEEEENSB_INSC_IjEEEENSB_INSC_IfEEEEjNS9_4plusIvEENS9_8equal_toIvEEjEE10hipError_tPvRmT2_T3_T4_T5_mT6_T7_P12ihipStream_tbENKUlT_T0_E_clISt17integral_constantIbLb0EES13_EEDaSY_SZ_EUlSY_E_NS1_11comp_targetILNS1_3genE0ELNS1_11target_archE4294967295ELNS1_3gpuE0ELNS1_3repE0EEENS1_30default_config_static_selectorELNS0_4arch9wavefront6targetE1EEEvT1_,"axG",@progbits,_ZN7rocprim17ROCPRIM_400000_NS6detail17trampoline_kernelINS0_14default_configENS1_27scan_by_key_config_selectorIijEEZZNS1_16scan_by_key_implILNS1_25lookback_scan_determinismE0ELb0ES3_N6thrust23THRUST_200600_302600_NS6detail15normal_iteratorINS9_10device_ptrIiEEEENSB_INSC_IjEEEENSB_INSC_IfEEEEjNS9_4plusIvEENS9_8equal_toIvEEjEE10hipError_tPvRmT2_T3_T4_T5_mT6_T7_P12ihipStream_tbENKUlT_T0_E_clISt17integral_constantIbLb0EES13_EEDaSY_SZ_EUlSY_E_NS1_11comp_targetILNS1_3genE0ELNS1_11target_archE4294967295ELNS1_3gpuE0ELNS1_3repE0EEENS1_30default_config_static_selectorELNS0_4arch9wavefront6targetE1EEEvT1_,comdat
.Lfunc_end1644:
	.size	_ZN7rocprim17ROCPRIM_400000_NS6detail17trampoline_kernelINS0_14default_configENS1_27scan_by_key_config_selectorIijEEZZNS1_16scan_by_key_implILNS1_25lookback_scan_determinismE0ELb0ES3_N6thrust23THRUST_200600_302600_NS6detail15normal_iteratorINS9_10device_ptrIiEEEENSB_INSC_IjEEEENSB_INSC_IfEEEEjNS9_4plusIvEENS9_8equal_toIvEEjEE10hipError_tPvRmT2_T3_T4_T5_mT6_T7_P12ihipStream_tbENKUlT_T0_E_clISt17integral_constantIbLb0EES13_EEDaSY_SZ_EUlSY_E_NS1_11comp_targetILNS1_3genE0ELNS1_11target_archE4294967295ELNS1_3gpuE0ELNS1_3repE0EEENS1_30default_config_static_selectorELNS0_4arch9wavefront6targetE1EEEvT1_, .Lfunc_end1644-_ZN7rocprim17ROCPRIM_400000_NS6detail17trampoline_kernelINS0_14default_configENS1_27scan_by_key_config_selectorIijEEZZNS1_16scan_by_key_implILNS1_25lookback_scan_determinismE0ELb0ES3_N6thrust23THRUST_200600_302600_NS6detail15normal_iteratorINS9_10device_ptrIiEEEENSB_INSC_IjEEEENSB_INSC_IfEEEEjNS9_4plusIvEENS9_8equal_toIvEEjEE10hipError_tPvRmT2_T3_T4_T5_mT6_T7_P12ihipStream_tbENKUlT_T0_E_clISt17integral_constantIbLb0EES13_EEDaSY_SZ_EUlSY_E_NS1_11comp_targetILNS1_3genE0ELNS1_11target_archE4294967295ELNS1_3gpuE0ELNS1_3repE0EEENS1_30default_config_static_selectorELNS0_4arch9wavefront6targetE1EEEvT1_
                                        ; -- End function
	.section	.AMDGPU.csdata,"",@progbits
; Kernel info:
; codeLenInByte = 0
; NumSgprs: 4
; NumVgprs: 0
; NumAgprs: 0
; TotalNumVgprs: 0
; ScratchSize: 0
; MemoryBound: 0
; FloatMode: 240
; IeeeMode: 1
; LDSByteSize: 0 bytes/workgroup (compile time only)
; SGPRBlocks: 0
; VGPRBlocks: 0
; NumSGPRsForWavesPerEU: 4
; NumVGPRsForWavesPerEU: 1
; AccumOffset: 4
; Occupancy: 8
; WaveLimiterHint : 0
; COMPUTE_PGM_RSRC2:SCRATCH_EN: 0
; COMPUTE_PGM_RSRC2:USER_SGPR: 6
; COMPUTE_PGM_RSRC2:TRAP_HANDLER: 0
; COMPUTE_PGM_RSRC2:TGID_X_EN: 1
; COMPUTE_PGM_RSRC2:TGID_Y_EN: 0
; COMPUTE_PGM_RSRC2:TGID_Z_EN: 0
; COMPUTE_PGM_RSRC2:TIDIG_COMP_CNT: 0
; COMPUTE_PGM_RSRC3_GFX90A:ACCUM_OFFSET: 0
; COMPUTE_PGM_RSRC3_GFX90A:TG_SPLIT: 0
	.section	.text._ZN7rocprim17ROCPRIM_400000_NS6detail17trampoline_kernelINS0_14default_configENS1_27scan_by_key_config_selectorIijEEZZNS1_16scan_by_key_implILNS1_25lookback_scan_determinismE0ELb0ES3_N6thrust23THRUST_200600_302600_NS6detail15normal_iteratorINS9_10device_ptrIiEEEENSB_INSC_IjEEEENSB_INSC_IfEEEEjNS9_4plusIvEENS9_8equal_toIvEEjEE10hipError_tPvRmT2_T3_T4_T5_mT6_T7_P12ihipStream_tbENKUlT_T0_E_clISt17integral_constantIbLb0EES13_EEDaSY_SZ_EUlSY_E_NS1_11comp_targetILNS1_3genE10ELNS1_11target_archE1201ELNS1_3gpuE5ELNS1_3repE0EEENS1_30default_config_static_selectorELNS0_4arch9wavefront6targetE1EEEvT1_,"axG",@progbits,_ZN7rocprim17ROCPRIM_400000_NS6detail17trampoline_kernelINS0_14default_configENS1_27scan_by_key_config_selectorIijEEZZNS1_16scan_by_key_implILNS1_25lookback_scan_determinismE0ELb0ES3_N6thrust23THRUST_200600_302600_NS6detail15normal_iteratorINS9_10device_ptrIiEEEENSB_INSC_IjEEEENSB_INSC_IfEEEEjNS9_4plusIvEENS9_8equal_toIvEEjEE10hipError_tPvRmT2_T3_T4_T5_mT6_T7_P12ihipStream_tbENKUlT_T0_E_clISt17integral_constantIbLb0EES13_EEDaSY_SZ_EUlSY_E_NS1_11comp_targetILNS1_3genE10ELNS1_11target_archE1201ELNS1_3gpuE5ELNS1_3repE0EEENS1_30default_config_static_selectorELNS0_4arch9wavefront6targetE1EEEvT1_,comdat
	.protected	_ZN7rocprim17ROCPRIM_400000_NS6detail17trampoline_kernelINS0_14default_configENS1_27scan_by_key_config_selectorIijEEZZNS1_16scan_by_key_implILNS1_25lookback_scan_determinismE0ELb0ES3_N6thrust23THRUST_200600_302600_NS6detail15normal_iteratorINS9_10device_ptrIiEEEENSB_INSC_IjEEEENSB_INSC_IfEEEEjNS9_4plusIvEENS9_8equal_toIvEEjEE10hipError_tPvRmT2_T3_T4_T5_mT6_T7_P12ihipStream_tbENKUlT_T0_E_clISt17integral_constantIbLb0EES13_EEDaSY_SZ_EUlSY_E_NS1_11comp_targetILNS1_3genE10ELNS1_11target_archE1201ELNS1_3gpuE5ELNS1_3repE0EEENS1_30default_config_static_selectorELNS0_4arch9wavefront6targetE1EEEvT1_ ; -- Begin function _ZN7rocprim17ROCPRIM_400000_NS6detail17trampoline_kernelINS0_14default_configENS1_27scan_by_key_config_selectorIijEEZZNS1_16scan_by_key_implILNS1_25lookback_scan_determinismE0ELb0ES3_N6thrust23THRUST_200600_302600_NS6detail15normal_iteratorINS9_10device_ptrIiEEEENSB_INSC_IjEEEENSB_INSC_IfEEEEjNS9_4plusIvEENS9_8equal_toIvEEjEE10hipError_tPvRmT2_T3_T4_T5_mT6_T7_P12ihipStream_tbENKUlT_T0_E_clISt17integral_constantIbLb0EES13_EEDaSY_SZ_EUlSY_E_NS1_11comp_targetILNS1_3genE10ELNS1_11target_archE1201ELNS1_3gpuE5ELNS1_3repE0EEENS1_30default_config_static_selectorELNS0_4arch9wavefront6targetE1EEEvT1_
	.globl	_ZN7rocprim17ROCPRIM_400000_NS6detail17trampoline_kernelINS0_14default_configENS1_27scan_by_key_config_selectorIijEEZZNS1_16scan_by_key_implILNS1_25lookback_scan_determinismE0ELb0ES3_N6thrust23THRUST_200600_302600_NS6detail15normal_iteratorINS9_10device_ptrIiEEEENSB_INSC_IjEEEENSB_INSC_IfEEEEjNS9_4plusIvEENS9_8equal_toIvEEjEE10hipError_tPvRmT2_T3_T4_T5_mT6_T7_P12ihipStream_tbENKUlT_T0_E_clISt17integral_constantIbLb0EES13_EEDaSY_SZ_EUlSY_E_NS1_11comp_targetILNS1_3genE10ELNS1_11target_archE1201ELNS1_3gpuE5ELNS1_3repE0EEENS1_30default_config_static_selectorELNS0_4arch9wavefront6targetE1EEEvT1_
	.p2align	8
	.type	_ZN7rocprim17ROCPRIM_400000_NS6detail17trampoline_kernelINS0_14default_configENS1_27scan_by_key_config_selectorIijEEZZNS1_16scan_by_key_implILNS1_25lookback_scan_determinismE0ELb0ES3_N6thrust23THRUST_200600_302600_NS6detail15normal_iteratorINS9_10device_ptrIiEEEENSB_INSC_IjEEEENSB_INSC_IfEEEEjNS9_4plusIvEENS9_8equal_toIvEEjEE10hipError_tPvRmT2_T3_T4_T5_mT6_T7_P12ihipStream_tbENKUlT_T0_E_clISt17integral_constantIbLb0EES13_EEDaSY_SZ_EUlSY_E_NS1_11comp_targetILNS1_3genE10ELNS1_11target_archE1201ELNS1_3gpuE5ELNS1_3repE0EEENS1_30default_config_static_selectorELNS0_4arch9wavefront6targetE1EEEvT1_,@function
_ZN7rocprim17ROCPRIM_400000_NS6detail17trampoline_kernelINS0_14default_configENS1_27scan_by_key_config_selectorIijEEZZNS1_16scan_by_key_implILNS1_25lookback_scan_determinismE0ELb0ES3_N6thrust23THRUST_200600_302600_NS6detail15normal_iteratorINS9_10device_ptrIiEEEENSB_INSC_IjEEEENSB_INSC_IfEEEEjNS9_4plusIvEENS9_8equal_toIvEEjEE10hipError_tPvRmT2_T3_T4_T5_mT6_T7_P12ihipStream_tbENKUlT_T0_E_clISt17integral_constantIbLb0EES13_EEDaSY_SZ_EUlSY_E_NS1_11comp_targetILNS1_3genE10ELNS1_11target_archE1201ELNS1_3gpuE5ELNS1_3repE0EEENS1_30default_config_static_selectorELNS0_4arch9wavefront6targetE1EEEvT1_: ; @_ZN7rocprim17ROCPRIM_400000_NS6detail17trampoline_kernelINS0_14default_configENS1_27scan_by_key_config_selectorIijEEZZNS1_16scan_by_key_implILNS1_25lookback_scan_determinismE0ELb0ES3_N6thrust23THRUST_200600_302600_NS6detail15normal_iteratorINS9_10device_ptrIiEEEENSB_INSC_IjEEEENSB_INSC_IfEEEEjNS9_4plusIvEENS9_8equal_toIvEEjEE10hipError_tPvRmT2_T3_T4_T5_mT6_T7_P12ihipStream_tbENKUlT_T0_E_clISt17integral_constantIbLb0EES13_EEDaSY_SZ_EUlSY_E_NS1_11comp_targetILNS1_3genE10ELNS1_11target_archE1201ELNS1_3gpuE5ELNS1_3repE0EEENS1_30default_config_static_selectorELNS0_4arch9wavefront6targetE1EEEvT1_
; %bb.0:
	.section	.rodata,"a",@progbits
	.p2align	6, 0x0
	.amdhsa_kernel _ZN7rocprim17ROCPRIM_400000_NS6detail17trampoline_kernelINS0_14default_configENS1_27scan_by_key_config_selectorIijEEZZNS1_16scan_by_key_implILNS1_25lookback_scan_determinismE0ELb0ES3_N6thrust23THRUST_200600_302600_NS6detail15normal_iteratorINS9_10device_ptrIiEEEENSB_INSC_IjEEEENSB_INSC_IfEEEEjNS9_4plusIvEENS9_8equal_toIvEEjEE10hipError_tPvRmT2_T3_T4_T5_mT6_T7_P12ihipStream_tbENKUlT_T0_E_clISt17integral_constantIbLb0EES13_EEDaSY_SZ_EUlSY_E_NS1_11comp_targetILNS1_3genE10ELNS1_11target_archE1201ELNS1_3gpuE5ELNS1_3repE0EEENS1_30default_config_static_selectorELNS0_4arch9wavefront6targetE1EEEvT1_
		.amdhsa_group_segment_fixed_size 0
		.amdhsa_private_segment_fixed_size 0
		.amdhsa_kernarg_size 112
		.amdhsa_user_sgpr_count 6
		.amdhsa_user_sgpr_private_segment_buffer 1
		.amdhsa_user_sgpr_dispatch_ptr 0
		.amdhsa_user_sgpr_queue_ptr 0
		.amdhsa_user_sgpr_kernarg_segment_ptr 1
		.amdhsa_user_sgpr_dispatch_id 0
		.amdhsa_user_sgpr_flat_scratch_init 0
		.amdhsa_user_sgpr_kernarg_preload_length 0
		.amdhsa_user_sgpr_kernarg_preload_offset 0
		.amdhsa_user_sgpr_private_segment_size 0
		.amdhsa_uses_dynamic_stack 0
		.amdhsa_system_sgpr_private_segment_wavefront_offset 0
		.amdhsa_system_sgpr_workgroup_id_x 1
		.amdhsa_system_sgpr_workgroup_id_y 0
		.amdhsa_system_sgpr_workgroup_id_z 0
		.amdhsa_system_sgpr_workgroup_info 0
		.amdhsa_system_vgpr_workitem_id 0
		.amdhsa_next_free_vgpr 1
		.amdhsa_next_free_sgpr 0
		.amdhsa_accum_offset 4
		.amdhsa_reserve_vcc 0
		.amdhsa_reserve_flat_scratch 0
		.amdhsa_float_round_mode_32 0
		.amdhsa_float_round_mode_16_64 0
		.amdhsa_float_denorm_mode_32 3
		.amdhsa_float_denorm_mode_16_64 3
		.amdhsa_dx10_clamp 1
		.amdhsa_ieee_mode 1
		.amdhsa_fp16_overflow 0
		.amdhsa_tg_split 0
		.amdhsa_exception_fp_ieee_invalid_op 0
		.amdhsa_exception_fp_denorm_src 0
		.amdhsa_exception_fp_ieee_div_zero 0
		.amdhsa_exception_fp_ieee_overflow 0
		.amdhsa_exception_fp_ieee_underflow 0
		.amdhsa_exception_fp_ieee_inexact 0
		.amdhsa_exception_int_div_zero 0
	.end_amdhsa_kernel
	.section	.text._ZN7rocprim17ROCPRIM_400000_NS6detail17trampoline_kernelINS0_14default_configENS1_27scan_by_key_config_selectorIijEEZZNS1_16scan_by_key_implILNS1_25lookback_scan_determinismE0ELb0ES3_N6thrust23THRUST_200600_302600_NS6detail15normal_iteratorINS9_10device_ptrIiEEEENSB_INSC_IjEEEENSB_INSC_IfEEEEjNS9_4plusIvEENS9_8equal_toIvEEjEE10hipError_tPvRmT2_T3_T4_T5_mT6_T7_P12ihipStream_tbENKUlT_T0_E_clISt17integral_constantIbLb0EES13_EEDaSY_SZ_EUlSY_E_NS1_11comp_targetILNS1_3genE10ELNS1_11target_archE1201ELNS1_3gpuE5ELNS1_3repE0EEENS1_30default_config_static_selectorELNS0_4arch9wavefront6targetE1EEEvT1_,"axG",@progbits,_ZN7rocprim17ROCPRIM_400000_NS6detail17trampoline_kernelINS0_14default_configENS1_27scan_by_key_config_selectorIijEEZZNS1_16scan_by_key_implILNS1_25lookback_scan_determinismE0ELb0ES3_N6thrust23THRUST_200600_302600_NS6detail15normal_iteratorINS9_10device_ptrIiEEEENSB_INSC_IjEEEENSB_INSC_IfEEEEjNS9_4plusIvEENS9_8equal_toIvEEjEE10hipError_tPvRmT2_T3_T4_T5_mT6_T7_P12ihipStream_tbENKUlT_T0_E_clISt17integral_constantIbLb0EES13_EEDaSY_SZ_EUlSY_E_NS1_11comp_targetILNS1_3genE10ELNS1_11target_archE1201ELNS1_3gpuE5ELNS1_3repE0EEENS1_30default_config_static_selectorELNS0_4arch9wavefront6targetE1EEEvT1_,comdat
.Lfunc_end1645:
	.size	_ZN7rocprim17ROCPRIM_400000_NS6detail17trampoline_kernelINS0_14default_configENS1_27scan_by_key_config_selectorIijEEZZNS1_16scan_by_key_implILNS1_25lookback_scan_determinismE0ELb0ES3_N6thrust23THRUST_200600_302600_NS6detail15normal_iteratorINS9_10device_ptrIiEEEENSB_INSC_IjEEEENSB_INSC_IfEEEEjNS9_4plusIvEENS9_8equal_toIvEEjEE10hipError_tPvRmT2_T3_T4_T5_mT6_T7_P12ihipStream_tbENKUlT_T0_E_clISt17integral_constantIbLb0EES13_EEDaSY_SZ_EUlSY_E_NS1_11comp_targetILNS1_3genE10ELNS1_11target_archE1201ELNS1_3gpuE5ELNS1_3repE0EEENS1_30default_config_static_selectorELNS0_4arch9wavefront6targetE1EEEvT1_, .Lfunc_end1645-_ZN7rocprim17ROCPRIM_400000_NS6detail17trampoline_kernelINS0_14default_configENS1_27scan_by_key_config_selectorIijEEZZNS1_16scan_by_key_implILNS1_25lookback_scan_determinismE0ELb0ES3_N6thrust23THRUST_200600_302600_NS6detail15normal_iteratorINS9_10device_ptrIiEEEENSB_INSC_IjEEEENSB_INSC_IfEEEEjNS9_4plusIvEENS9_8equal_toIvEEjEE10hipError_tPvRmT2_T3_T4_T5_mT6_T7_P12ihipStream_tbENKUlT_T0_E_clISt17integral_constantIbLb0EES13_EEDaSY_SZ_EUlSY_E_NS1_11comp_targetILNS1_3genE10ELNS1_11target_archE1201ELNS1_3gpuE5ELNS1_3repE0EEENS1_30default_config_static_selectorELNS0_4arch9wavefront6targetE1EEEvT1_
                                        ; -- End function
	.section	.AMDGPU.csdata,"",@progbits
; Kernel info:
; codeLenInByte = 0
; NumSgprs: 4
; NumVgprs: 0
; NumAgprs: 0
; TotalNumVgprs: 0
; ScratchSize: 0
; MemoryBound: 0
; FloatMode: 240
; IeeeMode: 1
; LDSByteSize: 0 bytes/workgroup (compile time only)
; SGPRBlocks: 0
; VGPRBlocks: 0
; NumSGPRsForWavesPerEU: 4
; NumVGPRsForWavesPerEU: 1
; AccumOffset: 4
; Occupancy: 8
; WaveLimiterHint : 0
; COMPUTE_PGM_RSRC2:SCRATCH_EN: 0
; COMPUTE_PGM_RSRC2:USER_SGPR: 6
; COMPUTE_PGM_RSRC2:TRAP_HANDLER: 0
; COMPUTE_PGM_RSRC2:TGID_X_EN: 1
; COMPUTE_PGM_RSRC2:TGID_Y_EN: 0
; COMPUTE_PGM_RSRC2:TGID_Z_EN: 0
; COMPUTE_PGM_RSRC2:TIDIG_COMP_CNT: 0
; COMPUTE_PGM_RSRC3_GFX90A:ACCUM_OFFSET: 0
; COMPUTE_PGM_RSRC3_GFX90A:TG_SPLIT: 0
	.section	.text._ZN7rocprim17ROCPRIM_400000_NS6detail17trampoline_kernelINS0_14default_configENS1_27scan_by_key_config_selectorIijEEZZNS1_16scan_by_key_implILNS1_25lookback_scan_determinismE0ELb0ES3_N6thrust23THRUST_200600_302600_NS6detail15normal_iteratorINS9_10device_ptrIiEEEENSB_INSC_IjEEEENSB_INSC_IfEEEEjNS9_4plusIvEENS9_8equal_toIvEEjEE10hipError_tPvRmT2_T3_T4_T5_mT6_T7_P12ihipStream_tbENKUlT_T0_E_clISt17integral_constantIbLb0EES13_EEDaSY_SZ_EUlSY_E_NS1_11comp_targetILNS1_3genE5ELNS1_11target_archE942ELNS1_3gpuE9ELNS1_3repE0EEENS1_30default_config_static_selectorELNS0_4arch9wavefront6targetE1EEEvT1_,"axG",@progbits,_ZN7rocprim17ROCPRIM_400000_NS6detail17trampoline_kernelINS0_14default_configENS1_27scan_by_key_config_selectorIijEEZZNS1_16scan_by_key_implILNS1_25lookback_scan_determinismE0ELb0ES3_N6thrust23THRUST_200600_302600_NS6detail15normal_iteratorINS9_10device_ptrIiEEEENSB_INSC_IjEEEENSB_INSC_IfEEEEjNS9_4plusIvEENS9_8equal_toIvEEjEE10hipError_tPvRmT2_T3_T4_T5_mT6_T7_P12ihipStream_tbENKUlT_T0_E_clISt17integral_constantIbLb0EES13_EEDaSY_SZ_EUlSY_E_NS1_11comp_targetILNS1_3genE5ELNS1_11target_archE942ELNS1_3gpuE9ELNS1_3repE0EEENS1_30default_config_static_selectorELNS0_4arch9wavefront6targetE1EEEvT1_,comdat
	.protected	_ZN7rocprim17ROCPRIM_400000_NS6detail17trampoline_kernelINS0_14default_configENS1_27scan_by_key_config_selectorIijEEZZNS1_16scan_by_key_implILNS1_25lookback_scan_determinismE0ELb0ES3_N6thrust23THRUST_200600_302600_NS6detail15normal_iteratorINS9_10device_ptrIiEEEENSB_INSC_IjEEEENSB_INSC_IfEEEEjNS9_4plusIvEENS9_8equal_toIvEEjEE10hipError_tPvRmT2_T3_T4_T5_mT6_T7_P12ihipStream_tbENKUlT_T0_E_clISt17integral_constantIbLb0EES13_EEDaSY_SZ_EUlSY_E_NS1_11comp_targetILNS1_3genE5ELNS1_11target_archE942ELNS1_3gpuE9ELNS1_3repE0EEENS1_30default_config_static_selectorELNS0_4arch9wavefront6targetE1EEEvT1_ ; -- Begin function _ZN7rocprim17ROCPRIM_400000_NS6detail17trampoline_kernelINS0_14default_configENS1_27scan_by_key_config_selectorIijEEZZNS1_16scan_by_key_implILNS1_25lookback_scan_determinismE0ELb0ES3_N6thrust23THRUST_200600_302600_NS6detail15normal_iteratorINS9_10device_ptrIiEEEENSB_INSC_IjEEEENSB_INSC_IfEEEEjNS9_4plusIvEENS9_8equal_toIvEEjEE10hipError_tPvRmT2_T3_T4_T5_mT6_T7_P12ihipStream_tbENKUlT_T0_E_clISt17integral_constantIbLb0EES13_EEDaSY_SZ_EUlSY_E_NS1_11comp_targetILNS1_3genE5ELNS1_11target_archE942ELNS1_3gpuE9ELNS1_3repE0EEENS1_30default_config_static_selectorELNS0_4arch9wavefront6targetE1EEEvT1_
	.globl	_ZN7rocprim17ROCPRIM_400000_NS6detail17trampoline_kernelINS0_14default_configENS1_27scan_by_key_config_selectorIijEEZZNS1_16scan_by_key_implILNS1_25lookback_scan_determinismE0ELb0ES3_N6thrust23THRUST_200600_302600_NS6detail15normal_iteratorINS9_10device_ptrIiEEEENSB_INSC_IjEEEENSB_INSC_IfEEEEjNS9_4plusIvEENS9_8equal_toIvEEjEE10hipError_tPvRmT2_T3_T4_T5_mT6_T7_P12ihipStream_tbENKUlT_T0_E_clISt17integral_constantIbLb0EES13_EEDaSY_SZ_EUlSY_E_NS1_11comp_targetILNS1_3genE5ELNS1_11target_archE942ELNS1_3gpuE9ELNS1_3repE0EEENS1_30default_config_static_selectorELNS0_4arch9wavefront6targetE1EEEvT1_
	.p2align	8
	.type	_ZN7rocprim17ROCPRIM_400000_NS6detail17trampoline_kernelINS0_14default_configENS1_27scan_by_key_config_selectorIijEEZZNS1_16scan_by_key_implILNS1_25lookback_scan_determinismE0ELb0ES3_N6thrust23THRUST_200600_302600_NS6detail15normal_iteratorINS9_10device_ptrIiEEEENSB_INSC_IjEEEENSB_INSC_IfEEEEjNS9_4plusIvEENS9_8equal_toIvEEjEE10hipError_tPvRmT2_T3_T4_T5_mT6_T7_P12ihipStream_tbENKUlT_T0_E_clISt17integral_constantIbLb0EES13_EEDaSY_SZ_EUlSY_E_NS1_11comp_targetILNS1_3genE5ELNS1_11target_archE942ELNS1_3gpuE9ELNS1_3repE0EEENS1_30default_config_static_selectorELNS0_4arch9wavefront6targetE1EEEvT1_,@function
_ZN7rocprim17ROCPRIM_400000_NS6detail17trampoline_kernelINS0_14default_configENS1_27scan_by_key_config_selectorIijEEZZNS1_16scan_by_key_implILNS1_25lookback_scan_determinismE0ELb0ES3_N6thrust23THRUST_200600_302600_NS6detail15normal_iteratorINS9_10device_ptrIiEEEENSB_INSC_IjEEEENSB_INSC_IfEEEEjNS9_4plusIvEENS9_8equal_toIvEEjEE10hipError_tPvRmT2_T3_T4_T5_mT6_T7_P12ihipStream_tbENKUlT_T0_E_clISt17integral_constantIbLb0EES13_EEDaSY_SZ_EUlSY_E_NS1_11comp_targetILNS1_3genE5ELNS1_11target_archE942ELNS1_3gpuE9ELNS1_3repE0EEENS1_30default_config_static_selectorELNS0_4arch9wavefront6targetE1EEEvT1_: ; @_ZN7rocprim17ROCPRIM_400000_NS6detail17trampoline_kernelINS0_14default_configENS1_27scan_by_key_config_selectorIijEEZZNS1_16scan_by_key_implILNS1_25lookback_scan_determinismE0ELb0ES3_N6thrust23THRUST_200600_302600_NS6detail15normal_iteratorINS9_10device_ptrIiEEEENSB_INSC_IjEEEENSB_INSC_IfEEEEjNS9_4plusIvEENS9_8equal_toIvEEjEE10hipError_tPvRmT2_T3_T4_T5_mT6_T7_P12ihipStream_tbENKUlT_T0_E_clISt17integral_constantIbLb0EES13_EEDaSY_SZ_EUlSY_E_NS1_11comp_targetILNS1_3genE5ELNS1_11target_archE942ELNS1_3gpuE9ELNS1_3repE0EEENS1_30default_config_static_selectorELNS0_4arch9wavefront6targetE1EEEvT1_
; %bb.0:
	.section	.rodata,"a",@progbits
	.p2align	6, 0x0
	.amdhsa_kernel _ZN7rocprim17ROCPRIM_400000_NS6detail17trampoline_kernelINS0_14default_configENS1_27scan_by_key_config_selectorIijEEZZNS1_16scan_by_key_implILNS1_25lookback_scan_determinismE0ELb0ES3_N6thrust23THRUST_200600_302600_NS6detail15normal_iteratorINS9_10device_ptrIiEEEENSB_INSC_IjEEEENSB_INSC_IfEEEEjNS9_4plusIvEENS9_8equal_toIvEEjEE10hipError_tPvRmT2_T3_T4_T5_mT6_T7_P12ihipStream_tbENKUlT_T0_E_clISt17integral_constantIbLb0EES13_EEDaSY_SZ_EUlSY_E_NS1_11comp_targetILNS1_3genE5ELNS1_11target_archE942ELNS1_3gpuE9ELNS1_3repE0EEENS1_30default_config_static_selectorELNS0_4arch9wavefront6targetE1EEEvT1_
		.amdhsa_group_segment_fixed_size 0
		.amdhsa_private_segment_fixed_size 0
		.amdhsa_kernarg_size 112
		.amdhsa_user_sgpr_count 6
		.amdhsa_user_sgpr_private_segment_buffer 1
		.amdhsa_user_sgpr_dispatch_ptr 0
		.amdhsa_user_sgpr_queue_ptr 0
		.amdhsa_user_sgpr_kernarg_segment_ptr 1
		.amdhsa_user_sgpr_dispatch_id 0
		.amdhsa_user_sgpr_flat_scratch_init 0
		.amdhsa_user_sgpr_kernarg_preload_length 0
		.amdhsa_user_sgpr_kernarg_preload_offset 0
		.amdhsa_user_sgpr_private_segment_size 0
		.amdhsa_uses_dynamic_stack 0
		.amdhsa_system_sgpr_private_segment_wavefront_offset 0
		.amdhsa_system_sgpr_workgroup_id_x 1
		.amdhsa_system_sgpr_workgroup_id_y 0
		.amdhsa_system_sgpr_workgroup_id_z 0
		.amdhsa_system_sgpr_workgroup_info 0
		.amdhsa_system_vgpr_workitem_id 0
		.amdhsa_next_free_vgpr 1
		.amdhsa_next_free_sgpr 0
		.amdhsa_accum_offset 4
		.amdhsa_reserve_vcc 0
		.amdhsa_reserve_flat_scratch 0
		.amdhsa_float_round_mode_32 0
		.amdhsa_float_round_mode_16_64 0
		.amdhsa_float_denorm_mode_32 3
		.amdhsa_float_denorm_mode_16_64 3
		.amdhsa_dx10_clamp 1
		.amdhsa_ieee_mode 1
		.amdhsa_fp16_overflow 0
		.amdhsa_tg_split 0
		.amdhsa_exception_fp_ieee_invalid_op 0
		.amdhsa_exception_fp_denorm_src 0
		.amdhsa_exception_fp_ieee_div_zero 0
		.amdhsa_exception_fp_ieee_overflow 0
		.amdhsa_exception_fp_ieee_underflow 0
		.amdhsa_exception_fp_ieee_inexact 0
		.amdhsa_exception_int_div_zero 0
	.end_amdhsa_kernel
	.section	.text._ZN7rocprim17ROCPRIM_400000_NS6detail17trampoline_kernelINS0_14default_configENS1_27scan_by_key_config_selectorIijEEZZNS1_16scan_by_key_implILNS1_25lookback_scan_determinismE0ELb0ES3_N6thrust23THRUST_200600_302600_NS6detail15normal_iteratorINS9_10device_ptrIiEEEENSB_INSC_IjEEEENSB_INSC_IfEEEEjNS9_4plusIvEENS9_8equal_toIvEEjEE10hipError_tPvRmT2_T3_T4_T5_mT6_T7_P12ihipStream_tbENKUlT_T0_E_clISt17integral_constantIbLb0EES13_EEDaSY_SZ_EUlSY_E_NS1_11comp_targetILNS1_3genE5ELNS1_11target_archE942ELNS1_3gpuE9ELNS1_3repE0EEENS1_30default_config_static_selectorELNS0_4arch9wavefront6targetE1EEEvT1_,"axG",@progbits,_ZN7rocprim17ROCPRIM_400000_NS6detail17trampoline_kernelINS0_14default_configENS1_27scan_by_key_config_selectorIijEEZZNS1_16scan_by_key_implILNS1_25lookback_scan_determinismE0ELb0ES3_N6thrust23THRUST_200600_302600_NS6detail15normal_iteratorINS9_10device_ptrIiEEEENSB_INSC_IjEEEENSB_INSC_IfEEEEjNS9_4plusIvEENS9_8equal_toIvEEjEE10hipError_tPvRmT2_T3_T4_T5_mT6_T7_P12ihipStream_tbENKUlT_T0_E_clISt17integral_constantIbLb0EES13_EEDaSY_SZ_EUlSY_E_NS1_11comp_targetILNS1_3genE5ELNS1_11target_archE942ELNS1_3gpuE9ELNS1_3repE0EEENS1_30default_config_static_selectorELNS0_4arch9wavefront6targetE1EEEvT1_,comdat
.Lfunc_end1646:
	.size	_ZN7rocprim17ROCPRIM_400000_NS6detail17trampoline_kernelINS0_14default_configENS1_27scan_by_key_config_selectorIijEEZZNS1_16scan_by_key_implILNS1_25lookback_scan_determinismE0ELb0ES3_N6thrust23THRUST_200600_302600_NS6detail15normal_iteratorINS9_10device_ptrIiEEEENSB_INSC_IjEEEENSB_INSC_IfEEEEjNS9_4plusIvEENS9_8equal_toIvEEjEE10hipError_tPvRmT2_T3_T4_T5_mT6_T7_P12ihipStream_tbENKUlT_T0_E_clISt17integral_constantIbLb0EES13_EEDaSY_SZ_EUlSY_E_NS1_11comp_targetILNS1_3genE5ELNS1_11target_archE942ELNS1_3gpuE9ELNS1_3repE0EEENS1_30default_config_static_selectorELNS0_4arch9wavefront6targetE1EEEvT1_, .Lfunc_end1646-_ZN7rocprim17ROCPRIM_400000_NS6detail17trampoline_kernelINS0_14default_configENS1_27scan_by_key_config_selectorIijEEZZNS1_16scan_by_key_implILNS1_25lookback_scan_determinismE0ELb0ES3_N6thrust23THRUST_200600_302600_NS6detail15normal_iteratorINS9_10device_ptrIiEEEENSB_INSC_IjEEEENSB_INSC_IfEEEEjNS9_4plusIvEENS9_8equal_toIvEEjEE10hipError_tPvRmT2_T3_T4_T5_mT6_T7_P12ihipStream_tbENKUlT_T0_E_clISt17integral_constantIbLb0EES13_EEDaSY_SZ_EUlSY_E_NS1_11comp_targetILNS1_3genE5ELNS1_11target_archE942ELNS1_3gpuE9ELNS1_3repE0EEENS1_30default_config_static_selectorELNS0_4arch9wavefront6targetE1EEEvT1_
                                        ; -- End function
	.section	.AMDGPU.csdata,"",@progbits
; Kernel info:
; codeLenInByte = 0
; NumSgprs: 4
; NumVgprs: 0
; NumAgprs: 0
; TotalNumVgprs: 0
; ScratchSize: 0
; MemoryBound: 0
; FloatMode: 240
; IeeeMode: 1
; LDSByteSize: 0 bytes/workgroup (compile time only)
; SGPRBlocks: 0
; VGPRBlocks: 0
; NumSGPRsForWavesPerEU: 4
; NumVGPRsForWavesPerEU: 1
; AccumOffset: 4
; Occupancy: 8
; WaveLimiterHint : 0
; COMPUTE_PGM_RSRC2:SCRATCH_EN: 0
; COMPUTE_PGM_RSRC2:USER_SGPR: 6
; COMPUTE_PGM_RSRC2:TRAP_HANDLER: 0
; COMPUTE_PGM_RSRC2:TGID_X_EN: 1
; COMPUTE_PGM_RSRC2:TGID_Y_EN: 0
; COMPUTE_PGM_RSRC2:TGID_Z_EN: 0
; COMPUTE_PGM_RSRC2:TIDIG_COMP_CNT: 0
; COMPUTE_PGM_RSRC3_GFX90A:ACCUM_OFFSET: 0
; COMPUTE_PGM_RSRC3_GFX90A:TG_SPLIT: 0
	.section	.text._ZN7rocprim17ROCPRIM_400000_NS6detail17trampoline_kernelINS0_14default_configENS1_27scan_by_key_config_selectorIijEEZZNS1_16scan_by_key_implILNS1_25lookback_scan_determinismE0ELb0ES3_N6thrust23THRUST_200600_302600_NS6detail15normal_iteratorINS9_10device_ptrIiEEEENSB_INSC_IjEEEENSB_INSC_IfEEEEjNS9_4plusIvEENS9_8equal_toIvEEjEE10hipError_tPvRmT2_T3_T4_T5_mT6_T7_P12ihipStream_tbENKUlT_T0_E_clISt17integral_constantIbLb0EES13_EEDaSY_SZ_EUlSY_E_NS1_11comp_targetILNS1_3genE4ELNS1_11target_archE910ELNS1_3gpuE8ELNS1_3repE0EEENS1_30default_config_static_selectorELNS0_4arch9wavefront6targetE1EEEvT1_,"axG",@progbits,_ZN7rocprim17ROCPRIM_400000_NS6detail17trampoline_kernelINS0_14default_configENS1_27scan_by_key_config_selectorIijEEZZNS1_16scan_by_key_implILNS1_25lookback_scan_determinismE0ELb0ES3_N6thrust23THRUST_200600_302600_NS6detail15normal_iteratorINS9_10device_ptrIiEEEENSB_INSC_IjEEEENSB_INSC_IfEEEEjNS9_4plusIvEENS9_8equal_toIvEEjEE10hipError_tPvRmT2_T3_T4_T5_mT6_T7_P12ihipStream_tbENKUlT_T0_E_clISt17integral_constantIbLb0EES13_EEDaSY_SZ_EUlSY_E_NS1_11comp_targetILNS1_3genE4ELNS1_11target_archE910ELNS1_3gpuE8ELNS1_3repE0EEENS1_30default_config_static_selectorELNS0_4arch9wavefront6targetE1EEEvT1_,comdat
	.protected	_ZN7rocprim17ROCPRIM_400000_NS6detail17trampoline_kernelINS0_14default_configENS1_27scan_by_key_config_selectorIijEEZZNS1_16scan_by_key_implILNS1_25lookback_scan_determinismE0ELb0ES3_N6thrust23THRUST_200600_302600_NS6detail15normal_iteratorINS9_10device_ptrIiEEEENSB_INSC_IjEEEENSB_INSC_IfEEEEjNS9_4plusIvEENS9_8equal_toIvEEjEE10hipError_tPvRmT2_T3_T4_T5_mT6_T7_P12ihipStream_tbENKUlT_T0_E_clISt17integral_constantIbLb0EES13_EEDaSY_SZ_EUlSY_E_NS1_11comp_targetILNS1_3genE4ELNS1_11target_archE910ELNS1_3gpuE8ELNS1_3repE0EEENS1_30default_config_static_selectorELNS0_4arch9wavefront6targetE1EEEvT1_ ; -- Begin function _ZN7rocprim17ROCPRIM_400000_NS6detail17trampoline_kernelINS0_14default_configENS1_27scan_by_key_config_selectorIijEEZZNS1_16scan_by_key_implILNS1_25lookback_scan_determinismE0ELb0ES3_N6thrust23THRUST_200600_302600_NS6detail15normal_iteratorINS9_10device_ptrIiEEEENSB_INSC_IjEEEENSB_INSC_IfEEEEjNS9_4plusIvEENS9_8equal_toIvEEjEE10hipError_tPvRmT2_T3_T4_T5_mT6_T7_P12ihipStream_tbENKUlT_T0_E_clISt17integral_constantIbLb0EES13_EEDaSY_SZ_EUlSY_E_NS1_11comp_targetILNS1_3genE4ELNS1_11target_archE910ELNS1_3gpuE8ELNS1_3repE0EEENS1_30default_config_static_selectorELNS0_4arch9wavefront6targetE1EEEvT1_
	.globl	_ZN7rocprim17ROCPRIM_400000_NS6detail17trampoline_kernelINS0_14default_configENS1_27scan_by_key_config_selectorIijEEZZNS1_16scan_by_key_implILNS1_25lookback_scan_determinismE0ELb0ES3_N6thrust23THRUST_200600_302600_NS6detail15normal_iteratorINS9_10device_ptrIiEEEENSB_INSC_IjEEEENSB_INSC_IfEEEEjNS9_4plusIvEENS9_8equal_toIvEEjEE10hipError_tPvRmT2_T3_T4_T5_mT6_T7_P12ihipStream_tbENKUlT_T0_E_clISt17integral_constantIbLb0EES13_EEDaSY_SZ_EUlSY_E_NS1_11comp_targetILNS1_3genE4ELNS1_11target_archE910ELNS1_3gpuE8ELNS1_3repE0EEENS1_30default_config_static_selectorELNS0_4arch9wavefront6targetE1EEEvT1_
	.p2align	8
	.type	_ZN7rocprim17ROCPRIM_400000_NS6detail17trampoline_kernelINS0_14default_configENS1_27scan_by_key_config_selectorIijEEZZNS1_16scan_by_key_implILNS1_25lookback_scan_determinismE0ELb0ES3_N6thrust23THRUST_200600_302600_NS6detail15normal_iteratorINS9_10device_ptrIiEEEENSB_INSC_IjEEEENSB_INSC_IfEEEEjNS9_4plusIvEENS9_8equal_toIvEEjEE10hipError_tPvRmT2_T3_T4_T5_mT6_T7_P12ihipStream_tbENKUlT_T0_E_clISt17integral_constantIbLb0EES13_EEDaSY_SZ_EUlSY_E_NS1_11comp_targetILNS1_3genE4ELNS1_11target_archE910ELNS1_3gpuE8ELNS1_3repE0EEENS1_30default_config_static_selectorELNS0_4arch9wavefront6targetE1EEEvT1_,@function
_ZN7rocprim17ROCPRIM_400000_NS6detail17trampoline_kernelINS0_14default_configENS1_27scan_by_key_config_selectorIijEEZZNS1_16scan_by_key_implILNS1_25lookback_scan_determinismE0ELb0ES3_N6thrust23THRUST_200600_302600_NS6detail15normal_iteratorINS9_10device_ptrIiEEEENSB_INSC_IjEEEENSB_INSC_IfEEEEjNS9_4plusIvEENS9_8equal_toIvEEjEE10hipError_tPvRmT2_T3_T4_T5_mT6_T7_P12ihipStream_tbENKUlT_T0_E_clISt17integral_constantIbLb0EES13_EEDaSY_SZ_EUlSY_E_NS1_11comp_targetILNS1_3genE4ELNS1_11target_archE910ELNS1_3gpuE8ELNS1_3repE0EEENS1_30default_config_static_selectorELNS0_4arch9wavefront6targetE1EEEvT1_: ; @_ZN7rocprim17ROCPRIM_400000_NS6detail17trampoline_kernelINS0_14default_configENS1_27scan_by_key_config_selectorIijEEZZNS1_16scan_by_key_implILNS1_25lookback_scan_determinismE0ELb0ES3_N6thrust23THRUST_200600_302600_NS6detail15normal_iteratorINS9_10device_ptrIiEEEENSB_INSC_IjEEEENSB_INSC_IfEEEEjNS9_4plusIvEENS9_8equal_toIvEEjEE10hipError_tPvRmT2_T3_T4_T5_mT6_T7_P12ihipStream_tbENKUlT_T0_E_clISt17integral_constantIbLb0EES13_EEDaSY_SZ_EUlSY_E_NS1_11comp_targetILNS1_3genE4ELNS1_11target_archE910ELNS1_3gpuE8ELNS1_3repE0EEENS1_30default_config_static_selectorELNS0_4arch9wavefront6targetE1EEEvT1_
; %bb.0:
	s_load_dwordx8 s[36:43], s[4:5], 0x0
	s_load_dwordx4 s[52:55], s[4:5], 0x28
	s_load_dwordx2 s[56:57], s[4:5], 0x38
	s_load_dword s0, s[4:5], 0x40
	s_load_dwordx8 s[44:51], s[4:5], 0x48
	s_waitcnt lgkmcnt(0)
	s_lshl_b64 s[38:39], s[38:39], 2
	s_add_u32 s2, s36, s38
	s_addc_u32 s3, s37, s39
	s_add_u32 s4, s40, s38
	s_mul_i32 s1, s57, s0
	s_mul_hi_u32 s7, s56, s0
	s_addc_u32 s5, s41, s39
	s_add_i32 s8, s7, s1
	s_mul_i32 s9, s56, s0
	s_cmp_lg_u64 s[48:49], 0
	s_mul_i32 s0, s6, 0xe00
	s_mov_b32 s1, 0
	s_cselect_b64 s[40:41], -1, 0
	s_lshl_b64 s[36:37], s[0:1], 2
	s_add_u32 s34, s2, s36
	s_addc_u32 s35, s3, s37
	s_add_u32 s7, s4, s36
	s_addc_u32 s55, s5, s37
	;; [unrolled: 2-line block ×3, first 2 shown]
	s_add_u32 s2, s44, -1
	s_addc_u32 s3, s45, -1
	v_pk_mov_b32 v[2:3], s[2:3], s[2:3] op_sel:[0,1]
	v_cmp_ge_u64_e64 s[0:1], s[48:49], v[2:3]
	s_mov_b64 s[18:19], 0
	s_mov_b64 s[4:5], -1
	s_and_b64 vcc, exec, s[0:1]
	s_mul_i32 s33, s2, 0xfffff200
	s_barrier
	s_cbranch_vccz .LBB1647_77
; %bb.1:
	v_pk_mov_b32 v[2:3], s[34:35], s[34:35] op_sel:[0,1]
	flat_load_dword v1, v[2:3]
	s_add_i32 s60, s33, s54
	v_cmp_gt_u32_e64 s[2:3], s60, v0
	s_waitcnt vmcnt(0) lgkmcnt(0)
	v_mov_b32_e32 v13, v1
	s_and_saveexec_b64 s[4:5], s[2:3]
	s_cbranch_execz .LBB1647_3
; %bb.2:
	v_lshlrev_b32_e32 v2, 2, v0
	v_mov_b32_e32 v3, s35
	v_add_co_u32_e32 v2, vcc, s34, v2
	v_addc_co_u32_e32 v3, vcc, 0, v3, vcc
	flat_load_dword v13, v[2:3]
.LBB1647_3:
	s_or_b64 exec, exec, s[4:5]
	v_or_b32_e32 v2, 0x100, v0
	v_cmp_gt_u32_e64 s[4:5], s60, v2
	v_mov_b32_e32 v14, v1
	s_and_saveexec_b64 s[8:9], s[4:5]
	s_cbranch_execz .LBB1647_5
; %bb.4:
	v_lshlrev_b32_e32 v2, 2, v0
	v_mov_b32_e32 v3, s35
	v_add_co_u32_e32 v2, vcc, s34, v2
	v_addc_co_u32_e32 v3, vcc, 0, v3, vcc
	flat_load_dword v14, v[2:3] offset:1024
.LBB1647_5:
	s_or_b64 exec, exec, s[8:9]
	v_or_b32_e32 v2, 0x200, v0
	v_cmp_gt_u32_e64 s[30:31], s60, v2
	v_mov_b32_e32 v15, v1
	s_and_saveexec_b64 s[8:9], s[30:31]
	s_cbranch_execz .LBB1647_7
; %bb.6:
	v_lshlrev_b32_e32 v2, 2, v0
	v_mov_b32_e32 v3, s35
	v_add_co_u32_e32 v2, vcc, s34, v2
	v_addc_co_u32_e32 v3, vcc, 0, v3, vcc
	flat_load_dword v15, v[2:3] offset:2048
.LBB1647_7:
	;; [unrolled: 13-line block ×3, first 2 shown]
	s_or_b64 exec, exec, s[10:11]
	v_or_b32_e32 v2, 0x400, v0
	v_cmp_gt_u32_e64 s[10:11], s60, v2
	v_lshlrev_b32_e32 v2, 2, v2
	v_mov_b32_e32 v17, v1
	s_and_saveexec_b64 s[12:13], s[10:11]
	s_cbranch_execz .LBB1647_11
; %bb.10:
	v_mov_b32_e32 v3, s35
	v_add_co_u32_e32 v4, vcc, s34, v2
	v_addc_co_u32_e32 v5, vcc, 0, v3, vcc
	flat_load_dword v17, v[4:5]
.LBB1647_11:
	s_or_b64 exec, exec, s[12:13]
	v_or_b32_e32 v3, 0x500, v0
	v_cmp_gt_u32_e64 s[12:13], s60, v3
	v_lshlrev_b32_e32 v3, 2, v3
	v_mov_b32_e32 v18, v1
	s_and_saveexec_b64 s[14:15], s[12:13]
	s_cbranch_execz .LBB1647_13
; %bb.12:
	v_mov_b32_e32 v5, s35
	v_add_co_u32_e32 v4, vcc, s34, v3
	v_addc_co_u32_e32 v5, vcc, 0, v5, vcc
	flat_load_dword v18, v[4:5]
.LBB1647_13:
	;; [unrolled: 13-line block ×9, first 2 shown]
	s_or_b64 exec, exec, s[28:29]
	v_or_b32_e32 v11, 0xd00, v0
	v_cmp_gt_u32_e64 s[28:29], s60, v11
	v_lshlrev_b32_e32 v11, 2, v11
	s_and_saveexec_b64 s[44:45], s[28:29]
	s_cbranch_execz .LBB1647_29
; %bb.28:
	v_mov_b32_e32 v1, s35
	v_add_co_u32_e32 v26, vcc, s34, v11
	v_addc_co_u32_e32 v27, vcc, 0, v1, vcc
	flat_load_dword v1, v[26:27]
.LBB1647_29:
	s_or_b64 exec, exec, s[44:45]
	v_lshlrev_b32_e32 v12, 2, v0
	s_waitcnt vmcnt(0) lgkmcnt(0)
	ds_write2st64_b32 v12, v13, v14 offset1:4
	ds_write2st64_b32 v12, v15, v16 offset0:8 offset1:12
	ds_write2st64_b32 v12, v17, v18 offset0:16 offset1:20
	;; [unrolled: 1-line block ×6, first 2 shown]
	v_mad_u32_u24 v1, v0, 52, v12
	s_waitcnt lgkmcnt(0)
	s_barrier
	ds_read2_b64 v[34:37], v1 offset1:1
	ds_read2_b64 v[30:33], v1 offset0:2 offset1:3
	ds_read2_b64 v[26:29], v1 offset0:4 offset1:5
	ds_read_b64 v[40:41], v1 offset:48
	s_cmp_eq_u64 s[48:49], 0
	s_mov_b64 s[44:45], s[34:35]
	s_cbranch_scc1 .LBB1647_33
; %bb.30:
	s_andn2_b64 vcc, exec, s[40:41]
	s_cbranch_vccnz .LBB1647_179
; %bb.31:
	s_lshl_b64 s[44:45], s[48:49], 2
	s_add_u32 s44, s50, s44
	s_addc_u32 s45, s51, s45
	s_add_u32 s44, s44, -4
	s_addc_u32 s45, s45, -1
	s_cbranch_execnz .LBB1647_33
.LBB1647_32:
	s_add_u32 s44, s34, -4
	s_addc_u32 s45, s35, -1
.LBB1647_33:
	v_pk_mov_b32 v[14:15], s[44:45], s[44:45] op_sel:[0,1]
	flat_load_dword v44, v[14:15]
	s_movk_i32 s44, 0xffcc
	v_mad_i32_i24 v13, v0, s44, v1
	v_cmp_ne_u32_e32 vcc, 0, v0
	s_waitcnt lgkmcnt(0)
	ds_write_b32 v13, v41 offset:14336
	s_waitcnt lgkmcnt(0)
	s_barrier
	s_and_saveexec_b64 s[44:45], vcc
	s_cbranch_execz .LBB1647_35
; %bb.34:
	v_mul_i32_i24_e32 v13, 0xffffffcc, v0
	v_add_u32_e32 v13, v1, v13
	s_waitcnt vmcnt(0)
	ds_read_b32 v44, v13 offset:14332
.LBB1647_35:
	s_or_b64 exec, exec, s[44:45]
	s_waitcnt lgkmcnt(0)
	s_barrier
	s_waitcnt lgkmcnt(0)
                                        ; implicit-def: $vgpr13
	s_and_saveexec_b64 s[44:45], s[2:3]
	s_cbranch_execnz .LBB1647_166
; %bb.36:
	s_or_b64 exec, exec, s[44:45]
                                        ; implicit-def: $vgpr14
	s_and_saveexec_b64 s[2:3], s[4:5]
	s_cbranch_execnz .LBB1647_167
.LBB1647_37:
	s_or_b64 exec, exec, s[2:3]
                                        ; implicit-def: $vgpr15
	s_and_saveexec_b64 s[2:3], s[30:31]
	s_cbranch_execnz .LBB1647_168
.LBB1647_38:
	s_or_b64 exec, exec, s[2:3]
                                        ; implicit-def: $vgpr16
	s_and_saveexec_b64 s[2:3], s[8:9]
	s_cbranch_execnz .LBB1647_169
.LBB1647_39:
	s_or_b64 exec, exec, s[2:3]
                                        ; implicit-def: $vgpr17
	s_and_saveexec_b64 s[2:3], s[10:11]
	s_cbranch_execnz .LBB1647_170
.LBB1647_40:
	s_or_b64 exec, exec, s[2:3]
                                        ; implicit-def: $vgpr2
	s_and_saveexec_b64 s[2:3], s[12:13]
	s_cbranch_execnz .LBB1647_171
.LBB1647_41:
	s_or_b64 exec, exec, s[2:3]
                                        ; implicit-def: $vgpr3
	s_and_saveexec_b64 s[2:3], s[14:15]
	s_cbranch_execnz .LBB1647_172
.LBB1647_42:
	s_or_b64 exec, exec, s[2:3]
                                        ; implicit-def: $vgpr4
	s_and_saveexec_b64 s[2:3], s[16:17]
	s_cbranch_execnz .LBB1647_173
.LBB1647_43:
	s_or_b64 exec, exec, s[2:3]
                                        ; implicit-def: $vgpr5
	s_and_saveexec_b64 s[2:3], s[18:19]
	s_cbranch_execnz .LBB1647_174
.LBB1647_44:
	s_or_b64 exec, exec, s[2:3]
                                        ; implicit-def: $vgpr6
	s_and_saveexec_b64 s[2:3], s[20:21]
	s_cbranch_execnz .LBB1647_175
.LBB1647_45:
	s_or_b64 exec, exec, s[2:3]
                                        ; implicit-def: $vgpr7
	s_and_saveexec_b64 s[2:3], s[22:23]
	s_cbranch_execnz .LBB1647_176
.LBB1647_46:
	s_or_b64 exec, exec, s[2:3]
                                        ; implicit-def: $vgpr8
	s_and_saveexec_b64 s[2:3], s[24:25]
	s_cbranch_execnz .LBB1647_177
.LBB1647_47:
	s_or_b64 exec, exec, s[2:3]
                                        ; implicit-def: $vgpr9
	s_and_saveexec_b64 s[2:3], s[26:27]
	s_cbranch_execnz .LBB1647_178
.LBB1647_48:
	s_or_b64 exec, exec, s[2:3]
                                        ; implicit-def: $vgpr10
	s_and_saveexec_b64 s[2:3], s[28:29]
	s_cbranch_execz .LBB1647_50
.LBB1647_49:
	v_mov_b32_e32 v18, s55
	v_add_co_u32_e32 v10, vcc, s7, v11
	v_addc_co_u32_e32 v11, vcc, 0, v18, vcc
	flat_load_dword v10, v[10:11]
.LBB1647_50:
	s_or_b64 exec, exec, s[2:3]
	s_mov_b32 s8, 0
	s_mov_b32 s9, s8
	s_waitcnt vmcnt(0) lgkmcnt(0)
	ds_write2st64_b32 v12, v13, v14 offset1:4
	ds_write2st64_b32 v12, v15, v16 offset0:8 offset1:12
	ds_write2st64_b32 v12, v17, v2 offset0:16 offset1:20
	ds_write2st64_b32 v12, v3, v4 offset0:24 offset1:28
	ds_write2st64_b32 v12, v5, v6 offset0:32 offset1:36
	ds_write2st64_b32 v12, v7, v8 offset0:40 offset1:44
	ds_write2st64_b32 v12, v9, v10 offset0:48 offset1:52
	s_mov_b32 s10, s8
	s_mov_b32 s11, s8
	;; [unrolled: 1-line block ×6, first 2 shown]
	v_pk_mov_b32 v[2:3], s[8:9], s[8:9] op_sel:[0,1]
	v_pk_mov_b32 v[8:9], s[14:15], s[14:15] op_sel:[0,1]
	v_mul_u32_u24_e32 v42, 14, v0
	v_pk_mov_b32 v[4:5], s[10:11], s[10:11] op_sel:[0,1]
	v_pk_mov_b32 v[6:7], s[12:13], s[12:13] op_sel:[0,1]
	;; [unrolled: 1-line block ×4, first 2 shown]
	v_cmp_gt_u32_e32 vcc, s60, v42
	s_mov_b64 s[4:5], 0
	v_pk_mov_b32 v[38:39], 0, 0
	s_mov_b64 s[18:19], 0
	v_pk_mov_b32 v[14:15], v[6:7], v[6:7] op_sel:[0,1]
	v_pk_mov_b32 v[12:13], v[4:5], v[4:5] op_sel:[0,1]
	;; [unrolled: 1-line block ×6, first 2 shown]
	s_waitcnt lgkmcnt(0)
	s_barrier
	s_waitcnt lgkmcnt(0)
                                        ; implicit-def: $sgpr2_sgpr3
                                        ; implicit-def: $vgpr43
	s_and_saveexec_b64 s[16:17], vcc
	s_cbranch_execz .LBB1647_76
; %bb.51:
	v_or_b32_e32 v2, 1, v42
	ds_read_b32 v38, v1
	v_cmp_ne_u32_e32 vcc, v44, v34
	v_cndmask_b32_e64 v39, 0, 1, vcc
	v_cmp_gt_u32_e32 vcc, s60, v2
	v_pk_mov_b32 v[2:3], s[8:9], s[8:9] op_sel:[0,1]
	v_pk_mov_b32 v[8:9], s[14:15], s[14:15] op_sel:[0,1]
	;; [unrolled: 1-line block ×6, first 2 shown]
	s_mov_b64 s[20:21], 0
	v_pk_mov_b32 v[14:15], v[6:7], v[6:7] op_sel:[0,1]
	v_pk_mov_b32 v[12:13], v[4:5], v[4:5] op_sel:[0,1]
	;; [unrolled: 1-line block ×6, first 2 shown]
                                        ; implicit-def: $sgpr8_sgpr9
                                        ; implicit-def: $vgpr43
	s_and_saveexec_b64 s[18:19], vcc
	s_cbranch_execz .LBB1647_75
; %bb.52:
	ds_read2_b32 v[44:45], v1 offset0:1 offset1:2
	s_mov_b32 s8, 0
	s_mov_b32 s14, s8
	;; [unrolled: 1-line block ×8, first 2 shown]
	v_pk_mov_b32 v[16:17], s[14:15], s[14:15] op_sel:[0,1]
	v_add_u32_e32 v2, 2, v42
	v_cmp_ne_u32_e32 vcc, v34, v35
	v_mov_b32_e32 v6, 0
	v_pk_mov_b32 v[14:15], s[12:13], s[12:13] op_sel:[0,1]
	v_pk_mov_b32 v[12:13], s[10:11], s[10:11] op_sel:[0,1]
	;; [unrolled: 1-line block ×4, first 2 shown]
	v_cndmask_b32_e64 v3, 0, 1, vcc
	v_cmp_gt_u32_e32 vcc, s60, v2
	s_waitcnt lgkmcnt(0)
	v_mov_b32_e32 v2, v44
	v_mov_b32_e32 v4, v6
	v_mov_b32_e32 v5, v6
	v_mov_b32_e32 v7, v6
	v_mov_b32_e32 v8, v6
	v_mov_b32_e32 v9, v6
	s_mov_b64 s[2:3], 0
	v_pk_mov_b32 v[22:23], v[14:15], v[14:15] op_sel:[0,1]
	v_pk_mov_b32 v[20:21], v[12:13], v[12:13] op_sel:[0,1]
	;; [unrolled: 1-line block ×3, first 2 shown]
                                        ; implicit-def: $sgpr22_sgpr23
                                        ; implicit-def: $vgpr43
	s_and_saveexec_b64 s[20:21], vcc
	s_cbranch_execz .LBB1647_74
; %bb.53:
	v_pk_mov_b32 v[16:17], s[14:15], s[14:15] op_sel:[0,1]
	v_add_u32_e32 v2, 3, v42
	v_cmp_ne_u32_e32 vcc, v35, v36
	v_pk_mov_b32 v[14:15], s[12:13], s[12:13] op_sel:[0,1]
	v_pk_mov_b32 v[12:13], s[10:11], s[10:11] op_sel:[0,1]
	;; [unrolled: 1-line block ×4, first 2 shown]
	v_cndmask_b32_e64 v5, 0, 1, vcc
	v_cmp_gt_u32_e32 vcc, s60, v2
	v_mov_b32_e32 v2, v44
	v_mov_b32_e32 v4, v45
	;; [unrolled: 1-line block ×5, first 2 shown]
	v_pk_mov_b32 v[22:23], v[14:15], v[14:15] op_sel:[0,1]
	v_pk_mov_b32 v[20:21], v[12:13], v[12:13] op_sel:[0,1]
	;; [unrolled: 1-line block ×3, first 2 shown]
                                        ; implicit-def: $sgpr8_sgpr9
                                        ; implicit-def: $vgpr43
	s_and_saveexec_b64 s[22:23], vcc
	s_cbranch_execz .LBB1647_73
; %bb.54:
	ds_read2_b32 v[34:35], v1 offset0:3 offset1:4
	s_mov_b32 s8, 0
	s_mov_b32 s14, s8
	;; [unrolled: 1-line block ×8, first 2 shown]
	v_pk_mov_b32 v[16:17], s[14:15], s[14:15] op_sel:[0,1]
	v_add_u32_e32 v6, 4, v42
	v_cmp_ne_u32_e32 vcc, v36, v37
	v_pk_mov_b32 v[14:15], s[12:13], s[12:13] op_sel:[0,1]
	v_pk_mov_b32 v[12:13], s[10:11], s[10:11] op_sel:[0,1]
	;; [unrolled: 1-line block ×4, first 2 shown]
	v_cndmask_b32_e64 v7, 0, 1, vcc
	v_cmp_gt_u32_e32 vcc, s60, v6
	s_waitcnt lgkmcnt(0)
	v_mov_b32_e32 v6, v34
	v_mov_b32_e32 v8, s8
	;; [unrolled: 1-line block ×3, first 2 shown]
	v_pk_mov_b32 v[22:23], v[14:15], v[14:15] op_sel:[0,1]
	v_pk_mov_b32 v[20:21], v[12:13], v[12:13] op_sel:[0,1]
	;; [unrolled: 1-line block ×3, first 2 shown]
                                        ; implicit-def: $sgpr26_sgpr27
                                        ; implicit-def: $vgpr43
	s_and_saveexec_b64 s[24:25], vcc
	s_cbranch_execz .LBB1647_72
; %bb.55:
	v_pk_mov_b32 v[16:17], s[14:15], s[14:15] op_sel:[0,1]
	v_add_u32_e32 v8, 5, v42
	v_cmp_ne_u32_e32 vcc, v37, v30
	v_pk_mov_b32 v[14:15], s[12:13], s[12:13] op_sel:[0,1]
	v_pk_mov_b32 v[12:13], s[10:11], s[10:11] op_sel:[0,1]
	;; [unrolled: 1-line block ×4, first 2 shown]
	v_cndmask_b32_e64 v9, 0, 1, vcc
	v_cmp_gt_u32_e32 vcc, s60, v8
	v_mov_b32_e32 v8, v35
	v_pk_mov_b32 v[22:23], v[14:15], v[14:15] op_sel:[0,1]
	v_pk_mov_b32 v[20:21], v[12:13], v[12:13] op_sel:[0,1]
	;; [unrolled: 1-line block ×3, first 2 shown]
                                        ; implicit-def: $sgpr8_sgpr9
                                        ; implicit-def: $vgpr43
	s_and_saveexec_b64 s[26:27], vcc
	s_cbranch_execz .LBB1647_71
; %bb.56:
	ds_read2_b32 v[34:35], v1 offset0:5 offset1:6
	s_mov_b32 s8, 0
	s_mov_b32 s14, s8
	;; [unrolled: 1-line block ×3, first 2 shown]
	v_add_u32_e32 v10, 6, v42
	v_cmp_ne_u32_e32 vcc, v30, v31
	v_mov_b32_e32 v14, 0
	s_mov_b32 s9, s8
	s_mov_b32 s10, s8
	;; [unrolled: 1-line block ×5, first 2 shown]
	v_pk_mov_b32 v[24:25], s[14:15], s[14:15] op_sel:[0,1]
	v_cndmask_b32_e64 v11, 0, 1, vcc
	v_cmp_gt_u32_e32 vcc, s60, v10
	s_waitcnt lgkmcnt(0)
	v_mov_b32_e32 v10, v34
	v_mov_b32_e32 v12, v14
	;; [unrolled: 1-line block ×6, first 2 shown]
	v_pk_mov_b32 v[22:23], s[12:13], s[12:13] op_sel:[0,1]
	v_pk_mov_b32 v[20:21], s[10:11], s[10:11] op_sel:[0,1]
	;; [unrolled: 1-line block ×3, first 2 shown]
                                        ; implicit-def: $sgpr30_sgpr31
                                        ; implicit-def: $vgpr43
	s_and_saveexec_b64 s[28:29], vcc
	s_cbranch_execz .LBB1647_70
; %bb.57:
	v_add_u32_e32 v10, 7, v42
	v_cmp_ne_u32_e32 vcc, v31, v32
	v_pk_mov_b32 v[24:25], s[14:15], s[14:15] op_sel:[0,1]
	v_cndmask_b32_e64 v13, 0, 1, vcc
	v_cmp_gt_u32_e32 vcc, s60, v10
	v_mov_b32_e32 v10, v34
	v_mov_b32_e32 v12, v35
	v_mov_b32_e32 v15, v14
	v_mov_b32_e32 v16, v14
	v_mov_b32_e32 v17, v14
	v_pk_mov_b32 v[22:23], s[12:13], s[12:13] op_sel:[0,1]
	v_pk_mov_b32 v[20:21], s[10:11], s[10:11] op_sel:[0,1]
	;; [unrolled: 1-line block ×3, first 2 shown]
                                        ; implicit-def: $sgpr8_sgpr9
                                        ; implicit-def: $vgpr43
	s_and_saveexec_b64 s[30:31], vcc
	s_cbranch_execz .LBB1647_69
; %bb.58:
	ds_read2_b32 v[30:31], v1 offset0:7 offset1:8
	s_mov_b32 s8, 0
	s_mov_b32 s14, s8
	;; [unrolled: 1-line block ×3, first 2 shown]
	v_add_u32_e32 v14, 8, v42
	v_cmp_ne_u32_e32 vcc, v32, v33
	s_mov_b32 s9, s8
	s_mov_b32 s10, s8
	;; [unrolled: 1-line block ×5, first 2 shown]
	v_pk_mov_b32 v[24:25], s[14:15], s[14:15] op_sel:[0,1]
	v_cndmask_b32_e64 v15, 0, 1, vcc
	v_cmp_gt_u32_e32 vcc, s60, v14
	s_waitcnt lgkmcnt(0)
	v_mov_b32_e32 v14, v30
	v_mov_b32_e32 v16, s8
	;; [unrolled: 1-line block ×3, first 2 shown]
	v_pk_mov_b32 v[22:23], s[12:13], s[12:13] op_sel:[0,1]
	v_pk_mov_b32 v[20:21], s[10:11], s[10:11] op_sel:[0,1]
	v_pk_mov_b32 v[18:19], s[8:9], s[8:9] op_sel:[0,1]
                                        ; implicit-def: $sgpr58_sgpr59
                                        ; implicit-def: $vgpr43
	s_and_saveexec_b64 s[44:45], vcc
	s_cbranch_execz .LBB1647_68
; %bb.59:
	v_add_u32_e32 v16, 9, v42
	v_cmp_ne_u32_e32 vcc, v33, v26
	v_pk_mov_b32 v[24:25], s[14:15], s[14:15] op_sel:[0,1]
	v_cndmask_b32_e64 v17, 0, 1, vcc
	v_cmp_gt_u32_e32 vcc, s60, v16
	v_mov_b32_e32 v16, v31
	v_pk_mov_b32 v[22:23], s[12:13], s[12:13] op_sel:[0,1]
	v_pk_mov_b32 v[20:21], s[10:11], s[10:11] op_sel:[0,1]
	;; [unrolled: 1-line block ×3, first 2 shown]
                                        ; implicit-def: $sgpr10_sgpr11
                                        ; implicit-def: $vgpr43
	s_and_saveexec_b64 s[8:9], vcc
	s_cbranch_execz .LBB1647_67
; %bb.60:
	ds_read2_b32 v[30:31], v1 offset0:9 offset1:10
	v_add_u32_e32 v18, 10, v42
	v_cmp_ne_u32_e32 vcc, v26, v27
	v_mov_b32_e32 v22, 0
	v_cndmask_b32_e64 v19, 0, 1, vcc
	v_cmp_gt_u32_e32 vcc, s60, v18
	s_waitcnt lgkmcnt(0)
	v_mov_b32_e32 v18, v30
	v_mov_b32_e32 v20, v22
	;; [unrolled: 1-line block ×6, first 2 shown]
                                        ; implicit-def: $sgpr12_sgpr13
                                        ; implicit-def: $vgpr43
	s_and_saveexec_b64 s[10:11], vcc
	s_cbranch_execz .LBB1647_66
; %bb.61:
	v_add_u32_e32 v18, 11, v42
	v_cmp_ne_u32_e32 vcc, v27, v28
	v_cndmask_b32_e64 v21, 0, 1, vcc
	v_cmp_gt_u32_e32 vcc, s60, v18
	s_mov_b32 s58, 0
	v_mov_b32_e32 v18, v30
	v_mov_b32_e32 v20, v31
	;; [unrolled: 1-line block ×5, first 2 shown]
                                        ; implicit-def: $sgpr14_sgpr15
                                        ; implicit-def: $vgpr43
	s_and_saveexec_b64 s[12:13], vcc
	s_cbranch_execz .LBB1647_65
; %bb.62:
	ds_read2_b32 v[26:27], v1 offset0:11 offset1:12
	v_add_u32_e32 v22, 12, v42
	v_cmp_ne_u32_e32 vcc, v28, v29
	v_cndmask_b32_e64 v23, 0, 1, vcc
	v_cmp_gt_u32_e32 vcc, s60, v22
	s_waitcnt lgkmcnt(0)
	v_mov_b32_e32 v22, v26
	v_mov_b32_e32 v24, s58
	;; [unrolled: 1-line block ×3, first 2 shown]
                                        ; implicit-def: $sgpr14_sgpr15
                                        ; implicit-def: $vgpr43
	s_and_saveexec_b64 s[58:59], vcc
	s_xor_b64 s[58:59], exec, s[58:59]
	s_cbranch_execz .LBB1647_64
; %bb.63:
	ds_read_b32 v43, v1 offset:52
	v_add_u32_e32 v1, 13, v42
	v_cmp_ne_u32_e64 s[2:3], v29, v40
	v_cmp_ne_u32_e32 vcc, v40, v41
	v_cndmask_b32_e64 v25, 0, 1, s[2:3]
	v_cmp_gt_u32_e64 s[2:3], s60, v1
	v_mov_b32_e32 v24, v27
	s_and_b64 s[14:15], vcc, exec
	s_and_b64 s[2:3], s[2:3], exec
.LBB1647_64:
	s_or_b64 exec, exec, s[58:59]
	s_and_b64 s[14:15], s[14:15], exec
	s_and_b64 s[2:3], s[2:3], exec
.LBB1647_65:
	s_or_b64 exec, exec, s[12:13]
	s_and_b64 s[12:13], s[14:15], exec
	s_and_b64 s[2:3], s[2:3], exec
.LBB1647_66:
	s_or_b64 exec, exec, s[10:11]
	s_and_b64 s[10:11], s[12:13], exec
	s_and_b64 s[2:3], s[2:3], exec
.LBB1647_67:
	s_or_b64 exec, exec, s[8:9]
	s_and_b64 s[58:59], s[10:11], exec
	s_and_b64 s[2:3], s[2:3], exec
.LBB1647_68:
	s_or_b64 exec, exec, s[44:45]
	s_and_b64 s[8:9], s[58:59], exec
	s_and_b64 s[2:3], s[2:3], exec
.LBB1647_69:
	s_or_b64 exec, exec, s[30:31]
	s_and_b64 s[30:31], s[8:9], exec
	s_and_b64 s[2:3], s[2:3], exec
.LBB1647_70:
	s_or_b64 exec, exec, s[28:29]
	s_and_b64 s[8:9], s[30:31], exec
	s_and_b64 s[2:3], s[2:3], exec
.LBB1647_71:
	s_or_b64 exec, exec, s[26:27]
	s_and_b64 s[26:27], s[8:9], exec
	s_and_b64 s[2:3], s[2:3], exec
.LBB1647_72:
	s_or_b64 exec, exec, s[24:25]
	s_and_b64 s[8:9], s[26:27], exec
	s_and_b64 s[2:3], s[2:3], exec
.LBB1647_73:
	s_or_b64 exec, exec, s[22:23]
	s_and_b64 s[22:23], s[8:9], exec
	s_and_b64 s[2:3], s[2:3], exec
.LBB1647_74:
	s_or_b64 exec, exec, s[20:21]
	s_and_b64 s[8:9], s[22:23], exec
	s_and_b64 s[20:21], s[2:3], exec
.LBB1647_75:
	s_or_b64 exec, exec, s[18:19]
	s_and_b64 s[2:3], s[8:9], exec
	s_and_b64 s[18:19], s[20:21], exec
.LBB1647_76:
	s_or_b64 exec, exec, s[16:17]
	s_and_b64 vcc, exec, s[4:5]
	v_lshlrev_b32_e32 v50, 2, v0
	s_cbranch_vccnz .LBB1647_78
	s_branch .LBB1647_86
.LBB1647_77:
                                        ; implicit-def: $sgpr2_sgpr3
                                        ; implicit-def: $vgpr2_vgpr3_vgpr4_vgpr5_vgpr6_vgpr7_vgpr8_vgpr9
                                        ; implicit-def: $vgpr10_vgpr11_vgpr12_vgpr13_vgpr14_vgpr15_vgpr16_vgpr17
                                        ; implicit-def: $vgpr18_vgpr19_vgpr20_vgpr21_vgpr22_vgpr23_vgpr24_vgpr25
                                        ; implicit-def: $vgpr43
                                        ; implicit-def: $vgpr38_vgpr39
	s_and_b64 vcc, exec, s[4:5]
	v_lshlrev_b32_e32 v50, 2, v0
	s_cbranch_vccz .LBB1647_86
.LBB1647_78:
	v_mov_b32_e32 v1, s35
	v_add_co_u32_e32 v2, vcc, s34, v50
	v_addc_co_u32_e32 v3, vcc, 0, v1, vcc
	v_add_co_u32_e32 v4, vcc, 0x1000, v2
	v_addc_co_u32_e32 v5, vcc, 0, v3, vcc
	flat_load_dword v6, v[2:3]
	flat_load_dword v7, v[2:3] offset:1024
	flat_load_dword v8, v[2:3] offset:2048
	;; [unrolled: 1-line block ×3, first 2 shown]
	flat_load_dword v10, v[4:5]
	flat_load_dword v11, v[4:5] offset:1024
	flat_load_dword v12, v[4:5] offset:2048
	;; [unrolled: 1-line block ×3, first 2 shown]
	v_add_co_u32_e32 v4, vcc, 0x2000, v2
	v_addc_co_u32_e32 v5, vcc, 0, v3, vcc
	v_add_co_u32_e32 v2, vcc, 0x3000, v2
	v_addc_co_u32_e32 v3, vcc, 0, v3, vcc
	flat_load_dword v14, v[4:5]
	flat_load_dword v15, v[4:5] offset:1024
	flat_load_dword v16, v[4:5] offset:2048
	;; [unrolled: 1-line block ×3, first 2 shown]
	flat_load_dword v18, v[2:3]
	flat_load_dword v19, v[2:3] offset:1024
	v_mad_u32_u24 v1, v0, 52, v50
	s_cmp_eq_u64 s[48:49], 0
	s_waitcnt vmcnt(0) lgkmcnt(0)
	ds_write2st64_b32 v50, v6, v7 offset1:4
	ds_write2st64_b32 v50, v8, v9 offset0:8 offset1:12
	ds_write2st64_b32 v50, v10, v11 offset0:16 offset1:20
	;; [unrolled: 1-line block ×6, first 2 shown]
	s_waitcnt lgkmcnt(0)
	s_barrier
	ds_read2_b64 v[2:5], v1 offset1:1
	ds_read2_b64 v[10:13], v1 offset0:2 offset1:3
	ds_read2_b64 v[18:21], v1 offset0:4 offset1:5
	ds_read_b64 v[6:7], v1 offset:48
	s_cbranch_scc1 .LBB1647_83
; %bb.79:
	s_andn2_b64 vcc, exec, s[40:41]
	s_cbranch_vccnz .LBB1647_180
; %bb.80:
	s_lshl_b64 s[2:3], s[48:49], 2
	s_add_u32 s2, s50, s2
	s_addc_u32 s3, s51, s3
	s_add_u32 s2, s2, -4
	s_addc_u32 s3, s3, -1
	s_cbranch_execnz .LBB1647_82
.LBB1647_81:
	s_add_u32 s2, s34, -4
	s_addc_u32 s3, s35, -1
.LBB1647_82:
	s_mov_b64 s[34:35], s[2:3]
.LBB1647_83:
	v_pk_mov_b32 v[8:9], s[34:35], s[34:35] op_sel:[0,1]
	flat_load_dword v8, v[8:9]
	s_movk_i32 s2, 0xffcc
	v_mad_i32_i24 v9, v0, s2, v1
	v_cmp_ne_u32_e32 vcc, 0, v0
	s_waitcnt lgkmcnt(0)
	ds_write_b32 v9, v7 offset:14336
	s_waitcnt lgkmcnt(0)
	s_barrier
	s_and_saveexec_b64 s[2:3], vcc
	s_cbranch_execz .LBB1647_85
; %bb.84:
	s_waitcnt vmcnt(0)
	v_mul_i32_i24_e32 v8, 0xffffffcc, v0
	v_add_u32_e32 v8, v1, v8
	ds_read_b32 v8, v8 offset:14332
.LBB1647_85:
	s_or_b64 exec, exec, s[2:3]
	v_mov_b32_e32 v9, s55
	v_add_co_u32_e32 v14, vcc, s7, v50
	v_addc_co_u32_e32 v15, vcc, 0, v9, vcc
	s_movk_i32 s2, 0x1000
	v_add_co_u32_e32 v16, vcc, s2, v14
	v_addc_co_u32_e32 v17, vcc, 0, v15, vcc
	s_movk_i32 s2, 0x2000
	s_waitcnt lgkmcnt(0)
	s_barrier
	flat_load_dword v22, v[14:15]
	flat_load_dword v24, v[14:15] offset:1024
	flat_load_dword v26, v[14:15] offset:2048
	;; [unrolled: 1-line block ×3, first 2 shown]
	flat_load_dword v28, v[16:17]
	flat_load_dword v29, v[16:17] offset:1024
	flat_load_dword v30, v[16:17] offset:2048
	flat_load_dword v31, v[16:17] offset:3072
	v_add_co_u32_e32 v16, vcc, s2, v14
	v_addc_co_u32_e32 v17, vcc, 0, v15, vcc
	s_movk_i32 s2, 0x3000
	v_add_co_u32_e32 v14, vcc, s2, v14
	v_addc_co_u32_e32 v15, vcc, 0, v15, vcc
	flat_load_dword v32, v[16:17]
	flat_load_dword v33, v[16:17] offset:1024
	flat_load_dword v34, v[16:17] offset:2048
	;; [unrolled: 1-line block ×3, first 2 shown]
	flat_load_dword v36, v[14:15]
	flat_load_dword v37, v[14:15] offset:1024
	s_waitcnt vmcnt(0)
	v_cmp_ne_u32_e32 vcc, v8, v2
	v_cndmask_b32_e64 v39, 0, 1, vcc
	v_cmp_ne_u32_e32 vcc, v5, v10
	v_cndmask_b32_e64 v9, 0, 1, vcc
	v_cmp_ne_u32_e32 vcc, v4, v5
	v_cmp_ne_u32_e64 s[2:3], v6, v7
	v_cndmask_b32_e64 v7, 0, 1, vcc
	v_cmp_ne_u32_e32 vcc, v3, v4
	v_cndmask_b32_e64 v5, 0, 1, vcc
	v_cmp_ne_u32_e32 vcc, v2, v3
	;; [unrolled: 2-line block ×10, first 2 shown]
	v_cndmask_b32_e64 v19, 0, 1, vcc
	s_mov_b64 s[18:19], -1
                                        ; implicit-def: $sgpr4_sgpr5
	s_waitcnt lgkmcnt(0)
	ds_write2st64_b32 v50, v22, v24 offset1:4
	ds_write2st64_b32 v50, v26, v27 offset0:8 offset1:12
	ds_write2st64_b32 v50, v28, v29 offset0:16 offset1:20
	;; [unrolled: 1-line block ×6, first 2 shown]
	s_waitcnt lgkmcnt(0)
	s_barrier
	ds_read2_b32 v[42:43], v1 offset1:13
	ds_read2_b32 v[26:27], v1 offset0:7 offset1:8
	ds_read2_b32 v[28:29], v1 offset0:5 offset1:6
	;; [unrolled: 1-line block ×6, first 2 shown]
	s_waitcnt lgkmcnt(6)
	v_mov_b32_e32 v38, v42
	s_waitcnt lgkmcnt(4)
	v_mov_b32_e32 v10, v28
	;; [unrolled: 2-line block ×4, first 2 shown]
	v_mov_b32_e32 v4, v33
	v_mov_b32_e32 v8, v31
	;; [unrolled: 1-line block ×5, first 2 shown]
	s_waitcnt lgkmcnt(0)
	v_mov_b32_e32 v18, v36
	v_mov_b32_e32 v20, v37
	;; [unrolled: 1-line block ×4, first 2 shown]
.LBB1647_86:
	v_pk_mov_b32 v[40:41], s[4:5], s[4:5] op_sel:[0,1]
	s_and_saveexec_b64 s[4:5], s[18:19]
	s_cbranch_execz .LBB1647_88
; %bb.87:
	v_cndmask_b32_e64 v41, 0, 1, s[2:3]
	s_waitcnt lgkmcnt(0)
	v_mov_b32_e32 v40, v43
.LBB1647_88:
	s_or_b64 exec, exec, s[4:5]
	s_mov_b32 s26, 0
	s_cmp_lg_u32 s6, 0
	v_mbcnt_lo_u32_b32 v52, -1, 0
	v_lshrrev_b32_e32 v1, 6, v0
	v_or_b32_e32 v51, 63, v0
	s_waitcnt lgkmcnt(0)
	s_barrier
	s_cbranch_scc0 .LBB1647_117
; %bb.89:
	s_mov_b32 s27, 1
	v_cmp_gt_u64_e64 s[2:3], s[26:27], v[2:3]
	v_cndmask_b32_e64 v27, 0, v38, s[2:3]
	v_add_u32_e32 v27, v27, v2
	v_cmp_gt_u64_e64 s[4:5], s[26:27], v[4:5]
	v_cndmask_b32_e64 v27, 0, v27, s[4:5]
	v_add_u32_e32 v27, v27, v4
	;; [unrolled: 3-line block ×13, first 2 shown]
	v_or3_b32 v27, v41, v25, v23
	v_or3_b32 v27, v27, v21, v19
	v_or3_b32 v27, v27, v17, v15
	v_or3_b32 v27, v27, v13, v11
	v_or3_b32 v27, v27, v9, v7
	v_or3_b32 v27, v27, v5, v3
	v_mov_b32_e32 v26, 0
	v_and_b32_e32 v27, 1, v27
	v_cmp_eq_u64_e32 vcc, 0, v[26:27]
	v_cndmask_b32_e32 v26, 1, v39, vcc
	v_mbcnt_hi_u32_b32 v46, -1, v52
	v_mov_b32_dpp v29, v28 row_shr:1 row_mask:0xf bank_mask:0xf
	v_mov_b32_dpp v30, v26 row_shr:1 row_mask:0xf bank_mask:0xf
	v_cmp_eq_u32_e32 vcc, 0, v26
	v_and_b32_e32 v31, 1, v26
	v_and_b32_e32 v27, 15, v46
	v_cndmask_b32_e32 v29, 0, v29, vcc
	v_and_b32_e32 v30, 1, v30
	v_cmp_eq_u32_e32 vcc, 1, v31
	v_cndmask_b32_e64 v30, v30, 1, vcc
	v_cmp_eq_u32_e32 vcc, 0, v27
	v_cndmask_b32_e32 v26, v30, v26, vcc
	v_and_b32_e32 v31, 1, v26
	v_cmp_eq_u32_e64 s[28:29], 1, v31
	v_mov_b32_dpp v30, v26 row_shr:2 row_mask:0xf bank_mask:0xf
	v_and_b32_e32 v30, 1, v30
	v_cndmask_b32_e64 v30, v30, 1, s[28:29]
	v_cmp_lt_u32_e64 s[28:29], 1, v27
	v_cndmask_b32_e64 v29, v29, 0, vcc
	v_cmp_eq_u32_e32 vcc, 0, v26
	v_cndmask_b32_e64 v26, v26, v30, s[28:29]
	v_add_u32_e32 v28, v29, v28
	v_and_b32_e32 v31, 1, v26
	v_mov_b32_dpp v30, v26 row_shr:4 row_mask:0xf bank_mask:0xf
	v_mov_b32_dpp v29, v28 row_shr:2 row_mask:0xf bank_mask:0xf
	s_and_b64 vcc, s[28:29], vcc
	v_and_b32_e32 v30, 1, v30
	v_cmp_eq_u32_e64 s[28:29], 1, v31
	v_cndmask_b32_e32 v29, 0, v29, vcc
	v_cndmask_b32_e64 v30, v30, 1, s[28:29]
	v_cmp_lt_u32_e64 s[28:29], 3, v27
	v_add_u32_e32 v28, v29, v28
	v_cmp_eq_u32_e32 vcc, 0, v26
	v_cndmask_b32_e64 v26, v26, v30, s[28:29]
	v_mov_b32_dpp v29, v28 row_shr:4 row_mask:0xf bank_mask:0xf
	s_and_b64 vcc, s[28:29], vcc
	v_mov_b32_dpp v30, v26 row_shr:8 row_mask:0xf bank_mask:0xf
	v_and_b32_e32 v31, 1, v26
	v_cndmask_b32_e32 v29, 0, v29, vcc
	v_and_b32_e32 v30, 1, v30
	v_cmp_eq_u32_e64 s[28:29], 1, v31
	v_add_u32_e32 v28, v29, v28
	v_cmp_eq_u32_e32 vcc, 0, v26
	v_cndmask_b32_e64 v30, v30, 1, s[28:29]
	v_cmp_lt_u32_e64 s[28:29], 7, v27
	v_mov_b32_dpp v29, v28 row_shr:8 row_mask:0xf bank_mask:0xf
	s_and_b64 vcc, s[28:29], vcc
	v_cndmask_b32_e32 v27, 0, v29, vcc
	v_cndmask_b32_e64 v26, v26, v30, s[28:29]
	v_add_u32_e32 v27, v27, v28
	v_cmp_eq_u32_e32 vcc, 0, v26
	v_mov_b32_dpp v29, v26 row_bcast:15 row_mask:0xf bank_mask:0xf
	v_mov_b32_dpp v28, v27 row_bcast:15 row_mask:0xf bank_mask:0xf
	v_and_b32_e32 v32, 1, v26
	v_and_b32_e32 v31, 16, v46
	v_cndmask_b32_e32 v28, 0, v28, vcc
	v_and_b32_e32 v29, 1, v29
	v_cmp_eq_u32_e32 vcc, 1, v32
	v_bfe_i32 v30, v46, 4, 1
	v_cndmask_b32_e64 v29, v29, 1, vcc
	v_cmp_eq_u32_e32 vcc, 0, v31
	v_and_b32_e32 v28, v30, v28
	v_cndmask_b32_e32 v26, v29, v26, vcc
	v_add_u32_e32 v27, v28, v27
	v_and_b32_e32 v30, 1, v26
	v_mov_b32_dpp v28, v26 row_bcast:31 row_mask:0xf bank_mask:0xf
	v_and_b32_e32 v28, 1, v28
	v_cmp_eq_u32_e64 s[28:29], 1, v30
	v_cmp_eq_u32_e32 vcc, 0, v26
	v_cndmask_b32_e64 v28, v28, 1, s[28:29]
	v_cmp_lt_u32_e64 s[28:29], 31, v46
	v_mov_b32_dpp v29, v27 row_bcast:31 row_mask:0xf bank_mask:0xf
	s_and_b64 vcc, s[28:29], vcc
	v_cndmask_b32_e64 v28, v26, v28, s[28:29]
	v_cndmask_b32_e32 v26, 0, v29, vcc
	v_add_u32_e32 v29, v26, v27
	v_cmp_eq_u32_e32 vcc, v51, v0
	s_and_saveexec_b64 s[28:29], vcc
	s_cbranch_execz .LBB1647_91
; %bb.90:
	v_lshlrev_b32_e32 v26, 3, v1
	ds_write_b32 v26, v29
	ds_write_b8 v26, v28 offset:4
.LBB1647_91:
	s_or_b64 exec, exec, s[28:29]
	v_cmp_gt_u32_e32 vcc, 4, v0
	s_waitcnt lgkmcnt(0)
	s_barrier
	s_and_saveexec_b64 s[28:29], vcc
	s_cbranch_execz .LBB1647_95
; %bb.92:
	v_lshlrev_b32_e32 v30, 3, v0
	ds_read_b64 v[26:27], v30
	v_and_b32_e32 v31, 3, v46
	v_cmp_ne_u32_e32 vcc, 0, v31
	s_waitcnt lgkmcnt(0)
	v_mov_b32_dpp v32, v26 row_shr:1 row_mask:0xf bank_mask:0xf
	v_mov_b32_dpp v34, v27 row_shr:1 row_mask:0xf bank_mask:0xf
	v_mov_b32_e32 v33, v27
	s_and_saveexec_b64 s[34:35], vcc
	s_cbranch_execz .LBB1647_94
; %bb.93:
	v_and_b32_e32 v33, 1, v27
	v_and_b32_e32 v34, 1, v34
	v_cmp_eq_u32_e32 vcc, 1, v33
	v_mov_b32_e32 v33, 0
	v_cndmask_b32_e64 v34, v34, 1, vcc
	v_cmp_eq_u16_sdwa vcc, v27, v33 src0_sel:BYTE_0 src1_sel:DWORD
	v_cndmask_b32_e32 v32, 0, v32, vcc
	v_add_u32_e32 v26, v32, v26
	v_and_b32_e32 v32, 0xffff, v34
	s_movk_i32 s7, 0xff00
	v_and_or_b32 v33, v27, s7, v32
	v_mov_b32_e32 v27, v34
.LBB1647_94:
	s_or_b64 exec, exec, s[34:35]
	v_mov_b32_dpp v33, v33 row_shr:2 row_mask:0xf bank_mask:0xf
	v_and_b32_e32 v34, 1, v27
	v_and_b32_e32 v33, 1, v33
	v_cmp_eq_u32_e32 vcc, 1, v34
	v_mov_b32_e32 v34, 0
	v_cndmask_b32_e64 v33, v33, 1, vcc
	v_cmp_eq_u16_sdwa s[34:35], v27, v34 src0_sel:BYTE_0 src1_sel:DWORD
	v_cmp_lt_u32_e32 vcc, 1, v31
	v_mov_b32_dpp v32, v26 row_shr:2 row_mask:0xf bank_mask:0xf
	v_cndmask_b32_e32 v27, v27, v33, vcc
	s_and_b64 vcc, vcc, s[34:35]
	v_cndmask_b32_e32 v31, 0, v32, vcc
	v_add_u32_e32 v26, v31, v26
	ds_write_b32 v30, v26
	ds_write_b8 v30, v27 offset:4
.LBB1647_95:
	s_or_b64 exec, exec, s[28:29]
	v_cmp_gt_u32_e32 vcc, 64, v0
	v_cmp_lt_u32_e64 s[28:29], 63, v0
	v_mov_b32_e32 v42, 0
	v_mov_b32_e32 v43, 0
	s_waitcnt lgkmcnt(0)
	s_barrier
	s_and_saveexec_b64 s[34:35], s[28:29]
	s_cbranch_execz .LBB1647_97
; %bb.96:
	v_lshl_add_u32 v26, v1, 3, -8
	ds_read_b32 v42, v26
	ds_read_u8 v43, v26 offset:4
	v_and_b32_e32 v27, 1, v28
	v_cmp_eq_u32_e64 s[28:29], 0, v28
	s_waitcnt lgkmcnt(1)
	v_cndmask_b32_e64 v26, 0, v42, s[28:29]
	v_cmp_eq_u32_e64 s[28:29], 1, v27
	v_add_u32_e32 v29, v26, v29
	s_waitcnt lgkmcnt(0)
	v_cndmask_b32_e64 v28, v43, 1, s[28:29]
.LBB1647_97:
	s_or_b64 exec, exec, s[34:35]
	v_add_u32_e32 v26, -1, v46
	v_and_b32_e32 v27, 64, v46
	v_cmp_lt_i32_e64 s[28:29], v26, v27
	v_cndmask_b32_e64 v26, v26, v46, s[28:29]
	v_lshlrev_b32_e32 v26, 2, v26
	ds_bpermute_b32 v44, v26, v29
	ds_bpermute_b32 v45, v26, v28
	v_cmp_eq_u32_e64 s[28:29], 0, v46
	s_and_saveexec_b64 s[40:41], vcc
	s_cbranch_execz .LBB1647_116
; %bb.98:
	v_mov_b32_e32 v29, 0
	ds_read_b64 v[26:27], v29 offset:24
	s_waitcnt lgkmcnt(0)
	v_readfirstlane_b32 s7, v27
	s_and_saveexec_b64 s[34:35], s[28:29]
	s_cbranch_execz .LBB1647_100
; %bb.99:
	s_add_i32 s44, s6, 64
	s_mov_b32 s45, 0
	s_lshl_b64 s[48:49], s[44:45], 4
	s_add_u32 s48, s52, s48
	s_addc_u32 s49, s53, s49
	s_and_b32 s51, s7, 0xff000000
	s_mov_b32 s50, s45
	s_and_b32 s59, s7, 0xff0000
	s_mov_b32 s58, s45
	s_or_b64 s[50:51], s[58:59], s[50:51]
	s_and_b32 s59, s7, 0xff00
	s_or_b64 s[50:51], s[50:51], s[58:59]
	s_and_b32 s59, s7, 0xff
	s_or_b64 s[44:45], s[50:51], s[58:59]
	v_mov_b32_e32 v27, s45
	v_mov_b32_e32 v28, 1
	v_pk_mov_b32 v[30:31], s[48:49], s[48:49] op_sel:[0,1]
	;;#ASMSTART
	global_store_dwordx4 v[30:31], v[26:29] off	
s_waitcnt vmcnt(0)
	;;#ASMEND
.LBB1647_100:
	s_or_b64 exec, exec, s[34:35]
	v_xad_u32 v34, v46, -1, s6
	v_add_u32_e32 v28, 64, v34
	v_lshlrev_b64 v[30:31], 4, v[28:29]
	v_mov_b32_e32 v27, s53
	v_add_co_u32_e32 v36, vcc, s52, v30
	v_addc_co_u32_e32 v37, vcc, v27, v31, vcc
	;;#ASMSTART
	global_load_dwordx4 v[30:33], v[36:37] off glc	
s_waitcnt vmcnt(0)
	;;#ASMEND
	v_and_b32_e32 v27, 0xff0000, v30
	v_or_b32_sdwa v27, v30, v27 dst_sel:DWORD dst_unused:UNUSED_PAD src0_sel:WORD_0 src1_sel:DWORD
	v_and_b32_e32 v28, 0xff000000, v30
	v_and_b32_e32 v30, 0xff, v31
	v_or3_b32 v31, 0, 0, v30
	v_or3_b32 v30, v27, v28, 0
	v_cmp_eq_u16_sdwa s[44:45], v32, v29 src0_sel:BYTE_0 src1_sel:DWORD
	s_and_saveexec_b64 s[34:35], s[44:45]
	s_cbranch_execz .LBB1647_104
; %bb.101:
	s_mov_b64 s[44:45], 0
	v_mov_b32_e32 v27, 0
.LBB1647_102:                           ; =>This Inner Loop Header: Depth=1
	;;#ASMSTART
	global_load_dwordx4 v[30:33], v[36:37] off glc	
s_waitcnt vmcnt(0)
	;;#ASMEND
	v_cmp_ne_u16_sdwa s[48:49], v32, v27 src0_sel:BYTE_0 src1_sel:DWORD
	s_or_b64 s[44:45], s[48:49], s[44:45]
	s_andn2_b64 exec, exec, s[44:45]
	s_cbranch_execnz .LBB1647_102
; %bb.103:
	s_or_b64 exec, exec, s[44:45]
	v_and_b32_e32 v31, 0xff, v31
.LBB1647_104:
	s_or_b64 exec, exec, s[34:35]
	v_mov_b32_e32 v27, 2
	v_cmp_eq_u16_sdwa s[34:35], v32, v27 src0_sel:BYTE_0 src1_sel:DWORD
	v_lshlrev_b64 v[28:29], v46, -1
	v_and_b32_e32 v33, s35, v29
	v_or_b32_e32 v33, 0x80000000, v33
	v_and_b32_e32 v35, s34, v28
	v_ffbl_b32_e32 v33, v33
	v_and_b32_e32 v47, 63, v46
	v_add_u32_e32 v33, 32, v33
	v_ffbl_b32_e32 v35, v35
	v_cmp_ne_u32_e32 vcc, 63, v47
	v_min_u32_e32 v33, v35, v33
	v_addc_co_u32_e32 v35, vcc, 0, v46, vcc
	v_lshlrev_b32_e32 v48, 2, v35
	ds_bpermute_b32 v35, v48, v31
	ds_bpermute_b32 v36, v48, v30
	s_mov_b32 s44, 0
	v_and_b32_e32 v37, 1, v31
	s_mov_b32 s45, 1
	s_waitcnt lgkmcnt(1)
	v_and_b32_e32 v35, 1, v35
	v_cmp_eq_u32_e32 vcc, 1, v37
	v_cndmask_b32_e64 v35, v35, 1, vcc
	v_cmp_gt_u64_e32 vcc, s[44:45], v[30:31]
	v_cmp_lt_u32_e64 s[34:35], v47, v33
	s_and_b64 vcc, s[34:35], vcc
	v_and_b32_e32 v37, 0xffff, v35
	v_cndmask_b32_e64 v54, v31, v35, s[34:35]
	s_waitcnt lgkmcnt(0)
	v_cndmask_b32_e32 v35, 0, v36, vcc
	v_cmp_gt_u32_e32 vcc, 62, v47
	v_cndmask_b32_e64 v36, 0, 1, vcc
	v_lshlrev_b32_e32 v36, 1, v36
	v_cndmask_b32_e64 v31, v31, v37, s[34:35]
	v_add_lshl_u32 v49, v36, v46, 2
	ds_bpermute_b32 v36, v49, v31
	v_add_u32_e32 v30, v35, v30
	ds_bpermute_b32 v37, v49, v30
	v_and_b32_e32 v35, 1, v54
	v_cmp_eq_u32_e32 vcc, 1, v35
	s_waitcnt lgkmcnt(1)
	v_and_b32_e32 v36, 1, v36
	v_mov_b32_e32 v35, 0
	v_add_u32_e32 v53, 2, v47
	v_cndmask_b32_e64 v36, v36, 1, vcc
	v_cmp_eq_u16_sdwa vcc, v54, v35 src0_sel:BYTE_0 src1_sel:DWORD
	v_and_b32_e32 v55, 0xffff, v36
	s_waitcnt lgkmcnt(0)
	v_cndmask_b32_e32 v37, 0, v37, vcc
	v_cmp_gt_u32_e32 vcc, v53, v33
	v_cndmask_b32_e32 v36, v36, v54, vcc
	v_cndmask_b32_e64 v37, v37, 0, vcc
	v_cndmask_b32_e32 v31, v55, v31, vcc
	v_cmp_gt_u32_e32 vcc, 60, v47
	v_cndmask_b32_e64 v54, 0, 1, vcc
	v_lshlrev_b32_e32 v54, 2, v54
	v_add_lshl_u32 v54, v54, v46, 2
	ds_bpermute_b32 v56, v54, v31
	v_add_u32_e32 v30, v37, v30
	ds_bpermute_b32 v37, v54, v30
	v_and_b32_e32 v57, 1, v36
	v_cmp_eq_u32_e32 vcc, 1, v57
	s_waitcnt lgkmcnt(1)
	v_and_b32_e32 v56, 1, v56
	v_add_u32_e32 v55, 4, v47
	v_cndmask_b32_e64 v56, v56, 1, vcc
	v_cmp_eq_u16_sdwa vcc, v36, v35 src0_sel:BYTE_0 src1_sel:DWORD
	v_and_b32_e32 v57, 0xffff, v56
	s_waitcnt lgkmcnt(0)
	v_cndmask_b32_e32 v37, 0, v37, vcc
	v_cmp_gt_u32_e32 vcc, v55, v33
	v_cndmask_b32_e32 v36, v56, v36, vcc
	v_cndmask_b32_e64 v37, v37, 0, vcc
	v_cndmask_b32_e32 v31, v57, v31, vcc
	v_cmp_gt_u32_e32 vcc, 56, v47
	v_cndmask_b32_e64 v56, 0, 1, vcc
	v_lshlrev_b32_e32 v56, 3, v56
	v_add_lshl_u32 v56, v56, v46, 2
	ds_bpermute_b32 v58, v56, v31
	v_add_u32_e32 v30, v37, v30
	ds_bpermute_b32 v37, v56, v30
	v_and_b32_e32 v59, 1, v36
	v_cmp_eq_u32_e32 vcc, 1, v59
	s_waitcnt lgkmcnt(1)
	v_and_b32_e32 v58, 1, v58
	;; [unrolled: 21-line block ×4, first 2 shown]
	v_add_u32_e32 v62, 32, v47
	v_cndmask_b32_e64 v31, v31, 1, vcc
	v_cmp_eq_u16_sdwa vcc, v36, v35 src0_sel:BYTE_0 src1_sel:DWORD
	s_waitcnt lgkmcnt(0)
	v_cndmask_b32_e32 v37, 0, v37, vcc
	v_cmp_gt_u32_e32 vcc, v62, v33
	v_cndmask_b32_e64 v33, v37, 0, vcc
	v_cndmask_b32_e32 v31, v31, v36, vcc
	v_add_u32_e32 v30, v33, v30
	s_branch .LBB1647_106
.LBB1647_105:                           ;   in Loop: Header=BB1647_106 Depth=1
	s_or_b64 exec, exec, s[34:35]
	v_cmp_eq_u16_sdwa s[34:35], v32, v27 src0_sel:BYTE_0 src1_sel:DWORD
	v_and_b32_e32 v33, s35, v29
	ds_bpermute_b32 v37, v48, v31
	v_or_b32_e32 v33, 0x80000000, v33
	v_and_b32_e32 v36, s34, v28
	v_ffbl_b32_e32 v33, v33
	v_add_u32_e32 v33, 32, v33
	v_ffbl_b32_e32 v36, v36
	v_min_u32_e32 v33, v36, v33
	ds_bpermute_b32 v36, v48, v30
	v_and_b32_e32 v63, 1, v31
	s_waitcnt lgkmcnt(1)
	v_and_b32_e32 v37, 1, v37
	v_cmp_eq_u32_e32 vcc, 1, v63
	v_cndmask_b32_e64 v37, v37, 1, vcc
	v_cmp_gt_u64_e32 vcc, s[44:45], v[30:31]
	v_and_b32_e32 v63, 0xffff, v37
	v_cmp_lt_u32_e64 s[34:35], v47, v33
	v_cndmask_b32_e64 v37, v31, v37, s[34:35]
	v_cndmask_b32_e64 v31, v31, v63, s[34:35]
	s_and_b64 vcc, s[34:35], vcc
	ds_bpermute_b32 v63, v49, v31
	s_waitcnt lgkmcnt(1)
	v_cndmask_b32_e32 v36, 0, v36, vcc
	v_add_u32_e32 v30, v36, v30
	ds_bpermute_b32 v36, v49, v30
	v_and_b32_e32 v64, 1, v37
	s_waitcnt lgkmcnt(1)
	v_and_b32_e32 v63, 1, v63
	v_cmp_eq_u32_e32 vcc, 1, v64
	v_cndmask_b32_e64 v63, v63, 1, vcc
	v_cmp_eq_u16_sdwa vcc, v37, v35 src0_sel:BYTE_0 src1_sel:DWORD
	v_and_b32_e32 v64, 0xffff, v63
	s_waitcnt lgkmcnt(0)
	v_cndmask_b32_e32 v36, 0, v36, vcc
	v_cmp_gt_u32_e32 vcc, v53, v33
	v_cndmask_b32_e32 v31, v64, v31, vcc
	v_cndmask_b32_e32 v37, v63, v37, vcc
	ds_bpermute_b32 v63, v54, v31
	v_cndmask_b32_e64 v36, v36, 0, vcc
	v_add_u32_e32 v30, v36, v30
	ds_bpermute_b32 v36, v54, v30
	v_and_b32_e32 v64, 1, v37
	s_waitcnt lgkmcnt(1)
	v_and_b32_e32 v63, 1, v63
	v_cmp_eq_u32_e32 vcc, 1, v64
	v_cndmask_b32_e64 v63, v63, 1, vcc
	v_cmp_eq_u16_sdwa vcc, v37, v35 src0_sel:BYTE_0 src1_sel:DWORD
	v_and_b32_e32 v64, 0xffff, v63
	s_waitcnt lgkmcnt(0)
	v_cndmask_b32_e32 v36, 0, v36, vcc
	v_cmp_gt_u32_e32 vcc, v55, v33
	v_cndmask_b32_e32 v31, v64, v31, vcc
	v_cndmask_b32_e32 v37, v63, v37, vcc
	ds_bpermute_b32 v63, v56, v31
	v_cndmask_b32_e64 v36, v36, 0, vcc
	;; [unrolled: 16-line block ×3, first 2 shown]
	v_add_u32_e32 v30, v36, v30
	ds_bpermute_b32 v36, v58, v30
	v_and_b32_e32 v64, 1, v37
	s_waitcnt lgkmcnt(1)
	v_and_b32_e32 v63, 1, v63
	v_cmp_eq_u32_e32 vcc, 1, v64
	v_cndmask_b32_e64 v63, v63, 1, vcc
	v_cmp_eq_u16_sdwa vcc, v37, v35 src0_sel:BYTE_0 src1_sel:DWORD
	v_and_b32_e32 v64, 0xffff, v63
	s_waitcnt lgkmcnt(0)
	v_cndmask_b32_e32 v36, 0, v36, vcc
	v_cmp_gt_u32_e32 vcc, v59, v33
	v_cndmask_b32_e64 v36, v36, 0, vcc
	v_cndmask_b32_e32 v31, v64, v31, vcc
	ds_bpermute_b32 v31, v61, v31
	v_add_u32_e32 v30, v36, v30
	ds_bpermute_b32 v36, v61, v30
	v_cndmask_b32_e32 v37, v63, v37, vcc
	v_and_b32_e32 v63, 1, v37
	v_cmp_eq_u32_e32 vcc, 1, v63
	s_waitcnt lgkmcnt(1)
	v_cndmask_b32_e64 v31, v31, 1, vcc
	v_cmp_eq_u16_sdwa vcc, v37, v35 src0_sel:BYTE_0 src1_sel:DWORD
	s_waitcnt lgkmcnt(0)
	v_cndmask_b32_e32 v36, 0, v36, vcc
	v_cmp_gt_u32_e32 vcc, v62, v33
	v_cndmask_b32_e64 v33, v36, 0, vcc
	v_cndmask_b32_e32 v31, v31, v37, vcc
	v_add_u32_e32 v30, v33, v30
	v_cmp_eq_u16_sdwa vcc, v46, v35 src0_sel:BYTE_0 src1_sel:DWORD
	v_and_b32_e32 v33, 1, v46
	v_cndmask_b32_e32 v30, 0, v30, vcc
	v_and_b32_e32 v31, 1, v31
	v_cmp_eq_u32_e32 vcc, 1, v33
	v_subrev_u32_e32 v34, 64, v34
	v_add_u32_e32 v30, v30, v60
	v_cndmask_b32_e64 v31, v31, 1, vcc
.LBB1647_106:                           ; =>This Loop Header: Depth=1
                                        ;     Child Loop BB1647_109 Depth 2
	v_cmp_ne_u16_sdwa s[34:35], v32, v27 src0_sel:BYTE_0 src1_sel:DWORD
	v_mov_b32_e32 v46, v31
	v_cndmask_b32_e64 v31, 0, 1, s[34:35]
	;;#ASMSTART
	;;#ASMEND
	v_cmp_ne_u32_e32 vcc, 0, v31
	s_cmp_lg_u64 vcc, exec
	v_mov_b32_e32 v60, v30
	s_cbranch_scc1 .LBB1647_111
; %bb.107:                              ;   in Loop: Header=BB1647_106 Depth=1
	v_lshlrev_b64 v[30:31], 4, v[34:35]
	v_mov_b32_e32 v32, s53
	v_add_co_u32_e32 v36, vcc, s52, v30
	v_addc_co_u32_e32 v37, vcc, v32, v31, vcc
	;;#ASMSTART
	global_load_dwordx4 v[30:33], v[36:37] off glc	
s_waitcnt vmcnt(0)
	;;#ASMEND
	v_and_b32_e32 v33, 0xff0000, v30
	v_or_b32_sdwa v33, v30, v33 dst_sel:DWORD dst_unused:UNUSED_PAD src0_sel:WORD_0 src1_sel:DWORD
	v_and_b32_e32 v30, 0xff000000, v30
	v_and_b32_e32 v31, 0xff, v31
	v_or3_b32 v31, 0, 0, v31
	v_or3_b32 v30, v33, v30, 0
	v_cmp_eq_u16_sdwa s[48:49], v32, v35 src0_sel:BYTE_0 src1_sel:DWORD
	s_and_saveexec_b64 s[34:35], s[48:49]
	s_cbranch_execz .LBB1647_105
; %bb.108:                              ;   in Loop: Header=BB1647_106 Depth=1
	s_mov_b64 s[48:49], 0
.LBB1647_109:                           ;   Parent Loop BB1647_106 Depth=1
                                        ; =>  This Inner Loop Header: Depth=2
	;;#ASMSTART
	global_load_dwordx4 v[30:33], v[36:37] off glc	
s_waitcnt vmcnt(0)
	;;#ASMEND
	v_cmp_ne_u16_sdwa s[50:51], v32, v35 src0_sel:BYTE_0 src1_sel:DWORD
	s_or_b64 s[48:49], s[50:51], s[48:49]
	s_andn2_b64 exec, exec, s[48:49]
	s_cbranch_execnz .LBB1647_109
; %bb.110:                              ;   in Loop: Header=BB1647_106 Depth=1
	s_or_b64 exec, exec, s[48:49]
	v_and_b32_e32 v31, 0xff, v31
	s_branch .LBB1647_105
.LBB1647_111:                           ;   in Loop: Header=BB1647_106 Depth=1
                                        ; implicit-def: $vgpr31
                                        ; implicit-def: $vgpr30
                                        ; implicit-def: $vgpr32
	s_cbranch_execz .LBB1647_106
; %bb.112:
	s_and_saveexec_b64 s[34:35], s[28:29]
	s_cbranch_execz .LBB1647_114
; %bb.113:
	s_and_b32 s44, s7, 0xff
	s_cmp_eq_u32 s44, 0
	s_cselect_b64 vcc, -1, 0
	s_bitcmp1_b32 s7, 0
	s_mov_b32 s45, 0
	s_cselect_b64 s[48:49], -1, 0
	s_add_i32 s44, s6, 64
	s_lshl_b64 s[6:7], s[44:45], 4
	v_cndmask_b32_e32 v27, 0, v60, vcc
	s_add_u32 s6, s52, s6
	v_add_u32_e32 v26, v27, v26
	v_and_b32_e32 v27, 1, v46
	s_addc_u32 s7, s53, s7
	v_mov_b32_e32 v29, 0
	v_cndmask_b32_e64 v27, v27, 1, s[48:49]
	v_mov_b32_e32 v28, 2
	v_pk_mov_b32 v[30:31], s[6:7], s[6:7] op_sel:[0,1]
	;;#ASMSTART
	global_store_dwordx4 v[30:31], v[26:29] off	
s_waitcnt vmcnt(0)
	;;#ASMEND
.LBB1647_114:
	s_or_b64 exec, exec, s[34:35]
	v_cmp_eq_u32_e32 vcc, 0, v0
	s_and_b64 exec, exec, vcc
	s_cbranch_execz .LBB1647_116
; %bb.115:
	v_mov_b32_e32 v26, 0
	ds_write_b32 v26, v60 offset:24
	ds_write_b8 v26, v46 offset:28
.LBB1647_116:
	s_or_b64 exec, exec, s[40:41]
	s_mov_b32 s6, 0
	v_mov_b32_e32 v28, 0
	s_mov_b32 s7, 1
	s_waitcnt lgkmcnt(0)
	v_cndmask_b32_e64 v26, v45, v43, s[28:29]
	v_cndmask_b32_e64 v27, v44, v42, s[28:29]
	s_barrier
	ds_read_b32 v29, v28 offset:24
	v_cmp_gt_u64_e32 vcc, s[6:7], v[38:39]
	v_and_b32_e32 v30, 1, v39
	v_cndmask_b32_e32 v27, 0, v27, vcc
	v_and_b32_e32 v26, 1, v26
	v_cmp_eq_u32_e32 vcc, 1, v30
	v_cndmask_b32_e64 v26, v26, 1, vcc
	v_cmp_eq_u32_e32 vcc, 0, v0
	v_cndmask_b32_e32 v26, v26, v39, vcc
	v_cndmask_b32_e64 v27, v27, 0, vcc
	v_cmp_eq_u16_sdwa vcc, v26, v28 src0_sel:BYTE_0 src1_sel:DWORD
	s_waitcnt lgkmcnt(0)
	v_cndmask_b32_e32 v26, 0, v29, vcc
	v_add3_u32 v26, v27, v38, v26
	v_cndmask_b32_e64 v27, 0, v26, s[2:3]
	v_add_u32_e32 v27, v27, v2
	v_cndmask_b32_e64 v28, 0, v27, s[4:5]
	v_add_u32_e32 v42, v28, v4
	;; [unrolled: 2-line block ×13, first 2 shown]
	s_branch .LBB1647_133
.LBB1647_117:
                                        ; implicit-def: $vgpr49
                                        ; implicit-def: $vgpr47
                                        ; implicit-def: $vgpr45
                                        ; implicit-def: $vgpr43
                                        ; implicit-def: $vgpr34_vgpr35_vgpr36_vgpr37
                                        ; implicit-def: $vgpr30_vgpr31_vgpr32_vgpr33
                                        ; implicit-def: $vgpr26_vgpr27_vgpr28_vgpr29
	s_cbranch_execz .LBB1647_133
; %bb.118:
	s_cmp_lg_u64 s[56:57], 0
	s_cselect_b32 s5, s47, 0
	s_cselect_b32 s4, s46, 0
	s_cmp_lg_u64 s[4:5], 0
	s_cselect_b64 s[6:7], -1, 0
	v_cmp_eq_u32_e32 vcc, 0, v0
	s_mov_b32 s28, 0
	v_cmp_ne_u32_e64 s[2:3], 0, v0
	s_and_b64 s[8:9], vcc, s[6:7]
	s_and_saveexec_b64 s[6:7], s[8:9]
	s_cbranch_execz .LBB1647_120
; %bb.119:
	v_mov_b32_e32 v26, 0
	global_load_dword v28, v26, s[4:5]
	global_load_ubyte v29, v26, s[4:5] offset:4
	s_mov_b32 s29, 1
	v_and_b32_e32 v27, 1, v39
	v_cmp_gt_u64_e64 s[4:5], s[28:29], v[38:39]
	s_waitcnt vmcnt(1)
	v_cndmask_b32_e64 v28, 0, v28, s[4:5]
	s_waitcnt vmcnt(0)
	v_and_b32_e32 v29, 1, v29
	v_cmp_eq_u64_e64 s[4:5], 0, v[26:27]
	v_add_u32_e32 v38, v28, v38
	v_cndmask_b32_e64 v39, 1, v29, s[4:5]
.LBB1647_120:
	s_or_b64 exec, exec, s[6:7]
	s_mov_b32 s29, 1
	v_cmp_gt_u64_e64 s[4:5], s[28:29], v[2:3]
	v_cndmask_b32_e64 v26, 0, v38, s[4:5]
	v_add_u32_e32 v27, v26, v2
	v_cmp_gt_u64_e64 s[6:7], s[28:29], v[4:5]
	v_cndmask_b32_e64 v26, 0, v27, s[6:7]
	v_add_u32_e32 v42, v26, v4
	;; [unrolled: 3-line block ×7, first 2 shown]
	v_cmp_gt_u64_e64 s[18:19], s[28:29], v[16:17]
	v_mov_b32_e32 v28, 0
	v_cndmask_b32_e64 v26, 0, v45, s[18:19]
	v_or3_b32 v7, v23, v15, v7
	v_add_u32_e32 v34, v26, v16
	v_cmp_gt_u64_e64 s[20:21], s[28:29], v[18:19]
	v_or3_b32 v9, v25, v17, v9
	v_and_b32_e32 v55, 1, v7
	v_mov_b32_e32 v54, v28
	v_cndmask_b32_e64 v26, 0, v34, s[20:21]
	v_or3_b32 v3, v19, v11, v3
	v_and_b32_e32 v37, 1, v9
	v_mov_b32_e32 v36, v28
	v_cmp_ne_u64_e64 s[34:35], 0, v[54:55]
	v_add_u32_e32 v35, v26, v18
	v_cmp_gt_u64_e64 s[22:23], s[28:29], v[20:21]
	v_or3_b32 v5, v21, v13, v5
	v_and_b32_e32 v29, 1, v3
	v_cndmask_b32_e64 v3, 0, 1, s[34:35]
	v_cmp_ne_u64_e64 s[34:35], 0, v[36:37]
	v_cndmask_b32_e64 v26, 0, v35, s[22:23]
	v_and_b32_e32 v33, 1, v5
	v_mov_b32_e32 v32, v28
	v_cndmask_b32_e64 v5, 0, 1, s[34:35]
	v_add_u32_e32 v46, v26, v20
	v_cmp_gt_u64_e64 s[24:25], s[28:29], v[22:23]
	v_lshlrev_b16_e32 v3, 2, v3
	v_lshlrev_b16_e32 v5, 3, v5
	v_cmp_ne_u64_e64 s[34:35], 0, v[32:33]
	v_cndmask_b32_e64 v26, 0, v46, s[24:25]
	v_or_b32_e32 v3, v5, v3
	v_cndmask_b32_e64 v5, 0, 1, s[34:35]
	v_cmp_ne_u64_e64 s[34:35], 0, v[28:29]
	v_add_u32_e32 v47, v26, v22
	v_cmp_gt_u64_e64 s[26:27], s[28:29], v[24:25]
	v_lshlrev_b16_e32 v5, 1, v5
	v_cndmask_b32_e64 v7, 0, 1, s[34:35]
	v_cndmask_b32_e64 v26, 0, v47, s[26:27]
	v_or_b32_e32 v5, v7, v5
	v_add_u32_e32 v48, v26, v24
	v_cmp_gt_u64_e64 s[28:29], s[28:29], v[40:41]
	v_and_b32_e32 v5, 3, v5
	v_cndmask_b32_e64 v26, 0, v48, s[28:29]
	v_or_b32_e32 v3, v5, v3
	v_add_u32_e32 v49, v26, v40
	v_and_b32_e32 v26, 1, v41
	v_and_b32_e32 v3, 15, v3
	v_cmp_eq_u32_e64 s[30:31], 1, v26
	v_cmp_ne_u16_e64 s[34:35], 0, v3
	s_or_b64 s[30:31], s[30:31], s[34:35]
	v_cndmask_b32_e64 v5, v39, 1, s[30:31]
	v_mbcnt_hi_u32_b32 v3, -1, v52
	v_mov_b32_dpp v9, v49 row_shr:1 row_mask:0xf bank_mask:0xf
	v_mov_b32_dpp v11, v5 row_shr:1 row_mask:0xf bank_mask:0xf
	v_cmp_eq_u32_e64 s[30:31], 0, v5
	v_and_b32_e32 v13, 1, v5
	v_and_b32_e32 v7, 15, v3
	v_cndmask_b32_e64 v9, 0, v9, s[30:31]
	v_and_b32_e32 v11, 1, v11
	v_cmp_eq_u32_e64 s[30:31], 1, v13
	v_cndmask_b32_e64 v11, v11, 1, s[30:31]
	v_cmp_eq_u32_e64 s[30:31], 0, v7
	v_cndmask_b32_e64 v5, v11, v5, s[30:31]
	v_and_b32_e32 v15, 1, v5
	v_cmp_eq_u32_e64 s[34:35], 1, v15
	v_mov_b32_dpp v13, v5 row_shr:2 row_mask:0xf bank_mask:0xf
	v_and_b32_e32 v13, 1, v13
	v_cndmask_b32_e64 v13, v13, 1, s[34:35]
	v_cmp_lt_u32_e64 s[34:35], 1, v7
	v_cndmask_b32_e64 v9, v9, 0, s[30:31]
	v_cmp_eq_u32_e64 s[30:31], 0, v5
	v_cndmask_b32_e64 v5, v5, v13, s[34:35]
	v_add_u32_e32 v9, v49, v9
	v_and_b32_e32 v15, 1, v5
	v_mov_b32_dpp v13, v5 row_shr:4 row_mask:0xf bank_mask:0xf
	v_mov_b32_dpp v11, v9 row_shr:2 row_mask:0xf bank_mask:0xf
	s_and_b64 s[30:31], s[34:35], s[30:31]
	v_and_b32_e32 v13, 1, v13
	v_cmp_eq_u32_e64 s[34:35], 1, v15
	v_cndmask_b32_e64 v11, 0, v11, s[30:31]
	v_cndmask_b32_e64 v13, v13, 1, s[34:35]
	v_cmp_lt_u32_e64 s[34:35], 3, v7
	v_add_u32_e32 v9, v9, v11
	v_cmp_eq_u32_e64 s[30:31], 0, v5
	v_cndmask_b32_e64 v5, v5, v13, s[34:35]
	v_mov_b32_dpp v11, v9 row_shr:4 row_mask:0xf bank_mask:0xf
	s_and_b64 s[30:31], s[34:35], s[30:31]
	v_mov_b32_dpp v13, v5 row_shr:8 row_mask:0xf bank_mask:0xf
	v_and_b32_e32 v15, 1, v5
	v_cndmask_b32_e64 v11, 0, v11, s[30:31]
	v_and_b32_e32 v13, 1, v13
	v_cmp_eq_u32_e64 s[34:35], 1, v15
	v_add_u32_e32 v9, v9, v11
	v_cmp_eq_u32_e64 s[30:31], 0, v5
	v_cndmask_b32_e64 v13, v13, 1, s[34:35]
	v_cmp_lt_u32_e64 s[34:35], 7, v7
	v_mov_b32_dpp v11, v9 row_shr:8 row_mask:0xf bank_mask:0xf
	s_and_b64 s[30:31], s[34:35], s[30:31]
	v_cndmask_b32_e64 v7, 0, v11, s[30:31]
	v_cndmask_b32_e64 v5, v5, v13, s[34:35]
	v_add_u32_e32 v7, v9, v7
	v_cmp_eq_u32_e64 s[30:31], 0, v5
	v_mov_b32_dpp v11, v5 row_bcast:15 row_mask:0xf bank_mask:0xf
	v_mov_b32_dpp v9, v7 row_bcast:15 row_mask:0xf bank_mask:0xf
	v_and_b32_e32 v17, 1, v5
	v_and_b32_e32 v15, 16, v3
	v_cndmask_b32_e64 v9, 0, v9, s[30:31]
	v_and_b32_e32 v11, 1, v11
	v_cmp_eq_u32_e64 s[30:31], 1, v17
	v_bfe_i32 v13, v3, 4, 1
	v_cndmask_b32_e64 v11, v11, 1, s[30:31]
	v_cmp_eq_u32_e64 s[30:31], 0, v15
	v_and_b32_e32 v9, v13, v9
	v_cndmask_b32_e64 v5, v11, v5, s[30:31]
	v_add_u32_e32 v9, v7, v9
	v_and_b32_e32 v13, 1, v5
	v_mov_b32_dpp v7, v5 row_bcast:31 row_mask:0xf bank_mask:0xf
	v_and_b32_e32 v7, 1, v7
	v_cmp_eq_u32_e64 s[34:35], 1, v13
	v_cmp_eq_u32_e64 s[30:31], 0, v5
	v_cndmask_b32_e64 v7, v7, 1, s[34:35]
	v_cmp_lt_u32_e64 s[34:35], 31, v3
	v_mov_b32_dpp v11, v9 row_bcast:31 row_mask:0xf bank_mask:0xf
	s_and_b64 s[30:31], s[34:35], s[30:31]
	v_cndmask_b32_e64 v7, v5, v7, s[34:35]
	v_cndmask_b32_e64 v5, 0, v11, s[30:31]
	v_add_u32_e32 v5, v9, v5
	v_cmp_eq_u32_e64 s[30:31], v51, v0
	s_and_saveexec_b64 s[34:35], s[30:31]
	s_cbranch_execz .LBB1647_122
; %bb.121:
	v_lshlrev_b32_e32 v9, 3, v1
	ds_write_b32 v9, v5
	ds_write_b8 v9, v7 offset:4
.LBB1647_122:
	s_or_b64 exec, exec, s[34:35]
	v_cmp_gt_u32_e64 s[30:31], 4, v0
	s_waitcnt lgkmcnt(0)
	s_barrier
	s_and_saveexec_b64 s[34:35], s[30:31]
	s_cbranch_execz .LBB1647_126
; %bb.123:
	v_lshlrev_b32_e32 v9, 3, v0
	ds_read_b64 v[28:29], v9
	v_and_b32_e32 v11, 3, v3
	v_cmp_ne_u32_e64 s[30:31], 0, v11
	s_waitcnt lgkmcnt(0)
	v_mov_b32_dpp v13, v28 row_shr:1 row_mask:0xf bank_mask:0xf
	v_mov_b32_dpp v17, v29 row_shr:1 row_mask:0xf bank_mask:0xf
	v_mov_b32_e32 v15, v29
	s_and_saveexec_b64 s[40:41], s[30:31]
	s_cbranch_execz .LBB1647_125
; %bb.124:
	v_and_b32_e32 v15, 1, v29
	v_and_b32_e32 v17, 1, v17
	v_cmp_eq_u32_e64 s[30:31], 1, v15
	v_mov_b32_e32 v15, 0
	v_cndmask_b32_e64 v17, v17, 1, s[30:31]
	v_cmp_eq_u16_sdwa s[30:31], v29, v15 src0_sel:BYTE_0 src1_sel:DWORD
	v_cndmask_b32_e64 v13, 0, v13, s[30:31]
	v_add_u32_e32 v28, v13, v28
	v_and_b32_e32 v13, 0xffff, v17
	s_movk_i32 s30, 0xff00
	v_and_or_b32 v15, v29, s30, v13
	v_mov_b32_e32 v29, v17
.LBB1647_125:
	s_or_b64 exec, exec, s[40:41]
	v_mov_b32_dpp v15, v15 row_shr:2 row_mask:0xf bank_mask:0xf
	v_and_b32_e32 v17, 1, v29
	v_and_b32_e32 v15, 1, v15
	v_cmp_eq_u32_e64 s[30:31], 1, v17
	v_mov_b32_e32 v17, 0
	v_cndmask_b32_e64 v15, v15, 1, s[30:31]
	v_cmp_eq_u16_sdwa s[40:41], v29, v17 src0_sel:BYTE_0 src1_sel:DWORD
	v_cmp_lt_u32_e64 s[30:31], 1, v11
	v_mov_b32_dpp v13, v28 row_shr:2 row_mask:0xf bank_mask:0xf
	v_cndmask_b32_e64 v11, v29, v15, s[30:31]
	s_and_b64 s[30:31], s[30:31], s[40:41]
	v_cndmask_b32_e64 v13, 0, v13, s[30:31]
	v_add_u32_e32 v13, v13, v28
	ds_write_b32 v9, v13
	ds_write_b8 v9, v11 offset:4
.LBB1647_126:
	s_or_b64 exec, exec, s[34:35]
	v_cmp_lt_u32_e64 s[30:31], 63, v0
	v_mov_b32_e32 v9, 0
	s_waitcnt lgkmcnt(0)
	s_barrier
	s_and_saveexec_b64 s[34:35], s[30:31]
	s_cbranch_execz .LBB1647_128
; %bb.127:
	v_lshl_add_u32 v1, v1, 3, -8
	ds_read_b32 v9, v1
	v_cmp_eq_u32_e64 s[30:31], 0, v7
	s_waitcnt lgkmcnt(0)
	v_cndmask_b32_e64 v1, 0, v9, s[30:31]
	v_add_u32_e32 v5, v1, v5
.LBB1647_128:
	s_or_b64 exec, exec, s[34:35]
	v_add_u32_e32 v1, -1, v3
	v_and_b32_e32 v7, 64, v3
	v_cmp_lt_i32_e64 s[30:31], v1, v7
	v_cndmask_b32_e64 v1, v1, v3, s[30:31]
	v_lshlrev_b32_e32 v1, 2, v1
	ds_bpermute_b32 v1, v1, v5
	s_and_saveexec_b64 s[30:31], s[2:3]
	s_cbranch_execz .LBB1647_130
; %bb.129:
	v_and_b32_e32 v27, 0xff, v39
	v_mov_b32_e32 v26, 0
	v_cmp_eq_u32_e64 s[2:3], 0, v3
	s_waitcnt lgkmcnt(0)
	v_cndmask_b32_e64 v1, v1, v9, s[2:3]
	v_cmp_eq_u64_e64 s[2:3], 0, v[26:27]
	v_cndmask_b32_e64 v1, 0, v1, s[2:3]
	v_add_u32_e32 v38, v1, v38
	v_cndmask_b32_e64 v1, 0, v38, s[4:5]
	v_add_u32_e32 v27, v1, v2
	;; [unrolled: 2-line block ×14, first 2 shown]
	;;#ASMSTART
	;;#ASMEND
.LBB1647_130:
	s_or_b64 exec, exec, s[30:31]
	s_and_saveexec_b64 s[2:3], vcc
	s_cbranch_execz .LBB1647_132
; %bb.131:
	v_mov_b32_e32 v5, 0
	ds_read_b32 v2, v5 offset:24
	ds_read_u8 v3, v5 offset:28
	s_add_u32 s4, s52, 0x400
	s_addc_u32 s5, s53, 0
	v_mov_b32_e32 v4, 2
	v_pk_mov_b32 v[6:7], s[4:5], s[4:5] op_sel:[0,1]
	s_waitcnt lgkmcnt(0)
	;;#ASMSTART
	global_store_dwordx4 v[6:7], v[2:5] off	
s_waitcnt vmcnt(0)
	;;#ASMEND
.LBB1647_132:
	s_or_b64 exec, exec, s[2:3]
	v_mov_b32_e32 v26, v38
.LBB1647_133:
	s_add_u32 s2, s42, s38
	s_addc_u32 s3, s43, s39
	s_add_u32 s4, s2, s36
	s_waitcnt lgkmcnt(0)
	v_mul_u32_u24_e32 v1, 14, v0
	s_addc_u32 s5, s3, s37
	s_and_b64 vcc, exec, s[0:1]
	v_lshlrev_b32_e32 v2, 2, v1
	s_cbranch_vccz .LBB1647_161
; %bb.134:
	s_movk_i32 s0, 0xffcc
	v_mad_i32_i24 v3, v0, s0, v2
	s_barrier
	ds_write2_b64 v2, v[26:27], v[42:43] offset1:1
	ds_write2_b64 v2, v[30:31], v[44:45] offset0:2 offset1:3
	ds_write2_b64 v2, v[34:35], v[46:47] offset0:4 offset1:5
	ds_write_b64 v2, v[48:49] offset:48
	s_waitcnt lgkmcnt(0)
	s_barrier
	ds_read2st64_b32 v[16:17], v3 offset0:4 offset1:8
	ds_read2st64_b32 v[14:15], v3 offset0:12 offset1:16
	;; [unrolled: 1-line block ×6, first 2 shown]
	ds_read_b32 v3, v3 offset:13312
	v_mov_b32_e32 v5, s5
	v_add_co_u32_e32 v4, vcc, s4, v50
	s_add_i32 s33, s33, s54
	v_addc_co_u32_e32 v5, vcc, 0, v5, vcc
	v_mov_b32_e32 v1, 0
	v_cmp_gt_u32_e32 vcc, s33, v0
	s_and_saveexec_b64 s[0:1], vcc
	s_cbranch_execz .LBB1647_136
; %bb.135:
	v_mul_i32_i24_e32 v18, 0xffffffcc, v0
	v_add_u32_e32 v18, v2, v18
	ds_read_b32 v18, v18
	s_waitcnt lgkmcnt(0)
	v_cvt_f32_u32_e32 v18, v18
	flat_store_dword v[4:5], v18
.LBB1647_136:
	s_or_b64 exec, exec, s[0:1]
	v_or_b32_e32 v18, 0x100, v0
	v_cmp_gt_u32_e32 vcc, s33, v18
	s_and_saveexec_b64 s[0:1], vcc
	s_cbranch_execz .LBB1647_138
; %bb.137:
	s_waitcnt lgkmcnt(0)
	v_cvt_f32_u32_e32 v16, v16
	flat_store_dword v[4:5], v16 offset:1024
.LBB1647_138:
	s_or_b64 exec, exec, s[0:1]
	s_waitcnt lgkmcnt(0)
	v_or_b32_e32 v16, 0x200, v0
	v_cmp_gt_u32_e32 vcc, s33, v16
	s_and_saveexec_b64 s[0:1], vcc
	s_cbranch_execz .LBB1647_140
; %bb.139:
	v_cvt_f32_u32_e32 v16, v17
	flat_store_dword v[4:5], v16 offset:2048
.LBB1647_140:
	s_or_b64 exec, exec, s[0:1]
	v_or_b32_e32 v16, 0x300, v0
	v_cmp_gt_u32_e32 vcc, s33, v16
	s_and_saveexec_b64 s[0:1], vcc
	s_cbranch_execz .LBB1647_142
; %bb.141:
	v_cvt_f32_u32_e32 v14, v14
	flat_store_dword v[4:5], v14 offset:3072
.LBB1647_142:
	s_or_b64 exec, exec, s[0:1]
	v_or_b32_e32 v14, 0x400, v0
	v_cmp_gt_u32_e32 vcc, s33, v14
	s_and_saveexec_b64 s[0:1], vcc
	s_cbranch_execz .LBB1647_144
; %bb.143:
	v_cvt_f32_u32_e32 v16, v15
	v_add_co_u32_e32 v14, vcc, 0x1000, v4
	v_addc_co_u32_e32 v15, vcc, 0, v5, vcc
	flat_store_dword v[14:15], v16
.LBB1647_144:
	s_or_b64 exec, exec, s[0:1]
	v_or_b32_e32 v14, 0x500, v0
	v_cmp_gt_u32_e32 vcc, s33, v14
	s_and_saveexec_b64 s[0:1], vcc
	s_cbranch_execz .LBB1647_146
; %bb.145:
	v_cvt_f32_u32_e32 v12, v12
	v_add_co_u32_e32 v14, vcc, 0x1000, v4
	v_addc_co_u32_e32 v15, vcc, 0, v5, vcc
	flat_store_dword v[14:15], v12 offset:1024
.LBB1647_146:
	s_or_b64 exec, exec, s[0:1]
	v_or_b32_e32 v12, 0x600, v0
	v_cmp_gt_u32_e32 vcc, s33, v12
	s_and_saveexec_b64 s[0:1], vcc
	s_cbranch_execz .LBB1647_148
; %bb.147:
	v_cvt_f32_u32_e32 v14, v13
	v_add_co_u32_e32 v12, vcc, 0x1000, v4
	v_addc_co_u32_e32 v13, vcc, 0, v5, vcc
	flat_store_dword v[12:13], v14 offset:2048
.LBB1647_148:
	;; [unrolled: 11-line block ×3, first 2 shown]
	s_or_b64 exec, exec, s[0:1]
	v_or_b32_e32 v10, 0x800, v0
	v_cmp_gt_u32_e32 vcc, s33, v10
	s_and_saveexec_b64 s[0:1], vcc
	s_cbranch_execz .LBB1647_152
; %bb.151:
	v_cvt_f32_u32_e32 v12, v11
	v_add_co_u32_e32 v10, vcc, 0x2000, v4
	v_addc_co_u32_e32 v11, vcc, 0, v5, vcc
	flat_store_dword v[10:11], v12
.LBB1647_152:
	s_or_b64 exec, exec, s[0:1]
	v_or_b32_e32 v10, 0x900, v0
	v_cmp_gt_u32_e32 vcc, s33, v10
	s_and_saveexec_b64 s[0:1], vcc
	s_cbranch_execz .LBB1647_154
; %bb.153:
	v_cvt_f32_u32_e32 v8, v8
	v_add_co_u32_e32 v10, vcc, 0x2000, v4
	v_addc_co_u32_e32 v11, vcc, 0, v5, vcc
	flat_store_dword v[10:11], v8 offset:1024
.LBB1647_154:
	s_or_b64 exec, exec, s[0:1]
	v_or_b32_e32 v8, 0xa00, v0
	v_cmp_gt_u32_e32 vcc, s33, v8
	s_and_saveexec_b64 s[0:1], vcc
	s_cbranch_execz .LBB1647_156
; %bb.155:
	v_cvt_f32_u32_e32 v10, v9
	v_add_co_u32_e32 v8, vcc, 0x2000, v4
	v_addc_co_u32_e32 v9, vcc, 0, v5, vcc
	flat_store_dword v[8:9], v10 offset:2048
.LBB1647_156:
	;; [unrolled: 11-line block ×3, first 2 shown]
	s_or_b64 exec, exec, s[0:1]
	v_or_b32_e32 v6, 0xc00, v0
	v_cmp_gt_u32_e32 vcc, s33, v6
	s_and_saveexec_b64 s[0:1], vcc
	s_cbranch_execz .LBB1647_160
; %bb.159:
	v_cvt_f32_u32_e32 v6, v7
	v_add_co_u32_e32 v4, vcc, 0x3000, v4
	v_addc_co_u32_e32 v5, vcc, 0, v5, vcc
	flat_store_dword v[4:5], v6
.LBB1647_160:
	s_or_b64 exec, exec, s[0:1]
	v_or_b32_e32 v4, 0xd00, v0
	v_cmp_gt_u32_e64 s[0:1], s33, v4
	s_branch .LBB1647_163
.LBB1647_161:
	s_mov_b64 s[0:1], 0
                                        ; implicit-def: $vgpr3
	s_cbranch_execz .LBB1647_163
; %bb.162:
	s_movk_i32 s2, 0xffcc
	s_waitcnt lgkmcnt(0)
	s_barrier
	ds_write2_b64 v2, v[26:27], v[42:43] offset1:1
	ds_write2_b64 v2, v[30:31], v[44:45] offset0:2 offset1:3
	ds_write2_b64 v2, v[34:35], v[46:47] offset0:4 offset1:5
	ds_write_b64 v2, v[48:49] offset:48
	v_mad_i32_i24 v2, v0, s2, v2
	s_waitcnt lgkmcnt(0)
	s_barrier
	ds_read2st64_b32 v[4:5], v2 offset1:4
	ds_read2st64_b32 v[6:7], v2 offset0:8 offset1:12
	ds_read2st64_b32 v[8:9], v2 offset0:16 offset1:20
	;; [unrolled: 1-line block ×6, first 2 shown]
	s_waitcnt lgkmcnt(0)
	v_cvt_f32_u32_e32 v4, v4
	v_cvt_f32_u32_e32 v5, v5
	v_mov_b32_e32 v17, s5
	v_add_co_u32_e32 v16, vcc, s4, v50
	v_cvt_f32_u32_e32 v6, v6
	v_addc_co_u32_e32 v17, vcc, 0, v17, vcc
	v_cvt_f32_u32_e32 v7, v7
	flat_store_dword v[16:17], v4
	flat_store_dword v[16:17], v5 offset:1024
	flat_store_dword v[16:17], v6 offset:2048
	;; [unrolled: 1-line block ×3, first 2 shown]
	v_cvt_f32_u32_e32 v6, v8
	s_movk_i32 s2, 0x1000
	v_cvt_f32_u32_e32 v7, v9
	v_add_co_u32_e32 v4, vcc, s2, v16
	v_cvt_f32_u32_e32 v8, v10
	v_addc_co_u32_e32 v5, vcc, 0, v17, vcc
	v_cvt_f32_u32_e32 v9, v11
	flat_store_dword v[4:5], v6
	flat_store_dword v[4:5], v7 offset:1024
	flat_store_dword v[4:5], v8 offset:2048
	flat_store_dword v[4:5], v9 offset:3072
	v_cvt_f32_u32_e32 v6, v12
	s_movk_i32 s2, 0x2000
	v_cvt_f32_u32_e32 v7, v13
	v_add_co_u32_e32 v4, vcc, s2, v16
	v_cvt_f32_u32_e32 v8, v14
	v_cvt_f32_u32_e32 v2, v2
	v_addc_co_u32_e32 v5, vcc, 0, v17, vcc
	v_cvt_f32_u32_e32 v9, v15
	flat_store_dword v[4:5], v6
	flat_store_dword v[4:5], v7 offset:1024
	flat_store_dword v[4:5], v8 offset:2048
	;; [unrolled: 1-line block ×3, first 2 shown]
	v_add_co_u32_e32 v4, vcc, 0x3000, v16
	v_mov_b32_e32 v1, 0
	v_addc_co_u32_e32 v5, vcc, 0, v17, vcc
	s_or_b64 s[0:1], s[0:1], exec
	flat_store_dword v[4:5], v2
.LBB1647_163:
	s_and_saveexec_b64 s[2:3], s[0:1]
	s_cbranch_execnz .LBB1647_165
; %bb.164:
	s_endpgm
.LBB1647_165:
	v_lshlrev_b64 v[0:1], 2, v[0:1]
	v_mov_b32_e32 v2, s5
	v_add_co_u32_e32 v0, vcc, s4, v0
	v_addc_co_u32_e32 v1, vcc, v2, v1, vcc
	v_cvt_f32_u32_e32 v2, v3
	v_add_co_u32_e32 v0, vcc, 0x3000, v0
	v_addc_co_u32_e32 v1, vcc, 0, v1, vcc
	flat_store_dword v[0:1], v2 offset:1024
	s_endpgm
.LBB1647_166:
	v_mov_b32_e32 v13, s55
	v_add_co_u32_e32 v14, vcc, s7, v12
	v_addc_co_u32_e32 v15, vcc, 0, v13, vcc
	flat_load_dword v13, v[14:15]
	s_or_b64 exec, exec, s[44:45]
                                        ; implicit-def: $vgpr14
	s_and_saveexec_b64 s[2:3], s[4:5]
	s_cbranch_execz .LBB1647_37
.LBB1647_167:
	v_mov_b32_e32 v15, s55
	v_add_co_u32_e32 v14, vcc, s7, v12
	v_addc_co_u32_e32 v15, vcc, 0, v15, vcc
	flat_load_dword v14, v[14:15] offset:1024
	s_or_b64 exec, exec, s[2:3]
                                        ; implicit-def: $vgpr15
	s_and_saveexec_b64 s[2:3], s[30:31]
	s_cbranch_execz .LBB1647_38
.LBB1647_168:
	v_mov_b32_e32 v15, s55
	v_add_co_u32_e32 v16, vcc, s7, v12
	v_addc_co_u32_e32 v17, vcc, 0, v15, vcc
	flat_load_dword v15, v[16:17] offset:2048
	s_or_b64 exec, exec, s[2:3]
                                        ; implicit-def: $vgpr16
	s_and_saveexec_b64 s[2:3], s[8:9]
	s_cbranch_execz .LBB1647_39
.LBB1647_169:
	v_mov_b32_e32 v17, s55
	v_add_co_u32_e32 v16, vcc, s7, v12
	v_addc_co_u32_e32 v17, vcc, 0, v17, vcc
	flat_load_dword v16, v[16:17] offset:3072
	s_or_b64 exec, exec, s[2:3]
                                        ; implicit-def: $vgpr17
	s_and_saveexec_b64 s[2:3], s[10:11]
	s_cbranch_execz .LBB1647_40
.LBB1647_170:
	v_mov_b32_e32 v17, s55
	v_add_co_u32_e32 v18, vcc, s7, v2
	v_addc_co_u32_e32 v19, vcc, 0, v17, vcc
	flat_load_dword v17, v[18:19]
	s_or_b64 exec, exec, s[2:3]
                                        ; implicit-def: $vgpr2
	s_and_saveexec_b64 s[2:3], s[12:13]
	s_cbranch_execz .LBB1647_41
.LBB1647_171:
	v_mov_b32_e32 v18, s55
	v_add_co_u32_e32 v2, vcc, s7, v3
	v_addc_co_u32_e32 v3, vcc, 0, v18, vcc
	flat_load_dword v2, v[2:3]
	s_or_b64 exec, exec, s[2:3]
                                        ; implicit-def: $vgpr3
	s_and_saveexec_b64 s[2:3], s[14:15]
	s_cbranch_execz .LBB1647_42
.LBB1647_172:
	v_mov_b32_e32 v3, s55
	v_add_co_u32_e32 v18, vcc, s7, v4
	v_addc_co_u32_e32 v19, vcc, 0, v3, vcc
	flat_load_dword v3, v[18:19]
	s_or_b64 exec, exec, s[2:3]
                                        ; implicit-def: $vgpr4
	s_and_saveexec_b64 s[2:3], s[16:17]
	s_cbranch_execz .LBB1647_43
.LBB1647_173:
	v_mov_b32_e32 v18, s55
	v_add_co_u32_e32 v4, vcc, s7, v5
	v_addc_co_u32_e32 v5, vcc, 0, v18, vcc
	flat_load_dword v4, v[4:5]
	s_or_b64 exec, exec, s[2:3]
                                        ; implicit-def: $vgpr5
	s_and_saveexec_b64 s[2:3], s[18:19]
	s_cbranch_execz .LBB1647_44
.LBB1647_174:
	v_mov_b32_e32 v5, s55
	v_add_co_u32_e32 v18, vcc, s7, v6
	v_addc_co_u32_e32 v19, vcc, 0, v5, vcc
	flat_load_dword v5, v[18:19]
	s_or_b64 exec, exec, s[2:3]
                                        ; implicit-def: $vgpr6
	s_and_saveexec_b64 s[2:3], s[20:21]
	s_cbranch_execz .LBB1647_45
.LBB1647_175:
	v_mov_b32_e32 v18, s55
	v_add_co_u32_e32 v6, vcc, s7, v7
	v_addc_co_u32_e32 v7, vcc, 0, v18, vcc
	flat_load_dword v6, v[6:7]
	s_or_b64 exec, exec, s[2:3]
                                        ; implicit-def: $vgpr7
	s_and_saveexec_b64 s[2:3], s[22:23]
	s_cbranch_execz .LBB1647_46
.LBB1647_176:
	v_mov_b32_e32 v7, s55
	v_add_co_u32_e32 v18, vcc, s7, v8
	v_addc_co_u32_e32 v19, vcc, 0, v7, vcc
	flat_load_dword v7, v[18:19]
	s_or_b64 exec, exec, s[2:3]
                                        ; implicit-def: $vgpr8
	s_and_saveexec_b64 s[2:3], s[24:25]
	s_cbranch_execz .LBB1647_47
.LBB1647_177:
	v_mov_b32_e32 v18, s55
	v_add_co_u32_e32 v8, vcc, s7, v9
	v_addc_co_u32_e32 v9, vcc, 0, v18, vcc
	flat_load_dword v8, v[8:9]
	s_or_b64 exec, exec, s[2:3]
                                        ; implicit-def: $vgpr9
	s_and_saveexec_b64 s[2:3], s[26:27]
	s_cbranch_execz .LBB1647_48
.LBB1647_178:
	v_mov_b32_e32 v9, s55
	v_add_co_u32_e32 v18, vcc, s7, v10
	v_addc_co_u32_e32 v19, vcc, 0, v9, vcc
	flat_load_dword v9, v[18:19]
	s_or_b64 exec, exec, s[2:3]
                                        ; implicit-def: $vgpr10
	s_and_saveexec_b64 s[2:3], s[28:29]
	s_cbranch_execnz .LBB1647_49
	s_branch .LBB1647_50
.LBB1647_179:
                                        ; implicit-def: $sgpr44_sgpr45
	s_branch .LBB1647_32
.LBB1647_180:
                                        ; implicit-def: $sgpr2_sgpr3
	s_branch .LBB1647_81
	.section	.rodata,"a",@progbits
	.p2align	6, 0x0
	.amdhsa_kernel _ZN7rocprim17ROCPRIM_400000_NS6detail17trampoline_kernelINS0_14default_configENS1_27scan_by_key_config_selectorIijEEZZNS1_16scan_by_key_implILNS1_25lookback_scan_determinismE0ELb0ES3_N6thrust23THRUST_200600_302600_NS6detail15normal_iteratorINS9_10device_ptrIiEEEENSB_INSC_IjEEEENSB_INSC_IfEEEEjNS9_4plusIvEENS9_8equal_toIvEEjEE10hipError_tPvRmT2_T3_T4_T5_mT6_T7_P12ihipStream_tbENKUlT_T0_E_clISt17integral_constantIbLb0EES13_EEDaSY_SZ_EUlSY_E_NS1_11comp_targetILNS1_3genE4ELNS1_11target_archE910ELNS1_3gpuE8ELNS1_3repE0EEENS1_30default_config_static_selectorELNS0_4arch9wavefront6targetE1EEEvT1_
		.amdhsa_group_segment_fixed_size 16384
		.amdhsa_private_segment_fixed_size 0
		.amdhsa_kernarg_size 112
		.amdhsa_user_sgpr_count 6
		.amdhsa_user_sgpr_private_segment_buffer 1
		.amdhsa_user_sgpr_dispatch_ptr 0
		.amdhsa_user_sgpr_queue_ptr 0
		.amdhsa_user_sgpr_kernarg_segment_ptr 1
		.amdhsa_user_sgpr_dispatch_id 0
		.amdhsa_user_sgpr_flat_scratch_init 0
		.amdhsa_user_sgpr_kernarg_preload_length 0
		.amdhsa_user_sgpr_kernarg_preload_offset 0
		.amdhsa_user_sgpr_private_segment_size 0
		.amdhsa_uses_dynamic_stack 0
		.amdhsa_system_sgpr_private_segment_wavefront_offset 0
		.amdhsa_system_sgpr_workgroup_id_x 1
		.amdhsa_system_sgpr_workgroup_id_y 0
		.amdhsa_system_sgpr_workgroup_id_z 0
		.amdhsa_system_sgpr_workgroup_info 0
		.amdhsa_system_vgpr_workitem_id 0
		.amdhsa_next_free_vgpr 65
		.amdhsa_next_free_sgpr 61
		.amdhsa_accum_offset 68
		.amdhsa_reserve_vcc 1
		.amdhsa_reserve_flat_scratch 0
		.amdhsa_float_round_mode_32 0
		.amdhsa_float_round_mode_16_64 0
		.amdhsa_float_denorm_mode_32 3
		.amdhsa_float_denorm_mode_16_64 3
		.amdhsa_dx10_clamp 1
		.amdhsa_ieee_mode 1
		.amdhsa_fp16_overflow 0
		.amdhsa_tg_split 0
		.amdhsa_exception_fp_ieee_invalid_op 0
		.amdhsa_exception_fp_denorm_src 0
		.amdhsa_exception_fp_ieee_div_zero 0
		.amdhsa_exception_fp_ieee_overflow 0
		.amdhsa_exception_fp_ieee_underflow 0
		.amdhsa_exception_fp_ieee_inexact 0
		.amdhsa_exception_int_div_zero 0
	.end_amdhsa_kernel
	.section	.text._ZN7rocprim17ROCPRIM_400000_NS6detail17trampoline_kernelINS0_14default_configENS1_27scan_by_key_config_selectorIijEEZZNS1_16scan_by_key_implILNS1_25lookback_scan_determinismE0ELb0ES3_N6thrust23THRUST_200600_302600_NS6detail15normal_iteratorINS9_10device_ptrIiEEEENSB_INSC_IjEEEENSB_INSC_IfEEEEjNS9_4plusIvEENS9_8equal_toIvEEjEE10hipError_tPvRmT2_T3_T4_T5_mT6_T7_P12ihipStream_tbENKUlT_T0_E_clISt17integral_constantIbLb0EES13_EEDaSY_SZ_EUlSY_E_NS1_11comp_targetILNS1_3genE4ELNS1_11target_archE910ELNS1_3gpuE8ELNS1_3repE0EEENS1_30default_config_static_selectorELNS0_4arch9wavefront6targetE1EEEvT1_,"axG",@progbits,_ZN7rocprim17ROCPRIM_400000_NS6detail17trampoline_kernelINS0_14default_configENS1_27scan_by_key_config_selectorIijEEZZNS1_16scan_by_key_implILNS1_25lookback_scan_determinismE0ELb0ES3_N6thrust23THRUST_200600_302600_NS6detail15normal_iteratorINS9_10device_ptrIiEEEENSB_INSC_IjEEEENSB_INSC_IfEEEEjNS9_4plusIvEENS9_8equal_toIvEEjEE10hipError_tPvRmT2_T3_T4_T5_mT6_T7_P12ihipStream_tbENKUlT_T0_E_clISt17integral_constantIbLb0EES13_EEDaSY_SZ_EUlSY_E_NS1_11comp_targetILNS1_3genE4ELNS1_11target_archE910ELNS1_3gpuE8ELNS1_3repE0EEENS1_30default_config_static_selectorELNS0_4arch9wavefront6targetE1EEEvT1_,comdat
.Lfunc_end1647:
	.size	_ZN7rocprim17ROCPRIM_400000_NS6detail17trampoline_kernelINS0_14default_configENS1_27scan_by_key_config_selectorIijEEZZNS1_16scan_by_key_implILNS1_25lookback_scan_determinismE0ELb0ES3_N6thrust23THRUST_200600_302600_NS6detail15normal_iteratorINS9_10device_ptrIiEEEENSB_INSC_IjEEEENSB_INSC_IfEEEEjNS9_4plusIvEENS9_8equal_toIvEEjEE10hipError_tPvRmT2_T3_T4_T5_mT6_T7_P12ihipStream_tbENKUlT_T0_E_clISt17integral_constantIbLb0EES13_EEDaSY_SZ_EUlSY_E_NS1_11comp_targetILNS1_3genE4ELNS1_11target_archE910ELNS1_3gpuE8ELNS1_3repE0EEENS1_30default_config_static_selectorELNS0_4arch9wavefront6targetE1EEEvT1_, .Lfunc_end1647-_ZN7rocprim17ROCPRIM_400000_NS6detail17trampoline_kernelINS0_14default_configENS1_27scan_by_key_config_selectorIijEEZZNS1_16scan_by_key_implILNS1_25lookback_scan_determinismE0ELb0ES3_N6thrust23THRUST_200600_302600_NS6detail15normal_iteratorINS9_10device_ptrIiEEEENSB_INSC_IjEEEENSB_INSC_IfEEEEjNS9_4plusIvEENS9_8equal_toIvEEjEE10hipError_tPvRmT2_T3_T4_T5_mT6_T7_P12ihipStream_tbENKUlT_T0_E_clISt17integral_constantIbLb0EES13_EEDaSY_SZ_EUlSY_E_NS1_11comp_targetILNS1_3genE4ELNS1_11target_archE910ELNS1_3gpuE8ELNS1_3repE0EEENS1_30default_config_static_selectorELNS0_4arch9wavefront6targetE1EEEvT1_
                                        ; -- End function
	.section	.AMDGPU.csdata,"",@progbits
; Kernel info:
; codeLenInByte = 11016
; NumSgprs: 65
; NumVgprs: 65
; NumAgprs: 0
; TotalNumVgprs: 65
; ScratchSize: 0
; MemoryBound: 0
; FloatMode: 240
; IeeeMode: 1
; LDSByteSize: 16384 bytes/workgroup (compile time only)
; SGPRBlocks: 8
; VGPRBlocks: 8
; NumSGPRsForWavesPerEU: 65
; NumVGPRsForWavesPerEU: 65
; AccumOffset: 68
; Occupancy: 4
; WaveLimiterHint : 1
; COMPUTE_PGM_RSRC2:SCRATCH_EN: 0
; COMPUTE_PGM_RSRC2:USER_SGPR: 6
; COMPUTE_PGM_RSRC2:TRAP_HANDLER: 0
; COMPUTE_PGM_RSRC2:TGID_X_EN: 1
; COMPUTE_PGM_RSRC2:TGID_Y_EN: 0
; COMPUTE_PGM_RSRC2:TGID_Z_EN: 0
; COMPUTE_PGM_RSRC2:TIDIG_COMP_CNT: 0
; COMPUTE_PGM_RSRC3_GFX90A:ACCUM_OFFSET: 16
; COMPUTE_PGM_RSRC3_GFX90A:TG_SPLIT: 0
	.section	.text._ZN7rocprim17ROCPRIM_400000_NS6detail17trampoline_kernelINS0_14default_configENS1_27scan_by_key_config_selectorIijEEZZNS1_16scan_by_key_implILNS1_25lookback_scan_determinismE0ELb0ES3_N6thrust23THRUST_200600_302600_NS6detail15normal_iteratorINS9_10device_ptrIiEEEENSB_INSC_IjEEEENSB_INSC_IfEEEEjNS9_4plusIvEENS9_8equal_toIvEEjEE10hipError_tPvRmT2_T3_T4_T5_mT6_T7_P12ihipStream_tbENKUlT_T0_E_clISt17integral_constantIbLb0EES13_EEDaSY_SZ_EUlSY_E_NS1_11comp_targetILNS1_3genE3ELNS1_11target_archE908ELNS1_3gpuE7ELNS1_3repE0EEENS1_30default_config_static_selectorELNS0_4arch9wavefront6targetE1EEEvT1_,"axG",@progbits,_ZN7rocprim17ROCPRIM_400000_NS6detail17trampoline_kernelINS0_14default_configENS1_27scan_by_key_config_selectorIijEEZZNS1_16scan_by_key_implILNS1_25lookback_scan_determinismE0ELb0ES3_N6thrust23THRUST_200600_302600_NS6detail15normal_iteratorINS9_10device_ptrIiEEEENSB_INSC_IjEEEENSB_INSC_IfEEEEjNS9_4plusIvEENS9_8equal_toIvEEjEE10hipError_tPvRmT2_T3_T4_T5_mT6_T7_P12ihipStream_tbENKUlT_T0_E_clISt17integral_constantIbLb0EES13_EEDaSY_SZ_EUlSY_E_NS1_11comp_targetILNS1_3genE3ELNS1_11target_archE908ELNS1_3gpuE7ELNS1_3repE0EEENS1_30default_config_static_selectorELNS0_4arch9wavefront6targetE1EEEvT1_,comdat
	.protected	_ZN7rocprim17ROCPRIM_400000_NS6detail17trampoline_kernelINS0_14default_configENS1_27scan_by_key_config_selectorIijEEZZNS1_16scan_by_key_implILNS1_25lookback_scan_determinismE0ELb0ES3_N6thrust23THRUST_200600_302600_NS6detail15normal_iteratorINS9_10device_ptrIiEEEENSB_INSC_IjEEEENSB_INSC_IfEEEEjNS9_4plusIvEENS9_8equal_toIvEEjEE10hipError_tPvRmT2_T3_T4_T5_mT6_T7_P12ihipStream_tbENKUlT_T0_E_clISt17integral_constantIbLb0EES13_EEDaSY_SZ_EUlSY_E_NS1_11comp_targetILNS1_3genE3ELNS1_11target_archE908ELNS1_3gpuE7ELNS1_3repE0EEENS1_30default_config_static_selectorELNS0_4arch9wavefront6targetE1EEEvT1_ ; -- Begin function _ZN7rocprim17ROCPRIM_400000_NS6detail17trampoline_kernelINS0_14default_configENS1_27scan_by_key_config_selectorIijEEZZNS1_16scan_by_key_implILNS1_25lookback_scan_determinismE0ELb0ES3_N6thrust23THRUST_200600_302600_NS6detail15normal_iteratorINS9_10device_ptrIiEEEENSB_INSC_IjEEEENSB_INSC_IfEEEEjNS9_4plusIvEENS9_8equal_toIvEEjEE10hipError_tPvRmT2_T3_T4_T5_mT6_T7_P12ihipStream_tbENKUlT_T0_E_clISt17integral_constantIbLb0EES13_EEDaSY_SZ_EUlSY_E_NS1_11comp_targetILNS1_3genE3ELNS1_11target_archE908ELNS1_3gpuE7ELNS1_3repE0EEENS1_30default_config_static_selectorELNS0_4arch9wavefront6targetE1EEEvT1_
	.globl	_ZN7rocprim17ROCPRIM_400000_NS6detail17trampoline_kernelINS0_14default_configENS1_27scan_by_key_config_selectorIijEEZZNS1_16scan_by_key_implILNS1_25lookback_scan_determinismE0ELb0ES3_N6thrust23THRUST_200600_302600_NS6detail15normal_iteratorINS9_10device_ptrIiEEEENSB_INSC_IjEEEENSB_INSC_IfEEEEjNS9_4plusIvEENS9_8equal_toIvEEjEE10hipError_tPvRmT2_T3_T4_T5_mT6_T7_P12ihipStream_tbENKUlT_T0_E_clISt17integral_constantIbLb0EES13_EEDaSY_SZ_EUlSY_E_NS1_11comp_targetILNS1_3genE3ELNS1_11target_archE908ELNS1_3gpuE7ELNS1_3repE0EEENS1_30default_config_static_selectorELNS0_4arch9wavefront6targetE1EEEvT1_
	.p2align	8
	.type	_ZN7rocprim17ROCPRIM_400000_NS6detail17trampoline_kernelINS0_14default_configENS1_27scan_by_key_config_selectorIijEEZZNS1_16scan_by_key_implILNS1_25lookback_scan_determinismE0ELb0ES3_N6thrust23THRUST_200600_302600_NS6detail15normal_iteratorINS9_10device_ptrIiEEEENSB_INSC_IjEEEENSB_INSC_IfEEEEjNS9_4plusIvEENS9_8equal_toIvEEjEE10hipError_tPvRmT2_T3_T4_T5_mT6_T7_P12ihipStream_tbENKUlT_T0_E_clISt17integral_constantIbLb0EES13_EEDaSY_SZ_EUlSY_E_NS1_11comp_targetILNS1_3genE3ELNS1_11target_archE908ELNS1_3gpuE7ELNS1_3repE0EEENS1_30default_config_static_selectorELNS0_4arch9wavefront6targetE1EEEvT1_,@function
_ZN7rocprim17ROCPRIM_400000_NS6detail17trampoline_kernelINS0_14default_configENS1_27scan_by_key_config_selectorIijEEZZNS1_16scan_by_key_implILNS1_25lookback_scan_determinismE0ELb0ES3_N6thrust23THRUST_200600_302600_NS6detail15normal_iteratorINS9_10device_ptrIiEEEENSB_INSC_IjEEEENSB_INSC_IfEEEEjNS9_4plusIvEENS9_8equal_toIvEEjEE10hipError_tPvRmT2_T3_T4_T5_mT6_T7_P12ihipStream_tbENKUlT_T0_E_clISt17integral_constantIbLb0EES13_EEDaSY_SZ_EUlSY_E_NS1_11comp_targetILNS1_3genE3ELNS1_11target_archE908ELNS1_3gpuE7ELNS1_3repE0EEENS1_30default_config_static_selectorELNS0_4arch9wavefront6targetE1EEEvT1_: ; @_ZN7rocprim17ROCPRIM_400000_NS6detail17trampoline_kernelINS0_14default_configENS1_27scan_by_key_config_selectorIijEEZZNS1_16scan_by_key_implILNS1_25lookback_scan_determinismE0ELb0ES3_N6thrust23THRUST_200600_302600_NS6detail15normal_iteratorINS9_10device_ptrIiEEEENSB_INSC_IjEEEENSB_INSC_IfEEEEjNS9_4plusIvEENS9_8equal_toIvEEjEE10hipError_tPvRmT2_T3_T4_T5_mT6_T7_P12ihipStream_tbENKUlT_T0_E_clISt17integral_constantIbLb0EES13_EEDaSY_SZ_EUlSY_E_NS1_11comp_targetILNS1_3genE3ELNS1_11target_archE908ELNS1_3gpuE7ELNS1_3repE0EEENS1_30default_config_static_selectorELNS0_4arch9wavefront6targetE1EEEvT1_
; %bb.0:
	.section	.rodata,"a",@progbits
	.p2align	6, 0x0
	.amdhsa_kernel _ZN7rocprim17ROCPRIM_400000_NS6detail17trampoline_kernelINS0_14default_configENS1_27scan_by_key_config_selectorIijEEZZNS1_16scan_by_key_implILNS1_25lookback_scan_determinismE0ELb0ES3_N6thrust23THRUST_200600_302600_NS6detail15normal_iteratorINS9_10device_ptrIiEEEENSB_INSC_IjEEEENSB_INSC_IfEEEEjNS9_4plusIvEENS9_8equal_toIvEEjEE10hipError_tPvRmT2_T3_T4_T5_mT6_T7_P12ihipStream_tbENKUlT_T0_E_clISt17integral_constantIbLb0EES13_EEDaSY_SZ_EUlSY_E_NS1_11comp_targetILNS1_3genE3ELNS1_11target_archE908ELNS1_3gpuE7ELNS1_3repE0EEENS1_30default_config_static_selectorELNS0_4arch9wavefront6targetE1EEEvT1_
		.amdhsa_group_segment_fixed_size 0
		.amdhsa_private_segment_fixed_size 0
		.amdhsa_kernarg_size 112
		.amdhsa_user_sgpr_count 6
		.amdhsa_user_sgpr_private_segment_buffer 1
		.amdhsa_user_sgpr_dispatch_ptr 0
		.amdhsa_user_sgpr_queue_ptr 0
		.amdhsa_user_sgpr_kernarg_segment_ptr 1
		.amdhsa_user_sgpr_dispatch_id 0
		.amdhsa_user_sgpr_flat_scratch_init 0
		.amdhsa_user_sgpr_kernarg_preload_length 0
		.amdhsa_user_sgpr_kernarg_preload_offset 0
		.amdhsa_user_sgpr_private_segment_size 0
		.amdhsa_uses_dynamic_stack 0
		.amdhsa_system_sgpr_private_segment_wavefront_offset 0
		.amdhsa_system_sgpr_workgroup_id_x 1
		.amdhsa_system_sgpr_workgroup_id_y 0
		.amdhsa_system_sgpr_workgroup_id_z 0
		.amdhsa_system_sgpr_workgroup_info 0
		.amdhsa_system_vgpr_workitem_id 0
		.amdhsa_next_free_vgpr 1
		.amdhsa_next_free_sgpr 0
		.amdhsa_accum_offset 4
		.amdhsa_reserve_vcc 0
		.amdhsa_reserve_flat_scratch 0
		.amdhsa_float_round_mode_32 0
		.amdhsa_float_round_mode_16_64 0
		.amdhsa_float_denorm_mode_32 3
		.amdhsa_float_denorm_mode_16_64 3
		.amdhsa_dx10_clamp 1
		.amdhsa_ieee_mode 1
		.amdhsa_fp16_overflow 0
		.amdhsa_tg_split 0
		.amdhsa_exception_fp_ieee_invalid_op 0
		.amdhsa_exception_fp_denorm_src 0
		.amdhsa_exception_fp_ieee_div_zero 0
		.amdhsa_exception_fp_ieee_overflow 0
		.amdhsa_exception_fp_ieee_underflow 0
		.amdhsa_exception_fp_ieee_inexact 0
		.amdhsa_exception_int_div_zero 0
	.end_amdhsa_kernel
	.section	.text._ZN7rocprim17ROCPRIM_400000_NS6detail17trampoline_kernelINS0_14default_configENS1_27scan_by_key_config_selectorIijEEZZNS1_16scan_by_key_implILNS1_25lookback_scan_determinismE0ELb0ES3_N6thrust23THRUST_200600_302600_NS6detail15normal_iteratorINS9_10device_ptrIiEEEENSB_INSC_IjEEEENSB_INSC_IfEEEEjNS9_4plusIvEENS9_8equal_toIvEEjEE10hipError_tPvRmT2_T3_T4_T5_mT6_T7_P12ihipStream_tbENKUlT_T0_E_clISt17integral_constantIbLb0EES13_EEDaSY_SZ_EUlSY_E_NS1_11comp_targetILNS1_3genE3ELNS1_11target_archE908ELNS1_3gpuE7ELNS1_3repE0EEENS1_30default_config_static_selectorELNS0_4arch9wavefront6targetE1EEEvT1_,"axG",@progbits,_ZN7rocprim17ROCPRIM_400000_NS6detail17trampoline_kernelINS0_14default_configENS1_27scan_by_key_config_selectorIijEEZZNS1_16scan_by_key_implILNS1_25lookback_scan_determinismE0ELb0ES3_N6thrust23THRUST_200600_302600_NS6detail15normal_iteratorINS9_10device_ptrIiEEEENSB_INSC_IjEEEENSB_INSC_IfEEEEjNS9_4plusIvEENS9_8equal_toIvEEjEE10hipError_tPvRmT2_T3_T4_T5_mT6_T7_P12ihipStream_tbENKUlT_T0_E_clISt17integral_constantIbLb0EES13_EEDaSY_SZ_EUlSY_E_NS1_11comp_targetILNS1_3genE3ELNS1_11target_archE908ELNS1_3gpuE7ELNS1_3repE0EEENS1_30default_config_static_selectorELNS0_4arch9wavefront6targetE1EEEvT1_,comdat
.Lfunc_end1648:
	.size	_ZN7rocprim17ROCPRIM_400000_NS6detail17trampoline_kernelINS0_14default_configENS1_27scan_by_key_config_selectorIijEEZZNS1_16scan_by_key_implILNS1_25lookback_scan_determinismE0ELb0ES3_N6thrust23THRUST_200600_302600_NS6detail15normal_iteratorINS9_10device_ptrIiEEEENSB_INSC_IjEEEENSB_INSC_IfEEEEjNS9_4plusIvEENS9_8equal_toIvEEjEE10hipError_tPvRmT2_T3_T4_T5_mT6_T7_P12ihipStream_tbENKUlT_T0_E_clISt17integral_constantIbLb0EES13_EEDaSY_SZ_EUlSY_E_NS1_11comp_targetILNS1_3genE3ELNS1_11target_archE908ELNS1_3gpuE7ELNS1_3repE0EEENS1_30default_config_static_selectorELNS0_4arch9wavefront6targetE1EEEvT1_, .Lfunc_end1648-_ZN7rocprim17ROCPRIM_400000_NS6detail17trampoline_kernelINS0_14default_configENS1_27scan_by_key_config_selectorIijEEZZNS1_16scan_by_key_implILNS1_25lookback_scan_determinismE0ELb0ES3_N6thrust23THRUST_200600_302600_NS6detail15normal_iteratorINS9_10device_ptrIiEEEENSB_INSC_IjEEEENSB_INSC_IfEEEEjNS9_4plusIvEENS9_8equal_toIvEEjEE10hipError_tPvRmT2_T3_T4_T5_mT6_T7_P12ihipStream_tbENKUlT_T0_E_clISt17integral_constantIbLb0EES13_EEDaSY_SZ_EUlSY_E_NS1_11comp_targetILNS1_3genE3ELNS1_11target_archE908ELNS1_3gpuE7ELNS1_3repE0EEENS1_30default_config_static_selectorELNS0_4arch9wavefront6targetE1EEEvT1_
                                        ; -- End function
	.section	.AMDGPU.csdata,"",@progbits
; Kernel info:
; codeLenInByte = 0
; NumSgprs: 4
; NumVgprs: 0
; NumAgprs: 0
; TotalNumVgprs: 0
; ScratchSize: 0
; MemoryBound: 0
; FloatMode: 240
; IeeeMode: 1
; LDSByteSize: 0 bytes/workgroup (compile time only)
; SGPRBlocks: 0
; VGPRBlocks: 0
; NumSGPRsForWavesPerEU: 4
; NumVGPRsForWavesPerEU: 1
; AccumOffset: 4
; Occupancy: 8
; WaveLimiterHint : 0
; COMPUTE_PGM_RSRC2:SCRATCH_EN: 0
; COMPUTE_PGM_RSRC2:USER_SGPR: 6
; COMPUTE_PGM_RSRC2:TRAP_HANDLER: 0
; COMPUTE_PGM_RSRC2:TGID_X_EN: 1
; COMPUTE_PGM_RSRC2:TGID_Y_EN: 0
; COMPUTE_PGM_RSRC2:TGID_Z_EN: 0
; COMPUTE_PGM_RSRC2:TIDIG_COMP_CNT: 0
; COMPUTE_PGM_RSRC3_GFX90A:ACCUM_OFFSET: 0
; COMPUTE_PGM_RSRC3_GFX90A:TG_SPLIT: 0
	.section	.text._ZN7rocprim17ROCPRIM_400000_NS6detail17trampoline_kernelINS0_14default_configENS1_27scan_by_key_config_selectorIijEEZZNS1_16scan_by_key_implILNS1_25lookback_scan_determinismE0ELb0ES3_N6thrust23THRUST_200600_302600_NS6detail15normal_iteratorINS9_10device_ptrIiEEEENSB_INSC_IjEEEENSB_INSC_IfEEEEjNS9_4plusIvEENS9_8equal_toIvEEjEE10hipError_tPvRmT2_T3_T4_T5_mT6_T7_P12ihipStream_tbENKUlT_T0_E_clISt17integral_constantIbLb0EES13_EEDaSY_SZ_EUlSY_E_NS1_11comp_targetILNS1_3genE2ELNS1_11target_archE906ELNS1_3gpuE6ELNS1_3repE0EEENS1_30default_config_static_selectorELNS0_4arch9wavefront6targetE1EEEvT1_,"axG",@progbits,_ZN7rocprim17ROCPRIM_400000_NS6detail17trampoline_kernelINS0_14default_configENS1_27scan_by_key_config_selectorIijEEZZNS1_16scan_by_key_implILNS1_25lookback_scan_determinismE0ELb0ES3_N6thrust23THRUST_200600_302600_NS6detail15normal_iteratorINS9_10device_ptrIiEEEENSB_INSC_IjEEEENSB_INSC_IfEEEEjNS9_4plusIvEENS9_8equal_toIvEEjEE10hipError_tPvRmT2_T3_T4_T5_mT6_T7_P12ihipStream_tbENKUlT_T0_E_clISt17integral_constantIbLb0EES13_EEDaSY_SZ_EUlSY_E_NS1_11comp_targetILNS1_3genE2ELNS1_11target_archE906ELNS1_3gpuE6ELNS1_3repE0EEENS1_30default_config_static_selectorELNS0_4arch9wavefront6targetE1EEEvT1_,comdat
	.protected	_ZN7rocprim17ROCPRIM_400000_NS6detail17trampoline_kernelINS0_14default_configENS1_27scan_by_key_config_selectorIijEEZZNS1_16scan_by_key_implILNS1_25lookback_scan_determinismE0ELb0ES3_N6thrust23THRUST_200600_302600_NS6detail15normal_iteratorINS9_10device_ptrIiEEEENSB_INSC_IjEEEENSB_INSC_IfEEEEjNS9_4plusIvEENS9_8equal_toIvEEjEE10hipError_tPvRmT2_T3_T4_T5_mT6_T7_P12ihipStream_tbENKUlT_T0_E_clISt17integral_constantIbLb0EES13_EEDaSY_SZ_EUlSY_E_NS1_11comp_targetILNS1_3genE2ELNS1_11target_archE906ELNS1_3gpuE6ELNS1_3repE0EEENS1_30default_config_static_selectorELNS0_4arch9wavefront6targetE1EEEvT1_ ; -- Begin function _ZN7rocprim17ROCPRIM_400000_NS6detail17trampoline_kernelINS0_14default_configENS1_27scan_by_key_config_selectorIijEEZZNS1_16scan_by_key_implILNS1_25lookback_scan_determinismE0ELb0ES3_N6thrust23THRUST_200600_302600_NS6detail15normal_iteratorINS9_10device_ptrIiEEEENSB_INSC_IjEEEENSB_INSC_IfEEEEjNS9_4plusIvEENS9_8equal_toIvEEjEE10hipError_tPvRmT2_T3_T4_T5_mT6_T7_P12ihipStream_tbENKUlT_T0_E_clISt17integral_constantIbLb0EES13_EEDaSY_SZ_EUlSY_E_NS1_11comp_targetILNS1_3genE2ELNS1_11target_archE906ELNS1_3gpuE6ELNS1_3repE0EEENS1_30default_config_static_selectorELNS0_4arch9wavefront6targetE1EEEvT1_
	.globl	_ZN7rocprim17ROCPRIM_400000_NS6detail17trampoline_kernelINS0_14default_configENS1_27scan_by_key_config_selectorIijEEZZNS1_16scan_by_key_implILNS1_25lookback_scan_determinismE0ELb0ES3_N6thrust23THRUST_200600_302600_NS6detail15normal_iteratorINS9_10device_ptrIiEEEENSB_INSC_IjEEEENSB_INSC_IfEEEEjNS9_4plusIvEENS9_8equal_toIvEEjEE10hipError_tPvRmT2_T3_T4_T5_mT6_T7_P12ihipStream_tbENKUlT_T0_E_clISt17integral_constantIbLb0EES13_EEDaSY_SZ_EUlSY_E_NS1_11comp_targetILNS1_3genE2ELNS1_11target_archE906ELNS1_3gpuE6ELNS1_3repE0EEENS1_30default_config_static_selectorELNS0_4arch9wavefront6targetE1EEEvT1_
	.p2align	8
	.type	_ZN7rocprim17ROCPRIM_400000_NS6detail17trampoline_kernelINS0_14default_configENS1_27scan_by_key_config_selectorIijEEZZNS1_16scan_by_key_implILNS1_25lookback_scan_determinismE0ELb0ES3_N6thrust23THRUST_200600_302600_NS6detail15normal_iteratorINS9_10device_ptrIiEEEENSB_INSC_IjEEEENSB_INSC_IfEEEEjNS9_4plusIvEENS9_8equal_toIvEEjEE10hipError_tPvRmT2_T3_T4_T5_mT6_T7_P12ihipStream_tbENKUlT_T0_E_clISt17integral_constantIbLb0EES13_EEDaSY_SZ_EUlSY_E_NS1_11comp_targetILNS1_3genE2ELNS1_11target_archE906ELNS1_3gpuE6ELNS1_3repE0EEENS1_30default_config_static_selectorELNS0_4arch9wavefront6targetE1EEEvT1_,@function
_ZN7rocprim17ROCPRIM_400000_NS6detail17trampoline_kernelINS0_14default_configENS1_27scan_by_key_config_selectorIijEEZZNS1_16scan_by_key_implILNS1_25lookback_scan_determinismE0ELb0ES3_N6thrust23THRUST_200600_302600_NS6detail15normal_iteratorINS9_10device_ptrIiEEEENSB_INSC_IjEEEENSB_INSC_IfEEEEjNS9_4plusIvEENS9_8equal_toIvEEjEE10hipError_tPvRmT2_T3_T4_T5_mT6_T7_P12ihipStream_tbENKUlT_T0_E_clISt17integral_constantIbLb0EES13_EEDaSY_SZ_EUlSY_E_NS1_11comp_targetILNS1_3genE2ELNS1_11target_archE906ELNS1_3gpuE6ELNS1_3repE0EEENS1_30default_config_static_selectorELNS0_4arch9wavefront6targetE1EEEvT1_: ; @_ZN7rocprim17ROCPRIM_400000_NS6detail17trampoline_kernelINS0_14default_configENS1_27scan_by_key_config_selectorIijEEZZNS1_16scan_by_key_implILNS1_25lookback_scan_determinismE0ELb0ES3_N6thrust23THRUST_200600_302600_NS6detail15normal_iteratorINS9_10device_ptrIiEEEENSB_INSC_IjEEEENSB_INSC_IfEEEEjNS9_4plusIvEENS9_8equal_toIvEEjEE10hipError_tPvRmT2_T3_T4_T5_mT6_T7_P12ihipStream_tbENKUlT_T0_E_clISt17integral_constantIbLb0EES13_EEDaSY_SZ_EUlSY_E_NS1_11comp_targetILNS1_3genE2ELNS1_11target_archE906ELNS1_3gpuE6ELNS1_3repE0EEENS1_30default_config_static_selectorELNS0_4arch9wavefront6targetE1EEEvT1_
; %bb.0:
	.section	.rodata,"a",@progbits
	.p2align	6, 0x0
	.amdhsa_kernel _ZN7rocprim17ROCPRIM_400000_NS6detail17trampoline_kernelINS0_14default_configENS1_27scan_by_key_config_selectorIijEEZZNS1_16scan_by_key_implILNS1_25lookback_scan_determinismE0ELb0ES3_N6thrust23THRUST_200600_302600_NS6detail15normal_iteratorINS9_10device_ptrIiEEEENSB_INSC_IjEEEENSB_INSC_IfEEEEjNS9_4plusIvEENS9_8equal_toIvEEjEE10hipError_tPvRmT2_T3_T4_T5_mT6_T7_P12ihipStream_tbENKUlT_T0_E_clISt17integral_constantIbLb0EES13_EEDaSY_SZ_EUlSY_E_NS1_11comp_targetILNS1_3genE2ELNS1_11target_archE906ELNS1_3gpuE6ELNS1_3repE0EEENS1_30default_config_static_selectorELNS0_4arch9wavefront6targetE1EEEvT1_
		.amdhsa_group_segment_fixed_size 0
		.amdhsa_private_segment_fixed_size 0
		.amdhsa_kernarg_size 112
		.amdhsa_user_sgpr_count 6
		.amdhsa_user_sgpr_private_segment_buffer 1
		.amdhsa_user_sgpr_dispatch_ptr 0
		.amdhsa_user_sgpr_queue_ptr 0
		.amdhsa_user_sgpr_kernarg_segment_ptr 1
		.amdhsa_user_sgpr_dispatch_id 0
		.amdhsa_user_sgpr_flat_scratch_init 0
		.amdhsa_user_sgpr_kernarg_preload_length 0
		.amdhsa_user_sgpr_kernarg_preload_offset 0
		.amdhsa_user_sgpr_private_segment_size 0
		.amdhsa_uses_dynamic_stack 0
		.amdhsa_system_sgpr_private_segment_wavefront_offset 0
		.amdhsa_system_sgpr_workgroup_id_x 1
		.amdhsa_system_sgpr_workgroup_id_y 0
		.amdhsa_system_sgpr_workgroup_id_z 0
		.amdhsa_system_sgpr_workgroup_info 0
		.amdhsa_system_vgpr_workitem_id 0
		.amdhsa_next_free_vgpr 1
		.amdhsa_next_free_sgpr 0
		.amdhsa_accum_offset 4
		.amdhsa_reserve_vcc 0
		.amdhsa_reserve_flat_scratch 0
		.amdhsa_float_round_mode_32 0
		.amdhsa_float_round_mode_16_64 0
		.amdhsa_float_denorm_mode_32 3
		.amdhsa_float_denorm_mode_16_64 3
		.amdhsa_dx10_clamp 1
		.amdhsa_ieee_mode 1
		.amdhsa_fp16_overflow 0
		.amdhsa_tg_split 0
		.amdhsa_exception_fp_ieee_invalid_op 0
		.amdhsa_exception_fp_denorm_src 0
		.amdhsa_exception_fp_ieee_div_zero 0
		.amdhsa_exception_fp_ieee_overflow 0
		.amdhsa_exception_fp_ieee_underflow 0
		.amdhsa_exception_fp_ieee_inexact 0
		.amdhsa_exception_int_div_zero 0
	.end_amdhsa_kernel
	.section	.text._ZN7rocprim17ROCPRIM_400000_NS6detail17trampoline_kernelINS0_14default_configENS1_27scan_by_key_config_selectorIijEEZZNS1_16scan_by_key_implILNS1_25lookback_scan_determinismE0ELb0ES3_N6thrust23THRUST_200600_302600_NS6detail15normal_iteratorINS9_10device_ptrIiEEEENSB_INSC_IjEEEENSB_INSC_IfEEEEjNS9_4plusIvEENS9_8equal_toIvEEjEE10hipError_tPvRmT2_T3_T4_T5_mT6_T7_P12ihipStream_tbENKUlT_T0_E_clISt17integral_constantIbLb0EES13_EEDaSY_SZ_EUlSY_E_NS1_11comp_targetILNS1_3genE2ELNS1_11target_archE906ELNS1_3gpuE6ELNS1_3repE0EEENS1_30default_config_static_selectorELNS0_4arch9wavefront6targetE1EEEvT1_,"axG",@progbits,_ZN7rocprim17ROCPRIM_400000_NS6detail17trampoline_kernelINS0_14default_configENS1_27scan_by_key_config_selectorIijEEZZNS1_16scan_by_key_implILNS1_25lookback_scan_determinismE0ELb0ES3_N6thrust23THRUST_200600_302600_NS6detail15normal_iteratorINS9_10device_ptrIiEEEENSB_INSC_IjEEEENSB_INSC_IfEEEEjNS9_4plusIvEENS9_8equal_toIvEEjEE10hipError_tPvRmT2_T3_T4_T5_mT6_T7_P12ihipStream_tbENKUlT_T0_E_clISt17integral_constantIbLb0EES13_EEDaSY_SZ_EUlSY_E_NS1_11comp_targetILNS1_3genE2ELNS1_11target_archE906ELNS1_3gpuE6ELNS1_3repE0EEENS1_30default_config_static_selectorELNS0_4arch9wavefront6targetE1EEEvT1_,comdat
.Lfunc_end1649:
	.size	_ZN7rocprim17ROCPRIM_400000_NS6detail17trampoline_kernelINS0_14default_configENS1_27scan_by_key_config_selectorIijEEZZNS1_16scan_by_key_implILNS1_25lookback_scan_determinismE0ELb0ES3_N6thrust23THRUST_200600_302600_NS6detail15normal_iteratorINS9_10device_ptrIiEEEENSB_INSC_IjEEEENSB_INSC_IfEEEEjNS9_4plusIvEENS9_8equal_toIvEEjEE10hipError_tPvRmT2_T3_T4_T5_mT6_T7_P12ihipStream_tbENKUlT_T0_E_clISt17integral_constantIbLb0EES13_EEDaSY_SZ_EUlSY_E_NS1_11comp_targetILNS1_3genE2ELNS1_11target_archE906ELNS1_3gpuE6ELNS1_3repE0EEENS1_30default_config_static_selectorELNS0_4arch9wavefront6targetE1EEEvT1_, .Lfunc_end1649-_ZN7rocprim17ROCPRIM_400000_NS6detail17trampoline_kernelINS0_14default_configENS1_27scan_by_key_config_selectorIijEEZZNS1_16scan_by_key_implILNS1_25lookback_scan_determinismE0ELb0ES3_N6thrust23THRUST_200600_302600_NS6detail15normal_iteratorINS9_10device_ptrIiEEEENSB_INSC_IjEEEENSB_INSC_IfEEEEjNS9_4plusIvEENS9_8equal_toIvEEjEE10hipError_tPvRmT2_T3_T4_T5_mT6_T7_P12ihipStream_tbENKUlT_T0_E_clISt17integral_constantIbLb0EES13_EEDaSY_SZ_EUlSY_E_NS1_11comp_targetILNS1_3genE2ELNS1_11target_archE906ELNS1_3gpuE6ELNS1_3repE0EEENS1_30default_config_static_selectorELNS0_4arch9wavefront6targetE1EEEvT1_
                                        ; -- End function
	.section	.AMDGPU.csdata,"",@progbits
; Kernel info:
; codeLenInByte = 0
; NumSgprs: 4
; NumVgprs: 0
; NumAgprs: 0
; TotalNumVgprs: 0
; ScratchSize: 0
; MemoryBound: 0
; FloatMode: 240
; IeeeMode: 1
; LDSByteSize: 0 bytes/workgroup (compile time only)
; SGPRBlocks: 0
; VGPRBlocks: 0
; NumSGPRsForWavesPerEU: 4
; NumVGPRsForWavesPerEU: 1
; AccumOffset: 4
; Occupancy: 8
; WaveLimiterHint : 0
; COMPUTE_PGM_RSRC2:SCRATCH_EN: 0
; COMPUTE_PGM_RSRC2:USER_SGPR: 6
; COMPUTE_PGM_RSRC2:TRAP_HANDLER: 0
; COMPUTE_PGM_RSRC2:TGID_X_EN: 1
; COMPUTE_PGM_RSRC2:TGID_Y_EN: 0
; COMPUTE_PGM_RSRC2:TGID_Z_EN: 0
; COMPUTE_PGM_RSRC2:TIDIG_COMP_CNT: 0
; COMPUTE_PGM_RSRC3_GFX90A:ACCUM_OFFSET: 0
; COMPUTE_PGM_RSRC3_GFX90A:TG_SPLIT: 0
	.section	.text._ZN7rocprim17ROCPRIM_400000_NS6detail17trampoline_kernelINS0_14default_configENS1_27scan_by_key_config_selectorIijEEZZNS1_16scan_by_key_implILNS1_25lookback_scan_determinismE0ELb0ES3_N6thrust23THRUST_200600_302600_NS6detail15normal_iteratorINS9_10device_ptrIiEEEENSB_INSC_IjEEEENSB_INSC_IfEEEEjNS9_4plusIvEENS9_8equal_toIvEEjEE10hipError_tPvRmT2_T3_T4_T5_mT6_T7_P12ihipStream_tbENKUlT_T0_E_clISt17integral_constantIbLb0EES13_EEDaSY_SZ_EUlSY_E_NS1_11comp_targetILNS1_3genE10ELNS1_11target_archE1200ELNS1_3gpuE4ELNS1_3repE0EEENS1_30default_config_static_selectorELNS0_4arch9wavefront6targetE1EEEvT1_,"axG",@progbits,_ZN7rocprim17ROCPRIM_400000_NS6detail17trampoline_kernelINS0_14default_configENS1_27scan_by_key_config_selectorIijEEZZNS1_16scan_by_key_implILNS1_25lookback_scan_determinismE0ELb0ES3_N6thrust23THRUST_200600_302600_NS6detail15normal_iteratorINS9_10device_ptrIiEEEENSB_INSC_IjEEEENSB_INSC_IfEEEEjNS9_4plusIvEENS9_8equal_toIvEEjEE10hipError_tPvRmT2_T3_T4_T5_mT6_T7_P12ihipStream_tbENKUlT_T0_E_clISt17integral_constantIbLb0EES13_EEDaSY_SZ_EUlSY_E_NS1_11comp_targetILNS1_3genE10ELNS1_11target_archE1200ELNS1_3gpuE4ELNS1_3repE0EEENS1_30default_config_static_selectorELNS0_4arch9wavefront6targetE1EEEvT1_,comdat
	.protected	_ZN7rocprim17ROCPRIM_400000_NS6detail17trampoline_kernelINS0_14default_configENS1_27scan_by_key_config_selectorIijEEZZNS1_16scan_by_key_implILNS1_25lookback_scan_determinismE0ELb0ES3_N6thrust23THRUST_200600_302600_NS6detail15normal_iteratorINS9_10device_ptrIiEEEENSB_INSC_IjEEEENSB_INSC_IfEEEEjNS9_4plusIvEENS9_8equal_toIvEEjEE10hipError_tPvRmT2_T3_T4_T5_mT6_T7_P12ihipStream_tbENKUlT_T0_E_clISt17integral_constantIbLb0EES13_EEDaSY_SZ_EUlSY_E_NS1_11comp_targetILNS1_3genE10ELNS1_11target_archE1200ELNS1_3gpuE4ELNS1_3repE0EEENS1_30default_config_static_selectorELNS0_4arch9wavefront6targetE1EEEvT1_ ; -- Begin function _ZN7rocprim17ROCPRIM_400000_NS6detail17trampoline_kernelINS0_14default_configENS1_27scan_by_key_config_selectorIijEEZZNS1_16scan_by_key_implILNS1_25lookback_scan_determinismE0ELb0ES3_N6thrust23THRUST_200600_302600_NS6detail15normal_iteratorINS9_10device_ptrIiEEEENSB_INSC_IjEEEENSB_INSC_IfEEEEjNS9_4plusIvEENS9_8equal_toIvEEjEE10hipError_tPvRmT2_T3_T4_T5_mT6_T7_P12ihipStream_tbENKUlT_T0_E_clISt17integral_constantIbLb0EES13_EEDaSY_SZ_EUlSY_E_NS1_11comp_targetILNS1_3genE10ELNS1_11target_archE1200ELNS1_3gpuE4ELNS1_3repE0EEENS1_30default_config_static_selectorELNS0_4arch9wavefront6targetE1EEEvT1_
	.globl	_ZN7rocprim17ROCPRIM_400000_NS6detail17trampoline_kernelINS0_14default_configENS1_27scan_by_key_config_selectorIijEEZZNS1_16scan_by_key_implILNS1_25lookback_scan_determinismE0ELb0ES3_N6thrust23THRUST_200600_302600_NS6detail15normal_iteratorINS9_10device_ptrIiEEEENSB_INSC_IjEEEENSB_INSC_IfEEEEjNS9_4plusIvEENS9_8equal_toIvEEjEE10hipError_tPvRmT2_T3_T4_T5_mT6_T7_P12ihipStream_tbENKUlT_T0_E_clISt17integral_constantIbLb0EES13_EEDaSY_SZ_EUlSY_E_NS1_11comp_targetILNS1_3genE10ELNS1_11target_archE1200ELNS1_3gpuE4ELNS1_3repE0EEENS1_30default_config_static_selectorELNS0_4arch9wavefront6targetE1EEEvT1_
	.p2align	8
	.type	_ZN7rocprim17ROCPRIM_400000_NS6detail17trampoline_kernelINS0_14default_configENS1_27scan_by_key_config_selectorIijEEZZNS1_16scan_by_key_implILNS1_25lookback_scan_determinismE0ELb0ES3_N6thrust23THRUST_200600_302600_NS6detail15normal_iteratorINS9_10device_ptrIiEEEENSB_INSC_IjEEEENSB_INSC_IfEEEEjNS9_4plusIvEENS9_8equal_toIvEEjEE10hipError_tPvRmT2_T3_T4_T5_mT6_T7_P12ihipStream_tbENKUlT_T0_E_clISt17integral_constantIbLb0EES13_EEDaSY_SZ_EUlSY_E_NS1_11comp_targetILNS1_3genE10ELNS1_11target_archE1200ELNS1_3gpuE4ELNS1_3repE0EEENS1_30default_config_static_selectorELNS0_4arch9wavefront6targetE1EEEvT1_,@function
_ZN7rocprim17ROCPRIM_400000_NS6detail17trampoline_kernelINS0_14default_configENS1_27scan_by_key_config_selectorIijEEZZNS1_16scan_by_key_implILNS1_25lookback_scan_determinismE0ELb0ES3_N6thrust23THRUST_200600_302600_NS6detail15normal_iteratorINS9_10device_ptrIiEEEENSB_INSC_IjEEEENSB_INSC_IfEEEEjNS9_4plusIvEENS9_8equal_toIvEEjEE10hipError_tPvRmT2_T3_T4_T5_mT6_T7_P12ihipStream_tbENKUlT_T0_E_clISt17integral_constantIbLb0EES13_EEDaSY_SZ_EUlSY_E_NS1_11comp_targetILNS1_3genE10ELNS1_11target_archE1200ELNS1_3gpuE4ELNS1_3repE0EEENS1_30default_config_static_selectorELNS0_4arch9wavefront6targetE1EEEvT1_: ; @_ZN7rocprim17ROCPRIM_400000_NS6detail17trampoline_kernelINS0_14default_configENS1_27scan_by_key_config_selectorIijEEZZNS1_16scan_by_key_implILNS1_25lookback_scan_determinismE0ELb0ES3_N6thrust23THRUST_200600_302600_NS6detail15normal_iteratorINS9_10device_ptrIiEEEENSB_INSC_IjEEEENSB_INSC_IfEEEEjNS9_4plusIvEENS9_8equal_toIvEEjEE10hipError_tPvRmT2_T3_T4_T5_mT6_T7_P12ihipStream_tbENKUlT_T0_E_clISt17integral_constantIbLb0EES13_EEDaSY_SZ_EUlSY_E_NS1_11comp_targetILNS1_3genE10ELNS1_11target_archE1200ELNS1_3gpuE4ELNS1_3repE0EEENS1_30default_config_static_selectorELNS0_4arch9wavefront6targetE1EEEvT1_
; %bb.0:
	.section	.rodata,"a",@progbits
	.p2align	6, 0x0
	.amdhsa_kernel _ZN7rocprim17ROCPRIM_400000_NS6detail17trampoline_kernelINS0_14default_configENS1_27scan_by_key_config_selectorIijEEZZNS1_16scan_by_key_implILNS1_25lookback_scan_determinismE0ELb0ES3_N6thrust23THRUST_200600_302600_NS6detail15normal_iteratorINS9_10device_ptrIiEEEENSB_INSC_IjEEEENSB_INSC_IfEEEEjNS9_4plusIvEENS9_8equal_toIvEEjEE10hipError_tPvRmT2_T3_T4_T5_mT6_T7_P12ihipStream_tbENKUlT_T0_E_clISt17integral_constantIbLb0EES13_EEDaSY_SZ_EUlSY_E_NS1_11comp_targetILNS1_3genE10ELNS1_11target_archE1200ELNS1_3gpuE4ELNS1_3repE0EEENS1_30default_config_static_selectorELNS0_4arch9wavefront6targetE1EEEvT1_
		.amdhsa_group_segment_fixed_size 0
		.amdhsa_private_segment_fixed_size 0
		.amdhsa_kernarg_size 112
		.amdhsa_user_sgpr_count 6
		.amdhsa_user_sgpr_private_segment_buffer 1
		.amdhsa_user_sgpr_dispatch_ptr 0
		.amdhsa_user_sgpr_queue_ptr 0
		.amdhsa_user_sgpr_kernarg_segment_ptr 1
		.amdhsa_user_sgpr_dispatch_id 0
		.amdhsa_user_sgpr_flat_scratch_init 0
		.amdhsa_user_sgpr_kernarg_preload_length 0
		.amdhsa_user_sgpr_kernarg_preload_offset 0
		.amdhsa_user_sgpr_private_segment_size 0
		.amdhsa_uses_dynamic_stack 0
		.amdhsa_system_sgpr_private_segment_wavefront_offset 0
		.amdhsa_system_sgpr_workgroup_id_x 1
		.amdhsa_system_sgpr_workgroup_id_y 0
		.amdhsa_system_sgpr_workgroup_id_z 0
		.amdhsa_system_sgpr_workgroup_info 0
		.amdhsa_system_vgpr_workitem_id 0
		.amdhsa_next_free_vgpr 1
		.amdhsa_next_free_sgpr 0
		.amdhsa_accum_offset 4
		.amdhsa_reserve_vcc 0
		.amdhsa_reserve_flat_scratch 0
		.amdhsa_float_round_mode_32 0
		.amdhsa_float_round_mode_16_64 0
		.amdhsa_float_denorm_mode_32 3
		.amdhsa_float_denorm_mode_16_64 3
		.amdhsa_dx10_clamp 1
		.amdhsa_ieee_mode 1
		.amdhsa_fp16_overflow 0
		.amdhsa_tg_split 0
		.amdhsa_exception_fp_ieee_invalid_op 0
		.amdhsa_exception_fp_denorm_src 0
		.amdhsa_exception_fp_ieee_div_zero 0
		.amdhsa_exception_fp_ieee_overflow 0
		.amdhsa_exception_fp_ieee_underflow 0
		.amdhsa_exception_fp_ieee_inexact 0
		.amdhsa_exception_int_div_zero 0
	.end_amdhsa_kernel
	.section	.text._ZN7rocprim17ROCPRIM_400000_NS6detail17trampoline_kernelINS0_14default_configENS1_27scan_by_key_config_selectorIijEEZZNS1_16scan_by_key_implILNS1_25lookback_scan_determinismE0ELb0ES3_N6thrust23THRUST_200600_302600_NS6detail15normal_iteratorINS9_10device_ptrIiEEEENSB_INSC_IjEEEENSB_INSC_IfEEEEjNS9_4plusIvEENS9_8equal_toIvEEjEE10hipError_tPvRmT2_T3_T4_T5_mT6_T7_P12ihipStream_tbENKUlT_T0_E_clISt17integral_constantIbLb0EES13_EEDaSY_SZ_EUlSY_E_NS1_11comp_targetILNS1_3genE10ELNS1_11target_archE1200ELNS1_3gpuE4ELNS1_3repE0EEENS1_30default_config_static_selectorELNS0_4arch9wavefront6targetE1EEEvT1_,"axG",@progbits,_ZN7rocprim17ROCPRIM_400000_NS6detail17trampoline_kernelINS0_14default_configENS1_27scan_by_key_config_selectorIijEEZZNS1_16scan_by_key_implILNS1_25lookback_scan_determinismE0ELb0ES3_N6thrust23THRUST_200600_302600_NS6detail15normal_iteratorINS9_10device_ptrIiEEEENSB_INSC_IjEEEENSB_INSC_IfEEEEjNS9_4plusIvEENS9_8equal_toIvEEjEE10hipError_tPvRmT2_T3_T4_T5_mT6_T7_P12ihipStream_tbENKUlT_T0_E_clISt17integral_constantIbLb0EES13_EEDaSY_SZ_EUlSY_E_NS1_11comp_targetILNS1_3genE10ELNS1_11target_archE1200ELNS1_3gpuE4ELNS1_3repE0EEENS1_30default_config_static_selectorELNS0_4arch9wavefront6targetE1EEEvT1_,comdat
.Lfunc_end1650:
	.size	_ZN7rocprim17ROCPRIM_400000_NS6detail17trampoline_kernelINS0_14default_configENS1_27scan_by_key_config_selectorIijEEZZNS1_16scan_by_key_implILNS1_25lookback_scan_determinismE0ELb0ES3_N6thrust23THRUST_200600_302600_NS6detail15normal_iteratorINS9_10device_ptrIiEEEENSB_INSC_IjEEEENSB_INSC_IfEEEEjNS9_4plusIvEENS9_8equal_toIvEEjEE10hipError_tPvRmT2_T3_T4_T5_mT6_T7_P12ihipStream_tbENKUlT_T0_E_clISt17integral_constantIbLb0EES13_EEDaSY_SZ_EUlSY_E_NS1_11comp_targetILNS1_3genE10ELNS1_11target_archE1200ELNS1_3gpuE4ELNS1_3repE0EEENS1_30default_config_static_selectorELNS0_4arch9wavefront6targetE1EEEvT1_, .Lfunc_end1650-_ZN7rocprim17ROCPRIM_400000_NS6detail17trampoline_kernelINS0_14default_configENS1_27scan_by_key_config_selectorIijEEZZNS1_16scan_by_key_implILNS1_25lookback_scan_determinismE0ELb0ES3_N6thrust23THRUST_200600_302600_NS6detail15normal_iteratorINS9_10device_ptrIiEEEENSB_INSC_IjEEEENSB_INSC_IfEEEEjNS9_4plusIvEENS9_8equal_toIvEEjEE10hipError_tPvRmT2_T3_T4_T5_mT6_T7_P12ihipStream_tbENKUlT_T0_E_clISt17integral_constantIbLb0EES13_EEDaSY_SZ_EUlSY_E_NS1_11comp_targetILNS1_3genE10ELNS1_11target_archE1200ELNS1_3gpuE4ELNS1_3repE0EEENS1_30default_config_static_selectorELNS0_4arch9wavefront6targetE1EEEvT1_
                                        ; -- End function
	.section	.AMDGPU.csdata,"",@progbits
; Kernel info:
; codeLenInByte = 0
; NumSgprs: 4
; NumVgprs: 0
; NumAgprs: 0
; TotalNumVgprs: 0
; ScratchSize: 0
; MemoryBound: 0
; FloatMode: 240
; IeeeMode: 1
; LDSByteSize: 0 bytes/workgroup (compile time only)
; SGPRBlocks: 0
; VGPRBlocks: 0
; NumSGPRsForWavesPerEU: 4
; NumVGPRsForWavesPerEU: 1
; AccumOffset: 4
; Occupancy: 8
; WaveLimiterHint : 0
; COMPUTE_PGM_RSRC2:SCRATCH_EN: 0
; COMPUTE_PGM_RSRC2:USER_SGPR: 6
; COMPUTE_PGM_RSRC2:TRAP_HANDLER: 0
; COMPUTE_PGM_RSRC2:TGID_X_EN: 1
; COMPUTE_PGM_RSRC2:TGID_Y_EN: 0
; COMPUTE_PGM_RSRC2:TGID_Z_EN: 0
; COMPUTE_PGM_RSRC2:TIDIG_COMP_CNT: 0
; COMPUTE_PGM_RSRC3_GFX90A:ACCUM_OFFSET: 0
; COMPUTE_PGM_RSRC3_GFX90A:TG_SPLIT: 0
	.section	.text._ZN7rocprim17ROCPRIM_400000_NS6detail17trampoline_kernelINS0_14default_configENS1_27scan_by_key_config_selectorIijEEZZNS1_16scan_by_key_implILNS1_25lookback_scan_determinismE0ELb0ES3_N6thrust23THRUST_200600_302600_NS6detail15normal_iteratorINS9_10device_ptrIiEEEENSB_INSC_IjEEEENSB_INSC_IfEEEEjNS9_4plusIvEENS9_8equal_toIvEEjEE10hipError_tPvRmT2_T3_T4_T5_mT6_T7_P12ihipStream_tbENKUlT_T0_E_clISt17integral_constantIbLb0EES13_EEDaSY_SZ_EUlSY_E_NS1_11comp_targetILNS1_3genE9ELNS1_11target_archE1100ELNS1_3gpuE3ELNS1_3repE0EEENS1_30default_config_static_selectorELNS0_4arch9wavefront6targetE1EEEvT1_,"axG",@progbits,_ZN7rocprim17ROCPRIM_400000_NS6detail17trampoline_kernelINS0_14default_configENS1_27scan_by_key_config_selectorIijEEZZNS1_16scan_by_key_implILNS1_25lookback_scan_determinismE0ELb0ES3_N6thrust23THRUST_200600_302600_NS6detail15normal_iteratorINS9_10device_ptrIiEEEENSB_INSC_IjEEEENSB_INSC_IfEEEEjNS9_4plusIvEENS9_8equal_toIvEEjEE10hipError_tPvRmT2_T3_T4_T5_mT6_T7_P12ihipStream_tbENKUlT_T0_E_clISt17integral_constantIbLb0EES13_EEDaSY_SZ_EUlSY_E_NS1_11comp_targetILNS1_3genE9ELNS1_11target_archE1100ELNS1_3gpuE3ELNS1_3repE0EEENS1_30default_config_static_selectorELNS0_4arch9wavefront6targetE1EEEvT1_,comdat
	.protected	_ZN7rocprim17ROCPRIM_400000_NS6detail17trampoline_kernelINS0_14default_configENS1_27scan_by_key_config_selectorIijEEZZNS1_16scan_by_key_implILNS1_25lookback_scan_determinismE0ELb0ES3_N6thrust23THRUST_200600_302600_NS6detail15normal_iteratorINS9_10device_ptrIiEEEENSB_INSC_IjEEEENSB_INSC_IfEEEEjNS9_4plusIvEENS9_8equal_toIvEEjEE10hipError_tPvRmT2_T3_T4_T5_mT6_T7_P12ihipStream_tbENKUlT_T0_E_clISt17integral_constantIbLb0EES13_EEDaSY_SZ_EUlSY_E_NS1_11comp_targetILNS1_3genE9ELNS1_11target_archE1100ELNS1_3gpuE3ELNS1_3repE0EEENS1_30default_config_static_selectorELNS0_4arch9wavefront6targetE1EEEvT1_ ; -- Begin function _ZN7rocprim17ROCPRIM_400000_NS6detail17trampoline_kernelINS0_14default_configENS1_27scan_by_key_config_selectorIijEEZZNS1_16scan_by_key_implILNS1_25lookback_scan_determinismE0ELb0ES3_N6thrust23THRUST_200600_302600_NS6detail15normal_iteratorINS9_10device_ptrIiEEEENSB_INSC_IjEEEENSB_INSC_IfEEEEjNS9_4plusIvEENS9_8equal_toIvEEjEE10hipError_tPvRmT2_T3_T4_T5_mT6_T7_P12ihipStream_tbENKUlT_T0_E_clISt17integral_constantIbLb0EES13_EEDaSY_SZ_EUlSY_E_NS1_11comp_targetILNS1_3genE9ELNS1_11target_archE1100ELNS1_3gpuE3ELNS1_3repE0EEENS1_30default_config_static_selectorELNS0_4arch9wavefront6targetE1EEEvT1_
	.globl	_ZN7rocprim17ROCPRIM_400000_NS6detail17trampoline_kernelINS0_14default_configENS1_27scan_by_key_config_selectorIijEEZZNS1_16scan_by_key_implILNS1_25lookback_scan_determinismE0ELb0ES3_N6thrust23THRUST_200600_302600_NS6detail15normal_iteratorINS9_10device_ptrIiEEEENSB_INSC_IjEEEENSB_INSC_IfEEEEjNS9_4plusIvEENS9_8equal_toIvEEjEE10hipError_tPvRmT2_T3_T4_T5_mT6_T7_P12ihipStream_tbENKUlT_T0_E_clISt17integral_constantIbLb0EES13_EEDaSY_SZ_EUlSY_E_NS1_11comp_targetILNS1_3genE9ELNS1_11target_archE1100ELNS1_3gpuE3ELNS1_3repE0EEENS1_30default_config_static_selectorELNS0_4arch9wavefront6targetE1EEEvT1_
	.p2align	8
	.type	_ZN7rocprim17ROCPRIM_400000_NS6detail17trampoline_kernelINS0_14default_configENS1_27scan_by_key_config_selectorIijEEZZNS1_16scan_by_key_implILNS1_25lookback_scan_determinismE0ELb0ES3_N6thrust23THRUST_200600_302600_NS6detail15normal_iteratorINS9_10device_ptrIiEEEENSB_INSC_IjEEEENSB_INSC_IfEEEEjNS9_4plusIvEENS9_8equal_toIvEEjEE10hipError_tPvRmT2_T3_T4_T5_mT6_T7_P12ihipStream_tbENKUlT_T0_E_clISt17integral_constantIbLb0EES13_EEDaSY_SZ_EUlSY_E_NS1_11comp_targetILNS1_3genE9ELNS1_11target_archE1100ELNS1_3gpuE3ELNS1_3repE0EEENS1_30default_config_static_selectorELNS0_4arch9wavefront6targetE1EEEvT1_,@function
_ZN7rocprim17ROCPRIM_400000_NS6detail17trampoline_kernelINS0_14default_configENS1_27scan_by_key_config_selectorIijEEZZNS1_16scan_by_key_implILNS1_25lookback_scan_determinismE0ELb0ES3_N6thrust23THRUST_200600_302600_NS6detail15normal_iteratorINS9_10device_ptrIiEEEENSB_INSC_IjEEEENSB_INSC_IfEEEEjNS9_4plusIvEENS9_8equal_toIvEEjEE10hipError_tPvRmT2_T3_T4_T5_mT6_T7_P12ihipStream_tbENKUlT_T0_E_clISt17integral_constantIbLb0EES13_EEDaSY_SZ_EUlSY_E_NS1_11comp_targetILNS1_3genE9ELNS1_11target_archE1100ELNS1_3gpuE3ELNS1_3repE0EEENS1_30default_config_static_selectorELNS0_4arch9wavefront6targetE1EEEvT1_: ; @_ZN7rocprim17ROCPRIM_400000_NS6detail17trampoline_kernelINS0_14default_configENS1_27scan_by_key_config_selectorIijEEZZNS1_16scan_by_key_implILNS1_25lookback_scan_determinismE0ELb0ES3_N6thrust23THRUST_200600_302600_NS6detail15normal_iteratorINS9_10device_ptrIiEEEENSB_INSC_IjEEEENSB_INSC_IfEEEEjNS9_4plusIvEENS9_8equal_toIvEEjEE10hipError_tPvRmT2_T3_T4_T5_mT6_T7_P12ihipStream_tbENKUlT_T0_E_clISt17integral_constantIbLb0EES13_EEDaSY_SZ_EUlSY_E_NS1_11comp_targetILNS1_3genE9ELNS1_11target_archE1100ELNS1_3gpuE3ELNS1_3repE0EEENS1_30default_config_static_selectorELNS0_4arch9wavefront6targetE1EEEvT1_
; %bb.0:
	.section	.rodata,"a",@progbits
	.p2align	6, 0x0
	.amdhsa_kernel _ZN7rocprim17ROCPRIM_400000_NS6detail17trampoline_kernelINS0_14default_configENS1_27scan_by_key_config_selectorIijEEZZNS1_16scan_by_key_implILNS1_25lookback_scan_determinismE0ELb0ES3_N6thrust23THRUST_200600_302600_NS6detail15normal_iteratorINS9_10device_ptrIiEEEENSB_INSC_IjEEEENSB_INSC_IfEEEEjNS9_4plusIvEENS9_8equal_toIvEEjEE10hipError_tPvRmT2_T3_T4_T5_mT6_T7_P12ihipStream_tbENKUlT_T0_E_clISt17integral_constantIbLb0EES13_EEDaSY_SZ_EUlSY_E_NS1_11comp_targetILNS1_3genE9ELNS1_11target_archE1100ELNS1_3gpuE3ELNS1_3repE0EEENS1_30default_config_static_selectorELNS0_4arch9wavefront6targetE1EEEvT1_
		.amdhsa_group_segment_fixed_size 0
		.amdhsa_private_segment_fixed_size 0
		.amdhsa_kernarg_size 112
		.amdhsa_user_sgpr_count 6
		.amdhsa_user_sgpr_private_segment_buffer 1
		.amdhsa_user_sgpr_dispatch_ptr 0
		.amdhsa_user_sgpr_queue_ptr 0
		.amdhsa_user_sgpr_kernarg_segment_ptr 1
		.amdhsa_user_sgpr_dispatch_id 0
		.amdhsa_user_sgpr_flat_scratch_init 0
		.amdhsa_user_sgpr_kernarg_preload_length 0
		.amdhsa_user_sgpr_kernarg_preload_offset 0
		.amdhsa_user_sgpr_private_segment_size 0
		.amdhsa_uses_dynamic_stack 0
		.amdhsa_system_sgpr_private_segment_wavefront_offset 0
		.amdhsa_system_sgpr_workgroup_id_x 1
		.amdhsa_system_sgpr_workgroup_id_y 0
		.amdhsa_system_sgpr_workgroup_id_z 0
		.amdhsa_system_sgpr_workgroup_info 0
		.amdhsa_system_vgpr_workitem_id 0
		.amdhsa_next_free_vgpr 1
		.amdhsa_next_free_sgpr 0
		.amdhsa_accum_offset 4
		.amdhsa_reserve_vcc 0
		.amdhsa_reserve_flat_scratch 0
		.amdhsa_float_round_mode_32 0
		.amdhsa_float_round_mode_16_64 0
		.amdhsa_float_denorm_mode_32 3
		.amdhsa_float_denorm_mode_16_64 3
		.amdhsa_dx10_clamp 1
		.amdhsa_ieee_mode 1
		.amdhsa_fp16_overflow 0
		.amdhsa_tg_split 0
		.amdhsa_exception_fp_ieee_invalid_op 0
		.amdhsa_exception_fp_denorm_src 0
		.amdhsa_exception_fp_ieee_div_zero 0
		.amdhsa_exception_fp_ieee_overflow 0
		.amdhsa_exception_fp_ieee_underflow 0
		.amdhsa_exception_fp_ieee_inexact 0
		.amdhsa_exception_int_div_zero 0
	.end_amdhsa_kernel
	.section	.text._ZN7rocprim17ROCPRIM_400000_NS6detail17trampoline_kernelINS0_14default_configENS1_27scan_by_key_config_selectorIijEEZZNS1_16scan_by_key_implILNS1_25lookback_scan_determinismE0ELb0ES3_N6thrust23THRUST_200600_302600_NS6detail15normal_iteratorINS9_10device_ptrIiEEEENSB_INSC_IjEEEENSB_INSC_IfEEEEjNS9_4plusIvEENS9_8equal_toIvEEjEE10hipError_tPvRmT2_T3_T4_T5_mT6_T7_P12ihipStream_tbENKUlT_T0_E_clISt17integral_constantIbLb0EES13_EEDaSY_SZ_EUlSY_E_NS1_11comp_targetILNS1_3genE9ELNS1_11target_archE1100ELNS1_3gpuE3ELNS1_3repE0EEENS1_30default_config_static_selectorELNS0_4arch9wavefront6targetE1EEEvT1_,"axG",@progbits,_ZN7rocprim17ROCPRIM_400000_NS6detail17trampoline_kernelINS0_14default_configENS1_27scan_by_key_config_selectorIijEEZZNS1_16scan_by_key_implILNS1_25lookback_scan_determinismE0ELb0ES3_N6thrust23THRUST_200600_302600_NS6detail15normal_iteratorINS9_10device_ptrIiEEEENSB_INSC_IjEEEENSB_INSC_IfEEEEjNS9_4plusIvEENS9_8equal_toIvEEjEE10hipError_tPvRmT2_T3_T4_T5_mT6_T7_P12ihipStream_tbENKUlT_T0_E_clISt17integral_constantIbLb0EES13_EEDaSY_SZ_EUlSY_E_NS1_11comp_targetILNS1_3genE9ELNS1_11target_archE1100ELNS1_3gpuE3ELNS1_3repE0EEENS1_30default_config_static_selectorELNS0_4arch9wavefront6targetE1EEEvT1_,comdat
.Lfunc_end1651:
	.size	_ZN7rocprim17ROCPRIM_400000_NS6detail17trampoline_kernelINS0_14default_configENS1_27scan_by_key_config_selectorIijEEZZNS1_16scan_by_key_implILNS1_25lookback_scan_determinismE0ELb0ES3_N6thrust23THRUST_200600_302600_NS6detail15normal_iteratorINS9_10device_ptrIiEEEENSB_INSC_IjEEEENSB_INSC_IfEEEEjNS9_4plusIvEENS9_8equal_toIvEEjEE10hipError_tPvRmT2_T3_T4_T5_mT6_T7_P12ihipStream_tbENKUlT_T0_E_clISt17integral_constantIbLb0EES13_EEDaSY_SZ_EUlSY_E_NS1_11comp_targetILNS1_3genE9ELNS1_11target_archE1100ELNS1_3gpuE3ELNS1_3repE0EEENS1_30default_config_static_selectorELNS0_4arch9wavefront6targetE1EEEvT1_, .Lfunc_end1651-_ZN7rocprim17ROCPRIM_400000_NS6detail17trampoline_kernelINS0_14default_configENS1_27scan_by_key_config_selectorIijEEZZNS1_16scan_by_key_implILNS1_25lookback_scan_determinismE0ELb0ES3_N6thrust23THRUST_200600_302600_NS6detail15normal_iteratorINS9_10device_ptrIiEEEENSB_INSC_IjEEEENSB_INSC_IfEEEEjNS9_4plusIvEENS9_8equal_toIvEEjEE10hipError_tPvRmT2_T3_T4_T5_mT6_T7_P12ihipStream_tbENKUlT_T0_E_clISt17integral_constantIbLb0EES13_EEDaSY_SZ_EUlSY_E_NS1_11comp_targetILNS1_3genE9ELNS1_11target_archE1100ELNS1_3gpuE3ELNS1_3repE0EEENS1_30default_config_static_selectorELNS0_4arch9wavefront6targetE1EEEvT1_
                                        ; -- End function
	.section	.AMDGPU.csdata,"",@progbits
; Kernel info:
; codeLenInByte = 0
; NumSgprs: 4
; NumVgprs: 0
; NumAgprs: 0
; TotalNumVgprs: 0
; ScratchSize: 0
; MemoryBound: 0
; FloatMode: 240
; IeeeMode: 1
; LDSByteSize: 0 bytes/workgroup (compile time only)
; SGPRBlocks: 0
; VGPRBlocks: 0
; NumSGPRsForWavesPerEU: 4
; NumVGPRsForWavesPerEU: 1
; AccumOffset: 4
; Occupancy: 8
; WaveLimiterHint : 0
; COMPUTE_PGM_RSRC2:SCRATCH_EN: 0
; COMPUTE_PGM_RSRC2:USER_SGPR: 6
; COMPUTE_PGM_RSRC2:TRAP_HANDLER: 0
; COMPUTE_PGM_RSRC2:TGID_X_EN: 1
; COMPUTE_PGM_RSRC2:TGID_Y_EN: 0
; COMPUTE_PGM_RSRC2:TGID_Z_EN: 0
; COMPUTE_PGM_RSRC2:TIDIG_COMP_CNT: 0
; COMPUTE_PGM_RSRC3_GFX90A:ACCUM_OFFSET: 0
; COMPUTE_PGM_RSRC3_GFX90A:TG_SPLIT: 0
	.section	.text._ZN7rocprim17ROCPRIM_400000_NS6detail17trampoline_kernelINS0_14default_configENS1_27scan_by_key_config_selectorIijEEZZNS1_16scan_by_key_implILNS1_25lookback_scan_determinismE0ELb0ES3_N6thrust23THRUST_200600_302600_NS6detail15normal_iteratorINS9_10device_ptrIiEEEENSB_INSC_IjEEEENSB_INSC_IfEEEEjNS9_4plusIvEENS9_8equal_toIvEEjEE10hipError_tPvRmT2_T3_T4_T5_mT6_T7_P12ihipStream_tbENKUlT_T0_E_clISt17integral_constantIbLb0EES13_EEDaSY_SZ_EUlSY_E_NS1_11comp_targetILNS1_3genE8ELNS1_11target_archE1030ELNS1_3gpuE2ELNS1_3repE0EEENS1_30default_config_static_selectorELNS0_4arch9wavefront6targetE1EEEvT1_,"axG",@progbits,_ZN7rocprim17ROCPRIM_400000_NS6detail17trampoline_kernelINS0_14default_configENS1_27scan_by_key_config_selectorIijEEZZNS1_16scan_by_key_implILNS1_25lookback_scan_determinismE0ELb0ES3_N6thrust23THRUST_200600_302600_NS6detail15normal_iteratorINS9_10device_ptrIiEEEENSB_INSC_IjEEEENSB_INSC_IfEEEEjNS9_4plusIvEENS9_8equal_toIvEEjEE10hipError_tPvRmT2_T3_T4_T5_mT6_T7_P12ihipStream_tbENKUlT_T0_E_clISt17integral_constantIbLb0EES13_EEDaSY_SZ_EUlSY_E_NS1_11comp_targetILNS1_3genE8ELNS1_11target_archE1030ELNS1_3gpuE2ELNS1_3repE0EEENS1_30default_config_static_selectorELNS0_4arch9wavefront6targetE1EEEvT1_,comdat
	.protected	_ZN7rocprim17ROCPRIM_400000_NS6detail17trampoline_kernelINS0_14default_configENS1_27scan_by_key_config_selectorIijEEZZNS1_16scan_by_key_implILNS1_25lookback_scan_determinismE0ELb0ES3_N6thrust23THRUST_200600_302600_NS6detail15normal_iteratorINS9_10device_ptrIiEEEENSB_INSC_IjEEEENSB_INSC_IfEEEEjNS9_4plusIvEENS9_8equal_toIvEEjEE10hipError_tPvRmT2_T3_T4_T5_mT6_T7_P12ihipStream_tbENKUlT_T0_E_clISt17integral_constantIbLb0EES13_EEDaSY_SZ_EUlSY_E_NS1_11comp_targetILNS1_3genE8ELNS1_11target_archE1030ELNS1_3gpuE2ELNS1_3repE0EEENS1_30default_config_static_selectorELNS0_4arch9wavefront6targetE1EEEvT1_ ; -- Begin function _ZN7rocprim17ROCPRIM_400000_NS6detail17trampoline_kernelINS0_14default_configENS1_27scan_by_key_config_selectorIijEEZZNS1_16scan_by_key_implILNS1_25lookback_scan_determinismE0ELb0ES3_N6thrust23THRUST_200600_302600_NS6detail15normal_iteratorINS9_10device_ptrIiEEEENSB_INSC_IjEEEENSB_INSC_IfEEEEjNS9_4plusIvEENS9_8equal_toIvEEjEE10hipError_tPvRmT2_T3_T4_T5_mT6_T7_P12ihipStream_tbENKUlT_T0_E_clISt17integral_constantIbLb0EES13_EEDaSY_SZ_EUlSY_E_NS1_11comp_targetILNS1_3genE8ELNS1_11target_archE1030ELNS1_3gpuE2ELNS1_3repE0EEENS1_30default_config_static_selectorELNS0_4arch9wavefront6targetE1EEEvT1_
	.globl	_ZN7rocprim17ROCPRIM_400000_NS6detail17trampoline_kernelINS0_14default_configENS1_27scan_by_key_config_selectorIijEEZZNS1_16scan_by_key_implILNS1_25lookback_scan_determinismE0ELb0ES3_N6thrust23THRUST_200600_302600_NS6detail15normal_iteratorINS9_10device_ptrIiEEEENSB_INSC_IjEEEENSB_INSC_IfEEEEjNS9_4plusIvEENS9_8equal_toIvEEjEE10hipError_tPvRmT2_T3_T4_T5_mT6_T7_P12ihipStream_tbENKUlT_T0_E_clISt17integral_constantIbLb0EES13_EEDaSY_SZ_EUlSY_E_NS1_11comp_targetILNS1_3genE8ELNS1_11target_archE1030ELNS1_3gpuE2ELNS1_3repE0EEENS1_30default_config_static_selectorELNS0_4arch9wavefront6targetE1EEEvT1_
	.p2align	8
	.type	_ZN7rocprim17ROCPRIM_400000_NS6detail17trampoline_kernelINS0_14default_configENS1_27scan_by_key_config_selectorIijEEZZNS1_16scan_by_key_implILNS1_25lookback_scan_determinismE0ELb0ES3_N6thrust23THRUST_200600_302600_NS6detail15normal_iteratorINS9_10device_ptrIiEEEENSB_INSC_IjEEEENSB_INSC_IfEEEEjNS9_4plusIvEENS9_8equal_toIvEEjEE10hipError_tPvRmT2_T3_T4_T5_mT6_T7_P12ihipStream_tbENKUlT_T0_E_clISt17integral_constantIbLb0EES13_EEDaSY_SZ_EUlSY_E_NS1_11comp_targetILNS1_3genE8ELNS1_11target_archE1030ELNS1_3gpuE2ELNS1_3repE0EEENS1_30default_config_static_selectorELNS0_4arch9wavefront6targetE1EEEvT1_,@function
_ZN7rocprim17ROCPRIM_400000_NS6detail17trampoline_kernelINS0_14default_configENS1_27scan_by_key_config_selectorIijEEZZNS1_16scan_by_key_implILNS1_25lookback_scan_determinismE0ELb0ES3_N6thrust23THRUST_200600_302600_NS6detail15normal_iteratorINS9_10device_ptrIiEEEENSB_INSC_IjEEEENSB_INSC_IfEEEEjNS9_4plusIvEENS9_8equal_toIvEEjEE10hipError_tPvRmT2_T3_T4_T5_mT6_T7_P12ihipStream_tbENKUlT_T0_E_clISt17integral_constantIbLb0EES13_EEDaSY_SZ_EUlSY_E_NS1_11comp_targetILNS1_3genE8ELNS1_11target_archE1030ELNS1_3gpuE2ELNS1_3repE0EEENS1_30default_config_static_selectorELNS0_4arch9wavefront6targetE1EEEvT1_: ; @_ZN7rocprim17ROCPRIM_400000_NS6detail17trampoline_kernelINS0_14default_configENS1_27scan_by_key_config_selectorIijEEZZNS1_16scan_by_key_implILNS1_25lookback_scan_determinismE0ELb0ES3_N6thrust23THRUST_200600_302600_NS6detail15normal_iteratorINS9_10device_ptrIiEEEENSB_INSC_IjEEEENSB_INSC_IfEEEEjNS9_4plusIvEENS9_8equal_toIvEEjEE10hipError_tPvRmT2_T3_T4_T5_mT6_T7_P12ihipStream_tbENKUlT_T0_E_clISt17integral_constantIbLb0EES13_EEDaSY_SZ_EUlSY_E_NS1_11comp_targetILNS1_3genE8ELNS1_11target_archE1030ELNS1_3gpuE2ELNS1_3repE0EEENS1_30default_config_static_selectorELNS0_4arch9wavefront6targetE1EEEvT1_
; %bb.0:
	.section	.rodata,"a",@progbits
	.p2align	6, 0x0
	.amdhsa_kernel _ZN7rocprim17ROCPRIM_400000_NS6detail17trampoline_kernelINS0_14default_configENS1_27scan_by_key_config_selectorIijEEZZNS1_16scan_by_key_implILNS1_25lookback_scan_determinismE0ELb0ES3_N6thrust23THRUST_200600_302600_NS6detail15normal_iteratorINS9_10device_ptrIiEEEENSB_INSC_IjEEEENSB_INSC_IfEEEEjNS9_4plusIvEENS9_8equal_toIvEEjEE10hipError_tPvRmT2_T3_T4_T5_mT6_T7_P12ihipStream_tbENKUlT_T0_E_clISt17integral_constantIbLb0EES13_EEDaSY_SZ_EUlSY_E_NS1_11comp_targetILNS1_3genE8ELNS1_11target_archE1030ELNS1_3gpuE2ELNS1_3repE0EEENS1_30default_config_static_selectorELNS0_4arch9wavefront6targetE1EEEvT1_
		.amdhsa_group_segment_fixed_size 0
		.amdhsa_private_segment_fixed_size 0
		.amdhsa_kernarg_size 112
		.amdhsa_user_sgpr_count 6
		.amdhsa_user_sgpr_private_segment_buffer 1
		.amdhsa_user_sgpr_dispatch_ptr 0
		.amdhsa_user_sgpr_queue_ptr 0
		.amdhsa_user_sgpr_kernarg_segment_ptr 1
		.amdhsa_user_sgpr_dispatch_id 0
		.amdhsa_user_sgpr_flat_scratch_init 0
		.amdhsa_user_sgpr_kernarg_preload_length 0
		.amdhsa_user_sgpr_kernarg_preload_offset 0
		.amdhsa_user_sgpr_private_segment_size 0
		.amdhsa_uses_dynamic_stack 0
		.amdhsa_system_sgpr_private_segment_wavefront_offset 0
		.amdhsa_system_sgpr_workgroup_id_x 1
		.amdhsa_system_sgpr_workgroup_id_y 0
		.amdhsa_system_sgpr_workgroup_id_z 0
		.amdhsa_system_sgpr_workgroup_info 0
		.amdhsa_system_vgpr_workitem_id 0
		.amdhsa_next_free_vgpr 1
		.amdhsa_next_free_sgpr 0
		.amdhsa_accum_offset 4
		.amdhsa_reserve_vcc 0
		.amdhsa_reserve_flat_scratch 0
		.amdhsa_float_round_mode_32 0
		.amdhsa_float_round_mode_16_64 0
		.amdhsa_float_denorm_mode_32 3
		.amdhsa_float_denorm_mode_16_64 3
		.amdhsa_dx10_clamp 1
		.amdhsa_ieee_mode 1
		.amdhsa_fp16_overflow 0
		.amdhsa_tg_split 0
		.amdhsa_exception_fp_ieee_invalid_op 0
		.amdhsa_exception_fp_denorm_src 0
		.amdhsa_exception_fp_ieee_div_zero 0
		.amdhsa_exception_fp_ieee_overflow 0
		.amdhsa_exception_fp_ieee_underflow 0
		.amdhsa_exception_fp_ieee_inexact 0
		.amdhsa_exception_int_div_zero 0
	.end_amdhsa_kernel
	.section	.text._ZN7rocprim17ROCPRIM_400000_NS6detail17trampoline_kernelINS0_14default_configENS1_27scan_by_key_config_selectorIijEEZZNS1_16scan_by_key_implILNS1_25lookback_scan_determinismE0ELb0ES3_N6thrust23THRUST_200600_302600_NS6detail15normal_iteratorINS9_10device_ptrIiEEEENSB_INSC_IjEEEENSB_INSC_IfEEEEjNS9_4plusIvEENS9_8equal_toIvEEjEE10hipError_tPvRmT2_T3_T4_T5_mT6_T7_P12ihipStream_tbENKUlT_T0_E_clISt17integral_constantIbLb0EES13_EEDaSY_SZ_EUlSY_E_NS1_11comp_targetILNS1_3genE8ELNS1_11target_archE1030ELNS1_3gpuE2ELNS1_3repE0EEENS1_30default_config_static_selectorELNS0_4arch9wavefront6targetE1EEEvT1_,"axG",@progbits,_ZN7rocprim17ROCPRIM_400000_NS6detail17trampoline_kernelINS0_14default_configENS1_27scan_by_key_config_selectorIijEEZZNS1_16scan_by_key_implILNS1_25lookback_scan_determinismE0ELb0ES3_N6thrust23THRUST_200600_302600_NS6detail15normal_iteratorINS9_10device_ptrIiEEEENSB_INSC_IjEEEENSB_INSC_IfEEEEjNS9_4plusIvEENS9_8equal_toIvEEjEE10hipError_tPvRmT2_T3_T4_T5_mT6_T7_P12ihipStream_tbENKUlT_T0_E_clISt17integral_constantIbLb0EES13_EEDaSY_SZ_EUlSY_E_NS1_11comp_targetILNS1_3genE8ELNS1_11target_archE1030ELNS1_3gpuE2ELNS1_3repE0EEENS1_30default_config_static_selectorELNS0_4arch9wavefront6targetE1EEEvT1_,comdat
.Lfunc_end1652:
	.size	_ZN7rocprim17ROCPRIM_400000_NS6detail17trampoline_kernelINS0_14default_configENS1_27scan_by_key_config_selectorIijEEZZNS1_16scan_by_key_implILNS1_25lookback_scan_determinismE0ELb0ES3_N6thrust23THRUST_200600_302600_NS6detail15normal_iteratorINS9_10device_ptrIiEEEENSB_INSC_IjEEEENSB_INSC_IfEEEEjNS9_4plusIvEENS9_8equal_toIvEEjEE10hipError_tPvRmT2_T3_T4_T5_mT6_T7_P12ihipStream_tbENKUlT_T0_E_clISt17integral_constantIbLb0EES13_EEDaSY_SZ_EUlSY_E_NS1_11comp_targetILNS1_3genE8ELNS1_11target_archE1030ELNS1_3gpuE2ELNS1_3repE0EEENS1_30default_config_static_selectorELNS0_4arch9wavefront6targetE1EEEvT1_, .Lfunc_end1652-_ZN7rocprim17ROCPRIM_400000_NS6detail17trampoline_kernelINS0_14default_configENS1_27scan_by_key_config_selectorIijEEZZNS1_16scan_by_key_implILNS1_25lookback_scan_determinismE0ELb0ES3_N6thrust23THRUST_200600_302600_NS6detail15normal_iteratorINS9_10device_ptrIiEEEENSB_INSC_IjEEEENSB_INSC_IfEEEEjNS9_4plusIvEENS9_8equal_toIvEEjEE10hipError_tPvRmT2_T3_T4_T5_mT6_T7_P12ihipStream_tbENKUlT_T0_E_clISt17integral_constantIbLb0EES13_EEDaSY_SZ_EUlSY_E_NS1_11comp_targetILNS1_3genE8ELNS1_11target_archE1030ELNS1_3gpuE2ELNS1_3repE0EEENS1_30default_config_static_selectorELNS0_4arch9wavefront6targetE1EEEvT1_
                                        ; -- End function
	.section	.AMDGPU.csdata,"",@progbits
; Kernel info:
; codeLenInByte = 0
; NumSgprs: 4
; NumVgprs: 0
; NumAgprs: 0
; TotalNumVgprs: 0
; ScratchSize: 0
; MemoryBound: 0
; FloatMode: 240
; IeeeMode: 1
; LDSByteSize: 0 bytes/workgroup (compile time only)
; SGPRBlocks: 0
; VGPRBlocks: 0
; NumSGPRsForWavesPerEU: 4
; NumVGPRsForWavesPerEU: 1
; AccumOffset: 4
; Occupancy: 8
; WaveLimiterHint : 0
; COMPUTE_PGM_RSRC2:SCRATCH_EN: 0
; COMPUTE_PGM_RSRC2:USER_SGPR: 6
; COMPUTE_PGM_RSRC2:TRAP_HANDLER: 0
; COMPUTE_PGM_RSRC2:TGID_X_EN: 1
; COMPUTE_PGM_RSRC2:TGID_Y_EN: 0
; COMPUTE_PGM_RSRC2:TGID_Z_EN: 0
; COMPUTE_PGM_RSRC2:TIDIG_COMP_CNT: 0
; COMPUTE_PGM_RSRC3_GFX90A:ACCUM_OFFSET: 0
; COMPUTE_PGM_RSRC3_GFX90A:TG_SPLIT: 0
	.section	.text._ZN7rocprim17ROCPRIM_400000_NS6detail17trampoline_kernelINS0_14default_configENS1_27scan_by_key_config_selectorIijEEZZNS1_16scan_by_key_implILNS1_25lookback_scan_determinismE0ELb0ES3_N6thrust23THRUST_200600_302600_NS6detail15normal_iteratorINS9_10device_ptrIiEEEENSB_INSC_IjEEEENSB_INSC_IfEEEEjNS9_4plusIvEENS9_8equal_toIvEEjEE10hipError_tPvRmT2_T3_T4_T5_mT6_T7_P12ihipStream_tbENKUlT_T0_E_clISt17integral_constantIbLb1EES13_EEDaSY_SZ_EUlSY_E_NS1_11comp_targetILNS1_3genE0ELNS1_11target_archE4294967295ELNS1_3gpuE0ELNS1_3repE0EEENS1_30default_config_static_selectorELNS0_4arch9wavefront6targetE1EEEvT1_,"axG",@progbits,_ZN7rocprim17ROCPRIM_400000_NS6detail17trampoline_kernelINS0_14default_configENS1_27scan_by_key_config_selectorIijEEZZNS1_16scan_by_key_implILNS1_25lookback_scan_determinismE0ELb0ES3_N6thrust23THRUST_200600_302600_NS6detail15normal_iteratorINS9_10device_ptrIiEEEENSB_INSC_IjEEEENSB_INSC_IfEEEEjNS9_4plusIvEENS9_8equal_toIvEEjEE10hipError_tPvRmT2_T3_T4_T5_mT6_T7_P12ihipStream_tbENKUlT_T0_E_clISt17integral_constantIbLb1EES13_EEDaSY_SZ_EUlSY_E_NS1_11comp_targetILNS1_3genE0ELNS1_11target_archE4294967295ELNS1_3gpuE0ELNS1_3repE0EEENS1_30default_config_static_selectorELNS0_4arch9wavefront6targetE1EEEvT1_,comdat
	.protected	_ZN7rocprim17ROCPRIM_400000_NS6detail17trampoline_kernelINS0_14default_configENS1_27scan_by_key_config_selectorIijEEZZNS1_16scan_by_key_implILNS1_25lookback_scan_determinismE0ELb0ES3_N6thrust23THRUST_200600_302600_NS6detail15normal_iteratorINS9_10device_ptrIiEEEENSB_INSC_IjEEEENSB_INSC_IfEEEEjNS9_4plusIvEENS9_8equal_toIvEEjEE10hipError_tPvRmT2_T3_T4_T5_mT6_T7_P12ihipStream_tbENKUlT_T0_E_clISt17integral_constantIbLb1EES13_EEDaSY_SZ_EUlSY_E_NS1_11comp_targetILNS1_3genE0ELNS1_11target_archE4294967295ELNS1_3gpuE0ELNS1_3repE0EEENS1_30default_config_static_selectorELNS0_4arch9wavefront6targetE1EEEvT1_ ; -- Begin function _ZN7rocprim17ROCPRIM_400000_NS6detail17trampoline_kernelINS0_14default_configENS1_27scan_by_key_config_selectorIijEEZZNS1_16scan_by_key_implILNS1_25lookback_scan_determinismE0ELb0ES3_N6thrust23THRUST_200600_302600_NS6detail15normal_iteratorINS9_10device_ptrIiEEEENSB_INSC_IjEEEENSB_INSC_IfEEEEjNS9_4plusIvEENS9_8equal_toIvEEjEE10hipError_tPvRmT2_T3_T4_T5_mT6_T7_P12ihipStream_tbENKUlT_T0_E_clISt17integral_constantIbLb1EES13_EEDaSY_SZ_EUlSY_E_NS1_11comp_targetILNS1_3genE0ELNS1_11target_archE4294967295ELNS1_3gpuE0ELNS1_3repE0EEENS1_30default_config_static_selectorELNS0_4arch9wavefront6targetE1EEEvT1_
	.globl	_ZN7rocprim17ROCPRIM_400000_NS6detail17trampoline_kernelINS0_14default_configENS1_27scan_by_key_config_selectorIijEEZZNS1_16scan_by_key_implILNS1_25lookback_scan_determinismE0ELb0ES3_N6thrust23THRUST_200600_302600_NS6detail15normal_iteratorINS9_10device_ptrIiEEEENSB_INSC_IjEEEENSB_INSC_IfEEEEjNS9_4plusIvEENS9_8equal_toIvEEjEE10hipError_tPvRmT2_T3_T4_T5_mT6_T7_P12ihipStream_tbENKUlT_T0_E_clISt17integral_constantIbLb1EES13_EEDaSY_SZ_EUlSY_E_NS1_11comp_targetILNS1_3genE0ELNS1_11target_archE4294967295ELNS1_3gpuE0ELNS1_3repE0EEENS1_30default_config_static_selectorELNS0_4arch9wavefront6targetE1EEEvT1_
	.p2align	8
	.type	_ZN7rocprim17ROCPRIM_400000_NS6detail17trampoline_kernelINS0_14default_configENS1_27scan_by_key_config_selectorIijEEZZNS1_16scan_by_key_implILNS1_25lookback_scan_determinismE0ELb0ES3_N6thrust23THRUST_200600_302600_NS6detail15normal_iteratorINS9_10device_ptrIiEEEENSB_INSC_IjEEEENSB_INSC_IfEEEEjNS9_4plusIvEENS9_8equal_toIvEEjEE10hipError_tPvRmT2_T3_T4_T5_mT6_T7_P12ihipStream_tbENKUlT_T0_E_clISt17integral_constantIbLb1EES13_EEDaSY_SZ_EUlSY_E_NS1_11comp_targetILNS1_3genE0ELNS1_11target_archE4294967295ELNS1_3gpuE0ELNS1_3repE0EEENS1_30default_config_static_selectorELNS0_4arch9wavefront6targetE1EEEvT1_,@function
_ZN7rocprim17ROCPRIM_400000_NS6detail17trampoline_kernelINS0_14default_configENS1_27scan_by_key_config_selectorIijEEZZNS1_16scan_by_key_implILNS1_25lookback_scan_determinismE0ELb0ES3_N6thrust23THRUST_200600_302600_NS6detail15normal_iteratorINS9_10device_ptrIiEEEENSB_INSC_IjEEEENSB_INSC_IfEEEEjNS9_4plusIvEENS9_8equal_toIvEEjEE10hipError_tPvRmT2_T3_T4_T5_mT6_T7_P12ihipStream_tbENKUlT_T0_E_clISt17integral_constantIbLb1EES13_EEDaSY_SZ_EUlSY_E_NS1_11comp_targetILNS1_3genE0ELNS1_11target_archE4294967295ELNS1_3gpuE0ELNS1_3repE0EEENS1_30default_config_static_selectorELNS0_4arch9wavefront6targetE1EEEvT1_: ; @_ZN7rocprim17ROCPRIM_400000_NS6detail17trampoline_kernelINS0_14default_configENS1_27scan_by_key_config_selectorIijEEZZNS1_16scan_by_key_implILNS1_25lookback_scan_determinismE0ELb0ES3_N6thrust23THRUST_200600_302600_NS6detail15normal_iteratorINS9_10device_ptrIiEEEENSB_INSC_IjEEEENSB_INSC_IfEEEEjNS9_4plusIvEENS9_8equal_toIvEEjEE10hipError_tPvRmT2_T3_T4_T5_mT6_T7_P12ihipStream_tbENKUlT_T0_E_clISt17integral_constantIbLb1EES13_EEDaSY_SZ_EUlSY_E_NS1_11comp_targetILNS1_3genE0ELNS1_11target_archE4294967295ELNS1_3gpuE0ELNS1_3repE0EEENS1_30default_config_static_selectorELNS0_4arch9wavefront6targetE1EEEvT1_
; %bb.0:
	.section	.rodata,"a",@progbits
	.p2align	6, 0x0
	.amdhsa_kernel _ZN7rocprim17ROCPRIM_400000_NS6detail17trampoline_kernelINS0_14default_configENS1_27scan_by_key_config_selectorIijEEZZNS1_16scan_by_key_implILNS1_25lookback_scan_determinismE0ELb0ES3_N6thrust23THRUST_200600_302600_NS6detail15normal_iteratorINS9_10device_ptrIiEEEENSB_INSC_IjEEEENSB_INSC_IfEEEEjNS9_4plusIvEENS9_8equal_toIvEEjEE10hipError_tPvRmT2_T3_T4_T5_mT6_T7_P12ihipStream_tbENKUlT_T0_E_clISt17integral_constantIbLb1EES13_EEDaSY_SZ_EUlSY_E_NS1_11comp_targetILNS1_3genE0ELNS1_11target_archE4294967295ELNS1_3gpuE0ELNS1_3repE0EEENS1_30default_config_static_selectorELNS0_4arch9wavefront6targetE1EEEvT1_
		.amdhsa_group_segment_fixed_size 0
		.amdhsa_private_segment_fixed_size 0
		.amdhsa_kernarg_size 112
		.amdhsa_user_sgpr_count 6
		.amdhsa_user_sgpr_private_segment_buffer 1
		.amdhsa_user_sgpr_dispatch_ptr 0
		.amdhsa_user_sgpr_queue_ptr 0
		.amdhsa_user_sgpr_kernarg_segment_ptr 1
		.amdhsa_user_sgpr_dispatch_id 0
		.amdhsa_user_sgpr_flat_scratch_init 0
		.amdhsa_user_sgpr_kernarg_preload_length 0
		.amdhsa_user_sgpr_kernarg_preload_offset 0
		.amdhsa_user_sgpr_private_segment_size 0
		.amdhsa_uses_dynamic_stack 0
		.amdhsa_system_sgpr_private_segment_wavefront_offset 0
		.amdhsa_system_sgpr_workgroup_id_x 1
		.amdhsa_system_sgpr_workgroup_id_y 0
		.amdhsa_system_sgpr_workgroup_id_z 0
		.amdhsa_system_sgpr_workgroup_info 0
		.amdhsa_system_vgpr_workitem_id 0
		.amdhsa_next_free_vgpr 1
		.amdhsa_next_free_sgpr 0
		.amdhsa_accum_offset 4
		.amdhsa_reserve_vcc 0
		.amdhsa_reserve_flat_scratch 0
		.amdhsa_float_round_mode_32 0
		.amdhsa_float_round_mode_16_64 0
		.amdhsa_float_denorm_mode_32 3
		.amdhsa_float_denorm_mode_16_64 3
		.amdhsa_dx10_clamp 1
		.amdhsa_ieee_mode 1
		.amdhsa_fp16_overflow 0
		.amdhsa_tg_split 0
		.amdhsa_exception_fp_ieee_invalid_op 0
		.amdhsa_exception_fp_denorm_src 0
		.amdhsa_exception_fp_ieee_div_zero 0
		.amdhsa_exception_fp_ieee_overflow 0
		.amdhsa_exception_fp_ieee_underflow 0
		.amdhsa_exception_fp_ieee_inexact 0
		.amdhsa_exception_int_div_zero 0
	.end_amdhsa_kernel
	.section	.text._ZN7rocprim17ROCPRIM_400000_NS6detail17trampoline_kernelINS0_14default_configENS1_27scan_by_key_config_selectorIijEEZZNS1_16scan_by_key_implILNS1_25lookback_scan_determinismE0ELb0ES3_N6thrust23THRUST_200600_302600_NS6detail15normal_iteratorINS9_10device_ptrIiEEEENSB_INSC_IjEEEENSB_INSC_IfEEEEjNS9_4plusIvEENS9_8equal_toIvEEjEE10hipError_tPvRmT2_T3_T4_T5_mT6_T7_P12ihipStream_tbENKUlT_T0_E_clISt17integral_constantIbLb1EES13_EEDaSY_SZ_EUlSY_E_NS1_11comp_targetILNS1_3genE0ELNS1_11target_archE4294967295ELNS1_3gpuE0ELNS1_3repE0EEENS1_30default_config_static_selectorELNS0_4arch9wavefront6targetE1EEEvT1_,"axG",@progbits,_ZN7rocprim17ROCPRIM_400000_NS6detail17trampoline_kernelINS0_14default_configENS1_27scan_by_key_config_selectorIijEEZZNS1_16scan_by_key_implILNS1_25lookback_scan_determinismE0ELb0ES3_N6thrust23THRUST_200600_302600_NS6detail15normal_iteratorINS9_10device_ptrIiEEEENSB_INSC_IjEEEENSB_INSC_IfEEEEjNS9_4plusIvEENS9_8equal_toIvEEjEE10hipError_tPvRmT2_T3_T4_T5_mT6_T7_P12ihipStream_tbENKUlT_T0_E_clISt17integral_constantIbLb1EES13_EEDaSY_SZ_EUlSY_E_NS1_11comp_targetILNS1_3genE0ELNS1_11target_archE4294967295ELNS1_3gpuE0ELNS1_3repE0EEENS1_30default_config_static_selectorELNS0_4arch9wavefront6targetE1EEEvT1_,comdat
.Lfunc_end1653:
	.size	_ZN7rocprim17ROCPRIM_400000_NS6detail17trampoline_kernelINS0_14default_configENS1_27scan_by_key_config_selectorIijEEZZNS1_16scan_by_key_implILNS1_25lookback_scan_determinismE0ELb0ES3_N6thrust23THRUST_200600_302600_NS6detail15normal_iteratorINS9_10device_ptrIiEEEENSB_INSC_IjEEEENSB_INSC_IfEEEEjNS9_4plusIvEENS9_8equal_toIvEEjEE10hipError_tPvRmT2_T3_T4_T5_mT6_T7_P12ihipStream_tbENKUlT_T0_E_clISt17integral_constantIbLb1EES13_EEDaSY_SZ_EUlSY_E_NS1_11comp_targetILNS1_3genE0ELNS1_11target_archE4294967295ELNS1_3gpuE0ELNS1_3repE0EEENS1_30default_config_static_selectorELNS0_4arch9wavefront6targetE1EEEvT1_, .Lfunc_end1653-_ZN7rocprim17ROCPRIM_400000_NS6detail17trampoline_kernelINS0_14default_configENS1_27scan_by_key_config_selectorIijEEZZNS1_16scan_by_key_implILNS1_25lookback_scan_determinismE0ELb0ES3_N6thrust23THRUST_200600_302600_NS6detail15normal_iteratorINS9_10device_ptrIiEEEENSB_INSC_IjEEEENSB_INSC_IfEEEEjNS9_4plusIvEENS9_8equal_toIvEEjEE10hipError_tPvRmT2_T3_T4_T5_mT6_T7_P12ihipStream_tbENKUlT_T0_E_clISt17integral_constantIbLb1EES13_EEDaSY_SZ_EUlSY_E_NS1_11comp_targetILNS1_3genE0ELNS1_11target_archE4294967295ELNS1_3gpuE0ELNS1_3repE0EEENS1_30default_config_static_selectorELNS0_4arch9wavefront6targetE1EEEvT1_
                                        ; -- End function
	.section	.AMDGPU.csdata,"",@progbits
; Kernel info:
; codeLenInByte = 0
; NumSgprs: 4
; NumVgprs: 0
; NumAgprs: 0
; TotalNumVgprs: 0
; ScratchSize: 0
; MemoryBound: 0
; FloatMode: 240
; IeeeMode: 1
; LDSByteSize: 0 bytes/workgroup (compile time only)
; SGPRBlocks: 0
; VGPRBlocks: 0
; NumSGPRsForWavesPerEU: 4
; NumVGPRsForWavesPerEU: 1
; AccumOffset: 4
; Occupancy: 8
; WaveLimiterHint : 0
; COMPUTE_PGM_RSRC2:SCRATCH_EN: 0
; COMPUTE_PGM_RSRC2:USER_SGPR: 6
; COMPUTE_PGM_RSRC2:TRAP_HANDLER: 0
; COMPUTE_PGM_RSRC2:TGID_X_EN: 1
; COMPUTE_PGM_RSRC2:TGID_Y_EN: 0
; COMPUTE_PGM_RSRC2:TGID_Z_EN: 0
; COMPUTE_PGM_RSRC2:TIDIG_COMP_CNT: 0
; COMPUTE_PGM_RSRC3_GFX90A:ACCUM_OFFSET: 0
; COMPUTE_PGM_RSRC3_GFX90A:TG_SPLIT: 0
	.section	.text._ZN7rocprim17ROCPRIM_400000_NS6detail17trampoline_kernelINS0_14default_configENS1_27scan_by_key_config_selectorIijEEZZNS1_16scan_by_key_implILNS1_25lookback_scan_determinismE0ELb0ES3_N6thrust23THRUST_200600_302600_NS6detail15normal_iteratorINS9_10device_ptrIiEEEENSB_INSC_IjEEEENSB_INSC_IfEEEEjNS9_4plusIvEENS9_8equal_toIvEEjEE10hipError_tPvRmT2_T3_T4_T5_mT6_T7_P12ihipStream_tbENKUlT_T0_E_clISt17integral_constantIbLb1EES13_EEDaSY_SZ_EUlSY_E_NS1_11comp_targetILNS1_3genE10ELNS1_11target_archE1201ELNS1_3gpuE5ELNS1_3repE0EEENS1_30default_config_static_selectorELNS0_4arch9wavefront6targetE1EEEvT1_,"axG",@progbits,_ZN7rocprim17ROCPRIM_400000_NS6detail17trampoline_kernelINS0_14default_configENS1_27scan_by_key_config_selectorIijEEZZNS1_16scan_by_key_implILNS1_25lookback_scan_determinismE0ELb0ES3_N6thrust23THRUST_200600_302600_NS6detail15normal_iteratorINS9_10device_ptrIiEEEENSB_INSC_IjEEEENSB_INSC_IfEEEEjNS9_4plusIvEENS9_8equal_toIvEEjEE10hipError_tPvRmT2_T3_T4_T5_mT6_T7_P12ihipStream_tbENKUlT_T0_E_clISt17integral_constantIbLb1EES13_EEDaSY_SZ_EUlSY_E_NS1_11comp_targetILNS1_3genE10ELNS1_11target_archE1201ELNS1_3gpuE5ELNS1_3repE0EEENS1_30default_config_static_selectorELNS0_4arch9wavefront6targetE1EEEvT1_,comdat
	.protected	_ZN7rocprim17ROCPRIM_400000_NS6detail17trampoline_kernelINS0_14default_configENS1_27scan_by_key_config_selectorIijEEZZNS1_16scan_by_key_implILNS1_25lookback_scan_determinismE0ELb0ES3_N6thrust23THRUST_200600_302600_NS6detail15normal_iteratorINS9_10device_ptrIiEEEENSB_INSC_IjEEEENSB_INSC_IfEEEEjNS9_4plusIvEENS9_8equal_toIvEEjEE10hipError_tPvRmT2_T3_T4_T5_mT6_T7_P12ihipStream_tbENKUlT_T0_E_clISt17integral_constantIbLb1EES13_EEDaSY_SZ_EUlSY_E_NS1_11comp_targetILNS1_3genE10ELNS1_11target_archE1201ELNS1_3gpuE5ELNS1_3repE0EEENS1_30default_config_static_selectorELNS0_4arch9wavefront6targetE1EEEvT1_ ; -- Begin function _ZN7rocprim17ROCPRIM_400000_NS6detail17trampoline_kernelINS0_14default_configENS1_27scan_by_key_config_selectorIijEEZZNS1_16scan_by_key_implILNS1_25lookback_scan_determinismE0ELb0ES3_N6thrust23THRUST_200600_302600_NS6detail15normal_iteratorINS9_10device_ptrIiEEEENSB_INSC_IjEEEENSB_INSC_IfEEEEjNS9_4plusIvEENS9_8equal_toIvEEjEE10hipError_tPvRmT2_T3_T4_T5_mT6_T7_P12ihipStream_tbENKUlT_T0_E_clISt17integral_constantIbLb1EES13_EEDaSY_SZ_EUlSY_E_NS1_11comp_targetILNS1_3genE10ELNS1_11target_archE1201ELNS1_3gpuE5ELNS1_3repE0EEENS1_30default_config_static_selectorELNS0_4arch9wavefront6targetE1EEEvT1_
	.globl	_ZN7rocprim17ROCPRIM_400000_NS6detail17trampoline_kernelINS0_14default_configENS1_27scan_by_key_config_selectorIijEEZZNS1_16scan_by_key_implILNS1_25lookback_scan_determinismE0ELb0ES3_N6thrust23THRUST_200600_302600_NS6detail15normal_iteratorINS9_10device_ptrIiEEEENSB_INSC_IjEEEENSB_INSC_IfEEEEjNS9_4plusIvEENS9_8equal_toIvEEjEE10hipError_tPvRmT2_T3_T4_T5_mT6_T7_P12ihipStream_tbENKUlT_T0_E_clISt17integral_constantIbLb1EES13_EEDaSY_SZ_EUlSY_E_NS1_11comp_targetILNS1_3genE10ELNS1_11target_archE1201ELNS1_3gpuE5ELNS1_3repE0EEENS1_30default_config_static_selectorELNS0_4arch9wavefront6targetE1EEEvT1_
	.p2align	8
	.type	_ZN7rocprim17ROCPRIM_400000_NS6detail17trampoline_kernelINS0_14default_configENS1_27scan_by_key_config_selectorIijEEZZNS1_16scan_by_key_implILNS1_25lookback_scan_determinismE0ELb0ES3_N6thrust23THRUST_200600_302600_NS6detail15normal_iteratorINS9_10device_ptrIiEEEENSB_INSC_IjEEEENSB_INSC_IfEEEEjNS9_4plusIvEENS9_8equal_toIvEEjEE10hipError_tPvRmT2_T3_T4_T5_mT6_T7_P12ihipStream_tbENKUlT_T0_E_clISt17integral_constantIbLb1EES13_EEDaSY_SZ_EUlSY_E_NS1_11comp_targetILNS1_3genE10ELNS1_11target_archE1201ELNS1_3gpuE5ELNS1_3repE0EEENS1_30default_config_static_selectorELNS0_4arch9wavefront6targetE1EEEvT1_,@function
_ZN7rocprim17ROCPRIM_400000_NS6detail17trampoline_kernelINS0_14default_configENS1_27scan_by_key_config_selectorIijEEZZNS1_16scan_by_key_implILNS1_25lookback_scan_determinismE0ELb0ES3_N6thrust23THRUST_200600_302600_NS6detail15normal_iteratorINS9_10device_ptrIiEEEENSB_INSC_IjEEEENSB_INSC_IfEEEEjNS9_4plusIvEENS9_8equal_toIvEEjEE10hipError_tPvRmT2_T3_T4_T5_mT6_T7_P12ihipStream_tbENKUlT_T0_E_clISt17integral_constantIbLb1EES13_EEDaSY_SZ_EUlSY_E_NS1_11comp_targetILNS1_3genE10ELNS1_11target_archE1201ELNS1_3gpuE5ELNS1_3repE0EEENS1_30default_config_static_selectorELNS0_4arch9wavefront6targetE1EEEvT1_: ; @_ZN7rocprim17ROCPRIM_400000_NS6detail17trampoline_kernelINS0_14default_configENS1_27scan_by_key_config_selectorIijEEZZNS1_16scan_by_key_implILNS1_25lookback_scan_determinismE0ELb0ES3_N6thrust23THRUST_200600_302600_NS6detail15normal_iteratorINS9_10device_ptrIiEEEENSB_INSC_IjEEEENSB_INSC_IfEEEEjNS9_4plusIvEENS9_8equal_toIvEEjEE10hipError_tPvRmT2_T3_T4_T5_mT6_T7_P12ihipStream_tbENKUlT_T0_E_clISt17integral_constantIbLb1EES13_EEDaSY_SZ_EUlSY_E_NS1_11comp_targetILNS1_3genE10ELNS1_11target_archE1201ELNS1_3gpuE5ELNS1_3repE0EEENS1_30default_config_static_selectorELNS0_4arch9wavefront6targetE1EEEvT1_
; %bb.0:
	.section	.rodata,"a",@progbits
	.p2align	6, 0x0
	.amdhsa_kernel _ZN7rocprim17ROCPRIM_400000_NS6detail17trampoline_kernelINS0_14default_configENS1_27scan_by_key_config_selectorIijEEZZNS1_16scan_by_key_implILNS1_25lookback_scan_determinismE0ELb0ES3_N6thrust23THRUST_200600_302600_NS6detail15normal_iteratorINS9_10device_ptrIiEEEENSB_INSC_IjEEEENSB_INSC_IfEEEEjNS9_4plusIvEENS9_8equal_toIvEEjEE10hipError_tPvRmT2_T3_T4_T5_mT6_T7_P12ihipStream_tbENKUlT_T0_E_clISt17integral_constantIbLb1EES13_EEDaSY_SZ_EUlSY_E_NS1_11comp_targetILNS1_3genE10ELNS1_11target_archE1201ELNS1_3gpuE5ELNS1_3repE0EEENS1_30default_config_static_selectorELNS0_4arch9wavefront6targetE1EEEvT1_
		.amdhsa_group_segment_fixed_size 0
		.amdhsa_private_segment_fixed_size 0
		.amdhsa_kernarg_size 112
		.amdhsa_user_sgpr_count 6
		.amdhsa_user_sgpr_private_segment_buffer 1
		.amdhsa_user_sgpr_dispatch_ptr 0
		.amdhsa_user_sgpr_queue_ptr 0
		.amdhsa_user_sgpr_kernarg_segment_ptr 1
		.amdhsa_user_sgpr_dispatch_id 0
		.amdhsa_user_sgpr_flat_scratch_init 0
		.amdhsa_user_sgpr_kernarg_preload_length 0
		.amdhsa_user_sgpr_kernarg_preload_offset 0
		.amdhsa_user_sgpr_private_segment_size 0
		.amdhsa_uses_dynamic_stack 0
		.amdhsa_system_sgpr_private_segment_wavefront_offset 0
		.amdhsa_system_sgpr_workgroup_id_x 1
		.amdhsa_system_sgpr_workgroup_id_y 0
		.amdhsa_system_sgpr_workgroup_id_z 0
		.amdhsa_system_sgpr_workgroup_info 0
		.amdhsa_system_vgpr_workitem_id 0
		.amdhsa_next_free_vgpr 1
		.amdhsa_next_free_sgpr 0
		.amdhsa_accum_offset 4
		.amdhsa_reserve_vcc 0
		.amdhsa_reserve_flat_scratch 0
		.amdhsa_float_round_mode_32 0
		.amdhsa_float_round_mode_16_64 0
		.amdhsa_float_denorm_mode_32 3
		.amdhsa_float_denorm_mode_16_64 3
		.amdhsa_dx10_clamp 1
		.amdhsa_ieee_mode 1
		.amdhsa_fp16_overflow 0
		.amdhsa_tg_split 0
		.amdhsa_exception_fp_ieee_invalid_op 0
		.amdhsa_exception_fp_denorm_src 0
		.amdhsa_exception_fp_ieee_div_zero 0
		.amdhsa_exception_fp_ieee_overflow 0
		.amdhsa_exception_fp_ieee_underflow 0
		.amdhsa_exception_fp_ieee_inexact 0
		.amdhsa_exception_int_div_zero 0
	.end_amdhsa_kernel
	.section	.text._ZN7rocprim17ROCPRIM_400000_NS6detail17trampoline_kernelINS0_14default_configENS1_27scan_by_key_config_selectorIijEEZZNS1_16scan_by_key_implILNS1_25lookback_scan_determinismE0ELb0ES3_N6thrust23THRUST_200600_302600_NS6detail15normal_iteratorINS9_10device_ptrIiEEEENSB_INSC_IjEEEENSB_INSC_IfEEEEjNS9_4plusIvEENS9_8equal_toIvEEjEE10hipError_tPvRmT2_T3_T4_T5_mT6_T7_P12ihipStream_tbENKUlT_T0_E_clISt17integral_constantIbLb1EES13_EEDaSY_SZ_EUlSY_E_NS1_11comp_targetILNS1_3genE10ELNS1_11target_archE1201ELNS1_3gpuE5ELNS1_3repE0EEENS1_30default_config_static_selectorELNS0_4arch9wavefront6targetE1EEEvT1_,"axG",@progbits,_ZN7rocprim17ROCPRIM_400000_NS6detail17trampoline_kernelINS0_14default_configENS1_27scan_by_key_config_selectorIijEEZZNS1_16scan_by_key_implILNS1_25lookback_scan_determinismE0ELb0ES3_N6thrust23THRUST_200600_302600_NS6detail15normal_iteratorINS9_10device_ptrIiEEEENSB_INSC_IjEEEENSB_INSC_IfEEEEjNS9_4plusIvEENS9_8equal_toIvEEjEE10hipError_tPvRmT2_T3_T4_T5_mT6_T7_P12ihipStream_tbENKUlT_T0_E_clISt17integral_constantIbLb1EES13_EEDaSY_SZ_EUlSY_E_NS1_11comp_targetILNS1_3genE10ELNS1_11target_archE1201ELNS1_3gpuE5ELNS1_3repE0EEENS1_30default_config_static_selectorELNS0_4arch9wavefront6targetE1EEEvT1_,comdat
.Lfunc_end1654:
	.size	_ZN7rocprim17ROCPRIM_400000_NS6detail17trampoline_kernelINS0_14default_configENS1_27scan_by_key_config_selectorIijEEZZNS1_16scan_by_key_implILNS1_25lookback_scan_determinismE0ELb0ES3_N6thrust23THRUST_200600_302600_NS6detail15normal_iteratorINS9_10device_ptrIiEEEENSB_INSC_IjEEEENSB_INSC_IfEEEEjNS9_4plusIvEENS9_8equal_toIvEEjEE10hipError_tPvRmT2_T3_T4_T5_mT6_T7_P12ihipStream_tbENKUlT_T0_E_clISt17integral_constantIbLb1EES13_EEDaSY_SZ_EUlSY_E_NS1_11comp_targetILNS1_3genE10ELNS1_11target_archE1201ELNS1_3gpuE5ELNS1_3repE0EEENS1_30default_config_static_selectorELNS0_4arch9wavefront6targetE1EEEvT1_, .Lfunc_end1654-_ZN7rocprim17ROCPRIM_400000_NS6detail17trampoline_kernelINS0_14default_configENS1_27scan_by_key_config_selectorIijEEZZNS1_16scan_by_key_implILNS1_25lookback_scan_determinismE0ELb0ES3_N6thrust23THRUST_200600_302600_NS6detail15normal_iteratorINS9_10device_ptrIiEEEENSB_INSC_IjEEEENSB_INSC_IfEEEEjNS9_4plusIvEENS9_8equal_toIvEEjEE10hipError_tPvRmT2_T3_T4_T5_mT6_T7_P12ihipStream_tbENKUlT_T0_E_clISt17integral_constantIbLb1EES13_EEDaSY_SZ_EUlSY_E_NS1_11comp_targetILNS1_3genE10ELNS1_11target_archE1201ELNS1_3gpuE5ELNS1_3repE0EEENS1_30default_config_static_selectorELNS0_4arch9wavefront6targetE1EEEvT1_
                                        ; -- End function
	.section	.AMDGPU.csdata,"",@progbits
; Kernel info:
; codeLenInByte = 0
; NumSgprs: 4
; NumVgprs: 0
; NumAgprs: 0
; TotalNumVgprs: 0
; ScratchSize: 0
; MemoryBound: 0
; FloatMode: 240
; IeeeMode: 1
; LDSByteSize: 0 bytes/workgroup (compile time only)
; SGPRBlocks: 0
; VGPRBlocks: 0
; NumSGPRsForWavesPerEU: 4
; NumVGPRsForWavesPerEU: 1
; AccumOffset: 4
; Occupancy: 8
; WaveLimiterHint : 0
; COMPUTE_PGM_RSRC2:SCRATCH_EN: 0
; COMPUTE_PGM_RSRC2:USER_SGPR: 6
; COMPUTE_PGM_RSRC2:TRAP_HANDLER: 0
; COMPUTE_PGM_RSRC2:TGID_X_EN: 1
; COMPUTE_PGM_RSRC2:TGID_Y_EN: 0
; COMPUTE_PGM_RSRC2:TGID_Z_EN: 0
; COMPUTE_PGM_RSRC2:TIDIG_COMP_CNT: 0
; COMPUTE_PGM_RSRC3_GFX90A:ACCUM_OFFSET: 0
; COMPUTE_PGM_RSRC3_GFX90A:TG_SPLIT: 0
	.section	.text._ZN7rocprim17ROCPRIM_400000_NS6detail17trampoline_kernelINS0_14default_configENS1_27scan_by_key_config_selectorIijEEZZNS1_16scan_by_key_implILNS1_25lookback_scan_determinismE0ELb0ES3_N6thrust23THRUST_200600_302600_NS6detail15normal_iteratorINS9_10device_ptrIiEEEENSB_INSC_IjEEEENSB_INSC_IfEEEEjNS9_4plusIvEENS9_8equal_toIvEEjEE10hipError_tPvRmT2_T3_T4_T5_mT6_T7_P12ihipStream_tbENKUlT_T0_E_clISt17integral_constantIbLb1EES13_EEDaSY_SZ_EUlSY_E_NS1_11comp_targetILNS1_3genE5ELNS1_11target_archE942ELNS1_3gpuE9ELNS1_3repE0EEENS1_30default_config_static_selectorELNS0_4arch9wavefront6targetE1EEEvT1_,"axG",@progbits,_ZN7rocprim17ROCPRIM_400000_NS6detail17trampoline_kernelINS0_14default_configENS1_27scan_by_key_config_selectorIijEEZZNS1_16scan_by_key_implILNS1_25lookback_scan_determinismE0ELb0ES3_N6thrust23THRUST_200600_302600_NS6detail15normal_iteratorINS9_10device_ptrIiEEEENSB_INSC_IjEEEENSB_INSC_IfEEEEjNS9_4plusIvEENS9_8equal_toIvEEjEE10hipError_tPvRmT2_T3_T4_T5_mT6_T7_P12ihipStream_tbENKUlT_T0_E_clISt17integral_constantIbLb1EES13_EEDaSY_SZ_EUlSY_E_NS1_11comp_targetILNS1_3genE5ELNS1_11target_archE942ELNS1_3gpuE9ELNS1_3repE0EEENS1_30default_config_static_selectorELNS0_4arch9wavefront6targetE1EEEvT1_,comdat
	.protected	_ZN7rocprim17ROCPRIM_400000_NS6detail17trampoline_kernelINS0_14default_configENS1_27scan_by_key_config_selectorIijEEZZNS1_16scan_by_key_implILNS1_25lookback_scan_determinismE0ELb0ES3_N6thrust23THRUST_200600_302600_NS6detail15normal_iteratorINS9_10device_ptrIiEEEENSB_INSC_IjEEEENSB_INSC_IfEEEEjNS9_4plusIvEENS9_8equal_toIvEEjEE10hipError_tPvRmT2_T3_T4_T5_mT6_T7_P12ihipStream_tbENKUlT_T0_E_clISt17integral_constantIbLb1EES13_EEDaSY_SZ_EUlSY_E_NS1_11comp_targetILNS1_3genE5ELNS1_11target_archE942ELNS1_3gpuE9ELNS1_3repE0EEENS1_30default_config_static_selectorELNS0_4arch9wavefront6targetE1EEEvT1_ ; -- Begin function _ZN7rocprim17ROCPRIM_400000_NS6detail17trampoline_kernelINS0_14default_configENS1_27scan_by_key_config_selectorIijEEZZNS1_16scan_by_key_implILNS1_25lookback_scan_determinismE0ELb0ES3_N6thrust23THRUST_200600_302600_NS6detail15normal_iteratorINS9_10device_ptrIiEEEENSB_INSC_IjEEEENSB_INSC_IfEEEEjNS9_4plusIvEENS9_8equal_toIvEEjEE10hipError_tPvRmT2_T3_T4_T5_mT6_T7_P12ihipStream_tbENKUlT_T0_E_clISt17integral_constantIbLb1EES13_EEDaSY_SZ_EUlSY_E_NS1_11comp_targetILNS1_3genE5ELNS1_11target_archE942ELNS1_3gpuE9ELNS1_3repE0EEENS1_30default_config_static_selectorELNS0_4arch9wavefront6targetE1EEEvT1_
	.globl	_ZN7rocprim17ROCPRIM_400000_NS6detail17trampoline_kernelINS0_14default_configENS1_27scan_by_key_config_selectorIijEEZZNS1_16scan_by_key_implILNS1_25lookback_scan_determinismE0ELb0ES3_N6thrust23THRUST_200600_302600_NS6detail15normal_iteratorINS9_10device_ptrIiEEEENSB_INSC_IjEEEENSB_INSC_IfEEEEjNS9_4plusIvEENS9_8equal_toIvEEjEE10hipError_tPvRmT2_T3_T4_T5_mT6_T7_P12ihipStream_tbENKUlT_T0_E_clISt17integral_constantIbLb1EES13_EEDaSY_SZ_EUlSY_E_NS1_11comp_targetILNS1_3genE5ELNS1_11target_archE942ELNS1_3gpuE9ELNS1_3repE0EEENS1_30default_config_static_selectorELNS0_4arch9wavefront6targetE1EEEvT1_
	.p2align	8
	.type	_ZN7rocprim17ROCPRIM_400000_NS6detail17trampoline_kernelINS0_14default_configENS1_27scan_by_key_config_selectorIijEEZZNS1_16scan_by_key_implILNS1_25lookback_scan_determinismE0ELb0ES3_N6thrust23THRUST_200600_302600_NS6detail15normal_iteratorINS9_10device_ptrIiEEEENSB_INSC_IjEEEENSB_INSC_IfEEEEjNS9_4plusIvEENS9_8equal_toIvEEjEE10hipError_tPvRmT2_T3_T4_T5_mT6_T7_P12ihipStream_tbENKUlT_T0_E_clISt17integral_constantIbLb1EES13_EEDaSY_SZ_EUlSY_E_NS1_11comp_targetILNS1_3genE5ELNS1_11target_archE942ELNS1_3gpuE9ELNS1_3repE0EEENS1_30default_config_static_selectorELNS0_4arch9wavefront6targetE1EEEvT1_,@function
_ZN7rocprim17ROCPRIM_400000_NS6detail17trampoline_kernelINS0_14default_configENS1_27scan_by_key_config_selectorIijEEZZNS1_16scan_by_key_implILNS1_25lookback_scan_determinismE0ELb0ES3_N6thrust23THRUST_200600_302600_NS6detail15normal_iteratorINS9_10device_ptrIiEEEENSB_INSC_IjEEEENSB_INSC_IfEEEEjNS9_4plusIvEENS9_8equal_toIvEEjEE10hipError_tPvRmT2_T3_T4_T5_mT6_T7_P12ihipStream_tbENKUlT_T0_E_clISt17integral_constantIbLb1EES13_EEDaSY_SZ_EUlSY_E_NS1_11comp_targetILNS1_3genE5ELNS1_11target_archE942ELNS1_3gpuE9ELNS1_3repE0EEENS1_30default_config_static_selectorELNS0_4arch9wavefront6targetE1EEEvT1_: ; @_ZN7rocprim17ROCPRIM_400000_NS6detail17trampoline_kernelINS0_14default_configENS1_27scan_by_key_config_selectorIijEEZZNS1_16scan_by_key_implILNS1_25lookback_scan_determinismE0ELb0ES3_N6thrust23THRUST_200600_302600_NS6detail15normal_iteratorINS9_10device_ptrIiEEEENSB_INSC_IjEEEENSB_INSC_IfEEEEjNS9_4plusIvEENS9_8equal_toIvEEjEE10hipError_tPvRmT2_T3_T4_T5_mT6_T7_P12ihipStream_tbENKUlT_T0_E_clISt17integral_constantIbLb1EES13_EEDaSY_SZ_EUlSY_E_NS1_11comp_targetILNS1_3genE5ELNS1_11target_archE942ELNS1_3gpuE9ELNS1_3repE0EEENS1_30default_config_static_selectorELNS0_4arch9wavefront6targetE1EEEvT1_
; %bb.0:
	.section	.rodata,"a",@progbits
	.p2align	6, 0x0
	.amdhsa_kernel _ZN7rocprim17ROCPRIM_400000_NS6detail17trampoline_kernelINS0_14default_configENS1_27scan_by_key_config_selectorIijEEZZNS1_16scan_by_key_implILNS1_25lookback_scan_determinismE0ELb0ES3_N6thrust23THRUST_200600_302600_NS6detail15normal_iteratorINS9_10device_ptrIiEEEENSB_INSC_IjEEEENSB_INSC_IfEEEEjNS9_4plusIvEENS9_8equal_toIvEEjEE10hipError_tPvRmT2_T3_T4_T5_mT6_T7_P12ihipStream_tbENKUlT_T0_E_clISt17integral_constantIbLb1EES13_EEDaSY_SZ_EUlSY_E_NS1_11comp_targetILNS1_3genE5ELNS1_11target_archE942ELNS1_3gpuE9ELNS1_3repE0EEENS1_30default_config_static_selectorELNS0_4arch9wavefront6targetE1EEEvT1_
		.amdhsa_group_segment_fixed_size 0
		.amdhsa_private_segment_fixed_size 0
		.amdhsa_kernarg_size 112
		.amdhsa_user_sgpr_count 6
		.amdhsa_user_sgpr_private_segment_buffer 1
		.amdhsa_user_sgpr_dispatch_ptr 0
		.amdhsa_user_sgpr_queue_ptr 0
		.amdhsa_user_sgpr_kernarg_segment_ptr 1
		.amdhsa_user_sgpr_dispatch_id 0
		.amdhsa_user_sgpr_flat_scratch_init 0
		.amdhsa_user_sgpr_kernarg_preload_length 0
		.amdhsa_user_sgpr_kernarg_preload_offset 0
		.amdhsa_user_sgpr_private_segment_size 0
		.amdhsa_uses_dynamic_stack 0
		.amdhsa_system_sgpr_private_segment_wavefront_offset 0
		.amdhsa_system_sgpr_workgroup_id_x 1
		.amdhsa_system_sgpr_workgroup_id_y 0
		.amdhsa_system_sgpr_workgroup_id_z 0
		.amdhsa_system_sgpr_workgroup_info 0
		.amdhsa_system_vgpr_workitem_id 0
		.amdhsa_next_free_vgpr 1
		.amdhsa_next_free_sgpr 0
		.amdhsa_accum_offset 4
		.amdhsa_reserve_vcc 0
		.amdhsa_reserve_flat_scratch 0
		.amdhsa_float_round_mode_32 0
		.amdhsa_float_round_mode_16_64 0
		.amdhsa_float_denorm_mode_32 3
		.amdhsa_float_denorm_mode_16_64 3
		.amdhsa_dx10_clamp 1
		.amdhsa_ieee_mode 1
		.amdhsa_fp16_overflow 0
		.amdhsa_tg_split 0
		.amdhsa_exception_fp_ieee_invalid_op 0
		.amdhsa_exception_fp_denorm_src 0
		.amdhsa_exception_fp_ieee_div_zero 0
		.amdhsa_exception_fp_ieee_overflow 0
		.amdhsa_exception_fp_ieee_underflow 0
		.amdhsa_exception_fp_ieee_inexact 0
		.amdhsa_exception_int_div_zero 0
	.end_amdhsa_kernel
	.section	.text._ZN7rocprim17ROCPRIM_400000_NS6detail17trampoline_kernelINS0_14default_configENS1_27scan_by_key_config_selectorIijEEZZNS1_16scan_by_key_implILNS1_25lookback_scan_determinismE0ELb0ES3_N6thrust23THRUST_200600_302600_NS6detail15normal_iteratorINS9_10device_ptrIiEEEENSB_INSC_IjEEEENSB_INSC_IfEEEEjNS9_4plusIvEENS9_8equal_toIvEEjEE10hipError_tPvRmT2_T3_T4_T5_mT6_T7_P12ihipStream_tbENKUlT_T0_E_clISt17integral_constantIbLb1EES13_EEDaSY_SZ_EUlSY_E_NS1_11comp_targetILNS1_3genE5ELNS1_11target_archE942ELNS1_3gpuE9ELNS1_3repE0EEENS1_30default_config_static_selectorELNS0_4arch9wavefront6targetE1EEEvT1_,"axG",@progbits,_ZN7rocprim17ROCPRIM_400000_NS6detail17trampoline_kernelINS0_14default_configENS1_27scan_by_key_config_selectorIijEEZZNS1_16scan_by_key_implILNS1_25lookback_scan_determinismE0ELb0ES3_N6thrust23THRUST_200600_302600_NS6detail15normal_iteratorINS9_10device_ptrIiEEEENSB_INSC_IjEEEENSB_INSC_IfEEEEjNS9_4plusIvEENS9_8equal_toIvEEjEE10hipError_tPvRmT2_T3_T4_T5_mT6_T7_P12ihipStream_tbENKUlT_T0_E_clISt17integral_constantIbLb1EES13_EEDaSY_SZ_EUlSY_E_NS1_11comp_targetILNS1_3genE5ELNS1_11target_archE942ELNS1_3gpuE9ELNS1_3repE0EEENS1_30default_config_static_selectorELNS0_4arch9wavefront6targetE1EEEvT1_,comdat
.Lfunc_end1655:
	.size	_ZN7rocprim17ROCPRIM_400000_NS6detail17trampoline_kernelINS0_14default_configENS1_27scan_by_key_config_selectorIijEEZZNS1_16scan_by_key_implILNS1_25lookback_scan_determinismE0ELb0ES3_N6thrust23THRUST_200600_302600_NS6detail15normal_iteratorINS9_10device_ptrIiEEEENSB_INSC_IjEEEENSB_INSC_IfEEEEjNS9_4plusIvEENS9_8equal_toIvEEjEE10hipError_tPvRmT2_T3_T4_T5_mT6_T7_P12ihipStream_tbENKUlT_T0_E_clISt17integral_constantIbLb1EES13_EEDaSY_SZ_EUlSY_E_NS1_11comp_targetILNS1_3genE5ELNS1_11target_archE942ELNS1_3gpuE9ELNS1_3repE0EEENS1_30default_config_static_selectorELNS0_4arch9wavefront6targetE1EEEvT1_, .Lfunc_end1655-_ZN7rocprim17ROCPRIM_400000_NS6detail17trampoline_kernelINS0_14default_configENS1_27scan_by_key_config_selectorIijEEZZNS1_16scan_by_key_implILNS1_25lookback_scan_determinismE0ELb0ES3_N6thrust23THRUST_200600_302600_NS6detail15normal_iteratorINS9_10device_ptrIiEEEENSB_INSC_IjEEEENSB_INSC_IfEEEEjNS9_4plusIvEENS9_8equal_toIvEEjEE10hipError_tPvRmT2_T3_T4_T5_mT6_T7_P12ihipStream_tbENKUlT_T0_E_clISt17integral_constantIbLb1EES13_EEDaSY_SZ_EUlSY_E_NS1_11comp_targetILNS1_3genE5ELNS1_11target_archE942ELNS1_3gpuE9ELNS1_3repE0EEENS1_30default_config_static_selectorELNS0_4arch9wavefront6targetE1EEEvT1_
                                        ; -- End function
	.section	.AMDGPU.csdata,"",@progbits
; Kernel info:
; codeLenInByte = 0
; NumSgprs: 4
; NumVgprs: 0
; NumAgprs: 0
; TotalNumVgprs: 0
; ScratchSize: 0
; MemoryBound: 0
; FloatMode: 240
; IeeeMode: 1
; LDSByteSize: 0 bytes/workgroup (compile time only)
; SGPRBlocks: 0
; VGPRBlocks: 0
; NumSGPRsForWavesPerEU: 4
; NumVGPRsForWavesPerEU: 1
; AccumOffset: 4
; Occupancy: 8
; WaveLimiterHint : 0
; COMPUTE_PGM_RSRC2:SCRATCH_EN: 0
; COMPUTE_PGM_RSRC2:USER_SGPR: 6
; COMPUTE_PGM_RSRC2:TRAP_HANDLER: 0
; COMPUTE_PGM_RSRC2:TGID_X_EN: 1
; COMPUTE_PGM_RSRC2:TGID_Y_EN: 0
; COMPUTE_PGM_RSRC2:TGID_Z_EN: 0
; COMPUTE_PGM_RSRC2:TIDIG_COMP_CNT: 0
; COMPUTE_PGM_RSRC3_GFX90A:ACCUM_OFFSET: 0
; COMPUTE_PGM_RSRC3_GFX90A:TG_SPLIT: 0
	.section	.text._ZN7rocprim17ROCPRIM_400000_NS6detail17trampoline_kernelINS0_14default_configENS1_27scan_by_key_config_selectorIijEEZZNS1_16scan_by_key_implILNS1_25lookback_scan_determinismE0ELb0ES3_N6thrust23THRUST_200600_302600_NS6detail15normal_iteratorINS9_10device_ptrIiEEEENSB_INSC_IjEEEENSB_INSC_IfEEEEjNS9_4plusIvEENS9_8equal_toIvEEjEE10hipError_tPvRmT2_T3_T4_T5_mT6_T7_P12ihipStream_tbENKUlT_T0_E_clISt17integral_constantIbLb1EES13_EEDaSY_SZ_EUlSY_E_NS1_11comp_targetILNS1_3genE4ELNS1_11target_archE910ELNS1_3gpuE8ELNS1_3repE0EEENS1_30default_config_static_selectorELNS0_4arch9wavefront6targetE1EEEvT1_,"axG",@progbits,_ZN7rocprim17ROCPRIM_400000_NS6detail17trampoline_kernelINS0_14default_configENS1_27scan_by_key_config_selectorIijEEZZNS1_16scan_by_key_implILNS1_25lookback_scan_determinismE0ELb0ES3_N6thrust23THRUST_200600_302600_NS6detail15normal_iteratorINS9_10device_ptrIiEEEENSB_INSC_IjEEEENSB_INSC_IfEEEEjNS9_4plusIvEENS9_8equal_toIvEEjEE10hipError_tPvRmT2_T3_T4_T5_mT6_T7_P12ihipStream_tbENKUlT_T0_E_clISt17integral_constantIbLb1EES13_EEDaSY_SZ_EUlSY_E_NS1_11comp_targetILNS1_3genE4ELNS1_11target_archE910ELNS1_3gpuE8ELNS1_3repE0EEENS1_30default_config_static_selectorELNS0_4arch9wavefront6targetE1EEEvT1_,comdat
	.protected	_ZN7rocprim17ROCPRIM_400000_NS6detail17trampoline_kernelINS0_14default_configENS1_27scan_by_key_config_selectorIijEEZZNS1_16scan_by_key_implILNS1_25lookback_scan_determinismE0ELb0ES3_N6thrust23THRUST_200600_302600_NS6detail15normal_iteratorINS9_10device_ptrIiEEEENSB_INSC_IjEEEENSB_INSC_IfEEEEjNS9_4plusIvEENS9_8equal_toIvEEjEE10hipError_tPvRmT2_T3_T4_T5_mT6_T7_P12ihipStream_tbENKUlT_T0_E_clISt17integral_constantIbLb1EES13_EEDaSY_SZ_EUlSY_E_NS1_11comp_targetILNS1_3genE4ELNS1_11target_archE910ELNS1_3gpuE8ELNS1_3repE0EEENS1_30default_config_static_selectorELNS0_4arch9wavefront6targetE1EEEvT1_ ; -- Begin function _ZN7rocprim17ROCPRIM_400000_NS6detail17trampoline_kernelINS0_14default_configENS1_27scan_by_key_config_selectorIijEEZZNS1_16scan_by_key_implILNS1_25lookback_scan_determinismE0ELb0ES3_N6thrust23THRUST_200600_302600_NS6detail15normal_iteratorINS9_10device_ptrIiEEEENSB_INSC_IjEEEENSB_INSC_IfEEEEjNS9_4plusIvEENS9_8equal_toIvEEjEE10hipError_tPvRmT2_T3_T4_T5_mT6_T7_P12ihipStream_tbENKUlT_T0_E_clISt17integral_constantIbLb1EES13_EEDaSY_SZ_EUlSY_E_NS1_11comp_targetILNS1_3genE4ELNS1_11target_archE910ELNS1_3gpuE8ELNS1_3repE0EEENS1_30default_config_static_selectorELNS0_4arch9wavefront6targetE1EEEvT1_
	.globl	_ZN7rocprim17ROCPRIM_400000_NS6detail17trampoline_kernelINS0_14default_configENS1_27scan_by_key_config_selectorIijEEZZNS1_16scan_by_key_implILNS1_25lookback_scan_determinismE0ELb0ES3_N6thrust23THRUST_200600_302600_NS6detail15normal_iteratorINS9_10device_ptrIiEEEENSB_INSC_IjEEEENSB_INSC_IfEEEEjNS9_4plusIvEENS9_8equal_toIvEEjEE10hipError_tPvRmT2_T3_T4_T5_mT6_T7_P12ihipStream_tbENKUlT_T0_E_clISt17integral_constantIbLb1EES13_EEDaSY_SZ_EUlSY_E_NS1_11comp_targetILNS1_3genE4ELNS1_11target_archE910ELNS1_3gpuE8ELNS1_3repE0EEENS1_30default_config_static_selectorELNS0_4arch9wavefront6targetE1EEEvT1_
	.p2align	8
	.type	_ZN7rocprim17ROCPRIM_400000_NS6detail17trampoline_kernelINS0_14default_configENS1_27scan_by_key_config_selectorIijEEZZNS1_16scan_by_key_implILNS1_25lookback_scan_determinismE0ELb0ES3_N6thrust23THRUST_200600_302600_NS6detail15normal_iteratorINS9_10device_ptrIiEEEENSB_INSC_IjEEEENSB_INSC_IfEEEEjNS9_4plusIvEENS9_8equal_toIvEEjEE10hipError_tPvRmT2_T3_T4_T5_mT6_T7_P12ihipStream_tbENKUlT_T0_E_clISt17integral_constantIbLb1EES13_EEDaSY_SZ_EUlSY_E_NS1_11comp_targetILNS1_3genE4ELNS1_11target_archE910ELNS1_3gpuE8ELNS1_3repE0EEENS1_30default_config_static_selectorELNS0_4arch9wavefront6targetE1EEEvT1_,@function
_ZN7rocprim17ROCPRIM_400000_NS6detail17trampoline_kernelINS0_14default_configENS1_27scan_by_key_config_selectorIijEEZZNS1_16scan_by_key_implILNS1_25lookback_scan_determinismE0ELb0ES3_N6thrust23THRUST_200600_302600_NS6detail15normal_iteratorINS9_10device_ptrIiEEEENSB_INSC_IjEEEENSB_INSC_IfEEEEjNS9_4plusIvEENS9_8equal_toIvEEjEE10hipError_tPvRmT2_T3_T4_T5_mT6_T7_P12ihipStream_tbENKUlT_T0_E_clISt17integral_constantIbLb1EES13_EEDaSY_SZ_EUlSY_E_NS1_11comp_targetILNS1_3genE4ELNS1_11target_archE910ELNS1_3gpuE8ELNS1_3repE0EEENS1_30default_config_static_selectorELNS0_4arch9wavefront6targetE1EEEvT1_: ; @_ZN7rocprim17ROCPRIM_400000_NS6detail17trampoline_kernelINS0_14default_configENS1_27scan_by_key_config_selectorIijEEZZNS1_16scan_by_key_implILNS1_25lookback_scan_determinismE0ELb0ES3_N6thrust23THRUST_200600_302600_NS6detail15normal_iteratorINS9_10device_ptrIiEEEENSB_INSC_IjEEEENSB_INSC_IfEEEEjNS9_4plusIvEENS9_8equal_toIvEEjEE10hipError_tPvRmT2_T3_T4_T5_mT6_T7_P12ihipStream_tbENKUlT_T0_E_clISt17integral_constantIbLb1EES13_EEDaSY_SZ_EUlSY_E_NS1_11comp_targetILNS1_3genE4ELNS1_11target_archE910ELNS1_3gpuE8ELNS1_3repE0EEENS1_30default_config_static_selectorELNS0_4arch9wavefront6targetE1EEEvT1_
; %bb.0:
	s_load_dwordx4 s[56:59], s[4:5], 0x28
	s_load_dwordx2 s[60:61], s[4:5], 0x38
	v_cmp_ne_u32_e64 s[36:37], 0, v0
	v_cmp_eq_u32_e64 s[0:1], 0, v0
	s_and_saveexec_b64 s[2:3], s[0:1]
	s_cbranch_execz .LBB1656_4
; %bb.1:
	s_mov_b64 s[8:9], exec
	v_mbcnt_lo_u32_b32 v1, s8, 0
	v_mbcnt_hi_u32_b32 v1, s9, v1
	v_cmp_eq_u32_e32 vcc, 0, v1
                                        ; implicit-def: $vgpr2
	s_and_saveexec_b64 s[6:7], vcc
	s_cbranch_execz .LBB1656_3
; %bb.2:
	s_load_dwordx2 s[10:11], s[4:5], 0x68
	s_bcnt1_i32_b64 s8, s[8:9]
	v_mov_b32_e32 v2, 0
	v_mov_b32_e32 v3, s8
	s_waitcnt lgkmcnt(0)
	global_atomic_add v2, v2, v3, s[10:11] glc
.LBB1656_3:
	s_or_b64 exec, exec, s[6:7]
	s_waitcnt vmcnt(0)
	v_readfirstlane_b32 s6, v2
	v_add_u32_e32 v1, s6, v1
	v_mov_b32_e32 v2, 0
	ds_write_b32 v2, v1
.LBB1656_4:
	s_or_b64 exec, exec, s[2:3]
	s_load_dwordx8 s[40:47], s[4:5], 0x0
	s_load_dword s2, s[4:5], 0x40
	s_load_dwordx8 s[48:55], s[4:5], 0x48
	v_mov_b32_e32 v1, 0
	s_waitcnt lgkmcnt(0)
	s_barrier
	ds_read_b32 v1, v1
	s_lshl_b64 s[38:39], s[42:43], 2
	s_add_u32 s4, s40, s38
	s_addc_u32 s5, s41, s39
	s_add_u32 s6, s44, s38
	s_mul_i32 s3, s61, s2
	s_mul_hi_u32 s8, s60, s2
	s_addc_u32 s7, s45, s39
	s_add_i32 s8, s8, s3
	s_waitcnt lgkmcnt(0)
	v_readfirstlane_b32 s59, v1
	s_mul_i32 s9, s60, s2
	s_cmp_lg_u64 s[52:53], 0
	s_mov_b32 s3, 0
	s_mul_i32 s2, s59, 0xe00
	s_cselect_b64 s[44:45], -1, 0
	s_lshl_b64 s[40:41], s[2:3], 2
	s_add_u32 s42, s4, s40
	s_addc_u32 s43, s5, s41
	s_add_u32 s62, s6, s40
	s_addc_u32 s63, s7, s41
	s_add_u32 s52, s9, s59
	s_addc_u32 s53, s8, 0
	s_add_u32 s4, s48, -1
	s_addc_u32 s5, s49, -1
	v_pk_mov_b32 v[2:3], s[4:5], s[4:5] op_sel:[0,1]
	v_cmp_ge_u64_e64 s[2:3], s[52:53], v[2:3]
	s_mov_b64 s[18:19], 0
	s_mov_b64 s[12:13], -1
	s_and_b64 vcc, exec, s[2:3]
	s_mul_i32 s33, s4, 0xfffff200
	s_barrier
	s_barrier
	s_cbranch_vccz .LBB1656_81
; %bb.5:
	v_pk_mov_b32 v[2:3], s[42:43], s[42:43] op_sel:[0,1]
	flat_load_dword v1, v[2:3]
	s_add_i32 s64, s33, s58
	v_cmp_gt_u32_e64 s[6:7], s64, v0
	s_waitcnt vmcnt(0) lgkmcnt(0)
	v_mov_b32_e32 v13, v1
	s_and_saveexec_b64 s[4:5], s[6:7]
	s_cbranch_execz .LBB1656_7
; %bb.6:
	v_lshlrev_b32_e32 v2, 2, v0
	v_mov_b32_e32 v3, s43
	v_add_co_u32_e32 v2, vcc, s42, v2
	v_addc_co_u32_e32 v3, vcc, 0, v3, vcc
	flat_load_dword v13, v[2:3]
.LBB1656_7:
	s_or_b64 exec, exec, s[4:5]
	v_or_b32_e32 v2, 0x100, v0
	v_cmp_gt_u32_e64 s[8:9], s64, v2
	v_mov_b32_e32 v14, v1
	s_and_saveexec_b64 s[4:5], s[8:9]
	s_cbranch_execz .LBB1656_9
; %bb.8:
	v_lshlrev_b32_e32 v2, 2, v0
	v_mov_b32_e32 v3, s43
	v_add_co_u32_e32 v2, vcc, s42, v2
	v_addc_co_u32_e32 v3, vcc, 0, v3, vcc
	flat_load_dword v14, v[2:3] offset:1024
.LBB1656_9:
	s_or_b64 exec, exec, s[4:5]
	v_or_b32_e32 v2, 0x200, v0
	v_cmp_gt_u32_e64 s[10:11], s64, v2
	v_mov_b32_e32 v15, v1
	s_and_saveexec_b64 s[4:5], s[10:11]
	s_cbranch_execz .LBB1656_11
; %bb.10:
	v_lshlrev_b32_e32 v2, 2, v0
	v_mov_b32_e32 v3, s43
	v_add_co_u32_e32 v2, vcc, s42, v2
	v_addc_co_u32_e32 v3, vcc, 0, v3, vcc
	flat_load_dword v15, v[2:3] offset:2048
.LBB1656_11:
	;; [unrolled: 13-line block ×3, first 2 shown]
	s_or_b64 exec, exec, s[4:5]
	v_or_b32_e32 v2, 0x400, v0
	v_cmp_gt_u32_e64 s[14:15], s64, v2
	v_mov_b32_e32 v17, v1
	s_and_saveexec_b64 s[4:5], s[14:15]
	s_cbranch_execz .LBB1656_15
; %bb.14:
	v_lshlrev_b32_e32 v3, 2, v2
	v_mov_b32_e32 v5, s43
	v_add_co_u32_e32 v4, vcc, s42, v3
	v_addc_co_u32_e32 v5, vcc, 0, v5, vcc
	flat_load_dword v17, v[4:5]
.LBB1656_15:
	s_or_b64 exec, exec, s[4:5]
	v_or_b32_e32 v3, 0x500, v0
	v_cmp_gt_u32_e64 s[16:17], s64, v3
	v_mov_b32_e32 v18, v1
	s_and_saveexec_b64 s[4:5], s[16:17]
	s_cbranch_execz .LBB1656_17
; %bb.16:
	v_lshlrev_b32_e32 v4, 2, v3
	v_mov_b32_e32 v5, s43
	v_add_co_u32_e32 v4, vcc, s42, v4
	v_addc_co_u32_e32 v5, vcc, 0, v5, vcc
	flat_load_dword v18, v[4:5]
.LBB1656_17:
	;; [unrolled: 13-line block ×9, first 2 shown]
	s_or_b64 exec, exec, s[4:5]
	v_or_b32_e32 v11, 0xd00, v0
	v_cmp_gt_u32_e64 s[34:35], s64, v11
	s_and_saveexec_b64 s[4:5], s[34:35]
	s_cbranch_execz .LBB1656_33
; %bb.32:
	v_lshlrev_b32_e32 v1, 2, v11
	v_mov_b32_e32 v12, s43
	v_add_co_u32_e32 v26, vcc, s42, v1
	v_addc_co_u32_e32 v27, vcc, 0, v12, vcc
	flat_load_dword v1, v[26:27]
.LBB1656_33:
	s_or_b64 exec, exec, s[4:5]
	v_lshlrev_b32_e32 v12, 2, v0
	s_waitcnt vmcnt(0) lgkmcnt(0)
	ds_write2st64_b32 v12, v13, v14 offset1:4
	ds_write2st64_b32 v12, v15, v16 offset0:8 offset1:12
	ds_write2st64_b32 v12, v17, v18 offset0:16 offset1:20
	;; [unrolled: 1-line block ×6, first 2 shown]
	v_mad_u32_u24 v1, v0, 52, v12
	s_waitcnt lgkmcnt(0)
	s_barrier
	ds_read2_b64 v[34:37], v1 offset1:1
	ds_read2_b64 v[30:33], v1 offset0:2 offset1:3
	ds_read2_b64 v[26:29], v1 offset0:4 offset1:5
	ds_read_b64 v[40:41], v1 offset:48
	s_cmp_eq_u64 s[52:53], 0
	s_mov_b64 s[4:5], s[42:43]
	s_cbranch_scc1 .LBB1656_37
; %bb.34:
	s_andn2_b64 vcc, exec, s[44:45]
	s_cbranch_vccnz .LBB1656_187
; %bb.35:
	s_lshl_b64 s[4:5], s[52:53], 2
	s_add_u32 s4, s54, s4
	s_addc_u32 s5, s55, s5
	s_add_u32 s4, s4, -4
	s_addc_u32 s5, s5, -1
	s_cbranch_execnz .LBB1656_37
.LBB1656_36:
	s_add_u32 s4, s42, -4
	s_addc_u32 s5, s43, -1
.LBB1656_37:
	v_pk_mov_b32 v[14:15], s[4:5], s[4:5] op_sel:[0,1]
	flat_load_dword v44, v[14:15]
	s_movk_i32 s4, 0xffcc
	v_mad_i32_i24 v13, v0, s4, v1
	s_waitcnt lgkmcnt(0)
	ds_write_b32 v13, v41 offset:14336
	s_waitcnt lgkmcnt(0)
	s_barrier
	s_and_saveexec_b64 s[4:5], s[36:37]
	s_cbranch_execz .LBB1656_39
; %bb.38:
	v_mul_i32_i24_e32 v13, 0xffffffcc, v0
	v_add_u32_e32 v13, v1, v13
	s_waitcnt vmcnt(0)
	ds_read_b32 v44, v13 offset:14332
.LBB1656_39:
	s_or_b64 exec, exec, s[4:5]
	s_waitcnt lgkmcnt(0)
	s_barrier
	s_waitcnt lgkmcnt(0)
                                        ; implicit-def: $vgpr13
	s_and_saveexec_b64 s[4:5], s[6:7]
	s_cbranch_execnz .LBB1656_174
; %bb.40:
	s_or_b64 exec, exec, s[4:5]
                                        ; implicit-def: $vgpr14
	s_and_saveexec_b64 s[4:5], s[8:9]
	s_cbranch_execnz .LBB1656_175
.LBB1656_41:
	s_or_b64 exec, exec, s[4:5]
                                        ; implicit-def: $vgpr15
	s_and_saveexec_b64 s[4:5], s[10:11]
	s_cbranch_execnz .LBB1656_176
.LBB1656_42:
	s_or_b64 exec, exec, s[4:5]
                                        ; implicit-def: $vgpr16
	s_and_saveexec_b64 s[4:5], s[12:13]
	s_cbranch_execnz .LBB1656_177
.LBB1656_43:
	s_or_b64 exec, exec, s[4:5]
                                        ; implicit-def: $vgpr17
	s_and_saveexec_b64 s[4:5], s[14:15]
	s_cbranch_execnz .LBB1656_178
.LBB1656_44:
	s_or_b64 exec, exec, s[4:5]
                                        ; implicit-def: $vgpr2
	s_and_saveexec_b64 s[4:5], s[16:17]
	s_cbranch_execnz .LBB1656_179
.LBB1656_45:
	s_or_b64 exec, exec, s[4:5]
                                        ; implicit-def: $vgpr3
	s_and_saveexec_b64 s[4:5], s[18:19]
	s_cbranch_execnz .LBB1656_180
.LBB1656_46:
	s_or_b64 exec, exec, s[4:5]
                                        ; implicit-def: $vgpr4
	s_and_saveexec_b64 s[4:5], s[20:21]
	s_cbranch_execnz .LBB1656_181
.LBB1656_47:
	s_or_b64 exec, exec, s[4:5]
                                        ; implicit-def: $vgpr5
	s_and_saveexec_b64 s[4:5], s[22:23]
	s_cbranch_execnz .LBB1656_182
.LBB1656_48:
	s_or_b64 exec, exec, s[4:5]
                                        ; implicit-def: $vgpr6
	s_and_saveexec_b64 s[4:5], s[24:25]
	s_cbranch_execnz .LBB1656_183
.LBB1656_49:
	s_or_b64 exec, exec, s[4:5]
                                        ; implicit-def: $vgpr7
	s_and_saveexec_b64 s[4:5], s[26:27]
	s_cbranch_execnz .LBB1656_184
.LBB1656_50:
	s_or_b64 exec, exec, s[4:5]
                                        ; implicit-def: $vgpr8
	s_and_saveexec_b64 s[4:5], s[28:29]
	s_cbranch_execnz .LBB1656_185
.LBB1656_51:
	s_or_b64 exec, exec, s[4:5]
                                        ; implicit-def: $vgpr9
	s_and_saveexec_b64 s[4:5], s[30:31]
	s_cbranch_execnz .LBB1656_186
.LBB1656_52:
	s_or_b64 exec, exec, s[4:5]
                                        ; implicit-def: $vgpr10
	s_and_saveexec_b64 s[4:5], s[34:35]
	s_cbranch_execz .LBB1656_54
.LBB1656_53:
	v_lshlrev_b32_e32 v10, 2, v11
	v_mov_b32_e32 v11, s63
	v_add_co_u32_e32 v10, vcc, s62, v10
	v_addc_co_u32_e32 v11, vcc, 0, v11, vcc
	flat_load_dword v10, v[10:11]
.LBB1656_54:
	s_or_b64 exec, exec, s[4:5]
	s_mov_b32 s4, 0
	s_mov_b32 s5, s4
	s_waitcnt vmcnt(0) lgkmcnt(0)
	ds_write2st64_b32 v12, v13, v14 offset1:4
	ds_write2st64_b32 v12, v15, v16 offset0:8 offset1:12
	ds_write2st64_b32 v12, v17, v2 offset0:16 offset1:20
	;; [unrolled: 1-line block ×6, first 2 shown]
	s_mov_b32 s6, s4
	s_mov_b32 s7, s4
	;; [unrolled: 1-line block ×6, first 2 shown]
	v_pk_mov_b32 v[2:3], s[4:5], s[4:5] op_sel:[0,1]
	v_pk_mov_b32 v[8:9], s[10:11], s[10:11] op_sel:[0,1]
	v_mul_u32_u24_e32 v42, 14, v0
	v_pk_mov_b32 v[4:5], s[6:7], s[6:7] op_sel:[0,1]
	v_pk_mov_b32 v[6:7], s[8:9], s[8:9] op_sel:[0,1]
	;; [unrolled: 1-line block ×4, first 2 shown]
	v_cmp_gt_u32_e32 vcc, s64, v42
	s_mov_b64 s[12:13], 0
	v_pk_mov_b32 v[38:39], 0, 0
	s_mov_b64 s[18:19], 0
	v_pk_mov_b32 v[14:15], v[6:7], v[6:7] op_sel:[0,1]
	v_pk_mov_b32 v[12:13], v[4:5], v[4:5] op_sel:[0,1]
	;; [unrolled: 1-line block ×6, first 2 shown]
	s_waitcnt lgkmcnt(0)
	s_barrier
	s_waitcnt lgkmcnt(0)
                                        ; implicit-def: $sgpr16_sgpr17
                                        ; implicit-def: $vgpr43
	s_and_saveexec_b64 s[14:15], vcc
	s_cbranch_execz .LBB1656_80
; %bb.55:
	v_or_b32_e32 v2, 1, v42
	ds_read_b32 v38, v1
	v_cmp_ne_u32_e32 vcc, v44, v34
	v_cndmask_b32_e64 v39, 0, 1, vcc
	v_cmp_gt_u32_e32 vcc, s64, v2
	v_pk_mov_b32 v[2:3], s[4:5], s[4:5] op_sel:[0,1]
	v_pk_mov_b32 v[8:9], s[10:11], s[10:11] op_sel:[0,1]
	;; [unrolled: 1-line block ×12, first 2 shown]
                                        ; implicit-def: $sgpr4_sgpr5
                                        ; implicit-def: $vgpr43
	s_and_saveexec_b64 s[16:17], vcc
	s_cbranch_execz .LBB1656_79
; %bb.56:
	ds_read2_b32 v[44:45], v1 offset0:1 offset1:2
	s_mov_b32 s4, 0
	s_mov_b32 s10, s4
	;; [unrolled: 1-line block ×8, first 2 shown]
	v_pk_mov_b32 v[16:17], s[10:11], s[10:11] op_sel:[0,1]
	v_add_u32_e32 v2, 2, v42
	v_cmp_ne_u32_e32 vcc, v34, v35
	v_mov_b32_e32 v6, 0
	v_pk_mov_b32 v[14:15], s[8:9], s[8:9] op_sel:[0,1]
	v_pk_mov_b32 v[12:13], s[6:7], s[6:7] op_sel:[0,1]
	;; [unrolled: 1-line block ×4, first 2 shown]
	v_cndmask_b32_e64 v3, 0, 1, vcc
	v_cmp_gt_u32_e32 vcc, s64, v2
	s_waitcnt lgkmcnt(0)
	v_mov_b32_e32 v2, v44
	v_mov_b32_e32 v4, v6
	;; [unrolled: 1-line block ×6, first 2 shown]
	s_mov_b64 s[20:21], 0
	v_pk_mov_b32 v[22:23], v[14:15], v[14:15] op_sel:[0,1]
	v_pk_mov_b32 v[20:21], v[12:13], v[12:13] op_sel:[0,1]
	;; [unrolled: 1-line block ×3, first 2 shown]
                                        ; implicit-def: $sgpr24_sgpr25
                                        ; implicit-def: $vgpr43
	s_and_saveexec_b64 s[18:19], vcc
	s_cbranch_execz .LBB1656_78
; %bb.57:
	v_pk_mov_b32 v[16:17], s[10:11], s[10:11] op_sel:[0,1]
	v_add_u32_e32 v2, 3, v42
	v_cmp_ne_u32_e32 vcc, v35, v36
	v_pk_mov_b32 v[14:15], s[8:9], s[8:9] op_sel:[0,1]
	v_pk_mov_b32 v[12:13], s[6:7], s[6:7] op_sel:[0,1]
	;; [unrolled: 1-line block ×4, first 2 shown]
	v_cndmask_b32_e64 v5, 0, 1, vcc
	v_cmp_gt_u32_e32 vcc, s64, v2
	v_mov_b32_e32 v2, v44
	v_mov_b32_e32 v4, v45
	;; [unrolled: 1-line block ×5, first 2 shown]
	s_mov_b64 s[22:23], 0
	v_pk_mov_b32 v[22:23], v[14:15], v[14:15] op_sel:[0,1]
	v_pk_mov_b32 v[20:21], v[12:13], v[12:13] op_sel:[0,1]
	;; [unrolled: 1-line block ×3, first 2 shown]
                                        ; implicit-def: $sgpr4_sgpr5
                                        ; implicit-def: $vgpr43
	s_and_saveexec_b64 s[20:21], vcc
	s_cbranch_execz .LBB1656_77
; %bb.58:
	ds_read2_b32 v[34:35], v1 offset0:3 offset1:4
	s_mov_b32 s4, 0
	s_mov_b32 s10, s4
	;; [unrolled: 1-line block ×8, first 2 shown]
	v_pk_mov_b32 v[16:17], s[10:11], s[10:11] op_sel:[0,1]
	v_add_u32_e32 v6, 4, v42
	v_cmp_ne_u32_e32 vcc, v36, v37
	v_pk_mov_b32 v[14:15], s[8:9], s[8:9] op_sel:[0,1]
	v_pk_mov_b32 v[12:13], s[6:7], s[6:7] op_sel:[0,1]
	;; [unrolled: 1-line block ×4, first 2 shown]
	v_cndmask_b32_e64 v7, 0, 1, vcc
	v_cmp_gt_u32_e32 vcc, s64, v6
	s_waitcnt lgkmcnt(0)
	v_mov_b32_e32 v6, v34
	v_mov_b32_e32 v8, s4
	;; [unrolled: 1-line block ×3, first 2 shown]
	s_mov_b64 s[24:25], 0
	v_pk_mov_b32 v[22:23], v[14:15], v[14:15] op_sel:[0,1]
	v_pk_mov_b32 v[20:21], v[12:13], v[12:13] op_sel:[0,1]
	;; [unrolled: 1-line block ×3, first 2 shown]
                                        ; implicit-def: $sgpr26_sgpr27
                                        ; implicit-def: $vgpr43
	s_and_saveexec_b64 s[22:23], vcc
	s_cbranch_execz .LBB1656_76
; %bb.59:
	v_pk_mov_b32 v[16:17], s[10:11], s[10:11] op_sel:[0,1]
	v_add_u32_e32 v8, 5, v42
	v_cmp_ne_u32_e32 vcc, v37, v30
	v_pk_mov_b32 v[14:15], s[8:9], s[8:9] op_sel:[0,1]
	v_pk_mov_b32 v[12:13], s[6:7], s[6:7] op_sel:[0,1]
	;; [unrolled: 1-line block ×4, first 2 shown]
	v_cndmask_b32_e64 v9, 0, 1, vcc
	v_cmp_gt_u32_e32 vcc, s64, v8
	v_mov_b32_e32 v8, v35
	s_mov_b64 s[28:29], 0
	v_pk_mov_b32 v[22:23], v[14:15], v[14:15] op_sel:[0,1]
	v_pk_mov_b32 v[20:21], v[12:13], v[12:13] op_sel:[0,1]
	;; [unrolled: 1-line block ×3, first 2 shown]
                                        ; implicit-def: $sgpr4_sgpr5
                                        ; implicit-def: $vgpr43
	s_and_saveexec_b64 s[24:25], vcc
	s_cbranch_execz .LBB1656_75
; %bb.60:
	ds_read2_b32 v[34:35], v1 offset0:5 offset1:6
	s_mov_b32 s4, 0
	s_mov_b32 s10, s4
	;; [unrolled: 1-line block ×3, first 2 shown]
	v_add_u32_e32 v10, 6, v42
	v_cmp_ne_u32_e32 vcc, v30, v31
	v_mov_b32_e32 v14, 0
	s_mov_b32 s5, s4
	s_mov_b32 s6, s4
	s_mov_b32 s7, s4
	s_mov_b32 s8, s4
	s_mov_b32 s9, s4
	v_pk_mov_b32 v[24:25], s[10:11], s[10:11] op_sel:[0,1]
	v_cndmask_b32_e64 v11, 0, 1, vcc
	v_cmp_gt_u32_e32 vcc, s64, v10
	s_waitcnt lgkmcnt(0)
	v_mov_b32_e32 v10, v34
	v_mov_b32_e32 v12, v14
	;; [unrolled: 1-line block ×6, first 2 shown]
	v_pk_mov_b32 v[22:23], s[8:9], s[8:9] op_sel:[0,1]
	v_pk_mov_b32 v[20:21], s[6:7], s[6:7] op_sel:[0,1]
	;; [unrolled: 1-line block ×3, first 2 shown]
                                        ; implicit-def: $sgpr34_sgpr35
                                        ; implicit-def: $vgpr43
	s_and_saveexec_b64 s[26:27], vcc
	s_cbranch_execz .LBB1656_74
; %bb.61:
	v_add_u32_e32 v10, 7, v42
	v_cmp_ne_u32_e32 vcc, v31, v32
	v_pk_mov_b32 v[24:25], s[10:11], s[10:11] op_sel:[0,1]
	v_cndmask_b32_e64 v13, 0, 1, vcc
	v_cmp_gt_u32_e32 vcc, s64, v10
	v_mov_b32_e32 v10, v34
	v_mov_b32_e32 v12, v35
	;; [unrolled: 1-line block ×5, first 2 shown]
	s_mov_b64 s[30:31], 0
	v_pk_mov_b32 v[22:23], s[8:9], s[8:9] op_sel:[0,1]
	v_pk_mov_b32 v[20:21], s[6:7], s[6:7] op_sel:[0,1]
	;; [unrolled: 1-line block ×3, first 2 shown]
                                        ; implicit-def: $sgpr4_sgpr5
                                        ; implicit-def: $vgpr43
	s_and_saveexec_b64 s[28:29], vcc
	s_cbranch_execz .LBB1656_73
; %bb.62:
	ds_read2_b32 v[30:31], v1 offset0:7 offset1:8
	s_mov_b32 s4, 0
	s_mov_b32 s10, s4
	;; [unrolled: 1-line block ×3, first 2 shown]
	v_add_u32_e32 v14, 8, v42
	v_cmp_ne_u32_e32 vcc, v32, v33
	s_mov_b32 s5, s4
	s_mov_b32 s6, s4
	;; [unrolled: 1-line block ×5, first 2 shown]
	v_pk_mov_b32 v[24:25], s[10:11], s[10:11] op_sel:[0,1]
	v_cndmask_b32_e64 v15, 0, 1, vcc
	v_cmp_gt_u32_e32 vcc, s64, v14
	s_waitcnt lgkmcnt(0)
	v_mov_b32_e32 v14, v30
	v_mov_b32_e32 v16, s4
	;; [unrolled: 1-line block ×3, first 2 shown]
	s_mov_b64 s[34:35], 0
	v_pk_mov_b32 v[22:23], s[8:9], s[8:9] op_sel:[0,1]
	v_pk_mov_b32 v[20:21], s[6:7], s[6:7] op_sel:[0,1]
	;; [unrolled: 1-line block ×3, first 2 shown]
                                        ; implicit-def: $sgpr48_sgpr49
                                        ; implicit-def: $vgpr43
	s_and_saveexec_b64 s[30:31], vcc
	s_cbranch_execz .LBB1656_72
; %bb.63:
	v_add_u32_e32 v16, 9, v42
	v_cmp_ne_u32_e32 vcc, v33, v26
	v_pk_mov_b32 v[24:25], s[10:11], s[10:11] op_sel:[0,1]
	v_cndmask_b32_e64 v17, 0, 1, vcc
	v_cmp_gt_u32_e32 vcc, s64, v16
	v_mov_b32_e32 v16, v31
	v_pk_mov_b32 v[22:23], s[8:9], s[8:9] op_sel:[0,1]
	v_pk_mov_b32 v[20:21], s[6:7], s[6:7] op_sel:[0,1]
	;; [unrolled: 1-line block ×3, first 2 shown]
                                        ; implicit-def: $sgpr8_sgpr9
                                        ; implicit-def: $vgpr43
	s_and_saveexec_b64 s[6:7], vcc
	s_cbranch_execz .LBB1656_71
; %bb.64:
	ds_read2_b32 v[30:31], v1 offset0:9 offset1:10
	v_add_u32_e32 v18, 10, v42
	v_cmp_ne_u32_e32 vcc, v26, v27
	v_mov_b32_e32 v22, 0
	v_cndmask_b32_e64 v19, 0, 1, vcc
	v_cmp_gt_u32_e32 vcc, s64, v18
	s_waitcnt lgkmcnt(0)
	v_mov_b32_e32 v18, v30
	v_mov_b32_e32 v20, v22
	;; [unrolled: 1-line block ×6, first 2 shown]
	s_mov_b64 s[4:5], 0
                                        ; implicit-def: $sgpr10_sgpr11
                                        ; implicit-def: $vgpr43
	s_and_saveexec_b64 s[8:9], vcc
	s_cbranch_execz .LBB1656_70
; %bb.65:
	v_add_u32_e32 v18, 11, v42
	v_cmp_ne_u32_e32 vcc, v27, v28
	v_cndmask_b32_e64 v21, 0, 1, vcc
	v_cmp_gt_u32_e32 vcc, s64, v18
	s_mov_b32 s48, 0
	v_mov_b32_e32 v18, v30
	v_mov_b32_e32 v20, v31
	;; [unrolled: 1-line block ×5, first 2 shown]
                                        ; implicit-def: $sgpr34_sgpr35
                                        ; implicit-def: $vgpr43
	s_and_saveexec_b64 s[10:11], vcc
	s_cbranch_execz .LBB1656_69
; %bb.66:
	ds_read2_b32 v[26:27], v1 offset0:11 offset1:12
	v_add_u32_e32 v22, 12, v42
	v_cmp_ne_u32_e32 vcc, v28, v29
	v_cndmask_b32_e64 v23, 0, 1, vcc
	v_cmp_gt_u32_e32 vcc, s64, v22
	s_waitcnt lgkmcnt(0)
	v_mov_b32_e32 v22, v26
	v_mov_b32_e32 v24, s48
	;; [unrolled: 1-line block ×3, first 2 shown]
                                        ; implicit-def: $sgpr34_sgpr35
                                        ; implicit-def: $vgpr43
	s_and_saveexec_b64 s[48:49], vcc
	s_xor_b64 s[48:49], exec, s[48:49]
	s_cbranch_execz .LBB1656_68
; %bb.67:
	ds_read_b32 v43, v1 offset:52
	v_add_u32_e32 v1, 13, v42
	v_cmp_ne_u32_e64 s[4:5], v29, v40
	v_cmp_ne_u32_e32 vcc, v40, v41
	v_cndmask_b32_e64 v25, 0, 1, s[4:5]
	v_cmp_gt_u32_e64 s[4:5], s64, v1
	v_mov_b32_e32 v24, v27
	s_and_b64 s[34:35], vcc, exec
	s_and_b64 s[4:5], s[4:5], exec
.LBB1656_68:
	s_or_b64 exec, exec, s[48:49]
	s_and_b64 s[34:35], s[34:35], exec
	s_and_b64 s[4:5], s[4:5], exec
.LBB1656_69:
	s_or_b64 exec, exec, s[10:11]
	s_and_b64 s[10:11], s[34:35], exec
	s_and_b64 s[4:5], s[4:5], exec
.LBB1656_70:
	s_or_b64 exec, exec, s[8:9]
	s_and_b64 s[8:9], s[10:11], exec
	s_and_b64 s[34:35], s[4:5], exec
.LBB1656_71:
	s_or_b64 exec, exec, s[6:7]
	s_and_b64 s[48:49], s[8:9], exec
	s_and_b64 s[34:35], s[34:35], exec
.LBB1656_72:
	s_or_b64 exec, exec, s[30:31]
	s_and_b64 s[4:5], s[48:49], exec
	s_and_b64 s[30:31], s[34:35], exec
.LBB1656_73:
	s_or_b64 exec, exec, s[28:29]
	s_and_b64 s[34:35], s[4:5], exec
	s_and_b64 s[28:29], s[30:31], exec
.LBB1656_74:
	s_or_b64 exec, exec, s[26:27]
	s_and_b64 s[4:5], s[34:35], exec
	s_and_b64 s[28:29], s[28:29], exec
.LBB1656_75:
	s_or_b64 exec, exec, s[24:25]
	s_and_b64 s[26:27], s[4:5], exec
	s_and_b64 s[24:25], s[28:29], exec
.LBB1656_76:
	s_or_b64 exec, exec, s[22:23]
	s_and_b64 s[4:5], s[26:27], exec
	s_and_b64 s[22:23], s[24:25], exec
.LBB1656_77:
	s_or_b64 exec, exec, s[20:21]
	s_and_b64 s[24:25], s[4:5], exec
	s_and_b64 s[20:21], s[22:23], exec
.LBB1656_78:
	s_or_b64 exec, exec, s[18:19]
	s_and_b64 s[4:5], s[24:25], exec
	s_and_b64 s[18:19], s[20:21], exec
.LBB1656_79:
	s_or_b64 exec, exec, s[16:17]
	s_and_b64 s[16:17], s[4:5], exec
	s_and_b64 s[18:19], s[18:19], exec
.LBB1656_80:
	s_or_b64 exec, exec, s[14:15]
	s_and_b64 vcc, exec, s[12:13]
	v_lshlrev_b32_e32 v50, 2, v0
	s_cbranch_vccnz .LBB1656_82
	s_branch .LBB1656_90
.LBB1656_81:
                                        ; implicit-def: $sgpr16_sgpr17
                                        ; implicit-def: $vgpr2_vgpr3_vgpr4_vgpr5_vgpr6_vgpr7_vgpr8_vgpr9
                                        ; implicit-def: $vgpr10_vgpr11_vgpr12_vgpr13_vgpr14_vgpr15_vgpr16_vgpr17
                                        ; implicit-def: $vgpr18_vgpr19_vgpr20_vgpr21_vgpr22_vgpr23_vgpr24_vgpr25
                                        ; implicit-def: $vgpr43
                                        ; implicit-def: $vgpr38_vgpr39
	s_and_b64 vcc, exec, s[12:13]
	v_lshlrev_b32_e32 v50, 2, v0
	s_cbranch_vccz .LBB1656_90
.LBB1656_82:
	v_mov_b32_e32 v1, s43
	v_add_co_u32_e32 v2, vcc, s42, v50
	v_addc_co_u32_e32 v3, vcc, 0, v1, vcc
	v_add_co_u32_e32 v4, vcc, 0x1000, v2
	v_addc_co_u32_e32 v5, vcc, 0, v3, vcc
	flat_load_dword v6, v[2:3]
	flat_load_dword v7, v[2:3] offset:1024
	flat_load_dword v8, v[2:3] offset:2048
	flat_load_dword v9, v[2:3] offset:3072
	flat_load_dword v10, v[4:5]
	flat_load_dword v11, v[4:5] offset:1024
	flat_load_dword v12, v[4:5] offset:2048
	;; [unrolled: 1-line block ×3, first 2 shown]
	v_add_co_u32_e32 v4, vcc, 0x2000, v2
	v_addc_co_u32_e32 v5, vcc, 0, v3, vcc
	v_add_co_u32_e32 v2, vcc, 0x3000, v2
	v_addc_co_u32_e32 v3, vcc, 0, v3, vcc
	flat_load_dword v14, v[4:5]
	flat_load_dword v15, v[4:5] offset:1024
	flat_load_dword v16, v[4:5] offset:2048
	;; [unrolled: 1-line block ×3, first 2 shown]
	flat_load_dword v18, v[2:3]
	flat_load_dword v19, v[2:3] offset:1024
	v_mad_u32_u24 v1, v0, 52, v50
	s_cmp_eq_u64 s[52:53], 0
	s_waitcnt vmcnt(0) lgkmcnt(0)
	ds_write2st64_b32 v50, v6, v7 offset1:4
	ds_write2st64_b32 v50, v8, v9 offset0:8 offset1:12
	ds_write2st64_b32 v50, v10, v11 offset0:16 offset1:20
	;; [unrolled: 1-line block ×6, first 2 shown]
	s_waitcnt lgkmcnt(0)
	s_barrier
	ds_read2_b64 v[2:5], v1 offset1:1
	ds_read2_b64 v[10:13], v1 offset0:2 offset1:3
	ds_read2_b64 v[18:21], v1 offset0:4 offset1:5
	ds_read_b64 v[6:7], v1 offset:48
	s_cbranch_scc1 .LBB1656_87
; %bb.83:
	s_andn2_b64 vcc, exec, s[44:45]
	s_cbranch_vccnz .LBB1656_188
; %bb.84:
	s_lshl_b64 s[4:5], s[52:53], 2
	s_add_u32 s4, s54, s4
	s_addc_u32 s5, s55, s5
	s_add_u32 s4, s4, -4
	s_addc_u32 s5, s5, -1
	s_cbranch_execnz .LBB1656_86
.LBB1656_85:
	s_add_u32 s4, s42, -4
	s_addc_u32 s5, s43, -1
.LBB1656_86:
	s_mov_b64 s[42:43], s[4:5]
.LBB1656_87:
	v_pk_mov_b32 v[8:9], s[42:43], s[42:43] op_sel:[0,1]
	flat_load_dword v8, v[8:9]
	s_movk_i32 s4, 0xffcc
	v_mad_i32_i24 v9, v0, s4, v1
	s_waitcnt lgkmcnt(0)
	ds_write_b32 v9, v7 offset:14336
	s_waitcnt lgkmcnt(0)
	s_barrier
	s_and_saveexec_b64 s[4:5], s[36:37]
	s_cbranch_execz .LBB1656_89
; %bb.88:
	s_waitcnt vmcnt(0)
	v_mul_i32_i24_e32 v8, 0xffffffcc, v0
	v_add_u32_e32 v8, v1, v8
	ds_read_b32 v8, v8 offset:14332
.LBB1656_89:
	s_or_b64 exec, exec, s[4:5]
	v_mov_b32_e32 v9, s63
	v_add_co_u32_e32 v14, vcc, s62, v50
	v_addc_co_u32_e32 v15, vcc, 0, v9, vcc
	s_movk_i32 s4, 0x1000
	v_add_co_u32_e32 v16, vcc, s4, v14
	v_addc_co_u32_e32 v17, vcc, 0, v15, vcc
	s_movk_i32 s4, 0x2000
	s_waitcnt lgkmcnt(0)
	s_barrier
	flat_load_dword v22, v[14:15]
	flat_load_dword v24, v[14:15] offset:1024
	flat_load_dword v26, v[14:15] offset:2048
	;; [unrolled: 1-line block ×3, first 2 shown]
	flat_load_dword v28, v[16:17]
	flat_load_dword v29, v[16:17] offset:1024
	flat_load_dword v30, v[16:17] offset:2048
	flat_load_dword v31, v[16:17] offset:3072
	v_add_co_u32_e32 v16, vcc, s4, v14
	v_addc_co_u32_e32 v17, vcc, 0, v15, vcc
	s_movk_i32 s4, 0x3000
	v_add_co_u32_e32 v14, vcc, s4, v14
	v_addc_co_u32_e32 v15, vcc, 0, v15, vcc
	flat_load_dword v32, v[16:17]
	flat_load_dword v33, v[16:17] offset:1024
	flat_load_dword v34, v[16:17] offset:2048
	;; [unrolled: 1-line block ×3, first 2 shown]
	flat_load_dword v36, v[14:15]
	flat_load_dword v37, v[14:15] offset:1024
	s_waitcnt vmcnt(0)
	v_cmp_ne_u32_e32 vcc, v8, v2
	v_cndmask_b32_e64 v39, 0, 1, vcc
	v_cmp_ne_u32_e32 vcc, v5, v10
	v_cndmask_b32_e64 v9, 0, 1, vcc
	v_cmp_ne_u32_e32 vcc, v4, v5
	v_cmp_ne_u32_e64 s[16:17], v6, v7
	v_cndmask_b32_e64 v7, 0, 1, vcc
	v_cmp_ne_u32_e32 vcc, v3, v4
	v_cndmask_b32_e64 v5, 0, 1, vcc
	v_cmp_ne_u32_e32 vcc, v2, v3
	;; [unrolled: 2-line block ×10, first 2 shown]
	v_cndmask_b32_e64 v19, 0, 1, vcc
	s_mov_b64 s[18:19], -1
                                        ; implicit-def: $sgpr12_sgpr13
	s_waitcnt lgkmcnt(0)
	ds_write2st64_b32 v50, v22, v24 offset1:4
	ds_write2st64_b32 v50, v26, v27 offset0:8 offset1:12
	ds_write2st64_b32 v50, v28, v29 offset0:16 offset1:20
	;; [unrolled: 1-line block ×6, first 2 shown]
	s_waitcnt lgkmcnt(0)
	s_barrier
	ds_read2_b32 v[42:43], v1 offset1:13
	ds_read2_b32 v[26:27], v1 offset0:7 offset1:8
	ds_read2_b32 v[28:29], v1 offset0:5 offset1:6
	ds_read2_b32 v[30:31], v1 offset0:3 offset1:4
	ds_read2_b32 v[32:33], v1 offset0:1 offset1:2
	ds_read2_b32 v[34:35], v1 offset0:11 offset1:12
	ds_read2_b32 v[36:37], v1 offset0:9 offset1:10
	s_waitcnt lgkmcnt(6)
	v_mov_b32_e32 v38, v42
	s_waitcnt lgkmcnt(4)
	v_mov_b32_e32 v10, v28
	;; [unrolled: 2-line block ×4, first 2 shown]
	v_mov_b32_e32 v4, v33
	v_mov_b32_e32 v8, v31
	;; [unrolled: 1-line block ×5, first 2 shown]
	s_waitcnt lgkmcnt(0)
	v_mov_b32_e32 v18, v36
	v_mov_b32_e32 v20, v37
	v_mov_b32_e32 v22, v34
	v_mov_b32_e32 v24, v35
.LBB1656_90:
	v_pk_mov_b32 v[40:41], s[12:13], s[12:13] op_sel:[0,1]
	s_and_saveexec_b64 s[4:5], s[18:19]
	s_cbranch_execz .LBB1656_92
; %bb.91:
	v_cndmask_b32_e64 v41, 0, 1, s[16:17]
	s_waitcnt lgkmcnt(0)
	v_mov_b32_e32 v40, v43
.LBB1656_92:
	s_or_b64 exec, exec, s[4:5]
	s_mov_b32 s4, 0
	s_cmp_lg_u32 s59, 0
	v_mbcnt_lo_u32_b32 v52, -1, 0
	v_lshrrev_b32_e32 v1, 6, v0
	v_or_b32_e32 v51, 63, v0
	s_waitcnt lgkmcnt(0)
	s_barrier
	s_cbranch_scc0 .LBB1656_125
; %bb.93:
	s_mov_b32 s5, 1
	v_cmp_gt_u64_e64 s[6:7], s[4:5], v[2:3]
	v_cndmask_b32_e64 v27, 0, v38, s[6:7]
	v_add_u32_e32 v27, v27, v2
	v_cmp_gt_u64_e64 s[8:9], s[4:5], v[4:5]
	v_cndmask_b32_e64 v27, 0, v27, s[8:9]
	v_add_u32_e32 v27, v27, v4
	;; [unrolled: 3-line block ×13, first 2 shown]
	v_or3_b32 v27, v41, v25, v23
	v_or3_b32 v27, v27, v21, v19
	;; [unrolled: 1-line block ×6, first 2 shown]
	v_mov_b32_e32 v26, 0
	v_and_b32_e32 v27, 1, v27
	v_cmp_eq_u64_e32 vcc, 0, v[26:27]
	v_cndmask_b32_e32 v26, 1, v39, vcc
	v_mbcnt_hi_u32_b32 v46, -1, v52
	v_mov_b32_dpp v29, v28 row_shr:1 row_mask:0xf bank_mask:0xf
	v_mov_b32_dpp v30, v26 row_shr:1 row_mask:0xf bank_mask:0xf
	v_cmp_eq_u32_e32 vcc, 0, v26
	v_and_b32_e32 v31, 1, v26
	v_and_b32_e32 v27, 15, v46
	v_cndmask_b32_e32 v29, 0, v29, vcc
	v_and_b32_e32 v30, 1, v30
	v_cmp_eq_u32_e32 vcc, 1, v31
	v_cndmask_b32_e64 v30, v30, 1, vcc
	v_cmp_eq_u32_e32 vcc, 0, v27
	v_cndmask_b32_e32 v26, v30, v26, vcc
	v_and_b32_e32 v31, 1, v26
	v_cmp_eq_u32_e64 s[4:5], 1, v31
	v_mov_b32_dpp v30, v26 row_shr:2 row_mask:0xf bank_mask:0xf
	v_and_b32_e32 v30, 1, v30
	v_cndmask_b32_e64 v30, v30, 1, s[4:5]
	v_cmp_lt_u32_e64 s[4:5], 1, v27
	v_cndmask_b32_e64 v29, v29, 0, vcc
	v_cmp_eq_u32_e32 vcc, 0, v26
	v_cndmask_b32_e64 v26, v26, v30, s[4:5]
	v_add_u32_e32 v28, v29, v28
	v_and_b32_e32 v31, 1, v26
	v_mov_b32_dpp v30, v26 row_shr:4 row_mask:0xf bank_mask:0xf
	v_mov_b32_dpp v29, v28 row_shr:2 row_mask:0xf bank_mask:0xf
	s_and_b64 vcc, s[4:5], vcc
	v_and_b32_e32 v30, 1, v30
	v_cmp_eq_u32_e64 s[4:5], 1, v31
	v_cndmask_b32_e32 v29, 0, v29, vcc
	v_cndmask_b32_e64 v30, v30, 1, s[4:5]
	v_cmp_lt_u32_e64 s[4:5], 3, v27
	v_add_u32_e32 v28, v29, v28
	v_cmp_eq_u32_e32 vcc, 0, v26
	v_cndmask_b32_e64 v26, v26, v30, s[4:5]
	v_mov_b32_dpp v29, v28 row_shr:4 row_mask:0xf bank_mask:0xf
	s_and_b64 vcc, s[4:5], vcc
	v_mov_b32_dpp v30, v26 row_shr:8 row_mask:0xf bank_mask:0xf
	v_and_b32_e32 v31, 1, v26
	v_cndmask_b32_e32 v29, 0, v29, vcc
	v_and_b32_e32 v30, 1, v30
	v_cmp_eq_u32_e64 s[4:5], 1, v31
	v_add_u32_e32 v28, v29, v28
	v_cmp_eq_u32_e32 vcc, 0, v26
	v_cndmask_b32_e64 v30, v30, 1, s[4:5]
	v_cmp_lt_u32_e64 s[4:5], 7, v27
	v_mov_b32_dpp v29, v28 row_shr:8 row_mask:0xf bank_mask:0xf
	s_and_b64 vcc, s[4:5], vcc
	v_cndmask_b32_e32 v27, 0, v29, vcc
	v_cndmask_b32_e64 v26, v26, v30, s[4:5]
	v_add_u32_e32 v27, v27, v28
	v_cmp_eq_u32_e32 vcc, 0, v26
	v_mov_b32_dpp v29, v26 row_bcast:15 row_mask:0xf bank_mask:0xf
	v_mov_b32_dpp v28, v27 row_bcast:15 row_mask:0xf bank_mask:0xf
	v_and_b32_e32 v32, 1, v26
	v_and_b32_e32 v31, 16, v46
	v_cndmask_b32_e32 v28, 0, v28, vcc
	v_and_b32_e32 v29, 1, v29
	v_cmp_eq_u32_e32 vcc, 1, v32
	v_bfe_i32 v30, v46, 4, 1
	v_cndmask_b32_e64 v29, v29, 1, vcc
	v_cmp_eq_u32_e32 vcc, 0, v31
	v_and_b32_e32 v28, v30, v28
	v_cndmask_b32_e32 v26, v29, v26, vcc
	v_add_u32_e32 v27, v28, v27
	v_and_b32_e32 v30, 1, v26
	v_mov_b32_dpp v28, v26 row_bcast:31 row_mask:0xf bank_mask:0xf
	v_and_b32_e32 v28, 1, v28
	v_cmp_eq_u32_e64 s[4:5], 1, v30
	v_cmp_eq_u32_e32 vcc, 0, v26
	v_cndmask_b32_e64 v28, v28, 1, s[4:5]
	v_cmp_lt_u32_e64 s[4:5], 31, v46
	v_mov_b32_dpp v29, v27 row_bcast:31 row_mask:0xf bank_mask:0xf
	s_and_b64 vcc, s[4:5], vcc
	v_cndmask_b32_e64 v28, v26, v28, s[4:5]
	v_cndmask_b32_e32 v26, 0, v29, vcc
	v_add_u32_e32 v29, v26, v27
	v_cmp_eq_u32_e32 vcc, v51, v0
	s_and_saveexec_b64 s[4:5], vcc
	s_cbranch_execz .LBB1656_95
; %bb.94:
	v_lshlrev_b32_e32 v26, 3, v1
	ds_write_b32 v26, v29
	ds_write_b8 v26, v28 offset:4
.LBB1656_95:
	s_or_b64 exec, exec, s[4:5]
	v_cmp_gt_u32_e32 vcc, 4, v0
	s_waitcnt lgkmcnt(0)
	s_barrier
	s_and_saveexec_b64 s[4:5], vcc
	s_cbranch_execz .LBB1656_99
; %bb.96:
	v_lshlrev_b32_e32 v30, 3, v0
	ds_read_b64 v[26:27], v30
	v_and_b32_e32 v31, 3, v46
	v_cmp_ne_u32_e32 vcc, 0, v31
	s_waitcnt lgkmcnt(0)
	v_mov_b32_dpp v32, v26 row_shr:1 row_mask:0xf bank_mask:0xf
	v_mov_b32_dpp v34, v27 row_shr:1 row_mask:0xf bank_mask:0xf
	v_mov_b32_e32 v33, v27
	s_and_saveexec_b64 s[34:35], vcc
	s_cbranch_execz .LBB1656_98
; %bb.97:
	v_and_b32_e32 v33, 1, v27
	v_and_b32_e32 v34, 1, v34
	v_cmp_eq_u32_e32 vcc, 1, v33
	v_mov_b32_e32 v33, 0
	v_cndmask_b32_e64 v34, v34, 1, vcc
	v_cmp_eq_u16_sdwa vcc, v27, v33 src0_sel:BYTE_0 src1_sel:DWORD
	v_cndmask_b32_e32 v32, 0, v32, vcc
	v_add_u32_e32 v26, v32, v26
	v_and_b32_e32 v32, 0xffff, v34
	s_movk_i32 s42, 0xff00
	v_and_or_b32 v33, v27, s42, v32
	v_mov_b32_e32 v27, v34
.LBB1656_98:
	s_or_b64 exec, exec, s[34:35]
	v_mov_b32_dpp v33, v33 row_shr:2 row_mask:0xf bank_mask:0xf
	v_and_b32_e32 v34, 1, v27
	v_and_b32_e32 v33, 1, v33
	v_cmp_eq_u32_e32 vcc, 1, v34
	v_mov_b32_e32 v34, 0
	v_cndmask_b32_e64 v33, v33, 1, vcc
	v_cmp_eq_u16_sdwa s[34:35], v27, v34 src0_sel:BYTE_0 src1_sel:DWORD
	v_cmp_lt_u32_e32 vcc, 1, v31
	v_mov_b32_dpp v32, v26 row_shr:2 row_mask:0xf bank_mask:0xf
	v_cndmask_b32_e32 v27, v27, v33, vcc
	s_and_b64 vcc, vcc, s[34:35]
	v_cndmask_b32_e32 v31, 0, v32, vcc
	v_add_u32_e32 v26, v31, v26
	ds_write_b32 v30, v26
	ds_write_b8 v30, v27 offset:4
.LBB1656_99:
	s_or_b64 exec, exec, s[4:5]
	v_cmp_gt_u32_e32 vcc, 64, v0
	v_cmp_lt_u32_e64 s[4:5], 63, v0
	v_mov_b32_e32 v42, 0
	v_mov_b32_e32 v43, 0
	s_waitcnt lgkmcnt(0)
	s_barrier
	s_and_saveexec_b64 s[34:35], s[4:5]
	s_cbranch_execz .LBB1656_101
; %bb.100:
	v_lshl_add_u32 v26, v1, 3, -8
	ds_read_b32 v42, v26
	ds_read_u8 v43, v26 offset:4
	v_and_b32_e32 v27, 1, v28
	v_cmp_eq_u32_e64 s[4:5], 0, v28
	s_waitcnt lgkmcnt(1)
	v_cndmask_b32_e64 v26, 0, v42, s[4:5]
	v_cmp_eq_u32_e64 s[4:5], 1, v27
	v_add_u32_e32 v29, v26, v29
	s_waitcnt lgkmcnt(0)
	v_cndmask_b32_e64 v28, v43, 1, s[4:5]
.LBB1656_101:
	s_or_b64 exec, exec, s[34:35]
	v_add_u32_e32 v26, -1, v46
	v_and_b32_e32 v27, 64, v46
	v_cmp_lt_i32_e64 s[4:5], v26, v27
	v_cndmask_b32_e64 v26, v26, v46, s[4:5]
	v_lshlrev_b32_e32 v26, 2, v26
	ds_bpermute_b32 v44, v26, v29
	ds_bpermute_b32 v45, v26, v28
	v_cmp_eq_u32_e64 s[34:35], 0, v46
	s_and_saveexec_b64 s[42:43], vcc
	s_cbranch_execz .LBB1656_124
; %bb.102:
	v_mov_b32_e32 v29, 0
	ds_read_b64 v[26:27], v29 offset:24
	s_waitcnt lgkmcnt(0)
	v_readfirstlane_b32 s52, v27
	s_and_saveexec_b64 s[4:5], s[34:35]
	s_cbranch_execz .LBB1656_104
; %bb.103:
	s_add_i32 s44, s59, 64
	s_mov_b32 s45, 0
	s_lshl_b64 s[48:49], s[44:45], 4
	s_add_u32 s48, s56, s48
	s_addc_u32 s49, s57, s49
	s_and_b32 s55, s52, 0xff000000
	s_mov_b32 s54, s45
	s_and_b32 s63, s52, 0xff0000
	s_mov_b32 s62, s45
	s_or_b64 s[54:55], s[62:63], s[54:55]
	s_and_b32 s63, s52, 0xff00
	s_or_b64 s[54:55], s[54:55], s[62:63]
	s_and_b32 s63, s52, 0xff
	s_or_b64 s[44:45], s[54:55], s[62:63]
	v_mov_b32_e32 v27, s45
	v_mov_b32_e32 v28, 1
	v_pk_mov_b32 v[30:31], s[48:49], s[48:49] op_sel:[0,1]
	;;#ASMSTART
	global_store_dwordx4 v[30:31], v[26:29] off	
s_waitcnt vmcnt(0)
	;;#ASMEND
.LBB1656_104:
	s_or_b64 exec, exec, s[4:5]
	v_xad_u32 v34, v46, -1, s59
	v_add_u32_e32 v28, 64, v34
	v_lshlrev_b64 v[30:31], 4, v[28:29]
	v_mov_b32_e32 v27, s57
	v_add_co_u32_e32 v36, vcc, s56, v30
	v_addc_co_u32_e32 v37, vcc, v27, v31, vcc
	;;#ASMSTART
	global_load_dwordx4 v[30:33], v[36:37] off glc	
s_waitcnt vmcnt(0)
	;;#ASMEND
	v_and_b32_e32 v27, 0xff0000, v30
	v_or_b32_sdwa v27, v30, v27 dst_sel:DWORD dst_unused:UNUSED_PAD src0_sel:WORD_0 src1_sel:DWORD
	v_and_b32_e32 v28, 0xff000000, v30
	v_and_b32_e32 v30, 0xff, v31
	v_or3_b32 v31, 0, 0, v30
	v_or3_b32 v30, v27, v28, 0
	v_cmp_eq_u16_sdwa s[44:45], v32, v29 src0_sel:BYTE_0 src1_sel:DWORD
	s_and_saveexec_b64 s[4:5], s[44:45]
	s_cbranch_execz .LBB1656_110
; %bb.105:
	s_mov_b32 s48, 1
	s_mov_b64 s[44:45], 0
	v_mov_b32_e32 v27, 0
.LBB1656_106:                           ; =>This Loop Header: Depth=1
                                        ;     Child Loop BB1656_107 Depth 2
	s_max_u32 s49, s48, 1
.LBB1656_107:                           ;   Parent Loop BB1656_106 Depth=1
                                        ; =>  This Inner Loop Header: Depth=2
	s_add_i32 s49, s49, -1
	s_cmp_eq_u32 s49, 0
	s_sleep 1
	s_cbranch_scc0 .LBB1656_107
; %bb.108:                              ;   in Loop: Header=BB1656_106 Depth=1
	s_cmp_lt_u32 s48, 32
	s_cselect_b64 s[54:55], -1, 0
	s_cmp_lg_u64 s[54:55], 0
	s_addc_u32 s48, s48, 0
	;;#ASMSTART
	global_load_dwordx4 v[30:33], v[36:37] off glc	
s_waitcnt vmcnt(0)
	;;#ASMEND
	v_cmp_ne_u16_sdwa s[54:55], v32, v27 src0_sel:BYTE_0 src1_sel:DWORD
	s_or_b64 s[44:45], s[54:55], s[44:45]
	s_andn2_b64 exec, exec, s[44:45]
	s_cbranch_execnz .LBB1656_106
; %bb.109:
	s_or_b64 exec, exec, s[44:45]
	v_and_b32_e32 v31, 0xff, v31
.LBB1656_110:
	s_or_b64 exec, exec, s[4:5]
	v_mov_b32_e32 v27, 2
	v_cmp_eq_u16_sdwa s[4:5], v32, v27 src0_sel:BYTE_0 src1_sel:DWORD
	v_lshlrev_b64 v[28:29], v46, -1
	v_and_b32_e32 v33, s5, v29
	v_or_b32_e32 v33, 0x80000000, v33
	v_and_b32_e32 v35, s4, v28
	v_ffbl_b32_e32 v33, v33
	v_and_b32_e32 v47, 63, v46
	v_add_u32_e32 v33, 32, v33
	v_ffbl_b32_e32 v35, v35
	v_cmp_ne_u32_e32 vcc, 63, v47
	v_min_u32_e32 v33, v35, v33
	v_addc_co_u32_e32 v35, vcc, 0, v46, vcc
	v_lshlrev_b32_e32 v48, 2, v35
	ds_bpermute_b32 v35, v48, v31
	ds_bpermute_b32 v36, v48, v30
	s_mov_b32 s44, 0
	v_and_b32_e32 v37, 1, v31
	s_mov_b32 s45, 1
	s_waitcnt lgkmcnt(1)
	v_and_b32_e32 v35, 1, v35
	v_cmp_eq_u32_e32 vcc, 1, v37
	v_cndmask_b32_e64 v35, v35, 1, vcc
	v_cmp_gt_u64_e32 vcc, s[44:45], v[30:31]
	v_cmp_lt_u32_e64 s[4:5], v47, v33
	s_and_b64 vcc, s[4:5], vcc
	v_and_b32_e32 v37, 0xffff, v35
	v_cndmask_b32_e64 v54, v31, v35, s[4:5]
	s_waitcnt lgkmcnt(0)
	v_cndmask_b32_e32 v35, 0, v36, vcc
	v_cmp_gt_u32_e32 vcc, 62, v47
	v_cndmask_b32_e64 v36, 0, 1, vcc
	v_lshlrev_b32_e32 v36, 1, v36
	v_cndmask_b32_e64 v31, v31, v37, s[4:5]
	v_add_lshl_u32 v49, v36, v46, 2
	ds_bpermute_b32 v36, v49, v31
	v_add_u32_e32 v30, v35, v30
	ds_bpermute_b32 v37, v49, v30
	v_and_b32_e32 v35, 1, v54
	v_cmp_eq_u32_e32 vcc, 1, v35
	s_waitcnt lgkmcnt(1)
	v_and_b32_e32 v36, 1, v36
	v_mov_b32_e32 v35, 0
	v_add_u32_e32 v53, 2, v47
	v_cndmask_b32_e64 v36, v36, 1, vcc
	v_cmp_eq_u16_sdwa vcc, v54, v35 src0_sel:BYTE_0 src1_sel:DWORD
	v_and_b32_e32 v55, 0xffff, v36
	s_waitcnt lgkmcnt(0)
	v_cndmask_b32_e32 v37, 0, v37, vcc
	v_cmp_gt_u32_e32 vcc, v53, v33
	v_cndmask_b32_e32 v36, v36, v54, vcc
	v_cndmask_b32_e64 v37, v37, 0, vcc
	v_cndmask_b32_e32 v31, v55, v31, vcc
	v_cmp_gt_u32_e32 vcc, 60, v47
	v_cndmask_b32_e64 v54, 0, 1, vcc
	v_lshlrev_b32_e32 v54, 2, v54
	v_add_lshl_u32 v54, v54, v46, 2
	ds_bpermute_b32 v56, v54, v31
	v_add_u32_e32 v30, v37, v30
	ds_bpermute_b32 v37, v54, v30
	v_and_b32_e32 v57, 1, v36
	v_cmp_eq_u32_e32 vcc, 1, v57
	s_waitcnt lgkmcnt(1)
	v_and_b32_e32 v56, 1, v56
	v_add_u32_e32 v55, 4, v47
	v_cndmask_b32_e64 v56, v56, 1, vcc
	v_cmp_eq_u16_sdwa vcc, v36, v35 src0_sel:BYTE_0 src1_sel:DWORD
	v_and_b32_e32 v57, 0xffff, v56
	s_waitcnt lgkmcnt(0)
	v_cndmask_b32_e32 v37, 0, v37, vcc
	v_cmp_gt_u32_e32 vcc, v55, v33
	v_cndmask_b32_e32 v36, v56, v36, vcc
	v_cndmask_b32_e64 v37, v37, 0, vcc
	v_cndmask_b32_e32 v31, v57, v31, vcc
	v_cmp_gt_u32_e32 vcc, 56, v47
	v_cndmask_b32_e64 v56, 0, 1, vcc
	v_lshlrev_b32_e32 v56, 3, v56
	v_add_lshl_u32 v56, v56, v46, 2
	ds_bpermute_b32 v58, v56, v31
	v_add_u32_e32 v30, v37, v30
	ds_bpermute_b32 v37, v56, v30
	v_and_b32_e32 v59, 1, v36
	v_cmp_eq_u32_e32 vcc, 1, v59
	s_waitcnt lgkmcnt(1)
	v_and_b32_e32 v58, 1, v58
	;; [unrolled: 21-line block ×4, first 2 shown]
	v_add_u32_e32 v62, 32, v47
	v_cndmask_b32_e64 v31, v31, 1, vcc
	v_cmp_eq_u16_sdwa vcc, v36, v35 src0_sel:BYTE_0 src1_sel:DWORD
	s_waitcnt lgkmcnt(0)
	v_cndmask_b32_e32 v37, 0, v37, vcc
	v_cmp_gt_u32_e32 vcc, v62, v33
	v_cndmask_b32_e64 v33, v37, 0, vcc
	v_cndmask_b32_e32 v31, v31, v36, vcc
	v_add_u32_e32 v30, v33, v30
	s_branch .LBB1656_112
.LBB1656_111:                           ;   in Loop: Header=BB1656_112 Depth=1
	s_or_b64 exec, exec, s[4:5]
	v_cmp_eq_u16_sdwa s[4:5], v32, v27 src0_sel:BYTE_0 src1_sel:DWORD
	v_and_b32_e32 v33, s5, v29
	ds_bpermute_b32 v37, v48, v31
	v_or_b32_e32 v33, 0x80000000, v33
	v_and_b32_e32 v36, s4, v28
	v_ffbl_b32_e32 v33, v33
	v_add_u32_e32 v33, 32, v33
	v_ffbl_b32_e32 v36, v36
	v_min_u32_e32 v33, v36, v33
	ds_bpermute_b32 v36, v48, v30
	v_and_b32_e32 v63, 1, v31
	s_waitcnt lgkmcnt(1)
	v_and_b32_e32 v37, 1, v37
	v_cmp_eq_u32_e32 vcc, 1, v63
	v_cndmask_b32_e64 v37, v37, 1, vcc
	v_cmp_gt_u64_e32 vcc, s[44:45], v[30:31]
	v_and_b32_e32 v63, 0xffff, v37
	v_cmp_lt_u32_e64 s[4:5], v47, v33
	v_cndmask_b32_e64 v37, v31, v37, s[4:5]
	v_cndmask_b32_e64 v31, v31, v63, s[4:5]
	s_and_b64 vcc, s[4:5], vcc
	ds_bpermute_b32 v63, v49, v31
	s_waitcnt lgkmcnt(1)
	v_cndmask_b32_e32 v36, 0, v36, vcc
	v_add_u32_e32 v30, v36, v30
	ds_bpermute_b32 v36, v49, v30
	v_and_b32_e32 v64, 1, v37
	s_waitcnt lgkmcnt(1)
	v_and_b32_e32 v63, 1, v63
	v_cmp_eq_u32_e32 vcc, 1, v64
	v_cndmask_b32_e64 v63, v63, 1, vcc
	v_cmp_eq_u16_sdwa vcc, v37, v35 src0_sel:BYTE_0 src1_sel:DWORD
	v_and_b32_e32 v64, 0xffff, v63
	s_waitcnt lgkmcnt(0)
	v_cndmask_b32_e32 v36, 0, v36, vcc
	v_cmp_gt_u32_e32 vcc, v53, v33
	v_cndmask_b32_e32 v31, v64, v31, vcc
	v_cndmask_b32_e32 v37, v63, v37, vcc
	ds_bpermute_b32 v63, v54, v31
	v_cndmask_b32_e64 v36, v36, 0, vcc
	v_add_u32_e32 v30, v36, v30
	ds_bpermute_b32 v36, v54, v30
	v_and_b32_e32 v64, 1, v37
	s_waitcnt lgkmcnt(1)
	v_and_b32_e32 v63, 1, v63
	v_cmp_eq_u32_e32 vcc, 1, v64
	v_cndmask_b32_e64 v63, v63, 1, vcc
	v_cmp_eq_u16_sdwa vcc, v37, v35 src0_sel:BYTE_0 src1_sel:DWORD
	v_and_b32_e32 v64, 0xffff, v63
	s_waitcnt lgkmcnt(0)
	v_cndmask_b32_e32 v36, 0, v36, vcc
	v_cmp_gt_u32_e32 vcc, v55, v33
	v_cndmask_b32_e32 v31, v64, v31, vcc
	v_cndmask_b32_e32 v37, v63, v37, vcc
	ds_bpermute_b32 v63, v56, v31
	v_cndmask_b32_e64 v36, v36, 0, vcc
	;; [unrolled: 16-line block ×3, first 2 shown]
	v_add_u32_e32 v30, v36, v30
	ds_bpermute_b32 v36, v58, v30
	v_and_b32_e32 v64, 1, v37
	s_waitcnt lgkmcnt(1)
	v_and_b32_e32 v63, 1, v63
	v_cmp_eq_u32_e32 vcc, 1, v64
	v_cndmask_b32_e64 v63, v63, 1, vcc
	v_cmp_eq_u16_sdwa vcc, v37, v35 src0_sel:BYTE_0 src1_sel:DWORD
	v_and_b32_e32 v64, 0xffff, v63
	s_waitcnt lgkmcnt(0)
	v_cndmask_b32_e32 v36, 0, v36, vcc
	v_cmp_gt_u32_e32 vcc, v59, v33
	v_cndmask_b32_e64 v36, v36, 0, vcc
	v_cndmask_b32_e32 v31, v64, v31, vcc
	ds_bpermute_b32 v31, v61, v31
	v_add_u32_e32 v30, v36, v30
	ds_bpermute_b32 v36, v61, v30
	v_cndmask_b32_e32 v37, v63, v37, vcc
	v_and_b32_e32 v63, 1, v37
	v_cmp_eq_u32_e32 vcc, 1, v63
	s_waitcnt lgkmcnt(1)
	v_cndmask_b32_e64 v31, v31, 1, vcc
	v_cmp_eq_u16_sdwa vcc, v37, v35 src0_sel:BYTE_0 src1_sel:DWORD
	s_waitcnt lgkmcnt(0)
	v_cndmask_b32_e32 v36, 0, v36, vcc
	v_cmp_gt_u32_e32 vcc, v62, v33
	v_cndmask_b32_e64 v33, v36, 0, vcc
	v_cndmask_b32_e32 v31, v31, v37, vcc
	v_add_u32_e32 v30, v33, v30
	v_cmp_eq_u16_sdwa vcc, v46, v35 src0_sel:BYTE_0 src1_sel:DWORD
	v_and_b32_e32 v33, 1, v46
	v_cndmask_b32_e32 v30, 0, v30, vcc
	v_and_b32_e32 v31, 1, v31
	v_cmp_eq_u32_e32 vcc, 1, v33
	v_subrev_u32_e32 v34, 64, v34
	v_add_u32_e32 v30, v30, v60
	v_cndmask_b32_e64 v31, v31, 1, vcc
.LBB1656_112:                           ; =>This Loop Header: Depth=1
                                        ;     Child Loop BB1656_115 Depth 2
                                        ;       Child Loop BB1656_116 Depth 3
	v_cmp_ne_u16_sdwa s[4:5], v32, v27 src0_sel:BYTE_0 src1_sel:DWORD
	v_mov_b32_e32 v46, v31
	v_cndmask_b32_e64 v31, 0, 1, s[4:5]
	;;#ASMSTART
	;;#ASMEND
	v_cmp_ne_u32_e32 vcc, 0, v31
	s_cmp_lg_u64 vcc, exec
	v_mov_b32_e32 v60, v30
	s_cbranch_scc1 .LBB1656_119
; %bb.113:                              ;   in Loop: Header=BB1656_112 Depth=1
	v_lshlrev_b64 v[30:31], 4, v[34:35]
	v_mov_b32_e32 v32, s57
	v_add_co_u32_e32 v36, vcc, s56, v30
	v_addc_co_u32_e32 v37, vcc, v32, v31, vcc
	;;#ASMSTART
	global_load_dwordx4 v[30:33], v[36:37] off glc	
s_waitcnt vmcnt(0)
	;;#ASMEND
	v_and_b32_e32 v33, 0xff0000, v30
	v_or_b32_sdwa v33, v30, v33 dst_sel:DWORD dst_unused:UNUSED_PAD src0_sel:WORD_0 src1_sel:DWORD
	v_and_b32_e32 v30, 0xff000000, v30
	v_and_b32_e32 v31, 0xff, v31
	v_or3_b32 v31, 0, 0, v31
	v_or3_b32 v30, v33, v30, 0
	v_cmp_eq_u16_sdwa s[48:49], v32, v35 src0_sel:BYTE_0 src1_sel:DWORD
	s_and_saveexec_b64 s[4:5], s[48:49]
	s_cbranch_execz .LBB1656_111
; %bb.114:                              ;   in Loop: Header=BB1656_112 Depth=1
	s_mov_b32 s53, 1
	s_mov_b64 s[48:49], 0
.LBB1656_115:                           ;   Parent Loop BB1656_112 Depth=1
                                        ; =>  This Loop Header: Depth=2
                                        ;       Child Loop BB1656_116 Depth 3
	s_max_u32 s54, s53, 1
.LBB1656_116:                           ;   Parent Loop BB1656_112 Depth=1
                                        ;     Parent Loop BB1656_115 Depth=2
                                        ; =>    This Inner Loop Header: Depth=3
	s_add_i32 s54, s54, -1
	s_cmp_eq_u32 s54, 0
	s_sleep 1
	s_cbranch_scc0 .LBB1656_116
; %bb.117:                              ;   in Loop: Header=BB1656_115 Depth=2
	s_cmp_lt_u32 s53, 32
	s_cselect_b64 s[54:55], -1, 0
	s_cmp_lg_u64 s[54:55], 0
	s_addc_u32 s53, s53, 0
	;;#ASMSTART
	global_load_dwordx4 v[30:33], v[36:37] off glc	
s_waitcnt vmcnt(0)
	;;#ASMEND
	v_cmp_ne_u16_sdwa s[54:55], v32, v35 src0_sel:BYTE_0 src1_sel:DWORD
	s_or_b64 s[48:49], s[54:55], s[48:49]
	s_andn2_b64 exec, exec, s[48:49]
	s_cbranch_execnz .LBB1656_115
; %bb.118:                              ;   in Loop: Header=BB1656_112 Depth=1
	s_or_b64 exec, exec, s[48:49]
	v_and_b32_e32 v31, 0xff, v31
	s_branch .LBB1656_111
.LBB1656_119:                           ;   in Loop: Header=BB1656_112 Depth=1
                                        ; implicit-def: $vgpr31
                                        ; implicit-def: $vgpr30
                                        ; implicit-def: $vgpr32
	s_cbranch_execz .LBB1656_112
; %bb.120:
	s_and_saveexec_b64 s[4:5], s[34:35]
	s_cbranch_execz .LBB1656_122
; %bb.121:
	s_and_b32 s44, s52, 0xff
	s_cmp_eq_u32 s44, 0
	s_cselect_b64 vcc, -1, 0
	s_bitcmp1_b32 s52, 0
	s_mov_b32 s45, 0
	s_cselect_b64 s[48:49], -1, 0
	s_add_i32 s44, s59, 64
	s_lshl_b64 s[44:45], s[44:45], 4
	v_cndmask_b32_e32 v27, 0, v60, vcc
	s_add_u32 s44, s56, s44
	v_add_u32_e32 v26, v27, v26
	v_and_b32_e32 v27, 1, v46
	s_addc_u32 s45, s57, s45
	v_mov_b32_e32 v29, 0
	v_cndmask_b32_e64 v27, v27, 1, s[48:49]
	v_mov_b32_e32 v28, 2
	v_pk_mov_b32 v[30:31], s[44:45], s[44:45] op_sel:[0,1]
	;;#ASMSTART
	global_store_dwordx4 v[30:31], v[26:29] off	
s_waitcnt vmcnt(0)
	;;#ASMEND
.LBB1656_122:
	s_or_b64 exec, exec, s[4:5]
	s_and_b64 exec, exec, s[0:1]
	s_cbranch_execz .LBB1656_124
; %bb.123:
	v_mov_b32_e32 v26, 0
	ds_write_b32 v26, v60 offset:24
	ds_write_b8 v26, v46 offset:28
.LBB1656_124:
	s_or_b64 exec, exec, s[42:43]
	s_mov_b32 s4, 0
	v_mov_b32_e32 v28, 0
	s_mov_b32 s5, 1
	s_waitcnt lgkmcnt(0)
	v_cndmask_b32_e64 v26, v45, v43, s[34:35]
	v_cndmask_b32_e64 v27, v44, v42, s[34:35]
	s_barrier
	ds_read_b32 v29, v28 offset:24
	v_cmp_gt_u64_e32 vcc, s[4:5], v[38:39]
	v_and_b32_e32 v30, 1, v39
	v_cndmask_b32_e32 v27, 0, v27, vcc
	v_and_b32_e32 v26, 1, v26
	v_cmp_eq_u32_e32 vcc, 1, v30
	v_cndmask_b32_e64 v26, v26, 1, vcc
	v_cndmask_b32_e64 v26, v26, v39, s[0:1]
	v_cmp_eq_u16_sdwa vcc, v26, v28 src0_sel:BYTE_0 src1_sel:DWORD
	v_cndmask_b32_e64 v27, v27, 0, s[0:1]
	s_waitcnt lgkmcnt(0)
	v_cndmask_b32_e32 v26, 0, v29, vcc
	v_add3_u32 v26, v27, v38, v26
	v_cndmask_b32_e64 v27, 0, v26, s[6:7]
	v_add_u32_e32 v27, v27, v2
	v_cndmask_b32_e64 v28, 0, v27, s[8:9]
	v_add_u32_e32 v42, v28, v4
	;; [unrolled: 2-line block ×13, first 2 shown]
	s_branch .LBB1656_141
.LBB1656_125:
                                        ; implicit-def: $vgpr49
                                        ; implicit-def: $vgpr47
                                        ; implicit-def: $vgpr45
                                        ; implicit-def: $vgpr43
                                        ; implicit-def: $vgpr34_vgpr35_vgpr36_vgpr37
                                        ; implicit-def: $vgpr30_vgpr31_vgpr32_vgpr33
                                        ; implicit-def: $vgpr26_vgpr27_vgpr28_vgpr29
	s_cbranch_execz .LBB1656_141
; %bb.126:
	s_cmp_lg_u64 s[60:61], 0
	s_cselect_b32 s9, s51, 0
	s_cselect_b32 s8, s50, 0
	s_cmp_lg_u64 s[8:9], 0
	s_cselect_b64 s[6:7], -1, 0
	s_mov_b32 s4, 0
	s_and_b64 s[10:11], s[0:1], s[6:7]
	s_and_saveexec_b64 s[6:7], s[10:11]
	s_cbranch_execz .LBB1656_128
; %bb.127:
	v_mov_b32_e32 v26, 0
	global_load_dword v28, v26, s[8:9]
	global_load_ubyte v29, v26, s[8:9] offset:4
	s_mov_b32 s5, 1
	v_and_b32_e32 v27, 1, v39
	v_cmp_gt_u64_e32 vcc, s[4:5], v[38:39]
	s_waitcnt vmcnt(1)
	v_cndmask_b32_e32 v28, 0, v28, vcc
	s_waitcnt vmcnt(0)
	v_and_b32_e32 v29, 1, v29
	v_cmp_eq_u64_e32 vcc, 0, v[26:27]
	v_add_u32_e32 v38, v28, v38
	v_cndmask_b32_e32 v39, 1, v29, vcc
.LBB1656_128:
	s_or_b64 exec, exec, s[6:7]
	s_mov_b32 s5, 1
	v_cmp_gt_u64_e32 vcc, s[4:5], v[2:3]
	v_cndmask_b32_e32 v26, 0, v38, vcc
	v_add_u32_e32 v27, v26, v2
	v_cmp_gt_u64_e64 s[6:7], s[4:5], v[4:5]
	v_cndmask_b32_e64 v26, 0, v27, s[6:7]
	v_add_u32_e32 v42, v26, v4
	v_cmp_gt_u64_e64 s[8:9], s[4:5], v[6:7]
	v_cndmask_b32_e64 v26, 0, v42, s[8:9]
	;; [unrolled: 3-line block ×6, first 2 shown]
	v_add_u32_e32 v45, v26, v14
	v_cmp_gt_u64_e64 s[18:19], s[4:5], v[16:17]
	v_mov_b32_e32 v28, 0
	v_cndmask_b32_e64 v26, 0, v45, s[18:19]
	v_or3_b32 v7, v23, v15, v7
	v_add_u32_e32 v34, v26, v16
	v_cmp_gt_u64_e64 s[20:21], s[4:5], v[18:19]
	v_or3_b32 v9, v25, v17, v9
	v_and_b32_e32 v55, 1, v7
	v_mov_b32_e32 v54, v28
	v_cndmask_b32_e64 v26, 0, v34, s[20:21]
	v_or3_b32 v3, v19, v11, v3
	v_and_b32_e32 v37, 1, v9
	v_mov_b32_e32 v36, v28
	v_cmp_ne_u64_e64 s[30:31], 0, v[54:55]
	v_add_u32_e32 v35, v26, v18
	v_cmp_gt_u64_e64 s[22:23], s[4:5], v[20:21]
	v_or3_b32 v5, v21, v13, v5
	v_and_b32_e32 v29, 1, v3
	v_cndmask_b32_e64 v3, 0, 1, s[30:31]
	v_cmp_ne_u64_e64 s[30:31], 0, v[36:37]
	v_cndmask_b32_e64 v26, 0, v35, s[22:23]
	v_and_b32_e32 v33, 1, v5
	v_mov_b32_e32 v32, v28
	v_cndmask_b32_e64 v5, 0, 1, s[30:31]
	v_add_u32_e32 v46, v26, v20
	v_cmp_gt_u64_e64 s[24:25], s[4:5], v[22:23]
	v_lshlrev_b16_e32 v3, 2, v3
	v_lshlrev_b16_e32 v5, 3, v5
	v_cmp_ne_u64_e64 s[30:31], 0, v[32:33]
	v_cndmask_b32_e64 v26, 0, v46, s[24:25]
	v_or_b32_e32 v3, v5, v3
	v_cndmask_b32_e64 v5, 0, 1, s[30:31]
	v_cmp_ne_u64_e64 s[30:31], 0, v[28:29]
	v_add_u32_e32 v47, v26, v22
	v_cmp_gt_u64_e64 s[26:27], s[4:5], v[24:25]
	v_lshlrev_b16_e32 v5, 1, v5
	v_cndmask_b32_e64 v7, 0, 1, s[30:31]
	v_cndmask_b32_e64 v26, 0, v47, s[26:27]
	v_or_b32_e32 v5, v7, v5
	v_add_u32_e32 v48, v26, v24
	v_cmp_gt_u64_e64 s[28:29], s[4:5], v[40:41]
	v_and_b32_e32 v5, 3, v5
	v_cndmask_b32_e64 v26, 0, v48, s[28:29]
	v_or_b32_e32 v3, v5, v3
	v_add_u32_e32 v49, v26, v40
	v_and_b32_e32 v26, 1, v41
	v_and_b32_e32 v3, 15, v3
	v_cmp_eq_u32_e64 s[4:5], 1, v26
	v_cmp_ne_u16_e64 s[30:31], 0, v3
	s_or_b64 s[4:5], s[4:5], s[30:31]
	v_cndmask_b32_e64 v5, v39, 1, s[4:5]
	v_mbcnt_hi_u32_b32 v3, -1, v52
	v_mov_b32_dpp v9, v49 row_shr:1 row_mask:0xf bank_mask:0xf
	v_mov_b32_dpp v11, v5 row_shr:1 row_mask:0xf bank_mask:0xf
	v_cmp_eq_u32_e64 s[4:5], 0, v5
	v_and_b32_e32 v13, 1, v5
	v_and_b32_e32 v7, 15, v3
	v_cndmask_b32_e64 v9, 0, v9, s[4:5]
	v_and_b32_e32 v11, 1, v11
	v_cmp_eq_u32_e64 s[4:5], 1, v13
	v_cndmask_b32_e64 v11, v11, 1, s[4:5]
	v_cmp_eq_u32_e64 s[4:5], 0, v7
	v_cndmask_b32_e64 v5, v11, v5, s[4:5]
	v_and_b32_e32 v15, 1, v5
	v_cmp_eq_u32_e64 s[30:31], 1, v15
	v_mov_b32_dpp v13, v5 row_shr:2 row_mask:0xf bank_mask:0xf
	v_and_b32_e32 v13, 1, v13
	v_cndmask_b32_e64 v13, v13, 1, s[30:31]
	v_cmp_lt_u32_e64 s[30:31], 1, v7
	v_cndmask_b32_e64 v9, v9, 0, s[4:5]
	v_cmp_eq_u32_e64 s[4:5], 0, v5
	v_cndmask_b32_e64 v5, v5, v13, s[30:31]
	v_add_u32_e32 v9, v49, v9
	v_and_b32_e32 v15, 1, v5
	v_mov_b32_dpp v13, v5 row_shr:4 row_mask:0xf bank_mask:0xf
	v_mov_b32_dpp v11, v9 row_shr:2 row_mask:0xf bank_mask:0xf
	s_and_b64 s[4:5], s[30:31], s[4:5]
	v_and_b32_e32 v13, 1, v13
	v_cmp_eq_u32_e64 s[30:31], 1, v15
	v_cndmask_b32_e64 v11, 0, v11, s[4:5]
	v_cndmask_b32_e64 v13, v13, 1, s[30:31]
	v_cmp_lt_u32_e64 s[30:31], 3, v7
	v_add_u32_e32 v9, v9, v11
	v_cmp_eq_u32_e64 s[4:5], 0, v5
	v_cndmask_b32_e64 v5, v5, v13, s[30:31]
	v_mov_b32_dpp v11, v9 row_shr:4 row_mask:0xf bank_mask:0xf
	s_and_b64 s[4:5], s[30:31], s[4:5]
	v_mov_b32_dpp v13, v5 row_shr:8 row_mask:0xf bank_mask:0xf
	v_and_b32_e32 v15, 1, v5
	v_cndmask_b32_e64 v11, 0, v11, s[4:5]
	v_and_b32_e32 v13, 1, v13
	v_cmp_eq_u32_e64 s[30:31], 1, v15
	v_add_u32_e32 v9, v9, v11
	v_cmp_eq_u32_e64 s[4:5], 0, v5
	v_cndmask_b32_e64 v13, v13, 1, s[30:31]
	v_cmp_lt_u32_e64 s[30:31], 7, v7
	v_mov_b32_dpp v11, v9 row_shr:8 row_mask:0xf bank_mask:0xf
	s_and_b64 s[4:5], s[30:31], s[4:5]
	v_cndmask_b32_e64 v7, 0, v11, s[4:5]
	v_cndmask_b32_e64 v5, v5, v13, s[30:31]
	v_add_u32_e32 v7, v9, v7
	v_cmp_eq_u32_e64 s[4:5], 0, v5
	v_mov_b32_dpp v11, v5 row_bcast:15 row_mask:0xf bank_mask:0xf
	v_mov_b32_dpp v9, v7 row_bcast:15 row_mask:0xf bank_mask:0xf
	v_and_b32_e32 v17, 1, v5
	v_and_b32_e32 v15, 16, v3
	v_cndmask_b32_e64 v9, 0, v9, s[4:5]
	v_and_b32_e32 v11, 1, v11
	v_cmp_eq_u32_e64 s[4:5], 1, v17
	v_bfe_i32 v13, v3, 4, 1
	v_cndmask_b32_e64 v11, v11, 1, s[4:5]
	v_cmp_eq_u32_e64 s[4:5], 0, v15
	v_and_b32_e32 v9, v13, v9
	v_cndmask_b32_e64 v5, v11, v5, s[4:5]
	v_add_u32_e32 v9, v7, v9
	v_and_b32_e32 v13, 1, v5
	v_mov_b32_dpp v7, v5 row_bcast:31 row_mask:0xf bank_mask:0xf
	v_and_b32_e32 v7, 1, v7
	v_cmp_eq_u32_e64 s[30:31], 1, v13
	v_cmp_eq_u32_e64 s[4:5], 0, v5
	v_cndmask_b32_e64 v7, v7, 1, s[30:31]
	v_cmp_lt_u32_e64 s[30:31], 31, v3
	v_mov_b32_dpp v11, v9 row_bcast:31 row_mask:0xf bank_mask:0xf
	s_and_b64 s[4:5], s[30:31], s[4:5]
	v_cndmask_b32_e64 v7, v5, v7, s[30:31]
	v_cndmask_b32_e64 v5, 0, v11, s[4:5]
	v_add_u32_e32 v5, v9, v5
	v_cmp_eq_u32_e64 s[4:5], v51, v0
	s_and_saveexec_b64 s[30:31], s[4:5]
	s_cbranch_execz .LBB1656_130
; %bb.129:
	v_lshlrev_b32_e32 v9, 3, v1
	ds_write_b32 v9, v5
	ds_write_b8 v9, v7 offset:4
.LBB1656_130:
	s_or_b64 exec, exec, s[30:31]
	v_cmp_gt_u32_e64 s[4:5], 4, v0
	s_waitcnt lgkmcnt(0)
	s_barrier
	s_and_saveexec_b64 s[30:31], s[4:5]
	s_cbranch_execz .LBB1656_134
; %bb.131:
	v_lshlrev_b32_e32 v9, 3, v0
	ds_read_b64 v[28:29], v9
	v_and_b32_e32 v11, 3, v3
	v_cmp_ne_u32_e64 s[4:5], 0, v11
	s_waitcnt lgkmcnt(0)
	v_mov_b32_dpp v13, v28 row_shr:1 row_mask:0xf bank_mask:0xf
	v_mov_b32_dpp v17, v29 row_shr:1 row_mask:0xf bank_mask:0xf
	v_mov_b32_e32 v15, v29
	s_and_saveexec_b64 s[34:35], s[4:5]
	s_cbranch_execz .LBB1656_133
; %bb.132:
	v_and_b32_e32 v15, 1, v29
	v_and_b32_e32 v17, 1, v17
	v_cmp_eq_u32_e64 s[4:5], 1, v15
	v_mov_b32_e32 v15, 0
	v_cndmask_b32_e64 v17, v17, 1, s[4:5]
	v_cmp_eq_u16_sdwa s[4:5], v29, v15 src0_sel:BYTE_0 src1_sel:DWORD
	v_cndmask_b32_e64 v13, 0, v13, s[4:5]
	v_add_u32_e32 v28, v13, v28
	v_and_b32_e32 v13, 0xffff, v17
	s_movk_i32 s4, 0xff00
	v_and_or_b32 v15, v29, s4, v13
	v_mov_b32_e32 v29, v17
.LBB1656_133:
	s_or_b64 exec, exec, s[34:35]
	v_mov_b32_dpp v15, v15 row_shr:2 row_mask:0xf bank_mask:0xf
	v_and_b32_e32 v17, 1, v29
	v_and_b32_e32 v15, 1, v15
	v_cmp_eq_u32_e64 s[4:5], 1, v17
	v_mov_b32_e32 v17, 0
	v_cndmask_b32_e64 v15, v15, 1, s[4:5]
	v_cmp_eq_u16_sdwa s[34:35], v29, v17 src0_sel:BYTE_0 src1_sel:DWORD
	v_cmp_lt_u32_e64 s[4:5], 1, v11
	v_mov_b32_dpp v13, v28 row_shr:2 row_mask:0xf bank_mask:0xf
	v_cndmask_b32_e64 v11, v29, v15, s[4:5]
	s_and_b64 s[4:5], s[4:5], s[34:35]
	v_cndmask_b32_e64 v13, 0, v13, s[4:5]
	v_add_u32_e32 v13, v13, v28
	ds_write_b32 v9, v13
	ds_write_b8 v9, v11 offset:4
.LBB1656_134:
	s_or_b64 exec, exec, s[30:31]
	v_cmp_lt_u32_e64 s[4:5], 63, v0
	v_mov_b32_e32 v9, 0
	s_waitcnt lgkmcnt(0)
	s_barrier
	s_and_saveexec_b64 s[30:31], s[4:5]
	s_cbranch_execz .LBB1656_136
; %bb.135:
	v_lshl_add_u32 v1, v1, 3, -8
	ds_read_b32 v9, v1
	v_cmp_eq_u32_e64 s[4:5], 0, v7
	s_waitcnt lgkmcnt(0)
	v_cndmask_b32_e64 v1, 0, v9, s[4:5]
	v_add_u32_e32 v5, v1, v5
.LBB1656_136:
	s_or_b64 exec, exec, s[30:31]
	v_add_u32_e32 v1, -1, v3
	v_and_b32_e32 v7, 64, v3
	v_cmp_lt_i32_e64 s[4:5], v1, v7
	v_cndmask_b32_e64 v1, v1, v3, s[4:5]
	v_lshlrev_b32_e32 v1, 2, v1
	ds_bpermute_b32 v1, v1, v5
	s_and_saveexec_b64 s[30:31], s[36:37]
	s_cbranch_execz .LBB1656_138
; %bb.137:
	v_and_b32_e32 v27, 0xff, v39
	v_mov_b32_e32 v26, 0
	v_cmp_eq_u32_e64 s[4:5], 0, v3
	s_waitcnt lgkmcnt(0)
	v_cndmask_b32_e64 v1, v1, v9, s[4:5]
	v_cmp_eq_u64_e64 s[4:5], 0, v[26:27]
	v_cndmask_b32_e64 v1, 0, v1, s[4:5]
	v_add_u32_e32 v38, v1, v38
	v_cndmask_b32_e32 v1, 0, v38, vcc
	v_add_u32_e32 v27, v1, v2
	v_cndmask_b32_e64 v1, 0, v27, s[6:7]
	v_add_u32_e32 v42, v1, v4
	v_cndmask_b32_e64 v1, 0, v42, s[8:9]
	;; [unrolled: 2-line block ×12, first 2 shown]
	v_add_u32_e32 v49, v1, v40
	;;#ASMSTART
	;;#ASMEND
.LBB1656_138:
	s_or_b64 exec, exec, s[30:31]
	s_and_saveexec_b64 s[4:5], s[0:1]
	s_cbranch_execz .LBB1656_140
; %bb.139:
	v_mov_b32_e32 v5, 0
	ds_read_b32 v2, v5 offset:24
	ds_read_u8 v3, v5 offset:28
	s_add_u32 s0, s56, 0x400
	s_addc_u32 s1, s57, 0
	v_mov_b32_e32 v4, 2
	v_pk_mov_b32 v[6:7], s[0:1], s[0:1] op_sel:[0,1]
	s_waitcnt lgkmcnt(0)
	;;#ASMSTART
	global_store_dwordx4 v[6:7], v[2:5] off	
s_waitcnt vmcnt(0)
	;;#ASMEND
.LBB1656_140:
	s_or_b64 exec, exec, s[4:5]
	v_mov_b32_e32 v26, v38
.LBB1656_141:
	s_add_u32 s0, s46, s38
	s_addc_u32 s1, s47, s39
	s_add_u32 s4, s0, s40
	s_waitcnt lgkmcnt(0)
	v_mul_u32_u24_e32 v1, 14, v0
	s_addc_u32 s5, s1, s41
	s_and_b64 vcc, exec, s[2:3]
	v_lshlrev_b32_e32 v2, 2, v1
	s_cbranch_vccz .LBB1656_169
; %bb.142:
	s_movk_i32 s0, 0xffcc
	v_mad_i32_i24 v3, v0, s0, v2
	s_barrier
	ds_write2_b64 v2, v[26:27], v[42:43] offset1:1
	ds_write2_b64 v2, v[30:31], v[44:45] offset0:2 offset1:3
	ds_write2_b64 v2, v[34:35], v[46:47] offset0:4 offset1:5
	ds_write_b64 v2, v[48:49] offset:48
	s_waitcnt lgkmcnt(0)
	s_barrier
	ds_read2st64_b32 v[16:17], v3 offset0:4 offset1:8
	ds_read2st64_b32 v[14:15], v3 offset0:12 offset1:16
	;; [unrolled: 1-line block ×6, first 2 shown]
	ds_read_b32 v3, v3 offset:13312
	v_mov_b32_e32 v5, s5
	v_add_co_u32_e32 v4, vcc, s4, v50
	s_add_i32 s33, s33, s58
	v_addc_co_u32_e32 v5, vcc, 0, v5, vcc
	v_mov_b32_e32 v1, 0
	v_cmp_gt_u32_e32 vcc, s33, v0
	s_and_saveexec_b64 s[0:1], vcc
	s_cbranch_execz .LBB1656_144
; %bb.143:
	v_mul_i32_i24_e32 v18, 0xffffffcc, v0
	v_add_u32_e32 v18, v2, v18
	ds_read_b32 v18, v18
	s_waitcnt lgkmcnt(0)
	v_cvt_f32_u32_e32 v18, v18
	flat_store_dword v[4:5], v18
.LBB1656_144:
	s_or_b64 exec, exec, s[0:1]
	v_or_b32_e32 v18, 0x100, v0
	v_cmp_gt_u32_e32 vcc, s33, v18
	s_and_saveexec_b64 s[0:1], vcc
	s_cbranch_execz .LBB1656_146
; %bb.145:
	s_waitcnt lgkmcnt(0)
	v_cvt_f32_u32_e32 v16, v16
	flat_store_dword v[4:5], v16 offset:1024
.LBB1656_146:
	s_or_b64 exec, exec, s[0:1]
	s_waitcnt lgkmcnt(0)
	v_or_b32_e32 v16, 0x200, v0
	v_cmp_gt_u32_e32 vcc, s33, v16
	s_and_saveexec_b64 s[0:1], vcc
	s_cbranch_execz .LBB1656_148
; %bb.147:
	v_cvt_f32_u32_e32 v16, v17
	flat_store_dword v[4:5], v16 offset:2048
.LBB1656_148:
	s_or_b64 exec, exec, s[0:1]
	v_or_b32_e32 v16, 0x300, v0
	v_cmp_gt_u32_e32 vcc, s33, v16
	s_and_saveexec_b64 s[0:1], vcc
	s_cbranch_execz .LBB1656_150
; %bb.149:
	v_cvt_f32_u32_e32 v14, v14
	flat_store_dword v[4:5], v14 offset:3072
.LBB1656_150:
	s_or_b64 exec, exec, s[0:1]
	v_or_b32_e32 v14, 0x400, v0
	v_cmp_gt_u32_e32 vcc, s33, v14
	s_and_saveexec_b64 s[0:1], vcc
	s_cbranch_execz .LBB1656_152
; %bb.151:
	v_cvt_f32_u32_e32 v16, v15
	v_add_co_u32_e32 v14, vcc, 0x1000, v4
	v_addc_co_u32_e32 v15, vcc, 0, v5, vcc
	flat_store_dword v[14:15], v16
.LBB1656_152:
	s_or_b64 exec, exec, s[0:1]
	v_or_b32_e32 v14, 0x500, v0
	v_cmp_gt_u32_e32 vcc, s33, v14
	s_and_saveexec_b64 s[0:1], vcc
	s_cbranch_execz .LBB1656_154
; %bb.153:
	v_cvt_f32_u32_e32 v12, v12
	v_add_co_u32_e32 v14, vcc, 0x1000, v4
	v_addc_co_u32_e32 v15, vcc, 0, v5, vcc
	flat_store_dword v[14:15], v12 offset:1024
.LBB1656_154:
	s_or_b64 exec, exec, s[0:1]
	v_or_b32_e32 v12, 0x600, v0
	v_cmp_gt_u32_e32 vcc, s33, v12
	s_and_saveexec_b64 s[0:1], vcc
	s_cbranch_execz .LBB1656_156
; %bb.155:
	v_cvt_f32_u32_e32 v14, v13
	v_add_co_u32_e32 v12, vcc, 0x1000, v4
	v_addc_co_u32_e32 v13, vcc, 0, v5, vcc
	flat_store_dword v[12:13], v14 offset:2048
.LBB1656_156:
	;; [unrolled: 11-line block ×3, first 2 shown]
	s_or_b64 exec, exec, s[0:1]
	v_or_b32_e32 v10, 0x800, v0
	v_cmp_gt_u32_e32 vcc, s33, v10
	s_and_saveexec_b64 s[0:1], vcc
	s_cbranch_execz .LBB1656_160
; %bb.159:
	v_cvt_f32_u32_e32 v12, v11
	v_add_co_u32_e32 v10, vcc, 0x2000, v4
	v_addc_co_u32_e32 v11, vcc, 0, v5, vcc
	flat_store_dword v[10:11], v12
.LBB1656_160:
	s_or_b64 exec, exec, s[0:1]
	v_or_b32_e32 v10, 0x900, v0
	v_cmp_gt_u32_e32 vcc, s33, v10
	s_and_saveexec_b64 s[0:1], vcc
	s_cbranch_execz .LBB1656_162
; %bb.161:
	v_cvt_f32_u32_e32 v8, v8
	v_add_co_u32_e32 v10, vcc, 0x2000, v4
	v_addc_co_u32_e32 v11, vcc, 0, v5, vcc
	flat_store_dword v[10:11], v8 offset:1024
.LBB1656_162:
	s_or_b64 exec, exec, s[0:1]
	v_or_b32_e32 v8, 0xa00, v0
	v_cmp_gt_u32_e32 vcc, s33, v8
	s_and_saveexec_b64 s[0:1], vcc
	s_cbranch_execz .LBB1656_164
; %bb.163:
	v_cvt_f32_u32_e32 v10, v9
	v_add_co_u32_e32 v8, vcc, 0x2000, v4
	v_addc_co_u32_e32 v9, vcc, 0, v5, vcc
	flat_store_dword v[8:9], v10 offset:2048
.LBB1656_164:
	;; [unrolled: 11-line block ×3, first 2 shown]
	s_or_b64 exec, exec, s[0:1]
	v_or_b32_e32 v6, 0xc00, v0
	v_cmp_gt_u32_e32 vcc, s33, v6
	s_and_saveexec_b64 s[0:1], vcc
	s_cbranch_execz .LBB1656_168
; %bb.167:
	v_cvt_f32_u32_e32 v6, v7
	v_add_co_u32_e32 v4, vcc, 0x3000, v4
	v_addc_co_u32_e32 v5, vcc, 0, v5, vcc
	flat_store_dword v[4:5], v6
.LBB1656_168:
	s_or_b64 exec, exec, s[0:1]
	v_or_b32_e32 v4, 0xd00, v0
	v_cmp_gt_u32_e64 s[0:1], s33, v4
	s_branch .LBB1656_171
.LBB1656_169:
	s_mov_b64 s[0:1], 0
                                        ; implicit-def: $vgpr3
	s_cbranch_execz .LBB1656_171
; %bb.170:
	s_movk_i32 s2, 0xffcc
	s_waitcnt lgkmcnt(0)
	s_barrier
	ds_write2_b64 v2, v[26:27], v[42:43] offset1:1
	ds_write2_b64 v2, v[30:31], v[44:45] offset0:2 offset1:3
	ds_write2_b64 v2, v[34:35], v[46:47] offset0:4 offset1:5
	ds_write_b64 v2, v[48:49] offset:48
	v_mad_i32_i24 v2, v0, s2, v2
	s_waitcnt lgkmcnt(0)
	s_barrier
	ds_read2st64_b32 v[4:5], v2 offset1:4
	ds_read2st64_b32 v[6:7], v2 offset0:8 offset1:12
	ds_read2st64_b32 v[8:9], v2 offset0:16 offset1:20
	;; [unrolled: 1-line block ×6, first 2 shown]
	s_waitcnt lgkmcnt(0)
	v_cvt_f32_u32_e32 v4, v4
	v_cvt_f32_u32_e32 v5, v5
	v_mov_b32_e32 v17, s5
	v_add_co_u32_e32 v16, vcc, s4, v50
	v_cvt_f32_u32_e32 v6, v6
	v_addc_co_u32_e32 v17, vcc, 0, v17, vcc
	v_cvt_f32_u32_e32 v7, v7
	flat_store_dword v[16:17], v4
	flat_store_dword v[16:17], v5 offset:1024
	flat_store_dword v[16:17], v6 offset:2048
	flat_store_dword v[16:17], v7 offset:3072
	v_cvt_f32_u32_e32 v6, v8
	s_movk_i32 s2, 0x1000
	v_cvt_f32_u32_e32 v7, v9
	v_add_co_u32_e32 v4, vcc, s2, v16
	v_cvt_f32_u32_e32 v8, v10
	v_addc_co_u32_e32 v5, vcc, 0, v17, vcc
	v_cvt_f32_u32_e32 v9, v11
	flat_store_dword v[4:5], v6
	flat_store_dword v[4:5], v7 offset:1024
	flat_store_dword v[4:5], v8 offset:2048
	;; [unrolled: 1-line block ×3, first 2 shown]
	v_cvt_f32_u32_e32 v6, v12
	s_movk_i32 s2, 0x2000
	v_cvt_f32_u32_e32 v7, v13
	v_add_co_u32_e32 v4, vcc, s2, v16
	v_cvt_f32_u32_e32 v8, v14
	v_cvt_f32_u32_e32 v2, v2
	v_addc_co_u32_e32 v5, vcc, 0, v17, vcc
	v_cvt_f32_u32_e32 v9, v15
	flat_store_dword v[4:5], v6
	flat_store_dword v[4:5], v7 offset:1024
	flat_store_dword v[4:5], v8 offset:2048
	;; [unrolled: 1-line block ×3, first 2 shown]
	v_add_co_u32_e32 v4, vcc, 0x3000, v16
	v_mov_b32_e32 v1, 0
	v_addc_co_u32_e32 v5, vcc, 0, v17, vcc
	s_or_b64 s[0:1], s[0:1], exec
	flat_store_dword v[4:5], v2
.LBB1656_171:
	s_and_saveexec_b64 s[2:3], s[0:1]
	s_cbranch_execnz .LBB1656_173
; %bb.172:
	s_endpgm
.LBB1656_173:
	v_lshlrev_b64 v[0:1], 2, v[0:1]
	v_mov_b32_e32 v2, s5
	v_add_co_u32_e32 v0, vcc, s4, v0
	v_addc_co_u32_e32 v1, vcc, v2, v1, vcc
	v_cvt_f32_u32_e32 v2, v3
	v_add_co_u32_e32 v0, vcc, 0x3000, v0
	v_addc_co_u32_e32 v1, vcc, 0, v1, vcc
	flat_store_dword v[0:1], v2 offset:1024
	s_endpgm
.LBB1656_174:
	v_mov_b32_e32 v13, s63
	v_add_co_u32_e32 v14, vcc, s62, v12
	v_addc_co_u32_e32 v15, vcc, 0, v13, vcc
	flat_load_dword v13, v[14:15]
	s_or_b64 exec, exec, s[4:5]
                                        ; implicit-def: $vgpr14
	s_and_saveexec_b64 s[4:5], s[8:9]
	s_cbranch_execz .LBB1656_41
.LBB1656_175:
	v_mov_b32_e32 v15, s63
	v_add_co_u32_e32 v14, vcc, s62, v12
	v_addc_co_u32_e32 v15, vcc, 0, v15, vcc
	flat_load_dword v14, v[14:15] offset:1024
	s_or_b64 exec, exec, s[4:5]
                                        ; implicit-def: $vgpr15
	s_and_saveexec_b64 s[4:5], s[10:11]
	s_cbranch_execz .LBB1656_42
.LBB1656_176:
	v_mov_b32_e32 v15, s63
	v_add_co_u32_e32 v16, vcc, s62, v12
	v_addc_co_u32_e32 v17, vcc, 0, v15, vcc
	flat_load_dword v15, v[16:17] offset:2048
	s_or_b64 exec, exec, s[4:5]
                                        ; implicit-def: $vgpr16
	s_and_saveexec_b64 s[4:5], s[12:13]
	s_cbranch_execz .LBB1656_43
.LBB1656_177:
	v_mov_b32_e32 v17, s63
	v_add_co_u32_e32 v16, vcc, s62, v12
	v_addc_co_u32_e32 v17, vcc, 0, v17, vcc
	flat_load_dword v16, v[16:17] offset:3072
	s_or_b64 exec, exec, s[4:5]
                                        ; implicit-def: $vgpr17
	s_and_saveexec_b64 s[4:5], s[14:15]
	s_cbranch_execz .LBB1656_44
.LBB1656_178:
	v_lshlrev_b32_e32 v2, 2, v2
	v_mov_b32_e32 v17, s63
	v_add_co_u32_e32 v18, vcc, s62, v2
	v_addc_co_u32_e32 v19, vcc, 0, v17, vcc
	flat_load_dword v17, v[18:19]
	s_or_b64 exec, exec, s[4:5]
                                        ; implicit-def: $vgpr2
	s_and_saveexec_b64 s[4:5], s[16:17]
	s_cbranch_execz .LBB1656_45
.LBB1656_179:
	v_lshlrev_b32_e32 v2, 2, v3
	v_mov_b32_e32 v3, s63
	v_add_co_u32_e32 v2, vcc, s62, v2
	v_addc_co_u32_e32 v3, vcc, 0, v3, vcc
	flat_load_dword v2, v[2:3]
	s_or_b64 exec, exec, s[4:5]
                                        ; implicit-def: $vgpr3
	s_and_saveexec_b64 s[4:5], s[18:19]
	s_cbranch_execz .LBB1656_46
.LBB1656_180:
	v_lshlrev_b32_e32 v3, 2, v4
	v_mov_b32_e32 v4, s63
	v_add_co_u32_e32 v18, vcc, s62, v3
	v_addc_co_u32_e32 v19, vcc, 0, v4, vcc
	flat_load_dword v3, v[18:19]
	s_or_b64 exec, exec, s[4:5]
                                        ; implicit-def: $vgpr4
	s_and_saveexec_b64 s[4:5], s[20:21]
	s_cbranch_execz .LBB1656_47
.LBB1656_181:
	v_lshlrev_b32_e32 v4, 2, v5
	v_mov_b32_e32 v5, s63
	v_add_co_u32_e32 v4, vcc, s62, v4
	v_addc_co_u32_e32 v5, vcc, 0, v5, vcc
	flat_load_dword v4, v[4:5]
	s_or_b64 exec, exec, s[4:5]
                                        ; implicit-def: $vgpr5
	s_and_saveexec_b64 s[4:5], s[22:23]
	s_cbranch_execz .LBB1656_48
.LBB1656_182:
	v_lshlrev_b32_e32 v5, 2, v6
	v_mov_b32_e32 v6, s63
	v_add_co_u32_e32 v18, vcc, s62, v5
	v_addc_co_u32_e32 v19, vcc, 0, v6, vcc
	flat_load_dword v5, v[18:19]
	s_or_b64 exec, exec, s[4:5]
                                        ; implicit-def: $vgpr6
	s_and_saveexec_b64 s[4:5], s[24:25]
	s_cbranch_execz .LBB1656_49
.LBB1656_183:
	v_lshlrev_b32_e32 v6, 2, v7
	v_mov_b32_e32 v7, s63
	v_add_co_u32_e32 v6, vcc, s62, v6
	v_addc_co_u32_e32 v7, vcc, 0, v7, vcc
	flat_load_dword v6, v[6:7]
	s_or_b64 exec, exec, s[4:5]
                                        ; implicit-def: $vgpr7
	s_and_saveexec_b64 s[4:5], s[26:27]
	s_cbranch_execz .LBB1656_50
.LBB1656_184:
	v_lshlrev_b32_e32 v7, 2, v8
	v_mov_b32_e32 v8, s63
	v_add_co_u32_e32 v18, vcc, s62, v7
	v_addc_co_u32_e32 v19, vcc, 0, v8, vcc
	flat_load_dword v7, v[18:19]
	s_or_b64 exec, exec, s[4:5]
                                        ; implicit-def: $vgpr8
	s_and_saveexec_b64 s[4:5], s[28:29]
	s_cbranch_execz .LBB1656_51
.LBB1656_185:
	v_lshlrev_b32_e32 v8, 2, v9
	v_mov_b32_e32 v9, s63
	v_add_co_u32_e32 v8, vcc, s62, v8
	v_addc_co_u32_e32 v9, vcc, 0, v9, vcc
	flat_load_dword v8, v[8:9]
	s_or_b64 exec, exec, s[4:5]
                                        ; implicit-def: $vgpr9
	s_and_saveexec_b64 s[4:5], s[30:31]
	s_cbranch_execz .LBB1656_52
.LBB1656_186:
	v_lshlrev_b32_e32 v9, 2, v10
	v_mov_b32_e32 v10, s63
	v_add_co_u32_e32 v18, vcc, s62, v9
	v_addc_co_u32_e32 v19, vcc, 0, v10, vcc
	flat_load_dword v9, v[18:19]
	s_or_b64 exec, exec, s[4:5]
                                        ; implicit-def: $vgpr10
	s_and_saveexec_b64 s[4:5], s[34:35]
	s_cbranch_execnz .LBB1656_53
	s_branch .LBB1656_54
.LBB1656_187:
                                        ; implicit-def: $sgpr4_sgpr5
	s_branch .LBB1656_36
.LBB1656_188:
                                        ; implicit-def: $sgpr4_sgpr5
	s_branch .LBB1656_85
	.section	.rodata,"a",@progbits
	.p2align	6, 0x0
	.amdhsa_kernel _ZN7rocprim17ROCPRIM_400000_NS6detail17trampoline_kernelINS0_14default_configENS1_27scan_by_key_config_selectorIijEEZZNS1_16scan_by_key_implILNS1_25lookback_scan_determinismE0ELb0ES3_N6thrust23THRUST_200600_302600_NS6detail15normal_iteratorINS9_10device_ptrIiEEEENSB_INSC_IjEEEENSB_INSC_IfEEEEjNS9_4plusIvEENS9_8equal_toIvEEjEE10hipError_tPvRmT2_T3_T4_T5_mT6_T7_P12ihipStream_tbENKUlT_T0_E_clISt17integral_constantIbLb1EES13_EEDaSY_SZ_EUlSY_E_NS1_11comp_targetILNS1_3genE4ELNS1_11target_archE910ELNS1_3gpuE8ELNS1_3repE0EEENS1_30default_config_static_selectorELNS0_4arch9wavefront6targetE1EEEvT1_
		.amdhsa_group_segment_fixed_size 16384
		.amdhsa_private_segment_fixed_size 0
		.amdhsa_kernarg_size 112
		.amdhsa_user_sgpr_count 6
		.amdhsa_user_sgpr_private_segment_buffer 1
		.amdhsa_user_sgpr_dispatch_ptr 0
		.amdhsa_user_sgpr_queue_ptr 0
		.amdhsa_user_sgpr_kernarg_segment_ptr 1
		.amdhsa_user_sgpr_dispatch_id 0
		.amdhsa_user_sgpr_flat_scratch_init 0
		.amdhsa_user_sgpr_kernarg_preload_length 0
		.amdhsa_user_sgpr_kernarg_preload_offset 0
		.amdhsa_user_sgpr_private_segment_size 0
		.amdhsa_uses_dynamic_stack 0
		.amdhsa_system_sgpr_private_segment_wavefront_offset 0
		.amdhsa_system_sgpr_workgroup_id_x 1
		.amdhsa_system_sgpr_workgroup_id_y 0
		.amdhsa_system_sgpr_workgroup_id_z 0
		.amdhsa_system_sgpr_workgroup_info 0
		.amdhsa_system_vgpr_workitem_id 0
		.amdhsa_next_free_vgpr 65
		.amdhsa_next_free_sgpr 65
		.amdhsa_accum_offset 68
		.amdhsa_reserve_vcc 1
		.amdhsa_reserve_flat_scratch 0
		.amdhsa_float_round_mode_32 0
		.amdhsa_float_round_mode_16_64 0
		.amdhsa_float_denorm_mode_32 3
		.amdhsa_float_denorm_mode_16_64 3
		.amdhsa_dx10_clamp 1
		.amdhsa_ieee_mode 1
		.amdhsa_fp16_overflow 0
		.amdhsa_tg_split 0
		.amdhsa_exception_fp_ieee_invalid_op 0
		.amdhsa_exception_fp_denorm_src 0
		.amdhsa_exception_fp_ieee_div_zero 0
		.amdhsa_exception_fp_ieee_overflow 0
		.amdhsa_exception_fp_ieee_underflow 0
		.amdhsa_exception_fp_ieee_inexact 0
		.amdhsa_exception_int_div_zero 0
	.end_amdhsa_kernel
	.section	.text._ZN7rocprim17ROCPRIM_400000_NS6detail17trampoline_kernelINS0_14default_configENS1_27scan_by_key_config_selectorIijEEZZNS1_16scan_by_key_implILNS1_25lookback_scan_determinismE0ELb0ES3_N6thrust23THRUST_200600_302600_NS6detail15normal_iteratorINS9_10device_ptrIiEEEENSB_INSC_IjEEEENSB_INSC_IfEEEEjNS9_4plusIvEENS9_8equal_toIvEEjEE10hipError_tPvRmT2_T3_T4_T5_mT6_T7_P12ihipStream_tbENKUlT_T0_E_clISt17integral_constantIbLb1EES13_EEDaSY_SZ_EUlSY_E_NS1_11comp_targetILNS1_3genE4ELNS1_11target_archE910ELNS1_3gpuE8ELNS1_3repE0EEENS1_30default_config_static_selectorELNS0_4arch9wavefront6targetE1EEEvT1_,"axG",@progbits,_ZN7rocprim17ROCPRIM_400000_NS6detail17trampoline_kernelINS0_14default_configENS1_27scan_by_key_config_selectorIijEEZZNS1_16scan_by_key_implILNS1_25lookback_scan_determinismE0ELb0ES3_N6thrust23THRUST_200600_302600_NS6detail15normal_iteratorINS9_10device_ptrIiEEEENSB_INSC_IjEEEENSB_INSC_IfEEEEjNS9_4plusIvEENS9_8equal_toIvEEjEE10hipError_tPvRmT2_T3_T4_T5_mT6_T7_P12ihipStream_tbENKUlT_T0_E_clISt17integral_constantIbLb1EES13_EEDaSY_SZ_EUlSY_E_NS1_11comp_targetILNS1_3genE4ELNS1_11target_archE910ELNS1_3gpuE8ELNS1_3repE0EEENS1_30default_config_static_selectorELNS0_4arch9wavefront6targetE1EEEvT1_,comdat
.Lfunc_end1656:
	.size	_ZN7rocprim17ROCPRIM_400000_NS6detail17trampoline_kernelINS0_14default_configENS1_27scan_by_key_config_selectorIijEEZZNS1_16scan_by_key_implILNS1_25lookback_scan_determinismE0ELb0ES3_N6thrust23THRUST_200600_302600_NS6detail15normal_iteratorINS9_10device_ptrIiEEEENSB_INSC_IjEEEENSB_INSC_IfEEEEjNS9_4plusIvEENS9_8equal_toIvEEjEE10hipError_tPvRmT2_T3_T4_T5_mT6_T7_P12ihipStream_tbENKUlT_T0_E_clISt17integral_constantIbLb1EES13_EEDaSY_SZ_EUlSY_E_NS1_11comp_targetILNS1_3genE4ELNS1_11target_archE910ELNS1_3gpuE8ELNS1_3repE0EEENS1_30default_config_static_selectorELNS0_4arch9wavefront6targetE1EEEvT1_, .Lfunc_end1656-_ZN7rocprim17ROCPRIM_400000_NS6detail17trampoline_kernelINS0_14default_configENS1_27scan_by_key_config_selectorIijEEZZNS1_16scan_by_key_implILNS1_25lookback_scan_determinismE0ELb0ES3_N6thrust23THRUST_200600_302600_NS6detail15normal_iteratorINS9_10device_ptrIiEEEENSB_INSC_IjEEEENSB_INSC_IfEEEEjNS9_4plusIvEENS9_8equal_toIvEEjEE10hipError_tPvRmT2_T3_T4_T5_mT6_T7_P12ihipStream_tbENKUlT_T0_E_clISt17integral_constantIbLb1EES13_EEDaSY_SZ_EUlSY_E_NS1_11comp_targetILNS1_3genE4ELNS1_11target_archE910ELNS1_3gpuE8ELNS1_3repE0EEENS1_30default_config_static_selectorELNS0_4arch9wavefront6targetE1EEEvT1_
                                        ; -- End function
	.section	.AMDGPU.csdata,"",@progbits
; Kernel info:
; codeLenInByte = 11252
; NumSgprs: 69
; NumVgprs: 65
; NumAgprs: 0
; TotalNumVgprs: 65
; ScratchSize: 0
; MemoryBound: 0
; FloatMode: 240
; IeeeMode: 1
; LDSByteSize: 16384 bytes/workgroup (compile time only)
; SGPRBlocks: 8
; VGPRBlocks: 8
; NumSGPRsForWavesPerEU: 69
; NumVGPRsForWavesPerEU: 65
; AccumOffset: 68
; Occupancy: 4
; WaveLimiterHint : 1
; COMPUTE_PGM_RSRC2:SCRATCH_EN: 0
; COMPUTE_PGM_RSRC2:USER_SGPR: 6
; COMPUTE_PGM_RSRC2:TRAP_HANDLER: 0
; COMPUTE_PGM_RSRC2:TGID_X_EN: 1
; COMPUTE_PGM_RSRC2:TGID_Y_EN: 0
; COMPUTE_PGM_RSRC2:TGID_Z_EN: 0
; COMPUTE_PGM_RSRC2:TIDIG_COMP_CNT: 0
; COMPUTE_PGM_RSRC3_GFX90A:ACCUM_OFFSET: 16
; COMPUTE_PGM_RSRC3_GFX90A:TG_SPLIT: 0
	.section	.text._ZN7rocprim17ROCPRIM_400000_NS6detail17trampoline_kernelINS0_14default_configENS1_27scan_by_key_config_selectorIijEEZZNS1_16scan_by_key_implILNS1_25lookback_scan_determinismE0ELb0ES3_N6thrust23THRUST_200600_302600_NS6detail15normal_iteratorINS9_10device_ptrIiEEEENSB_INSC_IjEEEENSB_INSC_IfEEEEjNS9_4plusIvEENS9_8equal_toIvEEjEE10hipError_tPvRmT2_T3_T4_T5_mT6_T7_P12ihipStream_tbENKUlT_T0_E_clISt17integral_constantIbLb1EES13_EEDaSY_SZ_EUlSY_E_NS1_11comp_targetILNS1_3genE3ELNS1_11target_archE908ELNS1_3gpuE7ELNS1_3repE0EEENS1_30default_config_static_selectorELNS0_4arch9wavefront6targetE1EEEvT1_,"axG",@progbits,_ZN7rocprim17ROCPRIM_400000_NS6detail17trampoline_kernelINS0_14default_configENS1_27scan_by_key_config_selectorIijEEZZNS1_16scan_by_key_implILNS1_25lookback_scan_determinismE0ELb0ES3_N6thrust23THRUST_200600_302600_NS6detail15normal_iteratorINS9_10device_ptrIiEEEENSB_INSC_IjEEEENSB_INSC_IfEEEEjNS9_4plusIvEENS9_8equal_toIvEEjEE10hipError_tPvRmT2_T3_T4_T5_mT6_T7_P12ihipStream_tbENKUlT_T0_E_clISt17integral_constantIbLb1EES13_EEDaSY_SZ_EUlSY_E_NS1_11comp_targetILNS1_3genE3ELNS1_11target_archE908ELNS1_3gpuE7ELNS1_3repE0EEENS1_30default_config_static_selectorELNS0_4arch9wavefront6targetE1EEEvT1_,comdat
	.protected	_ZN7rocprim17ROCPRIM_400000_NS6detail17trampoline_kernelINS0_14default_configENS1_27scan_by_key_config_selectorIijEEZZNS1_16scan_by_key_implILNS1_25lookback_scan_determinismE0ELb0ES3_N6thrust23THRUST_200600_302600_NS6detail15normal_iteratorINS9_10device_ptrIiEEEENSB_INSC_IjEEEENSB_INSC_IfEEEEjNS9_4plusIvEENS9_8equal_toIvEEjEE10hipError_tPvRmT2_T3_T4_T5_mT6_T7_P12ihipStream_tbENKUlT_T0_E_clISt17integral_constantIbLb1EES13_EEDaSY_SZ_EUlSY_E_NS1_11comp_targetILNS1_3genE3ELNS1_11target_archE908ELNS1_3gpuE7ELNS1_3repE0EEENS1_30default_config_static_selectorELNS0_4arch9wavefront6targetE1EEEvT1_ ; -- Begin function _ZN7rocprim17ROCPRIM_400000_NS6detail17trampoline_kernelINS0_14default_configENS1_27scan_by_key_config_selectorIijEEZZNS1_16scan_by_key_implILNS1_25lookback_scan_determinismE0ELb0ES3_N6thrust23THRUST_200600_302600_NS6detail15normal_iteratorINS9_10device_ptrIiEEEENSB_INSC_IjEEEENSB_INSC_IfEEEEjNS9_4plusIvEENS9_8equal_toIvEEjEE10hipError_tPvRmT2_T3_T4_T5_mT6_T7_P12ihipStream_tbENKUlT_T0_E_clISt17integral_constantIbLb1EES13_EEDaSY_SZ_EUlSY_E_NS1_11comp_targetILNS1_3genE3ELNS1_11target_archE908ELNS1_3gpuE7ELNS1_3repE0EEENS1_30default_config_static_selectorELNS0_4arch9wavefront6targetE1EEEvT1_
	.globl	_ZN7rocprim17ROCPRIM_400000_NS6detail17trampoline_kernelINS0_14default_configENS1_27scan_by_key_config_selectorIijEEZZNS1_16scan_by_key_implILNS1_25lookback_scan_determinismE0ELb0ES3_N6thrust23THRUST_200600_302600_NS6detail15normal_iteratorINS9_10device_ptrIiEEEENSB_INSC_IjEEEENSB_INSC_IfEEEEjNS9_4plusIvEENS9_8equal_toIvEEjEE10hipError_tPvRmT2_T3_T4_T5_mT6_T7_P12ihipStream_tbENKUlT_T0_E_clISt17integral_constantIbLb1EES13_EEDaSY_SZ_EUlSY_E_NS1_11comp_targetILNS1_3genE3ELNS1_11target_archE908ELNS1_3gpuE7ELNS1_3repE0EEENS1_30default_config_static_selectorELNS0_4arch9wavefront6targetE1EEEvT1_
	.p2align	8
	.type	_ZN7rocprim17ROCPRIM_400000_NS6detail17trampoline_kernelINS0_14default_configENS1_27scan_by_key_config_selectorIijEEZZNS1_16scan_by_key_implILNS1_25lookback_scan_determinismE0ELb0ES3_N6thrust23THRUST_200600_302600_NS6detail15normal_iteratorINS9_10device_ptrIiEEEENSB_INSC_IjEEEENSB_INSC_IfEEEEjNS9_4plusIvEENS9_8equal_toIvEEjEE10hipError_tPvRmT2_T3_T4_T5_mT6_T7_P12ihipStream_tbENKUlT_T0_E_clISt17integral_constantIbLb1EES13_EEDaSY_SZ_EUlSY_E_NS1_11comp_targetILNS1_3genE3ELNS1_11target_archE908ELNS1_3gpuE7ELNS1_3repE0EEENS1_30default_config_static_selectorELNS0_4arch9wavefront6targetE1EEEvT1_,@function
_ZN7rocprim17ROCPRIM_400000_NS6detail17trampoline_kernelINS0_14default_configENS1_27scan_by_key_config_selectorIijEEZZNS1_16scan_by_key_implILNS1_25lookback_scan_determinismE0ELb0ES3_N6thrust23THRUST_200600_302600_NS6detail15normal_iteratorINS9_10device_ptrIiEEEENSB_INSC_IjEEEENSB_INSC_IfEEEEjNS9_4plusIvEENS9_8equal_toIvEEjEE10hipError_tPvRmT2_T3_T4_T5_mT6_T7_P12ihipStream_tbENKUlT_T0_E_clISt17integral_constantIbLb1EES13_EEDaSY_SZ_EUlSY_E_NS1_11comp_targetILNS1_3genE3ELNS1_11target_archE908ELNS1_3gpuE7ELNS1_3repE0EEENS1_30default_config_static_selectorELNS0_4arch9wavefront6targetE1EEEvT1_: ; @_ZN7rocprim17ROCPRIM_400000_NS6detail17trampoline_kernelINS0_14default_configENS1_27scan_by_key_config_selectorIijEEZZNS1_16scan_by_key_implILNS1_25lookback_scan_determinismE0ELb0ES3_N6thrust23THRUST_200600_302600_NS6detail15normal_iteratorINS9_10device_ptrIiEEEENSB_INSC_IjEEEENSB_INSC_IfEEEEjNS9_4plusIvEENS9_8equal_toIvEEjEE10hipError_tPvRmT2_T3_T4_T5_mT6_T7_P12ihipStream_tbENKUlT_T0_E_clISt17integral_constantIbLb1EES13_EEDaSY_SZ_EUlSY_E_NS1_11comp_targetILNS1_3genE3ELNS1_11target_archE908ELNS1_3gpuE7ELNS1_3repE0EEENS1_30default_config_static_selectorELNS0_4arch9wavefront6targetE1EEEvT1_
; %bb.0:
	.section	.rodata,"a",@progbits
	.p2align	6, 0x0
	.amdhsa_kernel _ZN7rocprim17ROCPRIM_400000_NS6detail17trampoline_kernelINS0_14default_configENS1_27scan_by_key_config_selectorIijEEZZNS1_16scan_by_key_implILNS1_25lookback_scan_determinismE0ELb0ES3_N6thrust23THRUST_200600_302600_NS6detail15normal_iteratorINS9_10device_ptrIiEEEENSB_INSC_IjEEEENSB_INSC_IfEEEEjNS9_4plusIvEENS9_8equal_toIvEEjEE10hipError_tPvRmT2_T3_T4_T5_mT6_T7_P12ihipStream_tbENKUlT_T0_E_clISt17integral_constantIbLb1EES13_EEDaSY_SZ_EUlSY_E_NS1_11comp_targetILNS1_3genE3ELNS1_11target_archE908ELNS1_3gpuE7ELNS1_3repE0EEENS1_30default_config_static_selectorELNS0_4arch9wavefront6targetE1EEEvT1_
		.amdhsa_group_segment_fixed_size 0
		.amdhsa_private_segment_fixed_size 0
		.amdhsa_kernarg_size 112
		.amdhsa_user_sgpr_count 6
		.amdhsa_user_sgpr_private_segment_buffer 1
		.amdhsa_user_sgpr_dispatch_ptr 0
		.amdhsa_user_sgpr_queue_ptr 0
		.amdhsa_user_sgpr_kernarg_segment_ptr 1
		.amdhsa_user_sgpr_dispatch_id 0
		.amdhsa_user_sgpr_flat_scratch_init 0
		.amdhsa_user_sgpr_kernarg_preload_length 0
		.amdhsa_user_sgpr_kernarg_preload_offset 0
		.amdhsa_user_sgpr_private_segment_size 0
		.amdhsa_uses_dynamic_stack 0
		.amdhsa_system_sgpr_private_segment_wavefront_offset 0
		.amdhsa_system_sgpr_workgroup_id_x 1
		.amdhsa_system_sgpr_workgroup_id_y 0
		.amdhsa_system_sgpr_workgroup_id_z 0
		.amdhsa_system_sgpr_workgroup_info 0
		.amdhsa_system_vgpr_workitem_id 0
		.amdhsa_next_free_vgpr 1
		.amdhsa_next_free_sgpr 0
		.amdhsa_accum_offset 4
		.amdhsa_reserve_vcc 0
		.amdhsa_reserve_flat_scratch 0
		.amdhsa_float_round_mode_32 0
		.amdhsa_float_round_mode_16_64 0
		.amdhsa_float_denorm_mode_32 3
		.amdhsa_float_denorm_mode_16_64 3
		.amdhsa_dx10_clamp 1
		.amdhsa_ieee_mode 1
		.amdhsa_fp16_overflow 0
		.amdhsa_tg_split 0
		.amdhsa_exception_fp_ieee_invalid_op 0
		.amdhsa_exception_fp_denorm_src 0
		.amdhsa_exception_fp_ieee_div_zero 0
		.amdhsa_exception_fp_ieee_overflow 0
		.amdhsa_exception_fp_ieee_underflow 0
		.amdhsa_exception_fp_ieee_inexact 0
		.amdhsa_exception_int_div_zero 0
	.end_amdhsa_kernel
	.section	.text._ZN7rocprim17ROCPRIM_400000_NS6detail17trampoline_kernelINS0_14default_configENS1_27scan_by_key_config_selectorIijEEZZNS1_16scan_by_key_implILNS1_25lookback_scan_determinismE0ELb0ES3_N6thrust23THRUST_200600_302600_NS6detail15normal_iteratorINS9_10device_ptrIiEEEENSB_INSC_IjEEEENSB_INSC_IfEEEEjNS9_4plusIvEENS9_8equal_toIvEEjEE10hipError_tPvRmT2_T3_T4_T5_mT6_T7_P12ihipStream_tbENKUlT_T0_E_clISt17integral_constantIbLb1EES13_EEDaSY_SZ_EUlSY_E_NS1_11comp_targetILNS1_3genE3ELNS1_11target_archE908ELNS1_3gpuE7ELNS1_3repE0EEENS1_30default_config_static_selectorELNS0_4arch9wavefront6targetE1EEEvT1_,"axG",@progbits,_ZN7rocprim17ROCPRIM_400000_NS6detail17trampoline_kernelINS0_14default_configENS1_27scan_by_key_config_selectorIijEEZZNS1_16scan_by_key_implILNS1_25lookback_scan_determinismE0ELb0ES3_N6thrust23THRUST_200600_302600_NS6detail15normal_iteratorINS9_10device_ptrIiEEEENSB_INSC_IjEEEENSB_INSC_IfEEEEjNS9_4plusIvEENS9_8equal_toIvEEjEE10hipError_tPvRmT2_T3_T4_T5_mT6_T7_P12ihipStream_tbENKUlT_T0_E_clISt17integral_constantIbLb1EES13_EEDaSY_SZ_EUlSY_E_NS1_11comp_targetILNS1_3genE3ELNS1_11target_archE908ELNS1_3gpuE7ELNS1_3repE0EEENS1_30default_config_static_selectorELNS0_4arch9wavefront6targetE1EEEvT1_,comdat
.Lfunc_end1657:
	.size	_ZN7rocprim17ROCPRIM_400000_NS6detail17trampoline_kernelINS0_14default_configENS1_27scan_by_key_config_selectorIijEEZZNS1_16scan_by_key_implILNS1_25lookback_scan_determinismE0ELb0ES3_N6thrust23THRUST_200600_302600_NS6detail15normal_iteratorINS9_10device_ptrIiEEEENSB_INSC_IjEEEENSB_INSC_IfEEEEjNS9_4plusIvEENS9_8equal_toIvEEjEE10hipError_tPvRmT2_T3_T4_T5_mT6_T7_P12ihipStream_tbENKUlT_T0_E_clISt17integral_constantIbLb1EES13_EEDaSY_SZ_EUlSY_E_NS1_11comp_targetILNS1_3genE3ELNS1_11target_archE908ELNS1_3gpuE7ELNS1_3repE0EEENS1_30default_config_static_selectorELNS0_4arch9wavefront6targetE1EEEvT1_, .Lfunc_end1657-_ZN7rocprim17ROCPRIM_400000_NS6detail17trampoline_kernelINS0_14default_configENS1_27scan_by_key_config_selectorIijEEZZNS1_16scan_by_key_implILNS1_25lookback_scan_determinismE0ELb0ES3_N6thrust23THRUST_200600_302600_NS6detail15normal_iteratorINS9_10device_ptrIiEEEENSB_INSC_IjEEEENSB_INSC_IfEEEEjNS9_4plusIvEENS9_8equal_toIvEEjEE10hipError_tPvRmT2_T3_T4_T5_mT6_T7_P12ihipStream_tbENKUlT_T0_E_clISt17integral_constantIbLb1EES13_EEDaSY_SZ_EUlSY_E_NS1_11comp_targetILNS1_3genE3ELNS1_11target_archE908ELNS1_3gpuE7ELNS1_3repE0EEENS1_30default_config_static_selectorELNS0_4arch9wavefront6targetE1EEEvT1_
                                        ; -- End function
	.section	.AMDGPU.csdata,"",@progbits
; Kernel info:
; codeLenInByte = 0
; NumSgprs: 4
; NumVgprs: 0
; NumAgprs: 0
; TotalNumVgprs: 0
; ScratchSize: 0
; MemoryBound: 0
; FloatMode: 240
; IeeeMode: 1
; LDSByteSize: 0 bytes/workgroup (compile time only)
; SGPRBlocks: 0
; VGPRBlocks: 0
; NumSGPRsForWavesPerEU: 4
; NumVGPRsForWavesPerEU: 1
; AccumOffset: 4
; Occupancy: 8
; WaveLimiterHint : 0
; COMPUTE_PGM_RSRC2:SCRATCH_EN: 0
; COMPUTE_PGM_RSRC2:USER_SGPR: 6
; COMPUTE_PGM_RSRC2:TRAP_HANDLER: 0
; COMPUTE_PGM_RSRC2:TGID_X_EN: 1
; COMPUTE_PGM_RSRC2:TGID_Y_EN: 0
; COMPUTE_PGM_RSRC2:TGID_Z_EN: 0
; COMPUTE_PGM_RSRC2:TIDIG_COMP_CNT: 0
; COMPUTE_PGM_RSRC3_GFX90A:ACCUM_OFFSET: 0
; COMPUTE_PGM_RSRC3_GFX90A:TG_SPLIT: 0
	.section	.text._ZN7rocprim17ROCPRIM_400000_NS6detail17trampoline_kernelINS0_14default_configENS1_27scan_by_key_config_selectorIijEEZZNS1_16scan_by_key_implILNS1_25lookback_scan_determinismE0ELb0ES3_N6thrust23THRUST_200600_302600_NS6detail15normal_iteratorINS9_10device_ptrIiEEEENSB_INSC_IjEEEENSB_INSC_IfEEEEjNS9_4plusIvEENS9_8equal_toIvEEjEE10hipError_tPvRmT2_T3_T4_T5_mT6_T7_P12ihipStream_tbENKUlT_T0_E_clISt17integral_constantIbLb1EES13_EEDaSY_SZ_EUlSY_E_NS1_11comp_targetILNS1_3genE2ELNS1_11target_archE906ELNS1_3gpuE6ELNS1_3repE0EEENS1_30default_config_static_selectorELNS0_4arch9wavefront6targetE1EEEvT1_,"axG",@progbits,_ZN7rocprim17ROCPRIM_400000_NS6detail17trampoline_kernelINS0_14default_configENS1_27scan_by_key_config_selectorIijEEZZNS1_16scan_by_key_implILNS1_25lookback_scan_determinismE0ELb0ES3_N6thrust23THRUST_200600_302600_NS6detail15normal_iteratorINS9_10device_ptrIiEEEENSB_INSC_IjEEEENSB_INSC_IfEEEEjNS9_4plusIvEENS9_8equal_toIvEEjEE10hipError_tPvRmT2_T3_T4_T5_mT6_T7_P12ihipStream_tbENKUlT_T0_E_clISt17integral_constantIbLb1EES13_EEDaSY_SZ_EUlSY_E_NS1_11comp_targetILNS1_3genE2ELNS1_11target_archE906ELNS1_3gpuE6ELNS1_3repE0EEENS1_30default_config_static_selectorELNS0_4arch9wavefront6targetE1EEEvT1_,comdat
	.protected	_ZN7rocprim17ROCPRIM_400000_NS6detail17trampoline_kernelINS0_14default_configENS1_27scan_by_key_config_selectorIijEEZZNS1_16scan_by_key_implILNS1_25lookback_scan_determinismE0ELb0ES3_N6thrust23THRUST_200600_302600_NS6detail15normal_iteratorINS9_10device_ptrIiEEEENSB_INSC_IjEEEENSB_INSC_IfEEEEjNS9_4plusIvEENS9_8equal_toIvEEjEE10hipError_tPvRmT2_T3_T4_T5_mT6_T7_P12ihipStream_tbENKUlT_T0_E_clISt17integral_constantIbLb1EES13_EEDaSY_SZ_EUlSY_E_NS1_11comp_targetILNS1_3genE2ELNS1_11target_archE906ELNS1_3gpuE6ELNS1_3repE0EEENS1_30default_config_static_selectorELNS0_4arch9wavefront6targetE1EEEvT1_ ; -- Begin function _ZN7rocprim17ROCPRIM_400000_NS6detail17trampoline_kernelINS0_14default_configENS1_27scan_by_key_config_selectorIijEEZZNS1_16scan_by_key_implILNS1_25lookback_scan_determinismE0ELb0ES3_N6thrust23THRUST_200600_302600_NS6detail15normal_iteratorINS9_10device_ptrIiEEEENSB_INSC_IjEEEENSB_INSC_IfEEEEjNS9_4plusIvEENS9_8equal_toIvEEjEE10hipError_tPvRmT2_T3_T4_T5_mT6_T7_P12ihipStream_tbENKUlT_T0_E_clISt17integral_constantIbLb1EES13_EEDaSY_SZ_EUlSY_E_NS1_11comp_targetILNS1_3genE2ELNS1_11target_archE906ELNS1_3gpuE6ELNS1_3repE0EEENS1_30default_config_static_selectorELNS0_4arch9wavefront6targetE1EEEvT1_
	.globl	_ZN7rocprim17ROCPRIM_400000_NS6detail17trampoline_kernelINS0_14default_configENS1_27scan_by_key_config_selectorIijEEZZNS1_16scan_by_key_implILNS1_25lookback_scan_determinismE0ELb0ES3_N6thrust23THRUST_200600_302600_NS6detail15normal_iteratorINS9_10device_ptrIiEEEENSB_INSC_IjEEEENSB_INSC_IfEEEEjNS9_4plusIvEENS9_8equal_toIvEEjEE10hipError_tPvRmT2_T3_T4_T5_mT6_T7_P12ihipStream_tbENKUlT_T0_E_clISt17integral_constantIbLb1EES13_EEDaSY_SZ_EUlSY_E_NS1_11comp_targetILNS1_3genE2ELNS1_11target_archE906ELNS1_3gpuE6ELNS1_3repE0EEENS1_30default_config_static_selectorELNS0_4arch9wavefront6targetE1EEEvT1_
	.p2align	8
	.type	_ZN7rocprim17ROCPRIM_400000_NS6detail17trampoline_kernelINS0_14default_configENS1_27scan_by_key_config_selectorIijEEZZNS1_16scan_by_key_implILNS1_25lookback_scan_determinismE0ELb0ES3_N6thrust23THRUST_200600_302600_NS6detail15normal_iteratorINS9_10device_ptrIiEEEENSB_INSC_IjEEEENSB_INSC_IfEEEEjNS9_4plusIvEENS9_8equal_toIvEEjEE10hipError_tPvRmT2_T3_T4_T5_mT6_T7_P12ihipStream_tbENKUlT_T0_E_clISt17integral_constantIbLb1EES13_EEDaSY_SZ_EUlSY_E_NS1_11comp_targetILNS1_3genE2ELNS1_11target_archE906ELNS1_3gpuE6ELNS1_3repE0EEENS1_30default_config_static_selectorELNS0_4arch9wavefront6targetE1EEEvT1_,@function
_ZN7rocprim17ROCPRIM_400000_NS6detail17trampoline_kernelINS0_14default_configENS1_27scan_by_key_config_selectorIijEEZZNS1_16scan_by_key_implILNS1_25lookback_scan_determinismE0ELb0ES3_N6thrust23THRUST_200600_302600_NS6detail15normal_iteratorINS9_10device_ptrIiEEEENSB_INSC_IjEEEENSB_INSC_IfEEEEjNS9_4plusIvEENS9_8equal_toIvEEjEE10hipError_tPvRmT2_T3_T4_T5_mT6_T7_P12ihipStream_tbENKUlT_T0_E_clISt17integral_constantIbLb1EES13_EEDaSY_SZ_EUlSY_E_NS1_11comp_targetILNS1_3genE2ELNS1_11target_archE906ELNS1_3gpuE6ELNS1_3repE0EEENS1_30default_config_static_selectorELNS0_4arch9wavefront6targetE1EEEvT1_: ; @_ZN7rocprim17ROCPRIM_400000_NS6detail17trampoline_kernelINS0_14default_configENS1_27scan_by_key_config_selectorIijEEZZNS1_16scan_by_key_implILNS1_25lookback_scan_determinismE0ELb0ES3_N6thrust23THRUST_200600_302600_NS6detail15normal_iteratorINS9_10device_ptrIiEEEENSB_INSC_IjEEEENSB_INSC_IfEEEEjNS9_4plusIvEENS9_8equal_toIvEEjEE10hipError_tPvRmT2_T3_T4_T5_mT6_T7_P12ihipStream_tbENKUlT_T0_E_clISt17integral_constantIbLb1EES13_EEDaSY_SZ_EUlSY_E_NS1_11comp_targetILNS1_3genE2ELNS1_11target_archE906ELNS1_3gpuE6ELNS1_3repE0EEENS1_30default_config_static_selectorELNS0_4arch9wavefront6targetE1EEEvT1_
; %bb.0:
	.section	.rodata,"a",@progbits
	.p2align	6, 0x0
	.amdhsa_kernel _ZN7rocprim17ROCPRIM_400000_NS6detail17trampoline_kernelINS0_14default_configENS1_27scan_by_key_config_selectorIijEEZZNS1_16scan_by_key_implILNS1_25lookback_scan_determinismE0ELb0ES3_N6thrust23THRUST_200600_302600_NS6detail15normal_iteratorINS9_10device_ptrIiEEEENSB_INSC_IjEEEENSB_INSC_IfEEEEjNS9_4plusIvEENS9_8equal_toIvEEjEE10hipError_tPvRmT2_T3_T4_T5_mT6_T7_P12ihipStream_tbENKUlT_T0_E_clISt17integral_constantIbLb1EES13_EEDaSY_SZ_EUlSY_E_NS1_11comp_targetILNS1_3genE2ELNS1_11target_archE906ELNS1_3gpuE6ELNS1_3repE0EEENS1_30default_config_static_selectorELNS0_4arch9wavefront6targetE1EEEvT1_
		.amdhsa_group_segment_fixed_size 0
		.amdhsa_private_segment_fixed_size 0
		.amdhsa_kernarg_size 112
		.amdhsa_user_sgpr_count 6
		.amdhsa_user_sgpr_private_segment_buffer 1
		.amdhsa_user_sgpr_dispatch_ptr 0
		.amdhsa_user_sgpr_queue_ptr 0
		.amdhsa_user_sgpr_kernarg_segment_ptr 1
		.amdhsa_user_sgpr_dispatch_id 0
		.amdhsa_user_sgpr_flat_scratch_init 0
		.amdhsa_user_sgpr_kernarg_preload_length 0
		.amdhsa_user_sgpr_kernarg_preload_offset 0
		.amdhsa_user_sgpr_private_segment_size 0
		.amdhsa_uses_dynamic_stack 0
		.amdhsa_system_sgpr_private_segment_wavefront_offset 0
		.amdhsa_system_sgpr_workgroup_id_x 1
		.amdhsa_system_sgpr_workgroup_id_y 0
		.amdhsa_system_sgpr_workgroup_id_z 0
		.amdhsa_system_sgpr_workgroup_info 0
		.amdhsa_system_vgpr_workitem_id 0
		.amdhsa_next_free_vgpr 1
		.amdhsa_next_free_sgpr 0
		.amdhsa_accum_offset 4
		.amdhsa_reserve_vcc 0
		.amdhsa_reserve_flat_scratch 0
		.amdhsa_float_round_mode_32 0
		.amdhsa_float_round_mode_16_64 0
		.amdhsa_float_denorm_mode_32 3
		.amdhsa_float_denorm_mode_16_64 3
		.amdhsa_dx10_clamp 1
		.amdhsa_ieee_mode 1
		.amdhsa_fp16_overflow 0
		.amdhsa_tg_split 0
		.amdhsa_exception_fp_ieee_invalid_op 0
		.amdhsa_exception_fp_denorm_src 0
		.amdhsa_exception_fp_ieee_div_zero 0
		.amdhsa_exception_fp_ieee_overflow 0
		.amdhsa_exception_fp_ieee_underflow 0
		.amdhsa_exception_fp_ieee_inexact 0
		.amdhsa_exception_int_div_zero 0
	.end_amdhsa_kernel
	.section	.text._ZN7rocprim17ROCPRIM_400000_NS6detail17trampoline_kernelINS0_14default_configENS1_27scan_by_key_config_selectorIijEEZZNS1_16scan_by_key_implILNS1_25lookback_scan_determinismE0ELb0ES3_N6thrust23THRUST_200600_302600_NS6detail15normal_iteratorINS9_10device_ptrIiEEEENSB_INSC_IjEEEENSB_INSC_IfEEEEjNS9_4plusIvEENS9_8equal_toIvEEjEE10hipError_tPvRmT2_T3_T4_T5_mT6_T7_P12ihipStream_tbENKUlT_T0_E_clISt17integral_constantIbLb1EES13_EEDaSY_SZ_EUlSY_E_NS1_11comp_targetILNS1_3genE2ELNS1_11target_archE906ELNS1_3gpuE6ELNS1_3repE0EEENS1_30default_config_static_selectorELNS0_4arch9wavefront6targetE1EEEvT1_,"axG",@progbits,_ZN7rocprim17ROCPRIM_400000_NS6detail17trampoline_kernelINS0_14default_configENS1_27scan_by_key_config_selectorIijEEZZNS1_16scan_by_key_implILNS1_25lookback_scan_determinismE0ELb0ES3_N6thrust23THRUST_200600_302600_NS6detail15normal_iteratorINS9_10device_ptrIiEEEENSB_INSC_IjEEEENSB_INSC_IfEEEEjNS9_4plusIvEENS9_8equal_toIvEEjEE10hipError_tPvRmT2_T3_T4_T5_mT6_T7_P12ihipStream_tbENKUlT_T0_E_clISt17integral_constantIbLb1EES13_EEDaSY_SZ_EUlSY_E_NS1_11comp_targetILNS1_3genE2ELNS1_11target_archE906ELNS1_3gpuE6ELNS1_3repE0EEENS1_30default_config_static_selectorELNS0_4arch9wavefront6targetE1EEEvT1_,comdat
.Lfunc_end1658:
	.size	_ZN7rocprim17ROCPRIM_400000_NS6detail17trampoline_kernelINS0_14default_configENS1_27scan_by_key_config_selectorIijEEZZNS1_16scan_by_key_implILNS1_25lookback_scan_determinismE0ELb0ES3_N6thrust23THRUST_200600_302600_NS6detail15normal_iteratorINS9_10device_ptrIiEEEENSB_INSC_IjEEEENSB_INSC_IfEEEEjNS9_4plusIvEENS9_8equal_toIvEEjEE10hipError_tPvRmT2_T3_T4_T5_mT6_T7_P12ihipStream_tbENKUlT_T0_E_clISt17integral_constantIbLb1EES13_EEDaSY_SZ_EUlSY_E_NS1_11comp_targetILNS1_3genE2ELNS1_11target_archE906ELNS1_3gpuE6ELNS1_3repE0EEENS1_30default_config_static_selectorELNS0_4arch9wavefront6targetE1EEEvT1_, .Lfunc_end1658-_ZN7rocprim17ROCPRIM_400000_NS6detail17trampoline_kernelINS0_14default_configENS1_27scan_by_key_config_selectorIijEEZZNS1_16scan_by_key_implILNS1_25lookback_scan_determinismE0ELb0ES3_N6thrust23THRUST_200600_302600_NS6detail15normal_iteratorINS9_10device_ptrIiEEEENSB_INSC_IjEEEENSB_INSC_IfEEEEjNS9_4plusIvEENS9_8equal_toIvEEjEE10hipError_tPvRmT2_T3_T4_T5_mT6_T7_P12ihipStream_tbENKUlT_T0_E_clISt17integral_constantIbLb1EES13_EEDaSY_SZ_EUlSY_E_NS1_11comp_targetILNS1_3genE2ELNS1_11target_archE906ELNS1_3gpuE6ELNS1_3repE0EEENS1_30default_config_static_selectorELNS0_4arch9wavefront6targetE1EEEvT1_
                                        ; -- End function
	.section	.AMDGPU.csdata,"",@progbits
; Kernel info:
; codeLenInByte = 0
; NumSgprs: 4
; NumVgprs: 0
; NumAgprs: 0
; TotalNumVgprs: 0
; ScratchSize: 0
; MemoryBound: 0
; FloatMode: 240
; IeeeMode: 1
; LDSByteSize: 0 bytes/workgroup (compile time only)
; SGPRBlocks: 0
; VGPRBlocks: 0
; NumSGPRsForWavesPerEU: 4
; NumVGPRsForWavesPerEU: 1
; AccumOffset: 4
; Occupancy: 8
; WaveLimiterHint : 0
; COMPUTE_PGM_RSRC2:SCRATCH_EN: 0
; COMPUTE_PGM_RSRC2:USER_SGPR: 6
; COMPUTE_PGM_RSRC2:TRAP_HANDLER: 0
; COMPUTE_PGM_RSRC2:TGID_X_EN: 1
; COMPUTE_PGM_RSRC2:TGID_Y_EN: 0
; COMPUTE_PGM_RSRC2:TGID_Z_EN: 0
; COMPUTE_PGM_RSRC2:TIDIG_COMP_CNT: 0
; COMPUTE_PGM_RSRC3_GFX90A:ACCUM_OFFSET: 0
; COMPUTE_PGM_RSRC3_GFX90A:TG_SPLIT: 0
	.section	.text._ZN7rocprim17ROCPRIM_400000_NS6detail17trampoline_kernelINS0_14default_configENS1_27scan_by_key_config_selectorIijEEZZNS1_16scan_by_key_implILNS1_25lookback_scan_determinismE0ELb0ES3_N6thrust23THRUST_200600_302600_NS6detail15normal_iteratorINS9_10device_ptrIiEEEENSB_INSC_IjEEEENSB_INSC_IfEEEEjNS9_4plusIvEENS9_8equal_toIvEEjEE10hipError_tPvRmT2_T3_T4_T5_mT6_T7_P12ihipStream_tbENKUlT_T0_E_clISt17integral_constantIbLb1EES13_EEDaSY_SZ_EUlSY_E_NS1_11comp_targetILNS1_3genE10ELNS1_11target_archE1200ELNS1_3gpuE4ELNS1_3repE0EEENS1_30default_config_static_selectorELNS0_4arch9wavefront6targetE1EEEvT1_,"axG",@progbits,_ZN7rocprim17ROCPRIM_400000_NS6detail17trampoline_kernelINS0_14default_configENS1_27scan_by_key_config_selectorIijEEZZNS1_16scan_by_key_implILNS1_25lookback_scan_determinismE0ELb0ES3_N6thrust23THRUST_200600_302600_NS6detail15normal_iteratorINS9_10device_ptrIiEEEENSB_INSC_IjEEEENSB_INSC_IfEEEEjNS9_4plusIvEENS9_8equal_toIvEEjEE10hipError_tPvRmT2_T3_T4_T5_mT6_T7_P12ihipStream_tbENKUlT_T0_E_clISt17integral_constantIbLb1EES13_EEDaSY_SZ_EUlSY_E_NS1_11comp_targetILNS1_3genE10ELNS1_11target_archE1200ELNS1_3gpuE4ELNS1_3repE0EEENS1_30default_config_static_selectorELNS0_4arch9wavefront6targetE1EEEvT1_,comdat
	.protected	_ZN7rocprim17ROCPRIM_400000_NS6detail17trampoline_kernelINS0_14default_configENS1_27scan_by_key_config_selectorIijEEZZNS1_16scan_by_key_implILNS1_25lookback_scan_determinismE0ELb0ES3_N6thrust23THRUST_200600_302600_NS6detail15normal_iteratorINS9_10device_ptrIiEEEENSB_INSC_IjEEEENSB_INSC_IfEEEEjNS9_4plusIvEENS9_8equal_toIvEEjEE10hipError_tPvRmT2_T3_T4_T5_mT6_T7_P12ihipStream_tbENKUlT_T0_E_clISt17integral_constantIbLb1EES13_EEDaSY_SZ_EUlSY_E_NS1_11comp_targetILNS1_3genE10ELNS1_11target_archE1200ELNS1_3gpuE4ELNS1_3repE0EEENS1_30default_config_static_selectorELNS0_4arch9wavefront6targetE1EEEvT1_ ; -- Begin function _ZN7rocprim17ROCPRIM_400000_NS6detail17trampoline_kernelINS0_14default_configENS1_27scan_by_key_config_selectorIijEEZZNS1_16scan_by_key_implILNS1_25lookback_scan_determinismE0ELb0ES3_N6thrust23THRUST_200600_302600_NS6detail15normal_iteratorINS9_10device_ptrIiEEEENSB_INSC_IjEEEENSB_INSC_IfEEEEjNS9_4plusIvEENS9_8equal_toIvEEjEE10hipError_tPvRmT2_T3_T4_T5_mT6_T7_P12ihipStream_tbENKUlT_T0_E_clISt17integral_constantIbLb1EES13_EEDaSY_SZ_EUlSY_E_NS1_11comp_targetILNS1_3genE10ELNS1_11target_archE1200ELNS1_3gpuE4ELNS1_3repE0EEENS1_30default_config_static_selectorELNS0_4arch9wavefront6targetE1EEEvT1_
	.globl	_ZN7rocprim17ROCPRIM_400000_NS6detail17trampoline_kernelINS0_14default_configENS1_27scan_by_key_config_selectorIijEEZZNS1_16scan_by_key_implILNS1_25lookback_scan_determinismE0ELb0ES3_N6thrust23THRUST_200600_302600_NS6detail15normal_iteratorINS9_10device_ptrIiEEEENSB_INSC_IjEEEENSB_INSC_IfEEEEjNS9_4plusIvEENS9_8equal_toIvEEjEE10hipError_tPvRmT2_T3_T4_T5_mT6_T7_P12ihipStream_tbENKUlT_T0_E_clISt17integral_constantIbLb1EES13_EEDaSY_SZ_EUlSY_E_NS1_11comp_targetILNS1_3genE10ELNS1_11target_archE1200ELNS1_3gpuE4ELNS1_3repE0EEENS1_30default_config_static_selectorELNS0_4arch9wavefront6targetE1EEEvT1_
	.p2align	8
	.type	_ZN7rocprim17ROCPRIM_400000_NS6detail17trampoline_kernelINS0_14default_configENS1_27scan_by_key_config_selectorIijEEZZNS1_16scan_by_key_implILNS1_25lookback_scan_determinismE0ELb0ES3_N6thrust23THRUST_200600_302600_NS6detail15normal_iteratorINS9_10device_ptrIiEEEENSB_INSC_IjEEEENSB_INSC_IfEEEEjNS9_4plusIvEENS9_8equal_toIvEEjEE10hipError_tPvRmT2_T3_T4_T5_mT6_T7_P12ihipStream_tbENKUlT_T0_E_clISt17integral_constantIbLb1EES13_EEDaSY_SZ_EUlSY_E_NS1_11comp_targetILNS1_3genE10ELNS1_11target_archE1200ELNS1_3gpuE4ELNS1_3repE0EEENS1_30default_config_static_selectorELNS0_4arch9wavefront6targetE1EEEvT1_,@function
_ZN7rocprim17ROCPRIM_400000_NS6detail17trampoline_kernelINS0_14default_configENS1_27scan_by_key_config_selectorIijEEZZNS1_16scan_by_key_implILNS1_25lookback_scan_determinismE0ELb0ES3_N6thrust23THRUST_200600_302600_NS6detail15normal_iteratorINS9_10device_ptrIiEEEENSB_INSC_IjEEEENSB_INSC_IfEEEEjNS9_4plusIvEENS9_8equal_toIvEEjEE10hipError_tPvRmT2_T3_T4_T5_mT6_T7_P12ihipStream_tbENKUlT_T0_E_clISt17integral_constantIbLb1EES13_EEDaSY_SZ_EUlSY_E_NS1_11comp_targetILNS1_3genE10ELNS1_11target_archE1200ELNS1_3gpuE4ELNS1_3repE0EEENS1_30default_config_static_selectorELNS0_4arch9wavefront6targetE1EEEvT1_: ; @_ZN7rocprim17ROCPRIM_400000_NS6detail17trampoline_kernelINS0_14default_configENS1_27scan_by_key_config_selectorIijEEZZNS1_16scan_by_key_implILNS1_25lookback_scan_determinismE0ELb0ES3_N6thrust23THRUST_200600_302600_NS6detail15normal_iteratorINS9_10device_ptrIiEEEENSB_INSC_IjEEEENSB_INSC_IfEEEEjNS9_4plusIvEENS9_8equal_toIvEEjEE10hipError_tPvRmT2_T3_T4_T5_mT6_T7_P12ihipStream_tbENKUlT_T0_E_clISt17integral_constantIbLb1EES13_EEDaSY_SZ_EUlSY_E_NS1_11comp_targetILNS1_3genE10ELNS1_11target_archE1200ELNS1_3gpuE4ELNS1_3repE0EEENS1_30default_config_static_selectorELNS0_4arch9wavefront6targetE1EEEvT1_
; %bb.0:
	.section	.rodata,"a",@progbits
	.p2align	6, 0x0
	.amdhsa_kernel _ZN7rocprim17ROCPRIM_400000_NS6detail17trampoline_kernelINS0_14default_configENS1_27scan_by_key_config_selectorIijEEZZNS1_16scan_by_key_implILNS1_25lookback_scan_determinismE0ELb0ES3_N6thrust23THRUST_200600_302600_NS6detail15normal_iteratorINS9_10device_ptrIiEEEENSB_INSC_IjEEEENSB_INSC_IfEEEEjNS9_4plusIvEENS9_8equal_toIvEEjEE10hipError_tPvRmT2_T3_T4_T5_mT6_T7_P12ihipStream_tbENKUlT_T0_E_clISt17integral_constantIbLb1EES13_EEDaSY_SZ_EUlSY_E_NS1_11comp_targetILNS1_3genE10ELNS1_11target_archE1200ELNS1_3gpuE4ELNS1_3repE0EEENS1_30default_config_static_selectorELNS0_4arch9wavefront6targetE1EEEvT1_
		.amdhsa_group_segment_fixed_size 0
		.amdhsa_private_segment_fixed_size 0
		.amdhsa_kernarg_size 112
		.amdhsa_user_sgpr_count 6
		.amdhsa_user_sgpr_private_segment_buffer 1
		.amdhsa_user_sgpr_dispatch_ptr 0
		.amdhsa_user_sgpr_queue_ptr 0
		.amdhsa_user_sgpr_kernarg_segment_ptr 1
		.amdhsa_user_sgpr_dispatch_id 0
		.amdhsa_user_sgpr_flat_scratch_init 0
		.amdhsa_user_sgpr_kernarg_preload_length 0
		.amdhsa_user_sgpr_kernarg_preload_offset 0
		.amdhsa_user_sgpr_private_segment_size 0
		.amdhsa_uses_dynamic_stack 0
		.amdhsa_system_sgpr_private_segment_wavefront_offset 0
		.amdhsa_system_sgpr_workgroup_id_x 1
		.amdhsa_system_sgpr_workgroup_id_y 0
		.amdhsa_system_sgpr_workgroup_id_z 0
		.amdhsa_system_sgpr_workgroup_info 0
		.amdhsa_system_vgpr_workitem_id 0
		.amdhsa_next_free_vgpr 1
		.amdhsa_next_free_sgpr 0
		.amdhsa_accum_offset 4
		.amdhsa_reserve_vcc 0
		.amdhsa_reserve_flat_scratch 0
		.amdhsa_float_round_mode_32 0
		.amdhsa_float_round_mode_16_64 0
		.amdhsa_float_denorm_mode_32 3
		.amdhsa_float_denorm_mode_16_64 3
		.amdhsa_dx10_clamp 1
		.amdhsa_ieee_mode 1
		.amdhsa_fp16_overflow 0
		.amdhsa_tg_split 0
		.amdhsa_exception_fp_ieee_invalid_op 0
		.amdhsa_exception_fp_denorm_src 0
		.amdhsa_exception_fp_ieee_div_zero 0
		.amdhsa_exception_fp_ieee_overflow 0
		.amdhsa_exception_fp_ieee_underflow 0
		.amdhsa_exception_fp_ieee_inexact 0
		.amdhsa_exception_int_div_zero 0
	.end_amdhsa_kernel
	.section	.text._ZN7rocprim17ROCPRIM_400000_NS6detail17trampoline_kernelINS0_14default_configENS1_27scan_by_key_config_selectorIijEEZZNS1_16scan_by_key_implILNS1_25lookback_scan_determinismE0ELb0ES3_N6thrust23THRUST_200600_302600_NS6detail15normal_iteratorINS9_10device_ptrIiEEEENSB_INSC_IjEEEENSB_INSC_IfEEEEjNS9_4plusIvEENS9_8equal_toIvEEjEE10hipError_tPvRmT2_T3_T4_T5_mT6_T7_P12ihipStream_tbENKUlT_T0_E_clISt17integral_constantIbLb1EES13_EEDaSY_SZ_EUlSY_E_NS1_11comp_targetILNS1_3genE10ELNS1_11target_archE1200ELNS1_3gpuE4ELNS1_3repE0EEENS1_30default_config_static_selectorELNS0_4arch9wavefront6targetE1EEEvT1_,"axG",@progbits,_ZN7rocprim17ROCPRIM_400000_NS6detail17trampoline_kernelINS0_14default_configENS1_27scan_by_key_config_selectorIijEEZZNS1_16scan_by_key_implILNS1_25lookback_scan_determinismE0ELb0ES3_N6thrust23THRUST_200600_302600_NS6detail15normal_iteratorINS9_10device_ptrIiEEEENSB_INSC_IjEEEENSB_INSC_IfEEEEjNS9_4plusIvEENS9_8equal_toIvEEjEE10hipError_tPvRmT2_T3_T4_T5_mT6_T7_P12ihipStream_tbENKUlT_T0_E_clISt17integral_constantIbLb1EES13_EEDaSY_SZ_EUlSY_E_NS1_11comp_targetILNS1_3genE10ELNS1_11target_archE1200ELNS1_3gpuE4ELNS1_3repE0EEENS1_30default_config_static_selectorELNS0_4arch9wavefront6targetE1EEEvT1_,comdat
.Lfunc_end1659:
	.size	_ZN7rocprim17ROCPRIM_400000_NS6detail17trampoline_kernelINS0_14default_configENS1_27scan_by_key_config_selectorIijEEZZNS1_16scan_by_key_implILNS1_25lookback_scan_determinismE0ELb0ES3_N6thrust23THRUST_200600_302600_NS6detail15normal_iteratorINS9_10device_ptrIiEEEENSB_INSC_IjEEEENSB_INSC_IfEEEEjNS9_4plusIvEENS9_8equal_toIvEEjEE10hipError_tPvRmT2_T3_T4_T5_mT6_T7_P12ihipStream_tbENKUlT_T0_E_clISt17integral_constantIbLb1EES13_EEDaSY_SZ_EUlSY_E_NS1_11comp_targetILNS1_3genE10ELNS1_11target_archE1200ELNS1_3gpuE4ELNS1_3repE0EEENS1_30default_config_static_selectorELNS0_4arch9wavefront6targetE1EEEvT1_, .Lfunc_end1659-_ZN7rocprim17ROCPRIM_400000_NS6detail17trampoline_kernelINS0_14default_configENS1_27scan_by_key_config_selectorIijEEZZNS1_16scan_by_key_implILNS1_25lookback_scan_determinismE0ELb0ES3_N6thrust23THRUST_200600_302600_NS6detail15normal_iteratorINS9_10device_ptrIiEEEENSB_INSC_IjEEEENSB_INSC_IfEEEEjNS9_4plusIvEENS9_8equal_toIvEEjEE10hipError_tPvRmT2_T3_T4_T5_mT6_T7_P12ihipStream_tbENKUlT_T0_E_clISt17integral_constantIbLb1EES13_EEDaSY_SZ_EUlSY_E_NS1_11comp_targetILNS1_3genE10ELNS1_11target_archE1200ELNS1_3gpuE4ELNS1_3repE0EEENS1_30default_config_static_selectorELNS0_4arch9wavefront6targetE1EEEvT1_
                                        ; -- End function
	.section	.AMDGPU.csdata,"",@progbits
; Kernel info:
; codeLenInByte = 0
; NumSgprs: 4
; NumVgprs: 0
; NumAgprs: 0
; TotalNumVgprs: 0
; ScratchSize: 0
; MemoryBound: 0
; FloatMode: 240
; IeeeMode: 1
; LDSByteSize: 0 bytes/workgroup (compile time only)
; SGPRBlocks: 0
; VGPRBlocks: 0
; NumSGPRsForWavesPerEU: 4
; NumVGPRsForWavesPerEU: 1
; AccumOffset: 4
; Occupancy: 8
; WaveLimiterHint : 0
; COMPUTE_PGM_RSRC2:SCRATCH_EN: 0
; COMPUTE_PGM_RSRC2:USER_SGPR: 6
; COMPUTE_PGM_RSRC2:TRAP_HANDLER: 0
; COMPUTE_PGM_RSRC2:TGID_X_EN: 1
; COMPUTE_PGM_RSRC2:TGID_Y_EN: 0
; COMPUTE_PGM_RSRC2:TGID_Z_EN: 0
; COMPUTE_PGM_RSRC2:TIDIG_COMP_CNT: 0
; COMPUTE_PGM_RSRC3_GFX90A:ACCUM_OFFSET: 0
; COMPUTE_PGM_RSRC3_GFX90A:TG_SPLIT: 0
	.section	.text._ZN7rocprim17ROCPRIM_400000_NS6detail17trampoline_kernelINS0_14default_configENS1_27scan_by_key_config_selectorIijEEZZNS1_16scan_by_key_implILNS1_25lookback_scan_determinismE0ELb0ES3_N6thrust23THRUST_200600_302600_NS6detail15normal_iteratorINS9_10device_ptrIiEEEENSB_INSC_IjEEEENSB_INSC_IfEEEEjNS9_4plusIvEENS9_8equal_toIvEEjEE10hipError_tPvRmT2_T3_T4_T5_mT6_T7_P12ihipStream_tbENKUlT_T0_E_clISt17integral_constantIbLb1EES13_EEDaSY_SZ_EUlSY_E_NS1_11comp_targetILNS1_3genE9ELNS1_11target_archE1100ELNS1_3gpuE3ELNS1_3repE0EEENS1_30default_config_static_selectorELNS0_4arch9wavefront6targetE1EEEvT1_,"axG",@progbits,_ZN7rocprim17ROCPRIM_400000_NS6detail17trampoline_kernelINS0_14default_configENS1_27scan_by_key_config_selectorIijEEZZNS1_16scan_by_key_implILNS1_25lookback_scan_determinismE0ELb0ES3_N6thrust23THRUST_200600_302600_NS6detail15normal_iteratorINS9_10device_ptrIiEEEENSB_INSC_IjEEEENSB_INSC_IfEEEEjNS9_4plusIvEENS9_8equal_toIvEEjEE10hipError_tPvRmT2_T3_T4_T5_mT6_T7_P12ihipStream_tbENKUlT_T0_E_clISt17integral_constantIbLb1EES13_EEDaSY_SZ_EUlSY_E_NS1_11comp_targetILNS1_3genE9ELNS1_11target_archE1100ELNS1_3gpuE3ELNS1_3repE0EEENS1_30default_config_static_selectorELNS0_4arch9wavefront6targetE1EEEvT1_,comdat
	.protected	_ZN7rocprim17ROCPRIM_400000_NS6detail17trampoline_kernelINS0_14default_configENS1_27scan_by_key_config_selectorIijEEZZNS1_16scan_by_key_implILNS1_25lookback_scan_determinismE0ELb0ES3_N6thrust23THRUST_200600_302600_NS6detail15normal_iteratorINS9_10device_ptrIiEEEENSB_INSC_IjEEEENSB_INSC_IfEEEEjNS9_4plusIvEENS9_8equal_toIvEEjEE10hipError_tPvRmT2_T3_T4_T5_mT6_T7_P12ihipStream_tbENKUlT_T0_E_clISt17integral_constantIbLb1EES13_EEDaSY_SZ_EUlSY_E_NS1_11comp_targetILNS1_3genE9ELNS1_11target_archE1100ELNS1_3gpuE3ELNS1_3repE0EEENS1_30default_config_static_selectorELNS0_4arch9wavefront6targetE1EEEvT1_ ; -- Begin function _ZN7rocprim17ROCPRIM_400000_NS6detail17trampoline_kernelINS0_14default_configENS1_27scan_by_key_config_selectorIijEEZZNS1_16scan_by_key_implILNS1_25lookback_scan_determinismE0ELb0ES3_N6thrust23THRUST_200600_302600_NS6detail15normal_iteratorINS9_10device_ptrIiEEEENSB_INSC_IjEEEENSB_INSC_IfEEEEjNS9_4plusIvEENS9_8equal_toIvEEjEE10hipError_tPvRmT2_T3_T4_T5_mT6_T7_P12ihipStream_tbENKUlT_T0_E_clISt17integral_constantIbLb1EES13_EEDaSY_SZ_EUlSY_E_NS1_11comp_targetILNS1_3genE9ELNS1_11target_archE1100ELNS1_3gpuE3ELNS1_3repE0EEENS1_30default_config_static_selectorELNS0_4arch9wavefront6targetE1EEEvT1_
	.globl	_ZN7rocprim17ROCPRIM_400000_NS6detail17trampoline_kernelINS0_14default_configENS1_27scan_by_key_config_selectorIijEEZZNS1_16scan_by_key_implILNS1_25lookback_scan_determinismE0ELb0ES3_N6thrust23THRUST_200600_302600_NS6detail15normal_iteratorINS9_10device_ptrIiEEEENSB_INSC_IjEEEENSB_INSC_IfEEEEjNS9_4plusIvEENS9_8equal_toIvEEjEE10hipError_tPvRmT2_T3_T4_T5_mT6_T7_P12ihipStream_tbENKUlT_T0_E_clISt17integral_constantIbLb1EES13_EEDaSY_SZ_EUlSY_E_NS1_11comp_targetILNS1_3genE9ELNS1_11target_archE1100ELNS1_3gpuE3ELNS1_3repE0EEENS1_30default_config_static_selectorELNS0_4arch9wavefront6targetE1EEEvT1_
	.p2align	8
	.type	_ZN7rocprim17ROCPRIM_400000_NS6detail17trampoline_kernelINS0_14default_configENS1_27scan_by_key_config_selectorIijEEZZNS1_16scan_by_key_implILNS1_25lookback_scan_determinismE0ELb0ES3_N6thrust23THRUST_200600_302600_NS6detail15normal_iteratorINS9_10device_ptrIiEEEENSB_INSC_IjEEEENSB_INSC_IfEEEEjNS9_4plusIvEENS9_8equal_toIvEEjEE10hipError_tPvRmT2_T3_T4_T5_mT6_T7_P12ihipStream_tbENKUlT_T0_E_clISt17integral_constantIbLb1EES13_EEDaSY_SZ_EUlSY_E_NS1_11comp_targetILNS1_3genE9ELNS1_11target_archE1100ELNS1_3gpuE3ELNS1_3repE0EEENS1_30default_config_static_selectorELNS0_4arch9wavefront6targetE1EEEvT1_,@function
_ZN7rocprim17ROCPRIM_400000_NS6detail17trampoline_kernelINS0_14default_configENS1_27scan_by_key_config_selectorIijEEZZNS1_16scan_by_key_implILNS1_25lookback_scan_determinismE0ELb0ES3_N6thrust23THRUST_200600_302600_NS6detail15normal_iteratorINS9_10device_ptrIiEEEENSB_INSC_IjEEEENSB_INSC_IfEEEEjNS9_4plusIvEENS9_8equal_toIvEEjEE10hipError_tPvRmT2_T3_T4_T5_mT6_T7_P12ihipStream_tbENKUlT_T0_E_clISt17integral_constantIbLb1EES13_EEDaSY_SZ_EUlSY_E_NS1_11comp_targetILNS1_3genE9ELNS1_11target_archE1100ELNS1_3gpuE3ELNS1_3repE0EEENS1_30default_config_static_selectorELNS0_4arch9wavefront6targetE1EEEvT1_: ; @_ZN7rocprim17ROCPRIM_400000_NS6detail17trampoline_kernelINS0_14default_configENS1_27scan_by_key_config_selectorIijEEZZNS1_16scan_by_key_implILNS1_25lookback_scan_determinismE0ELb0ES3_N6thrust23THRUST_200600_302600_NS6detail15normal_iteratorINS9_10device_ptrIiEEEENSB_INSC_IjEEEENSB_INSC_IfEEEEjNS9_4plusIvEENS9_8equal_toIvEEjEE10hipError_tPvRmT2_T3_T4_T5_mT6_T7_P12ihipStream_tbENKUlT_T0_E_clISt17integral_constantIbLb1EES13_EEDaSY_SZ_EUlSY_E_NS1_11comp_targetILNS1_3genE9ELNS1_11target_archE1100ELNS1_3gpuE3ELNS1_3repE0EEENS1_30default_config_static_selectorELNS0_4arch9wavefront6targetE1EEEvT1_
; %bb.0:
	.section	.rodata,"a",@progbits
	.p2align	6, 0x0
	.amdhsa_kernel _ZN7rocprim17ROCPRIM_400000_NS6detail17trampoline_kernelINS0_14default_configENS1_27scan_by_key_config_selectorIijEEZZNS1_16scan_by_key_implILNS1_25lookback_scan_determinismE0ELb0ES3_N6thrust23THRUST_200600_302600_NS6detail15normal_iteratorINS9_10device_ptrIiEEEENSB_INSC_IjEEEENSB_INSC_IfEEEEjNS9_4plusIvEENS9_8equal_toIvEEjEE10hipError_tPvRmT2_T3_T4_T5_mT6_T7_P12ihipStream_tbENKUlT_T0_E_clISt17integral_constantIbLb1EES13_EEDaSY_SZ_EUlSY_E_NS1_11comp_targetILNS1_3genE9ELNS1_11target_archE1100ELNS1_3gpuE3ELNS1_3repE0EEENS1_30default_config_static_selectorELNS0_4arch9wavefront6targetE1EEEvT1_
		.amdhsa_group_segment_fixed_size 0
		.amdhsa_private_segment_fixed_size 0
		.amdhsa_kernarg_size 112
		.amdhsa_user_sgpr_count 6
		.amdhsa_user_sgpr_private_segment_buffer 1
		.amdhsa_user_sgpr_dispatch_ptr 0
		.amdhsa_user_sgpr_queue_ptr 0
		.amdhsa_user_sgpr_kernarg_segment_ptr 1
		.amdhsa_user_sgpr_dispatch_id 0
		.amdhsa_user_sgpr_flat_scratch_init 0
		.amdhsa_user_sgpr_kernarg_preload_length 0
		.amdhsa_user_sgpr_kernarg_preload_offset 0
		.amdhsa_user_sgpr_private_segment_size 0
		.amdhsa_uses_dynamic_stack 0
		.amdhsa_system_sgpr_private_segment_wavefront_offset 0
		.amdhsa_system_sgpr_workgroup_id_x 1
		.amdhsa_system_sgpr_workgroup_id_y 0
		.amdhsa_system_sgpr_workgroup_id_z 0
		.amdhsa_system_sgpr_workgroup_info 0
		.amdhsa_system_vgpr_workitem_id 0
		.amdhsa_next_free_vgpr 1
		.amdhsa_next_free_sgpr 0
		.amdhsa_accum_offset 4
		.amdhsa_reserve_vcc 0
		.amdhsa_reserve_flat_scratch 0
		.amdhsa_float_round_mode_32 0
		.amdhsa_float_round_mode_16_64 0
		.amdhsa_float_denorm_mode_32 3
		.amdhsa_float_denorm_mode_16_64 3
		.amdhsa_dx10_clamp 1
		.amdhsa_ieee_mode 1
		.amdhsa_fp16_overflow 0
		.amdhsa_tg_split 0
		.amdhsa_exception_fp_ieee_invalid_op 0
		.amdhsa_exception_fp_denorm_src 0
		.amdhsa_exception_fp_ieee_div_zero 0
		.amdhsa_exception_fp_ieee_overflow 0
		.amdhsa_exception_fp_ieee_underflow 0
		.amdhsa_exception_fp_ieee_inexact 0
		.amdhsa_exception_int_div_zero 0
	.end_amdhsa_kernel
	.section	.text._ZN7rocprim17ROCPRIM_400000_NS6detail17trampoline_kernelINS0_14default_configENS1_27scan_by_key_config_selectorIijEEZZNS1_16scan_by_key_implILNS1_25lookback_scan_determinismE0ELb0ES3_N6thrust23THRUST_200600_302600_NS6detail15normal_iteratorINS9_10device_ptrIiEEEENSB_INSC_IjEEEENSB_INSC_IfEEEEjNS9_4plusIvEENS9_8equal_toIvEEjEE10hipError_tPvRmT2_T3_T4_T5_mT6_T7_P12ihipStream_tbENKUlT_T0_E_clISt17integral_constantIbLb1EES13_EEDaSY_SZ_EUlSY_E_NS1_11comp_targetILNS1_3genE9ELNS1_11target_archE1100ELNS1_3gpuE3ELNS1_3repE0EEENS1_30default_config_static_selectorELNS0_4arch9wavefront6targetE1EEEvT1_,"axG",@progbits,_ZN7rocprim17ROCPRIM_400000_NS6detail17trampoline_kernelINS0_14default_configENS1_27scan_by_key_config_selectorIijEEZZNS1_16scan_by_key_implILNS1_25lookback_scan_determinismE0ELb0ES3_N6thrust23THRUST_200600_302600_NS6detail15normal_iteratorINS9_10device_ptrIiEEEENSB_INSC_IjEEEENSB_INSC_IfEEEEjNS9_4plusIvEENS9_8equal_toIvEEjEE10hipError_tPvRmT2_T3_T4_T5_mT6_T7_P12ihipStream_tbENKUlT_T0_E_clISt17integral_constantIbLb1EES13_EEDaSY_SZ_EUlSY_E_NS1_11comp_targetILNS1_3genE9ELNS1_11target_archE1100ELNS1_3gpuE3ELNS1_3repE0EEENS1_30default_config_static_selectorELNS0_4arch9wavefront6targetE1EEEvT1_,comdat
.Lfunc_end1660:
	.size	_ZN7rocprim17ROCPRIM_400000_NS6detail17trampoline_kernelINS0_14default_configENS1_27scan_by_key_config_selectorIijEEZZNS1_16scan_by_key_implILNS1_25lookback_scan_determinismE0ELb0ES3_N6thrust23THRUST_200600_302600_NS6detail15normal_iteratorINS9_10device_ptrIiEEEENSB_INSC_IjEEEENSB_INSC_IfEEEEjNS9_4plusIvEENS9_8equal_toIvEEjEE10hipError_tPvRmT2_T3_T4_T5_mT6_T7_P12ihipStream_tbENKUlT_T0_E_clISt17integral_constantIbLb1EES13_EEDaSY_SZ_EUlSY_E_NS1_11comp_targetILNS1_3genE9ELNS1_11target_archE1100ELNS1_3gpuE3ELNS1_3repE0EEENS1_30default_config_static_selectorELNS0_4arch9wavefront6targetE1EEEvT1_, .Lfunc_end1660-_ZN7rocprim17ROCPRIM_400000_NS6detail17trampoline_kernelINS0_14default_configENS1_27scan_by_key_config_selectorIijEEZZNS1_16scan_by_key_implILNS1_25lookback_scan_determinismE0ELb0ES3_N6thrust23THRUST_200600_302600_NS6detail15normal_iteratorINS9_10device_ptrIiEEEENSB_INSC_IjEEEENSB_INSC_IfEEEEjNS9_4plusIvEENS9_8equal_toIvEEjEE10hipError_tPvRmT2_T3_T4_T5_mT6_T7_P12ihipStream_tbENKUlT_T0_E_clISt17integral_constantIbLb1EES13_EEDaSY_SZ_EUlSY_E_NS1_11comp_targetILNS1_3genE9ELNS1_11target_archE1100ELNS1_3gpuE3ELNS1_3repE0EEENS1_30default_config_static_selectorELNS0_4arch9wavefront6targetE1EEEvT1_
                                        ; -- End function
	.section	.AMDGPU.csdata,"",@progbits
; Kernel info:
; codeLenInByte = 0
; NumSgprs: 4
; NumVgprs: 0
; NumAgprs: 0
; TotalNumVgprs: 0
; ScratchSize: 0
; MemoryBound: 0
; FloatMode: 240
; IeeeMode: 1
; LDSByteSize: 0 bytes/workgroup (compile time only)
; SGPRBlocks: 0
; VGPRBlocks: 0
; NumSGPRsForWavesPerEU: 4
; NumVGPRsForWavesPerEU: 1
; AccumOffset: 4
; Occupancy: 8
; WaveLimiterHint : 0
; COMPUTE_PGM_RSRC2:SCRATCH_EN: 0
; COMPUTE_PGM_RSRC2:USER_SGPR: 6
; COMPUTE_PGM_RSRC2:TRAP_HANDLER: 0
; COMPUTE_PGM_RSRC2:TGID_X_EN: 1
; COMPUTE_PGM_RSRC2:TGID_Y_EN: 0
; COMPUTE_PGM_RSRC2:TGID_Z_EN: 0
; COMPUTE_PGM_RSRC2:TIDIG_COMP_CNT: 0
; COMPUTE_PGM_RSRC3_GFX90A:ACCUM_OFFSET: 0
; COMPUTE_PGM_RSRC3_GFX90A:TG_SPLIT: 0
	.section	.text._ZN7rocprim17ROCPRIM_400000_NS6detail17trampoline_kernelINS0_14default_configENS1_27scan_by_key_config_selectorIijEEZZNS1_16scan_by_key_implILNS1_25lookback_scan_determinismE0ELb0ES3_N6thrust23THRUST_200600_302600_NS6detail15normal_iteratorINS9_10device_ptrIiEEEENSB_INSC_IjEEEENSB_INSC_IfEEEEjNS9_4plusIvEENS9_8equal_toIvEEjEE10hipError_tPvRmT2_T3_T4_T5_mT6_T7_P12ihipStream_tbENKUlT_T0_E_clISt17integral_constantIbLb1EES13_EEDaSY_SZ_EUlSY_E_NS1_11comp_targetILNS1_3genE8ELNS1_11target_archE1030ELNS1_3gpuE2ELNS1_3repE0EEENS1_30default_config_static_selectorELNS0_4arch9wavefront6targetE1EEEvT1_,"axG",@progbits,_ZN7rocprim17ROCPRIM_400000_NS6detail17trampoline_kernelINS0_14default_configENS1_27scan_by_key_config_selectorIijEEZZNS1_16scan_by_key_implILNS1_25lookback_scan_determinismE0ELb0ES3_N6thrust23THRUST_200600_302600_NS6detail15normal_iteratorINS9_10device_ptrIiEEEENSB_INSC_IjEEEENSB_INSC_IfEEEEjNS9_4plusIvEENS9_8equal_toIvEEjEE10hipError_tPvRmT2_T3_T4_T5_mT6_T7_P12ihipStream_tbENKUlT_T0_E_clISt17integral_constantIbLb1EES13_EEDaSY_SZ_EUlSY_E_NS1_11comp_targetILNS1_3genE8ELNS1_11target_archE1030ELNS1_3gpuE2ELNS1_3repE0EEENS1_30default_config_static_selectorELNS0_4arch9wavefront6targetE1EEEvT1_,comdat
	.protected	_ZN7rocprim17ROCPRIM_400000_NS6detail17trampoline_kernelINS0_14default_configENS1_27scan_by_key_config_selectorIijEEZZNS1_16scan_by_key_implILNS1_25lookback_scan_determinismE0ELb0ES3_N6thrust23THRUST_200600_302600_NS6detail15normal_iteratorINS9_10device_ptrIiEEEENSB_INSC_IjEEEENSB_INSC_IfEEEEjNS9_4plusIvEENS9_8equal_toIvEEjEE10hipError_tPvRmT2_T3_T4_T5_mT6_T7_P12ihipStream_tbENKUlT_T0_E_clISt17integral_constantIbLb1EES13_EEDaSY_SZ_EUlSY_E_NS1_11comp_targetILNS1_3genE8ELNS1_11target_archE1030ELNS1_3gpuE2ELNS1_3repE0EEENS1_30default_config_static_selectorELNS0_4arch9wavefront6targetE1EEEvT1_ ; -- Begin function _ZN7rocprim17ROCPRIM_400000_NS6detail17trampoline_kernelINS0_14default_configENS1_27scan_by_key_config_selectorIijEEZZNS1_16scan_by_key_implILNS1_25lookback_scan_determinismE0ELb0ES3_N6thrust23THRUST_200600_302600_NS6detail15normal_iteratorINS9_10device_ptrIiEEEENSB_INSC_IjEEEENSB_INSC_IfEEEEjNS9_4plusIvEENS9_8equal_toIvEEjEE10hipError_tPvRmT2_T3_T4_T5_mT6_T7_P12ihipStream_tbENKUlT_T0_E_clISt17integral_constantIbLb1EES13_EEDaSY_SZ_EUlSY_E_NS1_11comp_targetILNS1_3genE8ELNS1_11target_archE1030ELNS1_3gpuE2ELNS1_3repE0EEENS1_30default_config_static_selectorELNS0_4arch9wavefront6targetE1EEEvT1_
	.globl	_ZN7rocprim17ROCPRIM_400000_NS6detail17trampoline_kernelINS0_14default_configENS1_27scan_by_key_config_selectorIijEEZZNS1_16scan_by_key_implILNS1_25lookback_scan_determinismE0ELb0ES3_N6thrust23THRUST_200600_302600_NS6detail15normal_iteratorINS9_10device_ptrIiEEEENSB_INSC_IjEEEENSB_INSC_IfEEEEjNS9_4plusIvEENS9_8equal_toIvEEjEE10hipError_tPvRmT2_T3_T4_T5_mT6_T7_P12ihipStream_tbENKUlT_T0_E_clISt17integral_constantIbLb1EES13_EEDaSY_SZ_EUlSY_E_NS1_11comp_targetILNS1_3genE8ELNS1_11target_archE1030ELNS1_3gpuE2ELNS1_3repE0EEENS1_30default_config_static_selectorELNS0_4arch9wavefront6targetE1EEEvT1_
	.p2align	8
	.type	_ZN7rocprim17ROCPRIM_400000_NS6detail17trampoline_kernelINS0_14default_configENS1_27scan_by_key_config_selectorIijEEZZNS1_16scan_by_key_implILNS1_25lookback_scan_determinismE0ELb0ES3_N6thrust23THRUST_200600_302600_NS6detail15normal_iteratorINS9_10device_ptrIiEEEENSB_INSC_IjEEEENSB_INSC_IfEEEEjNS9_4plusIvEENS9_8equal_toIvEEjEE10hipError_tPvRmT2_T3_T4_T5_mT6_T7_P12ihipStream_tbENKUlT_T0_E_clISt17integral_constantIbLb1EES13_EEDaSY_SZ_EUlSY_E_NS1_11comp_targetILNS1_3genE8ELNS1_11target_archE1030ELNS1_3gpuE2ELNS1_3repE0EEENS1_30default_config_static_selectorELNS0_4arch9wavefront6targetE1EEEvT1_,@function
_ZN7rocprim17ROCPRIM_400000_NS6detail17trampoline_kernelINS0_14default_configENS1_27scan_by_key_config_selectorIijEEZZNS1_16scan_by_key_implILNS1_25lookback_scan_determinismE0ELb0ES3_N6thrust23THRUST_200600_302600_NS6detail15normal_iteratorINS9_10device_ptrIiEEEENSB_INSC_IjEEEENSB_INSC_IfEEEEjNS9_4plusIvEENS9_8equal_toIvEEjEE10hipError_tPvRmT2_T3_T4_T5_mT6_T7_P12ihipStream_tbENKUlT_T0_E_clISt17integral_constantIbLb1EES13_EEDaSY_SZ_EUlSY_E_NS1_11comp_targetILNS1_3genE8ELNS1_11target_archE1030ELNS1_3gpuE2ELNS1_3repE0EEENS1_30default_config_static_selectorELNS0_4arch9wavefront6targetE1EEEvT1_: ; @_ZN7rocprim17ROCPRIM_400000_NS6detail17trampoline_kernelINS0_14default_configENS1_27scan_by_key_config_selectorIijEEZZNS1_16scan_by_key_implILNS1_25lookback_scan_determinismE0ELb0ES3_N6thrust23THRUST_200600_302600_NS6detail15normal_iteratorINS9_10device_ptrIiEEEENSB_INSC_IjEEEENSB_INSC_IfEEEEjNS9_4plusIvEENS9_8equal_toIvEEjEE10hipError_tPvRmT2_T3_T4_T5_mT6_T7_P12ihipStream_tbENKUlT_T0_E_clISt17integral_constantIbLb1EES13_EEDaSY_SZ_EUlSY_E_NS1_11comp_targetILNS1_3genE8ELNS1_11target_archE1030ELNS1_3gpuE2ELNS1_3repE0EEENS1_30default_config_static_selectorELNS0_4arch9wavefront6targetE1EEEvT1_
; %bb.0:
	.section	.rodata,"a",@progbits
	.p2align	6, 0x0
	.amdhsa_kernel _ZN7rocprim17ROCPRIM_400000_NS6detail17trampoline_kernelINS0_14default_configENS1_27scan_by_key_config_selectorIijEEZZNS1_16scan_by_key_implILNS1_25lookback_scan_determinismE0ELb0ES3_N6thrust23THRUST_200600_302600_NS6detail15normal_iteratorINS9_10device_ptrIiEEEENSB_INSC_IjEEEENSB_INSC_IfEEEEjNS9_4plusIvEENS9_8equal_toIvEEjEE10hipError_tPvRmT2_T3_T4_T5_mT6_T7_P12ihipStream_tbENKUlT_T0_E_clISt17integral_constantIbLb1EES13_EEDaSY_SZ_EUlSY_E_NS1_11comp_targetILNS1_3genE8ELNS1_11target_archE1030ELNS1_3gpuE2ELNS1_3repE0EEENS1_30default_config_static_selectorELNS0_4arch9wavefront6targetE1EEEvT1_
		.amdhsa_group_segment_fixed_size 0
		.amdhsa_private_segment_fixed_size 0
		.amdhsa_kernarg_size 112
		.amdhsa_user_sgpr_count 6
		.amdhsa_user_sgpr_private_segment_buffer 1
		.amdhsa_user_sgpr_dispatch_ptr 0
		.amdhsa_user_sgpr_queue_ptr 0
		.amdhsa_user_sgpr_kernarg_segment_ptr 1
		.amdhsa_user_sgpr_dispatch_id 0
		.amdhsa_user_sgpr_flat_scratch_init 0
		.amdhsa_user_sgpr_kernarg_preload_length 0
		.amdhsa_user_sgpr_kernarg_preload_offset 0
		.amdhsa_user_sgpr_private_segment_size 0
		.amdhsa_uses_dynamic_stack 0
		.amdhsa_system_sgpr_private_segment_wavefront_offset 0
		.amdhsa_system_sgpr_workgroup_id_x 1
		.amdhsa_system_sgpr_workgroup_id_y 0
		.amdhsa_system_sgpr_workgroup_id_z 0
		.amdhsa_system_sgpr_workgroup_info 0
		.amdhsa_system_vgpr_workitem_id 0
		.amdhsa_next_free_vgpr 1
		.amdhsa_next_free_sgpr 0
		.amdhsa_accum_offset 4
		.amdhsa_reserve_vcc 0
		.amdhsa_reserve_flat_scratch 0
		.amdhsa_float_round_mode_32 0
		.amdhsa_float_round_mode_16_64 0
		.amdhsa_float_denorm_mode_32 3
		.amdhsa_float_denorm_mode_16_64 3
		.amdhsa_dx10_clamp 1
		.amdhsa_ieee_mode 1
		.amdhsa_fp16_overflow 0
		.amdhsa_tg_split 0
		.amdhsa_exception_fp_ieee_invalid_op 0
		.amdhsa_exception_fp_denorm_src 0
		.amdhsa_exception_fp_ieee_div_zero 0
		.amdhsa_exception_fp_ieee_overflow 0
		.amdhsa_exception_fp_ieee_underflow 0
		.amdhsa_exception_fp_ieee_inexact 0
		.amdhsa_exception_int_div_zero 0
	.end_amdhsa_kernel
	.section	.text._ZN7rocprim17ROCPRIM_400000_NS6detail17trampoline_kernelINS0_14default_configENS1_27scan_by_key_config_selectorIijEEZZNS1_16scan_by_key_implILNS1_25lookback_scan_determinismE0ELb0ES3_N6thrust23THRUST_200600_302600_NS6detail15normal_iteratorINS9_10device_ptrIiEEEENSB_INSC_IjEEEENSB_INSC_IfEEEEjNS9_4plusIvEENS9_8equal_toIvEEjEE10hipError_tPvRmT2_T3_T4_T5_mT6_T7_P12ihipStream_tbENKUlT_T0_E_clISt17integral_constantIbLb1EES13_EEDaSY_SZ_EUlSY_E_NS1_11comp_targetILNS1_3genE8ELNS1_11target_archE1030ELNS1_3gpuE2ELNS1_3repE0EEENS1_30default_config_static_selectorELNS0_4arch9wavefront6targetE1EEEvT1_,"axG",@progbits,_ZN7rocprim17ROCPRIM_400000_NS6detail17trampoline_kernelINS0_14default_configENS1_27scan_by_key_config_selectorIijEEZZNS1_16scan_by_key_implILNS1_25lookback_scan_determinismE0ELb0ES3_N6thrust23THRUST_200600_302600_NS6detail15normal_iteratorINS9_10device_ptrIiEEEENSB_INSC_IjEEEENSB_INSC_IfEEEEjNS9_4plusIvEENS9_8equal_toIvEEjEE10hipError_tPvRmT2_T3_T4_T5_mT6_T7_P12ihipStream_tbENKUlT_T0_E_clISt17integral_constantIbLb1EES13_EEDaSY_SZ_EUlSY_E_NS1_11comp_targetILNS1_3genE8ELNS1_11target_archE1030ELNS1_3gpuE2ELNS1_3repE0EEENS1_30default_config_static_selectorELNS0_4arch9wavefront6targetE1EEEvT1_,comdat
.Lfunc_end1661:
	.size	_ZN7rocprim17ROCPRIM_400000_NS6detail17trampoline_kernelINS0_14default_configENS1_27scan_by_key_config_selectorIijEEZZNS1_16scan_by_key_implILNS1_25lookback_scan_determinismE0ELb0ES3_N6thrust23THRUST_200600_302600_NS6detail15normal_iteratorINS9_10device_ptrIiEEEENSB_INSC_IjEEEENSB_INSC_IfEEEEjNS9_4plusIvEENS9_8equal_toIvEEjEE10hipError_tPvRmT2_T3_T4_T5_mT6_T7_P12ihipStream_tbENKUlT_T0_E_clISt17integral_constantIbLb1EES13_EEDaSY_SZ_EUlSY_E_NS1_11comp_targetILNS1_3genE8ELNS1_11target_archE1030ELNS1_3gpuE2ELNS1_3repE0EEENS1_30default_config_static_selectorELNS0_4arch9wavefront6targetE1EEEvT1_, .Lfunc_end1661-_ZN7rocprim17ROCPRIM_400000_NS6detail17trampoline_kernelINS0_14default_configENS1_27scan_by_key_config_selectorIijEEZZNS1_16scan_by_key_implILNS1_25lookback_scan_determinismE0ELb0ES3_N6thrust23THRUST_200600_302600_NS6detail15normal_iteratorINS9_10device_ptrIiEEEENSB_INSC_IjEEEENSB_INSC_IfEEEEjNS9_4plusIvEENS9_8equal_toIvEEjEE10hipError_tPvRmT2_T3_T4_T5_mT6_T7_P12ihipStream_tbENKUlT_T0_E_clISt17integral_constantIbLb1EES13_EEDaSY_SZ_EUlSY_E_NS1_11comp_targetILNS1_3genE8ELNS1_11target_archE1030ELNS1_3gpuE2ELNS1_3repE0EEENS1_30default_config_static_selectorELNS0_4arch9wavefront6targetE1EEEvT1_
                                        ; -- End function
	.section	.AMDGPU.csdata,"",@progbits
; Kernel info:
; codeLenInByte = 0
; NumSgprs: 4
; NumVgprs: 0
; NumAgprs: 0
; TotalNumVgprs: 0
; ScratchSize: 0
; MemoryBound: 0
; FloatMode: 240
; IeeeMode: 1
; LDSByteSize: 0 bytes/workgroup (compile time only)
; SGPRBlocks: 0
; VGPRBlocks: 0
; NumSGPRsForWavesPerEU: 4
; NumVGPRsForWavesPerEU: 1
; AccumOffset: 4
; Occupancy: 8
; WaveLimiterHint : 0
; COMPUTE_PGM_RSRC2:SCRATCH_EN: 0
; COMPUTE_PGM_RSRC2:USER_SGPR: 6
; COMPUTE_PGM_RSRC2:TRAP_HANDLER: 0
; COMPUTE_PGM_RSRC2:TGID_X_EN: 1
; COMPUTE_PGM_RSRC2:TGID_Y_EN: 0
; COMPUTE_PGM_RSRC2:TGID_Z_EN: 0
; COMPUTE_PGM_RSRC2:TIDIG_COMP_CNT: 0
; COMPUTE_PGM_RSRC3_GFX90A:ACCUM_OFFSET: 0
; COMPUTE_PGM_RSRC3_GFX90A:TG_SPLIT: 0
	.section	.text._ZN7rocprim17ROCPRIM_400000_NS6detail17trampoline_kernelINS0_14default_configENS1_27scan_by_key_config_selectorIijEEZZNS1_16scan_by_key_implILNS1_25lookback_scan_determinismE0ELb0ES3_N6thrust23THRUST_200600_302600_NS6detail15normal_iteratorINS9_10device_ptrIiEEEENSB_INSC_IjEEEENSB_INSC_IfEEEEjNS9_4plusIvEENS9_8equal_toIvEEjEE10hipError_tPvRmT2_T3_T4_T5_mT6_T7_P12ihipStream_tbENKUlT_T0_E_clISt17integral_constantIbLb1EES12_IbLb0EEEEDaSY_SZ_EUlSY_E_NS1_11comp_targetILNS1_3genE0ELNS1_11target_archE4294967295ELNS1_3gpuE0ELNS1_3repE0EEENS1_30default_config_static_selectorELNS0_4arch9wavefront6targetE1EEEvT1_,"axG",@progbits,_ZN7rocprim17ROCPRIM_400000_NS6detail17trampoline_kernelINS0_14default_configENS1_27scan_by_key_config_selectorIijEEZZNS1_16scan_by_key_implILNS1_25lookback_scan_determinismE0ELb0ES3_N6thrust23THRUST_200600_302600_NS6detail15normal_iteratorINS9_10device_ptrIiEEEENSB_INSC_IjEEEENSB_INSC_IfEEEEjNS9_4plusIvEENS9_8equal_toIvEEjEE10hipError_tPvRmT2_T3_T4_T5_mT6_T7_P12ihipStream_tbENKUlT_T0_E_clISt17integral_constantIbLb1EES12_IbLb0EEEEDaSY_SZ_EUlSY_E_NS1_11comp_targetILNS1_3genE0ELNS1_11target_archE4294967295ELNS1_3gpuE0ELNS1_3repE0EEENS1_30default_config_static_selectorELNS0_4arch9wavefront6targetE1EEEvT1_,comdat
	.protected	_ZN7rocprim17ROCPRIM_400000_NS6detail17trampoline_kernelINS0_14default_configENS1_27scan_by_key_config_selectorIijEEZZNS1_16scan_by_key_implILNS1_25lookback_scan_determinismE0ELb0ES3_N6thrust23THRUST_200600_302600_NS6detail15normal_iteratorINS9_10device_ptrIiEEEENSB_INSC_IjEEEENSB_INSC_IfEEEEjNS9_4plusIvEENS9_8equal_toIvEEjEE10hipError_tPvRmT2_T3_T4_T5_mT6_T7_P12ihipStream_tbENKUlT_T0_E_clISt17integral_constantIbLb1EES12_IbLb0EEEEDaSY_SZ_EUlSY_E_NS1_11comp_targetILNS1_3genE0ELNS1_11target_archE4294967295ELNS1_3gpuE0ELNS1_3repE0EEENS1_30default_config_static_selectorELNS0_4arch9wavefront6targetE1EEEvT1_ ; -- Begin function _ZN7rocprim17ROCPRIM_400000_NS6detail17trampoline_kernelINS0_14default_configENS1_27scan_by_key_config_selectorIijEEZZNS1_16scan_by_key_implILNS1_25lookback_scan_determinismE0ELb0ES3_N6thrust23THRUST_200600_302600_NS6detail15normal_iteratorINS9_10device_ptrIiEEEENSB_INSC_IjEEEENSB_INSC_IfEEEEjNS9_4plusIvEENS9_8equal_toIvEEjEE10hipError_tPvRmT2_T3_T4_T5_mT6_T7_P12ihipStream_tbENKUlT_T0_E_clISt17integral_constantIbLb1EES12_IbLb0EEEEDaSY_SZ_EUlSY_E_NS1_11comp_targetILNS1_3genE0ELNS1_11target_archE4294967295ELNS1_3gpuE0ELNS1_3repE0EEENS1_30default_config_static_selectorELNS0_4arch9wavefront6targetE1EEEvT1_
	.globl	_ZN7rocprim17ROCPRIM_400000_NS6detail17trampoline_kernelINS0_14default_configENS1_27scan_by_key_config_selectorIijEEZZNS1_16scan_by_key_implILNS1_25lookback_scan_determinismE0ELb0ES3_N6thrust23THRUST_200600_302600_NS6detail15normal_iteratorINS9_10device_ptrIiEEEENSB_INSC_IjEEEENSB_INSC_IfEEEEjNS9_4plusIvEENS9_8equal_toIvEEjEE10hipError_tPvRmT2_T3_T4_T5_mT6_T7_P12ihipStream_tbENKUlT_T0_E_clISt17integral_constantIbLb1EES12_IbLb0EEEEDaSY_SZ_EUlSY_E_NS1_11comp_targetILNS1_3genE0ELNS1_11target_archE4294967295ELNS1_3gpuE0ELNS1_3repE0EEENS1_30default_config_static_selectorELNS0_4arch9wavefront6targetE1EEEvT1_
	.p2align	8
	.type	_ZN7rocprim17ROCPRIM_400000_NS6detail17trampoline_kernelINS0_14default_configENS1_27scan_by_key_config_selectorIijEEZZNS1_16scan_by_key_implILNS1_25lookback_scan_determinismE0ELb0ES3_N6thrust23THRUST_200600_302600_NS6detail15normal_iteratorINS9_10device_ptrIiEEEENSB_INSC_IjEEEENSB_INSC_IfEEEEjNS9_4plusIvEENS9_8equal_toIvEEjEE10hipError_tPvRmT2_T3_T4_T5_mT6_T7_P12ihipStream_tbENKUlT_T0_E_clISt17integral_constantIbLb1EES12_IbLb0EEEEDaSY_SZ_EUlSY_E_NS1_11comp_targetILNS1_3genE0ELNS1_11target_archE4294967295ELNS1_3gpuE0ELNS1_3repE0EEENS1_30default_config_static_selectorELNS0_4arch9wavefront6targetE1EEEvT1_,@function
_ZN7rocprim17ROCPRIM_400000_NS6detail17trampoline_kernelINS0_14default_configENS1_27scan_by_key_config_selectorIijEEZZNS1_16scan_by_key_implILNS1_25lookback_scan_determinismE0ELb0ES3_N6thrust23THRUST_200600_302600_NS6detail15normal_iteratorINS9_10device_ptrIiEEEENSB_INSC_IjEEEENSB_INSC_IfEEEEjNS9_4plusIvEENS9_8equal_toIvEEjEE10hipError_tPvRmT2_T3_T4_T5_mT6_T7_P12ihipStream_tbENKUlT_T0_E_clISt17integral_constantIbLb1EES12_IbLb0EEEEDaSY_SZ_EUlSY_E_NS1_11comp_targetILNS1_3genE0ELNS1_11target_archE4294967295ELNS1_3gpuE0ELNS1_3repE0EEENS1_30default_config_static_selectorELNS0_4arch9wavefront6targetE1EEEvT1_: ; @_ZN7rocprim17ROCPRIM_400000_NS6detail17trampoline_kernelINS0_14default_configENS1_27scan_by_key_config_selectorIijEEZZNS1_16scan_by_key_implILNS1_25lookback_scan_determinismE0ELb0ES3_N6thrust23THRUST_200600_302600_NS6detail15normal_iteratorINS9_10device_ptrIiEEEENSB_INSC_IjEEEENSB_INSC_IfEEEEjNS9_4plusIvEENS9_8equal_toIvEEjEE10hipError_tPvRmT2_T3_T4_T5_mT6_T7_P12ihipStream_tbENKUlT_T0_E_clISt17integral_constantIbLb1EES12_IbLb0EEEEDaSY_SZ_EUlSY_E_NS1_11comp_targetILNS1_3genE0ELNS1_11target_archE4294967295ELNS1_3gpuE0ELNS1_3repE0EEENS1_30default_config_static_selectorELNS0_4arch9wavefront6targetE1EEEvT1_
; %bb.0:
	.section	.rodata,"a",@progbits
	.p2align	6, 0x0
	.amdhsa_kernel _ZN7rocprim17ROCPRIM_400000_NS6detail17trampoline_kernelINS0_14default_configENS1_27scan_by_key_config_selectorIijEEZZNS1_16scan_by_key_implILNS1_25lookback_scan_determinismE0ELb0ES3_N6thrust23THRUST_200600_302600_NS6detail15normal_iteratorINS9_10device_ptrIiEEEENSB_INSC_IjEEEENSB_INSC_IfEEEEjNS9_4plusIvEENS9_8equal_toIvEEjEE10hipError_tPvRmT2_T3_T4_T5_mT6_T7_P12ihipStream_tbENKUlT_T0_E_clISt17integral_constantIbLb1EES12_IbLb0EEEEDaSY_SZ_EUlSY_E_NS1_11comp_targetILNS1_3genE0ELNS1_11target_archE4294967295ELNS1_3gpuE0ELNS1_3repE0EEENS1_30default_config_static_selectorELNS0_4arch9wavefront6targetE1EEEvT1_
		.amdhsa_group_segment_fixed_size 0
		.amdhsa_private_segment_fixed_size 0
		.amdhsa_kernarg_size 112
		.amdhsa_user_sgpr_count 6
		.amdhsa_user_sgpr_private_segment_buffer 1
		.amdhsa_user_sgpr_dispatch_ptr 0
		.amdhsa_user_sgpr_queue_ptr 0
		.amdhsa_user_sgpr_kernarg_segment_ptr 1
		.amdhsa_user_sgpr_dispatch_id 0
		.amdhsa_user_sgpr_flat_scratch_init 0
		.amdhsa_user_sgpr_kernarg_preload_length 0
		.amdhsa_user_sgpr_kernarg_preload_offset 0
		.amdhsa_user_sgpr_private_segment_size 0
		.amdhsa_uses_dynamic_stack 0
		.amdhsa_system_sgpr_private_segment_wavefront_offset 0
		.amdhsa_system_sgpr_workgroup_id_x 1
		.amdhsa_system_sgpr_workgroup_id_y 0
		.amdhsa_system_sgpr_workgroup_id_z 0
		.amdhsa_system_sgpr_workgroup_info 0
		.amdhsa_system_vgpr_workitem_id 0
		.amdhsa_next_free_vgpr 1
		.amdhsa_next_free_sgpr 0
		.amdhsa_accum_offset 4
		.amdhsa_reserve_vcc 0
		.amdhsa_reserve_flat_scratch 0
		.amdhsa_float_round_mode_32 0
		.amdhsa_float_round_mode_16_64 0
		.amdhsa_float_denorm_mode_32 3
		.amdhsa_float_denorm_mode_16_64 3
		.amdhsa_dx10_clamp 1
		.amdhsa_ieee_mode 1
		.amdhsa_fp16_overflow 0
		.amdhsa_tg_split 0
		.amdhsa_exception_fp_ieee_invalid_op 0
		.amdhsa_exception_fp_denorm_src 0
		.amdhsa_exception_fp_ieee_div_zero 0
		.amdhsa_exception_fp_ieee_overflow 0
		.amdhsa_exception_fp_ieee_underflow 0
		.amdhsa_exception_fp_ieee_inexact 0
		.amdhsa_exception_int_div_zero 0
	.end_amdhsa_kernel
	.section	.text._ZN7rocprim17ROCPRIM_400000_NS6detail17trampoline_kernelINS0_14default_configENS1_27scan_by_key_config_selectorIijEEZZNS1_16scan_by_key_implILNS1_25lookback_scan_determinismE0ELb0ES3_N6thrust23THRUST_200600_302600_NS6detail15normal_iteratorINS9_10device_ptrIiEEEENSB_INSC_IjEEEENSB_INSC_IfEEEEjNS9_4plusIvEENS9_8equal_toIvEEjEE10hipError_tPvRmT2_T3_T4_T5_mT6_T7_P12ihipStream_tbENKUlT_T0_E_clISt17integral_constantIbLb1EES12_IbLb0EEEEDaSY_SZ_EUlSY_E_NS1_11comp_targetILNS1_3genE0ELNS1_11target_archE4294967295ELNS1_3gpuE0ELNS1_3repE0EEENS1_30default_config_static_selectorELNS0_4arch9wavefront6targetE1EEEvT1_,"axG",@progbits,_ZN7rocprim17ROCPRIM_400000_NS6detail17trampoline_kernelINS0_14default_configENS1_27scan_by_key_config_selectorIijEEZZNS1_16scan_by_key_implILNS1_25lookback_scan_determinismE0ELb0ES3_N6thrust23THRUST_200600_302600_NS6detail15normal_iteratorINS9_10device_ptrIiEEEENSB_INSC_IjEEEENSB_INSC_IfEEEEjNS9_4plusIvEENS9_8equal_toIvEEjEE10hipError_tPvRmT2_T3_T4_T5_mT6_T7_P12ihipStream_tbENKUlT_T0_E_clISt17integral_constantIbLb1EES12_IbLb0EEEEDaSY_SZ_EUlSY_E_NS1_11comp_targetILNS1_3genE0ELNS1_11target_archE4294967295ELNS1_3gpuE0ELNS1_3repE0EEENS1_30default_config_static_selectorELNS0_4arch9wavefront6targetE1EEEvT1_,comdat
.Lfunc_end1662:
	.size	_ZN7rocprim17ROCPRIM_400000_NS6detail17trampoline_kernelINS0_14default_configENS1_27scan_by_key_config_selectorIijEEZZNS1_16scan_by_key_implILNS1_25lookback_scan_determinismE0ELb0ES3_N6thrust23THRUST_200600_302600_NS6detail15normal_iteratorINS9_10device_ptrIiEEEENSB_INSC_IjEEEENSB_INSC_IfEEEEjNS9_4plusIvEENS9_8equal_toIvEEjEE10hipError_tPvRmT2_T3_T4_T5_mT6_T7_P12ihipStream_tbENKUlT_T0_E_clISt17integral_constantIbLb1EES12_IbLb0EEEEDaSY_SZ_EUlSY_E_NS1_11comp_targetILNS1_3genE0ELNS1_11target_archE4294967295ELNS1_3gpuE0ELNS1_3repE0EEENS1_30default_config_static_selectorELNS0_4arch9wavefront6targetE1EEEvT1_, .Lfunc_end1662-_ZN7rocprim17ROCPRIM_400000_NS6detail17trampoline_kernelINS0_14default_configENS1_27scan_by_key_config_selectorIijEEZZNS1_16scan_by_key_implILNS1_25lookback_scan_determinismE0ELb0ES3_N6thrust23THRUST_200600_302600_NS6detail15normal_iteratorINS9_10device_ptrIiEEEENSB_INSC_IjEEEENSB_INSC_IfEEEEjNS9_4plusIvEENS9_8equal_toIvEEjEE10hipError_tPvRmT2_T3_T4_T5_mT6_T7_P12ihipStream_tbENKUlT_T0_E_clISt17integral_constantIbLb1EES12_IbLb0EEEEDaSY_SZ_EUlSY_E_NS1_11comp_targetILNS1_3genE0ELNS1_11target_archE4294967295ELNS1_3gpuE0ELNS1_3repE0EEENS1_30default_config_static_selectorELNS0_4arch9wavefront6targetE1EEEvT1_
                                        ; -- End function
	.section	.AMDGPU.csdata,"",@progbits
; Kernel info:
; codeLenInByte = 0
; NumSgprs: 4
; NumVgprs: 0
; NumAgprs: 0
; TotalNumVgprs: 0
; ScratchSize: 0
; MemoryBound: 0
; FloatMode: 240
; IeeeMode: 1
; LDSByteSize: 0 bytes/workgroup (compile time only)
; SGPRBlocks: 0
; VGPRBlocks: 0
; NumSGPRsForWavesPerEU: 4
; NumVGPRsForWavesPerEU: 1
; AccumOffset: 4
; Occupancy: 8
; WaveLimiterHint : 0
; COMPUTE_PGM_RSRC2:SCRATCH_EN: 0
; COMPUTE_PGM_RSRC2:USER_SGPR: 6
; COMPUTE_PGM_RSRC2:TRAP_HANDLER: 0
; COMPUTE_PGM_RSRC2:TGID_X_EN: 1
; COMPUTE_PGM_RSRC2:TGID_Y_EN: 0
; COMPUTE_PGM_RSRC2:TGID_Z_EN: 0
; COMPUTE_PGM_RSRC2:TIDIG_COMP_CNT: 0
; COMPUTE_PGM_RSRC3_GFX90A:ACCUM_OFFSET: 0
; COMPUTE_PGM_RSRC3_GFX90A:TG_SPLIT: 0
	.section	.text._ZN7rocprim17ROCPRIM_400000_NS6detail17trampoline_kernelINS0_14default_configENS1_27scan_by_key_config_selectorIijEEZZNS1_16scan_by_key_implILNS1_25lookback_scan_determinismE0ELb0ES3_N6thrust23THRUST_200600_302600_NS6detail15normal_iteratorINS9_10device_ptrIiEEEENSB_INSC_IjEEEENSB_INSC_IfEEEEjNS9_4plusIvEENS9_8equal_toIvEEjEE10hipError_tPvRmT2_T3_T4_T5_mT6_T7_P12ihipStream_tbENKUlT_T0_E_clISt17integral_constantIbLb1EES12_IbLb0EEEEDaSY_SZ_EUlSY_E_NS1_11comp_targetILNS1_3genE10ELNS1_11target_archE1201ELNS1_3gpuE5ELNS1_3repE0EEENS1_30default_config_static_selectorELNS0_4arch9wavefront6targetE1EEEvT1_,"axG",@progbits,_ZN7rocprim17ROCPRIM_400000_NS6detail17trampoline_kernelINS0_14default_configENS1_27scan_by_key_config_selectorIijEEZZNS1_16scan_by_key_implILNS1_25lookback_scan_determinismE0ELb0ES3_N6thrust23THRUST_200600_302600_NS6detail15normal_iteratorINS9_10device_ptrIiEEEENSB_INSC_IjEEEENSB_INSC_IfEEEEjNS9_4plusIvEENS9_8equal_toIvEEjEE10hipError_tPvRmT2_T3_T4_T5_mT6_T7_P12ihipStream_tbENKUlT_T0_E_clISt17integral_constantIbLb1EES12_IbLb0EEEEDaSY_SZ_EUlSY_E_NS1_11comp_targetILNS1_3genE10ELNS1_11target_archE1201ELNS1_3gpuE5ELNS1_3repE0EEENS1_30default_config_static_selectorELNS0_4arch9wavefront6targetE1EEEvT1_,comdat
	.protected	_ZN7rocprim17ROCPRIM_400000_NS6detail17trampoline_kernelINS0_14default_configENS1_27scan_by_key_config_selectorIijEEZZNS1_16scan_by_key_implILNS1_25lookback_scan_determinismE0ELb0ES3_N6thrust23THRUST_200600_302600_NS6detail15normal_iteratorINS9_10device_ptrIiEEEENSB_INSC_IjEEEENSB_INSC_IfEEEEjNS9_4plusIvEENS9_8equal_toIvEEjEE10hipError_tPvRmT2_T3_T4_T5_mT6_T7_P12ihipStream_tbENKUlT_T0_E_clISt17integral_constantIbLb1EES12_IbLb0EEEEDaSY_SZ_EUlSY_E_NS1_11comp_targetILNS1_3genE10ELNS1_11target_archE1201ELNS1_3gpuE5ELNS1_3repE0EEENS1_30default_config_static_selectorELNS0_4arch9wavefront6targetE1EEEvT1_ ; -- Begin function _ZN7rocprim17ROCPRIM_400000_NS6detail17trampoline_kernelINS0_14default_configENS1_27scan_by_key_config_selectorIijEEZZNS1_16scan_by_key_implILNS1_25lookback_scan_determinismE0ELb0ES3_N6thrust23THRUST_200600_302600_NS6detail15normal_iteratorINS9_10device_ptrIiEEEENSB_INSC_IjEEEENSB_INSC_IfEEEEjNS9_4plusIvEENS9_8equal_toIvEEjEE10hipError_tPvRmT2_T3_T4_T5_mT6_T7_P12ihipStream_tbENKUlT_T0_E_clISt17integral_constantIbLb1EES12_IbLb0EEEEDaSY_SZ_EUlSY_E_NS1_11comp_targetILNS1_3genE10ELNS1_11target_archE1201ELNS1_3gpuE5ELNS1_3repE0EEENS1_30default_config_static_selectorELNS0_4arch9wavefront6targetE1EEEvT1_
	.globl	_ZN7rocprim17ROCPRIM_400000_NS6detail17trampoline_kernelINS0_14default_configENS1_27scan_by_key_config_selectorIijEEZZNS1_16scan_by_key_implILNS1_25lookback_scan_determinismE0ELb0ES3_N6thrust23THRUST_200600_302600_NS6detail15normal_iteratorINS9_10device_ptrIiEEEENSB_INSC_IjEEEENSB_INSC_IfEEEEjNS9_4plusIvEENS9_8equal_toIvEEjEE10hipError_tPvRmT2_T3_T4_T5_mT6_T7_P12ihipStream_tbENKUlT_T0_E_clISt17integral_constantIbLb1EES12_IbLb0EEEEDaSY_SZ_EUlSY_E_NS1_11comp_targetILNS1_3genE10ELNS1_11target_archE1201ELNS1_3gpuE5ELNS1_3repE0EEENS1_30default_config_static_selectorELNS0_4arch9wavefront6targetE1EEEvT1_
	.p2align	8
	.type	_ZN7rocprim17ROCPRIM_400000_NS6detail17trampoline_kernelINS0_14default_configENS1_27scan_by_key_config_selectorIijEEZZNS1_16scan_by_key_implILNS1_25lookback_scan_determinismE0ELb0ES3_N6thrust23THRUST_200600_302600_NS6detail15normal_iteratorINS9_10device_ptrIiEEEENSB_INSC_IjEEEENSB_INSC_IfEEEEjNS9_4plusIvEENS9_8equal_toIvEEjEE10hipError_tPvRmT2_T3_T4_T5_mT6_T7_P12ihipStream_tbENKUlT_T0_E_clISt17integral_constantIbLb1EES12_IbLb0EEEEDaSY_SZ_EUlSY_E_NS1_11comp_targetILNS1_3genE10ELNS1_11target_archE1201ELNS1_3gpuE5ELNS1_3repE0EEENS1_30default_config_static_selectorELNS0_4arch9wavefront6targetE1EEEvT1_,@function
_ZN7rocprim17ROCPRIM_400000_NS6detail17trampoline_kernelINS0_14default_configENS1_27scan_by_key_config_selectorIijEEZZNS1_16scan_by_key_implILNS1_25lookback_scan_determinismE0ELb0ES3_N6thrust23THRUST_200600_302600_NS6detail15normal_iteratorINS9_10device_ptrIiEEEENSB_INSC_IjEEEENSB_INSC_IfEEEEjNS9_4plusIvEENS9_8equal_toIvEEjEE10hipError_tPvRmT2_T3_T4_T5_mT6_T7_P12ihipStream_tbENKUlT_T0_E_clISt17integral_constantIbLb1EES12_IbLb0EEEEDaSY_SZ_EUlSY_E_NS1_11comp_targetILNS1_3genE10ELNS1_11target_archE1201ELNS1_3gpuE5ELNS1_3repE0EEENS1_30default_config_static_selectorELNS0_4arch9wavefront6targetE1EEEvT1_: ; @_ZN7rocprim17ROCPRIM_400000_NS6detail17trampoline_kernelINS0_14default_configENS1_27scan_by_key_config_selectorIijEEZZNS1_16scan_by_key_implILNS1_25lookback_scan_determinismE0ELb0ES3_N6thrust23THRUST_200600_302600_NS6detail15normal_iteratorINS9_10device_ptrIiEEEENSB_INSC_IjEEEENSB_INSC_IfEEEEjNS9_4plusIvEENS9_8equal_toIvEEjEE10hipError_tPvRmT2_T3_T4_T5_mT6_T7_P12ihipStream_tbENKUlT_T0_E_clISt17integral_constantIbLb1EES12_IbLb0EEEEDaSY_SZ_EUlSY_E_NS1_11comp_targetILNS1_3genE10ELNS1_11target_archE1201ELNS1_3gpuE5ELNS1_3repE0EEENS1_30default_config_static_selectorELNS0_4arch9wavefront6targetE1EEEvT1_
; %bb.0:
	.section	.rodata,"a",@progbits
	.p2align	6, 0x0
	.amdhsa_kernel _ZN7rocprim17ROCPRIM_400000_NS6detail17trampoline_kernelINS0_14default_configENS1_27scan_by_key_config_selectorIijEEZZNS1_16scan_by_key_implILNS1_25lookback_scan_determinismE0ELb0ES3_N6thrust23THRUST_200600_302600_NS6detail15normal_iteratorINS9_10device_ptrIiEEEENSB_INSC_IjEEEENSB_INSC_IfEEEEjNS9_4plusIvEENS9_8equal_toIvEEjEE10hipError_tPvRmT2_T3_T4_T5_mT6_T7_P12ihipStream_tbENKUlT_T0_E_clISt17integral_constantIbLb1EES12_IbLb0EEEEDaSY_SZ_EUlSY_E_NS1_11comp_targetILNS1_3genE10ELNS1_11target_archE1201ELNS1_3gpuE5ELNS1_3repE0EEENS1_30default_config_static_selectorELNS0_4arch9wavefront6targetE1EEEvT1_
		.amdhsa_group_segment_fixed_size 0
		.amdhsa_private_segment_fixed_size 0
		.amdhsa_kernarg_size 112
		.amdhsa_user_sgpr_count 6
		.amdhsa_user_sgpr_private_segment_buffer 1
		.amdhsa_user_sgpr_dispatch_ptr 0
		.amdhsa_user_sgpr_queue_ptr 0
		.amdhsa_user_sgpr_kernarg_segment_ptr 1
		.amdhsa_user_sgpr_dispatch_id 0
		.amdhsa_user_sgpr_flat_scratch_init 0
		.amdhsa_user_sgpr_kernarg_preload_length 0
		.amdhsa_user_sgpr_kernarg_preload_offset 0
		.amdhsa_user_sgpr_private_segment_size 0
		.amdhsa_uses_dynamic_stack 0
		.amdhsa_system_sgpr_private_segment_wavefront_offset 0
		.amdhsa_system_sgpr_workgroup_id_x 1
		.amdhsa_system_sgpr_workgroup_id_y 0
		.amdhsa_system_sgpr_workgroup_id_z 0
		.amdhsa_system_sgpr_workgroup_info 0
		.amdhsa_system_vgpr_workitem_id 0
		.amdhsa_next_free_vgpr 1
		.amdhsa_next_free_sgpr 0
		.amdhsa_accum_offset 4
		.amdhsa_reserve_vcc 0
		.amdhsa_reserve_flat_scratch 0
		.amdhsa_float_round_mode_32 0
		.amdhsa_float_round_mode_16_64 0
		.amdhsa_float_denorm_mode_32 3
		.amdhsa_float_denorm_mode_16_64 3
		.amdhsa_dx10_clamp 1
		.amdhsa_ieee_mode 1
		.amdhsa_fp16_overflow 0
		.amdhsa_tg_split 0
		.amdhsa_exception_fp_ieee_invalid_op 0
		.amdhsa_exception_fp_denorm_src 0
		.amdhsa_exception_fp_ieee_div_zero 0
		.amdhsa_exception_fp_ieee_overflow 0
		.amdhsa_exception_fp_ieee_underflow 0
		.amdhsa_exception_fp_ieee_inexact 0
		.amdhsa_exception_int_div_zero 0
	.end_amdhsa_kernel
	.section	.text._ZN7rocprim17ROCPRIM_400000_NS6detail17trampoline_kernelINS0_14default_configENS1_27scan_by_key_config_selectorIijEEZZNS1_16scan_by_key_implILNS1_25lookback_scan_determinismE0ELb0ES3_N6thrust23THRUST_200600_302600_NS6detail15normal_iteratorINS9_10device_ptrIiEEEENSB_INSC_IjEEEENSB_INSC_IfEEEEjNS9_4plusIvEENS9_8equal_toIvEEjEE10hipError_tPvRmT2_T3_T4_T5_mT6_T7_P12ihipStream_tbENKUlT_T0_E_clISt17integral_constantIbLb1EES12_IbLb0EEEEDaSY_SZ_EUlSY_E_NS1_11comp_targetILNS1_3genE10ELNS1_11target_archE1201ELNS1_3gpuE5ELNS1_3repE0EEENS1_30default_config_static_selectorELNS0_4arch9wavefront6targetE1EEEvT1_,"axG",@progbits,_ZN7rocprim17ROCPRIM_400000_NS6detail17trampoline_kernelINS0_14default_configENS1_27scan_by_key_config_selectorIijEEZZNS1_16scan_by_key_implILNS1_25lookback_scan_determinismE0ELb0ES3_N6thrust23THRUST_200600_302600_NS6detail15normal_iteratorINS9_10device_ptrIiEEEENSB_INSC_IjEEEENSB_INSC_IfEEEEjNS9_4plusIvEENS9_8equal_toIvEEjEE10hipError_tPvRmT2_T3_T4_T5_mT6_T7_P12ihipStream_tbENKUlT_T0_E_clISt17integral_constantIbLb1EES12_IbLb0EEEEDaSY_SZ_EUlSY_E_NS1_11comp_targetILNS1_3genE10ELNS1_11target_archE1201ELNS1_3gpuE5ELNS1_3repE0EEENS1_30default_config_static_selectorELNS0_4arch9wavefront6targetE1EEEvT1_,comdat
.Lfunc_end1663:
	.size	_ZN7rocprim17ROCPRIM_400000_NS6detail17trampoline_kernelINS0_14default_configENS1_27scan_by_key_config_selectorIijEEZZNS1_16scan_by_key_implILNS1_25lookback_scan_determinismE0ELb0ES3_N6thrust23THRUST_200600_302600_NS6detail15normal_iteratorINS9_10device_ptrIiEEEENSB_INSC_IjEEEENSB_INSC_IfEEEEjNS9_4plusIvEENS9_8equal_toIvEEjEE10hipError_tPvRmT2_T3_T4_T5_mT6_T7_P12ihipStream_tbENKUlT_T0_E_clISt17integral_constantIbLb1EES12_IbLb0EEEEDaSY_SZ_EUlSY_E_NS1_11comp_targetILNS1_3genE10ELNS1_11target_archE1201ELNS1_3gpuE5ELNS1_3repE0EEENS1_30default_config_static_selectorELNS0_4arch9wavefront6targetE1EEEvT1_, .Lfunc_end1663-_ZN7rocprim17ROCPRIM_400000_NS6detail17trampoline_kernelINS0_14default_configENS1_27scan_by_key_config_selectorIijEEZZNS1_16scan_by_key_implILNS1_25lookback_scan_determinismE0ELb0ES3_N6thrust23THRUST_200600_302600_NS6detail15normal_iteratorINS9_10device_ptrIiEEEENSB_INSC_IjEEEENSB_INSC_IfEEEEjNS9_4plusIvEENS9_8equal_toIvEEjEE10hipError_tPvRmT2_T3_T4_T5_mT6_T7_P12ihipStream_tbENKUlT_T0_E_clISt17integral_constantIbLb1EES12_IbLb0EEEEDaSY_SZ_EUlSY_E_NS1_11comp_targetILNS1_3genE10ELNS1_11target_archE1201ELNS1_3gpuE5ELNS1_3repE0EEENS1_30default_config_static_selectorELNS0_4arch9wavefront6targetE1EEEvT1_
                                        ; -- End function
	.section	.AMDGPU.csdata,"",@progbits
; Kernel info:
; codeLenInByte = 0
; NumSgprs: 4
; NumVgprs: 0
; NumAgprs: 0
; TotalNumVgprs: 0
; ScratchSize: 0
; MemoryBound: 0
; FloatMode: 240
; IeeeMode: 1
; LDSByteSize: 0 bytes/workgroup (compile time only)
; SGPRBlocks: 0
; VGPRBlocks: 0
; NumSGPRsForWavesPerEU: 4
; NumVGPRsForWavesPerEU: 1
; AccumOffset: 4
; Occupancy: 8
; WaveLimiterHint : 0
; COMPUTE_PGM_RSRC2:SCRATCH_EN: 0
; COMPUTE_PGM_RSRC2:USER_SGPR: 6
; COMPUTE_PGM_RSRC2:TRAP_HANDLER: 0
; COMPUTE_PGM_RSRC2:TGID_X_EN: 1
; COMPUTE_PGM_RSRC2:TGID_Y_EN: 0
; COMPUTE_PGM_RSRC2:TGID_Z_EN: 0
; COMPUTE_PGM_RSRC2:TIDIG_COMP_CNT: 0
; COMPUTE_PGM_RSRC3_GFX90A:ACCUM_OFFSET: 0
; COMPUTE_PGM_RSRC3_GFX90A:TG_SPLIT: 0
	.section	.text._ZN7rocprim17ROCPRIM_400000_NS6detail17trampoline_kernelINS0_14default_configENS1_27scan_by_key_config_selectorIijEEZZNS1_16scan_by_key_implILNS1_25lookback_scan_determinismE0ELb0ES3_N6thrust23THRUST_200600_302600_NS6detail15normal_iteratorINS9_10device_ptrIiEEEENSB_INSC_IjEEEENSB_INSC_IfEEEEjNS9_4plusIvEENS9_8equal_toIvEEjEE10hipError_tPvRmT2_T3_T4_T5_mT6_T7_P12ihipStream_tbENKUlT_T0_E_clISt17integral_constantIbLb1EES12_IbLb0EEEEDaSY_SZ_EUlSY_E_NS1_11comp_targetILNS1_3genE5ELNS1_11target_archE942ELNS1_3gpuE9ELNS1_3repE0EEENS1_30default_config_static_selectorELNS0_4arch9wavefront6targetE1EEEvT1_,"axG",@progbits,_ZN7rocprim17ROCPRIM_400000_NS6detail17trampoline_kernelINS0_14default_configENS1_27scan_by_key_config_selectorIijEEZZNS1_16scan_by_key_implILNS1_25lookback_scan_determinismE0ELb0ES3_N6thrust23THRUST_200600_302600_NS6detail15normal_iteratorINS9_10device_ptrIiEEEENSB_INSC_IjEEEENSB_INSC_IfEEEEjNS9_4plusIvEENS9_8equal_toIvEEjEE10hipError_tPvRmT2_T3_T4_T5_mT6_T7_P12ihipStream_tbENKUlT_T0_E_clISt17integral_constantIbLb1EES12_IbLb0EEEEDaSY_SZ_EUlSY_E_NS1_11comp_targetILNS1_3genE5ELNS1_11target_archE942ELNS1_3gpuE9ELNS1_3repE0EEENS1_30default_config_static_selectorELNS0_4arch9wavefront6targetE1EEEvT1_,comdat
	.protected	_ZN7rocprim17ROCPRIM_400000_NS6detail17trampoline_kernelINS0_14default_configENS1_27scan_by_key_config_selectorIijEEZZNS1_16scan_by_key_implILNS1_25lookback_scan_determinismE0ELb0ES3_N6thrust23THRUST_200600_302600_NS6detail15normal_iteratorINS9_10device_ptrIiEEEENSB_INSC_IjEEEENSB_INSC_IfEEEEjNS9_4plusIvEENS9_8equal_toIvEEjEE10hipError_tPvRmT2_T3_T4_T5_mT6_T7_P12ihipStream_tbENKUlT_T0_E_clISt17integral_constantIbLb1EES12_IbLb0EEEEDaSY_SZ_EUlSY_E_NS1_11comp_targetILNS1_3genE5ELNS1_11target_archE942ELNS1_3gpuE9ELNS1_3repE0EEENS1_30default_config_static_selectorELNS0_4arch9wavefront6targetE1EEEvT1_ ; -- Begin function _ZN7rocprim17ROCPRIM_400000_NS6detail17trampoline_kernelINS0_14default_configENS1_27scan_by_key_config_selectorIijEEZZNS1_16scan_by_key_implILNS1_25lookback_scan_determinismE0ELb0ES3_N6thrust23THRUST_200600_302600_NS6detail15normal_iteratorINS9_10device_ptrIiEEEENSB_INSC_IjEEEENSB_INSC_IfEEEEjNS9_4plusIvEENS9_8equal_toIvEEjEE10hipError_tPvRmT2_T3_T4_T5_mT6_T7_P12ihipStream_tbENKUlT_T0_E_clISt17integral_constantIbLb1EES12_IbLb0EEEEDaSY_SZ_EUlSY_E_NS1_11comp_targetILNS1_3genE5ELNS1_11target_archE942ELNS1_3gpuE9ELNS1_3repE0EEENS1_30default_config_static_selectorELNS0_4arch9wavefront6targetE1EEEvT1_
	.globl	_ZN7rocprim17ROCPRIM_400000_NS6detail17trampoline_kernelINS0_14default_configENS1_27scan_by_key_config_selectorIijEEZZNS1_16scan_by_key_implILNS1_25lookback_scan_determinismE0ELb0ES3_N6thrust23THRUST_200600_302600_NS6detail15normal_iteratorINS9_10device_ptrIiEEEENSB_INSC_IjEEEENSB_INSC_IfEEEEjNS9_4plusIvEENS9_8equal_toIvEEjEE10hipError_tPvRmT2_T3_T4_T5_mT6_T7_P12ihipStream_tbENKUlT_T0_E_clISt17integral_constantIbLb1EES12_IbLb0EEEEDaSY_SZ_EUlSY_E_NS1_11comp_targetILNS1_3genE5ELNS1_11target_archE942ELNS1_3gpuE9ELNS1_3repE0EEENS1_30default_config_static_selectorELNS0_4arch9wavefront6targetE1EEEvT1_
	.p2align	8
	.type	_ZN7rocprim17ROCPRIM_400000_NS6detail17trampoline_kernelINS0_14default_configENS1_27scan_by_key_config_selectorIijEEZZNS1_16scan_by_key_implILNS1_25lookback_scan_determinismE0ELb0ES3_N6thrust23THRUST_200600_302600_NS6detail15normal_iteratorINS9_10device_ptrIiEEEENSB_INSC_IjEEEENSB_INSC_IfEEEEjNS9_4plusIvEENS9_8equal_toIvEEjEE10hipError_tPvRmT2_T3_T4_T5_mT6_T7_P12ihipStream_tbENKUlT_T0_E_clISt17integral_constantIbLb1EES12_IbLb0EEEEDaSY_SZ_EUlSY_E_NS1_11comp_targetILNS1_3genE5ELNS1_11target_archE942ELNS1_3gpuE9ELNS1_3repE0EEENS1_30default_config_static_selectorELNS0_4arch9wavefront6targetE1EEEvT1_,@function
_ZN7rocprim17ROCPRIM_400000_NS6detail17trampoline_kernelINS0_14default_configENS1_27scan_by_key_config_selectorIijEEZZNS1_16scan_by_key_implILNS1_25lookback_scan_determinismE0ELb0ES3_N6thrust23THRUST_200600_302600_NS6detail15normal_iteratorINS9_10device_ptrIiEEEENSB_INSC_IjEEEENSB_INSC_IfEEEEjNS9_4plusIvEENS9_8equal_toIvEEjEE10hipError_tPvRmT2_T3_T4_T5_mT6_T7_P12ihipStream_tbENKUlT_T0_E_clISt17integral_constantIbLb1EES12_IbLb0EEEEDaSY_SZ_EUlSY_E_NS1_11comp_targetILNS1_3genE5ELNS1_11target_archE942ELNS1_3gpuE9ELNS1_3repE0EEENS1_30default_config_static_selectorELNS0_4arch9wavefront6targetE1EEEvT1_: ; @_ZN7rocprim17ROCPRIM_400000_NS6detail17trampoline_kernelINS0_14default_configENS1_27scan_by_key_config_selectorIijEEZZNS1_16scan_by_key_implILNS1_25lookback_scan_determinismE0ELb0ES3_N6thrust23THRUST_200600_302600_NS6detail15normal_iteratorINS9_10device_ptrIiEEEENSB_INSC_IjEEEENSB_INSC_IfEEEEjNS9_4plusIvEENS9_8equal_toIvEEjEE10hipError_tPvRmT2_T3_T4_T5_mT6_T7_P12ihipStream_tbENKUlT_T0_E_clISt17integral_constantIbLb1EES12_IbLb0EEEEDaSY_SZ_EUlSY_E_NS1_11comp_targetILNS1_3genE5ELNS1_11target_archE942ELNS1_3gpuE9ELNS1_3repE0EEENS1_30default_config_static_selectorELNS0_4arch9wavefront6targetE1EEEvT1_
; %bb.0:
	.section	.rodata,"a",@progbits
	.p2align	6, 0x0
	.amdhsa_kernel _ZN7rocprim17ROCPRIM_400000_NS6detail17trampoline_kernelINS0_14default_configENS1_27scan_by_key_config_selectorIijEEZZNS1_16scan_by_key_implILNS1_25lookback_scan_determinismE0ELb0ES3_N6thrust23THRUST_200600_302600_NS6detail15normal_iteratorINS9_10device_ptrIiEEEENSB_INSC_IjEEEENSB_INSC_IfEEEEjNS9_4plusIvEENS9_8equal_toIvEEjEE10hipError_tPvRmT2_T3_T4_T5_mT6_T7_P12ihipStream_tbENKUlT_T0_E_clISt17integral_constantIbLb1EES12_IbLb0EEEEDaSY_SZ_EUlSY_E_NS1_11comp_targetILNS1_3genE5ELNS1_11target_archE942ELNS1_3gpuE9ELNS1_3repE0EEENS1_30default_config_static_selectorELNS0_4arch9wavefront6targetE1EEEvT1_
		.amdhsa_group_segment_fixed_size 0
		.amdhsa_private_segment_fixed_size 0
		.amdhsa_kernarg_size 112
		.amdhsa_user_sgpr_count 6
		.amdhsa_user_sgpr_private_segment_buffer 1
		.amdhsa_user_sgpr_dispatch_ptr 0
		.amdhsa_user_sgpr_queue_ptr 0
		.amdhsa_user_sgpr_kernarg_segment_ptr 1
		.amdhsa_user_sgpr_dispatch_id 0
		.amdhsa_user_sgpr_flat_scratch_init 0
		.amdhsa_user_sgpr_kernarg_preload_length 0
		.amdhsa_user_sgpr_kernarg_preload_offset 0
		.amdhsa_user_sgpr_private_segment_size 0
		.amdhsa_uses_dynamic_stack 0
		.amdhsa_system_sgpr_private_segment_wavefront_offset 0
		.amdhsa_system_sgpr_workgroup_id_x 1
		.amdhsa_system_sgpr_workgroup_id_y 0
		.amdhsa_system_sgpr_workgroup_id_z 0
		.amdhsa_system_sgpr_workgroup_info 0
		.amdhsa_system_vgpr_workitem_id 0
		.amdhsa_next_free_vgpr 1
		.amdhsa_next_free_sgpr 0
		.amdhsa_accum_offset 4
		.amdhsa_reserve_vcc 0
		.amdhsa_reserve_flat_scratch 0
		.amdhsa_float_round_mode_32 0
		.amdhsa_float_round_mode_16_64 0
		.amdhsa_float_denorm_mode_32 3
		.amdhsa_float_denorm_mode_16_64 3
		.amdhsa_dx10_clamp 1
		.amdhsa_ieee_mode 1
		.amdhsa_fp16_overflow 0
		.amdhsa_tg_split 0
		.amdhsa_exception_fp_ieee_invalid_op 0
		.amdhsa_exception_fp_denorm_src 0
		.amdhsa_exception_fp_ieee_div_zero 0
		.amdhsa_exception_fp_ieee_overflow 0
		.amdhsa_exception_fp_ieee_underflow 0
		.amdhsa_exception_fp_ieee_inexact 0
		.amdhsa_exception_int_div_zero 0
	.end_amdhsa_kernel
	.section	.text._ZN7rocprim17ROCPRIM_400000_NS6detail17trampoline_kernelINS0_14default_configENS1_27scan_by_key_config_selectorIijEEZZNS1_16scan_by_key_implILNS1_25lookback_scan_determinismE0ELb0ES3_N6thrust23THRUST_200600_302600_NS6detail15normal_iteratorINS9_10device_ptrIiEEEENSB_INSC_IjEEEENSB_INSC_IfEEEEjNS9_4plusIvEENS9_8equal_toIvEEjEE10hipError_tPvRmT2_T3_T4_T5_mT6_T7_P12ihipStream_tbENKUlT_T0_E_clISt17integral_constantIbLb1EES12_IbLb0EEEEDaSY_SZ_EUlSY_E_NS1_11comp_targetILNS1_3genE5ELNS1_11target_archE942ELNS1_3gpuE9ELNS1_3repE0EEENS1_30default_config_static_selectorELNS0_4arch9wavefront6targetE1EEEvT1_,"axG",@progbits,_ZN7rocprim17ROCPRIM_400000_NS6detail17trampoline_kernelINS0_14default_configENS1_27scan_by_key_config_selectorIijEEZZNS1_16scan_by_key_implILNS1_25lookback_scan_determinismE0ELb0ES3_N6thrust23THRUST_200600_302600_NS6detail15normal_iteratorINS9_10device_ptrIiEEEENSB_INSC_IjEEEENSB_INSC_IfEEEEjNS9_4plusIvEENS9_8equal_toIvEEjEE10hipError_tPvRmT2_T3_T4_T5_mT6_T7_P12ihipStream_tbENKUlT_T0_E_clISt17integral_constantIbLb1EES12_IbLb0EEEEDaSY_SZ_EUlSY_E_NS1_11comp_targetILNS1_3genE5ELNS1_11target_archE942ELNS1_3gpuE9ELNS1_3repE0EEENS1_30default_config_static_selectorELNS0_4arch9wavefront6targetE1EEEvT1_,comdat
.Lfunc_end1664:
	.size	_ZN7rocprim17ROCPRIM_400000_NS6detail17trampoline_kernelINS0_14default_configENS1_27scan_by_key_config_selectorIijEEZZNS1_16scan_by_key_implILNS1_25lookback_scan_determinismE0ELb0ES3_N6thrust23THRUST_200600_302600_NS6detail15normal_iteratorINS9_10device_ptrIiEEEENSB_INSC_IjEEEENSB_INSC_IfEEEEjNS9_4plusIvEENS9_8equal_toIvEEjEE10hipError_tPvRmT2_T3_T4_T5_mT6_T7_P12ihipStream_tbENKUlT_T0_E_clISt17integral_constantIbLb1EES12_IbLb0EEEEDaSY_SZ_EUlSY_E_NS1_11comp_targetILNS1_3genE5ELNS1_11target_archE942ELNS1_3gpuE9ELNS1_3repE0EEENS1_30default_config_static_selectorELNS0_4arch9wavefront6targetE1EEEvT1_, .Lfunc_end1664-_ZN7rocprim17ROCPRIM_400000_NS6detail17trampoline_kernelINS0_14default_configENS1_27scan_by_key_config_selectorIijEEZZNS1_16scan_by_key_implILNS1_25lookback_scan_determinismE0ELb0ES3_N6thrust23THRUST_200600_302600_NS6detail15normal_iteratorINS9_10device_ptrIiEEEENSB_INSC_IjEEEENSB_INSC_IfEEEEjNS9_4plusIvEENS9_8equal_toIvEEjEE10hipError_tPvRmT2_T3_T4_T5_mT6_T7_P12ihipStream_tbENKUlT_T0_E_clISt17integral_constantIbLb1EES12_IbLb0EEEEDaSY_SZ_EUlSY_E_NS1_11comp_targetILNS1_3genE5ELNS1_11target_archE942ELNS1_3gpuE9ELNS1_3repE0EEENS1_30default_config_static_selectorELNS0_4arch9wavefront6targetE1EEEvT1_
                                        ; -- End function
	.section	.AMDGPU.csdata,"",@progbits
; Kernel info:
; codeLenInByte = 0
; NumSgprs: 4
; NumVgprs: 0
; NumAgprs: 0
; TotalNumVgprs: 0
; ScratchSize: 0
; MemoryBound: 0
; FloatMode: 240
; IeeeMode: 1
; LDSByteSize: 0 bytes/workgroup (compile time only)
; SGPRBlocks: 0
; VGPRBlocks: 0
; NumSGPRsForWavesPerEU: 4
; NumVGPRsForWavesPerEU: 1
; AccumOffset: 4
; Occupancy: 8
; WaveLimiterHint : 0
; COMPUTE_PGM_RSRC2:SCRATCH_EN: 0
; COMPUTE_PGM_RSRC2:USER_SGPR: 6
; COMPUTE_PGM_RSRC2:TRAP_HANDLER: 0
; COMPUTE_PGM_RSRC2:TGID_X_EN: 1
; COMPUTE_PGM_RSRC2:TGID_Y_EN: 0
; COMPUTE_PGM_RSRC2:TGID_Z_EN: 0
; COMPUTE_PGM_RSRC2:TIDIG_COMP_CNT: 0
; COMPUTE_PGM_RSRC3_GFX90A:ACCUM_OFFSET: 0
; COMPUTE_PGM_RSRC3_GFX90A:TG_SPLIT: 0
	.section	.text._ZN7rocprim17ROCPRIM_400000_NS6detail17trampoline_kernelINS0_14default_configENS1_27scan_by_key_config_selectorIijEEZZNS1_16scan_by_key_implILNS1_25lookback_scan_determinismE0ELb0ES3_N6thrust23THRUST_200600_302600_NS6detail15normal_iteratorINS9_10device_ptrIiEEEENSB_INSC_IjEEEENSB_INSC_IfEEEEjNS9_4plusIvEENS9_8equal_toIvEEjEE10hipError_tPvRmT2_T3_T4_T5_mT6_T7_P12ihipStream_tbENKUlT_T0_E_clISt17integral_constantIbLb1EES12_IbLb0EEEEDaSY_SZ_EUlSY_E_NS1_11comp_targetILNS1_3genE4ELNS1_11target_archE910ELNS1_3gpuE8ELNS1_3repE0EEENS1_30default_config_static_selectorELNS0_4arch9wavefront6targetE1EEEvT1_,"axG",@progbits,_ZN7rocprim17ROCPRIM_400000_NS6detail17trampoline_kernelINS0_14default_configENS1_27scan_by_key_config_selectorIijEEZZNS1_16scan_by_key_implILNS1_25lookback_scan_determinismE0ELb0ES3_N6thrust23THRUST_200600_302600_NS6detail15normal_iteratorINS9_10device_ptrIiEEEENSB_INSC_IjEEEENSB_INSC_IfEEEEjNS9_4plusIvEENS9_8equal_toIvEEjEE10hipError_tPvRmT2_T3_T4_T5_mT6_T7_P12ihipStream_tbENKUlT_T0_E_clISt17integral_constantIbLb1EES12_IbLb0EEEEDaSY_SZ_EUlSY_E_NS1_11comp_targetILNS1_3genE4ELNS1_11target_archE910ELNS1_3gpuE8ELNS1_3repE0EEENS1_30default_config_static_selectorELNS0_4arch9wavefront6targetE1EEEvT1_,comdat
	.protected	_ZN7rocprim17ROCPRIM_400000_NS6detail17trampoline_kernelINS0_14default_configENS1_27scan_by_key_config_selectorIijEEZZNS1_16scan_by_key_implILNS1_25lookback_scan_determinismE0ELb0ES3_N6thrust23THRUST_200600_302600_NS6detail15normal_iteratorINS9_10device_ptrIiEEEENSB_INSC_IjEEEENSB_INSC_IfEEEEjNS9_4plusIvEENS9_8equal_toIvEEjEE10hipError_tPvRmT2_T3_T4_T5_mT6_T7_P12ihipStream_tbENKUlT_T0_E_clISt17integral_constantIbLb1EES12_IbLb0EEEEDaSY_SZ_EUlSY_E_NS1_11comp_targetILNS1_3genE4ELNS1_11target_archE910ELNS1_3gpuE8ELNS1_3repE0EEENS1_30default_config_static_selectorELNS0_4arch9wavefront6targetE1EEEvT1_ ; -- Begin function _ZN7rocprim17ROCPRIM_400000_NS6detail17trampoline_kernelINS0_14default_configENS1_27scan_by_key_config_selectorIijEEZZNS1_16scan_by_key_implILNS1_25lookback_scan_determinismE0ELb0ES3_N6thrust23THRUST_200600_302600_NS6detail15normal_iteratorINS9_10device_ptrIiEEEENSB_INSC_IjEEEENSB_INSC_IfEEEEjNS9_4plusIvEENS9_8equal_toIvEEjEE10hipError_tPvRmT2_T3_T4_T5_mT6_T7_P12ihipStream_tbENKUlT_T0_E_clISt17integral_constantIbLb1EES12_IbLb0EEEEDaSY_SZ_EUlSY_E_NS1_11comp_targetILNS1_3genE4ELNS1_11target_archE910ELNS1_3gpuE8ELNS1_3repE0EEENS1_30default_config_static_selectorELNS0_4arch9wavefront6targetE1EEEvT1_
	.globl	_ZN7rocprim17ROCPRIM_400000_NS6detail17trampoline_kernelINS0_14default_configENS1_27scan_by_key_config_selectorIijEEZZNS1_16scan_by_key_implILNS1_25lookback_scan_determinismE0ELb0ES3_N6thrust23THRUST_200600_302600_NS6detail15normal_iteratorINS9_10device_ptrIiEEEENSB_INSC_IjEEEENSB_INSC_IfEEEEjNS9_4plusIvEENS9_8equal_toIvEEjEE10hipError_tPvRmT2_T3_T4_T5_mT6_T7_P12ihipStream_tbENKUlT_T0_E_clISt17integral_constantIbLb1EES12_IbLb0EEEEDaSY_SZ_EUlSY_E_NS1_11comp_targetILNS1_3genE4ELNS1_11target_archE910ELNS1_3gpuE8ELNS1_3repE0EEENS1_30default_config_static_selectorELNS0_4arch9wavefront6targetE1EEEvT1_
	.p2align	8
	.type	_ZN7rocprim17ROCPRIM_400000_NS6detail17trampoline_kernelINS0_14default_configENS1_27scan_by_key_config_selectorIijEEZZNS1_16scan_by_key_implILNS1_25lookback_scan_determinismE0ELb0ES3_N6thrust23THRUST_200600_302600_NS6detail15normal_iteratorINS9_10device_ptrIiEEEENSB_INSC_IjEEEENSB_INSC_IfEEEEjNS9_4plusIvEENS9_8equal_toIvEEjEE10hipError_tPvRmT2_T3_T4_T5_mT6_T7_P12ihipStream_tbENKUlT_T0_E_clISt17integral_constantIbLb1EES12_IbLb0EEEEDaSY_SZ_EUlSY_E_NS1_11comp_targetILNS1_3genE4ELNS1_11target_archE910ELNS1_3gpuE8ELNS1_3repE0EEENS1_30default_config_static_selectorELNS0_4arch9wavefront6targetE1EEEvT1_,@function
_ZN7rocprim17ROCPRIM_400000_NS6detail17trampoline_kernelINS0_14default_configENS1_27scan_by_key_config_selectorIijEEZZNS1_16scan_by_key_implILNS1_25lookback_scan_determinismE0ELb0ES3_N6thrust23THRUST_200600_302600_NS6detail15normal_iteratorINS9_10device_ptrIiEEEENSB_INSC_IjEEEENSB_INSC_IfEEEEjNS9_4plusIvEENS9_8equal_toIvEEjEE10hipError_tPvRmT2_T3_T4_T5_mT6_T7_P12ihipStream_tbENKUlT_T0_E_clISt17integral_constantIbLb1EES12_IbLb0EEEEDaSY_SZ_EUlSY_E_NS1_11comp_targetILNS1_3genE4ELNS1_11target_archE910ELNS1_3gpuE8ELNS1_3repE0EEENS1_30default_config_static_selectorELNS0_4arch9wavefront6targetE1EEEvT1_: ; @_ZN7rocprim17ROCPRIM_400000_NS6detail17trampoline_kernelINS0_14default_configENS1_27scan_by_key_config_selectorIijEEZZNS1_16scan_by_key_implILNS1_25lookback_scan_determinismE0ELb0ES3_N6thrust23THRUST_200600_302600_NS6detail15normal_iteratorINS9_10device_ptrIiEEEENSB_INSC_IjEEEENSB_INSC_IfEEEEjNS9_4plusIvEENS9_8equal_toIvEEjEE10hipError_tPvRmT2_T3_T4_T5_mT6_T7_P12ihipStream_tbENKUlT_T0_E_clISt17integral_constantIbLb1EES12_IbLb0EEEEDaSY_SZ_EUlSY_E_NS1_11comp_targetILNS1_3genE4ELNS1_11target_archE910ELNS1_3gpuE8ELNS1_3repE0EEENS1_30default_config_static_selectorELNS0_4arch9wavefront6targetE1EEEvT1_
; %bb.0:
	s_load_dwordx8 s[36:43], s[4:5], 0x0
	s_load_dwordx4 s[52:55], s[4:5], 0x28
	s_load_dwordx2 s[56:57], s[4:5], 0x38
	s_load_dword s0, s[4:5], 0x40
	s_load_dwordx8 s[44:51], s[4:5], 0x48
	s_waitcnt lgkmcnt(0)
	s_lshl_b64 s[38:39], s[38:39], 2
	s_add_u32 s2, s36, s38
	s_addc_u32 s3, s37, s39
	s_add_u32 s4, s40, s38
	s_mul_i32 s1, s57, s0
	s_mul_hi_u32 s7, s56, s0
	s_addc_u32 s5, s41, s39
	s_add_i32 s8, s7, s1
	s_mul_i32 s9, s56, s0
	s_cmp_lg_u64 s[48:49], 0
	s_mul_i32 s0, s6, 0xe00
	s_mov_b32 s1, 0
	s_cselect_b64 s[40:41], -1, 0
	s_lshl_b64 s[36:37], s[0:1], 2
	s_add_u32 s34, s2, s36
	s_addc_u32 s35, s3, s37
	s_add_u32 s7, s4, s36
	s_addc_u32 s55, s5, s37
	;; [unrolled: 2-line block ×3, first 2 shown]
	s_add_u32 s2, s44, -1
	s_addc_u32 s3, s45, -1
	v_pk_mov_b32 v[2:3], s[2:3], s[2:3] op_sel:[0,1]
	v_cmp_ge_u64_e64 s[0:1], s[48:49], v[2:3]
	s_mov_b64 s[18:19], 0
	s_mov_b64 s[4:5], -1
	s_and_b64 vcc, exec, s[0:1]
	s_mul_i32 s33, s2, 0xfffff200
	s_barrier
	s_cbranch_vccz .LBB1665_77
; %bb.1:
	v_pk_mov_b32 v[2:3], s[34:35], s[34:35] op_sel:[0,1]
	flat_load_dword v1, v[2:3]
	s_add_i32 s60, s33, s54
	v_cmp_gt_u32_e64 s[2:3], s60, v0
	s_waitcnt vmcnt(0) lgkmcnt(0)
	v_mov_b32_e32 v13, v1
	s_and_saveexec_b64 s[4:5], s[2:3]
	s_cbranch_execz .LBB1665_3
; %bb.2:
	v_lshlrev_b32_e32 v2, 2, v0
	v_mov_b32_e32 v3, s35
	v_add_co_u32_e32 v2, vcc, s34, v2
	v_addc_co_u32_e32 v3, vcc, 0, v3, vcc
	flat_load_dword v13, v[2:3]
.LBB1665_3:
	s_or_b64 exec, exec, s[4:5]
	v_or_b32_e32 v2, 0x100, v0
	v_cmp_gt_u32_e64 s[4:5], s60, v2
	v_mov_b32_e32 v14, v1
	s_and_saveexec_b64 s[8:9], s[4:5]
	s_cbranch_execz .LBB1665_5
; %bb.4:
	v_lshlrev_b32_e32 v2, 2, v0
	v_mov_b32_e32 v3, s35
	v_add_co_u32_e32 v2, vcc, s34, v2
	v_addc_co_u32_e32 v3, vcc, 0, v3, vcc
	flat_load_dword v14, v[2:3] offset:1024
.LBB1665_5:
	s_or_b64 exec, exec, s[8:9]
	v_or_b32_e32 v2, 0x200, v0
	v_cmp_gt_u32_e64 s[30:31], s60, v2
	v_mov_b32_e32 v15, v1
	s_and_saveexec_b64 s[8:9], s[30:31]
	s_cbranch_execz .LBB1665_7
; %bb.6:
	v_lshlrev_b32_e32 v2, 2, v0
	v_mov_b32_e32 v3, s35
	v_add_co_u32_e32 v2, vcc, s34, v2
	v_addc_co_u32_e32 v3, vcc, 0, v3, vcc
	flat_load_dword v15, v[2:3] offset:2048
.LBB1665_7:
	;; [unrolled: 13-line block ×3, first 2 shown]
	s_or_b64 exec, exec, s[10:11]
	v_or_b32_e32 v2, 0x400, v0
	v_cmp_gt_u32_e64 s[10:11], s60, v2
	v_mov_b32_e32 v17, v1
	s_and_saveexec_b64 s[12:13], s[10:11]
	s_cbranch_execz .LBB1665_11
; %bb.10:
	v_lshlrev_b32_e32 v3, 2, v2
	v_mov_b32_e32 v5, s35
	v_add_co_u32_e32 v4, vcc, s34, v3
	v_addc_co_u32_e32 v5, vcc, 0, v5, vcc
	flat_load_dword v17, v[4:5]
.LBB1665_11:
	s_or_b64 exec, exec, s[12:13]
	v_or_b32_e32 v3, 0x500, v0
	v_cmp_gt_u32_e64 s[12:13], s60, v3
	v_mov_b32_e32 v18, v1
	s_and_saveexec_b64 s[14:15], s[12:13]
	s_cbranch_execz .LBB1665_13
; %bb.12:
	v_lshlrev_b32_e32 v4, 2, v3
	v_mov_b32_e32 v5, s35
	v_add_co_u32_e32 v4, vcc, s34, v4
	v_addc_co_u32_e32 v5, vcc, 0, v5, vcc
	flat_load_dword v18, v[4:5]
.LBB1665_13:
	;; [unrolled: 13-line block ×9, first 2 shown]
	s_or_b64 exec, exec, s[28:29]
	v_or_b32_e32 v11, 0xd00, v0
	v_cmp_gt_u32_e64 s[28:29], s60, v11
	s_and_saveexec_b64 s[44:45], s[28:29]
	s_cbranch_execz .LBB1665_29
; %bb.28:
	v_lshlrev_b32_e32 v1, 2, v11
	v_mov_b32_e32 v12, s35
	v_add_co_u32_e32 v26, vcc, s34, v1
	v_addc_co_u32_e32 v27, vcc, 0, v12, vcc
	flat_load_dword v1, v[26:27]
.LBB1665_29:
	s_or_b64 exec, exec, s[44:45]
	v_lshlrev_b32_e32 v12, 2, v0
	s_waitcnt vmcnt(0) lgkmcnt(0)
	ds_write2st64_b32 v12, v13, v14 offset1:4
	ds_write2st64_b32 v12, v15, v16 offset0:8 offset1:12
	ds_write2st64_b32 v12, v17, v18 offset0:16 offset1:20
	;; [unrolled: 1-line block ×6, first 2 shown]
	v_mad_u32_u24 v1, v0, 52, v12
	s_waitcnt lgkmcnt(0)
	s_barrier
	ds_read2_b64 v[34:37], v1 offset1:1
	ds_read2_b64 v[30:33], v1 offset0:2 offset1:3
	ds_read2_b64 v[26:29], v1 offset0:4 offset1:5
	ds_read_b64 v[40:41], v1 offset:48
	s_cmp_eq_u64 s[48:49], 0
	s_mov_b64 s[44:45], s[34:35]
	s_cbranch_scc1 .LBB1665_33
; %bb.30:
	s_andn2_b64 vcc, exec, s[40:41]
	s_cbranch_vccnz .LBB1665_183
; %bb.31:
	s_lshl_b64 s[44:45], s[48:49], 2
	s_add_u32 s44, s50, s44
	s_addc_u32 s45, s51, s45
	s_add_u32 s44, s44, -4
	s_addc_u32 s45, s45, -1
	s_cbranch_execnz .LBB1665_33
.LBB1665_32:
	s_add_u32 s44, s34, -4
	s_addc_u32 s45, s35, -1
.LBB1665_33:
	v_pk_mov_b32 v[14:15], s[44:45], s[44:45] op_sel:[0,1]
	flat_load_dword v44, v[14:15]
	s_movk_i32 s44, 0xffcc
	v_mad_i32_i24 v13, v0, s44, v1
	v_cmp_ne_u32_e32 vcc, 0, v0
	s_waitcnt lgkmcnt(0)
	ds_write_b32 v13, v41 offset:14336
	s_waitcnt lgkmcnt(0)
	s_barrier
	s_and_saveexec_b64 s[44:45], vcc
	s_cbranch_execz .LBB1665_35
; %bb.34:
	v_mul_i32_i24_e32 v13, 0xffffffcc, v0
	v_add_u32_e32 v13, v1, v13
	s_waitcnt vmcnt(0)
	ds_read_b32 v44, v13 offset:14332
.LBB1665_35:
	s_or_b64 exec, exec, s[44:45]
	s_waitcnt lgkmcnt(0)
	s_barrier
	s_waitcnt lgkmcnt(0)
                                        ; implicit-def: $vgpr13
	s_and_saveexec_b64 s[44:45], s[2:3]
	s_cbranch_execnz .LBB1665_170
; %bb.36:
	s_or_b64 exec, exec, s[44:45]
                                        ; implicit-def: $vgpr14
	s_and_saveexec_b64 s[2:3], s[4:5]
	s_cbranch_execnz .LBB1665_171
.LBB1665_37:
	s_or_b64 exec, exec, s[2:3]
                                        ; implicit-def: $vgpr15
	s_and_saveexec_b64 s[2:3], s[30:31]
	s_cbranch_execnz .LBB1665_172
.LBB1665_38:
	s_or_b64 exec, exec, s[2:3]
                                        ; implicit-def: $vgpr16
	s_and_saveexec_b64 s[2:3], s[8:9]
	s_cbranch_execnz .LBB1665_173
.LBB1665_39:
	s_or_b64 exec, exec, s[2:3]
                                        ; implicit-def: $vgpr17
	s_and_saveexec_b64 s[2:3], s[10:11]
	s_cbranch_execnz .LBB1665_174
.LBB1665_40:
	s_or_b64 exec, exec, s[2:3]
                                        ; implicit-def: $vgpr2
	s_and_saveexec_b64 s[2:3], s[12:13]
	s_cbranch_execnz .LBB1665_175
.LBB1665_41:
	s_or_b64 exec, exec, s[2:3]
                                        ; implicit-def: $vgpr3
	s_and_saveexec_b64 s[2:3], s[14:15]
	s_cbranch_execnz .LBB1665_176
.LBB1665_42:
	s_or_b64 exec, exec, s[2:3]
                                        ; implicit-def: $vgpr4
	s_and_saveexec_b64 s[2:3], s[16:17]
	s_cbranch_execnz .LBB1665_177
.LBB1665_43:
	s_or_b64 exec, exec, s[2:3]
                                        ; implicit-def: $vgpr5
	s_and_saveexec_b64 s[2:3], s[18:19]
	s_cbranch_execnz .LBB1665_178
.LBB1665_44:
	s_or_b64 exec, exec, s[2:3]
                                        ; implicit-def: $vgpr6
	s_and_saveexec_b64 s[2:3], s[20:21]
	s_cbranch_execnz .LBB1665_179
.LBB1665_45:
	s_or_b64 exec, exec, s[2:3]
                                        ; implicit-def: $vgpr7
	s_and_saveexec_b64 s[2:3], s[22:23]
	s_cbranch_execnz .LBB1665_180
.LBB1665_46:
	s_or_b64 exec, exec, s[2:3]
                                        ; implicit-def: $vgpr8
	s_and_saveexec_b64 s[2:3], s[24:25]
	s_cbranch_execnz .LBB1665_181
.LBB1665_47:
	s_or_b64 exec, exec, s[2:3]
                                        ; implicit-def: $vgpr9
	s_and_saveexec_b64 s[2:3], s[26:27]
	s_cbranch_execnz .LBB1665_182
.LBB1665_48:
	s_or_b64 exec, exec, s[2:3]
                                        ; implicit-def: $vgpr10
	s_and_saveexec_b64 s[2:3], s[28:29]
	s_cbranch_execz .LBB1665_50
.LBB1665_49:
	v_lshlrev_b32_e32 v10, 2, v11
	v_mov_b32_e32 v11, s55
	v_add_co_u32_e32 v10, vcc, s7, v10
	v_addc_co_u32_e32 v11, vcc, 0, v11, vcc
	flat_load_dword v10, v[10:11]
.LBB1665_50:
	s_or_b64 exec, exec, s[2:3]
	s_mov_b32 s8, 0
	s_mov_b32 s9, s8
	s_waitcnt vmcnt(0) lgkmcnt(0)
	ds_write2st64_b32 v12, v13, v14 offset1:4
	ds_write2st64_b32 v12, v15, v16 offset0:8 offset1:12
	ds_write2st64_b32 v12, v17, v2 offset0:16 offset1:20
	;; [unrolled: 1-line block ×6, first 2 shown]
	s_mov_b32 s10, s8
	s_mov_b32 s11, s8
	;; [unrolled: 1-line block ×6, first 2 shown]
	v_pk_mov_b32 v[2:3], s[8:9], s[8:9] op_sel:[0,1]
	v_pk_mov_b32 v[8:9], s[14:15], s[14:15] op_sel:[0,1]
	v_mul_u32_u24_e32 v42, 14, v0
	v_pk_mov_b32 v[4:5], s[10:11], s[10:11] op_sel:[0,1]
	v_pk_mov_b32 v[6:7], s[12:13], s[12:13] op_sel:[0,1]
	;; [unrolled: 1-line block ×4, first 2 shown]
	v_cmp_gt_u32_e32 vcc, s60, v42
	s_mov_b64 s[4:5], 0
	v_pk_mov_b32 v[38:39], 0, 0
	s_mov_b64 s[18:19], 0
	v_pk_mov_b32 v[14:15], v[6:7], v[6:7] op_sel:[0,1]
	v_pk_mov_b32 v[12:13], v[4:5], v[4:5] op_sel:[0,1]
	;; [unrolled: 1-line block ×6, first 2 shown]
	s_waitcnt lgkmcnt(0)
	s_barrier
	s_waitcnt lgkmcnt(0)
                                        ; implicit-def: $sgpr2_sgpr3
                                        ; implicit-def: $vgpr43
	s_and_saveexec_b64 s[16:17], vcc
	s_cbranch_execz .LBB1665_76
; %bb.51:
	v_or_b32_e32 v2, 1, v42
	ds_read_b32 v38, v1
	v_cmp_ne_u32_e32 vcc, v44, v34
	v_cndmask_b32_e64 v39, 0, 1, vcc
	v_cmp_gt_u32_e32 vcc, s60, v2
	v_pk_mov_b32 v[2:3], s[8:9], s[8:9] op_sel:[0,1]
	v_pk_mov_b32 v[8:9], s[14:15], s[14:15] op_sel:[0,1]
	;; [unrolled: 1-line block ×6, first 2 shown]
	s_mov_b64 s[20:21], 0
	v_pk_mov_b32 v[14:15], v[6:7], v[6:7] op_sel:[0,1]
	v_pk_mov_b32 v[12:13], v[4:5], v[4:5] op_sel:[0,1]
	v_pk_mov_b32 v[10:11], v[2:3], v[2:3] op_sel:[0,1]
	v_pk_mov_b32 v[22:23], v[6:7], v[6:7] op_sel:[0,1]
	v_pk_mov_b32 v[20:21], v[4:5], v[4:5] op_sel:[0,1]
	v_pk_mov_b32 v[18:19], v[2:3], v[2:3] op_sel:[0,1]
                                        ; implicit-def: $sgpr8_sgpr9
                                        ; implicit-def: $vgpr43
	s_and_saveexec_b64 s[18:19], vcc
	s_cbranch_execz .LBB1665_75
; %bb.52:
	ds_read2_b32 v[44:45], v1 offset0:1 offset1:2
	s_mov_b32 s8, 0
	s_mov_b32 s14, s8
	;; [unrolled: 1-line block ×8, first 2 shown]
	v_pk_mov_b32 v[16:17], s[14:15], s[14:15] op_sel:[0,1]
	v_add_u32_e32 v2, 2, v42
	v_cmp_ne_u32_e32 vcc, v34, v35
	v_mov_b32_e32 v6, 0
	v_pk_mov_b32 v[14:15], s[12:13], s[12:13] op_sel:[0,1]
	v_pk_mov_b32 v[12:13], s[10:11], s[10:11] op_sel:[0,1]
	;; [unrolled: 1-line block ×4, first 2 shown]
	v_cndmask_b32_e64 v3, 0, 1, vcc
	v_cmp_gt_u32_e32 vcc, s60, v2
	s_waitcnt lgkmcnt(0)
	v_mov_b32_e32 v2, v44
	v_mov_b32_e32 v4, v6
	;; [unrolled: 1-line block ×6, first 2 shown]
	s_mov_b64 s[2:3], 0
	v_pk_mov_b32 v[22:23], v[14:15], v[14:15] op_sel:[0,1]
	v_pk_mov_b32 v[20:21], v[12:13], v[12:13] op_sel:[0,1]
	v_pk_mov_b32 v[18:19], v[10:11], v[10:11] op_sel:[0,1]
                                        ; implicit-def: $sgpr22_sgpr23
                                        ; implicit-def: $vgpr43
	s_and_saveexec_b64 s[20:21], vcc
	s_cbranch_execz .LBB1665_74
; %bb.53:
	v_pk_mov_b32 v[16:17], s[14:15], s[14:15] op_sel:[0,1]
	v_add_u32_e32 v2, 3, v42
	v_cmp_ne_u32_e32 vcc, v35, v36
	v_pk_mov_b32 v[14:15], s[12:13], s[12:13] op_sel:[0,1]
	v_pk_mov_b32 v[12:13], s[10:11], s[10:11] op_sel:[0,1]
	;; [unrolled: 1-line block ×4, first 2 shown]
	v_cndmask_b32_e64 v5, 0, 1, vcc
	v_cmp_gt_u32_e32 vcc, s60, v2
	v_mov_b32_e32 v2, v44
	v_mov_b32_e32 v4, v45
	;; [unrolled: 1-line block ×5, first 2 shown]
	v_pk_mov_b32 v[22:23], v[14:15], v[14:15] op_sel:[0,1]
	v_pk_mov_b32 v[20:21], v[12:13], v[12:13] op_sel:[0,1]
	;; [unrolled: 1-line block ×3, first 2 shown]
                                        ; implicit-def: $sgpr8_sgpr9
                                        ; implicit-def: $vgpr43
	s_and_saveexec_b64 s[22:23], vcc
	s_cbranch_execz .LBB1665_73
; %bb.54:
	ds_read2_b32 v[34:35], v1 offset0:3 offset1:4
	s_mov_b32 s8, 0
	s_mov_b32 s14, s8
	;; [unrolled: 1-line block ×8, first 2 shown]
	v_pk_mov_b32 v[16:17], s[14:15], s[14:15] op_sel:[0,1]
	v_add_u32_e32 v6, 4, v42
	v_cmp_ne_u32_e32 vcc, v36, v37
	v_pk_mov_b32 v[14:15], s[12:13], s[12:13] op_sel:[0,1]
	v_pk_mov_b32 v[12:13], s[10:11], s[10:11] op_sel:[0,1]
	;; [unrolled: 1-line block ×4, first 2 shown]
	v_cndmask_b32_e64 v7, 0, 1, vcc
	v_cmp_gt_u32_e32 vcc, s60, v6
	s_waitcnt lgkmcnt(0)
	v_mov_b32_e32 v6, v34
	v_mov_b32_e32 v8, s8
	v_mov_b32_e32 v9, s8
	v_pk_mov_b32 v[22:23], v[14:15], v[14:15] op_sel:[0,1]
	v_pk_mov_b32 v[20:21], v[12:13], v[12:13] op_sel:[0,1]
	;; [unrolled: 1-line block ×3, first 2 shown]
                                        ; implicit-def: $sgpr26_sgpr27
                                        ; implicit-def: $vgpr43
	s_and_saveexec_b64 s[24:25], vcc
	s_cbranch_execz .LBB1665_72
; %bb.55:
	v_pk_mov_b32 v[16:17], s[14:15], s[14:15] op_sel:[0,1]
	v_add_u32_e32 v8, 5, v42
	v_cmp_ne_u32_e32 vcc, v37, v30
	v_pk_mov_b32 v[14:15], s[12:13], s[12:13] op_sel:[0,1]
	v_pk_mov_b32 v[12:13], s[10:11], s[10:11] op_sel:[0,1]
	;; [unrolled: 1-line block ×4, first 2 shown]
	v_cndmask_b32_e64 v9, 0, 1, vcc
	v_cmp_gt_u32_e32 vcc, s60, v8
	v_mov_b32_e32 v8, v35
	v_pk_mov_b32 v[22:23], v[14:15], v[14:15] op_sel:[0,1]
	v_pk_mov_b32 v[20:21], v[12:13], v[12:13] op_sel:[0,1]
	;; [unrolled: 1-line block ×3, first 2 shown]
                                        ; implicit-def: $sgpr8_sgpr9
                                        ; implicit-def: $vgpr43
	s_and_saveexec_b64 s[26:27], vcc
	s_cbranch_execz .LBB1665_71
; %bb.56:
	ds_read2_b32 v[34:35], v1 offset0:5 offset1:6
	s_mov_b32 s8, 0
	s_mov_b32 s14, s8
	;; [unrolled: 1-line block ×3, first 2 shown]
	v_add_u32_e32 v10, 6, v42
	v_cmp_ne_u32_e32 vcc, v30, v31
	v_mov_b32_e32 v14, 0
	s_mov_b32 s9, s8
	s_mov_b32 s10, s8
	;; [unrolled: 1-line block ×5, first 2 shown]
	v_pk_mov_b32 v[24:25], s[14:15], s[14:15] op_sel:[0,1]
	v_cndmask_b32_e64 v11, 0, 1, vcc
	v_cmp_gt_u32_e32 vcc, s60, v10
	s_waitcnt lgkmcnt(0)
	v_mov_b32_e32 v10, v34
	v_mov_b32_e32 v12, v14
	;; [unrolled: 1-line block ×6, first 2 shown]
	v_pk_mov_b32 v[22:23], s[12:13], s[12:13] op_sel:[0,1]
	v_pk_mov_b32 v[20:21], s[10:11], s[10:11] op_sel:[0,1]
	;; [unrolled: 1-line block ×3, first 2 shown]
                                        ; implicit-def: $sgpr30_sgpr31
                                        ; implicit-def: $vgpr43
	s_and_saveexec_b64 s[28:29], vcc
	s_cbranch_execz .LBB1665_70
; %bb.57:
	v_add_u32_e32 v10, 7, v42
	v_cmp_ne_u32_e32 vcc, v31, v32
	v_pk_mov_b32 v[24:25], s[14:15], s[14:15] op_sel:[0,1]
	v_cndmask_b32_e64 v13, 0, 1, vcc
	v_cmp_gt_u32_e32 vcc, s60, v10
	v_mov_b32_e32 v10, v34
	v_mov_b32_e32 v12, v35
	;; [unrolled: 1-line block ×5, first 2 shown]
	v_pk_mov_b32 v[22:23], s[12:13], s[12:13] op_sel:[0,1]
	v_pk_mov_b32 v[20:21], s[10:11], s[10:11] op_sel:[0,1]
	;; [unrolled: 1-line block ×3, first 2 shown]
                                        ; implicit-def: $sgpr8_sgpr9
                                        ; implicit-def: $vgpr43
	s_and_saveexec_b64 s[30:31], vcc
	s_cbranch_execz .LBB1665_69
; %bb.58:
	ds_read2_b32 v[30:31], v1 offset0:7 offset1:8
	s_mov_b32 s8, 0
	s_mov_b32 s14, s8
	;; [unrolled: 1-line block ×3, first 2 shown]
	v_add_u32_e32 v14, 8, v42
	v_cmp_ne_u32_e32 vcc, v32, v33
	s_mov_b32 s9, s8
	s_mov_b32 s10, s8
	;; [unrolled: 1-line block ×5, first 2 shown]
	v_pk_mov_b32 v[24:25], s[14:15], s[14:15] op_sel:[0,1]
	v_cndmask_b32_e64 v15, 0, 1, vcc
	v_cmp_gt_u32_e32 vcc, s60, v14
	s_waitcnt lgkmcnt(0)
	v_mov_b32_e32 v14, v30
	v_mov_b32_e32 v16, s8
	;; [unrolled: 1-line block ×3, first 2 shown]
	v_pk_mov_b32 v[22:23], s[12:13], s[12:13] op_sel:[0,1]
	v_pk_mov_b32 v[20:21], s[10:11], s[10:11] op_sel:[0,1]
	;; [unrolled: 1-line block ×3, first 2 shown]
                                        ; implicit-def: $sgpr58_sgpr59
                                        ; implicit-def: $vgpr43
	s_and_saveexec_b64 s[44:45], vcc
	s_cbranch_execz .LBB1665_68
; %bb.59:
	v_add_u32_e32 v16, 9, v42
	v_cmp_ne_u32_e32 vcc, v33, v26
	v_pk_mov_b32 v[24:25], s[14:15], s[14:15] op_sel:[0,1]
	v_cndmask_b32_e64 v17, 0, 1, vcc
	v_cmp_gt_u32_e32 vcc, s60, v16
	v_mov_b32_e32 v16, v31
	v_pk_mov_b32 v[22:23], s[12:13], s[12:13] op_sel:[0,1]
	v_pk_mov_b32 v[20:21], s[10:11], s[10:11] op_sel:[0,1]
	;; [unrolled: 1-line block ×3, first 2 shown]
                                        ; implicit-def: $sgpr10_sgpr11
                                        ; implicit-def: $vgpr43
	s_and_saveexec_b64 s[8:9], vcc
	s_cbranch_execz .LBB1665_67
; %bb.60:
	ds_read2_b32 v[30:31], v1 offset0:9 offset1:10
	v_add_u32_e32 v18, 10, v42
	v_cmp_ne_u32_e32 vcc, v26, v27
	v_mov_b32_e32 v22, 0
	v_cndmask_b32_e64 v19, 0, 1, vcc
	v_cmp_gt_u32_e32 vcc, s60, v18
	s_waitcnt lgkmcnt(0)
	v_mov_b32_e32 v18, v30
	v_mov_b32_e32 v20, v22
	;; [unrolled: 1-line block ×6, first 2 shown]
                                        ; implicit-def: $sgpr12_sgpr13
                                        ; implicit-def: $vgpr43
	s_and_saveexec_b64 s[10:11], vcc
	s_cbranch_execz .LBB1665_66
; %bb.61:
	v_add_u32_e32 v18, 11, v42
	v_cmp_ne_u32_e32 vcc, v27, v28
	v_cndmask_b32_e64 v21, 0, 1, vcc
	v_cmp_gt_u32_e32 vcc, s60, v18
	s_mov_b32 s58, 0
	v_mov_b32_e32 v18, v30
	v_mov_b32_e32 v20, v31
	;; [unrolled: 1-line block ×5, first 2 shown]
                                        ; implicit-def: $sgpr14_sgpr15
                                        ; implicit-def: $vgpr43
	s_and_saveexec_b64 s[12:13], vcc
	s_cbranch_execz .LBB1665_65
; %bb.62:
	ds_read2_b32 v[26:27], v1 offset0:11 offset1:12
	v_add_u32_e32 v22, 12, v42
	v_cmp_ne_u32_e32 vcc, v28, v29
	v_cndmask_b32_e64 v23, 0, 1, vcc
	v_cmp_gt_u32_e32 vcc, s60, v22
	s_waitcnt lgkmcnt(0)
	v_mov_b32_e32 v22, v26
	v_mov_b32_e32 v24, s58
	;; [unrolled: 1-line block ×3, first 2 shown]
                                        ; implicit-def: $sgpr14_sgpr15
                                        ; implicit-def: $vgpr43
	s_and_saveexec_b64 s[58:59], vcc
	s_xor_b64 s[58:59], exec, s[58:59]
	s_cbranch_execz .LBB1665_64
; %bb.63:
	ds_read_b32 v43, v1 offset:52
	v_add_u32_e32 v1, 13, v42
	v_cmp_ne_u32_e64 s[2:3], v29, v40
	v_cmp_ne_u32_e32 vcc, v40, v41
	v_cndmask_b32_e64 v25, 0, 1, s[2:3]
	v_cmp_gt_u32_e64 s[2:3], s60, v1
	v_mov_b32_e32 v24, v27
	s_and_b64 s[14:15], vcc, exec
	s_and_b64 s[2:3], s[2:3], exec
.LBB1665_64:
	s_or_b64 exec, exec, s[58:59]
	s_and_b64 s[14:15], s[14:15], exec
	s_and_b64 s[2:3], s[2:3], exec
.LBB1665_65:
	s_or_b64 exec, exec, s[12:13]
	s_and_b64 s[12:13], s[14:15], exec
	s_and_b64 s[2:3], s[2:3], exec
.LBB1665_66:
	s_or_b64 exec, exec, s[10:11]
	s_and_b64 s[10:11], s[12:13], exec
	s_and_b64 s[2:3], s[2:3], exec
.LBB1665_67:
	s_or_b64 exec, exec, s[8:9]
	s_and_b64 s[58:59], s[10:11], exec
	s_and_b64 s[2:3], s[2:3], exec
.LBB1665_68:
	s_or_b64 exec, exec, s[44:45]
	s_and_b64 s[8:9], s[58:59], exec
	s_and_b64 s[2:3], s[2:3], exec
.LBB1665_69:
	s_or_b64 exec, exec, s[30:31]
	s_and_b64 s[30:31], s[8:9], exec
	s_and_b64 s[2:3], s[2:3], exec
.LBB1665_70:
	s_or_b64 exec, exec, s[28:29]
	s_and_b64 s[8:9], s[30:31], exec
	s_and_b64 s[2:3], s[2:3], exec
.LBB1665_71:
	s_or_b64 exec, exec, s[26:27]
	s_and_b64 s[26:27], s[8:9], exec
	s_and_b64 s[2:3], s[2:3], exec
.LBB1665_72:
	s_or_b64 exec, exec, s[24:25]
	s_and_b64 s[8:9], s[26:27], exec
	s_and_b64 s[2:3], s[2:3], exec
.LBB1665_73:
	s_or_b64 exec, exec, s[22:23]
	s_and_b64 s[22:23], s[8:9], exec
	s_and_b64 s[2:3], s[2:3], exec
.LBB1665_74:
	s_or_b64 exec, exec, s[20:21]
	s_and_b64 s[8:9], s[22:23], exec
	s_and_b64 s[20:21], s[2:3], exec
.LBB1665_75:
	s_or_b64 exec, exec, s[18:19]
	s_and_b64 s[2:3], s[8:9], exec
	s_and_b64 s[18:19], s[20:21], exec
.LBB1665_76:
	s_or_b64 exec, exec, s[16:17]
	s_and_b64 vcc, exec, s[4:5]
	v_lshlrev_b32_e32 v50, 2, v0
	s_cbranch_vccnz .LBB1665_78
	s_branch .LBB1665_86
.LBB1665_77:
                                        ; implicit-def: $sgpr2_sgpr3
                                        ; implicit-def: $vgpr2_vgpr3_vgpr4_vgpr5_vgpr6_vgpr7_vgpr8_vgpr9
                                        ; implicit-def: $vgpr10_vgpr11_vgpr12_vgpr13_vgpr14_vgpr15_vgpr16_vgpr17
                                        ; implicit-def: $vgpr18_vgpr19_vgpr20_vgpr21_vgpr22_vgpr23_vgpr24_vgpr25
                                        ; implicit-def: $vgpr43
                                        ; implicit-def: $vgpr38_vgpr39
	s_and_b64 vcc, exec, s[4:5]
	v_lshlrev_b32_e32 v50, 2, v0
	s_cbranch_vccz .LBB1665_86
.LBB1665_78:
	v_mov_b32_e32 v1, s35
	v_add_co_u32_e32 v2, vcc, s34, v50
	v_addc_co_u32_e32 v3, vcc, 0, v1, vcc
	v_add_co_u32_e32 v4, vcc, 0x1000, v2
	v_addc_co_u32_e32 v5, vcc, 0, v3, vcc
	flat_load_dword v6, v[2:3]
	flat_load_dword v7, v[2:3] offset:1024
	flat_load_dword v8, v[2:3] offset:2048
	;; [unrolled: 1-line block ×3, first 2 shown]
	flat_load_dword v10, v[4:5]
	flat_load_dword v11, v[4:5] offset:1024
	flat_load_dword v12, v[4:5] offset:2048
	;; [unrolled: 1-line block ×3, first 2 shown]
	v_add_co_u32_e32 v4, vcc, 0x2000, v2
	v_addc_co_u32_e32 v5, vcc, 0, v3, vcc
	v_add_co_u32_e32 v2, vcc, 0x3000, v2
	v_addc_co_u32_e32 v3, vcc, 0, v3, vcc
	flat_load_dword v14, v[4:5]
	flat_load_dword v15, v[4:5] offset:1024
	flat_load_dword v16, v[4:5] offset:2048
	;; [unrolled: 1-line block ×3, first 2 shown]
	flat_load_dword v18, v[2:3]
	flat_load_dword v19, v[2:3] offset:1024
	v_mad_u32_u24 v1, v0, 52, v50
	s_cmp_eq_u64 s[48:49], 0
	s_waitcnt vmcnt(0) lgkmcnt(0)
	ds_write2st64_b32 v50, v6, v7 offset1:4
	ds_write2st64_b32 v50, v8, v9 offset0:8 offset1:12
	ds_write2st64_b32 v50, v10, v11 offset0:16 offset1:20
	;; [unrolled: 1-line block ×6, first 2 shown]
	s_waitcnt lgkmcnt(0)
	s_barrier
	ds_read2_b64 v[2:5], v1 offset1:1
	ds_read2_b64 v[10:13], v1 offset0:2 offset1:3
	ds_read2_b64 v[18:21], v1 offset0:4 offset1:5
	ds_read_b64 v[6:7], v1 offset:48
	s_cbranch_scc1 .LBB1665_83
; %bb.79:
	s_andn2_b64 vcc, exec, s[40:41]
	s_cbranch_vccnz .LBB1665_184
; %bb.80:
	s_lshl_b64 s[2:3], s[48:49], 2
	s_add_u32 s2, s50, s2
	s_addc_u32 s3, s51, s3
	s_add_u32 s2, s2, -4
	s_addc_u32 s3, s3, -1
	s_cbranch_execnz .LBB1665_82
.LBB1665_81:
	s_add_u32 s2, s34, -4
	s_addc_u32 s3, s35, -1
.LBB1665_82:
	s_mov_b64 s[34:35], s[2:3]
.LBB1665_83:
	v_pk_mov_b32 v[8:9], s[34:35], s[34:35] op_sel:[0,1]
	flat_load_dword v8, v[8:9]
	s_movk_i32 s2, 0xffcc
	v_mad_i32_i24 v9, v0, s2, v1
	v_cmp_ne_u32_e32 vcc, 0, v0
	s_waitcnt lgkmcnt(0)
	ds_write_b32 v9, v7 offset:14336
	s_waitcnt lgkmcnt(0)
	s_barrier
	s_and_saveexec_b64 s[2:3], vcc
	s_cbranch_execz .LBB1665_85
; %bb.84:
	s_waitcnt vmcnt(0)
	v_mul_i32_i24_e32 v8, 0xffffffcc, v0
	v_add_u32_e32 v8, v1, v8
	ds_read_b32 v8, v8 offset:14332
.LBB1665_85:
	s_or_b64 exec, exec, s[2:3]
	v_mov_b32_e32 v9, s55
	v_add_co_u32_e32 v14, vcc, s7, v50
	v_addc_co_u32_e32 v15, vcc, 0, v9, vcc
	s_movk_i32 s2, 0x1000
	v_add_co_u32_e32 v16, vcc, s2, v14
	v_addc_co_u32_e32 v17, vcc, 0, v15, vcc
	s_movk_i32 s2, 0x2000
	s_waitcnt lgkmcnt(0)
	s_barrier
	flat_load_dword v22, v[14:15]
	flat_load_dword v24, v[14:15] offset:1024
	flat_load_dword v26, v[14:15] offset:2048
	;; [unrolled: 1-line block ×3, first 2 shown]
	flat_load_dword v28, v[16:17]
	flat_load_dword v29, v[16:17] offset:1024
	flat_load_dword v30, v[16:17] offset:2048
	;; [unrolled: 1-line block ×3, first 2 shown]
	v_add_co_u32_e32 v16, vcc, s2, v14
	v_addc_co_u32_e32 v17, vcc, 0, v15, vcc
	s_movk_i32 s2, 0x3000
	v_add_co_u32_e32 v14, vcc, s2, v14
	v_addc_co_u32_e32 v15, vcc, 0, v15, vcc
	flat_load_dword v32, v[16:17]
	flat_load_dword v33, v[16:17] offset:1024
	flat_load_dword v34, v[16:17] offset:2048
	flat_load_dword v35, v[16:17] offset:3072
	flat_load_dword v36, v[14:15]
	flat_load_dword v37, v[14:15] offset:1024
	s_waitcnt vmcnt(0)
	v_cmp_ne_u32_e32 vcc, v8, v2
	v_cndmask_b32_e64 v39, 0, 1, vcc
	v_cmp_ne_u32_e32 vcc, v5, v10
	v_cndmask_b32_e64 v9, 0, 1, vcc
	v_cmp_ne_u32_e32 vcc, v4, v5
	v_cmp_ne_u32_e64 s[2:3], v6, v7
	v_cndmask_b32_e64 v7, 0, 1, vcc
	v_cmp_ne_u32_e32 vcc, v3, v4
	v_cndmask_b32_e64 v5, 0, 1, vcc
	v_cmp_ne_u32_e32 vcc, v2, v3
	;; [unrolled: 2-line block ×10, first 2 shown]
	v_cndmask_b32_e64 v19, 0, 1, vcc
	s_mov_b64 s[18:19], -1
                                        ; implicit-def: $sgpr4_sgpr5
	s_waitcnt lgkmcnt(0)
	ds_write2st64_b32 v50, v22, v24 offset1:4
	ds_write2st64_b32 v50, v26, v27 offset0:8 offset1:12
	ds_write2st64_b32 v50, v28, v29 offset0:16 offset1:20
	;; [unrolled: 1-line block ×6, first 2 shown]
	s_waitcnt lgkmcnt(0)
	s_barrier
	ds_read2_b32 v[42:43], v1 offset1:13
	ds_read2_b32 v[26:27], v1 offset0:7 offset1:8
	ds_read2_b32 v[28:29], v1 offset0:5 offset1:6
	;; [unrolled: 1-line block ×6, first 2 shown]
	s_waitcnt lgkmcnt(6)
	v_mov_b32_e32 v38, v42
	s_waitcnt lgkmcnt(4)
	v_mov_b32_e32 v10, v28
	;; [unrolled: 2-line block ×4, first 2 shown]
	v_mov_b32_e32 v4, v33
	v_mov_b32_e32 v8, v31
	;; [unrolled: 1-line block ×5, first 2 shown]
	s_waitcnt lgkmcnt(0)
	v_mov_b32_e32 v18, v36
	v_mov_b32_e32 v20, v37
	;; [unrolled: 1-line block ×4, first 2 shown]
.LBB1665_86:
	v_pk_mov_b32 v[40:41], s[4:5], s[4:5] op_sel:[0,1]
	s_and_saveexec_b64 s[4:5], s[18:19]
	s_cbranch_execz .LBB1665_88
; %bb.87:
	v_cndmask_b32_e64 v41, 0, 1, s[2:3]
	s_waitcnt lgkmcnt(0)
	v_mov_b32_e32 v40, v43
.LBB1665_88:
	s_or_b64 exec, exec, s[4:5]
	s_mov_b32 s26, 0
	s_cmp_lg_u32 s6, 0
	v_mbcnt_lo_u32_b32 v52, -1, 0
	v_lshrrev_b32_e32 v1, 6, v0
	v_or_b32_e32 v51, 63, v0
	s_waitcnt lgkmcnt(0)
	s_barrier
	s_cbranch_scc0 .LBB1665_121
; %bb.89:
	s_mov_b32 s27, 1
	v_cmp_gt_u64_e64 s[2:3], s[26:27], v[2:3]
	v_cndmask_b32_e64 v27, 0, v38, s[2:3]
	v_add_u32_e32 v27, v27, v2
	v_cmp_gt_u64_e64 s[4:5], s[26:27], v[4:5]
	v_cndmask_b32_e64 v27, 0, v27, s[4:5]
	v_add_u32_e32 v27, v27, v4
	v_cmp_gt_u64_e64 s[30:31], s[26:27], v[6:7]
	v_cndmask_b32_e64 v27, 0, v27, s[30:31]
	v_add_u32_e32 v27, v27, v6
	v_cmp_gt_u64_e64 s[8:9], s[26:27], v[8:9]
	v_cndmask_b32_e64 v27, 0, v27, s[8:9]
	v_add_u32_e32 v27, v27, v8
	v_cmp_gt_u64_e64 s[10:11], s[26:27], v[10:11]
	v_cndmask_b32_e64 v27, 0, v27, s[10:11]
	v_add_u32_e32 v27, v27, v10
	v_cmp_gt_u64_e64 s[12:13], s[26:27], v[12:13]
	v_cndmask_b32_e64 v27, 0, v27, s[12:13]
	v_add_u32_e32 v27, v27, v12
	v_cmp_gt_u64_e64 s[14:15], s[26:27], v[14:15]
	v_cndmask_b32_e64 v27, 0, v27, s[14:15]
	v_add_u32_e32 v27, v27, v14
	v_cmp_gt_u64_e64 s[16:17], s[26:27], v[16:17]
	v_cndmask_b32_e64 v27, 0, v27, s[16:17]
	v_add_u32_e32 v27, v27, v16
	v_cmp_gt_u64_e64 s[18:19], s[26:27], v[18:19]
	v_cndmask_b32_e64 v27, 0, v27, s[18:19]
	v_add_u32_e32 v27, v27, v18
	v_cmp_gt_u64_e64 s[20:21], s[26:27], v[20:21]
	v_cndmask_b32_e64 v27, 0, v27, s[20:21]
	v_add_u32_e32 v27, v27, v20
	v_cmp_gt_u64_e64 s[22:23], s[26:27], v[22:23]
	v_cndmask_b32_e64 v27, 0, v27, s[22:23]
	v_add_u32_e32 v27, v27, v22
	v_cmp_gt_u64_e64 s[24:25], s[26:27], v[24:25]
	v_cndmask_b32_e64 v27, 0, v27, s[24:25]
	v_add_u32_e32 v27, v27, v24
	v_cmp_gt_u64_e64 s[26:27], s[26:27], v[40:41]
	v_cndmask_b32_e64 v27, 0, v27, s[26:27]
	v_add_u32_e32 v28, v27, v40
	v_or3_b32 v27, v41, v25, v23
	v_or3_b32 v27, v27, v21, v19
	;; [unrolled: 1-line block ×6, first 2 shown]
	v_mov_b32_e32 v26, 0
	v_and_b32_e32 v27, 1, v27
	v_cmp_eq_u64_e32 vcc, 0, v[26:27]
	v_cndmask_b32_e32 v26, 1, v39, vcc
	v_mbcnt_hi_u32_b32 v46, -1, v52
	v_mov_b32_dpp v29, v28 row_shr:1 row_mask:0xf bank_mask:0xf
	v_mov_b32_dpp v30, v26 row_shr:1 row_mask:0xf bank_mask:0xf
	v_cmp_eq_u32_e32 vcc, 0, v26
	v_and_b32_e32 v31, 1, v26
	v_and_b32_e32 v27, 15, v46
	v_cndmask_b32_e32 v29, 0, v29, vcc
	v_and_b32_e32 v30, 1, v30
	v_cmp_eq_u32_e32 vcc, 1, v31
	v_cndmask_b32_e64 v30, v30, 1, vcc
	v_cmp_eq_u32_e32 vcc, 0, v27
	v_cndmask_b32_e32 v26, v30, v26, vcc
	v_and_b32_e32 v31, 1, v26
	v_cmp_eq_u32_e64 s[28:29], 1, v31
	v_mov_b32_dpp v30, v26 row_shr:2 row_mask:0xf bank_mask:0xf
	v_and_b32_e32 v30, 1, v30
	v_cndmask_b32_e64 v30, v30, 1, s[28:29]
	v_cmp_lt_u32_e64 s[28:29], 1, v27
	v_cndmask_b32_e64 v29, v29, 0, vcc
	v_cmp_eq_u32_e32 vcc, 0, v26
	v_cndmask_b32_e64 v26, v26, v30, s[28:29]
	v_add_u32_e32 v28, v29, v28
	v_and_b32_e32 v31, 1, v26
	v_mov_b32_dpp v30, v26 row_shr:4 row_mask:0xf bank_mask:0xf
	v_mov_b32_dpp v29, v28 row_shr:2 row_mask:0xf bank_mask:0xf
	s_and_b64 vcc, s[28:29], vcc
	v_and_b32_e32 v30, 1, v30
	v_cmp_eq_u32_e64 s[28:29], 1, v31
	v_cndmask_b32_e32 v29, 0, v29, vcc
	v_cndmask_b32_e64 v30, v30, 1, s[28:29]
	v_cmp_lt_u32_e64 s[28:29], 3, v27
	v_add_u32_e32 v28, v29, v28
	v_cmp_eq_u32_e32 vcc, 0, v26
	v_cndmask_b32_e64 v26, v26, v30, s[28:29]
	v_mov_b32_dpp v29, v28 row_shr:4 row_mask:0xf bank_mask:0xf
	s_and_b64 vcc, s[28:29], vcc
	v_mov_b32_dpp v30, v26 row_shr:8 row_mask:0xf bank_mask:0xf
	v_and_b32_e32 v31, 1, v26
	v_cndmask_b32_e32 v29, 0, v29, vcc
	v_and_b32_e32 v30, 1, v30
	v_cmp_eq_u32_e64 s[28:29], 1, v31
	v_add_u32_e32 v28, v29, v28
	v_cmp_eq_u32_e32 vcc, 0, v26
	v_cndmask_b32_e64 v30, v30, 1, s[28:29]
	v_cmp_lt_u32_e64 s[28:29], 7, v27
	v_mov_b32_dpp v29, v28 row_shr:8 row_mask:0xf bank_mask:0xf
	s_and_b64 vcc, s[28:29], vcc
	v_cndmask_b32_e32 v27, 0, v29, vcc
	v_cndmask_b32_e64 v26, v26, v30, s[28:29]
	v_add_u32_e32 v27, v27, v28
	v_cmp_eq_u32_e32 vcc, 0, v26
	v_mov_b32_dpp v29, v26 row_bcast:15 row_mask:0xf bank_mask:0xf
	v_mov_b32_dpp v28, v27 row_bcast:15 row_mask:0xf bank_mask:0xf
	v_and_b32_e32 v32, 1, v26
	v_and_b32_e32 v31, 16, v46
	v_cndmask_b32_e32 v28, 0, v28, vcc
	v_and_b32_e32 v29, 1, v29
	v_cmp_eq_u32_e32 vcc, 1, v32
	v_bfe_i32 v30, v46, 4, 1
	v_cndmask_b32_e64 v29, v29, 1, vcc
	v_cmp_eq_u32_e32 vcc, 0, v31
	v_and_b32_e32 v28, v30, v28
	v_cndmask_b32_e32 v26, v29, v26, vcc
	v_add_u32_e32 v27, v28, v27
	v_and_b32_e32 v30, 1, v26
	v_mov_b32_dpp v28, v26 row_bcast:31 row_mask:0xf bank_mask:0xf
	v_and_b32_e32 v28, 1, v28
	v_cmp_eq_u32_e64 s[28:29], 1, v30
	v_cmp_eq_u32_e32 vcc, 0, v26
	v_cndmask_b32_e64 v28, v28, 1, s[28:29]
	v_cmp_lt_u32_e64 s[28:29], 31, v46
	v_mov_b32_dpp v29, v27 row_bcast:31 row_mask:0xf bank_mask:0xf
	s_and_b64 vcc, s[28:29], vcc
	v_cndmask_b32_e64 v28, v26, v28, s[28:29]
	v_cndmask_b32_e32 v26, 0, v29, vcc
	v_add_u32_e32 v29, v26, v27
	v_cmp_eq_u32_e32 vcc, v51, v0
	s_and_saveexec_b64 s[28:29], vcc
	s_cbranch_execz .LBB1665_91
; %bb.90:
	v_lshlrev_b32_e32 v26, 3, v1
	ds_write_b32 v26, v29
	ds_write_b8 v26, v28 offset:4
.LBB1665_91:
	s_or_b64 exec, exec, s[28:29]
	v_cmp_gt_u32_e32 vcc, 4, v0
	s_waitcnt lgkmcnt(0)
	s_barrier
	s_and_saveexec_b64 s[28:29], vcc
	s_cbranch_execz .LBB1665_95
; %bb.92:
	v_lshlrev_b32_e32 v30, 3, v0
	ds_read_b64 v[26:27], v30
	v_and_b32_e32 v31, 3, v46
	v_cmp_ne_u32_e32 vcc, 0, v31
	s_waitcnt lgkmcnt(0)
	v_mov_b32_dpp v32, v26 row_shr:1 row_mask:0xf bank_mask:0xf
	v_mov_b32_dpp v34, v27 row_shr:1 row_mask:0xf bank_mask:0xf
	v_mov_b32_e32 v33, v27
	s_and_saveexec_b64 s[34:35], vcc
	s_cbranch_execz .LBB1665_94
; %bb.93:
	v_and_b32_e32 v33, 1, v27
	v_and_b32_e32 v34, 1, v34
	v_cmp_eq_u32_e32 vcc, 1, v33
	v_mov_b32_e32 v33, 0
	v_cndmask_b32_e64 v34, v34, 1, vcc
	v_cmp_eq_u16_sdwa vcc, v27, v33 src0_sel:BYTE_0 src1_sel:DWORD
	v_cndmask_b32_e32 v32, 0, v32, vcc
	v_add_u32_e32 v26, v32, v26
	v_and_b32_e32 v32, 0xffff, v34
	s_movk_i32 s7, 0xff00
	v_and_or_b32 v33, v27, s7, v32
	v_mov_b32_e32 v27, v34
.LBB1665_94:
	s_or_b64 exec, exec, s[34:35]
	v_mov_b32_dpp v33, v33 row_shr:2 row_mask:0xf bank_mask:0xf
	v_and_b32_e32 v34, 1, v27
	v_and_b32_e32 v33, 1, v33
	v_cmp_eq_u32_e32 vcc, 1, v34
	v_mov_b32_e32 v34, 0
	v_cndmask_b32_e64 v33, v33, 1, vcc
	v_cmp_eq_u16_sdwa s[34:35], v27, v34 src0_sel:BYTE_0 src1_sel:DWORD
	v_cmp_lt_u32_e32 vcc, 1, v31
	v_mov_b32_dpp v32, v26 row_shr:2 row_mask:0xf bank_mask:0xf
	v_cndmask_b32_e32 v27, v27, v33, vcc
	s_and_b64 vcc, vcc, s[34:35]
	v_cndmask_b32_e32 v31, 0, v32, vcc
	v_add_u32_e32 v26, v31, v26
	ds_write_b32 v30, v26
	ds_write_b8 v30, v27 offset:4
.LBB1665_95:
	s_or_b64 exec, exec, s[28:29]
	v_cmp_gt_u32_e32 vcc, 64, v0
	v_cmp_lt_u32_e64 s[28:29], 63, v0
	v_mov_b32_e32 v42, 0
	v_mov_b32_e32 v43, 0
	s_waitcnt lgkmcnt(0)
	s_barrier
	s_and_saveexec_b64 s[34:35], s[28:29]
	s_cbranch_execz .LBB1665_97
; %bb.96:
	v_lshl_add_u32 v26, v1, 3, -8
	ds_read_b32 v42, v26
	ds_read_u8 v43, v26 offset:4
	v_and_b32_e32 v27, 1, v28
	v_cmp_eq_u32_e64 s[28:29], 0, v28
	s_waitcnt lgkmcnt(1)
	v_cndmask_b32_e64 v26, 0, v42, s[28:29]
	v_cmp_eq_u32_e64 s[28:29], 1, v27
	v_add_u32_e32 v29, v26, v29
	s_waitcnt lgkmcnt(0)
	v_cndmask_b32_e64 v28, v43, 1, s[28:29]
.LBB1665_97:
	s_or_b64 exec, exec, s[34:35]
	v_add_u32_e32 v26, -1, v46
	v_and_b32_e32 v27, 64, v46
	v_cmp_lt_i32_e64 s[28:29], v26, v27
	v_cndmask_b32_e64 v26, v26, v46, s[28:29]
	v_lshlrev_b32_e32 v26, 2, v26
	ds_bpermute_b32 v44, v26, v29
	ds_bpermute_b32 v45, v26, v28
	v_cmp_eq_u32_e64 s[28:29], 0, v46
	s_and_saveexec_b64 s[40:41], vcc
	s_cbranch_execz .LBB1665_120
; %bb.98:
	v_mov_b32_e32 v29, 0
	ds_read_b64 v[26:27], v29 offset:24
	s_waitcnt lgkmcnt(0)
	v_readfirstlane_b32 s7, v27
	s_and_saveexec_b64 s[34:35], s[28:29]
	s_cbranch_execz .LBB1665_100
; %bb.99:
	s_add_i32 s44, s6, 64
	s_mov_b32 s45, 0
	s_lshl_b64 s[48:49], s[44:45], 4
	s_add_u32 s48, s52, s48
	s_addc_u32 s49, s53, s49
	s_and_b32 s51, s7, 0xff000000
	s_mov_b32 s50, s45
	s_and_b32 s59, s7, 0xff0000
	s_mov_b32 s58, s45
	s_or_b64 s[50:51], s[58:59], s[50:51]
	s_and_b32 s59, s7, 0xff00
	s_or_b64 s[50:51], s[50:51], s[58:59]
	s_and_b32 s59, s7, 0xff
	s_or_b64 s[44:45], s[50:51], s[58:59]
	v_mov_b32_e32 v27, s45
	v_mov_b32_e32 v28, 1
	v_pk_mov_b32 v[30:31], s[48:49], s[48:49] op_sel:[0,1]
	;;#ASMSTART
	global_store_dwordx4 v[30:31], v[26:29] off	
s_waitcnt vmcnt(0)
	;;#ASMEND
.LBB1665_100:
	s_or_b64 exec, exec, s[34:35]
	v_xad_u32 v34, v46, -1, s6
	v_add_u32_e32 v28, 64, v34
	v_lshlrev_b64 v[30:31], 4, v[28:29]
	v_mov_b32_e32 v27, s53
	v_add_co_u32_e32 v36, vcc, s52, v30
	v_addc_co_u32_e32 v37, vcc, v27, v31, vcc
	;;#ASMSTART
	global_load_dwordx4 v[30:33], v[36:37] off glc	
s_waitcnt vmcnt(0)
	;;#ASMEND
	v_and_b32_e32 v27, 0xff0000, v30
	v_or_b32_sdwa v27, v30, v27 dst_sel:DWORD dst_unused:UNUSED_PAD src0_sel:WORD_0 src1_sel:DWORD
	v_and_b32_e32 v28, 0xff000000, v30
	v_and_b32_e32 v30, 0xff, v31
	v_or3_b32 v31, 0, 0, v30
	v_or3_b32 v30, v27, v28, 0
	v_cmp_eq_u16_sdwa s[44:45], v32, v29 src0_sel:BYTE_0 src1_sel:DWORD
	s_and_saveexec_b64 s[34:35], s[44:45]
	s_cbranch_execz .LBB1665_106
; %bb.101:
	s_mov_b32 s48, 1
	s_mov_b64 s[44:45], 0
	v_mov_b32_e32 v27, 0
.LBB1665_102:                           ; =>This Loop Header: Depth=1
                                        ;     Child Loop BB1665_103 Depth 2
	s_max_u32 s49, s48, 1
.LBB1665_103:                           ;   Parent Loop BB1665_102 Depth=1
                                        ; =>  This Inner Loop Header: Depth=2
	s_add_i32 s49, s49, -1
	s_cmp_eq_u32 s49, 0
	s_sleep 1
	s_cbranch_scc0 .LBB1665_103
; %bb.104:                              ;   in Loop: Header=BB1665_102 Depth=1
	s_cmp_lt_u32 s48, 32
	s_cselect_b64 s[50:51], -1, 0
	s_cmp_lg_u64 s[50:51], 0
	s_addc_u32 s48, s48, 0
	;;#ASMSTART
	global_load_dwordx4 v[30:33], v[36:37] off glc	
s_waitcnt vmcnt(0)
	;;#ASMEND
	v_cmp_ne_u16_sdwa s[50:51], v32, v27 src0_sel:BYTE_0 src1_sel:DWORD
	s_or_b64 s[44:45], s[50:51], s[44:45]
	s_andn2_b64 exec, exec, s[44:45]
	s_cbranch_execnz .LBB1665_102
; %bb.105:
	s_or_b64 exec, exec, s[44:45]
	v_and_b32_e32 v31, 0xff, v31
.LBB1665_106:
	s_or_b64 exec, exec, s[34:35]
	v_mov_b32_e32 v27, 2
	v_cmp_eq_u16_sdwa s[34:35], v32, v27 src0_sel:BYTE_0 src1_sel:DWORD
	v_lshlrev_b64 v[28:29], v46, -1
	v_and_b32_e32 v33, s35, v29
	v_or_b32_e32 v33, 0x80000000, v33
	v_and_b32_e32 v35, s34, v28
	v_ffbl_b32_e32 v33, v33
	v_and_b32_e32 v47, 63, v46
	v_add_u32_e32 v33, 32, v33
	v_ffbl_b32_e32 v35, v35
	v_cmp_ne_u32_e32 vcc, 63, v47
	v_min_u32_e32 v33, v35, v33
	v_addc_co_u32_e32 v35, vcc, 0, v46, vcc
	v_lshlrev_b32_e32 v48, 2, v35
	ds_bpermute_b32 v35, v48, v31
	ds_bpermute_b32 v36, v48, v30
	s_mov_b32 s44, 0
	v_and_b32_e32 v37, 1, v31
	s_mov_b32 s45, 1
	s_waitcnt lgkmcnt(1)
	v_and_b32_e32 v35, 1, v35
	v_cmp_eq_u32_e32 vcc, 1, v37
	v_cndmask_b32_e64 v35, v35, 1, vcc
	v_cmp_gt_u64_e32 vcc, s[44:45], v[30:31]
	v_cmp_lt_u32_e64 s[34:35], v47, v33
	s_and_b64 vcc, s[34:35], vcc
	v_and_b32_e32 v37, 0xffff, v35
	v_cndmask_b32_e64 v54, v31, v35, s[34:35]
	s_waitcnt lgkmcnt(0)
	v_cndmask_b32_e32 v35, 0, v36, vcc
	v_cmp_gt_u32_e32 vcc, 62, v47
	v_cndmask_b32_e64 v36, 0, 1, vcc
	v_lshlrev_b32_e32 v36, 1, v36
	v_cndmask_b32_e64 v31, v31, v37, s[34:35]
	v_add_lshl_u32 v49, v36, v46, 2
	ds_bpermute_b32 v36, v49, v31
	v_add_u32_e32 v30, v35, v30
	ds_bpermute_b32 v37, v49, v30
	v_and_b32_e32 v35, 1, v54
	v_cmp_eq_u32_e32 vcc, 1, v35
	s_waitcnt lgkmcnt(1)
	v_and_b32_e32 v36, 1, v36
	v_mov_b32_e32 v35, 0
	v_add_u32_e32 v53, 2, v47
	v_cndmask_b32_e64 v36, v36, 1, vcc
	v_cmp_eq_u16_sdwa vcc, v54, v35 src0_sel:BYTE_0 src1_sel:DWORD
	v_and_b32_e32 v55, 0xffff, v36
	s_waitcnt lgkmcnt(0)
	v_cndmask_b32_e32 v37, 0, v37, vcc
	v_cmp_gt_u32_e32 vcc, v53, v33
	v_cndmask_b32_e32 v36, v36, v54, vcc
	v_cndmask_b32_e64 v37, v37, 0, vcc
	v_cndmask_b32_e32 v31, v55, v31, vcc
	v_cmp_gt_u32_e32 vcc, 60, v47
	v_cndmask_b32_e64 v54, 0, 1, vcc
	v_lshlrev_b32_e32 v54, 2, v54
	v_add_lshl_u32 v54, v54, v46, 2
	ds_bpermute_b32 v56, v54, v31
	v_add_u32_e32 v30, v37, v30
	ds_bpermute_b32 v37, v54, v30
	v_and_b32_e32 v57, 1, v36
	v_cmp_eq_u32_e32 vcc, 1, v57
	s_waitcnt lgkmcnt(1)
	v_and_b32_e32 v56, 1, v56
	v_add_u32_e32 v55, 4, v47
	v_cndmask_b32_e64 v56, v56, 1, vcc
	v_cmp_eq_u16_sdwa vcc, v36, v35 src0_sel:BYTE_0 src1_sel:DWORD
	v_and_b32_e32 v57, 0xffff, v56
	s_waitcnt lgkmcnt(0)
	v_cndmask_b32_e32 v37, 0, v37, vcc
	v_cmp_gt_u32_e32 vcc, v55, v33
	v_cndmask_b32_e32 v36, v56, v36, vcc
	v_cndmask_b32_e64 v37, v37, 0, vcc
	v_cndmask_b32_e32 v31, v57, v31, vcc
	v_cmp_gt_u32_e32 vcc, 56, v47
	v_cndmask_b32_e64 v56, 0, 1, vcc
	v_lshlrev_b32_e32 v56, 3, v56
	v_add_lshl_u32 v56, v56, v46, 2
	ds_bpermute_b32 v58, v56, v31
	v_add_u32_e32 v30, v37, v30
	ds_bpermute_b32 v37, v56, v30
	v_and_b32_e32 v59, 1, v36
	v_cmp_eq_u32_e32 vcc, 1, v59
	s_waitcnt lgkmcnt(1)
	v_and_b32_e32 v58, 1, v58
	;; [unrolled: 21-line block ×4, first 2 shown]
	v_add_u32_e32 v62, 32, v47
	v_cndmask_b32_e64 v31, v31, 1, vcc
	v_cmp_eq_u16_sdwa vcc, v36, v35 src0_sel:BYTE_0 src1_sel:DWORD
	s_waitcnt lgkmcnt(0)
	v_cndmask_b32_e32 v37, 0, v37, vcc
	v_cmp_gt_u32_e32 vcc, v62, v33
	v_cndmask_b32_e64 v33, v37, 0, vcc
	v_cndmask_b32_e32 v31, v31, v36, vcc
	v_add_u32_e32 v30, v33, v30
	s_branch .LBB1665_108
.LBB1665_107:                           ;   in Loop: Header=BB1665_108 Depth=1
	s_or_b64 exec, exec, s[34:35]
	v_cmp_eq_u16_sdwa s[34:35], v32, v27 src0_sel:BYTE_0 src1_sel:DWORD
	v_and_b32_e32 v33, s35, v29
	ds_bpermute_b32 v37, v48, v31
	v_or_b32_e32 v33, 0x80000000, v33
	v_and_b32_e32 v36, s34, v28
	v_ffbl_b32_e32 v33, v33
	v_add_u32_e32 v33, 32, v33
	v_ffbl_b32_e32 v36, v36
	v_min_u32_e32 v33, v36, v33
	ds_bpermute_b32 v36, v48, v30
	v_and_b32_e32 v63, 1, v31
	s_waitcnt lgkmcnt(1)
	v_and_b32_e32 v37, 1, v37
	v_cmp_eq_u32_e32 vcc, 1, v63
	v_cndmask_b32_e64 v37, v37, 1, vcc
	v_cmp_gt_u64_e32 vcc, s[44:45], v[30:31]
	v_and_b32_e32 v63, 0xffff, v37
	v_cmp_lt_u32_e64 s[34:35], v47, v33
	v_cndmask_b32_e64 v37, v31, v37, s[34:35]
	v_cndmask_b32_e64 v31, v31, v63, s[34:35]
	s_and_b64 vcc, s[34:35], vcc
	ds_bpermute_b32 v63, v49, v31
	s_waitcnt lgkmcnt(1)
	v_cndmask_b32_e32 v36, 0, v36, vcc
	v_add_u32_e32 v30, v36, v30
	ds_bpermute_b32 v36, v49, v30
	v_and_b32_e32 v64, 1, v37
	s_waitcnt lgkmcnt(1)
	v_and_b32_e32 v63, 1, v63
	v_cmp_eq_u32_e32 vcc, 1, v64
	v_cndmask_b32_e64 v63, v63, 1, vcc
	v_cmp_eq_u16_sdwa vcc, v37, v35 src0_sel:BYTE_0 src1_sel:DWORD
	v_and_b32_e32 v64, 0xffff, v63
	s_waitcnt lgkmcnt(0)
	v_cndmask_b32_e32 v36, 0, v36, vcc
	v_cmp_gt_u32_e32 vcc, v53, v33
	v_cndmask_b32_e32 v31, v64, v31, vcc
	v_cndmask_b32_e32 v37, v63, v37, vcc
	ds_bpermute_b32 v63, v54, v31
	v_cndmask_b32_e64 v36, v36, 0, vcc
	v_add_u32_e32 v30, v36, v30
	ds_bpermute_b32 v36, v54, v30
	v_and_b32_e32 v64, 1, v37
	s_waitcnt lgkmcnt(1)
	v_and_b32_e32 v63, 1, v63
	v_cmp_eq_u32_e32 vcc, 1, v64
	v_cndmask_b32_e64 v63, v63, 1, vcc
	v_cmp_eq_u16_sdwa vcc, v37, v35 src0_sel:BYTE_0 src1_sel:DWORD
	v_and_b32_e32 v64, 0xffff, v63
	s_waitcnt lgkmcnt(0)
	v_cndmask_b32_e32 v36, 0, v36, vcc
	v_cmp_gt_u32_e32 vcc, v55, v33
	v_cndmask_b32_e32 v31, v64, v31, vcc
	v_cndmask_b32_e32 v37, v63, v37, vcc
	ds_bpermute_b32 v63, v56, v31
	v_cndmask_b32_e64 v36, v36, 0, vcc
	;; [unrolled: 16-line block ×3, first 2 shown]
	v_add_u32_e32 v30, v36, v30
	ds_bpermute_b32 v36, v58, v30
	v_and_b32_e32 v64, 1, v37
	s_waitcnt lgkmcnt(1)
	v_and_b32_e32 v63, 1, v63
	v_cmp_eq_u32_e32 vcc, 1, v64
	v_cndmask_b32_e64 v63, v63, 1, vcc
	v_cmp_eq_u16_sdwa vcc, v37, v35 src0_sel:BYTE_0 src1_sel:DWORD
	v_and_b32_e32 v64, 0xffff, v63
	s_waitcnt lgkmcnt(0)
	v_cndmask_b32_e32 v36, 0, v36, vcc
	v_cmp_gt_u32_e32 vcc, v59, v33
	v_cndmask_b32_e64 v36, v36, 0, vcc
	v_cndmask_b32_e32 v31, v64, v31, vcc
	ds_bpermute_b32 v31, v61, v31
	v_add_u32_e32 v30, v36, v30
	ds_bpermute_b32 v36, v61, v30
	v_cndmask_b32_e32 v37, v63, v37, vcc
	v_and_b32_e32 v63, 1, v37
	v_cmp_eq_u32_e32 vcc, 1, v63
	s_waitcnt lgkmcnt(1)
	v_cndmask_b32_e64 v31, v31, 1, vcc
	v_cmp_eq_u16_sdwa vcc, v37, v35 src0_sel:BYTE_0 src1_sel:DWORD
	s_waitcnt lgkmcnt(0)
	v_cndmask_b32_e32 v36, 0, v36, vcc
	v_cmp_gt_u32_e32 vcc, v62, v33
	v_cndmask_b32_e64 v33, v36, 0, vcc
	v_cndmask_b32_e32 v31, v31, v37, vcc
	v_add_u32_e32 v30, v33, v30
	v_cmp_eq_u16_sdwa vcc, v46, v35 src0_sel:BYTE_0 src1_sel:DWORD
	v_and_b32_e32 v33, 1, v46
	v_cndmask_b32_e32 v30, 0, v30, vcc
	v_and_b32_e32 v31, 1, v31
	v_cmp_eq_u32_e32 vcc, 1, v33
	v_subrev_u32_e32 v34, 64, v34
	v_add_u32_e32 v30, v30, v60
	v_cndmask_b32_e64 v31, v31, 1, vcc
.LBB1665_108:                           ; =>This Loop Header: Depth=1
                                        ;     Child Loop BB1665_111 Depth 2
                                        ;       Child Loop BB1665_112 Depth 3
	v_cmp_ne_u16_sdwa s[34:35], v32, v27 src0_sel:BYTE_0 src1_sel:DWORD
	v_mov_b32_e32 v46, v31
	v_cndmask_b32_e64 v31, 0, 1, s[34:35]
	;;#ASMSTART
	;;#ASMEND
	v_cmp_ne_u32_e32 vcc, 0, v31
	s_cmp_lg_u64 vcc, exec
	v_mov_b32_e32 v60, v30
	s_cbranch_scc1 .LBB1665_115
; %bb.109:                              ;   in Loop: Header=BB1665_108 Depth=1
	v_lshlrev_b64 v[30:31], 4, v[34:35]
	v_mov_b32_e32 v32, s53
	v_add_co_u32_e32 v36, vcc, s52, v30
	v_addc_co_u32_e32 v37, vcc, v32, v31, vcc
	;;#ASMSTART
	global_load_dwordx4 v[30:33], v[36:37] off glc	
s_waitcnt vmcnt(0)
	;;#ASMEND
	v_and_b32_e32 v33, 0xff0000, v30
	v_or_b32_sdwa v33, v30, v33 dst_sel:DWORD dst_unused:UNUSED_PAD src0_sel:WORD_0 src1_sel:DWORD
	v_and_b32_e32 v30, 0xff000000, v30
	v_and_b32_e32 v31, 0xff, v31
	v_or3_b32 v31, 0, 0, v31
	v_or3_b32 v30, v33, v30, 0
	v_cmp_eq_u16_sdwa s[48:49], v32, v35 src0_sel:BYTE_0 src1_sel:DWORD
	s_and_saveexec_b64 s[34:35], s[48:49]
	s_cbranch_execz .LBB1665_107
; %bb.110:                              ;   in Loop: Header=BB1665_108 Depth=1
	s_mov_b32 s50, 1
	s_mov_b64 s[48:49], 0
.LBB1665_111:                           ;   Parent Loop BB1665_108 Depth=1
                                        ; =>  This Loop Header: Depth=2
                                        ;       Child Loop BB1665_112 Depth 3
	s_max_u32 s51, s50, 1
.LBB1665_112:                           ;   Parent Loop BB1665_108 Depth=1
                                        ;     Parent Loop BB1665_111 Depth=2
                                        ; =>    This Inner Loop Header: Depth=3
	s_add_i32 s51, s51, -1
	s_cmp_eq_u32 s51, 0
	s_sleep 1
	s_cbranch_scc0 .LBB1665_112
; %bb.113:                              ;   in Loop: Header=BB1665_111 Depth=2
	s_cmp_lt_u32 s50, 32
	s_cselect_b64 s[58:59], -1, 0
	s_cmp_lg_u64 s[58:59], 0
	s_addc_u32 s50, s50, 0
	;;#ASMSTART
	global_load_dwordx4 v[30:33], v[36:37] off glc	
s_waitcnt vmcnt(0)
	;;#ASMEND
	v_cmp_ne_u16_sdwa s[58:59], v32, v35 src0_sel:BYTE_0 src1_sel:DWORD
	s_or_b64 s[48:49], s[58:59], s[48:49]
	s_andn2_b64 exec, exec, s[48:49]
	s_cbranch_execnz .LBB1665_111
; %bb.114:                              ;   in Loop: Header=BB1665_108 Depth=1
	s_or_b64 exec, exec, s[48:49]
	v_and_b32_e32 v31, 0xff, v31
	s_branch .LBB1665_107
.LBB1665_115:                           ;   in Loop: Header=BB1665_108 Depth=1
                                        ; implicit-def: $vgpr31
                                        ; implicit-def: $vgpr30
                                        ; implicit-def: $vgpr32
	s_cbranch_execz .LBB1665_108
; %bb.116:
	s_and_saveexec_b64 s[34:35], s[28:29]
	s_cbranch_execz .LBB1665_118
; %bb.117:
	s_and_b32 s44, s7, 0xff
	s_cmp_eq_u32 s44, 0
	s_cselect_b64 vcc, -1, 0
	s_bitcmp1_b32 s7, 0
	s_mov_b32 s45, 0
	s_cselect_b64 s[48:49], -1, 0
	s_add_i32 s44, s6, 64
	s_lshl_b64 s[6:7], s[44:45], 4
	v_cndmask_b32_e32 v27, 0, v60, vcc
	s_add_u32 s6, s52, s6
	v_add_u32_e32 v26, v27, v26
	v_and_b32_e32 v27, 1, v46
	s_addc_u32 s7, s53, s7
	v_mov_b32_e32 v29, 0
	v_cndmask_b32_e64 v27, v27, 1, s[48:49]
	v_mov_b32_e32 v28, 2
	v_pk_mov_b32 v[30:31], s[6:7], s[6:7] op_sel:[0,1]
	;;#ASMSTART
	global_store_dwordx4 v[30:31], v[26:29] off	
s_waitcnt vmcnt(0)
	;;#ASMEND
.LBB1665_118:
	s_or_b64 exec, exec, s[34:35]
	v_cmp_eq_u32_e32 vcc, 0, v0
	s_and_b64 exec, exec, vcc
	s_cbranch_execz .LBB1665_120
; %bb.119:
	v_mov_b32_e32 v26, 0
	ds_write_b32 v26, v60 offset:24
	ds_write_b8 v26, v46 offset:28
.LBB1665_120:
	s_or_b64 exec, exec, s[40:41]
	s_mov_b32 s6, 0
	v_mov_b32_e32 v28, 0
	s_mov_b32 s7, 1
	s_waitcnt lgkmcnt(0)
	v_cndmask_b32_e64 v26, v45, v43, s[28:29]
	v_cndmask_b32_e64 v27, v44, v42, s[28:29]
	s_barrier
	ds_read_b32 v29, v28 offset:24
	v_cmp_gt_u64_e32 vcc, s[6:7], v[38:39]
	v_and_b32_e32 v30, 1, v39
	v_cndmask_b32_e32 v27, 0, v27, vcc
	v_and_b32_e32 v26, 1, v26
	v_cmp_eq_u32_e32 vcc, 1, v30
	v_cndmask_b32_e64 v26, v26, 1, vcc
	v_cmp_eq_u32_e32 vcc, 0, v0
	v_cndmask_b32_e32 v26, v26, v39, vcc
	v_cndmask_b32_e64 v27, v27, 0, vcc
	v_cmp_eq_u16_sdwa vcc, v26, v28 src0_sel:BYTE_0 src1_sel:DWORD
	s_waitcnt lgkmcnt(0)
	v_cndmask_b32_e32 v26, 0, v29, vcc
	v_add3_u32 v26, v27, v38, v26
	v_cndmask_b32_e64 v27, 0, v26, s[2:3]
	v_add_u32_e32 v27, v27, v2
	v_cndmask_b32_e64 v28, 0, v27, s[4:5]
	v_add_u32_e32 v42, v28, v4
	;; [unrolled: 2-line block ×13, first 2 shown]
	s_branch .LBB1665_137
.LBB1665_121:
                                        ; implicit-def: $vgpr49
                                        ; implicit-def: $vgpr47
                                        ; implicit-def: $vgpr45
                                        ; implicit-def: $vgpr43
                                        ; implicit-def: $vgpr34_vgpr35_vgpr36_vgpr37
                                        ; implicit-def: $vgpr30_vgpr31_vgpr32_vgpr33
                                        ; implicit-def: $vgpr26_vgpr27_vgpr28_vgpr29
	s_cbranch_execz .LBB1665_137
; %bb.122:
	s_cmp_lg_u64 s[56:57], 0
	s_cselect_b32 s5, s47, 0
	s_cselect_b32 s4, s46, 0
	s_cmp_lg_u64 s[4:5], 0
	s_cselect_b64 s[6:7], -1, 0
	v_cmp_eq_u32_e32 vcc, 0, v0
	s_mov_b32 s28, 0
	v_cmp_ne_u32_e64 s[2:3], 0, v0
	s_and_b64 s[8:9], vcc, s[6:7]
	s_and_saveexec_b64 s[6:7], s[8:9]
	s_cbranch_execz .LBB1665_124
; %bb.123:
	v_mov_b32_e32 v26, 0
	global_load_dword v28, v26, s[4:5]
	global_load_ubyte v29, v26, s[4:5] offset:4
	s_mov_b32 s29, 1
	v_and_b32_e32 v27, 1, v39
	v_cmp_gt_u64_e64 s[4:5], s[28:29], v[38:39]
	s_waitcnt vmcnt(1)
	v_cndmask_b32_e64 v28, 0, v28, s[4:5]
	s_waitcnt vmcnt(0)
	v_and_b32_e32 v29, 1, v29
	v_cmp_eq_u64_e64 s[4:5], 0, v[26:27]
	v_add_u32_e32 v38, v28, v38
	v_cndmask_b32_e64 v39, 1, v29, s[4:5]
.LBB1665_124:
	s_or_b64 exec, exec, s[6:7]
	s_mov_b32 s29, 1
	v_cmp_gt_u64_e64 s[4:5], s[28:29], v[2:3]
	v_cndmask_b32_e64 v26, 0, v38, s[4:5]
	v_add_u32_e32 v27, v26, v2
	v_cmp_gt_u64_e64 s[6:7], s[28:29], v[4:5]
	v_cndmask_b32_e64 v26, 0, v27, s[6:7]
	v_add_u32_e32 v42, v26, v4
	;; [unrolled: 3-line block ×7, first 2 shown]
	v_cmp_gt_u64_e64 s[18:19], s[28:29], v[16:17]
	v_mov_b32_e32 v28, 0
	v_cndmask_b32_e64 v26, 0, v45, s[18:19]
	v_or3_b32 v7, v23, v15, v7
	v_add_u32_e32 v34, v26, v16
	v_cmp_gt_u64_e64 s[20:21], s[28:29], v[18:19]
	v_or3_b32 v9, v25, v17, v9
	v_and_b32_e32 v55, 1, v7
	v_mov_b32_e32 v54, v28
	v_cndmask_b32_e64 v26, 0, v34, s[20:21]
	v_or3_b32 v3, v19, v11, v3
	v_and_b32_e32 v37, 1, v9
	v_mov_b32_e32 v36, v28
	v_cmp_ne_u64_e64 s[34:35], 0, v[54:55]
	v_add_u32_e32 v35, v26, v18
	v_cmp_gt_u64_e64 s[22:23], s[28:29], v[20:21]
	v_or3_b32 v5, v21, v13, v5
	v_and_b32_e32 v29, 1, v3
	v_cndmask_b32_e64 v3, 0, 1, s[34:35]
	v_cmp_ne_u64_e64 s[34:35], 0, v[36:37]
	v_cndmask_b32_e64 v26, 0, v35, s[22:23]
	v_and_b32_e32 v33, 1, v5
	v_mov_b32_e32 v32, v28
	v_cndmask_b32_e64 v5, 0, 1, s[34:35]
	v_add_u32_e32 v46, v26, v20
	v_cmp_gt_u64_e64 s[24:25], s[28:29], v[22:23]
	v_lshlrev_b16_e32 v3, 2, v3
	v_lshlrev_b16_e32 v5, 3, v5
	v_cmp_ne_u64_e64 s[34:35], 0, v[32:33]
	v_cndmask_b32_e64 v26, 0, v46, s[24:25]
	v_or_b32_e32 v3, v5, v3
	v_cndmask_b32_e64 v5, 0, 1, s[34:35]
	v_cmp_ne_u64_e64 s[34:35], 0, v[28:29]
	v_add_u32_e32 v47, v26, v22
	v_cmp_gt_u64_e64 s[26:27], s[28:29], v[24:25]
	v_lshlrev_b16_e32 v5, 1, v5
	v_cndmask_b32_e64 v7, 0, 1, s[34:35]
	v_cndmask_b32_e64 v26, 0, v47, s[26:27]
	v_or_b32_e32 v5, v7, v5
	v_add_u32_e32 v48, v26, v24
	v_cmp_gt_u64_e64 s[28:29], s[28:29], v[40:41]
	v_and_b32_e32 v5, 3, v5
	v_cndmask_b32_e64 v26, 0, v48, s[28:29]
	v_or_b32_e32 v3, v5, v3
	v_add_u32_e32 v49, v26, v40
	v_and_b32_e32 v26, 1, v41
	v_and_b32_e32 v3, 15, v3
	v_cmp_eq_u32_e64 s[30:31], 1, v26
	v_cmp_ne_u16_e64 s[34:35], 0, v3
	s_or_b64 s[30:31], s[30:31], s[34:35]
	v_cndmask_b32_e64 v5, v39, 1, s[30:31]
	v_mbcnt_hi_u32_b32 v3, -1, v52
	v_mov_b32_dpp v9, v49 row_shr:1 row_mask:0xf bank_mask:0xf
	v_mov_b32_dpp v11, v5 row_shr:1 row_mask:0xf bank_mask:0xf
	v_cmp_eq_u32_e64 s[30:31], 0, v5
	v_and_b32_e32 v13, 1, v5
	v_and_b32_e32 v7, 15, v3
	v_cndmask_b32_e64 v9, 0, v9, s[30:31]
	v_and_b32_e32 v11, 1, v11
	v_cmp_eq_u32_e64 s[30:31], 1, v13
	v_cndmask_b32_e64 v11, v11, 1, s[30:31]
	v_cmp_eq_u32_e64 s[30:31], 0, v7
	v_cndmask_b32_e64 v5, v11, v5, s[30:31]
	v_and_b32_e32 v15, 1, v5
	v_cmp_eq_u32_e64 s[34:35], 1, v15
	v_mov_b32_dpp v13, v5 row_shr:2 row_mask:0xf bank_mask:0xf
	v_and_b32_e32 v13, 1, v13
	v_cndmask_b32_e64 v13, v13, 1, s[34:35]
	v_cmp_lt_u32_e64 s[34:35], 1, v7
	v_cndmask_b32_e64 v9, v9, 0, s[30:31]
	v_cmp_eq_u32_e64 s[30:31], 0, v5
	v_cndmask_b32_e64 v5, v5, v13, s[34:35]
	v_add_u32_e32 v9, v49, v9
	v_and_b32_e32 v15, 1, v5
	v_mov_b32_dpp v13, v5 row_shr:4 row_mask:0xf bank_mask:0xf
	v_mov_b32_dpp v11, v9 row_shr:2 row_mask:0xf bank_mask:0xf
	s_and_b64 s[30:31], s[34:35], s[30:31]
	v_and_b32_e32 v13, 1, v13
	v_cmp_eq_u32_e64 s[34:35], 1, v15
	v_cndmask_b32_e64 v11, 0, v11, s[30:31]
	v_cndmask_b32_e64 v13, v13, 1, s[34:35]
	v_cmp_lt_u32_e64 s[34:35], 3, v7
	v_add_u32_e32 v9, v9, v11
	v_cmp_eq_u32_e64 s[30:31], 0, v5
	v_cndmask_b32_e64 v5, v5, v13, s[34:35]
	v_mov_b32_dpp v11, v9 row_shr:4 row_mask:0xf bank_mask:0xf
	s_and_b64 s[30:31], s[34:35], s[30:31]
	v_mov_b32_dpp v13, v5 row_shr:8 row_mask:0xf bank_mask:0xf
	v_and_b32_e32 v15, 1, v5
	v_cndmask_b32_e64 v11, 0, v11, s[30:31]
	v_and_b32_e32 v13, 1, v13
	v_cmp_eq_u32_e64 s[34:35], 1, v15
	v_add_u32_e32 v9, v9, v11
	v_cmp_eq_u32_e64 s[30:31], 0, v5
	v_cndmask_b32_e64 v13, v13, 1, s[34:35]
	v_cmp_lt_u32_e64 s[34:35], 7, v7
	v_mov_b32_dpp v11, v9 row_shr:8 row_mask:0xf bank_mask:0xf
	s_and_b64 s[30:31], s[34:35], s[30:31]
	v_cndmask_b32_e64 v7, 0, v11, s[30:31]
	v_cndmask_b32_e64 v5, v5, v13, s[34:35]
	v_add_u32_e32 v7, v9, v7
	v_cmp_eq_u32_e64 s[30:31], 0, v5
	v_mov_b32_dpp v11, v5 row_bcast:15 row_mask:0xf bank_mask:0xf
	v_mov_b32_dpp v9, v7 row_bcast:15 row_mask:0xf bank_mask:0xf
	v_and_b32_e32 v17, 1, v5
	v_and_b32_e32 v15, 16, v3
	v_cndmask_b32_e64 v9, 0, v9, s[30:31]
	v_and_b32_e32 v11, 1, v11
	v_cmp_eq_u32_e64 s[30:31], 1, v17
	v_bfe_i32 v13, v3, 4, 1
	v_cndmask_b32_e64 v11, v11, 1, s[30:31]
	v_cmp_eq_u32_e64 s[30:31], 0, v15
	v_and_b32_e32 v9, v13, v9
	v_cndmask_b32_e64 v5, v11, v5, s[30:31]
	v_add_u32_e32 v9, v7, v9
	v_and_b32_e32 v13, 1, v5
	v_mov_b32_dpp v7, v5 row_bcast:31 row_mask:0xf bank_mask:0xf
	v_and_b32_e32 v7, 1, v7
	v_cmp_eq_u32_e64 s[34:35], 1, v13
	v_cmp_eq_u32_e64 s[30:31], 0, v5
	v_cndmask_b32_e64 v7, v7, 1, s[34:35]
	v_cmp_lt_u32_e64 s[34:35], 31, v3
	v_mov_b32_dpp v11, v9 row_bcast:31 row_mask:0xf bank_mask:0xf
	s_and_b64 s[30:31], s[34:35], s[30:31]
	v_cndmask_b32_e64 v7, v5, v7, s[34:35]
	v_cndmask_b32_e64 v5, 0, v11, s[30:31]
	v_add_u32_e32 v5, v9, v5
	v_cmp_eq_u32_e64 s[30:31], v51, v0
	s_and_saveexec_b64 s[34:35], s[30:31]
	s_cbranch_execz .LBB1665_126
; %bb.125:
	v_lshlrev_b32_e32 v9, 3, v1
	ds_write_b32 v9, v5
	ds_write_b8 v9, v7 offset:4
.LBB1665_126:
	s_or_b64 exec, exec, s[34:35]
	v_cmp_gt_u32_e64 s[30:31], 4, v0
	s_waitcnt lgkmcnt(0)
	s_barrier
	s_and_saveexec_b64 s[34:35], s[30:31]
	s_cbranch_execz .LBB1665_130
; %bb.127:
	v_lshlrev_b32_e32 v9, 3, v0
	ds_read_b64 v[28:29], v9
	v_and_b32_e32 v11, 3, v3
	v_cmp_ne_u32_e64 s[30:31], 0, v11
	s_waitcnt lgkmcnt(0)
	v_mov_b32_dpp v13, v28 row_shr:1 row_mask:0xf bank_mask:0xf
	v_mov_b32_dpp v17, v29 row_shr:1 row_mask:0xf bank_mask:0xf
	v_mov_b32_e32 v15, v29
	s_and_saveexec_b64 s[40:41], s[30:31]
	s_cbranch_execz .LBB1665_129
; %bb.128:
	v_and_b32_e32 v15, 1, v29
	v_and_b32_e32 v17, 1, v17
	v_cmp_eq_u32_e64 s[30:31], 1, v15
	v_mov_b32_e32 v15, 0
	v_cndmask_b32_e64 v17, v17, 1, s[30:31]
	v_cmp_eq_u16_sdwa s[30:31], v29, v15 src0_sel:BYTE_0 src1_sel:DWORD
	v_cndmask_b32_e64 v13, 0, v13, s[30:31]
	v_add_u32_e32 v28, v13, v28
	v_and_b32_e32 v13, 0xffff, v17
	s_movk_i32 s30, 0xff00
	v_and_or_b32 v15, v29, s30, v13
	v_mov_b32_e32 v29, v17
.LBB1665_129:
	s_or_b64 exec, exec, s[40:41]
	v_mov_b32_dpp v15, v15 row_shr:2 row_mask:0xf bank_mask:0xf
	v_and_b32_e32 v17, 1, v29
	v_and_b32_e32 v15, 1, v15
	v_cmp_eq_u32_e64 s[30:31], 1, v17
	v_mov_b32_e32 v17, 0
	v_cndmask_b32_e64 v15, v15, 1, s[30:31]
	v_cmp_eq_u16_sdwa s[40:41], v29, v17 src0_sel:BYTE_0 src1_sel:DWORD
	v_cmp_lt_u32_e64 s[30:31], 1, v11
	v_mov_b32_dpp v13, v28 row_shr:2 row_mask:0xf bank_mask:0xf
	v_cndmask_b32_e64 v11, v29, v15, s[30:31]
	s_and_b64 s[30:31], s[30:31], s[40:41]
	v_cndmask_b32_e64 v13, 0, v13, s[30:31]
	v_add_u32_e32 v13, v13, v28
	ds_write_b32 v9, v13
	ds_write_b8 v9, v11 offset:4
.LBB1665_130:
	s_or_b64 exec, exec, s[34:35]
	v_cmp_lt_u32_e64 s[30:31], 63, v0
	v_mov_b32_e32 v9, 0
	s_waitcnt lgkmcnt(0)
	s_barrier
	s_and_saveexec_b64 s[34:35], s[30:31]
	s_cbranch_execz .LBB1665_132
; %bb.131:
	v_lshl_add_u32 v1, v1, 3, -8
	ds_read_b32 v9, v1
	v_cmp_eq_u32_e64 s[30:31], 0, v7
	s_waitcnt lgkmcnt(0)
	v_cndmask_b32_e64 v1, 0, v9, s[30:31]
	v_add_u32_e32 v5, v1, v5
.LBB1665_132:
	s_or_b64 exec, exec, s[34:35]
	v_add_u32_e32 v1, -1, v3
	v_and_b32_e32 v7, 64, v3
	v_cmp_lt_i32_e64 s[30:31], v1, v7
	v_cndmask_b32_e64 v1, v1, v3, s[30:31]
	v_lshlrev_b32_e32 v1, 2, v1
	ds_bpermute_b32 v1, v1, v5
	s_and_saveexec_b64 s[30:31], s[2:3]
	s_cbranch_execz .LBB1665_134
; %bb.133:
	v_and_b32_e32 v27, 0xff, v39
	v_mov_b32_e32 v26, 0
	v_cmp_eq_u32_e64 s[2:3], 0, v3
	s_waitcnt lgkmcnt(0)
	v_cndmask_b32_e64 v1, v1, v9, s[2:3]
	v_cmp_eq_u64_e64 s[2:3], 0, v[26:27]
	v_cndmask_b32_e64 v1, 0, v1, s[2:3]
	v_add_u32_e32 v38, v1, v38
	v_cndmask_b32_e64 v1, 0, v38, s[4:5]
	v_add_u32_e32 v27, v1, v2
	;; [unrolled: 2-line block ×14, first 2 shown]
	;;#ASMSTART
	;;#ASMEND
.LBB1665_134:
	s_or_b64 exec, exec, s[30:31]
	s_and_saveexec_b64 s[2:3], vcc
	s_cbranch_execz .LBB1665_136
; %bb.135:
	v_mov_b32_e32 v5, 0
	ds_read_b32 v2, v5 offset:24
	ds_read_u8 v3, v5 offset:28
	s_add_u32 s4, s52, 0x400
	s_addc_u32 s5, s53, 0
	v_mov_b32_e32 v4, 2
	v_pk_mov_b32 v[6:7], s[4:5], s[4:5] op_sel:[0,1]
	s_waitcnt lgkmcnt(0)
	;;#ASMSTART
	global_store_dwordx4 v[6:7], v[2:5] off	
s_waitcnt vmcnt(0)
	;;#ASMEND
.LBB1665_136:
	s_or_b64 exec, exec, s[2:3]
	v_mov_b32_e32 v26, v38
.LBB1665_137:
	s_add_u32 s2, s42, s38
	s_addc_u32 s3, s43, s39
	s_add_u32 s4, s2, s36
	s_waitcnt lgkmcnt(0)
	v_mul_u32_u24_e32 v1, 14, v0
	s_addc_u32 s5, s3, s37
	s_and_b64 vcc, exec, s[0:1]
	v_lshlrev_b32_e32 v2, 2, v1
	s_cbranch_vccz .LBB1665_165
; %bb.138:
	s_movk_i32 s0, 0xffcc
	v_mad_i32_i24 v3, v0, s0, v2
	s_barrier
	ds_write2_b64 v2, v[26:27], v[42:43] offset1:1
	ds_write2_b64 v2, v[30:31], v[44:45] offset0:2 offset1:3
	ds_write2_b64 v2, v[34:35], v[46:47] offset0:4 offset1:5
	ds_write_b64 v2, v[48:49] offset:48
	s_waitcnt lgkmcnt(0)
	s_barrier
	ds_read2st64_b32 v[16:17], v3 offset0:4 offset1:8
	ds_read2st64_b32 v[14:15], v3 offset0:12 offset1:16
	;; [unrolled: 1-line block ×6, first 2 shown]
	ds_read_b32 v3, v3 offset:13312
	v_mov_b32_e32 v5, s5
	v_add_co_u32_e32 v4, vcc, s4, v50
	s_add_i32 s33, s33, s54
	v_addc_co_u32_e32 v5, vcc, 0, v5, vcc
	v_mov_b32_e32 v1, 0
	v_cmp_gt_u32_e32 vcc, s33, v0
	s_and_saveexec_b64 s[0:1], vcc
	s_cbranch_execz .LBB1665_140
; %bb.139:
	v_mul_i32_i24_e32 v18, 0xffffffcc, v0
	v_add_u32_e32 v18, v2, v18
	ds_read_b32 v18, v18
	s_waitcnt lgkmcnt(0)
	v_cvt_f32_u32_e32 v18, v18
	flat_store_dword v[4:5], v18
.LBB1665_140:
	s_or_b64 exec, exec, s[0:1]
	v_or_b32_e32 v18, 0x100, v0
	v_cmp_gt_u32_e32 vcc, s33, v18
	s_and_saveexec_b64 s[0:1], vcc
	s_cbranch_execz .LBB1665_142
; %bb.141:
	s_waitcnt lgkmcnt(0)
	v_cvt_f32_u32_e32 v16, v16
	flat_store_dword v[4:5], v16 offset:1024
.LBB1665_142:
	s_or_b64 exec, exec, s[0:1]
	s_waitcnt lgkmcnt(0)
	v_or_b32_e32 v16, 0x200, v0
	v_cmp_gt_u32_e32 vcc, s33, v16
	s_and_saveexec_b64 s[0:1], vcc
	s_cbranch_execz .LBB1665_144
; %bb.143:
	v_cvt_f32_u32_e32 v16, v17
	flat_store_dword v[4:5], v16 offset:2048
.LBB1665_144:
	s_or_b64 exec, exec, s[0:1]
	v_or_b32_e32 v16, 0x300, v0
	v_cmp_gt_u32_e32 vcc, s33, v16
	s_and_saveexec_b64 s[0:1], vcc
	s_cbranch_execz .LBB1665_146
; %bb.145:
	v_cvt_f32_u32_e32 v14, v14
	flat_store_dword v[4:5], v14 offset:3072
.LBB1665_146:
	s_or_b64 exec, exec, s[0:1]
	v_or_b32_e32 v14, 0x400, v0
	v_cmp_gt_u32_e32 vcc, s33, v14
	s_and_saveexec_b64 s[0:1], vcc
	s_cbranch_execz .LBB1665_148
; %bb.147:
	v_cvt_f32_u32_e32 v16, v15
	v_add_co_u32_e32 v14, vcc, 0x1000, v4
	v_addc_co_u32_e32 v15, vcc, 0, v5, vcc
	flat_store_dword v[14:15], v16
.LBB1665_148:
	s_or_b64 exec, exec, s[0:1]
	v_or_b32_e32 v14, 0x500, v0
	v_cmp_gt_u32_e32 vcc, s33, v14
	s_and_saveexec_b64 s[0:1], vcc
	s_cbranch_execz .LBB1665_150
; %bb.149:
	v_cvt_f32_u32_e32 v12, v12
	v_add_co_u32_e32 v14, vcc, 0x1000, v4
	v_addc_co_u32_e32 v15, vcc, 0, v5, vcc
	flat_store_dword v[14:15], v12 offset:1024
.LBB1665_150:
	s_or_b64 exec, exec, s[0:1]
	v_or_b32_e32 v12, 0x600, v0
	v_cmp_gt_u32_e32 vcc, s33, v12
	s_and_saveexec_b64 s[0:1], vcc
	s_cbranch_execz .LBB1665_152
; %bb.151:
	v_cvt_f32_u32_e32 v14, v13
	v_add_co_u32_e32 v12, vcc, 0x1000, v4
	v_addc_co_u32_e32 v13, vcc, 0, v5, vcc
	flat_store_dword v[12:13], v14 offset:2048
.LBB1665_152:
	;; [unrolled: 11-line block ×3, first 2 shown]
	s_or_b64 exec, exec, s[0:1]
	v_or_b32_e32 v10, 0x800, v0
	v_cmp_gt_u32_e32 vcc, s33, v10
	s_and_saveexec_b64 s[0:1], vcc
	s_cbranch_execz .LBB1665_156
; %bb.155:
	v_cvt_f32_u32_e32 v12, v11
	v_add_co_u32_e32 v10, vcc, 0x2000, v4
	v_addc_co_u32_e32 v11, vcc, 0, v5, vcc
	flat_store_dword v[10:11], v12
.LBB1665_156:
	s_or_b64 exec, exec, s[0:1]
	v_or_b32_e32 v10, 0x900, v0
	v_cmp_gt_u32_e32 vcc, s33, v10
	s_and_saveexec_b64 s[0:1], vcc
	s_cbranch_execz .LBB1665_158
; %bb.157:
	v_cvt_f32_u32_e32 v8, v8
	v_add_co_u32_e32 v10, vcc, 0x2000, v4
	v_addc_co_u32_e32 v11, vcc, 0, v5, vcc
	flat_store_dword v[10:11], v8 offset:1024
.LBB1665_158:
	s_or_b64 exec, exec, s[0:1]
	v_or_b32_e32 v8, 0xa00, v0
	v_cmp_gt_u32_e32 vcc, s33, v8
	s_and_saveexec_b64 s[0:1], vcc
	s_cbranch_execz .LBB1665_160
; %bb.159:
	v_cvt_f32_u32_e32 v10, v9
	v_add_co_u32_e32 v8, vcc, 0x2000, v4
	v_addc_co_u32_e32 v9, vcc, 0, v5, vcc
	flat_store_dword v[8:9], v10 offset:2048
.LBB1665_160:
	;; [unrolled: 11-line block ×3, first 2 shown]
	s_or_b64 exec, exec, s[0:1]
	v_or_b32_e32 v6, 0xc00, v0
	v_cmp_gt_u32_e32 vcc, s33, v6
	s_and_saveexec_b64 s[0:1], vcc
	s_cbranch_execz .LBB1665_164
; %bb.163:
	v_cvt_f32_u32_e32 v6, v7
	v_add_co_u32_e32 v4, vcc, 0x3000, v4
	v_addc_co_u32_e32 v5, vcc, 0, v5, vcc
	flat_store_dword v[4:5], v6
.LBB1665_164:
	s_or_b64 exec, exec, s[0:1]
	v_or_b32_e32 v4, 0xd00, v0
	v_cmp_gt_u32_e64 s[0:1], s33, v4
	s_branch .LBB1665_167
.LBB1665_165:
	s_mov_b64 s[0:1], 0
                                        ; implicit-def: $vgpr3
	s_cbranch_execz .LBB1665_167
; %bb.166:
	s_movk_i32 s2, 0xffcc
	s_waitcnt lgkmcnt(0)
	s_barrier
	ds_write2_b64 v2, v[26:27], v[42:43] offset1:1
	ds_write2_b64 v2, v[30:31], v[44:45] offset0:2 offset1:3
	ds_write2_b64 v2, v[34:35], v[46:47] offset0:4 offset1:5
	ds_write_b64 v2, v[48:49] offset:48
	v_mad_i32_i24 v2, v0, s2, v2
	s_waitcnt lgkmcnt(0)
	s_barrier
	ds_read2st64_b32 v[4:5], v2 offset1:4
	ds_read2st64_b32 v[6:7], v2 offset0:8 offset1:12
	ds_read2st64_b32 v[8:9], v2 offset0:16 offset1:20
	;; [unrolled: 1-line block ×6, first 2 shown]
	s_waitcnt lgkmcnt(0)
	v_cvt_f32_u32_e32 v4, v4
	v_cvt_f32_u32_e32 v5, v5
	v_mov_b32_e32 v17, s5
	v_add_co_u32_e32 v16, vcc, s4, v50
	v_cvt_f32_u32_e32 v6, v6
	v_addc_co_u32_e32 v17, vcc, 0, v17, vcc
	v_cvt_f32_u32_e32 v7, v7
	flat_store_dword v[16:17], v4
	flat_store_dword v[16:17], v5 offset:1024
	flat_store_dword v[16:17], v6 offset:2048
	;; [unrolled: 1-line block ×3, first 2 shown]
	v_cvt_f32_u32_e32 v6, v8
	s_movk_i32 s2, 0x1000
	v_cvt_f32_u32_e32 v7, v9
	v_add_co_u32_e32 v4, vcc, s2, v16
	v_cvt_f32_u32_e32 v8, v10
	v_addc_co_u32_e32 v5, vcc, 0, v17, vcc
	v_cvt_f32_u32_e32 v9, v11
	flat_store_dword v[4:5], v6
	flat_store_dword v[4:5], v7 offset:1024
	flat_store_dword v[4:5], v8 offset:2048
	;; [unrolled: 1-line block ×3, first 2 shown]
	v_cvt_f32_u32_e32 v6, v12
	s_movk_i32 s2, 0x2000
	v_cvt_f32_u32_e32 v7, v13
	v_add_co_u32_e32 v4, vcc, s2, v16
	v_cvt_f32_u32_e32 v8, v14
	v_cvt_f32_u32_e32 v2, v2
	v_addc_co_u32_e32 v5, vcc, 0, v17, vcc
	v_cvt_f32_u32_e32 v9, v15
	flat_store_dword v[4:5], v6
	flat_store_dword v[4:5], v7 offset:1024
	flat_store_dword v[4:5], v8 offset:2048
	;; [unrolled: 1-line block ×3, first 2 shown]
	v_add_co_u32_e32 v4, vcc, 0x3000, v16
	v_mov_b32_e32 v1, 0
	v_addc_co_u32_e32 v5, vcc, 0, v17, vcc
	s_or_b64 s[0:1], s[0:1], exec
	flat_store_dword v[4:5], v2
.LBB1665_167:
	s_and_saveexec_b64 s[2:3], s[0:1]
	s_cbranch_execnz .LBB1665_169
; %bb.168:
	s_endpgm
.LBB1665_169:
	v_lshlrev_b64 v[0:1], 2, v[0:1]
	v_mov_b32_e32 v2, s5
	v_add_co_u32_e32 v0, vcc, s4, v0
	v_addc_co_u32_e32 v1, vcc, v2, v1, vcc
	v_cvt_f32_u32_e32 v2, v3
	v_add_co_u32_e32 v0, vcc, 0x3000, v0
	v_addc_co_u32_e32 v1, vcc, 0, v1, vcc
	flat_store_dword v[0:1], v2 offset:1024
	s_endpgm
.LBB1665_170:
	v_mov_b32_e32 v13, s55
	v_add_co_u32_e32 v14, vcc, s7, v12
	v_addc_co_u32_e32 v15, vcc, 0, v13, vcc
	flat_load_dword v13, v[14:15]
	s_or_b64 exec, exec, s[44:45]
                                        ; implicit-def: $vgpr14
	s_and_saveexec_b64 s[2:3], s[4:5]
	s_cbranch_execz .LBB1665_37
.LBB1665_171:
	v_mov_b32_e32 v15, s55
	v_add_co_u32_e32 v14, vcc, s7, v12
	v_addc_co_u32_e32 v15, vcc, 0, v15, vcc
	flat_load_dword v14, v[14:15] offset:1024
	s_or_b64 exec, exec, s[2:3]
                                        ; implicit-def: $vgpr15
	s_and_saveexec_b64 s[2:3], s[30:31]
	s_cbranch_execz .LBB1665_38
.LBB1665_172:
	v_mov_b32_e32 v15, s55
	v_add_co_u32_e32 v16, vcc, s7, v12
	v_addc_co_u32_e32 v17, vcc, 0, v15, vcc
	flat_load_dword v15, v[16:17] offset:2048
	s_or_b64 exec, exec, s[2:3]
                                        ; implicit-def: $vgpr16
	s_and_saveexec_b64 s[2:3], s[8:9]
	s_cbranch_execz .LBB1665_39
.LBB1665_173:
	v_mov_b32_e32 v17, s55
	v_add_co_u32_e32 v16, vcc, s7, v12
	v_addc_co_u32_e32 v17, vcc, 0, v17, vcc
	flat_load_dword v16, v[16:17] offset:3072
	s_or_b64 exec, exec, s[2:3]
                                        ; implicit-def: $vgpr17
	s_and_saveexec_b64 s[2:3], s[10:11]
	s_cbranch_execz .LBB1665_40
.LBB1665_174:
	v_lshlrev_b32_e32 v2, 2, v2
	v_mov_b32_e32 v17, s55
	v_add_co_u32_e32 v18, vcc, s7, v2
	v_addc_co_u32_e32 v19, vcc, 0, v17, vcc
	flat_load_dword v17, v[18:19]
	s_or_b64 exec, exec, s[2:3]
                                        ; implicit-def: $vgpr2
	s_and_saveexec_b64 s[2:3], s[12:13]
	s_cbranch_execz .LBB1665_41
.LBB1665_175:
	v_lshlrev_b32_e32 v2, 2, v3
	v_mov_b32_e32 v3, s55
	v_add_co_u32_e32 v2, vcc, s7, v2
	v_addc_co_u32_e32 v3, vcc, 0, v3, vcc
	flat_load_dword v2, v[2:3]
	s_or_b64 exec, exec, s[2:3]
                                        ; implicit-def: $vgpr3
	s_and_saveexec_b64 s[2:3], s[14:15]
	s_cbranch_execz .LBB1665_42
.LBB1665_176:
	v_lshlrev_b32_e32 v3, 2, v4
	v_mov_b32_e32 v4, s55
	v_add_co_u32_e32 v18, vcc, s7, v3
	v_addc_co_u32_e32 v19, vcc, 0, v4, vcc
	flat_load_dword v3, v[18:19]
	s_or_b64 exec, exec, s[2:3]
                                        ; implicit-def: $vgpr4
	s_and_saveexec_b64 s[2:3], s[16:17]
	s_cbranch_execz .LBB1665_43
.LBB1665_177:
	v_lshlrev_b32_e32 v4, 2, v5
	v_mov_b32_e32 v5, s55
	v_add_co_u32_e32 v4, vcc, s7, v4
	v_addc_co_u32_e32 v5, vcc, 0, v5, vcc
	flat_load_dword v4, v[4:5]
	s_or_b64 exec, exec, s[2:3]
                                        ; implicit-def: $vgpr5
	s_and_saveexec_b64 s[2:3], s[18:19]
	s_cbranch_execz .LBB1665_44
.LBB1665_178:
	v_lshlrev_b32_e32 v5, 2, v6
	v_mov_b32_e32 v6, s55
	v_add_co_u32_e32 v18, vcc, s7, v5
	v_addc_co_u32_e32 v19, vcc, 0, v6, vcc
	flat_load_dword v5, v[18:19]
	s_or_b64 exec, exec, s[2:3]
                                        ; implicit-def: $vgpr6
	s_and_saveexec_b64 s[2:3], s[20:21]
	s_cbranch_execz .LBB1665_45
.LBB1665_179:
	v_lshlrev_b32_e32 v6, 2, v7
	v_mov_b32_e32 v7, s55
	v_add_co_u32_e32 v6, vcc, s7, v6
	v_addc_co_u32_e32 v7, vcc, 0, v7, vcc
	flat_load_dword v6, v[6:7]
	s_or_b64 exec, exec, s[2:3]
                                        ; implicit-def: $vgpr7
	s_and_saveexec_b64 s[2:3], s[22:23]
	s_cbranch_execz .LBB1665_46
.LBB1665_180:
	v_lshlrev_b32_e32 v7, 2, v8
	v_mov_b32_e32 v8, s55
	v_add_co_u32_e32 v18, vcc, s7, v7
	v_addc_co_u32_e32 v19, vcc, 0, v8, vcc
	flat_load_dword v7, v[18:19]
	s_or_b64 exec, exec, s[2:3]
                                        ; implicit-def: $vgpr8
	s_and_saveexec_b64 s[2:3], s[24:25]
	s_cbranch_execz .LBB1665_47
.LBB1665_181:
	v_lshlrev_b32_e32 v8, 2, v9
	v_mov_b32_e32 v9, s55
	v_add_co_u32_e32 v8, vcc, s7, v8
	v_addc_co_u32_e32 v9, vcc, 0, v9, vcc
	flat_load_dword v8, v[8:9]
	s_or_b64 exec, exec, s[2:3]
                                        ; implicit-def: $vgpr9
	s_and_saveexec_b64 s[2:3], s[26:27]
	s_cbranch_execz .LBB1665_48
.LBB1665_182:
	v_lshlrev_b32_e32 v9, 2, v10
	v_mov_b32_e32 v10, s55
	v_add_co_u32_e32 v18, vcc, s7, v9
	v_addc_co_u32_e32 v19, vcc, 0, v10, vcc
	flat_load_dword v9, v[18:19]
	s_or_b64 exec, exec, s[2:3]
                                        ; implicit-def: $vgpr10
	s_and_saveexec_b64 s[2:3], s[28:29]
	s_cbranch_execnz .LBB1665_49
	s_branch .LBB1665_50
.LBB1665_183:
                                        ; implicit-def: $sgpr44_sgpr45
	s_branch .LBB1665_32
.LBB1665_184:
                                        ; implicit-def: $sgpr2_sgpr3
	s_branch .LBB1665_81
	.section	.rodata,"a",@progbits
	.p2align	6, 0x0
	.amdhsa_kernel _ZN7rocprim17ROCPRIM_400000_NS6detail17trampoline_kernelINS0_14default_configENS1_27scan_by_key_config_selectorIijEEZZNS1_16scan_by_key_implILNS1_25lookback_scan_determinismE0ELb0ES3_N6thrust23THRUST_200600_302600_NS6detail15normal_iteratorINS9_10device_ptrIiEEEENSB_INSC_IjEEEENSB_INSC_IfEEEEjNS9_4plusIvEENS9_8equal_toIvEEjEE10hipError_tPvRmT2_T3_T4_T5_mT6_T7_P12ihipStream_tbENKUlT_T0_E_clISt17integral_constantIbLb1EES12_IbLb0EEEEDaSY_SZ_EUlSY_E_NS1_11comp_targetILNS1_3genE4ELNS1_11target_archE910ELNS1_3gpuE8ELNS1_3repE0EEENS1_30default_config_static_selectorELNS0_4arch9wavefront6targetE1EEEvT1_
		.amdhsa_group_segment_fixed_size 16384
		.amdhsa_private_segment_fixed_size 0
		.amdhsa_kernarg_size 112
		.amdhsa_user_sgpr_count 6
		.amdhsa_user_sgpr_private_segment_buffer 1
		.amdhsa_user_sgpr_dispatch_ptr 0
		.amdhsa_user_sgpr_queue_ptr 0
		.amdhsa_user_sgpr_kernarg_segment_ptr 1
		.amdhsa_user_sgpr_dispatch_id 0
		.amdhsa_user_sgpr_flat_scratch_init 0
		.amdhsa_user_sgpr_kernarg_preload_length 0
		.amdhsa_user_sgpr_kernarg_preload_offset 0
		.amdhsa_user_sgpr_private_segment_size 0
		.amdhsa_uses_dynamic_stack 0
		.amdhsa_system_sgpr_private_segment_wavefront_offset 0
		.amdhsa_system_sgpr_workgroup_id_x 1
		.amdhsa_system_sgpr_workgroup_id_y 0
		.amdhsa_system_sgpr_workgroup_id_z 0
		.amdhsa_system_sgpr_workgroup_info 0
		.amdhsa_system_vgpr_workitem_id 0
		.amdhsa_next_free_vgpr 65
		.amdhsa_next_free_sgpr 61
		.amdhsa_accum_offset 68
		.amdhsa_reserve_vcc 1
		.amdhsa_reserve_flat_scratch 0
		.amdhsa_float_round_mode_32 0
		.amdhsa_float_round_mode_16_64 0
		.amdhsa_float_denorm_mode_32 3
		.amdhsa_float_denorm_mode_16_64 3
		.amdhsa_dx10_clamp 1
		.amdhsa_ieee_mode 1
		.amdhsa_fp16_overflow 0
		.amdhsa_tg_split 0
		.amdhsa_exception_fp_ieee_invalid_op 0
		.amdhsa_exception_fp_denorm_src 0
		.amdhsa_exception_fp_ieee_div_zero 0
		.amdhsa_exception_fp_ieee_overflow 0
		.amdhsa_exception_fp_ieee_underflow 0
		.amdhsa_exception_fp_ieee_inexact 0
		.amdhsa_exception_int_div_zero 0
	.end_amdhsa_kernel
	.section	.text._ZN7rocprim17ROCPRIM_400000_NS6detail17trampoline_kernelINS0_14default_configENS1_27scan_by_key_config_selectorIijEEZZNS1_16scan_by_key_implILNS1_25lookback_scan_determinismE0ELb0ES3_N6thrust23THRUST_200600_302600_NS6detail15normal_iteratorINS9_10device_ptrIiEEEENSB_INSC_IjEEEENSB_INSC_IfEEEEjNS9_4plusIvEENS9_8equal_toIvEEjEE10hipError_tPvRmT2_T3_T4_T5_mT6_T7_P12ihipStream_tbENKUlT_T0_E_clISt17integral_constantIbLb1EES12_IbLb0EEEEDaSY_SZ_EUlSY_E_NS1_11comp_targetILNS1_3genE4ELNS1_11target_archE910ELNS1_3gpuE8ELNS1_3repE0EEENS1_30default_config_static_selectorELNS0_4arch9wavefront6targetE1EEEvT1_,"axG",@progbits,_ZN7rocprim17ROCPRIM_400000_NS6detail17trampoline_kernelINS0_14default_configENS1_27scan_by_key_config_selectorIijEEZZNS1_16scan_by_key_implILNS1_25lookback_scan_determinismE0ELb0ES3_N6thrust23THRUST_200600_302600_NS6detail15normal_iteratorINS9_10device_ptrIiEEEENSB_INSC_IjEEEENSB_INSC_IfEEEEjNS9_4plusIvEENS9_8equal_toIvEEjEE10hipError_tPvRmT2_T3_T4_T5_mT6_T7_P12ihipStream_tbENKUlT_T0_E_clISt17integral_constantIbLb1EES12_IbLb0EEEEDaSY_SZ_EUlSY_E_NS1_11comp_targetILNS1_3genE4ELNS1_11target_archE910ELNS1_3gpuE8ELNS1_3repE0EEENS1_30default_config_static_selectorELNS0_4arch9wavefront6targetE1EEEvT1_,comdat
.Lfunc_end1665:
	.size	_ZN7rocprim17ROCPRIM_400000_NS6detail17trampoline_kernelINS0_14default_configENS1_27scan_by_key_config_selectorIijEEZZNS1_16scan_by_key_implILNS1_25lookback_scan_determinismE0ELb0ES3_N6thrust23THRUST_200600_302600_NS6detail15normal_iteratorINS9_10device_ptrIiEEEENSB_INSC_IjEEEENSB_INSC_IfEEEEjNS9_4plusIvEENS9_8equal_toIvEEjEE10hipError_tPvRmT2_T3_T4_T5_mT6_T7_P12ihipStream_tbENKUlT_T0_E_clISt17integral_constantIbLb1EES12_IbLb0EEEEDaSY_SZ_EUlSY_E_NS1_11comp_targetILNS1_3genE4ELNS1_11target_archE910ELNS1_3gpuE8ELNS1_3repE0EEENS1_30default_config_static_selectorELNS0_4arch9wavefront6targetE1EEEvT1_, .Lfunc_end1665-_ZN7rocprim17ROCPRIM_400000_NS6detail17trampoline_kernelINS0_14default_configENS1_27scan_by_key_config_selectorIijEEZZNS1_16scan_by_key_implILNS1_25lookback_scan_determinismE0ELb0ES3_N6thrust23THRUST_200600_302600_NS6detail15normal_iteratorINS9_10device_ptrIiEEEENSB_INSC_IjEEEENSB_INSC_IfEEEEjNS9_4plusIvEENS9_8equal_toIvEEjEE10hipError_tPvRmT2_T3_T4_T5_mT6_T7_P12ihipStream_tbENKUlT_T0_E_clISt17integral_constantIbLb1EES12_IbLb0EEEEDaSY_SZ_EUlSY_E_NS1_11comp_targetILNS1_3genE4ELNS1_11target_archE910ELNS1_3gpuE8ELNS1_3repE0EEENS1_30default_config_static_selectorELNS0_4arch9wavefront6targetE1EEEvT1_
                                        ; -- End function
	.section	.AMDGPU.csdata,"",@progbits
; Kernel info:
; codeLenInByte = 11136
; NumSgprs: 65
; NumVgprs: 65
; NumAgprs: 0
; TotalNumVgprs: 65
; ScratchSize: 0
; MemoryBound: 0
; FloatMode: 240
; IeeeMode: 1
; LDSByteSize: 16384 bytes/workgroup (compile time only)
; SGPRBlocks: 8
; VGPRBlocks: 8
; NumSGPRsForWavesPerEU: 65
; NumVGPRsForWavesPerEU: 65
; AccumOffset: 68
; Occupancy: 4
; WaveLimiterHint : 1
; COMPUTE_PGM_RSRC2:SCRATCH_EN: 0
; COMPUTE_PGM_RSRC2:USER_SGPR: 6
; COMPUTE_PGM_RSRC2:TRAP_HANDLER: 0
; COMPUTE_PGM_RSRC2:TGID_X_EN: 1
; COMPUTE_PGM_RSRC2:TGID_Y_EN: 0
; COMPUTE_PGM_RSRC2:TGID_Z_EN: 0
; COMPUTE_PGM_RSRC2:TIDIG_COMP_CNT: 0
; COMPUTE_PGM_RSRC3_GFX90A:ACCUM_OFFSET: 16
; COMPUTE_PGM_RSRC3_GFX90A:TG_SPLIT: 0
	.section	.text._ZN7rocprim17ROCPRIM_400000_NS6detail17trampoline_kernelINS0_14default_configENS1_27scan_by_key_config_selectorIijEEZZNS1_16scan_by_key_implILNS1_25lookback_scan_determinismE0ELb0ES3_N6thrust23THRUST_200600_302600_NS6detail15normal_iteratorINS9_10device_ptrIiEEEENSB_INSC_IjEEEENSB_INSC_IfEEEEjNS9_4plusIvEENS9_8equal_toIvEEjEE10hipError_tPvRmT2_T3_T4_T5_mT6_T7_P12ihipStream_tbENKUlT_T0_E_clISt17integral_constantIbLb1EES12_IbLb0EEEEDaSY_SZ_EUlSY_E_NS1_11comp_targetILNS1_3genE3ELNS1_11target_archE908ELNS1_3gpuE7ELNS1_3repE0EEENS1_30default_config_static_selectorELNS0_4arch9wavefront6targetE1EEEvT1_,"axG",@progbits,_ZN7rocprim17ROCPRIM_400000_NS6detail17trampoline_kernelINS0_14default_configENS1_27scan_by_key_config_selectorIijEEZZNS1_16scan_by_key_implILNS1_25lookback_scan_determinismE0ELb0ES3_N6thrust23THRUST_200600_302600_NS6detail15normal_iteratorINS9_10device_ptrIiEEEENSB_INSC_IjEEEENSB_INSC_IfEEEEjNS9_4plusIvEENS9_8equal_toIvEEjEE10hipError_tPvRmT2_T3_T4_T5_mT6_T7_P12ihipStream_tbENKUlT_T0_E_clISt17integral_constantIbLb1EES12_IbLb0EEEEDaSY_SZ_EUlSY_E_NS1_11comp_targetILNS1_3genE3ELNS1_11target_archE908ELNS1_3gpuE7ELNS1_3repE0EEENS1_30default_config_static_selectorELNS0_4arch9wavefront6targetE1EEEvT1_,comdat
	.protected	_ZN7rocprim17ROCPRIM_400000_NS6detail17trampoline_kernelINS0_14default_configENS1_27scan_by_key_config_selectorIijEEZZNS1_16scan_by_key_implILNS1_25lookback_scan_determinismE0ELb0ES3_N6thrust23THRUST_200600_302600_NS6detail15normal_iteratorINS9_10device_ptrIiEEEENSB_INSC_IjEEEENSB_INSC_IfEEEEjNS9_4plusIvEENS9_8equal_toIvEEjEE10hipError_tPvRmT2_T3_T4_T5_mT6_T7_P12ihipStream_tbENKUlT_T0_E_clISt17integral_constantIbLb1EES12_IbLb0EEEEDaSY_SZ_EUlSY_E_NS1_11comp_targetILNS1_3genE3ELNS1_11target_archE908ELNS1_3gpuE7ELNS1_3repE0EEENS1_30default_config_static_selectorELNS0_4arch9wavefront6targetE1EEEvT1_ ; -- Begin function _ZN7rocprim17ROCPRIM_400000_NS6detail17trampoline_kernelINS0_14default_configENS1_27scan_by_key_config_selectorIijEEZZNS1_16scan_by_key_implILNS1_25lookback_scan_determinismE0ELb0ES3_N6thrust23THRUST_200600_302600_NS6detail15normal_iteratorINS9_10device_ptrIiEEEENSB_INSC_IjEEEENSB_INSC_IfEEEEjNS9_4plusIvEENS9_8equal_toIvEEjEE10hipError_tPvRmT2_T3_T4_T5_mT6_T7_P12ihipStream_tbENKUlT_T0_E_clISt17integral_constantIbLb1EES12_IbLb0EEEEDaSY_SZ_EUlSY_E_NS1_11comp_targetILNS1_3genE3ELNS1_11target_archE908ELNS1_3gpuE7ELNS1_3repE0EEENS1_30default_config_static_selectorELNS0_4arch9wavefront6targetE1EEEvT1_
	.globl	_ZN7rocprim17ROCPRIM_400000_NS6detail17trampoline_kernelINS0_14default_configENS1_27scan_by_key_config_selectorIijEEZZNS1_16scan_by_key_implILNS1_25lookback_scan_determinismE0ELb0ES3_N6thrust23THRUST_200600_302600_NS6detail15normal_iteratorINS9_10device_ptrIiEEEENSB_INSC_IjEEEENSB_INSC_IfEEEEjNS9_4plusIvEENS9_8equal_toIvEEjEE10hipError_tPvRmT2_T3_T4_T5_mT6_T7_P12ihipStream_tbENKUlT_T0_E_clISt17integral_constantIbLb1EES12_IbLb0EEEEDaSY_SZ_EUlSY_E_NS1_11comp_targetILNS1_3genE3ELNS1_11target_archE908ELNS1_3gpuE7ELNS1_3repE0EEENS1_30default_config_static_selectorELNS0_4arch9wavefront6targetE1EEEvT1_
	.p2align	8
	.type	_ZN7rocprim17ROCPRIM_400000_NS6detail17trampoline_kernelINS0_14default_configENS1_27scan_by_key_config_selectorIijEEZZNS1_16scan_by_key_implILNS1_25lookback_scan_determinismE0ELb0ES3_N6thrust23THRUST_200600_302600_NS6detail15normal_iteratorINS9_10device_ptrIiEEEENSB_INSC_IjEEEENSB_INSC_IfEEEEjNS9_4plusIvEENS9_8equal_toIvEEjEE10hipError_tPvRmT2_T3_T4_T5_mT6_T7_P12ihipStream_tbENKUlT_T0_E_clISt17integral_constantIbLb1EES12_IbLb0EEEEDaSY_SZ_EUlSY_E_NS1_11comp_targetILNS1_3genE3ELNS1_11target_archE908ELNS1_3gpuE7ELNS1_3repE0EEENS1_30default_config_static_selectorELNS0_4arch9wavefront6targetE1EEEvT1_,@function
_ZN7rocprim17ROCPRIM_400000_NS6detail17trampoline_kernelINS0_14default_configENS1_27scan_by_key_config_selectorIijEEZZNS1_16scan_by_key_implILNS1_25lookback_scan_determinismE0ELb0ES3_N6thrust23THRUST_200600_302600_NS6detail15normal_iteratorINS9_10device_ptrIiEEEENSB_INSC_IjEEEENSB_INSC_IfEEEEjNS9_4plusIvEENS9_8equal_toIvEEjEE10hipError_tPvRmT2_T3_T4_T5_mT6_T7_P12ihipStream_tbENKUlT_T0_E_clISt17integral_constantIbLb1EES12_IbLb0EEEEDaSY_SZ_EUlSY_E_NS1_11comp_targetILNS1_3genE3ELNS1_11target_archE908ELNS1_3gpuE7ELNS1_3repE0EEENS1_30default_config_static_selectorELNS0_4arch9wavefront6targetE1EEEvT1_: ; @_ZN7rocprim17ROCPRIM_400000_NS6detail17trampoline_kernelINS0_14default_configENS1_27scan_by_key_config_selectorIijEEZZNS1_16scan_by_key_implILNS1_25lookback_scan_determinismE0ELb0ES3_N6thrust23THRUST_200600_302600_NS6detail15normal_iteratorINS9_10device_ptrIiEEEENSB_INSC_IjEEEENSB_INSC_IfEEEEjNS9_4plusIvEENS9_8equal_toIvEEjEE10hipError_tPvRmT2_T3_T4_T5_mT6_T7_P12ihipStream_tbENKUlT_T0_E_clISt17integral_constantIbLb1EES12_IbLb0EEEEDaSY_SZ_EUlSY_E_NS1_11comp_targetILNS1_3genE3ELNS1_11target_archE908ELNS1_3gpuE7ELNS1_3repE0EEENS1_30default_config_static_selectorELNS0_4arch9wavefront6targetE1EEEvT1_
; %bb.0:
	.section	.rodata,"a",@progbits
	.p2align	6, 0x0
	.amdhsa_kernel _ZN7rocprim17ROCPRIM_400000_NS6detail17trampoline_kernelINS0_14default_configENS1_27scan_by_key_config_selectorIijEEZZNS1_16scan_by_key_implILNS1_25lookback_scan_determinismE0ELb0ES3_N6thrust23THRUST_200600_302600_NS6detail15normal_iteratorINS9_10device_ptrIiEEEENSB_INSC_IjEEEENSB_INSC_IfEEEEjNS9_4plusIvEENS9_8equal_toIvEEjEE10hipError_tPvRmT2_T3_T4_T5_mT6_T7_P12ihipStream_tbENKUlT_T0_E_clISt17integral_constantIbLb1EES12_IbLb0EEEEDaSY_SZ_EUlSY_E_NS1_11comp_targetILNS1_3genE3ELNS1_11target_archE908ELNS1_3gpuE7ELNS1_3repE0EEENS1_30default_config_static_selectorELNS0_4arch9wavefront6targetE1EEEvT1_
		.amdhsa_group_segment_fixed_size 0
		.amdhsa_private_segment_fixed_size 0
		.amdhsa_kernarg_size 112
		.amdhsa_user_sgpr_count 6
		.amdhsa_user_sgpr_private_segment_buffer 1
		.amdhsa_user_sgpr_dispatch_ptr 0
		.amdhsa_user_sgpr_queue_ptr 0
		.amdhsa_user_sgpr_kernarg_segment_ptr 1
		.amdhsa_user_sgpr_dispatch_id 0
		.amdhsa_user_sgpr_flat_scratch_init 0
		.amdhsa_user_sgpr_kernarg_preload_length 0
		.amdhsa_user_sgpr_kernarg_preload_offset 0
		.amdhsa_user_sgpr_private_segment_size 0
		.amdhsa_uses_dynamic_stack 0
		.amdhsa_system_sgpr_private_segment_wavefront_offset 0
		.amdhsa_system_sgpr_workgroup_id_x 1
		.amdhsa_system_sgpr_workgroup_id_y 0
		.amdhsa_system_sgpr_workgroup_id_z 0
		.amdhsa_system_sgpr_workgroup_info 0
		.amdhsa_system_vgpr_workitem_id 0
		.amdhsa_next_free_vgpr 1
		.amdhsa_next_free_sgpr 0
		.amdhsa_accum_offset 4
		.amdhsa_reserve_vcc 0
		.amdhsa_reserve_flat_scratch 0
		.amdhsa_float_round_mode_32 0
		.amdhsa_float_round_mode_16_64 0
		.amdhsa_float_denorm_mode_32 3
		.amdhsa_float_denorm_mode_16_64 3
		.amdhsa_dx10_clamp 1
		.amdhsa_ieee_mode 1
		.amdhsa_fp16_overflow 0
		.amdhsa_tg_split 0
		.amdhsa_exception_fp_ieee_invalid_op 0
		.amdhsa_exception_fp_denorm_src 0
		.amdhsa_exception_fp_ieee_div_zero 0
		.amdhsa_exception_fp_ieee_overflow 0
		.amdhsa_exception_fp_ieee_underflow 0
		.amdhsa_exception_fp_ieee_inexact 0
		.amdhsa_exception_int_div_zero 0
	.end_amdhsa_kernel
	.section	.text._ZN7rocprim17ROCPRIM_400000_NS6detail17trampoline_kernelINS0_14default_configENS1_27scan_by_key_config_selectorIijEEZZNS1_16scan_by_key_implILNS1_25lookback_scan_determinismE0ELb0ES3_N6thrust23THRUST_200600_302600_NS6detail15normal_iteratorINS9_10device_ptrIiEEEENSB_INSC_IjEEEENSB_INSC_IfEEEEjNS9_4plusIvEENS9_8equal_toIvEEjEE10hipError_tPvRmT2_T3_T4_T5_mT6_T7_P12ihipStream_tbENKUlT_T0_E_clISt17integral_constantIbLb1EES12_IbLb0EEEEDaSY_SZ_EUlSY_E_NS1_11comp_targetILNS1_3genE3ELNS1_11target_archE908ELNS1_3gpuE7ELNS1_3repE0EEENS1_30default_config_static_selectorELNS0_4arch9wavefront6targetE1EEEvT1_,"axG",@progbits,_ZN7rocprim17ROCPRIM_400000_NS6detail17trampoline_kernelINS0_14default_configENS1_27scan_by_key_config_selectorIijEEZZNS1_16scan_by_key_implILNS1_25lookback_scan_determinismE0ELb0ES3_N6thrust23THRUST_200600_302600_NS6detail15normal_iteratorINS9_10device_ptrIiEEEENSB_INSC_IjEEEENSB_INSC_IfEEEEjNS9_4plusIvEENS9_8equal_toIvEEjEE10hipError_tPvRmT2_T3_T4_T5_mT6_T7_P12ihipStream_tbENKUlT_T0_E_clISt17integral_constantIbLb1EES12_IbLb0EEEEDaSY_SZ_EUlSY_E_NS1_11comp_targetILNS1_3genE3ELNS1_11target_archE908ELNS1_3gpuE7ELNS1_3repE0EEENS1_30default_config_static_selectorELNS0_4arch9wavefront6targetE1EEEvT1_,comdat
.Lfunc_end1666:
	.size	_ZN7rocprim17ROCPRIM_400000_NS6detail17trampoline_kernelINS0_14default_configENS1_27scan_by_key_config_selectorIijEEZZNS1_16scan_by_key_implILNS1_25lookback_scan_determinismE0ELb0ES3_N6thrust23THRUST_200600_302600_NS6detail15normal_iteratorINS9_10device_ptrIiEEEENSB_INSC_IjEEEENSB_INSC_IfEEEEjNS9_4plusIvEENS9_8equal_toIvEEjEE10hipError_tPvRmT2_T3_T4_T5_mT6_T7_P12ihipStream_tbENKUlT_T0_E_clISt17integral_constantIbLb1EES12_IbLb0EEEEDaSY_SZ_EUlSY_E_NS1_11comp_targetILNS1_3genE3ELNS1_11target_archE908ELNS1_3gpuE7ELNS1_3repE0EEENS1_30default_config_static_selectorELNS0_4arch9wavefront6targetE1EEEvT1_, .Lfunc_end1666-_ZN7rocprim17ROCPRIM_400000_NS6detail17trampoline_kernelINS0_14default_configENS1_27scan_by_key_config_selectorIijEEZZNS1_16scan_by_key_implILNS1_25lookback_scan_determinismE0ELb0ES3_N6thrust23THRUST_200600_302600_NS6detail15normal_iteratorINS9_10device_ptrIiEEEENSB_INSC_IjEEEENSB_INSC_IfEEEEjNS9_4plusIvEENS9_8equal_toIvEEjEE10hipError_tPvRmT2_T3_T4_T5_mT6_T7_P12ihipStream_tbENKUlT_T0_E_clISt17integral_constantIbLb1EES12_IbLb0EEEEDaSY_SZ_EUlSY_E_NS1_11comp_targetILNS1_3genE3ELNS1_11target_archE908ELNS1_3gpuE7ELNS1_3repE0EEENS1_30default_config_static_selectorELNS0_4arch9wavefront6targetE1EEEvT1_
                                        ; -- End function
	.section	.AMDGPU.csdata,"",@progbits
; Kernel info:
; codeLenInByte = 0
; NumSgprs: 4
; NumVgprs: 0
; NumAgprs: 0
; TotalNumVgprs: 0
; ScratchSize: 0
; MemoryBound: 0
; FloatMode: 240
; IeeeMode: 1
; LDSByteSize: 0 bytes/workgroup (compile time only)
; SGPRBlocks: 0
; VGPRBlocks: 0
; NumSGPRsForWavesPerEU: 4
; NumVGPRsForWavesPerEU: 1
; AccumOffset: 4
; Occupancy: 8
; WaveLimiterHint : 0
; COMPUTE_PGM_RSRC2:SCRATCH_EN: 0
; COMPUTE_PGM_RSRC2:USER_SGPR: 6
; COMPUTE_PGM_RSRC2:TRAP_HANDLER: 0
; COMPUTE_PGM_RSRC2:TGID_X_EN: 1
; COMPUTE_PGM_RSRC2:TGID_Y_EN: 0
; COMPUTE_PGM_RSRC2:TGID_Z_EN: 0
; COMPUTE_PGM_RSRC2:TIDIG_COMP_CNT: 0
; COMPUTE_PGM_RSRC3_GFX90A:ACCUM_OFFSET: 0
; COMPUTE_PGM_RSRC3_GFX90A:TG_SPLIT: 0
	.section	.text._ZN7rocprim17ROCPRIM_400000_NS6detail17trampoline_kernelINS0_14default_configENS1_27scan_by_key_config_selectorIijEEZZNS1_16scan_by_key_implILNS1_25lookback_scan_determinismE0ELb0ES3_N6thrust23THRUST_200600_302600_NS6detail15normal_iteratorINS9_10device_ptrIiEEEENSB_INSC_IjEEEENSB_INSC_IfEEEEjNS9_4plusIvEENS9_8equal_toIvEEjEE10hipError_tPvRmT2_T3_T4_T5_mT6_T7_P12ihipStream_tbENKUlT_T0_E_clISt17integral_constantIbLb1EES12_IbLb0EEEEDaSY_SZ_EUlSY_E_NS1_11comp_targetILNS1_3genE2ELNS1_11target_archE906ELNS1_3gpuE6ELNS1_3repE0EEENS1_30default_config_static_selectorELNS0_4arch9wavefront6targetE1EEEvT1_,"axG",@progbits,_ZN7rocprim17ROCPRIM_400000_NS6detail17trampoline_kernelINS0_14default_configENS1_27scan_by_key_config_selectorIijEEZZNS1_16scan_by_key_implILNS1_25lookback_scan_determinismE0ELb0ES3_N6thrust23THRUST_200600_302600_NS6detail15normal_iteratorINS9_10device_ptrIiEEEENSB_INSC_IjEEEENSB_INSC_IfEEEEjNS9_4plusIvEENS9_8equal_toIvEEjEE10hipError_tPvRmT2_T3_T4_T5_mT6_T7_P12ihipStream_tbENKUlT_T0_E_clISt17integral_constantIbLb1EES12_IbLb0EEEEDaSY_SZ_EUlSY_E_NS1_11comp_targetILNS1_3genE2ELNS1_11target_archE906ELNS1_3gpuE6ELNS1_3repE0EEENS1_30default_config_static_selectorELNS0_4arch9wavefront6targetE1EEEvT1_,comdat
	.protected	_ZN7rocprim17ROCPRIM_400000_NS6detail17trampoline_kernelINS0_14default_configENS1_27scan_by_key_config_selectorIijEEZZNS1_16scan_by_key_implILNS1_25lookback_scan_determinismE0ELb0ES3_N6thrust23THRUST_200600_302600_NS6detail15normal_iteratorINS9_10device_ptrIiEEEENSB_INSC_IjEEEENSB_INSC_IfEEEEjNS9_4plusIvEENS9_8equal_toIvEEjEE10hipError_tPvRmT2_T3_T4_T5_mT6_T7_P12ihipStream_tbENKUlT_T0_E_clISt17integral_constantIbLb1EES12_IbLb0EEEEDaSY_SZ_EUlSY_E_NS1_11comp_targetILNS1_3genE2ELNS1_11target_archE906ELNS1_3gpuE6ELNS1_3repE0EEENS1_30default_config_static_selectorELNS0_4arch9wavefront6targetE1EEEvT1_ ; -- Begin function _ZN7rocprim17ROCPRIM_400000_NS6detail17trampoline_kernelINS0_14default_configENS1_27scan_by_key_config_selectorIijEEZZNS1_16scan_by_key_implILNS1_25lookback_scan_determinismE0ELb0ES3_N6thrust23THRUST_200600_302600_NS6detail15normal_iteratorINS9_10device_ptrIiEEEENSB_INSC_IjEEEENSB_INSC_IfEEEEjNS9_4plusIvEENS9_8equal_toIvEEjEE10hipError_tPvRmT2_T3_T4_T5_mT6_T7_P12ihipStream_tbENKUlT_T0_E_clISt17integral_constantIbLb1EES12_IbLb0EEEEDaSY_SZ_EUlSY_E_NS1_11comp_targetILNS1_3genE2ELNS1_11target_archE906ELNS1_3gpuE6ELNS1_3repE0EEENS1_30default_config_static_selectorELNS0_4arch9wavefront6targetE1EEEvT1_
	.globl	_ZN7rocprim17ROCPRIM_400000_NS6detail17trampoline_kernelINS0_14default_configENS1_27scan_by_key_config_selectorIijEEZZNS1_16scan_by_key_implILNS1_25lookback_scan_determinismE0ELb0ES3_N6thrust23THRUST_200600_302600_NS6detail15normal_iteratorINS9_10device_ptrIiEEEENSB_INSC_IjEEEENSB_INSC_IfEEEEjNS9_4plusIvEENS9_8equal_toIvEEjEE10hipError_tPvRmT2_T3_T4_T5_mT6_T7_P12ihipStream_tbENKUlT_T0_E_clISt17integral_constantIbLb1EES12_IbLb0EEEEDaSY_SZ_EUlSY_E_NS1_11comp_targetILNS1_3genE2ELNS1_11target_archE906ELNS1_3gpuE6ELNS1_3repE0EEENS1_30default_config_static_selectorELNS0_4arch9wavefront6targetE1EEEvT1_
	.p2align	8
	.type	_ZN7rocprim17ROCPRIM_400000_NS6detail17trampoline_kernelINS0_14default_configENS1_27scan_by_key_config_selectorIijEEZZNS1_16scan_by_key_implILNS1_25lookback_scan_determinismE0ELb0ES3_N6thrust23THRUST_200600_302600_NS6detail15normal_iteratorINS9_10device_ptrIiEEEENSB_INSC_IjEEEENSB_INSC_IfEEEEjNS9_4plusIvEENS9_8equal_toIvEEjEE10hipError_tPvRmT2_T3_T4_T5_mT6_T7_P12ihipStream_tbENKUlT_T0_E_clISt17integral_constantIbLb1EES12_IbLb0EEEEDaSY_SZ_EUlSY_E_NS1_11comp_targetILNS1_3genE2ELNS1_11target_archE906ELNS1_3gpuE6ELNS1_3repE0EEENS1_30default_config_static_selectorELNS0_4arch9wavefront6targetE1EEEvT1_,@function
_ZN7rocprim17ROCPRIM_400000_NS6detail17trampoline_kernelINS0_14default_configENS1_27scan_by_key_config_selectorIijEEZZNS1_16scan_by_key_implILNS1_25lookback_scan_determinismE0ELb0ES3_N6thrust23THRUST_200600_302600_NS6detail15normal_iteratorINS9_10device_ptrIiEEEENSB_INSC_IjEEEENSB_INSC_IfEEEEjNS9_4plusIvEENS9_8equal_toIvEEjEE10hipError_tPvRmT2_T3_T4_T5_mT6_T7_P12ihipStream_tbENKUlT_T0_E_clISt17integral_constantIbLb1EES12_IbLb0EEEEDaSY_SZ_EUlSY_E_NS1_11comp_targetILNS1_3genE2ELNS1_11target_archE906ELNS1_3gpuE6ELNS1_3repE0EEENS1_30default_config_static_selectorELNS0_4arch9wavefront6targetE1EEEvT1_: ; @_ZN7rocprim17ROCPRIM_400000_NS6detail17trampoline_kernelINS0_14default_configENS1_27scan_by_key_config_selectorIijEEZZNS1_16scan_by_key_implILNS1_25lookback_scan_determinismE0ELb0ES3_N6thrust23THRUST_200600_302600_NS6detail15normal_iteratorINS9_10device_ptrIiEEEENSB_INSC_IjEEEENSB_INSC_IfEEEEjNS9_4plusIvEENS9_8equal_toIvEEjEE10hipError_tPvRmT2_T3_T4_T5_mT6_T7_P12ihipStream_tbENKUlT_T0_E_clISt17integral_constantIbLb1EES12_IbLb0EEEEDaSY_SZ_EUlSY_E_NS1_11comp_targetILNS1_3genE2ELNS1_11target_archE906ELNS1_3gpuE6ELNS1_3repE0EEENS1_30default_config_static_selectorELNS0_4arch9wavefront6targetE1EEEvT1_
; %bb.0:
	.section	.rodata,"a",@progbits
	.p2align	6, 0x0
	.amdhsa_kernel _ZN7rocprim17ROCPRIM_400000_NS6detail17trampoline_kernelINS0_14default_configENS1_27scan_by_key_config_selectorIijEEZZNS1_16scan_by_key_implILNS1_25lookback_scan_determinismE0ELb0ES3_N6thrust23THRUST_200600_302600_NS6detail15normal_iteratorINS9_10device_ptrIiEEEENSB_INSC_IjEEEENSB_INSC_IfEEEEjNS9_4plusIvEENS9_8equal_toIvEEjEE10hipError_tPvRmT2_T3_T4_T5_mT6_T7_P12ihipStream_tbENKUlT_T0_E_clISt17integral_constantIbLb1EES12_IbLb0EEEEDaSY_SZ_EUlSY_E_NS1_11comp_targetILNS1_3genE2ELNS1_11target_archE906ELNS1_3gpuE6ELNS1_3repE0EEENS1_30default_config_static_selectorELNS0_4arch9wavefront6targetE1EEEvT1_
		.amdhsa_group_segment_fixed_size 0
		.amdhsa_private_segment_fixed_size 0
		.amdhsa_kernarg_size 112
		.amdhsa_user_sgpr_count 6
		.amdhsa_user_sgpr_private_segment_buffer 1
		.amdhsa_user_sgpr_dispatch_ptr 0
		.amdhsa_user_sgpr_queue_ptr 0
		.amdhsa_user_sgpr_kernarg_segment_ptr 1
		.amdhsa_user_sgpr_dispatch_id 0
		.amdhsa_user_sgpr_flat_scratch_init 0
		.amdhsa_user_sgpr_kernarg_preload_length 0
		.amdhsa_user_sgpr_kernarg_preload_offset 0
		.amdhsa_user_sgpr_private_segment_size 0
		.amdhsa_uses_dynamic_stack 0
		.amdhsa_system_sgpr_private_segment_wavefront_offset 0
		.amdhsa_system_sgpr_workgroup_id_x 1
		.amdhsa_system_sgpr_workgroup_id_y 0
		.amdhsa_system_sgpr_workgroup_id_z 0
		.amdhsa_system_sgpr_workgroup_info 0
		.amdhsa_system_vgpr_workitem_id 0
		.amdhsa_next_free_vgpr 1
		.amdhsa_next_free_sgpr 0
		.amdhsa_accum_offset 4
		.amdhsa_reserve_vcc 0
		.amdhsa_reserve_flat_scratch 0
		.amdhsa_float_round_mode_32 0
		.amdhsa_float_round_mode_16_64 0
		.amdhsa_float_denorm_mode_32 3
		.amdhsa_float_denorm_mode_16_64 3
		.amdhsa_dx10_clamp 1
		.amdhsa_ieee_mode 1
		.amdhsa_fp16_overflow 0
		.amdhsa_tg_split 0
		.amdhsa_exception_fp_ieee_invalid_op 0
		.amdhsa_exception_fp_denorm_src 0
		.amdhsa_exception_fp_ieee_div_zero 0
		.amdhsa_exception_fp_ieee_overflow 0
		.amdhsa_exception_fp_ieee_underflow 0
		.amdhsa_exception_fp_ieee_inexact 0
		.amdhsa_exception_int_div_zero 0
	.end_amdhsa_kernel
	.section	.text._ZN7rocprim17ROCPRIM_400000_NS6detail17trampoline_kernelINS0_14default_configENS1_27scan_by_key_config_selectorIijEEZZNS1_16scan_by_key_implILNS1_25lookback_scan_determinismE0ELb0ES3_N6thrust23THRUST_200600_302600_NS6detail15normal_iteratorINS9_10device_ptrIiEEEENSB_INSC_IjEEEENSB_INSC_IfEEEEjNS9_4plusIvEENS9_8equal_toIvEEjEE10hipError_tPvRmT2_T3_T4_T5_mT6_T7_P12ihipStream_tbENKUlT_T0_E_clISt17integral_constantIbLb1EES12_IbLb0EEEEDaSY_SZ_EUlSY_E_NS1_11comp_targetILNS1_3genE2ELNS1_11target_archE906ELNS1_3gpuE6ELNS1_3repE0EEENS1_30default_config_static_selectorELNS0_4arch9wavefront6targetE1EEEvT1_,"axG",@progbits,_ZN7rocprim17ROCPRIM_400000_NS6detail17trampoline_kernelINS0_14default_configENS1_27scan_by_key_config_selectorIijEEZZNS1_16scan_by_key_implILNS1_25lookback_scan_determinismE0ELb0ES3_N6thrust23THRUST_200600_302600_NS6detail15normal_iteratorINS9_10device_ptrIiEEEENSB_INSC_IjEEEENSB_INSC_IfEEEEjNS9_4plusIvEENS9_8equal_toIvEEjEE10hipError_tPvRmT2_T3_T4_T5_mT6_T7_P12ihipStream_tbENKUlT_T0_E_clISt17integral_constantIbLb1EES12_IbLb0EEEEDaSY_SZ_EUlSY_E_NS1_11comp_targetILNS1_3genE2ELNS1_11target_archE906ELNS1_3gpuE6ELNS1_3repE0EEENS1_30default_config_static_selectorELNS0_4arch9wavefront6targetE1EEEvT1_,comdat
.Lfunc_end1667:
	.size	_ZN7rocprim17ROCPRIM_400000_NS6detail17trampoline_kernelINS0_14default_configENS1_27scan_by_key_config_selectorIijEEZZNS1_16scan_by_key_implILNS1_25lookback_scan_determinismE0ELb0ES3_N6thrust23THRUST_200600_302600_NS6detail15normal_iteratorINS9_10device_ptrIiEEEENSB_INSC_IjEEEENSB_INSC_IfEEEEjNS9_4plusIvEENS9_8equal_toIvEEjEE10hipError_tPvRmT2_T3_T4_T5_mT6_T7_P12ihipStream_tbENKUlT_T0_E_clISt17integral_constantIbLb1EES12_IbLb0EEEEDaSY_SZ_EUlSY_E_NS1_11comp_targetILNS1_3genE2ELNS1_11target_archE906ELNS1_3gpuE6ELNS1_3repE0EEENS1_30default_config_static_selectorELNS0_4arch9wavefront6targetE1EEEvT1_, .Lfunc_end1667-_ZN7rocprim17ROCPRIM_400000_NS6detail17trampoline_kernelINS0_14default_configENS1_27scan_by_key_config_selectorIijEEZZNS1_16scan_by_key_implILNS1_25lookback_scan_determinismE0ELb0ES3_N6thrust23THRUST_200600_302600_NS6detail15normal_iteratorINS9_10device_ptrIiEEEENSB_INSC_IjEEEENSB_INSC_IfEEEEjNS9_4plusIvEENS9_8equal_toIvEEjEE10hipError_tPvRmT2_T3_T4_T5_mT6_T7_P12ihipStream_tbENKUlT_T0_E_clISt17integral_constantIbLb1EES12_IbLb0EEEEDaSY_SZ_EUlSY_E_NS1_11comp_targetILNS1_3genE2ELNS1_11target_archE906ELNS1_3gpuE6ELNS1_3repE0EEENS1_30default_config_static_selectorELNS0_4arch9wavefront6targetE1EEEvT1_
                                        ; -- End function
	.section	.AMDGPU.csdata,"",@progbits
; Kernel info:
; codeLenInByte = 0
; NumSgprs: 4
; NumVgprs: 0
; NumAgprs: 0
; TotalNumVgprs: 0
; ScratchSize: 0
; MemoryBound: 0
; FloatMode: 240
; IeeeMode: 1
; LDSByteSize: 0 bytes/workgroup (compile time only)
; SGPRBlocks: 0
; VGPRBlocks: 0
; NumSGPRsForWavesPerEU: 4
; NumVGPRsForWavesPerEU: 1
; AccumOffset: 4
; Occupancy: 8
; WaveLimiterHint : 0
; COMPUTE_PGM_RSRC2:SCRATCH_EN: 0
; COMPUTE_PGM_RSRC2:USER_SGPR: 6
; COMPUTE_PGM_RSRC2:TRAP_HANDLER: 0
; COMPUTE_PGM_RSRC2:TGID_X_EN: 1
; COMPUTE_PGM_RSRC2:TGID_Y_EN: 0
; COMPUTE_PGM_RSRC2:TGID_Z_EN: 0
; COMPUTE_PGM_RSRC2:TIDIG_COMP_CNT: 0
; COMPUTE_PGM_RSRC3_GFX90A:ACCUM_OFFSET: 0
; COMPUTE_PGM_RSRC3_GFX90A:TG_SPLIT: 0
	.section	.text._ZN7rocprim17ROCPRIM_400000_NS6detail17trampoline_kernelINS0_14default_configENS1_27scan_by_key_config_selectorIijEEZZNS1_16scan_by_key_implILNS1_25lookback_scan_determinismE0ELb0ES3_N6thrust23THRUST_200600_302600_NS6detail15normal_iteratorINS9_10device_ptrIiEEEENSB_INSC_IjEEEENSB_INSC_IfEEEEjNS9_4plusIvEENS9_8equal_toIvEEjEE10hipError_tPvRmT2_T3_T4_T5_mT6_T7_P12ihipStream_tbENKUlT_T0_E_clISt17integral_constantIbLb1EES12_IbLb0EEEEDaSY_SZ_EUlSY_E_NS1_11comp_targetILNS1_3genE10ELNS1_11target_archE1200ELNS1_3gpuE4ELNS1_3repE0EEENS1_30default_config_static_selectorELNS0_4arch9wavefront6targetE1EEEvT1_,"axG",@progbits,_ZN7rocprim17ROCPRIM_400000_NS6detail17trampoline_kernelINS0_14default_configENS1_27scan_by_key_config_selectorIijEEZZNS1_16scan_by_key_implILNS1_25lookback_scan_determinismE0ELb0ES3_N6thrust23THRUST_200600_302600_NS6detail15normal_iteratorINS9_10device_ptrIiEEEENSB_INSC_IjEEEENSB_INSC_IfEEEEjNS9_4plusIvEENS9_8equal_toIvEEjEE10hipError_tPvRmT2_T3_T4_T5_mT6_T7_P12ihipStream_tbENKUlT_T0_E_clISt17integral_constantIbLb1EES12_IbLb0EEEEDaSY_SZ_EUlSY_E_NS1_11comp_targetILNS1_3genE10ELNS1_11target_archE1200ELNS1_3gpuE4ELNS1_3repE0EEENS1_30default_config_static_selectorELNS0_4arch9wavefront6targetE1EEEvT1_,comdat
	.protected	_ZN7rocprim17ROCPRIM_400000_NS6detail17trampoline_kernelINS0_14default_configENS1_27scan_by_key_config_selectorIijEEZZNS1_16scan_by_key_implILNS1_25lookback_scan_determinismE0ELb0ES3_N6thrust23THRUST_200600_302600_NS6detail15normal_iteratorINS9_10device_ptrIiEEEENSB_INSC_IjEEEENSB_INSC_IfEEEEjNS9_4plusIvEENS9_8equal_toIvEEjEE10hipError_tPvRmT2_T3_T4_T5_mT6_T7_P12ihipStream_tbENKUlT_T0_E_clISt17integral_constantIbLb1EES12_IbLb0EEEEDaSY_SZ_EUlSY_E_NS1_11comp_targetILNS1_3genE10ELNS1_11target_archE1200ELNS1_3gpuE4ELNS1_3repE0EEENS1_30default_config_static_selectorELNS0_4arch9wavefront6targetE1EEEvT1_ ; -- Begin function _ZN7rocprim17ROCPRIM_400000_NS6detail17trampoline_kernelINS0_14default_configENS1_27scan_by_key_config_selectorIijEEZZNS1_16scan_by_key_implILNS1_25lookback_scan_determinismE0ELb0ES3_N6thrust23THRUST_200600_302600_NS6detail15normal_iteratorINS9_10device_ptrIiEEEENSB_INSC_IjEEEENSB_INSC_IfEEEEjNS9_4plusIvEENS9_8equal_toIvEEjEE10hipError_tPvRmT2_T3_T4_T5_mT6_T7_P12ihipStream_tbENKUlT_T0_E_clISt17integral_constantIbLb1EES12_IbLb0EEEEDaSY_SZ_EUlSY_E_NS1_11comp_targetILNS1_3genE10ELNS1_11target_archE1200ELNS1_3gpuE4ELNS1_3repE0EEENS1_30default_config_static_selectorELNS0_4arch9wavefront6targetE1EEEvT1_
	.globl	_ZN7rocprim17ROCPRIM_400000_NS6detail17trampoline_kernelINS0_14default_configENS1_27scan_by_key_config_selectorIijEEZZNS1_16scan_by_key_implILNS1_25lookback_scan_determinismE0ELb0ES3_N6thrust23THRUST_200600_302600_NS6detail15normal_iteratorINS9_10device_ptrIiEEEENSB_INSC_IjEEEENSB_INSC_IfEEEEjNS9_4plusIvEENS9_8equal_toIvEEjEE10hipError_tPvRmT2_T3_T4_T5_mT6_T7_P12ihipStream_tbENKUlT_T0_E_clISt17integral_constantIbLb1EES12_IbLb0EEEEDaSY_SZ_EUlSY_E_NS1_11comp_targetILNS1_3genE10ELNS1_11target_archE1200ELNS1_3gpuE4ELNS1_3repE0EEENS1_30default_config_static_selectorELNS0_4arch9wavefront6targetE1EEEvT1_
	.p2align	8
	.type	_ZN7rocprim17ROCPRIM_400000_NS6detail17trampoline_kernelINS0_14default_configENS1_27scan_by_key_config_selectorIijEEZZNS1_16scan_by_key_implILNS1_25lookback_scan_determinismE0ELb0ES3_N6thrust23THRUST_200600_302600_NS6detail15normal_iteratorINS9_10device_ptrIiEEEENSB_INSC_IjEEEENSB_INSC_IfEEEEjNS9_4plusIvEENS9_8equal_toIvEEjEE10hipError_tPvRmT2_T3_T4_T5_mT6_T7_P12ihipStream_tbENKUlT_T0_E_clISt17integral_constantIbLb1EES12_IbLb0EEEEDaSY_SZ_EUlSY_E_NS1_11comp_targetILNS1_3genE10ELNS1_11target_archE1200ELNS1_3gpuE4ELNS1_3repE0EEENS1_30default_config_static_selectorELNS0_4arch9wavefront6targetE1EEEvT1_,@function
_ZN7rocprim17ROCPRIM_400000_NS6detail17trampoline_kernelINS0_14default_configENS1_27scan_by_key_config_selectorIijEEZZNS1_16scan_by_key_implILNS1_25lookback_scan_determinismE0ELb0ES3_N6thrust23THRUST_200600_302600_NS6detail15normal_iteratorINS9_10device_ptrIiEEEENSB_INSC_IjEEEENSB_INSC_IfEEEEjNS9_4plusIvEENS9_8equal_toIvEEjEE10hipError_tPvRmT2_T3_T4_T5_mT6_T7_P12ihipStream_tbENKUlT_T0_E_clISt17integral_constantIbLb1EES12_IbLb0EEEEDaSY_SZ_EUlSY_E_NS1_11comp_targetILNS1_3genE10ELNS1_11target_archE1200ELNS1_3gpuE4ELNS1_3repE0EEENS1_30default_config_static_selectorELNS0_4arch9wavefront6targetE1EEEvT1_: ; @_ZN7rocprim17ROCPRIM_400000_NS6detail17trampoline_kernelINS0_14default_configENS1_27scan_by_key_config_selectorIijEEZZNS1_16scan_by_key_implILNS1_25lookback_scan_determinismE0ELb0ES3_N6thrust23THRUST_200600_302600_NS6detail15normal_iteratorINS9_10device_ptrIiEEEENSB_INSC_IjEEEENSB_INSC_IfEEEEjNS9_4plusIvEENS9_8equal_toIvEEjEE10hipError_tPvRmT2_T3_T4_T5_mT6_T7_P12ihipStream_tbENKUlT_T0_E_clISt17integral_constantIbLb1EES12_IbLb0EEEEDaSY_SZ_EUlSY_E_NS1_11comp_targetILNS1_3genE10ELNS1_11target_archE1200ELNS1_3gpuE4ELNS1_3repE0EEENS1_30default_config_static_selectorELNS0_4arch9wavefront6targetE1EEEvT1_
; %bb.0:
	.section	.rodata,"a",@progbits
	.p2align	6, 0x0
	.amdhsa_kernel _ZN7rocprim17ROCPRIM_400000_NS6detail17trampoline_kernelINS0_14default_configENS1_27scan_by_key_config_selectorIijEEZZNS1_16scan_by_key_implILNS1_25lookback_scan_determinismE0ELb0ES3_N6thrust23THRUST_200600_302600_NS6detail15normal_iteratorINS9_10device_ptrIiEEEENSB_INSC_IjEEEENSB_INSC_IfEEEEjNS9_4plusIvEENS9_8equal_toIvEEjEE10hipError_tPvRmT2_T3_T4_T5_mT6_T7_P12ihipStream_tbENKUlT_T0_E_clISt17integral_constantIbLb1EES12_IbLb0EEEEDaSY_SZ_EUlSY_E_NS1_11comp_targetILNS1_3genE10ELNS1_11target_archE1200ELNS1_3gpuE4ELNS1_3repE0EEENS1_30default_config_static_selectorELNS0_4arch9wavefront6targetE1EEEvT1_
		.amdhsa_group_segment_fixed_size 0
		.amdhsa_private_segment_fixed_size 0
		.amdhsa_kernarg_size 112
		.amdhsa_user_sgpr_count 6
		.amdhsa_user_sgpr_private_segment_buffer 1
		.amdhsa_user_sgpr_dispatch_ptr 0
		.amdhsa_user_sgpr_queue_ptr 0
		.amdhsa_user_sgpr_kernarg_segment_ptr 1
		.amdhsa_user_sgpr_dispatch_id 0
		.amdhsa_user_sgpr_flat_scratch_init 0
		.amdhsa_user_sgpr_kernarg_preload_length 0
		.amdhsa_user_sgpr_kernarg_preload_offset 0
		.amdhsa_user_sgpr_private_segment_size 0
		.amdhsa_uses_dynamic_stack 0
		.amdhsa_system_sgpr_private_segment_wavefront_offset 0
		.amdhsa_system_sgpr_workgroup_id_x 1
		.amdhsa_system_sgpr_workgroup_id_y 0
		.amdhsa_system_sgpr_workgroup_id_z 0
		.amdhsa_system_sgpr_workgroup_info 0
		.amdhsa_system_vgpr_workitem_id 0
		.amdhsa_next_free_vgpr 1
		.amdhsa_next_free_sgpr 0
		.amdhsa_accum_offset 4
		.amdhsa_reserve_vcc 0
		.amdhsa_reserve_flat_scratch 0
		.amdhsa_float_round_mode_32 0
		.amdhsa_float_round_mode_16_64 0
		.amdhsa_float_denorm_mode_32 3
		.amdhsa_float_denorm_mode_16_64 3
		.amdhsa_dx10_clamp 1
		.amdhsa_ieee_mode 1
		.amdhsa_fp16_overflow 0
		.amdhsa_tg_split 0
		.amdhsa_exception_fp_ieee_invalid_op 0
		.amdhsa_exception_fp_denorm_src 0
		.amdhsa_exception_fp_ieee_div_zero 0
		.amdhsa_exception_fp_ieee_overflow 0
		.amdhsa_exception_fp_ieee_underflow 0
		.amdhsa_exception_fp_ieee_inexact 0
		.amdhsa_exception_int_div_zero 0
	.end_amdhsa_kernel
	.section	.text._ZN7rocprim17ROCPRIM_400000_NS6detail17trampoline_kernelINS0_14default_configENS1_27scan_by_key_config_selectorIijEEZZNS1_16scan_by_key_implILNS1_25lookback_scan_determinismE0ELb0ES3_N6thrust23THRUST_200600_302600_NS6detail15normal_iteratorINS9_10device_ptrIiEEEENSB_INSC_IjEEEENSB_INSC_IfEEEEjNS9_4plusIvEENS9_8equal_toIvEEjEE10hipError_tPvRmT2_T3_T4_T5_mT6_T7_P12ihipStream_tbENKUlT_T0_E_clISt17integral_constantIbLb1EES12_IbLb0EEEEDaSY_SZ_EUlSY_E_NS1_11comp_targetILNS1_3genE10ELNS1_11target_archE1200ELNS1_3gpuE4ELNS1_3repE0EEENS1_30default_config_static_selectorELNS0_4arch9wavefront6targetE1EEEvT1_,"axG",@progbits,_ZN7rocprim17ROCPRIM_400000_NS6detail17trampoline_kernelINS0_14default_configENS1_27scan_by_key_config_selectorIijEEZZNS1_16scan_by_key_implILNS1_25lookback_scan_determinismE0ELb0ES3_N6thrust23THRUST_200600_302600_NS6detail15normal_iteratorINS9_10device_ptrIiEEEENSB_INSC_IjEEEENSB_INSC_IfEEEEjNS9_4plusIvEENS9_8equal_toIvEEjEE10hipError_tPvRmT2_T3_T4_T5_mT6_T7_P12ihipStream_tbENKUlT_T0_E_clISt17integral_constantIbLb1EES12_IbLb0EEEEDaSY_SZ_EUlSY_E_NS1_11comp_targetILNS1_3genE10ELNS1_11target_archE1200ELNS1_3gpuE4ELNS1_3repE0EEENS1_30default_config_static_selectorELNS0_4arch9wavefront6targetE1EEEvT1_,comdat
.Lfunc_end1668:
	.size	_ZN7rocprim17ROCPRIM_400000_NS6detail17trampoline_kernelINS0_14default_configENS1_27scan_by_key_config_selectorIijEEZZNS1_16scan_by_key_implILNS1_25lookback_scan_determinismE0ELb0ES3_N6thrust23THRUST_200600_302600_NS6detail15normal_iteratorINS9_10device_ptrIiEEEENSB_INSC_IjEEEENSB_INSC_IfEEEEjNS9_4plusIvEENS9_8equal_toIvEEjEE10hipError_tPvRmT2_T3_T4_T5_mT6_T7_P12ihipStream_tbENKUlT_T0_E_clISt17integral_constantIbLb1EES12_IbLb0EEEEDaSY_SZ_EUlSY_E_NS1_11comp_targetILNS1_3genE10ELNS1_11target_archE1200ELNS1_3gpuE4ELNS1_3repE0EEENS1_30default_config_static_selectorELNS0_4arch9wavefront6targetE1EEEvT1_, .Lfunc_end1668-_ZN7rocprim17ROCPRIM_400000_NS6detail17trampoline_kernelINS0_14default_configENS1_27scan_by_key_config_selectorIijEEZZNS1_16scan_by_key_implILNS1_25lookback_scan_determinismE0ELb0ES3_N6thrust23THRUST_200600_302600_NS6detail15normal_iteratorINS9_10device_ptrIiEEEENSB_INSC_IjEEEENSB_INSC_IfEEEEjNS9_4plusIvEENS9_8equal_toIvEEjEE10hipError_tPvRmT2_T3_T4_T5_mT6_T7_P12ihipStream_tbENKUlT_T0_E_clISt17integral_constantIbLb1EES12_IbLb0EEEEDaSY_SZ_EUlSY_E_NS1_11comp_targetILNS1_3genE10ELNS1_11target_archE1200ELNS1_3gpuE4ELNS1_3repE0EEENS1_30default_config_static_selectorELNS0_4arch9wavefront6targetE1EEEvT1_
                                        ; -- End function
	.section	.AMDGPU.csdata,"",@progbits
; Kernel info:
; codeLenInByte = 0
; NumSgprs: 4
; NumVgprs: 0
; NumAgprs: 0
; TotalNumVgprs: 0
; ScratchSize: 0
; MemoryBound: 0
; FloatMode: 240
; IeeeMode: 1
; LDSByteSize: 0 bytes/workgroup (compile time only)
; SGPRBlocks: 0
; VGPRBlocks: 0
; NumSGPRsForWavesPerEU: 4
; NumVGPRsForWavesPerEU: 1
; AccumOffset: 4
; Occupancy: 8
; WaveLimiterHint : 0
; COMPUTE_PGM_RSRC2:SCRATCH_EN: 0
; COMPUTE_PGM_RSRC2:USER_SGPR: 6
; COMPUTE_PGM_RSRC2:TRAP_HANDLER: 0
; COMPUTE_PGM_RSRC2:TGID_X_EN: 1
; COMPUTE_PGM_RSRC2:TGID_Y_EN: 0
; COMPUTE_PGM_RSRC2:TGID_Z_EN: 0
; COMPUTE_PGM_RSRC2:TIDIG_COMP_CNT: 0
; COMPUTE_PGM_RSRC3_GFX90A:ACCUM_OFFSET: 0
; COMPUTE_PGM_RSRC3_GFX90A:TG_SPLIT: 0
	.section	.text._ZN7rocprim17ROCPRIM_400000_NS6detail17trampoline_kernelINS0_14default_configENS1_27scan_by_key_config_selectorIijEEZZNS1_16scan_by_key_implILNS1_25lookback_scan_determinismE0ELb0ES3_N6thrust23THRUST_200600_302600_NS6detail15normal_iteratorINS9_10device_ptrIiEEEENSB_INSC_IjEEEENSB_INSC_IfEEEEjNS9_4plusIvEENS9_8equal_toIvEEjEE10hipError_tPvRmT2_T3_T4_T5_mT6_T7_P12ihipStream_tbENKUlT_T0_E_clISt17integral_constantIbLb1EES12_IbLb0EEEEDaSY_SZ_EUlSY_E_NS1_11comp_targetILNS1_3genE9ELNS1_11target_archE1100ELNS1_3gpuE3ELNS1_3repE0EEENS1_30default_config_static_selectorELNS0_4arch9wavefront6targetE1EEEvT1_,"axG",@progbits,_ZN7rocprim17ROCPRIM_400000_NS6detail17trampoline_kernelINS0_14default_configENS1_27scan_by_key_config_selectorIijEEZZNS1_16scan_by_key_implILNS1_25lookback_scan_determinismE0ELb0ES3_N6thrust23THRUST_200600_302600_NS6detail15normal_iteratorINS9_10device_ptrIiEEEENSB_INSC_IjEEEENSB_INSC_IfEEEEjNS9_4plusIvEENS9_8equal_toIvEEjEE10hipError_tPvRmT2_T3_T4_T5_mT6_T7_P12ihipStream_tbENKUlT_T0_E_clISt17integral_constantIbLb1EES12_IbLb0EEEEDaSY_SZ_EUlSY_E_NS1_11comp_targetILNS1_3genE9ELNS1_11target_archE1100ELNS1_3gpuE3ELNS1_3repE0EEENS1_30default_config_static_selectorELNS0_4arch9wavefront6targetE1EEEvT1_,comdat
	.protected	_ZN7rocprim17ROCPRIM_400000_NS6detail17trampoline_kernelINS0_14default_configENS1_27scan_by_key_config_selectorIijEEZZNS1_16scan_by_key_implILNS1_25lookback_scan_determinismE0ELb0ES3_N6thrust23THRUST_200600_302600_NS6detail15normal_iteratorINS9_10device_ptrIiEEEENSB_INSC_IjEEEENSB_INSC_IfEEEEjNS9_4plusIvEENS9_8equal_toIvEEjEE10hipError_tPvRmT2_T3_T4_T5_mT6_T7_P12ihipStream_tbENKUlT_T0_E_clISt17integral_constantIbLb1EES12_IbLb0EEEEDaSY_SZ_EUlSY_E_NS1_11comp_targetILNS1_3genE9ELNS1_11target_archE1100ELNS1_3gpuE3ELNS1_3repE0EEENS1_30default_config_static_selectorELNS0_4arch9wavefront6targetE1EEEvT1_ ; -- Begin function _ZN7rocprim17ROCPRIM_400000_NS6detail17trampoline_kernelINS0_14default_configENS1_27scan_by_key_config_selectorIijEEZZNS1_16scan_by_key_implILNS1_25lookback_scan_determinismE0ELb0ES3_N6thrust23THRUST_200600_302600_NS6detail15normal_iteratorINS9_10device_ptrIiEEEENSB_INSC_IjEEEENSB_INSC_IfEEEEjNS9_4plusIvEENS9_8equal_toIvEEjEE10hipError_tPvRmT2_T3_T4_T5_mT6_T7_P12ihipStream_tbENKUlT_T0_E_clISt17integral_constantIbLb1EES12_IbLb0EEEEDaSY_SZ_EUlSY_E_NS1_11comp_targetILNS1_3genE9ELNS1_11target_archE1100ELNS1_3gpuE3ELNS1_3repE0EEENS1_30default_config_static_selectorELNS0_4arch9wavefront6targetE1EEEvT1_
	.globl	_ZN7rocprim17ROCPRIM_400000_NS6detail17trampoline_kernelINS0_14default_configENS1_27scan_by_key_config_selectorIijEEZZNS1_16scan_by_key_implILNS1_25lookback_scan_determinismE0ELb0ES3_N6thrust23THRUST_200600_302600_NS6detail15normal_iteratorINS9_10device_ptrIiEEEENSB_INSC_IjEEEENSB_INSC_IfEEEEjNS9_4plusIvEENS9_8equal_toIvEEjEE10hipError_tPvRmT2_T3_T4_T5_mT6_T7_P12ihipStream_tbENKUlT_T0_E_clISt17integral_constantIbLb1EES12_IbLb0EEEEDaSY_SZ_EUlSY_E_NS1_11comp_targetILNS1_3genE9ELNS1_11target_archE1100ELNS1_3gpuE3ELNS1_3repE0EEENS1_30default_config_static_selectorELNS0_4arch9wavefront6targetE1EEEvT1_
	.p2align	8
	.type	_ZN7rocprim17ROCPRIM_400000_NS6detail17trampoline_kernelINS0_14default_configENS1_27scan_by_key_config_selectorIijEEZZNS1_16scan_by_key_implILNS1_25lookback_scan_determinismE0ELb0ES3_N6thrust23THRUST_200600_302600_NS6detail15normal_iteratorINS9_10device_ptrIiEEEENSB_INSC_IjEEEENSB_INSC_IfEEEEjNS9_4plusIvEENS9_8equal_toIvEEjEE10hipError_tPvRmT2_T3_T4_T5_mT6_T7_P12ihipStream_tbENKUlT_T0_E_clISt17integral_constantIbLb1EES12_IbLb0EEEEDaSY_SZ_EUlSY_E_NS1_11comp_targetILNS1_3genE9ELNS1_11target_archE1100ELNS1_3gpuE3ELNS1_3repE0EEENS1_30default_config_static_selectorELNS0_4arch9wavefront6targetE1EEEvT1_,@function
_ZN7rocprim17ROCPRIM_400000_NS6detail17trampoline_kernelINS0_14default_configENS1_27scan_by_key_config_selectorIijEEZZNS1_16scan_by_key_implILNS1_25lookback_scan_determinismE0ELb0ES3_N6thrust23THRUST_200600_302600_NS6detail15normal_iteratorINS9_10device_ptrIiEEEENSB_INSC_IjEEEENSB_INSC_IfEEEEjNS9_4plusIvEENS9_8equal_toIvEEjEE10hipError_tPvRmT2_T3_T4_T5_mT6_T7_P12ihipStream_tbENKUlT_T0_E_clISt17integral_constantIbLb1EES12_IbLb0EEEEDaSY_SZ_EUlSY_E_NS1_11comp_targetILNS1_3genE9ELNS1_11target_archE1100ELNS1_3gpuE3ELNS1_3repE0EEENS1_30default_config_static_selectorELNS0_4arch9wavefront6targetE1EEEvT1_: ; @_ZN7rocprim17ROCPRIM_400000_NS6detail17trampoline_kernelINS0_14default_configENS1_27scan_by_key_config_selectorIijEEZZNS1_16scan_by_key_implILNS1_25lookback_scan_determinismE0ELb0ES3_N6thrust23THRUST_200600_302600_NS6detail15normal_iteratorINS9_10device_ptrIiEEEENSB_INSC_IjEEEENSB_INSC_IfEEEEjNS9_4plusIvEENS9_8equal_toIvEEjEE10hipError_tPvRmT2_T3_T4_T5_mT6_T7_P12ihipStream_tbENKUlT_T0_E_clISt17integral_constantIbLb1EES12_IbLb0EEEEDaSY_SZ_EUlSY_E_NS1_11comp_targetILNS1_3genE9ELNS1_11target_archE1100ELNS1_3gpuE3ELNS1_3repE0EEENS1_30default_config_static_selectorELNS0_4arch9wavefront6targetE1EEEvT1_
; %bb.0:
	.section	.rodata,"a",@progbits
	.p2align	6, 0x0
	.amdhsa_kernel _ZN7rocprim17ROCPRIM_400000_NS6detail17trampoline_kernelINS0_14default_configENS1_27scan_by_key_config_selectorIijEEZZNS1_16scan_by_key_implILNS1_25lookback_scan_determinismE0ELb0ES3_N6thrust23THRUST_200600_302600_NS6detail15normal_iteratorINS9_10device_ptrIiEEEENSB_INSC_IjEEEENSB_INSC_IfEEEEjNS9_4plusIvEENS9_8equal_toIvEEjEE10hipError_tPvRmT2_T3_T4_T5_mT6_T7_P12ihipStream_tbENKUlT_T0_E_clISt17integral_constantIbLb1EES12_IbLb0EEEEDaSY_SZ_EUlSY_E_NS1_11comp_targetILNS1_3genE9ELNS1_11target_archE1100ELNS1_3gpuE3ELNS1_3repE0EEENS1_30default_config_static_selectorELNS0_4arch9wavefront6targetE1EEEvT1_
		.amdhsa_group_segment_fixed_size 0
		.amdhsa_private_segment_fixed_size 0
		.amdhsa_kernarg_size 112
		.amdhsa_user_sgpr_count 6
		.amdhsa_user_sgpr_private_segment_buffer 1
		.amdhsa_user_sgpr_dispatch_ptr 0
		.amdhsa_user_sgpr_queue_ptr 0
		.amdhsa_user_sgpr_kernarg_segment_ptr 1
		.amdhsa_user_sgpr_dispatch_id 0
		.amdhsa_user_sgpr_flat_scratch_init 0
		.amdhsa_user_sgpr_kernarg_preload_length 0
		.amdhsa_user_sgpr_kernarg_preload_offset 0
		.amdhsa_user_sgpr_private_segment_size 0
		.amdhsa_uses_dynamic_stack 0
		.amdhsa_system_sgpr_private_segment_wavefront_offset 0
		.amdhsa_system_sgpr_workgroup_id_x 1
		.amdhsa_system_sgpr_workgroup_id_y 0
		.amdhsa_system_sgpr_workgroup_id_z 0
		.amdhsa_system_sgpr_workgroup_info 0
		.amdhsa_system_vgpr_workitem_id 0
		.amdhsa_next_free_vgpr 1
		.amdhsa_next_free_sgpr 0
		.amdhsa_accum_offset 4
		.amdhsa_reserve_vcc 0
		.amdhsa_reserve_flat_scratch 0
		.amdhsa_float_round_mode_32 0
		.amdhsa_float_round_mode_16_64 0
		.amdhsa_float_denorm_mode_32 3
		.amdhsa_float_denorm_mode_16_64 3
		.amdhsa_dx10_clamp 1
		.amdhsa_ieee_mode 1
		.amdhsa_fp16_overflow 0
		.amdhsa_tg_split 0
		.amdhsa_exception_fp_ieee_invalid_op 0
		.amdhsa_exception_fp_denorm_src 0
		.amdhsa_exception_fp_ieee_div_zero 0
		.amdhsa_exception_fp_ieee_overflow 0
		.amdhsa_exception_fp_ieee_underflow 0
		.amdhsa_exception_fp_ieee_inexact 0
		.amdhsa_exception_int_div_zero 0
	.end_amdhsa_kernel
	.section	.text._ZN7rocprim17ROCPRIM_400000_NS6detail17trampoline_kernelINS0_14default_configENS1_27scan_by_key_config_selectorIijEEZZNS1_16scan_by_key_implILNS1_25lookback_scan_determinismE0ELb0ES3_N6thrust23THRUST_200600_302600_NS6detail15normal_iteratorINS9_10device_ptrIiEEEENSB_INSC_IjEEEENSB_INSC_IfEEEEjNS9_4plusIvEENS9_8equal_toIvEEjEE10hipError_tPvRmT2_T3_T4_T5_mT6_T7_P12ihipStream_tbENKUlT_T0_E_clISt17integral_constantIbLb1EES12_IbLb0EEEEDaSY_SZ_EUlSY_E_NS1_11comp_targetILNS1_3genE9ELNS1_11target_archE1100ELNS1_3gpuE3ELNS1_3repE0EEENS1_30default_config_static_selectorELNS0_4arch9wavefront6targetE1EEEvT1_,"axG",@progbits,_ZN7rocprim17ROCPRIM_400000_NS6detail17trampoline_kernelINS0_14default_configENS1_27scan_by_key_config_selectorIijEEZZNS1_16scan_by_key_implILNS1_25lookback_scan_determinismE0ELb0ES3_N6thrust23THRUST_200600_302600_NS6detail15normal_iteratorINS9_10device_ptrIiEEEENSB_INSC_IjEEEENSB_INSC_IfEEEEjNS9_4plusIvEENS9_8equal_toIvEEjEE10hipError_tPvRmT2_T3_T4_T5_mT6_T7_P12ihipStream_tbENKUlT_T0_E_clISt17integral_constantIbLb1EES12_IbLb0EEEEDaSY_SZ_EUlSY_E_NS1_11comp_targetILNS1_3genE9ELNS1_11target_archE1100ELNS1_3gpuE3ELNS1_3repE0EEENS1_30default_config_static_selectorELNS0_4arch9wavefront6targetE1EEEvT1_,comdat
.Lfunc_end1669:
	.size	_ZN7rocprim17ROCPRIM_400000_NS6detail17trampoline_kernelINS0_14default_configENS1_27scan_by_key_config_selectorIijEEZZNS1_16scan_by_key_implILNS1_25lookback_scan_determinismE0ELb0ES3_N6thrust23THRUST_200600_302600_NS6detail15normal_iteratorINS9_10device_ptrIiEEEENSB_INSC_IjEEEENSB_INSC_IfEEEEjNS9_4plusIvEENS9_8equal_toIvEEjEE10hipError_tPvRmT2_T3_T4_T5_mT6_T7_P12ihipStream_tbENKUlT_T0_E_clISt17integral_constantIbLb1EES12_IbLb0EEEEDaSY_SZ_EUlSY_E_NS1_11comp_targetILNS1_3genE9ELNS1_11target_archE1100ELNS1_3gpuE3ELNS1_3repE0EEENS1_30default_config_static_selectorELNS0_4arch9wavefront6targetE1EEEvT1_, .Lfunc_end1669-_ZN7rocprim17ROCPRIM_400000_NS6detail17trampoline_kernelINS0_14default_configENS1_27scan_by_key_config_selectorIijEEZZNS1_16scan_by_key_implILNS1_25lookback_scan_determinismE0ELb0ES3_N6thrust23THRUST_200600_302600_NS6detail15normal_iteratorINS9_10device_ptrIiEEEENSB_INSC_IjEEEENSB_INSC_IfEEEEjNS9_4plusIvEENS9_8equal_toIvEEjEE10hipError_tPvRmT2_T3_T4_T5_mT6_T7_P12ihipStream_tbENKUlT_T0_E_clISt17integral_constantIbLb1EES12_IbLb0EEEEDaSY_SZ_EUlSY_E_NS1_11comp_targetILNS1_3genE9ELNS1_11target_archE1100ELNS1_3gpuE3ELNS1_3repE0EEENS1_30default_config_static_selectorELNS0_4arch9wavefront6targetE1EEEvT1_
                                        ; -- End function
	.section	.AMDGPU.csdata,"",@progbits
; Kernel info:
; codeLenInByte = 0
; NumSgprs: 4
; NumVgprs: 0
; NumAgprs: 0
; TotalNumVgprs: 0
; ScratchSize: 0
; MemoryBound: 0
; FloatMode: 240
; IeeeMode: 1
; LDSByteSize: 0 bytes/workgroup (compile time only)
; SGPRBlocks: 0
; VGPRBlocks: 0
; NumSGPRsForWavesPerEU: 4
; NumVGPRsForWavesPerEU: 1
; AccumOffset: 4
; Occupancy: 8
; WaveLimiterHint : 0
; COMPUTE_PGM_RSRC2:SCRATCH_EN: 0
; COMPUTE_PGM_RSRC2:USER_SGPR: 6
; COMPUTE_PGM_RSRC2:TRAP_HANDLER: 0
; COMPUTE_PGM_RSRC2:TGID_X_EN: 1
; COMPUTE_PGM_RSRC2:TGID_Y_EN: 0
; COMPUTE_PGM_RSRC2:TGID_Z_EN: 0
; COMPUTE_PGM_RSRC2:TIDIG_COMP_CNT: 0
; COMPUTE_PGM_RSRC3_GFX90A:ACCUM_OFFSET: 0
; COMPUTE_PGM_RSRC3_GFX90A:TG_SPLIT: 0
	.section	.text._ZN7rocprim17ROCPRIM_400000_NS6detail17trampoline_kernelINS0_14default_configENS1_27scan_by_key_config_selectorIijEEZZNS1_16scan_by_key_implILNS1_25lookback_scan_determinismE0ELb0ES3_N6thrust23THRUST_200600_302600_NS6detail15normal_iteratorINS9_10device_ptrIiEEEENSB_INSC_IjEEEENSB_INSC_IfEEEEjNS9_4plusIvEENS9_8equal_toIvEEjEE10hipError_tPvRmT2_T3_T4_T5_mT6_T7_P12ihipStream_tbENKUlT_T0_E_clISt17integral_constantIbLb1EES12_IbLb0EEEEDaSY_SZ_EUlSY_E_NS1_11comp_targetILNS1_3genE8ELNS1_11target_archE1030ELNS1_3gpuE2ELNS1_3repE0EEENS1_30default_config_static_selectorELNS0_4arch9wavefront6targetE1EEEvT1_,"axG",@progbits,_ZN7rocprim17ROCPRIM_400000_NS6detail17trampoline_kernelINS0_14default_configENS1_27scan_by_key_config_selectorIijEEZZNS1_16scan_by_key_implILNS1_25lookback_scan_determinismE0ELb0ES3_N6thrust23THRUST_200600_302600_NS6detail15normal_iteratorINS9_10device_ptrIiEEEENSB_INSC_IjEEEENSB_INSC_IfEEEEjNS9_4plusIvEENS9_8equal_toIvEEjEE10hipError_tPvRmT2_T3_T4_T5_mT6_T7_P12ihipStream_tbENKUlT_T0_E_clISt17integral_constantIbLb1EES12_IbLb0EEEEDaSY_SZ_EUlSY_E_NS1_11comp_targetILNS1_3genE8ELNS1_11target_archE1030ELNS1_3gpuE2ELNS1_3repE0EEENS1_30default_config_static_selectorELNS0_4arch9wavefront6targetE1EEEvT1_,comdat
	.protected	_ZN7rocprim17ROCPRIM_400000_NS6detail17trampoline_kernelINS0_14default_configENS1_27scan_by_key_config_selectorIijEEZZNS1_16scan_by_key_implILNS1_25lookback_scan_determinismE0ELb0ES3_N6thrust23THRUST_200600_302600_NS6detail15normal_iteratorINS9_10device_ptrIiEEEENSB_INSC_IjEEEENSB_INSC_IfEEEEjNS9_4plusIvEENS9_8equal_toIvEEjEE10hipError_tPvRmT2_T3_T4_T5_mT6_T7_P12ihipStream_tbENKUlT_T0_E_clISt17integral_constantIbLb1EES12_IbLb0EEEEDaSY_SZ_EUlSY_E_NS1_11comp_targetILNS1_3genE8ELNS1_11target_archE1030ELNS1_3gpuE2ELNS1_3repE0EEENS1_30default_config_static_selectorELNS0_4arch9wavefront6targetE1EEEvT1_ ; -- Begin function _ZN7rocprim17ROCPRIM_400000_NS6detail17trampoline_kernelINS0_14default_configENS1_27scan_by_key_config_selectorIijEEZZNS1_16scan_by_key_implILNS1_25lookback_scan_determinismE0ELb0ES3_N6thrust23THRUST_200600_302600_NS6detail15normal_iteratorINS9_10device_ptrIiEEEENSB_INSC_IjEEEENSB_INSC_IfEEEEjNS9_4plusIvEENS9_8equal_toIvEEjEE10hipError_tPvRmT2_T3_T4_T5_mT6_T7_P12ihipStream_tbENKUlT_T0_E_clISt17integral_constantIbLb1EES12_IbLb0EEEEDaSY_SZ_EUlSY_E_NS1_11comp_targetILNS1_3genE8ELNS1_11target_archE1030ELNS1_3gpuE2ELNS1_3repE0EEENS1_30default_config_static_selectorELNS0_4arch9wavefront6targetE1EEEvT1_
	.globl	_ZN7rocprim17ROCPRIM_400000_NS6detail17trampoline_kernelINS0_14default_configENS1_27scan_by_key_config_selectorIijEEZZNS1_16scan_by_key_implILNS1_25lookback_scan_determinismE0ELb0ES3_N6thrust23THRUST_200600_302600_NS6detail15normal_iteratorINS9_10device_ptrIiEEEENSB_INSC_IjEEEENSB_INSC_IfEEEEjNS9_4plusIvEENS9_8equal_toIvEEjEE10hipError_tPvRmT2_T3_T4_T5_mT6_T7_P12ihipStream_tbENKUlT_T0_E_clISt17integral_constantIbLb1EES12_IbLb0EEEEDaSY_SZ_EUlSY_E_NS1_11comp_targetILNS1_3genE8ELNS1_11target_archE1030ELNS1_3gpuE2ELNS1_3repE0EEENS1_30default_config_static_selectorELNS0_4arch9wavefront6targetE1EEEvT1_
	.p2align	8
	.type	_ZN7rocprim17ROCPRIM_400000_NS6detail17trampoline_kernelINS0_14default_configENS1_27scan_by_key_config_selectorIijEEZZNS1_16scan_by_key_implILNS1_25lookback_scan_determinismE0ELb0ES3_N6thrust23THRUST_200600_302600_NS6detail15normal_iteratorINS9_10device_ptrIiEEEENSB_INSC_IjEEEENSB_INSC_IfEEEEjNS9_4plusIvEENS9_8equal_toIvEEjEE10hipError_tPvRmT2_T3_T4_T5_mT6_T7_P12ihipStream_tbENKUlT_T0_E_clISt17integral_constantIbLb1EES12_IbLb0EEEEDaSY_SZ_EUlSY_E_NS1_11comp_targetILNS1_3genE8ELNS1_11target_archE1030ELNS1_3gpuE2ELNS1_3repE0EEENS1_30default_config_static_selectorELNS0_4arch9wavefront6targetE1EEEvT1_,@function
_ZN7rocprim17ROCPRIM_400000_NS6detail17trampoline_kernelINS0_14default_configENS1_27scan_by_key_config_selectorIijEEZZNS1_16scan_by_key_implILNS1_25lookback_scan_determinismE0ELb0ES3_N6thrust23THRUST_200600_302600_NS6detail15normal_iteratorINS9_10device_ptrIiEEEENSB_INSC_IjEEEENSB_INSC_IfEEEEjNS9_4plusIvEENS9_8equal_toIvEEjEE10hipError_tPvRmT2_T3_T4_T5_mT6_T7_P12ihipStream_tbENKUlT_T0_E_clISt17integral_constantIbLb1EES12_IbLb0EEEEDaSY_SZ_EUlSY_E_NS1_11comp_targetILNS1_3genE8ELNS1_11target_archE1030ELNS1_3gpuE2ELNS1_3repE0EEENS1_30default_config_static_selectorELNS0_4arch9wavefront6targetE1EEEvT1_: ; @_ZN7rocprim17ROCPRIM_400000_NS6detail17trampoline_kernelINS0_14default_configENS1_27scan_by_key_config_selectorIijEEZZNS1_16scan_by_key_implILNS1_25lookback_scan_determinismE0ELb0ES3_N6thrust23THRUST_200600_302600_NS6detail15normal_iteratorINS9_10device_ptrIiEEEENSB_INSC_IjEEEENSB_INSC_IfEEEEjNS9_4plusIvEENS9_8equal_toIvEEjEE10hipError_tPvRmT2_T3_T4_T5_mT6_T7_P12ihipStream_tbENKUlT_T0_E_clISt17integral_constantIbLb1EES12_IbLb0EEEEDaSY_SZ_EUlSY_E_NS1_11comp_targetILNS1_3genE8ELNS1_11target_archE1030ELNS1_3gpuE2ELNS1_3repE0EEENS1_30default_config_static_selectorELNS0_4arch9wavefront6targetE1EEEvT1_
; %bb.0:
	.section	.rodata,"a",@progbits
	.p2align	6, 0x0
	.amdhsa_kernel _ZN7rocprim17ROCPRIM_400000_NS6detail17trampoline_kernelINS0_14default_configENS1_27scan_by_key_config_selectorIijEEZZNS1_16scan_by_key_implILNS1_25lookback_scan_determinismE0ELb0ES3_N6thrust23THRUST_200600_302600_NS6detail15normal_iteratorINS9_10device_ptrIiEEEENSB_INSC_IjEEEENSB_INSC_IfEEEEjNS9_4plusIvEENS9_8equal_toIvEEjEE10hipError_tPvRmT2_T3_T4_T5_mT6_T7_P12ihipStream_tbENKUlT_T0_E_clISt17integral_constantIbLb1EES12_IbLb0EEEEDaSY_SZ_EUlSY_E_NS1_11comp_targetILNS1_3genE8ELNS1_11target_archE1030ELNS1_3gpuE2ELNS1_3repE0EEENS1_30default_config_static_selectorELNS0_4arch9wavefront6targetE1EEEvT1_
		.amdhsa_group_segment_fixed_size 0
		.amdhsa_private_segment_fixed_size 0
		.amdhsa_kernarg_size 112
		.amdhsa_user_sgpr_count 6
		.amdhsa_user_sgpr_private_segment_buffer 1
		.amdhsa_user_sgpr_dispatch_ptr 0
		.amdhsa_user_sgpr_queue_ptr 0
		.amdhsa_user_sgpr_kernarg_segment_ptr 1
		.amdhsa_user_sgpr_dispatch_id 0
		.amdhsa_user_sgpr_flat_scratch_init 0
		.amdhsa_user_sgpr_kernarg_preload_length 0
		.amdhsa_user_sgpr_kernarg_preload_offset 0
		.amdhsa_user_sgpr_private_segment_size 0
		.amdhsa_uses_dynamic_stack 0
		.amdhsa_system_sgpr_private_segment_wavefront_offset 0
		.amdhsa_system_sgpr_workgroup_id_x 1
		.amdhsa_system_sgpr_workgroup_id_y 0
		.amdhsa_system_sgpr_workgroup_id_z 0
		.amdhsa_system_sgpr_workgroup_info 0
		.amdhsa_system_vgpr_workitem_id 0
		.amdhsa_next_free_vgpr 1
		.amdhsa_next_free_sgpr 0
		.amdhsa_accum_offset 4
		.amdhsa_reserve_vcc 0
		.amdhsa_reserve_flat_scratch 0
		.amdhsa_float_round_mode_32 0
		.amdhsa_float_round_mode_16_64 0
		.amdhsa_float_denorm_mode_32 3
		.amdhsa_float_denorm_mode_16_64 3
		.amdhsa_dx10_clamp 1
		.amdhsa_ieee_mode 1
		.amdhsa_fp16_overflow 0
		.amdhsa_tg_split 0
		.amdhsa_exception_fp_ieee_invalid_op 0
		.amdhsa_exception_fp_denorm_src 0
		.amdhsa_exception_fp_ieee_div_zero 0
		.amdhsa_exception_fp_ieee_overflow 0
		.amdhsa_exception_fp_ieee_underflow 0
		.amdhsa_exception_fp_ieee_inexact 0
		.amdhsa_exception_int_div_zero 0
	.end_amdhsa_kernel
	.section	.text._ZN7rocprim17ROCPRIM_400000_NS6detail17trampoline_kernelINS0_14default_configENS1_27scan_by_key_config_selectorIijEEZZNS1_16scan_by_key_implILNS1_25lookback_scan_determinismE0ELb0ES3_N6thrust23THRUST_200600_302600_NS6detail15normal_iteratorINS9_10device_ptrIiEEEENSB_INSC_IjEEEENSB_INSC_IfEEEEjNS9_4plusIvEENS9_8equal_toIvEEjEE10hipError_tPvRmT2_T3_T4_T5_mT6_T7_P12ihipStream_tbENKUlT_T0_E_clISt17integral_constantIbLb1EES12_IbLb0EEEEDaSY_SZ_EUlSY_E_NS1_11comp_targetILNS1_3genE8ELNS1_11target_archE1030ELNS1_3gpuE2ELNS1_3repE0EEENS1_30default_config_static_selectorELNS0_4arch9wavefront6targetE1EEEvT1_,"axG",@progbits,_ZN7rocprim17ROCPRIM_400000_NS6detail17trampoline_kernelINS0_14default_configENS1_27scan_by_key_config_selectorIijEEZZNS1_16scan_by_key_implILNS1_25lookback_scan_determinismE0ELb0ES3_N6thrust23THRUST_200600_302600_NS6detail15normal_iteratorINS9_10device_ptrIiEEEENSB_INSC_IjEEEENSB_INSC_IfEEEEjNS9_4plusIvEENS9_8equal_toIvEEjEE10hipError_tPvRmT2_T3_T4_T5_mT6_T7_P12ihipStream_tbENKUlT_T0_E_clISt17integral_constantIbLb1EES12_IbLb0EEEEDaSY_SZ_EUlSY_E_NS1_11comp_targetILNS1_3genE8ELNS1_11target_archE1030ELNS1_3gpuE2ELNS1_3repE0EEENS1_30default_config_static_selectorELNS0_4arch9wavefront6targetE1EEEvT1_,comdat
.Lfunc_end1670:
	.size	_ZN7rocprim17ROCPRIM_400000_NS6detail17trampoline_kernelINS0_14default_configENS1_27scan_by_key_config_selectorIijEEZZNS1_16scan_by_key_implILNS1_25lookback_scan_determinismE0ELb0ES3_N6thrust23THRUST_200600_302600_NS6detail15normal_iteratorINS9_10device_ptrIiEEEENSB_INSC_IjEEEENSB_INSC_IfEEEEjNS9_4plusIvEENS9_8equal_toIvEEjEE10hipError_tPvRmT2_T3_T4_T5_mT6_T7_P12ihipStream_tbENKUlT_T0_E_clISt17integral_constantIbLb1EES12_IbLb0EEEEDaSY_SZ_EUlSY_E_NS1_11comp_targetILNS1_3genE8ELNS1_11target_archE1030ELNS1_3gpuE2ELNS1_3repE0EEENS1_30default_config_static_selectorELNS0_4arch9wavefront6targetE1EEEvT1_, .Lfunc_end1670-_ZN7rocprim17ROCPRIM_400000_NS6detail17trampoline_kernelINS0_14default_configENS1_27scan_by_key_config_selectorIijEEZZNS1_16scan_by_key_implILNS1_25lookback_scan_determinismE0ELb0ES3_N6thrust23THRUST_200600_302600_NS6detail15normal_iteratorINS9_10device_ptrIiEEEENSB_INSC_IjEEEENSB_INSC_IfEEEEjNS9_4plusIvEENS9_8equal_toIvEEjEE10hipError_tPvRmT2_T3_T4_T5_mT6_T7_P12ihipStream_tbENKUlT_T0_E_clISt17integral_constantIbLb1EES12_IbLb0EEEEDaSY_SZ_EUlSY_E_NS1_11comp_targetILNS1_3genE8ELNS1_11target_archE1030ELNS1_3gpuE2ELNS1_3repE0EEENS1_30default_config_static_selectorELNS0_4arch9wavefront6targetE1EEEvT1_
                                        ; -- End function
	.section	.AMDGPU.csdata,"",@progbits
; Kernel info:
; codeLenInByte = 0
; NumSgprs: 4
; NumVgprs: 0
; NumAgprs: 0
; TotalNumVgprs: 0
; ScratchSize: 0
; MemoryBound: 0
; FloatMode: 240
; IeeeMode: 1
; LDSByteSize: 0 bytes/workgroup (compile time only)
; SGPRBlocks: 0
; VGPRBlocks: 0
; NumSGPRsForWavesPerEU: 4
; NumVGPRsForWavesPerEU: 1
; AccumOffset: 4
; Occupancy: 8
; WaveLimiterHint : 0
; COMPUTE_PGM_RSRC2:SCRATCH_EN: 0
; COMPUTE_PGM_RSRC2:USER_SGPR: 6
; COMPUTE_PGM_RSRC2:TRAP_HANDLER: 0
; COMPUTE_PGM_RSRC2:TGID_X_EN: 1
; COMPUTE_PGM_RSRC2:TGID_Y_EN: 0
; COMPUTE_PGM_RSRC2:TGID_Z_EN: 0
; COMPUTE_PGM_RSRC2:TIDIG_COMP_CNT: 0
; COMPUTE_PGM_RSRC3_GFX90A:ACCUM_OFFSET: 0
; COMPUTE_PGM_RSRC3_GFX90A:TG_SPLIT: 0
	.section	.text._ZN7rocprim17ROCPRIM_400000_NS6detail17trampoline_kernelINS0_14default_configENS1_27scan_by_key_config_selectorIijEEZZNS1_16scan_by_key_implILNS1_25lookback_scan_determinismE0ELb0ES3_N6thrust23THRUST_200600_302600_NS6detail15normal_iteratorINS9_10device_ptrIiEEEENSB_INSC_IjEEEENSB_INSC_IfEEEEjNS9_4plusIvEENS9_8equal_toIvEEjEE10hipError_tPvRmT2_T3_T4_T5_mT6_T7_P12ihipStream_tbENKUlT_T0_E_clISt17integral_constantIbLb0EES12_IbLb1EEEEDaSY_SZ_EUlSY_E_NS1_11comp_targetILNS1_3genE0ELNS1_11target_archE4294967295ELNS1_3gpuE0ELNS1_3repE0EEENS1_30default_config_static_selectorELNS0_4arch9wavefront6targetE1EEEvT1_,"axG",@progbits,_ZN7rocprim17ROCPRIM_400000_NS6detail17trampoline_kernelINS0_14default_configENS1_27scan_by_key_config_selectorIijEEZZNS1_16scan_by_key_implILNS1_25lookback_scan_determinismE0ELb0ES3_N6thrust23THRUST_200600_302600_NS6detail15normal_iteratorINS9_10device_ptrIiEEEENSB_INSC_IjEEEENSB_INSC_IfEEEEjNS9_4plusIvEENS9_8equal_toIvEEjEE10hipError_tPvRmT2_T3_T4_T5_mT6_T7_P12ihipStream_tbENKUlT_T0_E_clISt17integral_constantIbLb0EES12_IbLb1EEEEDaSY_SZ_EUlSY_E_NS1_11comp_targetILNS1_3genE0ELNS1_11target_archE4294967295ELNS1_3gpuE0ELNS1_3repE0EEENS1_30default_config_static_selectorELNS0_4arch9wavefront6targetE1EEEvT1_,comdat
	.protected	_ZN7rocprim17ROCPRIM_400000_NS6detail17trampoline_kernelINS0_14default_configENS1_27scan_by_key_config_selectorIijEEZZNS1_16scan_by_key_implILNS1_25lookback_scan_determinismE0ELb0ES3_N6thrust23THRUST_200600_302600_NS6detail15normal_iteratorINS9_10device_ptrIiEEEENSB_INSC_IjEEEENSB_INSC_IfEEEEjNS9_4plusIvEENS9_8equal_toIvEEjEE10hipError_tPvRmT2_T3_T4_T5_mT6_T7_P12ihipStream_tbENKUlT_T0_E_clISt17integral_constantIbLb0EES12_IbLb1EEEEDaSY_SZ_EUlSY_E_NS1_11comp_targetILNS1_3genE0ELNS1_11target_archE4294967295ELNS1_3gpuE0ELNS1_3repE0EEENS1_30default_config_static_selectorELNS0_4arch9wavefront6targetE1EEEvT1_ ; -- Begin function _ZN7rocprim17ROCPRIM_400000_NS6detail17trampoline_kernelINS0_14default_configENS1_27scan_by_key_config_selectorIijEEZZNS1_16scan_by_key_implILNS1_25lookback_scan_determinismE0ELb0ES3_N6thrust23THRUST_200600_302600_NS6detail15normal_iteratorINS9_10device_ptrIiEEEENSB_INSC_IjEEEENSB_INSC_IfEEEEjNS9_4plusIvEENS9_8equal_toIvEEjEE10hipError_tPvRmT2_T3_T4_T5_mT6_T7_P12ihipStream_tbENKUlT_T0_E_clISt17integral_constantIbLb0EES12_IbLb1EEEEDaSY_SZ_EUlSY_E_NS1_11comp_targetILNS1_3genE0ELNS1_11target_archE4294967295ELNS1_3gpuE0ELNS1_3repE0EEENS1_30default_config_static_selectorELNS0_4arch9wavefront6targetE1EEEvT1_
	.globl	_ZN7rocprim17ROCPRIM_400000_NS6detail17trampoline_kernelINS0_14default_configENS1_27scan_by_key_config_selectorIijEEZZNS1_16scan_by_key_implILNS1_25lookback_scan_determinismE0ELb0ES3_N6thrust23THRUST_200600_302600_NS6detail15normal_iteratorINS9_10device_ptrIiEEEENSB_INSC_IjEEEENSB_INSC_IfEEEEjNS9_4plusIvEENS9_8equal_toIvEEjEE10hipError_tPvRmT2_T3_T4_T5_mT6_T7_P12ihipStream_tbENKUlT_T0_E_clISt17integral_constantIbLb0EES12_IbLb1EEEEDaSY_SZ_EUlSY_E_NS1_11comp_targetILNS1_3genE0ELNS1_11target_archE4294967295ELNS1_3gpuE0ELNS1_3repE0EEENS1_30default_config_static_selectorELNS0_4arch9wavefront6targetE1EEEvT1_
	.p2align	8
	.type	_ZN7rocprim17ROCPRIM_400000_NS6detail17trampoline_kernelINS0_14default_configENS1_27scan_by_key_config_selectorIijEEZZNS1_16scan_by_key_implILNS1_25lookback_scan_determinismE0ELb0ES3_N6thrust23THRUST_200600_302600_NS6detail15normal_iteratorINS9_10device_ptrIiEEEENSB_INSC_IjEEEENSB_INSC_IfEEEEjNS9_4plusIvEENS9_8equal_toIvEEjEE10hipError_tPvRmT2_T3_T4_T5_mT6_T7_P12ihipStream_tbENKUlT_T0_E_clISt17integral_constantIbLb0EES12_IbLb1EEEEDaSY_SZ_EUlSY_E_NS1_11comp_targetILNS1_3genE0ELNS1_11target_archE4294967295ELNS1_3gpuE0ELNS1_3repE0EEENS1_30default_config_static_selectorELNS0_4arch9wavefront6targetE1EEEvT1_,@function
_ZN7rocprim17ROCPRIM_400000_NS6detail17trampoline_kernelINS0_14default_configENS1_27scan_by_key_config_selectorIijEEZZNS1_16scan_by_key_implILNS1_25lookback_scan_determinismE0ELb0ES3_N6thrust23THRUST_200600_302600_NS6detail15normal_iteratorINS9_10device_ptrIiEEEENSB_INSC_IjEEEENSB_INSC_IfEEEEjNS9_4plusIvEENS9_8equal_toIvEEjEE10hipError_tPvRmT2_T3_T4_T5_mT6_T7_P12ihipStream_tbENKUlT_T0_E_clISt17integral_constantIbLb0EES12_IbLb1EEEEDaSY_SZ_EUlSY_E_NS1_11comp_targetILNS1_3genE0ELNS1_11target_archE4294967295ELNS1_3gpuE0ELNS1_3repE0EEENS1_30default_config_static_selectorELNS0_4arch9wavefront6targetE1EEEvT1_: ; @_ZN7rocprim17ROCPRIM_400000_NS6detail17trampoline_kernelINS0_14default_configENS1_27scan_by_key_config_selectorIijEEZZNS1_16scan_by_key_implILNS1_25lookback_scan_determinismE0ELb0ES3_N6thrust23THRUST_200600_302600_NS6detail15normal_iteratorINS9_10device_ptrIiEEEENSB_INSC_IjEEEENSB_INSC_IfEEEEjNS9_4plusIvEENS9_8equal_toIvEEjEE10hipError_tPvRmT2_T3_T4_T5_mT6_T7_P12ihipStream_tbENKUlT_T0_E_clISt17integral_constantIbLb0EES12_IbLb1EEEEDaSY_SZ_EUlSY_E_NS1_11comp_targetILNS1_3genE0ELNS1_11target_archE4294967295ELNS1_3gpuE0ELNS1_3repE0EEENS1_30default_config_static_selectorELNS0_4arch9wavefront6targetE1EEEvT1_
; %bb.0:
	.section	.rodata,"a",@progbits
	.p2align	6, 0x0
	.amdhsa_kernel _ZN7rocprim17ROCPRIM_400000_NS6detail17trampoline_kernelINS0_14default_configENS1_27scan_by_key_config_selectorIijEEZZNS1_16scan_by_key_implILNS1_25lookback_scan_determinismE0ELb0ES3_N6thrust23THRUST_200600_302600_NS6detail15normal_iteratorINS9_10device_ptrIiEEEENSB_INSC_IjEEEENSB_INSC_IfEEEEjNS9_4plusIvEENS9_8equal_toIvEEjEE10hipError_tPvRmT2_T3_T4_T5_mT6_T7_P12ihipStream_tbENKUlT_T0_E_clISt17integral_constantIbLb0EES12_IbLb1EEEEDaSY_SZ_EUlSY_E_NS1_11comp_targetILNS1_3genE0ELNS1_11target_archE4294967295ELNS1_3gpuE0ELNS1_3repE0EEENS1_30default_config_static_selectorELNS0_4arch9wavefront6targetE1EEEvT1_
		.amdhsa_group_segment_fixed_size 0
		.amdhsa_private_segment_fixed_size 0
		.amdhsa_kernarg_size 112
		.amdhsa_user_sgpr_count 6
		.amdhsa_user_sgpr_private_segment_buffer 1
		.amdhsa_user_sgpr_dispatch_ptr 0
		.amdhsa_user_sgpr_queue_ptr 0
		.amdhsa_user_sgpr_kernarg_segment_ptr 1
		.amdhsa_user_sgpr_dispatch_id 0
		.amdhsa_user_sgpr_flat_scratch_init 0
		.amdhsa_user_sgpr_kernarg_preload_length 0
		.amdhsa_user_sgpr_kernarg_preload_offset 0
		.amdhsa_user_sgpr_private_segment_size 0
		.amdhsa_uses_dynamic_stack 0
		.amdhsa_system_sgpr_private_segment_wavefront_offset 0
		.amdhsa_system_sgpr_workgroup_id_x 1
		.amdhsa_system_sgpr_workgroup_id_y 0
		.amdhsa_system_sgpr_workgroup_id_z 0
		.amdhsa_system_sgpr_workgroup_info 0
		.amdhsa_system_vgpr_workitem_id 0
		.amdhsa_next_free_vgpr 1
		.amdhsa_next_free_sgpr 0
		.amdhsa_accum_offset 4
		.amdhsa_reserve_vcc 0
		.amdhsa_reserve_flat_scratch 0
		.amdhsa_float_round_mode_32 0
		.amdhsa_float_round_mode_16_64 0
		.amdhsa_float_denorm_mode_32 3
		.amdhsa_float_denorm_mode_16_64 3
		.amdhsa_dx10_clamp 1
		.amdhsa_ieee_mode 1
		.amdhsa_fp16_overflow 0
		.amdhsa_tg_split 0
		.amdhsa_exception_fp_ieee_invalid_op 0
		.amdhsa_exception_fp_denorm_src 0
		.amdhsa_exception_fp_ieee_div_zero 0
		.amdhsa_exception_fp_ieee_overflow 0
		.amdhsa_exception_fp_ieee_underflow 0
		.amdhsa_exception_fp_ieee_inexact 0
		.amdhsa_exception_int_div_zero 0
	.end_amdhsa_kernel
	.section	.text._ZN7rocprim17ROCPRIM_400000_NS6detail17trampoline_kernelINS0_14default_configENS1_27scan_by_key_config_selectorIijEEZZNS1_16scan_by_key_implILNS1_25lookback_scan_determinismE0ELb0ES3_N6thrust23THRUST_200600_302600_NS6detail15normal_iteratorINS9_10device_ptrIiEEEENSB_INSC_IjEEEENSB_INSC_IfEEEEjNS9_4plusIvEENS9_8equal_toIvEEjEE10hipError_tPvRmT2_T3_T4_T5_mT6_T7_P12ihipStream_tbENKUlT_T0_E_clISt17integral_constantIbLb0EES12_IbLb1EEEEDaSY_SZ_EUlSY_E_NS1_11comp_targetILNS1_3genE0ELNS1_11target_archE4294967295ELNS1_3gpuE0ELNS1_3repE0EEENS1_30default_config_static_selectorELNS0_4arch9wavefront6targetE1EEEvT1_,"axG",@progbits,_ZN7rocprim17ROCPRIM_400000_NS6detail17trampoline_kernelINS0_14default_configENS1_27scan_by_key_config_selectorIijEEZZNS1_16scan_by_key_implILNS1_25lookback_scan_determinismE0ELb0ES3_N6thrust23THRUST_200600_302600_NS6detail15normal_iteratorINS9_10device_ptrIiEEEENSB_INSC_IjEEEENSB_INSC_IfEEEEjNS9_4plusIvEENS9_8equal_toIvEEjEE10hipError_tPvRmT2_T3_T4_T5_mT6_T7_P12ihipStream_tbENKUlT_T0_E_clISt17integral_constantIbLb0EES12_IbLb1EEEEDaSY_SZ_EUlSY_E_NS1_11comp_targetILNS1_3genE0ELNS1_11target_archE4294967295ELNS1_3gpuE0ELNS1_3repE0EEENS1_30default_config_static_selectorELNS0_4arch9wavefront6targetE1EEEvT1_,comdat
.Lfunc_end1671:
	.size	_ZN7rocprim17ROCPRIM_400000_NS6detail17trampoline_kernelINS0_14default_configENS1_27scan_by_key_config_selectorIijEEZZNS1_16scan_by_key_implILNS1_25lookback_scan_determinismE0ELb0ES3_N6thrust23THRUST_200600_302600_NS6detail15normal_iteratorINS9_10device_ptrIiEEEENSB_INSC_IjEEEENSB_INSC_IfEEEEjNS9_4plusIvEENS9_8equal_toIvEEjEE10hipError_tPvRmT2_T3_T4_T5_mT6_T7_P12ihipStream_tbENKUlT_T0_E_clISt17integral_constantIbLb0EES12_IbLb1EEEEDaSY_SZ_EUlSY_E_NS1_11comp_targetILNS1_3genE0ELNS1_11target_archE4294967295ELNS1_3gpuE0ELNS1_3repE0EEENS1_30default_config_static_selectorELNS0_4arch9wavefront6targetE1EEEvT1_, .Lfunc_end1671-_ZN7rocprim17ROCPRIM_400000_NS6detail17trampoline_kernelINS0_14default_configENS1_27scan_by_key_config_selectorIijEEZZNS1_16scan_by_key_implILNS1_25lookback_scan_determinismE0ELb0ES3_N6thrust23THRUST_200600_302600_NS6detail15normal_iteratorINS9_10device_ptrIiEEEENSB_INSC_IjEEEENSB_INSC_IfEEEEjNS9_4plusIvEENS9_8equal_toIvEEjEE10hipError_tPvRmT2_T3_T4_T5_mT6_T7_P12ihipStream_tbENKUlT_T0_E_clISt17integral_constantIbLb0EES12_IbLb1EEEEDaSY_SZ_EUlSY_E_NS1_11comp_targetILNS1_3genE0ELNS1_11target_archE4294967295ELNS1_3gpuE0ELNS1_3repE0EEENS1_30default_config_static_selectorELNS0_4arch9wavefront6targetE1EEEvT1_
                                        ; -- End function
	.section	.AMDGPU.csdata,"",@progbits
; Kernel info:
; codeLenInByte = 0
; NumSgprs: 4
; NumVgprs: 0
; NumAgprs: 0
; TotalNumVgprs: 0
; ScratchSize: 0
; MemoryBound: 0
; FloatMode: 240
; IeeeMode: 1
; LDSByteSize: 0 bytes/workgroup (compile time only)
; SGPRBlocks: 0
; VGPRBlocks: 0
; NumSGPRsForWavesPerEU: 4
; NumVGPRsForWavesPerEU: 1
; AccumOffset: 4
; Occupancy: 8
; WaveLimiterHint : 0
; COMPUTE_PGM_RSRC2:SCRATCH_EN: 0
; COMPUTE_PGM_RSRC2:USER_SGPR: 6
; COMPUTE_PGM_RSRC2:TRAP_HANDLER: 0
; COMPUTE_PGM_RSRC2:TGID_X_EN: 1
; COMPUTE_PGM_RSRC2:TGID_Y_EN: 0
; COMPUTE_PGM_RSRC2:TGID_Z_EN: 0
; COMPUTE_PGM_RSRC2:TIDIG_COMP_CNT: 0
; COMPUTE_PGM_RSRC3_GFX90A:ACCUM_OFFSET: 0
; COMPUTE_PGM_RSRC3_GFX90A:TG_SPLIT: 0
	.section	.text._ZN7rocprim17ROCPRIM_400000_NS6detail17trampoline_kernelINS0_14default_configENS1_27scan_by_key_config_selectorIijEEZZNS1_16scan_by_key_implILNS1_25lookback_scan_determinismE0ELb0ES3_N6thrust23THRUST_200600_302600_NS6detail15normal_iteratorINS9_10device_ptrIiEEEENSB_INSC_IjEEEENSB_INSC_IfEEEEjNS9_4plusIvEENS9_8equal_toIvEEjEE10hipError_tPvRmT2_T3_T4_T5_mT6_T7_P12ihipStream_tbENKUlT_T0_E_clISt17integral_constantIbLb0EES12_IbLb1EEEEDaSY_SZ_EUlSY_E_NS1_11comp_targetILNS1_3genE10ELNS1_11target_archE1201ELNS1_3gpuE5ELNS1_3repE0EEENS1_30default_config_static_selectorELNS0_4arch9wavefront6targetE1EEEvT1_,"axG",@progbits,_ZN7rocprim17ROCPRIM_400000_NS6detail17trampoline_kernelINS0_14default_configENS1_27scan_by_key_config_selectorIijEEZZNS1_16scan_by_key_implILNS1_25lookback_scan_determinismE0ELb0ES3_N6thrust23THRUST_200600_302600_NS6detail15normal_iteratorINS9_10device_ptrIiEEEENSB_INSC_IjEEEENSB_INSC_IfEEEEjNS9_4plusIvEENS9_8equal_toIvEEjEE10hipError_tPvRmT2_T3_T4_T5_mT6_T7_P12ihipStream_tbENKUlT_T0_E_clISt17integral_constantIbLb0EES12_IbLb1EEEEDaSY_SZ_EUlSY_E_NS1_11comp_targetILNS1_3genE10ELNS1_11target_archE1201ELNS1_3gpuE5ELNS1_3repE0EEENS1_30default_config_static_selectorELNS0_4arch9wavefront6targetE1EEEvT1_,comdat
	.protected	_ZN7rocprim17ROCPRIM_400000_NS6detail17trampoline_kernelINS0_14default_configENS1_27scan_by_key_config_selectorIijEEZZNS1_16scan_by_key_implILNS1_25lookback_scan_determinismE0ELb0ES3_N6thrust23THRUST_200600_302600_NS6detail15normal_iteratorINS9_10device_ptrIiEEEENSB_INSC_IjEEEENSB_INSC_IfEEEEjNS9_4plusIvEENS9_8equal_toIvEEjEE10hipError_tPvRmT2_T3_T4_T5_mT6_T7_P12ihipStream_tbENKUlT_T0_E_clISt17integral_constantIbLb0EES12_IbLb1EEEEDaSY_SZ_EUlSY_E_NS1_11comp_targetILNS1_3genE10ELNS1_11target_archE1201ELNS1_3gpuE5ELNS1_3repE0EEENS1_30default_config_static_selectorELNS0_4arch9wavefront6targetE1EEEvT1_ ; -- Begin function _ZN7rocprim17ROCPRIM_400000_NS6detail17trampoline_kernelINS0_14default_configENS1_27scan_by_key_config_selectorIijEEZZNS1_16scan_by_key_implILNS1_25lookback_scan_determinismE0ELb0ES3_N6thrust23THRUST_200600_302600_NS6detail15normal_iteratorINS9_10device_ptrIiEEEENSB_INSC_IjEEEENSB_INSC_IfEEEEjNS9_4plusIvEENS9_8equal_toIvEEjEE10hipError_tPvRmT2_T3_T4_T5_mT6_T7_P12ihipStream_tbENKUlT_T0_E_clISt17integral_constantIbLb0EES12_IbLb1EEEEDaSY_SZ_EUlSY_E_NS1_11comp_targetILNS1_3genE10ELNS1_11target_archE1201ELNS1_3gpuE5ELNS1_3repE0EEENS1_30default_config_static_selectorELNS0_4arch9wavefront6targetE1EEEvT1_
	.globl	_ZN7rocprim17ROCPRIM_400000_NS6detail17trampoline_kernelINS0_14default_configENS1_27scan_by_key_config_selectorIijEEZZNS1_16scan_by_key_implILNS1_25lookback_scan_determinismE0ELb0ES3_N6thrust23THRUST_200600_302600_NS6detail15normal_iteratorINS9_10device_ptrIiEEEENSB_INSC_IjEEEENSB_INSC_IfEEEEjNS9_4plusIvEENS9_8equal_toIvEEjEE10hipError_tPvRmT2_T3_T4_T5_mT6_T7_P12ihipStream_tbENKUlT_T0_E_clISt17integral_constantIbLb0EES12_IbLb1EEEEDaSY_SZ_EUlSY_E_NS1_11comp_targetILNS1_3genE10ELNS1_11target_archE1201ELNS1_3gpuE5ELNS1_3repE0EEENS1_30default_config_static_selectorELNS0_4arch9wavefront6targetE1EEEvT1_
	.p2align	8
	.type	_ZN7rocprim17ROCPRIM_400000_NS6detail17trampoline_kernelINS0_14default_configENS1_27scan_by_key_config_selectorIijEEZZNS1_16scan_by_key_implILNS1_25lookback_scan_determinismE0ELb0ES3_N6thrust23THRUST_200600_302600_NS6detail15normal_iteratorINS9_10device_ptrIiEEEENSB_INSC_IjEEEENSB_INSC_IfEEEEjNS9_4plusIvEENS9_8equal_toIvEEjEE10hipError_tPvRmT2_T3_T4_T5_mT6_T7_P12ihipStream_tbENKUlT_T0_E_clISt17integral_constantIbLb0EES12_IbLb1EEEEDaSY_SZ_EUlSY_E_NS1_11comp_targetILNS1_3genE10ELNS1_11target_archE1201ELNS1_3gpuE5ELNS1_3repE0EEENS1_30default_config_static_selectorELNS0_4arch9wavefront6targetE1EEEvT1_,@function
_ZN7rocprim17ROCPRIM_400000_NS6detail17trampoline_kernelINS0_14default_configENS1_27scan_by_key_config_selectorIijEEZZNS1_16scan_by_key_implILNS1_25lookback_scan_determinismE0ELb0ES3_N6thrust23THRUST_200600_302600_NS6detail15normal_iteratorINS9_10device_ptrIiEEEENSB_INSC_IjEEEENSB_INSC_IfEEEEjNS9_4plusIvEENS9_8equal_toIvEEjEE10hipError_tPvRmT2_T3_T4_T5_mT6_T7_P12ihipStream_tbENKUlT_T0_E_clISt17integral_constantIbLb0EES12_IbLb1EEEEDaSY_SZ_EUlSY_E_NS1_11comp_targetILNS1_3genE10ELNS1_11target_archE1201ELNS1_3gpuE5ELNS1_3repE0EEENS1_30default_config_static_selectorELNS0_4arch9wavefront6targetE1EEEvT1_: ; @_ZN7rocprim17ROCPRIM_400000_NS6detail17trampoline_kernelINS0_14default_configENS1_27scan_by_key_config_selectorIijEEZZNS1_16scan_by_key_implILNS1_25lookback_scan_determinismE0ELb0ES3_N6thrust23THRUST_200600_302600_NS6detail15normal_iteratorINS9_10device_ptrIiEEEENSB_INSC_IjEEEENSB_INSC_IfEEEEjNS9_4plusIvEENS9_8equal_toIvEEjEE10hipError_tPvRmT2_T3_T4_T5_mT6_T7_P12ihipStream_tbENKUlT_T0_E_clISt17integral_constantIbLb0EES12_IbLb1EEEEDaSY_SZ_EUlSY_E_NS1_11comp_targetILNS1_3genE10ELNS1_11target_archE1201ELNS1_3gpuE5ELNS1_3repE0EEENS1_30default_config_static_selectorELNS0_4arch9wavefront6targetE1EEEvT1_
; %bb.0:
	.section	.rodata,"a",@progbits
	.p2align	6, 0x0
	.amdhsa_kernel _ZN7rocprim17ROCPRIM_400000_NS6detail17trampoline_kernelINS0_14default_configENS1_27scan_by_key_config_selectorIijEEZZNS1_16scan_by_key_implILNS1_25lookback_scan_determinismE0ELb0ES3_N6thrust23THRUST_200600_302600_NS6detail15normal_iteratorINS9_10device_ptrIiEEEENSB_INSC_IjEEEENSB_INSC_IfEEEEjNS9_4plusIvEENS9_8equal_toIvEEjEE10hipError_tPvRmT2_T3_T4_T5_mT6_T7_P12ihipStream_tbENKUlT_T0_E_clISt17integral_constantIbLb0EES12_IbLb1EEEEDaSY_SZ_EUlSY_E_NS1_11comp_targetILNS1_3genE10ELNS1_11target_archE1201ELNS1_3gpuE5ELNS1_3repE0EEENS1_30default_config_static_selectorELNS0_4arch9wavefront6targetE1EEEvT1_
		.amdhsa_group_segment_fixed_size 0
		.amdhsa_private_segment_fixed_size 0
		.amdhsa_kernarg_size 112
		.amdhsa_user_sgpr_count 6
		.amdhsa_user_sgpr_private_segment_buffer 1
		.amdhsa_user_sgpr_dispatch_ptr 0
		.amdhsa_user_sgpr_queue_ptr 0
		.amdhsa_user_sgpr_kernarg_segment_ptr 1
		.amdhsa_user_sgpr_dispatch_id 0
		.amdhsa_user_sgpr_flat_scratch_init 0
		.amdhsa_user_sgpr_kernarg_preload_length 0
		.amdhsa_user_sgpr_kernarg_preload_offset 0
		.amdhsa_user_sgpr_private_segment_size 0
		.amdhsa_uses_dynamic_stack 0
		.amdhsa_system_sgpr_private_segment_wavefront_offset 0
		.amdhsa_system_sgpr_workgroup_id_x 1
		.amdhsa_system_sgpr_workgroup_id_y 0
		.amdhsa_system_sgpr_workgroup_id_z 0
		.amdhsa_system_sgpr_workgroup_info 0
		.amdhsa_system_vgpr_workitem_id 0
		.amdhsa_next_free_vgpr 1
		.amdhsa_next_free_sgpr 0
		.amdhsa_accum_offset 4
		.amdhsa_reserve_vcc 0
		.amdhsa_reserve_flat_scratch 0
		.amdhsa_float_round_mode_32 0
		.amdhsa_float_round_mode_16_64 0
		.amdhsa_float_denorm_mode_32 3
		.amdhsa_float_denorm_mode_16_64 3
		.amdhsa_dx10_clamp 1
		.amdhsa_ieee_mode 1
		.amdhsa_fp16_overflow 0
		.amdhsa_tg_split 0
		.amdhsa_exception_fp_ieee_invalid_op 0
		.amdhsa_exception_fp_denorm_src 0
		.amdhsa_exception_fp_ieee_div_zero 0
		.amdhsa_exception_fp_ieee_overflow 0
		.amdhsa_exception_fp_ieee_underflow 0
		.amdhsa_exception_fp_ieee_inexact 0
		.amdhsa_exception_int_div_zero 0
	.end_amdhsa_kernel
	.section	.text._ZN7rocprim17ROCPRIM_400000_NS6detail17trampoline_kernelINS0_14default_configENS1_27scan_by_key_config_selectorIijEEZZNS1_16scan_by_key_implILNS1_25lookback_scan_determinismE0ELb0ES3_N6thrust23THRUST_200600_302600_NS6detail15normal_iteratorINS9_10device_ptrIiEEEENSB_INSC_IjEEEENSB_INSC_IfEEEEjNS9_4plusIvEENS9_8equal_toIvEEjEE10hipError_tPvRmT2_T3_T4_T5_mT6_T7_P12ihipStream_tbENKUlT_T0_E_clISt17integral_constantIbLb0EES12_IbLb1EEEEDaSY_SZ_EUlSY_E_NS1_11comp_targetILNS1_3genE10ELNS1_11target_archE1201ELNS1_3gpuE5ELNS1_3repE0EEENS1_30default_config_static_selectorELNS0_4arch9wavefront6targetE1EEEvT1_,"axG",@progbits,_ZN7rocprim17ROCPRIM_400000_NS6detail17trampoline_kernelINS0_14default_configENS1_27scan_by_key_config_selectorIijEEZZNS1_16scan_by_key_implILNS1_25lookback_scan_determinismE0ELb0ES3_N6thrust23THRUST_200600_302600_NS6detail15normal_iteratorINS9_10device_ptrIiEEEENSB_INSC_IjEEEENSB_INSC_IfEEEEjNS9_4plusIvEENS9_8equal_toIvEEjEE10hipError_tPvRmT2_T3_T4_T5_mT6_T7_P12ihipStream_tbENKUlT_T0_E_clISt17integral_constantIbLb0EES12_IbLb1EEEEDaSY_SZ_EUlSY_E_NS1_11comp_targetILNS1_3genE10ELNS1_11target_archE1201ELNS1_3gpuE5ELNS1_3repE0EEENS1_30default_config_static_selectorELNS0_4arch9wavefront6targetE1EEEvT1_,comdat
.Lfunc_end1672:
	.size	_ZN7rocprim17ROCPRIM_400000_NS6detail17trampoline_kernelINS0_14default_configENS1_27scan_by_key_config_selectorIijEEZZNS1_16scan_by_key_implILNS1_25lookback_scan_determinismE0ELb0ES3_N6thrust23THRUST_200600_302600_NS6detail15normal_iteratorINS9_10device_ptrIiEEEENSB_INSC_IjEEEENSB_INSC_IfEEEEjNS9_4plusIvEENS9_8equal_toIvEEjEE10hipError_tPvRmT2_T3_T4_T5_mT6_T7_P12ihipStream_tbENKUlT_T0_E_clISt17integral_constantIbLb0EES12_IbLb1EEEEDaSY_SZ_EUlSY_E_NS1_11comp_targetILNS1_3genE10ELNS1_11target_archE1201ELNS1_3gpuE5ELNS1_3repE0EEENS1_30default_config_static_selectorELNS0_4arch9wavefront6targetE1EEEvT1_, .Lfunc_end1672-_ZN7rocprim17ROCPRIM_400000_NS6detail17trampoline_kernelINS0_14default_configENS1_27scan_by_key_config_selectorIijEEZZNS1_16scan_by_key_implILNS1_25lookback_scan_determinismE0ELb0ES3_N6thrust23THRUST_200600_302600_NS6detail15normal_iteratorINS9_10device_ptrIiEEEENSB_INSC_IjEEEENSB_INSC_IfEEEEjNS9_4plusIvEENS9_8equal_toIvEEjEE10hipError_tPvRmT2_T3_T4_T5_mT6_T7_P12ihipStream_tbENKUlT_T0_E_clISt17integral_constantIbLb0EES12_IbLb1EEEEDaSY_SZ_EUlSY_E_NS1_11comp_targetILNS1_3genE10ELNS1_11target_archE1201ELNS1_3gpuE5ELNS1_3repE0EEENS1_30default_config_static_selectorELNS0_4arch9wavefront6targetE1EEEvT1_
                                        ; -- End function
	.section	.AMDGPU.csdata,"",@progbits
; Kernel info:
; codeLenInByte = 0
; NumSgprs: 4
; NumVgprs: 0
; NumAgprs: 0
; TotalNumVgprs: 0
; ScratchSize: 0
; MemoryBound: 0
; FloatMode: 240
; IeeeMode: 1
; LDSByteSize: 0 bytes/workgroup (compile time only)
; SGPRBlocks: 0
; VGPRBlocks: 0
; NumSGPRsForWavesPerEU: 4
; NumVGPRsForWavesPerEU: 1
; AccumOffset: 4
; Occupancy: 8
; WaveLimiterHint : 0
; COMPUTE_PGM_RSRC2:SCRATCH_EN: 0
; COMPUTE_PGM_RSRC2:USER_SGPR: 6
; COMPUTE_PGM_RSRC2:TRAP_HANDLER: 0
; COMPUTE_PGM_RSRC2:TGID_X_EN: 1
; COMPUTE_PGM_RSRC2:TGID_Y_EN: 0
; COMPUTE_PGM_RSRC2:TGID_Z_EN: 0
; COMPUTE_PGM_RSRC2:TIDIG_COMP_CNT: 0
; COMPUTE_PGM_RSRC3_GFX90A:ACCUM_OFFSET: 0
; COMPUTE_PGM_RSRC3_GFX90A:TG_SPLIT: 0
	.section	.text._ZN7rocprim17ROCPRIM_400000_NS6detail17trampoline_kernelINS0_14default_configENS1_27scan_by_key_config_selectorIijEEZZNS1_16scan_by_key_implILNS1_25lookback_scan_determinismE0ELb0ES3_N6thrust23THRUST_200600_302600_NS6detail15normal_iteratorINS9_10device_ptrIiEEEENSB_INSC_IjEEEENSB_INSC_IfEEEEjNS9_4plusIvEENS9_8equal_toIvEEjEE10hipError_tPvRmT2_T3_T4_T5_mT6_T7_P12ihipStream_tbENKUlT_T0_E_clISt17integral_constantIbLb0EES12_IbLb1EEEEDaSY_SZ_EUlSY_E_NS1_11comp_targetILNS1_3genE5ELNS1_11target_archE942ELNS1_3gpuE9ELNS1_3repE0EEENS1_30default_config_static_selectorELNS0_4arch9wavefront6targetE1EEEvT1_,"axG",@progbits,_ZN7rocprim17ROCPRIM_400000_NS6detail17trampoline_kernelINS0_14default_configENS1_27scan_by_key_config_selectorIijEEZZNS1_16scan_by_key_implILNS1_25lookback_scan_determinismE0ELb0ES3_N6thrust23THRUST_200600_302600_NS6detail15normal_iteratorINS9_10device_ptrIiEEEENSB_INSC_IjEEEENSB_INSC_IfEEEEjNS9_4plusIvEENS9_8equal_toIvEEjEE10hipError_tPvRmT2_T3_T4_T5_mT6_T7_P12ihipStream_tbENKUlT_T0_E_clISt17integral_constantIbLb0EES12_IbLb1EEEEDaSY_SZ_EUlSY_E_NS1_11comp_targetILNS1_3genE5ELNS1_11target_archE942ELNS1_3gpuE9ELNS1_3repE0EEENS1_30default_config_static_selectorELNS0_4arch9wavefront6targetE1EEEvT1_,comdat
	.protected	_ZN7rocprim17ROCPRIM_400000_NS6detail17trampoline_kernelINS0_14default_configENS1_27scan_by_key_config_selectorIijEEZZNS1_16scan_by_key_implILNS1_25lookback_scan_determinismE0ELb0ES3_N6thrust23THRUST_200600_302600_NS6detail15normal_iteratorINS9_10device_ptrIiEEEENSB_INSC_IjEEEENSB_INSC_IfEEEEjNS9_4plusIvEENS9_8equal_toIvEEjEE10hipError_tPvRmT2_T3_T4_T5_mT6_T7_P12ihipStream_tbENKUlT_T0_E_clISt17integral_constantIbLb0EES12_IbLb1EEEEDaSY_SZ_EUlSY_E_NS1_11comp_targetILNS1_3genE5ELNS1_11target_archE942ELNS1_3gpuE9ELNS1_3repE0EEENS1_30default_config_static_selectorELNS0_4arch9wavefront6targetE1EEEvT1_ ; -- Begin function _ZN7rocprim17ROCPRIM_400000_NS6detail17trampoline_kernelINS0_14default_configENS1_27scan_by_key_config_selectorIijEEZZNS1_16scan_by_key_implILNS1_25lookback_scan_determinismE0ELb0ES3_N6thrust23THRUST_200600_302600_NS6detail15normal_iteratorINS9_10device_ptrIiEEEENSB_INSC_IjEEEENSB_INSC_IfEEEEjNS9_4plusIvEENS9_8equal_toIvEEjEE10hipError_tPvRmT2_T3_T4_T5_mT6_T7_P12ihipStream_tbENKUlT_T0_E_clISt17integral_constantIbLb0EES12_IbLb1EEEEDaSY_SZ_EUlSY_E_NS1_11comp_targetILNS1_3genE5ELNS1_11target_archE942ELNS1_3gpuE9ELNS1_3repE0EEENS1_30default_config_static_selectorELNS0_4arch9wavefront6targetE1EEEvT1_
	.globl	_ZN7rocprim17ROCPRIM_400000_NS6detail17trampoline_kernelINS0_14default_configENS1_27scan_by_key_config_selectorIijEEZZNS1_16scan_by_key_implILNS1_25lookback_scan_determinismE0ELb0ES3_N6thrust23THRUST_200600_302600_NS6detail15normal_iteratorINS9_10device_ptrIiEEEENSB_INSC_IjEEEENSB_INSC_IfEEEEjNS9_4plusIvEENS9_8equal_toIvEEjEE10hipError_tPvRmT2_T3_T4_T5_mT6_T7_P12ihipStream_tbENKUlT_T0_E_clISt17integral_constantIbLb0EES12_IbLb1EEEEDaSY_SZ_EUlSY_E_NS1_11comp_targetILNS1_3genE5ELNS1_11target_archE942ELNS1_3gpuE9ELNS1_3repE0EEENS1_30default_config_static_selectorELNS0_4arch9wavefront6targetE1EEEvT1_
	.p2align	8
	.type	_ZN7rocprim17ROCPRIM_400000_NS6detail17trampoline_kernelINS0_14default_configENS1_27scan_by_key_config_selectorIijEEZZNS1_16scan_by_key_implILNS1_25lookback_scan_determinismE0ELb0ES3_N6thrust23THRUST_200600_302600_NS6detail15normal_iteratorINS9_10device_ptrIiEEEENSB_INSC_IjEEEENSB_INSC_IfEEEEjNS9_4plusIvEENS9_8equal_toIvEEjEE10hipError_tPvRmT2_T3_T4_T5_mT6_T7_P12ihipStream_tbENKUlT_T0_E_clISt17integral_constantIbLb0EES12_IbLb1EEEEDaSY_SZ_EUlSY_E_NS1_11comp_targetILNS1_3genE5ELNS1_11target_archE942ELNS1_3gpuE9ELNS1_3repE0EEENS1_30default_config_static_selectorELNS0_4arch9wavefront6targetE1EEEvT1_,@function
_ZN7rocprim17ROCPRIM_400000_NS6detail17trampoline_kernelINS0_14default_configENS1_27scan_by_key_config_selectorIijEEZZNS1_16scan_by_key_implILNS1_25lookback_scan_determinismE0ELb0ES3_N6thrust23THRUST_200600_302600_NS6detail15normal_iteratorINS9_10device_ptrIiEEEENSB_INSC_IjEEEENSB_INSC_IfEEEEjNS9_4plusIvEENS9_8equal_toIvEEjEE10hipError_tPvRmT2_T3_T4_T5_mT6_T7_P12ihipStream_tbENKUlT_T0_E_clISt17integral_constantIbLb0EES12_IbLb1EEEEDaSY_SZ_EUlSY_E_NS1_11comp_targetILNS1_3genE5ELNS1_11target_archE942ELNS1_3gpuE9ELNS1_3repE0EEENS1_30default_config_static_selectorELNS0_4arch9wavefront6targetE1EEEvT1_: ; @_ZN7rocprim17ROCPRIM_400000_NS6detail17trampoline_kernelINS0_14default_configENS1_27scan_by_key_config_selectorIijEEZZNS1_16scan_by_key_implILNS1_25lookback_scan_determinismE0ELb0ES3_N6thrust23THRUST_200600_302600_NS6detail15normal_iteratorINS9_10device_ptrIiEEEENSB_INSC_IjEEEENSB_INSC_IfEEEEjNS9_4plusIvEENS9_8equal_toIvEEjEE10hipError_tPvRmT2_T3_T4_T5_mT6_T7_P12ihipStream_tbENKUlT_T0_E_clISt17integral_constantIbLb0EES12_IbLb1EEEEDaSY_SZ_EUlSY_E_NS1_11comp_targetILNS1_3genE5ELNS1_11target_archE942ELNS1_3gpuE9ELNS1_3repE0EEENS1_30default_config_static_selectorELNS0_4arch9wavefront6targetE1EEEvT1_
; %bb.0:
	.section	.rodata,"a",@progbits
	.p2align	6, 0x0
	.amdhsa_kernel _ZN7rocprim17ROCPRIM_400000_NS6detail17trampoline_kernelINS0_14default_configENS1_27scan_by_key_config_selectorIijEEZZNS1_16scan_by_key_implILNS1_25lookback_scan_determinismE0ELb0ES3_N6thrust23THRUST_200600_302600_NS6detail15normal_iteratorINS9_10device_ptrIiEEEENSB_INSC_IjEEEENSB_INSC_IfEEEEjNS9_4plusIvEENS9_8equal_toIvEEjEE10hipError_tPvRmT2_T3_T4_T5_mT6_T7_P12ihipStream_tbENKUlT_T0_E_clISt17integral_constantIbLb0EES12_IbLb1EEEEDaSY_SZ_EUlSY_E_NS1_11comp_targetILNS1_3genE5ELNS1_11target_archE942ELNS1_3gpuE9ELNS1_3repE0EEENS1_30default_config_static_selectorELNS0_4arch9wavefront6targetE1EEEvT1_
		.amdhsa_group_segment_fixed_size 0
		.amdhsa_private_segment_fixed_size 0
		.amdhsa_kernarg_size 112
		.amdhsa_user_sgpr_count 6
		.amdhsa_user_sgpr_private_segment_buffer 1
		.amdhsa_user_sgpr_dispatch_ptr 0
		.amdhsa_user_sgpr_queue_ptr 0
		.amdhsa_user_sgpr_kernarg_segment_ptr 1
		.amdhsa_user_sgpr_dispatch_id 0
		.amdhsa_user_sgpr_flat_scratch_init 0
		.amdhsa_user_sgpr_kernarg_preload_length 0
		.amdhsa_user_sgpr_kernarg_preload_offset 0
		.amdhsa_user_sgpr_private_segment_size 0
		.amdhsa_uses_dynamic_stack 0
		.amdhsa_system_sgpr_private_segment_wavefront_offset 0
		.amdhsa_system_sgpr_workgroup_id_x 1
		.amdhsa_system_sgpr_workgroup_id_y 0
		.amdhsa_system_sgpr_workgroup_id_z 0
		.amdhsa_system_sgpr_workgroup_info 0
		.amdhsa_system_vgpr_workitem_id 0
		.amdhsa_next_free_vgpr 1
		.amdhsa_next_free_sgpr 0
		.amdhsa_accum_offset 4
		.amdhsa_reserve_vcc 0
		.amdhsa_reserve_flat_scratch 0
		.amdhsa_float_round_mode_32 0
		.amdhsa_float_round_mode_16_64 0
		.amdhsa_float_denorm_mode_32 3
		.amdhsa_float_denorm_mode_16_64 3
		.amdhsa_dx10_clamp 1
		.amdhsa_ieee_mode 1
		.amdhsa_fp16_overflow 0
		.amdhsa_tg_split 0
		.amdhsa_exception_fp_ieee_invalid_op 0
		.amdhsa_exception_fp_denorm_src 0
		.amdhsa_exception_fp_ieee_div_zero 0
		.amdhsa_exception_fp_ieee_overflow 0
		.amdhsa_exception_fp_ieee_underflow 0
		.amdhsa_exception_fp_ieee_inexact 0
		.amdhsa_exception_int_div_zero 0
	.end_amdhsa_kernel
	.section	.text._ZN7rocprim17ROCPRIM_400000_NS6detail17trampoline_kernelINS0_14default_configENS1_27scan_by_key_config_selectorIijEEZZNS1_16scan_by_key_implILNS1_25lookback_scan_determinismE0ELb0ES3_N6thrust23THRUST_200600_302600_NS6detail15normal_iteratorINS9_10device_ptrIiEEEENSB_INSC_IjEEEENSB_INSC_IfEEEEjNS9_4plusIvEENS9_8equal_toIvEEjEE10hipError_tPvRmT2_T3_T4_T5_mT6_T7_P12ihipStream_tbENKUlT_T0_E_clISt17integral_constantIbLb0EES12_IbLb1EEEEDaSY_SZ_EUlSY_E_NS1_11comp_targetILNS1_3genE5ELNS1_11target_archE942ELNS1_3gpuE9ELNS1_3repE0EEENS1_30default_config_static_selectorELNS0_4arch9wavefront6targetE1EEEvT1_,"axG",@progbits,_ZN7rocprim17ROCPRIM_400000_NS6detail17trampoline_kernelINS0_14default_configENS1_27scan_by_key_config_selectorIijEEZZNS1_16scan_by_key_implILNS1_25lookback_scan_determinismE0ELb0ES3_N6thrust23THRUST_200600_302600_NS6detail15normal_iteratorINS9_10device_ptrIiEEEENSB_INSC_IjEEEENSB_INSC_IfEEEEjNS9_4plusIvEENS9_8equal_toIvEEjEE10hipError_tPvRmT2_T3_T4_T5_mT6_T7_P12ihipStream_tbENKUlT_T0_E_clISt17integral_constantIbLb0EES12_IbLb1EEEEDaSY_SZ_EUlSY_E_NS1_11comp_targetILNS1_3genE5ELNS1_11target_archE942ELNS1_3gpuE9ELNS1_3repE0EEENS1_30default_config_static_selectorELNS0_4arch9wavefront6targetE1EEEvT1_,comdat
.Lfunc_end1673:
	.size	_ZN7rocprim17ROCPRIM_400000_NS6detail17trampoline_kernelINS0_14default_configENS1_27scan_by_key_config_selectorIijEEZZNS1_16scan_by_key_implILNS1_25lookback_scan_determinismE0ELb0ES3_N6thrust23THRUST_200600_302600_NS6detail15normal_iteratorINS9_10device_ptrIiEEEENSB_INSC_IjEEEENSB_INSC_IfEEEEjNS9_4plusIvEENS9_8equal_toIvEEjEE10hipError_tPvRmT2_T3_T4_T5_mT6_T7_P12ihipStream_tbENKUlT_T0_E_clISt17integral_constantIbLb0EES12_IbLb1EEEEDaSY_SZ_EUlSY_E_NS1_11comp_targetILNS1_3genE5ELNS1_11target_archE942ELNS1_3gpuE9ELNS1_3repE0EEENS1_30default_config_static_selectorELNS0_4arch9wavefront6targetE1EEEvT1_, .Lfunc_end1673-_ZN7rocprim17ROCPRIM_400000_NS6detail17trampoline_kernelINS0_14default_configENS1_27scan_by_key_config_selectorIijEEZZNS1_16scan_by_key_implILNS1_25lookback_scan_determinismE0ELb0ES3_N6thrust23THRUST_200600_302600_NS6detail15normal_iteratorINS9_10device_ptrIiEEEENSB_INSC_IjEEEENSB_INSC_IfEEEEjNS9_4plusIvEENS9_8equal_toIvEEjEE10hipError_tPvRmT2_T3_T4_T5_mT6_T7_P12ihipStream_tbENKUlT_T0_E_clISt17integral_constantIbLb0EES12_IbLb1EEEEDaSY_SZ_EUlSY_E_NS1_11comp_targetILNS1_3genE5ELNS1_11target_archE942ELNS1_3gpuE9ELNS1_3repE0EEENS1_30default_config_static_selectorELNS0_4arch9wavefront6targetE1EEEvT1_
                                        ; -- End function
	.section	.AMDGPU.csdata,"",@progbits
; Kernel info:
; codeLenInByte = 0
; NumSgprs: 4
; NumVgprs: 0
; NumAgprs: 0
; TotalNumVgprs: 0
; ScratchSize: 0
; MemoryBound: 0
; FloatMode: 240
; IeeeMode: 1
; LDSByteSize: 0 bytes/workgroup (compile time only)
; SGPRBlocks: 0
; VGPRBlocks: 0
; NumSGPRsForWavesPerEU: 4
; NumVGPRsForWavesPerEU: 1
; AccumOffset: 4
; Occupancy: 8
; WaveLimiterHint : 0
; COMPUTE_PGM_RSRC2:SCRATCH_EN: 0
; COMPUTE_PGM_RSRC2:USER_SGPR: 6
; COMPUTE_PGM_RSRC2:TRAP_HANDLER: 0
; COMPUTE_PGM_RSRC2:TGID_X_EN: 1
; COMPUTE_PGM_RSRC2:TGID_Y_EN: 0
; COMPUTE_PGM_RSRC2:TGID_Z_EN: 0
; COMPUTE_PGM_RSRC2:TIDIG_COMP_CNT: 0
; COMPUTE_PGM_RSRC3_GFX90A:ACCUM_OFFSET: 0
; COMPUTE_PGM_RSRC3_GFX90A:TG_SPLIT: 0
	.section	.text._ZN7rocprim17ROCPRIM_400000_NS6detail17trampoline_kernelINS0_14default_configENS1_27scan_by_key_config_selectorIijEEZZNS1_16scan_by_key_implILNS1_25lookback_scan_determinismE0ELb0ES3_N6thrust23THRUST_200600_302600_NS6detail15normal_iteratorINS9_10device_ptrIiEEEENSB_INSC_IjEEEENSB_INSC_IfEEEEjNS9_4plusIvEENS9_8equal_toIvEEjEE10hipError_tPvRmT2_T3_T4_T5_mT6_T7_P12ihipStream_tbENKUlT_T0_E_clISt17integral_constantIbLb0EES12_IbLb1EEEEDaSY_SZ_EUlSY_E_NS1_11comp_targetILNS1_3genE4ELNS1_11target_archE910ELNS1_3gpuE8ELNS1_3repE0EEENS1_30default_config_static_selectorELNS0_4arch9wavefront6targetE1EEEvT1_,"axG",@progbits,_ZN7rocprim17ROCPRIM_400000_NS6detail17trampoline_kernelINS0_14default_configENS1_27scan_by_key_config_selectorIijEEZZNS1_16scan_by_key_implILNS1_25lookback_scan_determinismE0ELb0ES3_N6thrust23THRUST_200600_302600_NS6detail15normal_iteratorINS9_10device_ptrIiEEEENSB_INSC_IjEEEENSB_INSC_IfEEEEjNS9_4plusIvEENS9_8equal_toIvEEjEE10hipError_tPvRmT2_T3_T4_T5_mT6_T7_P12ihipStream_tbENKUlT_T0_E_clISt17integral_constantIbLb0EES12_IbLb1EEEEDaSY_SZ_EUlSY_E_NS1_11comp_targetILNS1_3genE4ELNS1_11target_archE910ELNS1_3gpuE8ELNS1_3repE0EEENS1_30default_config_static_selectorELNS0_4arch9wavefront6targetE1EEEvT1_,comdat
	.protected	_ZN7rocprim17ROCPRIM_400000_NS6detail17trampoline_kernelINS0_14default_configENS1_27scan_by_key_config_selectorIijEEZZNS1_16scan_by_key_implILNS1_25lookback_scan_determinismE0ELb0ES3_N6thrust23THRUST_200600_302600_NS6detail15normal_iteratorINS9_10device_ptrIiEEEENSB_INSC_IjEEEENSB_INSC_IfEEEEjNS9_4plusIvEENS9_8equal_toIvEEjEE10hipError_tPvRmT2_T3_T4_T5_mT6_T7_P12ihipStream_tbENKUlT_T0_E_clISt17integral_constantIbLb0EES12_IbLb1EEEEDaSY_SZ_EUlSY_E_NS1_11comp_targetILNS1_3genE4ELNS1_11target_archE910ELNS1_3gpuE8ELNS1_3repE0EEENS1_30default_config_static_selectorELNS0_4arch9wavefront6targetE1EEEvT1_ ; -- Begin function _ZN7rocprim17ROCPRIM_400000_NS6detail17trampoline_kernelINS0_14default_configENS1_27scan_by_key_config_selectorIijEEZZNS1_16scan_by_key_implILNS1_25lookback_scan_determinismE0ELb0ES3_N6thrust23THRUST_200600_302600_NS6detail15normal_iteratorINS9_10device_ptrIiEEEENSB_INSC_IjEEEENSB_INSC_IfEEEEjNS9_4plusIvEENS9_8equal_toIvEEjEE10hipError_tPvRmT2_T3_T4_T5_mT6_T7_P12ihipStream_tbENKUlT_T0_E_clISt17integral_constantIbLb0EES12_IbLb1EEEEDaSY_SZ_EUlSY_E_NS1_11comp_targetILNS1_3genE4ELNS1_11target_archE910ELNS1_3gpuE8ELNS1_3repE0EEENS1_30default_config_static_selectorELNS0_4arch9wavefront6targetE1EEEvT1_
	.globl	_ZN7rocprim17ROCPRIM_400000_NS6detail17trampoline_kernelINS0_14default_configENS1_27scan_by_key_config_selectorIijEEZZNS1_16scan_by_key_implILNS1_25lookback_scan_determinismE0ELb0ES3_N6thrust23THRUST_200600_302600_NS6detail15normal_iteratorINS9_10device_ptrIiEEEENSB_INSC_IjEEEENSB_INSC_IfEEEEjNS9_4plusIvEENS9_8equal_toIvEEjEE10hipError_tPvRmT2_T3_T4_T5_mT6_T7_P12ihipStream_tbENKUlT_T0_E_clISt17integral_constantIbLb0EES12_IbLb1EEEEDaSY_SZ_EUlSY_E_NS1_11comp_targetILNS1_3genE4ELNS1_11target_archE910ELNS1_3gpuE8ELNS1_3repE0EEENS1_30default_config_static_selectorELNS0_4arch9wavefront6targetE1EEEvT1_
	.p2align	8
	.type	_ZN7rocprim17ROCPRIM_400000_NS6detail17trampoline_kernelINS0_14default_configENS1_27scan_by_key_config_selectorIijEEZZNS1_16scan_by_key_implILNS1_25lookback_scan_determinismE0ELb0ES3_N6thrust23THRUST_200600_302600_NS6detail15normal_iteratorINS9_10device_ptrIiEEEENSB_INSC_IjEEEENSB_INSC_IfEEEEjNS9_4plusIvEENS9_8equal_toIvEEjEE10hipError_tPvRmT2_T3_T4_T5_mT6_T7_P12ihipStream_tbENKUlT_T0_E_clISt17integral_constantIbLb0EES12_IbLb1EEEEDaSY_SZ_EUlSY_E_NS1_11comp_targetILNS1_3genE4ELNS1_11target_archE910ELNS1_3gpuE8ELNS1_3repE0EEENS1_30default_config_static_selectorELNS0_4arch9wavefront6targetE1EEEvT1_,@function
_ZN7rocprim17ROCPRIM_400000_NS6detail17trampoline_kernelINS0_14default_configENS1_27scan_by_key_config_selectorIijEEZZNS1_16scan_by_key_implILNS1_25lookback_scan_determinismE0ELb0ES3_N6thrust23THRUST_200600_302600_NS6detail15normal_iteratorINS9_10device_ptrIiEEEENSB_INSC_IjEEEENSB_INSC_IfEEEEjNS9_4plusIvEENS9_8equal_toIvEEjEE10hipError_tPvRmT2_T3_T4_T5_mT6_T7_P12ihipStream_tbENKUlT_T0_E_clISt17integral_constantIbLb0EES12_IbLb1EEEEDaSY_SZ_EUlSY_E_NS1_11comp_targetILNS1_3genE4ELNS1_11target_archE910ELNS1_3gpuE8ELNS1_3repE0EEENS1_30default_config_static_selectorELNS0_4arch9wavefront6targetE1EEEvT1_: ; @_ZN7rocprim17ROCPRIM_400000_NS6detail17trampoline_kernelINS0_14default_configENS1_27scan_by_key_config_selectorIijEEZZNS1_16scan_by_key_implILNS1_25lookback_scan_determinismE0ELb0ES3_N6thrust23THRUST_200600_302600_NS6detail15normal_iteratorINS9_10device_ptrIiEEEENSB_INSC_IjEEEENSB_INSC_IfEEEEjNS9_4plusIvEENS9_8equal_toIvEEjEE10hipError_tPvRmT2_T3_T4_T5_mT6_T7_P12ihipStream_tbENKUlT_T0_E_clISt17integral_constantIbLb0EES12_IbLb1EEEEDaSY_SZ_EUlSY_E_NS1_11comp_targetILNS1_3genE4ELNS1_11target_archE910ELNS1_3gpuE8ELNS1_3repE0EEENS1_30default_config_static_selectorELNS0_4arch9wavefront6targetE1EEEvT1_
; %bb.0:
	s_load_dwordx4 s[56:59], s[4:5], 0x28
	s_load_dwordx2 s[60:61], s[4:5], 0x38
	v_cmp_ne_u32_e64 s[36:37], 0, v0
	v_cmp_eq_u32_e64 s[0:1], 0, v0
	s_and_saveexec_b64 s[2:3], s[0:1]
	s_cbranch_execz .LBB1674_4
; %bb.1:
	s_mov_b64 s[8:9], exec
	v_mbcnt_lo_u32_b32 v1, s8, 0
	v_mbcnt_hi_u32_b32 v1, s9, v1
	v_cmp_eq_u32_e32 vcc, 0, v1
                                        ; implicit-def: $vgpr2
	s_and_saveexec_b64 s[6:7], vcc
	s_cbranch_execz .LBB1674_3
; %bb.2:
	s_load_dwordx2 s[10:11], s[4:5], 0x68
	s_bcnt1_i32_b64 s8, s[8:9]
	v_mov_b32_e32 v2, 0
	v_mov_b32_e32 v3, s8
	s_waitcnt lgkmcnt(0)
	global_atomic_add v2, v2, v3, s[10:11] glc
.LBB1674_3:
	s_or_b64 exec, exec, s[6:7]
	s_waitcnt vmcnt(0)
	v_readfirstlane_b32 s6, v2
	v_add_u32_e32 v1, s6, v1
	v_mov_b32_e32 v2, 0
	ds_write_b32 v2, v1
.LBB1674_4:
	s_or_b64 exec, exec, s[2:3]
	s_load_dwordx8 s[40:47], s[4:5], 0x0
	s_load_dword s2, s[4:5], 0x40
	s_load_dwordx8 s[48:55], s[4:5], 0x48
	v_mov_b32_e32 v1, 0
	s_waitcnt lgkmcnt(0)
	s_barrier
	ds_read_b32 v1, v1
	s_lshl_b64 s[38:39], s[42:43], 2
	s_add_u32 s4, s40, s38
	s_addc_u32 s5, s41, s39
	s_add_u32 s6, s44, s38
	s_mul_i32 s3, s61, s2
	s_mul_hi_u32 s8, s60, s2
	s_addc_u32 s7, s45, s39
	s_add_i32 s8, s8, s3
	s_waitcnt lgkmcnt(0)
	v_readfirstlane_b32 s59, v1
	s_mul_i32 s9, s60, s2
	s_cmp_lg_u64 s[52:53], 0
	s_mov_b32 s3, 0
	s_mul_i32 s2, s59, 0xe00
	s_cselect_b64 s[44:45], -1, 0
	s_lshl_b64 s[40:41], s[2:3], 2
	s_add_u32 s42, s4, s40
	s_addc_u32 s43, s5, s41
	s_add_u32 s62, s6, s40
	s_addc_u32 s63, s7, s41
	;; [unrolled: 2-line block ×3, first 2 shown]
	s_add_u32 s4, s48, -1
	s_addc_u32 s5, s49, -1
	v_pk_mov_b32 v[2:3], s[4:5], s[4:5] op_sel:[0,1]
	v_cmp_ge_u64_e64 s[2:3], s[52:53], v[2:3]
	s_mov_b64 s[18:19], 0
	s_mov_b64 s[12:13], -1
	s_and_b64 vcc, exec, s[2:3]
	s_mul_i32 s33, s4, 0xfffff200
	s_barrier
	s_barrier
	s_cbranch_vccz .LBB1674_81
; %bb.5:
	v_pk_mov_b32 v[2:3], s[42:43], s[42:43] op_sel:[0,1]
	flat_load_dword v1, v[2:3]
	s_add_i32 s64, s33, s58
	v_cmp_gt_u32_e64 s[6:7], s64, v0
	s_waitcnt vmcnt(0) lgkmcnt(0)
	v_mov_b32_e32 v13, v1
	s_and_saveexec_b64 s[4:5], s[6:7]
	s_cbranch_execz .LBB1674_7
; %bb.6:
	v_lshlrev_b32_e32 v2, 2, v0
	v_mov_b32_e32 v3, s43
	v_add_co_u32_e32 v2, vcc, s42, v2
	v_addc_co_u32_e32 v3, vcc, 0, v3, vcc
	flat_load_dword v13, v[2:3]
.LBB1674_7:
	s_or_b64 exec, exec, s[4:5]
	v_or_b32_e32 v2, 0x100, v0
	v_cmp_gt_u32_e64 s[8:9], s64, v2
	v_mov_b32_e32 v14, v1
	s_and_saveexec_b64 s[4:5], s[8:9]
	s_cbranch_execz .LBB1674_9
; %bb.8:
	v_lshlrev_b32_e32 v2, 2, v0
	v_mov_b32_e32 v3, s43
	v_add_co_u32_e32 v2, vcc, s42, v2
	v_addc_co_u32_e32 v3, vcc, 0, v3, vcc
	flat_load_dword v14, v[2:3] offset:1024
.LBB1674_9:
	s_or_b64 exec, exec, s[4:5]
	v_or_b32_e32 v2, 0x200, v0
	v_cmp_gt_u32_e64 s[10:11], s64, v2
	v_mov_b32_e32 v15, v1
	s_and_saveexec_b64 s[4:5], s[10:11]
	s_cbranch_execz .LBB1674_11
; %bb.10:
	v_lshlrev_b32_e32 v2, 2, v0
	v_mov_b32_e32 v3, s43
	v_add_co_u32_e32 v2, vcc, s42, v2
	v_addc_co_u32_e32 v3, vcc, 0, v3, vcc
	flat_load_dword v15, v[2:3] offset:2048
.LBB1674_11:
	s_or_b64 exec, exec, s[4:5]
	v_or_b32_e32 v2, 0x300, v0
	v_cmp_gt_u32_e64 s[12:13], s64, v2
	v_mov_b32_e32 v16, v1
	s_and_saveexec_b64 s[4:5], s[12:13]
	s_cbranch_execz .LBB1674_13
; %bb.12:
	v_lshlrev_b32_e32 v2, 2, v0
	v_mov_b32_e32 v3, s43
	v_add_co_u32_e32 v2, vcc, s42, v2
	v_addc_co_u32_e32 v3, vcc, 0, v3, vcc
	flat_load_dword v16, v[2:3] offset:3072
.LBB1674_13:
	s_or_b64 exec, exec, s[4:5]
	v_or_b32_e32 v2, 0x400, v0
	v_cmp_gt_u32_e64 s[14:15], s64, v2
	v_lshlrev_b32_e32 v2, 2, v2
	v_mov_b32_e32 v17, v1
	s_and_saveexec_b64 s[4:5], s[14:15]
	s_cbranch_execz .LBB1674_15
; %bb.14:
	v_mov_b32_e32 v3, s43
	v_add_co_u32_e32 v4, vcc, s42, v2
	v_addc_co_u32_e32 v5, vcc, 0, v3, vcc
	flat_load_dword v17, v[4:5]
.LBB1674_15:
	s_or_b64 exec, exec, s[4:5]
	v_or_b32_e32 v3, 0x500, v0
	v_cmp_gt_u32_e64 s[16:17], s64, v3
	v_lshlrev_b32_e32 v3, 2, v3
	v_mov_b32_e32 v18, v1
	s_and_saveexec_b64 s[4:5], s[16:17]
	s_cbranch_execz .LBB1674_17
; %bb.16:
	v_mov_b32_e32 v5, s43
	v_add_co_u32_e32 v4, vcc, s42, v3
	v_addc_co_u32_e32 v5, vcc, 0, v5, vcc
	flat_load_dword v18, v[4:5]
.LBB1674_17:
	;; [unrolled: 13-line block ×9, first 2 shown]
	s_or_b64 exec, exec, s[4:5]
	v_or_b32_e32 v11, 0xd00, v0
	v_cmp_gt_u32_e64 s[34:35], s64, v11
	v_lshlrev_b32_e32 v11, 2, v11
	s_and_saveexec_b64 s[4:5], s[34:35]
	s_cbranch_execz .LBB1674_33
; %bb.32:
	v_mov_b32_e32 v1, s43
	v_add_co_u32_e32 v26, vcc, s42, v11
	v_addc_co_u32_e32 v27, vcc, 0, v1, vcc
	flat_load_dword v1, v[26:27]
.LBB1674_33:
	s_or_b64 exec, exec, s[4:5]
	v_lshlrev_b32_e32 v12, 2, v0
	s_waitcnt vmcnt(0) lgkmcnt(0)
	ds_write2st64_b32 v12, v13, v14 offset1:4
	ds_write2st64_b32 v12, v15, v16 offset0:8 offset1:12
	ds_write2st64_b32 v12, v17, v18 offset0:16 offset1:20
	;; [unrolled: 1-line block ×6, first 2 shown]
	v_mad_u32_u24 v1, v0, 52, v12
	s_waitcnt lgkmcnt(0)
	s_barrier
	ds_read2_b64 v[34:37], v1 offset1:1
	ds_read2_b64 v[30:33], v1 offset0:2 offset1:3
	ds_read2_b64 v[26:29], v1 offset0:4 offset1:5
	ds_read_b64 v[40:41], v1 offset:48
	s_cmp_eq_u64 s[52:53], 0
	s_mov_b64 s[4:5], s[42:43]
	s_cbranch_scc1 .LBB1674_37
; %bb.34:
	s_andn2_b64 vcc, exec, s[44:45]
	s_cbranch_vccnz .LBB1674_183
; %bb.35:
	s_lshl_b64 s[4:5], s[52:53], 2
	s_add_u32 s4, s54, s4
	s_addc_u32 s5, s55, s5
	s_add_u32 s4, s4, -4
	s_addc_u32 s5, s5, -1
	s_cbranch_execnz .LBB1674_37
.LBB1674_36:
	s_add_u32 s4, s42, -4
	s_addc_u32 s5, s43, -1
.LBB1674_37:
	v_pk_mov_b32 v[14:15], s[4:5], s[4:5] op_sel:[0,1]
	flat_load_dword v44, v[14:15]
	s_movk_i32 s4, 0xffcc
	v_mad_i32_i24 v13, v0, s4, v1
	s_waitcnt lgkmcnt(0)
	ds_write_b32 v13, v41 offset:14336
	s_waitcnt lgkmcnt(0)
	s_barrier
	s_and_saveexec_b64 s[4:5], s[36:37]
	s_cbranch_execz .LBB1674_39
; %bb.38:
	v_mul_i32_i24_e32 v13, 0xffffffcc, v0
	v_add_u32_e32 v13, v1, v13
	s_waitcnt vmcnt(0)
	ds_read_b32 v44, v13 offset:14332
.LBB1674_39:
	s_or_b64 exec, exec, s[4:5]
	s_waitcnt lgkmcnt(0)
	s_barrier
	s_waitcnt lgkmcnt(0)
                                        ; implicit-def: $vgpr13
	s_and_saveexec_b64 s[4:5], s[6:7]
	s_cbranch_execnz .LBB1674_170
; %bb.40:
	s_or_b64 exec, exec, s[4:5]
                                        ; implicit-def: $vgpr14
	s_and_saveexec_b64 s[4:5], s[8:9]
	s_cbranch_execnz .LBB1674_171
.LBB1674_41:
	s_or_b64 exec, exec, s[4:5]
                                        ; implicit-def: $vgpr15
	s_and_saveexec_b64 s[4:5], s[10:11]
	s_cbranch_execnz .LBB1674_172
.LBB1674_42:
	s_or_b64 exec, exec, s[4:5]
                                        ; implicit-def: $vgpr16
	s_and_saveexec_b64 s[4:5], s[12:13]
	s_cbranch_execnz .LBB1674_173
.LBB1674_43:
	s_or_b64 exec, exec, s[4:5]
                                        ; implicit-def: $vgpr17
	s_and_saveexec_b64 s[4:5], s[14:15]
	s_cbranch_execnz .LBB1674_174
.LBB1674_44:
	s_or_b64 exec, exec, s[4:5]
                                        ; implicit-def: $vgpr2
	s_and_saveexec_b64 s[4:5], s[16:17]
	s_cbranch_execnz .LBB1674_175
.LBB1674_45:
	s_or_b64 exec, exec, s[4:5]
                                        ; implicit-def: $vgpr3
	s_and_saveexec_b64 s[4:5], s[18:19]
	s_cbranch_execnz .LBB1674_176
.LBB1674_46:
	s_or_b64 exec, exec, s[4:5]
                                        ; implicit-def: $vgpr4
	s_and_saveexec_b64 s[4:5], s[20:21]
	s_cbranch_execnz .LBB1674_177
.LBB1674_47:
	s_or_b64 exec, exec, s[4:5]
                                        ; implicit-def: $vgpr5
	s_and_saveexec_b64 s[4:5], s[22:23]
	s_cbranch_execnz .LBB1674_178
.LBB1674_48:
	s_or_b64 exec, exec, s[4:5]
                                        ; implicit-def: $vgpr6
	s_and_saveexec_b64 s[4:5], s[24:25]
	s_cbranch_execnz .LBB1674_179
.LBB1674_49:
	s_or_b64 exec, exec, s[4:5]
                                        ; implicit-def: $vgpr7
	s_and_saveexec_b64 s[4:5], s[26:27]
	s_cbranch_execnz .LBB1674_180
.LBB1674_50:
	s_or_b64 exec, exec, s[4:5]
                                        ; implicit-def: $vgpr8
	s_and_saveexec_b64 s[4:5], s[28:29]
	s_cbranch_execnz .LBB1674_181
.LBB1674_51:
	s_or_b64 exec, exec, s[4:5]
                                        ; implicit-def: $vgpr9
	s_and_saveexec_b64 s[4:5], s[30:31]
	s_cbranch_execnz .LBB1674_182
.LBB1674_52:
	s_or_b64 exec, exec, s[4:5]
                                        ; implicit-def: $vgpr10
	s_and_saveexec_b64 s[4:5], s[34:35]
	s_cbranch_execz .LBB1674_54
.LBB1674_53:
	v_mov_b32_e32 v18, s63
	v_add_co_u32_e32 v10, vcc, s62, v11
	v_addc_co_u32_e32 v11, vcc, 0, v18, vcc
	flat_load_dword v10, v[10:11]
.LBB1674_54:
	s_or_b64 exec, exec, s[4:5]
	s_mov_b32 s4, 0
	s_mov_b32 s5, s4
	s_waitcnt vmcnt(0) lgkmcnt(0)
	ds_write2st64_b32 v12, v13, v14 offset1:4
	ds_write2st64_b32 v12, v15, v16 offset0:8 offset1:12
	ds_write2st64_b32 v12, v17, v2 offset0:16 offset1:20
	;; [unrolled: 1-line block ×6, first 2 shown]
	s_mov_b32 s6, s4
	s_mov_b32 s7, s4
	;; [unrolled: 1-line block ×6, first 2 shown]
	v_pk_mov_b32 v[2:3], s[4:5], s[4:5] op_sel:[0,1]
	v_pk_mov_b32 v[8:9], s[10:11], s[10:11] op_sel:[0,1]
	v_mul_u32_u24_e32 v42, 14, v0
	v_pk_mov_b32 v[4:5], s[6:7], s[6:7] op_sel:[0,1]
	v_pk_mov_b32 v[6:7], s[8:9], s[8:9] op_sel:[0,1]
	;; [unrolled: 1-line block ×4, first 2 shown]
	v_cmp_gt_u32_e32 vcc, s64, v42
	s_mov_b64 s[12:13], 0
	v_pk_mov_b32 v[38:39], 0, 0
	s_mov_b64 s[18:19], 0
	v_pk_mov_b32 v[14:15], v[6:7], v[6:7] op_sel:[0,1]
	v_pk_mov_b32 v[12:13], v[4:5], v[4:5] op_sel:[0,1]
	;; [unrolled: 1-line block ×6, first 2 shown]
	s_waitcnt lgkmcnt(0)
	s_barrier
	s_waitcnt lgkmcnt(0)
                                        ; implicit-def: $sgpr16_sgpr17
                                        ; implicit-def: $vgpr43
	s_and_saveexec_b64 s[14:15], vcc
	s_cbranch_execz .LBB1674_80
; %bb.55:
	v_or_b32_e32 v2, 1, v42
	ds_read_b32 v38, v1
	v_cmp_ne_u32_e32 vcc, v44, v34
	v_cndmask_b32_e64 v39, 0, 1, vcc
	v_cmp_gt_u32_e32 vcc, s64, v2
	v_pk_mov_b32 v[2:3], s[4:5], s[4:5] op_sel:[0,1]
	v_pk_mov_b32 v[8:9], s[10:11], s[10:11] op_sel:[0,1]
	;; [unrolled: 1-line block ×12, first 2 shown]
                                        ; implicit-def: $sgpr4_sgpr5
                                        ; implicit-def: $vgpr43
	s_and_saveexec_b64 s[16:17], vcc
	s_cbranch_execz .LBB1674_79
; %bb.56:
	ds_read2_b32 v[44:45], v1 offset0:1 offset1:2
	s_mov_b32 s4, 0
	s_mov_b32 s10, s4
	;; [unrolled: 1-line block ×8, first 2 shown]
	v_pk_mov_b32 v[16:17], s[10:11], s[10:11] op_sel:[0,1]
	v_add_u32_e32 v2, 2, v42
	v_cmp_ne_u32_e32 vcc, v34, v35
	v_mov_b32_e32 v6, 0
	v_pk_mov_b32 v[14:15], s[8:9], s[8:9] op_sel:[0,1]
	v_pk_mov_b32 v[12:13], s[6:7], s[6:7] op_sel:[0,1]
	;; [unrolled: 1-line block ×4, first 2 shown]
	v_cndmask_b32_e64 v3, 0, 1, vcc
	v_cmp_gt_u32_e32 vcc, s64, v2
	s_waitcnt lgkmcnt(0)
	v_mov_b32_e32 v2, v44
	v_mov_b32_e32 v4, v6
	;; [unrolled: 1-line block ×6, first 2 shown]
	s_mov_b64 s[20:21], 0
	v_pk_mov_b32 v[22:23], v[14:15], v[14:15] op_sel:[0,1]
	v_pk_mov_b32 v[20:21], v[12:13], v[12:13] op_sel:[0,1]
	;; [unrolled: 1-line block ×3, first 2 shown]
                                        ; implicit-def: $sgpr24_sgpr25
                                        ; implicit-def: $vgpr43
	s_and_saveexec_b64 s[18:19], vcc
	s_cbranch_execz .LBB1674_78
; %bb.57:
	v_pk_mov_b32 v[16:17], s[10:11], s[10:11] op_sel:[0,1]
	v_add_u32_e32 v2, 3, v42
	v_cmp_ne_u32_e32 vcc, v35, v36
	v_pk_mov_b32 v[14:15], s[8:9], s[8:9] op_sel:[0,1]
	v_pk_mov_b32 v[12:13], s[6:7], s[6:7] op_sel:[0,1]
	;; [unrolled: 1-line block ×4, first 2 shown]
	v_cndmask_b32_e64 v5, 0, 1, vcc
	v_cmp_gt_u32_e32 vcc, s64, v2
	v_mov_b32_e32 v2, v44
	v_mov_b32_e32 v4, v45
	;; [unrolled: 1-line block ×5, first 2 shown]
	s_mov_b64 s[22:23], 0
	v_pk_mov_b32 v[22:23], v[14:15], v[14:15] op_sel:[0,1]
	v_pk_mov_b32 v[20:21], v[12:13], v[12:13] op_sel:[0,1]
	;; [unrolled: 1-line block ×3, first 2 shown]
                                        ; implicit-def: $sgpr4_sgpr5
                                        ; implicit-def: $vgpr43
	s_and_saveexec_b64 s[20:21], vcc
	s_cbranch_execz .LBB1674_77
; %bb.58:
	ds_read2_b32 v[34:35], v1 offset0:3 offset1:4
	s_mov_b32 s4, 0
	s_mov_b32 s10, s4
	;; [unrolled: 1-line block ×8, first 2 shown]
	v_pk_mov_b32 v[16:17], s[10:11], s[10:11] op_sel:[0,1]
	v_add_u32_e32 v6, 4, v42
	v_cmp_ne_u32_e32 vcc, v36, v37
	v_pk_mov_b32 v[14:15], s[8:9], s[8:9] op_sel:[0,1]
	v_pk_mov_b32 v[12:13], s[6:7], s[6:7] op_sel:[0,1]
	;; [unrolled: 1-line block ×4, first 2 shown]
	v_cndmask_b32_e64 v7, 0, 1, vcc
	v_cmp_gt_u32_e32 vcc, s64, v6
	s_waitcnt lgkmcnt(0)
	v_mov_b32_e32 v6, v34
	v_mov_b32_e32 v8, s4
	;; [unrolled: 1-line block ×3, first 2 shown]
	s_mov_b64 s[24:25], 0
	v_pk_mov_b32 v[22:23], v[14:15], v[14:15] op_sel:[0,1]
	v_pk_mov_b32 v[20:21], v[12:13], v[12:13] op_sel:[0,1]
	;; [unrolled: 1-line block ×3, first 2 shown]
                                        ; implicit-def: $sgpr26_sgpr27
                                        ; implicit-def: $vgpr43
	s_and_saveexec_b64 s[22:23], vcc
	s_cbranch_execz .LBB1674_76
; %bb.59:
	v_pk_mov_b32 v[16:17], s[10:11], s[10:11] op_sel:[0,1]
	v_add_u32_e32 v8, 5, v42
	v_cmp_ne_u32_e32 vcc, v37, v30
	v_pk_mov_b32 v[14:15], s[8:9], s[8:9] op_sel:[0,1]
	v_pk_mov_b32 v[12:13], s[6:7], s[6:7] op_sel:[0,1]
	;; [unrolled: 1-line block ×4, first 2 shown]
	v_cndmask_b32_e64 v9, 0, 1, vcc
	v_cmp_gt_u32_e32 vcc, s64, v8
	v_mov_b32_e32 v8, v35
	s_mov_b64 s[28:29], 0
	v_pk_mov_b32 v[22:23], v[14:15], v[14:15] op_sel:[0,1]
	v_pk_mov_b32 v[20:21], v[12:13], v[12:13] op_sel:[0,1]
	;; [unrolled: 1-line block ×3, first 2 shown]
                                        ; implicit-def: $sgpr4_sgpr5
                                        ; implicit-def: $vgpr43
	s_and_saveexec_b64 s[24:25], vcc
	s_cbranch_execz .LBB1674_75
; %bb.60:
	ds_read2_b32 v[34:35], v1 offset0:5 offset1:6
	s_mov_b32 s4, 0
	s_mov_b32 s10, s4
	;; [unrolled: 1-line block ×3, first 2 shown]
	v_add_u32_e32 v10, 6, v42
	v_cmp_ne_u32_e32 vcc, v30, v31
	v_mov_b32_e32 v14, 0
	s_mov_b32 s5, s4
	s_mov_b32 s6, s4
	;; [unrolled: 1-line block ×5, first 2 shown]
	v_pk_mov_b32 v[24:25], s[10:11], s[10:11] op_sel:[0,1]
	v_cndmask_b32_e64 v11, 0, 1, vcc
	v_cmp_gt_u32_e32 vcc, s64, v10
	s_waitcnt lgkmcnt(0)
	v_mov_b32_e32 v10, v34
	v_mov_b32_e32 v12, v14
	;; [unrolled: 1-line block ×6, first 2 shown]
	v_pk_mov_b32 v[22:23], s[8:9], s[8:9] op_sel:[0,1]
	v_pk_mov_b32 v[20:21], s[6:7], s[6:7] op_sel:[0,1]
	;; [unrolled: 1-line block ×3, first 2 shown]
                                        ; implicit-def: $sgpr34_sgpr35
                                        ; implicit-def: $vgpr43
	s_and_saveexec_b64 s[26:27], vcc
	s_cbranch_execz .LBB1674_74
; %bb.61:
	v_add_u32_e32 v10, 7, v42
	v_cmp_ne_u32_e32 vcc, v31, v32
	v_pk_mov_b32 v[24:25], s[10:11], s[10:11] op_sel:[0,1]
	v_cndmask_b32_e64 v13, 0, 1, vcc
	v_cmp_gt_u32_e32 vcc, s64, v10
	v_mov_b32_e32 v10, v34
	v_mov_b32_e32 v12, v35
	;; [unrolled: 1-line block ×5, first 2 shown]
	s_mov_b64 s[30:31], 0
	v_pk_mov_b32 v[22:23], s[8:9], s[8:9] op_sel:[0,1]
	v_pk_mov_b32 v[20:21], s[6:7], s[6:7] op_sel:[0,1]
	;; [unrolled: 1-line block ×3, first 2 shown]
                                        ; implicit-def: $sgpr4_sgpr5
                                        ; implicit-def: $vgpr43
	s_and_saveexec_b64 s[28:29], vcc
	s_cbranch_execz .LBB1674_73
; %bb.62:
	ds_read2_b32 v[30:31], v1 offset0:7 offset1:8
	s_mov_b32 s4, 0
	s_mov_b32 s10, s4
	;; [unrolled: 1-line block ×3, first 2 shown]
	v_add_u32_e32 v14, 8, v42
	v_cmp_ne_u32_e32 vcc, v32, v33
	s_mov_b32 s5, s4
	s_mov_b32 s6, s4
	s_mov_b32 s7, s4
	s_mov_b32 s8, s4
	s_mov_b32 s9, s4
	v_pk_mov_b32 v[24:25], s[10:11], s[10:11] op_sel:[0,1]
	v_cndmask_b32_e64 v15, 0, 1, vcc
	v_cmp_gt_u32_e32 vcc, s64, v14
	s_waitcnt lgkmcnt(0)
	v_mov_b32_e32 v14, v30
	v_mov_b32_e32 v16, s4
	;; [unrolled: 1-line block ×3, first 2 shown]
	s_mov_b64 s[34:35], 0
	v_pk_mov_b32 v[22:23], s[8:9], s[8:9] op_sel:[0,1]
	v_pk_mov_b32 v[20:21], s[6:7], s[6:7] op_sel:[0,1]
	;; [unrolled: 1-line block ×3, first 2 shown]
                                        ; implicit-def: $sgpr48_sgpr49
                                        ; implicit-def: $vgpr43
	s_and_saveexec_b64 s[30:31], vcc
	s_cbranch_execz .LBB1674_72
; %bb.63:
	v_add_u32_e32 v16, 9, v42
	v_cmp_ne_u32_e32 vcc, v33, v26
	v_pk_mov_b32 v[24:25], s[10:11], s[10:11] op_sel:[0,1]
	v_cndmask_b32_e64 v17, 0, 1, vcc
	v_cmp_gt_u32_e32 vcc, s64, v16
	v_mov_b32_e32 v16, v31
	v_pk_mov_b32 v[22:23], s[8:9], s[8:9] op_sel:[0,1]
	v_pk_mov_b32 v[20:21], s[6:7], s[6:7] op_sel:[0,1]
	;; [unrolled: 1-line block ×3, first 2 shown]
                                        ; implicit-def: $sgpr8_sgpr9
                                        ; implicit-def: $vgpr43
	s_and_saveexec_b64 s[6:7], vcc
	s_cbranch_execz .LBB1674_71
; %bb.64:
	ds_read2_b32 v[30:31], v1 offset0:9 offset1:10
	v_add_u32_e32 v18, 10, v42
	v_cmp_ne_u32_e32 vcc, v26, v27
	v_mov_b32_e32 v22, 0
	v_cndmask_b32_e64 v19, 0, 1, vcc
	v_cmp_gt_u32_e32 vcc, s64, v18
	s_waitcnt lgkmcnt(0)
	v_mov_b32_e32 v18, v30
	v_mov_b32_e32 v20, v22
	;; [unrolled: 1-line block ×6, first 2 shown]
	s_mov_b64 s[4:5], 0
                                        ; implicit-def: $sgpr10_sgpr11
                                        ; implicit-def: $vgpr43
	s_and_saveexec_b64 s[8:9], vcc
	s_cbranch_execz .LBB1674_70
; %bb.65:
	v_add_u32_e32 v18, 11, v42
	v_cmp_ne_u32_e32 vcc, v27, v28
	v_cndmask_b32_e64 v21, 0, 1, vcc
	v_cmp_gt_u32_e32 vcc, s64, v18
	s_mov_b32 s48, 0
	v_mov_b32_e32 v18, v30
	v_mov_b32_e32 v20, v31
	;; [unrolled: 1-line block ×5, first 2 shown]
                                        ; implicit-def: $sgpr34_sgpr35
                                        ; implicit-def: $vgpr43
	s_and_saveexec_b64 s[10:11], vcc
	s_cbranch_execz .LBB1674_69
; %bb.66:
	ds_read2_b32 v[26:27], v1 offset0:11 offset1:12
	v_add_u32_e32 v22, 12, v42
	v_cmp_ne_u32_e32 vcc, v28, v29
	v_cndmask_b32_e64 v23, 0, 1, vcc
	v_cmp_gt_u32_e32 vcc, s64, v22
	s_waitcnt lgkmcnt(0)
	v_mov_b32_e32 v22, v26
	v_mov_b32_e32 v24, s48
	;; [unrolled: 1-line block ×3, first 2 shown]
                                        ; implicit-def: $sgpr34_sgpr35
                                        ; implicit-def: $vgpr43
	s_and_saveexec_b64 s[48:49], vcc
	s_xor_b64 s[48:49], exec, s[48:49]
	s_cbranch_execz .LBB1674_68
; %bb.67:
	ds_read_b32 v43, v1 offset:52
	v_add_u32_e32 v1, 13, v42
	v_cmp_ne_u32_e64 s[4:5], v29, v40
	v_cmp_ne_u32_e32 vcc, v40, v41
	v_cndmask_b32_e64 v25, 0, 1, s[4:5]
	v_cmp_gt_u32_e64 s[4:5], s64, v1
	v_mov_b32_e32 v24, v27
	s_and_b64 s[34:35], vcc, exec
	s_and_b64 s[4:5], s[4:5], exec
.LBB1674_68:
	s_or_b64 exec, exec, s[48:49]
	s_and_b64 s[34:35], s[34:35], exec
	s_and_b64 s[4:5], s[4:5], exec
.LBB1674_69:
	s_or_b64 exec, exec, s[10:11]
	s_and_b64 s[10:11], s[34:35], exec
	s_and_b64 s[4:5], s[4:5], exec
.LBB1674_70:
	s_or_b64 exec, exec, s[8:9]
	s_and_b64 s[8:9], s[10:11], exec
	s_and_b64 s[34:35], s[4:5], exec
.LBB1674_71:
	s_or_b64 exec, exec, s[6:7]
	s_and_b64 s[48:49], s[8:9], exec
	s_and_b64 s[34:35], s[34:35], exec
.LBB1674_72:
	s_or_b64 exec, exec, s[30:31]
	s_and_b64 s[4:5], s[48:49], exec
	s_and_b64 s[30:31], s[34:35], exec
.LBB1674_73:
	s_or_b64 exec, exec, s[28:29]
	s_and_b64 s[34:35], s[4:5], exec
	s_and_b64 s[28:29], s[30:31], exec
.LBB1674_74:
	s_or_b64 exec, exec, s[26:27]
	s_and_b64 s[4:5], s[34:35], exec
	s_and_b64 s[28:29], s[28:29], exec
.LBB1674_75:
	s_or_b64 exec, exec, s[24:25]
	s_and_b64 s[26:27], s[4:5], exec
	s_and_b64 s[24:25], s[28:29], exec
.LBB1674_76:
	s_or_b64 exec, exec, s[22:23]
	s_and_b64 s[4:5], s[26:27], exec
	s_and_b64 s[22:23], s[24:25], exec
.LBB1674_77:
	s_or_b64 exec, exec, s[20:21]
	s_and_b64 s[24:25], s[4:5], exec
	s_and_b64 s[20:21], s[22:23], exec
.LBB1674_78:
	s_or_b64 exec, exec, s[18:19]
	s_and_b64 s[4:5], s[24:25], exec
	s_and_b64 s[18:19], s[20:21], exec
.LBB1674_79:
	s_or_b64 exec, exec, s[16:17]
	s_and_b64 s[16:17], s[4:5], exec
	s_and_b64 s[18:19], s[18:19], exec
.LBB1674_80:
	s_or_b64 exec, exec, s[14:15]
	s_and_b64 vcc, exec, s[12:13]
	v_lshlrev_b32_e32 v50, 2, v0
	s_cbranch_vccnz .LBB1674_82
	s_branch .LBB1674_90
.LBB1674_81:
                                        ; implicit-def: $sgpr16_sgpr17
                                        ; implicit-def: $vgpr2_vgpr3_vgpr4_vgpr5_vgpr6_vgpr7_vgpr8_vgpr9
                                        ; implicit-def: $vgpr10_vgpr11_vgpr12_vgpr13_vgpr14_vgpr15_vgpr16_vgpr17
                                        ; implicit-def: $vgpr18_vgpr19_vgpr20_vgpr21_vgpr22_vgpr23_vgpr24_vgpr25
                                        ; implicit-def: $vgpr43
                                        ; implicit-def: $vgpr38_vgpr39
	s_and_b64 vcc, exec, s[12:13]
	v_lshlrev_b32_e32 v50, 2, v0
	s_cbranch_vccz .LBB1674_90
.LBB1674_82:
	v_mov_b32_e32 v1, s43
	v_add_co_u32_e32 v2, vcc, s42, v50
	v_addc_co_u32_e32 v3, vcc, 0, v1, vcc
	v_add_co_u32_e32 v4, vcc, 0x1000, v2
	v_addc_co_u32_e32 v5, vcc, 0, v3, vcc
	flat_load_dword v6, v[2:3]
	flat_load_dword v7, v[2:3] offset:1024
	flat_load_dword v8, v[2:3] offset:2048
	;; [unrolled: 1-line block ×3, first 2 shown]
	flat_load_dword v10, v[4:5]
	flat_load_dword v11, v[4:5] offset:1024
	flat_load_dword v12, v[4:5] offset:2048
	;; [unrolled: 1-line block ×3, first 2 shown]
	v_add_co_u32_e32 v4, vcc, 0x2000, v2
	v_addc_co_u32_e32 v5, vcc, 0, v3, vcc
	v_add_co_u32_e32 v2, vcc, 0x3000, v2
	v_addc_co_u32_e32 v3, vcc, 0, v3, vcc
	flat_load_dword v14, v[4:5]
	flat_load_dword v15, v[4:5] offset:1024
	flat_load_dword v16, v[4:5] offset:2048
	;; [unrolled: 1-line block ×3, first 2 shown]
	flat_load_dword v18, v[2:3]
	flat_load_dword v19, v[2:3] offset:1024
	v_mad_u32_u24 v1, v0, 52, v50
	s_cmp_eq_u64 s[52:53], 0
	s_waitcnt vmcnt(0) lgkmcnt(0)
	ds_write2st64_b32 v50, v6, v7 offset1:4
	ds_write2st64_b32 v50, v8, v9 offset0:8 offset1:12
	ds_write2st64_b32 v50, v10, v11 offset0:16 offset1:20
	;; [unrolled: 1-line block ×6, first 2 shown]
	s_waitcnt lgkmcnt(0)
	s_barrier
	ds_read2_b64 v[2:5], v1 offset1:1
	ds_read2_b64 v[10:13], v1 offset0:2 offset1:3
	ds_read2_b64 v[18:21], v1 offset0:4 offset1:5
	ds_read_b64 v[6:7], v1 offset:48
	s_cbranch_scc1 .LBB1674_87
; %bb.83:
	s_andn2_b64 vcc, exec, s[44:45]
	s_cbranch_vccnz .LBB1674_184
; %bb.84:
	s_lshl_b64 s[4:5], s[52:53], 2
	s_add_u32 s4, s54, s4
	s_addc_u32 s5, s55, s5
	s_add_u32 s4, s4, -4
	s_addc_u32 s5, s5, -1
	s_cbranch_execnz .LBB1674_86
.LBB1674_85:
	s_add_u32 s4, s42, -4
	s_addc_u32 s5, s43, -1
.LBB1674_86:
	s_mov_b64 s[42:43], s[4:5]
.LBB1674_87:
	v_pk_mov_b32 v[8:9], s[42:43], s[42:43] op_sel:[0,1]
	flat_load_dword v8, v[8:9]
	s_movk_i32 s4, 0xffcc
	v_mad_i32_i24 v9, v0, s4, v1
	s_waitcnt lgkmcnt(0)
	ds_write_b32 v9, v7 offset:14336
	s_waitcnt lgkmcnt(0)
	s_barrier
	s_and_saveexec_b64 s[4:5], s[36:37]
	s_cbranch_execz .LBB1674_89
; %bb.88:
	s_waitcnt vmcnt(0)
	v_mul_i32_i24_e32 v8, 0xffffffcc, v0
	v_add_u32_e32 v8, v1, v8
	ds_read_b32 v8, v8 offset:14332
.LBB1674_89:
	s_or_b64 exec, exec, s[4:5]
	v_mov_b32_e32 v9, s63
	v_add_co_u32_e32 v14, vcc, s62, v50
	v_addc_co_u32_e32 v15, vcc, 0, v9, vcc
	s_movk_i32 s4, 0x1000
	v_add_co_u32_e32 v16, vcc, s4, v14
	v_addc_co_u32_e32 v17, vcc, 0, v15, vcc
	s_movk_i32 s4, 0x2000
	s_waitcnt lgkmcnt(0)
	s_barrier
	flat_load_dword v22, v[14:15]
	flat_load_dword v24, v[14:15] offset:1024
	flat_load_dword v26, v[14:15] offset:2048
	;; [unrolled: 1-line block ×3, first 2 shown]
	flat_load_dword v28, v[16:17]
	flat_load_dword v29, v[16:17] offset:1024
	flat_load_dword v30, v[16:17] offset:2048
	;; [unrolled: 1-line block ×3, first 2 shown]
	v_add_co_u32_e32 v16, vcc, s4, v14
	v_addc_co_u32_e32 v17, vcc, 0, v15, vcc
	s_movk_i32 s4, 0x3000
	v_add_co_u32_e32 v14, vcc, s4, v14
	v_addc_co_u32_e32 v15, vcc, 0, v15, vcc
	flat_load_dword v32, v[16:17]
	flat_load_dword v33, v[16:17] offset:1024
	flat_load_dword v34, v[16:17] offset:2048
	;; [unrolled: 1-line block ×3, first 2 shown]
	flat_load_dword v36, v[14:15]
	flat_load_dword v37, v[14:15] offset:1024
	s_waitcnt vmcnt(0)
	v_cmp_ne_u32_e32 vcc, v8, v2
	v_cndmask_b32_e64 v39, 0, 1, vcc
	v_cmp_ne_u32_e32 vcc, v5, v10
	v_cndmask_b32_e64 v9, 0, 1, vcc
	v_cmp_ne_u32_e32 vcc, v4, v5
	v_cmp_ne_u32_e64 s[16:17], v6, v7
	v_cndmask_b32_e64 v7, 0, 1, vcc
	v_cmp_ne_u32_e32 vcc, v3, v4
	v_cndmask_b32_e64 v5, 0, 1, vcc
	v_cmp_ne_u32_e32 vcc, v2, v3
	;; [unrolled: 2-line block ×10, first 2 shown]
	v_cndmask_b32_e64 v19, 0, 1, vcc
	s_mov_b64 s[18:19], -1
                                        ; implicit-def: $sgpr12_sgpr13
	s_waitcnt lgkmcnt(0)
	ds_write2st64_b32 v50, v22, v24 offset1:4
	ds_write2st64_b32 v50, v26, v27 offset0:8 offset1:12
	ds_write2st64_b32 v50, v28, v29 offset0:16 offset1:20
	;; [unrolled: 1-line block ×6, first 2 shown]
	s_waitcnt lgkmcnt(0)
	s_barrier
	ds_read2_b32 v[42:43], v1 offset1:13
	ds_read2_b32 v[26:27], v1 offset0:7 offset1:8
	ds_read2_b32 v[28:29], v1 offset0:5 offset1:6
	;; [unrolled: 1-line block ×6, first 2 shown]
	s_waitcnt lgkmcnt(6)
	v_mov_b32_e32 v38, v42
	s_waitcnt lgkmcnt(4)
	v_mov_b32_e32 v10, v28
	;; [unrolled: 2-line block ×4, first 2 shown]
	v_mov_b32_e32 v4, v33
	v_mov_b32_e32 v8, v31
	;; [unrolled: 1-line block ×5, first 2 shown]
	s_waitcnt lgkmcnt(0)
	v_mov_b32_e32 v18, v36
	v_mov_b32_e32 v20, v37
	;; [unrolled: 1-line block ×4, first 2 shown]
.LBB1674_90:
	v_pk_mov_b32 v[40:41], s[12:13], s[12:13] op_sel:[0,1]
	s_and_saveexec_b64 s[4:5], s[18:19]
	s_cbranch_execz .LBB1674_92
; %bb.91:
	v_cndmask_b32_e64 v41, 0, 1, s[16:17]
	s_waitcnt lgkmcnt(0)
	v_mov_b32_e32 v40, v43
.LBB1674_92:
	s_or_b64 exec, exec, s[4:5]
	s_mov_b32 s4, 0
	s_cmp_lg_u32 s59, 0
	v_mbcnt_lo_u32_b32 v52, -1, 0
	v_lshrrev_b32_e32 v1, 6, v0
	v_or_b32_e32 v51, 63, v0
	s_waitcnt lgkmcnt(0)
	s_barrier
	s_cbranch_scc0 .LBB1674_121
; %bb.93:
	s_mov_b32 s5, 1
	v_cmp_gt_u64_e64 s[6:7], s[4:5], v[2:3]
	v_cndmask_b32_e64 v27, 0, v38, s[6:7]
	v_add_u32_e32 v27, v27, v2
	v_cmp_gt_u64_e64 s[8:9], s[4:5], v[4:5]
	v_cndmask_b32_e64 v27, 0, v27, s[8:9]
	v_add_u32_e32 v27, v27, v4
	;; [unrolled: 3-line block ×13, first 2 shown]
	v_or3_b32 v27, v41, v25, v23
	v_or3_b32 v27, v27, v21, v19
	;; [unrolled: 1-line block ×6, first 2 shown]
	v_mov_b32_e32 v26, 0
	v_and_b32_e32 v27, 1, v27
	v_cmp_eq_u64_e32 vcc, 0, v[26:27]
	v_cndmask_b32_e32 v26, 1, v39, vcc
	v_mbcnt_hi_u32_b32 v46, -1, v52
	v_mov_b32_dpp v29, v28 row_shr:1 row_mask:0xf bank_mask:0xf
	v_mov_b32_dpp v30, v26 row_shr:1 row_mask:0xf bank_mask:0xf
	v_cmp_eq_u32_e32 vcc, 0, v26
	v_and_b32_e32 v31, 1, v26
	v_and_b32_e32 v27, 15, v46
	v_cndmask_b32_e32 v29, 0, v29, vcc
	v_and_b32_e32 v30, 1, v30
	v_cmp_eq_u32_e32 vcc, 1, v31
	v_cndmask_b32_e64 v30, v30, 1, vcc
	v_cmp_eq_u32_e32 vcc, 0, v27
	v_cndmask_b32_e32 v26, v30, v26, vcc
	v_and_b32_e32 v31, 1, v26
	v_cmp_eq_u32_e64 s[4:5], 1, v31
	v_mov_b32_dpp v30, v26 row_shr:2 row_mask:0xf bank_mask:0xf
	v_and_b32_e32 v30, 1, v30
	v_cndmask_b32_e64 v30, v30, 1, s[4:5]
	v_cmp_lt_u32_e64 s[4:5], 1, v27
	v_cndmask_b32_e64 v29, v29, 0, vcc
	v_cmp_eq_u32_e32 vcc, 0, v26
	v_cndmask_b32_e64 v26, v26, v30, s[4:5]
	v_add_u32_e32 v28, v29, v28
	v_and_b32_e32 v31, 1, v26
	v_mov_b32_dpp v30, v26 row_shr:4 row_mask:0xf bank_mask:0xf
	v_mov_b32_dpp v29, v28 row_shr:2 row_mask:0xf bank_mask:0xf
	s_and_b64 vcc, s[4:5], vcc
	v_and_b32_e32 v30, 1, v30
	v_cmp_eq_u32_e64 s[4:5], 1, v31
	v_cndmask_b32_e32 v29, 0, v29, vcc
	v_cndmask_b32_e64 v30, v30, 1, s[4:5]
	v_cmp_lt_u32_e64 s[4:5], 3, v27
	v_add_u32_e32 v28, v29, v28
	v_cmp_eq_u32_e32 vcc, 0, v26
	v_cndmask_b32_e64 v26, v26, v30, s[4:5]
	v_mov_b32_dpp v29, v28 row_shr:4 row_mask:0xf bank_mask:0xf
	s_and_b64 vcc, s[4:5], vcc
	v_mov_b32_dpp v30, v26 row_shr:8 row_mask:0xf bank_mask:0xf
	v_and_b32_e32 v31, 1, v26
	v_cndmask_b32_e32 v29, 0, v29, vcc
	v_and_b32_e32 v30, 1, v30
	v_cmp_eq_u32_e64 s[4:5], 1, v31
	v_add_u32_e32 v28, v29, v28
	v_cmp_eq_u32_e32 vcc, 0, v26
	v_cndmask_b32_e64 v30, v30, 1, s[4:5]
	v_cmp_lt_u32_e64 s[4:5], 7, v27
	v_mov_b32_dpp v29, v28 row_shr:8 row_mask:0xf bank_mask:0xf
	s_and_b64 vcc, s[4:5], vcc
	v_cndmask_b32_e32 v27, 0, v29, vcc
	v_cndmask_b32_e64 v26, v26, v30, s[4:5]
	v_add_u32_e32 v27, v27, v28
	v_cmp_eq_u32_e32 vcc, 0, v26
	v_mov_b32_dpp v29, v26 row_bcast:15 row_mask:0xf bank_mask:0xf
	v_mov_b32_dpp v28, v27 row_bcast:15 row_mask:0xf bank_mask:0xf
	v_and_b32_e32 v32, 1, v26
	v_and_b32_e32 v31, 16, v46
	v_cndmask_b32_e32 v28, 0, v28, vcc
	v_and_b32_e32 v29, 1, v29
	v_cmp_eq_u32_e32 vcc, 1, v32
	v_bfe_i32 v30, v46, 4, 1
	v_cndmask_b32_e64 v29, v29, 1, vcc
	v_cmp_eq_u32_e32 vcc, 0, v31
	v_and_b32_e32 v28, v30, v28
	v_cndmask_b32_e32 v26, v29, v26, vcc
	v_add_u32_e32 v27, v28, v27
	v_and_b32_e32 v30, 1, v26
	v_mov_b32_dpp v28, v26 row_bcast:31 row_mask:0xf bank_mask:0xf
	v_and_b32_e32 v28, 1, v28
	v_cmp_eq_u32_e64 s[4:5], 1, v30
	v_cmp_eq_u32_e32 vcc, 0, v26
	v_cndmask_b32_e64 v28, v28, 1, s[4:5]
	v_cmp_lt_u32_e64 s[4:5], 31, v46
	v_mov_b32_dpp v29, v27 row_bcast:31 row_mask:0xf bank_mask:0xf
	s_and_b64 vcc, s[4:5], vcc
	v_cndmask_b32_e64 v28, v26, v28, s[4:5]
	v_cndmask_b32_e32 v26, 0, v29, vcc
	v_add_u32_e32 v29, v26, v27
	v_cmp_eq_u32_e32 vcc, v51, v0
	s_and_saveexec_b64 s[4:5], vcc
	s_cbranch_execz .LBB1674_95
; %bb.94:
	v_lshlrev_b32_e32 v26, 3, v1
	ds_write_b32 v26, v29
	ds_write_b8 v26, v28 offset:4
.LBB1674_95:
	s_or_b64 exec, exec, s[4:5]
	v_cmp_gt_u32_e32 vcc, 4, v0
	s_waitcnt lgkmcnt(0)
	s_barrier
	s_and_saveexec_b64 s[4:5], vcc
	s_cbranch_execz .LBB1674_99
; %bb.96:
	v_lshlrev_b32_e32 v30, 3, v0
	ds_read_b64 v[26:27], v30
	v_and_b32_e32 v31, 3, v46
	v_cmp_ne_u32_e32 vcc, 0, v31
	s_waitcnt lgkmcnt(0)
	v_mov_b32_dpp v32, v26 row_shr:1 row_mask:0xf bank_mask:0xf
	v_mov_b32_dpp v34, v27 row_shr:1 row_mask:0xf bank_mask:0xf
	v_mov_b32_e32 v33, v27
	s_and_saveexec_b64 s[34:35], vcc
	s_cbranch_execz .LBB1674_98
; %bb.97:
	v_and_b32_e32 v33, 1, v27
	v_and_b32_e32 v34, 1, v34
	v_cmp_eq_u32_e32 vcc, 1, v33
	v_mov_b32_e32 v33, 0
	v_cndmask_b32_e64 v34, v34, 1, vcc
	v_cmp_eq_u16_sdwa vcc, v27, v33 src0_sel:BYTE_0 src1_sel:DWORD
	v_cndmask_b32_e32 v32, 0, v32, vcc
	v_add_u32_e32 v26, v32, v26
	v_and_b32_e32 v32, 0xffff, v34
	s_movk_i32 s42, 0xff00
	v_and_or_b32 v33, v27, s42, v32
	v_mov_b32_e32 v27, v34
.LBB1674_98:
	s_or_b64 exec, exec, s[34:35]
	v_mov_b32_dpp v33, v33 row_shr:2 row_mask:0xf bank_mask:0xf
	v_and_b32_e32 v34, 1, v27
	v_and_b32_e32 v33, 1, v33
	v_cmp_eq_u32_e32 vcc, 1, v34
	v_mov_b32_e32 v34, 0
	v_cndmask_b32_e64 v33, v33, 1, vcc
	v_cmp_eq_u16_sdwa s[34:35], v27, v34 src0_sel:BYTE_0 src1_sel:DWORD
	v_cmp_lt_u32_e32 vcc, 1, v31
	v_mov_b32_dpp v32, v26 row_shr:2 row_mask:0xf bank_mask:0xf
	v_cndmask_b32_e32 v27, v27, v33, vcc
	s_and_b64 vcc, vcc, s[34:35]
	v_cndmask_b32_e32 v31, 0, v32, vcc
	v_add_u32_e32 v26, v31, v26
	ds_write_b32 v30, v26
	ds_write_b8 v30, v27 offset:4
.LBB1674_99:
	s_or_b64 exec, exec, s[4:5]
	v_cmp_gt_u32_e32 vcc, 64, v0
	v_cmp_lt_u32_e64 s[4:5], 63, v0
	v_mov_b32_e32 v42, 0
	v_mov_b32_e32 v43, 0
	s_waitcnt lgkmcnt(0)
	s_barrier
	s_and_saveexec_b64 s[34:35], s[4:5]
	s_cbranch_execz .LBB1674_101
; %bb.100:
	v_lshl_add_u32 v26, v1, 3, -8
	ds_read_b32 v42, v26
	ds_read_u8 v43, v26 offset:4
	v_and_b32_e32 v27, 1, v28
	v_cmp_eq_u32_e64 s[4:5], 0, v28
	s_waitcnt lgkmcnt(1)
	v_cndmask_b32_e64 v26, 0, v42, s[4:5]
	v_cmp_eq_u32_e64 s[4:5], 1, v27
	v_add_u32_e32 v29, v26, v29
	s_waitcnt lgkmcnt(0)
	v_cndmask_b32_e64 v28, v43, 1, s[4:5]
.LBB1674_101:
	s_or_b64 exec, exec, s[34:35]
	v_add_u32_e32 v26, -1, v46
	v_and_b32_e32 v27, 64, v46
	v_cmp_lt_i32_e64 s[4:5], v26, v27
	v_cndmask_b32_e64 v26, v26, v46, s[4:5]
	v_lshlrev_b32_e32 v26, 2, v26
	ds_bpermute_b32 v44, v26, v29
	ds_bpermute_b32 v45, v26, v28
	v_cmp_eq_u32_e64 s[34:35], 0, v46
	s_and_saveexec_b64 s[42:43], vcc
	s_cbranch_execz .LBB1674_120
; %bb.102:
	v_mov_b32_e32 v29, 0
	ds_read_b64 v[26:27], v29 offset:24
	s_waitcnt lgkmcnt(0)
	v_readfirstlane_b32 s52, v27
	s_and_saveexec_b64 s[4:5], s[34:35]
	s_cbranch_execz .LBB1674_104
; %bb.103:
	s_add_i32 s44, s59, 64
	s_mov_b32 s45, 0
	s_lshl_b64 s[48:49], s[44:45], 4
	s_add_u32 s48, s56, s48
	s_addc_u32 s49, s57, s49
	s_and_b32 s55, s52, 0xff000000
	s_mov_b32 s54, s45
	s_and_b32 s63, s52, 0xff0000
	s_mov_b32 s62, s45
	s_or_b64 s[54:55], s[62:63], s[54:55]
	s_and_b32 s63, s52, 0xff00
	s_or_b64 s[54:55], s[54:55], s[62:63]
	s_and_b32 s63, s52, 0xff
	s_or_b64 s[44:45], s[54:55], s[62:63]
	v_mov_b32_e32 v27, s45
	v_mov_b32_e32 v28, 1
	v_pk_mov_b32 v[30:31], s[48:49], s[48:49] op_sel:[0,1]
	;;#ASMSTART
	global_store_dwordx4 v[30:31], v[26:29] off	
s_waitcnt vmcnt(0)
	;;#ASMEND
.LBB1674_104:
	s_or_b64 exec, exec, s[4:5]
	v_xad_u32 v34, v46, -1, s59
	v_add_u32_e32 v28, 64, v34
	v_lshlrev_b64 v[30:31], 4, v[28:29]
	v_mov_b32_e32 v27, s57
	v_add_co_u32_e32 v36, vcc, s56, v30
	v_addc_co_u32_e32 v37, vcc, v27, v31, vcc
	;;#ASMSTART
	global_load_dwordx4 v[30:33], v[36:37] off glc	
s_waitcnt vmcnt(0)
	;;#ASMEND
	v_and_b32_e32 v27, 0xff0000, v30
	v_or_b32_sdwa v27, v30, v27 dst_sel:DWORD dst_unused:UNUSED_PAD src0_sel:WORD_0 src1_sel:DWORD
	v_and_b32_e32 v28, 0xff000000, v30
	v_and_b32_e32 v30, 0xff, v31
	v_or3_b32 v31, 0, 0, v30
	v_or3_b32 v30, v27, v28, 0
	v_cmp_eq_u16_sdwa s[44:45], v32, v29 src0_sel:BYTE_0 src1_sel:DWORD
	s_and_saveexec_b64 s[4:5], s[44:45]
	s_cbranch_execz .LBB1674_108
; %bb.105:
	s_mov_b64 s[44:45], 0
	v_mov_b32_e32 v27, 0
.LBB1674_106:                           ; =>This Inner Loop Header: Depth=1
	;;#ASMSTART
	global_load_dwordx4 v[30:33], v[36:37] off glc	
s_waitcnt vmcnt(0)
	;;#ASMEND
	v_cmp_ne_u16_sdwa s[48:49], v32, v27 src0_sel:BYTE_0 src1_sel:DWORD
	s_or_b64 s[44:45], s[48:49], s[44:45]
	s_andn2_b64 exec, exec, s[44:45]
	s_cbranch_execnz .LBB1674_106
; %bb.107:
	s_or_b64 exec, exec, s[44:45]
	v_and_b32_e32 v31, 0xff, v31
.LBB1674_108:
	s_or_b64 exec, exec, s[4:5]
	v_mov_b32_e32 v27, 2
	v_cmp_eq_u16_sdwa s[4:5], v32, v27 src0_sel:BYTE_0 src1_sel:DWORD
	v_lshlrev_b64 v[28:29], v46, -1
	v_and_b32_e32 v33, s5, v29
	v_or_b32_e32 v33, 0x80000000, v33
	v_and_b32_e32 v35, s4, v28
	v_ffbl_b32_e32 v33, v33
	v_and_b32_e32 v47, 63, v46
	v_add_u32_e32 v33, 32, v33
	v_ffbl_b32_e32 v35, v35
	v_cmp_ne_u32_e32 vcc, 63, v47
	v_min_u32_e32 v33, v35, v33
	v_addc_co_u32_e32 v35, vcc, 0, v46, vcc
	v_lshlrev_b32_e32 v48, 2, v35
	ds_bpermute_b32 v35, v48, v31
	ds_bpermute_b32 v36, v48, v30
	s_mov_b32 s44, 0
	v_and_b32_e32 v37, 1, v31
	s_mov_b32 s45, 1
	s_waitcnt lgkmcnt(1)
	v_and_b32_e32 v35, 1, v35
	v_cmp_eq_u32_e32 vcc, 1, v37
	v_cndmask_b32_e64 v35, v35, 1, vcc
	v_cmp_gt_u64_e32 vcc, s[44:45], v[30:31]
	v_cmp_lt_u32_e64 s[4:5], v47, v33
	s_and_b64 vcc, s[4:5], vcc
	v_and_b32_e32 v37, 0xffff, v35
	v_cndmask_b32_e64 v54, v31, v35, s[4:5]
	s_waitcnt lgkmcnt(0)
	v_cndmask_b32_e32 v35, 0, v36, vcc
	v_cmp_gt_u32_e32 vcc, 62, v47
	v_cndmask_b32_e64 v36, 0, 1, vcc
	v_lshlrev_b32_e32 v36, 1, v36
	v_cndmask_b32_e64 v31, v31, v37, s[4:5]
	v_add_lshl_u32 v49, v36, v46, 2
	ds_bpermute_b32 v36, v49, v31
	v_add_u32_e32 v30, v35, v30
	ds_bpermute_b32 v37, v49, v30
	v_and_b32_e32 v35, 1, v54
	v_cmp_eq_u32_e32 vcc, 1, v35
	s_waitcnt lgkmcnt(1)
	v_and_b32_e32 v36, 1, v36
	v_mov_b32_e32 v35, 0
	v_add_u32_e32 v53, 2, v47
	v_cndmask_b32_e64 v36, v36, 1, vcc
	v_cmp_eq_u16_sdwa vcc, v54, v35 src0_sel:BYTE_0 src1_sel:DWORD
	v_and_b32_e32 v55, 0xffff, v36
	s_waitcnt lgkmcnt(0)
	v_cndmask_b32_e32 v37, 0, v37, vcc
	v_cmp_gt_u32_e32 vcc, v53, v33
	v_cndmask_b32_e32 v36, v36, v54, vcc
	v_cndmask_b32_e64 v37, v37, 0, vcc
	v_cndmask_b32_e32 v31, v55, v31, vcc
	v_cmp_gt_u32_e32 vcc, 60, v47
	v_cndmask_b32_e64 v54, 0, 1, vcc
	v_lshlrev_b32_e32 v54, 2, v54
	v_add_lshl_u32 v54, v54, v46, 2
	ds_bpermute_b32 v56, v54, v31
	v_add_u32_e32 v30, v37, v30
	ds_bpermute_b32 v37, v54, v30
	v_and_b32_e32 v57, 1, v36
	v_cmp_eq_u32_e32 vcc, 1, v57
	s_waitcnt lgkmcnt(1)
	v_and_b32_e32 v56, 1, v56
	v_add_u32_e32 v55, 4, v47
	v_cndmask_b32_e64 v56, v56, 1, vcc
	v_cmp_eq_u16_sdwa vcc, v36, v35 src0_sel:BYTE_0 src1_sel:DWORD
	v_and_b32_e32 v57, 0xffff, v56
	s_waitcnt lgkmcnt(0)
	v_cndmask_b32_e32 v37, 0, v37, vcc
	v_cmp_gt_u32_e32 vcc, v55, v33
	v_cndmask_b32_e32 v36, v56, v36, vcc
	v_cndmask_b32_e64 v37, v37, 0, vcc
	v_cndmask_b32_e32 v31, v57, v31, vcc
	v_cmp_gt_u32_e32 vcc, 56, v47
	v_cndmask_b32_e64 v56, 0, 1, vcc
	v_lshlrev_b32_e32 v56, 3, v56
	v_add_lshl_u32 v56, v56, v46, 2
	ds_bpermute_b32 v58, v56, v31
	v_add_u32_e32 v30, v37, v30
	ds_bpermute_b32 v37, v56, v30
	v_and_b32_e32 v59, 1, v36
	v_cmp_eq_u32_e32 vcc, 1, v59
	s_waitcnt lgkmcnt(1)
	v_and_b32_e32 v58, 1, v58
	;; [unrolled: 21-line block ×4, first 2 shown]
	v_add_u32_e32 v62, 32, v47
	v_cndmask_b32_e64 v31, v31, 1, vcc
	v_cmp_eq_u16_sdwa vcc, v36, v35 src0_sel:BYTE_0 src1_sel:DWORD
	s_waitcnt lgkmcnt(0)
	v_cndmask_b32_e32 v37, 0, v37, vcc
	v_cmp_gt_u32_e32 vcc, v62, v33
	v_cndmask_b32_e64 v33, v37, 0, vcc
	v_cndmask_b32_e32 v31, v31, v36, vcc
	v_add_u32_e32 v30, v33, v30
	s_branch .LBB1674_110
.LBB1674_109:                           ;   in Loop: Header=BB1674_110 Depth=1
	s_or_b64 exec, exec, s[4:5]
	v_cmp_eq_u16_sdwa s[4:5], v32, v27 src0_sel:BYTE_0 src1_sel:DWORD
	v_and_b32_e32 v33, s5, v29
	ds_bpermute_b32 v37, v48, v31
	v_or_b32_e32 v33, 0x80000000, v33
	v_and_b32_e32 v36, s4, v28
	v_ffbl_b32_e32 v33, v33
	v_add_u32_e32 v33, 32, v33
	v_ffbl_b32_e32 v36, v36
	v_min_u32_e32 v33, v36, v33
	ds_bpermute_b32 v36, v48, v30
	v_and_b32_e32 v63, 1, v31
	s_waitcnt lgkmcnt(1)
	v_and_b32_e32 v37, 1, v37
	v_cmp_eq_u32_e32 vcc, 1, v63
	v_cndmask_b32_e64 v37, v37, 1, vcc
	v_cmp_gt_u64_e32 vcc, s[44:45], v[30:31]
	v_and_b32_e32 v63, 0xffff, v37
	v_cmp_lt_u32_e64 s[4:5], v47, v33
	v_cndmask_b32_e64 v37, v31, v37, s[4:5]
	v_cndmask_b32_e64 v31, v31, v63, s[4:5]
	s_and_b64 vcc, s[4:5], vcc
	ds_bpermute_b32 v63, v49, v31
	s_waitcnt lgkmcnt(1)
	v_cndmask_b32_e32 v36, 0, v36, vcc
	v_add_u32_e32 v30, v36, v30
	ds_bpermute_b32 v36, v49, v30
	v_and_b32_e32 v64, 1, v37
	s_waitcnt lgkmcnt(1)
	v_and_b32_e32 v63, 1, v63
	v_cmp_eq_u32_e32 vcc, 1, v64
	v_cndmask_b32_e64 v63, v63, 1, vcc
	v_cmp_eq_u16_sdwa vcc, v37, v35 src0_sel:BYTE_0 src1_sel:DWORD
	v_and_b32_e32 v64, 0xffff, v63
	s_waitcnt lgkmcnt(0)
	v_cndmask_b32_e32 v36, 0, v36, vcc
	v_cmp_gt_u32_e32 vcc, v53, v33
	v_cndmask_b32_e32 v31, v64, v31, vcc
	v_cndmask_b32_e32 v37, v63, v37, vcc
	ds_bpermute_b32 v63, v54, v31
	v_cndmask_b32_e64 v36, v36, 0, vcc
	v_add_u32_e32 v30, v36, v30
	ds_bpermute_b32 v36, v54, v30
	v_and_b32_e32 v64, 1, v37
	s_waitcnt lgkmcnt(1)
	v_and_b32_e32 v63, 1, v63
	v_cmp_eq_u32_e32 vcc, 1, v64
	v_cndmask_b32_e64 v63, v63, 1, vcc
	v_cmp_eq_u16_sdwa vcc, v37, v35 src0_sel:BYTE_0 src1_sel:DWORD
	v_and_b32_e32 v64, 0xffff, v63
	s_waitcnt lgkmcnt(0)
	v_cndmask_b32_e32 v36, 0, v36, vcc
	v_cmp_gt_u32_e32 vcc, v55, v33
	v_cndmask_b32_e32 v31, v64, v31, vcc
	v_cndmask_b32_e32 v37, v63, v37, vcc
	ds_bpermute_b32 v63, v56, v31
	v_cndmask_b32_e64 v36, v36, 0, vcc
	;; [unrolled: 16-line block ×3, first 2 shown]
	v_add_u32_e32 v30, v36, v30
	ds_bpermute_b32 v36, v58, v30
	v_and_b32_e32 v64, 1, v37
	s_waitcnt lgkmcnt(1)
	v_and_b32_e32 v63, 1, v63
	v_cmp_eq_u32_e32 vcc, 1, v64
	v_cndmask_b32_e64 v63, v63, 1, vcc
	v_cmp_eq_u16_sdwa vcc, v37, v35 src0_sel:BYTE_0 src1_sel:DWORD
	v_and_b32_e32 v64, 0xffff, v63
	s_waitcnt lgkmcnt(0)
	v_cndmask_b32_e32 v36, 0, v36, vcc
	v_cmp_gt_u32_e32 vcc, v59, v33
	v_cndmask_b32_e64 v36, v36, 0, vcc
	v_cndmask_b32_e32 v31, v64, v31, vcc
	ds_bpermute_b32 v31, v61, v31
	v_add_u32_e32 v30, v36, v30
	ds_bpermute_b32 v36, v61, v30
	v_cndmask_b32_e32 v37, v63, v37, vcc
	v_and_b32_e32 v63, 1, v37
	v_cmp_eq_u32_e32 vcc, 1, v63
	s_waitcnt lgkmcnt(1)
	v_cndmask_b32_e64 v31, v31, 1, vcc
	v_cmp_eq_u16_sdwa vcc, v37, v35 src0_sel:BYTE_0 src1_sel:DWORD
	s_waitcnt lgkmcnt(0)
	v_cndmask_b32_e32 v36, 0, v36, vcc
	v_cmp_gt_u32_e32 vcc, v62, v33
	v_cndmask_b32_e64 v33, v36, 0, vcc
	v_cndmask_b32_e32 v31, v31, v37, vcc
	v_add_u32_e32 v30, v33, v30
	v_cmp_eq_u16_sdwa vcc, v46, v35 src0_sel:BYTE_0 src1_sel:DWORD
	v_and_b32_e32 v33, 1, v46
	v_cndmask_b32_e32 v30, 0, v30, vcc
	v_and_b32_e32 v31, 1, v31
	v_cmp_eq_u32_e32 vcc, 1, v33
	v_subrev_u32_e32 v34, 64, v34
	v_add_u32_e32 v30, v30, v60
	v_cndmask_b32_e64 v31, v31, 1, vcc
.LBB1674_110:                           ; =>This Loop Header: Depth=1
                                        ;     Child Loop BB1674_113 Depth 2
	v_cmp_ne_u16_sdwa s[4:5], v32, v27 src0_sel:BYTE_0 src1_sel:DWORD
	v_mov_b32_e32 v46, v31
	v_cndmask_b32_e64 v31, 0, 1, s[4:5]
	;;#ASMSTART
	;;#ASMEND
	v_cmp_ne_u32_e32 vcc, 0, v31
	s_cmp_lg_u64 vcc, exec
	v_mov_b32_e32 v60, v30
	s_cbranch_scc1 .LBB1674_115
; %bb.111:                              ;   in Loop: Header=BB1674_110 Depth=1
	v_lshlrev_b64 v[30:31], 4, v[34:35]
	v_mov_b32_e32 v32, s57
	v_add_co_u32_e32 v36, vcc, s56, v30
	v_addc_co_u32_e32 v37, vcc, v32, v31, vcc
	;;#ASMSTART
	global_load_dwordx4 v[30:33], v[36:37] off glc	
s_waitcnt vmcnt(0)
	;;#ASMEND
	v_and_b32_e32 v33, 0xff0000, v30
	v_or_b32_sdwa v33, v30, v33 dst_sel:DWORD dst_unused:UNUSED_PAD src0_sel:WORD_0 src1_sel:DWORD
	v_and_b32_e32 v30, 0xff000000, v30
	v_and_b32_e32 v31, 0xff, v31
	v_or3_b32 v31, 0, 0, v31
	v_or3_b32 v30, v33, v30, 0
	v_cmp_eq_u16_sdwa s[48:49], v32, v35 src0_sel:BYTE_0 src1_sel:DWORD
	s_and_saveexec_b64 s[4:5], s[48:49]
	s_cbranch_execz .LBB1674_109
; %bb.112:                              ;   in Loop: Header=BB1674_110 Depth=1
	s_mov_b64 s[48:49], 0
.LBB1674_113:                           ;   Parent Loop BB1674_110 Depth=1
                                        ; =>  This Inner Loop Header: Depth=2
	;;#ASMSTART
	global_load_dwordx4 v[30:33], v[36:37] off glc	
s_waitcnt vmcnt(0)
	;;#ASMEND
	v_cmp_ne_u16_sdwa s[54:55], v32, v35 src0_sel:BYTE_0 src1_sel:DWORD
	s_or_b64 s[48:49], s[54:55], s[48:49]
	s_andn2_b64 exec, exec, s[48:49]
	s_cbranch_execnz .LBB1674_113
; %bb.114:                              ;   in Loop: Header=BB1674_110 Depth=1
	s_or_b64 exec, exec, s[48:49]
	v_and_b32_e32 v31, 0xff, v31
	s_branch .LBB1674_109
.LBB1674_115:                           ;   in Loop: Header=BB1674_110 Depth=1
                                        ; implicit-def: $vgpr31
                                        ; implicit-def: $vgpr30
                                        ; implicit-def: $vgpr32
	s_cbranch_execz .LBB1674_110
; %bb.116:
	s_and_saveexec_b64 s[4:5], s[34:35]
	s_cbranch_execz .LBB1674_118
; %bb.117:
	s_and_b32 s44, s52, 0xff
	s_cmp_eq_u32 s44, 0
	s_cselect_b64 vcc, -1, 0
	s_bitcmp1_b32 s52, 0
	s_mov_b32 s45, 0
	s_cselect_b64 s[48:49], -1, 0
	s_add_i32 s44, s59, 64
	s_lshl_b64 s[44:45], s[44:45], 4
	v_cndmask_b32_e32 v27, 0, v60, vcc
	s_add_u32 s44, s56, s44
	v_add_u32_e32 v26, v27, v26
	v_and_b32_e32 v27, 1, v46
	s_addc_u32 s45, s57, s45
	v_mov_b32_e32 v29, 0
	v_cndmask_b32_e64 v27, v27, 1, s[48:49]
	v_mov_b32_e32 v28, 2
	v_pk_mov_b32 v[30:31], s[44:45], s[44:45] op_sel:[0,1]
	;;#ASMSTART
	global_store_dwordx4 v[30:31], v[26:29] off	
s_waitcnt vmcnt(0)
	;;#ASMEND
.LBB1674_118:
	s_or_b64 exec, exec, s[4:5]
	s_and_b64 exec, exec, s[0:1]
	s_cbranch_execz .LBB1674_120
; %bb.119:
	v_mov_b32_e32 v26, 0
	ds_write_b32 v26, v60 offset:24
	ds_write_b8 v26, v46 offset:28
.LBB1674_120:
	s_or_b64 exec, exec, s[42:43]
	s_mov_b32 s4, 0
	v_mov_b32_e32 v28, 0
	s_mov_b32 s5, 1
	s_waitcnt lgkmcnt(0)
	v_cndmask_b32_e64 v26, v45, v43, s[34:35]
	v_cndmask_b32_e64 v27, v44, v42, s[34:35]
	s_barrier
	ds_read_b32 v29, v28 offset:24
	v_cmp_gt_u64_e32 vcc, s[4:5], v[38:39]
	v_and_b32_e32 v30, 1, v39
	v_cndmask_b32_e32 v27, 0, v27, vcc
	v_and_b32_e32 v26, 1, v26
	v_cmp_eq_u32_e32 vcc, 1, v30
	v_cndmask_b32_e64 v26, v26, 1, vcc
	v_cndmask_b32_e64 v26, v26, v39, s[0:1]
	v_cmp_eq_u16_sdwa vcc, v26, v28 src0_sel:BYTE_0 src1_sel:DWORD
	v_cndmask_b32_e64 v27, v27, 0, s[0:1]
	s_waitcnt lgkmcnt(0)
	v_cndmask_b32_e32 v26, 0, v29, vcc
	v_add3_u32 v26, v27, v38, v26
	v_cndmask_b32_e64 v27, 0, v26, s[6:7]
	v_add_u32_e32 v27, v27, v2
	v_cndmask_b32_e64 v28, 0, v27, s[8:9]
	v_add_u32_e32 v42, v28, v4
	;; [unrolled: 2-line block ×13, first 2 shown]
	s_branch .LBB1674_137
.LBB1674_121:
                                        ; implicit-def: $vgpr49
                                        ; implicit-def: $vgpr47
                                        ; implicit-def: $vgpr45
                                        ; implicit-def: $vgpr43
                                        ; implicit-def: $vgpr34_vgpr35_vgpr36_vgpr37
                                        ; implicit-def: $vgpr30_vgpr31_vgpr32_vgpr33
                                        ; implicit-def: $vgpr26_vgpr27_vgpr28_vgpr29
	s_cbranch_execz .LBB1674_137
; %bb.122:
	s_cmp_lg_u64 s[60:61], 0
	s_cselect_b32 s9, s51, 0
	s_cselect_b32 s8, s50, 0
	s_cmp_lg_u64 s[8:9], 0
	s_cselect_b64 s[6:7], -1, 0
	s_mov_b32 s4, 0
	s_and_b64 s[10:11], s[0:1], s[6:7]
	s_and_saveexec_b64 s[6:7], s[10:11]
	s_cbranch_execz .LBB1674_124
; %bb.123:
	v_mov_b32_e32 v26, 0
	global_load_dword v28, v26, s[8:9]
	global_load_ubyte v29, v26, s[8:9] offset:4
	s_mov_b32 s5, 1
	v_and_b32_e32 v27, 1, v39
	v_cmp_gt_u64_e32 vcc, s[4:5], v[38:39]
	s_waitcnt vmcnt(1)
	v_cndmask_b32_e32 v28, 0, v28, vcc
	s_waitcnt vmcnt(0)
	v_and_b32_e32 v29, 1, v29
	v_cmp_eq_u64_e32 vcc, 0, v[26:27]
	v_add_u32_e32 v38, v28, v38
	v_cndmask_b32_e32 v39, 1, v29, vcc
.LBB1674_124:
	s_or_b64 exec, exec, s[6:7]
	s_mov_b32 s5, 1
	v_cmp_gt_u64_e32 vcc, s[4:5], v[2:3]
	v_cndmask_b32_e32 v26, 0, v38, vcc
	v_add_u32_e32 v27, v26, v2
	v_cmp_gt_u64_e64 s[6:7], s[4:5], v[4:5]
	v_cndmask_b32_e64 v26, 0, v27, s[6:7]
	v_add_u32_e32 v42, v26, v4
	v_cmp_gt_u64_e64 s[8:9], s[4:5], v[6:7]
	v_cndmask_b32_e64 v26, 0, v42, s[8:9]
	;; [unrolled: 3-line block ×6, first 2 shown]
	v_add_u32_e32 v45, v26, v14
	v_cmp_gt_u64_e64 s[18:19], s[4:5], v[16:17]
	v_mov_b32_e32 v28, 0
	v_cndmask_b32_e64 v26, 0, v45, s[18:19]
	v_or3_b32 v7, v23, v15, v7
	v_add_u32_e32 v34, v26, v16
	v_cmp_gt_u64_e64 s[20:21], s[4:5], v[18:19]
	v_or3_b32 v9, v25, v17, v9
	v_and_b32_e32 v55, 1, v7
	v_mov_b32_e32 v54, v28
	v_cndmask_b32_e64 v26, 0, v34, s[20:21]
	v_or3_b32 v3, v19, v11, v3
	v_and_b32_e32 v37, 1, v9
	v_mov_b32_e32 v36, v28
	v_cmp_ne_u64_e64 s[30:31], 0, v[54:55]
	v_add_u32_e32 v35, v26, v18
	v_cmp_gt_u64_e64 s[22:23], s[4:5], v[20:21]
	v_or3_b32 v5, v21, v13, v5
	v_and_b32_e32 v29, 1, v3
	v_cndmask_b32_e64 v3, 0, 1, s[30:31]
	v_cmp_ne_u64_e64 s[30:31], 0, v[36:37]
	v_cndmask_b32_e64 v26, 0, v35, s[22:23]
	v_and_b32_e32 v33, 1, v5
	v_mov_b32_e32 v32, v28
	v_cndmask_b32_e64 v5, 0, 1, s[30:31]
	v_add_u32_e32 v46, v26, v20
	v_cmp_gt_u64_e64 s[24:25], s[4:5], v[22:23]
	v_lshlrev_b16_e32 v3, 2, v3
	v_lshlrev_b16_e32 v5, 3, v5
	v_cmp_ne_u64_e64 s[30:31], 0, v[32:33]
	v_cndmask_b32_e64 v26, 0, v46, s[24:25]
	v_or_b32_e32 v3, v5, v3
	v_cndmask_b32_e64 v5, 0, 1, s[30:31]
	v_cmp_ne_u64_e64 s[30:31], 0, v[28:29]
	v_add_u32_e32 v47, v26, v22
	v_cmp_gt_u64_e64 s[26:27], s[4:5], v[24:25]
	v_lshlrev_b16_e32 v5, 1, v5
	v_cndmask_b32_e64 v7, 0, 1, s[30:31]
	v_cndmask_b32_e64 v26, 0, v47, s[26:27]
	v_or_b32_e32 v5, v7, v5
	v_add_u32_e32 v48, v26, v24
	v_cmp_gt_u64_e64 s[28:29], s[4:5], v[40:41]
	v_and_b32_e32 v5, 3, v5
	v_cndmask_b32_e64 v26, 0, v48, s[28:29]
	v_or_b32_e32 v3, v5, v3
	v_add_u32_e32 v49, v26, v40
	v_and_b32_e32 v26, 1, v41
	v_and_b32_e32 v3, 15, v3
	v_cmp_eq_u32_e64 s[4:5], 1, v26
	v_cmp_ne_u16_e64 s[30:31], 0, v3
	s_or_b64 s[4:5], s[4:5], s[30:31]
	v_cndmask_b32_e64 v5, v39, 1, s[4:5]
	v_mbcnt_hi_u32_b32 v3, -1, v52
	v_mov_b32_dpp v9, v49 row_shr:1 row_mask:0xf bank_mask:0xf
	v_mov_b32_dpp v11, v5 row_shr:1 row_mask:0xf bank_mask:0xf
	v_cmp_eq_u32_e64 s[4:5], 0, v5
	v_and_b32_e32 v13, 1, v5
	v_and_b32_e32 v7, 15, v3
	v_cndmask_b32_e64 v9, 0, v9, s[4:5]
	v_and_b32_e32 v11, 1, v11
	v_cmp_eq_u32_e64 s[4:5], 1, v13
	v_cndmask_b32_e64 v11, v11, 1, s[4:5]
	v_cmp_eq_u32_e64 s[4:5], 0, v7
	v_cndmask_b32_e64 v5, v11, v5, s[4:5]
	v_and_b32_e32 v15, 1, v5
	v_cmp_eq_u32_e64 s[30:31], 1, v15
	v_mov_b32_dpp v13, v5 row_shr:2 row_mask:0xf bank_mask:0xf
	v_and_b32_e32 v13, 1, v13
	v_cndmask_b32_e64 v13, v13, 1, s[30:31]
	v_cmp_lt_u32_e64 s[30:31], 1, v7
	v_cndmask_b32_e64 v9, v9, 0, s[4:5]
	v_cmp_eq_u32_e64 s[4:5], 0, v5
	v_cndmask_b32_e64 v5, v5, v13, s[30:31]
	v_add_u32_e32 v9, v49, v9
	v_and_b32_e32 v15, 1, v5
	v_mov_b32_dpp v13, v5 row_shr:4 row_mask:0xf bank_mask:0xf
	v_mov_b32_dpp v11, v9 row_shr:2 row_mask:0xf bank_mask:0xf
	s_and_b64 s[4:5], s[30:31], s[4:5]
	v_and_b32_e32 v13, 1, v13
	v_cmp_eq_u32_e64 s[30:31], 1, v15
	v_cndmask_b32_e64 v11, 0, v11, s[4:5]
	v_cndmask_b32_e64 v13, v13, 1, s[30:31]
	v_cmp_lt_u32_e64 s[30:31], 3, v7
	v_add_u32_e32 v9, v9, v11
	v_cmp_eq_u32_e64 s[4:5], 0, v5
	v_cndmask_b32_e64 v5, v5, v13, s[30:31]
	v_mov_b32_dpp v11, v9 row_shr:4 row_mask:0xf bank_mask:0xf
	s_and_b64 s[4:5], s[30:31], s[4:5]
	v_mov_b32_dpp v13, v5 row_shr:8 row_mask:0xf bank_mask:0xf
	v_and_b32_e32 v15, 1, v5
	v_cndmask_b32_e64 v11, 0, v11, s[4:5]
	v_and_b32_e32 v13, 1, v13
	v_cmp_eq_u32_e64 s[30:31], 1, v15
	v_add_u32_e32 v9, v9, v11
	v_cmp_eq_u32_e64 s[4:5], 0, v5
	v_cndmask_b32_e64 v13, v13, 1, s[30:31]
	v_cmp_lt_u32_e64 s[30:31], 7, v7
	v_mov_b32_dpp v11, v9 row_shr:8 row_mask:0xf bank_mask:0xf
	s_and_b64 s[4:5], s[30:31], s[4:5]
	v_cndmask_b32_e64 v7, 0, v11, s[4:5]
	v_cndmask_b32_e64 v5, v5, v13, s[30:31]
	v_add_u32_e32 v7, v9, v7
	v_cmp_eq_u32_e64 s[4:5], 0, v5
	v_mov_b32_dpp v11, v5 row_bcast:15 row_mask:0xf bank_mask:0xf
	v_mov_b32_dpp v9, v7 row_bcast:15 row_mask:0xf bank_mask:0xf
	v_and_b32_e32 v17, 1, v5
	v_and_b32_e32 v15, 16, v3
	v_cndmask_b32_e64 v9, 0, v9, s[4:5]
	v_and_b32_e32 v11, 1, v11
	v_cmp_eq_u32_e64 s[4:5], 1, v17
	v_bfe_i32 v13, v3, 4, 1
	v_cndmask_b32_e64 v11, v11, 1, s[4:5]
	v_cmp_eq_u32_e64 s[4:5], 0, v15
	v_and_b32_e32 v9, v13, v9
	v_cndmask_b32_e64 v5, v11, v5, s[4:5]
	v_add_u32_e32 v9, v7, v9
	v_and_b32_e32 v13, 1, v5
	v_mov_b32_dpp v7, v5 row_bcast:31 row_mask:0xf bank_mask:0xf
	v_and_b32_e32 v7, 1, v7
	v_cmp_eq_u32_e64 s[30:31], 1, v13
	v_cmp_eq_u32_e64 s[4:5], 0, v5
	v_cndmask_b32_e64 v7, v7, 1, s[30:31]
	v_cmp_lt_u32_e64 s[30:31], 31, v3
	v_mov_b32_dpp v11, v9 row_bcast:31 row_mask:0xf bank_mask:0xf
	s_and_b64 s[4:5], s[30:31], s[4:5]
	v_cndmask_b32_e64 v7, v5, v7, s[30:31]
	v_cndmask_b32_e64 v5, 0, v11, s[4:5]
	v_add_u32_e32 v5, v9, v5
	v_cmp_eq_u32_e64 s[4:5], v51, v0
	s_and_saveexec_b64 s[30:31], s[4:5]
	s_cbranch_execz .LBB1674_126
; %bb.125:
	v_lshlrev_b32_e32 v9, 3, v1
	ds_write_b32 v9, v5
	ds_write_b8 v9, v7 offset:4
.LBB1674_126:
	s_or_b64 exec, exec, s[30:31]
	v_cmp_gt_u32_e64 s[4:5], 4, v0
	s_waitcnt lgkmcnt(0)
	s_barrier
	s_and_saveexec_b64 s[30:31], s[4:5]
	s_cbranch_execz .LBB1674_130
; %bb.127:
	v_lshlrev_b32_e32 v9, 3, v0
	ds_read_b64 v[28:29], v9
	v_and_b32_e32 v11, 3, v3
	v_cmp_ne_u32_e64 s[4:5], 0, v11
	s_waitcnt lgkmcnt(0)
	v_mov_b32_dpp v13, v28 row_shr:1 row_mask:0xf bank_mask:0xf
	v_mov_b32_dpp v17, v29 row_shr:1 row_mask:0xf bank_mask:0xf
	v_mov_b32_e32 v15, v29
	s_and_saveexec_b64 s[34:35], s[4:5]
	s_cbranch_execz .LBB1674_129
; %bb.128:
	v_and_b32_e32 v15, 1, v29
	v_and_b32_e32 v17, 1, v17
	v_cmp_eq_u32_e64 s[4:5], 1, v15
	v_mov_b32_e32 v15, 0
	v_cndmask_b32_e64 v17, v17, 1, s[4:5]
	v_cmp_eq_u16_sdwa s[4:5], v29, v15 src0_sel:BYTE_0 src1_sel:DWORD
	v_cndmask_b32_e64 v13, 0, v13, s[4:5]
	v_add_u32_e32 v28, v13, v28
	v_and_b32_e32 v13, 0xffff, v17
	s_movk_i32 s4, 0xff00
	v_and_or_b32 v15, v29, s4, v13
	v_mov_b32_e32 v29, v17
.LBB1674_129:
	s_or_b64 exec, exec, s[34:35]
	v_mov_b32_dpp v15, v15 row_shr:2 row_mask:0xf bank_mask:0xf
	v_and_b32_e32 v17, 1, v29
	v_and_b32_e32 v15, 1, v15
	v_cmp_eq_u32_e64 s[4:5], 1, v17
	v_mov_b32_e32 v17, 0
	v_cndmask_b32_e64 v15, v15, 1, s[4:5]
	v_cmp_eq_u16_sdwa s[34:35], v29, v17 src0_sel:BYTE_0 src1_sel:DWORD
	v_cmp_lt_u32_e64 s[4:5], 1, v11
	v_mov_b32_dpp v13, v28 row_shr:2 row_mask:0xf bank_mask:0xf
	v_cndmask_b32_e64 v11, v29, v15, s[4:5]
	s_and_b64 s[4:5], s[4:5], s[34:35]
	v_cndmask_b32_e64 v13, 0, v13, s[4:5]
	v_add_u32_e32 v13, v13, v28
	ds_write_b32 v9, v13
	ds_write_b8 v9, v11 offset:4
.LBB1674_130:
	s_or_b64 exec, exec, s[30:31]
	v_cmp_lt_u32_e64 s[4:5], 63, v0
	v_mov_b32_e32 v9, 0
	s_waitcnt lgkmcnt(0)
	s_barrier
	s_and_saveexec_b64 s[30:31], s[4:5]
	s_cbranch_execz .LBB1674_132
; %bb.131:
	v_lshl_add_u32 v1, v1, 3, -8
	ds_read_b32 v9, v1
	v_cmp_eq_u32_e64 s[4:5], 0, v7
	s_waitcnt lgkmcnt(0)
	v_cndmask_b32_e64 v1, 0, v9, s[4:5]
	v_add_u32_e32 v5, v1, v5
.LBB1674_132:
	s_or_b64 exec, exec, s[30:31]
	v_add_u32_e32 v1, -1, v3
	v_and_b32_e32 v7, 64, v3
	v_cmp_lt_i32_e64 s[4:5], v1, v7
	v_cndmask_b32_e64 v1, v1, v3, s[4:5]
	v_lshlrev_b32_e32 v1, 2, v1
	ds_bpermute_b32 v1, v1, v5
	s_and_saveexec_b64 s[30:31], s[36:37]
	s_cbranch_execz .LBB1674_134
; %bb.133:
	v_and_b32_e32 v27, 0xff, v39
	v_mov_b32_e32 v26, 0
	v_cmp_eq_u32_e64 s[4:5], 0, v3
	s_waitcnt lgkmcnt(0)
	v_cndmask_b32_e64 v1, v1, v9, s[4:5]
	v_cmp_eq_u64_e64 s[4:5], 0, v[26:27]
	v_cndmask_b32_e64 v1, 0, v1, s[4:5]
	v_add_u32_e32 v38, v1, v38
	v_cndmask_b32_e32 v1, 0, v38, vcc
	v_add_u32_e32 v27, v1, v2
	v_cndmask_b32_e64 v1, 0, v27, s[6:7]
	v_add_u32_e32 v42, v1, v4
	v_cndmask_b32_e64 v1, 0, v42, s[8:9]
	;; [unrolled: 2-line block ×12, first 2 shown]
	v_add_u32_e32 v49, v1, v40
	;;#ASMSTART
	;;#ASMEND
.LBB1674_134:
	s_or_b64 exec, exec, s[30:31]
	s_and_saveexec_b64 s[4:5], s[0:1]
	s_cbranch_execz .LBB1674_136
; %bb.135:
	v_mov_b32_e32 v5, 0
	ds_read_b32 v2, v5 offset:24
	ds_read_u8 v3, v5 offset:28
	s_add_u32 s0, s56, 0x400
	s_addc_u32 s1, s57, 0
	v_mov_b32_e32 v4, 2
	v_pk_mov_b32 v[6:7], s[0:1], s[0:1] op_sel:[0,1]
	s_waitcnt lgkmcnt(0)
	;;#ASMSTART
	global_store_dwordx4 v[6:7], v[2:5] off	
s_waitcnt vmcnt(0)
	;;#ASMEND
.LBB1674_136:
	s_or_b64 exec, exec, s[4:5]
	v_mov_b32_e32 v26, v38
.LBB1674_137:
	s_add_u32 s0, s46, s38
	s_addc_u32 s1, s47, s39
	s_add_u32 s4, s0, s40
	s_waitcnt lgkmcnt(0)
	v_mul_u32_u24_e32 v1, 14, v0
	s_addc_u32 s5, s1, s41
	s_and_b64 vcc, exec, s[2:3]
	v_lshlrev_b32_e32 v2, 2, v1
	s_cbranch_vccz .LBB1674_165
; %bb.138:
	s_movk_i32 s0, 0xffcc
	v_mad_i32_i24 v3, v0, s0, v2
	s_barrier
	ds_write2_b64 v2, v[26:27], v[42:43] offset1:1
	ds_write2_b64 v2, v[30:31], v[44:45] offset0:2 offset1:3
	ds_write2_b64 v2, v[34:35], v[46:47] offset0:4 offset1:5
	ds_write_b64 v2, v[48:49] offset:48
	s_waitcnt lgkmcnt(0)
	s_barrier
	ds_read2st64_b32 v[16:17], v3 offset0:4 offset1:8
	ds_read2st64_b32 v[14:15], v3 offset0:12 offset1:16
	;; [unrolled: 1-line block ×6, first 2 shown]
	ds_read_b32 v3, v3 offset:13312
	v_mov_b32_e32 v5, s5
	v_add_co_u32_e32 v4, vcc, s4, v50
	s_add_i32 s33, s33, s58
	v_addc_co_u32_e32 v5, vcc, 0, v5, vcc
	v_mov_b32_e32 v1, 0
	v_cmp_gt_u32_e32 vcc, s33, v0
	s_and_saveexec_b64 s[0:1], vcc
	s_cbranch_execz .LBB1674_140
; %bb.139:
	v_mul_i32_i24_e32 v18, 0xffffffcc, v0
	v_add_u32_e32 v18, v2, v18
	ds_read_b32 v18, v18
	s_waitcnt lgkmcnt(0)
	v_cvt_f32_u32_e32 v18, v18
	flat_store_dword v[4:5], v18
.LBB1674_140:
	s_or_b64 exec, exec, s[0:1]
	v_or_b32_e32 v18, 0x100, v0
	v_cmp_gt_u32_e32 vcc, s33, v18
	s_and_saveexec_b64 s[0:1], vcc
	s_cbranch_execz .LBB1674_142
; %bb.141:
	s_waitcnt lgkmcnt(0)
	v_cvt_f32_u32_e32 v16, v16
	flat_store_dword v[4:5], v16 offset:1024
.LBB1674_142:
	s_or_b64 exec, exec, s[0:1]
	s_waitcnt lgkmcnt(0)
	v_or_b32_e32 v16, 0x200, v0
	v_cmp_gt_u32_e32 vcc, s33, v16
	s_and_saveexec_b64 s[0:1], vcc
	s_cbranch_execz .LBB1674_144
; %bb.143:
	v_cvt_f32_u32_e32 v16, v17
	flat_store_dword v[4:5], v16 offset:2048
.LBB1674_144:
	s_or_b64 exec, exec, s[0:1]
	v_or_b32_e32 v16, 0x300, v0
	v_cmp_gt_u32_e32 vcc, s33, v16
	s_and_saveexec_b64 s[0:1], vcc
	s_cbranch_execz .LBB1674_146
; %bb.145:
	v_cvt_f32_u32_e32 v14, v14
	flat_store_dword v[4:5], v14 offset:3072
.LBB1674_146:
	s_or_b64 exec, exec, s[0:1]
	v_or_b32_e32 v14, 0x400, v0
	v_cmp_gt_u32_e32 vcc, s33, v14
	s_and_saveexec_b64 s[0:1], vcc
	s_cbranch_execz .LBB1674_148
; %bb.147:
	v_cvt_f32_u32_e32 v16, v15
	v_add_co_u32_e32 v14, vcc, 0x1000, v4
	v_addc_co_u32_e32 v15, vcc, 0, v5, vcc
	flat_store_dword v[14:15], v16
.LBB1674_148:
	s_or_b64 exec, exec, s[0:1]
	v_or_b32_e32 v14, 0x500, v0
	v_cmp_gt_u32_e32 vcc, s33, v14
	s_and_saveexec_b64 s[0:1], vcc
	s_cbranch_execz .LBB1674_150
; %bb.149:
	v_cvt_f32_u32_e32 v12, v12
	v_add_co_u32_e32 v14, vcc, 0x1000, v4
	v_addc_co_u32_e32 v15, vcc, 0, v5, vcc
	flat_store_dword v[14:15], v12 offset:1024
.LBB1674_150:
	s_or_b64 exec, exec, s[0:1]
	v_or_b32_e32 v12, 0x600, v0
	v_cmp_gt_u32_e32 vcc, s33, v12
	s_and_saveexec_b64 s[0:1], vcc
	s_cbranch_execz .LBB1674_152
; %bb.151:
	v_cvt_f32_u32_e32 v14, v13
	v_add_co_u32_e32 v12, vcc, 0x1000, v4
	v_addc_co_u32_e32 v13, vcc, 0, v5, vcc
	flat_store_dword v[12:13], v14 offset:2048
.LBB1674_152:
	;; [unrolled: 11-line block ×3, first 2 shown]
	s_or_b64 exec, exec, s[0:1]
	v_or_b32_e32 v10, 0x800, v0
	v_cmp_gt_u32_e32 vcc, s33, v10
	s_and_saveexec_b64 s[0:1], vcc
	s_cbranch_execz .LBB1674_156
; %bb.155:
	v_cvt_f32_u32_e32 v12, v11
	v_add_co_u32_e32 v10, vcc, 0x2000, v4
	v_addc_co_u32_e32 v11, vcc, 0, v5, vcc
	flat_store_dword v[10:11], v12
.LBB1674_156:
	s_or_b64 exec, exec, s[0:1]
	v_or_b32_e32 v10, 0x900, v0
	v_cmp_gt_u32_e32 vcc, s33, v10
	s_and_saveexec_b64 s[0:1], vcc
	s_cbranch_execz .LBB1674_158
; %bb.157:
	v_cvt_f32_u32_e32 v8, v8
	v_add_co_u32_e32 v10, vcc, 0x2000, v4
	v_addc_co_u32_e32 v11, vcc, 0, v5, vcc
	flat_store_dword v[10:11], v8 offset:1024
.LBB1674_158:
	s_or_b64 exec, exec, s[0:1]
	v_or_b32_e32 v8, 0xa00, v0
	v_cmp_gt_u32_e32 vcc, s33, v8
	s_and_saveexec_b64 s[0:1], vcc
	s_cbranch_execz .LBB1674_160
; %bb.159:
	v_cvt_f32_u32_e32 v10, v9
	v_add_co_u32_e32 v8, vcc, 0x2000, v4
	v_addc_co_u32_e32 v9, vcc, 0, v5, vcc
	flat_store_dword v[8:9], v10 offset:2048
.LBB1674_160:
	;; [unrolled: 11-line block ×3, first 2 shown]
	s_or_b64 exec, exec, s[0:1]
	v_or_b32_e32 v6, 0xc00, v0
	v_cmp_gt_u32_e32 vcc, s33, v6
	s_and_saveexec_b64 s[0:1], vcc
	s_cbranch_execz .LBB1674_164
; %bb.163:
	v_cvt_f32_u32_e32 v6, v7
	v_add_co_u32_e32 v4, vcc, 0x3000, v4
	v_addc_co_u32_e32 v5, vcc, 0, v5, vcc
	flat_store_dword v[4:5], v6
.LBB1674_164:
	s_or_b64 exec, exec, s[0:1]
	v_or_b32_e32 v4, 0xd00, v0
	v_cmp_gt_u32_e64 s[0:1], s33, v4
	s_branch .LBB1674_167
.LBB1674_165:
	s_mov_b64 s[0:1], 0
                                        ; implicit-def: $vgpr3
	s_cbranch_execz .LBB1674_167
; %bb.166:
	s_movk_i32 s2, 0xffcc
	s_waitcnt lgkmcnt(0)
	s_barrier
	ds_write2_b64 v2, v[26:27], v[42:43] offset1:1
	ds_write2_b64 v2, v[30:31], v[44:45] offset0:2 offset1:3
	ds_write2_b64 v2, v[34:35], v[46:47] offset0:4 offset1:5
	ds_write_b64 v2, v[48:49] offset:48
	v_mad_i32_i24 v2, v0, s2, v2
	s_waitcnt lgkmcnt(0)
	s_barrier
	ds_read2st64_b32 v[4:5], v2 offset1:4
	ds_read2st64_b32 v[6:7], v2 offset0:8 offset1:12
	ds_read2st64_b32 v[8:9], v2 offset0:16 offset1:20
	;; [unrolled: 1-line block ×6, first 2 shown]
	s_waitcnt lgkmcnt(0)
	v_cvt_f32_u32_e32 v4, v4
	v_cvt_f32_u32_e32 v5, v5
	v_mov_b32_e32 v17, s5
	v_add_co_u32_e32 v16, vcc, s4, v50
	v_cvt_f32_u32_e32 v6, v6
	v_addc_co_u32_e32 v17, vcc, 0, v17, vcc
	v_cvt_f32_u32_e32 v7, v7
	flat_store_dword v[16:17], v4
	flat_store_dword v[16:17], v5 offset:1024
	flat_store_dword v[16:17], v6 offset:2048
	;; [unrolled: 1-line block ×3, first 2 shown]
	v_cvt_f32_u32_e32 v6, v8
	s_movk_i32 s2, 0x1000
	v_cvt_f32_u32_e32 v7, v9
	v_add_co_u32_e32 v4, vcc, s2, v16
	v_cvt_f32_u32_e32 v8, v10
	v_addc_co_u32_e32 v5, vcc, 0, v17, vcc
	v_cvt_f32_u32_e32 v9, v11
	flat_store_dword v[4:5], v6
	flat_store_dword v[4:5], v7 offset:1024
	flat_store_dword v[4:5], v8 offset:2048
	;; [unrolled: 1-line block ×3, first 2 shown]
	v_cvt_f32_u32_e32 v6, v12
	s_movk_i32 s2, 0x2000
	v_cvt_f32_u32_e32 v7, v13
	v_add_co_u32_e32 v4, vcc, s2, v16
	v_cvt_f32_u32_e32 v8, v14
	v_cvt_f32_u32_e32 v2, v2
	v_addc_co_u32_e32 v5, vcc, 0, v17, vcc
	v_cvt_f32_u32_e32 v9, v15
	flat_store_dword v[4:5], v6
	flat_store_dword v[4:5], v7 offset:1024
	flat_store_dword v[4:5], v8 offset:2048
	;; [unrolled: 1-line block ×3, first 2 shown]
	v_add_co_u32_e32 v4, vcc, 0x3000, v16
	v_mov_b32_e32 v1, 0
	v_addc_co_u32_e32 v5, vcc, 0, v17, vcc
	s_or_b64 s[0:1], s[0:1], exec
	flat_store_dword v[4:5], v2
.LBB1674_167:
	s_and_saveexec_b64 s[2:3], s[0:1]
	s_cbranch_execnz .LBB1674_169
; %bb.168:
	s_endpgm
.LBB1674_169:
	v_lshlrev_b64 v[0:1], 2, v[0:1]
	v_mov_b32_e32 v2, s5
	v_add_co_u32_e32 v0, vcc, s4, v0
	v_addc_co_u32_e32 v1, vcc, v2, v1, vcc
	v_cvt_f32_u32_e32 v2, v3
	v_add_co_u32_e32 v0, vcc, 0x3000, v0
	v_addc_co_u32_e32 v1, vcc, 0, v1, vcc
	flat_store_dword v[0:1], v2 offset:1024
	s_endpgm
.LBB1674_170:
	v_mov_b32_e32 v13, s63
	v_add_co_u32_e32 v14, vcc, s62, v12
	v_addc_co_u32_e32 v15, vcc, 0, v13, vcc
	flat_load_dword v13, v[14:15]
	s_or_b64 exec, exec, s[4:5]
                                        ; implicit-def: $vgpr14
	s_and_saveexec_b64 s[4:5], s[8:9]
	s_cbranch_execz .LBB1674_41
.LBB1674_171:
	v_mov_b32_e32 v15, s63
	v_add_co_u32_e32 v14, vcc, s62, v12
	v_addc_co_u32_e32 v15, vcc, 0, v15, vcc
	flat_load_dword v14, v[14:15] offset:1024
	s_or_b64 exec, exec, s[4:5]
                                        ; implicit-def: $vgpr15
	s_and_saveexec_b64 s[4:5], s[10:11]
	s_cbranch_execz .LBB1674_42
.LBB1674_172:
	v_mov_b32_e32 v15, s63
	v_add_co_u32_e32 v16, vcc, s62, v12
	v_addc_co_u32_e32 v17, vcc, 0, v15, vcc
	flat_load_dword v15, v[16:17] offset:2048
	s_or_b64 exec, exec, s[4:5]
                                        ; implicit-def: $vgpr16
	s_and_saveexec_b64 s[4:5], s[12:13]
	s_cbranch_execz .LBB1674_43
.LBB1674_173:
	v_mov_b32_e32 v17, s63
	v_add_co_u32_e32 v16, vcc, s62, v12
	v_addc_co_u32_e32 v17, vcc, 0, v17, vcc
	flat_load_dword v16, v[16:17] offset:3072
	s_or_b64 exec, exec, s[4:5]
                                        ; implicit-def: $vgpr17
	s_and_saveexec_b64 s[4:5], s[14:15]
	s_cbranch_execz .LBB1674_44
.LBB1674_174:
	v_mov_b32_e32 v17, s63
	v_add_co_u32_e32 v18, vcc, s62, v2
	v_addc_co_u32_e32 v19, vcc, 0, v17, vcc
	flat_load_dword v17, v[18:19]
	s_or_b64 exec, exec, s[4:5]
                                        ; implicit-def: $vgpr2
	s_and_saveexec_b64 s[4:5], s[16:17]
	s_cbranch_execz .LBB1674_45
.LBB1674_175:
	v_mov_b32_e32 v18, s63
	v_add_co_u32_e32 v2, vcc, s62, v3
	v_addc_co_u32_e32 v3, vcc, 0, v18, vcc
	flat_load_dword v2, v[2:3]
	s_or_b64 exec, exec, s[4:5]
                                        ; implicit-def: $vgpr3
	s_and_saveexec_b64 s[4:5], s[18:19]
	s_cbranch_execz .LBB1674_46
.LBB1674_176:
	v_mov_b32_e32 v3, s63
	v_add_co_u32_e32 v18, vcc, s62, v4
	v_addc_co_u32_e32 v19, vcc, 0, v3, vcc
	flat_load_dword v3, v[18:19]
	s_or_b64 exec, exec, s[4:5]
                                        ; implicit-def: $vgpr4
	s_and_saveexec_b64 s[4:5], s[20:21]
	s_cbranch_execz .LBB1674_47
.LBB1674_177:
	v_mov_b32_e32 v18, s63
	v_add_co_u32_e32 v4, vcc, s62, v5
	v_addc_co_u32_e32 v5, vcc, 0, v18, vcc
	flat_load_dword v4, v[4:5]
	s_or_b64 exec, exec, s[4:5]
                                        ; implicit-def: $vgpr5
	s_and_saveexec_b64 s[4:5], s[22:23]
	s_cbranch_execz .LBB1674_48
.LBB1674_178:
	v_mov_b32_e32 v5, s63
	v_add_co_u32_e32 v18, vcc, s62, v6
	v_addc_co_u32_e32 v19, vcc, 0, v5, vcc
	flat_load_dword v5, v[18:19]
	s_or_b64 exec, exec, s[4:5]
                                        ; implicit-def: $vgpr6
	s_and_saveexec_b64 s[4:5], s[24:25]
	s_cbranch_execz .LBB1674_49
.LBB1674_179:
	v_mov_b32_e32 v18, s63
	v_add_co_u32_e32 v6, vcc, s62, v7
	v_addc_co_u32_e32 v7, vcc, 0, v18, vcc
	flat_load_dword v6, v[6:7]
	s_or_b64 exec, exec, s[4:5]
                                        ; implicit-def: $vgpr7
	s_and_saveexec_b64 s[4:5], s[26:27]
	s_cbranch_execz .LBB1674_50
.LBB1674_180:
	v_mov_b32_e32 v7, s63
	v_add_co_u32_e32 v18, vcc, s62, v8
	v_addc_co_u32_e32 v19, vcc, 0, v7, vcc
	flat_load_dword v7, v[18:19]
	s_or_b64 exec, exec, s[4:5]
                                        ; implicit-def: $vgpr8
	s_and_saveexec_b64 s[4:5], s[28:29]
	s_cbranch_execz .LBB1674_51
.LBB1674_181:
	v_mov_b32_e32 v18, s63
	v_add_co_u32_e32 v8, vcc, s62, v9
	v_addc_co_u32_e32 v9, vcc, 0, v18, vcc
	flat_load_dword v8, v[8:9]
	s_or_b64 exec, exec, s[4:5]
                                        ; implicit-def: $vgpr9
	s_and_saveexec_b64 s[4:5], s[30:31]
	s_cbranch_execz .LBB1674_52
.LBB1674_182:
	v_mov_b32_e32 v9, s63
	v_add_co_u32_e32 v18, vcc, s62, v10
	v_addc_co_u32_e32 v19, vcc, 0, v9, vcc
	flat_load_dword v9, v[18:19]
	s_or_b64 exec, exec, s[4:5]
                                        ; implicit-def: $vgpr10
	s_and_saveexec_b64 s[4:5], s[34:35]
	s_cbranch_execnz .LBB1674_53
	s_branch .LBB1674_54
.LBB1674_183:
                                        ; implicit-def: $sgpr4_sgpr5
	s_branch .LBB1674_36
.LBB1674_184:
                                        ; implicit-def: $sgpr4_sgpr5
	s_branch .LBB1674_85
	.section	.rodata,"a",@progbits
	.p2align	6, 0x0
	.amdhsa_kernel _ZN7rocprim17ROCPRIM_400000_NS6detail17trampoline_kernelINS0_14default_configENS1_27scan_by_key_config_selectorIijEEZZNS1_16scan_by_key_implILNS1_25lookback_scan_determinismE0ELb0ES3_N6thrust23THRUST_200600_302600_NS6detail15normal_iteratorINS9_10device_ptrIiEEEENSB_INSC_IjEEEENSB_INSC_IfEEEEjNS9_4plusIvEENS9_8equal_toIvEEjEE10hipError_tPvRmT2_T3_T4_T5_mT6_T7_P12ihipStream_tbENKUlT_T0_E_clISt17integral_constantIbLb0EES12_IbLb1EEEEDaSY_SZ_EUlSY_E_NS1_11comp_targetILNS1_3genE4ELNS1_11target_archE910ELNS1_3gpuE8ELNS1_3repE0EEENS1_30default_config_static_selectorELNS0_4arch9wavefront6targetE1EEEvT1_
		.amdhsa_group_segment_fixed_size 16384
		.amdhsa_private_segment_fixed_size 0
		.amdhsa_kernarg_size 112
		.amdhsa_user_sgpr_count 6
		.amdhsa_user_sgpr_private_segment_buffer 1
		.amdhsa_user_sgpr_dispatch_ptr 0
		.amdhsa_user_sgpr_queue_ptr 0
		.amdhsa_user_sgpr_kernarg_segment_ptr 1
		.amdhsa_user_sgpr_dispatch_id 0
		.amdhsa_user_sgpr_flat_scratch_init 0
		.amdhsa_user_sgpr_kernarg_preload_length 0
		.amdhsa_user_sgpr_kernarg_preload_offset 0
		.amdhsa_user_sgpr_private_segment_size 0
		.amdhsa_uses_dynamic_stack 0
		.amdhsa_system_sgpr_private_segment_wavefront_offset 0
		.amdhsa_system_sgpr_workgroup_id_x 1
		.amdhsa_system_sgpr_workgroup_id_y 0
		.amdhsa_system_sgpr_workgroup_id_z 0
		.amdhsa_system_sgpr_workgroup_info 0
		.amdhsa_system_vgpr_workitem_id 0
		.amdhsa_next_free_vgpr 65
		.amdhsa_next_free_sgpr 65
		.amdhsa_accum_offset 68
		.amdhsa_reserve_vcc 1
		.amdhsa_reserve_flat_scratch 0
		.amdhsa_float_round_mode_32 0
		.amdhsa_float_round_mode_16_64 0
		.amdhsa_float_denorm_mode_32 3
		.amdhsa_float_denorm_mode_16_64 3
		.amdhsa_dx10_clamp 1
		.amdhsa_ieee_mode 1
		.amdhsa_fp16_overflow 0
		.amdhsa_tg_split 0
		.amdhsa_exception_fp_ieee_invalid_op 0
		.amdhsa_exception_fp_denorm_src 0
		.amdhsa_exception_fp_ieee_div_zero 0
		.amdhsa_exception_fp_ieee_overflow 0
		.amdhsa_exception_fp_ieee_underflow 0
		.amdhsa_exception_fp_ieee_inexact 0
		.amdhsa_exception_int_div_zero 0
	.end_amdhsa_kernel
	.section	.text._ZN7rocprim17ROCPRIM_400000_NS6detail17trampoline_kernelINS0_14default_configENS1_27scan_by_key_config_selectorIijEEZZNS1_16scan_by_key_implILNS1_25lookback_scan_determinismE0ELb0ES3_N6thrust23THRUST_200600_302600_NS6detail15normal_iteratorINS9_10device_ptrIiEEEENSB_INSC_IjEEEENSB_INSC_IfEEEEjNS9_4plusIvEENS9_8equal_toIvEEjEE10hipError_tPvRmT2_T3_T4_T5_mT6_T7_P12ihipStream_tbENKUlT_T0_E_clISt17integral_constantIbLb0EES12_IbLb1EEEEDaSY_SZ_EUlSY_E_NS1_11comp_targetILNS1_3genE4ELNS1_11target_archE910ELNS1_3gpuE8ELNS1_3repE0EEENS1_30default_config_static_selectorELNS0_4arch9wavefront6targetE1EEEvT1_,"axG",@progbits,_ZN7rocprim17ROCPRIM_400000_NS6detail17trampoline_kernelINS0_14default_configENS1_27scan_by_key_config_selectorIijEEZZNS1_16scan_by_key_implILNS1_25lookback_scan_determinismE0ELb0ES3_N6thrust23THRUST_200600_302600_NS6detail15normal_iteratorINS9_10device_ptrIiEEEENSB_INSC_IjEEEENSB_INSC_IfEEEEjNS9_4plusIvEENS9_8equal_toIvEEjEE10hipError_tPvRmT2_T3_T4_T5_mT6_T7_P12ihipStream_tbENKUlT_T0_E_clISt17integral_constantIbLb0EES12_IbLb1EEEEDaSY_SZ_EUlSY_E_NS1_11comp_targetILNS1_3genE4ELNS1_11target_archE910ELNS1_3gpuE8ELNS1_3repE0EEENS1_30default_config_static_selectorELNS0_4arch9wavefront6targetE1EEEvT1_,comdat
.Lfunc_end1674:
	.size	_ZN7rocprim17ROCPRIM_400000_NS6detail17trampoline_kernelINS0_14default_configENS1_27scan_by_key_config_selectorIijEEZZNS1_16scan_by_key_implILNS1_25lookback_scan_determinismE0ELb0ES3_N6thrust23THRUST_200600_302600_NS6detail15normal_iteratorINS9_10device_ptrIiEEEENSB_INSC_IjEEEENSB_INSC_IfEEEEjNS9_4plusIvEENS9_8equal_toIvEEjEE10hipError_tPvRmT2_T3_T4_T5_mT6_T7_P12ihipStream_tbENKUlT_T0_E_clISt17integral_constantIbLb0EES12_IbLb1EEEEDaSY_SZ_EUlSY_E_NS1_11comp_targetILNS1_3genE4ELNS1_11target_archE910ELNS1_3gpuE8ELNS1_3repE0EEENS1_30default_config_static_selectorELNS0_4arch9wavefront6targetE1EEEvT1_, .Lfunc_end1674-_ZN7rocprim17ROCPRIM_400000_NS6detail17trampoline_kernelINS0_14default_configENS1_27scan_by_key_config_selectorIijEEZZNS1_16scan_by_key_implILNS1_25lookback_scan_determinismE0ELb0ES3_N6thrust23THRUST_200600_302600_NS6detail15normal_iteratorINS9_10device_ptrIiEEEENSB_INSC_IjEEEENSB_INSC_IfEEEEjNS9_4plusIvEENS9_8equal_toIvEEjEE10hipError_tPvRmT2_T3_T4_T5_mT6_T7_P12ihipStream_tbENKUlT_T0_E_clISt17integral_constantIbLb0EES12_IbLb1EEEEDaSY_SZ_EUlSY_E_NS1_11comp_targetILNS1_3genE4ELNS1_11target_archE910ELNS1_3gpuE8ELNS1_3repE0EEENS1_30default_config_static_selectorELNS0_4arch9wavefront6targetE1EEEvT1_
                                        ; -- End function
	.section	.AMDGPU.csdata,"",@progbits
; Kernel info:
; codeLenInByte = 11132
; NumSgprs: 69
; NumVgprs: 65
; NumAgprs: 0
; TotalNumVgprs: 65
; ScratchSize: 0
; MemoryBound: 0
; FloatMode: 240
; IeeeMode: 1
; LDSByteSize: 16384 bytes/workgroup (compile time only)
; SGPRBlocks: 8
; VGPRBlocks: 8
; NumSGPRsForWavesPerEU: 69
; NumVGPRsForWavesPerEU: 65
; AccumOffset: 68
; Occupancy: 4
; WaveLimiterHint : 1
; COMPUTE_PGM_RSRC2:SCRATCH_EN: 0
; COMPUTE_PGM_RSRC2:USER_SGPR: 6
; COMPUTE_PGM_RSRC2:TRAP_HANDLER: 0
; COMPUTE_PGM_RSRC2:TGID_X_EN: 1
; COMPUTE_PGM_RSRC2:TGID_Y_EN: 0
; COMPUTE_PGM_RSRC2:TGID_Z_EN: 0
; COMPUTE_PGM_RSRC2:TIDIG_COMP_CNT: 0
; COMPUTE_PGM_RSRC3_GFX90A:ACCUM_OFFSET: 16
; COMPUTE_PGM_RSRC3_GFX90A:TG_SPLIT: 0
	.section	.text._ZN7rocprim17ROCPRIM_400000_NS6detail17trampoline_kernelINS0_14default_configENS1_27scan_by_key_config_selectorIijEEZZNS1_16scan_by_key_implILNS1_25lookback_scan_determinismE0ELb0ES3_N6thrust23THRUST_200600_302600_NS6detail15normal_iteratorINS9_10device_ptrIiEEEENSB_INSC_IjEEEENSB_INSC_IfEEEEjNS9_4plusIvEENS9_8equal_toIvEEjEE10hipError_tPvRmT2_T3_T4_T5_mT6_T7_P12ihipStream_tbENKUlT_T0_E_clISt17integral_constantIbLb0EES12_IbLb1EEEEDaSY_SZ_EUlSY_E_NS1_11comp_targetILNS1_3genE3ELNS1_11target_archE908ELNS1_3gpuE7ELNS1_3repE0EEENS1_30default_config_static_selectorELNS0_4arch9wavefront6targetE1EEEvT1_,"axG",@progbits,_ZN7rocprim17ROCPRIM_400000_NS6detail17trampoline_kernelINS0_14default_configENS1_27scan_by_key_config_selectorIijEEZZNS1_16scan_by_key_implILNS1_25lookback_scan_determinismE0ELb0ES3_N6thrust23THRUST_200600_302600_NS6detail15normal_iteratorINS9_10device_ptrIiEEEENSB_INSC_IjEEEENSB_INSC_IfEEEEjNS9_4plusIvEENS9_8equal_toIvEEjEE10hipError_tPvRmT2_T3_T4_T5_mT6_T7_P12ihipStream_tbENKUlT_T0_E_clISt17integral_constantIbLb0EES12_IbLb1EEEEDaSY_SZ_EUlSY_E_NS1_11comp_targetILNS1_3genE3ELNS1_11target_archE908ELNS1_3gpuE7ELNS1_3repE0EEENS1_30default_config_static_selectorELNS0_4arch9wavefront6targetE1EEEvT1_,comdat
	.protected	_ZN7rocprim17ROCPRIM_400000_NS6detail17trampoline_kernelINS0_14default_configENS1_27scan_by_key_config_selectorIijEEZZNS1_16scan_by_key_implILNS1_25lookback_scan_determinismE0ELb0ES3_N6thrust23THRUST_200600_302600_NS6detail15normal_iteratorINS9_10device_ptrIiEEEENSB_INSC_IjEEEENSB_INSC_IfEEEEjNS9_4plusIvEENS9_8equal_toIvEEjEE10hipError_tPvRmT2_T3_T4_T5_mT6_T7_P12ihipStream_tbENKUlT_T0_E_clISt17integral_constantIbLb0EES12_IbLb1EEEEDaSY_SZ_EUlSY_E_NS1_11comp_targetILNS1_3genE3ELNS1_11target_archE908ELNS1_3gpuE7ELNS1_3repE0EEENS1_30default_config_static_selectorELNS0_4arch9wavefront6targetE1EEEvT1_ ; -- Begin function _ZN7rocprim17ROCPRIM_400000_NS6detail17trampoline_kernelINS0_14default_configENS1_27scan_by_key_config_selectorIijEEZZNS1_16scan_by_key_implILNS1_25lookback_scan_determinismE0ELb0ES3_N6thrust23THRUST_200600_302600_NS6detail15normal_iteratorINS9_10device_ptrIiEEEENSB_INSC_IjEEEENSB_INSC_IfEEEEjNS9_4plusIvEENS9_8equal_toIvEEjEE10hipError_tPvRmT2_T3_T4_T5_mT6_T7_P12ihipStream_tbENKUlT_T0_E_clISt17integral_constantIbLb0EES12_IbLb1EEEEDaSY_SZ_EUlSY_E_NS1_11comp_targetILNS1_3genE3ELNS1_11target_archE908ELNS1_3gpuE7ELNS1_3repE0EEENS1_30default_config_static_selectorELNS0_4arch9wavefront6targetE1EEEvT1_
	.globl	_ZN7rocprim17ROCPRIM_400000_NS6detail17trampoline_kernelINS0_14default_configENS1_27scan_by_key_config_selectorIijEEZZNS1_16scan_by_key_implILNS1_25lookback_scan_determinismE0ELb0ES3_N6thrust23THRUST_200600_302600_NS6detail15normal_iteratorINS9_10device_ptrIiEEEENSB_INSC_IjEEEENSB_INSC_IfEEEEjNS9_4plusIvEENS9_8equal_toIvEEjEE10hipError_tPvRmT2_T3_T4_T5_mT6_T7_P12ihipStream_tbENKUlT_T0_E_clISt17integral_constantIbLb0EES12_IbLb1EEEEDaSY_SZ_EUlSY_E_NS1_11comp_targetILNS1_3genE3ELNS1_11target_archE908ELNS1_3gpuE7ELNS1_3repE0EEENS1_30default_config_static_selectorELNS0_4arch9wavefront6targetE1EEEvT1_
	.p2align	8
	.type	_ZN7rocprim17ROCPRIM_400000_NS6detail17trampoline_kernelINS0_14default_configENS1_27scan_by_key_config_selectorIijEEZZNS1_16scan_by_key_implILNS1_25lookback_scan_determinismE0ELb0ES3_N6thrust23THRUST_200600_302600_NS6detail15normal_iteratorINS9_10device_ptrIiEEEENSB_INSC_IjEEEENSB_INSC_IfEEEEjNS9_4plusIvEENS9_8equal_toIvEEjEE10hipError_tPvRmT2_T3_T4_T5_mT6_T7_P12ihipStream_tbENKUlT_T0_E_clISt17integral_constantIbLb0EES12_IbLb1EEEEDaSY_SZ_EUlSY_E_NS1_11comp_targetILNS1_3genE3ELNS1_11target_archE908ELNS1_3gpuE7ELNS1_3repE0EEENS1_30default_config_static_selectorELNS0_4arch9wavefront6targetE1EEEvT1_,@function
_ZN7rocprim17ROCPRIM_400000_NS6detail17trampoline_kernelINS0_14default_configENS1_27scan_by_key_config_selectorIijEEZZNS1_16scan_by_key_implILNS1_25lookback_scan_determinismE0ELb0ES3_N6thrust23THRUST_200600_302600_NS6detail15normal_iteratorINS9_10device_ptrIiEEEENSB_INSC_IjEEEENSB_INSC_IfEEEEjNS9_4plusIvEENS9_8equal_toIvEEjEE10hipError_tPvRmT2_T3_T4_T5_mT6_T7_P12ihipStream_tbENKUlT_T0_E_clISt17integral_constantIbLb0EES12_IbLb1EEEEDaSY_SZ_EUlSY_E_NS1_11comp_targetILNS1_3genE3ELNS1_11target_archE908ELNS1_3gpuE7ELNS1_3repE0EEENS1_30default_config_static_selectorELNS0_4arch9wavefront6targetE1EEEvT1_: ; @_ZN7rocprim17ROCPRIM_400000_NS6detail17trampoline_kernelINS0_14default_configENS1_27scan_by_key_config_selectorIijEEZZNS1_16scan_by_key_implILNS1_25lookback_scan_determinismE0ELb0ES3_N6thrust23THRUST_200600_302600_NS6detail15normal_iteratorINS9_10device_ptrIiEEEENSB_INSC_IjEEEENSB_INSC_IfEEEEjNS9_4plusIvEENS9_8equal_toIvEEjEE10hipError_tPvRmT2_T3_T4_T5_mT6_T7_P12ihipStream_tbENKUlT_T0_E_clISt17integral_constantIbLb0EES12_IbLb1EEEEDaSY_SZ_EUlSY_E_NS1_11comp_targetILNS1_3genE3ELNS1_11target_archE908ELNS1_3gpuE7ELNS1_3repE0EEENS1_30default_config_static_selectorELNS0_4arch9wavefront6targetE1EEEvT1_
; %bb.0:
	.section	.rodata,"a",@progbits
	.p2align	6, 0x0
	.amdhsa_kernel _ZN7rocprim17ROCPRIM_400000_NS6detail17trampoline_kernelINS0_14default_configENS1_27scan_by_key_config_selectorIijEEZZNS1_16scan_by_key_implILNS1_25lookback_scan_determinismE0ELb0ES3_N6thrust23THRUST_200600_302600_NS6detail15normal_iteratorINS9_10device_ptrIiEEEENSB_INSC_IjEEEENSB_INSC_IfEEEEjNS9_4plusIvEENS9_8equal_toIvEEjEE10hipError_tPvRmT2_T3_T4_T5_mT6_T7_P12ihipStream_tbENKUlT_T0_E_clISt17integral_constantIbLb0EES12_IbLb1EEEEDaSY_SZ_EUlSY_E_NS1_11comp_targetILNS1_3genE3ELNS1_11target_archE908ELNS1_3gpuE7ELNS1_3repE0EEENS1_30default_config_static_selectorELNS0_4arch9wavefront6targetE1EEEvT1_
		.amdhsa_group_segment_fixed_size 0
		.amdhsa_private_segment_fixed_size 0
		.amdhsa_kernarg_size 112
		.amdhsa_user_sgpr_count 6
		.amdhsa_user_sgpr_private_segment_buffer 1
		.amdhsa_user_sgpr_dispatch_ptr 0
		.amdhsa_user_sgpr_queue_ptr 0
		.amdhsa_user_sgpr_kernarg_segment_ptr 1
		.amdhsa_user_sgpr_dispatch_id 0
		.amdhsa_user_sgpr_flat_scratch_init 0
		.amdhsa_user_sgpr_kernarg_preload_length 0
		.amdhsa_user_sgpr_kernarg_preload_offset 0
		.amdhsa_user_sgpr_private_segment_size 0
		.amdhsa_uses_dynamic_stack 0
		.amdhsa_system_sgpr_private_segment_wavefront_offset 0
		.amdhsa_system_sgpr_workgroup_id_x 1
		.amdhsa_system_sgpr_workgroup_id_y 0
		.amdhsa_system_sgpr_workgroup_id_z 0
		.amdhsa_system_sgpr_workgroup_info 0
		.amdhsa_system_vgpr_workitem_id 0
		.amdhsa_next_free_vgpr 1
		.amdhsa_next_free_sgpr 0
		.amdhsa_accum_offset 4
		.amdhsa_reserve_vcc 0
		.amdhsa_reserve_flat_scratch 0
		.amdhsa_float_round_mode_32 0
		.amdhsa_float_round_mode_16_64 0
		.amdhsa_float_denorm_mode_32 3
		.amdhsa_float_denorm_mode_16_64 3
		.amdhsa_dx10_clamp 1
		.amdhsa_ieee_mode 1
		.amdhsa_fp16_overflow 0
		.amdhsa_tg_split 0
		.amdhsa_exception_fp_ieee_invalid_op 0
		.amdhsa_exception_fp_denorm_src 0
		.amdhsa_exception_fp_ieee_div_zero 0
		.amdhsa_exception_fp_ieee_overflow 0
		.amdhsa_exception_fp_ieee_underflow 0
		.amdhsa_exception_fp_ieee_inexact 0
		.amdhsa_exception_int_div_zero 0
	.end_amdhsa_kernel
	.section	.text._ZN7rocprim17ROCPRIM_400000_NS6detail17trampoline_kernelINS0_14default_configENS1_27scan_by_key_config_selectorIijEEZZNS1_16scan_by_key_implILNS1_25lookback_scan_determinismE0ELb0ES3_N6thrust23THRUST_200600_302600_NS6detail15normal_iteratorINS9_10device_ptrIiEEEENSB_INSC_IjEEEENSB_INSC_IfEEEEjNS9_4plusIvEENS9_8equal_toIvEEjEE10hipError_tPvRmT2_T3_T4_T5_mT6_T7_P12ihipStream_tbENKUlT_T0_E_clISt17integral_constantIbLb0EES12_IbLb1EEEEDaSY_SZ_EUlSY_E_NS1_11comp_targetILNS1_3genE3ELNS1_11target_archE908ELNS1_3gpuE7ELNS1_3repE0EEENS1_30default_config_static_selectorELNS0_4arch9wavefront6targetE1EEEvT1_,"axG",@progbits,_ZN7rocprim17ROCPRIM_400000_NS6detail17trampoline_kernelINS0_14default_configENS1_27scan_by_key_config_selectorIijEEZZNS1_16scan_by_key_implILNS1_25lookback_scan_determinismE0ELb0ES3_N6thrust23THRUST_200600_302600_NS6detail15normal_iteratorINS9_10device_ptrIiEEEENSB_INSC_IjEEEENSB_INSC_IfEEEEjNS9_4plusIvEENS9_8equal_toIvEEjEE10hipError_tPvRmT2_T3_T4_T5_mT6_T7_P12ihipStream_tbENKUlT_T0_E_clISt17integral_constantIbLb0EES12_IbLb1EEEEDaSY_SZ_EUlSY_E_NS1_11comp_targetILNS1_3genE3ELNS1_11target_archE908ELNS1_3gpuE7ELNS1_3repE0EEENS1_30default_config_static_selectorELNS0_4arch9wavefront6targetE1EEEvT1_,comdat
.Lfunc_end1675:
	.size	_ZN7rocprim17ROCPRIM_400000_NS6detail17trampoline_kernelINS0_14default_configENS1_27scan_by_key_config_selectorIijEEZZNS1_16scan_by_key_implILNS1_25lookback_scan_determinismE0ELb0ES3_N6thrust23THRUST_200600_302600_NS6detail15normal_iteratorINS9_10device_ptrIiEEEENSB_INSC_IjEEEENSB_INSC_IfEEEEjNS9_4plusIvEENS9_8equal_toIvEEjEE10hipError_tPvRmT2_T3_T4_T5_mT6_T7_P12ihipStream_tbENKUlT_T0_E_clISt17integral_constantIbLb0EES12_IbLb1EEEEDaSY_SZ_EUlSY_E_NS1_11comp_targetILNS1_3genE3ELNS1_11target_archE908ELNS1_3gpuE7ELNS1_3repE0EEENS1_30default_config_static_selectorELNS0_4arch9wavefront6targetE1EEEvT1_, .Lfunc_end1675-_ZN7rocprim17ROCPRIM_400000_NS6detail17trampoline_kernelINS0_14default_configENS1_27scan_by_key_config_selectorIijEEZZNS1_16scan_by_key_implILNS1_25lookback_scan_determinismE0ELb0ES3_N6thrust23THRUST_200600_302600_NS6detail15normal_iteratorINS9_10device_ptrIiEEEENSB_INSC_IjEEEENSB_INSC_IfEEEEjNS9_4plusIvEENS9_8equal_toIvEEjEE10hipError_tPvRmT2_T3_T4_T5_mT6_T7_P12ihipStream_tbENKUlT_T0_E_clISt17integral_constantIbLb0EES12_IbLb1EEEEDaSY_SZ_EUlSY_E_NS1_11comp_targetILNS1_3genE3ELNS1_11target_archE908ELNS1_3gpuE7ELNS1_3repE0EEENS1_30default_config_static_selectorELNS0_4arch9wavefront6targetE1EEEvT1_
                                        ; -- End function
	.section	.AMDGPU.csdata,"",@progbits
; Kernel info:
; codeLenInByte = 0
; NumSgprs: 4
; NumVgprs: 0
; NumAgprs: 0
; TotalNumVgprs: 0
; ScratchSize: 0
; MemoryBound: 0
; FloatMode: 240
; IeeeMode: 1
; LDSByteSize: 0 bytes/workgroup (compile time only)
; SGPRBlocks: 0
; VGPRBlocks: 0
; NumSGPRsForWavesPerEU: 4
; NumVGPRsForWavesPerEU: 1
; AccumOffset: 4
; Occupancy: 8
; WaveLimiterHint : 0
; COMPUTE_PGM_RSRC2:SCRATCH_EN: 0
; COMPUTE_PGM_RSRC2:USER_SGPR: 6
; COMPUTE_PGM_RSRC2:TRAP_HANDLER: 0
; COMPUTE_PGM_RSRC2:TGID_X_EN: 1
; COMPUTE_PGM_RSRC2:TGID_Y_EN: 0
; COMPUTE_PGM_RSRC2:TGID_Z_EN: 0
; COMPUTE_PGM_RSRC2:TIDIG_COMP_CNT: 0
; COMPUTE_PGM_RSRC3_GFX90A:ACCUM_OFFSET: 0
; COMPUTE_PGM_RSRC3_GFX90A:TG_SPLIT: 0
	.section	.text._ZN7rocprim17ROCPRIM_400000_NS6detail17trampoline_kernelINS0_14default_configENS1_27scan_by_key_config_selectorIijEEZZNS1_16scan_by_key_implILNS1_25lookback_scan_determinismE0ELb0ES3_N6thrust23THRUST_200600_302600_NS6detail15normal_iteratorINS9_10device_ptrIiEEEENSB_INSC_IjEEEENSB_INSC_IfEEEEjNS9_4plusIvEENS9_8equal_toIvEEjEE10hipError_tPvRmT2_T3_T4_T5_mT6_T7_P12ihipStream_tbENKUlT_T0_E_clISt17integral_constantIbLb0EES12_IbLb1EEEEDaSY_SZ_EUlSY_E_NS1_11comp_targetILNS1_3genE2ELNS1_11target_archE906ELNS1_3gpuE6ELNS1_3repE0EEENS1_30default_config_static_selectorELNS0_4arch9wavefront6targetE1EEEvT1_,"axG",@progbits,_ZN7rocprim17ROCPRIM_400000_NS6detail17trampoline_kernelINS0_14default_configENS1_27scan_by_key_config_selectorIijEEZZNS1_16scan_by_key_implILNS1_25lookback_scan_determinismE0ELb0ES3_N6thrust23THRUST_200600_302600_NS6detail15normal_iteratorINS9_10device_ptrIiEEEENSB_INSC_IjEEEENSB_INSC_IfEEEEjNS9_4plusIvEENS9_8equal_toIvEEjEE10hipError_tPvRmT2_T3_T4_T5_mT6_T7_P12ihipStream_tbENKUlT_T0_E_clISt17integral_constantIbLb0EES12_IbLb1EEEEDaSY_SZ_EUlSY_E_NS1_11comp_targetILNS1_3genE2ELNS1_11target_archE906ELNS1_3gpuE6ELNS1_3repE0EEENS1_30default_config_static_selectorELNS0_4arch9wavefront6targetE1EEEvT1_,comdat
	.protected	_ZN7rocprim17ROCPRIM_400000_NS6detail17trampoline_kernelINS0_14default_configENS1_27scan_by_key_config_selectorIijEEZZNS1_16scan_by_key_implILNS1_25lookback_scan_determinismE0ELb0ES3_N6thrust23THRUST_200600_302600_NS6detail15normal_iteratorINS9_10device_ptrIiEEEENSB_INSC_IjEEEENSB_INSC_IfEEEEjNS9_4plusIvEENS9_8equal_toIvEEjEE10hipError_tPvRmT2_T3_T4_T5_mT6_T7_P12ihipStream_tbENKUlT_T0_E_clISt17integral_constantIbLb0EES12_IbLb1EEEEDaSY_SZ_EUlSY_E_NS1_11comp_targetILNS1_3genE2ELNS1_11target_archE906ELNS1_3gpuE6ELNS1_3repE0EEENS1_30default_config_static_selectorELNS0_4arch9wavefront6targetE1EEEvT1_ ; -- Begin function _ZN7rocprim17ROCPRIM_400000_NS6detail17trampoline_kernelINS0_14default_configENS1_27scan_by_key_config_selectorIijEEZZNS1_16scan_by_key_implILNS1_25lookback_scan_determinismE0ELb0ES3_N6thrust23THRUST_200600_302600_NS6detail15normal_iteratorINS9_10device_ptrIiEEEENSB_INSC_IjEEEENSB_INSC_IfEEEEjNS9_4plusIvEENS9_8equal_toIvEEjEE10hipError_tPvRmT2_T3_T4_T5_mT6_T7_P12ihipStream_tbENKUlT_T0_E_clISt17integral_constantIbLb0EES12_IbLb1EEEEDaSY_SZ_EUlSY_E_NS1_11comp_targetILNS1_3genE2ELNS1_11target_archE906ELNS1_3gpuE6ELNS1_3repE0EEENS1_30default_config_static_selectorELNS0_4arch9wavefront6targetE1EEEvT1_
	.globl	_ZN7rocprim17ROCPRIM_400000_NS6detail17trampoline_kernelINS0_14default_configENS1_27scan_by_key_config_selectorIijEEZZNS1_16scan_by_key_implILNS1_25lookback_scan_determinismE0ELb0ES3_N6thrust23THRUST_200600_302600_NS6detail15normal_iteratorINS9_10device_ptrIiEEEENSB_INSC_IjEEEENSB_INSC_IfEEEEjNS9_4plusIvEENS9_8equal_toIvEEjEE10hipError_tPvRmT2_T3_T4_T5_mT6_T7_P12ihipStream_tbENKUlT_T0_E_clISt17integral_constantIbLb0EES12_IbLb1EEEEDaSY_SZ_EUlSY_E_NS1_11comp_targetILNS1_3genE2ELNS1_11target_archE906ELNS1_3gpuE6ELNS1_3repE0EEENS1_30default_config_static_selectorELNS0_4arch9wavefront6targetE1EEEvT1_
	.p2align	8
	.type	_ZN7rocprim17ROCPRIM_400000_NS6detail17trampoline_kernelINS0_14default_configENS1_27scan_by_key_config_selectorIijEEZZNS1_16scan_by_key_implILNS1_25lookback_scan_determinismE0ELb0ES3_N6thrust23THRUST_200600_302600_NS6detail15normal_iteratorINS9_10device_ptrIiEEEENSB_INSC_IjEEEENSB_INSC_IfEEEEjNS9_4plusIvEENS9_8equal_toIvEEjEE10hipError_tPvRmT2_T3_T4_T5_mT6_T7_P12ihipStream_tbENKUlT_T0_E_clISt17integral_constantIbLb0EES12_IbLb1EEEEDaSY_SZ_EUlSY_E_NS1_11comp_targetILNS1_3genE2ELNS1_11target_archE906ELNS1_3gpuE6ELNS1_3repE0EEENS1_30default_config_static_selectorELNS0_4arch9wavefront6targetE1EEEvT1_,@function
_ZN7rocprim17ROCPRIM_400000_NS6detail17trampoline_kernelINS0_14default_configENS1_27scan_by_key_config_selectorIijEEZZNS1_16scan_by_key_implILNS1_25lookback_scan_determinismE0ELb0ES3_N6thrust23THRUST_200600_302600_NS6detail15normal_iteratorINS9_10device_ptrIiEEEENSB_INSC_IjEEEENSB_INSC_IfEEEEjNS9_4plusIvEENS9_8equal_toIvEEjEE10hipError_tPvRmT2_T3_T4_T5_mT6_T7_P12ihipStream_tbENKUlT_T0_E_clISt17integral_constantIbLb0EES12_IbLb1EEEEDaSY_SZ_EUlSY_E_NS1_11comp_targetILNS1_3genE2ELNS1_11target_archE906ELNS1_3gpuE6ELNS1_3repE0EEENS1_30default_config_static_selectorELNS0_4arch9wavefront6targetE1EEEvT1_: ; @_ZN7rocprim17ROCPRIM_400000_NS6detail17trampoline_kernelINS0_14default_configENS1_27scan_by_key_config_selectorIijEEZZNS1_16scan_by_key_implILNS1_25lookback_scan_determinismE0ELb0ES3_N6thrust23THRUST_200600_302600_NS6detail15normal_iteratorINS9_10device_ptrIiEEEENSB_INSC_IjEEEENSB_INSC_IfEEEEjNS9_4plusIvEENS9_8equal_toIvEEjEE10hipError_tPvRmT2_T3_T4_T5_mT6_T7_P12ihipStream_tbENKUlT_T0_E_clISt17integral_constantIbLb0EES12_IbLb1EEEEDaSY_SZ_EUlSY_E_NS1_11comp_targetILNS1_3genE2ELNS1_11target_archE906ELNS1_3gpuE6ELNS1_3repE0EEENS1_30default_config_static_selectorELNS0_4arch9wavefront6targetE1EEEvT1_
; %bb.0:
	.section	.rodata,"a",@progbits
	.p2align	6, 0x0
	.amdhsa_kernel _ZN7rocprim17ROCPRIM_400000_NS6detail17trampoline_kernelINS0_14default_configENS1_27scan_by_key_config_selectorIijEEZZNS1_16scan_by_key_implILNS1_25lookback_scan_determinismE0ELb0ES3_N6thrust23THRUST_200600_302600_NS6detail15normal_iteratorINS9_10device_ptrIiEEEENSB_INSC_IjEEEENSB_INSC_IfEEEEjNS9_4plusIvEENS9_8equal_toIvEEjEE10hipError_tPvRmT2_T3_T4_T5_mT6_T7_P12ihipStream_tbENKUlT_T0_E_clISt17integral_constantIbLb0EES12_IbLb1EEEEDaSY_SZ_EUlSY_E_NS1_11comp_targetILNS1_3genE2ELNS1_11target_archE906ELNS1_3gpuE6ELNS1_3repE0EEENS1_30default_config_static_selectorELNS0_4arch9wavefront6targetE1EEEvT1_
		.amdhsa_group_segment_fixed_size 0
		.amdhsa_private_segment_fixed_size 0
		.amdhsa_kernarg_size 112
		.amdhsa_user_sgpr_count 6
		.amdhsa_user_sgpr_private_segment_buffer 1
		.amdhsa_user_sgpr_dispatch_ptr 0
		.amdhsa_user_sgpr_queue_ptr 0
		.amdhsa_user_sgpr_kernarg_segment_ptr 1
		.amdhsa_user_sgpr_dispatch_id 0
		.amdhsa_user_sgpr_flat_scratch_init 0
		.amdhsa_user_sgpr_kernarg_preload_length 0
		.amdhsa_user_sgpr_kernarg_preload_offset 0
		.amdhsa_user_sgpr_private_segment_size 0
		.amdhsa_uses_dynamic_stack 0
		.amdhsa_system_sgpr_private_segment_wavefront_offset 0
		.amdhsa_system_sgpr_workgroup_id_x 1
		.amdhsa_system_sgpr_workgroup_id_y 0
		.amdhsa_system_sgpr_workgroup_id_z 0
		.amdhsa_system_sgpr_workgroup_info 0
		.amdhsa_system_vgpr_workitem_id 0
		.amdhsa_next_free_vgpr 1
		.amdhsa_next_free_sgpr 0
		.amdhsa_accum_offset 4
		.amdhsa_reserve_vcc 0
		.amdhsa_reserve_flat_scratch 0
		.amdhsa_float_round_mode_32 0
		.amdhsa_float_round_mode_16_64 0
		.amdhsa_float_denorm_mode_32 3
		.amdhsa_float_denorm_mode_16_64 3
		.amdhsa_dx10_clamp 1
		.amdhsa_ieee_mode 1
		.amdhsa_fp16_overflow 0
		.amdhsa_tg_split 0
		.amdhsa_exception_fp_ieee_invalid_op 0
		.amdhsa_exception_fp_denorm_src 0
		.amdhsa_exception_fp_ieee_div_zero 0
		.amdhsa_exception_fp_ieee_overflow 0
		.amdhsa_exception_fp_ieee_underflow 0
		.amdhsa_exception_fp_ieee_inexact 0
		.amdhsa_exception_int_div_zero 0
	.end_amdhsa_kernel
	.section	.text._ZN7rocprim17ROCPRIM_400000_NS6detail17trampoline_kernelINS0_14default_configENS1_27scan_by_key_config_selectorIijEEZZNS1_16scan_by_key_implILNS1_25lookback_scan_determinismE0ELb0ES3_N6thrust23THRUST_200600_302600_NS6detail15normal_iteratorINS9_10device_ptrIiEEEENSB_INSC_IjEEEENSB_INSC_IfEEEEjNS9_4plusIvEENS9_8equal_toIvEEjEE10hipError_tPvRmT2_T3_T4_T5_mT6_T7_P12ihipStream_tbENKUlT_T0_E_clISt17integral_constantIbLb0EES12_IbLb1EEEEDaSY_SZ_EUlSY_E_NS1_11comp_targetILNS1_3genE2ELNS1_11target_archE906ELNS1_3gpuE6ELNS1_3repE0EEENS1_30default_config_static_selectorELNS0_4arch9wavefront6targetE1EEEvT1_,"axG",@progbits,_ZN7rocprim17ROCPRIM_400000_NS6detail17trampoline_kernelINS0_14default_configENS1_27scan_by_key_config_selectorIijEEZZNS1_16scan_by_key_implILNS1_25lookback_scan_determinismE0ELb0ES3_N6thrust23THRUST_200600_302600_NS6detail15normal_iteratorINS9_10device_ptrIiEEEENSB_INSC_IjEEEENSB_INSC_IfEEEEjNS9_4plusIvEENS9_8equal_toIvEEjEE10hipError_tPvRmT2_T3_T4_T5_mT6_T7_P12ihipStream_tbENKUlT_T0_E_clISt17integral_constantIbLb0EES12_IbLb1EEEEDaSY_SZ_EUlSY_E_NS1_11comp_targetILNS1_3genE2ELNS1_11target_archE906ELNS1_3gpuE6ELNS1_3repE0EEENS1_30default_config_static_selectorELNS0_4arch9wavefront6targetE1EEEvT1_,comdat
.Lfunc_end1676:
	.size	_ZN7rocprim17ROCPRIM_400000_NS6detail17trampoline_kernelINS0_14default_configENS1_27scan_by_key_config_selectorIijEEZZNS1_16scan_by_key_implILNS1_25lookback_scan_determinismE0ELb0ES3_N6thrust23THRUST_200600_302600_NS6detail15normal_iteratorINS9_10device_ptrIiEEEENSB_INSC_IjEEEENSB_INSC_IfEEEEjNS9_4plusIvEENS9_8equal_toIvEEjEE10hipError_tPvRmT2_T3_T4_T5_mT6_T7_P12ihipStream_tbENKUlT_T0_E_clISt17integral_constantIbLb0EES12_IbLb1EEEEDaSY_SZ_EUlSY_E_NS1_11comp_targetILNS1_3genE2ELNS1_11target_archE906ELNS1_3gpuE6ELNS1_3repE0EEENS1_30default_config_static_selectorELNS0_4arch9wavefront6targetE1EEEvT1_, .Lfunc_end1676-_ZN7rocprim17ROCPRIM_400000_NS6detail17trampoline_kernelINS0_14default_configENS1_27scan_by_key_config_selectorIijEEZZNS1_16scan_by_key_implILNS1_25lookback_scan_determinismE0ELb0ES3_N6thrust23THRUST_200600_302600_NS6detail15normal_iteratorINS9_10device_ptrIiEEEENSB_INSC_IjEEEENSB_INSC_IfEEEEjNS9_4plusIvEENS9_8equal_toIvEEjEE10hipError_tPvRmT2_T3_T4_T5_mT6_T7_P12ihipStream_tbENKUlT_T0_E_clISt17integral_constantIbLb0EES12_IbLb1EEEEDaSY_SZ_EUlSY_E_NS1_11comp_targetILNS1_3genE2ELNS1_11target_archE906ELNS1_3gpuE6ELNS1_3repE0EEENS1_30default_config_static_selectorELNS0_4arch9wavefront6targetE1EEEvT1_
                                        ; -- End function
	.section	.AMDGPU.csdata,"",@progbits
; Kernel info:
; codeLenInByte = 0
; NumSgprs: 4
; NumVgprs: 0
; NumAgprs: 0
; TotalNumVgprs: 0
; ScratchSize: 0
; MemoryBound: 0
; FloatMode: 240
; IeeeMode: 1
; LDSByteSize: 0 bytes/workgroup (compile time only)
; SGPRBlocks: 0
; VGPRBlocks: 0
; NumSGPRsForWavesPerEU: 4
; NumVGPRsForWavesPerEU: 1
; AccumOffset: 4
; Occupancy: 8
; WaveLimiterHint : 0
; COMPUTE_PGM_RSRC2:SCRATCH_EN: 0
; COMPUTE_PGM_RSRC2:USER_SGPR: 6
; COMPUTE_PGM_RSRC2:TRAP_HANDLER: 0
; COMPUTE_PGM_RSRC2:TGID_X_EN: 1
; COMPUTE_PGM_RSRC2:TGID_Y_EN: 0
; COMPUTE_PGM_RSRC2:TGID_Z_EN: 0
; COMPUTE_PGM_RSRC2:TIDIG_COMP_CNT: 0
; COMPUTE_PGM_RSRC3_GFX90A:ACCUM_OFFSET: 0
; COMPUTE_PGM_RSRC3_GFX90A:TG_SPLIT: 0
	.section	.text._ZN7rocprim17ROCPRIM_400000_NS6detail17trampoline_kernelINS0_14default_configENS1_27scan_by_key_config_selectorIijEEZZNS1_16scan_by_key_implILNS1_25lookback_scan_determinismE0ELb0ES3_N6thrust23THRUST_200600_302600_NS6detail15normal_iteratorINS9_10device_ptrIiEEEENSB_INSC_IjEEEENSB_INSC_IfEEEEjNS9_4plusIvEENS9_8equal_toIvEEjEE10hipError_tPvRmT2_T3_T4_T5_mT6_T7_P12ihipStream_tbENKUlT_T0_E_clISt17integral_constantIbLb0EES12_IbLb1EEEEDaSY_SZ_EUlSY_E_NS1_11comp_targetILNS1_3genE10ELNS1_11target_archE1200ELNS1_3gpuE4ELNS1_3repE0EEENS1_30default_config_static_selectorELNS0_4arch9wavefront6targetE1EEEvT1_,"axG",@progbits,_ZN7rocprim17ROCPRIM_400000_NS6detail17trampoline_kernelINS0_14default_configENS1_27scan_by_key_config_selectorIijEEZZNS1_16scan_by_key_implILNS1_25lookback_scan_determinismE0ELb0ES3_N6thrust23THRUST_200600_302600_NS6detail15normal_iteratorINS9_10device_ptrIiEEEENSB_INSC_IjEEEENSB_INSC_IfEEEEjNS9_4plusIvEENS9_8equal_toIvEEjEE10hipError_tPvRmT2_T3_T4_T5_mT6_T7_P12ihipStream_tbENKUlT_T0_E_clISt17integral_constantIbLb0EES12_IbLb1EEEEDaSY_SZ_EUlSY_E_NS1_11comp_targetILNS1_3genE10ELNS1_11target_archE1200ELNS1_3gpuE4ELNS1_3repE0EEENS1_30default_config_static_selectorELNS0_4arch9wavefront6targetE1EEEvT1_,comdat
	.protected	_ZN7rocprim17ROCPRIM_400000_NS6detail17trampoline_kernelINS0_14default_configENS1_27scan_by_key_config_selectorIijEEZZNS1_16scan_by_key_implILNS1_25lookback_scan_determinismE0ELb0ES3_N6thrust23THRUST_200600_302600_NS6detail15normal_iteratorINS9_10device_ptrIiEEEENSB_INSC_IjEEEENSB_INSC_IfEEEEjNS9_4plusIvEENS9_8equal_toIvEEjEE10hipError_tPvRmT2_T3_T4_T5_mT6_T7_P12ihipStream_tbENKUlT_T0_E_clISt17integral_constantIbLb0EES12_IbLb1EEEEDaSY_SZ_EUlSY_E_NS1_11comp_targetILNS1_3genE10ELNS1_11target_archE1200ELNS1_3gpuE4ELNS1_3repE0EEENS1_30default_config_static_selectorELNS0_4arch9wavefront6targetE1EEEvT1_ ; -- Begin function _ZN7rocprim17ROCPRIM_400000_NS6detail17trampoline_kernelINS0_14default_configENS1_27scan_by_key_config_selectorIijEEZZNS1_16scan_by_key_implILNS1_25lookback_scan_determinismE0ELb0ES3_N6thrust23THRUST_200600_302600_NS6detail15normal_iteratorINS9_10device_ptrIiEEEENSB_INSC_IjEEEENSB_INSC_IfEEEEjNS9_4plusIvEENS9_8equal_toIvEEjEE10hipError_tPvRmT2_T3_T4_T5_mT6_T7_P12ihipStream_tbENKUlT_T0_E_clISt17integral_constantIbLb0EES12_IbLb1EEEEDaSY_SZ_EUlSY_E_NS1_11comp_targetILNS1_3genE10ELNS1_11target_archE1200ELNS1_3gpuE4ELNS1_3repE0EEENS1_30default_config_static_selectorELNS0_4arch9wavefront6targetE1EEEvT1_
	.globl	_ZN7rocprim17ROCPRIM_400000_NS6detail17trampoline_kernelINS0_14default_configENS1_27scan_by_key_config_selectorIijEEZZNS1_16scan_by_key_implILNS1_25lookback_scan_determinismE0ELb0ES3_N6thrust23THRUST_200600_302600_NS6detail15normal_iteratorINS9_10device_ptrIiEEEENSB_INSC_IjEEEENSB_INSC_IfEEEEjNS9_4plusIvEENS9_8equal_toIvEEjEE10hipError_tPvRmT2_T3_T4_T5_mT6_T7_P12ihipStream_tbENKUlT_T0_E_clISt17integral_constantIbLb0EES12_IbLb1EEEEDaSY_SZ_EUlSY_E_NS1_11comp_targetILNS1_3genE10ELNS1_11target_archE1200ELNS1_3gpuE4ELNS1_3repE0EEENS1_30default_config_static_selectorELNS0_4arch9wavefront6targetE1EEEvT1_
	.p2align	8
	.type	_ZN7rocprim17ROCPRIM_400000_NS6detail17trampoline_kernelINS0_14default_configENS1_27scan_by_key_config_selectorIijEEZZNS1_16scan_by_key_implILNS1_25lookback_scan_determinismE0ELb0ES3_N6thrust23THRUST_200600_302600_NS6detail15normal_iteratorINS9_10device_ptrIiEEEENSB_INSC_IjEEEENSB_INSC_IfEEEEjNS9_4plusIvEENS9_8equal_toIvEEjEE10hipError_tPvRmT2_T3_T4_T5_mT6_T7_P12ihipStream_tbENKUlT_T0_E_clISt17integral_constantIbLb0EES12_IbLb1EEEEDaSY_SZ_EUlSY_E_NS1_11comp_targetILNS1_3genE10ELNS1_11target_archE1200ELNS1_3gpuE4ELNS1_3repE0EEENS1_30default_config_static_selectorELNS0_4arch9wavefront6targetE1EEEvT1_,@function
_ZN7rocprim17ROCPRIM_400000_NS6detail17trampoline_kernelINS0_14default_configENS1_27scan_by_key_config_selectorIijEEZZNS1_16scan_by_key_implILNS1_25lookback_scan_determinismE0ELb0ES3_N6thrust23THRUST_200600_302600_NS6detail15normal_iteratorINS9_10device_ptrIiEEEENSB_INSC_IjEEEENSB_INSC_IfEEEEjNS9_4plusIvEENS9_8equal_toIvEEjEE10hipError_tPvRmT2_T3_T4_T5_mT6_T7_P12ihipStream_tbENKUlT_T0_E_clISt17integral_constantIbLb0EES12_IbLb1EEEEDaSY_SZ_EUlSY_E_NS1_11comp_targetILNS1_3genE10ELNS1_11target_archE1200ELNS1_3gpuE4ELNS1_3repE0EEENS1_30default_config_static_selectorELNS0_4arch9wavefront6targetE1EEEvT1_: ; @_ZN7rocprim17ROCPRIM_400000_NS6detail17trampoline_kernelINS0_14default_configENS1_27scan_by_key_config_selectorIijEEZZNS1_16scan_by_key_implILNS1_25lookback_scan_determinismE0ELb0ES3_N6thrust23THRUST_200600_302600_NS6detail15normal_iteratorINS9_10device_ptrIiEEEENSB_INSC_IjEEEENSB_INSC_IfEEEEjNS9_4plusIvEENS9_8equal_toIvEEjEE10hipError_tPvRmT2_T3_T4_T5_mT6_T7_P12ihipStream_tbENKUlT_T0_E_clISt17integral_constantIbLb0EES12_IbLb1EEEEDaSY_SZ_EUlSY_E_NS1_11comp_targetILNS1_3genE10ELNS1_11target_archE1200ELNS1_3gpuE4ELNS1_3repE0EEENS1_30default_config_static_selectorELNS0_4arch9wavefront6targetE1EEEvT1_
; %bb.0:
	.section	.rodata,"a",@progbits
	.p2align	6, 0x0
	.amdhsa_kernel _ZN7rocprim17ROCPRIM_400000_NS6detail17trampoline_kernelINS0_14default_configENS1_27scan_by_key_config_selectorIijEEZZNS1_16scan_by_key_implILNS1_25lookback_scan_determinismE0ELb0ES3_N6thrust23THRUST_200600_302600_NS6detail15normal_iteratorINS9_10device_ptrIiEEEENSB_INSC_IjEEEENSB_INSC_IfEEEEjNS9_4plusIvEENS9_8equal_toIvEEjEE10hipError_tPvRmT2_T3_T4_T5_mT6_T7_P12ihipStream_tbENKUlT_T0_E_clISt17integral_constantIbLb0EES12_IbLb1EEEEDaSY_SZ_EUlSY_E_NS1_11comp_targetILNS1_3genE10ELNS1_11target_archE1200ELNS1_3gpuE4ELNS1_3repE0EEENS1_30default_config_static_selectorELNS0_4arch9wavefront6targetE1EEEvT1_
		.amdhsa_group_segment_fixed_size 0
		.amdhsa_private_segment_fixed_size 0
		.amdhsa_kernarg_size 112
		.amdhsa_user_sgpr_count 6
		.amdhsa_user_sgpr_private_segment_buffer 1
		.amdhsa_user_sgpr_dispatch_ptr 0
		.amdhsa_user_sgpr_queue_ptr 0
		.amdhsa_user_sgpr_kernarg_segment_ptr 1
		.amdhsa_user_sgpr_dispatch_id 0
		.amdhsa_user_sgpr_flat_scratch_init 0
		.amdhsa_user_sgpr_kernarg_preload_length 0
		.amdhsa_user_sgpr_kernarg_preload_offset 0
		.amdhsa_user_sgpr_private_segment_size 0
		.amdhsa_uses_dynamic_stack 0
		.amdhsa_system_sgpr_private_segment_wavefront_offset 0
		.amdhsa_system_sgpr_workgroup_id_x 1
		.amdhsa_system_sgpr_workgroup_id_y 0
		.amdhsa_system_sgpr_workgroup_id_z 0
		.amdhsa_system_sgpr_workgroup_info 0
		.amdhsa_system_vgpr_workitem_id 0
		.amdhsa_next_free_vgpr 1
		.amdhsa_next_free_sgpr 0
		.amdhsa_accum_offset 4
		.amdhsa_reserve_vcc 0
		.amdhsa_reserve_flat_scratch 0
		.amdhsa_float_round_mode_32 0
		.amdhsa_float_round_mode_16_64 0
		.amdhsa_float_denorm_mode_32 3
		.amdhsa_float_denorm_mode_16_64 3
		.amdhsa_dx10_clamp 1
		.amdhsa_ieee_mode 1
		.amdhsa_fp16_overflow 0
		.amdhsa_tg_split 0
		.amdhsa_exception_fp_ieee_invalid_op 0
		.amdhsa_exception_fp_denorm_src 0
		.amdhsa_exception_fp_ieee_div_zero 0
		.amdhsa_exception_fp_ieee_overflow 0
		.amdhsa_exception_fp_ieee_underflow 0
		.amdhsa_exception_fp_ieee_inexact 0
		.amdhsa_exception_int_div_zero 0
	.end_amdhsa_kernel
	.section	.text._ZN7rocprim17ROCPRIM_400000_NS6detail17trampoline_kernelINS0_14default_configENS1_27scan_by_key_config_selectorIijEEZZNS1_16scan_by_key_implILNS1_25lookback_scan_determinismE0ELb0ES3_N6thrust23THRUST_200600_302600_NS6detail15normal_iteratorINS9_10device_ptrIiEEEENSB_INSC_IjEEEENSB_INSC_IfEEEEjNS9_4plusIvEENS9_8equal_toIvEEjEE10hipError_tPvRmT2_T3_T4_T5_mT6_T7_P12ihipStream_tbENKUlT_T0_E_clISt17integral_constantIbLb0EES12_IbLb1EEEEDaSY_SZ_EUlSY_E_NS1_11comp_targetILNS1_3genE10ELNS1_11target_archE1200ELNS1_3gpuE4ELNS1_3repE0EEENS1_30default_config_static_selectorELNS0_4arch9wavefront6targetE1EEEvT1_,"axG",@progbits,_ZN7rocprim17ROCPRIM_400000_NS6detail17trampoline_kernelINS0_14default_configENS1_27scan_by_key_config_selectorIijEEZZNS1_16scan_by_key_implILNS1_25lookback_scan_determinismE0ELb0ES3_N6thrust23THRUST_200600_302600_NS6detail15normal_iteratorINS9_10device_ptrIiEEEENSB_INSC_IjEEEENSB_INSC_IfEEEEjNS9_4plusIvEENS9_8equal_toIvEEjEE10hipError_tPvRmT2_T3_T4_T5_mT6_T7_P12ihipStream_tbENKUlT_T0_E_clISt17integral_constantIbLb0EES12_IbLb1EEEEDaSY_SZ_EUlSY_E_NS1_11comp_targetILNS1_3genE10ELNS1_11target_archE1200ELNS1_3gpuE4ELNS1_3repE0EEENS1_30default_config_static_selectorELNS0_4arch9wavefront6targetE1EEEvT1_,comdat
.Lfunc_end1677:
	.size	_ZN7rocprim17ROCPRIM_400000_NS6detail17trampoline_kernelINS0_14default_configENS1_27scan_by_key_config_selectorIijEEZZNS1_16scan_by_key_implILNS1_25lookback_scan_determinismE0ELb0ES3_N6thrust23THRUST_200600_302600_NS6detail15normal_iteratorINS9_10device_ptrIiEEEENSB_INSC_IjEEEENSB_INSC_IfEEEEjNS9_4plusIvEENS9_8equal_toIvEEjEE10hipError_tPvRmT2_T3_T4_T5_mT6_T7_P12ihipStream_tbENKUlT_T0_E_clISt17integral_constantIbLb0EES12_IbLb1EEEEDaSY_SZ_EUlSY_E_NS1_11comp_targetILNS1_3genE10ELNS1_11target_archE1200ELNS1_3gpuE4ELNS1_3repE0EEENS1_30default_config_static_selectorELNS0_4arch9wavefront6targetE1EEEvT1_, .Lfunc_end1677-_ZN7rocprim17ROCPRIM_400000_NS6detail17trampoline_kernelINS0_14default_configENS1_27scan_by_key_config_selectorIijEEZZNS1_16scan_by_key_implILNS1_25lookback_scan_determinismE0ELb0ES3_N6thrust23THRUST_200600_302600_NS6detail15normal_iteratorINS9_10device_ptrIiEEEENSB_INSC_IjEEEENSB_INSC_IfEEEEjNS9_4plusIvEENS9_8equal_toIvEEjEE10hipError_tPvRmT2_T3_T4_T5_mT6_T7_P12ihipStream_tbENKUlT_T0_E_clISt17integral_constantIbLb0EES12_IbLb1EEEEDaSY_SZ_EUlSY_E_NS1_11comp_targetILNS1_3genE10ELNS1_11target_archE1200ELNS1_3gpuE4ELNS1_3repE0EEENS1_30default_config_static_selectorELNS0_4arch9wavefront6targetE1EEEvT1_
                                        ; -- End function
	.section	.AMDGPU.csdata,"",@progbits
; Kernel info:
; codeLenInByte = 0
; NumSgprs: 4
; NumVgprs: 0
; NumAgprs: 0
; TotalNumVgprs: 0
; ScratchSize: 0
; MemoryBound: 0
; FloatMode: 240
; IeeeMode: 1
; LDSByteSize: 0 bytes/workgroup (compile time only)
; SGPRBlocks: 0
; VGPRBlocks: 0
; NumSGPRsForWavesPerEU: 4
; NumVGPRsForWavesPerEU: 1
; AccumOffset: 4
; Occupancy: 8
; WaveLimiterHint : 0
; COMPUTE_PGM_RSRC2:SCRATCH_EN: 0
; COMPUTE_PGM_RSRC2:USER_SGPR: 6
; COMPUTE_PGM_RSRC2:TRAP_HANDLER: 0
; COMPUTE_PGM_RSRC2:TGID_X_EN: 1
; COMPUTE_PGM_RSRC2:TGID_Y_EN: 0
; COMPUTE_PGM_RSRC2:TGID_Z_EN: 0
; COMPUTE_PGM_RSRC2:TIDIG_COMP_CNT: 0
; COMPUTE_PGM_RSRC3_GFX90A:ACCUM_OFFSET: 0
; COMPUTE_PGM_RSRC3_GFX90A:TG_SPLIT: 0
	.section	.text._ZN7rocprim17ROCPRIM_400000_NS6detail17trampoline_kernelINS0_14default_configENS1_27scan_by_key_config_selectorIijEEZZNS1_16scan_by_key_implILNS1_25lookback_scan_determinismE0ELb0ES3_N6thrust23THRUST_200600_302600_NS6detail15normal_iteratorINS9_10device_ptrIiEEEENSB_INSC_IjEEEENSB_INSC_IfEEEEjNS9_4plusIvEENS9_8equal_toIvEEjEE10hipError_tPvRmT2_T3_T4_T5_mT6_T7_P12ihipStream_tbENKUlT_T0_E_clISt17integral_constantIbLb0EES12_IbLb1EEEEDaSY_SZ_EUlSY_E_NS1_11comp_targetILNS1_3genE9ELNS1_11target_archE1100ELNS1_3gpuE3ELNS1_3repE0EEENS1_30default_config_static_selectorELNS0_4arch9wavefront6targetE1EEEvT1_,"axG",@progbits,_ZN7rocprim17ROCPRIM_400000_NS6detail17trampoline_kernelINS0_14default_configENS1_27scan_by_key_config_selectorIijEEZZNS1_16scan_by_key_implILNS1_25lookback_scan_determinismE0ELb0ES3_N6thrust23THRUST_200600_302600_NS6detail15normal_iteratorINS9_10device_ptrIiEEEENSB_INSC_IjEEEENSB_INSC_IfEEEEjNS9_4plusIvEENS9_8equal_toIvEEjEE10hipError_tPvRmT2_T3_T4_T5_mT6_T7_P12ihipStream_tbENKUlT_T0_E_clISt17integral_constantIbLb0EES12_IbLb1EEEEDaSY_SZ_EUlSY_E_NS1_11comp_targetILNS1_3genE9ELNS1_11target_archE1100ELNS1_3gpuE3ELNS1_3repE0EEENS1_30default_config_static_selectorELNS0_4arch9wavefront6targetE1EEEvT1_,comdat
	.protected	_ZN7rocprim17ROCPRIM_400000_NS6detail17trampoline_kernelINS0_14default_configENS1_27scan_by_key_config_selectorIijEEZZNS1_16scan_by_key_implILNS1_25lookback_scan_determinismE0ELb0ES3_N6thrust23THRUST_200600_302600_NS6detail15normal_iteratorINS9_10device_ptrIiEEEENSB_INSC_IjEEEENSB_INSC_IfEEEEjNS9_4plusIvEENS9_8equal_toIvEEjEE10hipError_tPvRmT2_T3_T4_T5_mT6_T7_P12ihipStream_tbENKUlT_T0_E_clISt17integral_constantIbLb0EES12_IbLb1EEEEDaSY_SZ_EUlSY_E_NS1_11comp_targetILNS1_3genE9ELNS1_11target_archE1100ELNS1_3gpuE3ELNS1_3repE0EEENS1_30default_config_static_selectorELNS0_4arch9wavefront6targetE1EEEvT1_ ; -- Begin function _ZN7rocprim17ROCPRIM_400000_NS6detail17trampoline_kernelINS0_14default_configENS1_27scan_by_key_config_selectorIijEEZZNS1_16scan_by_key_implILNS1_25lookback_scan_determinismE0ELb0ES3_N6thrust23THRUST_200600_302600_NS6detail15normal_iteratorINS9_10device_ptrIiEEEENSB_INSC_IjEEEENSB_INSC_IfEEEEjNS9_4plusIvEENS9_8equal_toIvEEjEE10hipError_tPvRmT2_T3_T4_T5_mT6_T7_P12ihipStream_tbENKUlT_T0_E_clISt17integral_constantIbLb0EES12_IbLb1EEEEDaSY_SZ_EUlSY_E_NS1_11comp_targetILNS1_3genE9ELNS1_11target_archE1100ELNS1_3gpuE3ELNS1_3repE0EEENS1_30default_config_static_selectorELNS0_4arch9wavefront6targetE1EEEvT1_
	.globl	_ZN7rocprim17ROCPRIM_400000_NS6detail17trampoline_kernelINS0_14default_configENS1_27scan_by_key_config_selectorIijEEZZNS1_16scan_by_key_implILNS1_25lookback_scan_determinismE0ELb0ES3_N6thrust23THRUST_200600_302600_NS6detail15normal_iteratorINS9_10device_ptrIiEEEENSB_INSC_IjEEEENSB_INSC_IfEEEEjNS9_4plusIvEENS9_8equal_toIvEEjEE10hipError_tPvRmT2_T3_T4_T5_mT6_T7_P12ihipStream_tbENKUlT_T0_E_clISt17integral_constantIbLb0EES12_IbLb1EEEEDaSY_SZ_EUlSY_E_NS1_11comp_targetILNS1_3genE9ELNS1_11target_archE1100ELNS1_3gpuE3ELNS1_3repE0EEENS1_30default_config_static_selectorELNS0_4arch9wavefront6targetE1EEEvT1_
	.p2align	8
	.type	_ZN7rocprim17ROCPRIM_400000_NS6detail17trampoline_kernelINS0_14default_configENS1_27scan_by_key_config_selectorIijEEZZNS1_16scan_by_key_implILNS1_25lookback_scan_determinismE0ELb0ES3_N6thrust23THRUST_200600_302600_NS6detail15normal_iteratorINS9_10device_ptrIiEEEENSB_INSC_IjEEEENSB_INSC_IfEEEEjNS9_4plusIvEENS9_8equal_toIvEEjEE10hipError_tPvRmT2_T3_T4_T5_mT6_T7_P12ihipStream_tbENKUlT_T0_E_clISt17integral_constantIbLb0EES12_IbLb1EEEEDaSY_SZ_EUlSY_E_NS1_11comp_targetILNS1_3genE9ELNS1_11target_archE1100ELNS1_3gpuE3ELNS1_3repE0EEENS1_30default_config_static_selectorELNS0_4arch9wavefront6targetE1EEEvT1_,@function
_ZN7rocprim17ROCPRIM_400000_NS6detail17trampoline_kernelINS0_14default_configENS1_27scan_by_key_config_selectorIijEEZZNS1_16scan_by_key_implILNS1_25lookback_scan_determinismE0ELb0ES3_N6thrust23THRUST_200600_302600_NS6detail15normal_iteratorINS9_10device_ptrIiEEEENSB_INSC_IjEEEENSB_INSC_IfEEEEjNS9_4plusIvEENS9_8equal_toIvEEjEE10hipError_tPvRmT2_T3_T4_T5_mT6_T7_P12ihipStream_tbENKUlT_T0_E_clISt17integral_constantIbLb0EES12_IbLb1EEEEDaSY_SZ_EUlSY_E_NS1_11comp_targetILNS1_3genE9ELNS1_11target_archE1100ELNS1_3gpuE3ELNS1_3repE0EEENS1_30default_config_static_selectorELNS0_4arch9wavefront6targetE1EEEvT1_: ; @_ZN7rocprim17ROCPRIM_400000_NS6detail17trampoline_kernelINS0_14default_configENS1_27scan_by_key_config_selectorIijEEZZNS1_16scan_by_key_implILNS1_25lookback_scan_determinismE0ELb0ES3_N6thrust23THRUST_200600_302600_NS6detail15normal_iteratorINS9_10device_ptrIiEEEENSB_INSC_IjEEEENSB_INSC_IfEEEEjNS9_4plusIvEENS9_8equal_toIvEEjEE10hipError_tPvRmT2_T3_T4_T5_mT6_T7_P12ihipStream_tbENKUlT_T0_E_clISt17integral_constantIbLb0EES12_IbLb1EEEEDaSY_SZ_EUlSY_E_NS1_11comp_targetILNS1_3genE9ELNS1_11target_archE1100ELNS1_3gpuE3ELNS1_3repE0EEENS1_30default_config_static_selectorELNS0_4arch9wavefront6targetE1EEEvT1_
; %bb.0:
	.section	.rodata,"a",@progbits
	.p2align	6, 0x0
	.amdhsa_kernel _ZN7rocprim17ROCPRIM_400000_NS6detail17trampoline_kernelINS0_14default_configENS1_27scan_by_key_config_selectorIijEEZZNS1_16scan_by_key_implILNS1_25lookback_scan_determinismE0ELb0ES3_N6thrust23THRUST_200600_302600_NS6detail15normal_iteratorINS9_10device_ptrIiEEEENSB_INSC_IjEEEENSB_INSC_IfEEEEjNS9_4plusIvEENS9_8equal_toIvEEjEE10hipError_tPvRmT2_T3_T4_T5_mT6_T7_P12ihipStream_tbENKUlT_T0_E_clISt17integral_constantIbLb0EES12_IbLb1EEEEDaSY_SZ_EUlSY_E_NS1_11comp_targetILNS1_3genE9ELNS1_11target_archE1100ELNS1_3gpuE3ELNS1_3repE0EEENS1_30default_config_static_selectorELNS0_4arch9wavefront6targetE1EEEvT1_
		.amdhsa_group_segment_fixed_size 0
		.amdhsa_private_segment_fixed_size 0
		.amdhsa_kernarg_size 112
		.amdhsa_user_sgpr_count 6
		.amdhsa_user_sgpr_private_segment_buffer 1
		.amdhsa_user_sgpr_dispatch_ptr 0
		.amdhsa_user_sgpr_queue_ptr 0
		.amdhsa_user_sgpr_kernarg_segment_ptr 1
		.amdhsa_user_sgpr_dispatch_id 0
		.amdhsa_user_sgpr_flat_scratch_init 0
		.amdhsa_user_sgpr_kernarg_preload_length 0
		.amdhsa_user_sgpr_kernarg_preload_offset 0
		.amdhsa_user_sgpr_private_segment_size 0
		.amdhsa_uses_dynamic_stack 0
		.amdhsa_system_sgpr_private_segment_wavefront_offset 0
		.amdhsa_system_sgpr_workgroup_id_x 1
		.amdhsa_system_sgpr_workgroup_id_y 0
		.amdhsa_system_sgpr_workgroup_id_z 0
		.amdhsa_system_sgpr_workgroup_info 0
		.amdhsa_system_vgpr_workitem_id 0
		.amdhsa_next_free_vgpr 1
		.amdhsa_next_free_sgpr 0
		.amdhsa_accum_offset 4
		.amdhsa_reserve_vcc 0
		.amdhsa_reserve_flat_scratch 0
		.amdhsa_float_round_mode_32 0
		.amdhsa_float_round_mode_16_64 0
		.amdhsa_float_denorm_mode_32 3
		.amdhsa_float_denorm_mode_16_64 3
		.amdhsa_dx10_clamp 1
		.amdhsa_ieee_mode 1
		.amdhsa_fp16_overflow 0
		.amdhsa_tg_split 0
		.amdhsa_exception_fp_ieee_invalid_op 0
		.amdhsa_exception_fp_denorm_src 0
		.amdhsa_exception_fp_ieee_div_zero 0
		.amdhsa_exception_fp_ieee_overflow 0
		.amdhsa_exception_fp_ieee_underflow 0
		.amdhsa_exception_fp_ieee_inexact 0
		.amdhsa_exception_int_div_zero 0
	.end_amdhsa_kernel
	.section	.text._ZN7rocprim17ROCPRIM_400000_NS6detail17trampoline_kernelINS0_14default_configENS1_27scan_by_key_config_selectorIijEEZZNS1_16scan_by_key_implILNS1_25lookback_scan_determinismE0ELb0ES3_N6thrust23THRUST_200600_302600_NS6detail15normal_iteratorINS9_10device_ptrIiEEEENSB_INSC_IjEEEENSB_INSC_IfEEEEjNS9_4plusIvEENS9_8equal_toIvEEjEE10hipError_tPvRmT2_T3_T4_T5_mT6_T7_P12ihipStream_tbENKUlT_T0_E_clISt17integral_constantIbLb0EES12_IbLb1EEEEDaSY_SZ_EUlSY_E_NS1_11comp_targetILNS1_3genE9ELNS1_11target_archE1100ELNS1_3gpuE3ELNS1_3repE0EEENS1_30default_config_static_selectorELNS0_4arch9wavefront6targetE1EEEvT1_,"axG",@progbits,_ZN7rocprim17ROCPRIM_400000_NS6detail17trampoline_kernelINS0_14default_configENS1_27scan_by_key_config_selectorIijEEZZNS1_16scan_by_key_implILNS1_25lookback_scan_determinismE0ELb0ES3_N6thrust23THRUST_200600_302600_NS6detail15normal_iteratorINS9_10device_ptrIiEEEENSB_INSC_IjEEEENSB_INSC_IfEEEEjNS9_4plusIvEENS9_8equal_toIvEEjEE10hipError_tPvRmT2_T3_T4_T5_mT6_T7_P12ihipStream_tbENKUlT_T0_E_clISt17integral_constantIbLb0EES12_IbLb1EEEEDaSY_SZ_EUlSY_E_NS1_11comp_targetILNS1_3genE9ELNS1_11target_archE1100ELNS1_3gpuE3ELNS1_3repE0EEENS1_30default_config_static_selectorELNS0_4arch9wavefront6targetE1EEEvT1_,comdat
.Lfunc_end1678:
	.size	_ZN7rocprim17ROCPRIM_400000_NS6detail17trampoline_kernelINS0_14default_configENS1_27scan_by_key_config_selectorIijEEZZNS1_16scan_by_key_implILNS1_25lookback_scan_determinismE0ELb0ES3_N6thrust23THRUST_200600_302600_NS6detail15normal_iteratorINS9_10device_ptrIiEEEENSB_INSC_IjEEEENSB_INSC_IfEEEEjNS9_4plusIvEENS9_8equal_toIvEEjEE10hipError_tPvRmT2_T3_T4_T5_mT6_T7_P12ihipStream_tbENKUlT_T0_E_clISt17integral_constantIbLb0EES12_IbLb1EEEEDaSY_SZ_EUlSY_E_NS1_11comp_targetILNS1_3genE9ELNS1_11target_archE1100ELNS1_3gpuE3ELNS1_3repE0EEENS1_30default_config_static_selectorELNS0_4arch9wavefront6targetE1EEEvT1_, .Lfunc_end1678-_ZN7rocprim17ROCPRIM_400000_NS6detail17trampoline_kernelINS0_14default_configENS1_27scan_by_key_config_selectorIijEEZZNS1_16scan_by_key_implILNS1_25lookback_scan_determinismE0ELb0ES3_N6thrust23THRUST_200600_302600_NS6detail15normal_iteratorINS9_10device_ptrIiEEEENSB_INSC_IjEEEENSB_INSC_IfEEEEjNS9_4plusIvEENS9_8equal_toIvEEjEE10hipError_tPvRmT2_T3_T4_T5_mT6_T7_P12ihipStream_tbENKUlT_T0_E_clISt17integral_constantIbLb0EES12_IbLb1EEEEDaSY_SZ_EUlSY_E_NS1_11comp_targetILNS1_3genE9ELNS1_11target_archE1100ELNS1_3gpuE3ELNS1_3repE0EEENS1_30default_config_static_selectorELNS0_4arch9wavefront6targetE1EEEvT1_
                                        ; -- End function
	.section	.AMDGPU.csdata,"",@progbits
; Kernel info:
; codeLenInByte = 0
; NumSgprs: 4
; NumVgprs: 0
; NumAgprs: 0
; TotalNumVgprs: 0
; ScratchSize: 0
; MemoryBound: 0
; FloatMode: 240
; IeeeMode: 1
; LDSByteSize: 0 bytes/workgroup (compile time only)
; SGPRBlocks: 0
; VGPRBlocks: 0
; NumSGPRsForWavesPerEU: 4
; NumVGPRsForWavesPerEU: 1
; AccumOffset: 4
; Occupancy: 8
; WaveLimiterHint : 0
; COMPUTE_PGM_RSRC2:SCRATCH_EN: 0
; COMPUTE_PGM_RSRC2:USER_SGPR: 6
; COMPUTE_PGM_RSRC2:TRAP_HANDLER: 0
; COMPUTE_PGM_RSRC2:TGID_X_EN: 1
; COMPUTE_PGM_RSRC2:TGID_Y_EN: 0
; COMPUTE_PGM_RSRC2:TGID_Z_EN: 0
; COMPUTE_PGM_RSRC2:TIDIG_COMP_CNT: 0
; COMPUTE_PGM_RSRC3_GFX90A:ACCUM_OFFSET: 0
; COMPUTE_PGM_RSRC3_GFX90A:TG_SPLIT: 0
	.section	.text._ZN7rocprim17ROCPRIM_400000_NS6detail17trampoline_kernelINS0_14default_configENS1_27scan_by_key_config_selectorIijEEZZNS1_16scan_by_key_implILNS1_25lookback_scan_determinismE0ELb0ES3_N6thrust23THRUST_200600_302600_NS6detail15normal_iteratorINS9_10device_ptrIiEEEENSB_INSC_IjEEEENSB_INSC_IfEEEEjNS9_4plusIvEENS9_8equal_toIvEEjEE10hipError_tPvRmT2_T3_T4_T5_mT6_T7_P12ihipStream_tbENKUlT_T0_E_clISt17integral_constantIbLb0EES12_IbLb1EEEEDaSY_SZ_EUlSY_E_NS1_11comp_targetILNS1_3genE8ELNS1_11target_archE1030ELNS1_3gpuE2ELNS1_3repE0EEENS1_30default_config_static_selectorELNS0_4arch9wavefront6targetE1EEEvT1_,"axG",@progbits,_ZN7rocprim17ROCPRIM_400000_NS6detail17trampoline_kernelINS0_14default_configENS1_27scan_by_key_config_selectorIijEEZZNS1_16scan_by_key_implILNS1_25lookback_scan_determinismE0ELb0ES3_N6thrust23THRUST_200600_302600_NS6detail15normal_iteratorINS9_10device_ptrIiEEEENSB_INSC_IjEEEENSB_INSC_IfEEEEjNS9_4plusIvEENS9_8equal_toIvEEjEE10hipError_tPvRmT2_T3_T4_T5_mT6_T7_P12ihipStream_tbENKUlT_T0_E_clISt17integral_constantIbLb0EES12_IbLb1EEEEDaSY_SZ_EUlSY_E_NS1_11comp_targetILNS1_3genE8ELNS1_11target_archE1030ELNS1_3gpuE2ELNS1_3repE0EEENS1_30default_config_static_selectorELNS0_4arch9wavefront6targetE1EEEvT1_,comdat
	.protected	_ZN7rocprim17ROCPRIM_400000_NS6detail17trampoline_kernelINS0_14default_configENS1_27scan_by_key_config_selectorIijEEZZNS1_16scan_by_key_implILNS1_25lookback_scan_determinismE0ELb0ES3_N6thrust23THRUST_200600_302600_NS6detail15normal_iteratorINS9_10device_ptrIiEEEENSB_INSC_IjEEEENSB_INSC_IfEEEEjNS9_4plusIvEENS9_8equal_toIvEEjEE10hipError_tPvRmT2_T3_T4_T5_mT6_T7_P12ihipStream_tbENKUlT_T0_E_clISt17integral_constantIbLb0EES12_IbLb1EEEEDaSY_SZ_EUlSY_E_NS1_11comp_targetILNS1_3genE8ELNS1_11target_archE1030ELNS1_3gpuE2ELNS1_3repE0EEENS1_30default_config_static_selectorELNS0_4arch9wavefront6targetE1EEEvT1_ ; -- Begin function _ZN7rocprim17ROCPRIM_400000_NS6detail17trampoline_kernelINS0_14default_configENS1_27scan_by_key_config_selectorIijEEZZNS1_16scan_by_key_implILNS1_25lookback_scan_determinismE0ELb0ES3_N6thrust23THRUST_200600_302600_NS6detail15normal_iteratorINS9_10device_ptrIiEEEENSB_INSC_IjEEEENSB_INSC_IfEEEEjNS9_4plusIvEENS9_8equal_toIvEEjEE10hipError_tPvRmT2_T3_T4_T5_mT6_T7_P12ihipStream_tbENKUlT_T0_E_clISt17integral_constantIbLb0EES12_IbLb1EEEEDaSY_SZ_EUlSY_E_NS1_11comp_targetILNS1_3genE8ELNS1_11target_archE1030ELNS1_3gpuE2ELNS1_3repE0EEENS1_30default_config_static_selectorELNS0_4arch9wavefront6targetE1EEEvT1_
	.globl	_ZN7rocprim17ROCPRIM_400000_NS6detail17trampoline_kernelINS0_14default_configENS1_27scan_by_key_config_selectorIijEEZZNS1_16scan_by_key_implILNS1_25lookback_scan_determinismE0ELb0ES3_N6thrust23THRUST_200600_302600_NS6detail15normal_iteratorINS9_10device_ptrIiEEEENSB_INSC_IjEEEENSB_INSC_IfEEEEjNS9_4plusIvEENS9_8equal_toIvEEjEE10hipError_tPvRmT2_T3_T4_T5_mT6_T7_P12ihipStream_tbENKUlT_T0_E_clISt17integral_constantIbLb0EES12_IbLb1EEEEDaSY_SZ_EUlSY_E_NS1_11comp_targetILNS1_3genE8ELNS1_11target_archE1030ELNS1_3gpuE2ELNS1_3repE0EEENS1_30default_config_static_selectorELNS0_4arch9wavefront6targetE1EEEvT1_
	.p2align	8
	.type	_ZN7rocprim17ROCPRIM_400000_NS6detail17trampoline_kernelINS0_14default_configENS1_27scan_by_key_config_selectorIijEEZZNS1_16scan_by_key_implILNS1_25lookback_scan_determinismE0ELb0ES3_N6thrust23THRUST_200600_302600_NS6detail15normal_iteratorINS9_10device_ptrIiEEEENSB_INSC_IjEEEENSB_INSC_IfEEEEjNS9_4plusIvEENS9_8equal_toIvEEjEE10hipError_tPvRmT2_T3_T4_T5_mT6_T7_P12ihipStream_tbENKUlT_T0_E_clISt17integral_constantIbLb0EES12_IbLb1EEEEDaSY_SZ_EUlSY_E_NS1_11comp_targetILNS1_3genE8ELNS1_11target_archE1030ELNS1_3gpuE2ELNS1_3repE0EEENS1_30default_config_static_selectorELNS0_4arch9wavefront6targetE1EEEvT1_,@function
_ZN7rocprim17ROCPRIM_400000_NS6detail17trampoline_kernelINS0_14default_configENS1_27scan_by_key_config_selectorIijEEZZNS1_16scan_by_key_implILNS1_25lookback_scan_determinismE0ELb0ES3_N6thrust23THRUST_200600_302600_NS6detail15normal_iteratorINS9_10device_ptrIiEEEENSB_INSC_IjEEEENSB_INSC_IfEEEEjNS9_4plusIvEENS9_8equal_toIvEEjEE10hipError_tPvRmT2_T3_T4_T5_mT6_T7_P12ihipStream_tbENKUlT_T0_E_clISt17integral_constantIbLb0EES12_IbLb1EEEEDaSY_SZ_EUlSY_E_NS1_11comp_targetILNS1_3genE8ELNS1_11target_archE1030ELNS1_3gpuE2ELNS1_3repE0EEENS1_30default_config_static_selectorELNS0_4arch9wavefront6targetE1EEEvT1_: ; @_ZN7rocprim17ROCPRIM_400000_NS6detail17trampoline_kernelINS0_14default_configENS1_27scan_by_key_config_selectorIijEEZZNS1_16scan_by_key_implILNS1_25lookback_scan_determinismE0ELb0ES3_N6thrust23THRUST_200600_302600_NS6detail15normal_iteratorINS9_10device_ptrIiEEEENSB_INSC_IjEEEENSB_INSC_IfEEEEjNS9_4plusIvEENS9_8equal_toIvEEjEE10hipError_tPvRmT2_T3_T4_T5_mT6_T7_P12ihipStream_tbENKUlT_T0_E_clISt17integral_constantIbLb0EES12_IbLb1EEEEDaSY_SZ_EUlSY_E_NS1_11comp_targetILNS1_3genE8ELNS1_11target_archE1030ELNS1_3gpuE2ELNS1_3repE0EEENS1_30default_config_static_selectorELNS0_4arch9wavefront6targetE1EEEvT1_
; %bb.0:
	.section	.rodata,"a",@progbits
	.p2align	6, 0x0
	.amdhsa_kernel _ZN7rocprim17ROCPRIM_400000_NS6detail17trampoline_kernelINS0_14default_configENS1_27scan_by_key_config_selectorIijEEZZNS1_16scan_by_key_implILNS1_25lookback_scan_determinismE0ELb0ES3_N6thrust23THRUST_200600_302600_NS6detail15normal_iteratorINS9_10device_ptrIiEEEENSB_INSC_IjEEEENSB_INSC_IfEEEEjNS9_4plusIvEENS9_8equal_toIvEEjEE10hipError_tPvRmT2_T3_T4_T5_mT6_T7_P12ihipStream_tbENKUlT_T0_E_clISt17integral_constantIbLb0EES12_IbLb1EEEEDaSY_SZ_EUlSY_E_NS1_11comp_targetILNS1_3genE8ELNS1_11target_archE1030ELNS1_3gpuE2ELNS1_3repE0EEENS1_30default_config_static_selectorELNS0_4arch9wavefront6targetE1EEEvT1_
		.amdhsa_group_segment_fixed_size 0
		.amdhsa_private_segment_fixed_size 0
		.amdhsa_kernarg_size 112
		.amdhsa_user_sgpr_count 6
		.amdhsa_user_sgpr_private_segment_buffer 1
		.amdhsa_user_sgpr_dispatch_ptr 0
		.amdhsa_user_sgpr_queue_ptr 0
		.amdhsa_user_sgpr_kernarg_segment_ptr 1
		.amdhsa_user_sgpr_dispatch_id 0
		.amdhsa_user_sgpr_flat_scratch_init 0
		.amdhsa_user_sgpr_kernarg_preload_length 0
		.amdhsa_user_sgpr_kernarg_preload_offset 0
		.amdhsa_user_sgpr_private_segment_size 0
		.amdhsa_uses_dynamic_stack 0
		.amdhsa_system_sgpr_private_segment_wavefront_offset 0
		.amdhsa_system_sgpr_workgroup_id_x 1
		.amdhsa_system_sgpr_workgroup_id_y 0
		.amdhsa_system_sgpr_workgroup_id_z 0
		.amdhsa_system_sgpr_workgroup_info 0
		.amdhsa_system_vgpr_workitem_id 0
		.amdhsa_next_free_vgpr 1
		.amdhsa_next_free_sgpr 0
		.amdhsa_accum_offset 4
		.amdhsa_reserve_vcc 0
		.amdhsa_reserve_flat_scratch 0
		.amdhsa_float_round_mode_32 0
		.amdhsa_float_round_mode_16_64 0
		.amdhsa_float_denorm_mode_32 3
		.amdhsa_float_denorm_mode_16_64 3
		.amdhsa_dx10_clamp 1
		.amdhsa_ieee_mode 1
		.amdhsa_fp16_overflow 0
		.amdhsa_tg_split 0
		.amdhsa_exception_fp_ieee_invalid_op 0
		.amdhsa_exception_fp_denorm_src 0
		.amdhsa_exception_fp_ieee_div_zero 0
		.amdhsa_exception_fp_ieee_overflow 0
		.amdhsa_exception_fp_ieee_underflow 0
		.amdhsa_exception_fp_ieee_inexact 0
		.amdhsa_exception_int_div_zero 0
	.end_amdhsa_kernel
	.section	.text._ZN7rocprim17ROCPRIM_400000_NS6detail17trampoline_kernelINS0_14default_configENS1_27scan_by_key_config_selectorIijEEZZNS1_16scan_by_key_implILNS1_25lookback_scan_determinismE0ELb0ES3_N6thrust23THRUST_200600_302600_NS6detail15normal_iteratorINS9_10device_ptrIiEEEENSB_INSC_IjEEEENSB_INSC_IfEEEEjNS9_4plusIvEENS9_8equal_toIvEEjEE10hipError_tPvRmT2_T3_T4_T5_mT6_T7_P12ihipStream_tbENKUlT_T0_E_clISt17integral_constantIbLb0EES12_IbLb1EEEEDaSY_SZ_EUlSY_E_NS1_11comp_targetILNS1_3genE8ELNS1_11target_archE1030ELNS1_3gpuE2ELNS1_3repE0EEENS1_30default_config_static_selectorELNS0_4arch9wavefront6targetE1EEEvT1_,"axG",@progbits,_ZN7rocprim17ROCPRIM_400000_NS6detail17trampoline_kernelINS0_14default_configENS1_27scan_by_key_config_selectorIijEEZZNS1_16scan_by_key_implILNS1_25lookback_scan_determinismE0ELb0ES3_N6thrust23THRUST_200600_302600_NS6detail15normal_iteratorINS9_10device_ptrIiEEEENSB_INSC_IjEEEENSB_INSC_IfEEEEjNS9_4plusIvEENS9_8equal_toIvEEjEE10hipError_tPvRmT2_T3_T4_T5_mT6_T7_P12ihipStream_tbENKUlT_T0_E_clISt17integral_constantIbLb0EES12_IbLb1EEEEDaSY_SZ_EUlSY_E_NS1_11comp_targetILNS1_3genE8ELNS1_11target_archE1030ELNS1_3gpuE2ELNS1_3repE0EEENS1_30default_config_static_selectorELNS0_4arch9wavefront6targetE1EEEvT1_,comdat
.Lfunc_end1679:
	.size	_ZN7rocprim17ROCPRIM_400000_NS6detail17trampoline_kernelINS0_14default_configENS1_27scan_by_key_config_selectorIijEEZZNS1_16scan_by_key_implILNS1_25lookback_scan_determinismE0ELb0ES3_N6thrust23THRUST_200600_302600_NS6detail15normal_iteratorINS9_10device_ptrIiEEEENSB_INSC_IjEEEENSB_INSC_IfEEEEjNS9_4plusIvEENS9_8equal_toIvEEjEE10hipError_tPvRmT2_T3_T4_T5_mT6_T7_P12ihipStream_tbENKUlT_T0_E_clISt17integral_constantIbLb0EES12_IbLb1EEEEDaSY_SZ_EUlSY_E_NS1_11comp_targetILNS1_3genE8ELNS1_11target_archE1030ELNS1_3gpuE2ELNS1_3repE0EEENS1_30default_config_static_selectorELNS0_4arch9wavefront6targetE1EEEvT1_, .Lfunc_end1679-_ZN7rocprim17ROCPRIM_400000_NS6detail17trampoline_kernelINS0_14default_configENS1_27scan_by_key_config_selectorIijEEZZNS1_16scan_by_key_implILNS1_25lookback_scan_determinismE0ELb0ES3_N6thrust23THRUST_200600_302600_NS6detail15normal_iteratorINS9_10device_ptrIiEEEENSB_INSC_IjEEEENSB_INSC_IfEEEEjNS9_4plusIvEENS9_8equal_toIvEEjEE10hipError_tPvRmT2_T3_T4_T5_mT6_T7_P12ihipStream_tbENKUlT_T0_E_clISt17integral_constantIbLb0EES12_IbLb1EEEEDaSY_SZ_EUlSY_E_NS1_11comp_targetILNS1_3genE8ELNS1_11target_archE1030ELNS1_3gpuE2ELNS1_3repE0EEENS1_30default_config_static_selectorELNS0_4arch9wavefront6targetE1EEEvT1_
                                        ; -- End function
	.section	.AMDGPU.csdata,"",@progbits
; Kernel info:
; codeLenInByte = 0
; NumSgprs: 4
; NumVgprs: 0
; NumAgprs: 0
; TotalNumVgprs: 0
; ScratchSize: 0
; MemoryBound: 0
; FloatMode: 240
; IeeeMode: 1
; LDSByteSize: 0 bytes/workgroup (compile time only)
; SGPRBlocks: 0
; VGPRBlocks: 0
; NumSGPRsForWavesPerEU: 4
; NumVGPRsForWavesPerEU: 1
; AccumOffset: 4
; Occupancy: 8
; WaveLimiterHint : 0
; COMPUTE_PGM_RSRC2:SCRATCH_EN: 0
; COMPUTE_PGM_RSRC2:USER_SGPR: 6
; COMPUTE_PGM_RSRC2:TRAP_HANDLER: 0
; COMPUTE_PGM_RSRC2:TGID_X_EN: 1
; COMPUTE_PGM_RSRC2:TGID_Y_EN: 0
; COMPUTE_PGM_RSRC2:TGID_Z_EN: 0
; COMPUTE_PGM_RSRC2:TIDIG_COMP_CNT: 0
; COMPUTE_PGM_RSRC3_GFX90A:ACCUM_OFFSET: 0
; COMPUTE_PGM_RSRC3_GFX90A:TG_SPLIT: 0
	.section	.text._ZN7rocprim17ROCPRIM_400000_NS6detail17trampoline_kernelINS0_14default_configENS1_27scan_by_key_config_selectorIifEEZZNS1_16scan_by_key_implILNS1_25lookback_scan_determinismE0ELb1ES3_N6thrust23THRUST_200600_302600_NS6detail15normal_iteratorINS9_10device_ptrIiEEEENSB_INSC_IjEEEENSB_INSC_IfEEEEfNS9_4plusIvEENS9_8equal_toIvEEfEE10hipError_tPvRmT2_T3_T4_T5_mT6_T7_P12ihipStream_tbENKUlT_T0_E_clISt17integral_constantIbLb0EES13_EEDaSY_SZ_EUlSY_E_NS1_11comp_targetILNS1_3genE0ELNS1_11target_archE4294967295ELNS1_3gpuE0ELNS1_3repE0EEENS1_30default_config_static_selectorELNS0_4arch9wavefront6targetE1EEEvT1_,"axG",@progbits,_ZN7rocprim17ROCPRIM_400000_NS6detail17trampoline_kernelINS0_14default_configENS1_27scan_by_key_config_selectorIifEEZZNS1_16scan_by_key_implILNS1_25lookback_scan_determinismE0ELb1ES3_N6thrust23THRUST_200600_302600_NS6detail15normal_iteratorINS9_10device_ptrIiEEEENSB_INSC_IjEEEENSB_INSC_IfEEEEfNS9_4plusIvEENS9_8equal_toIvEEfEE10hipError_tPvRmT2_T3_T4_T5_mT6_T7_P12ihipStream_tbENKUlT_T0_E_clISt17integral_constantIbLb0EES13_EEDaSY_SZ_EUlSY_E_NS1_11comp_targetILNS1_3genE0ELNS1_11target_archE4294967295ELNS1_3gpuE0ELNS1_3repE0EEENS1_30default_config_static_selectorELNS0_4arch9wavefront6targetE1EEEvT1_,comdat
	.protected	_ZN7rocprim17ROCPRIM_400000_NS6detail17trampoline_kernelINS0_14default_configENS1_27scan_by_key_config_selectorIifEEZZNS1_16scan_by_key_implILNS1_25lookback_scan_determinismE0ELb1ES3_N6thrust23THRUST_200600_302600_NS6detail15normal_iteratorINS9_10device_ptrIiEEEENSB_INSC_IjEEEENSB_INSC_IfEEEEfNS9_4plusIvEENS9_8equal_toIvEEfEE10hipError_tPvRmT2_T3_T4_T5_mT6_T7_P12ihipStream_tbENKUlT_T0_E_clISt17integral_constantIbLb0EES13_EEDaSY_SZ_EUlSY_E_NS1_11comp_targetILNS1_3genE0ELNS1_11target_archE4294967295ELNS1_3gpuE0ELNS1_3repE0EEENS1_30default_config_static_selectorELNS0_4arch9wavefront6targetE1EEEvT1_ ; -- Begin function _ZN7rocprim17ROCPRIM_400000_NS6detail17trampoline_kernelINS0_14default_configENS1_27scan_by_key_config_selectorIifEEZZNS1_16scan_by_key_implILNS1_25lookback_scan_determinismE0ELb1ES3_N6thrust23THRUST_200600_302600_NS6detail15normal_iteratorINS9_10device_ptrIiEEEENSB_INSC_IjEEEENSB_INSC_IfEEEEfNS9_4plusIvEENS9_8equal_toIvEEfEE10hipError_tPvRmT2_T3_T4_T5_mT6_T7_P12ihipStream_tbENKUlT_T0_E_clISt17integral_constantIbLb0EES13_EEDaSY_SZ_EUlSY_E_NS1_11comp_targetILNS1_3genE0ELNS1_11target_archE4294967295ELNS1_3gpuE0ELNS1_3repE0EEENS1_30default_config_static_selectorELNS0_4arch9wavefront6targetE1EEEvT1_
	.globl	_ZN7rocprim17ROCPRIM_400000_NS6detail17trampoline_kernelINS0_14default_configENS1_27scan_by_key_config_selectorIifEEZZNS1_16scan_by_key_implILNS1_25lookback_scan_determinismE0ELb1ES3_N6thrust23THRUST_200600_302600_NS6detail15normal_iteratorINS9_10device_ptrIiEEEENSB_INSC_IjEEEENSB_INSC_IfEEEEfNS9_4plusIvEENS9_8equal_toIvEEfEE10hipError_tPvRmT2_T3_T4_T5_mT6_T7_P12ihipStream_tbENKUlT_T0_E_clISt17integral_constantIbLb0EES13_EEDaSY_SZ_EUlSY_E_NS1_11comp_targetILNS1_3genE0ELNS1_11target_archE4294967295ELNS1_3gpuE0ELNS1_3repE0EEENS1_30default_config_static_selectorELNS0_4arch9wavefront6targetE1EEEvT1_
	.p2align	8
	.type	_ZN7rocprim17ROCPRIM_400000_NS6detail17trampoline_kernelINS0_14default_configENS1_27scan_by_key_config_selectorIifEEZZNS1_16scan_by_key_implILNS1_25lookback_scan_determinismE0ELb1ES3_N6thrust23THRUST_200600_302600_NS6detail15normal_iteratorINS9_10device_ptrIiEEEENSB_INSC_IjEEEENSB_INSC_IfEEEEfNS9_4plusIvEENS9_8equal_toIvEEfEE10hipError_tPvRmT2_T3_T4_T5_mT6_T7_P12ihipStream_tbENKUlT_T0_E_clISt17integral_constantIbLb0EES13_EEDaSY_SZ_EUlSY_E_NS1_11comp_targetILNS1_3genE0ELNS1_11target_archE4294967295ELNS1_3gpuE0ELNS1_3repE0EEENS1_30default_config_static_selectorELNS0_4arch9wavefront6targetE1EEEvT1_,@function
_ZN7rocprim17ROCPRIM_400000_NS6detail17trampoline_kernelINS0_14default_configENS1_27scan_by_key_config_selectorIifEEZZNS1_16scan_by_key_implILNS1_25lookback_scan_determinismE0ELb1ES3_N6thrust23THRUST_200600_302600_NS6detail15normal_iteratorINS9_10device_ptrIiEEEENSB_INSC_IjEEEENSB_INSC_IfEEEEfNS9_4plusIvEENS9_8equal_toIvEEfEE10hipError_tPvRmT2_T3_T4_T5_mT6_T7_P12ihipStream_tbENKUlT_T0_E_clISt17integral_constantIbLb0EES13_EEDaSY_SZ_EUlSY_E_NS1_11comp_targetILNS1_3genE0ELNS1_11target_archE4294967295ELNS1_3gpuE0ELNS1_3repE0EEENS1_30default_config_static_selectorELNS0_4arch9wavefront6targetE1EEEvT1_: ; @_ZN7rocprim17ROCPRIM_400000_NS6detail17trampoline_kernelINS0_14default_configENS1_27scan_by_key_config_selectorIifEEZZNS1_16scan_by_key_implILNS1_25lookback_scan_determinismE0ELb1ES3_N6thrust23THRUST_200600_302600_NS6detail15normal_iteratorINS9_10device_ptrIiEEEENSB_INSC_IjEEEENSB_INSC_IfEEEEfNS9_4plusIvEENS9_8equal_toIvEEfEE10hipError_tPvRmT2_T3_T4_T5_mT6_T7_P12ihipStream_tbENKUlT_T0_E_clISt17integral_constantIbLb0EES13_EEDaSY_SZ_EUlSY_E_NS1_11comp_targetILNS1_3genE0ELNS1_11target_archE4294967295ELNS1_3gpuE0ELNS1_3repE0EEENS1_30default_config_static_selectorELNS0_4arch9wavefront6targetE1EEEvT1_
; %bb.0:
	.section	.rodata,"a",@progbits
	.p2align	6, 0x0
	.amdhsa_kernel _ZN7rocprim17ROCPRIM_400000_NS6detail17trampoline_kernelINS0_14default_configENS1_27scan_by_key_config_selectorIifEEZZNS1_16scan_by_key_implILNS1_25lookback_scan_determinismE0ELb1ES3_N6thrust23THRUST_200600_302600_NS6detail15normal_iteratorINS9_10device_ptrIiEEEENSB_INSC_IjEEEENSB_INSC_IfEEEEfNS9_4plusIvEENS9_8equal_toIvEEfEE10hipError_tPvRmT2_T3_T4_T5_mT6_T7_P12ihipStream_tbENKUlT_T0_E_clISt17integral_constantIbLb0EES13_EEDaSY_SZ_EUlSY_E_NS1_11comp_targetILNS1_3genE0ELNS1_11target_archE4294967295ELNS1_3gpuE0ELNS1_3repE0EEENS1_30default_config_static_selectorELNS0_4arch9wavefront6targetE1EEEvT1_
		.amdhsa_group_segment_fixed_size 0
		.amdhsa_private_segment_fixed_size 0
		.amdhsa_kernarg_size 112
		.amdhsa_user_sgpr_count 6
		.amdhsa_user_sgpr_private_segment_buffer 1
		.amdhsa_user_sgpr_dispatch_ptr 0
		.amdhsa_user_sgpr_queue_ptr 0
		.amdhsa_user_sgpr_kernarg_segment_ptr 1
		.amdhsa_user_sgpr_dispatch_id 0
		.amdhsa_user_sgpr_flat_scratch_init 0
		.amdhsa_user_sgpr_kernarg_preload_length 0
		.amdhsa_user_sgpr_kernarg_preload_offset 0
		.amdhsa_user_sgpr_private_segment_size 0
		.amdhsa_uses_dynamic_stack 0
		.amdhsa_system_sgpr_private_segment_wavefront_offset 0
		.amdhsa_system_sgpr_workgroup_id_x 1
		.amdhsa_system_sgpr_workgroup_id_y 0
		.amdhsa_system_sgpr_workgroup_id_z 0
		.amdhsa_system_sgpr_workgroup_info 0
		.amdhsa_system_vgpr_workitem_id 0
		.amdhsa_next_free_vgpr 1
		.amdhsa_next_free_sgpr 0
		.amdhsa_accum_offset 4
		.amdhsa_reserve_vcc 0
		.amdhsa_reserve_flat_scratch 0
		.amdhsa_float_round_mode_32 0
		.amdhsa_float_round_mode_16_64 0
		.amdhsa_float_denorm_mode_32 3
		.amdhsa_float_denorm_mode_16_64 3
		.amdhsa_dx10_clamp 1
		.amdhsa_ieee_mode 1
		.amdhsa_fp16_overflow 0
		.amdhsa_tg_split 0
		.amdhsa_exception_fp_ieee_invalid_op 0
		.amdhsa_exception_fp_denorm_src 0
		.amdhsa_exception_fp_ieee_div_zero 0
		.amdhsa_exception_fp_ieee_overflow 0
		.amdhsa_exception_fp_ieee_underflow 0
		.amdhsa_exception_fp_ieee_inexact 0
		.amdhsa_exception_int_div_zero 0
	.end_amdhsa_kernel
	.section	.text._ZN7rocprim17ROCPRIM_400000_NS6detail17trampoline_kernelINS0_14default_configENS1_27scan_by_key_config_selectorIifEEZZNS1_16scan_by_key_implILNS1_25lookback_scan_determinismE0ELb1ES3_N6thrust23THRUST_200600_302600_NS6detail15normal_iteratorINS9_10device_ptrIiEEEENSB_INSC_IjEEEENSB_INSC_IfEEEEfNS9_4plusIvEENS9_8equal_toIvEEfEE10hipError_tPvRmT2_T3_T4_T5_mT6_T7_P12ihipStream_tbENKUlT_T0_E_clISt17integral_constantIbLb0EES13_EEDaSY_SZ_EUlSY_E_NS1_11comp_targetILNS1_3genE0ELNS1_11target_archE4294967295ELNS1_3gpuE0ELNS1_3repE0EEENS1_30default_config_static_selectorELNS0_4arch9wavefront6targetE1EEEvT1_,"axG",@progbits,_ZN7rocprim17ROCPRIM_400000_NS6detail17trampoline_kernelINS0_14default_configENS1_27scan_by_key_config_selectorIifEEZZNS1_16scan_by_key_implILNS1_25lookback_scan_determinismE0ELb1ES3_N6thrust23THRUST_200600_302600_NS6detail15normal_iteratorINS9_10device_ptrIiEEEENSB_INSC_IjEEEENSB_INSC_IfEEEEfNS9_4plusIvEENS9_8equal_toIvEEfEE10hipError_tPvRmT2_T3_T4_T5_mT6_T7_P12ihipStream_tbENKUlT_T0_E_clISt17integral_constantIbLb0EES13_EEDaSY_SZ_EUlSY_E_NS1_11comp_targetILNS1_3genE0ELNS1_11target_archE4294967295ELNS1_3gpuE0ELNS1_3repE0EEENS1_30default_config_static_selectorELNS0_4arch9wavefront6targetE1EEEvT1_,comdat
.Lfunc_end1680:
	.size	_ZN7rocprim17ROCPRIM_400000_NS6detail17trampoline_kernelINS0_14default_configENS1_27scan_by_key_config_selectorIifEEZZNS1_16scan_by_key_implILNS1_25lookback_scan_determinismE0ELb1ES3_N6thrust23THRUST_200600_302600_NS6detail15normal_iteratorINS9_10device_ptrIiEEEENSB_INSC_IjEEEENSB_INSC_IfEEEEfNS9_4plusIvEENS9_8equal_toIvEEfEE10hipError_tPvRmT2_T3_T4_T5_mT6_T7_P12ihipStream_tbENKUlT_T0_E_clISt17integral_constantIbLb0EES13_EEDaSY_SZ_EUlSY_E_NS1_11comp_targetILNS1_3genE0ELNS1_11target_archE4294967295ELNS1_3gpuE0ELNS1_3repE0EEENS1_30default_config_static_selectorELNS0_4arch9wavefront6targetE1EEEvT1_, .Lfunc_end1680-_ZN7rocprim17ROCPRIM_400000_NS6detail17trampoline_kernelINS0_14default_configENS1_27scan_by_key_config_selectorIifEEZZNS1_16scan_by_key_implILNS1_25lookback_scan_determinismE0ELb1ES3_N6thrust23THRUST_200600_302600_NS6detail15normal_iteratorINS9_10device_ptrIiEEEENSB_INSC_IjEEEENSB_INSC_IfEEEEfNS9_4plusIvEENS9_8equal_toIvEEfEE10hipError_tPvRmT2_T3_T4_T5_mT6_T7_P12ihipStream_tbENKUlT_T0_E_clISt17integral_constantIbLb0EES13_EEDaSY_SZ_EUlSY_E_NS1_11comp_targetILNS1_3genE0ELNS1_11target_archE4294967295ELNS1_3gpuE0ELNS1_3repE0EEENS1_30default_config_static_selectorELNS0_4arch9wavefront6targetE1EEEvT1_
                                        ; -- End function
	.section	.AMDGPU.csdata,"",@progbits
; Kernel info:
; codeLenInByte = 0
; NumSgprs: 4
; NumVgprs: 0
; NumAgprs: 0
; TotalNumVgprs: 0
; ScratchSize: 0
; MemoryBound: 0
; FloatMode: 240
; IeeeMode: 1
; LDSByteSize: 0 bytes/workgroup (compile time only)
; SGPRBlocks: 0
; VGPRBlocks: 0
; NumSGPRsForWavesPerEU: 4
; NumVGPRsForWavesPerEU: 1
; AccumOffset: 4
; Occupancy: 8
; WaveLimiterHint : 0
; COMPUTE_PGM_RSRC2:SCRATCH_EN: 0
; COMPUTE_PGM_RSRC2:USER_SGPR: 6
; COMPUTE_PGM_RSRC2:TRAP_HANDLER: 0
; COMPUTE_PGM_RSRC2:TGID_X_EN: 1
; COMPUTE_PGM_RSRC2:TGID_Y_EN: 0
; COMPUTE_PGM_RSRC2:TGID_Z_EN: 0
; COMPUTE_PGM_RSRC2:TIDIG_COMP_CNT: 0
; COMPUTE_PGM_RSRC3_GFX90A:ACCUM_OFFSET: 0
; COMPUTE_PGM_RSRC3_GFX90A:TG_SPLIT: 0
	.section	.text._ZN7rocprim17ROCPRIM_400000_NS6detail17trampoline_kernelINS0_14default_configENS1_27scan_by_key_config_selectorIifEEZZNS1_16scan_by_key_implILNS1_25lookback_scan_determinismE0ELb1ES3_N6thrust23THRUST_200600_302600_NS6detail15normal_iteratorINS9_10device_ptrIiEEEENSB_INSC_IjEEEENSB_INSC_IfEEEEfNS9_4plusIvEENS9_8equal_toIvEEfEE10hipError_tPvRmT2_T3_T4_T5_mT6_T7_P12ihipStream_tbENKUlT_T0_E_clISt17integral_constantIbLb0EES13_EEDaSY_SZ_EUlSY_E_NS1_11comp_targetILNS1_3genE10ELNS1_11target_archE1201ELNS1_3gpuE5ELNS1_3repE0EEENS1_30default_config_static_selectorELNS0_4arch9wavefront6targetE1EEEvT1_,"axG",@progbits,_ZN7rocprim17ROCPRIM_400000_NS6detail17trampoline_kernelINS0_14default_configENS1_27scan_by_key_config_selectorIifEEZZNS1_16scan_by_key_implILNS1_25lookback_scan_determinismE0ELb1ES3_N6thrust23THRUST_200600_302600_NS6detail15normal_iteratorINS9_10device_ptrIiEEEENSB_INSC_IjEEEENSB_INSC_IfEEEEfNS9_4plusIvEENS9_8equal_toIvEEfEE10hipError_tPvRmT2_T3_T4_T5_mT6_T7_P12ihipStream_tbENKUlT_T0_E_clISt17integral_constantIbLb0EES13_EEDaSY_SZ_EUlSY_E_NS1_11comp_targetILNS1_3genE10ELNS1_11target_archE1201ELNS1_3gpuE5ELNS1_3repE0EEENS1_30default_config_static_selectorELNS0_4arch9wavefront6targetE1EEEvT1_,comdat
	.protected	_ZN7rocprim17ROCPRIM_400000_NS6detail17trampoline_kernelINS0_14default_configENS1_27scan_by_key_config_selectorIifEEZZNS1_16scan_by_key_implILNS1_25lookback_scan_determinismE0ELb1ES3_N6thrust23THRUST_200600_302600_NS6detail15normal_iteratorINS9_10device_ptrIiEEEENSB_INSC_IjEEEENSB_INSC_IfEEEEfNS9_4plusIvEENS9_8equal_toIvEEfEE10hipError_tPvRmT2_T3_T4_T5_mT6_T7_P12ihipStream_tbENKUlT_T0_E_clISt17integral_constantIbLb0EES13_EEDaSY_SZ_EUlSY_E_NS1_11comp_targetILNS1_3genE10ELNS1_11target_archE1201ELNS1_3gpuE5ELNS1_3repE0EEENS1_30default_config_static_selectorELNS0_4arch9wavefront6targetE1EEEvT1_ ; -- Begin function _ZN7rocprim17ROCPRIM_400000_NS6detail17trampoline_kernelINS0_14default_configENS1_27scan_by_key_config_selectorIifEEZZNS1_16scan_by_key_implILNS1_25lookback_scan_determinismE0ELb1ES3_N6thrust23THRUST_200600_302600_NS6detail15normal_iteratorINS9_10device_ptrIiEEEENSB_INSC_IjEEEENSB_INSC_IfEEEEfNS9_4plusIvEENS9_8equal_toIvEEfEE10hipError_tPvRmT2_T3_T4_T5_mT6_T7_P12ihipStream_tbENKUlT_T0_E_clISt17integral_constantIbLb0EES13_EEDaSY_SZ_EUlSY_E_NS1_11comp_targetILNS1_3genE10ELNS1_11target_archE1201ELNS1_3gpuE5ELNS1_3repE0EEENS1_30default_config_static_selectorELNS0_4arch9wavefront6targetE1EEEvT1_
	.globl	_ZN7rocprim17ROCPRIM_400000_NS6detail17trampoline_kernelINS0_14default_configENS1_27scan_by_key_config_selectorIifEEZZNS1_16scan_by_key_implILNS1_25lookback_scan_determinismE0ELb1ES3_N6thrust23THRUST_200600_302600_NS6detail15normal_iteratorINS9_10device_ptrIiEEEENSB_INSC_IjEEEENSB_INSC_IfEEEEfNS9_4plusIvEENS9_8equal_toIvEEfEE10hipError_tPvRmT2_T3_T4_T5_mT6_T7_P12ihipStream_tbENKUlT_T0_E_clISt17integral_constantIbLb0EES13_EEDaSY_SZ_EUlSY_E_NS1_11comp_targetILNS1_3genE10ELNS1_11target_archE1201ELNS1_3gpuE5ELNS1_3repE0EEENS1_30default_config_static_selectorELNS0_4arch9wavefront6targetE1EEEvT1_
	.p2align	8
	.type	_ZN7rocprim17ROCPRIM_400000_NS6detail17trampoline_kernelINS0_14default_configENS1_27scan_by_key_config_selectorIifEEZZNS1_16scan_by_key_implILNS1_25lookback_scan_determinismE0ELb1ES3_N6thrust23THRUST_200600_302600_NS6detail15normal_iteratorINS9_10device_ptrIiEEEENSB_INSC_IjEEEENSB_INSC_IfEEEEfNS9_4plusIvEENS9_8equal_toIvEEfEE10hipError_tPvRmT2_T3_T4_T5_mT6_T7_P12ihipStream_tbENKUlT_T0_E_clISt17integral_constantIbLb0EES13_EEDaSY_SZ_EUlSY_E_NS1_11comp_targetILNS1_3genE10ELNS1_11target_archE1201ELNS1_3gpuE5ELNS1_3repE0EEENS1_30default_config_static_selectorELNS0_4arch9wavefront6targetE1EEEvT1_,@function
_ZN7rocprim17ROCPRIM_400000_NS6detail17trampoline_kernelINS0_14default_configENS1_27scan_by_key_config_selectorIifEEZZNS1_16scan_by_key_implILNS1_25lookback_scan_determinismE0ELb1ES3_N6thrust23THRUST_200600_302600_NS6detail15normal_iteratorINS9_10device_ptrIiEEEENSB_INSC_IjEEEENSB_INSC_IfEEEEfNS9_4plusIvEENS9_8equal_toIvEEfEE10hipError_tPvRmT2_T3_T4_T5_mT6_T7_P12ihipStream_tbENKUlT_T0_E_clISt17integral_constantIbLb0EES13_EEDaSY_SZ_EUlSY_E_NS1_11comp_targetILNS1_3genE10ELNS1_11target_archE1201ELNS1_3gpuE5ELNS1_3repE0EEENS1_30default_config_static_selectorELNS0_4arch9wavefront6targetE1EEEvT1_: ; @_ZN7rocprim17ROCPRIM_400000_NS6detail17trampoline_kernelINS0_14default_configENS1_27scan_by_key_config_selectorIifEEZZNS1_16scan_by_key_implILNS1_25lookback_scan_determinismE0ELb1ES3_N6thrust23THRUST_200600_302600_NS6detail15normal_iteratorINS9_10device_ptrIiEEEENSB_INSC_IjEEEENSB_INSC_IfEEEEfNS9_4plusIvEENS9_8equal_toIvEEfEE10hipError_tPvRmT2_T3_T4_T5_mT6_T7_P12ihipStream_tbENKUlT_T0_E_clISt17integral_constantIbLb0EES13_EEDaSY_SZ_EUlSY_E_NS1_11comp_targetILNS1_3genE10ELNS1_11target_archE1201ELNS1_3gpuE5ELNS1_3repE0EEENS1_30default_config_static_selectorELNS0_4arch9wavefront6targetE1EEEvT1_
; %bb.0:
	.section	.rodata,"a",@progbits
	.p2align	6, 0x0
	.amdhsa_kernel _ZN7rocprim17ROCPRIM_400000_NS6detail17trampoline_kernelINS0_14default_configENS1_27scan_by_key_config_selectorIifEEZZNS1_16scan_by_key_implILNS1_25lookback_scan_determinismE0ELb1ES3_N6thrust23THRUST_200600_302600_NS6detail15normal_iteratorINS9_10device_ptrIiEEEENSB_INSC_IjEEEENSB_INSC_IfEEEEfNS9_4plusIvEENS9_8equal_toIvEEfEE10hipError_tPvRmT2_T3_T4_T5_mT6_T7_P12ihipStream_tbENKUlT_T0_E_clISt17integral_constantIbLb0EES13_EEDaSY_SZ_EUlSY_E_NS1_11comp_targetILNS1_3genE10ELNS1_11target_archE1201ELNS1_3gpuE5ELNS1_3repE0EEENS1_30default_config_static_selectorELNS0_4arch9wavefront6targetE1EEEvT1_
		.amdhsa_group_segment_fixed_size 0
		.amdhsa_private_segment_fixed_size 0
		.amdhsa_kernarg_size 112
		.amdhsa_user_sgpr_count 6
		.amdhsa_user_sgpr_private_segment_buffer 1
		.amdhsa_user_sgpr_dispatch_ptr 0
		.amdhsa_user_sgpr_queue_ptr 0
		.amdhsa_user_sgpr_kernarg_segment_ptr 1
		.amdhsa_user_sgpr_dispatch_id 0
		.amdhsa_user_sgpr_flat_scratch_init 0
		.amdhsa_user_sgpr_kernarg_preload_length 0
		.amdhsa_user_sgpr_kernarg_preload_offset 0
		.amdhsa_user_sgpr_private_segment_size 0
		.amdhsa_uses_dynamic_stack 0
		.amdhsa_system_sgpr_private_segment_wavefront_offset 0
		.amdhsa_system_sgpr_workgroup_id_x 1
		.amdhsa_system_sgpr_workgroup_id_y 0
		.amdhsa_system_sgpr_workgroup_id_z 0
		.amdhsa_system_sgpr_workgroup_info 0
		.amdhsa_system_vgpr_workitem_id 0
		.amdhsa_next_free_vgpr 1
		.amdhsa_next_free_sgpr 0
		.amdhsa_accum_offset 4
		.amdhsa_reserve_vcc 0
		.amdhsa_reserve_flat_scratch 0
		.amdhsa_float_round_mode_32 0
		.amdhsa_float_round_mode_16_64 0
		.amdhsa_float_denorm_mode_32 3
		.amdhsa_float_denorm_mode_16_64 3
		.amdhsa_dx10_clamp 1
		.amdhsa_ieee_mode 1
		.amdhsa_fp16_overflow 0
		.amdhsa_tg_split 0
		.amdhsa_exception_fp_ieee_invalid_op 0
		.amdhsa_exception_fp_denorm_src 0
		.amdhsa_exception_fp_ieee_div_zero 0
		.amdhsa_exception_fp_ieee_overflow 0
		.amdhsa_exception_fp_ieee_underflow 0
		.amdhsa_exception_fp_ieee_inexact 0
		.amdhsa_exception_int_div_zero 0
	.end_amdhsa_kernel
	.section	.text._ZN7rocprim17ROCPRIM_400000_NS6detail17trampoline_kernelINS0_14default_configENS1_27scan_by_key_config_selectorIifEEZZNS1_16scan_by_key_implILNS1_25lookback_scan_determinismE0ELb1ES3_N6thrust23THRUST_200600_302600_NS6detail15normal_iteratorINS9_10device_ptrIiEEEENSB_INSC_IjEEEENSB_INSC_IfEEEEfNS9_4plusIvEENS9_8equal_toIvEEfEE10hipError_tPvRmT2_T3_T4_T5_mT6_T7_P12ihipStream_tbENKUlT_T0_E_clISt17integral_constantIbLb0EES13_EEDaSY_SZ_EUlSY_E_NS1_11comp_targetILNS1_3genE10ELNS1_11target_archE1201ELNS1_3gpuE5ELNS1_3repE0EEENS1_30default_config_static_selectorELNS0_4arch9wavefront6targetE1EEEvT1_,"axG",@progbits,_ZN7rocprim17ROCPRIM_400000_NS6detail17trampoline_kernelINS0_14default_configENS1_27scan_by_key_config_selectorIifEEZZNS1_16scan_by_key_implILNS1_25lookback_scan_determinismE0ELb1ES3_N6thrust23THRUST_200600_302600_NS6detail15normal_iteratorINS9_10device_ptrIiEEEENSB_INSC_IjEEEENSB_INSC_IfEEEEfNS9_4plusIvEENS9_8equal_toIvEEfEE10hipError_tPvRmT2_T3_T4_T5_mT6_T7_P12ihipStream_tbENKUlT_T0_E_clISt17integral_constantIbLb0EES13_EEDaSY_SZ_EUlSY_E_NS1_11comp_targetILNS1_3genE10ELNS1_11target_archE1201ELNS1_3gpuE5ELNS1_3repE0EEENS1_30default_config_static_selectorELNS0_4arch9wavefront6targetE1EEEvT1_,comdat
.Lfunc_end1681:
	.size	_ZN7rocprim17ROCPRIM_400000_NS6detail17trampoline_kernelINS0_14default_configENS1_27scan_by_key_config_selectorIifEEZZNS1_16scan_by_key_implILNS1_25lookback_scan_determinismE0ELb1ES3_N6thrust23THRUST_200600_302600_NS6detail15normal_iteratorINS9_10device_ptrIiEEEENSB_INSC_IjEEEENSB_INSC_IfEEEEfNS9_4plusIvEENS9_8equal_toIvEEfEE10hipError_tPvRmT2_T3_T4_T5_mT6_T7_P12ihipStream_tbENKUlT_T0_E_clISt17integral_constantIbLb0EES13_EEDaSY_SZ_EUlSY_E_NS1_11comp_targetILNS1_3genE10ELNS1_11target_archE1201ELNS1_3gpuE5ELNS1_3repE0EEENS1_30default_config_static_selectorELNS0_4arch9wavefront6targetE1EEEvT1_, .Lfunc_end1681-_ZN7rocprim17ROCPRIM_400000_NS6detail17trampoline_kernelINS0_14default_configENS1_27scan_by_key_config_selectorIifEEZZNS1_16scan_by_key_implILNS1_25lookback_scan_determinismE0ELb1ES3_N6thrust23THRUST_200600_302600_NS6detail15normal_iteratorINS9_10device_ptrIiEEEENSB_INSC_IjEEEENSB_INSC_IfEEEEfNS9_4plusIvEENS9_8equal_toIvEEfEE10hipError_tPvRmT2_T3_T4_T5_mT6_T7_P12ihipStream_tbENKUlT_T0_E_clISt17integral_constantIbLb0EES13_EEDaSY_SZ_EUlSY_E_NS1_11comp_targetILNS1_3genE10ELNS1_11target_archE1201ELNS1_3gpuE5ELNS1_3repE0EEENS1_30default_config_static_selectorELNS0_4arch9wavefront6targetE1EEEvT1_
                                        ; -- End function
	.section	.AMDGPU.csdata,"",@progbits
; Kernel info:
; codeLenInByte = 0
; NumSgprs: 4
; NumVgprs: 0
; NumAgprs: 0
; TotalNumVgprs: 0
; ScratchSize: 0
; MemoryBound: 0
; FloatMode: 240
; IeeeMode: 1
; LDSByteSize: 0 bytes/workgroup (compile time only)
; SGPRBlocks: 0
; VGPRBlocks: 0
; NumSGPRsForWavesPerEU: 4
; NumVGPRsForWavesPerEU: 1
; AccumOffset: 4
; Occupancy: 8
; WaveLimiterHint : 0
; COMPUTE_PGM_RSRC2:SCRATCH_EN: 0
; COMPUTE_PGM_RSRC2:USER_SGPR: 6
; COMPUTE_PGM_RSRC2:TRAP_HANDLER: 0
; COMPUTE_PGM_RSRC2:TGID_X_EN: 1
; COMPUTE_PGM_RSRC2:TGID_Y_EN: 0
; COMPUTE_PGM_RSRC2:TGID_Z_EN: 0
; COMPUTE_PGM_RSRC2:TIDIG_COMP_CNT: 0
; COMPUTE_PGM_RSRC3_GFX90A:ACCUM_OFFSET: 0
; COMPUTE_PGM_RSRC3_GFX90A:TG_SPLIT: 0
	.section	.text._ZN7rocprim17ROCPRIM_400000_NS6detail17trampoline_kernelINS0_14default_configENS1_27scan_by_key_config_selectorIifEEZZNS1_16scan_by_key_implILNS1_25lookback_scan_determinismE0ELb1ES3_N6thrust23THRUST_200600_302600_NS6detail15normal_iteratorINS9_10device_ptrIiEEEENSB_INSC_IjEEEENSB_INSC_IfEEEEfNS9_4plusIvEENS9_8equal_toIvEEfEE10hipError_tPvRmT2_T3_T4_T5_mT6_T7_P12ihipStream_tbENKUlT_T0_E_clISt17integral_constantIbLb0EES13_EEDaSY_SZ_EUlSY_E_NS1_11comp_targetILNS1_3genE5ELNS1_11target_archE942ELNS1_3gpuE9ELNS1_3repE0EEENS1_30default_config_static_selectorELNS0_4arch9wavefront6targetE1EEEvT1_,"axG",@progbits,_ZN7rocprim17ROCPRIM_400000_NS6detail17trampoline_kernelINS0_14default_configENS1_27scan_by_key_config_selectorIifEEZZNS1_16scan_by_key_implILNS1_25lookback_scan_determinismE0ELb1ES3_N6thrust23THRUST_200600_302600_NS6detail15normal_iteratorINS9_10device_ptrIiEEEENSB_INSC_IjEEEENSB_INSC_IfEEEEfNS9_4plusIvEENS9_8equal_toIvEEfEE10hipError_tPvRmT2_T3_T4_T5_mT6_T7_P12ihipStream_tbENKUlT_T0_E_clISt17integral_constantIbLb0EES13_EEDaSY_SZ_EUlSY_E_NS1_11comp_targetILNS1_3genE5ELNS1_11target_archE942ELNS1_3gpuE9ELNS1_3repE0EEENS1_30default_config_static_selectorELNS0_4arch9wavefront6targetE1EEEvT1_,comdat
	.protected	_ZN7rocprim17ROCPRIM_400000_NS6detail17trampoline_kernelINS0_14default_configENS1_27scan_by_key_config_selectorIifEEZZNS1_16scan_by_key_implILNS1_25lookback_scan_determinismE0ELb1ES3_N6thrust23THRUST_200600_302600_NS6detail15normal_iteratorINS9_10device_ptrIiEEEENSB_INSC_IjEEEENSB_INSC_IfEEEEfNS9_4plusIvEENS9_8equal_toIvEEfEE10hipError_tPvRmT2_T3_T4_T5_mT6_T7_P12ihipStream_tbENKUlT_T0_E_clISt17integral_constantIbLb0EES13_EEDaSY_SZ_EUlSY_E_NS1_11comp_targetILNS1_3genE5ELNS1_11target_archE942ELNS1_3gpuE9ELNS1_3repE0EEENS1_30default_config_static_selectorELNS0_4arch9wavefront6targetE1EEEvT1_ ; -- Begin function _ZN7rocprim17ROCPRIM_400000_NS6detail17trampoline_kernelINS0_14default_configENS1_27scan_by_key_config_selectorIifEEZZNS1_16scan_by_key_implILNS1_25lookback_scan_determinismE0ELb1ES3_N6thrust23THRUST_200600_302600_NS6detail15normal_iteratorINS9_10device_ptrIiEEEENSB_INSC_IjEEEENSB_INSC_IfEEEEfNS9_4plusIvEENS9_8equal_toIvEEfEE10hipError_tPvRmT2_T3_T4_T5_mT6_T7_P12ihipStream_tbENKUlT_T0_E_clISt17integral_constantIbLb0EES13_EEDaSY_SZ_EUlSY_E_NS1_11comp_targetILNS1_3genE5ELNS1_11target_archE942ELNS1_3gpuE9ELNS1_3repE0EEENS1_30default_config_static_selectorELNS0_4arch9wavefront6targetE1EEEvT1_
	.globl	_ZN7rocprim17ROCPRIM_400000_NS6detail17trampoline_kernelINS0_14default_configENS1_27scan_by_key_config_selectorIifEEZZNS1_16scan_by_key_implILNS1_25lookback_scan_determinismE0ELb1ES3_N6thrust23THRUST_200600_302600_NS6detail15normal_iteratorINS9_10device_ptrIiEEEENSB_INSC_IjEEEENSB_INSC_IfEEEEfNS9_4plusIvEENS9_8equal_toIvEEfEE10hipError_tPvRmT2_T3_T4_T5_mT6_T7_P12ihipStream_tbENKUlT_T0_E_clISt17integral_constantIbLb0EES13_EEDaSY_SZ_EUlSY_E_NS1_11comp_targetILNS1_3genE5ELNS1_11target_archE942ELNS1_3gpuE9ELNS1_3repE0EEENS1_30default_config_static_selectorELNS0_4arch9wavefront6targetE1EEEvT1_
	.p2align	8
	.type	_ZN7rocprim17ROCPRIM_400000_NS6detail17trampoline_kernelINS0_14default_configENS1_27scan_by_key_config_selectorIifEEZZNS1_16scan_by_key_implILNS1_25lookback_scan_determinismE0ELb1ES3_N6thrust23THRUST_200600_302600_NS6detail15normal_iteratorINS9_10device_ptrIiEEEENSB_INSC_IjEEEENSB_INSC_IfEEEEfNS9_4plusIvEENS9_8equal_toIvEEfEE10hipError_tPvRmT2_T3_T4_T5_mT6_T7_P12ihipStream_tbENKUlT_T0_E_clISt17integral_constantIbLb0EES13_EEDaSY_SZ_EUlSY_E_NS1_11comp_targetILNS1_3genE5ELNS1_11target_archE942ELNS1_3gpuE9ELNS1_3repE0EEENS1_30default_config_static_selectorELNS0_4arch9wavefront6targetE1EEEvT1_,@function
_ZN7rocprim17ROCPRIM_400000_NS6detail17trampoline_kernelINS0_14default_configENS1_27scan_by_key_config_selectorIifEEZZNS1_16scan_by_key_implILNS1_25lookback_scan_determinismE0ELb1ES3_N6thrust23THRUST_200600_302600_NS6detail15normal_iteratorINS9_10device_ptrIiEEEENSB_INSC_IjEEEENSB_INSC_IfEEEEfNS9_4plusIvEENS9_8equal_toIvEEfEE10hipError_tPvRmT2_T3_T4_T5_mT6_T7_P12ihipStream_tbENKUlT_T0_E_clISt17integral_constantIbLb0EES13_EEDaSY_SZ_EUlSY_E_NS1_11comp_targetILNS1_3genE5ELNS1_11target_archE942ELNS1_3gpuE9ELNS1_3repE0EEENS1_30default_config_static_selectorELNS0_4arch9wavefront6targetE1EEEvT1_: ; @_ZN7rocprim17ROCPRIM_400000_NS6detail17trampoline_kernelINS0_14default_configENS1_27scan_by_key_config_selectorIifEEZZNS1_16scan_by_key_implILNS1_25lookback_scan_determinismE0ELb1ES3_N6thrust23THRUST_200600_302600_NS6detail15normal_iteratorINS9_10device_ptrIiEEEENSB_INSC_IjEEEENSB_INSC_IfEEEEfNS9_4plusIvEENS9_8equal_toIvEEfEE10hipError_tPvRmT2_T3_T4_T5_mT6_T7_P12ihipStream_tbENKUlT_T0_E_clISt17integral_constantIbLb0EES13_EEDaSY_SZ_EUlSY_E_NS1_11comp_targetILNS1_3genE5ELNS1_11target_archE942ELNS1_3gpuE9ELNS1_3repE0EEENS1_30default_config_static_selectorELNS0_4arch9wavefront6targetE1EEEvT1_
; %bb.0:
	.section	.rodata,"a",@progbits
	.p2align	6, 0x0
	.amdhsa_kernel _ZN7rocprim17ROCPRIM_400000_NS6detail17trampoline_kernelINS0_14default_configENS1_27scan_by_key_config_selectorIifEEZZNS1_16scan_by_key_implILNS1_25lookback_scan_determinismE0ELb1ES3_N6thrust23THRUST_200600_302600_NS6detail15normal_iteratorINS9_10device_ptrIiEEEENSB_INSC_IjEEEENSB_INSC_IfEEEEfNS9_4plusIvEENS9_8equal_toIvEEfEE10hipError_tPvRmT2_T3_T4_T5_mT6_T7_P12ihipStream_tbENKUlT_T0_E_clISt17integral_constantIbLb0EES13_EEDaSY_SZ_EUlSY_E_NS1_11comp_targetILNS1_3genE5ELNS1_11target_archE942ELNS1_3gpuE9ELNS1_3repE0EEENS1_30default_config_static_selectorELNS0_4arch9wavefront6targetE1EEEvT1_
		.amdhsa_group_segment_fixed_size 0
		.amdhsa_private_segment_fixed_size 0
		.amdhsa_kernarg_size 112
		.amdhsa_user_sgpr_count 6
		.amdhsa_user_sgpr_private_segment_buffer 1
		.amdhsa_user_sgpr_dispatch_ptr 0
		.amdhsa_user_sgpr_queue_ptr 0
		.amdhsa_user_sgpr_kernarg_segment_ptr 1
		.amdhsa_user_sgpr_dispatch_id 0
		.amdhsa_user_sgpr_flat_scratch_init 0
		.amdhsa_user_sgpr_kernarg_preload_length 0
		.amdhsa_user_sgpr_kernarg_preload_offset 0
		.amdhsa_user_sgpr_private_segment_size 0
		.amdhsa_uses_dynamic_stack 0
		.amdhsa_system_sgpr_private_segment_wavefront_offset 0
		.amdhsa_system_sgpr_workgroup_id_x 1
		.amdhsa_system_sgpr_workgroup_id_y 0
		.amdhsa_system_sgpr_workgroup_id_z 0
		.amdhsa_system_sgpr_workgroup_info 0
		.amdhsa_system_vgpr_workitem_id 0
		.amdhsa_next_free_vgpr 1
		.amdhsa_next_free_sgpr 0
		.amdhsa_accum_offset 4
		.amdhsa_reserve_vcc 0
		.amdhsa_reserve_flat_scratch 0
		.amdhsa_float_round_mode_32 0
		.amdhsa_float_round_mode_16_64 0
		.amdhsa_float_denorm_mode_32 3
		.amdhsa_float_denorm_mode_16_64 3
		.amdhsa_dx10_clamp 1
		.amdhsa_ieee_mode 1
		.amdhsa_fp16_overflow 0
		.amdhsa_tg_split 0
		.amdhsa_exception_fp_ieee_invalid_op 0
		.amdhsa_exception_fp_denorm_src 0
		.amdhsa_exception_fp_ieee_div_zero 0
		.amdhsa_exception_fp_ieee_overflow 0
		.amdhsa_exception_fp_ieee_underflow 0
		.amdhsa_exception_fp_ieee_inexact 0
		.amdhsa_exception_int_div_zero 0
	.end_amdhsa_kernel
	.section	.text._ZN7rocprim17ROCPRIM_400000_NS6detail17trampoline_kernelINS0_14default_configENS1_27scan_by_key_config_selectorIifEEZZNS1_16scan_by_key_implILNS1_25lookback_scan_determinismE0ELb1ES3_N6thrust23THRUST_200600_302600_NS6detail15normal_iteratorINS9_10device_ptrIiEEEENSB_INSC_IjEEEENSB_INSC_IfEEEEfNS9_4plusIvEENS9_8equal_toIvEEfEE10hipError_tPvRmT2_T3_T4_T5_mT6_T7_P12ihipStream_tbENKUlT_T0_E_clISt17integral_constantIbLb0EES13_EEDaSY_SZ_EUlSY_E_NS1_11comp_targetILNS1_3genE5ELNS1_11target_archE942ELNS1_3gpuE9ELNS1_3repE0EEENS1_30default_config_static_selectorELNS0_4arch9wavefront6targetE1EEEvT1_,"axG",@progbits,_ZN7rocprim17ROCPRIM_400000_NS6detail17trampoline_kernelINS0_14default_configENS1_27scan_by_key_config_selectorIifEEZZNS1_16scan_by_key_implILNS1_25lookback_scan_determinismE0ELb1ES3_N6thrust23THRUST_200600_302600_NS6detail15normal_iteratorINS9_10device_ptrIiEEEENSB_INSC_IjEEEENSB_INSC_IfEEEEfNS9_4plusIvEENS9_8equal_toIvEEfEE10hipError_tPvRmT2_T3_T4_T5_mT6_T7_P12ihipStream_tbENKUlT_T0_E_clISt17integral_constantIbLb0EES13_EEDaSY_SZ_EUlSY_E_NS1_11comp_targetILNS1_3genE5ELNS1_11target_archE942ELNS1_3gpuE9ELNS1_3repE0EEENS1_30default_config_static_selectorELNS0_4arch9wavefront6targetE1EEEvT1_,comdat
.Lfunc_end1682:
	.size	_ZN7rocprim17ROCPRIM_400000_NS6detail17trampoline_kernelINS0_14default_configENS1_27scan_by_key_config_selectorIifEEZZNS1_16scan_by_key_implILNS1_25lookback_scan_determinismE0ELb1ES3_N6thrust23THRUST_200600_302600_NS6detail15normal_iteratorINS9_10device_ptrIiEEEENSB_INSC_IjEEEENSB_INSC_IfEEEEfNS9_4plusIvEENS9_8equal_toIvEEfEE10hipError_tPvRmT2_T3_T4_T5_mT6_T7_P12ihipStream_tbENKUlT_T0_E_clISt17integral_constantIbLb0EES13_EEDaSY_SZ_EUlSY_E_NS1_11comp_targetILNS1_3genE5ELNS1_11target_archE942ELNS1_3gpuE9ELNS1_3repE0EEENS1_30default_config_static_selectorELNS0_4arch9wavefront6targetE1EEEvT1_, .Lfunc_end1682-_ZN7rocprim17ROCPRIM_400000_NS6detail17trampoline_kernelINS0_14default_configENS1_27scan_by_key_config_selectorIifEEZZNS1_16scan_by_key_implILNS1_25lookback_scan_determinismE0ELb1ES3_N6thrust23THRUST_200600_302600_NS6detail15normal_iteratorINS9_10device_ptrIiEEEENSB_INSC_IjEEEENSB_INSC_IfEEEEfNS9_4plusIvEENS9_8equal_toIvEEfEE10hipError_tPvRmT2_T3_T4_T5_mT6_T7_P12ihipStream_tbENKUlT_T0_E_clISt17integral_constantIbLb0EES13_EEDaSY_SZ_EUlSY_E_NS1_11comp_targetILNS1_3genE5ELNS1_11target_archE942ELNS1_3gpuE9ELNS1_3repE0EEENS1_30default_config_static_selectorELNS0_4arch9wavefront6targetE1EEEvT1_
                                        ; -- End function
	.section	.AMDGPU.csdata,"",@progbits
; Kernel info:
; codeLenInByte = 0
; NumSgprs: 4
; NumVgprs: 0
; NumAgprs: 0
; TotalNumVgprs: 0
; ScratchSize: 0
; MemoryBound: 0
; FloatMode: 240
; IeeeMode: 1
; LDSByteSize: 0 bytes/workgroup (compile time only)
; SGPRBlocks: 0
; VGPRBlocks: 0
; NumSGPRsForWavesPerEU: 4
; NumVGPRsForWavesPerEU: 1
; AccumOffset: 4
; Occupancy: 8
; WaveLimiterHint : 0
; COMPUTE_PGM_RSRC2:SCRATCH_EN: 0
; COMPUTE_PGM_RSRC2:USER_SGPR: 6
; COMPUTE_PGM_RSRC2:TRAP_HANDLER: 0
; COMPUTE_PGM_RSRC2:TGID_X_EN: 1
; COMPUTE_PGM_RSRC2:TGID_Y_EN: 0
; COMPUTE_PGM_RSRC2:TGID_Z_EN: 0
; COMPUTE_PGM_RSRC2:TIDIG_COMP_CNT: 0
; COMPUTE_PGM_RSRC3_GFX90A:ACCUM_OFFSET: 0
; COMPUTE_PGM_RSRC3_GFX90A:TG_SPLIT: 0
	.section	.text._ZN7rocprim17ROCPRIM_400000_NS6detail17trampoline_kernelINS0_14default_configENS1_27scan_by_key_config_selectorIifEEZZNS1_16scan_by_key_implILNS1_25lookback_scan_determinismE0ELb1ES3_N6thrust23THRUST_200600_302600_NS6detail15normal_iteratorINS9_10device_ptrIiEEEENSB_INSC_IjEEEENSB_INSC_IfEEEEfNS9_4plusIvEENS9_8equal_toIvEEfEE10hipError_tPvRmT2_T3_T4_T5_mT6_T7_P12ihipStream_tbENKUlT_T0_E_clISt17integral_constantIbLb0EES13_EEDaSY_SZ_EUlSY_E_NS1_11comp_targetILNS1_3genE4ELNS1_11target_archE910ELNS1_3gpuE8ELNS1_3repE0EEENS1_30default_config_static_selectorELNS0_4arch9wavefront6targetE1EEEvT1_,"axG",@progbits,_ZN7rocprim17ROCPRIM_400000_NS6detail17trampoline_kernelINS0_14default_configENS1_27scan_by_key_config_selectorIifEEZZNS1_16scan_by_key_implILNS1_25lookback_scan_determinismE0ELb1ES3_N6thrust23THRUST_200600_302600_NS6detail15normal_iteratorINS9_10device_ptrIiEEEENSB_INSC_IjEEEENSB_INSC_IfEEEEfNS9_4plusIvEENS9_8equal_toIvEEfEE10hipError_tPvRmT2_T3_T4_T5_mT6_T7_P12ihipStream_tbENKUlT_T0_E_clISt17integral_constantIbLb0EES13_EEDaSY_SZ_EUlSY_E_NS1_11comp_targetILNS1_3genE4ELNS1_11target_archE910ELNS1_3gpuE8ELNS1_3repE0EEENS1_30default_config_static_selectorELNS0_4arch9wavefront6targetE1EEEvT1_,comdat
	.protected	_ZN7rocprim17ROCPRIM_400000_NS6detail17trampoline_kernelINS0_14default_configENS1_27scan_by_key_config_selectorIifEEZZNS1_16scan_by_key_implILNS1_25lookback_scan_determinismE0ELb1ES3_N6thrust23THRUST_200600_302600_NS6detail15normal_iteratorINS9_10device_ptrIiEEEENSB_INSC_IjEEEENSB_INSC_IfEEEEfNS9_4plusIvEENS9_8equal_toIvEEfEE10hipError_tPvRmT2_T3_T4_T5_mT6_T7_P12ihipStream_tbENKUlT_T0_E_clISt17integral_constantIbLb0EES13_EEDaSY_SZ_EUlSY_E_NS1_11comp_targetILNS1_3genE4ELNS1_11target_archE910ELNS1_3gpuE8ELNS1_3repE0EEENS1_30default_config_static_selectorELNS0_4arch9wavefront6targetE1EEEvT1_ ; -- Begin function _ZN7rocprim17ROCPRIM_400000_NS6detail17trampoline_kernelINS0_14default_configENS1_27scan_by_key_config_selectorIifEEZZNS1_16scan_by_key_implILNS1_25lookback_scan_determinismE0ELb1ES3_N6thrust23THRUST_200600_302600_NS6detail15normal_iteratorINS9_10device_ptrIiEEEENSB_INSC_IjEEEENSB_INSC_IfEEEEfNS9_4plusIvEENS9_8equal_toIvEEfEE10hipError_tPvRmT2_T3_T4_T5_mT6_T7_P12ihipStream_tbENKUlT_T0_E_clISt17integral_constantIbLb0EES13_EEDaSY_SZ_EUlSY_E_NS1_11comp_targetILNS1_3genE4ELNS1_11target_archE910ELNS1_3gpuE8ELNS1_3repE0EEENS1_30default_config_static_selectorELNS0_4arch9wavefront6targetE1EEEvT1_
	.globl	_ZN7rocprim17ROCPRIM_400000_NS6detail17trampoline_kernelINS0_14default_configENS1_27scan_by_key_config_selectorIifEEZZNS1_16scan_by_key_implILNS1_25lookback_scan_determinismE0ELb1ES3_N6thrust23THRUST_200600_302600_NS6detail15normal_iteratorINS9_10device_ptrIiEEEENSB_INSC_IjEEEENSB_INSC_IfEEEEfNS9_4plusIvEENS9_8equal_toIvEEfEE10hipError_tPvRmT2_T3_T4_T5_mT6_T7_P12ihipStream_tbENKUlT_T0_E_clISt17integral_constantIbLb0EES13_EEDaSY_SZ_EUlSY_E_NS1_11comp_targetILNS1_3genE4ELNS1_11target_archE910ELNS1_3gpuE8ELNS1_3repE0EEENS1_30default_config_static_selectorELNS0_4arch9wavefront6targetE1EEEvT1_
	.p2align	8
	.type	_ZN7rocprim17ROCPRIM_400000_NS6detail17trampoline_kernelINS0_14default_configENS1_27scan_by_key_config_selectorIifEEZZNS1_16scan_by_key_implILNS1_25lookback_scan_determinismE0ELb1ES3_N6thrust23THRUST_200600_302600_NS6detail15normal_iteratorINS9_10device_ptrIiEEEENSB_INSC_IjEEEENSB_INSC_IfEEEEfNS9_4plusIvEENS9_8equal_toIvEEfEE10hipError_tPvRmT2_T3_T4_T5_mT6_T7_P12ihipStream_tbENKUlT_T0_E_clISt17integral_constantIbLb0EES13_EEDaSY_SZ_EUlSY_E_NS1_11comp_targetILNS1_3genE4ELNS1_11target_archE910ELNS1_3gpuE8ELNS1_3repE0EEENS1_30default_config_static_selectorELNS0_4arch9wavefront6targetE1EEEvT1_,@function
_ZN7rocprim17ROCPRIM_400000_NS6detail17trampoline_kernelINS0_14default_configENS1_27scan_by_key_config_selectorIifEEZZNS1_16scan_by_key_implILNS1_25lookback_scan_determinismE0ELb1ES3_N6thrust23THRUST_200600_302600_NS6detail15normal_iteratorINS9_10device_ptrIiEEEENSB_INSC_IjEEEENSB_INSC_IfEEEEfNS9_4plusIvEENS9_8equal_toIvEEfEE10hipError_tPvRmT2_T3_T4_T5_mT6_T7_P12ihipStream_tbENKUlT_T0_E_clISt17integral_constantIbLb0EES13_EEDaSY_SZ_EUlSY_E_NS1_11comp_targetILNS1_3genE4ELNS1_11target_archE910ELNS1_3gpuE8ELNS1_3repE0EEENS1_30default_config_static_selectorELNS0_4arch9wavefront6targetE1EEEvT1_: ; @_ZN7rocprim17ROCPRIM_400000_NS6detail17trampoline_kernelINS0_14default_configENS1_27scan_by_key_config_selectorIifEEZZNS1_16scan_by_key_implILNS1_25lookback_scan_determinismE0ELb1ES3_N6thrust23THRUST_200600_302600_NS6detail15normal_iteratorINS9_10device_ptrIiEEEENSB_INSC_IjEEEENSB_INSC_IfEEEEfNS9_4plusIvEENS9_8equal_toIvEEfEE10hipError_tPvRmT2_T3_T4_T5_mT6_T7_P12ihipStream_tbENKUlT_T0_E_clISt17integral_constantIbLb0EES13_EEDaSY_SZ_EUlSY_E_NS1_11comp_targetILNS1_3genE4ELNS1_11target_archE910ELNS1_3gpuE8ELNS1_3repE0EEENS1_30default_config_static_selectorELNS0_4arch9wavefront6targetE1EEEvT1_
; %bb.0:
	s_load_dwordx8 s[36:43], s[4:5], 0x0
	s_load_dword s7, s[4:5], 0x20
	s_load_dwordx4 s[44:47], s[4:5], 0x28
	s_load_dwordx2 s[52:53], s[4:5], 0x38
	s_load_dword s0, s[4:5], 0x40
	s_load_dwordx4 s[48:51], s[4:5], 0x48
	s_waitcnt lgkmcnt(0)
	s_lshl_b64 s[34:35], s[38:39], 2
	s_add_u32 s2, s36, s34
	s_addc_u32 s3, s37, s35
	s_add_u32 s4, s40, s34
	s_mul_i32 s1, s53, s0
	s_mul_hi_u32 s8, s52, s0
	s_addc_u32 s5, s41, s35
	s_add_i32 s8, s8, s1
	s_mul_i32 s9, s52, s0
	s_mul_i32 s0, s6, 0xe00
	s_mov_b32 s1, 0
	s_lshl_b64 s[36:37], s[0:1], 2
	s_add_u32 s38, s2, s36
	s_addc_u32 s39, s3, s37
	s_add_u32 s47, s4, s36
	s_addc_u32 s56, s5, s37
	;; [unrolled: 2-line block ×3, first 2 shown]
	s_add_u32 s4, s48, -1
	s_addc_u32 s5, s49, -1
	v_pk_mov_b32 v[2:3], s[4:5], s[4:5] op_sel:[0,1]
	v_cmp_ge_u64_e64 s[0:1], s[0:1], v[2:3]
	s_mov_b64 s[2:3], -1
	s_and_b64 vcc, exec, s[0:1]
	s_mul_i32 s33, s4, 0xfffff200
	s_barrier
	s_cbranch_vccz .LBB1683_76
; %bb.1:
	v_pk_mov_b32 v[2:3], s[38:39], s[38:39] op_sel:[0,1]
	flat_load_dword v2, v[2:3]
	s_add_i32 s58, s33, s46
	v_cmp_gt_u32_e32 vcc, s58, v0
	s_waitcnt vmcnt(0) lgkmcnt(0)
	v_mov_b32_e32 v3, v2
	s_and_saveexec_b64 s[4:5], vcc
	s_cbranch_execz .LBB1683_3
; %bb.2:
	v_lshlrev_b32_e32 v1, 2, v0
	v_mov_b32_e32 v3, s39
	v_add_co_u32_e64 v4, s[2:3], s38, v1
	v_addc_co_u32_e64 v5, s[2:3], 0, v3, s[2:3]
	flat_load_dword v3, v[4:5]
.LBB1683_3:
	s_or_b64 exec, exec, s[4:5]
	v_or_b32_e32 v1, 0x100, v0
	v_cmp_gt_u32_e64 s[2:3], s58, v1
	v_mov_b32_e32 v4, v2
	s_and_saveexec_b64 s[8:9], s[2:3]
	s_cbranch_execz .LBB1683_5
; %bb.4:
	v_lshlrev_b32_e32 v1, 2, v0
	v_mov_b32_e32 v5, s39
	v_add_co_u32_e64 v4, s[4:5], s38, v1
	v_addc_co_u32_e64 v5, s[4:5], 0, v5, s[4:5]
	flat_load_dword v4, v[4:5] offset:1024
.LBB1683_5:
	s_or_b64 exec, exec, s[8:9]
	v_or_b32_e32 v1, 0x200, v0
	v_cmp_gt_u32_e64 s[4:5], s58, v1
	v_mov_b32_e32 v5, v2
	s_and_saveexec_b64 s[10:11], s[4:5]
	s_cbranch_execz .LBB1683_7
; %bb.6:
	v_lshlrev_b32_e32 v1, 2, v0
	v_mov_b32_e32 v5, s39
	v_add_co_u32_e64 v6, s[8:9], s38, v1
	v_addc_co_u32_e64 v7, s[8:9], 0, v5, s[8:9]
	flat_load_dword v5, v[6:7] offset:2048
.LBB1683_7:
	;; [unrolled: 13-line block ×3, first 2 shown]
	s_or_b64 exec, exec, s[10:11]
	v_or_b32_e32 v1, 0x400, v0
	v_cmp_gt_u32_e64 s[8:9], s58, v1
	v_lshlrev_b32_e32 v1, 2, v1
	v_mov_b32_e32 v7, v2
	s_and_saveexec_b64 s[12:13], s[8:9]
	s_cbranch_execz .LBB1683_11
; %bb.10:
	v_mov_b32_e32 v7, s39
	v_add_co_u32_e64 v8, s[10:11], s38, v1
	v_addc_co_u32_e64 v9, s[10:11], 0, v7, s[10:11]
	flat_load_dword v7, v[8:9]
.LBB1683_11:
	s_or_b64 exec, exec, s[12:13]
	v_or_b32_e32 v8, 0x500, v0
	v_cmp_gt_u32_e64 s[10:11], s58, v8
	v_lshlrev_b32_e32 v16, 2, v8
	v_mov_b32_e32 v8, v2
	s_and_saveexec_b64 s[14:15], s[10:11]
	s_cbranch_execz .LBB1683_13
; %bb.12:
	v_mov_b32_e32 v9, s39
	v_add_co_u32_e64 v8, s[12:13], s38, v16
	v_addc_co_u32_e64 v9, s[12:13], 0, v9, s[12:13]
	flat_load_dword v8, v[8:9]
.LBB1683_13:
	;; [unrolled: 13-line block ×9, first 2 shown]
	s_or_b64 exec, exec, s[30:31]
	v_or_b32_e32 v18, 0xd00, v0
	v_cmp_gt_u32_e64 s[26:27], s58, v18
	v_lshlrev_b32_e32 v26, 2, v18
	s_and_saveexec_b64 s[40:41], s[26:27]
	s_cbranch_execz .LBB1683_29
; %bb.28:
	v_mov_b32_e32 v2, s39
	v_add_co_u32_e64 v18, s[30:31], s38, v26
	v_addc_co_u32_e64 v19, s[30:31], 0, v2, s[30:31]
	flat_load_dword v2, v[18:19]
.LBB1683_29:
	s_or_b64 exec, exec, s[40:41]
	v_lshlrev_b32_e32 v27, 2, v0
	s_waitcnt vmcnt(0) lgkmcnt(0)
	ds_write2st64_b32 v27, v3, v4 offset1:4
	ds_write2st64_b32 v27, v5, v6 offset0:8 offset1:12
	ds_write2st64_b32 v27, v7, v8 offset0:16 offset1:20
	;; [unrolled: 1-line block ×6, first 2 shown]
	v_pk_mov_b32 v[2:3], s[38:39], s[38:39] op_sel:[0,1]
	s_waitcnt lgkmcnt(0)
	s_barrier
	flat_load_dword v18, v[2:3]
	v_mad_u32_u24 v19, v0, 52, v27
	s_movk_i32 s30, 0xffcc
	ds_read2_b64 v[10:13], v19 offset1:1
	ds_read2_b64 v[6:9], v19 offset0:2 offset1:3
	ds_read2_b64 v[2:5], v19 offset0:4 offset1:5
	ds_read_b64 v[14:15], v19 offset:48
	v_mad_i32_i24 v28, v0, s30, v19
	s_movk_i32 s30, 0xff
	v_cmp_ne_u32_e64 s[30:31], s30, v0
	s_waitcnt lgkmcnt(0)
	ds_write_b32 v28, v10 offset:15360
	s_waitcnt lgkmcnt(0)
	s_barrier
	s_and_saveexec_b64 s[40:41], s[30:31]
	s_cbranch_execz .LBB1683_31
; %bb.30:
	s_waitcnt vmcnt(0)
	ds_read_b32 v18, v27 offset:15364
.LBB1683_31:
	s_or_b64 exec, exec, s[40:41]
	s_waitcnt lgkmcnt(0)
	s_barrier
	s_waitcnt lgkmcnt(0)
                                        ; implicit-def: $vgpr28
	s_and_saveexec_b64 s[30:31], vcc
	s_cbranch_execz .LBB1683_147
; %bb.32:
	v_mov_b32_e32 v29, s56
	v_add_co_u32_e32 v28, vcc, s47, v27
	v_addc_co_u32_e32 v29, vcc, 0, v29, vcc
	flat_load_dword v28, v[28:29]
	s_waitcnt vmcnt(0) lgkmcnt(0)
	v_cvt_f32_u32_e32 v28, v28
	s_or_b64 exec, exec, s[30:31]
                                        ; implicit-def: $vgpr29
	s_and_saveexec_b64 s[30:31], s[2:3]
	s_cbranch_execnz .LBB1683_148
.LBB1683_33:
	s_or_b64 exec, exec, s[30:31]
                                        ; implicit-def: $vgpr30
	s_and_saveexec_b64 s[2:3], s[4:5]
	s_cbranch_execz .LBB1683_149
.LBB1683_34:
	v_mov_b32_e32 v31, s56
	v_add_co_u32_e32 v30, vcc, s47, v27
	v_addc_co_u32_e32 v31, vcc, 0, v31, vcc
	flat_load_dword v30, v[30:31] offset:2048
	s_waitcnt vmcnt(0) lgkmcnt(0)
	v_cvt_f32_u32_e32 v30, v30
	s_or_b64 exec, exec, s[2:3]
                                        ; implicit-def: $vgpr31
	s_and_saveexec_b64 s[2:3], s[28:29]
	s_cbranch_execnz .LBB1683_150
.LBB1683_35:
	s_or_b64 exec, exec, s[2:3]
                                        ; implicit-def: $vgpr32
	s_and_saveexec_b64 s[2:3], s[8:9]
	s_cbranch_execz .LBB1683_151
.LBB1683_36:
	v_mov_b32_e32 v33, s56
	v_add_co_u32_e32 v32, vcc, s47, v1
	v_addc_co_u32_e32 v33, vcc, 0, v33, vcc
	flat_load_dword v1, v[32:33]
	s_waitcnt vmcnt(0) lgkmcnt(0)
	v_cvt_f32_u32_e32 v32, v1
	s_or_b64 exec, exec, s[2:3]
                                        ; implicit-def: $vgpr1
	s_and_saveexec_b64 s[2:3], s[10:11]
	s_cbranch_execnz .LBB1683_152
.LBB1683_37:
	s_or_b64 exec, exec, s[2:3]
                                        ; implicit-def: $vgpr16
	s_and_saveexec_b64 s[2:3], s[12:13]
	s_cbranch_execz .LBB1683_153
.LBB1683_38:
	v_mov_b32_e32 v33, s56
	v_add_co_u32_e32 v16, vcc, s47, v17
	v_addc_co_u32_e32 v17, vcc, 0, v33, vcc
	flat_load_dword v16, v[16:17]
	s_waitcnt vmcnt(0) lgkmcnt(0)
	v_cvt_f32_u32_e32 v16, v16
	s_or_b64 exec, exec, s[2:3]
                                        ; implicit-def: $vgpr17
	s_and_saveexec_b64 s[2:3], s[14:15]
	s_cbranch_execnz .LBB1683_154
.LBB1683_39:
	s_or_b64 exec, exec, s[2:3]
                                        ; implicit-def: $vgpr33
	s_and_saveexec_b64 s[2:3], s[16:17]
	s_cbranch_execz .LBB1683_155
.LBB1683_40:
	v_mov_b32_e32 v33, s56
	v_add_co_u32_e32 v20, vcc, s47, v21
	v_addc_co_u32_e32 v21, vcc, 0, v33, vcc
	flat_load_dword v20, v[20:21]
	s_waitcnt vmcnt(0) lgkmcnt(0)
	v_cvt_f32_u32_e32 v33, v20
	s_or_b64 exec, exec, s[2:3]
                                        ; implicit-def: $vgpr21
	s_and_saveexec_b64 s[2:3], s[18:19]
	s_cbranch_execnz .LBB1683_156
.LBB1683_41:
	s_or_b64 exec, exec, s[2:3]
                                        ; implicit-def: $vgpr22
	s_and_saveexec_b64 s[2:3], s[20:21]
	s_cbranch_execz .LBB1683_157
.LBB1683_42:
	v_mov_b32_e32 v20, s56
	v_add_co_u32_e32 v22, vcc, s47, v23
	v_addc_co_u32_e32 v23, vcc, 0, v20, vcc
	flat_load_dword v20, v[22:23]
	s_waitcnt vmcnt(0) lgkmcnt(0)
	v_cvt_f32_u32_e32 v22, v20
	s_or_b64 exec, exec, s[2:3]
                                        ; implicit-def: $vgpr23
	s_and_saveexec_b64 s[2:3], s[22:23]
	s_cbranch_execnz .LBB1683_158
.LBB1683_43:
	s_or_b64 exec, exec, s[2:3]
                                        ; implicit-def: $vgpr24
	s_and_saveexec_b64 s[2:3], s[24:25]
	s_cbranch_execz .LBB1683_45
.LBB1683_44:
	v_mov_b32_e32 v20, s56
	v_add_co_u32_e32 v24, vcc, s47, v25
	v_addc_co_u32_e32 v25, vcc, 0, v20, vcc
	flat_load_dword v20, v[24:25]
	s_waitcnt vmcnt(0) lgkmcnt(0)
	v_cvt_f32_u32_e32 v24, v20
.LBB1683_45:
	s_or_b64 exec, exec, s[2:3]
	v_mul_u32_u24_e32 v20, 14, v0
                                        ; implicit-def: $vgpr25
	s_and_saveexec_b64 s[2:3], s[26:27]
	s_cbranch_execz .LBB1683_47
; %bb.46:
	v_mov_b32_e32 v25, s56
	v_add_co_u32_e32 v34, vcc, s47, v26
	v_addc_co_u32_e32 v35, vcc, 0, v25, vcc
	flat_load_dword v25, v[34:35]
	s_waitcnt vmcnt(0) lgkmcnt(0)
	v_cvt_f32_u32_e32 v25, v25
.LBB1683_47:
	s_or_b64 exec, exec, s[2:3]
	ds_write2st64_b32 v27, v28, v29 offset1:4
	ds_write2st64_b32 v27, v30, v31 offset0:8 offset1:12
	ds_write2st64_b32 v27, v32, v1 offset0:16 offset1:20
	;; [unrolled: 1-line block ×6, first 2 shown]
	v_cmp_gt_u32_e32 vcc, s58, v20
	s_mov_b64 s[2:3], 0
	s_mov_b32 s57, 0
	v_mov_b32_e32 v1, 0
	v_mov_b32_e32 v24, 0
	s_mov_b64 s[10:11], 0
	v_mov_b32_e32 v39, 0
	v_mov_b32_e32 v28, 0
	;; [unrolled: 1-line block ×24, first 2 shown]
	s_waitcnt lgkmcnt(0)
	s_barrier
	s_waitcnt lgkmcnt(0)
                                        ; implicit-def: $sgpr8_sgpr9
                                        ; implicit-def: $vgpr16
	s_and_saveexec_b64 s[4:5], vcc
	s_cbranch_execz .LBB1683_75
; %bb.48:
	ds_read_b32 v16, v19
	v_or_b32_e32 v17, 1, v20
	v_cmp_ne_u32_e32 vcc, v10, v11
	v_mov_b32_e32 v10, s7
	v_cndmask_b32_e64 v1, 0, 1, vcc
	s_waitcnt lgkmcnt(0)
	v_cndmask_b32_e32 v28, v16, v10, vcc
	v_cmp_gt_u32_e32 vcc, s58, v17
	v_mov_b32_e32 v24, 0
	v_mov_b32_e32 v39, 0
	;; [unrolled: 1-line block ×24, first 2 shown]
                                        ; implicit-def: $sgpr12_sgpr13
                                        ; implicit-def: $vgpr16
	s_and_saveexec_b64 s[8:9], vcc
	s_cbranch_execz .LBB1683_74
; %bb.49:
	ds_read2_b32 v[16:17], v19 offset0:1 offset1:2
	v_add_u32_e32 v10, 2, v20
	v_cmp_ne_u32_e32 vcc, v11, v12
	v_mov_b32_e32 v11, s7
	v_cndmask_b32_e64 v32, 0, 1, vcc
	s_waitcnt lgkmcnt(0)
	v_cndmask_b32_e32 v26, v16, v11, vcc
	v_cmp_gt_u32_e32 vcc, s58, v10
	s_mov_b64 s[14:15], 0
	v_mov_b32_e32 v24, 0
	v_mov_b32_e32 v39, 0
	;; [unrolled: 1-line block ×22, first 2 shown]
                                        ; implicit-def: $sgpr12_sgpr13
                                        ; implicit-def: $vgpr16
	s_and_saveexec_b64 s[10:11], vcc
	s_cbranch_execz .LBB1683_73
; %bb.50:
	v_add_u32_e32 v10, 3, v20
	v_cmp_ne_u32_e32 vcc, v12, v13
	v_mov_b32_e32 v11, s7
	v_cndmask_b32_e64 v35, 0, 1, vcc
	v_cndmask_b32_e32 v27, v17, v11, vcc
	v_cmp_gt_u32_e32 vcc, s58, v10
	v_mov_b32_e32 v24, 0
	v_mov_b32_e32 v39, 0
	;; [unrolled: 1-line block ×20, first 2 shown]
                                        ; implicit-def: $sgpr16_sgpr17
                                        ; implicit-def: $vgpr16
	s_and_saveexec_b64 s[12:13], vcc
	s_cbranch_execz .LBB1683_72
; %bb.51:
	ds_read2_b32 v[10:11], v19 offset0:3 offset1:4
	v_add_u32_e32 v12, 4, v20
	v_cmp_ne_u32_e32 vcc, v13, v6
	v_mov_b32_e32 v13, s7
	v_cndmask_b32_e64 v40, 0, 1, vcc
	s_waitcnt lgkmcnt(0)
	v_cndmask_b32_e32 v29, v10, v13, vcc
	v_cmp_gt_u32_e32 vcc, s58, v12
	s_mov_b64 s[18:19], 0
	v_mov_b32_e32 v24, 0
	v_mov_b32_e32 v39, 0
	;; [unrolled: 1-line block ×18, first 2 shown]
                                        ; implicit-def: $sgpr16_sgpr17
                                        ; implicit-def: $vgpr16
	s_and_saveexec_b64 s[14:15], vcc
	s_cbranch_execz .LBB1683_71
; %bb.52:
	v_add_u32_e32 v10, 5, v20
	v_cmp_ne_u32_e32 vcc, v6, v7
	v_mov_b32_e32 v6, s7
	v_cndmask_b32_e64 v41, 0, 1, vcc
	v_cndmask_b32_e32 v25, v11, v6, vcc
	v_cmp_gt_u32_e32 vcc, s58, v10
	v_mov_b32_e32 v24, 0
	v_mov_b32_e32 v39, 0
	;; [unrolled: 1-line block ×16, first 2 shown]
                                        ; implicit-def: $sgpr20_sgpr21
                                        ; implicit-def: $vgpr16
	s_and_saveexec_b64 s[16:17], vcc
	s_cbranch_execz .LBB1683_70
; %bb.53:
	ds_read2_b32 v[10:11], v19 offset0:5 offset1:6
	v_add_u32_e32 v6, 6, v20
	v_cmp_ne_u32_e32 vcc, v7, v8
	v_mov_b32_e32 v7, s7
	v_cndmask_b32_e64 v42, 0, 1, vcc
	s_waitcnt lgkmcnt(0)
	v_cndmask_b32_e32 v30, v10, v7, vcc
	v_cmp_gt_u32_e32 vcc, s58, v6
	s_mov_b64 s[22:23], 0
	v_mov_b32_e32 v24, 0
	v_mov_b32_e32 v39, 0
	v_mov_b32_e32 v38, 0
	v_mov_b32_e32 v48, 0
	v_mov_b32_e32 v37, 0
	v_mov_b32_e32 v47, 0
	v_mov_b32_e32 v36, 0
	v_mov_b32_e32 v46, 0
	v_mov_b32_e32 v34, 0
	v_mov_b32_e32 v45, 0
	v_mov_b32_e32 v33, 0
	v_mov_b32_e32 v44, 0
	v_mov_b32_e32 v31, 0
	v_mov_b32_e32 v43, 0
                                        ; implicit-def: $sgpr20_sgpr21
                                        ; implicit-def: $vgpr16
	s_and_saveexec_b64 s[18:19], vcc
	s_cbranch_execz .LBB1683_69
; %bb.54:
	v_add_u32_e32 v6, 7, v20
	v_cmp_ne_u32_e32 vcc, v8, v9
	v_mov_b32_e32 v7, s7
	v_cndmask_b32_e64 v43, 0, 1, vcc
	v_cndmask_b32_e32 v31, v11, v7, vcc
	v_cmp_gt_u32_e32 vcc, s58, v6
	v_mov_b32_e32 v24, 0
	v_mov_b32_e32 v39, 0
	;; [unrolled: 1-line block ×12, first 2 shown]
                                        ; implicit-def: $sgpr24_sgpr25
                                        ; implicit-def: $vgpr16
	s_and_saveexec_b64 s[20:21], vcc
	s_cbranch_execz .LBB1683_68
; %bb.55:
	ds_read2_b32 v[6:7], v19 offset0:7 offset1:8
	v_add_u32_e32 v8, 8, v20
	v_cmp_ne_u32_e32 vcc, v9, v2
	v_mov_b32_e32 v9, s7
	v_cndmask_b32_e64 v44, 0, 1, vcc
	s_waitcnt lgkmcnt(0)
	v_cndmask_b32_e32 v33, v6, v9, vcc
	v_cmp_gt_u32_e32 vcc, s58, v8
	s_mov_b64 s[26:27], 0
	v_mov_b32_e32 v24, 0
	v_mov_b32_e32 v39, 0
	v_mov_b32_e32 v38, 0
	v_mov_b32_e32 v48, 0
	v_mov_b32_e32 v37, 0
	v_mov_b32_e32 v47, 0
	v_mov_b32_e32 v36, 0
	v_mov_b32_e32 v46, 0
	v_mov_b32_e32 v34, 0
	v_mov_b32_e32 v45, 0
                                        ; implicit-def: $sgpr24_sgpr25
                                        ; implicit-def: $vgpr16
	s_and_saveexec_b64 s[22:23], vcc
	s_cbranch_execz .LBB1683_67
; %bb.56:
	v_add_u32_e32 v6, 9, v20
	v_cmp_ne_u32_e32 vcc, v2, v3
	v_mov_b32_e32 v2, s7
	v_cndmask_b32_e64 v45, 0, 1, vcc
	v_cndmask_b32_e32 v34, v7, v2, vcc
	v_cmp_gt_u32_e32 vcc, s58, v6
	v_mov_b32_e32 v24, 0
	v_mov_b32_e32 v39, 0
	;; [unrolled: 1-line block ×8, first 2 shown]
                                        ; implicit-def: $sgpr28_sgpr29
                                        ; implicit-def: $vgpr16
	s_and_saveexec_b64 s[24:25], vcc
	s_cbranch_execz .LBB1683_66
; %bb.57:
	ds_read2_b32 v[6:7], v19 offset0:9 offset1:10
	v_add_u32_e32 v2, 10, v20
	v_cmp_ne_u32_e32 vcc, v3, v4
	v_mov_b32_e32 v3, s7
	v_cndmask_b32_e64 v46, 0, 1, vcc
	s_waitcnt lgkmcnt(0)
	v_cndmask_b32_e32 v36, v6, v3, vcc
	v_cmp_gt_u32_e32 vcc, s58, v2
	s_mov_b64 s[30:31], 0
	v_mov_b32_e32 v24, 0
	v_mov_b32_e32 v39, 0
	;; [unrolled: 1-line block ×6, first 2 shown]
                                        ; implicit-def: $sgpr28_sgpr29
                                        ; implicit-def: $vgpr16
	s_and_saveexec_b64 s[26:27], vcc
	s_cbranch_execz .LBB1683_65
; %bb.58:
	v_add_u32_e32 v2, 11, v20
	v_cmp_ne_u32_e32 vcc, v4, v5
	v_mov_b32_e32 v3, s7
	v_cndmask_b32_e64 v47, 0, 1, vcc
	v_cndmask_b32_e32 v37, v7, v3, vcc
	v_cmp_gt_u32_e32 vcc, s58, v2
	v_mov_b32_e32 v24, 0
	v_mov_b32_e32 v39, 0
	;; [unrolled: 1-line block ×4, first 2 shown]
                                        ; implicit-def: $sgpr40_sgpr41
                                        ; implicit-def: $vgpr16
	s_and_saveexec_b64 s[28:29], vcc
	s_cbranch_execz .LBB1683_64
; %bb.59:
	ds_read2_b32 v[2:3], v19 offset0:11 offset1:12
	v_add_u32_e32 v4, 12, v20
	v_cmp_ne_u32_e32 vcc, v5, v14
	v_mov_b32_e32 v5, s7
	v_cndmask_b32_e64 v48, 0, 1, vcc
	s_waitcnt lgkmcnt(0)
	v_cndmask_b32_e32 v38, v2, v5, vcc
	v_cmp_gt_u32_e32 vcc, s58, v4
	s_mov_b64 s[48:49], 0
	v_mov_b32_e32 v24, 0
	v_mov_b32_e32 v39, 0
                                        ; implicit-def: $sgpr54_sgpr55
                                        ; implicit-def: $vgpr16
	s_and_saveexec_b64 s[30:31], vcc
	s_cbranch_execz .LBB1683_63
; %bb.60:
	v_add_u32_e32 v2, 13, v20
	v_cmp_ne_u32_e32 vcc, v14, v15
	v_mov_b32_e32 v4, s7
	v_cndmask_b32_e64 v39, 0, 1, vcc
	v_cndmask_b32_e32 v24, v3, v4, vcc
	v_cmp_gt_u32_e32 vcc, s58, v2
	s_mov_b64 s[40:41], 0
                                        ; implicit-def: $sgpr48_sgpr49
                                        ; implicit-def: $vgpr16
	s_and_saveexec_b64 s[54:55], vcc
	s_xor_b64 s[54:55], exec, s[54:55]
	s_cbranch_execz .LBB1683_62
; %bb.61:
	ds_read_b32 v2, v19 offset:52
	v_mov_b32_e32 v3, s7
	s_waitcnt vmcnt(0)
	v_cmp_ne_u32_e32 vcc, v15, v18
	s_mov_b64 s[40:41], exec
	s_and_b64 s[48:49], vcc, exec
	s_waitcnt lgkmcnt(0)
	v_cndmask_b32_e32 v16, v2, v3, vcc
.LBB1683_62:
	s_or_b64 exec, exec, s[54:55]
	s_and_b64 s[54:55], s[48:49], exec
	s_and_b64 s[48:49], s[40:41], exec
.LBB1683_63:
	s_or_b64 exec, exec, s[30:31]
	s_and_b64 s[40:41], s[54:55], exec
	s_and_b64 s[30:31], s[48:49], exec
.LBB1683_64:
	s_or_b64 exec, exec, s[28:29]
	s_and_b64 s[28:29], s[40:41], exec
	s_and_b64 s[30:31], s[30:31], exec
.LBB1683_65:
	s_or_b64 exec, exec, s[26:27]
	s_and_b64 s[28:29], s[28:29], exec
	s_and_b64 s[26:27], s[30:31], exec
.LBB1683_66:
	s_or_b64 exec, exec, s[24:25]
	s_and_b64 s[24:25], s[28:29], exec
	s_and_b64 s[26:27], s[26:27], exec
.LBB1683_67:
	s_or_b64 exec, exec, s[22:23]
	s_and_b64 s[24:25], s[24:25], exec
	s_and_b64 s[22:23], s[26:27], exec
.LBB1683_68:
	s_or_b64 exec, exec, s[20:21]
	s_and_b64 s[20:21], s[24:25], exec
	s_and_b64 s[22:23], s[22:23], exec
.LBB1683_69:
	s_or_b64 exec, exec, s[18:19]
	s_and_b64 s[20:21], s[20:21], exec
	s_and_b64 s[18:19], s[22:23], exec
.LBB1683_70:
	s_or_b64 exec, exec, s[16:17]
	s_and_b64 s[16:17], s[20:21], exec
	s_and_b64 s[18:19], s[18:19], exec
.LBB1683_71:
	s_or_b64 exec, exec, s[14:15]
	s_and_b64 s[16:17], s[16:17], exec
	s_and_b64 s[14:15], s[18:19], exec
.LBB1683_72:
	s_or_b64 exec, exec, s[12:13]
	s_and_b64 s[12:13], s[16:17], exec
	s_and_b64 s[14:15], s[14:15], exec
.LBB1683_73:
	s_or_b64 exec, exec, s[10:11]
	s_and_b64 s[12:13], s[12:13], exec
	s_and_b64 s[10:11], s[14:15], exec
.LBB1683_74:
	s_or_b64 exec, exec, s[8:9]
	s_and_b64 s[8:9], s[12:13], exec
	s_and_b64 s[10:11], s[10:11], exec
.LBB1683_75:
	s_or_b64 exec, exec, s[4:5]
	s_mov_b32 s4, 0
	s_and_b64 vcc, exec, s[2:3]
	v_lshlrev_b32_e32 v49, 2, v0
	s_cbranch_vccnz .LBB1683_77
	s_branch .LBB1683_82
.LBB1683_76:
	s_mov_b64 s[10:11], 0
                                        ; implicit-def: $sgpr8_sgpr9
                                        ; implicit-def: $vgpr16
                                        ; implicit-def: $vgpr1
                                        ; implicit-def: $vgpr24
                                        ; implicit-def: $vgpr39
                                        ; implicit-def: $vgpr28
                                        ; implicit-def: $vgpr38
                                        ; implicit-def: $vgpr48
                                        ; implicit-def: $vgpr32
                                        ; implicit-def: $vgpr37
                                        ; implicit-def: $vgpr47
                                        ; implicit-def: $vgpr26
                                        ; implicit-def: $vgpr36
                                        ; implicit-def: $vgpr46
                                        ; implicit-def: $vgpr35
                                        ; implicit-def: $vgpr34
                                        ; implicit-def: $vgpr45
                                        ; implicit-def: $vgpr27
                                        ; implicit-def: $vgpr33
                                        ; implicit-def: $vgpr44
                                        ; implicit-def: $vgpr40
                                        ; implicit-def: $vgpr31
                                        ; implicit-def: $vgpr43
                                        ; implicit-def: $vgpr29
                                        ; implicit-def: $vgpr30
                                        ; implicit-def: $vgpr42
                                        ; implicit-def: $vgpr41
                                        ; implicit-def: $vgpr25
                                        ; implicit-def: $sgpr4
                                        ; implicit-def: $sgpr57
	s_and_b64 vcc, exec, s[2:3]
	v_lshlrev_b32_e32 v49, 2, v0
	s_cbranch_vccz .LBB1683_82
.LBB1683_77:
	v_mov_b32_e32 v1, s39
	v_add_co_u32_e32 v2, vcc, s38, v49
	v_addc_co_u32_e32 v3, vcc, 0, v1, vcc
	v_add_co_u32_e32 v4, vcc, 0x1000, v2
	v_addc_co_u32_e32 v5, vcc, 0, v3, vcc
	flat_load_dword v1, v[2:3]
	flat_load_dword v6, v[2:3] offset:1024
	flat_load_dword v7, v[2:3] offset:2048
	;; [unrolled: 1-line block ×3, first 2 shown]
	flat_load_dword v9, v[4:5]
	flat_load_dword v10, v[4:5] offset:1024
	flat_load_dword v11, v[4:5] offset:2048
	flat_load_dword v12, v[4:5] offset:3072
	v_add_co_u32_e32 v4, vcc, 0x2000, v2
	v_addc_co_u32_e32 v5, vcc, 0, v3, vcc
	v_add_co_u32_e32 v2, vcc, 0x3000, v2
	v_addc_co_u32_e32 v3, vcc, 0, v3, vcc
	flat_load_dword v13, v[4:5]
	flat_load_dword v14, v[4:5] offset:1024
	flat_load_dword v15, v[4:5] offset:2048
	;; [unrolled: 1-line block ×3, first 2 shown]
	flat_load_dword v17, v[2:3]
	s_waitcnt vmcnt(0)
	flat_load_dword v18, v[2:3] offset:1024
	v_mov_b32_e32 v2, s38
	v_mov_b32_e32 v3, s39
	v_add_co_u32_e32 v2, vcc, 0x3000, v2
	v_addc_co_u32_e32 v3, vcc, 0, v3, vcc
	s_movk_i32 s2, 0xffcc
	s_movk_i32 s8, 0x1000
	;; [unrolled: 1-line block ×4, first 2 shown]
	s_waitcnt lgkmcnt(0)
	ds_write2st64_b32 v49, v1, v6 offset1:4
	ds_write2st64_b32 v49, v7, v8 offset0:8 offset1:12
	ds_write2st64_b32 v49, v9, v10 offset0:16 offset1:20
	;; [unrolled: 1-line block ×5, first 2 shown]
	s_waitcnt vmcnt(0)
	ds_write2st64_b32 v49, v17, v18 offset0:48 offset1:52
	s_waitcnt lgkmcnt(0)
	s_barrier
	flat_load_dword v50, v[2:3] offset:2048
	v_mad_u32_u24 v1, v0, 52, v49
	ds_read2_b64 v[10:13], v1 offset1:1
	ds_read2_b64 v[6:9], v1 offset0:2 offset1:3
	ds_read2_b64 v[2:5], v1 offset0:4 offset1:5
	ds_read_b64 v[14:15], v1 offset:48
	v_mad_i32_i24 v16, v0, s2, v1
	s_movk_i32 s2, 0xff
	v_cmp_ne_u32_e32 vcc, s2, v0
	s_waitcnt lgkmcnt(0)
	ds_write_b32 v16, v10 offset:15360
	s_waitcnt lgkmcnt(0)
	s_barrier
	s_and_saveexec_b64 s[2:3], vcc
	s_cbranch_execz .LBB1683_79
; %bb.78:
	s_waitcnt vmcnt(0)
	ds_read_b32 v50, v49 offset:15364
.LBB1683_79:
	s_or_b64 exec, exec, s[2:3]
	v_mov_b32_e32 v17, s56
	v_add_co_u32_e32 v16, vcc, s47, v49
	v_addc_co_u32_e32 v17, vcc, 0, v17, vcc
	v_add_co_u32_e32 v18, vcc, s8, v16
	v_addc_co_u32_e32 v19, vcc, 0, v17, vcc
	s_waitcnt lgkmcnt(0)
	s_barrier
	flat_load_dword v20, v[16:17]
	flat_load_dword v21, v[16:17] offset:1024
	flat_load_dword v22, v[16:17] offset:2048
	;; [unrolled: 1-line block ×3, first 2 shown]
	flat_load_dword v24, v[18:19]
	flat_load_dword v25, v[18:19] offset:1024
	flat_load_dword v26, v[18:19] offset:2048
	;; [unrolled: 1-line block ×3, first 2 shown]
	v_add_co_u32_e32 v18, vcc, s5, v16
	v_addc_co_u32_e32 v19, vcc, 0, v17, vcc
	v_add_co_u32_e32 v16, vcc, s4, v16
	v_addc_co_u32_e32 v17, vcc, 0, v17, vcc
	flat_load_dword v28, v[18:19]
	flat_load_dword v29, v[18:19] offset:1024
	flat_load_dword v30, v[18:19] offset:2048
	;; [unrolled: 1-line block ×3, first 2 shown]
	flat_load_dword v32, v[16:17]
	flat_load_dword v33, v[16:17] offset:1024
	v_cmp_ne_u32_e32 vcc, v10, v11
	v_cmp_eq_u32_e64 s[2:3], v10, v11
	s_waitcnt vmcnt(0) lgkmcnt(0)
	v_cvt_f32_u32_e32 v16, v20
	v_cvt_f32_u32_e32 v17, v21
	v_cvt_f32_u32_e32 v18, v22
	v_cvt_f32_u32_e32 v19, v23
	v_cvt_f32_u32_e32 v20, v24
	v_cvt_f32_u32_e32 v21, v25
	v_cvt_f32_u32_e32 v22, v26
	v_cvt_f32_u32_e32 v23, v27
	v_cvt_f32_u32_e32 v24, v28
	v_cvt_f32_u32_e32 v25, v29
	v_cvt_f32_u32_e32 v26, v30
	v_cvt_f32_u32_e32 v27, v31
	v_cvt_f32_u32_e32 v28, v32
	v_cvt_f32_u32_e32 v29, v33
	ds_write2st64_b32 v49, v16, v17 offset1:4
	ds_write2st64_b32 v49, v18, v19 offset0:8 offset1:12
	ds_write2st64_b32 v49, v20, v21 offset0:16 offset1:20
	;; [unrolled: 1-line block ×6, first 2 shown]
	s_waitcnt lgkmcnt(0)
	s_barrier
	ds_read2_b32 v[26:27], v1 offset0:1 offset1:2
	ds_read2_b32 v[24:25], v1 offset0:3 offset1:4
	;; [unrolled: 1-line block ×6, first 2 shown]
	ds_read_b32 v51, v1 offset:52
	v_mov_b32_e32 v28, s7
	s_and_saveexec_b64 s[4:5], s[2:3]
	s_cbranch_execz .LBB1683_81
; %bb.80:
	ds_read_b32 v28, v1
.LBB1683_81:
	s_or_b64 exec, exec, s[4:5]
	v_cmp_ne_u32_e64 s[8:9], v6, v7
	v_cmp_ne_u32_e64 s[14:15], v9, v2
	;; [unrolled: 1-line block ×3, first 2 shown]
	v_mov_b32_e32 v2, s7
	v_cndmask_b32_e64 v1, 0, 1, vcc
	v_cmp_ne_u32_e32 vcc, v11, v12
	v_cmp_ne_u32_e64 s[2:3], v12, v13
	v_cmp_ne_u32_e64 s[4:5], v13, v6
	v_cndmask_b32_e64 v41, 0, 1, s[8:9]
	v_cmp_ne_u32_e64 s[10:11], v7, v8
	v_cmp_ne_u32_e64 s[12:13], v8, v9
	;; [unrolled: 1-line block ×6, first 2 shown]
	s_waitcnt lgkmcnt(5)
	v_cndmask_b32_e64 v25, v25, v2, s[8:9]
	v_cmp_ne_u32_e64 s[8:9], v15, v50
	v_cndmask_b32_e64 v32, 0, 1, vcc
	v_cndmask_b32_e64 v35, 0, 1, s[2:3]
	v_cndmask_b32_e64 v40, 0, 1, s[4:5]
	v_cndmask_b32_e64 v42, 0, 1, s[10:11]
	v_cndmask_b32_e64 v43, 0, 1, s[12:13]
	v_cndmask_b32_e64 v44, 0, 1, s[14:15]
	v_cndmask_b32_e64 v45, 0, 1, s[16:17]
	v_cndmask_b32_e64 v46, 0, 1, s[18:19]
	v_cndmask_b32_e64 v47, 0, 1, s[20:21]
	v_cndmask_b32_e64 v48, 0, 1, s[22:23]
	v_cndmask_b32_e64 v39, 0, 1, s[24:25]
	v_cndmask_b32_e32 v26, v26, v2, vcc
	v_cndmask_b32_e64 v27, v27, v2, s[2:3]
	v_cndmask_b32_e64 v29, v24, v2, s[4:5]
	s_waitcnt lgkmcnt(4)
	v_cndmask_b32_e64 v30, v22, v2, s[10:11]
	v_cndmask_b32_e64 v31, v23, v2, s[12:13]
	s_waitcnt lgkmcnt(3)
	;; [unrolled: 3-line block ×5, first 2 shown]
	v_cndmask_b32_e64 v16, v51, v2, s[8:9]
	s_mov_b64 s[10:11], -1
                                        ; implicit-def: $sgpr4
                                        ; implicit-def: $sgpr57
.LBB1683_82:
	v_mov_b32_e32 v14, s57
	v_mov_b32_e32 v15, s4
	s_and_saveexec_b64 s[2:3], s[10:11]
; %bb.83:
	v_cndmask_b32_e64 v14, 0, 1, s[8:9]
	v_mov_b32_e32 v15, v16
; %bb.84:
	s_or_b64 exec, exec, s[2:3]
	v_or_b32_e32 v2, v14, v39
	s_cmp_lg_u32 s6, 0
	v_add_f32_e32 v52, v26, v28
	v_or_b32_e32 v51, v2, v48
	v_mbcnt_lo_u32_b32 v50, -1, 0
	s_barrier
	s_cbranch_scc0 .LBB1683_159
; %bb.85:
	v_mov_b32_e32 v2, 0
	v_cmp_eq_u16_sdwa s[2:3], v32, v2 src0_sel:BYTE_0 src1_sel:DWORD
	v_cndmask_b32_e64 v3, v26, v52, s[2:3]
	v_add_f32_e32 v3, v27, v3
	v_cmp_eq_u16_sdwa s[4:5], v35, v2 src0_sel:BYTE_0 src1_sel:DWORD
	v_cndmask_b32_e64 v3, v27, v3, s[4:5]
	v_add_f32_e32 v3, v29, v3
	;; [unrolled: 3-line block ×7, first 2 shown]
	v_cmp_eq_u16_sdwa s[16:17], v45, v2 src0_sel:BYTE_0 src1_sel:DWORD
	v_cmp_eq_u16_sdwa s[18:19], v46, v2 src0_sel:BYTE_0 src1_sel:DWORD
	;; [unrolled: 1-line block ×5, first 2 shown]
	v_cmp_eq_u16_sdwa vcc, v14, v2 src0_sel:BYTE_0 src1_sel:DWORD
	v_or_b32_e32 v2, v51, v47
	v_cndmask_b32_e64 v3, v34, v3, s[16:17]
	v_or_b32_e32 v2, v2, v46
	v_add_f32_e32 v3, v36, v3
	v_or_b32_e32 v2, v2, v45
	v_cndmask_b32_e64 v3, v36, v3, s[18:19]
	v_or_b32_e32 v2, v2, v44
	v_add_f32_e32 v3, v37, v3
	;; [unrolled: 4-line block ×5, first 2 shown]
	v_and_b32_e32 v2, 1, v2
	v_and_b32_e32 v5, 0xff, v1
	v_cndmask_b32_e32 v4, v15, v3, vcc
	v_cmp_eq_u32_e32 vcc, 1, v2
	v_mbcnt_hi_u32_b32 v11, -1, v50
	v_cndmask_b32_e64 v5, v5, 1, vcc
	v_and_b32_e32 v2, 15, v11
	v_mov_b32_dpp v6, v4 row_shr:1 row_mask:0xf bank_mask:0xf
	v_mov_b32_dpp v3, v5 row_shr:1 row_mask:0xf bank_mask:0xf
	v_cmp_ne_u32_e32 vcc, 0, v2
	s_and_saveexec_b64 s[26:27], vcc
; %bb.86:
	v_add_f32_e32 v6, v4, v6
	v_cmp_eq_u32_e32 vcc, 0, v5
	v_and_b32_e32 v5, 1, v5
	v_cndmask_b32_e32 v4, v4, v6, vcc
	v_and_b32_e32 v3, 1, v3
	v_cmp_eq_u32_e32 vcc, 1, v5
	v_cndmask_b32_e64 v5, v3, 1, vcc
; %bb.87:
	s_or_b64 exec, exec, s[26:27]
	v_mov_b32_dpp v6, v4 row_shr:2 row_mask:0xf bank_mask:0xf
	v_mov_b32_dpp v3, v5 row_shr:2 row_mask:0xf bank_mask:0xf
	v_cmp_lt_u32_e32 vcc, 1, v2
	s_and_saveexec_b64 s[26:27], vcc
; %bb.88:
	v_add_f32_e32 v6, v4, v6
	v_cmp_eq_u32_e32 vcc, 0, v5
	v_and_b32_e32 v5, 1, v5
	v_cndmask_b32_e32 v4, v4, v6, vcc
	v_and_b32_e32 v3, 1, v3
	v_cmp_eq_u32_e32 vcc, 1, v5
	v_cndmask_b32_e64 v5, v3, 1, vcc
; %bb.89:
	s_or_b64 exec, exec, s[26:27]
	v_mov_b32_dpp v6, v4 row_shr:4 row_mask:0xf bank_mask:0xf
	v_mov_b32_dpp v3, v5 row_shr:4 row_mask:0xf bank_mask:0xf
	v_cmp_lt_u32_e32 vcc, 3, v2
	;; [unrolled: 14-line block ×3, first 2 shown]
	s_and_saveexec_b64 s[26:27], vcc
; %bb.92:
	v_add_f32_e32 v2, v4, v6
	v_cmp_eq_u32_e32 vcc, 0, v5
	v_cndmask_b32_e32 v4, v4, v2, vcc
	v_and_b32_e32 v2, 1, v5
	v_and_b32_e32 v3, 1, v3
	v_cmp_eq_u32_e32 vcc, 1, v2
	v_cndmask_b32_e64 v5, v3, 1, vcc
; %bb.93:
	s_or_b64 exec, exec, s[26:27]
	v_and_b32_e32 v6, 16, v11
	v_mov_b32_dpp v3, v4 row_bcast:15 row_mask:0xf bank_mask:0xf
	v_mov_b32_dpp v2, v5 row_bcast:15 row_mask:0xf bank_mask:0xf
	v_cmp_ne_u32_e32 vcc, 0, v6
	s_and_saveexec_b64 s[26:27], vcc
; %bb.94:
	v_add_f32_e32 v3, v4, v3
	v_cmp_eq_u32_e32 vcc, 0, v5
	v_cndmask_b32_e32 v4, v4, v3, vcc
	v_and_b32_e32 v3, 1, v5
	v_and_b32_e32 v2, 1, v2
	v_cmp_eq_u32_e32 vcc, 1, v3
	v_cndmask_b32_e64 v5, v2, 1, vcc
; %bb.95:
	s_or_b64 exec, exec, s[26:27]
	v_mov_b32_dpp v3, v4 row_bcast:31 row_mask:0xf bank_mask:0xf
	v_mov_b32_dpp v2, v5 row_bcast:31 row_mask:0xf bank_mask:0xf
	v_cmp_lt_u32_e32 vcc, 31, v11
	s_and_saveexec_b64 s[26:27], vcc
; %bb.96:
	v_add_f32_e32 v3, v4, v3
	v_cmp_eq_u32_e32 vcc, 0, v5
	v_cndmask_b32_e32 v4, v4, v3, vcc
	v_and_b32_e32 v3, 1, v5
	v_and_b32_e32 v2, 1, v2
	v_cmp_eq_u32_e32 vcc, 1, v3
	v_cndmask_b32_e64 v5, v2, 1, vcc
; %bb.97:
	s_or_b64 exec, exec, s[26:27]
	v_or_b32_e32 v2, 63, v0
	v_lshrrev_b32_e32 v6, 6, v0
	v_cmp_eq_u32_e32 vcc, v2, v0
	s_and_saveexec_b64 s[26:27], vcc
	s_cbranch_execz .LBB1683_99
; %bb.98:
	v_lshlrev_b32_e32 v2, 3, v6
	ds_write_b32 v2, v4
	ds_write_b8 v2, v5 offset:4
.LBB1683_99:
	s_or_b64 exec, exec, s[26:27]
	v_cmp_gt_u32_e32 vcc, 4, v0
	s_waitcnt lgkmcnt(0)
	s_barrier
	s_and_saveexec_b64 s[26:27], vcc
	s_cbranch_execz .LBB1683_103
; %bb.100:
	v_lshlrev_b32_e32 v7, 3, v0
	ds_read_b64 v[2:3], v7
	v_and_b32_e32 v8, 3, v11
	v_cmp_ne_u32_e32 vcc, 0, v8
	s_waitcnt lgkmcnt(0)
	v_mov_b32_dpp v12, v2 row_shr:1 row_mask:0xf bank_mask:0xf
	v_mov_b32_dpp v10, v3 row_shr:1 row_mask:0xf bank_mask:0xf
	v_mov_b32_e32 v9, v3
	s_and_saveexec_b64 s[30:31], vcc
; %bb.101:
	v_mov_b32_e32 v9, 0
	v_add_f32_e32 v12, v2, v12
	v_cmp_eq_u16_sdwa vcc, v3, v9 src0_sel:BYTE_0 src1_sel:DWORD
	v_and_b32_e32 v9, 1, v3
	v_cndmask_b32_e32 v2, v2, v12, vcc
	v_and_b32_e32 v10, 1, v10
	v_cmp_eq_u32_e32 vcc, 1, v9
	v_cndmask_b32_e64 v9, v10, 1, vcc
	s_movk_i32 s38, 0xff00
	v_and_or_b32 v3, v3, s38, v9
; %bb.102:
	s_or_b64 exec, exec, s[30:31]
	v_mov_b32_e32 v13, 0
	v_mov_b32_dpp v12, v3 row_shr:2 row_mask:0xf bank_mask:0xf
	v_cmp_eq_u16_sdwa s[30:31], v9, v13 src0_sel:BYTE_0 src1_sel:DWORD
	v_and_b32_e32 v9, 1, v9
	v_and_b32_e32 v12, 1, v12
	v_cmp_eq_u32_e32 vcc, 1, v9
	v_mov_b32_dpp v10, v2 row_shr:2 row_mask:0xf bank_mask:0xf
	v_cndmask_b32_e64 v9, v12, 1, vcc
	v_cmp_lt_u32_e32 vcc, 1, v8
	v_add_f32_e32 v10, v2, v10
	v_cndmask_b32_e32 v3, v3, v9, vcc
	s_and_b64 vcc, vcc, s[30:31]
	v_cndmask_b32_e32 v2, v2, v10, vcc
	ds_write_b32 v7, v2
	ds_write_b8 v7, v3 offset:4
.LBB1683_103:
	s_or_b64 exec, exec, s[26:27]
	v_cmp_gt_u32_e32 vcc, 64, v0
	v_cmp_lt_u32_e64 s[26:27], 63, v0
	v_mov_b32_e32 v16, 0
	v_mov_b32_e32 v17, 0
	s_waitcnt lgkmcnt(0)
	s_barrier
	s_and_saveexec_b64 s[30:31], s[26:27]
	s_cbranch_execz .LBB1683_105
; %bb.104:
	v_lshl_add_u32 v2, v6, 3, -8
	ds_read_b32 v16, v2
	ds_read_u8 v17, v2 offset:4
	v_and_b32_e32 v2, 1, v5
	v_cmp_eq_u32_e64 s[26:27], 0, v5
	s_waitcnt lgkmcnt(0)
	v_add_f32_e32 v3, v4, v16
	v_and_b32_e32 v6, 1, v17
	v_cndmask_b32_e64 v4, v4, v3, s[26:27]
	v_cmp_eq_u32_e64 s[26:27], 1, v2
	v_cndmask_b32_e64 v5, v6, 1, s[26:27]
.LBB1683_105:
	s_or_b64 exec, exec, s[30:31]
	v_add_u32_e32 v2, -1, v11
	v_and_b32_e32 v3, 64, v11
	v_cmp_lt_i32_e64 s[26:27], v2, v3
	v_cndmask_b32_e64 v2, v2, v11, s[26:27]
	v_lshlrev_b32_e32 v2, 2, v2
	s_waitcnt vmcnt(0)
	ds_bpermute_b32 v18, v2, v4
	ds_bpermute_b32 v19, v2, v5
	v_cmp_eq_u32_e64 s[26:27], 0, v11
	s_and_saveexec_b64 s[30:31], vcc
	s_cbranch_execz .LBB1683_146
; %bb.106:
	v_mov_b32_e32 v5, 0
	ds_read_b64 v[2:3], v5 offset:24
	s_waitcnt lgkmcnt(0)
	v_readfirstlane_b32 s47, v3
	s_and_saveexec_b64 s[38:39], s[26:27]
	s_cbranch_execz .LBB1683_108
; %bb.107:
	s_add_i32 s40, s6, 64
	s_mov_b32 s41, 0
	s_lshl_b64 s[48:49], s[40:41], 4
	s_add_u32 s48, s44, s48
	s_addc_u32 s49, s45, s49
	s_and_b32 s55, s47, 0xff000000
	s_mov_b32 s54, s41
	s_and_b32 s57, s47, 0xff0000
	s_mov_b32 s56, s41
	s_or_b64 s[54:55], s[56:57], s[54:55]
	s_and_b32 s57, s47, 0xff00
	s_or_b64 s[54:55], s[54:55], s[56:57]
	s_and_b32 s57, s47, 0xff
	s_or_b64 s[40:41], s[54:55], s[56:57]
	v_mov_b32_e32 v3, s41
	v_mov_b32_e32 v4, 1
	v_pk_mov_b32 v[6:7], s[48:49], s[48:49] op_sel:[0,1]
	;;#ASMSTART
	global_store_dwordx4 v[6:7], v[2:5] off	
s_waitcnt vmcnt(0)
	;;#ASMEND
.LBB1683_108:
	s_or_b64 exec, exec, s[38:39]
	v_xad_u32 v10, v11, -1, s6
	v_add_u32_e32 v4, 64, v10
	v_lshlrev_b64 v[6:7], 4, v[4:5]
	v_mov_b32_e32 v3, s45
	v_add_co_u32_e32 v12, vcc, s44, v6
	v_addc_co_u32_e32 v13, vcc, v3, v7, vcc
	;;#ASMSTART
	global_load_dwordx4 v[6:9], v[12:13] off glc	
s_waitcnt vmcnt(0)
	;;#ASMEND
	v_cmp_eq_u16_sdwa s[40:41], v8, v5 src0_sel:BYTE_0 src1_sel:DWORD
	s_and_saveexec_b64 s[38:39], s[40:41]
	s_cbranch_execz .LBB1683_112
; %bb.109:
	s_mov_b64 s[40:41], 0
	v_mov_b32_e32 v3, 0
.LBB1683_110:                           ; =>This Inner Loop Header: Depth=1
	;;#ASMSTART
	global_load_dwordx4 v[6:9], v[12:13] off glc	
s_waitcnt vmcnt(0)
	;;#ASMEND
	v_cmp_ne_u16_sdwa s[48:49], v8, v3 src0_sel:BYTE_0 src1_sel:DWORD
	s_or_b64 s[40:41], s[48:49], s[40:41]
	s_andn2_b64 exec, exec, s[40:41]
	s_cbranch_execnz .LBB1683_110
; %bb.111:
	s_or_b64 exec, exec, s[40:41]
.LBB1683_112:
	s_or_b64 exec, exec, s[38:39]
	v_mov_b32_e32 v3, 2
	v_cmp_eq_u16_sdwa s[38:39], v8, v3 src0_sel:BYTE_0 src1_sel:DWORD
	v_lshlrev_b64 v[4:5], v11, -1
	v_and_b32_e32 v3, s39, v5
	v_or_b32_e32 v3, 0x80000000, v3
	v_ffbl_b32_e32 v22, v3
	v_and_b32_e32 v3, 63, v11
	v_cmp_ne_u32_e32 vcc, 63, v3
	v_addc_co_u32_e32 v13, vcc, 0, v11, vcc
	v_and_b32_e32 v12, 0xff, v7
	v_lshlrev_b32_e32 v20, 2, v13
	ds_bpermute_b32 v21, v20, v6
	ds_bpermute_b32 v13, v20, v12
	v_and_b32_e32 v9, s38, v4
	v_add_u32_e32 v22, 32, v22
	v_ffbl_b32_e32 v9, v9
	v_min_u32_e32 v9, v9, v22
	v_cmp_lt_u32_e32 vcc, v3, v9
	s_and_saveexec_b64 s[38:39], vcc
	s_cbranch_execz .LBB1683_114
; %bb.113:
	v_mov_b32_e32 v12, 0
	s_waitcnt lgkmcnt(1)
	v_add_f32_e32 v21, v6, v21
	v_cmp_eq_u16_sdwa vcc, v7, v12 src0_sel:BYTE_0 src1_sel:DWORD
	v_and_b32_e32 v7, 1, v7
	v_cndmask_b32_e32 v6, v6, v21, vcc
	s_waitcnt lgkmcnt(0)
	v_and_b32_e32 v12, 1, v13
	v_cmp_eq_u32_e32 vcc, 1, v7
	v_cndmask_b32_e64 v7, v12, 1, vcc
	v_and_b32_e32 v12, 0xffff, v7
.LBB1683_114:
	s_or_b64 exec, exec, s[38:39]
	v_cmp_gt_u32_e32 vcc, 62, v3
	s_waitcnt lgkmcnt(0)
	v_cndmask_b32_e64 v13, 0, 1, vcc
	v_lshlrev_b32_e32 v13, 1, v13
	v_add_lshl_u32 v21, v13, v11, 2
	ds_bpermute_b32 v23, v21, v6
	ds_bpermute_b32 v13, v21, v12
	v_add_u32_e32 v22, 2, v3
	v_cmp_le_u32_e32 vcc, v22, v9
	s_and_saveexec_b64 s[38:39], vcc
	s_cbranch_execz .LBB1683_116
; %bb.115:
	v_mov_b32_e32 v12, 0
	s_waitcnt lgkmcnt(1)
	v_add_f32_e32 v23, v6, v23
	v_cmp_eq_u16_sdwa vcc, v7, v12 src0_sel:BYTE_0 src1_sel:DWORD
	v_and_b32_e32 v7, 1, v7
	v_cndmask_b32_e32 v6, v6, v23, vcc
	s_waitcnt lgkmcnt(0)
	v_and_b32_e32 v12, 1, v13
	v_cmp_eq_u32_e32 vcc, 1, v7
	v_cndmask_b32_e64 v7, v12, 1, vcc
	v_and_b32_e32 v12, 0xffff, v7
.LBB1683_116:
	s_or_b64 exec, exec, s[38:39]
	v_cmp_gt_u32_e32 vcc, 60, v3
	s_waitcnt lgkmcnt(0)
	v_cndmask_b32_e64 v13, 0, 1, vcc
	v_lshlrev_b32_e32 v13, 2, v13
	v_add_lshl_u32 v23, v13, v11, 2
	ds_bpermute_b32 v54, v23, v6
	ds_bpermute_b32 v13, v23, v12
	v_add_u32_e32 v53, 4, v3
	v_cmp_le_u32_e32 vcc, v53, v9
	;; [unrolled: 25-line block ×5, first 2 shown]
	s_and_saveexec_b64 s[38:39], vcc
	s_cbranch_execz .LBB1683_124
; %bb.123:
	v_mov_b32_e32 v9, 0
	s_waitcnt lgkmcnt(1)
	v_add_f32_e32 v12, v6, v13
	v_cmp_eq_u16_sdwa vcc, v7, v9 src0_sel:BYTE_0 src1_sel:DWORD
	v_and_b32_e32 v7, 1, v7
	v_cndmask_b32_e32 v6, v6, v12, vcc
	s_waitcnt lgkmcnt(0)
	v_and_b32_e32 v9, 1, v11
	v_cmp_eq_u32_e32 vcc, 1, v7
	v_cndmask_b32_e64 v7, v9, 1, vcc
.LBB1683_124:
	s_or_b64 exec, exec, s[38:39]
	s_waitcnt lgkmcnt(0)
	v_mov_b32_e32 v11, 0
	v_mov_b32_e32 v62, 2
	s_branch .LBB1683_126
.LBB1683_125:                           ;   in Loop: Header=BB1683_126 Depth=1
	s_or_b64 exec, exec, s[38:39]
	s_waitcnt lgkmcnt(0)
	ds_bpermute_b32 v13, v59, v6
	ds_bpermute_b32 v12, v59, v12
	v_and_b32_e32 v63, 1, v7
	v_cmp_eq_u16_sdwa vcc, v7, v11 src0_sel:BYTE_0 src1_sel:DWORD
	v_subrev_u32_e32 v10, 64, v10
	s_waitcnt lgkmcnt(1)
	v_add_f32_e32 v13, v6, v13
	v_cndmask_b32_e32 v13, v6, v13, vcc
	v_cmp_eq_u32_e32 vcc, 1, v63
	s_waitcnt lgkmcnt(0)
	v_cndmask_b32_e64 v12, v12, 1, vcc
	v_cmp_gt_u32_e32 vcc, v61, v9
	v_cndmask_b32_e32 v6, v13, v6, vcc
	v_cndmask_b32_e32 v7, v12, v7, vcc
	v_add_f32_e32 v6, v60, v6
	v_cmp_eq_u16_sdwa vcc, v58, v11 src0_sel:BYTE_0 src1_sel:DWORD
	v_and_b32_e32 v9, 1, v58
	v_cndmask_b32_e32 v6, v60, v6, vcc
	v_and_b32_e32 v7, 1, v7
	v_cmp_eq_u32_e32 vcc, 1, v9
	v_cndmask_b32_e64 v7, v7, 1, vcc
.LBB1683_126:                           ; =>This Loop Header: Depth=1
                                        ;     Child Loop BB1683_129 Depth 2
	v_cmp_ne_u16_sdwa s[38:39], v8, v62 src0_sel:BYTE_0 src1_sel:DWORD
	v_mov_b32_e32 v58, v7
	v_cndmask_b32_e64 v7, 0, 1, s[38:39]
	;;#ASMSTART
	;;#ASMEND
	v_cmp_ne_u32_e32 vcc, 0, v7
	s_cmp_lg_u64 vcc, exec
	v_mov_b32_e32 v60, v6
	s_cbranch_scc1 .LBB1683_141
; %bb.127:                              ;   in Loop: Header=BB1683_126 Depth=1
	v_lshlrev_b64 v[6:7], 4, v[10:11]
	v_mov_b32_e32 v8, s45
	v_add_co_u32_e32 v12, vcc, s44, v6
	v_addc_co_u32_e32 v13, vcc, v8, v7, vcc
	;;#ASMSTART
	global_load_dwordx4 v[6:9], v[12:13] off glc	
s_waitcnt vmcnt(0)
	;;#ASMEND
	v_cmp_eq_u16_sdwa s[40:41], v8, v11 src0_sel:BYTE_0 src1_sel:DWORD
	s_and_saveexec_b64 s[38:39], s[40:41]
	s_cbranch_execz .LBB1683_131
; %bb.128:                              ;   in Loop: Header=BB1683_126 Depth=1
	s_mov_b64 s[40:41], 0
.LBB1683_129:                           ;   Parent Loop BB1683_126 Depth=1
                                        ; =>  This Inner Loop Header: Depth=2
	;;#ASMSTART
	global_load_dwordx4 v[6:9], v[12:13] off glc	
s_waitcnt vmcnt(0)
	;;#ASMEND
	v_cmp_ne_u16_sdwa s[48:49], v8, v11 src0_sel:BYTE_0 src1_sel:DWORD
	s_or_b64 s[40:41], s[48:49], s[40:41]
	s_andn2_b64 exec, exec, s[40:41]
	s_cbranch_execnz .LBB1683_129
; %bb.130:                              ;   in Loop: Header=BB1683_126 Depth=1
	s_or_b64 exec, exec, s[40:41]
.LBB1683_131:                           ;   in Loop: Header=BB1683_126 Depth=1
	s_or_b64 exec, exec, s[38:39]
	v_cmp_eq_u16_sdwa s[38:39], v8, v62 src0_sel:BYTE_0 src1_sel:DWORD
	v_and_b32_e32 v9, s39, v5
	v_and_b32_e32 v12, 0xff, v7
	v_or_b32_e32 v9, 0x80000000, v9
	ds_bpermute_b32 v63, v20, v6
	ds_bpermute_b32 v13, v20, v12
	v_and_b32_e32 v64, s38, v4
	v_ffbl_b32_e32 v9, v9
	v_add_u32_e32 v9, 32, v9
	v_ffbl_b32_e32 v64, v64
	v_min_u32_e32 v9, v64, v9
	v_cmp_lt_u32_e32 vcc, v3, v9
	s_and_saveexec_b64 s[38:39], vcc
	s_cbranch_execz .LBB1683_133
; %bb.132:                              ;   in Loop: Header=BB1683_126 Depth=1
	s_waitcnt lgkmcnt(1)
	v_add_f32_e32 v12, v6, v63
	v_cmp_eq_u16_sdwa vcc, v7, v11 src0_sel:BYTE_0 src1_sel:DWORD
	v_and_b32_e32 v7, 1, v7
	v_cndmask_b32_e32 v6, v6, v12, vcc
	s_waitcnt lgkmcnt(0)
	v_and_b32_e32 v12, 1, v13
	v_cmp_eq_u32_e32 vcc, 1, v7
	v_cndmask_b32_e64 v7, v12, 1, vcc
	v_and_b32_e32 v12, 0xffff, v7
.LBB1683_133:                           ;   in Loop: Header=BB1683_126 Depth=1
	s_or_b64 exec, exec, s[38:39]
	s_waitcnt lgkmcnt(1)
	ds_bpermute_b32 v63, v21, v6
	s_waitcnt lgkmcnt(1)
	ds_bpermute_b32 v13, v21, v12
	v_cmp_le_u32_e32 vcc, v22, v9
	s_and_saveexec_b64 s[38:39], vcc
	s_cbranch_execz .LBB1683_135
; %bb.134:                              ;   in Loop: Header=BB1683_126 Depth=1
	s_waitcnt lgkmcnt(1)
	v_add_f32_e32 v12, v6, v63
	v_cmp_eq_u16_sdwa vcc, v7, v11 src0_sel:BYTE_0 src1_sel:DWORD
	v_and_b32_e32 v7, 1, v7
	v_cndmask_b32_e32 v6, v6, v12, vcc
	s_waitcnt lgkmcnt(0)
	v_and_b32_e32 v12, 1, v13
	v_cmp_eq_u32_e32 vcc, 1, v7
	v_cndmask_b32_e64 v7, v12, 1, vcc
	v_and_b32_e32 v12, 0xffff, v7
.LBB1683_135:                           ;   in Loop: Header=BB1683_126 Depth=1
	s_or_b64 exec, exec, s[38:39]
	s_waitcnt lgkmcnt(1)
	ds_bpermute_b32 v63, v23, v6
	s_waitcnt lgkmcnt(1)
	ds_bpermute_b32 v13, v23, v12
	v_cmp_le_u32_e32 vcc, v53, v9
	;; [unrolled: 20-line block ×4, first 2 shown]
	s_and_saveexec_b64 s[38:39], vcc
	s_cbranch_execz .LBB1683_125
; %bb.140:                              ;   in Loop: Header=BB1683_126 Depth=1
	s_waitcnt lgkmcnt(1)
	v_add_f32_e32 v12, v6, v63
	v_cmp_eq_u16_sdwa vcc, v7, v11 src0_sel:BYTE_0 src1_sel:DWORD
	v_and_b32_e32 v7, 1, v7
	v_cndmask_b32_e32 v6, v6, v12, vcc
	s_waitcnt lgkmcnt(0)
	v_and_b32_e32 v12, 1, v13
	v_cmp_eq_u32_e32 vcc, 1, v7
	v_cndmask_b32_e64 v7, v12, 1, vcc
	v_and_b32_e32 v12, 0xffff, v7
	s_branch .LBB1683_125
.LBB1683_141:                           ;   in Loop: Header=BB1683_126 Depth=1
                                        ; implicit-def: $vgpr7
	s_cbranch_execz .LBB1683_126
; %bb.142:
	s_and_saveexec_b64 s[38:39], s[26:27]
	s_cbranch_execz .LBB1683_144
; %bb.143:
	s_and_b32 s40, s47, 0xff
	s_cmp_eq_u32 s40, 0
	s_cselect_b64 vcc, -1, 0
	s_bitcmp1_b32 s47, 0
	s_mov_b32 s41, 0
	s_cselect_b64 s[48:49], -1, 0
	s_add_i32 s40, s6, 64
	s_lshl_b64 s[40:41], s[40:41], 4
	v_add_f32_e32 v3, v60, v2
	s_add_u32 s40, s44, s40
	v_cndmask_b32_e32 v2, v2, v3, vcc
	v_and_b32_e32 v3, 1, v58
	s_addc_u32 s41, s45, s41
	v_cndmask_b32_e64 v3, v3, 1, s[48:49]
	v_mov_b32_e32 v4, 2
	v_mov_b32_e32 v5, 0
	v_pk_mov_b32 v[6:7], s[40:41], s[40:41] op_sel:[0,1]
	;;#ASMSTART
	global_store_dwordx4 v[6:7], v[2:5] off	
s_waitcnt vmcnt(0)
	;;#ASMEND
.LBB1683_144:
	s_or_b64 exec, exec, s[38:39]
	v_cmp_eq_u32_e32 vcc, 0, v0
	s_and_b64 exec, exec, vcc
	s_cbranch_execz .LBB1683_146
; %bb.145:
	v_mov_b32_e32 v2, 0
	ds_write_b32 v2, v60 offset:24
	ds_write_b8 v2, v58 offset:28
.LBB1683_146:
	s_or_b64 exec, exec, s[30:31]
	v_mov_b32_e32 v3, 0
	s_waitcnt lgkmcnt(0)
	s_barrier
	ds_read_b32 v2, v3 offset:24
	v_cndmask_b32_e64 v4, v19, v17, s[26:27]
	v_cndmask_b32_e64 v5, v18, v16, s[26:27]
	v_cmp_eq_u32_sdwa vcc, v4, v3 src0_sel:BYTE_0 src1_sel:DWORD
	s_waitcnt lgkmcnt(0)
	v_add_f32_e32 v6, v5, v2
	v_cndmask_b32_e32 v4, v5, v6, vcc
	v_cmp_eq_u32_e32 vcc, 0, v0
	v_cndmask_b32_e32 v2, v4, v2, vcc
	v_add_f32_e32 v4, v28, v2
	v_cmp_eq_u16_sdwa vcc, v1, v3 src0_sel:BYTE_0 src1_sel:DWORD
	v_cndmask_b32_e32 v3, v28, v4, vcc
	v_add_f32_e32 v4, v26, v3
	v_cndmask_b32_e64 v16, v26, v4, s[2:3]
	v_add_f32_e32 v4, v27, v16
	v_cndmask_b32_e64 v17, v27, v4, s[4:5]
	v_add_f32_e32 v4, v29, v17
	v_cndmask_b32_e64 v6, v29, v4, s[28:29]
	v_add_f32_e32 v4, v25, v6
	v_cndmask_b32_e64 v7, v25, v4, s[8:9]
	v_add_f32_e32 v4, v30, v7
	v_cndmask_b32_e64 v18, v30, v4, s[10:11]
	v_add_f32_e32 v4, v31, v18
	v_cndmask_b32_e64 v19, v31, v4, s[12:13]
	v_add_f32_e32 v4, v33, v19
	v_cndmask_b32_e64 v10, v33, v4, s[14:15]
	v_add_f32_e32 v4, v34, v10
	v_cndmask_b32_e64 v11, v34, v4, s[16:17]
	v_add_f32_e32 v4, v36, v11
	v_cndmask_b32_e64 v20, v36, v4, s[18:19]
	v_add_f32_e32 v4, v37, v20
	v_cndmask_b32_e64 v21, v37, v4, s[20:21]
	v_add_f32_e32 v4, v38, v21
	v_cndmask_b32_e64 v22, v38, v4, s[22:23]
	v_add_f32_e32 v4, v24, v22
	v_cndmask_b32_e64 v23, v24, v4, s[24:25]
	s_branch .LBB1683_185
.LBB1683_147:
	s_or_b64 exec, exec, s[30:31]
                                        ; implicit-def: $vgpr29
	s_and_saveexec_b64 s[30:31], s[2:3]
	s_cbranch_execz .LBB1683_33
.LBB1683_148:
	v_mov_b32_e32 v29, s56
	v_add_co_u32_e32 v30, vcc, s47, v27
	v_addc_co_u32_e32 v31, vcc, 0, v29, vcc
	flat_load_dword v29, v[30:31] offset:1024
	s_waitcnt vmcnt(0) lgkmcnt(0)
	v_cvt_f32_u32_e32 v29, v29
	s_or_b64 exec, exec, s[30:31]
                                        ; implicit-def: $vgpr30
	s_and_saveexec_b64 s[2:3], s[4:5]
	s_cbranch_execnz .LBB1683_34
.LBB1683_149:
	s_or_b64 exec, exec, s[2:3]
                                        ; implicit-def: $vgpr31
	s_and_saveexec_b64 s[2:3], s[28:29]
	s_cbranch_execz .LBB1683_35
.LBB1683_150:
	v_mov_b32_e32 v31, s56
	v_add_co_u32_e32 v32, vcc, s47, v27
	v_addc_co_u32_e32 v33, vcc, 0, v31, vcc
	flat_load_dword v31, v[32:33] offset:3072
	s_waitcnt vmcnt(0) lgkmcnt(0)
	v_cvt_f32_u32_e32 v31, v31
	s_or_b64 exec, exec, s[2:3]
                                        ; implicit-def: $vgpr32
	s_and_saveexec_b64 s[2:3], s[8:9]
	s_cbranch_execnz .LBB1683_36
.LBB1683_151:
	s_or_b64 exec, exec, s[2:3]
                                        ; implicit-def: $vgpr1
	s_and_saveexec_b64 s[2:3], s[10:11]
	s_cbranch_execz .LBB1683_37
.LBB1683_152:
	v_mov_b32_e32 v1, s56
	v_add_co_u32_e32 v34, vcc, s47, v16
	v_addc_co_u32_e32 v35, vcc, 0, v1, vcc
	flat_load_dword v1, v[34:35]
	s_waitcnt vmcnt(0) lgkmcnt(0)
	v_cvt_f32_u32_e32 v1, v1
	s_or_b64 exec, exec, s[2:3]
                                        ; implicit-def: $vgpr16
	s_and_saveexec_b64 s[2:3], s[12:13]
	s_cbranch_execnz .LBB1683_38
.LBB1683_153:
	s_or_b64 exec, exec, s[2:3]
                                        ; implicit-def: $vgpr17
	s_and_saveexec_b64 s[2:3], s[14:15]
	s_cbranch_execz .LBB1683_39
.LBB1683_154:
	v_mov_b32_e32 v17, s56
	v_add_co_u32_e32 v34, vcc, s47, v20
	v_addc_co_u32_e32 v35, vcc, 0, v17, vcc
	flat_load_dword v17, v[34:35]
	s_waitcnt vmcnt(0) lgkmcnt(0)
	v_cvt_f32_u32_e32 v17, v17
	s_or_b64 exec, exec, s[2:3]
                                        ; implicit-def: $vgpr33
	s_and_saveexec_b64 s[2:3], s[16:17]
	s_cbranch_execnz .LBB1683_40
.LBB1683_155:
	s_or_b64 exec, exec, s[2:3]
                                        ; implicit-def: $vgpr21
	s_and_saveexec_b64 s[2:3], s[18:19]
	s_cbranch_execz .LBB1683_41
.LBB1683_156:
	v_mov_b32_e32 v21, s56
	v_add_co_u32_e32 v20, vcc, s47, v22
	v_addc_co_u32_e32 v21, vcc, 0, v21, vcc
	flat_load_dword v20, v[20:21]
	s_waitcnt vmcnt(0) lgkmcnt(0)
	v_cvt_f32_u32_e32 v21, v20
	s_or_b64 exec, exec, s[2:3]
                                        ; implicit-def: $vgpr22
	s_and_saveexec_b64 s[2:3], s[20:21]
	s_cbranch_execnz .LBB1683_42
.LBB1683_157:
	s_or_b64 exec, exec, s[2:3]
                                        ; implicit-def: $vgpr23
	s_and_saveexec_b64 s[2:3], s[22:23]
	s_cbranch_execz .LBB1683_43
.LBB1683_158:
	v_mov_b32_e32 v20, s56
	v_add_co_u32_e32 v34, vcc, s47, v24
	v_addc_co_u32_e32 v35, vcc, 0, v20, vcc
	flat_load_dword v20, v[34:35]
	s_waitcnt vmcnt(0) lgkmcnt(0)
	v_cvt_f32_u32_e32 v23, v20
	s_or_b64 exec, exec, s[2:3]
                                        ; implicit-def: $vgpr24
	s_and_saveexec_b64 s[2:3], s[24:25]
	s_cbranch_execz .LBB1683_45
	s_branch .LBB1683_44
.LBB1683_159:
                                        ; implicit-def: $vgpr23
                                        ; implicit-def: $vgpr21
                                        ; implicit-def: $vgpr19
                                        ; implicit-def: $vgpr17
                                        ; implicit-def: $vgpr10_vgpr11_vgpr12_vgpr13
                                        ; implicit-def: $vgpr6_vgpr7_vgpr8_vgpr9
                                        ; implicit-def: $vgpr2_vgpr3_vgpr4_vgpr5
	s_cbranch_execz .LBB1683_185
; %bb.160:
	s_cmp_lg_u64 s[52:53], 0
	s_cselect_b32 s3, s51, 0
	s_cselect_b32 s2, s50, 0
	s_cmp_eq_u64 s[2:3], 0
	v_mov_b32_e32 v4, s7
	s_cbranch_scc1 .LBB1683_162
; %bb.161:
	v_mov_b32_e32 v2, 0
	global_load_dword v4, v2, s[2:3]
.LBB1683_162:
	v_mov_b32_e32 v2, 0
	v_cmp_eq_u16_sdwa s[2:3], v32, v2 src0_sel:BYTE_0 src1_sel:DWORD
	v_cndmask_b32_e64 v3, v26, v52, s[2:3]
	v_add_f32_e32 v3, v27, v3
	v_cmp_eq_u16_sdwa s[4:5], v35, v2 src0_sel:BYTE_0 src1_sel:DWORD
	v_cndmask_b32_e64 v3, v27, v3, s[4:5]
	v_add_f32_e32 v3, v29, v3
	;; [unrolled: 3-line block ×7, first 2 shown]
	v_cmp_eq_u16_sdwa s[16:17], v45, v2 src0_sel:BYTE_0 src1_sel:DWORD
	v_cmp_eq_u16_sdwa s[18:19], v46, v2 src0_sel:BYTE_0 src1_sel:DWORD
	;; [unrolled: 1-line block ×4, first 2 shown]
	v_cmp_eq_u16_sdwa vcc, v39, v2 src0_sel:BYTE_0 src1_sel:DWORD
	v_cmp_eq_u16_sdwa s[24:25], v14, v2 src0_sel:BYTE_0 src1_sel:DWORD
	v_or_b32_e32 v2, v51, v47
	v_cndmask_b32_e64 v3, v34, v3, s[16:17]
	v_or_b32_e32 v2, v2, v46
	v_add_f32_e32 v3, v36, v3
	v_or_b32_e32 v2, v2, v45
	v_cndmask_b32_e64 v3, v36, v3, s[18:19]
	v_or_b32_e32 v2, v2, v44
	v_add_f32_e32 v3, v37, v3
	;; [unrolled: 4-line block ×4, first 2 shown]
	v_or_b32_e32 v2, v2, v35
	v_cndmask_b32_e32 v3, v24, v3, vcc
	v_or_b32_e32 v2, v2, v32
	v_add_f32_e32 v3, v15, v3
	v_and_b32_e32 v2, 1, v2
	v_and_b32_e32 v6, 0xff, v1
	v_cndmask_b32_e64 v5, v15, v3, s[24:25]
	v_cmp_eq_u32_e64 s[24:25], 1, v2
	v_cndmask_b32_e64 v7, v6, 1, s[24:25]
	v_mbcnt_hi_u32_b32 v6, -1, v50
	v_and_b32_e32 v2, 15, v6
	v_mov_b32_dpp v8, v5 row_shr:1 row_mask:0xf bank_mask:0xf
	v_mov_b32_dpp v3, v7 row_shr:1 row_mask:0xf bank_mask:0xf
	v_cmp_ne_u32_e64 s[24:25], 0, v2
	s_and_saveexec_b64 s[26:27], s[24:25]
; %bb.163:
	v_add_f32_e32 v8, v5, v8
	v_cmp_eq_u32_e64 s[24:25], 0, v7
	v_and_b32_e32 v7, 1, v7
	v_cndmask_b32_e64 v5, v5, v8, s[24:25]
	v_and_b32_e32 v3, 1, v3
	v_cmp_eq_u32_e64 s[24:25], 1, v7
	v_cndmask_b32_e64 v7, v3, 1, s[24:25]
; %bb.164:
	s_or_b64 exec, exec, s[26:27]
	v_mov_b32_dpp v8, v5 row_shr:2 row_mask:0xf bank_mask:0xf
	v_mov_b32_dpp v3, v7 row_shr:2 row_mask:0xf bank_mask:0xf
	v_cmp_lt_u32_e64 s[24:25], 1, v2
	s_and_saveexec_b64 s[26:27], s[24:25]
; %bb.165:
	v_add_f32_e32 v8, v5, v8
	v_cmp_eq_u32_e64 s[24:25], 0, v7
	v_and_b32_e32 v7, 1, v7
	v_cndmask_b32_e64 v5, v5, v8, s[24:25]
	v_and_b32_e32 v3, 1, v3
	v_cmp_eq_u32_e64 s[24:25], 1, v7
	v_cndmask_b32_e64 v7, v3, 1, s[24:25]
; %bb.166:
	s_or_b64 exec, exec, s[26:27]
	v_mov_b32_dpp v8, v5 row_shr:4 row_mask:0xf bank_mask:0xf
	v_mov_b32_dpp v3, v7 row_shr:4 row_mask:0xf bank_mask:0xf
	v_cmp_lt_u32_e64 s[24:25], 3, v2
	;; [unrolled: 14-line block ×3, first 2 shown]
	s_and_saveexec_b64 s[26:27], s[24:25]
; %bb.169:
	v_add_f32_e32 v2, v5, v8
	v_cmp_eq_u32_e64 s[24:25], 0, v7
	v_cndmask_b32_e64 v5, v5, v2, s[24:25]
	v_and_b32_e32 v2, 1, v7
	v_and_b32_e32 v3, 1, v3
	v_cmp_eq_u32_e64 s[24:25], 1, v2
	v_cndmask_b32_e64 v7, v3, 1, s[24:25]
; %bb.170:
	s_or_b64 exec, exec, s[26:27]
	v_and_b32_e32 v8, 16, v6
	v_mov_b32_dpp v3, v5 row_bcast:15 row_mask:0xf bank_mask:0xf
	v_mov_b32_dpp v2, v7 row_bcast:15 row_mask:0xf bank_mask:0xf
	v_cmp_ne_u32_e64 s[24:25], 0, v8
	s_and_saveexec_b64 s[26:27], s[24:25]
; %bb.171:
	v_add_f32_e32 v3, v5, v3
	v_cmp_eq_u32_e64 s[24:25], 0, v7
	v_cndmask_b32_e64 v5, v5, v3, s[24:25]
	v_and_b32_e32 v3, 1, v7
	v_and_b32_e32 v2, 1, v2
	v_cmp_eq_u32_e64 s[24:25], 1, v3
	v_cndmask_b32_e64 v7, v2, 1, s[24:25]
; %bb.172:
	s_or_b64 exec, exec, s[26:27]
	v_mov_b32_dpp v3, v5 row_bcast:31 row_mask:0xf bank_mask:0xf
	v_mov_b32_dpp v2, v7 row_bcast:31 row_mask:0xf bank_mask:0xf
	v_cmp_lt_u32_e64 s[24:25], 31, v6
	s_and_saveexec_b64 s[26:27], s[24:25]
; %bb.173:
	v_add_f32_e32 v3, v5, v3
	v_cmp_eq_u32_e64 s[24:25], 0, v7
	v_cndmask_b32_e64 v5, v5, v3, s[24:25]
	v_and_b32_e32 v3, 1, v7
	v_and_b32_e32 v2, 1, v2
	v_cmp_eq_u32_e64 s[24:25], 1, v3
	v_cndmask_b32_e64 v7, v2, 1, s[24:25]
; %bb.174:
	s_or_b64 exec, exec, s[26:27]
	v_or_b32_e32 v2, 63, v0
	v_lshrrev_b32_e32 v8, 6, v0
	v_cmp_eq_u32_e64 s[24:25], v2, v0
	s_and_saveexec_b64 s[26:27], s[24:25]
	s_cbranch_execz .LBB1683_176
; %bb.175:
	v_lshlrev_b32_e32 v2, 3, v8
	ds_write_b32 v2, v5
	ds_write_b8 v2, v7 offset:4
.LBB1683_176:
	s_or_b64 exec, exec, s[26:27]
	v_cmp_gt_u32_e64 s[24:25], 4, v0
	s_waitcnt lgkmcnt(0)
	s_barrier
	s_and_saveexec_b64 s[26:27], s[24:25]
	s_cbranch_execz .LBB1683_180
; %bb.177:
	v_lshlrev_b32_e32 v9, 3, v0
	ds_read_b64 v[2:3], v9
	v_and_b32_e32 v10, 3, v6
	v_cmp_ne_u32_e64 s[24:25], 0, v10
	s_waitcnt lgkmcnt(0)
	v_mov_b32_dpp v13, v2 row_shr:1 row_mask:0xf bank_mask:0xf
	v_mov_b32_dpp v12, v3 row_shr:1 row_mask:0xf bank_mask:0xf
	v_mov_b32_e32 v11, v3
	s_and_saveexec_b64 s[28:29], s[24:25]
; %bb.178:
	v_mov_b32_e32 v11, 0
	v_add_f32_e32 v13, v2, v13
	v_cmp_eq_u16_sdwa s[24:25], v3, v11 src0_sel:BYTE_0 src1_sel:DWORD
	v_and_b32_e32 v11, 1, v3
	v_cndmask_b32_e64 v2, v2, v13, s[24:25]
	v_and_b32_e32 v12, 1, v12
	v_cmp_eq_u32_e64 s[24:25], 1, v11
	v_cndmask_b32_e64 v11, v12, 1, s[24:25]
	s_movk_i32 s24, 0xff00
	v_and_or_b32 v3, v3, s24, v11
; %bb.179:
	s_or_b64 exec, exec, s[28:29]
	v_mov_b32_e32 v14, 0
	v_mov_b32_dpp v13, v3 row_shr:2 row_mask:0xf bank_mask:0xf
	v_cmp_eq_u16_sdwa s[28:29], v11, v14 src0_sel:BYTE_0 src1_sel:DWORD
	v_and_b32_e32 v11, 1, v11
	v_and_b32_e32 v13, 1, v13
	v_cmp_eq_u32_e64 s[24:25], 1, v11
	v_mov_b32_dpp v12, v2 row_shr:2 row_mask:0xf bank_mask:0xf
	v_cndmask_b32_e64 v11, v13, 1, s[24:25]
	v_cmp_lt_u32_e64 s[24:25], 1, v10
	v_add_f32_e32 v12, v2, v12
	v_cndmask_b32_e64 v3, v3, v11, s[24:25]
	s_and_b64 s[24:25], s[24:25], s[28:29]
	v_cndmask_b32_e64 v2, v2, v12, s[24:25]
	ds_write_b32 v9, v2
	ds_write_b8 v9, v3 offset:4
.LBB1683_180:
	s_or_b64 exec, exec, s[26:27]
	v_cmp_lt_u32_e64 s[24:25], 63, v0
	s_waitcnt vmcnt(0)
	v_mov_b32_e32 v2, v4
	s_waitcnt lgkmcnt(0)
	s_barrier
	s_and_saveexec_b64 s[26:27], s[24:25]
	s_cbranch_execz .LBB1683_182
; %bb.181:
	v_lshl_add_u32 v2, v8, 3, -8
	ds_read_b32 v3, v2
	ds_read_u8 v2, v2 offset:4
	s_waitcnt lgkmcnt(1)
	v_add_f32_e32 v8, v4, v3
	s_waitcnt lgkmcnt(0)
	v_cmp_eq_u16_e64 s[24:25], 0, v2
	v_cndmask_b32_e64 v2, v3, v8, s[24:25]
.LBB1683_182:
	s_or_b64 exec, exec, s[26:27]
	v_add_f32_e32 v3, v5, v2
	v_cmp_eq_u32_e64 s[24:25], 0, v7
	v_cndmask_b32_e64 v3, v5, v3, s[24:25]
	v_add_u32_e32 v5, -1, v6
	v_and_b32_e32 v7, 64, v6
	v_cmp_lt_i32_e64 s[24:25], v5, v7
	v_cndmask_b32_e64 v5, v5, v6, s[24:25]
	v_lshlrev_b32_e32 v5, 2, v5
	ds_bpermute_b32 v3, v5, v3
	v_cmp_eq_u32_e64 s[24:25], 0, v6
	v_mov_b32_e32 v15, 0
	v_cmp_eq_u16_sdwa s[26:27], v1, v15 src0_sel:BYTE_0 src1_sel:DWORD
	s_waitcnt lgkmcnt(0)
	v_cndmask_b32_e64 v2, v3, v2, s[24:25]
	v_cmp_eq_u32_e64 s[24:25], 0, v0
	v_cndmask_b32_e64 v3, v2, v4, s[24:25]
	v_add_f32_e32 v3, v28, v3
	v_cndmask_b32_e64 v3, v28, v3, s[26:27]
	v_add_f32_e32 v1, v26, v3
	;; [unrolled: 2-line block ×13, first 2 shown]
	s_and_saveexec_b64 s[4:5], s[24:25]
	s_cbranch_execz .LBB1683_184
; %bb.183:
	ds_read_b32 v2, v15 offset:24
	ds_read_u8 v5, v15 offset:28
	s_add_u32 s6, s44, 0x400
	s_addc_u32 s7, s45, 0
	v_mov_b32_e32 v14, 2
	s_waitcnt lgkmcnt(1)
	v_add_f32_e32 v8, v4, v2
	s_waitcnt lgkmcnt(0)
	v_cmp_eq_u16_e64 s[2:3], 0, v5
	v_cndmask_b32_e64 v12, v2, v8, s[2:3]
	v_and_b32_e32 v13, 0xffff, v5
	v_pk_mov_b32 v[8:9], s[6:7], s[6:7] op_sel:[0,1]
	;;#ASMSTART
	global_store_dwordx4 v[8:9], v[12:15] off	
s_waitcnt vmcnt(0)
	;;#ASMEND
	v_mov_b32_e32 v2, v4
.LBB1683_184:
	s_or_b64 exec, exec, s[4:5]
	v_cndmask_b32_e32 v23, v24, v1, vcc
.LBB1683_185:
	s_add_u32 s2, s42, s34
	s_addc_u32 s3, s43, s35
	s_add_u32 s4, s2, s36
	v_mul_u32_u24_e32 v1, 14, v0
	s_addc_u32 s5, s3, s37
	s_and_b64 vcc, exec, s[0:1]
	v_lshlrev_b32_e32 v4, 2, v1
	s_cbranch_vccz .LBB1683_213
; %bb.186:
	s_movk_i32 s0, 0xffcc
	v_mad_i32_i24 v5, v0, s0, v4
	s_barrier
	ds_write2_b64 v4, v[2:3], v[16:17] offset1:1
	s_waitcnt vmcnt(0)
	ds_write2_b64 v4, v[6:7], v[18:19] offset0:2 offset1:3
	ds_write2_b64 v4, v[10:11], v[20:21] offset0:4 offset1:5
	ds_write_b64 v4, v[22:23] offset:48
	s_waitcnt lgkmcnt(0)
	s_barrier
	ds_read2st64_b32 v[30:31], v5 offset0:4 offset1:8
	ds_read2st64_b32 v[28:29], v5 offset0:12 offset1:16
	;; [unrolled: 1-line block ×6, first 2 shown]
	ds_read_b32 v5, v5 offset:13312
	v_mov_b32_e32 v13, s5
	v_add_co_u32_e32 v12, vcc, s4, v49
	s_add_i32 s33, s33, s46
	v_addc_co_u32_e32 v13, vcc, 0, v13, vcc
	v_mov_b32_e32 v1, 0
	v_cmp_gt_u32_e32 vcc, s33, v0
	s_and_saveexec_b64 s[0:1], vcc
	s_cbranch_execz .LBB1683_188
; %bb.187:
	v_mul_i32_i24_e32 v32, 0xffffffcc, v0
	v_add_u32_e32 v32, v4, v32
	ds_read_b32 v32, v32
	s_waitcnt lgkmcnt(0)
	flat_store_dword v[12:13], v32
.LBB1683_188:
	s_or_b64 exec, exec, s[0:1]
	v_or_b32_e32 v32, 0x100, v0
	v_cmp_gt_u32_e32 vcc, s33, v32
	s_and_saveexec_b64 s[0:1], vcc
	s_cbranch_execz .LBB1683_190
; %bb.189:
	s_waitcnt lgkmcnt(0)
	flat_store_dword v[12:13], v30 offset:1024
.LBB1683_190:
	s_or_b64 exec, exec, s[0:1]
	s_waitcnt lgkmcnt(0)
	v_or_b32_e32 v30, 0x200, v0
	v_cmp_gt_u32_e32 vcc, s33, v30
	s_and_saveexec_b64 s[0:1], vcc
	s_cbranch_execz .LBB1683_192
; %bb.191:
	flat_store_dword v[12:13], v31 offset:2048
.LBB1683_192:
	s_or_b64 exec, exec, s[0:1]
	v_or_b32_e32 v30, 0x300, v0
	v_cmp_gt_u32_e32 vcc, s33, v30
	s_and_saveexec_b64 s[0:1], vcc
	s_cbranch_execz .LBB1683_194
; %bb.193:
	flat_store_dword v[12:13], v28 offset:3072
.LBB1683_194:
	s_or_b64 exec, exec, s[0:1]
	v_or_b32_e32 v28, 0x400, v0
	v_cmp_gt_u32_e32 vcc, s33, v28
	s_and_saveexec_b64 s[0:1], vcc
	s_cbranch_execz .LBB1683_196
; %bb.195:
	v_add_co_u32_e32 v30, vcc, 0x1000, v12
	v_addc_co_u32_e32 v31, vcc, 0, v13, vcc
	flat_store_dword v[30:31], v29
.LBB1683_196:
	s_or_b64 exec, exec, s[0:1]
	v_or_b32_e32 v28, 0x500, v0
	v_cmp_gt_u32_e32 vcc, s33, v28
	s_and_saveexec_b64 s[0:1], vcc
	s_cbranch_execz .LBB1683_198
; %bb.197:
	v_add_co_u32_e32 v28, vcc, 0x1000, v12
	v_addc_co_u32_e32 v29, vcc, 0, v13, vcc
	flat_store_dword v[28:29], v26 offset:1024
.LBB1683_198:
	s_or_b64 exec, exec, s[0:1]
	v_or_b32_e32 v26, 0x600, v0
	v_cmp_gt_u32_e32 vcc, s33, v26
	s_and_saveexec_b64 s[0:1], vcc
	s_cbranch_execz .LBB1683_200
; %bb.199:
	v_add_co_u32_e32 v28, vcc, 0x1000, v12
	v_addc_co_u32_e32 v29, vcc, 0, v13, vcc
	flat_store_dword v[28:29], v27 offset:2048
.LBB1683_200:
	;; [unrolled: 10-line block ×3, first 2 shown]
	s_or_b64 exec, exec, s[0:1]
	v_or_b32_e32 v24, 0x800, v0
	v_cmp_gt_u32_e32 vcc, s33, v24
	s_and_saveexec_b64 s[0:1], vcc
	s_cbranch_execz .LBB1683_204
; %bb.203:
	v_add_co_u32_e32 v26, vcc, 0x2000, v12
	v_addc_co_u32_e32 v27, vcc, 0, v13, vcc
	flat_store_dword v[26:27], v25
.LBB1683_204:
	s_or_b64 exec, exec, s[0:1]
	v_or_b32_e32 v24, 0x900, v0
	v_cmp_gt_u32_e32 vcc, s33, v24
	s_and_saveexec_b64 s[0:1], vcc
	s_cbranch_execz .LBB1683_206
; %bb.205:
	v_add_co_u32_e32 v24, vcc, 0x2000, v12
	v_addc_co_u32_e32 v25, vcc, 0, v13, vcc
	flat_store_dword v[24:25], v14 offset:1024
.LBB1683_206:
	s_or_b64 exec, exec, s[0:1]
	v_or_b32_e32 v14, 0xa00, v0
	v_cmp_gt_u32_e32 vcc, s33, v14
	s_and_saveexec_b64 s[0:1], vcc
	s_cbranch_execz .LBB1683_208
; %bb.207:
	v_add_co_u32_e32 v24, vcc, 0x2000, v12
	v_addc_co_u32_e32 v25, vcc, 0, v13, vcc
	flat_store_dword v[24:25], v15 offset:2048
.LBB1683_208:
	;; [unrolled: 10-line block ×3, first 2 shown]
	s_or_b64 exec, exec, s[0:1]
	v_or_b32_e32 v8, 0xc00, v0
	v_cmp_gt_u32_e32 vcc, s33, v8
	s_and_saveexec_b64 s[0:1], vcc
	s_cbranch_execz .LBB1683_212
; %bb.211:
	v_add_co_u32_e32 v12, vcc, 0x3000, v12
	v_addc_co_u32_e32 v13, vcc, 0, v13, vcc
	flat_store_dword v[12:13], v9
.LBB1683_212:
	s_or_b64 exec, exec, s[0:1]
	v_or_b32_e32 v8, 0xd00, v0
	v_cmp_gt_u32_e64 s[0:1], s33, v8
	s_branch .LBB1683_215
.LBB1683_213:
	s_mov_b64 s[0:1], 0
                                        ; implicit-def: $vgpr5
	s_cbranch_execz .LBB1683_215
; %bb.214:
	s_movk_i32 s2, 0xffcc
	s_waitcnt lgkmcnt(0)
	s_barrier
	ds_write2_b64 v4, v[2:3], v[16:17] offset1:1
	s_waitcnt vmcnt(0)
	ds_write2_b64 v4, v[6:7], v[18:19] offset0:2 offset1:3
	ds_write2_b64 v4, v[10:11], v[20:21] offset0:4 offset1:5
	ds_write_b64 v4, v[22:23] offset:48
	v_mad_i32_i24 v4, v0, s2, v4
	v_mov_b32_e32 v17, s5
	v_add_co_u32_e32 v16, vcc, s4, v49
	s_waitcnt lgkmcnt(0)
	s_barrier
	ds_read2st64_b32 v[2:3], v4 offset1:4
	ds_read2st64_b32 v[6:7], v4 offset0:8 offset1:12
	ds_read2st64_b32 v[8:9], v4 offset0:16 offset1:20
	;; [unrolled: 1-line block ×6, first 2 shown]
	v_addc_co_u32_e32 v17, vcc, 0, v17, vcc
	s_movk_i32 s2, 0x1000
	s_waitcnt lgkmcnt(6)
	flat_store_dword v[16:17], v2
	flat_store_dword v[16:17], v3 offset:1024
	s_waitcnt lgkmcnt(0)
	flat_store_dword v[16:17], v6 offset:2048
	flat_store_dword v[16:17], v7 offset:3072
	v_add_co_u32_e32 v2, vcc, s2, v16
	v_addc_co_u32_e32 v3, vcc, 0, v17, vcc
	flat_store_dword v[2:3], v8
	flat_store_dword v[2:3], v9 offset:1024
	flat_store_dword v[2:3], v10 offset:2048
	;; [unrolled: 1-line block ×3, first 2 shown]
	v_add_co_u32_e32 v2, vcc, 0x2000, v16
	v_addc_co_u32_e32 v3, vcc, 0, v17, vcc
	flat_store_dword v[2:3], v12
	flat_store_dword v[2:3], v13 offset:1024
	flat_store_dword v[2:3], v14 offset:2048
	;; [unrolled: 1-line block ×3, first 2 shown]
	v_add_co_u32_e32 v2, vcc, 0x3000, v16
	v_mov_b32_e32 v1, 0
	v_addc_co_u32_e32 v3, vcc, 0, v17, vcc
	s_or_b64 s[0:1], s[0:1], exec
	flat_store_dword v[2:3], v4
.LBB1683_215:
	s_and_saveexec_b64 s[2:3], s[0:1]
	s_cbranch_execz .LBB1683_217
; %bb.216:
	v_lshlrev_b64 v[0:1], 2, v[0:1]
	v_mov_b32_e32 v2, s5
	v_add_co_u32_e32 v0, vcc, s4, v0
	v_addc_co_u32_e32 v1, vcc, v2, v1, vcc
	v_add_co_u32_e32 v0, vcc, 0x3000, v0
	v_addc_co_u32_e32 v1, vcc, 0, v1, vcc
	flat_store_dword v[0:1], v5 offset:1024
	s_endpgm
.LBB1683_217:
	s_endpgm
	.section	.rodata,"a",@progbits
	.p2align	6, 0x0
	.amdhsa_kernel _ZN7rocprim17ROCPRIM_400000_NS6detail17trampoline_kernelINS0_14default_configENS1_27scan_by_key_config_selectorIifEEZZNS1_16scan_by_key_implILNS1_25lookback_scan_determinismE0ELb1ES3_N6thrust23THRUST_200600_302600_NS6detail15normal_iteratorINS9_10device_ptrIiEEEENSB_INSC_IjEEEENSB_INSC_IfEEEEfNS9_4plusIvEENS9_8equal_toIvEEfEE10hipError_tPvRmT2_T3_T4_T5_mT6_T7_P12ihipStream_tbENKUlT_T0_E_clISt17integral_constantIbLb0EES13_EEDaSY_SZ_EUlSY_E_NS1_11comp_targetILNS1_3genE4ELNS1_11target_archE910ELNS1_3gpuE8ELNS1_3repE0EEENS1_30default_config_static_selectorELNS0_4arch9wavefront6targetE1EEEvT1_
		.amdhsa_group_segment_fixed_size 16384
		.amdhsa_private_segment_fixed_size 0
		.amdhsa_kernarg_size 112
		.amdhsa_user_sgpr_count 6
		.amdhsa_user_sgpr_private_segment_buffer 1
		.amdhsa_user_sgpr_dispatch_ptr 0
		.amdhsa_user_sgpr_queue_ptr 0
		.amdhsa_user_sgpr_kernarg_segment_ptr 1
		.amdhsa_user_sgpr_dispatch_id 0
		.amdhsa_user_sgpr_flat_scratch_init 0
		.amdhsa_user_sgpr_kernarg_preload_length 0
		.amdhsa_user_sgpr_kernarg_preload_offset 0
		.amdhsa_user_sgpr_private_segment_size 0
		.amdhsa_uses_dynamic_stack 0
		.amdhsa_system_sgpr_private_segment_wavefront_offset 0
		.amdhsa_system_sgpr_workgroup_id_x 1
		.amdhsa_system_sgpr_workgroup_id_y 0
		.amdhsa_system_sgpr_workgroup_id_z 0
		.amdhsa_system_sgpr_workgroup_info 0
		.amdhsa_system_vgpr_workitem_id 0
		.amdhsa_next_free_vgpr 65
		.amdhsa_next_free_sgpr 59
		.amdhsa_accum_offset 68
		.amdhsa_reserve_vcc 1
		.amdhsa_reserve_flat_scratch 0
		.amdhsa_float_round_mode_32 0
		.amdhsa_float_round_mode_16_64 0
		.amdhsa_float_denorm_mode_32 3
		.amdhsa_float_denorm_mode_16_64 3
		.amdhsa_dx10_clamp 1
		.amdhsa_ieee_mode 1
		.amdhsa_fp16_overflow 0
		.amdhsa_tg_split 0
		.amdhsa_exception_fp_ieee_invalid_op 0
		.amdhsa_exception_fp_denorm_src 0
		.amdhsa_exception_fp_ieee_div_zero 0
		.amdhsa_exception_fp_ieee_overflow 0
		.amdhsa_exception_fp_ieee_underflow 0
		.amdhsa_exception_fp_ieee_inexact 0
		.amdhsa_exception_int_div_zero 0
	.end_amdhsa_kernel
	.section	.text._ZN7rocprim17ROCPRIM_400000_NS6detail17trampoline_kernelINS0_14default_configENS1_27scan_by_key_config_selectorIifEEZZNS1_16scan_by_key_implILNS1_25lookback_scan_determinismE0ELb1ES3_N6thrust23THRUST_200600_302600_NS6detail15normal_iteratorINS9_10device_ptrIiEEEENSB_INSC_IjEEEENSB_INSC_IfEEEEfNS9_4plusIvEENS9_8equal_toIvEEfEE10hipError_tPvRmT2_T3_T4_T5_mT6_T7_P12ihipStream_tbENKUlT_T0_E_clISt17integral_constantIbLb0EES13_EEDaSY_SZ_EUlSY_E_NS1_11comp_targetILNS1_3genE4ELNS1_11target_archE910ELNS1_3gpuE8ELNS1_3repE0EEENS1_30default_config_static_selectorELNS0_4arch9wavefront6targetE1EEEvT1_,"axG",@progbits,_ZN7rocprim17ROCPRIM_400000_NS6detail17trampoline_kernelINS0_14default_configENS1_27scan_by_key_config_selectorIifEEZZNS1_16scan_by_key_implILNS1_25lookback_scan_determinismE0ELb1ES3_N6thrust23THRUST_200600_302600_NS6detail15normal_iteratorINS9_10device_ptrIiEEEENSB_INSC_IjEEEENSB_INSC_IfEEEEfNS9_4plusIvEENS9_8equal_toIvEEfEE10hipError_tPvRmT2_T3_T4_T5_mT6_T7_P12ihipStream_tbENKUlT_T0_E_clISt17integral_constantIbLb0EES13_EEDaSY_SZ_EUlSY_E_NS1_11comp_targetILNS1_3genE4ELNS1_11target_archE910ELNS1_3gpuE8ELNS1_3repE0EEENS1_30default_config_static_selectorELNS0_4arch9wavefront6targetE1EEEvT1_,comdat
.Lfunc_end1683:
	.size	_ZN7rocprim17ROCPRIM_400000_NS6detail17trampoline_kernelINS0_14default_configENS1_27scan_by_key_config_selectorIifEEZZNS1_16scan_by_key_implILNS1_25lookback_scan_determinismE0ELb1ES3_N6thrust23THRUST_200600_302600_NS6detail15normal_iteratorINS9_10device_ptrIiEEEENSB_INSC_IjEEEENSB_INSC_IfEEEEfNS9_4plusIvEENS9_8equal_toIvEEfEE10hipError_tPvRmT2_T3_T4_T5_mT6_T7_P12ihipStream_tbENKUlT_T0_E_clISt17integral_constantIbLb0EES13_EEDaSY_SZ_EUlSY_E_NS1_11comp_targetILNS1_3genE4ELNS1_11target_archE910ELNS1_3gpuE8ELNS1_3repE0EEENS1_30default_config_static_selectorELNS0_4arch9wavefront6targetE1EEEvT1_, .Lfunc_end1683-_ZN7rocprim17ROCPRIM_400000_NS6detail17trampoline_kernelINS0_14default_configENS1_27scan_by_key_config_selectorIifEEZZNS1_16scan_by_key_implILNS1_25lookback_scan_determinismE0ELb1ES3_N6thrust23THRUST_200600_302600_NS6detail15normal_iteratorINS9_10device_ptrIiEEEENSB_INSC_IjEEEENSB_INSC_IfEEEEfNS9_4plusIvEENS9_8equal_toIvEEfEE10hipError_tPvRmT2_T3_T4_T5_mT6_T7_P12ihipStream_tbENKUlT_T0_E_clISt17integral_constantIbLb0EES13_EEDaSY_SZ_EUlSY_E_NS1_11comp_targetILNS1_3genE4ELNS1_11target_archE910ELNS1_3gpuE8ELNS1_3repE0EEENS1_30default_config_static_selectorELNS0_4arch9wavefront6targetE1EEEvT1_
                                        ; -- End function
	.section	.AMDGPU.csdata,"",@progbits
; Kernel info:
; codeLenInByte = 10732
; NumSgprs: 63
; NumVgprs: 65
; NumAgprs: 0
; TotalNumVgprs: 65
; ScratchSize: 0
; MemoryBound: 0
; FloatMode: 240
; IeeeMode: 1
; LDSByteSize: 16384 bytes/workgroup (compile time only)
; SGPRBlocks: 7
; VGPRBlocks: 8
; NumSGPRsForWavesPerEU: 63
; NumVGPRsForWavesPerEU: 65
; AccumOffset: 68
; Occupancy: 4
; WaveLimiterHint : 1
; COMPUTE_PGM_RSRC2:SCRATCH_EN: 0
; COMPUTE_PGM_RSRC2:USER_SGPR: 6
; COMPUTE_PGM_RSRC2:TRAP_HANDLER: 0
; COMPUTE_PGM_RSRC2:TGID_X_EN: 1
; COMPUTE_PGM_RSRC2:TGID_Y_EN: 0
; COMPUTE_PGM_RSRC2:TGID_Z_EN: 0
; COMPUTE_PGM_RSRC2:TIDIG_COMP_CNT: 0
; COMPUTE_PGM_RSRC3_GFX90A:ACCUM_OFFSET: 16
; COMPUTE_PGM_RSRC3_GFX90A:TG_SPLIT: 0
	.section	.text._ZN7rocprim17ROCPRIM_400000_NS6detail17trampoline_kernelINS0_14default_configENS1_27scan_by_key_config_selectorIifEEZZNS1_16scan_by_key_implILNS1_25lookback_scan_determinismE0ELb1ES3_N6thrust23THRUST_200600_302600_NS6detail15normal_iteratorINS9_10device_ptrIiEEEENSB_INSC_IjEEEENSB_INSC_IfEEEEfNS9_4plusIvEENS9_8equal_toIvEEfEE10hipError_tPvRmT2_T3_T4_T5_mT6_T7_P12ihipStream_tbENKUlT_T0_E_clISt17integral_constantIbLb0EES13_EEDaSY_SZ_EUlSY_E_NS1_11comp_targetILNS1_3genE3ELNS1_11target_archE908ELNS1_3gpuE7ELNS1_3repE0EEENS1_30default_config_static_selectorELNS0_4arch9wavefront6targetE1EEEvT1_,"axG",@progbits,_ZN7rocprim17ROCPRIM_400000_NS6detail17trampoline_kernelINS0_14default_configENS1_27scan_by_key_config_selectorIifEEZZNS1_16scan_by_key_implILNS1_25lookback_scan_determinismE0ELb1ES3_N6thrust23THRUST_200600_302600_NS6detail15normal_iteratorINS9_10device_ptrIiEEEENSB_INSC_IjEEEENSB_INSC_IfEEEEfNS9_4plusIvEENS9_8equal_toIvEEfEE10hipError_tPvRmT2_T3_T4_T5_mT6_T7_P12ihipStream_tbENKUlT_T0_E_clISt17integral_constantIbLb0EES13_EEDaSY_SZ_EUlSY_E_NS1_11comp_targetILNS1_3genE3ELNS1_11target_archE908ELNS1_3gpuE7ELNS1_3repE0EEENS1_30default_config_static_selectorELNS0_4arch9wavefront6targetE1EEEvT1_,comdat
	.protected	_ZN7rocprim17ROCPRIM_400000_NS6detail17trampoline_kernelINS0_14default_configENS1_27scan_by_key_config_selectorIifEEZZNS1_16scan_by_key_implILNS1_25lookback_scan_determinismE0ELb1ES3_N6thrust23THRUST_200600_302600_NS6detail15normal_iteratorINS9_10device_ptrIiEEEENSB_INSC_IjEEEENSB_INSC_IfEEEEfNS9_4plusIvEENS9_8equal_toIvEEfEE10hipError_tPvRmT2_T3_T4_T5_mT6_T7_P12ihipStream_tbENKUlT_T0_E_clISt17integral_constantIbLb0EES13_EEDaSY_SZ_EUlSY_E_NS1_11comp_targetILNS1_3genE3ELNS1_11target_archE908ELNS1_3gpuE7ELNS1_3repE0EEENS1_30default_config_static_selectorELNS0_4arch9wavefront6targetE1EEEvT1_ ; -- Begin function _ZN7rocprim17ROCPRIM_400000_NS6detail17trampoline_kernelINS0_14default_configENS1_27scan_by_key_config_selectorIifEEZZNS1_16scan_by_key_implILNS1_25lookback_scan_determinismE0ELb1ES3_N6thrust23THRUST_200600_302600_NS6detail15normal_iteratorINS9_10device_ptrIiEEEENSB_INSC_IjEEEENSB_INSC_IfEEEEfNS9_4plusIvEENS9_8equal_toIvEEfEE10hipError_tPvRmT2_T3_T4_T5_mT6_T7_P12ihipStream_tbENKUlT_T0_E_clISt17integral_constantIbLb0EES13_EEDaSY_SZ_EUlSY_E_NS1_11comp_targetILNS1_3genE3ELNS1_11target_archE908ELNS1_3gpuE7ELNS1_3repE0EEENS1_30default_config_static_selectorELNS0_4arch9wavefront6targetE1EEEvT1_
	.globl	_ZN7rocprim17ROCPRIM_400000_NS6detail17trampoline_kernelINS0_14default_configENS1_27scan_by_key_config_selectorIifEEZZNS1_16scan_by_key_implILNS1_25lookback_scan_determinismE0ELb1ES3_N6thrust23THRUST_200600_302600_NS6detail15normal_iteratorINS9_10device_ptrIiEEEENSB_INSC_IjEEEENSB_INSC_IfEEEEfNS9_4plusIvEENS9_8equal_toIvEEfEE10hipError_tPvRmT2_T3_T4_T5_mT6_T7_P12ihipStream_tbENKUlT_T0_E_clISt17integral_constantIbLb0EES13_EEDaSY_SZ_EUlSY_E_NS1_11comp_targetILNS1_3genE3ELNS1_11target_archE908ELNS1_3gpuE7ELNS1_3repE0EEENS1_30default_config_static_selectorELNS0_4arch9wavefront6targetE1EEEvT1_
	.p2align	8
	.type	_ZN7rocprim17ROCPRIM_400000_NS6detail17trampoline_kernelINS0_14default_configENS1_27scan_by_key_config_selectorIifEEZZNS1_16scan_by_key_implILNS1_25lookback_scan_determinismE0ELb1ES3_N6thrust23THRUST_200600_302600_NS6detail15normal_iteratorINS9_10device_ptrIiEEEENSB_INSC_IjEEEENSB_INSC_IfEEEEfNS9_4plusIvEENS9_8equal_toIvEEfEE10hipError_tPvRmT2_T3_T4_T5_mT6_T7_P12ihipStream_tbENKUlT_T0_E_clISt17integral_constantIbLb0EES13_EEDaSY_SZ_EUlSY_E_NS1_11comp_targetILNS1_3genE3ELNS1_11target_archE908ELNS1_3gpuE7ELNS1_3repE0EEENS1_30default_config_static_selectorELNS0_4arch9wavefront6targetE1EEEvT1_,@function
_ZN7rocprim17ROCPRIM_400000_NS6detail17trampoline_kernelINS0_14default_configENS1_27scan_by_key_config_selectorIifEEZZNS1_16scan_by_key_implILNS1_25lookback_scan_determinismE0ELb1ES3_N6thrust23THRUST_200600_302600_NS6detail15normal_iteratorINS9_10device_ptrIiEEEENSB_INSC_IjEEEENSB_INSC_IfEEEEfNS9_4plusIvEENS9_8equal_toIvEEfEE10hipError_tPvRmT2_T3_T4_T5_mT6_T7_P12ihipStream_tbENKUlT_T0_E_clISt17integral_constantIbLb0EES13_EEDaSY_SZ_EUlSY_E_NS1_11comp_targetILNS1_3genE3ELNS1_11target_archE908ELNS1_3gpuE7ELNS1_3repE0EEENS1_30default_config_static_selectorELNS0_4arch9wavefront6targetE1EEEvT1_: ; @_ZN7rocprim17ROCPRIM_400000_NS6detail17trampoline_kernelINS0_14default_configENS1_27scan_by_key_config_selectorIifEEZZNS1_16scan_by_key_implILNS1_25lookback_scan_determinismE0ELb1ES3_N6thrust23THRUST_200600_302600_NS6detail15normal_iteratorINS9_10device_ptrIiEEEENSB_INSC_IjEEEENSB_INSC_IfEEEEfNS9_4plusIvEENS9_8equal_toIvEEfEE10hipError_tPvRmT2_T3_T4_T5_mT6_T7_P12ihipStream_tbENKUlT_T0_E_clISt17integral_constantIbLb0EES13_EEDaSY_SZ_EUlSY_E_NS1_11comp_targetILNS1_3genE3ELNS1_11target_archE908ELNS1_3gpuE7ELNS1_3repE0EEENS1_30default_config_static_selectorELNS0_4arch9wavefront6targetE1EEEvT1_
; %bb.0:
	.section	.rodata,"a",@progbits
	.p2align	6, 0x0
	.amdhsa_kernel _ZN7rocprim17ROCPRIM_400000_NS6detail17trampoline_kernelINS0_14default_configENS1_27scan_by_key_config_selectorIifEEZZNS1_16scan_by_key_implILNS1_25lookback_scan_determinismE0ELb1ES3_N6thrust23THRUST_200600_302600_NS6detail15normal_iteratorINS9_10device_ptrIiEEEENSB_INSC_IjEEEENSB_INSC_IfEEEEfNS9_4plusIvEENS9_8equal_toIvEEfEE10hipError_tPvRmT2_T3_T4_T5_mT6_T7_P12ihipStream_tbENKUlT_T0_E_clISt17integral_constantIbLb0EES13_EEDaSY_SZ_EUlSY_E_NS1_11comp_targetILNS1_3genE3ELNS1_11target_archE908ELNS1_3gpuE7ELNS1_3repE0EEENS1_30default_config_static_selectorELNS0_4arch9wavefront6targetE1EEEvT1_
		.amdhsa_group_segment_fixed_size 0
		.amdhsa_private_segment_fixed_size 0
		.amdhsa_kernarg_size 112
		.amdhsa_user_sgpr_count 6
		.amdhsa_user_sgpr_private_segment_buffer 1
		.amdhsa_user_sgpr_dispatch_ptr 0
		.amdhsa_user_sgpr_queue_ptr 0
		.amdhsa_user_sgpr_kernarg_segment_ptr 1
		.amdhsa_user_sgpr_dispatch_id 0
		.amdhsa_user_sgpr_flat_scratch_init 0
		.amdhsa_user_sgpr_kernarg_preload_length 0
		.amdhsa_user_sgpr_kernarg_preload_offset 0
		.amdhsa_user_sgpr_private_segment_size 0
		.amdhsa_uses_dynamic_stack 0
		.amdhsa_system_sgpr_private_segment_wavefront_offset 0
		.amdhsa_system_sgpr_workgroup_id_x 1
		.amdhsa_system_sgpr_workgroup_id_y 0
		.amdhsa_system_sgpr_workgroup_id_z 0
		.amdhsa_system_sgpr_workgroup_info 0
		.amdhsa_system_vgpr_workitem_id 0
		.amdhsa_next_free_vgpr 1
		.amdhsa_next_free_sgpr 0
		.amdhsa_accum_offset 4
		.amdhsa_reserve_vcc 0
		.amdhsa_reserve_flat_scratch 0
		.amdhsa_float_round_mode_32 0
		.amdhsa_float_round_mode_16_64 0
		.amdhsa_float_denorm_mode_32 3
		.amdhsa_float_denorm_mode_16_64 3
		.amdhsa_dx10_clamp 1
		.amdhsa_ieee_mode 1
		.amdhsa_fp16_overflow 0
		.amdhsa_tg_split 0
		.amdhsa_exception_fp_ieee_invalid_op 0
		.amdhsa_exception_fp_denorm_src 0
		.amdhsa_exception_fp_ieee_div_zero 0
		.amdhsa_exception_fp_ieee_overflow 0
		.amdhsa_exception_fp_ieee_underflow 0
		.amdhsa_exception_fp_ieee_inexact 0
		.amdhsa_exception_int_div_zero 0
	.end_amdhsa_kernel
	.section	.text._ZN7rocprim17ROCPRIM_400000_NS6detail17trampoline_kernelINS0_14default_configENS1_27scan_by_key_config_selectorIifEEZZNS1_16scan_by_key_implILNS1_25lookback_scan_determinismE0ELb1ES3_N6thrust23THRUST_200600_302600_NS6detail15normal_iteratorINS9_10device_ptrIiEEEENSB_INSC_IjEEEENSB_INSC_IfEEEEfNS9_4plusIvEENS9_8equal_toIvEEfEE10hipError_tPvRmT2_T3_T4_T5_mT6_T7_P12ihipStream_tbENKUlT_T0_E_clISt17integral_constantIbLb0EES13_EEDaSY_SZ_EUlSY_E_NS1_11comp_targetILNS1_3genE3ELNS1_11target_archE908ELNS1_3gpuE7ELNS1_3repE0EEENS1_30default_config_static_selectorELNS0_4arch9wavefront6targetE1EEEvT1_,"axG",@progbits,_ZN7rocprim17ROCPRIM_400000_NS6detail17trampoline_kernelINS0_14default_configENS1_27scan_by_key_config_selectorIifEEZZNS1_16scan_by_key_implILNS1_25lookback_scan_determinismE0ELb1ES3_N6thrust23THRUST_200600_302600_NS6detail15normal_iteratorINS9_10device_ptrIiEEEENSB_INSC_IjEEEENSB_INSC_IfEEEEfNS9_4plusIvEENS9_8equal_toIvEEfEE10hipError_tPvRmT2_T3_T4_T5_mT6_T7_P12ihipStream_tbENKUlT_T0_E_clISt17integral_constantIbLb0EES13_EEDaSY_SZ_EUlSY_E_NS1_11comp_targetILNS1_3genE3ELNS1_11target_archE908ELNS1_3gpuE7ELNS1_3repE0EEENS1_30default_config_static_selectorELNS0_4arch9wavefront6targetE1EEEvT1_,comdat
.Lfunc_end1684:
	.size	_ZN7rocprim17ROCPRIM_400000_NS6detail17trampoline_kernelINS0_14default_configENS1_27scan_by_key_config_selectorIifEEZZNS1_16scan_by_key_implILNS1_25lookback_scan_determinismE0ELb1ES3_N6thrust23THRUST_200600_302600_NS6detail15normal_iteratorINS9_10device_ptrIiEEEENSB_INSC_IjEEEENSB_INSC_IfEEEEfNS9_4plusIvEENS9_8equal_toIvEEfEE10hipError_tPvRmT2_T3_T4_T5_mT6_T7_P12ihipStream_tbENKUlT_T0_E_clISt17integral_constantIbLb0EES13_EEDaSY_SZ_EUlSY_E_NS1_11comp_targetILNS1_3genE3ELNS1_11target_archE908ELNS1_3gpuE7ELNS1_3repE0EEENS1_30default_config_static_selectorELNS0_4arch9wavefront6targetE1EEEvT1_, .Lfunc_end1684-_ZN7rocprim17ROCPRIM_400000_NS6detail17trampoline_kernelINS0_14default_configENS1_27scan_by_key_config_selectorIifEEZZNS1_16scan_by_key_implILNS1_25lookback_scan_determinismE0ELb1ES3_N6thrust23THRUST_200600_302600_NS6detail15normal_iteratorINS9_10device_ptrIiEEEENSB_INSC_IjEEEENSB_INSC_IfEEEEfNS9_4plusIvEENS9_8equal_toIvEEfEE10hipError_tPvRmT2_T3_T4_T5_mT6_T7_P12ihipStream_tbENKUlT_T0_E_clISt17integral_constantIbLb0EES13_EEDaSY_SZ_EUlSY_E_NS1_11comp_targetILNS1_3genE3ELNS1_11target_archE908ELNS1_3gpuE7ELNS1_3repE0EEENS1_30default_config_static_selectorELNS0_4arch9wavefront6targetE1EEEvT1_
                                        ; -- End function
	.section	.AMDGPU.csdata,"",@progbits
; Kernel info:
; codeLenInByte = 0
; NumSgprs: 4
; NumVgprs: 0
; NumAgprs: 0
; TotalNumVgprs: 0
; ScratchSize: 0
; MemoryBound: 0
; FloatMode: 240
; IeeeMode: 1
; LDSByteSize: 0 bytes/workgroup (compile time only)
; SGPRBlocks: 0
; VGPRBlocks: 0
; NumSGPRsForWavesPerEU: 4
; NumVGPRsForWavesPerEU: 1
; AccumOffset: 4
; Occupancy: 8
; WaveLimiterHint : 0
; COMPUTE_PGM_RSRC2:SCRATCH_EN: 0
; COMPUTE_PGM_RSRC2:USER_SGPR: 6
; COMPUTE_PGM_RSRC2:TRAP_HANDLER: 0
; COMPUTE_PGM_RSRC2:TGID_X_EN: 1
; COMPUTE_PGM_RSRC2:TGID_Y_EN: 0
; COMPUTE_PGM_RSRC2:TGID_Z_EN: 0
; COMPUTE_PGM_RSRC2:TIDIG_COMP_CNT: 0
; COMPUTE_PGM_RSRC3_GFX90A:ACCUM_OFFSET: 0
; COMPUTE_PGM_RSRC3_GFX90A:TG_SPLIT: 0
	.section	.text._ZN7rocprim17ROCPRIM_400000_NS6detail17trampoline_kernelINS0_14default_configENS1_27scan_by_key_config_selectorIifEEZZNS1_16scan_by_key_implILNS1_25lookback_scan_determinismE0ELb1ES3_N6thrust23THRUST_200600_302600_NS6detail15normal_iteratorINS9_10device_ptrIiEEEENSB_INSC_IjEEEENSB_INSC_IfEEEEfNS9_4plusIvEENS9_8equal_toIvEEfEE10hipError_tPvRmT2_T3_T4_T5_mT6_T7_P12ihipStream_tbENKUlT_T0_E_clISt17integral_constantIbLb0EES13_EEDaSY_SZ_EUlSY_E_NS1_11comp_targetILNS1_3genE2ELNS1_11target_archE906ELNS1_3gpuE6ELNS1_3repE0EEENS1_30default_config_static_selectorELNS0_4arch9wavefront6targetE1EEEvT1_,"axG",@progbits,_ZN7rocprim17ROCPRIM_400000_NS6detail17trampoline_kernelINS0_14default_configENS1_27scan_by_key_config_selectorIifEEZZNS1_16scan_by_key_implILNS1_25lookback_scan_determinismE0ELb1ES3_N6thrust23THRUST_200600_302600_NS6detail15normal_iteratorINS9_10device_ptrIiEEEENSB_INSC_IjEEEENSB_INSC_IfEEEEfNS9_4plusIvEENS9_8equal_toIvEEfEE10hipError_tPvRmT2_T3_T4_T5_mT6_T7_P12ihipStream_tbENKUlT_T0_E_clISt17integral_constantIbLb0EES13_EEDaSY_SZ_EUlSY_E_NS1_11comp_targetILNS1_3genE2ELNS1_11target_archE906ELNS1_3gpuE6ELNS1_3repE0EEENS1_30default_config_static_selectorELNS0_4arch9wavefront6targetE1EEEvT1_,comdat
	.protected	_ZN7rocprim17ROCPRIM_400000_NS6detail17trampoline_kernelINS0_14default_configENS1_27scan_by_key_config_selectorIifEEZZNS1_16scan_by_key_implILNS1_25lookback_scan_determinismE0ELb1ES3_N6thrust23THRUST_200600_302600_NS6detail15normal_iteratorINS9_10device_ptrIiEEEENSB_INSC_IjEEEENSB_INSC_IfEEEEfNS9_4plusIvEENS9_8equal_toIvEEfEE10hipError_tPvRmT2_T3_T4_T5_mT6_T7_P12ihipStream_tbENKUlT_T0_E_clISt17integral_constantIbLb0EES13_EEDaSY_SZ_EUlSY_E_NS1_11comp_targetILNS1_3genE2ELNS1_11target_archE906ELNS1_3gpuE6ELNS1_3repE0EEENS1_30default_config_static_selectorELNS0_4arch9wavefront6targetE1EEEvT1_ ; -- Begin function _ZN7rocprim17ROCPRIM_400000_NS6detail17trampoline_kernelINS0_14default_configENS1_27scan_by_key_config_selectorIifEEZZNS1_16scan_by_key_implILNS1_25lookback_scan_determinismE0ELb1ES3_N6thrust23THRUST_200600_302600_NS6detail15normal_iteratorINS9_10device_ptrIiEEEENSB_INSC_IjEEEENSB_INSC_IfEEEEfNS9_4plusIvEENS9_8equal_toIvEEfEE10hipError_tPvRmT2_T3_T4_T5_mT6_T7_P12ihipStream_tbENKUlT_T0_E_clISt17integral_constantIbLb0EES13_EEDaSY_SZ_EUlSY_E_NS1_11comp_targetILNS1_3genE2ELNS1_11target_archE906ELNS1_3gpuE6ELNS1_3repE0EEENS1_30default_config_static_selectorELNS0_4arch9wavefront6targetE1EEEvT1_
	.globl	_ZN7rocprim17ROCPRIM_400000_NS6detail17trampoline_kernelINS0_14default_configENS1_27scan_by_key_config_selectorIifEEZZNS1_16scan_by_key_implILNS1_25lookback_scan_determinismE0ELb1ES3_N6thrust23THRUST_200600_302600_NS6detail15normal_iteratorINS9_10device_ptrIiEEEENSB_INSC_IjEEEENSB_INSC_IfEEEEfNS9_4plusIvEENS9_8equal_toIvEEfEE10hipError_tPvRmT2_T3_T4_T5_mT6_T7_P12ihipStream_tbENKUlT_T0_E_clISt17integral_constantIbLb0EES13_EEDaSY_SZ_EUlSY_E_NS1_11comp_targetILNS1_3genE2ELNS1_11target_archE906ELNS1_3gpuE6ELNS1_3repE0EEENS1_30default_config_static_selectorELNS0_4arch9wavefront6targetE1EEEvT1_
	.p2align	8
	.type	_ZN7rocprim17ROCPRIM_400000_NS6detail17trampoline_kernelINS0_14default_configENS1_27scan_by_key_config_selectorIifEEZZNS1_16scan_by_key_implILNS1_25lookback_scan_determinismE0ELb1ES3_N6thrust23THRUST_200600_302600_NS6detail15normal_iteratorINS9_10device_ptrIiEEEENSB_INSC_IjEEEENSB_INSC_IfEEEEfNS9_4plusIvEENS9_8equal_toIvEEfEE10hipError_tPvRmT2_T3_T4_T5_mT6_T7_P12ihipStream_tbENKUlT_T0_E_clISt17integral_constantIbLb0EES13_EEDaSY_SZ_EUlSY_E_NS1_11comp_targetILNS1_3genE2ELNS1_11target_archE906ELNS1_3gpuE6ELNS1_3repE0EEENS1_30default_config_static_selectorELNS0_4arch9wavefront6targetE1EEEvT1_,@function
_ZN7rocprim17ROCPRIM_400000_NS6detail17trampoline_kernelINS0_14default_configENS1_27scan_by_key_config_selectorIifEEZZNS1_16scan_by_key_implILNS1_25lookback_scan_determinismE0ELb1ES3_N6thrust23THRUST_200600_302600_NS6detail15normal_iteratorINS9_10device_ptrIiEEEENSB_INSC_IjEEEENSB_INSC_IfEEEEfNS9_4plusIvEENS9_8equal_toIvEEfEE10hipError_tPvRmT2_T3_T4_T5_mT6_T7_P12ihipStream_tbENKUlT_T0_E_clISt17integral_constantIbLb0EES13_EEDaSY_SZ_EUlSY_E_NS1_11comp_targetILNS1_3genE2ELNS1_11target_archE906ELNS1_3gpuE6ELNS1_3repE0EEENS1_30default_config_static_selectorELNS0_4arch9wavefront6targetE1EEEvT1_: ; @_ZN7rocprim17ROCPRIM_400000_NS6detail17trampoline_kernelINS0_14default_configENS1_27scan_by_key_config_selectorIifEEZZNS1_16scan_by_key_implILNS1_25lookback_scan_determinismE0ELb1ES3_N6thrust23THRUST_200600_302600_NS6detail15normal_iteratorINS9_10device_ptrIiEEEENSB_INSC_IjEEEENSB_INSC_IfEEEEfNS9_4plusIvEENS9_8equal_toIvEEfEE10hipError_tPvRmT2_T3_T4_T5_mT6_T7_P12ihipStream_tbENKUlT_T0_E_clISt17integral_constantIbLb0EES13_EEDaSY_SZ_EUlSY_E_NS1_11comp_targetILNS1_3genE2ELNS1_11target_archE906ELNS1_3gpuE6ELNS1_3repE0EEENS1_30default_config_static_selectorELNS0_4arch9wavefront6targetE1EEEvT1_
; %bb.0:
	.section	.rodata,"a",@progbits
	.p2align	6, 0x0
	.amdhsa_kernel _ZN7rocprim17ROCPRIM_400000_NS6detail17trampoline_kernelINS0_14default_configENS1_27scan_by_key_config_selectorIifEEZZNS1_16scan_by_key_implILNS1_25lookback_scan_determinismE0ELb1ES3_N6thrust23THRUST_200600_302600_NS6detail15normal_iteratorINS9_10device_ptrIiEEEENSB_INSC_IjEEEENSB_INSC_IfEEEEfNS9_4plusIvEENS9_8equal_toIvEEfEE10hipError_tPvRmT2_T3_T4_T5_mT6_T7_P12ihipStream_tbENKUlT_T0_E_clISt17integral_constantIbLb0EES13_EEDaSY_SZ_EUlSY_E_NS1_11comp_targetILNS1_3genE2ELNS1_11target_archE906ELNS1_3gpuE6ELNS1_3repE0EEENS1_30default_config_static_selectorELNS0_4arch9wavefront6targetE1EEEvT1_
		.amdhsa_group_segment_fixed_size 0
		.amdhsa_private_segment_fixed_size 0
		.amdhsa_kernarg_size 112
		.amdhsa_user_sgpr_count 6
		.amdhsa_user_sgpr_private_segment_buffer 1
		.amdhsa_user_sgpr_dispatch_ptr 0
		.amdhsa_user_sgpr_queue_ptr 0
		.amdhsa_user_sgpr_kernarg_segment_ptr 1
		.amdhsa_user_sgpr_dispatch_id 0
		.amdhsa_user_sgpr_flat_scratch_init 0
		.amdhsa_user_sgpr_kernarg_preload_length 0
		.amdhsa_user_sgpr_kernarg_preload_offset 0
		.amdhsa_user_sgpr_private_segment_size 0
		.amdhsa_uses_dynamic_stack 0
		.amdhsa_system_sgpr_private_segment_wavefront_offset 0
		.amdhsa_system_sgpr_workgroup_id_x 1
		.amdhsa_system_sgpr_workgroup_id_y 0
		.amdhsa_system_sgpr_workgroup_id_z 0
		.amdhsa_system_sgpr_workgroup_info 0
		.amdhsa_system_vgpr_workitem_id 0
		.amdhsa_next_free_vgpr 1
		.amdhsa_next_free_sgpr 0
		.amdhsa_accum_offset 4
		.amdhsa_reserve_vcc 0
		.amdhsa_reserve_flat_scratch 0
		.amdhsa_float_round_mode_32 0
		.amdhsa_float_round_mode_16_64 0
		.amdhsa_float_denorm_mode_32 3
		.amdhsa_float_denorm_mode_16_64 3
		.amdhsa_dx10_clamp 1
		.amdhsa_ieee_mode 1
		.amdhsa_fp16_overflow 0
		.amdhsa_tg_split 0
		.amdhsa_exception_fp_ieee_invalid_op 0
		.amdhsa_exception_fp_denorm_src 0
		.amdhsa_exception_fp_ieee_div_zero 0
		.amdhsa_exception_fp_ieee_overflow 0
		.amdhsa_exception_fp_ieee_underflow 0
		.amdhsa_exception_fp_ieee_inexact 0
		.amdhsa_exception_int_div_zero 0
	.end_amdhsa_kernel
	.section	.text._ZN7rocprim17ROCPRIM_400000_NS6detail17trampoline_kernelINS0_14default_configENS1_27scan_by_key_config_selectorIifEEZZNS1_16scan_by_key_implILNS1_25lookback_scan_determinismE0ELb1ES3_N6thrust23THRUST_200600_302600_NS6detail15normal_iteratorINS9_10device_ptrIiEEEENSB_INSC_IjEEEENSB_INSC_IfEEEEfNS9_4plusIvEENS9_8equal_toIvEEfEE10hipError_tPvRmT2_T3_T4_T5_mT6_T7_P12ihipStream_tbENKUlT_T0_E_clISt17integral_constantIbLb0EES13_EEDaSY_SZ_EUlSY_E_NS1_11comp_targetILNS1_3genE2ELNS1_11target_archE906ELNS1_3gpuE6ELNS1_3repE0EEENS1_30default_config_static_selectorELNS0_4arch9wavefront6targetE1EEEvT1_,"axG",@progbits,_ZN7rocprim17ROCPRIM_400000_NS6detail17trampoline_kernelINS0_14default_configENS1_27scan_by_key_config_selectorIifEEZZNS1_16scan_by_key_implILNS1_25lookback_scan_determinismE0ELb1ES3_N6thrust23THRUST_200600_302600_NS6detail15normal_iteratorINS9_10device_ptrIiEEEENSB_INSC_IjEEEENSB_INSC_IfEEEEfNS9_4plusIvEENS9_8equal_toIvEEfEE10hipError_tPvRmT2_T3_T4_T5_mT6_T7_P12ihipStream_tbENKUlT_T0_E_clISt17integral_constantIbLb0EES13_EEDaSY_SZ_EUlSY_E_NS1_11comp_targetILNS1_3genE2ELNS1_11target_archE906ELNS1_3gpuE6ELNS1_3repE0EEENS1_30default_config_static_selectorELNS0_4arch9wavefront6targetE1EEEvT1_,comdat
.Lfunc_end1685:
	.size	_ZN7rocprim17ROCPRIM_400000_NS6detail17trampoline_kernelINS0_14default_configENS1_27scan_by_key_config_selectorIifEEZZNS1_16scan_by_key_implILNS1_25lookback_scan_determinismE0ELb1ES3_N6thrust23THRUST_200600_302600_NS6detail15normal_iteratorINS9_10device_ptrIiEEEENSB_INSC_IjEEEENSB_INSC_IfEEEEfNS9_4plusIvEENS9_8equal_toIvEEfEE10hipError_tPvRmT2_T3_T4_T5_mT6_T7_P12ihipStream_tbENKUlT_T0_E_clISt17integral_constantIbLb0EES13_EEDaSY_SZ_EUlSY_E_NS1_11comp_targetILNS1_3genE2ELNS1_11target_archE906ELNS1_3gpuE6ELNS1_3repE0EEENS1_30default_config_static_selectorELNS0_4arch9wavefront6targetE1EEEvT1_, .Lfunc_end1685-_ZN7rocprim17ROCPRIM_400000_NS6detail17trampoline_kernelINS0_14default_configENS1_27scan_by_key_config_selectorIifEEZZNS1_16scan_by_key_implILNS1_25lookback_scan_determinismE0ELb1ES3_N6thrust23THRUST_200600_302600_NS6detail15normal_iteratorINS9_10device_ptrIiEEEENSB_INSC_IjEEEENSB_INSC_IfEEEEfNS9_4plusIvEENS9_8equal_toIvEEfEE10hipError_tPvRmT2_T3_T4_T5_mT6_T7_P12ihipStream_tbENKUlT_T0_E_clISt17integral_constantIbLb0EES13_EEDaSY_SZ_EUlSY_E_NS1_11comp_targetILNS1_3genE2ELNS1_11target_archE906ELNS1_3gpuE6ELNS1_3repE0EEENS1_30default_config_static_selectorELNS0_4arch9wavefront6targetE1EEEvT1_
                                        ; -- End function
	.section	.AMDGPU.csdata,"",@progbits
; Kernel info:
; codeLenInByte = 0
; NumSgprs: 4
; NumVgprs: 0
; NumAgprs: 0
; TotalNumVgprs: 0
; ScratchSize: 0
; MemoryBound: 0
; FloatMode: 240
; IeeeMode: 1
; LDSByteSize: 0 bytes/workgroup (compile time only)
; SGPRBlocks: 0
; VGPRBlocks: 0
; NumSGPRsForWavesPerEU: 4
; NumVGPRsForWavesPerEU: 1
; AccumOffset: 4
; Occupancy: 8
; WaveLimiterHint : 0
; COMPUTE_PGM_RSRC2:SCRATCH_EN: 0
; COMPUTE_PGM_RSRC2:USER_SGPR: 6
; COMPUTE_PGM_RSRC2:TRAP_HANDLER: 0
; COMPUTE_PGM_RSRC2:TGID_X_EN: 1
; COMPUTE_PGM_RSRC2:TGID_Y_EN: 0
; COMPUTE_PGM_RSRC2:TGID_Z_EN: 0
; COMPUTE_PGM_RSRC2:TIDIG_COMP_CNT: 0
; COMPUTE_PGM_RSRC3_GFX90A:ACCUM_OFFSET: 0
; COMPUTE_PGM_RSRC3_GFX90A:TG_SPLIT: 0
	.section	.text._ZN7rocprim17ROCPRIM_400000_NS6detail17trampoline_kernelINS0_14default_configENS1_27scan_by_key_config_selectorIifEEZZNS1_16scan_by_key_implILNS1_25lookback_scan_determinismE0ELb1ES3_N6thrust23THRUST_200600_302600_NS6detail15normal_iteratorINS9_10device_ptrIiEEEENSB_INSC_IjEEEENSB_INSC_IfEEEEfNS9_4plusIvEENS9_8equal_toIvEEfEE10hipError_tPvRmT2_T3_T4_T5_mT6_T7_P12ihipStream_tbENKUlT_T0_E_clISt17integral_constantIbLb0EES13_EEDaSY_SZ_EUlSY_E_NS1_11comp_targetILNS1_3genE10ELNS1_11target_archE1200ELNS1_3gpuE4ELNS1_3repE0EEENS1_30default_config_static_selectorELNS0_4arch9wavefront6targetE1EEEvT1_,"axG",@progbits,_ZN7rocprim17ROCPRIM_400000_NS6detail17trampoline_kernelINS0_14default_configENS1_27scan_by_key_config_selectorIifEEZZNS1_16scan_by_key_implILNS1_25lookback_scan_determinismE0ELb1ES3_N6thrust23THRUST_200600_302600_NS6detail15normal_iteratorINS9_10device_ptrIiEEEENSB_INSC_IjEEEENSB_INSC_IfEEEEfNS9_4plusIvEENS9_8equal_toIvEEfEE10hipError_tPvRmT2_T3_T4_T5_mT6_T7_P12ihipStream_tbENKUlT_T0_E_clISt17integral_constantIbLb0EES13_EEDaSY_SZ_EUlSY_E_NS1_11comp_targetILNS1_3genE10ELNS1_11target_archE1200ELNS1_3gpuE4ELNS1_3repE0EEENS1_30default_config_static_selectorELNS0_4arch9wavefront6targetE1EEEvT1_,comdat
	.protected	_ZN7rocprim17ROCPRIM_400000_NS6detail17trampoline_kernelINS0_14default_configENS1_27scan_by_key_config_selectorIifEEZZNS1_16scan_by_key_implILNS1_25lookback_scan_determinismE0ELb1ES3_N6thrust23THRUST_200600_302600_NS6detail15normal_iteratorINS9_10device_ptrIiEEEENSB_INSC_IjEEEENSB_INSC_IfEEEEfNS9_4plusIvEENS9_8equal_toIvEEfEE10hipError_tPvRmT2_T3_T4_T5_mT6_T7_P12ihipStream_tbENKUlT_T0_E_clISt17integral_constantIbLb0EES13_EEDaSY_SZ_EUlSY_E_NS1_11comp_targetILNS1_3genE10ELNS1_11target_archE1200ELNS1_3gpuE4ELNS1_3repE0EEENS1_30default_config_static_selectorELNS0_4arch9wavefront6targetE1EEEvT1_ ; -- Begin function _ZN7rocprim17ROCPRIM_400000_NS6detail17trampoline_kernelINS0_14default_configENS1_27scan_by_key_config_selectorIifEEZZNS1_16scan_by_key_implILNS1_25lookback_scan_determinismE0ELb1ES3_N6thrust23THRUST_200600_302600_NS6detail15normal_iteratorINS9_10device_ptrIiEEEENSB_INSC_IjEEEENSB_INSC_IfEEEEfNS9_4plusIvEENS9_8equal_toIvEEfEE10hipError_tPvRmT2_T3_T4_T5_mT6_T7_P12ihipStream_tbENKUlT_T0_E_clISt17integral_constantIbLb0EES13_EEDaSY_SZ_EUlSY_E_NS1_11comp_targetILNS1_3genE10ELNS1_11target_archE1200ELNS1_3gpuE4ELNS1_3repE0EEENS1_30default_config_static_selectorELNS0_4arch9wavefront6targetE1EEEvT1_
	.globl	_ZN7rocprim17ROCPRIM_400000_NS6detail17trampoline_kernelINS0_14default_configENS1_27scan_by_key_config_selectorIifEEZZNS1_16scan_by_key_implILNS1_25lookback_scan_determinismE0ELb1ES3_N6thrust23THRUST_200600_302600_NS6detail15normal_iteratorINS9_10device_ptrIiEEEENSB_INSC_IjEEEENSB_INSC_IfEEEEfNS9_4plusIvEENS9_8equal_toIvEEfEE10hipError_tPvRmT2_T3_T4_T5_mT6_T7_P12ihipStream_tbENKUlT_T0_E_clISt17integral_constantIbLb0EES13_EEDaSY_SZ_EUlSY_E_NS1_11comp_targetILNS1_3genE10ELNS1_11target_archE1200ELNS1_3gpuE4ELNS1_3repE0EEENS1_30default_config_static_selectorELNS0_4arch9wavefront6targetE1EEEvT1_
	.p2align	8
	.type	_ZN7rocprim17ROCPRIM_400000_NS6detail17trampoline_kernelINS0_14default_configENS1_27scan_by_key_config_selectorIifEEZZNS1_16scan_by_key_implILNS1_25lookback_scan_determinismE0ELb1ES3_N6thrust23THRUST_200600_302600_NS6detail15normal_iteratorINS9_10device_ptrIiEEEENSB_INSC_IjEEEENSB_INSC_IfEEEEfNS9_4plusIvEENS9_8equal_toIvEEfEE10hipError_tPvRmT2_T3_T4_T5_mT6_T7_P12ihipStream_tbENKUlT_T0_E_clISt17integral_constantIbLb0EES13_EEDaSY_SZ_EUlSY_E_NS1_11comp_targetILNS1_3genE10ELNS1_11target_archE1200ELNS1_3gpuE4ELNS1_3repE0EEENS1_30default_config_static_selectorELNS0_4arch9wavefront6targetE1EEEvT1_,@function
_ZN7rocprim17ROCPRIM_400000_NS6detail17trampoline_kernelINS0_14default_configENS1_27scan_by_key_config_selectorIifEEZZNS1_16scan_by_key_implILNS1_25lookback_scan_determinismE0ELb1ES3_N6thrust23THRUST_200600_302600_NS6detail15normal_iteratorINS9_10device_ptrIiEEEENSB_INSC_IjEEEENSB_INSC_IfEEEEfNS9_4plusIvEENS9_8equal_toIvEEfEE10hipError_tPvRmT2_T3_T4_T5_mT6_T7_P12ihipStream_tbENKUlT_T0_E_clISt17integral_constantIbLb0EES13_EEDaSY_SZ_EUlSY_E_NS1_11comp_targetILNS1_3genE10ELNS1_11target_archE1200ELNS1_3gpuE4ELNS1_3repE0EEENS1_30default_config_static_selectorELNS0_4arch9wavefront6targetE1EEEvT1_: ; @_ZN7rocprim17ROCPRIM_400000_NS6detail17trampoline_kernelINS0_14default_configENS1_27scan_by_key_config_selectorIifEEZZNS1_16scan_by_key_implILNS1_25lookback_scan_determinismE0ELb1ES3_N6thrust23THRUST_200600_302600_NS6detail15normal_iteratorINS9_10device_ptrIiEEEENSB_INSC_IjEEEENSB_INSC_IfEEEEfNS9_4plusIvEENS9_8equal_toIvEEfEE10hipError_tPvRmT2_T3_T4_T5_mT6_T7_P12ihipStream_tbENKUlT_T0_E_clISt17integral_constantIbLb0EES13_EEDaSY_SZ_EUlSY_E_NS1_11comp_targetILNS1_3genE10ELNS1_11target_archE1200ELNS1_3gpuE4ELNS1_3repE0EEENS1_30default_config_static_selectorELNS0_4arch9wavefront6targetE1EEEvT1_
; %bb.0:
	.section	.rodata,"a",@progbits
	.p2align	6, 0x0
	.amdhsa_kernel _ZN7rocprim17ROCPRIM_400000_NS6detail17trampoline_kernelINS0_14default_configENS1_27scan_by_key_config_selectorIifEEZZNS1_16scan_by_key_implILNS1_25lookback_scan_determinismE0ELb1ES3_N6thrust23THRUST_200600_302600_NS6detail15normal_iteratorINS9_10device_ptrIiEEEENSB_INSC_IjEEEENSB_INSC_IfEEEEfNS9_4plusIvEENS9_8equal_toIvEEfEE10hipError_tPvRmT2_T3_T4_T5_mT6_T7_P12ihipStream_tbENKUlT_T0_E_clISt17integral_constantIbLb0EES13_EEDaSY_SZ_EUlSY_E_NS1_11comp_targetILNS1_3genE10ELNS1_11target_archE1200ELNS1_3gpuE4ELNS1_3repE0EEENS1_30default_config_static_selectorELNS0_4arch9wavefront6targetE1EEEvT1_
		.amdhsa_group_segment_fixed_size 0
		.amdhsa_private_segment_fixed_size 0
		.amdhsa_kernarg_size 112
		.amdhsa_user_sgpr_count 6
		.amdhsa_user_sgpr_private_segment_buffer 1
		.amdhsa_user_sgpr_dispatch_ptr 0
		.amdhsa_user_sgpr_queue_ptr 0
		.amdhsa_user_sgpr_kernarg_segment_ptr 1
		.amdhsa_user_sgpr_dispatch_id 0
		.amdhsa_user_sgpr_flat_scratch_init 0
		.amdhsa_user_sgpr_kernarg_preload_length 0
		.amdhsa_user_sgpr_kernarg_preload_offset 0
		.amdhsa_user_sgpr_private_segment_size 0
		.amdhsa_uses_dynamic_stack 0
		.amdhsa_system_sgpr_private_segment_wavefront_offset 0
		.amdhsa_system_sgpr_workgroup_id_x 1
		.amdhsa_system_sgpr_workgroup_id_y 0
		.amdhsa_system_sgpr_workgroup_id_z 0
		.amdhsa_system_sgpr_workgroup_info 0
		.amdhsa_system_vgpr_workitem_id 0
		.amdhsa_next_free_vgpr 1
		.amdhsa_next_free_sgpr 0
		.amdhsa_accum_offset 4
		.amdhsa_reserve_vcc 0
		.amdhsa_reserve_flat_scratch 0
		.amdhsa_float_round_mode_32 0
		.amdhsa_float_round_mode_16_64 0
		.amdhsa_float_denorm_mode_32 3
		.amdhsa_float_denorm_mode_16_64 3
		.amdhsa_dx10_clamp 1
		.amdhsa_ieee_mode 1
		.amdhsa_fp16_overflow 0
		.amdhsa_tg_split 0
		.amdhsa_exception_fp_ieee_invalid_op 0
		.amdhsa_exception_fp_denorm_src 0
		.amdhsa_exception_fp_ieee_div_zero 0
		.amdhsa_exception_fp_ieee_overflow 0
		.amdhsa_exception_fp_ieee_underflow 0
		.amdhsa_exception_fp_ieee_inexact 0
		.amdhsa_exception_int_div_zero 0
	.end_amdhsa_kernel
	.section	.text._ZN7rocprim17ROCPRIM_400000_NS6detail17trampoline_kernelINS0_14default_configENS1_27scan_by_key_config_selectorIifEEZZNS1_16scan_by_key_implILNS1_25lookback_scan_determinismE0ELb1ES3_N6thrust23THRUST_200600_302600_NS6detail15normal_iteratorINS9_10device_ptrIiEEEENSB_INSC_IjEEEENSB_INSC_IfEEEEfNS9_4plusIvEENS9_8equal_toIvEEfEE10hipError_tPvRmT2_T3_T4_T5_mT6_T7_P12ihipStream_tbENKUlT_T0_E_clISt17integral_constantIbLb0EES13_EEDaSY_SZ_EUlSY_E_NS1_11comp_targetILNS1_3genE10ELNS1_11target_archE1200ELNS1_3gpuE4ELNS1_3repE0EEENS1_30default_config_static_selectorELNS0_4arch9wavefront6targetE1EEEvT1_,"axG",@progbits,_ZN7rocprim17ROCPRIM_400000_NS6detail17trampoline_kernelINS0_14default_configENS1_27scan_by_key_config_selectorIifEEZZNS1_16scan_by_key_implILNS1_25lookback_scan_determinismE0ELb1ES3_N6thrust23THRUST_200600_302600_NS6detail15normal_iteratorINS9_10device_ptrIiEEEENSB_INSC_IjEEEENSB_INSC_IfEEEEfNS9_4plusIvEENS9_8equal_toIvEEfEE10hipError_tPvRmT2_T3_T4_T5_mT6_T7_P12ihipStream_tbENKUlT_T0_E_clISt17integral_constantIbLb0EES13_EEDaSY_SZ_EUlSY_E_NS1_11comp_targetILNS1_3genE10ELNS1_11target_archE1200ELNS1_3gpuE4ELNS1_3repE0EEENS1_30default_config_static_selectorELNS0_4arch9wavefront6targetE1EEEvT1_,comdat
.Lfunc_end1686:
	.size	_ZN7rocprim17ROCPRIM_400000_NS6detail17trampoline_kernelINS0_14default_configENS1_27scan_by_key_config_selectorIifEEZZNS1_16scan_by_key_implILNS1_25lookback_scan_determinismE0ELb1ES3_N6thrust23THRUST_200600_302600_NS6detail15normal_iteratorINS9_10device_ptrIiEEEENSB_INSC_IjEEEENSB_INSC_IfEEEEfNS9_4plusIvEENS9_8equal_toIvEEfEE10hipError_tPvRmT2_T3_T4_T5_mT6_T7_P12ihipStream_tbENKUlT_T0_E_clISt17integral_constantIbLb0EES13_EEDaSY_SZ_EUlSY_E_NS1_11comp_targetILNS1_3genE10ELNS1_11target_archE1200ELNS1_3gpuE4ELNS1_3repE0EEENS1_30default_config_static_selectorELNS0_4arch9wavefront6targetE1EEEvT1_, .Lfunc_end1686-_ZN7rocprim17ROCPRIM_400000_NS6detail17trampoline_kernelINS0_14default_configENS1_27scan_by_key_config_selectorIifEEZZNS1_16scan_by_key_implILNS1_25lookback_scan_determinismE0ELb1ES3_N6thrust23THRUST_200600_302600_NS6detail15normal_iteratorINS9_10device_ptrIiEEEENSB_INSC_IjEEEENSB_INSC_IfEEEEfNS9_4plusIvEENS9_8equal_toIvEEfEE10hipError_tPvRmT2_T3_T4_T5_mT6_T7_P12ihipStream_tbENKUlT_T0_E_clISt17integral_constantIbLb0EES13_EEDaSY_SZ_EUlSY_E_NS1_11comp_targetILNS1_3genE10ELNS1_11target_archE1200ELNS1_3gpuE4ELNS1_3repE0EEENS1_30default_config_static_selectorELNS0_4arch9wavefront6targetE1EEEvT1_
                                        ; -- End function
	.section	.AMDGPU.csdata,"",@progbits
; Kernel info:
; codeLenInByte = 0
; NumSgprs: 4
; NumVgprs: 0
; NumAgprs: 0
; TotalNumVgprs: 0
; ScratchSize: 0
; MemoryBound: 0
; FloatMode: 240
; IeeeMode: 1
; LDSByteSize: 0 bytes/workgroup (compile time only)
; SGPRBlocks: 0
; VGPRBlocks: 0
; NumSGPRsForWavesPerEU: 4
; NumVGPRsForWavesPerEU: 1
; AccumOffset: 4
; Occupancy: 8
; WaveLimiterHint : 0
; COMPUTE_PGM_RSRC2:SCRATCH_EN: 0
; COMPUTE_PGM_RSRC2:USER_SGPR: 6
; COMPUTE_PGM_RSRC2:TRAP_HANDLER: 0
; COMPUTE_PGM_RSRC2:TGID_X_EN: 1
; COMPUTE_PGM_RSRC2:TGID_Y_EN: 0
; COMPUTE_PGM_RSRC2:TGID_Z_EN: 0
; COMPUTE_PGM_RSRC2:TIDIG_COMP_CNT: 0
; COMPUTE_PGM_RSRC3_GFX90A:ACCUM_OFFSET: 0
; COMPUTE_PGM_RSRC3_GFX90A:TG_SPLIT: 0
	.section	.text._ZN7rocprim17ROCPRIM_400000_NS6detail17trampoline_kernelINS0_14default_configENS1_27scan_by_key_config_selectorIifEEZZNS1_16scan_by_key_implILNS1_25lookback_scan_determinismE0ELb1ES3_N6thrust23THRUST_200600_302600_NS6detail15normal_iteratorINS9_10device_ptrIiEEEENSB_INSC_IjEEEENSB_INSC_IfEEEEfNS9_4plusIvEENS9_8equal_toIvEEfEE10hipError_tPvRmT2_T3_T4_T5_mT6_T7_P12ihipStream_tbENKUlT_T0_E_clISt17integral_constantIbLb0EES13_EEDaSY_SZ_EUlSY_E_NS1_11comp_targetILNS1_3genE9ELNS1_11target_archE1100ELNS1_3gpuE3ELNS1_3repE0EEENS1_30default_config_static_selectorELNS0_4arch9wavefront6targetE1EEEvT1_,"axG",@progbits,_ZN7rocprim17ROCPRIM_400000_NS6detail17trampoline_kernelINS0_14default_configENS1_27scan_by_key_config_selectorIifEEZZNS1_16scan_by_key_implILNS1_25lookback_scan_determinismE0ELb1ES3_N6thrust23THRUST_200600_302600_NS6detail15normal_iteratorINS9_10device_ptrIiEEEENSB_INSC_IjEEEENSB_INSC_IfEEEEfNS9_4plusIvEENS9_8equal_toIvEEfEE10hipError_tPvRmT2_T3_T4_T5_mT6_T7_P12ihipStream_tbENKUlT_T0_E_clISt17integral_constantIbLb0EES13_EEDaSY_SZ_EUlSY_E_NS1_11comp_targetILNS1_3genE9ELNS1_11target_archE1100ELNS1_3gpuE3ELNS1_3repE0EEENS1_30default_config_static_selectorELNS0_4arch9wavefront6targetE1EEEvT1_,comdat
	.protected	_ZN7rocprim17ROCPRIM_400000_NS6detail17trampoline_kernelINS0_14default_configENS1_27scan_by_key_config_selectorIifEEZZNS1_16scan_by_key_implILNS1_25lookback_scan_determinismE0ELb1ES3_N6thrust23THRUST_200600_302600_NS6detail15normal_iteratorINS9_10device_ptrIiEEEENSB_INSC_IjEEEENSB_INSC_IfEEEEfNS9_4plusIvEENS9_8equal_toIvEEfEE10hipError_tPvRmT2_T3_T4_T5_mT6_T7_P12ihipStream_tbENKUlT_T0_E_clISt17integral_constantIbLb0EES13_EEDaSY_SZ_EUlSY_E_NS1_11comp_targetILNS1_3genE9ELNS1_11target_archE1100ELNS1_3gpuE3ELNS1_3repE0EEENS1_30default_config_static_selectorELNS0_4arch9wavefront6targetE1EEEvT1_ ; -- Begin function _ZN7rocprim17ROCPRIM_400000_NS6detail17trampoline_kernelINS0_14default_configENS1_27scan_by_key_config_selectorIifEEZZNS1_16scan_by_key_implILNS1_25lookback_scan_determinismE0ELb1ES3_N6thrust23THRUST_200600_302600_NS6detail15normal_iteratorINS9_10device_ptrIiEEEENSB_INSC_IjEEEENSB_INSC_IfEEEEfNS9_4plusIvEENS9_8equal_toIvEEfEE10hipError_tPvRmT2_T3_T4_T5_mT6_T7_P12ihipStream_tbENKUlT_T0_E_clISt17integral_constantIbLb0EES13_EEDaSY_SZ_EUlSY_E_NS1_11comp_targetILNS1_3genE9ELNS1_11target_archE1100ELNS1_3gpuE3ELNS1_3repE0EEENS1_30default_config_static_selectorELNS0_4arch9wavefront6targetE1EEEvT1_
	.globl	_ZN7rocprim17ROCPRIM_400000_NS6detail17trampoline_kernelINS0_14default_configENS1_27scan_by_key_config_selectorIifEEZZNS1_16scan_by_key_implILNS1_25lookback_scan_determinismE0ELb1ES3_N6thrust23THRUST_200600_302600_NS6detail15normal_iteratorINS9_10device_ptrIiEEEENSB_INSC_IjEEEENSB_INSC_IfEEEEfNS9_4plusIvEENS9_8equal_toIvEEfEE10hipError_tPvRmT2_T3_T4_T5_mT6_T7_P12ihipStream_tbENKUlT_T0_E_clISt17integral_constantIbLb0EES13_EEDaSY_SZ_EUlSY_E_NS1_11comp_targetILNS1_3genE9ELNS1_11target_archE1100ELNS1_3gpuE3ELNS1_3repE0EEENS1_30default_config_static_selectorELNS0_4arch9wavefront6targetE1EEEvT1_
	.p2align	8
	.type	_ZN7rocprim17ROCPRIM_400000_NS6detail17trampoline_kernelINS0_14default_configENS1_27scan_by_key_config_selectorIifEEZZNS1_16scan_by_key_implILNS1_25lookback_scan_determinismE0ELb1ES3_N6thrust23THRUST_200600_302600_NS6detail15normal_iteratorINS9_10device_ptrIiEEEENSB_INSC_IjEEEENSB_INSC_IfEEEEfNS9_4plusIvEENS9_8equal_toIvEEfEE10hipError_tPvRmT2_T3_T4_T5_mT6_T7_P12ihipStream_tbENKUlT_T0_E_clISt17integral_constantIbLb0EES13_EEDaSY_SZ_EUlSY_E_NS1_11comp_targetILNS1_3genE9ELNS1_11target_archE1100ELNS1_3gpuE3ELNS1_3repE0EEENS1_30default_config_static_selectorELNS0_4arch9wavefront6targetE1EEEvT1_,@function
_ZN7rocprim17ROCPRIM_400000_NS6detail17trampoline_kernelINS0_14default_configENS1_27scan_by_key_config_selectorIifEEZZNS1_16scan_by_key_implILNS1_25lookback_scan_determinismE0ELb1ES3_N6thrust23THRUST_200600_302600_NS6detail15normal_iteratorINS9_10device_ptrIiEEEENSB_INSC_IjEEEENSB_INSC_IfEEEEfNS9_4plusIvEENS9_8equal_toIvEEfEE10hipError_tPvRmT2_T3_T4_T5_mT6_T7_P12ihipStream_tbENKUlT_T0_E_clISt17integral_constantIbLb0EES13_EEDaSY_SZ_EUlSY_E_NS1_11comp_targetILNS1_3genE9ELNS1_11target_archE1100ELNS1_3gpuE3ELNS1_3repE0EEENS1_30default_config_static_selectorELNS0_4arch9wavefront6targetE1EEEvT1_: ; @_ZN7rocprim17ROCPRIM_400000_NS6detail17trampoline_kernelINS0_14default_configENS1_27scan_by_key_config_selectorIifEEZZNS1_16scan_by_key_implILNS1_25lookback_scan_determinismE0ELb1ES3_N6thrust23THRUST_200600_302600_NS6detail15normal_iteratorINS9_10device_ptrIiEEEENSB_INSC_IjEEEENSB_INSC_IfEEEEfNS9_4plusIvEENS9_8equal_toIvEEfEE10hipError_tPvRmT2_T3_T4_T5_mT6_T7_P12ihipStream_tbENKUlT_T0_E_clISt17integral_constantIbLb0EES13_EEDaSY_SZ_EUlSY_E_NS1_11comp_targetILNS1_3genE9ELNS1_11target_archE1100ELNS1_3gpuE3ELNS1_3repE0EEENS1_30default_config_static_selectorELNS0_4arch9wavefront6targetE1EEEvT1_
; %bb.0:
	.section	.rodata,"a",@progbits
	.p2align	6, 0x0
	.amdhsa_kernel _ZN7rocprim17ROCPRIM_400000_NS6detail17trampoline_kernelINS0_14default_configENS1_27scan_by_key_config_selectorIifEEZZNS1_16scan_by_key_implILNS1_25lookback_scan_determinismE0ELb1ES3_N6thrust23THRUST_200600_302600_NS6detail15normal_iteratorINS9_10device_ptrIiEEEENSB_INSC_IjEEEENSB_INSC_IfEEEEfNS9_4plusIvEENS9_8equal_toIvEEfEE10hipError_tPvRmT2_T3_T4_T5_mT6_T7_P12ihipStream_tbENKUlT_T0_E_clISt17integral_constantIbLb0EES13_EEDaSY_SZ_EUlSY_E_NS1_11comp_targetILNS1_3genE9ELNS1_11target_archE1100ELNS1_3gpuE3ELNS1_3repE0EEENS1_30default_config_static_selectorELNS0_4arch9wavefront6targetE1EEEvT1_
		.amdhsa_group_segment_fixed_size 0
		.amdhsa_private_segment_fixed_size 0
		.amdhsa_kernarg_size 112
		.amdhsa_user_sgpr_count 6
		.amdhsa_user_sgpr_private_segment_buffer 1
		.amdhsa_user_sgpr_dispatch_ptr 0
		.amdhsa_user_sgpr_queue_ptr 0
		.amdhsa_user_sgpr_kernarg_segment_ptr 1
		.amdhsa_user_sgpr_dispatch_id 0
		.amdhsa_user_sgpr_flat_scratch_init 0
		.amdhsa_user_sgpr_kernarg_preload_length 0
		.amdhsa_user_sgpr_kernarg_preload_offset 0
		.amdhsa_user_sgpr_private_segment_size 0
		.amdhsa_uses_dynamic_stack 0
		.amdhsa_system_sgpr_private_segment_wavefront_offset 0
		.amdhsa_system_sgpr_workgroup_id_x 1
		.amdhsa_system_sgpr_workgroup_id_y 0
		.amdhsa_system_sgpr_workgroup_id_z 0
		.amdhsa_system_sgpr_workgroup_info 0
		.amdhsa_system_vgpr_workitem_id 0
		.amdhsa_next_free_vgpr 1
		.amdhsa_next_free_sgpr 0
		.amdhsa_accum_offset 4
		.amdhsa_reserve_vcc 0
		.amdhsa_reserve_flat_scratch 0
		.amdhsa_float_round_mode_32 0
		.amdhsa_float_round_mode_16_64 0
		.amdhsa_float_denorm_mode_32 3
		.amdhsa_float_denorm_mode_16_64 3
		.amdhsa_dx10_clamp 1
		.amdhsa_ieee_mode 1
		.amdhsa_fp16_overflow 0
		.amdhsa_tg_split 0
		.amdhsa_exception_fp_ieee_invalid_op 0
		.amdhsa_exception_fp_denorm_src 0
		.amdhsa_exception_fp_ieee_div_zero 0
		.amdhsa_exception_fp_ieee_overflow 0
		.amdhsa_exception_fp_ieee_underflow 0
		.amdhsa_exception_fp_ieee_inexact 0
		.amdhsa_exception_int_div_zero 0
	.end_amdhsa_kernel
	.section	.text._ZN7rocprim17ROCPRIM_400000_NS6detail17trampoline_kernelINS0_14default_configENS1_27scan_by_key_config_selectorIifEEZZNS1_16scan_by_key_implILNS1_25lookback_scan_determinismE0ELb1ES3_N6thrust23THRUST_200600_302600_NS6detail15normal_iteratorINS9_10device_ptrIiEEEENSB_INSC_IjEEEENSB_INSC_IfEEEEfNS9_4plusIvEENS9_8equal_toIvEEfEE10hipError_tPvRmT2_T3_T4_T5_mT6_T7_P12ihipStream_tbENKUlT_T0_E_clISt17integral_constantIbLb0EES13_EEDaSY_SZ_EUlSY_E_NS1_11comp_targetILNS1_3genE9ELNS1_11target_archE1100ELNS1_3gpuE3ELNS1_3repE0EEENS1_30default_config_static_selectorELNS0_4arch9wavefront6targetE1EEEvT1_,"axG",@progbits,_ZN7rocprim17ROCPRIM_400000_NS6detail17trampoline_kernelINS0_14default_configENS1_27scan_by_key_config_selectorIifEEZZNS1_16scan_by_key_implILNS1_25lookback_scan_determinismE0ELb1ES3_N6thrust23THRUST_200600_302600_NS6detail15normal_iteratorINS9_10device_ptrIiEEEENSB_INSC_IjEEEENSB_INSC_IfEEEEfNS9_4plusIvEENS9_8equal_toIvEEfEE10hipError_tPvRmT2_T3_T4_T5_mT6_T7_P12ihipStream_tbENKUlT_T0_E_clISt17integral_constantIbLb0EES13_EEDaSY_SZ_EUlSY_E_NS1_11comp_targetILNS1_3genE9ELNS1_11target_archE1100ELNS1_3gpuE3ELNS1_3repE0EEENS1_30default_config_static_selectorELNS0_4arch9wavefront6targetE1EEEvT1_,comdat
.Lfunc_end1687:
	.size	_ZN7rocprim17ROCPRIM_400000_NS6detail17trampoline_kernelINS0_14default_configENS1_27scan_by_key_config_selectorIifEEZZNS1_16scan_by_key_implILNS1_25lookback_scan_determinismE0ELb1ES3_N6thrust23THRUST_200600_302600_NS6detail15normal_iteratorINS9_10device_ptrIiEEEENSB_INSC_IjEEEENSB_INSC_IfEEEEfNS9_4plusIvEENS9_8equal_toIvEEfEE10hipError_tPvRmT2_T3_T4_T5_mT6_T7_P12ihipStream_tbENKUlT_T0_E_clISt17integral_constantIbLb0EES13_EEDaSY_SZ_EUlSY_E_NS1_11comp_targetILNS1_3genE9ELNS1_11target_archE1100ELNS1_3gpuE3ELNS1_3repE0EEENS1_30default_config_static_selectorELNS0_4arch9wavefront6targetE1EEEvT1_, .Lfunc_end1687-_ZN7rocprim17ROCPRIM_400000_NS6detail17trampoline_kernelINS0_14default_configENS1_27scan_by_key_config_selectorIifEEZZNS1_16scan_by_key_implILNS1_25lookback_scan_determinismE0ELb1ES3_N6thrust23THRUST_200600_302600_NS6detail15normal_iteratorINS9_10device_ptrIiEEEENSB_INSC_IjEEEENSB_INSC_IfEEEEfNS9_4plusIvEENS9_8equal_toIvEEfEE10hipError_tPvRmT2_T3_T4_T5_mT6_T7_P12ihipStream_tbENKUlT_T0_E_clISt17integral_constantIbLb0EES13_EEDaSY_SZ_EUlSY_E_NS1_11comp_targetILNS1_3genE9ELNS1_11target_archE1100ELNS1_3gpuE3ELNS1_3repE0EEENS1_30default_config_static_selectorELNS0_4arch9wavefront6targetE1EEEvT1_
                                        ; -- End function
	.section	.AMDGPU.csdata,"",@progbits
; Kernel info:
; codeLenInByte = 0
; NumSgprs: 4
; NumVgprs: 0
; NumAgprs: 0
; TotalNumVgprs: 0
; ScratchSize: 0
; MemoryBound: 0
; FloatMode: 240
; IeeeMode: 1
; LDSByteSize: 0 bytes/workgroup (compile time only)
; SGPRBlocks: 0
; VGPRBlocks: 0
; NumSGPRsForWavesPerEU: 4
; NumVGPRsForWavesPerEU: 1
; AccumOffset: 4
; Occupancy: 8
; WaveLimiterHint : 0
; COMPUTE_PGM_RSRC2:SCRATCH_EN: 0
; COMPUTE_PGM_RSRC2:USER_SGPR: 6
; COMPUTE_PGM_RSRC2:TRAP_HANDLER: 0
; COMPUTE_PGM_RSRC2:TGID_X_EN: 1
; COMPUTE_PGM_RSRC2:TGID_Y_EN: 0
; COMPUTE_PGM_RSRC2:TGID_Z_EN: 0
; COMPUTE_PGM_RSRC2:TIDIG_COMP_CNT: 0
; COMPUTE_PGM_RSRC3_GFX90A:ACCUM_OFFSET: 0
; COMPUTE_PGM_RSRC3_GFX90A:TG_SPLIT: 0
	.section	.text._ZN7rocprim17ROCPRIM_400000_NS6detail17trampoline_kernelINS0_14default_configENS1_27scan_by_key_config_selectorIifEEZZNS1_16scan_by_key_implILNS1_25lookback_scan_determinismE0ELb1ES3_N6thrust23THRUST_200600_302600_NS6detail15normal_iteratorINS9_10device_ptrIiEEEENSB_INSC_IjEEEENSB_INSC_IfEEEEfNS9_4plusIvEENS9_8equal_toIvEEfEE10hipError_tPvRmT2_T3_T4_T5_mT6_T7_P12ihipStream_tbENKUlT_T0_E_clISt17integral_constantIbLb0EES13_EEDaSY_SZ_EUlSY_E_NS1_11comp_targetILNS1_3genE8ELNS1_11target_archE1030ELNS1_3gpuE2ELNS1_3repE0EEENS1_30default_config_static_selectorELNS0_4arch9wavefront6targetE1EEEvT1_,"axG",@progbits,_ZN7rocprim17ROCPRIM_400000_NS6detail17trampoline_kernelINS0_14default_configENS1_27scan_by_key_config_selectorIifEEZZNS1_16scan_by_key_implILNS1_25lookback_scan_determinismE0ELb1ES3_N6thrust23THRUST_200600_302600_NS6detail15normal_iteratorINS9_10device_ptrIiEEEENSB_INSC_IjEEEENSB_INSC_IfEEEEfNS9_4plusIvEENS9_8equal_toIvEEfEE10hipError_tPvRmT2_T3_T4_T5_mT6_T7_P12ihipStream_tbENKUlT_T0_E_clISt17integral_constantIbLb0EES13_EEDaSY_SZ_EUlSY_E_NS1_11comp_targetILNS1_3genE8ELNS1_11target_archE1030ELNS1_3gpuE2ELNS1_3repE0EEENS1_30default_config_static_selectorELNS0_4arch9wavefront6targetE1EEEvT1_,comdat
	.protected	_ZN7rocprim17ROCPRIM_400000_NS6detail17trampoline_kernelINS0_14default_configENS1_27scan_by_key_config_selectorIifEEZZNS1_16scan_by_key_implILNS1_25lookback_scan_determinismE0ELb1ES3_N6thrust23THRUST_200600_302600_NS6detail15normal_iteratorINS9_10device_ptrIiEEEENSB_INSC_IjEEEENSB_INSC_IfEEEEfNS9_4plusIvEENS9_8equal_toIvEEfEE10hipError_tPvRmT2_T3_T4_T5_mT6_T7_P12ihipStream_tbENKUlT_T0_E_clISt17integral_constantIbLb0EES13_EEDaSY_SZ_EUlSY_E_NS1_11comp_targetILNS1_3genE8ELNS1_11target_archE1030ELNS1_3gpuE2ELNS1_3repE0EEENS1_30default_config_static_selectorELNS0_4arch9wavefront6targetE1EEEvT1_ ; -- Begin function _ZN7rocprim17ROCPRIM_400000_NS6detail17trampoline_kernelINS0_14default_configENS1_27scan_by_key_config_selectorIifEEZZNS1_16scan_by_key_implILNS1_25lookback_scan_determinismE0ELb1ES3_N6thrust23THRUST_200600_302600_NS6detail15normal_iteratorINS9_10device_ptrIiEEEENSB_INSC_IjEEEENSB_INSC_IfEEEEfNS9_4plusIvEENS9_8equal_toIvEEfEE10hipError_tPvRmT2_T3_T4_T5_mT6_T7_P12ihipStream_tbENKUlT_T0_E_clISt17integral_constantIbLb0EES13_EEDaSY_SZ_EUlSY_E_NS1_11comp_targetILNS1_3genE8ELNS1_11target_archE1030ELNS1_3gpuE2ELNS1_3repE0EEENS1_30default_config_static_selectorELNS0_4arch9wavefront6targetE1EEEvT1_
	.globl	_ZN7rocprim17ROCPRIM_400000_NS6detail17trampoline_kernelINS0_14default_configENS1_27scan_by_key_config_selectorIifEEZZNS1_16scan_by_key_implILNS1_25lookback_scan_determinismE0ELb1ES3_N6thrust23THRUST_200600_302600_NS6detail15normal_iteratorINS9_10device_ptrIiEEEENSB_INSC_IjEEEENSB_INSC_IfEEEEfNS9_4plusIvEENS9_8equal_toIvEEfEE10hipError_tPvRmT2_T3_T4_T5_mT6_T7_P12ihipStream_tbENKUlT_T0_E_clISt17integral_constantIbLb0EES13_EEDaSY_SZ_EUlSY_E_NS1_11comp_targetILNS1_3genE8ELNS1_11target_archE1030ELNS1_3gpuE2ELNS1_3repE0EEENS1_30default_config_static_selectorELNS0_4arch9wavefront6targetE1EEEvT1_
	.p2align	8
	.type	_ZN7rocprim17ROCPRIM_400000_NS6detail17trampoline_kernelINS0_14default_configENS1_27scan_by_key_config_selectorIifEEZZNS1_16scan_by_key_implILNS1_25lookback_scan_determinismE0ELb1ES3_N6thrust23THRUST_200600_302600_NS6detail15normal_iteratorINS9_10device_ptrIiEEEENSB_INSC_IjEEEENSB_INSC_IfEEEEfNS9_4plusIvEENS9_8equal_toIvEEfEE10hipError_tPvRmT2_T3_T4_T5_mT6_T7_P12ihipStream_tbENKUlT_T0_E_clISt17integral_constantIbLb0EES13_EEDaSY_SZ_EUlSY_E_NS1_11comp_targetILNS1_3genE8ELNS1_11target_archE1030ELNS1_3gpuE2ELNS1_3repE0EEENS1_30default_config_static_selectorELNS0_4arch9wavefront6targetE1EEEvT1_,@function
_ZN7rocprim17ROCPRIM_400000_NS6detail17trampoline_kernelINS0_14default_configENS1_27scan_by_key_config_selectorIifEEZZNS1_16scan_by_key_implILNS1_25lookback_scan_determinismE0ELb1ES3_N6thrust23THRUST_200600_302600_NS6detail15normal_iteratorINS9_10device_ptrIiEEEENSB_INSC_IjEEEENSB_INSC_IfEEEEfNS9_4plusIvEENS9_8equal_toIvEEfEE10hipError_tPvRmT2_T3_T4_T5_mT6_T7_P12ihipStream_tbENKUlT_T0_E_clISt17integral_constantIbLb0EES13_EEDaSY_SZ_EUlSY_E_NS1_11comp_targetILNS1_3genE8ELNS1_11target_archE1030ELNS1_3gpuE2ELNS1_3repE0EEENS1_30default_config_static_selectorELNS0_4arch9wavefront6targetE1EEEvT1_: ; @_ZN7rocprim17ROCPRIM_400000_NS6detail17trampoline_kernelINS0_14default_configENS1_27scan_by_key_config_selectorIifEEZZNS1_16scan_by_key_implILNS1_25lookback_scan_determinismE0ELb1ES3_N6thrust23THRUST_200600_302600_NS6detail15normal_iteratorINS9_10device_ptrIiEEEENSB_INSC_IjEEEENSB_INSC_IfEEEEfNS9_4plusIvEENS9_8equal_toIvEEfEE10hipError_tPvRmT2_T3_T4_T5_mT6_T7_P12ihipStream_tbENKUlT_T0_E_clISt17integral_constantIbLb0EES13_EEDaSY_SZ_EUlSY_E_NS1_11comp_targetILNS1_3genE8ELNS1_11target_archE1030ELNS1_3gpuE2ELNS1_3repE0EEENS1_30default_config_static_selectorELNS0_4arch9wavefront6targetE1EEEvT1_
; %bb.0:
	.section	.rodata,"a",@progbits
	.p2align	6, 0x0
	.amdhsa_kernel _ZN7rocprim17ROCPRIM_400000_NS6detail17trampoline_kernelINS0_14default_configENS1_27scan_by_key_config_selectorIifEEZZNS1_16scan_by_key_implILNS1_25lookback_scan_determinismE0ELb1ES3_N6thrust23THRUST_200600_302600_NS6detail15normal_iteratorINS9_10device_ptrIiEEEENSB_INSC_IjEEEENSB_INSC_IfEEEEfNS9_4plusIvEENS9_8equal_toIvEEfEE10hipError_tPvRmT2_T3_T4_T5_mT6_T7_P12ihipStream_tbENKUlT_T0_E_clISt17integral_constantIbLb0EES13_EEDaSY_SZ_EUlSY_E_NS1_11comp_targetILNS1_3genE8ELNS1_11target_archE1030ELNS1_3gpuE2ELNS1_3repE0EEENS1_30default_config_static_selectorELNS0_4arch9wavefront6targetE1EEEvT1_
		.amdhsa_group_segment_fixed_size 0
		.amdhsa_private_segment_fixed_size 0
		.amdhsa_kernarg_size 112
		.amdhsa_user_sgpr_count 6
		.amdhsa_user_sgpr_private_segment_buffer 1
		.amdhsa_user_sgpr_dispatch_ptr 0
		.amdhsa_user_sgpr_queue_ptr 0
		.amdhsa_user_sgpr_kernarg_segment_ptr 1
		.amdhsa_user_sgpr_dispatch_id 0
		.amdhsa_user_sgpr_flat_scratch_init 0
		.amdhsa_user_sgpr_kernarg_preload_length 0
		.amdhsa_user_sgpr_kernarg_preload_offset 0
		.amdhsa_user_sgpr_private_segment_size 0
		.amdhsa_uses_dynamic_stack 0
		.amdhsa_system_sgpr_private_segment_wavefront_offset 0
		.amdhsa_system_sgpr_workgroup_id_x 1
		.amdhsa_system_sgpr_workgroup_id_y 0
		.amdhsa_system_sgpr_workgroup_id_z 0
		.amdhsa_system_sgpr_workgroup_info 0
		.amdhsa_system_vgpr_workitem_id 0
		.amdhsa_next_free_vgpr 1
		.amdhsa_next_free_sgpr 0
		.amdhsa_accum_offset 4
		.amdhsa_reserve_vcc 0
		.amdhsa_reserve_flat_scratch 0
		.amdhsa_float_round_mode_32 0
		.amdhsa_float_round_mode_16_64 0
		.amdhsa_float_denorm_mode_32 3
		.amdhsa_float_denorm_mode_16_64 3
		.amdhsa_dx10_clamp 1
		.amdhsa_ieee_mode 1
		.amdhsa_fp16_overflow 0
		.amdhsa_tg_split 0
		.amdhsa_exception_fp_ieee_invalid_op 0
		.amdhsa_exception_fp_denorm_src 0
		.amdhsa_exception_fp_ieee_div_zero 0
		.amdhsa_exception_fp_ieee_overflow 0
		.amdhsa_exception_fp_ieee_underflow 0
		.amdhsa_exception_fp_ieee_inexact 0
		.amdhsa_exception_int_div_zero 0
	.end_amdhsa_kernel
	.section	.text._ZN7rocprim17ROCPRIM_400000_NS6detail17trampoline_kernelINS0_14default_configENS1_27scan_by_key_config_selectorIifEEZZNS1_16scan_by_key_implILNS1_25lookback_scan_determinismE0ELb1ES3_N6thrust23THRUST_200600_302600_NS6detail15normal_iteratorINS9_10device_ptrIiEEEENSB_INSC_IjEEEENSB_INSC_IfEEEEfNS9_4plusIvEENS9_8equal_toIvEEfEE10hipError_tPvRmT2_T3_T4_T5_mT6_T7_P12ihipStream_tbENKUlT_T0_E_clISt17integral_constantIbLb0EES13_EEDaSY_SZ_EUlSY_E_NS1_11comp_targetILNS1_3genE8ELNS1_11target_archE1030ELNS1_3gpuE2ELNS1_3repE0EEENS1_30default_config_static_selectorELNS0_4arch9wavefront6targetE1EEEvT1_,"axG",@progbits,_ZN7rocprim17ROCPRIM_400000_NS6detail17trampoline_kernelINS0_14default_configENS1_27scan_by_key_config_selectorIifEEZZNS1_16scan_by_key_implILNS1_25lookback_scan_determinismE0ELb1ES3_N6thrust23THRUST_200600_302600_NS6detail15normal_iteratorINS9_10device_ptrIiEEEENSB_INSC_IjEEEENSB_INSC_IfEEEEfNS9_4plusIvEENS9_8equal_toIvEEfEE10hipError_tPvRmT2_T3_T4_T5_mT6_T7_P12ihipStream_tbENKUlT_T0_E_clISt17integral_constantIbLb0EES13_EEDaSY_SZ_EUlSY_E_NS1_11comp_targetILNS1_3genE8ELNS1_11target_archE1030ELNS1_3gpuE2ELNS1_3repE0EEENS1_30default_config_static_selectorELNS0_4arch9wavefront6targetE1EEEvT1_,comdat
.Lfunc_end1688:
	.size	_ZN7rocprim17ROCPRIM_400000_NS6detail17trampoline_kernelINS0_14default_configENS1_27scan_by_key_config_selectorIifEEZZNS1_16scan_by_key_implILNS1_25lookback_scan_determinismE0ELb1ES3_N6thrust23THRUST_200600_302600_NS6detail15normal_iteratorINS9_10device_ptrIiEEEENSB_INSC_IjEEEENSB_INSC_IfEEEEfNS9_4plusIvEENS9_8equal_toIvEEfEE10hipError_tPvRmT2_T3_T4_T5_mT6_T7_P12ihipStream_tbENKUlT_T0_E_clISt17integral_constantIbLb0EES13_EEDaSY_SZ_EUlSY_E_NS1_11comp_targetILNS1_3genE8ELNS1_11target_archE1030ELNS1_3gpuE2ELNS1_3repE0EEENS1_30default_config_static_selectorELNS0_4arch9wavefront6targetE1EEEvT1_, .Lfunc_end1688-_ZN7rocprim17ROCPRIM_400000_NS6detail17trampoline_kernelINS0_14default_configENS1_27scan_by_key_config_selectorIifEEZZNS1_16scan_by_key_implILNS1_25lookback_scan_determinismE0ELb1ES3_N6thrust23THRUST_200600_302600_NS6detail15normal_iteratorINS9_10device_ptrIiEEEENSB_INSC_IjEEEENSB_INSC_IfEEEEfNS9_4plusIvEENS9_8equal_toIvEEfEE10hipError_tPvRmT2_T3_T4_T5_mT6_T7_P12ihipStream_tbENKUlT_T0_E_clISt17integral_constantIbLb0EES13_EEDaSY_SZ_EUlSY_E_NS1_11comp_targetILNS1_3genE8ELNS1_11target_archE1030ELNS1_3gpuE2ELNS1_3repE0EEENS1_30default_config_static_selectorELNS0_4arch9wavefront6targetE1EEEvT1_
                                        ; -- End function
	.section	.AMDGPU.csdata,"",@progbits
; Kernel info:
; codeLenInByte = 0
; NumSgprs: 4
; NumVgprs: 0
; NumAgprs: 0
; TotalNumVgprs: 0
; ScratchSize: 0
; MemoryBound: 0
; FloatMode: 240
; IeeeMode: 1
; LDSByteSize: 0 bytes/workgroup (compile time only)
; SGPRBlocks: 0
; VGPRBlocks: 0
; NumSGPRsForWavesPerEU: 4
; NumVGPRsForWavesPerEU: 1
; AccumOffset: 4
; Occupancy: 8
; WaveLimiterHint : 0
; COMPUTE_PGM_RSRC2:SCRATCH_EN: 0
; COMPUTE_PGM_RSRC2:USER_SGPR: 6
; COMPUTE_PGM_RSRC2:TRAP_HANDLER: 0
; COMPUTE_PGM_RSRC2:TGID_X_EN: 1
; COMPUTE_PGM_RSRC2:TGID_Y_EN: 0
; COMPUTE_PGM_RSRC2:TGID_Z_EN: 0
; COMPUTE_PGM_RSRC2:TIDIG_COMP_CNT: 0
; COMPUTE_PGM_RSRC3_GFX90A:ACCUM_OFFSET: 0
; COMPUTE_PGM_RSRC3_GFX90A:TG_SPLIT: 0
	.section	.text._ZN7rocprim17ROCPRIM_400000_NS6detail17trampoline_kernelINS0_14default_configENS1_27scan_by_key_config_selectorIifEEZZNS1_16scan_by_key_implILNS1_25lookback_scan_determinismE0ELb1ES3_N6thrust23THRUST_200600_302600_NS6detail15normal_iteratorINS9_10device_ptrIiEEEENSB_INSC_IjEEEENSB_INSC_IfEEEEfNS9_4plusIvEENS9_8equal_toIvEEfEE10hipError_tPvRmT2_T3_T4_T5_mT6_T7_P12ihipStream_tbENKUlT_T0_E_clISt17integral_constantIbLb1EES13_EEDaSY_SZ_EUlSY_E_NS1_11comp_targetILNS1_3genE0ELNS1_11target_archE4294967295ELNS1_3gpuE0ELNS1_3repE0EEENS1_30default_config_static_selectorELNS0_4arch9wavefront6targetE1EEEvT1_,"axG",@progbits,_ZN7rocprim17ROCPRIM_400000_NS6detail17trampoline_kernelINS0_14default_configENS1_27scan_by_key_config_selectorIifEEZZNS1_16scan_by_key_implILNS1_25lookback_scan_determinismE0ELb1ES3_N6thrust23THRUST_200600_302600_NS6detail15normal_iteratorINS9_10device_ptrIiEEEENSB_INSC_IjEEEENSB_INSC_IfEEEEfNS9_4plusIvEENS9_8equal_toIvEEfEE10hipError_tPvRmT2_T3_T4_T5_mT6_T7_P12ihipStream_tbENKUlT_T0_E_clISt17integral_constantIbLb1EES13_EEDaSY_SZ_EUlSY_E_NS1_11comp_targetILNS1_3genE0ELNS1_11target_archE4294967295ELNS1_3gpuE0ELNS1_3repE0EEENS1_30default_config_static_selectorELNS0_4arch9wavefront6targetE1EEEvT1_,comdat
	.protected	_ZN7rocprim17ROCPRIM_400000_NS6detail17trampoline_kernelINS0_14default_configENS1_27scan_by_key_config_selectorIifEEZZNS1_16scan_by_key_implILNS1_25lookback_scan_determinismE0ELb1ES3_N6thrust23THRUST_200600_302600_NS6detail15normal_iteratorINS9_10device_ptrIiEEEENSB_INSC_IjEEEENSB_INSC_IfEEEEfNS9_4plusIvEENS9_8equal_toIvEEfEE10hipError_tPvRmT2_T3_T4_T5_mT6_T7_P12ihipStream_tbENKUlT_T0_E_clISt17integral_constantIbLb1EES13_EEDaSY_SZ_EUlSY_E_NS1_11comp_targetILNS1_3genE0ELNS1_11target_archE4294967295ELNS1_3gpuE0ELNS1_3repE0EEENS1_30default_config_static_selectorELNS0_4arch9wavefront6targetE1EEEvT1_ ; -- Begin function _ZN7rocprim17ROCPRIM_400000_NS6detail17trampoline_kernelINS0_14default_configENS1_27scan_by_key_config_selectorIifEEZZNS1_16scan_by_key_implILNS1_25lookback_scan_determinismE0ELb1ES3_N6thrust23THRUST_200600_302600_NS6detail15normal_iteratorINS9_10device_ptrIiEEEENSB_INSC_IjEEEENSB_INSC_IfEEEEfNS9_4plusIvEENS9_8equal_toIvEEfEE10hipError_tPvRmT2_T3_T4_T5_mT6_T7_P12ihipStream_tbENKUlT_T0_E_clISt17integral_constantIbLb1EES13_EEDaSY_SZ_EUlSY_E_NS1_11comp_targetILNS1_3genE0ELNS1_11target_archE4294967295ELNS1_3gpuE0ELNS1_3repE0EEENS1_30default_config_static_selectorELNS0_4arch9wavefront6targetE1EEEvT1_
	.globl	_ZN7rocprim17ROCPRIM_400000_NS6detail17trampoline_kernelINS0_14default_configENS1_27scan_by_key_config_selectorIifEEZZNS1_16scan_by_key_implILNS1_25lookback_scan_determinismE0ELb1ES3_N6thrust23THRUST_200600_302600_NS6detail15normal_iteratorINS9_10device_ptrIiEEEENSB_INSC_IjEEEENSB_INSC_IfEEEEfNS9_4plusIvEENS9_8equal_toIvEEfEE10hipError_tPvRmT2_T3_T4_T5_mT6_T7_P12ihipStream_tbENKUlT_T0_E_clISt17integral_constantIbLb1EES13_EEDaSY_SZ_EUlSY_E_NS1_11comp_targetILNS1_3genE0ELNS1_11target_archE4294967295ELNS1_3gpuE0ELNS1_3repE0EEENS1_30default_config_static_selectorELNS0_4arch9wavefront6targetE1EEEvT1_
	.p2align	8
	.type	_ZN7rocprim17ROCPRIM_400000_NS6detail17trampoline_kernelINS0_14default_configENS1_27scan_by_key_config_selectorIifEEZZNS1_16scan_by_key_implILNS1_25lookback_scan_determinismE0ELb1ES3_N6thrust23THRUST_200600_302600_NS6detail15normal_iteratorINS9_10device_ptrIiEEEENSB_INSC_IjEEEENSB_INSC_IfEEEEfNS9_4plusIvEENS9_8equal_toIvEEfEE10hipError_tPvRmT2_T3_T4_T5_mT6_T7_P12ihipStream_tbENKUlT_T0_E_clISt17integral_constantIbLb1EES13_EEDaSY_SZ_EUlSY_E_NS1_11comp_targetILNS1_3genE0ELNS1_11target_archE4294967295ELNS1_3gpuE0ELNS1_3repE0EEENS1_30default_config_static_selectorELNS0_4arch9wavefront6targetE1EEEvT1_,@function
_ZN7rocprim17ROCPRIM_400000_NS6detail17trampoline_kernelINS0_14default_configENS1_27scan_by_key_config_selectorIifEEZZNS1_16scan_by_key_implILNS1_25lookback_scan_determinismE0ELb1ES3_N6thrust23THRUST_200600_302600_NS6detail15normal_iteratorINS9_10device_ptrIiEEEENSB_INSC_IjEEEENSB_INSC_IfEEEEfNS9_4plusIvEENS9_8equal_toIvEEfEE10hipError_tPvRmT2_T3_T4_T5_mT6_T7_P12ihipStream_tbENKUlT_T0_E_clISt17integral_constantIbLb1EES13_EEDaSY_SZ_EUlSY_E_NS1_11comp_targetILNS1_3genE0ELNS1_11target_archE4294967295ELNS1_3gpuE0ELNS1_3repE0EEENS1_30default_config_static_selectorELNS0_4arch9wavefront6targetE1EEEvT1_: ; @_ZN7rocprim17ROCPRIM_400000_NS6detail17trampoline_kernelINS0_14default_configENS1_27scan_by_key_config_selectorIifEEZZNS1_16scan_by_key_implILNS1_25lookback_scan_determinismE0ELb1ES3_N6thrust23THRUST_200600_302600_NS6detail15normal_iteratorINS9_10device_ptrIiEEEENSB_INSC_IjEEEENSB_INSC_IfEEEEfNS9_4plusIvEENS9_8equal_toIvEEfEE10hipError_tPvRmT2_T3_T4_T5_mT6_T7_P12ihipStream_tbENKUlT_T0_E_clISt17integral_constantIbLb1EES13_EEDaSY_SZ_EUlSY_E_NS1_11comp_targetILNS1_3genE0ELNS1_11target_archE4294967295ELNS1_3gpuE0ELNS1_3repE0EEENS1_30default_config_static_selectorELNS0_4arch9wavefront6targetE1EEEvT1_
; %bb.0:
	.section	.rodata,"a",@progbits
	.p2align	6, 0x0
	.amdhsa_kernel _ZN7rocprim17ROCPRIM_400000_NS6detail17trampoline_kernelINS0_14default_configENS1_27scan_by_key_config_selectorIifEEZZNS1_16scan_by_key_implILNS1_25lookback_scan_determinismE0ELb1ES3_N6thrust23THRUST_200600_302600_NS6detail15normal_iteratorINS9_10device_ptrIiEEEENSB_INSC_IjEEEENSB_INSC_IfEEEEfNS9_4plusIvEENS9_8equal_toIvEEfEE10hipError_tPvRmT2_T3_T4_T5_mT6_T7_P12ihipStream_tbENKUlT_T0_E_clISt17integral_constantIbLb1EES13_EEDaSY_SZ_EUlSY_E_NS1_11comp_targetILNS1_3genE0ELNS1_11target_archE4294967295ELNS1_3gpuE0ELNS1_3repE0EEENS1_30default_config_static_selectorELNS0_4arch9wavefront6targetE1EEEvT1_
		.amdhsa_group_segment_fixed_size 0
		.amdhsa_private_segment_fixed_size 0
		.amdhsa_kernarg_size 112
		.amdhsa_user_sgpr_count 6
		.amdhsa_user_sgpr_private_segment_buffer 1
		.amdhsa_user_sgpr_dispatch_ptr 0
		.amdhsa_user_sgpr_queue_ptr 0
		.amdhsa_user_sgpr_kernarg_segment_ptr 1
		.amdhsa_user_sgpr_dispatch_id 0
		.amdhsa_user_sgpr_flat_scratch_init 0
		.amdhsa_user_sgpr_kernarg_preload_length 0
		.amdhsa_user_sgpr_kernarg_preload_offset 0
		.amdhsa_user_sgpr_private_segment_size 0
		.amdhsa_uses_dynamic_stack 0
		.amdhsa_system_sgpr_private_segment_wavefront_offset 0
		.amdhsa_system_sgpr_workgroup_id_x 1
		.amdhsa_system_sgpr_workgroup_id_y 0
		.amdhsa_system_sgpr_workgroup_id_z 0
		.amdhsa_system_sgpr_workgroup_info 0
		.amdhsa_system_vgpr_workitem_id 0
		.amdhsa_next_free_vgpr 1
		.amdhsa_next_free_sgpr 0
		.amdhsa_accum_offset 4
		.amdhsa_reserve_vcc 0
		.amdhsa_reserve_flat_scratch 0
		.amdhsa_float_round_mode_32 0
		.amdhsa_float_round_mode_16_64 0
		.amdhsa_float_denorm_mode_32 3
		.amdhsa_float_denorm_mode_16_64 3
		.amdhsa_dx10_clamp 1
		.amdhsa_ieee_mode 1
		.amdhsa_fp16_overflow 0
		.amdhsa_tg_split 0
		.amdhsa_exception_fp_ieee_invalid_op 0
		.amdhsa_exception_fp_denorm_src 0
		.amdhsa_exception_fp_ieee_div_zero 0
		.amdhsa_exception_fp_ieee_overflow 0
		.amdhsa_exception_fp_ieee_underflow 0
		.amdhsa_exception_fp_ieee_inexact 0
		.amdhsa_exception_int_div_zero 0
	.end_amdhsa_kernel
	.section	.text._ZN7rocprim17ROCPRIM_400000_NS6detail17trampoline_kernelINS0_14default_configENS1_27scan_by_key_config_selectorIifEEZZNS1_16scan_by_key_implILNS1_25lookback_scan_determinismE0ELb1ES3_N6thrust23THRUST_200600_302600_NS6detail15normal_iteratorINS9_10device_ptrIiEEEENSB_INSC_IjEEEENSB_INSC_IfEEEEfNS9_4plusIvEENS9_8equal_toIvEEfEE10hipError_tPvRmT2_T3_T4_T5_mT6_T7_P12ihipStream_tbENKUlT_T0_E_clISt17integral_constantIbLb1EES13_EEDaSY_SZ_EUlSY_E_NS1_11comp_targetILNS1_3genE0ELNS1_11target_archE4294967295ELNS1_3gpuE0ELNS1_3repE0EEENS1_30default_config_static_selectorELNS0_4arch9wavefront6targetE1EEEvT1_,"axG",@progbits,_ZN7rocprim17ROCPRIM_400000_NS6detail17trampoline_kernelINS0_14default_configENS1_27scan_by_key_config_selectorIifEEZZNS1_16scan_by_key_implILNS1_25lookback_scan_determinismE0ELb1ES3_N6thrust23THRUST_200600_302600_NS6detail15normal_iteratorINS9_10device_ptrIiEEEENSB_INSC_IjEEEENSB_INSC_IfEEEEfNS9_4plusIvEENS9_8equal_toIvEEfEE10hipError_tPvRmT2_T3_T4_T5_mT6_T7_P12ihipStream_tbENKUlT_T0_E_clISt17integral_constantIbLb1EES13_EEDaSY_SZ_EUlSY_E_NS1_11comp_targetILNS1_3genE0ELNS1_11target_archE4294967295ELNS1_3gpuE0ELNS1_3repE0EEENS1_30default_config_static_selectorELNS0_4arch9wavefront6targetE1EEEvT1_,comdat
.Lfunc_end1689:
	.size	_ZN7rocprim17ROCPRIM_400000_NS6detail17trampoline_kernelINS0_14default_configENS1_27scan_by_key_config_selectorIifEEZZNS1_16scan_by_key_implILNS1_25lookback_scan_determinismE0ELb1ES3_N6thrust23THRUST_200600_302600_NS6detail15normal_iteratorINS9_10device_ptrIiEEEENSB_INSC_IjEEEENSB_INSC_IfEEEEfNS9_4plusIvEENS9_8equal_toIvEEfEE10hipError_tPvRmT2_T3_T4_T5_mT6_T7_P12ihipStream_tbENKUlT_T0_E_clISt17integral_constantIbLb1EES13_EEDaSY_SZ_EUlSY_E_NS1_11comp_targetILNS1_3genE0ELNS1_11target_archE4294967295ELNS1_3gpuE0ELNS1_3repE0EEENS1_30default_config_static_selectorELNS0_4arch9wavefront6targetE1EEEvT1_, .Lfunc_end1689-_ZN7rocprim17ROCPRIM_400000_NS6detail17trampoline_kernelINS0_14default_configENS1_27scan_by_key_config_selectorIifEEZZNS1_16scan_by_key_implILNS1_25lookback_scan_determinismE0ELb1ES3_N6thrust23THRUST_200600_302600_NS6detail15normal_iteratorINS9_10device_ptrIiEEEENSB_INSC_IjEEEENSB_INSC_IfEEEEfNS9_4plusIvEENS9_8equal_toIvEEfEE10hipError_tPvRmT2_T3_T4_T5_mT6_T7_P12ihipStream_tbENKUlT_T0_E_clISt17integral_constantIbLb1EES13_EEDaSY_SZ_EUlSY_E_NS1_11comp_targetILNS1_3genE0ELNS1_11target_archE4294967295ELNS1_3gpuE0ELNS1_3repE0EEENS1_30default_config_static_selectorELNS0_4arch9wavefront6targetE1EEEvT1_
                                        ; -- End function
	.section	.AMDGPU.csdata,"",@progbits
; Kernel info:
; codeLenInByte = 0
; NumSgprs: 4
; NumVgprs: 0
; NumAgprs: 0
; TotalNumVgprs: 0
; ScratchSize: 0
; MemoryBound: 0
; FloatMode: 240
; IeeeMode: 1
; LDSByteSize: 0 bytes/workgroup (compile time only)
; SGPRBlocks: 0
; VGPRBlocks: 0
; NumSGPRsForWavesPerEU: 4
; NumVGPRsForWavesPerEU: 1
; AccumOffset: 4
; Occupancy: 8
; WaveLimiterHint : 0
; COMPUTE_PGM_RSRC2:SCRATCH_EN: 0
; COMPUTE_PGM_RSRC2:USER_SGPR: 6
; COMPUTE_PGM_RSRC2:TRAP_HANDLER: 0
; COMPUTE_PGM_RSRC2:TGID_X_EN: 1
; COMPUTE_PGM_RSRC2:TGID_Y_EN: 0
; COMPUTE_PGM_RSRC2:TGID_Z_EN: 0
; COMPUTE_PGM_RSRC2:TIDIG_COMP_CNT: 0
; COMPUTE_PGM_RSRC3_GFX90A:ACCUM_OFFSET: 0
; COMPUTE_PGM_RSRC3_GFX90A:TG_SPLIT: 0
	.section	.text._ZN7rocprim17ROCPRIM_400000_NS6detail17trampoline_kernelINS0_14default_configENS1_27scan_by_key_config_selectorIifEEZZNS1_16scan_by_key_implILNS1_25lookback_scan_determinismE0ELb1ES3_N6thrust23THRUST_200600_302600_NS6detail15normal_iteratorINS9_10device_ptrIiEEEENSB_INSC_IjEEEENSB_INSC_IfEEEEfNS9_4plusIvEENS9_8equal_toIvEEfEE10hipError_tPvRmT2_T3_T4_T5_mT6_T7_P12ihipStream_tbENKUlT_T0_E_clISt17integral_constantIbLb1EES13_EEDaSY_SZ_EUlSY_E_NS1_11comp_targetILNS1_3genE10ELNS1_11target_archE1201ELNS1_3gpuE5ELNS1_3repE0EEENS1_30default_config_static_selectorELNS0_4arch9wavefront6targetE1EEEvT1_,"axG",@progbits,_ZN7rocprim17ROCPRIM_400000_NS6detail17trampoline_kernelINS0_14default_configENS1_27scan_by_key_config_selectorIifEEZZNS1_16scan_by_key_implILNS1_25lookback_scan_determinismE0ELb1ES3_N6thrust23THRUST_200600_302600_NS6detail15normal_iteratorINS9_10device_ptrIiEEEENSB_INSC_IjEEEENSB_INSC_IfEEEEfNS9_4plusIvEENS9_8equal_toIvEEfEE10hipError_tPvRmT2_T3_T4_T5_mT6_T7_P12ihipStream_tbENKUlT_T0_E_clISt17integral_constantIbLb1EES13_EEDaSY_SZ_EUlSY_E_NS1_11comp_targetILNS1_3genE10ELNS1_11target_archE1201ELNS1_3gpuE5ELNS1_3repE0EEENS1_30default_config_static_selectorELNS0_4arch9wavefront6targetE1EEEvT1_,comdat
	.protected	_ZN7rocprim17ROCPRIM_400000_NS6detail17trampoline_kernelINS0_14default_configENS1_27scan_by_key_config_selectorIifEEZZNS1_16scan_by_key_implILNS1_25lookback_scan_determinismE0ELb1ES3_N6thrust23THRUST_200600_302600_NS6detail15normal_iteratorINS9_10device_ptrIiEEEENSB_INSC_IjEEEENSB_INSC_IfEEEEfNS9_4plusIvEENS9_8equal_toIvEEfEE10hipError_tPvRmT2_T3_T4_T5_mT6_T7_P12ihipStream_tbENKUlT_T0_E_clISt17integral_constantIbLb1EES13_EEDaSY_SZ_EUlSY_E_NS1_11comp_targetILNS1_3genE10ELNS1_11target_archE1201ELNS1_3gpuE5ELNS1_3repE0EEENS1_30default_config_static_selectorELNS0_4arch9wavefront6targetE1EEEvT1_ ; -- Begin function _ZN7rocprim17ROCPRIM_400000_NS6detail17trampoline_kernelINS0_14default_configENS1_27scan_by_key_config_selectorIifEEZZNS1_16scan_by_key_implILNS1_25lookback_scan_determinismE0ELb1ES3_N6thrust23THRUST_200600_302600_NS6detail15normal_iteratorINS9_10device_ptrIiEEEENSB_INSC_IjEEEENSB_INSC_IfEEEEfNS9_4plusIvEENS9_8equal_toIvEEfEE10hipError_tPvRmT2_T3_T4_T5_mT6_T7_P12ihipStream_tbENKUlT_T0_E_clISt17integral_constantIbLb1EES13_EEDaSY_SZ_EUlSY_E_NS1_11comp_targetILNS1_3genE10ELNS1_11target_archE1201ELNS1_3gpuE5ELNS1_3repE0EEENS1_30default_config_static_selectorELNS0_4arch9wavefront6targetE1EEEvT1_
	.globl	_ZN7rocprim17ROCPRIM_400000_NS6detail17trampoline_kernelINS0_14default_configENS1_27scan_by_key_config_selectorIifEEZZNS1_16scan_by_key_implILNS1_25lookback_scan_determinismE0ELb1ES3_N6thrust23THRUST_200600_302600_NS6detail15normal_iteratorINS9_10device_ptrIiEEEENSB_INSC_IjEEEENSB_INSC_IfEEEEfNS9_4plusIvEENS9_8equal_toIvEEfEE10hipError_tPvRmT2_T3_T4_T5_mT6_T7_P12ihipStream_tbENKUlT_T0_E_clISt17integral_constantIbLb1EES13_EEDaSY_SZ_EUlSY_E_NS1_11comp_targetILNS1_3genE10ELNS1_11target_archE1201ELNS1_3gpuE5ELNS1_3repE0EEENS1_30default_config_static_selectorELNS0_4arch9wavefront6targetE1EEEvT1_
	.p2align	8
	.type	_ZN7rocprim17ROCPRIM_400000_NS6detail17trampoline_kernelINS0_14default_configENS1_27scan_by_key_config_selectorIifEEZZNS1_16scan_by_key_implILNS1_25lookback_scan_determinismE0ELb1ES3_N6thrust23THRUST_200600_302600_NS6detail15normal_iteratorINS9_10device_ptrIiEEEENSB_INSC_IjEEEENSB_INSC_IfEEEEfNS9_4plusIvEENS9_8equal_toIvEEfEE10hipError_tPvRmT2_T3_T4_T5_mT6_T7_P12ihipStream_tbENKUlT_T0_E_clISt17integral_constantIbLb1EES13_EEDaSY_SZ_EUlSY_E_NS1_11comp_targetILNS1_3genE10ELNS1_11target_archE1201ELNS1_3gpuE5ELNS1_3repE0EEENS1_30default_config_static_selectorELNS0_4arch9wavefront6targetE1EEEvT1_,@function
_ZN7rocprim17ROCPRIM_400000_NS6detail17trampoline_kernelINS0_14default_configENS1_27scan_by_key_config_selectorIifEEZZNS1_16scan_by_key_implILNS1_25lookback_scan_determinismE0ELb1ES3_N6thrust23THRUST_200600_302600_NS6detail15normal_iteratorINS9_10device_ptrIiEEEENSB_INSC_IjEEEENSB_INSC_IfEEEEfNS9_4plusIvEENS9_8equal_toIvEEfEE10hipError_tPvRmT2_T3_T4_T5_mT6_T7_P12ihipStream_tbENKUlT_T0_E_clISt17integral_constantIbLb1EES13_EEDaSY_SZ_EUlSY_E_NS1_11comp_targetILNS1_3genE10ELNS1_11target_archE1201ELNS1_3gpuE5ELNS1_3repE0EEENS1_30default_config_static_selectorELNS0_4arch9wavefront6targetE1EEEvT1_: ; @_ZN7rocprim17ROCPRIM_400000_NS6detail17trampoline_kernelINS0_14default_configENS1_27scan_by_key_config_selectorIifEEZZNS1_16scan_by_key_implILNS1_25lookback_scan_determinismE0ELb1ES3_N6thrust23THRUST_200600_302600_NS6detail15normal_iteratorINS9_10device_ptrIiEEEENSB_INSC_IjEEEENSB_INSC_IfEEEEfNS9_4plusIvEENS9_8equal_toIvEEfEE10hipError_tPvRmT2_T3_T4_T5_mT6_T7_P12ihipStream_tbENKUlT_T0_E_clISt17integral_constantIbLb1EES13_EEDaSY_SZ_EUlSY_E_NS1_11comp_targetILNS1_3genE10ELNS1_11target_archE1201ELNS1_3gpuE5ELNS1_3repE0EEENS1_30default_config_static_selectorELNS0_4arch9wavefront6targetE1EEEvT1_
; %bb.0:
	.section	.rodata,"a",@progbits
	.p2align	6, 0x0
	.amdhsa_kernel _ZN7rocprim17ROCPRIM_400000_NS6detail17trampoline_kernelINS0_14default_configENS1_27scan_by_key_config_selectorIifEEZZNS1_16scan_by_key_implILNS1_25lookback_scan_determinismE0ELb1ES3_N6thrust23THRUST_200600_302600_NS6detail15normal_iteratorINS9_10device_ptrIiEEEENSB_INSC_IjEEEENSB_INSC_IfEEEEfNS9_4plusIvEENS9_8equal_toIvEEfEE10hipError_tPvRmT2_T3_T4_T5_mT6_T7_P12ihipStream_tbENKUlT_T0_E_clISt17integral_constantIbLb1EES13_EEDaSY_SZ_EUlSY_E_NS1_11comp_targetILNS1_3genE10ELNS1_11target_archE1201ELNS1_3gpuE5ELNS1_3repE0EEENS1_30default_config_static_selectorELNS0_4arch9wavefront6targetE1EEEvT1_
		.amdhsa_group_segment_fixed_size 0
		.amdhsa_private_segment_fixed_size 0
		.amdhsa_kernarg_size 112
		.amdhsa_user_sgpr_count 6
		.amdhsa_user_sgpr_private_segment_buffer 1
		.amdhsa_user_sgpr_dispatch_ptr 0
		.amdhsa_user_sgpr_queue_ptr 0
		.amdhsa_user_sgpr_kernarg_segment_ptr 1
		.amdhsa_user_sgpr_dispatch_id 0
		.amdhsa_user_sgpr_flat_scratch_init 0
		.amdhsa_user_sgpr_kernarg_preload_length 0
		.amdhsa_user_sgpr_kernarg_preload_offset 0
		.amdhsa_user_sgpr_private_segment_size 0
		.amdhsa_uses_dynamic_stack 0
		.amdhsa_system_sgpr_private_segment_wavefront_offset 0
		.amdhsa_system_sgpr_workgroup_id_x 1
		.amdhsa_system_sgpr_workgroup_id_y 0
		.amdhsa_system_sgpr_workgroup_id_z 0
		.amdhsa_system_sgpr_workgroup_info 0
		.amdhsa_system_vgpr_workitem_id 0
		.amdhsa_next_free_vgpr 1
		.amdhsa_next_free_sgpr 0
		.amdhsa_accum_offset 4
		.amdhsa_reserve_vcc 0
		.amdhsa_reserve_flat_scratch 0
		.amdhsa_float_round_mode_32 0
		.amdhsa_float_round_mode_16_64 0
		.amdhsa_float_denorm_mode_32 3
		.amdhsa_float_denorm_mode_16_64 3
		.amdhsa_dx10_clamp 1
		.amdhsa_ieee_mode 1
		.amdhsa_fp16_overflow 0
		.amdhsa_tg_split 0
		.amdhsa_exception_fp_ieee_invalid_op 0
		.amdhsa_exception_fp_denorm_src 0
		.amdhsa_exception_fp_ieee_div_zero 0
		.amdhsa_exception_fp_ieee_overflow 0
		.amdhsa_exception_fp_ieee_underflow 0
		.amdhsa_exception_fp_ieee_inexact 0
		.amdhsa_exception_int_div_zero 0
	.end_amdhsa_kernel
	.section	.text._ZN7rocprim17ROCPRIM_400000_NS6detail17trampoline_kernelINS0_14default_configENS1_27scan_by_key_config_selectorIifEEZZNS1_16scan_by_key_implILNS1_25lookback_scan_determinismE0ELb1ES3_N6thrust23THRUST_200600_302600_NS6detail15normal_iteratorINS9_10device_ptrIiEEEENSB_INSC_IjEEEENSB_INSC_IfEEEEfNS9_4plusIvEENS9_8equal_toIvEEfEE10hipError_tPvRmT2_T3_T4_T5_mT6_T7_P12ihipStream_tbENKUlT_T0_E_clISt17integral_constantIbLb1EES13_EEDaSY_SZ_EUlSY_E_NS1_11comp_targetILNS1_3genE10ELNS1_11target_archE1201ELNS1_3gpuE5ELNS1_3repE0EEENS1_30default_config_static_selectorELNS0_4arch9wavefront6targetE1EEEvT1_,"axG",@progbits,_ZN7rocprim17ROCPRIM_400000_NS6detail17trampoline_kernelINS0_14default_configENS1_27scan_by_key_config_selectorIifEEZZNS1_16scan_by_key_implILNS1_25lookback_scan_determinismE0ELb1ES3_N6thrust23THRUST_200600_302600_NS6detail15normal_iteratorINS9_10device_ptrIiEEEENSB_INSC_IjEEEENSB_INSC_IfEEEEfNS9_4plusIvEENS9_8equal_toIvEEfEE10hipError_tPvRmT2_T3_T4_T5_mT6_T7_P12ihipStream_tbENKUlT_T0_E_clISt17integral_constantIbLb1EES13_EEDaSY_SZ_EUlSY_E_NS1_11comp_targetILNS1_3genE10ELNS1_11target_archE1201ELNS1_3gpuE5ELNS1_3repE0EEENS1_30default_config_static_selectorELNS0_4arch9wavefront6targetE1EEEvT1_,comdat
.Lfunc_end1690:
	.size	_ZN7rocprim17ROCPRIM_400000_NS6detail17trampoline_kernelINS0_14default_configENS1_27scan_by_key_config_selectorIifEEZZNS1_16scan_by_key_implILNS1_25lookback_scan_determinismE0ELb1ES3_N6thrust23THRUST_200600_302600_NS6detail15normal_iteratorINS9_10device_ptrIiEEEENSB_INSC_IjEEEENSB_INSC_IfEEEEfNS9_4plusIvEENS9_8equal_toIvEEfEE10hipError_tPvRmT2_T3_T4_T5_mT6_T7_P12ihipStream_tbENKUlT_T0_E_clISt17integral_constantIbLb1EES13_EEDaSY_SZ_EUlSY_E_NS1_11comp_targetILNS1_3genE10ELNS1_11target_archE1201ELNS1_3gpuE5ELNS1_3repE0EEENS1_30default_config_static_selectorELNS0_4arch9wavefront6targetE1EEEvT1_, .Lfunc_end1690-_ZN7rocprim17ROCPRIM_400000_NS6detail17trampoline_kernelINS0_14default_configENS1_27scan_by_key_config_selectorIifEEZZNS1_16scan_by_key_implILNS1_25lookback_scan_determinismE0ELb1ES3_N6thrust23THRUST_200600_302600_NS6detail15normal_iteratorINS9_10device_ptrIiEEEENSB_INSC_IjEEEENSB_INSC_IfEEEEfNS9_4plusIvEENS9_8equal_toIvEEfEE10hipError_tPvRmT2_T3_T4_T5_mT6_T7_P12ihipStream_tbENKUlT_T0_E_clISt17integral_constantIbLb1EES13_EEDaSY_SZ_EUlSY_E_NS1_11comp_targetILNS1_3genE10ELNS1_11target_archE1201ELNS1_3gpuE5ELNS1_3repE0EEENS1_30default_config_static_selectorELNS0_4arch9wavefront6targetE1EEEvT1_
                                        ; -- End function
	.section	.AMDGPU.csdata,"",@progbits
; Kernel info:
; codeLenInByte = 0
; NumSgprs: 4
; NumVgprs: 0
; NumAgprs: 0
; TotalNumVgprs: 0
; ScratchSize: 0
; MemoryBound: 0
; FloatMode: 240
; IeeeMode: 1
; LDSByteSize: 0 bytes/workgroup (compile time only)
; SGPRBlocks: 0
; VGPRBlocks: 0
; NumSGPRsForWavesPerEU: 4
; NumVGPRsForWavesPerEU: 1
; AccumOffset: 4
; Occupancy: 8
; WaveLimiterHint : 0
; COMPUTE_PGM_RSRC2:SCRATCH_EN: 0
; COMPUTE_PGM_RSRC2:USER_SGPR: 6
; COMPUTE_PGM_RSRC2:TRAP_HANDLER: 0
; COMPUTE_PGM_RSRC2:TGID_X_EN: 1
; COMPUTE_PGM_RSRC2:TGID_Y_EN: 0
; COMPUTE_PGM_RSRC2:TGID_Z_EN: 0
; COMPUTE_PGM_RSRC2:TIDIG_COMP_CNT: 0
; COMPUTE_PGM_RSRC3_GFX90A:ACCUM_OFFSET: 0
; COMPUTE_PGM_RSRC3_GFX90A:TG_SPLIT: 0
	.section	.text._ZN7rocprim17ROCPRIM_400000_NS6detail17trampoline_kernelINS0_14default_configENS1_27scan_by_key_config_selectorIifEEZZNS1_16scan_by_key_implILNS1_25lookback_scan_determinismE0ELb1ES3_N6thrust23THRUST_200600_302600_NS6detail15normal_iteratorINS9_10device_ptrIiEEEENSB_INSC_IjEEEENSB_INSC_IfEEEEfNS9_4plusIvEENS9_8equal_toIvEEfEE10hipError_tPvRmT2_T3_T4_T5_mT6_T7_P12ihipStream_tbENKUlT_T0_E_clISt17integral_constantIbLb1EES13_EEDaSY_SZ_EUlSY_E_NS1_11comp_targetILNS1_3genE5ELNS1_11target_archE942ELNS1_3gpuE9ELNS1_3repE0EEENS1_30default_config_static_selectorELNS0_4arch9wavefront6targetE1EEEvT1_,"axG",@progbits,_ZN7rocprim17ROCPRIM_400000_NS6detail17trampoline_kernelINS0_14default_configENS1_27scan_by_key_config_selectorIifEEZZNS1_16scan_by_key_implILNS1_25lookback_scan_determinismE0ELb1ES3_N6thrust23THRUST_200600_302600_NS6detail15normal_iteratorINS9_10device_ptrIiEEEENSB_INSC_IjEEEENSB_INSC_IfEEEEfNS9_4plusIvEENS9_8equal_toIvEEfEE10hipError_tPvRmT2_T3_T4_T5_mT6_T7_P12ihipStream_tbENKUlT_T0_E_clISt17integral_constantIbLb1EES13_EEDaSY_SZ_EUlSY_E_NS1_11comp_targetILNS1_3genE5ELNS1_11target_archE942ELNS1_3gpuE9ELNS1_3repE0EEENS1_30default_config_static_selectorELNS0_4arch9wavefront6targetE1EEEvT1_,comdat
	.protected	_ZN7rocprim17ROCPRIM_400000_NS6detail17trampoline_kernelINS0_14default_configENS1_27scan_by_key_config_selectorIifEEZZNS1_16scan_by_key_implILNS1_25lookback_scan_determinismE0ELb1ES3_N6thrust23THRUST_200600_302600_NS6detail15normal_iteratorINS9_10device_ptrIiEEEENSB_INSC_IjEEEENSB_INSC_IfEEEEfNS9_4plusIvEENS9_8equal_toIvEEfEE10hipError_tPvRmT2_T3_T4_T5_mT6_T7_P12ihipStream_tbENKUlT_T0_E_clISt17integral_constantIbLb1EES13_EEDaSY_SZ_EUlSY_E_NS1_11comp_targetILNS1_3genE5ELNS1_11target_archE942ELNS1_3gpuE9ELNS1_3repE0EEENS1_30default_config_static_selectorELNS0_4arch9wavefront6targetE1EEEvT1_ ; -- Begin function _ZN7rocprim17ROCPRIM_400000_NS6detail17trampoline_kernelINS0_14default_configENS1_27scan_by_key_config_selectorIifEEZZNS1_16scan_by_key_implILNS1_25lookback_scan_determinismE0ELb1ES3_N6thrust23THRUST_200600_302600_NS6detail15normal_iteratorINS9_10device_ptrIiEEEENSB_INSC_IjEEEENSB_INSC_IfEEEEfNS9_4plusIvEENS9_8equal_toIvEEfEE10hipError_tPvRmT2_T3_T4_T5_mT6_T7_P12ihipStream_tbENKUlT_T0_E_clISt17integral_constantIbLb1EES13_EEDaSY_SZ_EUlSY_E_NS1_11comp_targetILNS1_3genE5ELNS1_11target_archE942ELNS1_3gpuE9ELNS1_3repE0EEENS1_30default_config_static_selectorELNS0_4arch9wavefront6targetE1EEEvT1_
	.globl	_ZN7rocprim17ROCPRIM_400000_NS6detail17trampoline_kernelINS0_14default_configENS1_27scan_by_key_config_selectorIifEEZZNS1_16scan_by_key_implILNS1_25lookback_scan_determinismE0ELb1ES3_N6thrust23THRUST_200600_302600_NS6detail15normal_iteratorINS9_10device_ptrIiEEEENSB_INSC_IjEEEENSB_INSC_IfEEEEfNS9_4plusIvEENS9_8equal_toIvEEfEE10hipError_tPvRmT2_T3_T4_T5_mT6_T7_P12ihipStream_tbENKUlT_T0_E_clISt17integral_constantIbLb1EES13_EEDaSY_SZ_EUlSY_E_NS1_11comp_targetILNS1_3genE5ELNS1_11target_archE942ELNS1_3gpuE9ELNS1_3repE0EEENS1_30default_config_static_selectorELNS0_4arch9wavefront6targetE1EEEvT1_
	.p2align	8
	.type	_ZN7rocprim17ROCPRIM_400000_NS6detail17trampoline_kernelINS0_14default_configENS1_27scan_by_key_config_selectorIifEEZZNS1_16scan_by_key_implILNS1_25lookback_scan_determinismE0ELb1ES3_N6thrust23THRUST_200600_302600_NS6detail15normal_iteratorINS9_10device_ptrIiEEEENSB_INSC_IjEEEENSB_INSC_IfEEEEfNS9_4plusIvEENS9_8equal_toIvEEfEE10hipError_tPvRmT2_T3_T4_T5_mT6_T7_P12ihipStream_tbENKUlT_T0_E_clISt17integral_constantIbLb1EES13_EEDaSY_SZ_EUlSY_E_NS1_11comp_targetILNS1_3genE5ELNS1_11target_archE942ELNS1_3gpuE9ELNS1_3repE0EEENS1_30default_config_static_selectorELNS0_4arch9wavefront6targetE1EEEvT1_,@function
_ZN7rocprim17ROCPRIM_400000_NS6detail17trampoline_kernelINS0_14default_configENS1_27scan_by_key_config_selectorIifEEZZNS1_16scan_by_key_implILNS1_25lookback_scan_determinismE0ELb1ES3_N6thrust23THRUST_200600_302600_NS6detail15normal_iteratorINS9_10device_ptrIiEEEENSB_INSC_IjEEEENSB_INSC_IfEEEEfNS9_4plusIvEENS9_8equal_toIvEEfEE10hipError_tPvRmT2_T3_T4_T5_mT6_T7_P12ihipStream_tbENKUlT_T0_E_clISt17integral_constantIbLb1EES13_EEDaSY_SZ_EUlSY_E_NS1_11comp_targetILNS1_3genE5ELNS1_11target_archE942ELNS1_3gpuE9ELNS1_3repE0EEENS1_30default_config_static_selectorELNS0_4arch9wavefront6targetE1EEEvT1_: ; @_ZN7rocprim17ROCPRIM_400000_NS6detail17trampoline_kernelINS0_14default_configENS1_27scan_by_key_config_selectorIifEEZZNS1_16scan_by_key_implILNS1_25lookback_scan_determinismE0ELb1ES3_N6thrust23THRUST_200600_302600_NS6detail15normal_iteratorINS9_10device_ptrIiEEEENSB_INSC_IjEEEENSB_INSC_IfEEEEfNS9_4plusIvEENS9_8equal_toIvEEfEE10hipError_tPvRmT2_T3_T4_T5_mT6_T7_P12ihipStream_tbENKUlT_T0_E_clISt17integral_constantIbLb1EES13_EEDaSY_SZ_EUlSY_E_NS1_11comp_targetILNS1_3genE5ELNS1_11target_archE942ELNS1_3gpuE9ELNS1_3repE0EEENS1_30default_config_static_selectorELNS0_4arch9wavefront6targetE1EEEvT1_
; %bb.0:
	.section	.rodata,"a",@progbits
	.p2align	6, 0x0
	.amdhsa_kernel _ZN7rocprim17ROCPRIM_400000_NS6detail17trampoline_kernelINS0_14default_configENS1_27scan_by_key_config_selectorIifEEZZNS1_16scan_by_key_implILNS1_25lookback_scan_determinismE0ELb1ES3_N6thrust23THRUST_200600_302600_NS6detail15normal_iteratorINS9_10device_ptrIiEEEENSB_INSC_IjEEEENSB_INSC_IfEEEEfNS9_4plusIvEENS9_8equal_toIvEEfEE10hipError_tPvRmT2_T3_T4_T5_mT6_T7_P12ihipStream_tbENKUlT_T0_E_clISt17integral_constantIbLb1EES13_EEDaSY_SZ_EUlSY_E_NS1_11comp_targetILNS1_3genE5ELNS1_11target_archE942ELNS1_3gpuE9ELNS1_3repE0EEENS1_30default_config_static_selectorELNS0_4arch9wavefront6targetE1EEEvT1_
		.amdhsa_group_segment_fixed_size 0
		.amdhsa_private_segment_fixed_size 0
		.amdhsa_kernarg_size 112
		.amdhsa_user_sgpr_count 6
		.amdhsa_user_sgpr_private_segment_buffer 1
		.amdhsa_user_sgpr_dispatch_ptr 0
		.amdhsa_user_sgpr_queue_ptr 0
		.amdhsa_user_sgpr_kernarg_segment_ptr 1
		.amdhsa_user_sgpr_dispatch_id 0
		.amdhsa_user_sgpr_flat_scratch_init 0
		.amdhsa_user_sgpr_kernarg_preload_length 0
		.amdhsa_user_sgpr_kernarg_preload_offset 0
		.amdhsa_user_sgpr_private_segment_size 0
		.amdhsa_uses_dynamic_stack 0
		.amdhsa_system_sgpr_private_segment_wavefront_offset 0
		.amdhsa_system_sgpr_workgroup_id_x 1
		.amdhsa_system_sgpr_workgroup_id_y 0
		.amdhsa_system_sgpr_workgroup_id_z 0
		.amdhsa_system_sgpr_workgroup_info 0
		.amdhsa_system_vgpr_workitem_id 0
		.amdhsa_next_free_vgpr 1
		.amdhsa_next_free_sgpr 0
		.amdhsa_accum_offset 4
		.amdhsa_reserve_vcc 0
		.amdhsa_reserve_flat_scratch 0
		.amdhsa_float_round_mode_32 0
		.amdhsa_float_round_mode_16_64 0
		.amdhsa_float_denorm_mode_32 3
		.amdhsa_float_denorm_mode_16_64 3
		.amdhsa_dx10_clamp 1
		.amdhsa_ieee_mode 1
		.amdhsa_fp16_overflow 0
		.amdhsa_tg_split 0
		.amdhsa_exception_fp_ieee_invalid_op 0
		.amdhsa_exception_fp_denorm_src 0
		.amdhsa_exception_fp_ieee_div_zero 0
		.amdhsa_exception_fp_ieee_overflow 0
		.amdhsa_exception_fp_ieee_underflow 0
		.amdhsa_exception_fp_ieee_inexact 0
		.amdhsa_exception_int_div_zero 0
	.end_amdhsa_kernel
	.section	.text._ZN7rocprim17ROCPRIM_400000_NS6detail17trampoline_kernelINS0_14default_configENS1_27scan_by_key_config_selectorIifEEZZNS1_16scan_by_key_implILNS1_25lookback_scan_determinismE0ELb1ES3_N6thrust23THRUST_200600_302600_NS6detail15normal_iteratorINS9_10device_ptrIiEEEENSB_INSC_IjEEEENSB_INSC_IfEEEEfNS9_4plusIvEENS9_8equal_toIvEEfEE10hipError_tPvRmT2_T3_T4_T5_mT6_T7_P12ihipStream_tbENKUlT_T0_E_clISt17integral_constantIbLb1EES13_EEDaSY_SZ_EUlSY_E_NS1_11comp_targetILNS1_3genE5ELNS1_11target_archE942ELNS1_3gpuE9ELNS1_3repE0EEENS1_30default_config_static_selectorELNS0_4arch9wavefront6targetE1EEEvT1_,"axG",@progbits,_ZN7rocprim17ROCPRIM_400000_NS6detail17trampoline_kernelINS0_14default_configENS1_27scan_by_key_config_selectorIifEEZZNS1_16scan_by_key_implILNS1_25lookback_scan_determinismE0ELb1ES3_N6thrust23THRUST_200600_302600_NS6detail15normal_iteratorINS9_10device_ptrIiEEEENSB_INSC_IjEEEENSB_INSC_IfEEEEfNS9_4plusIvEENS9_8equal_toIvEEfEE10hipError_tPvRmT2_T3_T4_T5_mT6_T7_P12ihipStream_tbENKUlT_T0_E_clISt17integral_constantIbLb1EES13_EEDaSY_SZ_EUlSY_E_NS1_11comp_targetILNS1_3genE5ELNS1_11target_archE942ELNS1_3gpuE9ELNS1_3repE0EEENS1_30default_config_static_selectorELNS0_4arch9wavefront6targetE1EEEvT1_,comdat
.Lfunc_end1691:
	.size	_ZN7rocprim17ROCPRIM_400000_NS6detail17trampoline_kernelINS0_14default_configENS1_27scan_by_key_config_selectorIifEEZZNS1_16scan_by_key_implILNS1_25lookback_scan_determinismE0ELb1ES3_N6thrust23THRUST_200600_302600_NS6detail15normal_iteratorINS9_10device_ptrIiEEEENSB_INSC_IjEEEENSB_INSC_IfEEEEfNS9_4plusIvEENS9_8equal_toIvEEfEE10hipError_tPvRmT2_T3_T4_T5_mT6_T7_P12ihipStream_tbENKUlT_T0_E_clISt17integral_constantIbLb1EES13_EEDaSY_SZ_EUlSY_E_NS1_11comp_targetILNS1_3genE5ELNS1_11target_archE942ELNS1_3gpuE9ELNS1_3repE0EEENS1_30default_config_static_selectorELNS0_4arch9wavefront6targetE1EEEvT1_, .Lfunc_end1691-_ZN7rocprim17ROCPRIM_400000_NS6detail17trampoline_kernelINS0_14default_configENS1_27scan_by_key_config_selectorIifEEZZNS1_16scan_by_key_implILNS1_25lookback_scan_determinismE0ELb1ES3_N6thrust23THRUST_200600_302600_NS6detail15normal_iteratorINS9_10device_ptrIiEEEENSB_INSC_IjEEEENSB_INSC_IfEEEEfNS9_4plusIvEENS9_8equal_toIvEEfEE10hipError_tPvRmT2_T3_T4_T5_mT6_T7_P12ihipStream_tbENKUlT_T0_E_clISt17integral_constantIbLb1EES13_EEDaSY_SZ_EUlSY_E_NS1_11comp_targetILNS1_3genE5ELNS1_11target_archE942ELNS1_3gpuE9ELNS1_3repE0EEENS1_30default_config_static_selectorELNS0_4arch9wavefront6targetE1EEEvT1_
                                        ; -- End function
	.section	.AMDGPU.csdata,"",@progbits
; Kernel info:
; codeLenInByte = 0
; NumSgprs: 4
; NumVgprs: 0
; NumAgprs: 0
; TotalNumVgprs: 0
; ScratchSize: 0
; MemoryBound: 0
; FloatMode: 240
; IeeeMode: 1
; LDSByteSize: 0 bytes/workgroup (compile time only)
; SGPRBlocks: 0
; VGPRBlocks: 0
; NumSGPRsForWavesPerEU: 4
; NumVGPRsForWavesPerEU: 1
; AccumOffset: 4
; Occupancy: 8
; WaveLimiterHint : 0
; COMPUTE_PGM_RSRC2:SCRATCH_EN: 0
; COMPUTE_PGM_RSRC2:USER_SGPR: 6
; COMPUTE_PGM_RSRC2:TRAP_HANDLER: 0
; COMPUTE_PGM_RSRC2:TGID_X_EN: 1
; COMPUTE_PGM_RSRC2:TGID_Y_EN: 0
; COMPUTE_PGM_RSRC2:TGID_Z_EN: 0
; COMPUTE_PGM_RSRC2:TIDIG_COMP_CNT: 0
; COMPUTE_PGM_RSRC3_GFX90A:ACCUM_OFFSET: 0
; COMPUTE_PGM_RSRC3_GFX90A:TG_SPLIT: 0
	.section	.text._ZN7rocprim17ROCPRIM_400000_NS6detail17trampoline_kernelINS0_14default_configENS1_27scan_by_key_config_selectorIifEEZZNS1_16scan_by_key_implILNS1_25lookback_scan_determinismE0ELb1ES3_N6thrust23THRUST_200600_302600_NS6detail15normal_iteratorINS9_10device_ptrIiEEEENSB_INSC_IjEEEENSB_INSC_IfEEEEfNS9_4plusIvEENS9_8equal_toIvEEfEE10hipError_tPvRmT2_T3_T4_T5_mT6_T7_P12ihipStream_tbENKUlT_T0_E_clISt17integral_constantIbLb1EES13_EEDaSY_SZ_EUlSY_E_NS1_11comp_targetILNS1_3genE4ELNS1_11target_archE910ELNS1_3gpuE8ELNS1_3repE0EEENS1_30default_config_static_selectorELNS0_4arch9wavefront6targetE1EEEvT1_,"axG",@progbits,_ZN7rocprim17ROCPRIM_400000_NS6detail17trampoline_kernelINS0_14default_configENS1_27scan_by_key_config_selectorIifEEZZNS1_16scan_by_key_implILNS1_25lookback_scan_determinismE0ELb1ES3_N6thrust23THRUST_200600_302600_NS6detail15normal_iteratorINS9_10device_ptrIiEEEENSB_INSC_IjEEEENSB_INSC_IfEEEEfNS9_4plusIvEENS9_8equal_toIvEEfEE10hipError_tPvRmT2_T3_T4_T5_mT6_T7_P12ihipStream_tbENKUlT_T0_E_clISt17integral_constantIbLb1EES13_EEDaSY_SZ_EUlSY_E_NS1_11comp_targetILNS1_3genE4ELNS1_11target_archE910ELNS1_3gpuE8ELNS1_3repE0EEENS1_30default_config_static_selectorELNS0_4arch9wavefront6targetE1EEEvT1_,comdat
	.protected	_ZN7rocprim17ROCPRIM_400000_NS6detail17trampoline_kernelINS0_14default_configENS1_27scan_by_key_config_selectorIifEEZZNS1_16scan_by_key_implILNS1_25lookback_scan_determinismE0ELb1ES3_N6thrust23THRUST_200600_302600_NS6detail15normal_iteratorINS9_10device_ptrIiEEEENSB_INSC_IjEEEENSB_INSC_IfEEEEfNS9_4plusIvEENS9_8equal_toIvEEfEE10hipError_tPvRmT2_T3_T4_T5_mT6_T7_P12ihipStream_tbENKUlT_T0_E_clISt17integral_constantIbLb1EES13_EEDaSY_SZ_EUlSY_E_NS1_11comp_targetILNS1_3genE4ELNS1_11target_archE910ELNS1_3gpuE8ELNS1_3repE0EEENS1_30default_config_static_selectorELNS0_4arch9wavefront6targetE1EEEvT1_ ; -- Begin function _ZN7rocprim17ROCPRIM_400000_NS6detail17trampoline_kernelINS0_14default_configENS1_27scan_by_key_config_selectorIifEEZZNS1_16scan_by_key_implILNS1_25lookback_scan_determinismE0ELb1ES3_N6thrust23THRUST_200600_302600_NS6detail15normal_iteratorINS9_10device_ptrIiEEEENSB_INSC_IjEEEENSB_INSC_IfEEEEfNS9_4plusIvEENS9_8equal_toIvEEfEE10hipError_tPvRmT2_T3_T4_T5_mT6_T7_P12ihipStream_tbENKUlT_T0_E_clISt17integral_constantIbLb1EES13_EEDaSY_SZ_EUlSY_E_NS1_11comp_targetILNS1_3genE4ELNS1_11target_archE910ELNS1_3gpuE8ELNS1_3repE0EEENS1_30default_config_static_selectorELNS0_4arch9wavefront6targetE1EEEvT1_
	.globl	_ZN7rocprim17ROCPRIM_400000_NS6detail17trampoline_kernelINS0_14default_configENS1_27scan_by_key_config_selectorIifEEZZNS1_16scan_by_key_implILNS1_25lookback_scan_determinismE0ELb1ES3_N6thrust23THRUST_200600_302600_NS6detail15normal_iteratorINS9_10device_ptrIiEEEENSB_INSC_IjEEEENSB_INSC_IfEEEEfNS9_4plusIvEENS9_8equal_toIvEEfEE10hipError_tPvRmT2_T3_T4_T5_mT6_T7_P12ihipStream_tbENKUlT_T0_E_clISt17integral_constantIbLb1EES13_EEDaSY_SZ_EUlSY_E_NS1_11comp_targetILNS1_3genE4ELNS1_11target_archE910ELNS1_3gpuE8ELNS1_3repE0EEENS1_30default_config_static_selectorELNS0_4arch9wavefront6targetE1EEEvT1_
	.p2align	8
	.type	_ZN7rocprim17ROCPRIM_400000_NS6detail17trampoline_kernelINS0_14default_configENS1_27scan_by_key_config_selectorIifEEZZNS1_16scan_by_key_implILNS1_25lookback_scan_determinismE0ELb1ES3_N6thrust23THRUST_200600_302600_NS6detail15normal_iteratorINS9_10device_ptrIiEEEENSB_INSC_IjEEEENSB_INSC_IfEEEEfNS9_4plusIvEENS9_8equal_toIvEEfEE10hipError_tPvRmT2_T3_T4_T5_mT6_T7_P12ihipStream_tbENKUlT_T0_E_clISt17integral_constantIbLb1EES13_EEDaSY_SZ_EUlSY_E_NS1_11comp_targetILNS1_3genE4ELNS1_11target_archE910ELNS1_3gpuE8ELNS1_3repE0EEENS1_30default_config_static_selectorELNS0_4arch9wavefront6targetE1EEEvT1_,@function
_ZN7rocprim17ROCPRIM_400000_NS6detail17trampoline_kernelINS0_14default_configENS1_27scan_by_key_config_selectorIifEEZZNS1_16scan_by_key_implILNS1_25lookback_scan_determinismE0ELb1ES3_N6thrust23THRUST_200600_302600_NS6detail15normal_iteratorINS9_10device_ptrIiEEEENSB_INSC_IjEEEENSB_INSC_IfEEEEfNS9_4plusIvEENS9_8equal_toIvEEfEE10hipError_tPvRmT2_T3_T4_T5_mT6_T7_P12ihipStream_tbENKUlT_T0_E_clISt17integral_constantIbLb1EES13_EEDaSY_SZ_EUlSY_E_NS1_11comp_targetILNS1_3genE4ELNS1_11target_archE910ELNS1_3gpuE8ELNS1_3repE0EEENS1_30default_config_static_selectorELNS0_4arch9wavefront6targetE1EEEvT1_: ; @_ZN7rocprim17ROCPRIM_400000_NS6detail17trampoline_kernelINS0_14default_configENS1_27scan_by_key_config_selectorIifEEZZNS1_16scan_by_key_implILNS1_25lookback_scan_determinismE0ELb1ES3_N6thrust23THRUST_200600_302600_NS6detail15normal_iteratorINS9_10device_ptrIiEEEENSB_INSC_IjEEEENSB_INSC_IfEEEEfNS9_4plusIvEENS9_8equal_toIvEEfEE10hipError_tPvRmT2_T3_T4_T5_mT6_T7_P12ihipStream_tbENKUlT_T0_E_clISt17integral_constantIbLb1EES13_EEDaSY_SZ_EUlSY_E_NS1_11comp_targetILNS1_3genE4ELNS1_11target_archE910ELNS1_3gpuE8ELNS1_3repE0EEENS1_30default_config_static_selectorELNS0_4arch9wavefront6targetE1EEEvT1_
; %bb.0:
	s_load_dword s54, s[4:5], 0x20
	s_load_dwordx4 s[44:47], s[4:5], 0x28
	s_load_dwordx2 s[52:53], s[4:5], 0x38
	v_cmp_eq_u32_e64 s[0:1], 0, v0
	s_and_saveexec_b64 s[2:3], s[0:1]
	s_cbranch_execz .LBB1692_4
; %bb.1:
	s_mov_b64 s[8:9], exec
	v_mbcnt_lo_u32_b32 v1, s8, 0
	v_mbcnt_hi_u32_b32 v1, s9, v1
	v_cmp_eq_u32_e32 vcc, 0, v1
                                        ; implicit-def: $vgpr2
	s_and_saveexec_b64 s[6:7], vcc
	s_cbranch_execz .LBB1692_3
; %bb.2:
	s_load_dwordx2 s[10:11], s[4:5], 0x68
	s_bcnt1_i32_b64 s8, s[8:9]
	v_mov_b32_e32 v2, 0
	v_mov_b32_e32 v3, s8
	s_waitcnt lgkmcnt(0)
	global_atomic_add v2, v2, v3, s[10:11] glc
.LBB1692_3:
	s_or_b64 exec, exec, s[6:7]
	s_waitcnt vmcnt(0)
	v_readfirstlane_b32 s6, v2
	v_add_u32_e32 v1, s6, v1
	v_mov_b32_e32 v2, 0
	ds_write_b32 v2, v1
.LBB1692_4:
	s_or_b64 exec, exec, s[2:3]
	s_load_dwordx8 s[36:43], s[4:5], 0x0
	s_load_dword s2, s[4:5], 0x40
	s_load_dwordx4 s[48:51], s[4:5], 0x48
	v_mov_b32_e32 v3, 0
	s_waitcnt lgkmcnt(0)
	s_lshl_b64 s[34:35], s[38:39], 2
	s_barrier
	ds_read_b32 v1, v3
	s_add_u32 s3, s36, s34
	s_addc_u32 s4, s37, s35
	s_add_u32 s5, s40, s34
	s_mul_i32 s7, s53, s2
	s_mul_hi_u32 s8, s52, s2
	s_addc_u32 s6, s41, s35
	s_add_i32 s7, s8, s7
	s_movk_i32 s8, 0xe00
	s_waitcnt lgkmcnt(0)
	v_mul_lo_u32 v2, v1, s8
	v_lshlrev_b64 v[16:17], 2, v[2:3]
	v_mov_b32_e32 v2, s4
	v_add_co_u32_e32 v14, vcc, s3, v16
	v_addc_co_u32_e32 v15, vcc, v2, v17, vcc
	v_mov_b32_e32 v2, s6
	v_add_co_u32_e32 v22, vcc, s5, v16
	s_mul_i32 s2, s52, s2
	v_addc_co_u32_e32 v23, vcc, v2, v17, vcc
	v_mov_b32_e32 v3, s7
	v_add_co_u32_e32 v2, vcc, s2, v1
	s_add_u32 s6, s48, -1
	v_addc_co_u32_e32 v3, vcc, 0, v3, vcc
	s_addc_u32 s7, s49, -1
	v_cmp_le_u64_e64 s[2:3], s[6:7], v[2:3]
	v_readfirstlane_b32 s47, v1
	s_mov_b64 s[4:5], -1
	s_and_b64 vcc, exec, s[2:3]
	s_mul_i32 s33, s6, 0xfffff200
	s_barrier
	s_barrier
	s_cbranch_vccz .LBB1692_80
; %bb.5:
	flat_load_dword v2, v[14:15]
	s_add_i32 s49, s33, s46
	v_cmp_gt_u32_e32 vcc, s49, v0
	s_waitcnt vmcnt(0) lgkmcnt(0)
	v_mov_b32_e32 v3, v2
	s_and_saveexec_b64 s[6:7], vcc
	s_cbranch_execz .LBB1692_7
; %bb.6:
	v_lshlrev_b32_e32 v1, 2, v0
	v_add_co_u32_e64 v4, s[4:5], v14, v1
	v_addc_co_u32_e64 v5, s[4:5], 0, v15, s[4:5]
	flat_load_dword v3, v[4:5]
.LBB1692_7:
	s_or_b64 exec, exec, s[6:7]
	v_or_b32_e32 v1, 0x100, v0
	v_cmp_gt_u32_e64 s[4:5], s49, v1
	v_mov_b32_e32 v4, v2
	s_and_saveexec_b64 s[8:9], s[4:5]
	s_cbranch_execz .LBB1692_9
; %bb.8:
	v_lshlrev_b32_e32 v1, 2, v0
	v_add_co_u32_e64 v4, s[6:7], v14, v1
	v_addc_co_u32_e64 v5, s[6:7], 0, v15, s[6:7]
	flat_load_dword v4, v[4:5] offset:1024
.LBB1692_9:
	s_or_b64 exec, exec, s[8:9]
	v_or_b32_e32 v1, 0x200, v0
	v_cmp_gt_u32_e64 s[6:7], s49, v1
	v_mov_b32_e32 v5, v2
	s_and_saveexec_b64 s[10:11], s[6:7]
	s_cbranch_execz .LBB1692_11
; %bb.10:
	v_lshlrev_b32_e32 v1, 2, v0
	v_add_co_u32_e64 v6, s[8:9], v14, v1
	v_addc_co_u32_e64 v7, s[8:9], 0, v15, s[8:9]
	flat_load_dword v5, v[6:7] offset:2048
.LBB1692_11:
	;; [unrolled: 12-line block ×3, first 2 shown]
	s_or_b64 exec, exec, s[12:13]
	v_or_b32_e32 v1, 0x400, v0
	v_cmp_gt_u32_e64 s[10:11], s49, v1
	v_mov_b32_e32 v7, v2
	s_and_saveexec_b64 s[14:15], s[10:11]
	s_cbranch_execz .LBB1692_15
; %bb.14:
	v_lshlrev_b32_e32 v7, 2, v1
	v_add_co_u32_e64 v8, s[12:13], v14, v7
	v_addc_co_u32_e64 v9, s[12:13], 0, v15, s[12:13]
	flat_load_dword v7, v[8:9]
.LBB1692_15:
	s_or_b64 exec, exec, s[14:15]
	v_or_b32_e32 v20, 0x500, v0
	v_cmp_gt_u32_e64 s[12:13], s49, v20
	v_mov_b32_e32 v8, v2
	s_and_saveexec_b64 s[16:17], s[12:13]
	s_cbranch_execz .LBB1692_17
; %bb.16:
	v_lshlrev_b32_e32 v8, 2, v20
	v_add_co_u32_e64 v8, s[14:15], v14, v8
	v_addc_co_u32_e64 v9, s[14:15], 0, v15, s[14:15]
	flat_load_dword v8, v[8:9]
.LBB1692_17:
	;; [unrolled: 12-line block ×9, first 2 shown]
	s_or_b64 exec, exec, s[30:31]
	v_or_b32_e32 v32, 0xd00, v0
	v_cmp_gt_u32_e64 s[28:29], s49, v32
	s_and_saveexec_b64 s[36:37], s[28:29]
	s_cbranch_execz .LBB1692_33
; %bb.32:
	v_lshlrev_b32_e32 v2, 2, v32
	v_add_co_u32_e64 v24, s[30:31], v14, v2
	v_addc_co_u32_e64 v25, s[30:31], 0, v15, s[30:31]
	flat_load_dword v2, v[24:25]
.LBB1692_33:
	s_or_b64 exec, exec, s[36:37]
	v_lshlrev_b32_e32 v33, 2, v0
	s_waitcnt vmcnt(0) lgkmcnt(0)
	ds_write2st64_b32 v33, v3, v4 offset1:4
	ds_write2st64_b32 v33, v5, v6 offset0:8 offset1:12
	ds_write2st64_b32 v33, v7, v8 offset0:16 offset1:20
	ds_write2st64_b32 v33, v9, v10 offset0:24 offset1:28
	ds_write2st64_b32 v33, v11, v12 offset0:32 offset1:36
	ds_write2st64_b32 v33, v13, v18 offset0:40 offset1:44
	ds_write2st64_b32 v33, v19, v2 offset0:48 offset1:52
	s_waitcnt lgkmcnt(0)
	s_barrier
	flat_load_dword v24, v[14:15]
	v_mad_u32_u24 v25, v0, 52, v33
	s_movk_i32 s30, 0xffcc
	ds_read2_b64 v[10:13], v25 offset1:1
	ds_read2_b64 v[6:9], v25 offset0:2 offset1:3
	ds_read2_b64 v[2:5], v25 offset0:4 offset1:5
	ds_read_b64 v[18:19], v25 offset:48
	v_mad_i32_i24 v34, v0, s30, v25
	s_movk_i32 s30, 0xff
	v_cmp_ne_u32_e64 s[30:31], s30, v0
	s_waitcnt lgkmcnt(0)
	ds_write_b32 v34, v10 offset:15360
	s_waitcnt lgkmcnt(0)
	s_barrier
	s_and_saveexec_b64 s[36:37], s[30:31]
	s_cbranch_execz .LBB1692_35
; %bb.34:
	s_waitcnt vmcnt(0)
	ds_read_b32 v24, v33 offset:15364
.LBB1692_35:
	s_or_b64 exec, exec, s[36:37]
	s_waitcnt lgkmcnt(0)
	s_barrier
	s_waitcnt lgkmcnt(0)
                                        ; implicit-def: $vgpr34
	s_and_saveexec_b64 s[30:31], vcc
	s_cbranch_execz .LBB1692_155
; %bb.36:
	v_add_co_u32_e32 v34, vcc, v22, v33
	v_addc_co_u32_e32 v35, vcc, 0, v23, vcc
	flat_load_dword v34, v[34:35]
	s_waitcnt vmcnt(0) lgkmcnt(0)
	v_cvt_f32_u32_e32 v34, v34
	s_or_b64 exec, exec, s[30:31]
                                        ; implicit-def: $vgpr35
	s_and_saveexec_b64 s[30:31], s[4:5]
	s_cbranch_execnz .LBB1692_156
.LBB1692_37:
	s_or_b64 exec, exec, s[30:31]
                                        ; implicit-def: $vgpr36
	s_and_saveexec_b64 s[4:5], s[6:7]
	s_cbranch_execz .LBB1692_157
.LBB1692_38:
	v_add_co_u32_e32 v36, vcc, v22, v33
	v_addc_co_u32_e32 v37, vcc, 0, v23, vcc
	flat_load_dword v36, v[36:37] offset:2048
	s_waitcnt vmcnt(0) lgkmcnt(0)
	v_cvt_f32_u32_e32 v36, v36
	s_or_b64 exec, exec, s[4:5]
                                        ; implicit-def: $vgpr37
	s_and_saveexec_b64 s[4:5], s[8:9]
	s_cbranch_execnz .LBB1692_158
.LBB1692_39:
	s_or_b64 exec, exec, s[4:5]
                                        ; implicit-def: $vgpr38
	s_and_saveexec_b64 s[4:5], s[10:11]
	s_cbranch_execz .LBB1692_159
.LBB1692_40:
	v_lshlrev_b32_e32 v1, 2, v1
	v_add_co_u32_e32 v38, vcc, v22, v1
	v_addc_co_u32_e32 v39, vcc, 0, v23, vcc
	flat_load_dword v1, v[38:39]
	s_waitcnt vmcnt(0) lgkmcnt(0)
	v_cvt_f32_u32_e32 v38, v1
	s_or_b64 exec, exec, s[4:5]
                                        ; implicit-def: $vgpr1
	s_and_saveexec_b64 s[4:5], s[12:13]
	s_cbranch_execnz .LBB1692_160
.LBB1692_41:
	s_or_b64 exec, exec, s[4:5]
                                        ; implicit-def: $vgpr20
	s_and_saveexec_b64 s[4:5], s[14:15]
	s_cbranch_execz .LBB1692_161
.LBB1692_42:
	v_lshlrev_b32_e32 v20, 2, v21
	v_add_co_u32_e32 v20, vcc, v22, v20
	v_addc_co_u32_e32 v21, vcc, 0, v23, vcc
	flat_load_dword v20, v[20:21]
	s_waitcnt vmcnt(0) lgkmcnt(0)
	v_cvt_f32_u32_e32 v20, v20
	s_or_b64 exec, exec, s[4:5]
                                        ; implicit-def: $vgpr21
	s_and_saveexec_b64 s[4:5], s[16:17]
	s_cbranch_execnz .LBB1692_162
.LBB1692_43:
	s_or_b64 exec, exec, s[4:5]
                                        ; implicit-def: $vgpr26
	s_and_saveexec_b64 s[4:5], s[18:19]
	s_cbranch_execz .LBB1692_163
.LBB1692_44:
	v_lshlrev_b32_e32 v26, 2, v27
	v_add_co_u32_e32 v26, vcc, v22, v26
	v_addc_co_u32_e32 v27, vcc, 0, v23, vcc
	flat_load_dword v26, v[26:27]
	s_waitcnt vmcnt(0) lgkmcnt(0)
	v_cvt_f32_u32_e32 v26, v26
	s_or_b64 exec, exec, s[4:5]
                                        ; implicit-def: $vgpr27
	s_and_saveexec_b64 s[4:5], s[20:21]
	s_cbranch_execnz .LBB1692_164
.LBB1692_45:
	s_or_b64 exec, exec, s[4:5]
                                        ; implicit-def: $vgpr28
	s_and_saveexec_b64 s[4:5], s[22:23]
	s_cbranch_execz .LBB1692_165
.LBB1692_46:
	v_lshlrev_b32_e32 v28, 2, v29
	v_add_co_u32_e32 v28, vcc, v22, v28
	v_addc_co_u32_e32 v29, vcc, 0, v23, vcc
	flat_load_dword v28, v[28:29]
	s_waitcnt vmcnt(0) lgkmcnt(0)
	v_cvt_f32_u32_e32 v28, v28
	s_or_b64 exec, exec, s[4:5]
                                        ; implicit-def: $vgpr29
	s_and_saveexec_b64 s[4:5], s[24:25]
	s_cbranch_execnz .LBB1692_166
.LBB1692_47:
	s_or_b64 exec, exec, s[4:5]
                                        ; implicit-def: $vgpr30
	s_and_saveexec_b64 s[4:5], s[26:27]
	s_cbranch_execz .LBB1692_49
.LBB1692_48:
	v_lshlrev_b32_e32 v30, 2, v31
	v_add_co_u32_e32 v30, vcc, v22, v30
	v_addc_co_u32_e32 v31, vcc, 0, v23, vcc
	flat_load_dword v30, v[30:31]
	s_waitcnt vmcnt(0) lgkmcnt(0)
	v_cvt_f32_u32_e32 v30, v30
.LBB1692_49:
	s_or_b64 exec, exec, s[4:5]
	v_mul_u32_u24_e32 v51, 14, v0
                                        ; implicit-def: $vgpr31
	s_and_saveexec_b64 s[4:5], s[28:29]
	s_cbranch_execz .LBB1692_51
; %bb.50:
	v_lshlrev_b32_e32 v31, 2, v32
	v_add_co_u32_e32 v40, vcc, v22, v31
	v_addc_co_u32_e32 v41, vcc, 0, v23, vcc
	flat_load_dword v31, v[40:41]
	s_waitcnt vmcnt(0) lgkmcnt(0)
	v_cvt_f32_u32_e32 v31, v31
.LBB1692_51:
	s_or_b64 exec, exec, s[4:5]
	ds_write2st64_b32 v33, v34, v35 offset1:4
	ds_write2st64_b32 v33, v36, v37 offset0:8 offset1:12
	ds_write2st64_b32 v33, v38, v1 offset0:16 offset1:20
	;; [unrolled: 1-line block ×6, first 2 shown]
	v_cmp_gt_u32_e32 vcc, s49, v51
	s_mov_b64 s[4:5], 0
	s_mov_b32 s48, 0
	v_mov_b32_e32 v1, 0
	v_mov_b32_e32 v26, 0
	s_mov_b64 s[10:11], 0
	v_mov_b32_e32 v40, 0
	v_mov_b32_e32 v30, 0
	;; [unrolled: 1-line block ×24, first 2 shown]
	s_waitcnt lgkmcnt(0)
	s_barrier
	s_waitcnt lgkmcnt(0)
                                        ; implicit-def: $sgpr8_sgpr9
                                        ; implicit-def: $vgpr20
	s_and_saveexec_b64 s[6:7], vcc
	s_cbranch_execz .LBB1692_79
; %bb.52:
	ds_read_b32 v20, v25
	v_or_b32_e32 v21, 1, v51
	v_cmp_ne_u32_e32 vcc, v10, v11
	v_mov_b32_e32 v10, s54
	v_cndmask_b32_e64 v1, 0, 1, vcc
	s_waitcnt lgkmcnt(0)
	v_cndmask_b32_e32 v30, v20, v10, vcc
	v_cmp_gt_u32_e32 vcc, s49, v21
	v_mov_b32_e32 v26, 0
	v_mov_b32_e32 v40, 0
	;; [unrolled: 1-line block ×24, first 2 shown]
                                        ; implicit-def: $sgpr12_sgpr13
                                        ; implicit-def: $vgpr20
	s_and_saveexec_b64 s[8:9], vcc
	s_cbranch_execz .LBB1692_78
; %bb.53:
	ds_read2_b32 v[20:21], v25 offset0:1 offset1:2
	v_add_u32_e32 v10, 2, v51
	v_cmp_ne_u32_e32 vcc, v11, v12
	v_mov_b32_e32 v11, s54
	v_cndmask_b32_e64 v34, 0, 1, vcc
	s_waitcnt lgkmcnt(0)
	v_cndmask_b32_e32 v28, v20, v11, vcc
	v_cmp_gt_u32_e32 vcc, s49, v10
	s_mov_b64 s[14:15], 0
	v_mov_b32_e32 v26, 0
	v_mov_b32_e32 v40, 0
	;; [unrolled: 1-line block ×22, first 2 shown]
                                        ; implicit-def: $sgpr12_sgpr13
                                        ; implicit-def: $vgpr20
	s_and_saveexec_b64 s[10:11], vcc
	s_cbranch_execz .LBB1692_77
; %bb.54:
	v_add_u32_e32 v10, 3, v51
	v_cmp_ne_u32_e32 vcc, v12, v13
	v_mov_b32_e32 v11, s54
	v_cndmask_b32_e64 v37, 0, 1, vcc
	v_cndmask_b32_e32 v29, v21, v11, vcc
	v_cmp_gt_u32_e32 vcc, s49, v10
	v_mov_b32_e32 v26, 0
	v_mov_b32_e32 v40, 0
	;; [unrolled: 1-line block ×20, first 2 shown]
                                        ; implicit-def: $sgpr16_sgpr17
                                        ; implicit-def: $vgpr20
	s_and_saveexec_b64 s[12:13], vcc
	s_cbranch_execz .LBB1692_76
; %bb.55:
	ds_read2_b32 v[10:11], v25 offset0:3 offset1:4
	v_add_u32_e32 v12, 4, v51
	v_cmp_ne_u32_e32 vcc, v13, v6
	v_mov_b32_e32 v13, s54
	v_cndmask_b32_e64 v42, 0, 1, vcc
	s_waitcnt lgkmcnt(0)
	v_cndmask_b32_e32 v31, v10, v13, vcc
	v_cmp_gt_u32_e32 vcc, s49, v12
	s_mov_b64 s[18:19], 0
	v_mov_b32_e32 v26, 0
	v_mov_b32_e32 v40, 0
	;; [unrolled: 1-line block ×18, first 2 shown]
                                        ; implicit-def: $sgpr16_sgpr17
                                        ; implicit-def: $vgpr20
	s_and_saveexec_b64 s[14:15], vcc
	s_cbranch_execz .LBB1692_75
; %bb.56:
	v_add_u32_e32 v10, 5, v51
	v_cmp_ne_u32_e32 vcc, v6, v7
	v_mov_b32_e32 v6, s54
	v_cndmask_b32_e64 v43, 0, 1, vcc
	v_cndmask_b32_e32 v27, v11, v6, vcc
	v_cmp_gt_u32_e32 vcc, s49, v10
	v_mov_b32_e32 v26, 0
	v_mov_b32_e32 v40, 0
	;; [unrolled: 1-line block ×16, first 2 shown]
                                        ; implicit-def: $sgpr20_sgpr21
                                        ; implicit-def: $vgpr20
	s_and_saveexec_b64 s[16:17], vcc
	s_cbranch_execz .LBB1692_74
; %bb.57:
	ds_read2_b32 v[10:11], v25 offset0:5 offset1:6
	v_add_u32_e32 v6, 6, v51
	v_cmp_ne_u32_e32 vcc, v7, v8
	v_mov_b32_e32 v7, s54
	v_cndmask_b32_e64 v44, 0, 1, vcc
	s_waitcnt lgkmcnt(0)
	v_cndmask_b32_e32 v32, v10, v7, vcc
	v_cmp_gt_u32_e32 vcc, s49, v6
	s_mov_b64 s[22:23], 0
	v_mov_b32_e32 v26, 0
	v_mov_b32_e32 v40, 0
	;; [unrolled: 1-line block ×14, first 2 shown]
                                        ; implicit-def: $sgpr20_sgpr21
                                        ; implicit-def: $vgpr20
	s_and_saveexec_b64 s[18:19], vcc
	s_cbranch_execz .LBB1692_73
; %bb.58:
	v_add_u32_e32 v6, 7, v51
	v_cmp_ne_u32_e32 vcc, v8, v9
	v_mov_b32_e32 v7, s54
	v_cndmask_b32_e64 v45, 0, 1, vcc
	v_cndmask_b32_e32 v33, v11, v7, vcc
	v_cmp_gt_u32_e32 vcc, s49, v6
	v_mov_b32_e32 v26, 0
	v_mov_b32_e32 v40, 0
	;; [unrolled: 1-line block ×12, first 2 shown]
                                        ; implicit-def: $sgpr24_sgpr25
                                        ; implicit-def: $vgpr20
	s_and_saveexec_b64 s[20:21], vcc
	s_cbranch_execz .LBB1692_72
; %bb.59:
	ds_read2_b32 v[6:7], v25 offset0:7 offset1:8
	v_add_u32_e32 v8, 8, v51
	v_cmp_ne_u32_e32 vcc, v9, v2
	v_mov_b32_e32 v9, s54
	v_cndmask_b32_e64 v46, 0, 1, vcc
	s_waitcnt lgkmcnt(0)
	v_cndmask_b32_e32 v35, v6, v9, vcc
	v_cmp_gt_u32_e32 vcc, s49, v8
	s_mov_b64 s[26:27], 0
	v_mov_b32_e32 v26, 0
	v_mov_b32_e32 v40, 0
	;; [unrolled: 1-line block ×10, first 2 shown]
                                        ; implicit-def: $sgpr24_sgpr25
                                        ; implicit-def: $vgpr20
	s_and_saveexec_b64 s[22:23], vcc
	s_cbranch_execz .LBB1692_71
; %bb.60:
	v_add_u32_e32 v6, 9, v51
	v_cmp_ne_u32_e32 vcc, v2, v3
	v_mov_b32_e32 v2, s54
	v_cndmask_b32_e64 v47, 0, 1, vcc
	v_cndmask_b32_e32 v36, v7, v2, vcc
	v_cmp_gt_u32_e32 vcc, s49, v6
	v_mov_b32_e32 v26, 0
	v_mov_b32_e32 v40, 0
	;; [unrolled: 1-line block ×8, first 2 shown]
                                        ; implicit-def: $sgpr28_sgpr29
                                        ; implicit-def: $vgpr20
	s_and_saveexec_b64 s[24:25], vcc
	s_cbranch_execz .LBB1692_70
; %bb.61:
	ds_read2_b32 v[6:7], v25 offset0:9 offset1:10
	v_add_u32_e32 v2, 10, v51
	v_cmp_ne_u32_e32 vcc, v3, v4
	v_mov_b32_e32 v3, s54
	v_cndmask_b32_e64 v48, 0, 1, vcc
	s_waitcnt lgkmcnt(0)
	v_cndmask_b32_e32 v38, v6, v3, vcc
	v_cmp_gt_u32_e32 vcc, s49, v2
	s_mov_b64 s[30:31], 0
	v_mov_b32_e32 v26, 0
	v_mov_b32_e32 v40, 0
	;; [unrolled: 1-line block ×6, first 2 shown]
                                        ; implicit-def: $sgpr28_sgpr29
                                        ; implicit-def: $vgpr20
	s_and_saveexec_b64 s[26:27], vcc
	s_cbranch_execz .LBB1692_69
; %bb.62:
	v_add_u32_e32 v2, 11, v51
	v_cmp_ne_u32_e32 vcc, v4, v5
	v_mov_b32_e32 v3, s54
	v_cndmask_b32_e64 v49, 0, 1, vcc
	v_cndmask_b32_e32 v39, v7, v3, vcc
	v_cmp_gt_u32_e32 vcc, s49, v2
	v_mov_b32_e32 v26, 0
	v_mov_b32_e32 v40, 0
	;; [unrolled: 1-line block ×4, first 2 shown]
                                        ; implicit-def: $sgpr36_sgpr37
                                        ; implicit-def: $vgpr20
	s_and_saveexec_b64 s[28:29], vcc
	s_cbranch_execz .LBB1692_68
; %bb.63:
	ds_read2_b32 v[2:3], v25 offset0:11 offset1:12
	v_add_u32_e32 v4, 12, v51
	v_cmp_ne_u32_e32 vcc, v5, v18
	v_mov_b32_e32 v5, s54
	v_cndmask_b32_e64 v50, 0, 1, vcc
	s_waitcnt lgkmcnt(0)
	v_cndmask_b32_e32 v41, v2, v5, vcc
	v_cmp_gt_u32_e32 vcc, s49, v4
	s_mov_b64 s[38:39], 0
	v_mov_b32_e32 v26, 0
	v_mov_b32_e32 v40, 0
                                        ; implicit-def: $sgpr40_sgpr41
                                        ; implicit-def: $vgpr20
	s_and_saveexec_b64 s[30:31], vcc
	s_cbranch_execz .LBB1692_67
; %bb.64:
	v_add_u32_e32 v2, 13, v51
	v_cmp_ne_u32_e32 vcc, v18, v19
	v_mov_b32_e32 v4, s54
	v_cndmask_b32_e64 v40, 0, 1, vcc
	v_cndmask_b32_e32 v26, v3, v4, vcc
	v_cmp_gt_u32_e32 vcc, s49, v2
	s_mov_b64 s[36:37], 0
                                        ; implicit-def: $sgpr38_sgpr39
                                        ; implicit-def: $vgpr20
	s_and_saveexec_b64 s[40:41], vcc
	s_xor_b64 s[40:41], exec, s[40:41]
	s_cbranch_execz .LBB1692_66
; %bb.65:
	ds_read_b32 v2, v25 offset:52
	v_mov_b32_e32 v3, s54
	s_waitcnt vmcnt(0)
	v_cmp_ne_u32_e32 vcc, v19, v24
	s_mov_b64 s[36:37], exec
	s_and_b64 s[38:39], vcc, exec
	s_waitcnt lgkmcnt(0)
	v_cndmask_b32_e32 v20, v2, v3, vcc
.LBB1692_66:
	s_or_b64 exec, exec, s[40:41]
	s_and_b64 s[40:41], s[38:39], exec
	s_and_b64 s[38:39], s[36:37], exec
.LBB1692_67:
	s_or_b64 exec, exec, s[30:31]
	s_and_b64 s[36:37], s[40:41], exec
	s_and_b64 s[30:31], s[38:39], exec
.LBB1692_68:
	s_or_b64 exec, exec, s[28:29]
	s_and_b64 s[28:29], s[36:37], exec
	s_and_b64 s[30:31], s[30:31], exec
.LBB1692_69:
	s_or_b64 exec, exec, s[26:27]
	s_and_b64 s[28:29], s[28:29], exec
	s_and_b64 s[26:27], s[30:31], exec
.LBB1692_70:
	s_or_b64 exec, exec, s[24:25]
	s_and_b64 s[24:25], s[28:29], exec
	s_and_b64 s[26:27], s[26:27], exec
.LBB1692_71:
	s_or_b64 exec, exec, s[22:23]
	s_and_b64 s[24:25], s[24:25], exec
	s_and_b64 s[22:23], s[26:27], exec
.LBB1692_72:
	s_or_b64 exec, exec, s[20:21]
	s_and_b64 s[20:21], s[24:25], exec
	s_and_b64 s[22:23], s[22:23], exec
.LBB1692_73:
	s_or_b64 exec, exec, s[18:19]
	s_and_b64 s[20:21], s[20:21], exec
	s_and_b64 s[18:19], s[22:23], exec
.LBB1692_74:
	s_or_b64 exec, exec, s[16:17]
	s_and_b64 s[16:17], s[20:21], exec
	s_and_b64 s[18:19], s[18:19], exec
.LBB1692_75:
	s_or_b64 exec, exec, s[14:15]
	s_and_b64 s[16:17], s[16:17], exec
	s_and_b64 s[14:15], s[18:19], exec
.LBB1692_76:
	s_or_b64 exec, exec, s[12:13]
	s_and_b64 s[12:13], s[16:17], exec
	s_and_b64 s[14:15], s[14:15], exec
.LBB1692_77:
	s_or_b64 exec, exec, s[10:11]
	s_and_b64 s[12:13], s[12:13], exec
	s_and_b64 s[10:11], s[14:15], exec
.LBB1692_78:
	s_or_b64 exec, exec, s[8:9]
	s_and_b64 s[8:9], s[12:13], exec
	s_and_b64 s[10:11], s[10:11], exec
.LBB1692_79:
	s_or_b64 exec, exec, s[6:7]
	s_mov_b32 s6, 0
	s_and_b64 vcc, exec, s[4:5]
	v_lshlrev_b32_e32 v51, 2, v0
	s_cbranch_vccnz .LBB1692_81
	s_branch .LBB1692_86
.LBB1692_80:
	s_mov_b64 s[10:11], 0
                                        ; implicit-def: $sgpr8_sgpr9
                                        ; implicit-def: $vgpr20
                                        ; implicit-def: $vgpr1
                                        ; implicit-def: $vgpr26
                                        ; implicit-def: $vgpr40
                                        ; implicit-def: $vgpr30
                                        ; implicit-def: $vgpr41
                                        ; implicit-def: $vgpr50
                                        ; implicit-def: $vgpr34
                                        ; implicit-def: $vgpr39
                                        ; implicit-def: $vgpr49
                                        ; implicit-def: $vgpr28
                                        ; implicit-def: $vgpr38
                                        ; implicit-def: $vgpr48
                                        ; implicit-def: $vgpr37
                                        ; implicit-def: $vgpr36
                                        ; implicit-def: $vgpr47
                                        ; implicit-def: $vgpr29
                                        ; implicit-def: $vgpr35
                                        ; implicit-def: $vgpr46
                                        ; implicit-def: $vgpr42
                                        ; implicit-def: $vgpr33
                                        ; implicit-def: $vgpr45
                                        ; implicit-def: $vgpr31
                                        ; implicit-def: $vgpr32
                                        ; implicit-def: $vgpr44
                                        ; implicit-def: $vgpr43
                                        ; implicit-def: $vgpr27
                                        ; implicit-def: $sgpr6
                                        ; implicit-def: $sgpr48
	s_and_b64 vcc, exec, s[4:5]
	v_lshlrev_b32_e32 v51, 2, v0
	s_cbranch_vccz .LBB1692_86
.LBB1692_81:
	v_add_co_u32_e32 v2, vcc, v14, v51
	v_addc_co_u32_e32 v3, vcc, 0, v15, vcc
	v_add_co_u32_e32 v4, vcc, 0x1000, v2
	v_addc_co_u32_e32 v5, vcc, 0, v3, vcc
	flat_load_dword v1, v[2:3]
	flat_load_dword v6, v[2:3] offset:1024
	flat_load_dword v7, v[2:3] offset:2048
	;; [unrolled: 1-line block ×3, first 2 shown]
	flat_load_dword v9, v[4:5]
	flat_load_dword v10, v[4:5] offset:1024
	flat_load_dword v11, v[4:5] offset:2048
	;; [unrolled: 1-line block ×3, first 2 shown]
	v_add_co_u32_e32 v4, vcc, 0x2000, v2
	v_addc_co_u32_e32 v5, vcc, 0, v3, vcc
	v_add_co_u32_e32 v2, vcc, 0x3000, v2
	v_addc_co_u32_e32 v3, vcc, 0, v3, vcc
	flat_load_dword v13, v[4:5]
	flat_load_dword v18, v[4:5] offset:1024
	flat_load_dword v19, v[4:5] offset:2048
	;; [unrolled: 1-line block ×3, first 2 shown]
	flat_load_dword v21, v[2:3]
	s_waitcnt vmcnt(0)
	flat_load_dword v24, v[2:3] offset:1024
	v_add_co_u32_e32 v2, vcc, 0x3000, v14
	v_addc_co_u32_e32 v3, vcc, 0, v15, vcc
	s_movk_i32 s4, 0xffcc
	s_movk_i32 s8, 0x1000
	;; [unrolled: 1-line block ×4, first 2 shown]
	s_waitcnt lgkmcnt(0)
	ds_write2st64_b32 v51, v1, v6 offset1:4
	ds_write2st64_b32 v51, v7, v8 offset0:8 offset1:12
	ds_write2st64_b32 v51, v9, v10 offset0:16 offset1:20
	;; [unrolled: 1-line block ×5, first 2 shown]
	s_waitcnt vmcnt(0)
	ds_write2st64_b32 v51, v21, v24 offset0:48 offset1:52
	s_waitcnt lgkmcnt(0)
	s_barrier
	flat_load_dword v52, v[2:3] offset:2048
	v_mad_u32_u24 v1, v0, 52, v51
	ds_read2_b64 v[10:13], v1 offset1:1
	ds_read2_b64 v[6:9], v1 offset0:2 offset1:3
	ds_read2_b64 v[2:5], v1 offset0:4 offset1:5
	ds_read_b64 v[14:15], v1 offset:48
	v_mad_i32_i24 v18, v0, s4, v1
	s_movk_i32 s4, 0xff
	v_cmp_ne_u32_e32 vcc, s4, v0
	s_waitcnt lgkmcnt(0)
	ds_write_b32 v18, v10 offset:15360
	s_waitcnt lgkmcnt(0)
	s_barrier
	s_and_saveexec_b64 s[4:5], vcc
	s_cbranch_execz .LBB1692_83
; %bb.82:
	s_waitcnt vmcnt(0)
	ds_read_b32 v52, v51 offset:15364
.LBB1692_83:
	s_or_b64 exec, exec, s[4:5]
	v_add_co_u32_e32 v18, vcc, v22, v51
	v_addc_co_u32_e32 v19, vcc, 0, v23, vcc
	v_add_co_u32_e32 v20, vcc, s8, v18
	v_addc_co_u32_e32 v21, vcc, 0, v19, vcc
	s_waitcnt lgkmcnt(0)
	s_barrier
	flat_load_dword v22, v[18:19]
	flat_load_dword v23, v[18:19] offset:1024
	flat_load_dword v24, v[18:19] offset:2048
	;; [unrolled: 1-line block ×3, first 2 shown]
	flat_load_dword v26, v[20:21]
	flat_load_dword v27, v[20:21] offset:1024
	flat_load_dword v28, v[20:21] offset:2048
	;; [unrolled: 1-line block ×3, first 2 shown]
	v_add_co_u32_e32 v20, vcc, s7, v18
	v_addc_co_u32_e32 v21, vcc, 0, v19, vcc
	v_add_co_u32_e32 v18, vcc, s6, v18
	v_addc_co_u32_e32 v19, vcc, 0, v19, vcc
	flat_load_dword v30, v[20:21]
	flat_load_dword v31, v[20:21] offset:1024
	flat_load_dword v32, v[20:21] offset:2048
	;; [unrolled: 1-line block ×3, first 2 shown]
	flat_load_dword v34, v[18:19]
	flat_load_dword v35, v[18:19] offset:1024
	v_cmp_ne_u32_e32 vcc, v10, v11
	v_cmp_eq_u32_e64 s[4:5], v10, v11
	s_waitcnt vmcnt(0) lgkmcnt(0)
	v_cvt_f32_u32_e32 v18, v22
	v_cvt_f32_u32_e32 v19, v23
	;; [unrolled: 1-line block ×14, first 2 shown]
	ds_write2st64_b32 v51, v18, v19 offset1:4
	ds_write2st64_b32 v51, v20, v21 offset0:8 offset1:12
	ds_write2st64_b32 v51, v22, v23 offset0:16 offset1:20
	ds_write2st64_b32 v51, v24, v25 offset0:24 offset1:28
	ds_write2st64_b32 v51, v26, v27 offset0:32 offset1:36
	ds_write2st64_b32 v51, v28, v29 offset0:40 offset1:44
	ds_write2st64_b32 v51, v30, v31 offset0:48 offset1:52
	s_waitcnt lgkmcnt(0)
	s_barrier
	ds_read2_b32 v[28:29], v1 offset0:1 offset1:2
	ds_read2_b32 v[26:27], v1 offset0:3 offset1:4
	;; [unrolled: 1-line block ×6, first 2 shown]
	ds_read_b32 v53, v1 offset:52
	v_mov_b32_e32 v30, s54
	s_and_saveexec_b64 s[6:7], s[4:5]
	s_cbranch_execz .LBB1692_85
; %bb.84:
	ds_read_b32 v30, v1
.LBB1692_85:
	s_or_b64 exec, exec, s[6:7]
	v_cmp_ne_u32_e64 s[8:9], v6, v7
	v_cmp_ne_u32_e64 s[14:15], v9, v2
	;; [unrolled: 1-line block ×3, first 2 shown]
	v_mov_b32_e32 v2, s54
	v_cndmask_b32_e64 v1, 0, 1, vcc
	v_cmp_ne_u32_e32 vcc, v11, v12
	v_cmp_ne_u32_e64 s[4:5], v12, v13
	v_cmp_ne_u32_e64 s[6:7], v13, v6
	v_cndmask_b32_e64 v43, 0, 1, s[8:9]
	v_cmp_ne_u32_e64 s[10:11], v7, v8
	v_cmp_ne_u32_e64 s[12:13], v8, v9
	;; [unrolled: 1-line block ×6, first 2 shown]
	s_waitcnt lgkmcnt(5)
	v_cndmask_b32_e64 v27, v27, v2, s[8:9]
	v_cmp_ne_u32_e64 s[8:9], v15, v52
	v_cndmask_b32_e64 v34, 0, 1, vcc
	v_cndmask_b32_e64 v37, 0, 1, s[4:5]
	v_cndmask_b32_e64 v42, 0, 1, s[6:7]
	;; [unrolled: 1-line block ×10, first 2 shown]
	v_cndmask_b32_e32 v28, v28, v2, vcc
	v_cndmask_b32_e64 v29, v29, v2, s[4:5]
	v_cndmask_b32_e64 v31, v26, v2, s[6:7]
	s_waitcnt lgkmcnt(4)
	v_cndmask_b32_e64 v32, v24, v2, s[10:11]
	v_cndmask_b32_e64 v33, v25, v2, s[12:13]
	s_waitcnt lgkmcnt(3)
	;; [unrolled: 3-line block ×5, first 2 shown]
	v_cndmask_b32_e64 v20, v53, v2, s[8:9]
	s_mov_b64 s[10:11], -1
                                        ; implicit-def: $sgpr6
                                        ; implicit-def: $sgpr48
.LBB1692_86:
	v_mov_b32_e32 v14, s48
	v_mov_b32_e32 v15, s6
	s_and_saveexec_b64 s[4:5], s[10:11]
; %bb.87:
	v_cndmask_b32_e64 v14, 0, 1, s[8:9]
	v_mov_b32_e32 v15, v20
; %bb.88:
	s_or_b64 exec, exec, s[4:5]
	v_or_b32_e32 v2, v14, v40
	s_cmp_lg_u32 s47, 0
	v_add_f32_e32 v54, v28, v30
	v_or_b32_e32 v53, v2, v50
	v_mbcnt_lo_u32_b32 v52, -1, 0
	s_barrier
	s_cbranch_scc0 .LBB1692_167
; %bb.89:
	v_mov_b32_e32 v2, 0
	v_cmp_eq_u16_sdwa s[4:5], v34, v2 src0_sel:BYTE_0 src1_sel:DWORD
	v_cndmask_b32_e64 v3, v28, v54, s[4:5]
	v_add_f32_e32 v3, v29, v3
	v_cmp_eq_u16_sdwa s[6:7], v37, v2 src0_sel:BYTE_0 src1_sel:DWORD
	v_cndmask_b32_e64 v3, v29, v3, s[6:7]
	v_add_f32_e32 v3, v31, v3
	;; [unrolled: 3-line block ×7, first 2 shown]
	v_cmp_eq_u16_sdwa s[18:19], v47, v2 src0_sel:BYTE_0 src1_sel:DWORD
	v_cmp_eq_u16_sdwa s[20:21], v48, v2 src0_sel:BYTE_0 src1_sel:DWORD
	;; [unrolled: 1-line block ×5, first 2 shown]
	v_cmp_eq_u16_sdwa vcc, v14, v2 src0_sel:BYTE_0 src1_sel:DWORD
	v_or_b32_e32 v2, v53, v49
	v_cndmask_b32_e64 v3, v36, v3, s[18:19]
	v_or_b32_e32 v2, v2, v48
	v_add_f32_e32 v3, v38, v3
	v_or_b32_e32 v2, v2, v47
	v_cndmask_b32_e64 v3, v38, v3, s[20:21]
	v_or_b32_e32 v2, v2, v46
	v_add_f32_e32 v3, v39, v3
	v_or_b32_e32 v2, v2, v45
	v_cndmask_b32_e64 v3, v39, v3, s[22:23]
	v_or_b32_e32 v2, v2, v44
	v_add_f32_e32 v3, v41, v3
	v_or_b32_e32 v2, v2, v43
	v_cndmask_b32_e64 v3, v41, v3, s[24:25]
	v_or_b32_e32 v2, v2, v42
	v_add_f32_e32 v3, v26, v3
	v_or_b32_e32 v2, v2, v37
	v_cndmask_b32_e64 v3, v26, v3, s[26:27]
	v_or_b32_e32 v2, v2, v34
	v_add_f32_e32 v3, v15, v3
	v_and_b32_e32 v2, 1, v2
	v_and_b32_e32 v5, 0xff, v1
	v_cndmask_b32_e32 v4, v15, v3, vcc
	v_cmp_eq_u32_e32 vcc, 1, v2
	v_mbcnt_hi_u32_b32 v11, -1, v52
	v_cndmask_b32_e64 v5, v5, 1, vcc
	v_and_b32_e32 v2, 15, v11
	v_mov_b32_dpp v6, v4 row_shr:1 row_mask:0xf bank_mask:0xf
	v_mov_b32_dpp v3, v5 row_shr:1 row_mask:0xf bank_mask:0xf
	v_cmp_ne_u32_e32 vcc, 0, v2
	s_and_saveexec_b64 s[28:29], vcc
; %bb.90:
	v_add_f32_e32 v6, v4, v6
	v_cmp_eq_u32_e32 vcc, 0, v5
	v_and_b32_e32 v5, 1, v5
	v_cndmask_b32_e32 v4, v4, v6, vcc
	v_and_b32_e32 v3, 1, v3
	v_cmp_eq_u32_e32 vcc, 1, v5
	v_cndmask_b32_e64 v5, v3, 1, vcc
; %bb.91:
	s_or_b64 exec, exec, s[28:29]
	v_mov_b32_dpp v6, v4 row_shr:2 row_mask:0xf bank_mask:0xf
	v_mov_b32_dpp v3, v5 row_shr:2 row_mask:0xf bank_mask:0xf
	v_cmp_lt_u32_e32 vcc, 1, v2
	s_and_saveexec_b64 s[28:29], vcc
; %bb.92:
	v_add_f32_e32 v6, v4, v6
	v_cmp_eq_u32_e32 vcc, 0, v5
	v_and_b32_e32 v5, 1, v5
	v_cndmask_b32_e32 v4, v4, v6, vcc
	v_and_b32_e32 v3, 1, v3
	v_cmp_eq_u32_e32 vcc, 1, v5
	v_cndmask_b32_e64 v5, v3, 1, vcc
; %bb.93:
	s_or_b64 exec, exec, s[28:29]
	v_mov_b32_dpp v6, v4 row_shr:4 row_mask:0xf bank_mask:0xf
	v_mov_b32_dpp v3, v5 row_shr:4 row_mask:0xf bank_mask:0xf
	v_cmp_lt_u32_e32 vcc, 3, v2
	;; [unrolled: 14-line block ×3, first 2 shown]
	s_and_saveexec_b64 s[28:29], vcc
; %bb.96:
	v_add_f32_e32 v2, v4, v6
	v_cmp_eq_u32_e32 vcc, 0, v5
	v_cndmask_b32_e32 v4, v4, v2, vcc
	v_and_b32_e32 v2, 1, v5
	v_and_b32_e32 v3, 1, v3
	v_cmp_eq_u32_e32 vcc, 1, v2
	v_cndmask_b32_e64 v5, v3, 1, vcc
; %bb.97:
	s_or_b64 exec, exec, s[28:29]
	v_and_b32_e32 v6, 16, v11
	v_mov_b32_dpp v3, v4 row_bcast:15 row_mask:0xf bank_mask:0xf
	v_mov_b32_dpp v2, v5 row_bcast:15 row_mask:0xf bank_mask:0xf
	v_cmp_ne_u32_e32 vcc, 0, v6
	s_and_saveexec_b64 s[28:29], vcc
; %bb.98:
	v_add_f32_e32 v3, v4, v3
	v_cmp_eq_u32_e32 vcc, 0, v5
	v_cndmask_b32_e32 v4, v4, v3, vcc
	v_and_b32_e32 v3, 1, v5
	v_and_b32_e32 v2, 1, v2
	v_cmp_eq_u32_e32 vcc, 1, v3
	v_cndmask_b32_e64 v5, v2, 1, vcc
; %bb.99:
	s_or_b64 exec, exec, s[28:29]
	v_mov_b32_dpp v3, v4 row_bcast:31 row_mask:0xf bank_mask:0xf
	v_mov_b32_dpp v2, v5 row_bcast:31 row_mask:0xf bank_mask:0xf
	v_cmp_lt_u32_e32 vcc, 31, v11
	s_and_saveexec_b64 s[28:29], vcc
; %bb.100:
	v_add_f32_e32 v3, v4, v3
	v_cmp_eq_u32_e32 vcc, 0, v5
	v_cndmask_b32_e32 v4, v4, v3, vcc
	v_and_b32_e32 v3, 1, v5
	v_and_b32_e32 v2, 1, v2
	v_cmp_eq_u32_e32 vcc, 1, v3
	v_cndmask_b32_e64 v5, v2, 1, vcc
; %bb.101:
	s_or_b64 exec, exec, s[28:29]
	v_or_b32_e32 v2, 63, v0
	v_lshrrev_b32_e32 v6, 6, v0
	v_cmp_eq_u32_e32 vcc, v2, v0
	s_and_saveexec_b64 s[28:29], vcc
	s_cbranch_execz .LBB1692_103
; %bb.102:
	v_lshlrev_b32_e32 v2, 3, v6
	ds_write_b32 v2, v4
	ds_write_b8 v2, v5 offset:4
.LBB1692_103:
	s_or_b64 exec, exec, s[28:29]
	v_cmp_gt_u32_e32 vcc, 4, v0
	s_waitcnt lgkmcnt(0)
	s_barrier
	s_and_saveexec_b64 s[28:29], vcc
	s_cbranch_execz .LBB1692_107
; %bb.104:
	v_lshlrev_b32_e32 v7, 3, v0
	ds_read_b64 v[2:3], v7
	v_and_b32_e32 v8, 3, v11
	v_cmp_ne_u32_e32 vcc, 0, v8
	s_waitcnt lgkmcnt(0)
	v_mov_b32_dpp v12, v2 row_shr:1 row_mask:0xf bank_mask:0xf
	v_mov_b32_dpp v10, v3 row_shr:1 row_mask:0xf bank_mask:0xf
	v_mov_b32_e32 v9, v3
	s_and_saveexec_b64 s[30:31], vcc
; %bb.105:
	v_mov_b32_e32 v9, 0
	v_add_f32_e32 v12, v2, v12
	v_cmp_eq_u16_sdwa vcc, v3, v9 src0_sel:BYTE_0 src1_sel:DWORD
	v_and_b32_e32 v9, 1, v3
	v_cndmask_b32_e32 v2, v2, v12, vcc
	v_and_b32_e32 v10, 1, v10
	v_cmp_eq_u32_e32 vcc, 1, v9
	v_cndmask_b32_e64 v9, v10, 1, vcc
	s_movk_i32 s36, 0xff00
	v_and_or_b32 v3, v3, s36, v9
; %bb.106:
	s_or_b64 exec, exec, s[30:31]
	v_mov_b32_e32 v13, 0
	v_mov_b32_dpp v12, v3 row_shr:2 row_mask:0xf bank_mask:0xf
	v_cmp_eq_u16_sdwa s[30:31], v9, v13 src0_sel:BYTE_0 src1_sel:DWORD
	v_and_b32_e32 v9, 1, v9
	v_and_b32_e32 v12, 1, v12
	v_cmp_eq_u32_e32 vcc, 1, v9
	v_mov_b32_dpp v10, v2 row_shr:2 row_mask:0xf bank_mask:0xf
	v_cndmask_b32_e64 v9, v12, 1, vcc
	v_cmp_lt_u32_e32 vcc, 1, v8
	v_add_f32_e32 v10, v2, v10
	v_cndmask_b32_e32 v3, v3, v9, vcc
	s_and_b64 vcc, vcc, s[30:31]
	v_cndmask_b32_e32 v2, v2, v10, vcc
	ds_write_b32 v7, v2
	ds_write_b8 v7, v3 offset:4
.LBB1692_107:
	s_or_b64 exec, exec, s[28:29]
	v_cmp_gt_u32_e32 vcc, 64, v0
	v_cmp_lt_u32_e64 s[28:29], 63, v0
	v_mov_b32_e32 v18, 0
	v_mov_b32_e32 v19, 0
	s_waitcnt lgkmcnt(0)
	s_barrier
	s_and_saveexec_b64 s[30:31], s[28:29]
	s_cbranch_execz .LBB1692_109
; %bb.108:
	v_lshl_add_u32 v2, v6, 3, -8
	ds_read_b32 v18, v2
	ds_read_u8 v19, v2 offset:4
	v_and_b32_e32 v2, 1, v5
	v_cmp_eq_u32_e64 s[28:29], 0, v5
	s_waitcnt lgkmcnt(0)
	v_add_f32_e32 v3, v4, v18
	v_and_b32_e32 v6, 1, v19
	v_cndmask_b32_e64 v4, v4, v3, s[28:29]
	v_cmp_eq_u32_e64 s[28:29], 1, v2
	v_cndmask_b32_e64 v5, v6, 1, s[28:29]
.LBB1692_109:
	s_or_b64 exec, exec, s[30:31]
	v_add_u32_e32 v2, -1, v11
	v_and_b32_e32 v3, 64, v11
	v_cmp_lt_i32_e64 s[28:29], v2, v3
	v_cndmask_b32_e64 v2, v2, v11, s[28:29]
	v_lshlrev_b32_e32 v2, 2, v2
	ds_bpermute_b32 v20, v2, v4
	ds_bpermute_b32 v21, v2, v5
	v_cmp_eq_u32_e64 s[28:29], 0, v11
	s_and_saveexec_b64 s[30:31], vcc
	s_cbranch_execz .LBB1692_154
; %bb.110:
	v_mov_b32_e32 v5, 0
	ds_read_b64 v[2:3], v5 offset:24
	s_waitcnt lgkmcnt(0)
	v_readfirstlane_b32 s40, v3
	s_and_saveexec_b64 s[36:37], s[28:29]
	s_cbranch_execz .LBB1692_112
; %bb.111:
	s_add_i32 s38, s47, 64
	s_mov_b32 s39, 0
	s_lshl_b64 s[48:49], s[38:39], 4
	s_add_u32 s48, s44, s48
	s_addc_u32 s49, s45, s49
	s_and_b32 s57, s40, 0xff000000
	s_mov_b32 s56, s39
	s_and_b32 s59, s40, 0xff0000
	s_mov_b32 s58, s39
	s_or_b64 s[56:57], s[58:59], s[56:57]
	s_and_b32 s59, s40, 0xff00
	s_or_b64 s[56:57], s[56:57], s[58:59]
	s_and_b32 s59, s40, 0xff
	s_or_b64 s[38:39], s[56:57], s[58:59]
	v_mov_b32_e32 v3, s39
	v_mov_b32_e32 v4, 1
	v_pk_mov_b32 v[6:7], s[48:49], s[48:49] op_sel:[0,1]
	;;#ASMSTART
	global_store_dwordx4 v[6:7], v[2:5] off	
s_waitcnt vmcnt(0)
	;;#ASMEND
.LBB1692_112:
	s_or_b64 exec, exec, s[36:37]
	v_xad_u32 v10, v11, -1, s47
	v_add_u32_e32 v4, 64, v10
	v_lshlrev_b64 v[6:7], 4, v[4:5]
	v_mov_b32_e32 v3, s45
	v_add_co_u32_e32 v12, vcc, s44, v6
	v_addc_co_u32_e32 v13, vcc, v3, v7, vcc
	;;#ASMSTART
	global_load_dwordx4 v[6:9], v[12:13] off glc	
s_waitcnt vmcnt(0)
	;;#ASMEND
	v_cmp_eq_u16_sdwa s[38:39], v8, v5 src0_sel:BYTE_0 src1_sel:DWORD
	s_and_saveexec_b64 s[36:37], s[38:39]
	s_cbranch_execz .LBB1692_118
; %bb.113:
	s_mov_b32 s41, 1
	s_mov_b64 s[38:39], 0
	v_mov_b32_e32 v3, 0
.LBB1692_114:                           ; =>This Loop Header: Depth=1
                                        ;     Child Loop BB1692_115 Depth 2
	s_max_u32 s48, s41, 1
.LBB1692_115:                           ;   Parent Loop BB1692_114 Depth=1
                                        ; =>  This Inner Loop Header: Depth=2
	s_add_i32 s48, s48, -1
	s_cmp_eq_u32 s48, 0
	s_sleep 1
	s_cbranch_scc0 .LBB1692_115
; %bb.116:                              ;   in Loop: Header=BB1692_114 Depth=1
	s_cmp_lt_u32 s41, 32
	s_cselect_b64 s[48:49], -1, 0
	s_cmp_lg_u64 s[48:49], 0
	s_addc_u32 s41, s41, 0
	;;#ASMSTART
	global_load_dwordx4 v[6:9], v[12:13] off glc	
s_waitcnt vmcnt(0)
	;;#ASMEND
	v_cmp_ne_u16_sdwa s[48:49], v8, v3 src0_sel:BYTE_0 src1_sel:DWORD
	s_or_b64 s[38:39], s[48:49], s[38:39]
	s_andn2_b64 exec, exec, s[38:39]
	s_cbranch_execnz .LBB1692_114
; %bb.117:
	s_or_b64 exec, exec, s[38:39]
.LBB1692_118:
	s_or_b64 exec, exec, s[36:37]
	v_mov_b32_e32 v3, 2
	v_cmp_eq_u16_sdwa s[36:37], v8, v3 src0_sel:BYTE_0 src1_sel:DWORD
	v_lshlrev_b64 v[4:5], v11, -1
	v_and_b32_e32 v3, s37, v5
	v_or_b32_e32 v3, 0x80000000, v3
	s_waitcnt vmcnt(0)
	v_ffbl_b32_e32 v24, v3
	v_and_b32_e32 v3, 63, v11
	v_cmp_ne_u32_e32 vcc, 63, v3
	v_addc_co_u32_e32 v13, vcc, 0, v11, vcc
	v_and_b32_e32 v12, 0xff, v7
	v_lshlrev_b32_e32 v22, 2, v13
	ds_bpermute_b32 v23, v22, v6
	ds_bpermute_b32 v13, v22, v12
	v_and_b32_e32 v9, s36, v4
	v_add_u32_e32 v24, 32, v24
	v_ffbl_b32_e32 v9, v9
	v_min_u32_e32 v9, v9, v24
	v_cmp_lt_u32_e32 vcc, v3, v9
	s_and_saveexec_b64 s[36:37], vcc
	s_cbranch_execz .LBB1692_120
; %bb.119:
	v_mov_b32_e32 v12, 0
	s_waitcnt lgkmcnt(1)
	v_add_f32_e32 v23, v6, v23
	v_cmp_eq_u16_sdwa vcc, v7, v12 src0_sel:BYTE_0 src1_sel:DWORD
	v_and_b32_e32 v7, 1, v7
	v_cndmask_b32_e32 v6, v6, v23, vcc
	s_waitcnt lgkmcnt(0)
	v_and_b32_e32 v12, 1, v13
	v_cmp_eq_u32_e32 vcc, 1, v7
	v_cndmask_b32_e64 v7, v12, 1, vcc
	v_and_b32_e32 v12, 0xffff, v7
.LBB1692_120:
	s_or_b64 exec, exec, s[36:37]
	v_cmp_gt_u32_e32 vcc, 62, v3
	s_waitcnt lgkmcnt(0)
	v_cndmask_b32_e64 v13, 0, 1, vcc
	v_lshlrev_b32_e32 v13, 1, v13
	v_add_lshl_u32 v23, v13, v11, 2
	ds_bpermute_b32 v25, v23, v6
	ds_bpermute_b32 v13, v23, v12
	v_add_u32_e32 v24, 2, v3
	v_cmp_le_u32_e32 vcc, v24, v9
	s_and_saveexec_b64 s[36:37], vcc
	s_cbranch_execz .LBB1692_122
; %bb.121:
	v_mov_b32_e32 v12, 0
	s_waitcnt lgkmcnt(1)
	v_add_f32_e32 v25, v6, v25
	v_cmp_eq_u16_sdwa vcc, v7, v12 src0_sel:BYTE_0 src1_sel:DWORD
	v_and_b32_e32 v7, 1, v7
	v_cndmask_b32_e32 v6, v6, v25, vcc
	s_waitcnt lgkmcnt(0)
	v_and_b32_e32 v12, 1, v13
	v_cmp_eq_u32_e32 vcc, 1, v7
	v_cndmask_b32_e64 v7, v12, 1, vcc
	v_and_b32_e32 v12, 0xffff, v7
.LBB1692_122:
	s_or_b64 exec, exec, s[36:37]
	v_cmp_gt_u32_e32 vcc, 60, v3
	s_waitcnt lgkmcnt(0)
	v_cndmask_b32_e64 v13, 0, 1, vcc
	v_lshlrev_b32_e32 v13, 2, v13
	v_add_lshl_u32 v25, v13, v11, 2
	ds_bpermute_b32 v56, v25, v6
	ds_bpermute_b32 v13, v25, v12
	v_add_u32_e32 v55, 4, v3
	v_cmp_le_u32_e32 vcc, v55, v9
	;; [unrolled: 25-line block ×5, first 2 shown]
	s_and_saveexec_b64 s[36:37], vcc
	s_cbranch_execz .LBB1692_130
; %bb.129:
	v_mov_b32_e32 v9, 0
	s_waitcnt lgkmcnt(1)
	v_add_f32_e32 v12, v6, v13
	v_cmp_eq_u16_sdwa vcc, v7, v9 src0_sel:BYTE_0 src1_sel:DWORD
	v_and_b32_e32 v7, 1, v7
	v_cndmask_b32_e32 v6, v6, v12, vcc
	s_waitcnt lgkmcnt(0)
	v_and_b32_e32 v9, 1, v11
	v_cmp_eq_u32_e32 vcc, 1, v7
	v_cndmask_b32_e64 v7, v9, 1, vcc
.LBB1692_130:
	s_or_b64 exec, exec, s[36:37]
	s_waitcnt lgkmcnt(0)
	v_mov_b32_e32 v11, 0
	v_mov_b32_e32 v64, 2
	s_branch .LBB1692_132
.LBB1692_131:                           ;   in Loop: Header=BB1692_132 Depth=1
	s_or_b64 exec, exec, s[36:37]
	s_waitcnt lgkmcnt(0)
	ds_bpermute_b32 v13, v61, v6
	ds_bpermute_b32 v12, v61, v12
	v_and_b32_e32 v65, 1, v7
	v_cmp_eq_u16_sdwa vcc, v7, v11 src0_sel:BYTE_0 src1_sel:DWORD
	v_subrev_u32_e32 v10, 64, v10
	s_waitcnt lgkmcnt(1)
	v_add_f32_e32 v13, v6, v13
	v_cndmask_b32_e32 v13, v6, v13, vcc
	v_cmp_eq_u32_e32 vcc, 1, v65
	s_waitcnt lgkmcnt(0)
	v_cndmask_b32_e64 v12, v12, 1, vcc
	v_cmp_gt_u32_e32 vcc, v63, v9
	v_cndmask_b32_e32 v6, v13, v6, vcc
	v_cndmask_b32_e32 v7, v12, v7, vcc
	v_add_f32_e32 v6, v62, v6
	v_cmp_eq_u16_sdwa vcc, v60, v11 src0_sel:BYTE_0 src1_sel:DWORD
	v_and_b32_e32 v9, 1, v60
	v_cndmask_b32_e32 v6, v62, v6, vcc
	v_and_b32_e32 v7, 1, v7
	v_cmp_eq_u32_e32 vcc, 1, v9
	v_cndmask_b32_e64 v7, v7, 1, vcc
.LBB1692_132:                           ; =>This Loop Header: Depth=1
                                        ;     Child Loop BB1692_135 Depth 2
                                        ;       Child Loop BB1692_136 Depth 3
	v_cmp_ne_u16_sdwa s[36:37], v8, v64 src0_sel:BYTE_0 src1_sel:DWORD
	v_mov_b32_e32 v60, v7
	v_cndmask_b32_e64 v7, 0, 1, s[36:37]
	;;#ASMSTART
	;;#ASMEND
	v_cmp_ne_u32_e32 vcc, 0, v7
	s_cmp_lg_u64 vcc, exec
	v_mov_b32_e32 v62, v6
	s_cbranch_scc1 .LBB1692_149
; %bb.133:                              ;   in Loop: Header=BB1692_132 Depth=1
	v_lshlrev_b64 v[6:7], 4, v[10:11]
	v_mov_b32_e32 v8, s45
	v_add_co_u32_e32 v12, vcc, s44, v6
	v_addc_co_u32_e32 v13, vcc, v8, v7, vcc
	;;#ASMSTART
	global_load_dwordx4 v[6:9], v[12:13] off glc	
s_waitcnt vmcnt(0)
	;;#ASMEND
	v_cmp_eq_u16_sdwa s[38:39], v8, v11 src0_sel:BYTE_0 src1_sel:DWORD
	s_and_saveexec_b64 s[36:37], s[38:39]
	s_cbranch_execz .LBB1692_139
; %bb.134:                              ;   in Loop: Header=BB1692_132 Depth=1
	s_mov_b32 s41, 1
	s_mov_b64 s[38:39], 0
.LBB1692_135:                           ;   Parent Loop BB1692_132 Depth=1
                                        ; =>  This Loop Header: Depth=2
                                        ;       Child Loop BB1692_136 Depth 3
	s_max_u32 s48, s41, 1
.LBB1692_136:                           ;   Parent Loop BB1692_132 Depth=1
                                        ;     Parent Loop BB1692_135 Depth=2
                                        ; =>    This Inner Loop Header: Depth=3
	s_add_i32 s48, s48, -1
	s_cmp_eq_u32 s48, 0
	s_sleep 1
	s_cbranch_scc0 .LBB1692_136
; %bb.137:                              ;   in Loop: Header=BB1692_135 Depth=2
	s_cmp_lt_u32 s41, 32
	s_cselect_b64 s[48:49], -1, 0
	s_cmp_lg_u64 s[48:49], 0
	s_addc_u32 s41, s41, 0
	;;#ASMSTART
	global_load_dwordx4 v[6:9], v[12:13] off glc	
s_waitcnt vmcnt(0)
	;;#ASMEND
	v_cmp_ne_u16_sdwa s[48:49], v8, v11 src0_sel:BYTE_0 src1_sel:DWORD
	s_or_b64 s[38:39], s[48:49], s[38:39]
	s_andn2_b64 exec, exec, s[38:39]
	s_cbranch_execnz .LBB1692_135
; %bb.138:                              ;   in Loop: Header=BB1692_132 Depth=1
	s_or_b64 exec, exec, s[38:39]
.LBB1692_139:                           ;   in Loop: Header=BB1692_132 Depth=1
	s_or_b64 exec, exec, s[36:37]
	v_cmp_eq_u16_sdwa s[36:37], v8, v64 src0_sel:BYTE_0 src1_sel:DWORD
	v_and_b32_e32 v9, s37, v5
	v_and_b32_e32 v12, 0xff, v7
	v_or_b32_e32 v9, 0x80000000, v9
	ds_bpermute_b32 v65, v22, v6
	ds_bpermute_b32 v13, v22, v12
	v_and_b32_e32 v66, s36, v4
	v_ffbl_b32_e32 v9, v9
	v_add_u32_e32 v9, 32, v9
	v_ffbl_b32_e32 v66, v66
	v_min_u32_e32 v9, v66, v9
	v_cmp_lt_u32_e32 vcc, v3, v9
	s_and_saveexec_b64 s[36:37], vcc
	s_cbranch_execz .LBB1692_141
; %bb.140:                              ;   in Loop: Header=BB1692_132 Depth=1
	s_waitcnt lgkmcnt(1)
	v_add_f32_e32 v12, v6, v65
	v_cmp_eq_u16_sdwa vcc, v7, v11 src0_sel:BYTE_0 src1_sel:DWORD
	v_and_b32_e32 v7, 1, v7
	v_cndmask_b32_e32 v6, v6, v12, vcc
	s_waitcnt lgkmcnt(0)
	v_and_b32_e32 v12, 1, v13
	v_cmp_eq_u32_e32 vcc, 1, v7
	v_cndmask_b32_e64 v7, v12, 1, vcc
	v_and_b32_e32 v12, 0xffff, v7
.LBB1692_141:                           ;   in Loop: Header=BB1692_132 Depth=1
	s_or_b64 exec, exec, s[36:37]
	s_waitcnt lgkmcnt(1)
	ds_bpermute_b32 v65, v23, v6
	s_waitcnt lgkmcnt(1)
	ds_bpermute_b32 v13, v23, v12
	v_cmp_le_u32_e32 vcc, v24, v9
	s_and_saveexec_b64 s[36:37], vcc
	s_cbranch_execz .LBB1692_143
; %bb.142:                              ;   in Loop: Header=BB1692_132 Depth=1
	s_waitcnt lgkmcnt(1)
	v_add_f32_e32 v12, v6, v65
	v_cmp_eq_u16_sdwa vcc, v7, v11 src0_sel:BYTE_0 src1_sel:DWORD
	v_and_b32_e32 v7, 1, v7
	v_cndmask_b32_e32 v6, v6, v12, vcc
	s_waitcnt lgkmcnt(0)
	v_and_b32_e32 v12, 1, v13
	v_cmp_eq_u32_e32 vcc, 1, v7
	v_cndmask_b32_e64 v7, v12, 1, vcc
	v_and_b32_e32 v12, 0xffff, v7
.LBB1692_143:                           ;   in Loop: Header=BB1692_132 Depth=1
	s_or_b64 exec, exec, s[36:37]
	s_waitcnt lgkmcnt(1)
	ds_bpermute_b32 v65, v25, v6
	s_waitcnt lgkmcnt(1)
	ds_bpermute_b32 v13, v25, v12
	v_cmp_le_u32_e32 vcc, v55, v9
	;; [unrolled: 20-line block ×4, first 2 shown]
	s_and_saveexec_b64 s[36:37], vcc
	s_cbranch_execz .LBB1692_131
; %bb.148:                              ;   in Loop: Header=BB1692_132 Depth=1
	s_waitcnt lgkmcnt(1)
	v_add_f32_e32 v12, v6, v65
	v_cmp_eq_u16_sdwa vcc, v7, v11 src0_sel:BYTE_0 src1_sel:DWORD
	v_and_b32_e32 v7, 1, v7
	v_cndmask_b32_e32 v6, v6, v12, vcc
	s_waitcnt lgkmcnt(0)
	v_and_b32_e32 v12, 1, v13
	v_cmp_eq_u32_e32 vcc, 1, v7
	v_cndmask_b32_e64 v7, v12, 1, vcc
	v_and_b32_e32 v12, 0xffff, v7
	s_branch .LBB1692_131
.LBB1692_149:                           ;   in Loop: Header=BB1692_132 Depth=1
                                        ; implicit-def: $vgpr7
	s_cbranch_execz .LBB1692_132
; %bb.150:
	s_and_saveexec_b64 s[36:37], s[28:29]
	s_cbranch_execz .LBB1692_152
; %bb.151:
	s_and_b32 s38, s40, 0xff
	s_cmp_eq_u32 s38, 0
	s_cselect_b64 vcc, -1, 0
	s_bitcmp1_b32 s40, 0
	s_mov_b32 s39, 0
	s_cselect_b64 s[40:41], -1, 0
	s_add_i32 s38, s47, 64
	s_lshl_b64 s[38:39], s[38:39], 4
	v_add_f32_e32 v3, v62, v2
	s_add_u32 s38, s44, s38
	v_cndmask_b32_e32 v2, v2, v3, vcc
	v_and_b32_e32 v3, 1, v60
	s_addc_u32 s39, s45, s39
	v_cndmask_b32_e64 v3, v3, 1, s[40:41]
	v_mov_b32_e32 v4, 2
	v_mov_b32_e32 v5, 0
	v_pk_mov_b32 v[6:7], s[38:39], s[38:39] op_sel:[0,1]
	;;#ASMSTART
	global_store_dwordx4 v[6:7], v[2:5] off	
s_waitcnt vmcnt(0)
	;;#ASMEND
.LBB1692_152:
	s_or_b64 exec, exec, s[36:37]
	s_and_b64 exec, exec, s[0:1]
	s_cbranch_execz .LBB1692_154
; %bb.153:
	v_mov_b32_e32 v2, 0
	ds_write_b32 v2, v62 offset:24
	ds_write_b8 v2, v60 offset:28
.LBB1692_154:
	s_or_b64 exec, exec, s[30:31]
	v_mov_b32_e32 v3, 0
	s_waitcnt lgkmcnt(0)
	s_barrier
	ds_read_b32 v2, v3 offset:24
	v_cndmask_b32_e64 v4, v21, v19, s[28:29]
	v_cndmask_b32_e64 v5, v20, v18, s[28:29]
	v_cmp_eq_u32_sdwa vcc, v4, v3 src0_sel:BYTE_0 src1_sel:DWORD
	s_waitcnt lgkmcnt(0)
	v_add_f32_e32 v6, v5, v2
	v_cndmask_b32_e32 v4, v5, v6, vcc
	v_cndmask_b32_e64 v2, v4, v2, s[0:1]
	v_add_f32_e32 v4, v30, v2
	v_cmp_eq_u16_sdwa vcc, v1, v3 src0_sel:BYTE_0 src1_sel:DWORD
	v_cndmask_b32_e32 v3, v30, v4, vcc
	v_add_f32_e32 v4, v28, v3
	v_cndmask_b32_e64 v18, v28, v4, s[4:5]
	v_add_f32_e32 v4, v29, v18
	v_cndmask_b32_e64 v19, v29, v4, s[6:7]
	v_add_f32_e32 v4, v31, v19
	v_cndmask_b32_e64 v6, v31, v4, s[8:9]
	v_add_f32_e32 v4, v27, v6
	v_cndmask_b32_e64 v7, v27, v4, s[10:11]
	v_add_f32_e32 v4, v32, v7
	v_cndmask_b32_e64 v20, v32, v4, s[12:13]
	v_add_f32_e32 v4, v33, v20
	v_cndmask_b32_e64 v21, v33, v4, s[14:15]
	v_add_f32_e32 v4, v35, v21
	v_cndmask_b32_e64 v10, v35, v4, s[16:17]
	v_add_f32_e32 v4, v36, v10
	v_cndmask_b32_e64 v11, v36, v4, s[18:19]
	v_add_f32_e32 v4, v38, v11
	v_cndmask_b32_e64 v22, v38, v4, s[20:21]
	v_add_f32_e32 v4, v39, v22
	v_cndmask_b32_e64 v23, v39, v4, s[22:23]
	v_add_f32_e32 v4, v41, v23
	s_waitcnt vmcnt(0)
	v_cndmask_b32_e64 v24, v41, v4, s[24:25]
	v_add_f32_e32 v4, v26, v24
	v_cndmask_b32_e64 v25, v26, v4, s[26:27]
	s_branch .LBB1692_193
.LBB1692_155:
	s_or_b64 exec, exec, s[30:31]
                                        ; implicit-def: $vgpr35
	s_and_saveexec_b64 s[30:31], s[4:5]
	s_cbranch_execz .LBB1692_37
.LBB1692_156:
	v_add_co_u32_e32 v36, vcc, v22, v33
	v_addc_co_u32_e32 v37, vcc, 0, v23, vcc
	flat_load_dword v35, v[36:37] offset:1024
	s_waitcnt vmcnt(0) lgkmcnt(0)
	v_cvt_f32_u32_e32 v35, v35
	s_or_b64 exec, exec, s[30:31]
                                        ; implicit-def: $vgpr36
	s_and_saveexec_b64 s[4:5], s[6:7]
	s_cbranch_execnz .LBB1692_38
.LBB1692_157:
	s_or_b64 exec, exec, s[4:5]
                                        ; implicit-def: $vgpr37
	s_and_saveexec_b64 s[4:5], s[8:9]
	s_cbranch_execz .LBB1692_39
.LBB1692_158:
	v_add_co_u32_e32 v38, vcc, v22, v33
	v_addc_co_u32_e32 v39, vcc, 0, v23, vcc
	flat_load_dword v37, v[38:39] offset:3072
	s_waitcnt vmcnt(0) lgkmcnt(0)
	v_cvt_f32_u32_e32 v37, v37
	s_or_b64 exec, exec, s[4:5]
                                        ; implicit-def: $vgpr38
	s_and_saveexec_b64 s[4:5], s[10:11]
	s_cbranch_execnz .LBB1692_40
.LBB1692_159:
	s_or_b64 exec, exec, s[4:5]
                                        ; implicit-def: $vgpr1
	s_and_saveexec_b64 s[4:5], s[12:13]
	s_cbranch_execz .LBB1692_41
.LBB1692_160:
	v_lshlrev_b32_e32 v1, 2, v20
	v_add_co_u32_e32 v40, vcc, v22, v1
	v_addc_co_u32_e32 v41, vcc, 0, v23, vcc
	flat_load_dword v1, v[40:41]
	s_waitcnt vmcnt(0) lgkmcnt(0)
	v_cvt_f32_u32_e32 v1, v1
	s_or_b64 exec, exec, s[4:5]
                                        ; implicit-def: $vgpr20
	s_and_saveexec_b64 s[4:5], s[14:15]
	s_cbranch_execnz .LBB1692_42
.LBB1692_161:
	s_or_b64 exec, exec, s[4:5]
                                        ; implicit-def: $vgpr21
	s_and_saveexec_b64 s[4:5], s[16:17]
	s_cbranch_execz .LBB1692_43
.LBB1692_162:
	v_lshlrev_b32_e32 v21, 2, v26
	v_add_co_u32_e32 v40, vcc, v22, v21
	v_addc_co_u32_e32 v41, vcc, 0, v23, vcc
	flat_load_dword v21, v[40:41]
	s_waitcnt vmcnt(0) lgkmcnt(0)
	v_cvt_f32_u32_e32 v21, v21
	s_or_b64 exec, exec, s[4:5]
                                        ; implicit-def: $vgpr26
	s_and_saveexec_b64 s[4:5], s[18:19]
	s_cbranch_execnz .LBB1692_44
.LBB1692_163:
	s_or_b64 exec, exec, s[4:5]
                                        ; implicit-def: $vgpr27
	s_and_saveexec_b64 s[4:5], s[20:21]
	s_cbranch_execz .LBB1692_45
.LBB1692_164:
	v_lshlrev_b32_e32 v27, 2, v28
	v_add_co_u32_e32 v40, vcc, v22, v27
	v_addc_co_u32_e32 v41, vcc, 0, v23, vcc
	flat_load_dword v27, v[40:41]
	s_waitcnt vmcnt(0) lgkmcnt(0)
	v_cvt_f32_u32_e32 v27, v27
	s_or_b64 exec, exec, s[4:5]
                                        ; implicit-def: $vgpr28
	s_and_saveexec_b64 s[4:5], s[22:23]
	s_cbranch_execnz .LBB1692_46
.LBB1692_165:
	s_or_b64 exec, exec, s[4:5]
                                        ; implicit-def: $vgpr29
	s_and_saveexec_b64 s[4:5], s[24:25]
	s_cbranch_execz .LBB1692_47
.LBB1692_166:
	v_lshlrev_b32_e32 v29, 2, v30
	v_add_co_u32_e32 v40, vcc, v22, v29
	v_addc_co_u32_e32 v41, vcc, 0, v23, vcc
	flat_load_dword v29, v[40:41]
	s_waitcnt vmcnt(0) lgkmcnt(0)
	v_cvt_f32_u32_e32 v29, v29
	s_or_b64 exec, exec, s[4:5]
                                        ; implicit-def: $vgpr30
	s_and_saveexec_b64 s[4:5], s[26:27]
	s_cbranch_execz .LBB1692_49
	s_branch .LBB1692_48
.LBB1692_167:
                                        ; implicit-def: $vgpr25
                                        ; implicit-def: $vgpr23
                                        ; implicit-def: $vgpr21
                                        ; implicit-def: $vgpr19
                                        ; implicit-def: $vgpr10_vgpr11_vgpr12_vgpr13
                                        ; implicit-def: $vgpr6_vgpr7_vgpr8_vgpr9
                                        ; implicit-def: $vgpr2_vgpr3_vgpr4_vgpr5
	s_cbranch_execz .LBB1692_193
; %bb.168:
	s_cmp_lg_u64 s[52:53], 0
	s_cselect_b32 s5, s51, 0
	s_cselect_b32 s4, s50, 0
	s_cmp_eq_u64 s[4:5], 0
	v_mov_b32_e32 v4, s54
	s_cbranch_scc1 .LBB1692_170
; %bb.169:
	v_mov_b32_e32 v2, 0
	global_load_dword v4, v2, s[4:5]
.LBB1692_170:
	v_mov_b32_e32 v2, 0
	v_cmp_eq_u16_sdwa s[4:5], v34, v2 src0_sel:BYTE_0 src1_sel:DWORD
	v_cndmask_b32_e64 v3, v28, v54, s[4:5]
	v_add_f32_e32 v3, v29, v3
	v_cmp_eq_u16_sdwa s[6:7], v37, v2 src0_sel:BYTE_0 src1_sel:DWORD
	v_cndmask_b32_e64 v3, v29, v3, s[6:7]
	v_add_f32_e32 v3, v31, v3
	;; [unrolled: 3-line block ×7, first 2 shown]
	v_cmp_eq_u16_sdwa s[18:19], v47, v2 src0_sel:BYTE_0 src1_sel:DWORD
	v_cmp_eq_u16_sdwa s[20:21], v48, v2 src0_sel:BYTE_0 src1_sel:DWORD
	;; [unrolled: 1-line block ×4, first 2 shown]
	v_cmp_eq_u16_sdwa vcc, v40, v2 src0_sel:BYTE_0 src1_sel:DWORD
	v_cmp_eq_u16_sdwa s[26:27], v14, v2 src0_sel:BYTE_0 src1_sel:DWORD
	v_or_b32_e32 v2, v53, v49
	v_cndmask_b32_e64 v3, v36, v3, s[18:19]
	v_or_b32_e32 v2, v2, v48
	v_add_f32_e32 v3, v38, v3
	v_or_b32_e32 v2, v2, v47
	v_cndmask_b32_e64 v3, v38, v3, s[20:21]
	v_or_b32_e32 v2, v2, v46
	v_add_f32_e32 v3, v39, v3
	;; [unrolled: 4-line block ×4, first 2 shown]
	v_or_b32_e32 v2, v2, v37
	v_cndmask_b32_e32 v3, v26, v3, vcc
	v_or_b32_e32 v2, v2, v34
	v_add_f32_e32 v3, v15, v3
	v_and_b32_e32 v2, 1, v2
	v_and_b32_e32 v6, 0xff, v1
	v_cndmask_b32_e64 v5, v15, v3, s[26:27]
	v_cmp_eq_u32_e64 s[26:27], 1, v2
	v_cndmask_b32_e64 v7, v6, 1, s[26:27]
	v_mbcnt_hi_u32_b32 v6, -1, v52
	v_and_b32_e32 v2, 15, v6
	v_mov_b32_dpp v8, v5 row_shr:1 row_mask:0xf bank_mask:0xf
	v_mov_b32_dpp v3, v7 row_shr:1 row_mask:0xf bank_mask:0xf
	v_cmp_ne_u32_e64 s[26:27], 0, v2
	s_and_saveexec_b64 s[28:29], s[26:27]
; %bb.171:
	v_add_f32_e32 v8, v5, v8
	v_cmp_eq_u32_e64 s[26:27], 0, v7
	v_and_b32_e32 v7, 1, v7
	v_cndmask_b32_e64 v5, v5, v8, s[26:27]
	v_and_b32_e32 v3, 1, v3
	v_cmp_eq_u32_e64 s[26:27], 1, v7
	v_cndmask_b32_e64 v7, v3, 1, s[26:27]
; %bb.172:
	s_or_b64 exec, exec, s[28:29]
	v_mov_b32_dpp v8, v5 row_shr:2 row_mask:0xf bank_mask:0xf
	v_mov_b32_dpp v3, v7 row_shr:2 row_mask:0xf bank_mask:0xf
	v_cmp_lt_u32_e64 s[26:27], 1, v2
	s_and_saveexec_b64 s[28:29], s[26:27]
; %bb.173:
	v_add_f32_e32 v8, v5, v8
	v_cmp_eq_u32_e64 s[26:27], 0, v7
	v_and_b32_e32 v7, 1, v7
	v_cndmask_b32_e64 v5, v5, v8, s[26:27]
	v_and_b32_e32 v3, 1, v3
	v_cmp_eq_u32_e64 s[26:27], 1, v7
	v_cndmask_b32_e64 v7, v3, 1, s[26:27]
; %bb.174:
	s_or_b64 exec, exec, s[28:29]
	v_mov_b32_dpp v8, v5 row_shr:4 row_mask:0xf bank_mask:0xf
	v_mov_b32_dpp v3, v7 row_shr:4 row_mask:0xf bank_mask:0xf
	v_cmp_lt_u32_e64 s[26:27], 3, v2
	;; [unrolled: 14-line block ×3, first 2 shown]
	s_and_saveexec_b64 s[28:29], s[26:27]
; %bb.177:
	v_add_f32_e32 v2, v5, v8
	v_cmp_eq_u32_e64 s[26:27], 0, v7
	v_cndmask_b32_e64 v5, v5, v2, s[26:27]
	v_and_b32_e32 v2, 1, v7
	v_and_b32_e32 v3, 1, v3
	v_cmp_eq_u32_e64 s[26:27], 1, v2
	v_cndmask_b32_e64 v7, v3, 1, s[26:27]
; %bb.178:
	s_or_b64 exec, exec, s[28:29]
	v_and_b32_e32 v8, 16, v6
	v_mov_b32_dpp v3, v5 row_bcast:15 row_mask:0xf bank_mask:0xf
	v_mov_b32_dpp v2, v7 row_bcast:15 row_mask:0xf bank_mask:0xf
	v_cmp_ne_u32_e64 s[26:27], 0, v8
	s_and_saveexec_b64 s[28:29], s[26:27]
; %bb.179:
	v_add_f32_e32 v3, v5, v3
	v_cmp_eq_u32_e64 s[26:27], 0, v7
	v_cndmask_b32_e64 v5, v5, v3, s[26:27]
	v_and_b32_e32 v3, 1, v7
	v_and_b32_e32 v2, 1, v2
	v_cmp_eq_u32_e64 s[26:27], 1, v3
	v_cndmask_b32_e64 v7, v2, 1, s[26:27]
; %bb.180:
	s_or_b64 exec, exec, s[28:29]
	v_mov_b32_dpp v3, v5 row_bcast:31 row_mask:0xf bank_mask:0xf
	v_mov_b32_dpp v2, v7 row_bcast:31 row_mask:0xf bank_mask:0xf
	v_cmp_lt_u32_e64 s[26:27], 31, v6
	s_and_saveexec_b64 s[28:29], s[26:27]
; %bb.181:
	v_add_f32_e32 v3, v5, v3
	v_cmp_eq_u32_e64 s[26:27], 0, v7
	v_cndmask_b32_e64 v5, v5, v3, s[26:27]
	v_and_b32_e32 v3, 1, v7
	v_and_b32_e32 v2, 1, v2
	v_cmp_eq_u32_e64 s[26:27], 1, v3
	v_cndmask_b32_e64 v7, v2, 1, s[26:27]
; %bb.182:
	s_or_b64 exec, exec, s[28:29]
	v_or_b32_e32 v2, 63, v0
	v_lshrrev_b32_e32 v8, 6, v0
	v_cmp_eq_u32_e64 s[26:27], v2, v0
	s_and_saveexec_b64 s[28:29], s[26:27]
	s_cbranch_execz .LBB1692_184
; %bb.183:
	v_lshlrev_b32_e32 v2, 3, v8
	ds_write_b32 v2, v5
	ds_write_b8 v2, v7 offset:4
.LBB1692_184:
	s_or_b64 exec, exec, s[28:29]
	v_cmp_gt_u32_e64 s[26:27], 4, v0
	s_waitcnt lgkmcnt(0)
	s_barrier
	s_and_saveexec_b64 s[28:29], s[26:27]
	s_cbranch_execz .LBB1692_188
; %bb.185:
	v_lshlrev_b32_e32 v9, 3, v0
	ds_read_b64 v[2:3], v9
	v_and_b32_e32 v10, 3, v6
	v_cmp_ne_u32_e64 s[26:27], 0, v10
	s_waitcnt lgkmcnt(0)
	v_mov_b32_dpp v13, v2 row_shr:1 row_mask:0xf bank_mask:0xf
	v_mov_b32_dpp v12, v3 row_shr:1 row_mask:0xf bank_mask:0xf
	v_mov_b32_e32 v11, v3
	s_and_saveexec_b64 s[30:31], s[26:27]
; %bb.186:
	v_mov_b32_e32 v11, 0
	v_add_f32_e32 v13, v2, v13
	v_cmp_eq_u16_sdwa s[26:27], v3, v11 src0_sel:BYTE_0 src1_sel:DWORD
	v_and_b32_e32 v11, 1, v3
	v_cndmask_b32_e64 v2, v2, v13, s[26:27]
	v_and_b32_e32 v12, 1, v12
	v_cmp_eq_u32_e64 s[26:27], 1, v11
	v_cndmask_b32_e64 v11, v12, 1, s[26:27]
	s_movk_i32 s26, 0xff00
	v_and_or_b32 v3, v3, s26, v11
; %bb.187:
	s_or_b64 exec, exec, s[30:31]
	v_mov_b32_e32 v14, 0
	v_mov_b32_dpp v13, v3 row_shr:2 row_mask:0xf bank_mask:0xf
	v_cmp_eq_u16_sdwa s[30:31], v11, v14 src0_sel:BYTE_0 src1_sel:DWORD
	v_and_b32_e32 v11, 1, v11
	v_and_b32_e32 v13, 1, v13
	v_cmp_eq_u32_e64 s[26:27], 1, v11
	v_mov_b32_dpp v12, v2 row_shr:2 row_mask:0xf bank_mask:0xf
	v_cndmask_b32_e64 v11, v13, 1, s[26:27]
	v_cmp_lt_u32_e64 s[26:27], 1, v10
	v_add_f32_e32 v12, v2, v12
	v_cndmask_b32_e64 v3, v3, v11, s[26:27]
	s_and_b64 s[26:27], s[26:27], s[30:31]
	v_cndmask_b32_e64 v2, v2, v12, s[26:27]
	ds_write_b32 v9, v2
	ds_write_b8 v9, v3 offset:4
.LBB1692_188:
	s_or_b64 exec, exec, s[28:29]
	v_cmp_lt_u32_e64 s[26:27], 63, v0
	s_waitcnt vmcnt(0)
	v_mov_b32_e32 v2, v4
	s_waitcnt lgkmcnt(0)
	s_barrier
	s_and_saveexec_b64 s[28:29], s[26:27]
	s_cbranch_execz .LBB1692_190
; %bb.189:
	v_lshl_add_u32 v2, v8, 3, -8
	ds_read_b32 v3, v2
	ds_read_u8 v2, v2 offset:4
	s_waitcnt lgkmcnt(1)
	v_add_f32_e32 v8, v4, v3
	s_waitcnt lgkmcnt(0)
	v_cmp_eq_u16_e64 s[26:27], 0, v2
	v_cndmask_b32_e64 v2, v3, v8, s[26:27]
.LBB1692_190:
	s_or_b64 exec, exec, s[28:29]
	v_add_f32_e32 v3, v5, v2
	v_cmp_eq_u32_e64 s[26:27], 0, v7
	v_cndmask_b32_e64 v3, v5, v3, s[26:27]
	v_add_u32_e32 v5, -1, v6
	v_and_b32_e32 v7, 64, v6
	v_cmp_lt_i32_e64 s[26:27], v5, v7
	v_cndmask_b32_e64 v5, v5, v6, s[26:27]
	v_lshlrev_b32_e32 v5, 2, v5
	ds_bpermute_b32 v3, v5, v3
	v_cmp_eq_u32_e64 s[26:27], 0, v6
	v_mov_b32_e32 v15, 0
	s_waitcnt lgkmcnt(0)
	v_cndmask_b32_e64 v2, v3, v2, s[26:27]
	v_cndmask_b32_e64 v3, v2, v4, s[0:1]
	v_add_f32_e32 v3, v30, v3
	v_cmp_eq_u16_sdwa s[26:27], v1, v15 src0_sel:BYTE_0 src1_sel:DWORD
	v_cndmask_b32_e64 v3, v30, v3, s[26:27]
	v_add_f32_e32 v1, v28, v3
	v_cndmask_b32_e64 v18, v28, v1, s[4:5]
	v_add_f32_e32 v1, v29, v18
	;; [unrolled: 2-line block ×12, first 2 shown]
	s_and_saveexec_b64 s[4:5], s[0:1]
	s_cbranch_execz .LBB1692_192
; %bb.191:
	ds_read_b32 v2, v15 offset:24
	ds_read_u8 v5, v15 offset:28
	s_add_u32 s6, s44, 0x400
	s_addc_u32 s7, s45, 0
	v_mov_b32_e32 v14, 2
	s_waitcnt lgkmcnt(1)
	v_add_f32_e32 v8, v4, v2
	s_waitcnt lgkmcnt(0)
	v_cmp_eq_u16_e64 s[0:1], 0, v5
	v_cndmask_b32_e64 v12, v2, v8, s[0:1]
	v_and_b32_e32 v13, 0xffff, v5
	v_pk_mov_b32 v[8:9], s[6:7], s[6:7] op_sel:[0,1]
	;;#ASMSTART
	global_store_dwordx4 v[8:9], v[12:15] off	
s_waitcnt vmcnt(0)
	;;#ASMEND
	v_mov_b32_e32 v2, v4
.LBB1692_192:
	s_or_b64 exec, exec, s[4:5]
	v_cndmask_b32_e32 v25, v26, v1, vcc
.LBB1692_193:
	s_add_u32 s0, s42, s34
	s_addc_u32 s1, s43, s35
	v_mov_b32_e32 v1, s1
	v_add_co_u32_e32 v32, vcc, s0, v16
	v_addc_co_u32_e32 v33, vcc, v1, v17, vcc
	v_mul_u32_u24_e32 v1, 14, v0
	s_and_b64 vcc, exec, s[2:3]
	v_lshlrev_b32_e32 v4, 2, v1
	s_cbranch_vccz .LBB1692_221
; %bb.194:
	s_movk_i32 s0, 0xffcc
	v_mad_i32_i24 v5, v0, s0, v4
	s_barrier
	ds_write2_b64 v4, v[2:3], v[18:19] offset1:1
	ds_write2_b64 v4, v[6:7], v[20:21] offset0:2 offset1:3
	ds_write2_b64 v4, v[10:11], v[22:23] offset0:4 offset1:5
	s_waitcnt vmcnt(0)
	ds_write_b64 v4, v[24:25] offset:48
	s_waitcnt lgkmcnt(0)
	s_barrier
	ds_read2st64_b32 v[30:31], v5 offset0:4 offset1:8
	ds_read2st64_b32 v[28:29], v5 offset0:12 offset1:16
	;; [unrolled: 1-line block ×6, first 2 shown]
	ds_read_b32 v5, v5 offset:13312
	v_add_co_u32_e32 v12, vcc, v32, v51
	s_add_i32 s33, s33, s46
	v_addc_co_u32_e32 v13, vcc, 0, v33, vcc
	v_mov_b32_e32 v1, 0
	v_cmp_gt_u32_e32 vcc, s33, v0
	s_and_saveexec_b64 s[0:1], vcc
	s_cbranch_execz .LBB1692_196
; %bb.195:
	v_mul_i32_i24_e32 v34, 0xffffffcc, v0
	v_add_u32_e32 v34, v4, v34
	ds_read_b32 v34, v34
	s_waitcnt lgkmcnt(0)
	flat_store_dword v[12:13], v34
.LBB1692_196:
	s_or_b64 exec, exec, s[0:1]
	v_or_b32_e32 v34, 0x100, v0
	v_cmp_gt_u32_e32 vcc, s33, v34
	s_and_saveexec_b64 s[0:1], vcc
	s_cbranch_execz .LBB1692_198
; %bb.197:
	s_waitcnt lgkmcnt(0)
	flat_store_dword v[12:13], v30 offset:1024
.LBB1692_198:
	s_or_b64 exec, exec, s[0:1]
	s_waitcnt lgkmcnt(0)
	v_or_b32_e32 v30, 0x200, v0
	v_cmp_gt_u32_e32 vcc, s33, v30
	s_and_saveexec_b64 s[0:1], vcc
	s_cbranch_execz .LBB1692_200
; %bb.199:
	flat_store_dword v[12:13], v31 offset:2048
.LBB1692_200:
	s_or_b64 exec, exec, s[0:1]
	v_or_b32_e32 v30, 0x300, v0
	v_cmp_gt_u32_e32 vcc, s33, v30
	s_and_saveexec_b64 s[0:1], vcc
	s_cbranch_execz .LBB1692_202
; %bb.201:
	flat_store_dword v[12:13], v28 offset:3072
.LBB1692_202:
	s_or_b64 exec, exec, s[0:1]
	v_or_b32_e32 v28, 0x400, v0
	v_cmp_gt_u32_e32 vcc, s33, v28
	s_and_saveexec_b64 s[0:1], vcc
	s_cbranch_execz .LBB1692_204
; %bb.203:
	v_add_co_u32_e32 v30, vcc, 0x1000, v12
	v_addc_co_u32_e32 v31, vcc, 0, v13, vcc
	flat_store_dword v[30:31], v29
.LBB1692_204:
	s_or_b64 exec, exec, s[0:1]
	v_or_b32_e32 v28, 0x500, v0
	v_cmp_gt_u32_e32 vcc, s33, v28
	s_and_saveexec_b64 s[0:1], vcc
	s_cbranch_execz .LBB1692_206
; %bb.205:
	v_add_co_u32_e32 v28, vcc, 0x1000, v12
	v_addc_co_u32_e32 v29, vcc, 0, v13, vcc
	flat_store_dword v[28:29], v26 offset:1024
.LBB1692_206:
	s_or_b64 exec, exec, s[0:1]
	v_or_b32_e32 v26, 0x600, v0
	v_cmp_gt_u32_e32 vcc, s33, v26
	s_and_saveexec_b64 s[0:1], vcc
	s_cbranch_execz .LBB1692_208
; %bb.207:
	v_add_co_u32_e32 v28, vcc, 0x1000, v12
	v_addc_co_u32_e32 v29, vcc, 0, v13, vcc
	flat_store_dword v[28:29], v27 offset:2048
.LBB1692_208:
	;; [unrolled: 10-line block ×3, first 2 shown]
	s_or_b64 exec, exec, s[0:1]
	v_or_b32_e32 v16, 0x800, v0
	v_cmp_gt_u32_e32 vcc, s33, v16
	s_and_saveexec_b64 s[0:1], vcc
	s_cbranch_execz .LBB1692_212
; %bb.211:
	v_add_co_u32_e32 v26, vcc, 0x2000, v12
	v_addc_co_u32_e32 v27, vcc, 0, v13, vcc
	flat_store_dword v[26:27], v17
.LBB1692_212:
	s_or_b64 exec, exec, s[0:1]
	v_or_b32_e32 v16, 0x900, v0
	v_cmp_gt_u32_e32 vcc, s33, v16
	s_and_saveexec_b64 s[0:1], vcc
	s_cbranch_execz .LBB1692_214
; %bb.213:
	v_add_co_u32_e32 v16, vcc, 0x2000, v12
	v_addc_co_u32_e32 v17, vcc, 0, v13, vcc
	flat_store_dword v[16:17], v14 offset:1024
.LBB1692_214:
	s_or_b64 exec, exec, s[0:1]
	v_or_b32_e32 v14, 0xa00, v0
	v_cmp_gt_u32_e32 vcc, s33, v14
	s_and_saveexec_b64 s[0:1], vcc
	s_cbranch_execz .LBB1692_216
; %bb.215:
	v_add_co_u32_e32 v16, vcc, 0x2000, v12
	v_addc_co_u32_e32 v17, vcc, 0, v13, vcc
	flat_store_dword v[16:17], v15 offset:2048
.LBB1692_216:
	;; [unrolled: 10-line block ×3, first 2 shown]
	s_or_b64 exec, exec, s[0:1]
	v_or_b32_e32 v8, 0xc00, v0
	v_cmp_gt_u32_e32 vcc, s33, v8
	s_and_saveexec_b64 s[0:1], vcc
	s_cbranch_execz .LBB1692_220
; %bb.219:
	v_add_co_u32_e32 v12, vcc, 0x3000, v12
	v_addc_co_u32_e32 v13, vcc, 0, v13, vcc
	flat_store_dword v[12:13], v9
.LBB1692_220:
	s_or_b64 exec, exec, s[0:1]
	v_or_b32_e32 v8, 0xd00, v0
	v_cmp_gt_u32_e64 s[0:1], s33, v8
	s_branch .LBB1692_223
.LBB1692_221:
	s_mov_b64 s[0:1], 0
                                        ; implicit-def: $vgpr5
	s_cbranch_execz .LBB1692_223
; %bb.222:
	s_movk_i32 s2, 0xffcc
	s_waitcnt lgkmcnt(0)
	s_barrier
	ds_write2_b64 v4, v[2:3], v[18:19] offset1:1
	ds_write2_b64 v4, v[6:7], v[20:21] offset0:2 offset1:3
	ds_write2_b64 v4, v[10:11], v[22:23] offset0:4 offset1:5
	s_waitcnt vmcnt(0)
	ds_write_b64 v4, v[24:25] offset:48
	v_mad_i32_i24 v4, v0, s2, v4
	v_add_co_u32_e32 v16, vcc, v32, v51
	s_waitcnt lgkmcnt(0)
	s_barrier
	ds_read2st64_b32 v[2:3], v4 offset1:4
	ds_read2st64_b32 v[6:7], v4 offset0:8 offset1:12
	ds_read2st64_b32 v[8:9], v4 offset0:16 offset1:20
	;; [unrolled: 1-line block ×6, first 2 shown]
	v_addc_co_u32_e32 v17, vcc, 0, v33, vcc
	s_movk_i32 s2, 0x1000
	s_waitcnt lgkmcnt(6)
	flat_store_dword v[16:17], v2
	flat_store_dword v[16:17], v3 offset:1024
	s_waitcnt lgkmcnt(0)
	flat_store_dword v[16:17], v6 offset:2048
	flat_store_dword v[16:17], v7 offset:3072
	v_add_co_u32_e32 v2, vcc, s2, v16
	v_addc_co_u32_e32 v3, vcc, 0, v17, vcc
	flat_store_dword v[2:3], v8
	flat_store_dword v[2:3], v9 offset:1024
	flat_store_dword v[2:3], v10 offset:2048
	;; [unrolled: 1-line block ×3, first 2 shown]
	v_add_co_u32_e32 v2, vcc, 0x2000, v16
	v_addc_co_u32_e32 v3, vcc, 0, v17, vcc
	flat_store_dword v[2:3], v12
	flat_store_dword v[2:3], v13 offset:1024
	flat_store_dword v[2:3], v14 offset:2048
	;; [unrolled: 1-line block ×3, first 2 shown]
	v_add_co_u32_e32 v2, vcc, 0x3000, v16
	v_mov_b32_e32 v1, 0
	v_addc_co_u32_e32 v3, vcc, 0, v17, vcc
	s_or_b64 s[0:1], s[0:1], exec
	flat_store_dword v[2:3], v4
.LBB1692_223:
	s_and_saveexec_b64 s[2:3], s[0:1]
	s_cbranch_execz .LBB1692_225
; %bb.224:
	v_lshlrev_b64 v[0:1], 2, v[0:1]
	v_add_co_u32_e32 v0, vcc, v32, v0
	v_addc_co_u32_e32 v1, vcc, v33, v1, vcc
	v_add_co_u32_e32 v0, vcc, 0x3000, v0
	v_addc_co_u32_e32 v1, vcc, 0, v1, vcc
	flat_store_dword v[0:1], v5 offset:1024
	s_endpgm
.LBB1692_225:
	s_endpgm
	.section	.rodata,"a",@progbits
	.p2align	6, 0x0
	.amdhsa_kernel _ZN7rocprim17ROCPRIM_400000_NS6detail17trampoline_kernelINS0_14default_configENS1_27scan_by_key_config_selectorIifEEZZNS1_16scan_by_key_implILNS1_25lookback_scan_determinismE0ELb1ES3_N6thrust23THRUST_200600_302600_NS6detail15normal_iteratorINS9_10device_ptrIiEEEENSB_INSC_IjEEEENSB_INSC_IfEEEEfNS9_4plusIvEENS9_8equal_toIvEEfEE10hipError_tPvRmT2_T3_T4_T5_mT6_T7_P12ihipStream_tbENKUlT_T0_E_clISt17integral_constantIbLb1EES13_EEDaSY_SZ_EUlSY_E_NS1_11comp_targetILNS1_3genE4ELNS1_11target_archE910ELNS1_3gpuE8ELNS1_3repE0EEENS1_30default_config_static_selectorELNS0_4arch9wavefront6targetE1EEEvT1_
		.amdhsa_group_segment_fixed_size 16384
		.amdhsa_private_segment_fixed_size 0
		.amdhsa_kernarg_size 112
		.amdhsa_user_sgpr_count 6
		.amdhsa_user_sgpr_private_segment_buffer 1
		.amdhsa_user_sgpr_dispatch_ptr 0
		.amdhsa_user_sgpr_queue_ptr 0
		.amdhsa_user_sgpr_kernarg_segment_ptr 1
		.amdhsa_user_sgpr_dispatch_id 0
		.amdhsa_user_sgpr_flat_scratch_init 0
		.amdhsa_user_sgpr_kernarg_preload_length 0
		.amdhsa_user_sgpr_kernarg_preload_offset 0
		.amdhsa_user_sgpr_private_segment_size 0
		.amdhsa_uses_dynamic_stack 0
		.amdhsa_system_sgpr_private_segment_wavefront_offset 0
		.amdhsa_system_sgpr_workgroup_id_x 1
		.amdhsa_system_sgpr_workgroup_id_y 0
		.amdhsa_system_sgpr_workgroup_id_z 0
		.amdhsa_system_sgpr_workgroup_info 0
		.amdhsa_system_vgpr_workitem_id 0
		.amdhsa_next_free_vgpr 67
		.amdhsa_next_free_sgpr 60
		.amdhsa_accum_offset 68
		.amdhsa_reserve_vcc 1
		.amdhsa_reserve_flat_scratch 0
		.amdhsa_float_round_mode_32 0
		.amdhsa_float_round_mode_16_64 0
		.amdhsa_float_denorm_mode_32 3
		.amdhsa_float_denorm_mode_16_64 3
		.amdhsa_dx10_clamp 1
		.amdhsa_ieee_mode 1
		.amdhsa_fp16_overflow 0
		.amdhsa_tg_split 0
		.amdhsa_exception_fp_ieee_invalid_op 0
		.amdhsa_exception_fp_denorm_src 0
		.amdhsa_exception_fp_ieee_div_zero 0
		.amdhsa_exception_fp_ieee_overflow 0
		.amdhsa_exception_fp_ieee_underflow 0
		.amdhsa_exception_fp_ieee_inexact 0
		.amdhsa_exception_int_div_zero 0
	.end_amdhsa_kernel
	.section	.text._ZN7rocprim17ROCPRIM_400000_NS6detail17trampoline_kernelINS0_14default_configENS1_27scan_by_key_config_selectorIifEEZZNS1_16scan_by_key_implILNS1_25lookback_scan_determinismE0ELb1ES3_N6thrust23THRUST_200600_302600_NS6detail15normal_iteratorINS9_10device_ptrIiEEEENSB_INSC_IjEEEENSB_INSC_IfEEEEfNS9_4plusIvEENS9_8equal_toIvEEfEE10hipError_tPvRmT2_T3_T4_T5_mT6_T7_P12ihipStream_tbENKUlT_T0_E_clISt17integral_constantIbLb1EES13_EEDaSY_SZ_EUlSY_E_NS1_11comp_targetILNS1_3genE4ELNS1_11target_archE910ELNS1_3gpuE8ELNS1_3repE0EEENS1_30default_config_static_selectorELNS0_4arch9wavefront6targetE1EEEvT1_,"axG",@progbits,_ZN7rocprim17ROCPRIM_400000_NS6detail17trampoline_kernelINS0_14default_configENS1_27scan_by_key_config_selectorIifEEZZNS1_16scan_by_key_implILNS1_25lookback_scan_determinismE0ELb1ES3_N6thrust23THRUST_200600_302600_NS6detail15normal_iteratorINS9_10device_ptrIiEEEENSB_INSC_IjEEEENSB_INSC_IfEEEEfNS9_4plusIvEENS9_8equal_toIvEEfEE10hipError_tPvRmT2_T3_T4_T5_mT6_T7_P12ihipStream_tbENKUlT_T0_E_clISt17integral_constantIbLb1EES13_EEDaSY_SZ_EUlSY_E_NS1_11comp_targetILNS1_3genE4ELNS1_11target_archE910ELNS1_3gpuE8ELNS1_3repE0EEENS1_30default_config_static_selectorELNS0_4arch9wavefront6targetE1EEEvT1_,comdat
.Lfunc_end1692:
	.size	_ZN7rocprim17ROCPRIM_400000_NS6detail17trampoline_kernelINS0_14default_configENS1_27scan_by_key_config_selectorIifEEZZNS1_16scan_by_key_implILNS1_25lookback_scan_determinismE0ELb1ES3_N6thrust23THRUST_200600_302600_NS6detail15normal_iteratorINS9_10device_ptrIiEEEENSB_INSC_IjEEEENSB_INSC_IfEEEEfNS9_4plusIvEENS9_8equal_toIvEEfEE10hipError_tPvRmT2_T3_T4_T5_mT6_T7_P12ihipStream_tbENKUlT_T0_E_clISt17integral_constantIbLb1EES13_EEDaSY_SZ_EUlSY_E_NS1_11comp_targetILNS1_3genE4ELNS1_11target_archE910ELNS1_3gpuE8ELNS1_3repE0EEENS1_30default_config_static_selectorELNS0_4arch9wavefront6targetE1EEEvT1_, .Lfunc_end1692-_ZN7rocprim17ROCPRIM_400000_NS6detail17trampoline_kernelINS0_14default_configENS1_27scan_by_key_config_selectorIifEEZZNS1_16scan_by_key_implILNS1_25lookback_scan_determinismE0ELb1ES3_N6thrust23THRUST_200600_302600_NS6detail15normal_iteratorINS9_10device_ptrIiEEEENSB_INSC_IjEEEENSB_INSC_IfEEEEfNS9_4plusIvEENS9_8equal_toIvEEfEE10hipError_tPvRmT2_T3_T4_T5_mT6_T7_P12ihipStream_tbENKUlT_T0_E_clISt17integral_constantIbLb1EES13_EEDaSY_SZ_EUlSY_E_NS1_11comp_targetILNS1_3genE4ELNS1_11target_archE910ELNS1_3gpuE8ELNS1_3repE0EEENS1_30default_config_static_selectorELNS0_4arch9wavefront6targetE1EEEvT1_
                                        ; -- End function
	.section	.AMDGPU.csdata,"",@progbits
; Kernel info:
; codeLenInByte = 10840
; NumSgprs: 64
; NumVgprs: 67
; NumAgprs: 0
; TotalNumVgprs: 67
; ScratchSize: 0
; MemoryBound: 0
; FloatMode: 240
; IeeeMode: 1
; LDSByteSize: 16384 bytes/workgroup (compile time only)
; SGPRBlocks: 7
; VGPRBlocks: 8
; NumSGPRsForWavesPerEU: 64
; NumVGPRsForWavesPerEU: 67
; AccumOffset: 68
; Occupancy: 4
; WaveLimiterHint : 1
; COMPUTE_PGM_RSRC2:SCRATCH_EN: 0
; COMPUTE_PGM_RSRC2:USER_SGPR: 6
; COMPUTE_PGM_RSRC2:TRAP_HANDLER: 0
; COMPUTE_PGM_RSRC2:TGID_X_EN: 1
; COMPUTE_PGM_RSRC2:TGID_Y_EN: 0
; COMPUTE_PGM_RSRC2:TGID_Z_EN: 0
; COMPUTE_PGM_RSRC2:TIDIG_COMP_CNT: 0
; COMPUTE_PGM_RSRC3_GFX90A:ACCUM_OFFSET: 16
; COMPUTE_PGM_RSRC3_GFX90A:TG_SPLIT: 0
	.section	.text._ZN7rocprim17ROCPRIM_400000_NS6detail17trampoline_kernelINS0_14default_configENS1_27scan_by_key_config_selectorIifEEZZNS1_16scan_by_key_implILNS1_25lookback_scan_determinismE0ELb1ES3_N6thrust23THRUST_200600_302600_NS6detail15normal_iteratorINS9_10device_ptrIiEEEENSB_INSC_IjEEEENSB_INSC_IfEEEEfNS9_4plusIvEENS9_8equal_toIvEEfEE10hipError_tPvRmT2_T3_T4_T5_mT6_T7_P12ihipStream_tbENKUlT_T0_E_clISt17integral_constantIbLb1EES13_EEDaSY_SZ_EUlSY_E_NS1_11comp_targetILNS1_3genE3ELNS1_11target_archE908ELNS1_3gpuE7ELNS1_3repE0EEENS1_30default_config_static_selectorELNS0_4arch9wavefront6targetE1EEEvT1_,"axG",@progbits,_ZN7rocprim17ROCPRIM_400000_NS6detail17trampoline_kernelINS0_14default_configENS1_27scan_by_key_config_selectorIifEEZZNS1_16scan_by_key_implILNS1_25lookback_scan_determinismE0ELb1ES3_N6thrust23THRUST_200600_302600_NS6detail15normal_iteratorINS9_10device_ptrIiEEEENSB_INSC_IjEEEENSB_INSC_IfEEEEfNS9_4plusIvEENS9_8equal_toIvEEfEE10hipError_tPvRmT2_T3_T4_T5_mT6_T7_P12ihipStream_tbENKUlT_T0_E_clISt17integral_constantIbLb1EES13_EEDaSY_SZ_EUlSY_E_NS1_11comp_targetILNS1_3genE3ELNS1_11target_archE908ELNS1_3gpuE7ELNS1_3repE0EEENS1_30default_config_static_selectorELNS0_4arch9wavefront6targetE1EEEvT1_,comdat
	.protected	_ZN7rocprim17ROCPRIM_400000_NS6detail17trampoline_kernelINS0_14default_configENS1_27scan_by_key_config_selectorIifEEZZNS1_16scan_by_key_implILNS1_25lookback_scan_determinismE0ELb1ES3_N6thrust23THRUST_200600_302600_NS6detail15normal_iteratorINS9_10device_ptrIiEEEENSB_INSC_IjEEEENSB_INSC_IfEEEEfNS9_4plusIvEENS9_8equal_toIvEEfEE10hipError_tPvRmT2_T3_T4_T5_mT6_T7_P12ihipStream_tbENKUlT_T0_E_clISt17integral_constantIbLb1EES13_EEDaSY_SZ_EUlSY_E_NS1_11comp_targetILNS1_3genE3ELNS1_11target_archE908ELNS1_3gpuE7ELNS1_3repE0EEENS1_30default_config_static_selectorELNS0_4arch9wavefront6targetE1EEEvT1_ ; -- Begin function _ZN7rocprim17ROCPRIM_400000_NS6detail17trampoline_kernelINS0_14default_configENS1_27scan_by_key_config_selectorIifEEZZNS1_16scan_by_key_implILNS1_25lookback_scan_determinismE0ELb1ES3_N6thrust23THRUST_200600_302600_NS6detail15normal_iteratorINS9_10device_ptrIiEEEENSB_INSC_IjEEEENSB_INSC_IfEEEEfNS9_4plusIvEENS9_8equal_toIvEEfEE10hipError_tPvRmT2_T3_T4_T5_mT6_T7_P12ihipStream_tbENKUlT_T0_E_clISt17integral_constantIbLb1EES13_EEDaSY_SZ_EUlSY_E_NS1_11comp_targetILNS1_3genE3ELNS1_11target_archE908ELNS1_3gpuE7ELNS1_3repE0EEENS1_30default_config_static_selectorELNS0_4arch9wavefront6targetE1EEEvT1_
	.globl	_ZN7rocprim17ROCPRIM_400000_NS6detail17trampoline_kernelINS0_14default_configENS1_27scan_by_key_config_selectorIifEEZZNS1_16scan_by_key_implILNS1_25lookback_scan_determinismE0ELb1ES3_N6thrust23THRUST_200600_302600_NS6detail15normal_iteratorINS9_10device_ptrIiEEEENSB_INSC_IjEEEENSB_INSC_IfEEEEfNS9_4plusIvEENS9_8equal_toIvEEfEE10hipError_tPvRmT2_T3_T4_T5_mT6_T7_P12ihipStream_tbENKUlT_T0_E_clISt17integral_constantIbLb1EES13_EEDaSY_SZ_EUlSY_E_NS1_11comp_targetILNS1_3genE3ELNS1_11target_archE908ELNS1_3gpuE7ELNS1_3repE0EEENS1_30default_config_static_selectorELNS0_4arch9wavefront6targetE1EEEvT1_
	.p2align	8
	.type	_ZN7rocprim17ROCPRIM_400000_NS6detail17trampoline_kernelINS0_14default_configENS1_27scan_by_key_config_selectorIifEEZZNS1_16scan_by_key_implILNS1_25lookback_scan_determinismE0ELb1ES3_N6thrust23THRUST_200600_302600_NS6detail15normal_iteratorINS9_10device_ptrIiEEEENSB_INSC_IjEEEENSB_INSC_IfEEEEfNS9_4plusIvEENS9_8equal_toIvEEfEE10hipError_tPvRmT2_T3_T4_T5_mT6_T7_P12ihipStream_tbENKUlT_T0_E_clISt17integral_constantIbLb1EES13_EEDaSY_SZ_EUlSY_E_NS1_11comp_targetILNS1_3genE3ELNS1_11target_archE908ELNS1_3gpuE7ELNS1_3repE0EEENS1_30default_config_static_selectorELNS0_4arch9wavefront6targetE1EEEvT1_,@function
_ZN7rocprim17ROCPRIM_400000_NS6detail17trampoline_kernelINS0_14default_configENS1_27scan_by_key_config_selectorIifEEZZNS1_16scan_by_key_implILNS1_25lookback_scan_determinismE0ELb1ES3_N6thrust23THRUST_200600_302600_NS6detail15normal_iteratorINS9_10device_ptrIiEEEENSB_INSC_IjEEEENSB_INSC_IfEEEEfNS9_4plusIvEENS9_8equal_toIvEEfEE10hipError_tPvRmT2_T3_T4_T5_mT6_T7_P12ihipStream_tbENKUlT_T0_E_clISt17integral_constantIbLb1EES13_EEDaSY_SZ_EUlSY_E_NS1_11comp_targetILNS1_3genE3ELNS1_11target_archE908ELNS1_3gpuE7ELNS1_3repE0EEENS1_30default_config_static_selectorELNS0_4arch9wavefront6targetE1EEEvT1_: ; @_ZN7rocprim17ROCPRIM_400000_NS6detail17trampoline_kernelINS0_14default_configENS1_27scan_by_key_config_selectorIifEEZZNS1_16scan_by_key_implILNS1_25lookback_scan_determinismE0ELb1ES3_N6thrust23THRUST_200600_302600_NS6detail15normal_iteratorINS9_10device_ptrIiEEEENSB_INSC_IjEEEENSB_INSC_IfEEEEfNS9_4plusIvEENS9_8equal_toIvEEfEE10hipError_tPvRmT2_T3_T4_T5_mT6_T7_P12ihipStream_tbENKUlT_T0_E_clISt17integral_constantIbLb1EES13_EEDaSY_SZ_EUlSY_E_NS1_11comp_targetILNS1_3genE3ELNS1_11target_archE908ELNS1_3gpuE7ELNS1_3repE0EEENS1_30default_config_static_selectorELNS0_4arch9wavefront6targetE1EEEvT1_
; %bb.0:
	.section	.rodata,"a",@progbits
	.p2align	6, 0x0
	.amdhsa_kernel _ZN7rocprim17ROCPRIM_400000_NS6detail17trampoline_kernelINS0_14default_configENS1_27scan_by_key_config_selectorIifEEZZNS1_16scan_by_key_implILNS1_25lookback_scan_determinismE0ELb1ES3_N6thrust23THRUST_200600_302600_NS6detail15normal_iteratorINS9_10device_ptrIiEEEENSB_INSC_IjEEEENSB_INSC_IfEEEEfNS9_4plusIvEENS9_8equal_toIvEEfEE10hipError_tPvRmT2_T3_T4_T5_mT6_T7_P12ihipStream_tbENKUlT_T0_E_clISt17integral_constantIbLb1EES13_EEDaSY_SZ_EUlSY_E_NS1_11comp_targetILNS1_3genE3ELNS1_11target_archE908ELNS1_3gpuE7ELNS1_3repE0EEENS1_30default_config_static_selectorELNS0_4arch9wavefront6targetE1EEEvT1_
		.amdhsa_group_segment_fixed_size 0
		.amdhsa_private_segment_fixed_size 0
		.amdhsa_kernarg_size 112
		.amdhsa_user_sgpr_count 6
		.amdhsa_user_sgpr_private_segment_buffer 1
		.amdhsa_user_sgpr_dispatch_ptr 0
		.amdhsa_user_sgpr_queue_ptr 0
		.amdhsa_user_sgpr_kernarg_segment_ptr 1
		.amdhsa_user_sgpr_dispatch_id 0
		.amdhsa_user_sgpr_flat_scratch_init 0
		.amdhsa_user_sgpr_kernarg_preload_length 0
		.amdhsa_user_sgpr_kernarg_preload_offset 0
		.amdhsa_user_sgpr_private_segment_size 0
		.amdhsa_uses_dynamic_stack 0
		.amdhsa_system_sgpr_private_segment_wavefront_offset 0
		.amdhsa_system_sgpr_workgroup_id_x 1
		.amdhsa_system_sgpr_workgroup_id_y 0
		.amdhsa_system_sgpr_workgroup_id_z 0
		.amdhsa_system_sgpr_workgroup_info 0
		.amdhsa_system_vgpr_workitem_id 0
		.amdhsa_next_free_vgpr 1
		.amdhsa_next_free_sgpr 0
		.amdhsa_accum_offset 4
		.amdhsa_reserve_vcc 0
		.amdhsa_reserve_flat_scratch 0
		.amdhsa_float_round_mode_32 0
		.amdhsa_float_round_mode_16_64 0
		.amdhsa_float_denorm_mode_32 3
		.amdhsa_float_denorm_mode_16_64 3
		.amdhsa_dx10_clamp 1
		.amdhsa_ieee_mode 1
		.amdhsa_fp16_overflow 0
		.amdhsa_tg_split 0
		.amdhsa_exception_fp_ieee_invalid_op 0
		.amdhsa_exception_fp_denorm_src 0
		.amdhsa_exception_fp_ieee_div_zero 0
		.amdhsa_exception_fp_ieee_overflow 0
		.amdhsa_exception_fp_ieee_underflow 0
		.amdhsa_exception_fp_ieee_inexact 0
		.amdhsa_exception_int_div_zero 0
	.end_amdhsa_kernel
	.section	.text._ZN7rocprim17ROCPRIM_400000_NS6detail17trampoline_kernelINS0_14default_configENS1_27scan_by_key_config_selectorIifEEZZNS1_16scan_by_key_implILNS1_25lookback_scan_determinismE0ELb1ES3_N6thrust23THRUST_200600_302600_NS6detail15normal_iteratorINS9_10device_ptrIiEEEENSB_INSC_IjEEEENSB_INSC_IfEEEEfNS9_4plusIvEENS9_8equal_toIvEEfEE10hipError_tPvRmT2_T3_T4_T5_mT6_T7_P12ihipStream_tbENKUlT_T0_E_clISt17integral_constantIbLb1EES13_EEDaSY_SZ_EUlSY_E_NS1_11comp_targetILNS1_3genE3ELNS1_11target_archE908ELNS1_3gpuE7ELNS1_3repE0EEENS1_30default_config_static_selectorELNS0_4arch9wavefront6targetE1EEEvT1_,"axG",@progbits,_ZN7rocprim17ROCPRIM_400000_NS6detail17trampoline_kernelINS0_14default_configENS1_27scan_by_key_config_selectorIifEEZZNS1_16scan_by_key_implILNS1_25lookback_scan_determinismE0ELb1ES3_N6thrust23THRUST_200600_302600_NS6detail15normal_iteratorINS9_10device_ptrIiEEEENSB_INSC_IjEEEENSB_INSC_IfEEEEfNS9_4plusIvEENS9_8equal_toIvEEfEE10hipError_tPvRmT2_T3_T4_T5_mT6_T7_P12ihipStream_tbENKUlT_T0_E_clISt17integral_constantIbLb1EES13_EEDaSY_SZ_EUlSY_E_NS1_11comp_targetILNS1_3genE3ELNS1_11target_archE908ELNS1_3gpuE7ELNS1_3repE0EEENS1_30default_config_static_selectorELNS0_4arch9wavefront6targetE1EEEvT1_,comdat
.Lfunc_end1693:
	.size	_ZN7rocprim17ROCPRIM_400000_NS6detail17trampoline_kernelINS0_14default_configENS1_27scan_by_key_config_selectorIifEEZZNS1_16scan_by_key_implILNS1_25lookback_scan_determinismE0ELb1ES3_N6thrust23THRUST_200600_302600_NS6detail15normal_iteratorINS9_10device_ptrIiEEEENSB_INSC_IjEEEENSB_INSC_IfEEEEfNS9_4plusIvEENS9_8equal_toIvEEfEE10hipError_tPvRmT2_T3_T4_T5_mT6_T7_P12ihipStream_tbENKUlT_T0_E_clISt17integral_constantIbLb1EES13_EEDaSY_SZ_EUlSY_E_NS1_11comp_targetILNS1_3genE3ELNS1_11target_archE908ELNS1_3gpuE7ELNS1_3repE0EEENS1_30default_config_static_selectorELNS0_4arch9wavefront6targetE1EEEvT1_, .Lfunc_end1693-_ZN7rocprim17ROCPRIM_400000_NS6detail17trampoline_kernelINS0_14default_configENS1_27scan_by_key_config_selectorIifEEZZNS1_16scan_by_key_implILNS1_25lookback_scan_determinismE0ELb1ES3_N6thrust23THRUST_200600_302600_NS6detail15normal_iteratorINS9_10device_ptrIiEEEENSB_INSC_IjEEEENSB_INSC_IfEEEEfNS9_4plusIvEENS9_8equal_toIvEEfEE10hipError_tPvRmT2_T3_T4_T5_mT6_T7_P12ihipStream_tbENKUlT_T0_E_clISt17integral_constantIbLb1EES13_EEDaSY_SZ_EUlSY_E_NS1_11comp_targetILNS1_3genE3ELNS1_11target_archE908ELNS1_3gpuE7ELNS1_3repE0EEENS1_30default_config_static_selectorELNS0_4arch9wavefront6targetE1EEEvT1_
                                        ; -- End function
	.section	.AMDGPU.csdata,"",@progbits
; Kernel info:
; codeLenInByte = 0
; NumSgprs: 4
; NumVgprs: 0
; NumAgprs: 0
; TotalNumVgprs: 0
; ScratchSize: 0
; MemoryBound: 0
; FloatMode: 240
; IeeeMode: 1
; LDSByteSize: 0 bytes/workgroup (compile time only)
; SGPRBlocks: 0
; VGPRBlocks: 0
; NumSGPRsForWavesPerEU: 4
; NumVGPRsForWavesPerEU: 1
; AccumOffset: 4
; Occupancy: 8
; WaveLimiterHint : 0
; COMPUTE_PGM_RSRC2:SCRATCH_EN: 0
; COMPUTE_PGM_RSRC2:USER_SGPR: 6
; COMPUTE_PGM_RSRC2:TRAP_HANDLER: 0
; COMPUTE_PGM_RSRC2:TGID_X_EN: 1
; COMPUTE_PGM_RSRC2:TGID_Y_EN: 0
; COMPUTE_PGM_RSRC2:TGID_Z_EN: 0
; COMPUTE_PGM_RSRC2:TIDIG_COMP_CNT: 0
; COMPUTE_PGM_RSRC3_GFX90A:ACCUM_OFFSET: 0
; COMPUTE_PGM_RSRC3_GFX90A:TG_SPLIT: 0
	.section	.text._ZN7rocprim17ROCPRIM_400000_NS6detail17trampoline_kernelINS0_14default_configENS1_27scan_by_key_config_selectorIifEEZZNS1_16scan_by_key_implILNS1_25lookback_scan_determinismE0ELb1ES3_N6thrust23THRUST_200600_302600_NS6detail15normal_iteratorINS9_10device_ptrIiEEEENSB_INSC_IjEEEENSB_INSC_IfEEEEfNS9_4plusIvEENS9_8equal_toIvEEfEE10hipError_tPvRmT2_T3_T4_T5_mT6_T7_P12ihipStream_tbENKUlT_T0_E_clISt17integral_constantIbLb1EES13_EEDaSY_SZ_EUlSY_E_NS1_11comp_targetILNS1_3genE2ELNS1_11target_archE906ELNS1_3gpuE6ELNS1_3repE0EEENS1_30default_config_static_selectorELNS0_4arch9wavefront6targetE1EEEvT1_,"axG",@progbits,_ZN7rocprim17ROCPRIM_400000_NS6detail17trampoline_kernelINS0_14default_configENS1_27scan_by_key_config_selectorIifEEZZNS1_16scan_by_key_implILNS1_25lookback_scan_determinismE0ELb1ES3_N6thrust23THRUST_200600_302600_NS6detail15normal_iteratorINS9_10device_ptrIiEEEENSB_INSC_IjEEEENSB_INSC_IfEEEEfNS9_4plusIvEENS9_8equal_toIvEEfEE10hipError_tPvRmT2_T3_T4_T5_mT6_T7_P12ihipStream_tbENKUlT_T0_E_clISt17integral_constantIbLb1EES13_EEDaSY_SZ_EUlSY_E_NS1_11comp_targetILNS1_3genE2ELNS1_11target_archE906ELNS1_3gpuE6ELNS1_3repE0EEENS1_30default_config_static_selectorELNS0_4arch9wavefront6targetE1EEEvT1_,comdat
	.protected	_ZN7rocprim17ROCPRIM_400000_NS6detail17trampoline_kernelINS0_14default_configENS1_27scan_by_key_config_selectorIifEEZZNS1_16scan_by_key_implILNS1_25lookback_scan_determinismE0ELb1ES3_N6thrust23THRUST_200600_302600_NS6detail15normal_iteratorINS9_10device_ptrIiEEEENSB_INSC_IjEEEENSB_INSC_IfEEEEfNS9_4plusIvEENS9_8equal_toIvEEfEE10hipError_tPvRmT2_T3_T4_T5_mT6_T7_P12ihipStream_tbENKUlT_T0_E_clISt17integral_constantIbLb1EES13_EEDaSY_SZ_EUlSY_E_NS1_11comp_targetILNS1_3genE2ELNS1_11target_archE906ELNS1_3gpuE6ELNS1_3repE0EEENS1_30default_config_static_selectorELNS0_4arch9wavefront6targetE1EEEvT1_ ; -- Begin function _ZN7rocprim17ROCPRIM_400000_NS6detail17trampoline_kernelINS0_14default_configENS1_27scan_by_key_config_selectorIifEEZZNS1_16scan_by_key_implILNS1_25lookback_scan_determinismE0ELb1ES3_N6thrust23THRUST_200600_302600_NS6detail15normal_iteratorINS9_10device_ptrIiEEEENSB_INSC_IjEEEENSB_INSC_IfEEEEfNS9_4plusIvEENS9_8equal_toIvEEfEE10hipError_tPvRmT2_T3_T4_T5_mT6_T7_P12ihipStream_tbENKUlT_T0_E_clISt17integral_constantIbLb1EES13_EEDaSY_SZ_EUlSY_E_NS1_11comp_targetILNS1_3genE2ELNS1_11target_archE906ELNS1_3gpuE6ELNS1_3repE0EEENS1_30default_config_static_selectorELNS0_4arch9wavefront6targetE1EEEvT1_
	.globl	_ZN7rocprim17ROCPRIM_400000_NS6detail17trampoline_kernelINS0_14default_configENS1_27scan_by_key_config_selectorIifEEZZNS1_16scan_by_key_implILNS1_25lookback_scan_determinismE0ELb1ES3_N6thrust23THRUST_200600_302600_NS6detail15normal_iteratorINS9_10device_ptrIiEEEENSB_INSC_IjEEEENSB_INSC_IfEEEEfNS9_4plusIvEENS9_8equal_toIvEEfEE10hipError_tPvRmT2_T3_T4_T5_mT6_T7_P12ihipStream_tbENKUlT_T0_E_clISt17integral_constantIbLb1EES13_EEDaSY_SZ_EUlSY_E_NS1_11comp_targetILNS1_3genE2ELNS1_11target_archE906ELNS1_3gpuE6ELNS1_3repE0EEENS1_30default_config_static_selectorELNS0_4arch9wavefront6targetE1EEEvT1_
	.p2align	8
	.type	_ZN7rocprim17ROCPRIM_400000_NS6detail17trampoline_kernelINS0_14default_configENS1_27scan_by_key_config_selectorIifEEZZNS1_16scan_by_key_implILNS1_25lookback_scan_determinismE0ELb1ES3_N6thrust23THRUST_200600_302600_NS6detail15normal_iteratorINS9_10device_ptrIiEEEENSB_INSC_IjEEEENSB_INSC_IfEEEEfNS9_4plusIvEENS9_8equal_toIvEEfEE10hipError_tPvRmT2_T3_T4_T5_mT6_T7_P12ihipStream_tbENKUlT_T0_E_clISt17integral_constantIbLb1EES13_EEDaSY_SZ_EUlSY_E_NS1_11comp_targetILNS1_3genE2ELNS1_11target_archE906ELNS1_3gpuE6ELNS1_3repE0EEENS1_30default_config_static_selectorELNS0_4arch9wavefront6targetE1EEEvT1_,@function
_ZN7rocprim17ROCPRIM_400000_NS6detail17trampoline_kernelINS0_14default_configENS1_27scan_by_key_config_selectorIifEEZZNS1_16scan_by_key_implILNS1_25lookback_scan_determinismE0ELb1ES3_N6thrust23THRUST_200600_302600_NS6detail15normal_iteratorINS9_10device_ptrIiEEEENSB_INSC_IjEEEENSB_INSC_IfEEEEfNS9_4plusIvEENS9_8equal_toIvEEfEE10hipError_tPvRmT2_T3_T4_T5_mT6_T7_P12ihipStream_tbENKUlT_T0_E_clISt17integral_constantIbLb1EES13_EEDaSY_SZ_EUlSY_E_NS1_11comp_targetILNS1_3genE2ELNS1_11target_archE906ELNS1_3gpuE6ELNS1_3repE0EEENS1_30default_config_static_selectorELNS0_4arch9wavefront6targetE1EEEvT1_: ; @_ZN7rocprim17ROCPRIM_400000_NS6detail17trampoline_kernelINS0_14default_configENS1_27scan_by_key_config_selectorIifEEZZNS1_16scan_by_key_implILNS1_25lookback_scan_determinismE0ELb1ES3_N6thrust23THRUST_200600_302600_NS6detail15normal_iteratorINS9_10device_ptrIiEEEENSB_INSC_IjEEEENSB_INSC_IfEEEEfNS9_4plusIvEENS9_8equal_toIvEEfEE10hipError_tPvRmT2_T3_T4_T5_mT6_T7_P12ihipStream_tbENKUlT_T0_E_clISt17integral_constantIbLb1EES13_EEDaSY_SZ_EUlSY_E_NS1_11comp_targetILNS1_3genE2ELNS1_11target_archE906ELNS1_3gpuE6ELNS1_3repE0EEENS1_30default_config_static_selectorELNS0_4arch9wavefront6targetE1EEEvT1_
; %bb.0:
	.section	.rodata,"a",@progbits
	.p2align	6, 0x0
	.amdhsa_kernel _ZN7rocprim17ROCPRIM_400000_NS6detail17trampoline_kernelINS0_14default_configENS1_27scan_by_key_config_selectorIifEEZZNS1_16scan_by_key_implILNS1_25lookback_scan_determinismE0ELb1ES3_N6thrust23THRUST_200600_302600_NS6detail15normal_iteratorINS9_10device_ptrIiEEEENSB_INSC_IjEEEENSB_INSC_IfEEEEfNS9_4plusIvEENS9_8equal_toIvEEfEE10hipError_tPvRmT2_T3_T4_T5_mT6_T7_P12ihipStream_tbENKUlT_T0_E_clISt17integral_constantIbLb1EES13_EEDaSY_SZ_EUlSY_E_NS1_11comp_targetILNS1_3genE2ELNS1_11target_archE906ELNS1_3gpuE6ELNS1_3repE0EEENS1_30default_config_static_selectorELNS0_4arch9wavefront6targetE1EEEvT1_
		.amdhsa_group_segment_fixed_size 0
		.amdhsa_private_segment_fixed_size 0
		.amdhsa_kernarg_size 112
		.amdhsa_user_sgpr_count 6
		.amdhsa_user_sgpr_private_segment_buffer 1
		.amdhsa_user_sgpr_dispatch_ptr 0
		.amdhsa_user_sgpr_queue_ptr 0
		.amdhsa_user_sgpr_kernarg_segment_ptr 1
		.amdhsa_user_sgpr_dispatch_id 0
		.amdhsa_user_sgpr_flat_scratch_init 0
		.amdhsa_user_sgpr_kernarg_preload_length 0
		.amdhsa_user_sgpr_kernarg_preload_offset 0
		.amdhsa_user_sgpr_private_segment_size 0
		.amdhsa_uses_dynamic_stack 0
		.amdhsa_system_sgpr_private_segment_wavefront_offset 0
		.amdhsa_system_sgpr_workgroup_id_x 1
		.amdhsa_system_sgpr_workgroup_id_y 0
		.amdhsa_system_sgpr_workgroup_id_z 0
		.amdhsa_system_sgpr_workgroup_info 0
		.amdhsa_system_vgpr_workitem_id 0
		.amdhsa_next_free_vgpr 1
		.amdhsa_next_free_sgpr 0
		.amdhsa_accum_offset 4
		.amdhsa_reserve_vcc 0
		.amdhsa_reserve_flat_scratch 0
		.amdhsa_float_round_mode_32 0
		.amdhsa_float_round_mode_16_64 0
		.amdhsa_float_denorm_mode_32 3
		.amdhsa_float_denorm_mode_16_64 3
		.amdhsa_dx10_clamp 1
		.amdhsa_ieee_mode 1
		.amdhsa_fp16_overflow 0
		.amdhsa_tg_split 0
		.amdhsa_exception_fp_ieee_invalid_op 0
		.amdhsa_exception_fp_denorm_src 0
		.amdhsa_exception_fp_ieee_div_zero 0
		.amdhsa_exception_fp_ieee_overflow 0
		.amdhsa_exception_fp_ieee_underflow 0
		.amdhsa_exception_fp_ieee_inexact 0
		.amdhsa_exception_int_div_zero 0
	.end_amdhsa_kernel
	.section	.text._ZN7rocprim17ROCPRIM_400000_NS6detail17trampoline_kernelINS0_14default_configENS1_27scan_by_key_config_selectorIifEEZZNS1_16scan_by_key_implILNS1_25lookback_scan_determinismE0ELb1ES3_N6thrust23THRUST_200600_302600_NS6detail15normal_iteratorINS9_10device_ptrIiEEEENSB_INSC_IjEEEENSB_INSC_IfEEEEfNS9_4plusIvEENS9_8equal_toIvEEfEE10hipError_tPvRmT2_T3_T4_T5_mT6_T7_P12ihipStream_tbENKUlT_T0_E_clISt17integral_constantIbLb1EES13_EEDaSY_SZ_EUlSY_E_NS1_11comp_targetILNS1_3genE2ELNS1_11target_archE906ELNS1_3gpuE6ELNS1_3repE0EEENS1_30default_config_static_selectorELNS0_4arch9wavefront6targetE1EEEvT1_,"axG",@progbits,_ZN7rocprim17ROCPRIM_400000_NS6detail17trampoline_kernelINS0_14default_configENS1_27scan_by_key_config_selectorIifEEZZNS1_16scan_by_key_implILNS1_25lookback_scan_determinismE0ELb1ES3_N6thrust23THRUST_200600_302600_NS6detail15normal_iteratorINS9_10device_ptrIiEEEENSB_INSC_IjEEEENSB_INSC_IfEEEEfNS9_4plusIvEENS9_8equal_toIvEEfEE10hipError_tPvRmT2_T3_T4_T5_mT6_T7_P12ihipStream_tbENKUlT_T0_E_clISt17integral_constantIbLb1EES13_EEDaSY_SZ_EUlSY_E_NS1_11comp_targetILNS1_3genE2ELNS1_11target_archE906ELNS1_3gpuE6ELNS1_3repE0EEENS1_30default_config_static_selectorELNS0_4arch9wavefront6targetE1EEEvT1_,comdat
.Lfunc_end1694:
	.size	_ZN7rocprim17ROCPRIM_400000_NS6detail17trampoline_kernelINS0_14default_configENS1_27scan_by_key_config_selectorIifEEZZNS1_16scan_by_key_implILNS1_25lookback_scan_determinismE0ELb1ES3_N6thrust23THRUST_200600_302600_NS6detail15normal_iteratorINS9_10device_ptrIiEEEENSB_INSC_IjEEEENSB_INSC_IfEEEEfNS9_4plusIvEENS9_8equal_toIvEEfEE10hipError_tPvRmT2_T3_T4_T5_mT6_T7_P12ihipStream_tbENKUlT_T0_E_clISt17integral_constantIbLb1EES13_EEDaSY_SZ_EUlSY_E_NS1_11comp_targetILNS1_3genE2ELNS1_11target_archE906ELNS1_3gpuE6ELNS1_3repE0EEENS1_30default_config_static_selectorELNS0_4arch9wavefront6targetE1EEEvT1_, .Lfunc_end1694-_ZN7rocprim17ROCPRIM_400000_NS6detail17trampoline_kernelINS0_14default_configENS1_27scan_by_key_config_selectorIifEEZZNS1_16scan_by_key_implILNS1_25lookback_scan_determinismE0ELb1ES3_N6thrust23THRUST_200600_302600_NS6detail15normal_iteratorINS9_10device_ptrIiEEEENSB_INSC_IjEEEENSB_INSC_IfEEEEfNS9_4plusIvEENS9_8equal_toIvEEfEE10hipError_tPvRmT2_T3_T4_T5_mT6_T7_P12ihipStream_tbENKUlT_T0_E_clISt17integral_constantIbLb1EES13_EEDaSY_SZ_EUlSY_E_NS1_11comp_targetILNS1_3genE2ELNS1_11target_archE906ELNS1_3gpuE6ELNS1_3repE0EEENS1_30default_config_static_selectorELNS0_4arch9wavefront6targetE1EEEvT1_
                                        ; -- End function
	.section	.AMDGPU.csdata,"",@progbits
; Kernel info:
; codeLenInByte = 0
; NumSgprs: 4
; NumVgprs: 0
; NumAgprs: 0
; TotalNumVgprs: 0
; ScratchSize: 0
; MemoryBound: 0
; FloatMode: 240
; IeeeMode: 1
; LDSByteSize: 0 bytes/workgroup (compile time only)
; SGPRBlocks: 0
; VGPRBlocks: 0
; NumSGPRsForWavesPerEU: 4
; NumVGPRsForWavesPerEU: 1
; AccumOffset: 4
; Occupancy: 8
; WaveLimiterHint : 0
; COMPUTE_PGM_RSRC2:SCRATCH_EN: 0
; COMPUTE_PGM_RSRC2:USER_SGPR: 6
; COMPUTE_PGM_RSRC2:TRAP_HANDLER: 0
; COMPUTE_PGM_RSRC2:TGID_X_EN: 1
; COMPUTE_PGM_RSRC2:TGID_Y_EN: 0
; COMPUTE_PGM_RSRC2:TGID_Z_EN: 0
; COMPUTE_PGM_RSRC2:TIDIG_COMP_CNT: 0
; COMPUTE_PGM_RSRC3_GFX90A:ACCUM_OFFSET: 0
; COMPUTE_PGM_RSRC3_GFX90A:TG_SPLIT: 0
	.section	.text._ZN7rocprim17ROCPRIM_400000_NS6detail17trampoline_kernelINS0_14default_configENS1_27scan_by_key_config_selectorIifEEZZNS1_16scan_by_key_implILNS1_25lookback_scan_determinismE0ELb1ES3_N6thrust23THRUST_200600_302600_NS6detail15normal_iteratorINS9_10device_ptrIiEEEENSB_INSC_IjEEEENSB_INSC_IfEEEEfNS9_4plusIvEENS9_8equal_toIvEEfEE10hipError_tPvRmT2_T3_T4_T5_mT6_T7_P12ihipStream_tbENKUlT_T0_E_clISt17integral_constantIbLb1EES13_EEDaSY_SZ_EUlSY_E_NS1_11comp_targetILNS1_3genE10ELNS1_11target_archE1200ELNS1_3gpuE4ELNS1_3repE0EEENS1_30default_config_static_selectorELNS0_4arch9wavefront6targetE1EEEvT1_,"axG",@progbits,_ZN7rocprim17ROCPRIM_400000_NS6detail17trampoline_kernelINS0_14default_configENS1_27scan_by_key_config_selectorIifEEZZNS1_16scan_by_key_implILNS1_25lookback_scan_determinismE0ELb1ES3_N6thrust23THRUST_200600_302600_NS6detail15normal_iteratorINS9_10device_ptrIiEEEENSB_INSC_IjEEEENSB_INSC_IfEEEEfNS9_4plusIvEENS9_8equal_toIvEEfEE10hipError_tPvRmT2_T3_T4_T5_mT6_T7_P12ihipStream_tbENKUlT_T0_E_clISt17integral_constantIbLb1EES13_EEDaSY_SZ_EUlSY_E_NS1_11comp_targetILNS1_3genE10ELNS1_11target_archE1200ELNS1_3gpuE4ELNS1_3repE0EEENS1_30default_config_static_selectorELNS0_4arch9wavefront6targetE1EEEvT1_,comdat
	.protected	_ZN7rocprim17ROCPRIM_400000_NS6detail17trampoline_kernelINS0_14default_configENS1_27scan_by_key_config_selectorIifEEZZNS1_16scan_by_key_implILNS1_25lookback_scan_determinismE0ELb1ES3_N6thrust23THRUST_200600_302600_NS6detail15normal_iteratorINS9_10device_ptrIiEEEENSB_INSC_IjEEEENSB_INSC_IfEEEEfNS9_4plusIvEENS9_8equal_toIvEEfEE10hipError_tPvRmT2_T3_T4_T5_mT6_T7_P12ihipStream_tbENKUlT_T0_E_clISt17integral_constantIbLb1EES13_EEDaSY_SZ_EUlSY_E_NS1_11comp_targetILNS1_3genE10ELNS1_11target_archE1200ELNS1_3gpuE4ELNS1_3repE0EEENS1_30default_config_static_selectorELNS0_4arch9wavefront6targetE1EEEvT1_ ; -- Begin function _ZN7rocprim17ROCPRIM_400000_NS6detail17trampoline_kernelINS0_14default_configENS1_27scan_by_key_config_selectorIifEEZZNS1_16scan_by_key_implILNS1_25lookback_scan_determinismE0ELb1ES3_N6thrust23THRUST_200600_302600_NS6detail15normal_iteratorINS9_10device_ptrIiEEEENSB_INSC_IjEEEENSB_INSC_IfEEEEfNS9_4plusIvEENS9_8equal_toIvEEfEE10hipError_tPvRmT2_T3_T4_T5_mT6_T7_P12ihipStream_tbENKUlT_T0_E_clISt17integral_constantIbLb1EES13_EEDaSY_SZ_EUlSY_E_NS1_11comp_targetILNS1_3genE10ELNS1_11target_archE1200ELNS1_3gpuE4ELNS1_3repE0EEENS1_30default_config_static_selectorELNS0_4arch9wavefront6targetE1EEEvT1_
	.globl	_ZN7rocprim17ROCPRIM_400000_NS6detail17trampoline_kernelINS0_14default_configENS1_27scan_by_key_config_selectorIifEEZZNS1_16scan_by_key_implILNS1_25lookback_scan_determinismE0ELb1ES3_N6thrust23THRUST_200600_302600_NS6detail15normal_iteratorINS9_10device_ptrIiEEEENSB_INSC_IjEEEENSB_INSC_IfEEEEfNS9_4plusIvEENS9_8equal_toIvEEfEE10hipError_tPvRmT2_T3_T4_T5_mT6_T7_P12ihipStream_tbENKUlT_T0_E_clISt17integral_constantIbLb1EES13_EEDaSY_SZ_EUlSY_E_NS1_11comp_targetILNS1_3genE10ELNS1_11target_archE1200ELNS1_3gpuE4ELNS1_3repE0EEENS1_30default_config_static_selectorELNS0_4arch9wavefront6targetE1EEEvT1_
	.p2align	8
	.type	_ZN7rocprim17ROCPRIM_400000_NS6detail17trampoline_kernelINS0_14default_configENS1_27scan_by_key_config_selectorIifEEZZNS1_16scan_by_key_implILNS1_25lookback_scan_determinismE0ELb1ES3_N6thrust23THRUST_200600_302600_NS6detail15normal_iteratorINS9_10device_ptrIiEEEENSB_INSC_IjEEEENSB_INSC_IfEEEEfNS9_4plusIvEENS9_8equal_toIvEEfEE10hipError_tPvRmT2_T3_T4_T5_mT6_T7_P12ihipStream_tbENKUlT_T0_E_clISt17integral_constantIbLb1EES13_EEDaSY_SZ_EUlSY_E_NS1_11comp_targetILNS1_3genE10ELNS1_11target_archE1200ELNS1_3gpuE4ELNS1_3repE0EEENS1_30default_config_static_selectorELNS0_4arch9wavefront6targetE1EEEvT1_,@function
_ZN7rocprim17ROCPRIM_400000_NS6detail17trampoline_kernelINS0_14default_configENS1_27scan_by_key_config_selectorIifEEZZNS1_16scan_by_key_implILNS1_25lookback_scan_determinismE0ELb1ES3_N6thrust23THRUST_200600_302600_NS6detail15normal_iteratorINS9_10device_ptrIiEEEENSB_INSC_IjEEEENSB_INSC_IfEEEEfNS9_4plusIvEENS9_8equal_toIvEEfEE10hipError_tPvRmT2_T3_T4_T5_mT6_T7_P12ihipStream_tbENKUlT_T0_E_clISt17integral_constantIbLb1EES13_EEDaSY_SZ_EUlSY_E_NS1_11comp_targetILNS1_3genE10ELNS1_11target_archE1200ELNS1_3gpuE4ELNS1_3repE0EEENS1_30default_config_static_selectorELNS0_4arch9wavefront6targetE1EEEvT1_: ; @_ZN7rocprim17ROCPRIM_400000_NS6detail17trampoline_kernelINS0_14default_configENS1_27scan_by_key_config_selectorIifEEZZNS1_16scan_by_key_implILNS1_25lookback_scan_determinismE0ELb1ES3_N6thrust23THRUST_200600_302600_NS6detail15normal_iteratorINS9_10device_ptrIiEEEENSB_INSC_IjEEEENSB_INSC_IfEEEEfNS9_4plusIvEENS9_8equal_toIvEEfEE10hipError_tPvRmT2_T3_T4_T5_mT6_T7_P12ihipStream_tbENKUlT_T0_E_clISt17integral_constantIbLb1EES13_EEDaSY_SZ_EUlSY_E_NS1_11comp_targetILNS1_3genE10ELNS1_11target_archE1200ELNS1_3gpuE4ELNS1_3repE0EEENS1_30default_config_static_selectorELNS0_4arch9wavefront6targetE1EEEvT1_
; %bb.0:
	.section	.rodata,"a",@progbits
	.p2align	6, 0x0
	.amdhsa_kernel _ZN7rocprim17ROCPRIM_400000_NS6detail17trampoline_kernelINS0_14default_configENS1_27scan_by_key_config_selectorIifEEZZNS1_16scan_by_key_implILNS1_25lookback_scan_determinismE0ELb1ES3_N6thrust23THRUST_200600_302600_NS6detail15normal_iteratorINS9_10device_ptrIiEEEENSB_INSC_IjEEEENSB_INSC_IfEEEEfNS9_4plusIvEENS9_8equal_toIvEEfEE10hipError_tPvRmT2_T3_T4_T5_mT6_T7_P12ihipStream_tbENKUlT_T0_E_clISt17integral_constantIbLb1EES13_EEDaSY_SZ_EUlSY_E_NS1_11comp_targetILNS1_3genE10ELNS1_11target_archE1200ELNS1_3gpuE4ELNS1_3repE0EEENS1_30default_config_static_selectorELNS0_4arch9wavefront6targetE1EEEvT1_
		.amdhsa_group_segment_fixed_size 0
		.amdhsa_private_segment_fixed_size 0
		.amdhsa_kernarg_size 112
		.amdhsa_user_sgpr_count 6
		.amdhsa_user_sgpr_private_segment_buffer 1
		.amdhsa_user_sgpr_dispatch_ptr 0
		.amdhsa_user_sgpr_queue_ptr 0
		.amdhsa_user_sgpr_kernarg_segment_ptr 1
		.amdhsa_user_sgpr_dispatch_id 0
		.amdhsa_user_sgpr_flat_scratch_init 0
		.amdhsa_user_sgpr_kernarg_preload_length 0
		.amdhsa_user_sgpr_kernarg_preload_offset 0
		.amdhsa_user_sgpr_private_segment_size 0
		.amdhsa_uses_dynamic_stack 0
		.amdhsa_system_sgpr_private_segment_wavefront_offset 0
		.amdhsa_system_sgpr_workgroup_id_x 1
		.amdhsa_system_sgpr_workgroup_id_y 0
		.amdhsa_system_sgpr_workgroup_id_z 0
		.amdhsa_system_sgpr_workgroup_info 0
		.amdhsa_system_vgpr_workitem_id 0
		.amdhsa_next_free_vgpr 1
		.amdhsa_next_free_sgpr 0
		.amdhsa_accum_offset 4
		.amdhsa_reserve_vcc 0
		.amdhsa_reserve_flat_scratch 0
		.amdhsa_float_round_mode_32 0
		.amdhsa_float_round_mode_16_64 0
		.amdhsa_float_denorm_mode_32 3
		.amdhsa_float_denorm_mode_16_64 3
		.amdhsa_dx10_clamp 1
		.amdhsa_ieee_mode 1
		.amdhsa_fp16_overflow 0
		.amdhsa_tg_split 0
		.amdhsa_exception_fp_ieee_invalid_op 0
		.amdhsa_exception_fp_denorm_src 0
		.amdhsa_exception_fp_ieee_div_zero 0
		.amdhsa_exception_fp_ieee_overflow 0
		.amdhsa_exception_fp_ieee_underflow 0
		.amdhsa_exception_fp_ieee_inexact 0
		.amdhsa_exception_int_div_zero 0
	.end_amdhsa_kernel
	.section	.text._ZN7rocprim17ROCPRIM_400000_NS6detail17trampoline_kernelINS0_14default_configENS1_27scan_by_key_config_selectorIifEEZZNS1_16scan_by_key_implILNS1_25lookback_scan_determinismE0ELb1ES3_N6thrust23THRUST_200600_302600_NS6detail15normal_iteratorINS9_10device_ptrIiEEEENSB_INSC_IjEEEENSB_INSC_IfEEEEfNS9_4plusIvEENS9_8equal_toIvEEfEE10hipError_tPvRmT2_T3_T4_T5_mT6_T7_P12ihipStream_tbENKUlT_T0_E_clISt17integral_constantIbLb1EES13_EEDaSY_SZ_EUlSY_E_NS1_11comp_targetILNS1_3genE10ELNS1_11target_archE1200ELNS1_3gpuE4ELNS1_3repE0EEENS1_30default_config_static_selectorELNS0_4arch9wavefront6targetE1EEEvT1_,"axG",@progbits,_ZN7rocprim17ROCPRIM_400000_NS6detail17trampoline_kernelINS0_14default_configENS1_27scan_by_key_config_selectorIifEEZZNS1_16scan_by_key_implILNS1_25lookback_scan_determinismE0ELb1ES3_N6thrust23THRUST_200600_302600_NS6detail15normal_iteratorINS9_10device_ptrIiEEEENSB_INSC_IjEEEENSB_INSC_IfEEEEfNS9_4plusIvEENS9_8equal_toIvEEfEE10hipError_tPvRmT2_T3_T4_T5_mT6_T7_P12ihipStream_tbENKUlT_T0_E_clISt17integral_constantIbLb1EES13_EEDaSY_SZ_EUlSY_E_NS1_11comp_targetILNS1_3genE10ELNS1_11target_archE1200ELNS1_3gpuE4ELNS1_3repE0EEENS1_30default_config_static_selectorELNS0_4arch9wavefront6targetE1EEEvT1_,comdat
.Lfunc_end1695:
	.size	_ZN7rocprim17ROCPRIM_400000_NS6detail17trampoline_kernelINS0_14default_configENS1_27scan_by_key_config_selectorIifEEZZNS1_16scan_by_key_implILNS1_25lookback_scan_determinismE0ELb1ES3_N6thrust23THRUST_200600_302600_NS6detail15normal_iteratorINS9_10device_ptrIiEEEENSB_INSC_IjEEEENSB_INSC_IfEEEEfNS9_4plusIvEENS9_8equal_toIvEEfEE10hipError_tPvRmT2_T3_T4_T5_mT6_T7_P12ihipStream_tbENKUlT_T0_E_clISt17integral_constantIbLb1EES13_EEDaSY_SZ_EUlSY_E_NS1_11comp_targetILNS1_3genE10ELNS1_11target_archE1200ELNS1_3gpuE4ELNS1_3repE0EEENS1_30default_config_static_selectorELNS0_4arch9wavefront6targetE1EEEvT1_, .Lfunc_end1695-_ZN7rocprim17ROCPRIM_400000_NS6detail17trampoline_kernelINS0_14default_configENS1_27scan_by_key_config_selectorIifEEZZNS1_16scan_by_key_implILNS1_25lookback_scan_determinismE0ELb1ES3_N6thrust23THRUST_200600_302600_NS6detail15normal_iteratorINS9_10device_ptrIiEEEENSB_INSC_IjEEEENSB_INSC_IfEEEEfNS9_4plusIvEENS9_8equal_toIvEEfEE10hipError_tPvRmT2_T3_T4_T5_mT6_T7_P12ihipStream_tbENKUlT_T0_E_clISt17integral_constantIbLb1EES13_EEDaSY_SZ_EUlSY_E_NS1_11comp_targetILNS1_3genE10ELNS1_11target_archE1200ELNS1_3gpuE4ELNS1_3repE0EEENS1_30default_config_static_selectorELNS0_4arch9wavefront6targetE1EEEvT1_
                                        ; -- End function
	.section	.AMDGPU.csdata,"",@progbits
; Kernel info:
; codeLenInByte = 0
; NumSgprs: 4
; NumVgprs: 0
; NumAgprs: 0
; TotalNumVgprs: 0
; ScratchSize: 0
; MemoryBound: 0
; FloatMode: 240
; IeeeMode: 1
; LDSByteSize: 0 bytes/workgroup (compile time only)
; SGPRBlocks: 0
; VGPRBlocks: 0
; NumSGPRsForWavesPerEU: 4
; NumVGPRsForWavesPerEU: 1
; AccumOffset: 4
; Occupancy: 8
; WaveLimiterHint : 0
; COMPUTE_PGM_RSRC2:SCRATCH_EN: 0
; COMPUTE_PGM_RSRC2:USER_SGPR: 6
; COMPUTE_PGM_RSRC2:TRAP_HANDLER: 0
; COMPUTE_PGM_RSRC2:TGID_X_EN: 1
; COMPUTE_PGM_RSRC2:TGID_Y_EN: 0
; COMPUTE_PGM_RSRC2:TGID_Z_EN: 0
; COMPUTE_PGM_RSRC2:TIDIG_COMP_CNT: 0
; COMPUTE_PGM_RSRC3_GFX90A:ACCUM_OFFSET: 0
; COMPUTE_PGM_RSRC3_GFX90A:TG_SPLIT: 0
	.section	.text._ZN7rocprim17ROCPRIM_400000_NS6detail17trampoline_kernelINS0_14default_configENS1_27scan_by_key_config_selectorIifEEZZNS1_16scan_by_key_implILNS1_25lookback_scan_determinismE0ELb1ES3_N6thrust23THRUST_200600_302600_NS6detail15normal_iteratorINS9_10device_ptrIiEEEENSB_INSC_IjEEEENSB_INSC_IfEEEEfNS9_4plusIvEENS9_8equal_toIvEEfEE10hipError_tPvRmT2_T3_T4_T5_mT6_T7_P12ihipStream_tbENKUlT_T0_E_clISt17integral_constantIbLb1EES13_EEDaSY_SZ_EUlSY_E_NS1_11comp_targetILNS1_3genE9ELNS1_11target_archE1100ELNS1_3gpuE3ELNS1_3repE0EEENS1_30default_config_static_selectorELNS0_4arch9wavefront6targetE1EEEvT1_,"axG",@progbits,_ZN7rocprim17ROCPRIM_400000_NS6detail17trampoline_kernelINS0_14default_configENS1_27scan_by_key_config_selectorIifEEZZNS1_16scan_by_key_implILNS1_25lookback_scan_determinismE0ELb1ES3_N6thrust23THRUST_200600_302600_NS6detail15normal_iteratorINS9_10device_ptrIiEEEENSB_INSC_IjEEEENSB_INSC_IfEEEEfNS9_4plusIvEENS9_8equal_toIvEEfEE10hipError_tPvRmT2_T3_T4_T5_mT6_T7_P12ihipStream_tbENKUlT_T0_E_clISt17integral_constantIbLb1EES13_EEDaSY_SZ_EUlSY_E_NS1_11comp_targetILNS1_3genE9ELNS1_11target_archE1100ELNS1_3gpuE3ELNS1_3repE0EEENS1_30default_config_static_selectorELNS0_4arch9wavefront6targetE1EEEvT1_,comdat
	.protected	_ZN7rocprim17ROCPRIM_400000_NS6detail17trampoline_kernelINS0_14default_configENS1_27scan_by_key_config_selectorIifEEZZNS1_16scan_by_key_implILNS1_25lookback_scan_determinismE0ELb1ES3_N6thrust23THRUST_200600_302600_NS6detail15normal_iteratorINS9_10device_ptrIiEEEENSB_INSC_IjEEEENSB_INSC_IfEEEEfNS9_4plusIvEENS9_8equal_toIvEEfEE10hipError_tPvRmT2_T3_T4_T5_mT6_T7_P12ihipStream_tbENKUlT_T0_E_clISt17integral_constantIbLb1EES13_EEDaSY_SZ_EUlSY_E_NS1_11comp_targetILNS1_3genE9ELNS1_11target_archE1100ELNS1_3gpuE3ELNS1_3repE0EEENS1_30default_config_static_selectorELNS0_4arch9wavefront6targetE1EEEvT1_ ; -- Begin function _ZN7rocprim17ROCPRIM_400000_NS6detail17trampoline_kernelINS0_14default_configENS1_27scan_by_key_config_selectorIifEEZZNS1_16scan_by_key_implILNS1_25lookback_scan_determinismE0ELb1ES3_N6thrust23THRUST_200600_302600_NS6detail15normal_iteratorINS9_10device_ptrIiEEEENSB_INSC_IjEEEENSB_INSC_IfEEEEfNS9_4plusIvEENS9_8equal_toIvEEfEE10hipError_tPvRmT2_T3_T4_T5_mT6_T7_P12ihipStream_tbENKUlT_T0_E_clISt17integral_constantIbLb1EES13_EEDaSY_SZ_EUlSY_E_NS1_11comp_targetILNS1_3genE9ELNS1_11target_archE1100ELNS1_3gpuE3ELNS1_3repE0EEENS1_30default_config_static_selectorELNS0_4arch9wavefront6targetE1EEEvT1_
	.globl	_ZN7rocprim17ROCPRIM_400000_NS6detail17trampoline_kernelINS0_14default_configENS1_27scan_by_key_config_selectorIifEEZZNS1_16scan_by_key_implILNS1_25lookback_scan_determinismE0ELb1ES3_N6thrust23THRUST_200600_302600_NS6detail15normal_iteratorINS9_10device_ptrIiEEEENSB_INSC_IjEEEENSB_INSC_IfEEEEfNS9_4plusIvEENS9_8equal_toIvEEfEE10hipError_tPvRmT2_T3_T4_T5_mT6_T7_P12ihipStream_tbENKUlT_T0_E_clISt17integral_constantIbLb1EES13_EEDaSY_SZ_EUlSY_E_NS1_11comp_targetILNS1_3genE9ELNS1_11target_archE1100ELNS1_3gpuE3ELNS1_3repE0EEENS1_30default_config_static_selectorELNS0_4arch9wavefront6targetE1EEEvT1_
	.p2align	8
	.type	_ZN7rocprim17ROCPRIM_400000_NS6detail17trampoline_kernelINS0_14default_configENS1_27scan_by_key_config_selectorIifEEZZNS1_16scan_by_key_implILNS1_25lookback_scan_determinismE0ELb1ES3_N6thrust23THRUST_200600_302600_NS6detail15normal_iteratorINS9_10device_ptrIiEEEENSB_INSC_IjEEEENSB_INSC_IfEEEEfNS9_4plusIvEENS9_8equal_toIvEEfEE10hipError_tPvRmT2_T3_T4_T5_mT6_T7_P12ihipStream_tbENKUlT_T0_E_clISt17integral_constantIbLb1EES13_EEDaSY_SZ_EUlSY_E_NS1_11comp_targetILNS1_3genE9ELNS1_11target_archE1100ELNS1_3gpuE3ELNS1_3repE0EEENS1_30default_config_static_selectorELNS0_4arch9wavefront6targetE1EEEvT1_,@function
_ZN7rocprim17ROCPRIM_400000_NS6detail17trampoline_kernelINS0_14default_configENS1_27scan_by_key_config_selectorIifEEZZNS1_16scan_by_key_implILNS1_25lookback_scan_determinismE0ELb1ES3_N6thrust23THRUST_200600_302600_NS6detail15normal_iteratorINS9_10device_ptrIiEEEENSB_INSC_IjEEEENSB_INSC_IfEEEEfNS9_4plusIvEENS9_8equal_toIvEEfEE10hipError_tPvRmT2_T3_T4_T5_mT6_T7_P12ihipStream_tbENKUlT_T0_E_clISt17integral_constantIbLb1EES13_EEDaSY_SZ_EUlSY_E_NS1_11comp_targetILNS1_3genE9ELNS1_11target_archE1100ELNS1_3gpuE3ELNS1_3repE0EEENS1_30default_config_static_selectorELNS0_4arch9wavefront6targetE1EEEvT1_: ; @_ZN7rocprim17ROCPRIM_400000_NS6detail17trampoline_kernelINS0_14default_configENS1_27scan_by_key_config_selectorIifEEZZNS1_16scan_by_key_implILNS1_25lookback_scan_determinismE0ELb1ES3_N6thrust23THRUST_200600_302600_NS6detail15normal_iteratorINS9_10device_ptrIiEEEENSB_INSC_IjEEEENSB_INSC_IfEEEEfNS9_4plusIvEENS9_8equal_toIvEEfEE10hipError_tPvRmT2_T3_T4_T5_mT6_T7_P12ihipStream_tbENKUlT_T0_E_clISt17integral_constantIbLb1EES13_EEDaSY_SZ_EUlSY_E_NS1_11comp_targetILNS1_3genE9ELNS1_11target_archE1100ELNS1_3gpuE3ELNS1_3repE0EEENS1_30default_config_static_selectorELNS0_4arch9wavefront6targetE1EEEvT1_
; %bb.0:
	.section	.rodata,"a",@progbits
	.p2align	6, 0x0
	.amdhsa_kernel _ZN7rocprim17ROCPRIM_400000_NS6detail17trampoline_kernelINS0_14default_configENS1_27scan_by_key_config_selectorIifEEZZNS1_16scan_by_key_implILNS1_25lookback_scan_determinismE0ELb1ES3_N6thrust23THRUST_200600_302600_NS6detail15normal_iteratorINS9_10device_ptrIiEEEENSB_INSC_IjEEEENSB_INSC_IfEEEEfNS9_4plusIvEENS9_8equal_toIvEEfEE10hipError_tPvRmT2_T3_T4_T5_mT6_T7_P12ihipStream_tbENKUlT_T0_E_clISt17integral_constantIbLb1EES13_EEDaSY_SZ_EUlSY_E_NS1_11comp_targetILNS1_3genE9ELNS1_11target_archE1100ELNS1_3gpuE3ELNS1_3repE0EEENS1_30default_config_static_selectorELNS0_4arch9wavefront6targetE1EEEvT1_
		.amdhsa_group_segment_fixed_size 0
		.amdhsa_private_segment_fixed_size 0
		.amdhsa_kernarg_size 112
		.amdhsa_user_sgpr_count 6
		.amdhsa_user_sgpr_private_segment_buffer 1
		.amdhsa_user_sgpr_dispatch_ptr 0
		.amdhsa_user_sgpr_queue_ptr 0
		.amdhsa_user_sgpr_kernarg_segment_ptr 1
		.amdhsa_user_sgpr_dispatch_id 0
		.amdhsa_user_sgpr_flat_scratch_init 0
		.amdhsa_user_sgpr_kernarg_preload_length 0
		.amdhsa_user_sgpr_kernarg_preload_offset 0
		.amdhsa_user_sgpr_private_segment_size 0
		.amdhsa_uses_dynamic_stack 0
		.amdhsa_system_sgpr_private_segment_wavefront_offset 0
		.amdhsa_system_sgpr_workgroup_id_x 1
		.amdhsa_system_sgpr_workgroup_id_y 0
		.amdhsa_system_sgpr_workgroup_id_z 0
		.amdhsa_system_sgpr_workgroup_info 0
		.amdhsa_system_vgpr_workitem_id 0
		.amdhsa_next_free_vgpr 1
		.amdhsa_next_free_sgpr 0
		.amdhsa_accum_offset 4
		.amdhsa_reserve_vcc 0
		.amdhsa_reserve_flat_scratch 0
		.amdhsa_float_round_mode_32 0
		.amdhsa_float_round_mode_16_64 0
		.amdhsa_float_denorm_mode_32 3
		.amdhsa_float_denorm_mode_16_64 3
		.amdhsa_dx10_clamp 1
		.amdhsa_ieee_mode 1
		.amdhsa_fp16_overflow 0
		.amdhsa_tg_split 0
		.amdhsa_exception_fp_ieee_invalid_op 0
		.amdhsa_exception_fp_denorm_src 0
		.amdhsa_exception_fp_ieee_div_zero 0
		.amdhsa_exception_fp_ieee_overflow 0
		.amdhsa_exception_fp_ieee_underflow 0
		.amdhsa_exception_fp_ieee_inexact 0
		.amdhsa_exception_int_div_zero 0
	.end_amdhsa_kernel
	.section	.text._ZN7rocprim17ROCPRIM_400000_NS6detail17trampoline_kernelINS0_14default_configENS1_27scan_by_key_config_selectorIifEEZZNS1_16scan_by_key_implILNS1_25lookback_scan_determinismE0ELb1ES3_N6thrust23THRUST_200600_302600_NS6detail15normal_iteratorINS9_10device_ptrIiEEEENSB_INSC_IjEEEENSB_INSC_IfEEEEfNS9_4plusIvEENS9_8equal_toIvEEfEE10hipError_tPvRmT2_T3_T4_T5_mT6_T7_P12ihipStream_tbENKUlT_T0_E_clISt17integral_constantIbLb1EES13_EEDaSY_SZ_EUlSY_E_NS1_11comp_targetILNS1_3genE9ELNS1_11target_archE1100ELNS1_3gpuE3ELNS1_3repE0EEENS1_30default_config_static_selectorELNS0_4arch9wavefront6targetE1EEEvT1_,"axG",@progbits,_ZN7rocprim17ROCPRIM_400000_NS6detail17trampoline_kernelINS0_14default_configENS1_27scan_by_key_config_selectorIifEEZZNS1_16scan_by_key_implILNS1_25lookback_scan_determinismE0ELb1ES3_N6thrust23THRUST_200600_302600_NS6detail15normal_iteratorINS9_10device_ptrIiEEEENSB_INSC_IjEEEENSB_INSC_IfEEEEfNS9_4plusIvEENS9_8equal_toIvEEfEE10hipError_tPvRmT2_T3_T4_T5_mT6_T7_P12ihipStream_tbENKUlT_T0_E_clISt17integral_constantIbLb1EES13_EEDaSY_SZ_EUlSY_E_NS1_11comp_targetILNS1_3genE9ELNS1_11target_archE1100ELNS1_3gpuE3ELNS1_3repE0EEENS1_30default_config_static_selectorELNS0_4arch9wavefront6targetE1EEEvT1_,comdat
.Lfunc_end1696:
	.size	_ZN7rocprim17ROCPRIM_400000_NS6detail17trampoline_kernelINS0_14default_configENS1_27scan_by_key_config_selectorIifEEZZNS1_16scan_by_key_implILNS1_25lookback_scan_determinismE0ELb1ES3_N6thrust23THRUST_200600_302600_NS6detail15normal_iteratorINS9_10device_ptrIiEEEENSB_INSC_IjEEEENSB_INSC_IfEEEEfNS9_4plusIvEENS9_8equal_toIvEEfEE10hipError_tPvRmT2_T3_T4_T5_mT6_T7_P12ihipStream_tbENKUlT_T0_E_clISt17integral_constantIbLb1EES13_EEDaSY_SZ_EUlSY_E_NS1_11comp_targetILNS1_3genE9ELNS1_11target_archE1100ELNS1_3gpuE3ELNS1_3repE0EEENS1_30default_config_static_selectorELNS0_4arch9wavefront6targetE1EEEvT1_, .Lfunc_end1696-_ZN7rocprim17ROCPRIM_400000_NS6detail17trampoline_kernelINS0_14default_configENS1_27scan_by_key_config_selectorIifEEZZNS1_16scan_by_key_implILNS1_25lookback_scan_determinismE0ELb1ES3_N6thrust23THRUST_200600_302600_NS6detail15normal_iteratorINS9_10device_ptrIiEEEENSB_INSC_IjEEEENSB_INSC_IfEEEEfNS9_4plusIvEENS9_8equal_toIvEEfEE10hipError_tPvRmT2_T3_T4_T5_mT6_T7_P12ihipStream_tbENKUlT_T0_E_clISt17integral_constantIbLb1EES13_EEDaSY_SZ_EUlSY_E_NS1_11comp_targetILNS1_3genE9ELNS1_11target_archE1100ELNS1_3gpuE3ELNS1_3repE0EEENS1_30default_config_static_selectorELNS0_4arch9wavefront6targetE1EEEvT1_
                                        ; -- End function
	.section	.AMDGPU.csdata,"",@progbits
; Kernel info:
; codeLenInByte = 0
; NumSgprs: 4
; NumVgprs: 0
; NumAgprs: 0
; TotalNumVgprs: 0
; ScratchSize: 0
; MemoryBound: 0
; FloatMode: 240
; IeeeMode: 1
; LDSByteSize: 0 bytes/workgroup (compile time only)
; SGPRBlocks: 0
; VGPRBlocks: 0
; NumSGPRsForWavesPerEU: 4
; NumVGPRsForWavesPerEU: 1
; AccumOffset: 4
; Occupancy: 8
; WaveLimiterHint : 0
; COMPUTE_PGM_RSRC2:SCRATCH_EN: 0
; COMPUTE_PGM_RSRC2:USER_SGPR: 6
; COMPUTE_PGM_RSRC2:TRAP_HANDLER: 0
; COMPUTE_PGM_RSRC2:TGID_X_EN: 1
; COMPUTE_PGM_RSRC2:TGID_Y_EN: 0
; COMPUTE_PGM_RSRC2:TGID_Z_EN: 0
; COMPUTE_PGM_RSRC2:TIDIG_COMP_CNT: 0
; COMPUTE_PGM_RSRC3_GFX90A:ACCUM_OFFSET: 0
; COMPUTE_PGM_RSRC3_GFX90A:TG_SPLIT: 0
	.section	.text._ZN7rocprim17ROCPRIM_400000_NS6detail17trampoline_kernelINS0_14default_configENS1_27scan_by_key_config_selectorIifEEZZNS1_16scan_by_key_implILNS1_25lookback_scan_determinismE0ELb1ES3_N6thrust23THRUST_200600_302600_NS6detail15normal_iteratorINS9_10device_ptrIiEEEENSB_INSC_IjEEEENSB_INSC_IfEEEEfNS9_4plusIvEENS9_8equal_toIvEEfEE10hipError_tPvRmT2_T3_T4_T5_mT6_T7_P12ihipStream_tbENKUlT_T0_E_clISt17integral_constantIbLb1EES13_EEDaSY_SZ_EUlSY_E_NS1_11comp_targetILNS1_3genE8ELNS1_11target_archE1030ELNS1_3gpuE2ELNS1_3repE0EEENS1_30default_config_static_selectorELNS0_4arch9wavefront6targetE1EEEvT1_,"axG",@progbits,_ZN7rocprim17ROCPRIM_400000_NS6detail17trampoline_kernelINS0_14default_configENS1_27scan_by_key_config_selectorIifEEZZNS1_16scan_by_key_implILNS1_25lookback_scan_determinismE0ELb1ES3_N6thrust23THRUST_200600_302600_NS6detail15normal_iteratorINS9_10device_ptrIiEEEENSB_INSC_IjEEEENSB_INSC_IfEEEEfNS9_4plusIvEENS9_8equal_toIvEEfEE10hipError_tPvRmT2_T3_T4_T5_mT6_T7_P12ihipStream_tbENKUlT_T0_E_clISt17integral_constantIbLb1EES13_EEDaSY_SZ_EUlSY_E_NS1_11comp_targetILNS1_3genE8ELNS1_11target_archE1030ELNS1_3gpuE2ELNS1_3repE0EEENS1_30default_config_static_selectorELNS0_4arch9wavefront6targetE1EEEvT1_,comdat
	.protected	_ZN7rocprim17ROCPRIM_400000_NS6detail17trampoline_kernelINS0_14default_configENS1_27scan_by_key_config_selectorIifEEZZNS1_16scan_by_key_implILNS1_25lookback_scan_determinismE0ELb1ES3_N6thrust23THRUST_200600_302600_NS6detail15normal_iteratorINS9_10device_ptrIiEEEENSB_INSC_IjEEEENSB_INSC_IfEEEEfNS9_4plusIvEENS9_8equal_toIvEEfEE10hipError_tPvRmT2_T3_T4_T5_mT6_T7_P12ihipStream_tbENKUlT_T0_E_clISt17integral_constantIbLb1EES13_EEDaSY_SZ_EUlSY_E_NS1_11comp_targetILNS1_3genE8ELNS1_11target_archE1030ELNS1_3gpuE2ELNS1_3repE0EEENS1_30default_config_static_selectorELNS0_4arch9wavefront6targetE1EEEvT1_ ; -- Begin function _ZN7rocprim17ROCPRIM_400000_NS6detail17trampoline_kernelINS0_14default_configENS1_27scan_by_key_config_selectorIifEEZZNS1_16scan_by_key_implILNS1_25lookback_scan_determinismE0ELb1ES3_N6thrust23THRUST_200600_302600_NS6detail15normal_iteratorINS9_10device_ptrIiEEEENSB_INSC_IjEEEENSB_INSC_IfEEEEfNS9_4plusIvEENS9_8equal_toIvEEfEE10hipError_tPvRmT2_T3_T4_T5_mT6_T7_P12ihipStream_tbENKUlT_T0_E_clISt17integral_constantIbLb1EES13_EEDaSY_SZ_EUlSY_E_NS1_11comp_targetILNS1_3genE8ELNS1_11target_archE1030ELNS1_3gpuE2ELNS1_3repE0EEENS1_30default_config_static_selectorELNS0_4arch9wavefront6targetE1EEEvT1_
	.globl	_ZN7rocprim17ROCPRIM_400000_NS6detail17trampoline_kernelINS0_14default_configENS1_27scan_by_key_config_selectorIifEEZZNS1_16scan_by_key_implILNS1_25lookback_scan_determinismE0ELb1ES3_N6thrust23THRUST_200600_302600_NS6detail15normal_iteratorINS9_10device_ptrIiEEEENSB_INSC_IjEEEENSB_INSC_IfEEEEfNS9_4plusIvEENS9_8equal_toIvEEfEE10hipError_tPvRmT2_T3_T4_T5_mT6_T7_P12ihipStream_tbENKUlT_T0_E_clISt17integral_constantIbLb1EES13_EEDaSY_SZ_EUlSY_E_NS1_11comp_targetILNS1_3genE8ELNS1_11target_archE1030ELNS1_3gpuE2ELNS1_3repE0EEENS1_30default_config_static_selectorELNS0_4arch9wavefront6targetE1EEEvT1_
	.p2align	8
	.type	_ZN7rocprim17ROCPRIM_400000_NS6detail17trampoline_kernelINS0_14default_configENS1_27scan_by_key_config_selectorIifEEZZNS1_16scan_by_key_implILNS1_25lookback_scan_determinismE0ELb1ES3_N6thrust23THRUST_200600_302600_NS6detail15normal_iteratorINS9_10device_ptrIiEEEENSB_INSC_IjEEEENSB_INSC_IfEEEEfNS9_4plusIvEENS9_8equal_toIvEEfEE10hipError_tPvRmT2_T3_T4_T5_mT6_T7_P12ihipStream_tbENKUlT_T0_E_clISt17integral_constantIbLb1EES13_EEDaSY_SZ_EUlSY_E_NS1_11comp_targetILNS1_3genE8ELNS1_11target_archE1030ELNS1_3gpuE2ELNS1_3repE0EEENS1_30default_config_static_selectorELNS0_4arch9wavefront6targetE1EEEvT1_,@function
_ZN7rocprim17ROCPRIM_400000_NS6detail17trampoline_kernelINS0_14default_configENS1_27scan_by_key_config_selectorIifEEZZNS1_16scan_by_key_implILNS1_25lookback_scan_determinismE0ELb1ES3_N6thrust23THRUST_200600_302600_NS6detail15normal_iteratorINS9_10device_ptrIiEEEENSB_INSC_IjEEEENSB_INSC_IfEEEEfNS9_4plusIvEENS9_8equal_toIvEEfEE10hipError_tPvRmT2_T3_T4_T5_mT6_T7_P12ihipStream_tbENKUlT_T0_E_clISt17integral_constantIbLb1EES13_EEDaSY_SZ_EUlSY_E_NS1_11comp_targetILNS1_3genE8ELNS1_11target_archE1030ELNS1_3gpuE2ELNS1_3repE0EEENS1_30default_config_static_selectorELNS0_4arch9wavefront6targetE1EEEvT1_: ; @_ZN7rocprim17ROCPRIM_400000_NS6detail17trampoline_kernelINS0_14default_configENS1_27scan_by_key_config_selectorIifEEZZNS1_16scan_by_key_implILNS1_25lookback_scan_determinismE0ELb1ES3_N6thrust23THRUST_200600_302600_NS6detail15normal_iteratorINS9_10device_ptrIiEEEENSB_INSC_IjEEEENSB_INSC_IfEEEEfNS9_4plusIvEENS9_8equal_toIvEEfEE10hipError_tPvRmT2_T3_T4_T5_mT6_T7_P12ihipStream_tbENKUlT_T0_E_clISt17integral_constantIbLb1EES13_EEDaSY_SZ_EUlSY_E_NS1_11comp_targetILNS1_3genE8ELNS1_11target_archE1030ELNS1_3gpuE2ELNS1_3repE0EEENS1_30default_config_static_selectorELNS0_4arch9wavefront6targetE1EEEvT1_
; %bb.0:
	.section	.rodata,"a",@progbits
	.p2align	6, 0x0
	.amdhsa_kernel _ZN7rocprim17ROCPRIM_400000_NS6detail17trampoline_kernelINS0_14default_configENS1_27scan_by_key_config_selectorIifEEZZNS1_16scan_by_key_implILNS1_25lookback_scan_determinismE0ELb1ES3_N6thrust23THRUST_200600_302600_NS6detail15normal_iteratorINS9_10device_ptrIiEEEENSB_INSC_IjEEEENSB_INSC_IfEEEEfNS9_4plusIvEENS9_8equal_toIvEEfEE10hipError_tPvRmT2_T3_T4_T5_mT6_T7_P12ihipStream_tbENKUlT_T0_E_clISt17integral_constantIbLb1EES13_EEDaSY_SZ_EUlSY_E_NS1_11comp_targetILNS1_3genE8ELNS1_11target_archE1030ELNS1_3gpuE2ELNS1_3repE0EEENS1_30default_config_static_selectorELNS0_4arch9wavefront6targetE1EEEvT1_
		.amdhsa_group_segment_fixed_size 0
		.amdhsa_private_segment_fixed_size 0
		.amdhsa_kernarg_size 112
		.amdhsa_user_sgpr_count 6
		.amdhsa_user_sgpr_private_segment_buffer 1
		.amdhsa_user_sgpr_dispatch_ptr 0
		.amdhsa_user_sgpr_queue_ptr 0
		.amdhsa_user_sgpr_kernarg_segment_ptr 1
		.amdhsa_user_sgpr_dispatch_id 0
		.amdhsa_user_sgpr_flat_scratch_init 0
		.amdhsa_user_sgpr_kernarg_preload_length 0
		.amdhsa_user_sgpr_kernarg_preload_offset 0
		.amdhsa_user_sgpr_private_segment_size 0
		.amdhsa_uses_dynamic_stack 0
		.amdhsa_system_sgpr_private_segment_wavefront_offset 0
		.amdhsa_system_sgpr_workgroup_id_x 1
		.amdhsa_system_sgpr_workgroup_id_y 0
		.amdhsa_system_sgpr_workgroup_id_z 0
		.amdhsa_system_sgpr_workgroup_info 0
		.amdhsa_system_vgpr_workitem_id 0
		.amdhsa_next_free_vgpr 1
		.amdhsa_next_free_sgpr 0
		.amdhsa_accum_offset 4
		.amdhsa_reserve_vcc 0
		.amdhsa_reserve_flat_scratch 0
		.amdhsa_float_round_mode_32 0
		.amdhsa_float_round_mode_16_64 0
		.amdhsa_float_denorm_mode_32 3
		.amdhsa_float_denorm_mode_16_64 3
		.amdhsa_dx10_clamp 1
		.amdhsa_ieee_mode 1
		.amdhsa_fp16_overflow 0
		.amdhsa_tg_split 0
		.amdhsa_exception_fp_ieee_invalid_op 0
		.amdhsa_exception_fp_denorm_src 0
		.amdhsa_exception_fp_ieee_div_zero 0
		.amdhsa_exception_fp_ieee_overflow 0
		.amdhsa_exception_fp_ieee_underflow 0
		.amdhsa_exception_fp_ieee_inexact 0
		.amdhsa_exception_int_div_zero 0
	.end_amdhsa_kernel
	.section	.text._ZN7rocprim17ROCPRIM_400000_NS6detail17trampoline_kernelINS0_14default_configENS1_27scan_by_key_config_selectorIifEEZZNS1_16scan_by_key_implILNS1_25lookback_scan_determinismE0ELb1ES3_N6thrust23THRUST_200600_302600_NS6detail15normal_iteratorINS9_10device_ptrIiEEEENSB_INSC_IjEEEENSB_INSC_IfEEEEfNS9_4plusIvEENS9_8equal_toIvEEfEE10hipError_tPvRmT2_T3_T4_T5_mT6_T7_P12ihipStream_tbENKUlT_T0_E_clISt17integral_constantIbLb1EES13_EEDaSY_SZ_EUlSY_E_NS1_11comp_targetILNS1_3genE8ELNS1_11target_archE1030ELNS1_3gpuE2ELNS1_3repE0EEENS1_30default_config_static_selectorELNS0_4arch9wavefront6targetE1EEEvT1_,"axG",@progbits,_ZN7rocprim17ROCPRIM_400000_NS6detail17trampoline_kernelINS0_14default_configENS1_27scan_by_key_config_selectorIifEEZZNS1_16scan_by_key_implILNS1_25lookback_scan_determinismE0ELb1ES3_N6thrust23THRUST_200600_302600_NS6detail15normal_iteratorINS9_10device_ptrIiEEEENSB_INSC_IjEEEENSB_INSC_IfEEEEfNS9_4plusIvEENS9_8equal_toIvEEfEE10hipError_tPvRmT2_T3_T4_T5_mT6_T7_P12ihipStream_tbENKUlT_T0_E_clISt17integral_constantIbLb1EES13_EEDaSY_SZ_EUlSY_E_NS1_11comp_targetILNS1_3genE8ELNS1_11target_archE1030ELNS1_3gpuE2ELNS1_3repE0EEENS1_30default_config_static_selectorELNS0_4arch9wavefront6targetE1EEEvT1_,comdat
.Lfunc_end1697:
	.size	_ZN7rocprim17ROCPRIM_400000_NS6detail17trampoline_kernelINS0_14default_configENS1_27scan_by_key_config_selectorIifEEZZNS1_16scan_by_key_implILNS1_25lookback_scan_determinismE0ELb1ES3_N6thrust23THRUST_200600_302600_NS6detail15normal_iteratorINS9_10device_ptrIiEEEENSB_INSC_IjEEEENSB_INSC_IfEEEEfNS9_4plusIvEENS9_8equal_toIvEEfEE10hipError_tPvRmT2_T3_T4_T5_mT6_T7_P12ihipStream_tbENKUlT_T0_E_clISt17integral_constantIbLb1EES13_EEDaSY_SZ_EUlSY_E_NS1_11comp_targetILNS1_3genE8ELNS1_11target_archE1030ELNS1_3gpuE2ELNS1_3repE0EEENS1_30default_config_static_selectorELNS0_4arch9wavefront6targetE1EEEvT1_, .Lfunc_end1697-_ZN7rocprim17ROCPRIM_400000_NS6detail17trampoline_kernelINS0_14default_configENS1_27scan_by_key_config_selectorIifEEZZNS1_16scan_by_key_implILNS1_25lookback_scan_determinismE0ELb1ES3_N6thrust23THRUST_200600_302600_NS6detail15normal_iteratorINS9_10device_ptrIiEEEENSB_INSC_IjEEEENSB_INSC_IfEEEEfNS9_4plusIvEENS9_8equal_toIvEEfEE10hipError_tPvRmT2_T3_T4_T5_mT6_T7_P12ihipStream_tbENKUlT_T0_E_clISt17integral_constantIbLb1EES13_EEDaSY_SZ_EUlSY_E_NS1_11comp_targetILNS1_3genE8ELNS1_11target_archE1030ELNS1_3gpuE2ELNS1_3repE0EEENS1_30default_config_static_selectorELNS0_4arch9wavefront6targetE1EEEvT1_
                                        ; -- End function
	.section	.AMDGPU.csdata,"",@progbits
; Kernel info:
; codeLenInByte = 0
; NumSgprs: 4
; NumVgprs: 0
; NumAgprs: 0
; TotalNumVgprs: 0
; ScratchSize: 0
; MemoryBound: 0
; FloatMode: 240
; IeeeMode: 1
; LDSByteSize: 0 bytes/workgroup (compile time only)
; SGPRBlocks: 0
; VGPRBlocks: 0
; NumSGPRsForWavesPerEU: 4
; NumVGPRsForWavesPerEU: 1
; AccumOffset: 4
; Occupancy: 8
; WaveLimiterHint : 0
; COMPUTE_PGM_RSRC2:SCRATCH_EN: 0
; COMPUTE_PGM_RSRC2:USER_SGPR: 6
; COMPUTE_PGM_RSRC2:TRAP_HANDLER: 0
; COMPUTE_PGM_RSRC2:TGID_X_EN: 1
; COMPUTE_PGM_RSRC2:TGID_Y_EN: 0
; COMPUTE_PGM_RSRC2:TGID_Z_EN: 0
; COMPUTE_PGM_RSRC2:TIDIG_COMP_CNT: 0
; COMPUTE_PGM_RSRC3_GFX90A:ACCUM_OFFSET: 0
; COMPUTE_PGM_RSRC3_GFX90A:TG_SPLIT: 0
	.section	.text._ZN7rocprim17ROCPRIM_400000_NS6detail17trampoline_kernelINS0_14default_configENS1_27scan_by_key_config_selectorIifEEZZNS1_16scan_by_key_implILNS1_25lookback_scan_determinismE0ELb1ES3_N6thrust23THRUST_200600_302600_NS6detail15normal_iteratorINS9_10device_ptrIiEEEENSB_INSC_IjEEEENSB_INSC_IfEEEEfNS9_4plusIvEENS9_8equal_toIvEEfEE10hipError_tPvRmT2_T3_T4_T5_mT6_T7_P12ihipStream_tbENKUlT_T0_E_clISt17integral_constantIbLb1EES12_IbLb0EEEEDaSY_SZ_EUlSY_E_NS1_11comp_targetILNS1_3genE0ELNS1_11target_archE4294967295ELNS1_3gpuE0ELNS1_3repE0EEENS1_30default_config_static_selectorELNS0_4arch9wavefront6targetE1EEEvT1_,"axG",@progbits,_ZN7rocprim17ROCPRIM_400000_NS6detail17trampoline_kernelINS0_14default_configENS1_27scan_by_key_config_selectorIifEEZZNS1_16scan_by_key_implILNS1_25lookback_scan_determinismE0ELb1ES3_N6thrust23THRUST_200600_302600_NS6detail15normal_iteratorINS9_10device_ptrIiEEEENSB_INSC_IjEEEENSB_INSC_IfEEEEfNS9_4plusIvEENS9_8equal_toIvEEfEE10hipError_tPvRmT2_T3_T4_T5_mT6_T7_P12ihipStream_tbENKUlT_T0_E_clISt17integral_constantIbLb1EES12_IbLb0EEEEDaSY_SZ_EUlSY_E_NS1_11comp_targetILNS1_3genE0ELNS1_11target_archE4294967295ELNS1_3gpuE0ELNS1_3repE0EEENS1_30default_config_static_selectorELNS0_4arch9wavefront6targetE1EEEvT1_,comdat
	.protected	_ZN7rocprim17ROCPRIM_400000_NS6detail17trampoline_kernelINS0_14default_configENS1_27scan_by_key_config_selectorIifEEZZNS1_16scan_by_key_implILNS1_25lookback_scan_determinismE0ELb1ES3_N6thrust23THRUST_200600_302600_NS6detail15normal_iteratorINS9_10device_ptrIiEEEENSB_INSC_IjEEEENSB_INSC_IfEEEEfNS9_4plusIvEENS9_8equal_toIvEEfEE10hipError_tPvRmT2_T3_T4_T5_mT6_T7_P12ihipStream_tbENKUlT_T0_E_clISt17integral_constantIbLb1EES12_IbLb0EEEEDaSY_SZ_EUlSY_E_NS1_11comp_targetILNS1_3genE0ELNS1_11target_archE4294967295ELNS1_3gpuE0ELNS1_3repE0EEENS1_30default_config_static_selectorELNS0_4arch9wavefront6targetE1EEEvT1_ ; -- Begin function _ZN7rocprim17ROCPRIM_400000_NS6detail17trampoline_kernelINS0_14default_configENS1_27scan_by_key_config_selectorIifEEZZNS1_16scan_by_key_implILNS1_25lookback_scan_determinismE0ELb1ES3_N6thrust23THRUST_200600_302600_NS6detail15normal_iteratorINS9_10device_ptrIiEEEENSB_INSC_IjEEEENSB_INSC_IfEEEEfNS9_4plusIvEENS9_8equal_toIvEEfEE10hipError_tPvRmT2_T3_T4_T5_mT6_T7_P12ihipStream_tbENKUlT_T0_E_clISt17integral_constantIbLb1EES12_IbLb0EEEEDaSY_SZ_EUlSY_E_NS1_11comp_targetILNS1_3genE0ELNS1_11target_archE4294967295ELNS1_3gpuE0ELNS1_3repE0EEENS1_30default_config_static_selectorELNS0_4arch9wavefront6targetE1EEEvT1_
	.globl	_ZN7rocprim17ROCPRIM_400000_NS6detail17trampoline_kernelINS0_14default_configENS1_27scan_by_key_config_selectorIifEEZZNS1_16scan_by_key_implILNS1_25lookback_scan_determinismE0ELb1ES3_N6thrust23THRUST_200600_302600_NS6detail15normal_iteratorINS9_10device_ptrIiEEEENSB_INSC_IjEEEENSB_INSC_IfEEEEfNS9_4plusIvEENS9_8equal_toIvEEfEE10hipError_tPvRmT2_T3_T4_T5_mT6_T7_P12ihipStream_tbENKUlT_T0_E_clISt17integral_constantIbLb1EES12_IbLb0EEEEDaSY_SZ_EUlSY_E_NS1_11comp_targetILNS1_3genE0ELNS1_11target_archE4294967295ELNS1_3gpuE0ELNS1_3repE0EEENS1_30default_config_static_selectorELNS0_4arch9wavefront6targetE1EEEvT1_
	.p2align	8
	.type	_ZN7rocprim17ROCPRIM_400000_NS6detail17trampoline_kernelINS0_14default_configENS1_27scan_by_key_config_selectorIifEEZZNS1_16scan_by_key_implILNS1_25lookback_scan_determinismE0ELb1ES3_N6thrust23THRUST_200600_302600_NS6detail15normal_iteratorINS9_10device_ptrIiEEEENSB_INSC_IjEEEENSB_INSC_IfEEEEfNS9_4plusIvEENS9_8equal_toIvEEfEE10hipError_tPvRmT2_T3_T4_T5_mT6_T7_P12ihipStream_tbENKUlT_T0_E_clISt17integral_constantIbLb1EES12_IbLb0EEEEDaSY_SZ_EUlSY_E_NS1_11comp_targetILNS1_3genE0ELNS1_11target_archE4294967295ELNS1_3gpuE0ELNS1_3repE0EEENS1_30default_config_static_selectorELNS0_4arch9wavefront6targetE1EEEvT1_,@function
_ZN7rocprim17ROCPRIM_400000_NS6detail17trampoline_kernelINS0_14default_configENS1_27scan_by_key_config_selectorIifEEZZNS1_16scan_by_key_implILNS1_25lookback_scan_determinismE0ELb1ES3_N6thrust23THRUST_200600_302600_NS6detail15normal_iteratorINS9_10device_ptrIiEEEENSB_INSC_IjEEEENSB_INSC_IfEEEEfNS9_4plusIvEENS9_8equal_toIvEEfEE10hipError_tPvRmT2_T3_T4_T5_mT6_T7_P12ihipStream_tbENKUlT_T0_E_clISt17integral_constantIbLb1EES12_IbLb0EEEEDaSY_SZ_EUlSY_E_NS1_11comp_targetILNS1_3genE0ELNS1_11target_archE4294967295ELNS1_3gpuE0ELNS1_3repE0EEENS1_30default_config_static_selectorELNS0_4arch9wavefront6targetE1EEEvT1_: ; @_ZN7rocprim17ROCPRIM_400000_NS6detail17trampoline_kernelINS0_14default_configENS1_27scan_by_key_config_selectorIifEEZZNS1_16scan_by_key_implILNS1_25lookback_scan_determinismE0ELb1ES3_N6thrust23THRUST_200600_302600_NS6detail15normal_iteratorINS9_10device_ptrIiEEEENSB_INSC_IjEEEENSB_INSC_IfEEEEfNS9_4plusIvEENS9_8equal_toIvEEfEE10hipError_tPvRmT2_T3_T4_T5_mT6_T7_P12ihipStream_tbENKUlT_T0_E_clISt17integral_constantIbLb1EES12_IbLb0EEEEDaSY_SZ_EUlSY_E_NS1_11comp_targetILNS1_3genE0ELNS1_11target_archE4294967295ELNS1_3gpuE0ELNS1_3repE0EEENS1_30default_config_static_selectorELNS0_4arch9wavefront6targetE1EEEvT1_
; %bb.0:
	.section	.rodata,"a",@progbits
	.p2align	6, 0x0
	.amdhsa_kernel _ZN7rocprim17ROCPRIM_400000_NS6detail17trampoline_kernelINS0_14default_configENS1_27scan_by_key_config_selectorIifEEZZNS1_16scan_by_key_implILNS1_25lookback_scan_determinismE0ELb1ES3_N6thrust23THRUST_200600_302600_NS6detail15normal_iteratorINS9_10device_ptrIiEEEENSB_INSC_IjEEEENSB_INSC_IfEEEEfNS9_4plusIvEENS9_8equal_toIvEEfEE10hipError_tPvRmT2_T3_T4_T5_mT6_T7_P12ihipStream_tbENKUlT_T0_E_clISt17integral_constantIbLb1EES12_IbLb0EEEEDaSY_SZ_EUlSY_E_NS1_11comp_targetILNS1_3genE0ELNS1_11target_archE4294967295ELNS1_3gpuE0ELNS1_3repE0EEENS1_30default_config_static_selectorELNS0_4arch9wavefront6targetE1EEEvT1_
		.amdhsa_group_segment_fixed_size 0
		.amdhsa_private_segment_fixed_size 0
		.amdhsa_kernarg_size 112
		.amdhsa_user_sgpr_count 6
		.amdhsa_user_sgpr_private_segment_buffer 1
		.amdhsa_user_sgpr_dispatch_ptr 0
		.amdhsa_user_sgpr_queue_ptr 0
		.amdhsa_user_sgpr_kernarg_segment_ptr 1
		.amdhsa_user_sgpr_dispatch_id 0
		.amdhsa_user_sgpr_flat_scratch_init 0
		.amdhsa_user_sgpr_kernarg_preload_length 0
		.amdhsa_user_sgpr_kernarg_preload_offset 0
		.amdhsa_user_sgpr_private_segment_size 0
		.amdhsa_uses_dynamic_stack 0
		.amdhsa_system_sgpr_private_segment_wavefront_offset 0
		.amdhsa_system_sgpr_workgroup_id_x 1
		.amdhsa_system_sgpr_workgroup_id_y 0
		.amdhsa_system_sgpr_workgroup_id_z 0
		.amdhsa_system_sgpr_workgroup_info 0
		.amdhsa_system_vgpr_workitem_id 0
		.amdhsa_next_free_vgpr 1
		.amdhsa_next_free_sgpr 0
		.amdhsa_accum_offset 4
		.amdhsa_reserve_vcc 0
		.amdhsa_reserve_flat_scratch 0
		.amdhsa_float_round_mode_32 0
		.amdhsa_float_round_mode_16_64 0
		.amdhsa_float_denorm_mode_32 3
		.amdhsa_float_denorm_mode_16_64 3
		.amdhsa_dx10_clamp 1
		.amdhsa_ieee_mode 1
		.amdhsa_fp16_overflow 0
		.amdhsa_tg_split 0
		.amdhsa_exception_fp_ieee_invalid_op 0
		.amdhsa_exception_fp_denorm_src 0
		.amdhsa_exception_fp_ieee_div_zero 0
		.amdhsa_exception_fp_ieee_overflow 0
		.amdhsa_exception_fp_ieee_underflow 0
		.amdhsa_exception_fp_ieee_inexact 0
		.amdhsa_exception_int_div_zero 0
	.end_amdhsa_kernel
	.section	.text._ZN7rocprim17ROCPRIM_400000_NS6detail17trampoline_kernelINS0_14default_configENS1_27scan_by_key_config_selectorIifEEZZNS1_16scan_by_key_implILNS1_25lookback_scan_determinismE0ELb1ES3_N6thrust23THRUST_200600_302600_NS6detail15normal_iteratorINS9_10device_ptrIiEEEENSB_INSC_IjEEEENSB_INSC_IfEEEEfNS9_4plusIvEENS9_8equal_toIvEEfEE10hipError_tPvRmT2_T3_T4_T5_mT6_T7_P12ihipStream_tbENKUlT_T0_E_clISt17integral_constantIbLb1EES12_IbLb0EEEEDaSY_SZ_EUlSY_E_NS1_11comp_targetILNS1_3genE0ELNS1_11target_archE4294967295ELNS1_3gpuE0ELNS1_3repE0EEENS1_30default_config_static_selectorELNS0_4arch9wavefront6targetE1EEEvT1_,"axG",@progbits,_ZN7rocprim17ROCPRIM_400000_NS6detail17trampoline_kernelINS0_14default_configENS1_27scan_by_key_config_selectorIifEEZZNS1_16scan_by_key_implILNS1_25lookback_scan_determinismE0ELb1ES3_N6thrust23THRUST_200600_302600_NS6detail15normal_iteratorINS9_10device_ptrIiEEEENSB_INSC_IjEEEENSB_INSC_IfEEEEfNS9_4plusIvEENS9_8equal_toIvEEfEE10hipError_tPvRmT2_T3_T4_T5_mT6_T7_P12ihipStream_tbENKUlT_T0_E_clISt17integral_constantIbLb1EES12_IbLb0EEEEDaSY_SZ_EUlSY_E_NS1_11comp_targetILNS1_3genE0ELNS1_11target_archE4294967295ELNS1_3gpuE0ELNS1_3repE0EEENS1_30default_config_static_selectorELNS0_4arch9wavefront6targetE1EEEvT1_,comdat
.Lfunc_end1698:
	.size	_ZN7rocprim17ROCPRIM_400000_NS6detail17trampoline_kernelINS0_14default_configENS1_27scan_by_key_config_selectorIifEEZZNS1_16scan_by_key_implILNS1_25lookback_scan_determinismE0ELb1ES3_N6thrust23THRUST_200600_302600_NS6detail15normal_iteratorINS9_10device_ptrIiEEEENSB_INSC_IjEEEENSB_INSC_IfEEEEfNS9_4plusIvEENS9_8equal_toIvEEfEE10hipError_tPvRmT2_T3_T4_T5_mT6_T7_P12ihipStream_tbENKUlT_T0_E_clISt17integral_constantIbLb1EES12_IbLb0EEEEDaSY_SZ_EUlSY_E_NS1_11comp_targetILNS1_3genE0ELNS1_11target_archE4294967295ELNS1_3gpuE0ELNS1_3repE0EEENS1_30default_config_static_selectorELNS0_4arch9wavefront6targetE1EEEvT1_, .Lfunc_end1698-_ZN7rocprim17ROCPRIM_400000_NS6detail17trampoline_kernelINS0_14default_configENS1_27scan_by_key_config_selectorIifEEZZNS1_16scan_by_key_implILNS1_25lookback_scan_determinismE0ELb1ES3_N6thrust23THRUST_200600_302600_NS6detail15normal_iteratorINS9_10device_ptrIiEEEENSB_INSC_IjEEEENSB_INSC_IfEEEEfNS9_4plusIvEENS9_8equal_toIvEEfEE10hipError_tPvRmT2_T3_T4_T5_mT6_T7_P12ihipStream_tbENKUlT_T0_E_clISt17integral_constantIbLb1EES12_IbLb0EEEEDaSY_SZ_EUlSY_E_NS1_11comp_targetILNS1_3genE0ELNS1_11target_archE4294967295ELNS1_3gpuE0ELNS1_3repE0EEENS1_30default_config_static_selectorELNS0_4arch9wavefront6targetE1EEEvT1_
                                        ; -- End function
	.section	.AMDGPU.csdata,"",@progbits
; Kernel info:
; codeLenInByte = 0
; NumSgprs: 4
; NumVgprs: 0
; NumAgprs: 0
; TotalNumVgprs: 0
; ScratchSize: 0
; MemoryBound: 0
; FloatMode: 240
; IeeeMode: 1
; LDSByteSize: 0 bytes/workgroup (compile time only)
; SGPRBlocks: 0
; VGPRBlocks: 0
; NumSGPRsForWavesPerEU: 4
; NumVGPRsForWavesPerEU: 1
; AccumOffset: 4
; Occupancy: 8
; WaveLimiterHint : 0
; COMPUTE_PGM_RSRC2:SCRATCH_EN: 0
; COMPUTE_PGM_RSRC2:USER_SGPR: 6
; COMPUTE_PGM_RSRC2:TRAP_HANDLER: 0
; COMPUTE_PGM_RSRC2:TGID_X_EN: 1
; COMPUTE_PGM_RSRC2:TGID_Y_EN: 0
; COMPUTE_PGM_RSRC2:TGID_Z_EN: 0
; COMPUTE_PGM_RSRC2:TIDIG_COMP_CNT: 0
; COMPUTE_PGM_RSRC3_GFX90A:ACCUM_OFFSET: 0
; COMPUTE_PGM_RSRC3_GFX90A:TG_SPLIT: 0
	.section	.text._ZN7rocprim17ROCPRIM_400000_NS6detail17trampoline_kernelINS0_14default_configENS1_27scan_by_key_config_selectorIifEEZZNS1_16scan_by_key_implILNS1_25lookback_scan_determinismE0ELb1ES3_N6thrust23THRUST_200600_302600_NS6detail15normal_iteratorINS9_10device_ptrIiEEEENSB_INSC_IjEEEENSB_INSC_IfEEEEfNS9_4plusIvEENS9_8equal_toIvEEfEE10hipError_tPvRmT2_T3_T4_T5_mT6_T7_P12ihipStream_tbENKUlT_T0_E_clISt17integral_constantIbLb1EES12_IbLb0EEEEDaSY_SZ_EUlSY_E_NS1_11comp_targetILNS1_3genE10ELNS1_11target_archE1201ELNS1_3gpuE5ELNS1_3repE0EEENS1_30default_config_static_selectorELNS0_4arch9wavefront6targetE1EEEvT1_,"axG",@progbits,_ZN7rocprim17ROCPRIM_400000_NS6detail17trampoline_kernelINS0_14default_configENS1_27scan_by_key_config_selectorIifEEZZNS1_16scan_by_key_implILNS1_25lookback_scan_determinismE0ELb1ES3_N6thrust23THRUST_200600_302600_NS6detail15normal_iteratorINS9_10device_ptrIiEEEENSB_INSC_IjEEEENSB_INSC_IfEEEEfNS9_4plusIvEENS9_8equal_toIvEEfEE10hipError_tPvRmT2_T3_T4_T5_mT6_T7_P12ihipStream_tbENKUlT_T0_E_clISt17integral_constantIbLb1EES12_IbLb0EEEEDaSY_SZ_EUlSY_E_NS1_11comp_targetILNS1_3genE10ELNS1_11target_archE1201ELNS1_3gpuE5ELNS1_3repE0EEENS1_30default_config_static_selectorELNS0_4arch9wavefront6targetE1EEEvT1_,comdat
	.protected	_ZN7rocprim17ROCPRIM_400000_NS6detail17trampoline_kernelINS0_14default_configENS1_27scan_by_key_config_selectorIifEEZZNS1_16scan_by_key_implILNS1_25lookback_scan_determinismE0ELb1ES3_N6thrust23THRUST_200600_302600_NS6detail15normal_iteratorINS9_10device_ptrIiEEEENSB_INSC_IjEEEENSB_INSC_IfEEEEfNS9_4plusIvEENS9_8equal_toIvEEfEE10hipError_tPvRmT2_T3_T4_T5_mT6_T7_P12ihipStream_tbENKUlT_T0_E_clISt17integral_constantIbLb1EES12_IbLb0EEEEDaSY_SZ_EUlSY_E_NS1_11comp_targetILNS1_3genE10ELNS1_11target_archE1201ELNS1_3gpuE5ELNS1_3repE0EEENS1_30default_config_static_selectorELNS0_4arch9wavefront6targetE1EEEvT1_ ; -- Begin function _ZN7rocprim17ROCPRIM_400000_NS6detail17trampoline_kernelINS0_14default_configENS1_27scan_by_key_config_selectorIifEEZZNS1_16scan_by_key_implILNS1_25lookback_scan_determinismE0ELb1ES3_N6thrust23THRUST_200600_302600_NS6detail15normal_iteratorINS9_10device_ptrIiEEEENSB_INSC_IjEEEENSB_INSC_IfEEEEfNS9_4plusIvEENS9_8equal_toIvEEfEE10hipError_tPvRmT2_T3_T4_T5_mT6_T7_P12ihipStream_tbENKUlT_T0_E_clISt17integral_constantIbLb1EES12_IbLb0EEEEDaSY_SZ_EUlSY_E_NS1_11comp_targetILNS1_3genE10ELNS1_11target_archE1201ELNS1_3gpuE5ELNS1_3repE0EEENS1_30default_config_static_selectorELNS0_4arch9wavefront6targetE1EEEvT1_
	.globl	_ZN7rocprim17ROCPRIM_400000_NS6detail17trampoline_kernelINS0_14default_configENS1_27scan_by_key_config_selectorIifEEZZNS1_16scan_by_key_implILNS1_25lookback_scan_determinismE0ELb1ES3_N6thrust23THRUST_200600_302600_NS6detail15normal_iteratorINS9_10device_ptrIiEEEENSB_INSC_IjEEEENSB_INSC_IfEEEEfNS9_4plusIvEENS9_8equal_toIvEEfEE10hipError_tPvRmT2_T3_T4_T5_mT6_T7_P12ihipStream_tbENKUlT_T0_E_clISt17integral_constantIbLb1EES12_IbLb0EEEEDaSY_SZ_EUlSY_E_NS1_11comp_targetILNS1_3genE10ELNS1_11target_archE1201ELNS1_3gpuE5ELNS1_3repE0EEENS1_30default_config_static_selectorELNS0_4arch9wavefront6targetE1EEEvT1_
	.p2align	8
	.type	_ZN7rocprim17ROCPRIM_400000_NS6detail17trampoline_kernelINS0_14default_configENS1_27scan_by_key_config_selectorIifEEZZNS1_16scan_by_key_implILNS1_25lookback_scan_determinismE0ELb1ES3_N6thrust23THRUST_200600_302600_NS6detail15normal_iteratorINS9_10device_ptrIiEEEENSB_INSC_IjEEEENSB_INSC_IfEEEEfNS9_4plusIvEENS9_8equal_toIvEEfEE10hipError_tPvRmT2_T3_T4_T5_mT6_T7_P12ihipStream_tbENKUlT_T0_E_clISt17integral_constantIbLb1EES12_IbLb0EEEEDaSY_SZ_EUlSY_E_NS1_11comp_targetILNS1_3genE10ELNS1_11target_archE1201ELNS1_3gpuE5ELNS1_3repE0EEENS1_30default_config_static_selectorELNS0_4arch9wavefront6targetE1EEEvT1_,@function
_ZN7rocprim17ROCPRIM_400000_NS6detail17trampoline_kernelINS0_14default_configENS1_27scan_by_key_config_selectorIifEEZZNS1_16scan_by_key_implILNS1_25lookback_scan_determinismE0ELb1ES3_N6thrust23THRUST_200600_302600_NS6detail15normal_iteratorINS9_10device_ptrIiEEEENSB_INSC_IjEEEENSB_INSC_IfEEEEfNS9_4plusIvEENS9_8equal_toIvEEfEE10hipError_tPvRmT2_T3_T4_T5_mT6_T7_P12ihipStream_tbENKUlT_T0_E_clISt17integral_constantIbLb1EES12_IbLb0EEEEDaSY_SZ_EUlSY_E_NS1_11comp_targetILNS1_3genE10ELNS1_11target_archE1201ELNS1_3gpuE5ELNS1_3repE0EEENS1_30default_config_static_selectorELNS0_4arch9wavefront6targetE1EEEvT1_: ; @_ZN7rocprim17ROCPRIM_400000_NS6detail17trampoline_kernelINS0_14default_configENS1_27scan_by_key_config_selectorIifEEZZNS1_16scan_by_key_implILNS1_25lookback_scan_determinismE0ELb1ES3_N6thrust23THRUST_200600_302600_NS6detail15normal_iteratorINS9_10device_ptrIiEEEENSB_INSC_IjEEEENSB_INSC_IfEEEEfNS9_4plusIvEENS9_8equal_toIvEEfEE10hipError_tPvRmT2_T3_T4_T5_mT6_T7_P12ihipStream_tbENKUlT_T0_E_clISt17integral_constantIbLb1EES12_IbLb0EEEEDaSY_SZ_EUlSY_E_NS1_11comp_targetILNS1_3genE10ELNS1_11target_archE1201ELNS1_3gpuE5ELNS1_3repE0EEENS1_30default_config_static_selectorELNS0_4arch9wavefront6targetE1EEEvT1_
; %bb.0:
	.section	.rodata,"a",@progbits
	.p2align	6, 0x0
	.amdhsa_kernel _ZN7rocprim17ROCPRIM_400000_NS6detail17trampoline_kernelINS0_14default_configENS1_27scan_by_key_config_selectorIifEEZZNS1_16scan_by_key_implILNS1_25lookback_scan_determinismE0ELb1ES3_N6thrust23THRUST_200600_302600_NS6detail15normal_iteratorINS9_10device_ptrIiEEEENSB_INSC_IjEEEENSB_INSC_IfEEEEfNS9_4plusIvEENS9_8equal_toIvEEfEE10hipError_tPvRmT2_T3_T4_T5_mT6_T7_P12ihipStream_tbENKUlT_T0_E_clISt17integral_constantIbLb1EES12_IbLb0EEEEDaSY_SZ_EUlSY_E_NS1_11comp_targetILNS1_3genE10ELNS1_11target_archE1201ELNS1_3gpuE5ELNS1_3repE0EEENS1_30default_config_static_selectorELNS0_4arch9wavefront6targetE1EEEvT1_
		.amdhsa_group_segment_fixed_size 0
		.amdhsa_private_segment_fixed_size 0
		.amdhsa_kernarg_size 112
		.amdhsa_user_sgpr_count 6
		.amdhsa_user_sgpr_private_segment_buffer 1
		.amdhsa_user_sgpr_dispatch_ptr 0
		.amdhsa_user_sgpr_queue_ptr 0
		.amdhsa_user_sgpr_kernarg_segment_ptr 1
		.amdhsa_user_sgpr_dispatch_id 0
		.amdhsa_user_sgpr_flat_scratch_init 0
		.amdhsa_user_sgpr_kernarg_preload_length 0
		.amdhsa_user_sgpr_kernarg_preload_offset 0
		.amdhsa_user_sgpr_private_segment_size 0
		.amdhsa_uses_dynamic_stack 0
		.amdhsa_system_sgpr_private_segment_wavefront_offset 0
		.amdhsa_system_sgpr_workgroup_id_x 1
		.amdhsa_system_sgpr_workgroup_id_y 0
		.amdhsa_system_sgpr_workgroup_id_z 0
		.amdhsa_system_sgpr_workgroup_info 0
		.amdhsa_system_vgpr_workitem_id 0
		.amdhsa_next_free_vgpr 1
		.amdhsa_next_free_sgpr 0
		.amdhsa_accum_offset 4
		.amdhsa_reserve_vcc 0
		.amdhsa_reserve_flat_scratch 0
		.amdhsa_float_round_mode_32 0
		.amdhsa_float_round_mode_16_64 0
		.amdhsa_float_denorm_mode_32 3
		.amdhsa_float_denorm_mode_16_64 3
		.amdhsa_dx10_clamp 1
		.amdhsa_ieee_mode 1
		.amdhsa_fp16_overflow 0
		.amdhsa_tg_split 0
		.amdhsa_exception_fp_ieee_invalid_op 0
		.amdhsa_exception_fp_denorm_src 0
		.amdhsa_exception_fp_ieee_div_zero 0
		.amdhsa_exception_fp_ieee_overflow 0
		.amdhsa_exception_fp_ieee_underflow 0
		.amdhsa_exception_fp_ieee_inexact 0
		.amdhsa_exception_int_div_zero 0
	.end_amdhsa_kernel
	.section	.text._ZN7rocprim17ROCPRIM_400000_NS6detail17trampoline_kernelINS0_14default_configENS1_27scan_by_key_config_selectorIifEEZZNS1_16scan_by_key_implILNS1_25lookback_scan_determinismE0ELb1ES3_N6thrust23THRUST_200600_302600_NS6detail15normal_iteratorINS9_10device_ptrIiEEEENSB_INSC_IjEEEENSB_INSC_IfEEEEfNS9_4plusIvEENS9_8equal_toIvEEfEE10hipError_tPvRmT2_T3_T4_T5_mT6_T7_P12ihipStream_tbENKUlT_T0_E_clISt17integral_constantIbLb1EES12_IbLb0EEEEDaSY_SZ_EUlSY_E_NS1_11comp_targetILNS1_3genE10ELNS1_11target_archE1201ELNS1_3gpuE5ELNS1_3repE0EEENS1_30default_config_static_selectorELNS0_4arch9wavefront6targetE1EEEvT1_,"axG",@progbits,_ZN7rocprim17ROCPRIM_400000_NS6detail17trampoline_kernelINS0_14default_configENS1_27scan_by_key_config_selectorIifEEZZNS1_16scan_by_key_implILNS1_25lookback_scan_determinismE0ELb1ES3_N6thrust23THRUST_200600_302600_NS6detail15normal_iteratorINS9_10device_ptrIiEEEENSB_INSC_IjEEEENSB_INSC_IfEEEEfNS9_4plusIvEENS9_8equal_toIvEEfEE10hipError_tPvRmT2_T3_T4_T5_mT6_T7_P12ihipStream_tbENKUlT_T0_E_clISt17integral_constantIbLb1EES12_IbLb0EEEEDaSY_SZ_EUlSY_E_NS1_11comp_targetILNS1_3genE10ELNS1_11target_archE1201ELNS1_3gpuE5ELNS1_3repE0EEENS1_30default_config_static_selectorELNS0_4arch9wavefront6targetE1EEEvT1_,comdat
.Lfunc_end1699:
	.size	_ZN7rocprim17ROCPRIM_400000_NS6detail17trampoline_kernelINS0_14default_configENS1_27scan_by_key_config_selectorIifEEZZNS1_16scan_by_key_implILNS1_25lookback_scan_determinismE0ELb1ES3_N6thrust23THRUST_200600_302600_NS6detail15normal_iteratorINS9_10device_ptrIiEEEENSB_INSC_IjEEEENSB_INSC_IfEEEEfNS9_4plusIvEENS9_8equal_toIvEEfEE10hipError_tPvRmT2_T3_T4_T5_mT6_T7_P12ihipStream_tbENKUlT_T0_E_clISt17integral_constantIbLb1EES12_IbLb0EEEEDaSY_SZ_EUlSY_E_NS1_11comp_targetILNS1_3genE10ELNS1_11target_archE1201ELNS1_3gpuE5ELNS1_3repE0EEENS1_30default_config_static_selectorELNS0_4arch9wavefront6targetE1EEEvT1_, .Lfunc_end1699-_ZN7rocprim17ROCPRIM_400000_NS6detail17trampoline_kernelINS0_14default_configENS1_27scan_by_key_config_selectorIifEEZZNS1_16scan_by_key_implILNS1_25lookback_scan_determinismE0ELb1ES3_N6thrust23THRUST_200600_302600_NS6detail15normal_iteratorINS9_10device_ptrIiEEEENSB_INSC_IjEEEENSB_INSC_IfEEEEfNS9_4plusIvEENS9_8equal_toIvEEfEE10hipError_tPvRmT2_T3_T4_T5_mT6_T7_P12ihipStream_tbENKUlT_T0_E_clISt17integral_constantIbLb1EES12_IbLb0EEEEDaSY_SZ_EUlSY_E_NS1_11comp_targetILNS1_3genE10ELNS1_11target_archE1201ELNS1_3gpuE5ELNS1_3repE0EEENS1_30default_config_static_selectorELNS0_4arch9wavefront6targetE1EEEvT1_
                                        ; -- End function
	.section	.AMDGPU.csdata,"",@progbits
; Kernel info:
; codeLenInByte = 0
; NumSgprs: 4
; NumVgprs: 0
; NumAgprs: 0
; TotalNumVgprs: 0
; ScratchSize: 0
; MemoryBound: 0
; FloatMode: 240
; IeeeMode: 1
; LDSByteSize: 0 bytes/workgroup (compile time only)
; SGPRBlocks: 0
; VGPRBlocks: 0
; NumSGPRsForWavesPerEU: 4
; NumVGPRsForWavesPerEU: 1
; AccumOffset: 4
; Occupancy: 8
; WaveLimiterHint : 0
; COMPUTE_PGM_RSRC2:SCRATCH_EN: 0
; COMPUTE_PGM_RSRC2:USER_SGPR: 6
; COMPUTE_PGM_RSRC2:TRAP_HANDLER: 0
; COMPUTE_PGM_RSRC2:TGID_X_EN: 1
; COMPUTE_PGM_RSRC2:TGID_Y_EN: 0
; COMPUTE_PGM_RSRC2:TGID_Z_EN: 0
; COMPUTE_PGM_RSRC2:TIDIG_COMP_CNT: 0
; COMPUTE_PGM_RSRC3_GFX90A:ACCUM_OFFSET: 0
; COMPUTE_PGM_RSRC3_GFX90A:TG_SPLIT: 0
	.section	.text._ZN7rocprim17ROCPRIM_400000_NS6detail17trampoline_kernelINS0_14default_configENS1_27scan_by_key_config_selectorIifEEZZNS1_16scan_by_key_implILNS1_25lookback_scan_determinismE0ELb1ES3_N6thrust23THRUST_200600_302600_NS6detail15normal_iteratorINS9_10device_ptrIiEEEENSB_INSC_IjEEEENSB_INSC_IfEEEEfNS9_4plusIvEENS9_8equal_toIvEEfEE10hipError_tPvRmT2_T3_T4_T5_mT6_T7_P12ihipStream_tbENKUlT_T0_E_clISt17integral_constantIbLb1EES12_IbLb0EEEEDaSY_SZ_EUlSY_E_NS1_11comp_targetILNS1_3genE5ELNS1_11target_archE942ELNS1_3gpuE9ELNS1_3repE0EEENS1_30default_config_static_selectorELNS0_4arch9wavefront6targetE1EEEvT1_,"axG",@progbits,_ZN7rocprim17ROCPRIM_400000_NS6detail17trampoline_kernelINS0_14default_configENS1_27scan_by_key_config_selectorIifEEZZNS1_16scan_by_key_implILNS1_25lookback_scan_determinismE0ELb1ES3_N6thrust23THRUST_200600_302600_NS6detail15normal_iteratorINS9_10device_ptrIiEEEENSB_INSC_IjEEEENSB_INSC_IfEEEEfNS9_4plusIvEENS9_8equal_toIvEEfEE10hipError_tPvRmT2_T3_T4_T5_mT6_T7_P12ihipStream_tbENKUlT_T0_E_clISt17integral_constantIbLb1EES12_IbLb0EEEEDaSY_SZ_EUlSY_E_NS1_11comp_targetILNS1_3genE5ELNS1_11target_archE942ELNS1_3gpuE9ELNS1_3repE0EEENS1_30default_config_static_selectorELNS0_4arch9wavefront6targetE1EEEvT1_,comdat
	.protected	_ZN7rocprim17ROCPRIM_400000_NS6detail17trampoline_kernelINS0_14default_configENS1_27scan_by_key_config_selectorIifEEZZNS1_16scan_by_key_implILNS1_25lookback_scan_determinismE0ELb1ES3_N6thrust23THRUST_200600_302600_NS6detail15normal_iteratorINS9_10device_ptrIiEEEENSB_INSC_IjEEEENSB_INSC_IfEEEEfNS9_4plusIvEENS9_8equal_toIvEEfEE10hipError_tPvRmT2_T3_T4_T5_mT6_T7_P12ihipStream_tbENKUlT_T0_E_clISt17integral_constantIbLb1EES12_IbLb0EEEEDaSY_SZ_EUlSY_E_NS1_11comp_targetILNS1_3genE5ELNS1_11target_archE942ELNS1_3gpuE9ELNS1_3repE0EEENS1_30default_config_static_selectorELNS0_4arch9wavefront6targetE1EEEvT1_ ; -- Begin function _ZN7rocprim17ROCPRIM_400000_NS6detail17trampoline_kernelINS0_14default_configENS1_27scan_by_key_config_selectorIifEEZZNS1_16scan_by_key_implILNS1_25lookback_scan_determinismE0ELb1ES3_N6thrust23THRUST_200600_302600_NS6detail15normal_iteratorINS9_10device_ptrIiEEEENSB_INSC_IjEEEENSB_INSC_IfEEEEfNS9_4plusIvEENS9_8equal_toIvEEfEE10hipError_tPvRmT2_T3_T4_T5_mT6_T7_P12ihipStream_tbENKUlT_T0_E_clISt17integral_constantIbLb1EES12_IbLb0EEEEDaSY_SZ_EUlSY_E_NS1_11comp_targetILNS1_3genE5ELNS1_11target_archE942ELNS1_3gpuE9ELNS1_3repE0EEENS1_30default_config_static_selectorELNS0_4arch9wavefront6targetE1EEEvT1_
	.globl	_ZN7rocprim17ROCPRIM_400000_NS6detail17trampoline_kernelINS0_14default_configENS1_27scan_by_key_config_selectorIifEEZZNS1_16scan_by_key_implILNS1_25lookback_scan_determinismE0ELb1ES3_N6thrust23THRUST_200600_302600_NS6detail15normal_iteratorINS9_10device_ptrIiEEEENSB_INSC_IjEEEENSB_INSC_IfEEEEfNS9_4plusIvEENS9_8equal_toIvEEfEE10hipError_tPvRmT2_T3_T4_T5_mT6_T7_P12ihipStream_tbENKUlT_T0_E_clISt17integral_constantIbLb1EES12_IbLb0EEEEDaSY_SZ_EUlSY_E_NS1_11comp_targetILNS1_3genE5ELNS1_11target_archE942ELNS1_3gpuE9ELNS1_3repE0EEENS1_30default_config_static_selectorELNS0_4arch9wavefront6targetE1EEEvT1_
	.p2align	8
	.type	_ZN7rocprim17ROCPRIM_400000_NS6detail17trampoline_kernelINS0_14default_configENS1_27scan_by_key_config_selectorIifEEZZNS1_16scan_by_key_implILNS1_25lookback_scan_determinismE0ELb1ES3_N6thrust23THRUST_200600_302600_NS6detail15normal_iteratorINS9_10device_ptrIiEEEENSB_INSC_IjEEEENSB_INSC_IfEEEEfNS9_4plusIvEENS9_8equal_toIvEEfEE10hipError_tPvRmT2_T3_T4_T5_mT6_T7_P12ihipStream_tbENKUlT_T0_E_clISt17integral_constantIbLb1EES12_IbLb0EEEEDaSY_SZ_EUlSY_E_NS1_11comp_targetILNS1_3genE5ELNS1_11target_archE942ELNS1_3gpuE9ELNS1_3repE0EEENS1_30default_config_static_selectorELNS0_4arch9wavefront6targetE1EEEvT1_,@function
_ZN7rocprim17ROCPRIM_400000_NS6detail17trampoline_kernelINS0_14default_configENS1_27scan_by_key_config_selectorIifEEZZNS1_16scan_by_key_implILNS1_25lookback_scan_determinismE0ELb1ES3_N6thrust23THRUST_200600_302600_NS6detail15normal_iteratorINS9_10device_ptrIiEEEENSB_INSC_IjEEEENSB_INSC_IfEEEEfNS9_4plusIvEENS9_8equal_toIvEEfEE10hipError_tPvRmT2_T3_T4_T5_mT6_T7_P12ihipStream_tbENKUlT_T0_E_clISt17integral_constantIbLb1EES12_IbLb0EEEEDaSY_SZ_EUlSY_E_NS1_11comp_targetILNS1_3genE5ELNS1_11target_archE942ELNS1_3gpuE9ELNS1_3repE0EEENS1_30default_config_static_selectorELNS0_4arch9wavefront6targetE1EEEvT1_: ; @_ZN7rocprim17ROCPRIM_400000_NS6detail17trampoline_kernelINS0_14default_configENS1_27scan_by_key_config_selectorIifEEZZNS1_16scan_by_key_implILNS1_25lookback_scan_determinismE0ELb1ES3_N6thrust23THRUST_200600_302600_NS6detail15normal_iteratorINS9_10device_ptrIiEEEENSB_INSC_IjEEEENSB_INSC_IfEEEEfNS9_4plusIvEENS9_8equal_toIvEEfEE10hipError_tPvRmT2_T3_T4_T5_mT6_T7_P12ihipStream_tbENKUlT_T0_E_clISt17integral_constantIbLb1EES12_IbLb0EEEEDaSY_SZ_EUlSY_E_NS1_11comp_targetILNS1_3genE5ELNS1_11target_archE942ELNS1_3gpuE9ELNS1_3repE0EEENS1_30default_config_static_selectorELNS0_4arch9wavefront6targetE1EEEvT1_
; %bb.0:
	.section	.rodata,"a",@progbits
	.p2align	6, 0x0
	.amdhsa_kernel _ZN7rocprim17ROCPRIM_400000_NS6detail17trampoline_kernelINS0_14default_configENS1_27scan_by_key_config_selectorIifEEZZNS1_16scan_by_key_implILNS1_25lookback_scan_determinismE0ELb1ES3_N6thrust23THRUST_200600_302600_NS6detail15normal_iteratorINS9_10device_ptrIiEEEENSB_INSC_IjEEEENSB_INSC_IfEEEEfNS9_4plusIvEENS9_8equal_toIvEEfEE10hipError_tPvRmT2_T3_T4_T5_mT6_T7_P12ihipStream_tbENKUlT_T0_E_clISt17integral_constantIbLb1EES12_IbLb0EEEEDaSY_SZ_EUlSY_E_NS1_11comp_targetILNS1_3genE5ELNS1_11target_archE942ELNS1_3gpuE9ELNS1_3repE0EEENS1_30default_config_static_selectorELNS0_4arch9wavefront6targetE1EEEvT1_
		.amdhsa_group_segment_fixed_size 0
		.amdhsa_private_segment_fixed_size 0
		.amdhsa_kernarg_size 112
		.amdhsa_user_sgpr_count 6
		.amdhsa_user_sgpr_private_segment_buffer 1
		.amdhsa_user_sgpr_dispatch_ptr 0
		.amdhsa_user_sgpr_queue_ptr 0
		.amdhsa_user_sgpr_kernarg_segment_ptr 1
		.amdhsa_user_sgpr_dispatch_id 0
		.amdhsa_user_sgpr_flat_scratch_init 0
		.amdhsa_user_sgpr_kernarg_preload_length 0
		.amdhsa_user_sgpr_kernarg_preload_offset 0
		.amdhsa_user_sgpr_private_segment_size 0
		.amdhsa_uses_dynamic_stack 0
		.amdhsa_system_sgpr_private_segment_wavefront_offset 0
		.amdhsa_system_sgpr_workgroup_id_x 1
		.amdhsa_system_sgpr_workgroup_id_y 0
		.amdhsa_system_sgpr_workgroup_id_z 0
		.amdhsa_system_sgpr_workgroup_info 0
		.amdhsa_system_vgpr_workitem_id 0
		.amdhsa_next_free_vgpr 1
		.amdhsa_next_free_sgpr 0
		.amdhsa_accum_offset 4
		.amdhsa_reserve_vcc 0
		.amdhsa_reserve_flat_scratch 0
		.amdhsa_float_round_mode_32 0
		.amdhsa_float_round_mode_16_64 0
		.amdhsa_float_denorm_mode_32 3
		.amdhsa_float_denorm_mode_16_64 3
		.amdhsa_dx10_clamp 1
		.amdhsa_ieee_mode 1
		.amdhsa_fp16_overflow 0
		.amdhsa_tg_split 0
		.amdhsa_exception_fp_ieee_invalid_op 0
		.amdhsa_exception_fp_denorm_src 0
		.amdhsa_exception_fp_ieee_div_zero 0
		.amdhsa_exception_fp_ieee_overflow 0
		.amdhsa_exception_fp_ieee_underflow 0
		.amdhsa_exception_fp_ieee_inexact 0
		.amdhsa_exception_int_div_zero 0
	.end_amdhsa_kernel
	.section	.text._ZN7rocprim17ROCPRIM_400000_NS6detail17trampoline_kernelINS0_14default_configENS1_27scan_by_key_config_selectorIifEEZZNS1_16scan_by_key_implILNS1_25lookback_scan_determinismE0ELb1ES3_N6thrust23THRUST_200600_302600_NS6detail15normal_iteratorINS9_10device_ptrIiEEEENSB_INSC_IjEEEENSB_INSC_IfEEEEfNS9_4plusIvEENS9_8equal_toIvEEfEE10hipError_tPvRmT2_T3_T4_T5_mT6_T7_P12ihipStream_tbENKUlT_T0_E_clISt17integral_constantIbLb1EES12_IbLb0EEEEDaSY_SZ_EUlSY_E_NS1_11comp_targetILNS1_3genE5ELNS1_11target_archE942ELNS1_3gpuE9ELNS1_3repE0EEENS1_30default_config_static_selectorELNS0_4arch9wavefront6targetE1EEEvT1_,"axG",@progbits,_ZN7rocprim17ROCPRIM_400000_NS6detail17trampoline_kernelINS0_14default_configENS1_27scan_by_key_config_selectorIifEEZZNS1_16scan_by_key_implILNS1_25lookback_scan_determinismE0ELb1ES3_N6thrust23THRUST_200600_302600_NS6detail15normal_iteratorINS9_10device_ptrIiEEEENSB_INSC_IjEEEENSB_INSC_IfEEEEfNS9_4plusIvEENS9_8equal_toIvEEfEE10hipError_tPvRmT2_T3_T4_T5_mT6_T7_P12ihipStream_tbENKUlT_T0_E_clISt17integral_constantIbLb1EES12_IbLb0EEEEDaSY_SZ_EUlSY_E_NS1_11comp_targetILNS1_3genE5ELNS1_11target_archE942ELNS1_3gpuE9ELNS1_3repE0EEENS1_30default_config_static_selectorELNS0_4arch9wavefront6targetE1EEEvT1_,comdat
.Lfunc_end1700:
	.size	_ZN7rocprim17ROCPRIM_400000_NS6detail17trampoline_kernelINS0_14default_configENS1_27scan_by_key_config_selectorIifEEZZNS1_16scan_by_key_implILNS1_25lookback_scan_determinismE0ELb1ES3_N6thrust23THRUST_200600_302600_NS6detail15normal_iteratorINS9_10device_ptrIiEEEENSB_INSC_IjEEEENSB_INSC_IfEEEEfNS9_4plusIvEENS9_8equal_toIvEEfEE10hipError_tPvRmT2_T3_T4_T5_mT6_T7_P12ihipStream_tbENKUlT_T0_E_clISt17integral_constantIbLb1EES12_IbLb0EEEEDaSY_SZ_EUlSY_E_NS1_11comp_targetILNS1_3genE5ELNS1_11target_archE942ELNS1_3gpuE9ELNS1_3repE0EEENS1_30default_config_static_selectorELNS0_4arch9wavefront6targetE1EEEvT1_, .Lfunc_end1700-_ZN7rocprim17ROCPRIM_400000_NS6detail17trampoline_kernelINS0_14default_configENS1_27scan_by_key_config_selectorIifEEZZNS1_16scan_by_key_implILNS1_25lookback_scan_determinismE0ELb1ES3_N6thrust23THRUST_200600_302600_NS6detail15normal_iteratorINS9_10device_ptrIiEEEENSB_INSC_IjEEEENSB_INSC_IfEEEEfNS9_4plusIvEENS9_8equal_toIvEEfEE10hipError_tPvRmT2_T3_T4_T5_mT6_T7_P12ihipStream_tbENKUlT_T0_E_clISt17integral_constantIbLb1EES12_IbLb0EEEEDaSY_SZ_EUlSY_E_NS1_11comp_targetILNS1_3genE5ELNS1_11target_archE942ELNS1_3gpuE9ELNS1_3repE0EEENS1_30default_config_static_selectorELNS0_4arch9wavefront6targetE1EEEvT1_
                                        ; -- End function
	.section	.AMDGPU.csdata,"",@progbits
; Kernel info:
; codeLenInByte = 0
; NumSgprs: 4
; NumVgprs: 0
; NumAgprs: 0
; TotalNumVgprs: 0
; ScratchSize: 0
; MemoryBound: 0
; FloatMode: 240
; IeeeMode: 1
; LDSByteSize: 0 bytes/workgroup (compile time only)
; SGPRBlocks: 0
; VGPRBlocks: 0
; NumSGPRsForWavesPerEU: 4
; NumVGPRsForWavesPerEU: 1
; AccumOffset: 4
; Occupancy: 8
; WaveLimiterHint : 0
; COMPUTE_PGM_RSRC2:SCRATCH_EN: 0
; COMPUTE_PGM_RSRC2:USER_SGPR: 6
; COMPUTE_PGM_RSRC2:TRAP_HANDLER: 0
; COMPUTE_PGM_RSRC2:TGID_X_EN: 1
; COMPUTE_PGM_RSRC2:TGID_Y_EN: 0
; COMPUTE_PGM_RSRC2:TGID_Z_EN: 0
; COMPUTE_PGM_RSRC2:TIDIG_COMP_CNT: 0
; COMPUTE_PGM_RSRC3_GFX90A:ACCUM_OFFSET: 0
; COMPUTE_PGM_RSRC3_GFX90A:TG_SPLIT: 0
	.section	.text._ZN7rocprim17ROCPRIM_400000_NS6detail17trampoline_kernelINS0_14default_configENS1_27scan_by_key_config_selectorIifEEZZNS1_16scan_by_key_implILNS1_25lookback_scan_determinismE0ELb1ES3_N6thrust23THRUST_200600_302600_NS6detail15normal_iteratorINS9_10device_ptrIiEEEENSB_INSC_IjEEEENSB_INSC_IfEEEEfNS9_4plusIvEENS9_8equal_toIvEEfEE10hipError_tPvRmT2_T3_T4_T5_mT6_T7_P12ihipStream_tbENKUlT_T0_E_clISt17integral_constantIbLb1EES12_IbLb0EEEEDaSY_SZ_EUlSY_E_NS1_11comp_targetILNS1_3genE4ELNS1_11target_archE910ELNS1_3gpuE8ELNS1_3repE0EEENS1_30default_config_static_selectorELNS0_4arch9wavefront6targetE1EEEvT1_,"axG",@progbits,_ZN7rocprim17ROCPRIM_400000_NS6detail17trampoline_kernelINS0_14default_configENS1_27scan_by_key_config_selectorIifEEZZNS1_16scan_by_key_implILNS1_25lookback_scan_determinismE0ELb1ES3_N6thrust23THRUST_200600_302600_NS6detail15normal_iteratorINS9_10device_ptrIiEEEENSB_INSC_IjEEEENSB_INSC_IfEEEEfNS9_4plusIvEENS9_8equal_toIvEEfEE10hipError_tPvRmT2_T3_T4_T5_mT6_T7_P12ihipStream_tbENKUlT_T0_E_clISt17integral_constantIbLb1EES12_IbLb0EEEEDaSY_SZ_EUlSY_E_NS1_11comp_targetILNS1_3genE4ELNS1_11target_archE910ELNS1_3gpuE8ELNS1_3repE0EEENS1_30default_config_static_selectorELNS0_4arch9wavefront6targetE1EEEvT1_,comdat
	.protected	_ZN7rocprim17ROCPRIM_400000_NS6detail17trampoline_kernelINS0_14default_configENS1_27scan_by_key_config_selectorIifEEZZNS1_16scan_by_key_implILNS1_25lookback_scan_determinismE0ELb1ES3_N6thrust23THRUST_200600_302600_NS6detail15normal_iteratorINS9_10device_ptrIiEEEENSB_INSC_IjEEEENSB_INSC_IfEEEEfNS9_4plusIvEENS9_8equal_toIvEEfEE10hipError_tPvRmT2_T3_T4_T5_mT6_T7_P12ihipStream_tbENKUlT_T0_E_clISt17integral_constantIbLb1EES12_IbLb0EEEEDaSY_SZ_EUlSY_E_NS1_11comp_targetILNS1_3genE4ELNS1_11target_archE910ELNS1_3gpuE8ELNS1_3repE0EEENS1_30default_config_static_selectorELNS0_4arch9wavefront6targetE1EEEvT1_ ; -- Begin function _ZN7rocprim17ROCPRIM_400000_NS6detail17trampoline_kernelINS0_14default_configENS1_27scan_by_key_config_selectorIifEEZZNS1_16scan_by_key_implILNS1_25lookback_scan_determinismE0ELb1ES3_N6thrust23THRUST_200600_302600_NS6detail15normal_iteratorINS9_10device_ptrIiEEEENSB_INSC_IjEEEENSB_INSC_IfEEEEfNS9_4plusIvEENS9_8equal_toIvEEfEE10hipError_tPvRmT2_T3_T4_T5_mT6_T7_P12ihipStream_tbENKUlT_T0_E_clISt17integral_constantIbLb1EES12_IbLb0EEEEDaSY_SZ_EUlSY_E_NS1_11comp_targetILNS1_3genE4ELNS1_11target_archE910ELNS1_3gpuE8ELNS1_3repE0EEENS1_30default_config_static_selectorELNS0_4arch9wavefront6targetE1EEEvT1_
	.globl	_ZN7rocprim17ROCPRIM_400000_NS6detail17trampoline_kernelINS0_14default_configENS1_27scan_by_key_config_selectorIifEEZZNS1_16scan_by_key_implILNS1_25lookback_scan_determinismE0ELb1ES3_N6thrust23THRUST_200600_302600_NS6detail15normal_iteratorINS9_10device_ptrIiEEEENSB_INSC_IjEEEENSB_INSC_IfEEEEfNS9_4plusIvEENS9_8equal_toIvEEfEE10hipError_tPvRmT2_T3_T4_T5_mT6_T7_P12ihipStream_tbENKUlT_T0_E_clISt17integral_constantIbLb1EES12_IbLb0EEEEDaSY_SZ_EUlSY_E_NS1_11comp_targetILNS1_3genE4ELNS1_11target_archE910ELNS1_3gpuE8ELNS1_3repE0EEENS1_30default_config_static_selectorELNS0_4arch9wavefront6targetE1EEEvT1_
	.p2align	8
	.type	_ZN7rocprim17ROCPRIM_400000_NS6detail17trampoline_kernelINS0_14default_configENS1_27scan_by_key_config_selectorIifEEZZNS1_16scan_by_key_implILNS1_25lookback_scan_determinismE0ELb1ES3_N6thrust23THRUST_200600_302600_NS6detail15normal_iteratorINS9_10device_ptrIiEEEENSB_INSC_IjEEEENSB_INSC_IfEEEEfNS9_4plusIvEENS9_8equal_toIvEEfEE10hipError_tPvRmT2_T3_T4_T5_mT6_T7_P12ihipStream_tbENKUlT_T0_E_clISt17integral_constantIbLb1EES12_IbLb0EEEEDaSY_SZ_EUlSY_E_NS1_11comp_targetILNS1_3genE4ELNS1_11target_archE910ELNS1_3gpuE8ELNS1_3repE0EEENS1_30default_config_static_selectorELNS0_4arch9wavefront6targetE1EEEvT1_,@function
_ZN7rocprim17ROCPRIM_400000_NS6detail17trampoline_kernelINS0_14default_configENS1_27scan_by_key_config_selectorIifEEZZNS1_16scan_by_key_implILNS1_25lookback_scan_determinismE0ELb1ES3_N6thrust23THRUST_200600_302600_NS6detail15normal_iteratorINS9_10device_ptrIiEEEENSB_INSC_IjEEEENSB_INSC_IfEEEEfNS9_4plusIvEENS9_8equal_toIvEEfEE10hipError_tPvRmT2_T3_T4_T5_mT6_T7_P12ihipStream_tbENKUlT_T0_E_clISt17integral_constantIbLb1EES12_IbLb0EEEEDaSY_SZ_EUlSY_E_NS1_11comp_targetILNS1_3genE4ELNS1_11target_archE910ELNS1_3gpuE8ELNS1_3repE0EEENS1_30default_config_static_selectorELNS0_4arch9wavefront6targetE1EEEvT1_: ; @_ZN7rocprim17ROCPRIM_400000_NS6detail17trampoline_kernelINS0_14default_configENS1_27scan_by_key_config_selectorIifEEZZNS1_16scan_by_key_implILNS1_25lookback_scan_determinismE0ELb1ES3_N6thrust23THRUST_200600_302600_NS6detail15normal_iteratorINS9_10device_ptrIiEEEENSB_INSC_IjEEEENSB_INSC_IfEEEEfNS9_4plusIvEENS9_8equal_toIvEEfEE10hipError_tPvRmT2_T3_T4_T5_mT6_T7_P12ihipStream_tbENKUlT_T0_E_clISt17integral_constantIbLb1EES12_IbLb0EEEEDaSY_SZ_EUlSY_E_NS1_11comp_targetILNS1_3genE4ELNS1_11target_archE910ELNS1_3gpuE8ELNS1_3repE0EEENS1_30default_config_static_selectorELNS0_4arch9wavefront6targetE1EEEvT1_
; %bb.0:
	s_load_dwordx8 s[36:43], s[4:5], 0x0
	s_load_dword s7, s[4:5], 0x20
	s_load_dwordx4 s[44:47], s[4:5], 0x28
	s_load_dwordx2 s[52:53], s[4:5], 0x38
	s_load_dword s0, s[4:5], 0x40
	s_load_dwordx4 s[48:51], s[4:5], 0x48
	s_waitcnt lgkmcnt(0)
	s_lshl_b64 s[34:35], s[38:39], 2
	s_add_u32 s2, s36, s34
	s_addc_u32 s3, s37, s35
	s_add_u32 s4, s40, s34
	s_mul_i32 s1, s53, s0
	s_mul_hi_u32 s8, s52, s0
	s_addc_u32 s5, s41, s35
	s_add_i32 s8, s8, s1
	s_mul_i32 s9, s52, s0
	s_mul_i32 s0, s6, 0xe00
	s_mov_b32 s1, 0
	s_lshl_b64 s[36:37], s[0:1], 2
	s_add_u32 s38, s2, s36
	s_addc_u32 s39, s3, s37
	s_add_u32 s47, s4, s36
	s_addc_u32 s56, s5, s37
	;; [unrolled: 2-line block ×3, first 2 shown]
	s_add_u32 s4, s48, -1
	s_addc_u32 s5, s49, -1
	v_pk_mov_b32 v[2:3], s[4:5], s[4:5] op_sel:[0,1]
	v_cmp_ge_u64_e64 s[0:1], s[0:1], v[2:3]
	s_mov_b64 s[2:3], -1
	s_and_b64 vcc, exec, s[0:1]
	s_mul_i32 s33, s4, 0xfffff200
	s_barrier
	s_cbranch_vccz .LBB1701_76
; %bb.1:
	v_pk_mov_b32 v[2:3], s[38:39], s[38:39] op_sel:[0,1]
	flat_load_dword v2, v[2:3]
	s_add_i32 s58, s33, s46
	v_cmp_gt_u32_e32 vcc, s58, v0
	s_waitcnt vmcnt(0) lgkmcnt(0)
	v_mov_b32_e32 v3, v2
	s_and_saveexec_b64 s[4:5], vcc
	s_cbranch_execz .LBB1701_3
; %bb.2:
	v_lshlrev_b32_e32 v1, 2, v0
	v_mov_b32_e32 v3, s39
	v_add_co_u32_e64 v4, s[2:3], s38, v1
	v_addc_co_u32_e64 v5, s[2:3], 0, v3, s[2:3]
	flat_load_dword v3, v[4:5]
.LBB1701_3:
	s_or_b64 exec, exec, s[4:5]
	v_or_b32_e32 v1, 0x100, v0
	v_cmp_gt_u32_e64 s[2:3], s58, v1
	v_mov_b32_e32 v4, v2
	s_and_saveexec_b64 s[8:9], s[2:3]
	s_cbranch_execz .LBB1701_5
; %bb.4:
	v_lshlrev_b32_e32 v1, 2, v0
	v_mov_b32_e32 v5, s39
	v_add_co_u32_e64 v4, s[4:5], s38, v1
	v_addc_co_u32_e64 v5, s[4:5], 0, v5, s[4:5]
	flat_load_dword v4, v[4:5] offset:1024
.LBB1701_5:
	s_or_b64 exec, exec, s[8:9]
	v_or_b32_e32 v1, 0x200, v0
	v_cmp_gt_u32_e64 s[4:5], s58, v1
	v_mov_b32_e32 v5, v2
	s_and_saveexec_b64 s[10:11], s[4:5]
	s_cbranch_execz .LBB1701_7
; %bb.6:
	v_lshlrev_b32_e32 v1, 2, v0
	v_mov_b32_e32 v5, s39
	v_add_co_u32_e64 v6, s[8:9], s38, v1
	v_addc_co_u32_e64 v7, s[8:9], 0, v5, s[8:9]
	flat_load_dword v5, v[6:7] offset:2048
.LBB1701_7:
	;; [unrolled: 13-line block ×3, first 2 shown]
	s_or_b64 exec, exec, s[10:11]
	v_or_b32_e32 v1, 0x400, v0
	v_cmp_gt_u32_e64 s[8:9], s58, v1
	v_mov_b32_e32 v7, v2
	s_and_saveexec_b64 s[12:13], s[8:9]
	s_cbranch_execz .LBB1701_11
; %bb.10:
	v_lshlrev_b32_e32 v7, 2, v1
	v_mov_b32_e32 v9, s39
	v_add_co_u32_e64 v8, s[10:11], s38, v7
	v_addc_co_u32_e64 v9, s[10:11], 0, v9, s[10:11]
	flat_load_dword v7, v[8:9]
.LBB1701_11:
	s_or_b64 exec, exec, s[12:13]
	v_or_b32_e32 v16, 0x500, v0
	v_cmp_gt_u32_e64 s[10:11], s58, v16
	v_mov_b32_e32 v8, v2
	s_and_saveexec_b64 s[14:15], s[10:11]
	s_cbranch_execz .LBB1701_13
; %bb.12:
	v_lshlrev_b32_e32 v8, 2, v16
	v_mov_b32_e32 v9, s39
	v_add_co_u32_e64 v8, s[12:13], s38, v8
	v_addc_co_u32_e64 v9, s[12:13], 0, v9, s[12:13]
	flat_load_dword v8, v[8:9]
.LBB1701_13:
	;; [unrolled: 13-line block ×9, first 2 shown]
	s_or_b64 exec, exec, s[30:31]
	v_or_b32_e32 v26, 0xd00, v0
	v_cmp_gt_u32_e64 s[26:27], s58, v26
	s_and_saveexec_b64 s[40:41], s[26:27]
	s_cbranch_execz .LBB1701_29
; %bb.28:
	v_lshlrev_b32_e32 v2, 2, v26
	v_mov_b32_e32 v19, s39
	v_add_co_u32_e64 v18, s[30:31], s38, v2
	v_addc_co_u32_e64 v19, s[30:31], 0, v19, s[30:31]
	flat_load_dword v2, v[18:19]
.LBB1701_29:
	s_or_b64 exec, exec, s[40:41]
	v_lshlrev_b32_e32 v27, 2, v0
	s_waitcnt vmcnt(0) lgkmcnt(0)
	ds_write2st64_b32 v27, v3, v4 offset1:4
	ds_write2st64_b32 v27, v5, v6 offset0:8 offset1:12
	ds_write2st64_b32 v27, v7, v8 offset0:16 offset1:20
	;; [unrolled: 1-line block ×6, first 2 shown]
	v_pk_mov_b32 v[2:3], s[38:39], s[38:39] op_sel:[0,1]
	s_waitcnt lgkmcnt(0)
	s_barrier
	flat_load_dword v18, v[2:3]
	v_mad_u32_u24 v19, v0, 52, v27
	s_movk_i32 s30, 0xffcc
	ds_read2_b64 v[10:13], v19 offset1:1
	ds_read2_b64 v[6:9], v19 offset0:2 offset1:3
	ds_read2_b64 v[2:5], v19 offset0:4 offset1:5
	ds_read_b64 v[14:15], v19 offset:48
	v_mad_i32_i24 v28, v0, s30, v19
	s_movk_i32 s30, 0xff
	v_cmp_ne_u32_e64 s[30:31], s30, v0
	s_waitcnt lgkmcnt(0)
	ds_write_b32 v28, v10 offset:15360
	s_waitcnt lgkmcnt(0)
	s_barrier
	s_and_saveexec_b64 s[40:41], s[30:31]
	s_cbranch_execz .LBB1701_31
; %bb.30:
	s_waitcnt vmcnt(0)
	ds_read_b32 v18, v27 offset:15364
.LBB1701_31:
	s_or_b64 exec, exec, s[40:41]
	s_waitcnt lgkmcnt(0)
	s_barrier
	s_waitcnt lgkmcnt(0)
                                        ; implicit-def: $vgpr28
	s_and_saveexec_b64 s[30:31], vcc
	s_cbranch_execz .LBB1701_151
; %bb.32:
	v_mov_b32_e32 v29, s56
	v_add_co_u32_e32 v28, vcc, s47, v27
	v_addc_co_u32_e32 v29, vcc, 0, v29, vcc
	flat_load_dword v28, v[28:29]
	s_waitcnt vmcnt(0) lgkmcnt(0)
	v_cvt_f32_u32_e32 v28, v28
	s_or_b64 exec, exec, s[30:31]
                                        ; implicit-def: $vgpr29
	s_and_saveexec_b64 s[30:31], s[2:3]
	s_cbranch_execnz .LBB1701_152
.LBB1701_33:
	s_or_b64 exec, exec, s[30:31]
                                        ; implicit-def: $vgpr30
	s_and_saveexec_b64 s[2:3], s[4:5]
	s_cbranch_execz .LBB1701_153
.LBB1701_34:
	v_mov_b32_e32 v31, s56
	v_add_co_u32_e32 v30, vcc, s47, v27
	v_addc_co_u32_e32 v31, vcc, 0, v31, vcc
	flat_load_dword v30, v[30:31] offset:2048
	s_waitcnt vmcnt(0) lgkmcnt(0)
	v_cvt_f32_u32_e32 v30, v30
	s_or_b64 exec, exec, s[2:3]
                                        ; implicit-def: $vgpr31
	s_and_saveexec_b64 s[2:3], s[28:29]
	s_cbranch_execnz .LBB1701_154
.LBB1701_35:
	s_or_b64 exec, exec, s[2:3]
                                        ; implicit-def: $vgpr32
	s_and_saveexec_b64 s[2:3], s[8:9]
	s_cbranch_execz .LBB1701_155
.LBB1701_36:
	v_lshlrev_b32_e32 v1, 2, v1
	v_mov_b32_e32 v33, s56
	v_add_co_u32_e32 v32, vcc, s47, v1
	v_addc_co_u32_e32 v33, vcc, 0, v33, vcc
	flat_load_dword v1, v[32:33]
	s_waitcnt vmcnt(0) lgkmcnt(0)
	v_cvt_f32_u32_e32 v32, v1
	s_or_b64 exec, exec, s[2:3]
                                        ; implicit-def: $vgpr1
	s_and_saveexec_b64 s[2:3], s[10:11]
	s_cbranch_execnz .LBB1701_156
.LBB1701_37:
	s_or_b64 exec, exec, s[2:3]
                                        ; implicit-def: $vgpr16
	s_and_saveexec_b64 s[2:3], s[12:13]
	s_cbranch_execz .LBB1701_157
.LBB1701_38:
	v_lshlrev_b32_e32 v16, 2, v17
	v_mov_b32_e32 v17, s56
	v_add_co_u32_e32 v16, vcc, s47, v16
	v_addc_co_u32_e32 v17, vcc, 0, v17, vcc
	flat_load_dword v16, v[16:17]
	s_waitcnt vmcnt(0) lgkmcnt(0)
	v_cvt_f32_u32_e32 v16, v16
	s_or_b64 exec, exec, s[2:3]
                                        ; implicit-def: $vgpr17
	s_and_saveexec_b64 s[2:3], s[14:15]
	s_cbranch_execnz .LBB1701_158
.LBB1701_39:
	s_or_b64 exec, exec, s[2:3]
                                        ; implicit-def: $vgpr33
	s_and_saveexec_b64 s[2:3], s[16:17]
	s_cbranch_execz .LBB1701_159
.LBB1701_40:
	v_lshlrev_b32_e32 v20, 2, v21
	v_mov_b32_e32 v21, s56
	v_add_co_u32_e32 v20, vcc, s47, v20
	v_addc_co_u32_e32 v21, vcc, 0, v21, vcc
	flat_load_dword v20, v[20:21]
	s_waitcnt vmcnt(0) lgkmcnt(0)
	v_cvt_f32_u32_e32 v33, v20
	s_or_b64 exec, exec, s[2:3]
                                        ; implicit-def: $vgpr21
	s_and_saveexec_b64 s[2:3], s[18:19]
	s_cbranch_execnz .LBB1701_160
.LBB1701_41:
	s_or_b64 exec, exec, s[2:3]
                                        ; implicit-def: $vgpr22
	s_and_saveexec_b64 s[2:3], s[20:21]
	s_cbranch_execz .LBB1701_161
.LBB1701_42:
	v_lshlrev_b32_e32 v20, 2, v23
	v_mov_b32_e32 v23, s56
	v_add_co_u32_e32 v22, vcc, s47, v20
	v_addc_co_u32_e32 v23, vcc, 0, v23, vcc
	flat_load_dword v20, v[22:23]
	s_waitcnt vmcnt(0) lgkmcnt(0)
	v_cvt_f32_u32_e32 v22, v20
	s_or_b64 exec, exec, s[2:3]
                                        ; implicit-def: $vgpr23
	s_and_saveexec_b64 s[2:3], s[22:23]
	s_cbranch_execnz .LBB1701_162
.LBB1701_43:
	s_or_b64 exec, exec, s[2:3]
                                        ; implicit-def: $vgpr24
	s_and_saveexec_b64 s[2:3], s[24:25]
	s_cbranch_execz .LBB1701_45
.LBB1701_44:
	v_lshlrev_b32_e32 v20, 2, v25
	v_mov_b32_e32 v25, s56
	v_add_co_u32_e32 v24, vcc, s47, v20
	v_addc_co_u32_e32 v25, vcc, 0, v25, vcc
	flat_load_dword v20, v[24:25]
	s_waitcnt vmcnt(0) lgkmcnt(0)
	v_cvt_f32_u32_e32 v24, v20
.LBB1701_45:
	s_or_b64 exec, exec, s[2:3]
	v_mul_u32_u24_e32 v20, 14, v0
                                        ; implicit-def: $vgpr25
	s_and_saveexec_b64 s[2:3], s[26:27]
	s_cbranch_execz .LBB1701_47
; %bb.46:
	v_lshlrev_b32_e32 v25, 2, v26
	v_mov_b32_e32 v26, s56
	v_add_co_u32_e32 v34, vcc, s47, v25
	v_addc_co_u32_e32 v35, vcc, 0, v26, vcc
	flat_load_dword v25, v[34:35]
	s_waitcnt vmcnt(0) lgkmcnt(0)
	v_cvt_f32_u32_e32 v25, v25
.LBB1701_47:
	s_or_b64 exec, exec, s[2:3]
	ds_write2st64_b32 v27, v28, v29 offset1:4
	ds_write2st64_b32 v27, v30, v31 offset0:8 offset1:12
	ds_write2st64_b32 v27, v32, v1 offset0:16 offset1:20
	;; [unrolled: 1-line block ×6, first 2 shown]
	v_cmp_gt_u32_e32 vcc, s58, v20
	s_mov_b64 s[2:3], 0
	s_mov_b32 s57, 0
	v_mov_b32_e32 v1, 0
	v_mov_b32_e32 v24, 0
	s_mov_b64 s[10:11], 0
	v_mov_b32_e32 v39, 0
	v_mov_b32_e32 v28, 0
	;; [unrolled: 1-line block ×24, first 2 shown]
	s_waitcnt lgkmcnt(0)
	s_barrier
	s_waitcnt lgkmcnt(0)
                                        ; implicit-def: $sgpr8_sgpr9
                                        ; implicit-def: $vgpr16
	s_and_saveexec_b64 s[4:5], vcc
	s_cbranch_execz .LBB1701_75
; %bb.48:
	ds_read_b32 v16, v19
	v_or_b32_e32 v17, 1, v20
	v_cmp_ne_u32_e32 vcc, v10, v11
	v_mov_b32_e32 v10, s7
	v_cndmask_b32_e64 v1, 0, 1, vcc
	s_waitcnt lgkmcnt(0)
	v_cndmask_b32_e32 v28, v16, v10, vcc
	v_cmp_gt_u32_e32 vcc, s58, v17
	v_mov_b32_e32 v24, 0
	v_mov_b32_e32 v39, 0
	;; [unrolled: 1-line block ×24, first 2 shown]
                                        ; implicit-def: $sgpr12_sgpr13
                                        ; implicit-def: $vgpr16
	s_and_saveexec_b64 s[8:9], vcc
	s_cbranch_execz .LBB1701_74
; %bb.49:
	ds_read2_b32 v[16:17], v19 offset0:1 offset1:2
	v_add_u32_e32 v10, 2, v20
	v_cmp_ne_u32_e32 vcc, v11, v12
	v_mov_b32_e32 v11, s7
	v_cndmask_b32_e64 v32, 0, 1, vcc
	s_waitcnt lgkmcnt(0)
	v_cndmask_b32_e32 v26, v16, v11, vcc
	v_cmp_gt_u32_e32 vcc, s58, v10
	s_mov_b64 s[14:15], 0
	v_mov_b32_e32 v24, 0
	v_mov_b32_e32 v39, 0
	;; [unrolled: 1-line block ×22, first 2 shown]
                                        ; implicit-def: $sgpr12_sgpr13
                                        ; implicit-def: $vgpr16
	s_and_saveexec_b64 s[10:11], vcc
	s_cbranch_execz .LBB1701_73
; %bb.50:
	v_add_u32_e32 v10, 3, v20
	v_cmp_ne_u32_e32 vcc, v12, v13
	v_mov_b32_e32 v11, s7
	v_cndmask_b32_e64 v35, 0, 1, vcc
	v_cndmask_b32_e32 v27, v17, v11, vcc
	v_cmp_gt_u32_e32 vcc, s58, v10
	v_mov_b32_e32 v24, 0
	v_mov_b32_e32 v39, 0
	;; [unrolled: 1-line block ×20, first 2 shown]
                                        ; implicit-def: $sgpr16_sgpr17
                                        ; implicit-def: $vgpr16
	s_and_saveexec_b64 s[12:13], vcc
	s_cbranch_execz .LBB1701_72
; %bb.51:
	ds_read2_b32 v[10:11], v19 offset0:3 offset1:4
	v_add_u32_e32 v12, 4, v20
	v_cmp_ne_u32_e32 vcc, v13, v6
	v_mov_b32_e32 v13, s7
	v_cndmask_b32_e64 v40, 0, 1, vcc
	s_waitcnt lgkmcnt(0)
	v_cndmask_b32_e32 v29, v10, v13, vcc
	v_cmp_gt_u32_e32 vcc, s58, v12
	s_mov_b64 s[18:19], 0
	v_mov_b32_e32 v24, 0
	v_mov_b32_e32 v39, 0
	;; [unrolled: 1-line block ×18, first 2 shown]
                                        ; implicit-def: $sgpr16_sgpr17
                                        ; implicit-def: $vgpr16
	s_and_saveexec_b64 s[14:15], vcc
	s_cbranch_execz .LBB1701_71
; %bb.52:
	v_add_u32_e32 v10, 5, v20
	v_cmp_ne_u32_e32 vcc, v6, v7
	v_mov_b32_e32 v6, s7
	v_cndmask_b32_e64 v41, 0, 1, vcc
	v_cndmask_b32_e32 v25, v11, v6, vcc
	v_cmp_gt_u32_e32 vcc, s58, v10
	v_mov_b32_e32 v24, 0
	v_mov_b32_e32 v39, 0
	;; [unrolled: 1-line block ×16, first 2 shown]
                                        ; implicit-def: $sgpr20_sgpr21
                                        ; implicit-def: $vgpr16
	s_and_saveexec_b64 s[16:17], vcc
	s_cbranch_execz .LBB1701_70
; %bb.53:
	ds_read2_b32 v[10:11], v19 offset0:5 offset1:6
	v_add_u32_e32 v6, 6, v20
	v_cmp_ne_u32_e32 vcc, v7, v8
	v_mov_b32_e32 v7, s7
	v_cndmask_b32_e64 v42, 0, 1, vcc
	s_waitcnt lgkmcnt(0)
	v_cndmask_b32_e32 v30, v10, v7, vcc
	v_cmp_gt_u32_e32 vcc, s58, v6
	s_mov_b64 s[22:23], 0
	v_mov_b32_e32 v24, 0
	v_mov_b32_e32 v39, 0
	;; [unrolled: 1-line block ×14, first 2 shown]
                                        ; implicit-def: $sgpr20_sgpr21
                                        ; implicit-def: $vgpr16
	s_and_saveexec_b64 s[18:19], vcc
	s_cbranch_execz .LBB1701_69
; %bb.54:
	v_add_u32_e32 v6, 7, v20
	v_cmp_ne_u32_e32 vcc, v8, v9
	v_mov_b32_e32 v7, s7
	v_cndmask_b32_e64 v43, 0, 1, vcc
	v_cndmask_b32_e32 v31, v11, v7, vcc
	v_cmp_gt_u32_e32 vcc, s58, v6
	v_mov_b32_e32 v24, 0
	v_mov_b32_e32 v39, 0
	;; [unrolled: 1-line block ×12, first 2 shown]
                                        ; implicit-def: $sgpr24_sgpr25
                                        ; implicit-def: $vgpr16
	s_and_saveexec_b64 s[20:21], vcc
	s_cbranch_execz .LBB1701_68
; %bb.55:
	ds_read2_b32 v[6:7], v19 offset0:7 offset1:8
	v_add_u32_e32 v8, 8, v20
	v_cmp_ne_u32_e32 vcc, v9, v2
	v_mov_b32_e32 v9, s7
	v_cndmask_b32_e64 v44, 0, 1, vcc
	s_waitcnt lgkmcnt(0)
	v_cndmask_b32_e32 v33, v6, v9, vcc
	v_cmp_gt_u32_e32 vcc, s58, v8
	s_mov_b64 s[26:27], 0
	v_mov_b32_e32 v24, 0
	v_mov_b32_e32 v39, 0
	;; [unrolled: 1-line block ×10, first 2 shown]
                                        ; implicit-def: $sgpr24_sgpr25
                                        ; implicit-def: $vgpr16
	s_and_saveexec_b64 s[22:23], vcc
	s_cbranch_execz .LBB1701_67
; %bb.56:
	v_add_u32_e32 v6, 9, v20
	v_cmp_ne_u32_e32 vcc, v2, v3
	v_mov_b32_e32 v2, s7
	v_cndmask_b32_e64 v45, 0, 1, vcc
	v_cndmask_b32_e32 v34, v7, v2, vcc
	v_cmp_gt_u32_e32 vcc, s58, v6
	v_mov_b32_e32 v24, 0
	v_mov_b32_e32 v39, 0
	;; [unrolled: 1-line block ×8, first 2 shown]
                                        ; implicit-def: $sgpr28_sgpr29
                                        ; implicit-def: $vgpr16
	s_and_saveexec_b64 s[24:25], vcc
	s_cbranch_execz .LBB1701_66
; %bb.57:
	ds_read2_b32 v[6:7], v19 offset0:9 offset1:10
	v_add_u32_e32 v2, 10, v20
	v_cmp_ne_u32_e32 vcc, v3, v4
	v_mov_b32_e32 v3, s7
	v_cndmask_b32_e64 v46, 0, 1, vcc
	s_waitcnt lgkmcnt(0)
	v_cndmask_b32_e32 v36, v6, v3, vcc
	v_cmp_gt_u32_e32 vcc, s58, v2
	s_mov_b64 s[30:31], 0
	v_mov_b32_e32 v24, 0
	v_mov_b32_e32 v39, 0
	;; [unrolled: 1-line block ×6, first 2 shown]
                                        ; implicit-def: $sgpr28_sgpr29
                                        ; implicit-def: $vgpr16
	s_and_saveexec_b64 s[26:27], vcc
	s_cbranch_execz .LBB1701_65
; %bb.58:
	v_add_u32_e32 v2, 11, v20
	v_cmp_ne_u32_e32 vcc, v4, v5
	v_mov_b32_e32 v3, s7
	v_cndmask_b32_e64 v47, 0, 1, vcc
	v_cndmask_b32_e32 v37, v7, v3, vcc
	v_cmp_gt_u32_e32 vcc, s58, v2
	v_mov_b32_e32 v24, 0
	v_mov_b32_e32 v39, 0
	;; [unrolled: 1-line block ×4, first 2 shown]
                                        ; implicit-def: $sgpr40_sgpr41
                                        ; implicit-def: $vgpr16
	s_and_saveexec_b64 s[28:29], vcc
	s_cbranch_execz .LBB1701_64
; %bb.59:
	ds_read2_b32 v[2:3], v19 offset0:11 offset1:12
	v_add_u32_e32 v4, 12, v20
	v_cmp_ne_u32_e32 vcc, v5, v14
	v_mov_b32_e32 v5, s7
	v_cndmask_b32_e64 v48, 0, 1, vcc
	s_waitcnt lgkmcnt(0)
	v_cndmask_b32_e32 v38, v2, v5, vcc
	v_cmp_gt_u32_e32 vcc, s58, v4
	s_mov_b64 s[48:49], 0
	v_mov_b32_e32 v24, 0
	v_mov_b32_e32 v39, 0
                                        ; implicit-def: $sgpr54_sgpr55
                                        ; implicit-def: $vgpr16
	s_and_saveexec_b64 s[30:31], vcc
	s_cbranch_execz .LBB1701_63
; %bb.60:
	v_add_u32_e32 v2, 13, v20
	v_cmp_ne_u32_e32 vcc, v14, v15
	v_mov_b32_e32 v4, s7
	v_cndmask_b32_e64 v39, 0, 1, vcc
	v_cndmask_b32_e32 v24, v3, v4, vcc
	v_cmp_gt_u32_e32 vcc, s58, v2
	s_mov_b64 s[40:41], 0
                                        ; implicit-def: $sgpr48_sgpr49
                                        ; implicit-def: $vgpr16
	s_and_saveexec_b64 s[54:55], vcc
	s_xor_b64 s[54:55], exec, s[54:55]
	s_cbranch_execz .LBB1701_62
; %bb.61:
	ds_read_b32 v2, v19 offset:52
	v_mov_b32_e32 v3, s7
	s_waitcnt vmcnt(0)
	v_cmp_ne_u32_e32 vcc, v15, v18
	s_mov_b64 s[40:41], exec
	s_and_b64 s[48:49], vcc, exec
	s_waitcnt lgkmcnt(0)
	v_cndmask_b32_e32 v16, v2, v3, vcc
.LBB1701_62:
	s_or_b64 exec, exec, s[54:55]
	s_and_b64 s[54:55], s[48:49], exec
	s_and_b64 s[48:49], s[40:41], exec
.LBB1701_63:
	s_or_b64 exec, exec, s[30:31]
	s_and_b64 s[40:41], s[54:55], exec
	s_and_b64 s[30:31], s[48:49], exec
.LBB1701_64:
	s_or_b64 exec, exec, s[28:29]
	s_and_b64 s[28:29], s[40:41], exec
	s_and_b64 s[30:31], s[30:31], exec
.LBB1701_65:
	s_or_b64 exec, exec, s[26:27]
	s_and_b64 s[28:29], s[28:29], exec
	s_and_b64 s[26:27], s[30:31], exec
.LBB1701_66:
	s_or_b64 exec, exec, s[24:25]
	s_and_b64 s[24:25], s[28:29], exec
	s_and_b64 s[26:27], s[26:27], exec
.LBB1701_67:
	s_or_b64 exec, exec, s[22:23]
	s_and_b64 s[24:25], s[24:25], exec
	s_and_b64 s[22:23], s[26:27], exec
.LBB1701_68:
	s_or_b64 exec, exec, s[20:21]
	s_and_b64 s[20:21], s[24:25], exec
	s_and_b64 s[22:23], s[22:23], exec
.LBB1701_69:
	s_or_b64 exec, exec, s[18:19]
	s_and_b64 s[20:21], s[20:21], exec
	s_and_b64 s[18:19], s[22:23], exec
.LBB1701_70:
	s_or_b64 exec, exec, s[16:17]
	s_and_b64 s[16:17], s[20:21], exec
	s_and_b64 s[18:19], s[18:19], exec
.LBB1701_71:
	s_or_b64 exec, exec, s[14:15]
	s_and_b64 s[16:17], s[16:17], exec
	s_and_b64 s[14:15], s[18:19], exec
.LBB1701_72:
	s_or_b64 exec, exec, s[12:13]
	s_and_b64 s[12:13], s[16:17], exec
	s_and_b64 s[14:15], s[14:15], exec
.LBB1701_73:
	s_or_b64 exec, exec, s[10:11]
	s_and_b64 s[12:13], s[12:13], exec
	s_and_b64 s[10:11], s[14:15], exec
.LBB1701_74:
	s_or_b64 exec, exec, s[8:9]
	s_and_b64 s[8:9], s[12:13], exec
	s_and_b64 s[10:11], s[10:11], exec
.LBB1701_75:
	s_or_b64 exec, exec, s[4:5]
	s_mov_b32 s4, 0
	s_and_b64 vcc, exec, s[2:3]
	v_lshlrev_b32_e32 v49, 2, v0
	s_cbranch_vccnz .LBB1701_77
	s_branch .LBB1701_82
.LBB1701_76:
	s_mov_b64 s[10:11], 0
                                        ; implicit-def: $sgpr8_sgpr9
                                        ; implicit-def: $vgpr16
                                        ; implicit-def: $vgpr1
                                        ; implicit-def: $vgpr24
                                        ; implicit-def: $vgpr39
                                        ; implicit-def: $vgpr28
                                        ; implicit-def: $vgpr38
                                        ; implicit-def: $vgpr48
                                        ; implicit-def: $vgpr32
                                        ; implicit-def: $vgpr37
                                        ; implicit-def: $vgpr47
                                        ; implicit-def: $vgpr26
                                        ; implicit-def: $vgpr36
                                        ; implicit-def: $vgpr46
                                        ; implicit-def: $vgpr35
                                        ; implicit-def: $vgpr34
                                        ; implicit-def: $vgpr45
                                        ; implicit-def: $vgpr27
                                        ; implicit-def: $vgpr33
                                        ; implicit-def: $vgpr44
                                        ; implicit-def: $vgpr40
                                        ; implicit-def: $vgpr31
                                        ; implicit-def: $vgpr43
                                        ; implicit-def: $vgpr29
                                        ; implicit-def: $vgpr30
                                        ; implicit-def: $vgpr42
                                        ; implicit-def: $vgpr41
                                        ; implicit-def: $vgpr25
                                        ; implicit-def: $sgpr4
                                        ; implicit-def: $sgpr57
	s_and_b64 vcc, exec, s[2:3]
	v_lshlrev_b32_e32 v49, 2, v0
	s_cbranch_vccz .LBB1701_82
.LBB1701_77:
	v_mov_b32_e32 v1, s39
	v_add_co_u32_e32 v2, vcc, s38, v49
	v_addc_co_u32_e32 v3, vcc, 0, v1, vcc
	v_add_co_u32_e32 v4, vcc, 0x1000, v2
	v_addc_co_u32_e32 v5, vcc, 0, v3, vcc
	flat_load_dword v1, v[2:3]
	flat_load_dword v6, v[2:3] offset:1024
	flat_load_dword v7, v[2:3] offset:2048
	;; [unrolled: 1-line block ×3, first 2 shown]
	flat_load_dword v9, v[4:5]
	flat_load_dword v10, v[4:5] offset:1024
	flat_load_dword v11, v[4:5] offset:2048
	;; [unrolled: 1-line block ×3, first 2 shown]
	v_add_co_u32_e32 v4, vcc, 0x2000, v2
	v_addc_co_u32_e32 v5, vcc, 0, v3, vcc
	v_add_co_u32_e32 v2, vcc, 0x3000, v2
	v_addc_co_u32_e32 v3, vcc, 0, v3, vcc
	flat_load_dword v13, v[4:5]
	flat_load_dword v14, v[4:5] offset:1024
	flat_load_dword v15, v[4:5] offset:2048
	;; [unrolled: 1-line block ×3, first 2 shown]
	flat_load_dword v17, v[2:3]
	s_waitcnt vmcnt(0)
	flat_load_dword v18, v[2:3] offset:1024
	v_mov_b32_e32 v2, s38
	v_mov_b32_e32 v3, s39
	v_add_co_u32_e32 v2, vcc, 0x3000, v2
	v_addc_co_u32_e32 v3, vcc, 0, v3, vcc
	s_movk_i32 s2, 0xffcc
	s_movk_i32 s8, 0x1000
	;; [unrolled: 1-line block ×4, first 2 shown]
	s_waitcnt lgkmcnt(0)
	ds_write2st64_b32 v49, v1, v6 offset1:4
	ds_write2st64_b32 v49, v7, v8 offset0:8 offset1:12
	ds_write2st64_b32 v49, v9, v10 offset0:16 offset1:20
	;; [unrolled: 1-line block ×5, first 2 shown]
	s_waitcnt vmcnt(0)
	ds_write2st64_b32 v49, v17, v18 offset0:48 offset1:52
	s_waitcnt lgkmcnt(0)
	s_barrier
	flat_load_dword v50, v[2:3] offset:2048
	v_mad_u32_u24 v1, v0, 52, v49
	ds_read2_b64 v[10:13], v1 offset1:1
	ds_read2_b64 v[6:9], v1 offset0:2 offset1:3
	ds_read2_b64 v[2:5], v1 offset0:4 offset1:5
	ds_read_b64 v[14:15], v1 offset:48
	v_mad_i32_i24 v16, v0, s2, v1
	s_movk_i32 s2, 0xff
	v_cmp_ne_u32_e32 vcc, s2, v0
	s_waitcnt lgkmcnt(0)
	ds_write_b32 v16, v10 offset:15360
	s_waitcnt lgkmcnt(0)
	s_barrier
	s_and_saveexec_b64 s[2:3], vcc
	s_cbranch_execz .LBB1701_79
; %bb.78:
	s_waitcnt vmcnt(0)
	ds_read_b32 v50, v49 offset:15364
.LBB1701_79:
	s_or_b64 exec, exec, s[2:3]
	v_mov_b32_e32 v17, s56
	v_add_co_u32_e32 v16, vcc, s47, v49
	v_addc_co_u32_e32 v17, vcc, 0, v17, vcc
	v_add_co_u32_e32 v18, vcc, s8, v16
	v_addc_co_u32_e32 v19, vcc, 0, v17, vcc
	s_waitcnt lgkmcnt(0)
	s_barrier
	flat_load_dword v20, v[16:17]
	flat_load_dword v21, v[16:17] offset:1024
	flat_load_dword v22, v[16:17] offset:2048
	flat_load_dword v23, v[16:17] offset:3072
	flat_load_dword v24, v[18:19]
	flat_load_dword v25, v[18:19] offset:1024
	flat_load_dword v26, v[18:19] offset:2048
	;; [unrolled: 1-line block ×3, first 2 shown]
	v_add_co_u32_e32 v18, vcc, s5, v16
	v_addc_co_u32_e32 v19, vcc, 0, v17, vcc
	v_add_co_u32_e32 v16, vcc, s4, v16
	v_addc_co_u32_e32 v17, vcc, 0, v17, vcc
	flat_load_dword v28, v[18:19]
	flat_load_dword v29, v[18:19] offset:1024
	flat_load_dword v30, v[18:19] offset:2048
	flat_load_dword v31, v[18:19] offset:3072
	flat_load_dword v32, v[16:17]
	flat_load_dword v33, v[16:17] offset:1024
	v_cmp_ne_u32_e32 vcc, v10, v11
	v_cmp_eq_u32_e64 s[2:3], v10, v11
	s_waitcnt vmcnt(0) lgkmcnt(0)
	v_cvt_f32_u32_e32 v16, v20
	v_cvt_f32_u32_e32 v17, v21
	;; [unrolled: 1-line block ×14, first 2 shown]
	ds_write2st64_b32 v49, v16, v17 offset1:4
	ds_write2st64_b32 v49, v18, v19 offset0:8 offset1:12
	ds_write2st64_b32 v49, v20, v21 offset0:16 offset1:20
	;; [unrolled: 1-line block ×6, first 2 shown]
	s_waitcnt lgkmcnt(0)
	s_barrier
	ds_read2_b32 v[26:27], v1 offset0:1 offset1:2
	ds_read2_b32 v[24:25], v1 offset0:3 offset1:4
	;; [unrolled: 1-line block ×6, first 2 shown]
	ds_read_b32 v51, v1 offset:52
	v_mov_b32_e32 v28, s7
	s_and_saveexec_b64 s[4:5], s[2:3]
	s_cbranch_execz .LBB1701_81
; %bb.80:
	ds_read_b32 v28, v1
.LBB1701_81:
	s_or_b64 exec, exec, s[4:5]
	v_cmp_ne_u32_e64 s[8:9], v6, v7
	v_cmp_ne_u32_e64 s[14:15], v9, v2
	;; [unrolled: 1-line block ×3, first 2 shown]
	v_mov_b32_e32 v2, s7
	v_cndmask_b32_e64 v1, 0, 1, vcc
	v_cmp_ne_u32_e32 vcc, v11, v12
	v_cmp_ne_u32_e64 s[2:3], v12, v13
	v_cmp_ne_u32_e64 s[4:5], v13, v6
	v_cndmask_b32_e64 v41, 0, 1, s[8:9]
	v_cmp_ne_u32_e64 s[10:11], v7, v8
	v_cmp_ne_u32_e64 s[12:13], v8, v9
	;; [unrolled: 1-line block ×6, first 2 shown]
	s_waitcnt lgkmcnt(5)
	v_cndmask_b32_e64 v25, v25, v2, s[8:9]
	v_cmp_ne_u32_e64 s[8:9], v15, v50
	v_cndmask_b32_e64 v32, 0, 1, vcc
	v_cndmask_b32_e64 v35, 0, 1, s[2:3]
	v_cndmask_b32_e64 v40, 0, 1, s[4:5]
	;; [unrolled: 1-line block ×10, first 2 shown]
	v_cndmask_b32_e32 v26, v26, v2, vcc
	v_cndmask_b32_e64 v27, v27, v2, s[2:3]
	v_cndmask_b32_e64 v29, v24, v2, s[4:5]
	s_waitcnt lgkmcnt(4)
	v_cndmask_b32_e64 v30, v22, v2, s[10:11]
	v_cndmask_b32_e64 v31, v23, v2, s[12:13]
	s_waitcnt lgkmcnt(3)
	;; [unrolled: 3-line block ×5, first 2 shown]
	v_cndmask_b32_e64 v16, v51, v2, s[8:9]
	s_mov_b64 s[10:11], -1
                                        ; implicit-def: $sgpr4
                                        ; implicit-def: $sgpr57
.LBB1701_82:
	v_mov_b32_e32 v14, s57
	v_mov_b32_e32 v15, s4
	s_and_saveexec_b64 s[2:3], s[10:11]
; %bb.83:
	v_cndmask_b32_e64 v14, 0, 1, s[8:9]
	v_mov_b32_e32 v15, v16
; %bb.84:
	s_or_b64 exec, exec, s[2:3]
	v_or_b32_e32 v2, v14, v39
	s_cmp_lg_u32 s6, 0
	v_add_f32_e32 v52, v26, v28
	v_or_b32_e32 v51, v2, v48
	v_mbcnt_lo_u32_b32 v50, -1, 0
	s_barrier
	s_cbranch_scc0 .LBB1701_163
; %bb.85:
	v_mov_b32_e32 v2, 0
	v_cmp_eq_u16_sdwa s[2:3], v32, v2 src0_sel:BYTE_0 src1_sel:DWORD
	v_cndmask_b32_e64 v3, v26, v52, s[2:3]
	v_add_f32_e32 v3, v27, v3
	v_cmp_eq_u16_sdwa s[4:5], v35, v2 src0_sel:BYTE_0 src1_sel:DWORD
	v_cndmask_b32_e64 v3, v27, v3, s[4:5]
	v_add_f32_e32 v3, v29, v3
	;; [unrolled: 3-line block ×7, first 2 shown]
	v_cmp_eq_u16_sdwa s[16:17], v45, v2 src0_sel:BYTE_0 src1_sel:DWORD
	v_cmp_eq_u16_sdwa s[18:19], v46, v2 src0_sel:BYTE_0 src1_sel:DWORD
	;; [unrolled: 1-line block ×5, first 2 shown]
	v_cmp_eq_u16_sdwa vcc, v14, v2 src0_sel:BYTE_0 src1_sel:DWORD
	v_or_b32_e32 v2, v51, v47
	v_cndmask_b32_e64 v3, v34, v3, s[16:17]
	v_or_b32_e32 v2, v2, v46
	v_add_f32_e32 v3, v36, v3
	v_or_b32_e32 v2, v2, v45
	v_cndmask_b32_e64 v3, v36, v3, s[18:19]
	v_or_b32_e32 v2, v2, v44
	v_add_f32_e32 v3, v37, v3
	v_or_b32_e32 v2, v2, v43
	v_cndmask_b32_e64 v3, v37, v3, s[20:21]
	v_or_b32_e32 v2, v2, v42
	v_add_f32_e32 v3, v38, v3
	v_or_b32_e32 v2, v2, v41
	v_cndmask_b32_e64 v3, v38, v3, s[22:23]
	v_or_b32_e32 v2, v2, v40
	v_add_f32_e32 v3, v24, v3
	v_or_b32_e32 v2, v2, v35
	v_cndmask_b32_e64 v3, v24, v3, s[24:25]
	v_or_b32_e32 v2, v2, v32
	v_add_f32_e32 v3, v15, v3
	v_and_b32_e32 v2, 1, v2
	v_and_b32_e32 v5, 0xff, v1
	v_cndmask_b32_e32 v4, v15, v3, vcc
	v_cmp_eq_u32_e32 vcc, 1, v2
	v_mbcnt_hi_u32_b32 v11, -1, v50
	v_cndmask_b32_e64 v5, v5, 1, vcc
	v_and_b32_e32 v2, 15, v11
	v_mov_b32_dpp v6, v4 row_shr:1 row_mask:0xf bank_mask:0xf
	v_mov_b32_dpp v3, v5 row_shr:1 row_mask:0xf bank_mask:0xf
	v_cmp_ne_u32_e32 vcc, 0, v2
	s_and_saveexec_b64 s[26:27], vcc
; %bb.86:
	v_add_f32_e32 v6, v4, v6
	v_cmp_eq_u32_e32 vcc, 0, v5
	v_and_b32_e32 v5, 1, v5
	v_cndmask_b32_e32 v4, v4, v6, vcc
	v_and_b32_e32 v3, 1, v3
	v_cmp_eq_u32_e32 vcc, 1, v5
	v_cndmask_b32_e64 v5, v3, 1, vcc
; %bb.87:
	s_or_b64 exec, exec, s[26:27]
	v_mov_b32_dpp v6, v4 row_shr:2 row_mask:0xf bank_mask:0xf
	v_mov_b32_dpp v3, v5 row_shr:2 row_mask:0xf bank_mask:0xf
	v_cmp_lt_u32_e32 vcc, 1, v2
	s_and_saveexec_b64 s[26:27], vcc
; %bb.88:
	v_add_f32_e32 v6, v4, v6
	v_cmp_eq_u32_e32 vcc, 0, v5
	v_and_b32_e32 v5, 1, v5
	v_cndmask_b32_e32 v4, v4, v6, vcc
	v_and_b32_e32 v3, 1, v3
	v_cmp_eq_u32_e32 vcc, 1, v5
	v_cndmask_b32_e64 v5, v3, 1, vcc
; %bb.89:
	s_or_b64 exec, exec, s[26:27]
	v_mov_b32_dpp v6, v4 row_shr:4 row_mask:0xf bank_mask:0xf
	v_mov_b32_dpp v3, v5 row_shr:4 row_mask:0xf bank_mask:0xf
	v_cmp_lt_u32_e32 vcc, 3, v2
	;; [unrolled: 14-line block ×3, first 2 shown]
	s_and_saveexec_b64 s[26:27], vcc
; %bb.92:
	v_add_f32_e32 v2, v4, v6
	v_cmp_eq_u32_e32 vcc, 0, v5
	v_cndmask_b32_e32 v4, v4, v2, vcc
	v_and_b32_e32 v2, 1, v5
	v_and_b32_e32 v3, 1, v3
	v_cmp_eq_u32_e32 vcc, 1, v2
	v_cndmask_b32_e64 v5, v3, 1, vcc
; %bb.93:
	s_or_b64 exec, exec, s[26:27]
	v_and_b32_e32 v6, 16, v11
	v_mov_b32_dpp v3, v4 row_bcast:15 row_mask:0xf bank_mask:0xf
	v_mov_b32_dpp v2, v5 row_bcast:15 row_mask:0xf bank_mask:0xf
	v_cmp_ne_u32_e32 vcc, 0, v6
	s_and_saveexec_b64 s[26:27], vcc
; %bb.94:
	v_add_f32_e32 v3, v4, v3
	v_cmp_eq_u32_e32 vcc, 0, v5
	v_cndmask_b32_e32 v4, v4, v3, vcc
	v_and_b32_e32 v3, 1, v5
	v_and_b32_e32 v2, 1, v2
	v_cmp_eq_u32_e32 vcc, 1, v3
	v_cndmask_b32_e64 v5, v2, 1, vcc
; %bb.95:
	s_or_b64 exec, exec, s[26:27]
	v_mov_b32_dpp v3, v4 row_bcast:31 row_mask:0xf bank_mask:0xf
	v_mov_b32_dpp v2, v5 row_bcast:31 row_mask:0xf bank_mask:0xf
	v_cmp_lt_u32_e32 vcc, 31, v11
	s_and_saveexec_b64 s[26:27], vcc
; %bb.96:
	v_add_f32_e32 v3, v4, v3
	v_cmp_eq_u32_e32 vcc, 0, v5
	v_cndmask_b32_e32 v4, v4, v3, vcc
	v_and_b32_e32 v3, 1, v5
	v_and_b32_e32 v2, 1, v2
	v_cmp_eq_u32_e32 vcc, 1, v3
	v_cndmask_b32_e64 v5, v2, 1, vcc
; %bb.97:
	s_or_b64 exec, exec, s[26:27]
	v_or_b32_e32 v2, 63, v0
	v_lshrrev_b32_e32 v6, 6, v0
	v_cmp_eq_u32_e32 vcc, v2, v0
	s_and_saveexec_b64 s[26:27], vcc
	s_cbranch_execz .LBB1701_99
; %bb.98:
	v_lshlrev_b32_e32 v2, 3, v6
	ds_write_b32 v2, v4
	ds_write_b8 v2, v5 offset:4
.LBB1701_99:
	s_or_b64 exec, exec, s[26:27]
	v_cmp_gt_u32_e32 vcc, 4, v0
	s_waitcnt lgkmcnt(0)
	s_barrier
	s_and_saveexec_b64 s[26:27], vcc
	s_cbranch_execz .LBB1701_103
; %bb.100:
	v_lshlrev_b32_e32 v7, 3, v0
	ds_read_b64 v[2:3], v7
	v_and_b32_e32 v8, 3, v11
	v_cmp_ne_u32_e32 vcc, 0, v8
	s_waitcnt lgkmcnt(0)
	v_mov_b32_dpp v12, v2 row_shr:1 row_mask:0xf bank_mask:0xf
	v_mov_b32_dpp v10, v3 row_shr:1 row_mask:0xf bank_mask:0xf
	v_mov_b32_e32 v9, v3
	s_and_saveexec_b64 s[30:31], vcc
; %bb.101:
	v_mov_b32_e32 v9, 0
	v_add_f32_e32 v12, v2, v12
	v_cmp_eq_u16_sdwa vcc, v3, v9 src0_sel:BYTE_0 src1_sel:DWORD
	v_and_b32_e32 v9, 1, v3
	v_cndmask_b32_e32 v2, v2, v12, vcc
	v_and_b32_e32 v10, 1, v10
	v_cmp_eq_u32_e32 vcc, 1, v9
	v_cndmask_b32_e64 v9, v10, 1, vcc
	s_movk_i32 s38, 0xff00
	v_and_or_b32 v3, v3, s38, v9
; %bb.102:
	s_or_b64 exec, exec, s[30:31]
	v_mov_b32_e32 v13, 0
	v_mov_b32_dpp v12, v3 row_shr:2 row_mask:0xf bank_mask:0xf
	v_cmp_eq_u16_sdwa s[30:31], v9, v13 src0_sel:BYTE_0 src1_sel:DWORD
	v_and_b32_e32 v9, 1, v9
	v_and_b32_e32 v12, 1, v12
	v_cmp_eq_u32_e32 vcc, 1, v9
	v_mov_b32_dpp v10, v2 row_shr:2 row_mask:0xf bank_mask:0xf
	v_cndmask_b32_e64 v9, v12, 1, vcc
	v_cmp_lt_u32_e32 vcc, 1, v8
	v_add_f32_e32 v10, v2, v10
	v_cndmask_b32_e32 v3, v3, v9, vcc
	s_and_b64 vcc, vcc, s[30:31]
	v_cndmask_b32_e32 v2, v2, v10, vcc
	ds_write_b32 v7, v2
	ds_write_b8 v7, v3 offset:4
.LBB1701_103:
	s_or_b64 exec, exec, s[26:27]
	v_cmp_gt_u32_e32 vcc, 64, v0
	v_cmp_lt_u32_e64 s[26:27], 63, v0
	v_mov_b32_e32 v16, 0
	v_mov_b32_e32 v17, 0
	s_waitcnt lgkmcnt(0)
	s_barrier
	s_and_saveexec_b64 s[30:31], s[26:27]
	s_cbranch_execz .LBB1701_105
; %bb.104:
	v_lshl_add_u32 v2, v6, 3, -8
	ds_read_b32 v16, v2
	ds_read_u8 v17, v2 offset:4
	v_and_b32_e32 v2, 1, v5
	v_cmp_eq_u32_e64 s[26:27], 0, v5
	s_waitcnt lgkmcnt(0)
	v_add_f32_e32 v3, v4, v16
	v_and_b32_e32 v6, 1, v17
	v_cndmask_b32_e64 v4, v4, v3, s[26:27]
	v_cmp_eq_u32_e64 s[26:27], 1, v2
	v_cndmask_b32_e64 v5, v6, 1, s[26:27]
.LBB1701_105:
	s_or_b64 exec, exec, s[30:31]
	v_add_u32_e32 v2, -1, v11
	v_and_b32_e32 v3, 64, v11
	v_cmp_lt_i32_e64 s[26:27], v2, v3
	v_cndmask_b32_e64 v2, v2, v11, s[26:27]
	v_lshlrev_b32_e32 v2, 2, v2
	s_waitcnt vmcnt(0)
	ds_bpermute_b32 v18, v2, v4
	ds_bpermute_b32 v19, v2, v5
	v_cmp_eq_u32_e64 s[26:27], 0, v11
	s_and_saveexec_b64 s[30:31], vcc
	s_cbranch_execz .LBB1701_150
; %bb.106:
	v_mov_b32_e32 v5, 0
	ds_read_b64 v[2:3], v5 offset:24
	s_waitcnt lgkmcnt(0)
	v_readfirstlane_b32 s47, v3
	s_and_saveexec_b64 s[38:39], s[26:27]
	s_cbranch_execz .LBB1701_108
; %bb.107:
	s_add_i32 s40, s6, 64
	s_mov_b32 s41, 0
	s_lshl_b64 s[48:49], s[40:41], 4
	s_add_u32 s48, s44, s48
	s_addc_u32 s49, s45, s49
	s_and_b32 s55, s47, 0xff000000
	s_mov_b32 s54, s41
	s_and_b32 s57, s47, 0xff0000
	s_mov_b32 s56, s41
	s_or_b64 s[54:55], s[56:57], s[54:55]
	s_and_b32 s57, s47, 0xff00
	s_or_b64 s[54:55], s[54:55], s[56:57]
	s_and_b32 s57, s47, 0xff
	s_or_b64 s[40:41], s[54:55], s[56:57]
	v_mov_b32_e32 v3, s41
	v_mov_b32_e32 v4, 1
	v_pk_mov_b32 v[6:7], s[48:49], s[48:49] op_sel:[0,1]
	;;#ASMSTART
	global_store_dwordx4 v[6:7], v[2:5] off	
s_waitcnt vmcnt(0)
	;;#ASMEND
.LBB1701_108:
	s_or_b64 exec, exec, s[38:39]
	v_xad_u32 v10, v11, -1, s6
	v_add_u32_e32 v4, 64, v10
	v_lshlrev_b64 v[6:7], 4, v[4:5]
	v_mov_b32_e32 v3, s45
	v_add_co_u32_e32 v12, vcc, s44, v6
	v_addc_co_u32_e32 v13, vcc, v3, v7, vcc
	;;#ASMSTART
	global_load_dwordx4 v[6:9], v[12:13] off glc	
s_waitcnt vmcnt(0)
	;;#ASMEND
	v_cmp_eq_u16_sdwa s[40:41], v8, v5 src0_sel:BYTE_0 src1_sel:DWORD
	s_and_saveexec_b64 s[38:39], s[40:41]
	s_cbranch_execz .LBB1701_114
; %bb.109:
	s_mov_b32 s48, 1
	s_mov_b64 s[40:41], 0
	v_mov_b32_e32 v3, 0
.LBB1701_110:                           ; =>This Loop Header: Depth=1
                                        ;     Child Loop BB1701_111 Depth 2
	s_max_u32 s49, s48, 1
.LBB1701_111:                           ;   Parent Loop BB1701_110 Depth=1
                                        ; =>  This Inner Loop Header: Depth=2
	s_add_i32 s49, s49, -1
	s_cmp_eq_u32 s49, 0
	s_sleep 1
	s_cbranch_scc0 .LBB1701_111
; %bb.112:                              ;   in Loop: Header=BB1701_110 Depth=1
	s_cmp_lt_u32 s48, 32
	s_cselect_b64 s[54:55], -1, 0
	s_cmp_lg_u64 s[54:55], 0
	s_addc_u32 s48, s48, 0
	;;#ASMSTART
	global_load_dwordx4 v[6:9], v[12:13] off glc	
s_waitcnt vmcnt(0)
	;;#ASMEND
	v_cmp_ne_u16_sdwa s[54:55], v8, v3 src0_sel:BYTE_0 src1_sel:DWORD
	s_or_b64 s[40:41], s[54:55], s[40:41]
	s_andn2_b64 exec, exec, s[40:41]
	s_cbranch_execnz .LBB1701_110
; %bb.113:
	s_or_b64 exec, exec, s[40:41]
.LBB1701_114:
	s_or_b64 exec, exec, s[38:39]
	v_mov_b32_e32 v3, 2
	v_cmp_eq_u16_sdwa s[38:39], v8, v3 src0_sel:BYTE_0 src1_sel:DWORD
	v_lshlrev_b64 v[4:5], v11, -1
	v_and_b32_e32 v3, s39, v5
	v_or_b32_e32 v3, 0x80000000, v3
	v_ffbl_b32_e32 v22, v3
	v_and_b32_e32 v3, 63, v11
	v_cmp_ne_u32_e32 vcc, 63, v3
	v_addc_co_u32_e32 v13, vcc, 0, v11, vcc
	v_and_b32_e32 v12, 0xff, v7
	v_lshlrev_b32_e32 v20, 2, v13
	ds_bpermute_b32 v21, v20, v6
	ds_bpermute_b32 v13, v20, v12
	v_and_b32_e32 v9, s38, v4
	v_add_u32_e32 v22, 32, v22
	v_ffbl_b32_e32 v9, v9
	v_min_u32_e32 v9, v9, v22
	v_cmp_lt_u32_e32 vcc, v3, v9
	s_and_saveexec_b64 s[38:39], vcc
	s_cbranch_execz .LBB1701_116
; %bb.115:
	v_mov_b32_e32 v12, 0
	s_waitcnt lgkmcnt(1)
	v_add_f32_e32 v21, v6, v21
	v_cmp_eq_u16_sdwa vcc, v7, v12 src0_sel:BYTE_0 src1_sel:DWORD
	v_and_b32_e32 v7, 1, v7
	v_cndmask_b32_e32 v6, v6, v21, vcc
	s_waitcnt lgkmcnt(0)
	v_and_b32_e32 v12, 1, v13
	v_cmp_eq_u32_e32 vcc, 1, v7
	v_cndmask_b32_e64 v7, v12, 1, vcc
	v_and_b32_e32 v12, 0xffff, v7
.LBB1701_116:
	s_or_b64 exec, exec, s[38:39]
	v_cmp_gt_u32_e32 vcc, 62, v3
	s_waitcnt lgkmcnt(0)
	v_cndmask_b32_e64 v13, 0, 1, vcc
	v_lshlrev_b32_e32 v13, 1, v13
	v_add_lshl_u32 v21, v13, v11, 2
	ds_bpermute_b32 v23, v21, v6
	ds_bpermute_b32 v13, v21, v12
	v_add_u32_e32 v22, 2, v3
	v_cmp_le_u32_e32 vcc, v22, v9
	s_and_saveexec_b64 s[38:39], vcc
	s_cbranch_execz .LBB1701_118
; %bb.117:
	v_mov_b32_e32 v12, 0
	s_waitcnt lgkmcnt(1)
	v_add_f32_e32 v23, v6, v23
	v_cmp_eq_u16_sdwa vcc, v7, v12 src0_sel:BYTE_0 src1_sel:DWORD
	v_and_b32_e32 v7, 1, v7
	v_cndmask_b32_e32 v6, v6, v23, vcc
	s_waitcnt lgkmcnt(0)
	v_and_b32_e32 v12, 1, v13
	v_cmp_eq_u32_e32 vcc, 1, v7
	v_cndmask_b32_e64 v7, v12, 1, vcc
	v_and_b32_e32 v12, 0xffff, v7
.LBB1701_118:
	s_or_b64 exec, exec, s[38:39]
	v_cmp_gt_u32_e32 vcc, 60, v3
	s_waitcnt lgkmcnt(0)
	v_cndmask_b32_e64 v13, 0, 1, vcc
	v_lshlrev_b32_e32 v13, 2, v13
	v_add_lshl_u32 v23, v13, v11, 2
	ds_bpermute_b32 v54, v23, v6
	ds_bpermute_b32 v13, v23, v12
	v_add_u32_e32 v53, 4, v3
	v_cmp_le_u32_e32 vcc, v53, v9
	;; [unrolled: 25-line block ×5, first 2 shown]
	s_and_saveexec_b64 s[38:39], vcc
	s_cbranch_execz .LBB1701_126
; %bb.125:
	v_mov_b32_e32 v9, 0
	s_waitcnt lgkmcnt(1)
	v_add_f32_e32 v12, v6, v13
	v_cmp_eq_u16_sdwa vcc, v7, v9 src0_sel:BYTE_0 src1_sel:DWORD
	v_and_b32_e32 v7, 1, v7
	v_cndmask_b32_e32 v6, v6, v12, vcc
	s_waitcnt lgkmcnt(0)
	v_and_b32_e32 v9, 1, v11
	v_cmp_eq_u32_e32 vcc, 1, v7
	v_cndmask_b32_e64 v7, v9, 1, vcc
.LBB1701_126:
	s_or_b64 exec, exec, s[38:39]
	s_waitcnt lgkmcnt(0)
	v_mov_b32_e32 v11, 0
	v_mov_b32_e32 v62, 2
	s_branch .LBB1701_128
.LBB1701_127:                           ;   in Loop: Header=BB1701_128 Depth=1
	s_or_b64 exec, exec, s[38:39]
	s_waitcnt lgkmcnt(0)
	ds_bpermute_b32 v13, v59, v6
	ds_bpermute_b32 v12, v59, v12
	v_and_b32_e32 v63, 1, v7
	v_cmp_eq_u16_sdwa vcc, v7, v11 src0_sel:BYTE_0 src1_sel:DWORD
	v_subrev_u32_e32 v10, 64, v10
	s_waitcnt lgkmcnt(1)
	v_add_f32_e32 v13, v6, v13
	v_cndmask_b32_e32 v13, v6, v13, vcc
	v_cmp_eq_u32_e32 vcc, 1, v63
	s_waitcnt lgkmcnt(0)
	v_cndmask_b32_e64 v12, v12, 1, vcc
	v_cmp_gt_u32_e32 vcc, v61, v9
	v_cndmask_b32_e32 v6, v13, v6, vcc
	v_cndmask_b32_e32 v7, v12, v7, vcc
	v_add_f32_e32 v6, v60, v6
	v_cmp_eq_u16_sdwa vcc, v58, v11 src0_sel:BYTE_0 src1_sel:DWORD
	v_and_b32_e32 v9, 1, v58
	v_cndmask_b32_e32 v6, v60, v6, vcc
	v_and_b32_e32 v7, 1, v7
	v_cmp_eq_u32_e32 vcc, 1, v9
	v_cndmask_b32_e64 v7, v7, 1, vcc
.LBB1701_128:                           ; =>This Loop Header: Depth=1
                                        ;     Child Loop BB1701_131 Depth 2
                                        ;       Child Loop BB1701_132 Depth 3
	v_cmp_ne_u16_sdwa s[38:39], v8, v62 src0_sel:BYTE_0 src1_sel:DWORD
	v_mov_b32_e32 v58, v7
	v_cndmask_b32_e64 v7, 0, 1, s[38:39]
	;;#ASMSTART
	;;#ASMEND
	v_cmp_ne_u32_e32 vcc, 0, v7
	s_cmp_lg_u64 vcc, exec
	v_mov_b32_e32 v60, v6
	s_cbranch_scc1 .LBB1701_145
; %bb.129:                              ;   in Loop: Header=BB1701_128 Depth=1
	v_lshlrev_b64 v[6:7], 4, v[10:11]
	v_mov_b32_e32 v8, s45
	v_add_co_u32_e32 v12, vcc, s44, v6
	v_addc_co_u32_e32 v13, vcc, v8, v7, vcc
	;;#ASMSTART
	global_load_dwordx4 v[6:9], v[12:13] off glc	
s_waitcnt vmcnt(0)
	;;#ASMEND
	v_cmp_eq_u16_sdwa s[40:41], v8, v11 src0_sel:BYTE_0 src1_sel:DWORD
	s_and_saveexec_b64 s[38:39], s[40:41]
	s_cbranch_execz .LBB1701_135
; %bb.130:                              ;   in Loop: Header=BB1701_128 Depth=1
	s_mov_b32 s48, 1
	s_mov_b64 s[40:41], 0
.LBB1701_131:                           ;   Parent Loop BB1701_128 Depth=1
                                        ; =>  This Loop Header: Depth=2
                                        ;       Child Loop BB1701_132 Depth 3
	s_max_u32 s49, s48, 1
.LBB1701_132:                           ;   Parent Loop BB1701_128 Depth=1
                                        ;     Parent Loop BB1701_131 Depth=2
                                        ; =>    This Inner Loop Header: Depth=3
	s_add_i32 s49, s49, -1
	s_cmp_eq_u32 s49, 0
	s_sleep 1
	s_cbranch_scc0 .LBB1701_132
; %bb.133:                              ;   in Loop: Header=BB1701_131 Depth=2
	s_cmp_lt_u32 s48, 32
	s_cselect_b64 s[54:55], -1, 0
	s_cmp_lg_u64 s[54:55], 0
	s_addc_u32 s48, s48, 0
	;;#ASMSTART
	global_load_dwordx4 v[6:9], v[12:13] off glc	
s_waitcnt vmcnt(0)
	;;#ASMEND
	v_cmp_ne_u16_sdwa s[54:55], v8, v11 src0_sel:BYTE_0 src1_sel:DWORD
	s_or_b64 s[40:41], s[54:55], s[40:41]
	s_andn2_b64 exec, exec, s[40:41]
	s_cbranch_execnz .LBB1701_131
; %bb.134:                              ;   in Loop: Header=BB1701_128 Depth=1
	s_or_b64 exec, exec, s[40:41]
.LBB1701_135:                           ;   in Loop: Header=BB1701_128 Depth=1
	s_or_b64 exec, exec, s[38:39]
	v_cmp_eq_u16_sdwa s[38:39], v8, v62 src0_sel:BYTE_0 src1_sel:DWORD
	v_and_b32_e32 v9, s39, v5
	v_and_b32_e32 v12, 0xff, v7
	v_or_b32_e32 v9, 0x80000000, v9
	ds_bpermute_b32 v63, v20, v6
	ds_bpermute_b32 v13, v20, v12
	v_and_b32_e32 v64, s38, v4
	v_ffbl_b32_e32 v9, v9
	v_add_u32_e32 v9, 32, v9
	v_ffbl_b32_e32 v64, v64
	v_min_u32_e32 v9, v64, v9
	v_cmp_lt_u32_e32 vcc, v3, v9
	s_and_saveexec_b64 s[38:39], vcc
	s_cbranch_execz .LBB1701_137
; %bb.136:                              ;   in Loop: Header=BB1701_128 Depth=1
	s_waitcnt lgkmcnt(1)
	v_add_f32_e32 v12, v6, v63
	v_cmp_eq_u16_sdwa vcc, v7, v11 src0_sel:BYTE_0 src1_sel:DWORD
	v_and_b32_e32 v7, 1, v7
	v_cndmask_b32_e32 v6, v6, v12, vcc
	s_waitcnt lgkmcnt(0)
	v_and_b32_e32 v12, 1, v13
	v_cmp_eq_u32_e32 vcc, 1, v7
	v_cndmask_b32_e64 v7, v12, 1, vcc
	v_and_b32_e32 v12, 0xffff, v7
.LBB1701_137:                           ;   in Loop: Header=BB1701_128 Depth=1
	s_or_b64 exec, exec, s[38:39]
	s_waitcnt lgkmcnt(1)
	ds_bpermute_b32 v63, v21, v6
	s_waitcnt lgkmcnt(1)
	ds_bpermute_b32 v13, v21, v12
	v_cmp_le_u32_e32 vcc, v22, v9
	s_and_saveexec_b64 s[38:39], vcc
	s_cbranch_execz .LBB1701_139
; %bb.138:                              ;   in Loop: Header=BB1701_128 Depth=1
	s_waitcnt lgkmcnt(1)
	v_add_f32_e32 v12, v6, v63
	v_cmp_eq_u16_sdwa vcc, v7, v11 src0_sel:BYTE_0 src1_sel:DWORD
	v_and_b32_e32 v7, 1, v7
	v_cndmask_b32_e32 v6, v6, v12, vcc
	s_waitcnt lgkmcnt(0)
	v_and_b32_e32 v12, 1, v13
	v_cmp_eq_u32_e32 vcc, 1, v7
	v_cndmask_b32_e64 v7, v12, 1, vcc
	v_and_b32_e32 v12, 0xffff, v7
.LBB1701_139:                           ;   in Loop: Header=BB1701_128 Depth=1
	s_or_b64 exec, exec, s[38:39]
	s_waitcnt lgkmcnt(1)
	ds_bpermute_b32 v63, v23, v6
	s_waitcnt lgkmcnt(1)
	ds_bpermute_b32 v13, v23, v12
	v_cmp_le_u32_e32 vcc, v53, v9
	;; [unrolled: 20-line block ×4, first 2 shown]
	s_and_saveexec_b64 s[38:39], vcc
	s_cbranch_execz .LBB1701_127
; %bb.144:                              ;   in Loop: Header=BB1701_128 Depth=1
	s_waitcnt lgkmcnt(1)
	v_add_f32_e32 v12, v6, v63
	v_cmp_eq_u16_sdwa vcc, v7, v11 src0_sel:BYTE_0 src1_sel:DWORD
	v_and_b32_e32 v7, 1, v7
	v_cndmask_b32_e32 v6, v6, v12, vcc
	s_waitcnt lgkmcnt(0)
	v_and_b32_e32 v12, 1, v13
	v_cmp_eq_u32_e32 vcc, 1, v7
	v_cndmask_b32_e64 v7, v12, 1, vcc
	v_and_b32_e32 v12, 0xffff, v7
	s_branch .LBB1701_127
.LBB1701_145:                           ;   in Loop: Header=BB1701_128 Depth=1
                                        ; implicit-def: $vgpr7
	s_cbranch_execz .LBB1701_128
; %bb.146:
	s_and_saveexec_b64 s[38:39], s[26:27]
	s_cbranch_execz .LBB1701_148
; %bb.147:
	s_and_b32 s40, s47, 0xff
	s_cmp_eq_u32 s40, 0
	s_cselect_b64 vcc, -1, 0
	s_bitcmp1_b32 s47, 0
	s_mov_b32 s41, 0
	s_cselect_b64 s[48:49], -1, 0
	s_add_i32 s40, s6, 64
	s_lshl_b64 s[40:41], s[40:41], 4
	v_add_f32_e32 v3, v60, v2
	s_add_u32 s40, s44, s40
	v_cndmask_b32_e32 v2, v2, v3, vcc
	v_and_b32_e32 v3, 1, v58
	s_addc_u32 s41, s45, s41
	v_cndmask_b32_e64 v3, v3, 1, s[48:49]
	v_mov_b32_e32 v4, 2
	v_mov_b32_e32 v5, 0
	v_pk_mov_b32 v[6:7], s[40:41], s[40:41] op_sel:[0,1]
	;;#ASMSTART
	global_store_dwordx4 v[6:7], v[2:5] off	
s_waitcnt vmcnt(0)
	;;#ASMEND
.LBB1701_148:
	s_or_b64 exec, exec, s[38:39]
	v_cmp_eq_u32_e32 vcc, 0, v0
	s_and_b64 exec, exec, vcc
	s_cbranch_execz .LBB1701_150
; %bb.149:
	v_mov_b32_e32 v2, 0
	ds_write_b32 v2, v60 offset:24
	ds_write_b8 v2, v58 offset:28
.LBB1701_150:
	s_or_b64 exec, exec, s[30:31]
	v_mov_b32_e32 v3, 0
	s_waitcnt lgkmcnt(0)
	s_barrier
	ds_read_b32 v2, v3 offset:24
	v_cndmask_b32_e64 v4, v19, v17, s[26:27]
	v_cndmask_b32_e64 v5, v18, v16, s[26:27]
	v_cmp_eq_u32_sdwa vcc, v4, v3 src0_sel:BYTE_0 src1_sel:DWORD
	s_waitcnt lgkmcnt(0)
	v_add_f32_e32 v6, v5, v2
	v_cndmask_b32_e32 v4, v5, v6, vcc
	v_cmp_eq_u32_e32 vcc, 0, v0
	v_cndmask_b32_e32 v2, v4, v2, vcc
	v_add_f32_e32 v4, v28, v2
	v_cmp_eq_u16_sdwa vcc, v1, v3 src0_sel:BYTE_0 src1_sel:DWORD
	v_cndmask_b32_e32 v3, v28, v4, vcc
	v_add_f32_e32 v4, v26, v3
	v_cndmask_b32_e64 v16, v26, v4, s[2:3]
	v_add_f32_e32 v4, v27, v16
	v_cndmask_b32_e64 v17, v27, v4, s[4:5]
	;; [unrolled: 2-line block ×12, first 2 shown]
	s_branch .LBB1701_189
.LBB1701_151:
	s_or_b64 exec, exec, s[30:31]
                                        ; implicit-def: $vgpr29
	s_and_saveexec_b64 s[30:31], s[2:3]
	s_cbranch_execz .LBB1701_33
.LBB1701_152:
	v_mov_b32_e32 v29, s56
	v_add_co_u32_e32 v30, vcc, s47, v27
	v_addc_co_u32_e32 v31, vcc, 0, v29, vcc
	flat_load_dword v29, v[30:31] offset:1024
	s_waitcnt vmcnt(0) lgkmcnt(0)
	v_cvt_f32_u32_e32 v29, v29
	s_or_b64 exec, exec, s[30:31]
                                        ; implicit-def: $vgpr30
	s_and_saveexec_b64 s[2:3], s[4:5]
	s_cbranch_execnz .LBB1701_34
.LBB1701_153:
	s_or_b64 exec, exec, s[2:3]
                                        ; implicit-def: $vgpr31
	s_and_saveexec_b64 s[2:3], s[28:29]
	s_cbranch_execz .LBB1701_35
.LBB1701_154:
	v_mov_b32_e32 v31, s56
	v_add_co_u32_e32 v32, vcc, s47, v27
	v_addc_co_u32_e32 v33, vcc, 0, v31, vcc
	flat_load_dword v31, v[32:33] offset:3072
	s_waitcnt vmcnt(0) lgkmcnt(0)
	v_cvt_f32_u32_e32 v31, v31
	s_or_b64 exec, exec, s[2:3]
                                        ; implicit-def: $vgpr32
	s_and_saveexec_b64 s[2:3], s[8:9]
	s_cbranch_execnz .LBB1701_36
.LBB1701_155:
	s_or_b64 exec, exec, s[2:3]
                                        ; implicit-def: $vgpr1
	s_and_saveexec_b64 s[2:3], s[10:11]
	s_cbranch_execz .LBB1701_37
.LBB1701_156:
	v_lshlrev_b32_e32 v1, 2, v16
	v_mov_b32_e32 v16, s56
	v_add_co_u32_e32 v34, vcc, s47, v1
	v_addc_co_u32_e32 v35, vcc, 0, v16, vcc
	flat_load_dword v1, v[34:35]
	s_waitcnt vmcnt(0) lgkmcnt(0)
	v_cvt_f32_u32_e32 v1, v1
	s_or_b64 exec, exec, s[2:3]
                                        ; implicit-def: $vgpr16
	s_and_saveexec_b64 s[2:3], s[12:13]
	s_cbranch_execnz .LBB1701_38
.LBB1701_157:
	s_or_b64 exec, exec, s[2:3]
                                        ; implicit-def: $vgpr17
	s_and_saveexec_b64 s[2:3], s[14:15]
	s_cbranch_execz .LBB1701_39
.LBB1701_158:
	v_lshlrev_b32_e32 v17, 2, v20
	v_mov_b32_e32 v20, s56
	v_add_co_u32_e32 v34, vcc, s47, v17
	v_addc_co_u32_e32 v35, vcc, 0, v20, vcc
	flat_load_dword v17, v[34:35]
	s_waitcnt vmcnt(0) lgkmcnt(0)
	v_cvt_f32_u32_e32 v17, v17
	s_or_b64 exec, exec, s[2:3]
                                        ; implicit-def: $vgpr33
	s_and_saveexec_b64 s[2:3], s[16:17]
	s_cbranch_execnz .LBB1701_40
.LBB1701_159:
	s_or_b64 exec, exec, s[2:3]
                                        ; implicit-def: $vgpr21
	s_and_saveexec_b64 s[2:3], s[18:19]
	s_cbranch_execz .LBB1701_41
.LBB1701_160:
	v_lshlrev_b32_e32 v20, 2, v22
	v_mov_b32_e32 v21, s56
	v_add_co_u32_e32 v20, vcc, s47, v20
	v_addc_co_u32_e32 v21, vcc, 0, v21, vcc
	flat_load_dword v20, v[20:21]
	s_waitcnt vmcnt(0) lgkmcnt(0)
	v_cvt_f32_u32_e32 v21, v20
	s_or_b64 exec, exec, s[2:3]
                                        ; implicit-def: $vgpr22
	s_and_saveexec_b64 s[2:3], s[20:21]
	s_cbranch_execnz .LBB1701_42
.LBB1701_161:
	s_or_b64 exec, exec, s[2:3]
                                        ; implicit-def: $vgpr23
	s_and_saveexec_b64 s[2:3], s[22:23]
	s_cbranch_execz .LBB1701_43
.LBB1701_162:
	v_lshlrev_b32_e32 v20, 2, v24
	v_mov_b32_e32 v23, s56
	v_add_co_u32_e32 v34, vcc, s47, v20
	v_addc_co_u32_e32 v35, vcc, 0, v23, vcc
	flat_load_dword v20, v[34:35]
	s_waitcnt vmcnt(0) lgkmcnt(0)
	v_cvt_f32_u32_e32 v23, v20
	s_or_b64 exec, exec, s[2:3]
                                        ; implicit-def: $vgpr24
	s_and_saveexec_b64 s[2:3], s[24:25]
	s_cbranch_execz .LBB1701_45
	s_branch .LBB1701_44
.LBB1701_163:
                                        ; implicit-def: $vgpr23
                                        ; implicit-def: $vgpr21
                                        ; implicit-def: $vgpr19
                                        ; implicit-def: $vgpr17
                                        ; implicit-def: $vgpr10_vgpr11_vgpr12_vgpr13
                                        ; implicit-def: $vgpr6_vgpr7_vgpr8_vgpr9
                                        ; implicit-def: $vgpr2_vgpr3_vgpr4_vgpr5
	s_cbranch_execz .LBB1701_189
; %bb.164:
	s_cmp_lg_u64 s[52:53], 0
	s_cselect_b32 s3, s51, 0
	s_cselect_b32 s2, s50, 0
	s_cmp_eq_u64 s[2:3], 0
	v_mov_b32_e32 v4, s7
	s_cbranch_scc1 .LBB1701_166
; %bb.165:
	v_mov_b32_e32 v2, 0
	global_load_dword v4, v2, s[2:3]
.LBB1701_166:
	v_mov_b32_e32 v2, 0
	v_cmp_eq_u16_sdwa s[2:3], v32, v2 src0_sel:BYTE_0 src1_sel:DWORD
	v_cndmask_b32_e64 v3, v26, v52, s[2:3]
	v_add_f32_e32 v3, v27, v3
	v_cmp_eq_u16_sdwa s[4:5], v35, v2 src0_sel:BYTE_0 src1_sel:DWORD
	v_cndmask_b32_e64 v3, v27, v3, s[4:5]
	v_add_f32_e32 v3, v29, v3
	;; [unrolled: 3-line block ×7, first 2 shown]
	v_cmp_eq_u16_sdwa s[16:17], v45, v2 src0_sel:BYTE_0 src1_sel:DWORD
	v_cmp_eq_u16_sdwa s[18:19], v46, v2 src0_sel:BYTE_0 src1_sel:DWORD
	;; [unrolled: 1-line block ×4, first 2 shown]
	v_cmp_eq_u16_sdwa vcc, v39, v2 src0_sel:BYTE_0 src1_sel:DWORD
	v_cmp_eq_u16_sdwa s[24:25], v14, v2 src0_sel:BYTE_0 src1_sel:DWORD
	v_or_b32_e32 v2, v51, v47
	v_cndmask_b32_e64 v3, v34, v3, s[16:17]
	v_or_b32_e32 v2, v2, v46
	v_add_f32_e32 v3, v36, v3
	v_or_b32_e32 v2, v2, v45
	v_cndmask_b32_e64 v3, v36, v3, s[18:19]
	v_or_b32_e32 v2, v2, v44
	v_add_f32_e32 v3, v37, v3
	;; [unrolled: 4-line block ×4, first 2 shown]
	v_or_b32_e32 v2, v2, v35
	v_cndmask_b32_e32 v3, v24, v3, vcc
	v_or_b32_e32 v2, v2, v32
	v_add_f32_e32 v3, v15, v3
	v_and_b32_e32 v2, 1, v2
	v_and_b32_e32 v6, 0xff, v1
	v_cndmask_b32_e64 v5, v15, v3, s[24:25]
	v_cmp_eq_u32_e64 s[24:25], 1, v2
	v_cndmask_b32_e64 v7, v6, 1, s[24:25]
	v_mbcnt_hi_u32_b32 v6, -1, v50
	v_and_b32_e32 v2, 15, v6
	v_mov_b32_dpp v8, v5 row_shr:1 row_mask:0xf bank_mask:0xf
	v_mov_b32_dpp v3, v7 row_shr:1 row_mask:0xf bank_mask:0xf
	v_cmp_ne_u32_e64 s[24:25], 0, v2
	s_and_saveexec_b64 s[26:27], s[24:25]
; %bb.167:
	v_add_f32_e32 v8, v5, v8
	v_cmp_eq_u32_e64 s[24:25], 0, v7
	v_and_b32_e32 v7, 1, v7
	v_cndmask_b32_e64 v5, v5, v8, s[24:25]
	v_and_b32_e32 v3, 1, v3
	v_cmp_eq_u32_e64 s[24:25], 1, v7
	v_cndmask_b32_e64 v7, v3, 1, s[24:25]
; %bb.168:
	s_or_b64 exec, exec, s[26:27]
	v_mov_b32_dpp v8, v5 row_shr:2 row_mask:0xf bank_mask:0xf
	v_mov_b32_dpp v3, v7 row_shr:2 row_mask:0xf bank_mask:0xf
	v_cmp_lt_u32_e64 s[24:25], 1, v2
	s_and_saveexec_b64 s[26:27], s[24:25]
; %bb.169:
	v_add_f32_e32 v8, v5, v8
	v_cmp_eq_u32_e64 s[24:25], 0, v7
	v_and_b32_e32 v7, 1, v7
	v_cndmask_b32_e64 v5, v5, v8, s[24:25]
	v_and_b32_e32 v3, 1, v3
	v_cmp_eq_u32_e64 s[24:25], 1, v7
	v_cndmask_b32_e64 v7, v3, 1, s[24:25]
; %bb.170:
	s_or_b64 exec, exec, s[26:27]
	v_mov_b32_dpp v8, v5 row_shr:4 row_mask:0xf bank_mask:0xf
	v_mov_b32_dpp v3, v7 row_shr:4 row_mask:0xf bank_mask:0xf
	v_cmp_lt_u32_e64 s[24:25], 3, v2
	;; [unrolled: 14-line block ×3, first 2 shown]
	s_and_saveexec_b64 s[26:27], s[24:25]
; %bb.173:
	v_add_f32_e32 v2, v5, v8
	v_cmp_eq_u32_e64 s[24:25], 0, v7
	v_cndmask_b32_e64 v5, v5, v2, s[24:25]
	v_and_b32_e32 v2, 1, v7
	v_and_b32_e32 v3, 1, v3
	v_cmp_eq_u32_e64 s[24:25], 1, v2
	v_cndmask_b32_e64 v7, v3, 1, s[24:25]
; %bb.174:
	s_or_b64 exec, exec, s[26:27]
	v_and_b32_e32 v8, 16, v6
	v_mov_b32_dpp v3, v5 row_bcast:15 row_mask:0xf bank_mask:0xf
	v_mov_b32_dpp v2, v7 row_bcast:15 row_mask:0xf bank_mask:0xf
	v_cmp_ne_u32_e64 s[24:25], 0, v8
	s_and_saveexec_b64 s[26:27], s[24:25]
; %bb.175:
	v_add_f32_e32 v3, v5, v3
	v_cmp_eq_u32_e64 s[24:25], 0, v7
	v_cndmask_b32_e64 v5, v5, v3, s[24:25]
	v_and_b32_e32 v3, 1, v7
	v_and_b32_e32 v2, 1, v2
	v_cmp_eq_u32_e64 s[24:25], 1, v3
	v_cndmask_b32_e64 v7, v2, 1, s[24:25]
; %bb.176:
	s_or_b64 exec, exec, s[26:27]
	v_mov_b32_dpp v3, v5 row_bcast:31 row_mask:0xf bank_mask:0xf
	v_mov_b32_dpp v2, v7 row_bcast:31 row_mask:0xf bank_mask:0xf
	v_cmp_lt_u32_e64 s[24:25], 31, v6
	s_and_saveexec_b64 s[26:27], s[24:25]
; %bb.177:
	v_add_f32_e32 v3, v5, v3
	v_cmp_eq_u32_e64 s[24:25], 0, v7
	v_cndmask_b32_e64 v5, v5, v3, s[24:25]
	v_and_b32_e32 v3, 1, v7
	v_and_b32_e32 v2, 1, v2
	v_cmp_eq_u32_e64 s[24:25], 1, v3
	v_cndmask_b32_e64 v7, v2, 1, s[24:25]
; %bb.178:
	s_or_b64 exec, exec, s[26:27]
	v_or_b32_e32 v2, 63, v0
	v_lshrrev_b32_e32 v8, 6, v0
	v_cmp_eq_u32_e64 s[24:25], v2, v0
	s_and_saveexec_b64 s[26:27], s[24:25]
	s_cbranch_execz .LBB1701_180
; %bb.179:
	v_lshlrev_b32_e32 v2, 3, v8
	ds_write_b32 v2, v5
	ds_write_b8 v2, v7 offset:4
.LBB1701_180:
	s_or_b64 exec, exec, s[26:27]
	v_cmp_gt_u32_e64 s[24:25], 4, v0
	s_waitcnt lgkmcnt(0)
	s_barrier
	s_and_saveexec_b64 s[26:27], s[24:25]
	s_cbranch_execz .LBB1701_184
; %bb.181:
	v_lshlrev_b32_e32 v9, 3, v0
	ds_read_b64 v[2:3], v9
	v_and_b32_e32 v10, 3, v6
	v_cmp_ne_u32_e64 s[24:25], 0, v10
	s_waitcnt lgkmcnt(0)
	v_mov_b32_dpp v13, v2 row_shr:1 row_mask:0xf bank_mask:0xf
	v_mov_b32_dpp v12, v3 row_shr:1 row_mask:0xf bank_mask:0xf
	v_mov_b32_e32 v11, v3
	s_and_saveexec_b64 s[28:29], s[24:25]
; %bb.182:
	v_mov_b32_e32 v11, 0
	v_add_f32_e32 v13, v2, v13
	v_cmp_eq_u16_sdwa s[24:25], v3, v11 src0_sel:BYTE_0 src1_sel:DWORD
	v_and_b32_e32 v11, 1, v3
	v_cndmask_b32_e64 v2, v2, v13, s[24:25]
	v_and_b32_e32 v12, 1, v12
	v_cmp_eq_u32_e64 s[24:25], 1, v11
	v_cndmask_b32_e64 v11, v12, 1, s[24:25]
	s_movk_i32 s24, 0xff00
	v_and_or_b32 v3, v3, s24, v11
; %bb.183:
	s_or_b64 exec, exec, s[28:29]
	v_mov_b32_e32 v14, 0
	v_mov_b32_dpp v13, v3 row_shr:2 row_mask:0xf bank_mask:0xf
	v_cmp_eq_u16_sdwa s[28:29], v11, v14 src0_sel:BYTE_0 src1_sel:DWORD
	v_and_b32_e32 v11, 1, v11
	v_and_b32_e32 v13, 1, v13
	v_cmp_eq_u32_e64 s[24:25], 1, v11
	v_mov_b32_dpp v12, v2 row_shr:2 row_mask:0xf bank_mask:0xf
	v_cndmask_b32_e64 v11, v13, 1, s[24:25]
	v_cmp_lt_u32_e64 s[24:25], 1, v10
	v_add_f32_e32 v12, v2, v12
	v_cndmask_b32_e64 v3, v3, v11, s[24:25]
	s_and_b64 s[24:25], s[24:25], s[28:29]
	v_cndmask_b32_e64 v2, v2, v12, s[24:25]
	ds_write_b32 v9, v2
	ds_write_b8 v9, v3 offset:4
.LBB1701_184:
	s_or_b64 exec, exec, s[26:27]
	v_cmp_lt_u32_e64 s[24:25], 63, v0
	s_waitcnt vmcnt(0)
	v_mov_b32_e32 v2, v4
	s_waitcnt lgkmcnt(0)
	s_barrier
	s_and_saveexec_b64 s[26:27], s[24:25]
	s_cbranch_execz .LBB1701_186
; %bb.185:
	v_lshl_add_u32 v2, v8, 3, -8
	ds_read_b32 v3, v2
	ds_read_u8 v2, v2 offset:4
	s_waitcnt lgkmcnt(1)
	v_add_f32_e32 v8, v4, v3
	s_waitcnt lgkmcnt(0)
	v_cmp_eq_u16_e64 s[24:25], 0, v2
	v_cndmask_b32_e64 v2, v3, v8, s[24:25]
.LBB1701_186:
	s_or_b64 exec, exec, s[26:27]
	v_add_f32_e32 v3, v5, v2
	v_cmp_eq_u32_e64 s[24:25], 0, v7
	v_cndmask_b32_e64 v3, v5, v3, s[24:25]
	v_add_u32_e32 v5, -1, v6
	v_and_b32_e32 v7, 64, v6
	v_cmp_lt_i32_e64 s[24:25], v5, v7
	v_cndmask_b32_e64 v5, v5, v6, s[24:25]
	v_lshlrev_b32_e32 v5, 2, v5
	ds_bpermute_b32 v3, v5, v3
	v_cmp_eq_u32_e64 s[24:25], 0, v6
	v_mov_b32_e32 v15, 0
	v_cmp_eq_u16_sdwa s[26:27], v1, v15 src0_sel:BYTE_0 src1_sel:DWORD
	s_waitcnt lgkmcnt(0)
	v_cndmask_b32_e64 v2, v3, v2, s[24:25]
	v_cmp_eq_u32_e64 s[24:25], 0, v0
	v_cndmask_b32_e64 v3, v2, v4, s[24:25]
	v_add_f32_e32 v3, v28, v3
	v_cndmask_b32_e64 v3, v28, v3, s[26:27]
	v_add_f32_e32 v1, v26, v3
	;; [unrolled: 2-line block ×13, first 2 shown]
	s_and_saveexec_b64 s[4:5], s[24:25]
	s_cbranch_execz .LBB1701_188
; %bb.187:
	ds_read_b32 v2, v15 offset:24
	ds_read_u8 v5, v15 offset:28
	s_add_u32 s6, s44, 0x400
	s_addc_u32 s7, s45, 0
	v_mov_b32_e32 v14, 2
	s_waitcnt lgkmcnt(1)
	v_add_f32_e32 v8, v4, v2
	s_waitcnt lgkmcnt(0)
	v_cmp_eq_u16_e64 s[2:3], 0, v5
	v_cndmask_b32_e64 v12, v2, v8, s[2:3]
	v_and_b32_e32 v13, 0xffff, v5
	v_pk_mov_b32 v[8:9], s[6:7], s[6:7] op_sel:[0,1]
	;;#ASMSTART
	global_store_dwordx4 v[8:9], v[12:15] off	
s_waitcnt vmcnt(0)
	;;#ASMEND
	v_mov_b32_e32 v2, v4
.LBB1701_188:
	s_or_b64 exec, exec, s[4:5]
	v_cndmask_b32_e32 v23, v24, v1, vcc
.LBB1701_189:
	s_add_u32 s2, s42, s34
	s_addc_u32 s3, s43, s35
	s_add_u32 s4, s2, s36
	v_mul_u32_u24_e32 v1, 14, v0
	s_addc_u32 s5, s3, s37
	s_and_b64 vcc, exec, s[0:1]
	v_lshlrev_b32_e32 v4, 2, v1
	s_cbranch_vccz .LBB1701_217
; %bb.190:
	s_movk_i32 s0, 0xffcc
	v_mad_i32_i24 v5, v0, s0, v4
	s_barrier
	ds_write2_b64 v4, v[2:3], v[16:17] offset1:1
	s_waitcnt vmcnt(0)
	ds_write2_b64 v4, v[6:7], v[18:19] offset0:2 offset1:3
	ds_write2_b64 v4, v[10:11], v[20:21] offset0:4 offset1:5
	ds_write_b64 v4, v[22:23] offset:48
	s_waitcnt lgkmcnt(0)
	s_barrier
	ds_read2st64_b32 v[30:31], v5 offset0:4 offset1:8
	ds_read2st64_b32 v[28:29], v5 offset0:12 offset1:16
	;; [unrolled: 1-line block ×6, first 2 shown]
	ds_read_b32 v5, v5 offset:13312
	v_mov_b32_e32 v13, s5
	v_add_co_u32_e32 v12, vcc, s4, v49
	s_add_i32 s33, s33, s46
	v_addc_co_u32_e32 v13, vcc, 0, v13, vcc
	v_mov_b32_e32 v1, 0
	v_cmp_gt_u32_e32 vcc, s33, v0
	s_and_saveexec_b64 s[0:1], vcc
	s_cbranch_execz .LBB1701_192
; %bb.191:
	v_mul_i32_i24_e32 v32, 0xffffffcc, v0
	v_add_u32_e32 v32, v4, v32
	ds_read_b32 v32, v32
	s_waitcnt lgkmcnt(0)
	flat_store_dword v[12:13], v32
.LBB1701_192:
	s_or_b64 exec, exec, s[0:1]
	v_or_b32_e32 v32, 0x100, v0
	v_cmp_gt_u32_e32 vcc, s33, v32
	s_and_saveexec_b64 s[0:1], vcc
	s_cbranch_execz .LBB1701_194
; %bb.193:
	s_waitcnt lgkmcnt(0)
	flat_store_dword v[12:13], v30 offset:1024
.LBB1701_194:
	s_or_b64 exec, exec, s[0:1]
	s_waitcnt lgkmcnt(0)
	v_or_b32_e32 v30, 0x200, v0
	v_cmp_gt_u32_e32 vcc, s33, v30
	s_and_saveexec_b64 s[0:1], vcc
	s_cbranch_execz .LBB1701_196
; %bb.195:
	flat_store_dword v[12:13], v31 offset:2048
.LBB1701_196:
	s_or_b64 exec, exec, s[0:1]
	v_or_b32_e32 v30, 0x300, v0
	v_cmp_gt_u32_e32 vcc, s33, v30
	s_and_saveexec_b64 s[0:1], vcc
	s_cbranch_execz .LBB1701_198
; %bb.197:
	flat_store_dword v[12:13], v28 offset:3072
.LBB1701_198:
	s_or_b64 exec, exec, s[0:1]
	v_or_b32_e32 v28, 0x400, v0
	v_cmp_gt_u32_e32 vcc, s33, v28
	s_and_saveexec_b64 s[0:1], vcc
	s_cbranch_execz .LBB1701_200
; %bb.199:
	v_add_co_u32_e32 v30, vcc, 0x1000, v12
	v_addc_co_u32_e32 v31, vcc, 0, v13, vcc
	flat_store_dword v[30:31], v29
.LBB1701_200:
	s_or_b64 exec, exec, s[0:1]
	v_or_b32_e32 v28, 0x500, v0
	v_cmp_gt_u32_e32 vcc, s33, v28
	s_and_saveexec_b64 s[0:1], vcc
	s_cbranch_execz .LBB1701_202
; %bb.201:
	v_add_co_u32_e32 v28, vcc, 0x1000, v12
	v_addc_co_u32_e32 v29, vcc, 0, v13, vcc
	flat_store_dword v[28:29], v26 offset:1024
.LBB1701_202:
	s_or_b64 exec, exec, s[0:1]
	v_or_b32_e32 v26, 0x600, v0
	v_cmp_gt_u32_e32 vcc, s33, v26
	s_and_saveexec_b64 s[0:1], vcc
	s_cbranch_execz .LBB1701_204
; %bb.203:
	v_add_co_u32_e32 v28, vcc, 0x1000, v12
	v_addc_co_u32_e32 v29, vcc, 0, v13, vcc
	flat_store_dword v[28:29], v27 offset:2048
.LBB1701_204:
	;; [unrolled: 10-line block ×3, first 2 shown]
	s_or_b64 exec, exec, s[0:1]
	v_or_b32_e32 v24, 0x800, v0
	v_cmp_gt_u32_e32 vcc, s33, v24
	s_and_saveexec_b64 s[0:1], vcc
	s_cbranch_execz .LBB1701_208
; %bb.207:
	v_add_co_u32_e32 v26, vcc, 0x2000, v12
	v_addc_co_u32_e32 v27, vcc, 0, v13, vcc
	flat_store_dword v[26:27], v25
.LBB1701_208:
	s_or_b64 exec, exec, s[0:1]
	v_or_b32_e32 v24, 0x900, v0
	v_cmp_gt_u32_e32 vcc, s33, v24
	s_and_saveexec_b64 s[0:1], vcc
	s_cbranch_execz .LBB1701_210
; %bb.209:
	v_add_co_u32_e32 v24, vcc, 0x2000, v12
	v_addc_co_u32_e32 v25, vcc, 0, v13, vcc
	flat_store_dword v[24:25], v14 offset:1024
.LBB1701_210:
	s_or_b64 exec, exec, s[0:1]
	v_or_b32_e32 v14, 0xa00, v0
	v_cmp_gt_u32_e32 vcc, s33, v14
	s_and_saveexec_b64 s[0:1], vcc
	s_cbranch_execz .LBB1701_212
; %bb.211:
	v_add_co_u32_e32 v24, vcc, 0x2000, v12
	v_addc_co_u32_e32 v25, vcc, 0, v13, vcc
	flat_store_dword v[24:25], v15 offset:2048
.LBB1701_212:
	;; [unrolled: 10-line block ×3, first 2 shown]
	s_or_b64 exec, exec, s[0:1]
	v_or_b32_e32 v8, 0xc00, v0
	v_cmp_gt_u32_e32 vcc, s33, v8
	s_and_saveexec_b64 s[0:1], vcc
	s_cbranch_execz .LBB1701_216
; %bb.215:
	v_add_co_u32_e32 v12, vcc, 0x3000, v12
	v_addc_co_u32_e32 v13, vcc, 0, v13, vcc
	flat_store_dword v[12:13], v9
.LBB1701_216:
	s_or_b64 exec, exec, s[0:1]
	v_or_b32_e32 v8, 0xd00, v0
	v_cmp_gt_u32_e64 s[0:1], s33, v8
	s_branch .LBB1701_219
.LBB1701_217:
	s_mov_b64 s[0:1], 0
                                        ; implicit-def: $vgpr5
	s_cbranch_execz .LBB1701_219
; %bb.218:
	s_movk_i32 s2, 0xffcc
	s_waitcnt lgkmcnt(0)
	s_barrier
	ds_write2_b64 v4, v[2:3], v[16:17] offset1:1
	s_waitcnt vmcnt(0)
	ds_write2_b64 v4, v[6:7], v[18:19] offset0:2 offset1:3
	ds_write2_b64 v4, v[10:11], v[20:21] offset0:4 offset1:5
	ds_write_b64 v4, v[22:23] offset:48
	v_mad_i32_i24 v4, v0, s2, v4
	v_mov_b32_e32 v17, s5
	v_add_co_u32_e32 v16, vcc, s4, v49
	s_waitcnt lgkmcnt(0)
	s_barrier
	ds_read2st64_b32 v[2:3], v4 offset1:4
	ds_read2st64_b32 v[6:7], v4 offset0:8 offset1:12
	ds_read2st64_b32 v[8:9], v4 offset0:16 offset1:20
	;; [unrolled: 1-line block ×6, first 2 shown]
	v_addc_co_u32_e32 v17, vcc, 0, v17, vcc
	s_movk_i32 s2, 0x1000
	s_waitcnt lgkmcnt(6)
	flat_store_dword v[16:17], v2
	flat_store_dword v[16:17], v3 offset:1024
	s_waitcnt lgkmcnt(0)
	flat_store_dword v[16:17], v6 offset:2048
	flat_store_dword v[16:17], v7 offset:3072
	v_add_co_u32_e32 v2, vcc, s2, v16
	v_addc_co_u32_e32 v3, vcc, 0, v17, vcc
	flat_store_dword v[2:3], v8
	flat_store_dword v[2:3], v9 offset:1024
	flat_store_dword v[2:3], v10 offset:2048
	;; [unrolled: 1-line block ×3, first 2 shown]
	v_add_co_u32_e32 v2, vcc, 0x2000, v16
	v_addc_co_u32_e32 v3, vcc, 0, v17, vcc
	flat_store_dword v[2:3], v12
	flat_store_dword v[2:3], v13 offset:1024
	flat_store_dword v[2:3], v14 offset:2048
	;; [unrolled: 1-line block ×3, first 2 shown]
	v_add_co_u32_e32 v2, vcc, 0x3000, v16
	v_mov_b32_e32 v1, 0
	v_addc_co_u32_e32 v3, vcc, 0, v17, vcc
	s_or_b64 s[0:1], s[0:1], exec
	flat_store_dword v[2:3], v4
.LBB1701_219:
	s_and_saveexec_b64 s[2:3], s[0:1]
	s_cbranch_execz .LBB1701_221
; %bb.220:
	v_lshlrev_b64 v[0:1], 2, v[0:1]
	v_mov_b32_e32 v2, s5
	v_add_co_u32_e32 v0, vcc, s4, v0
	v_addc_co_u32_e32 v1, vcc, v2, v1, vcc
	v_add_co_u32_e32 v0, vcc, 0x3000, v0
	v_addc_co_u32_e32 v1, vcc, 0, v1, vcc
	flat_store_dword v[0:1], v5 offset:1024
	s_endpgm
.LBB1701_221:
	s_endpgm
	.section	.rodata,"a",@progbits
	.p2align	6, 0x0
	.amdhsa_kernel _ZN7rocprim17ROCPRIM_400000_NS6detail17trampoline_kernelINS0_14default_configENS1_27scan_by_key_config_selectorIifEEZZNS1_16scan_by_key_implILNS1_25lookback_scan_determinismE0ELb1ES3_N6thrust23THRUST_200600_302600_NS6detail15normal_iteratorINS9_10device_ptrIiEEEENSB_INSC_IjEEEENSB_INSC_IfEEEEfNS9_4plusIvEENS9_8equal_toIvEEfEE10hipError_tPvRmT2_T3_T4_T5_mT6_T7_P12ihipStream_tbENKUlT_T0_E_clISt17integral_constantIbLb1EES12_IbLb0EEEEDaSY_SZ_EUlSY_E_NS1_11comp_targetILNS1_3genE4ELNS1_11target_archE910ELNS1_3gpuE8ELNS1_3repE0EEENS1_30default_config_static_selectorELNS0_4arch9wavefront6targetE1EEEvT1_
		.amdhsa_group_segment_fixed_size 16384
		.amdhsa_private_segment_fixed_size 0
		.amdhsa_kernarg_size 112
		.amdhsa_user_sgpr_count 6
		.amdhsa_user_sgpr_private_segment_buffer 1
		.amdhsa_user_sgpr_dispatch_ptr 0
		.amdhsa_user_sgpr_queue_ptr 0
		.amdhsa_user_sgpr_kernarg_segment_ptr 1
		.amdhsa_user_sgpr_dispatch_id 0
		.amdhsa_user_sgpr_flat_scratch_init 0
		.amdhsa_user_sgpr_kernarg_preload_length 0
		.amdhsa_user_sgpr_kernarg_preload_offset 0
		.amdhsa_user_sgpr_private_segment_size 0
		.amdhsa_uses_dynamic_stack 0
		.amdhsa_system_sgpr_private_segment_wavefront_offset 0
		.amdhsa_system_sgpr_workgroup_id_x 1
		.amdhsa_system_sgpr_workgroup_id_y 0
		.amdhsa_system_sgpr_workgroup_id_z 0
		.amdhsa_system_sgpr_workgroup_info 0
		.amdhsa_system_vgpr_workitem_id 0
		.amdhsa_next_free_vgpr 65
		.amdhsa_next_free_sgpr 59
		.amdhsa_accum_offset 68
		.amdhsa_reserve_vcc 1
		.amdhsa_reserve_flat_scratch 0
		.amdhsa_float_round_mode_32 0
		.amdhsa_float_round_mode_16_64 0
		.amdhsa_float_denorm_mode_32 3
		.amdhsa_float_denorm_mode_16_64 3
		.amdhsa_dx10_clamp 1
		.amdhsa_ieee_mode 1
		.amdhsa_fp16_overflow 0
		.amdhsa_tg_split 0
		.amdhsa_exception_fp_ieee_invalid_op 0
		.amdhsa_exception_fp_denorm_src 0
		.amdhsa_exception_fp_ieee_div_zero 0
		.amdhsa_exception_fp_ieee_overflow 0
		.amdhsa_exception_fp_ieee_underflow 0
		.amdhsa_exception_fp_ieee_inexact 0
		.amdhsa_exception_int_div_zero 0
	.end_amdhsa_kernel
	.section	.text._ZN7rocprim17ROCPRIM_400000_NS6detail17trampoline_kernelINS0_14default_configENS1_27scan_by_key_config_selectorIifEEZZNS1_16scan_by_key_implILNS1_25lookback_scan_determinismE0ELb1ES3_N6thrust23THRUST_200600_302600_NS6detail15normal_iteratorINS9_10device_ptrIiEEEENSB_INSC_IjEEEENSB_INSC_IfEEEEfNS9_4plusIvEENS9_8equal_toIvEEfEE10hipError_tPvRmT2_T3_T4_T5_mT6_T7_P12ihipStream_tbENKUlT_T0_E_clISt17integral_constantIbLb1EES12_IbLb0EEEEDaSY_SZ_EUlSY_E_NS1_11comp_targetILNS1_3genE4ELNS1_11target_archE910ELNS1_3gpuE8ELNS1_3repE0EEENS1_30default_config_static_selectorELNS0_4arch9wavefront6targetE1EEEvT1_,"axG",@progbits,_ZN7rocprim17ROCPRIM_400000_NS6detail17trampoline_kernelINS0_14default_configENS1_27scan_by_key_config_selectorIifEEZZNS1_16scan_by_key_implILNS1_25lookback_scan_determinismE0ELb1ES3_N6thrust23THRUST_200600_302600_NS6detail15normal_iteratorINS9_10device_ptrIiEEEENSB_INSC_IjEEEENSB_INSC_IfEEEEfNS9_4plusIvEENS9_8equal_toIvEEfEE10hipError_tPvRmT2_T3_T4_T5_mT6_T7_P12ihipStream_tbENKUlT_T0_E_clISt17integral_constantIbLb1EES12_IbLb0EEEEDaSY_SZ_EUlSY_E_NS1_11comp_targetILNS1_3genE4ELNS1_11target_archE910ELNS1_3gpuE8ELNS1_3repE0EEENS1_30default_config_static_selectorELNS0_4arch9wavefront6targetE1EEEvT1_,comdat
.Lfunc_end1701:
	.size	_ZN7rocprim17ROCPRIM_400000_NS6detail17trampoline_kernelINS0_14default_configENS1_27scan_by_key_config_selectorIifEEZZNS1_16scan_by_key_implILNS1_25lookback_scan_determinismE0ELb1ES3_N6thrust23THRUST_200600_302600_NS6detail15normal_iteratorINS9_10device_ptrIiEEEENSB_INSC_IjEEEENSB_INSC_IfEEEEfNS9_4plusIvEENS9_8equal_toIvEEfEE10hipError_tPvRmT2_T3_T4_T5_mT6_T7_P12ihipStream_tbENKUlT_T0_E_clISt17integral_constantIbLb1EES12_IbLb0EEEEDaSY_SZ_EUlSY_E_NS1_11comp_targetILNS1_3genE4ELNS1_11target_archE910ELNS1_3gpuE8ELNS1_3repE0EEENS1_30default_config_static_selectorELNS0_4arch9wavefront6targetE1EEEvT1_, .Lfunc_end1701-_ZN7rocprim17ROCPRIM_400000_NS6detail17trampoline_kernelINS0_14default_configENS1_27scan_by_key_config_selectorIifEEZZNS1_16scan_by_key_implILNS1_25lookback_scan_determinismE0ELb1ES3_N6thrust23THRUST_200600_302600_NS6detail15normal_iteratorINS9_10device_ptrIiEEEENSB_INSC_IjEEEENSB_INSC_IfEEEEfNS9_4plusIvEENS9_8equal_toIvEEfEE10hipError_tPvRmT2_T3_T4_T5_mT6_T7_P12ihipStream_tbENKUlT_T0_E_clISt17integral_constantIbLb1EES12_IbLb0EEEEDaSY_SZ_EUlSY_E_NS1_11comp_targetILNS1_3genE4ELNS1_11target_archE910ELNS1_3gpuE8ELNS1_3repE0EEENS1_30default_config_static_selectorELNS0_4arch9wavefront6targetE1EEEvT1_
                                        ; -- End function
	.section	.AMDGPU.csdata,"",@progbits
; Kernel info:
; codeLenInByte = 10852
; NumSgprs: 63
; NumVgprs: 65
; NumAgprs: 0
; TotalNumVgprs: 65
; ScratchSize: 0
; MemoryBound: 0
; FloatMode: 240
; IeeeMode: 1
; LDSByteSize: 16384 bytes/workgroup (compile time only)
; SGPRBlocks: 7
; VGPRBlocks: 8
; NumSGPRsForWavesPerEU: 63
; NumVGPRsForWavesPerEU: 65
; AccumOffset: 68
; Occupancy: 4
; WaveLimiterHint : 1
; COMPUTE_PGM_RSRC2:SCRATCH_EN: 0
; COMPUTE_PGM_RSRC2:USER_SGPR: 6
; COMPUTE_PGM_RSRC2:TRAP_HANDLER: 0
; COMPUTE_PGM_RSRC2:TGID_X_EN: 1
; COMPUTE_PGM_RSRC2:TGID_Y_EN: 0
; COMPUTE_PGM_RSRC2:TGID_Z_EN: 0
; COMPUTE_PGM_RSRC2:TIDIG_COMP_CNT: 0
; COMPUTE_PGM_RSRC3_GFX90A:ACCUM_OFFSET: 16
; COMPUTE_PGM_RSRC3_GFX90A:TG_SPLIT: 0
	.section	.text._ZN7rocprim17ROCPRIM_400000_NS6detail17trampoline_kernelINS0_14default_configENS1_27scan_by_key_config_selectorIifEEZZNS1_16scan_by_key_implILNS1_25lookback_scan_determinismE0ELb1ES3_N6thrust23THRUST_200600_302600_NS6detail15normal_iteratorINS9_10device_ptrIiEEEENSB_INSC_IjEEEENSB_INSC_IfEEEEfNS9_4plusIvEENS9_8equal_toIvEEfEE10hipError_tPvRmT2_T3_T4_T5_mT6_T7_P12ihipStream_tbENKUlT_T0_E_clISt17integral_constantIbLb1EES12_IbLb0EEEEDaSY_SZ_EUlSY_E_NS1_11comp_targetILNS1_3genE3ELNS1_11target_archE908ELNS1_3gpuE7ELNS1_3repE0EEENS1_30default_config_static_selectorELNS0_4arch9wavefront6targetE1EEEvT1_,"axG",@progbits,_ZN7rocprim17ROCPRIM_400000_NS6detail17trampoline_kernelINS0_14default_configENS1_27scan_by_key_config_selectorIifEEZZNS1_16scan_by_key_implILNS1_25lookback_scan_determinismE0ELb1ES3_N6thrust23THRUST_200600_302600_NS6detail15normal_iteratorINS9_10device_ptrIiEEEENSB_INSC_IjEEEENSB_INSC_IfEEEEfNS9_4plusIvEENS9_8equal_toIvEEfEE10hipError_tPvRmT2_T3_T4_T5_mT6_T7_P12ihipStream_tbENKUlT_T0_E_clISt17integral_constantIbLb1EES12_IbLb0EEEEDaSY_SZ_EUlSY_E_NS1_11comp_targetILNS1_3genE3ELNS1_11target_archE908ELNS1_3gpuE7ELNS1_3repE0EEENS1_30default_config_static_selectorELNS0_4arch9wavefront6targetE1EEEvT1_,comdat
	.protected	_ZN7rocprim17ROCPRIM_400000_NS6detail17trampoline_kernelINS0_14default_configENS1_27scan_by_key_config_selectorIifEEZZNS1_16scan_by_key_implILNS1_25lookback_scan_determinismE0ELb1ES3_N6thrust23THRUST_200600_302600_NS6detail15normal_iteratorINS9_10device_ptrIiEEEENSB_INSC_IjEEEENSB_INSC_IfEEEEfNS9_4plusIvEENS9_8equal_toIvEEfEE10hipError_tPvRmT2_T3_T4_T5_mT6_T7_P12ihipStream_tbENKUlT_T0_E_clISt17integral_constantIbLb1EES12_IbLb0EEEEDaSY_SZ_EUlSY_E_NS1_11comp_targetILNS1_3genE3ELNS1_11target_archE908ELNS1_3gpuE7ELNS1_3repE0EEENS1_30default_config_static_selectorELNS0_4arch9wavefront6targetE1EEEvT1_ ; -- Begin function _ZN7rocprim17ROCPRIM_400000_NS6detail17trampoline_kernelINS0_14default_configENS1_27scan_by_key_config_selectorIifEEZZNS1_16scan_by_key_implILNS1_25lookback_scan_determinismE0ELb1ES3_N6thrust23THRUST_200600_302600_NS6detail15normal_iteratorINS9_10device_ptrIiEEEENSB_INSC_IjEEEENSB_INSC_IfEEEEfNS9_4plusIvEENS9_8equal_toIvEEfEE10hipError_tPvRmT2_T3_T4_T5_mT6_T7_P12ihipStream_tbENKUlT_T0_E_clISt17integral_constantIbLb1EES12_IbLb0EEEEDaSY_SZ_EUlSY_E_NS1_11comp_targetILNS1_3genE3ELNS1_11target_archE908ELNS1_3gpuE7ELNS1_3repE0EEENS1_30default_config_static_selectorELNS0_4arch9wavefront6targetE1EEEvT1_
	.globl	_ZN7rocprim17ROCPRIM_400000_NS6detail17trampoline_kernelINS0_14default_configENS1_27scan_by_key_config_selectorIifEEZZNS1_16scan_by_key_implILNS1_25lookback_scan_determinismE0ELb1ES3_N6thrust23THRUST_200600_302600_NS6detail15normal_iteratorINS9_10device_ptrIiEEEENSB_INSC_IjEEEENSB_INSC_IfEEEEfNS9_4plusIvEENS9_8equal_toIvEEfEE10hipError_tPvRmT2_T3_T4_T5_mT6_T7_P12ihipStream_tbENKUlT_T0_E_clISt17integral_constantIbLb1EES12_IbLb0EEEEDaSY_SZ_EUlSY_E_NS1_11comp_targetILNS1_3genE3ELNS1_11target_archE908ELNS1_3gpuE7ELNS1_3repE0EEENS1_30default_config_static_selectorELNS0_4arch9wavefront6targetE1EEEvT1_
	.p2align	8
	.type	_ZN7rocprim17ROCPRIM_400000_NS6detail17trampoline_kernelINS0_14default_configENS1_27scan_by_key_config_selectorIifEEZZNS1_16scan_by_key_implILNS1_25lookback_scan_determinismE0ELb1ES3_N6thrust23THRUST_200600_302600_NS6detail15normal_iteratorINS9_10device_ptrIiEEEENSB_INSC_IjEEEENSB_INSC_IfEEEEfNS9_4plusIvEENS9_8equal_toIvEEfEE10hipError_tPvRmT2_T3_T4_T5_mT6_T7_P12ihipStream_tbENKUlT_T0_E_clISt17integral_constantIbLb1EES12_IbLb0EEEEDaSY_SZ_EUlSY_E_NS1_11comp_targetILNS1_3genE3ELNS1_11target_archE908ELNS1_3gpuE7ELNS1_3repE0EEENS1_30default_config_static_selectorELNS0_4arch9wavefront6targetE1EEEvT1_,@function
_ZN7rocprim17ROCPRIM_400000_NS6detail17trampoline_kernelINS0_14default_configENS1_27scan_by_key_config_selectorIifEEZZNS1_16scan_by_key_implILNS1_25lookback_scan_determinismE0ELb1ES3_N6thrust23THRUST_200600_302600_NS6detail15normal_iteratorINS9_10device_ptrIiEEEENSB_INSC_IjEEEENSB_INSC_IfEEEEfNS9_4plusIvEENS9_8equal_toIvEEfEE10hipError_tPvRmT2_T3_T4_T5_mT6_T7_P12ihipStream_tbENKUlT_T0_E_clISt17integral_constantIbLb1EES12_IbLb0EEEEDaSY_SZ_EUlSY_E_NS1_11comp_targetILNS1_3genE3ELNS1_11target_archE908ELNS1_3gpuE7ELNS1_3repE0EEENS1_30default_config_static_selectorELNS0_4arch9wavefront6targetE1EEEvT1_: ; @_ZN7rocprim17ROCPRIM_400000_NS6detail17trampoline_kernelINS0_14default_configENS1_27scan_by_key_config_selectorIifEEZZNS1_16scan_by_key_implILNS1_25lookback_scan_determinismE0ELb1ES3_N6thrust23THRUST_200600_302600_NS6detail15normal_iteratorINS9_10device_ptrIiEEEENSB_INSC_IjEEEENSB_INSC_IfEEEEfNS9_4plusIvEENS9_8equal_toIvEEfEE10hipError_tPvRmT2_T3_T4_T5_mT6_T7_P12ihipStream_tbENKUlT_T0_E_clISt17integral_constantIbLb1EES12_IbLb0EEEEDaSY_SZ_EUlSY_E_NS1_11comp_targetILNS1_3genE3ELNS1_11target_archE908ELNS1_3gpuE7ELNS1_3repE0EEENS1_30default_config_static_selectorELNS0_4arch9wavefront6targetE1EEEvT1_
; %bb.0:
	.section	.rodata,"a",@progbits
	.p2align	6, 0x0
	.amdhsa_kernel _ZN7rocprim17ROCPRIM_400000_NS6detail17trampoline_kernelINS0_14default_configENS1_27scan_by_key_config_selectorIifEEZZNS1_16scan_by_key_implILNS1_25lookback_scan_determinismE0ELb1ES3_N6thrust23THRUST_200600_302600_NS6detail15normal_iteratorINS9_10device_ptrIiEEEENSB_INSC_IjEEEENSB_INSC_IfEEEEfNS9_4plusIvEENS9_8equal_toIvEEfEE10hipError_tPvRmT2_T3_T4_T5_mT6_T7_P12ihipStream_tbENKUlT_T0_E_clISt17integral_constantIbLb1EES12_IbLb0EEEEDaSY_SZ_EUlSY_E_NS1_11comp_targetILNS1_3genE3ELNS1_11target_archE908ELNS1_3gpuE7ELNS1_3repE0EEENS1_30default_config_static_selectorELNS0_4arch9wavefront6targetE1EEEvT1_
		.amdhsa_group_segment_fixed_size 0
		.amdhsa_private_segment_fixed_size 0
		.amdhsa_kernarg_size 112
		.amdhsa_user_sgpr_count 6
		.amdhsa_user_sgpr_private_segment_buffer 1
		.amdhsa_user_sgpr_dispatch_ptr 0
		.amdhsa_user_sgpr_queue_ptr 0
		.amdhsa_user_sgpr_kernarg_segment_ptr 1
		.amdhsa_user_sgpr_dispatch_id 0
		.amdhsa_user_sgpr_flat_scratch_init 0
		.amdhsa_user_sgpr_kernarg_preload_length 0
		.amdhsa_user_sgpr_kernarg_preload_offset 0
		.amdhsa_user_sgpr_private_segment_size 0
		.amdhsa_uses_dynamic_stack 0
		.amdhsa_system_sgpr_private_segment_wavefront_offset 0
		.amdhsa_system_sgpr_workgroup_id_x 1
		.amdhsa_system_sgpr_workgroup_id_y 0
		.amdhsa_system_sgpr_workgroup_id_z 0
		.amdhsa_system_sgpr_workgroup_info 0
		.amdhsa_system_vgpr_workitem_id 0
		.amdhsa_next_free_vgpr 1
		.amdhsa_next_free_sgpr 0
		.amdhsa_accum_offset 4
		.amdhsa_reserve_vcc 0
		.amdhsa_reserve_flat_scratch 0
		.amdhsa_float_round_mode_32 0
		.amdhsa_float_round_mode_16_64 0
		.amdhsa_float_denorm_mode_32 3
		.amdhsa_float_denorm_mode_16_64 3
		.amdhsa_dx10_clamp 1
		.amdhsa_ieee_mode 1
		.amdhsa_fp16_overflow 0
		.amdhsa_tg_split 0
		.amdhsa_exception_fp_ieee_invalid_op 0
		.amdhsa_exception_fp_denorm_src 0
		.amdhsa_exception_fp_ieee_div_zero 0
		.amdhsa_exception_fp_ieee_overflow 0
		.amdhsa_exception_fp_ieee_underflow 0
		.amdhsa_exception_fp_ieee_inexact 0
		.amdhsa_exception_int_div_zero 0
	.end_amdhsa_kernel
	.section	.text._ZN7rocprim17ROCPRIM_400000_NS6detail17trampoline_kernelINS0_14default_configENS1_27scan_by_key_config_selectorIifEEZZNS1_16scan_by_key_implILNS1_25lookback_scan_determinismE0ELb1ES3_N6thrust23THRUST_200600_302600_NS6detail15normal_iteratorINS9_10device_ptrIiEEEENSB_INSC_IjEEEENSB_INSC_IfEEEEfNS9_4plusIvEENS9_8equal_toIvEEfEE10hipError_tPvRmT2_T3_T4_T5_mT6_T7_P12ihipStream_tbENKUlT_T0_E_clISt17integral_constantIbLb1EES12_IbLb0EEEEDaSY_SZ_EUlSY_E_NS1_11comp_targetILNS1_3genE3ELNS1_11target_archE908ELNS1_3gpuE7ELNS1_3repE0EEENS1_30default_config_static_selectorELNS0_4arch9wavefront6targetE1EEEvT1_,"axG",@progbits,_ZN7rocprim17ROCPRIM_400000_NS6detail17trampoline_kernelINS0_14default_configENS1_27scan_by_key_config_selectorIifEEZZNS1_16scan_by_key_implILNS1_25lookback_scan_determinismE0ELb1ES3_N6thrust23THRUST_200600_302600_NS6detail15normal_iteratorINS9_10device_ptrIiEEEENSB_INSC_IjEEEENSB_INSC_IfEEEEfNS9_4plusIvEENS9_8equal_toIvEEfEE10hipError_tPvRmT2_T3_T4_T5_mT6_T7_P12ihipStream_tbENKUlT_T0_E_clISt17integral_constantIbLb1EES12_IbLb0EEEEDaSY_SZ_EUlSY_E_NS1_11comp_targetILNS1_3genE3ELNS1_11target_archE908ELNS1_3gpuE7ELNS1_3repE0EEENS1_30default_config_static_selectorELNS0_4arch9wavefront6targetE1EEEvT1_,comdat
.Lfunc_end1702:
	.size	_ZN7rocprim17ROCPRIM_400000_NS6detail17trampoline_kernelINS0_14default_configENS1_27scan_by_key_config_selectorIifEEZZNS1_16scan_by_key_implILNS1_25lookback_scan_determinismE0ELb1ES3_N6thrust23THRUST_200600_302600_NS6detail15normal_iteratorINS9_10device_ptrIiEEEENSB_INSC_IjEEEENSB_INSC_IfEEEEfNS9_4plusIvEENS9_8equal_toIvEEfEE10hipError_tPvRmT2_T3_T4_T5_mT6_T7_P12ihipStream_tbENKUlT_T0_E_clISt17integral_constantIbLb1EES12_IbLb0EEEEDaSY_SZ_EUlSY_E_NS1_11comp_targetILNS1_3genE3ELNS1_11target_archE908ELNS1_3gpuE7ELNS1_3repE0EEENS1_30default_config_static_selectorELNS0_4arch9wavefront6targetE1EEEvT1_, .Lfunc_end1702-_ZN7rocprim17ROCPRIM_400000_NS6detail17trampoline_kernelINS0_14default_configENS1_27scan_by_key_config_selectorIifEEZZNS1_16scan_by_key_implILNS1_25lookback_scan_determinismE0ELb1ES3_N6thrust23THRUST_200600_302600_NS6detail15normal_iteratorINS9_10device_ptrIiEEEENSB_INSC_IjEEEENSB_INSC_IfEEEEfNS9_4plusIvEENS9_8equal_toIvEEfEE10hipError_tPvRmT2_T3_T4_T5_mT6_T7_P12ihipStream_tbENKUlT_T0_E_clISt17integral_constantIbLb1EES12_IbLb0EEEEDaSY_SZ_EUlSY_E_NS1_11comp_targetILNS1_3genE3ELNS1_11target_archE908ELNS1_3gpuE7ELNS1_3repE0EEENS1_30default_config_static_selectorELNS0_4arch9wavefront6targetE1EEEvT1_
                                        ; -- End function
	.section	.AMDGPU.csdata,"",@progbits
; Kernel info:
; codeLenInByte = 0
; NumSgprs: 4
; NumVgprs: 0
; NumAgprs: 0
; TotalNumVgprs: 0
; ScratchSize: 0
; MemoryBound: 0
; FloatMode: 240
; IeeeMode: 1
; LDSByteSize: 0 bytes/workgroup (compile time only)
; SGPRBlocks: 0
; VGPRBlocks: 0
; NumSGPRsForWavesPerEU: 4
; NumVGPRsForWavesPerEU: 1
; AccumOffset: 4
; Occupancy: 8
; WaveLimiterHint : 0
; COMPUTE_PGM_RSRC2:SCRATCH_EN: 0
; COMPUTE_PGM_RSRC2:USER_SGPR: 6
; COMPUTE_PGM_RSRC2:TRAP_HANDLER: 0
; COMPUTE_PGM_RSRC2:TGID_X_EN: 1
; COMPUTE_PGM_RSRC2:TGID_Y_EN: 0
; COMPUTE_PGM_RSRC2:TGID_Z_EN: 0
; COMPUTE_PGM_RSRC2:TIDIG_COMP_CNT: 0
; COMPUTE_PGM_RSRC3_GFX90A:ACCUM_OFFSET: 0
; COMPUTE_PGM_RSRC3_GFX90A:TG_SPLIT: 0
	.section	.text._ZN7rocprim17ROCPRIM_400000_NS6detail17trampoline_kernelINS0_14default_configENS1_27scan_by_key_config_selectorIifEEZZNS1_16scan_by_key_implILNS1_25lookback_scan_determinismE0ELb1ES3_N6thrust23THRUST_200600_302600_NS6detail15normal_iteratorINS9_10device_ptrIiEEEENSB_INSC_IjEEEENSB_INSC_IfEEEEfNS9_4plusIvEENS9_8equal_toIvEEfEE10hipError_tPvRmT2_T3_T4_T5_mT6_T7_P12ihipStream_tbENKUlT_T0_E_clISt17integral_constantIbLb1EES12_IbLb0EEEEDaSY_SZ_EUlSY_E_NS1_11comp_targetILNS1_3genE2ELNS1_11target_archE906ELNS1_3gpuE6ELNS1_3repE0EEENS1_30default_config_static_selectorELNS0_4arch9wavefront6targetE1EEEvT1_,"axG",@progbits,_ZN7rocprim17ROCPRIM_400000_NS6detail17trampoline_kernelINS0_14default_configENS1_27scan_by_key_config_selectorIifEEZZNS1_16scan_by_key_implILNS1_25lookback_scan_determinismE0ELb1ES3_N6thrust23THRUST_200600_302600_NS6detail15normal_iteratorINS9_10device_ptrIiEEEENSB_INSC_IjEEEENSB_INSC_IfEEEEfNS9_4plusIvEENS9_8equal_toIvEEfEE10hipError_tPvRmT2_T3_T4_T5_mT6_T7_P12ihipStream_tbENKUlT_T0_E_clISt17integral_constantIbLb1EES12_IbLb0EEEEDaSY_SZ_EUlSY_E_NS1_11comp_targetILNS1_3genE2ELNS1_11target_archE906ELNS1_3gpuE6ELNS1_3repE0EEENS1_30default_config_static_selectorELNS0_4arch9wavefront6targetE1EEEvT1_,comdat
	.protected	_ZN7rocprim17ROCPRIM_400000_NS6detail17trampoline_kernelINS0_14default_configENS1_27scan_by_key_config_selectorIifEEZZNS1_16scan_by_key_implILNS1_25lookback_scan_determinismE0ELb1ES3_N6thrust23THRUST_200600_302600_NS6detail15normal_iteratorINS9_10device_ptrIiEEEENSB_INSC_IjEEEENSB_INSC_IfEEEEfNS9_4plusIvEENS9_8equal_toIvEEfEE10hipError_tPvRmT2_T3_T4_T5_mT6_T7_P12ihipStream_tbENKUlT_T0_E_clISt17integral_constantIbLb1EES12_IbLb0EEEEDaSY_SZ_EUlSY_E_NS1_11comp_targetILNS1_3genE2ELNS1_11target_archE906ELNS1_3gpuE6ELNS1_3repE0EEENS1_30default_config_static_selectorELNS0_4arch9wavefront6targetE1EEEvT1_ ; -- Begin function _ZN7rocprim17ROCPRIM_400000_NS6detail17trampoline_kernelINS0_14default_configENS1_27scan_by_key_config_selectorIifEEZZNS1_16scan_by_key_implILNS1_25lookback_scan_determinismE0ELb1ES3_N6thrust23THRUST_200600_302600_NS6detail15normal_iteratorINS9_10device_ptrIiEEEENSB_INSC_IjEEEENSB_INSC_IfEEEEfNS9_4plusIvEENS9_8equal_toIvEEfEE10hipError_tPvRmT2_T3_T4_T5_mT6_T7_P12ihipStream_tbENKUlT_T0_E_clISt17integral_constantIbLb1EES12_IbLb0EEEEDaSY_SZ_EUlSY_E_NS1_11comp_targetILNS1_3genE2ELNS1_11target_archE906ELNS1_3gpuE6ELNS1_3repE0EEENS1_30default_config_static_selectorELNS0_4arch9wavefront6targetE1EEEvT1_
	.globl	_ZN7rocprim17ROCPRIM_400000_NS6detail17trampoline_kernelINS0_14default_configENS1_27scan_by_key_config_selectorIifEEZZNS1_16scan_by_key_implILNS1_25lookback_scan_determinismE0ELb1ES3_N6thrust23THRUST_200600_302600_NS6detail15normal_iteratorINS9_10device_ptrIiEEEENSB_INSC_IjEEEENSB_INSC_IfEEEEfNS9_4plusIvEENS9_8equal_toIvEEfEE10hipError_tPvRmT2_T3_T4_T5_mT6_T7_P12ihipStream_tbENKUlT_T0_E_clISt17integral_constantIbLb1EES12_IbLb0EEEEDaSY_SZ_EUlSY_E_NS1_11comp_targetILNS1_3genE2ELNS1_11target_archE906ELNS1_3gpuE6ELNS1_3repE0EEENS1_30default_config_static_selectorELNS0_4arch9wavefront6targetE1EEEvT1_
	.p2align	8
	.type	_ZN7rocprim17ROCPRIM_400000_NS6detail17trampoline_kernelINS0_14default_configENS1_27scan_by_key_config_selectorIifEEZZNS1_16scan_by_key_implILNS1_25lookback_scan_determinismE0ELb1ES3_N6thrust23THRUST_200600_302600_NS6detail15normal_iteratorINS9_10device_ptrIiEEEENSB_INSC_IjEEEENSB_INSC_IfEEEEfNS9_4plusIvEENS9_8equal_toIvEEfEE10hipError_tPvRmT2_T3_T4_T5_mT6_T7_P12ihipStream_tbENKUlT_T0_E_clISt17integral_constantIbLb1EES12_IbLb0EEEEDaSY_SZ_EUlSY_E_NS1_11comp_targetILNS1_3genE2ELNS1_11target_archE906ELNS1_3gpuE6ELNS1_3repE0EEENS1_30default_config_static_selectorELNS0_4arch9wavefront6targetE1EEEvT1_,@function
_ZN7rocprim17ROCPRIM_400000_NS6detail17trampoline_kernelINS0_14default_configENS1_27scan_by_key_config_selectorIifEEZZNS1_16scan_by_key_implILNS1_25lookback_scan_determinismE0ELb1ES3_N6thrust23THRUST_200600_302600_NS6detail15normal_iteratorINS9_10device_ptrIiEEEENSB_INSC_IjEEEENSB_INSC_IfEEEEfNS9_4plusIvEENS9_8equal_toIvEEfEE10hipError_tPvRmT2_T3_T4_T5_mT6_T7_P12ihipStream_tbENKUlT_T0_E_clISt17integral_constantIbLb1EES12_IbLb0EEEEDaSY_SZ_EUlSY_E_NS1_11comp_targetILNS1_3genE2ELNS1_11target_archE906ELNS1_3gpuE6ELNS1_3repE0EEENS1_30default_config_static_selectorELNS0_4arch9wavefront6targetE1EEEvT1_: ; @_ZN7rocprim17ROCPRIM_400000_NS6detail17trampoline_kernelINS0_14default_configENS1_27scan_by_key_config_selectorIifEEZZNS1_16scan_by_key_implILNS1_25lookback_scan_determinismE0ELb1ES3_N6thrust23THRUST_200600_302600_NS6detail15normal_iteratorINS9_10device_ptrIiEEEENSB_INSC_IjEEEENSB_INSC_IfEEEEfNS9_4plusIvEENS9_8equal_toIvEEfEE10hipError_tPvRmT2_T3_T4_T5_mT6_T7_P12ihipStream_tbENKUlT_T0_E_clISt17integral_constantIbLb1EES12_IbLb0EEEEDaSY_SZ_EUlSY_E_NS1_11comp_targetILNS1_3genE2ELNS1_11target_archE906ELNS1_3gpuE6ELNS1_3repE0EEENS1_30default_config_static_selectorELNS0_4arch9wavefront6targetE1EEEvT1_
; %bb.0:
	.section	.rodata,"a",@progbits
	.p2align	6, 0x0
	.amdhsa_kernel _ZN7rocprim17ROCPRIM_400000_NS6detail17trampoline_kernelINS0_14default_configENS1_27scan_by_key_config_selectorIifEEZZNS1_16scan_by_key_implILNS1_25lookback_scan_determinismE0ELb1ES3_N6thrust23THRUST_200600_302600_NS6detail15normal_iteratorINS9_10device_ptrIiEEEENSB_INSC_IjEEEENSB_INSC_IfEEEEfNS9_4plusIvEENS9_8equal_toIvEEfEE10hipError_tPvRmT2_T3_T4_T5_mT6_T7_P12ihipStream_tbENKUlT_T0_E_clISt17integral_constantIbLb1EES12_IbLb0EEEEDaSY_SZ_EUlSY_E_NS1_11comp_targetILNS1_3genE2ELNS1_11target_archE906ELNS1_3gpuE6ELNS1_3repE0EEENS1_30default_config_static_selectorELNS0_4arch9wavefront6targetE1EEEvT1_
		.amdhsa_group_segment_fixed_size 0
		.amdhsa_private_segment_fixed_size 0
		.amdhsa_kernarg_size 112
		.amdhsa_user_sgpr_count 6
		.amdhsa_user_sgpr_private_segment_buffer 1
		.amdhsa_user_sgpr_dispatch_ptr 0
		.amdhsa_user_sgpr_queue_ptr 0
		.amdhsa_user_sgpr_kernarg_segment_ptr 1
		.amdhsa_user_sgpr_dispatch_id 0
		.amdhsa_user_sgpr_flat_scratch_init 0
		.amdhsa_user_sgpr_kernarg_preload_length 0
		.amdhsa_user_sgpr_kernarg_preload_offset 0
		.amdhsa_user_sgpr_private_segment_size 0
		.amdhsa_uses_dynamic_stack 0
		.amdhsa_system_sgpr_private_segment_wavefront_offset 0
		.amdhsa_system_sgpr_workgroup_id_x 1
		.amdhsa_system_sgpr_workgroup_id_y 0
		.amdhsa_system_sgpr_workgroup_id_z 0
		.amdhsa_system_sgpr_workgroup_info 0
		.amdhsa_system_vgpr_workitem_id 0
		.amdhsa_next_free_vgpr 1
		.amdhsa_next_free_sgpr 0
		.amdhsa_accum_offset 4
		.amdhsa_reserve_vcc 0
		.amdhsa_reserve_flat_scratch 0
		.amdhsa_float_round_mode_32 0
		.amdhsa_float_round_mode_16_64 0
		.amdhsa_float_denorm_mode_32 3
		.amdhsa_float_denorm_mode_16_64 3
		.amdhsa_dx10_clamp 1
		.amdhsa_ieee_mode 1
		.amdhsa_fp16_overflow 0
		.amdhsa_tg_split 0
		.amdhsa_exception_fp_ieee_invalid_op 0
		.amdhsa_exception_fp_denorm_src 0
		.amdhsa_exception_fp_ieee_div_zero 0
		.amdhsa_exception_fp_ieee_overflow 0
		.amdhsa_exception_fp_ieee_underflow 0
		.amdhsa_exception_fp_ieee_inexact 0
		.amdhsa_exception_int_div_zero 0
	.end_amdhsa_kernel
	.section	.text._ZN7rocprim17ROCPRIM_400000_NS6detail17trampoline_kernelINS0_14default_configENS1_27scan_by_key_config_selectorIifEEZZNS1_16scan_by_key_implILNS1_25lookback_scan_determinismE0ELb1ES3_N6thrust23THRUST_200600_302600_NS6detail15normal_iteratorINS9_10device_ptrIiEEEENSB_INSC_IjEEEENSB_INSC_IfEEEEfNS9_4plusIvEENS9_8equal_toIvEEfEE10hipError_tPvRmT2_T3_T4_T5_mT6_T7_P12ihipStream_tbENKUlT_T0_E_clISt17integral_constantIbLb1EES12_IbLb0EEEEDaSY_SZ_EUlSY_E_NS1_11comp_targetILNS1_3genE2ELNS1_11target_archE906ELNS1_3gpuE6ELNS1_3repE0EEENS1_30default_config_static_selectorELNS0_4arch9wavefront6targetE1EEEvT1_,"axG",@progbits,_ZN7rocprim17ROCPRIM_400000_NS6detail17trampoline_kernelINS0_14default_configENS1_27scan_by_key_config_selectorIifEEZZNS1_16scan_by_key_implILNS1_25lookback_scan_determinismE0ELb1ES3_N6thrust23THRUST_200600_302600_NS6detail15normal_iteratorINS9_10device_ptrIiEEEENSB_INSC_IjEEEENSB_INSC_IfEEEEfNS9_4plusIvEENS9_8equal_toIvEEfEE10hipError_tPvRmT2_T3_T4_T5_mT6_T7_P12ihipStream_tbENKUlT_T0_E_clISt17integral_constantIbLb1EES12_IbLb0EEEEDaSY_SZ_EUlSY_E_NS1_11comp_targetILNS1_3genE2ELNS1_11target_archE906ELNS1_3gpuE6ELNS1_3repE0EEENS1_30default_config_static_selectorELNS0_4arch9wavefront6targetE1EEEvT1_,comdat
.Lfunc_end1703:
	.size	_ZN7rocprim17ROCPRIM_400000_NS6detail17trampoline_kernelINS0_14default_configENS1_27scan_by_key_config_selectorIifEEZZNS1_16scan_by_key_implILNS1_25lookback_scan_determinismE0ELb1ES3_N6thrust23THRUST_200600_302600_NS6detail15normal_iteratorINS9_10device_ptrIiEEEENSB_INSC_IjEEEENSB_INSC_IfEEEEfNS9_4plusIvEENS9_8equal_toIvEEfEE10hipError_tPvRmT2_T3_T4_T5_mT6_T7_P12ihipStream_tbENKUlT_T0_E_clISt17integral_constantIbLb1EES12_IbLb0EEEEDaSY_SZ_EUlSY_E_NS1_11comp_targetILNS1_3genE2ELNS1_11target_archE906ELNS1_3gpuE6ELNS1_3repE0EEENS1_30default_config_static_selectorELNS0_4arch9wavefront6targetE1EEEvT1_, .Lfunc_end1703-_ZN7rocprim17ROCPRIM_400000_NS6detail17trampoline_kernelINS0_14default_configENS1_27scan_by_key_config_selectorIifEEZZNS1_16scan_by_key_implILNS1_25lookback_scan_determinismE0ELb1ES3_N6thrust23THRUST_200600_302600_NS6detail15normal_iteratorINS9_10device_ptrIiEEEENSB_INSC_IjEEEENSB_INSC_IfEEEEfNS9_4plusIvEENS9_8equal_toIvEEfEE10hipError_tPvRmT2_T3_T4_T5_mT6_T7_P12ihipStream_tbENKUlT_T0_E_clISt17integral_constantIbLb1EES12_IbLb0EEEEDaSY_SZ_EUlSY_E_NS1_11comp_targetILNS1_3genE2ELNS1_11target_archE906ELNS1_3gpuE6ELNS1_3repE0EEENS1_30default_config_static_selectorELNS0_4arch9wavefront6targetE1EEEvT1_
                                        ; -- End function
	.section	.AMDGPU.csdata,"",@progbits
; Kernel info:
; codeLenInByte = 0
; NumSgprs: 4
; NumVgprs: 0
; NumAgprs: 0
; TotalNumVgprs: 0
; ScratchSize: 0
; MemoryBound: 0
; FloatMode: 240
; IeeeMode: 1
; LDSByteSize: 0 bytes/workgroup (compile time only)
; SGPRBlocks: 0
; VGPRBlocks: 0
; NumSGPRsForWavesPerEU: 4
; NumVGPRsForWavesPerEU: 1
; AccumOffset: 4
; Occupancy: 8
; WaveLimiterHint : 0
; COMPUTE_PGM_RSRC2:SCRATCH_EN: 0
; COMPUTE_PGM_RSRC2:USER_SGPR: 6
; COMPUTE_PGM_RSRC2:TRAP_HANDLER: 0
; COMPUTE_PGM_RSRC2:TGID_X_EN: 1
; COMPUTE_PGM_RSRC2:TGID_Y_EN: 0
; COMPUTE_PGM_RSRC2:TGID_Z_EN: 0
; COMPUTE_PGM_RSRC2:TIDIG_COMP_CNT: 0
; COMPUTE_PGM_RSRC3_GFX90A:ACCUM_OFFSET: 0
; COMPUTE_PGM_RSRC3_GFX90A:TG_SPLIT: 0
	.section	.text._ZN7rocprim17ROCPRIM_400000_NS6detail17trampoline_kernelINS0_14default_configENS1_27scan_by_key_config_selectorIifEEZZNS1_16scan_by_key_implILNS1_25lookback_scan_determinismE0ELb1ES3_N6thrust23THRUST_200600_302600_NS6detail15normal_iteratorINS9_10device_ptrIiEEEENSB_INSC_IjEEEENSB_INSC_IfEEEEfNS9_4plusIvEENS9_8equal_toIvEEfEE10hipError_tPvRmT2_T3_T4_T5_mT6_T7_P12ihipStream_tbENKUlT_T0_E_clISt17integral_constantIbLb1EES12_IbLb0EEEEDaSY_SZ_EUlSY_E_NS1_11comp_targetILNS1_3genE10ELNS1_11target_archE1200ELNS1_3gpuE4ELNS1_3repE0EEENS1_30default_config_static_selectorELNS0_4arch9wavefront6targetE1EEEvT1_,"axG",@progbits,_ZN7rocprim17ROCPRIM_400000_NS6detail17trampoline_kernelINS0_14default_configENS1_27scan_by_key_config_selectorIifEEZZNS1_16scan_by_key_implILNS1_25lookback_scan_determinismE0ELb1ES3_N6thrust23THRUST_200600_302600_NS6detail15normal_iteratorINS9_10device_ptrIiEEEENSB_INSC_IjEEEENSB_INSC_IfEEEEfNS9_4plusIvEENS9_8equal_toIvEEfEE10hipError_tPvRmT2_T3_T4_T5_mT6_T7_P12ihipStream_tbENKUlT_T0_E_clISt17integral_constantIbLb1EES12_IbLb0EEEEDaSY_SZ_EUlSY_E_NS1_11comp_targetILNS1_3genE10ELNS1_11target_archE1200ELNS1_3gpuE4ELNS1_3repE0EEENS1_30default_config_static_selectorELNS0_4arch9wavefront6targetE1EEEvT1_,comdat
	.protected	_ZN7rocprim17ROCPRIM_400000_NS6detail17trampoline_kernelINS0_14default_configENS1_27scan_by_key_config_selectorIifEEZZNS1_16scan_by_key_implILNS1_25lookback_scan_determinismE0ELb1ES3_N6thrust23THRUST_200600_302600_NS6detail15normal_iteratorINS9_10device_ptrIiEEEENSB_INSC_IjEEEENSB_INSC_IfEEEEfNS9_4plusIvEENS9_8equal_toIvEEfEE10hipError_tPvRmT2_T3_T4_T5_mT6_T7_P12ihipStream_tbENKUlT_T0_E_clISt17integral_constantIbLb1EES12_IbLb0EEEEDaSY_SZ_EUlSY_E_NS1_11comp_targetILNS1_3genE10ELNS1_11target_archE1200ELNS1_3gpuE4ELNS1_3repE0EEENS1_30default_config_static_selectorELNS0_4arch9wavefront6targetE1EEEvT1_ ; -- Begin function _ZN7rocprim17ROCPRIM_400000_NS6detail17trampoline_kernelINS0_14default_configENS1_27scan_by_key_config_selectorIifEEZZNS1_16scan_by_key_implILNS1_25lookback_scan_determinismE0ELb1ES3_N6thrust23THRUST_200600_302600_NS6detail15normal_iteratorINS9_10device_ptrIiEEEENSB_INSC_IjEEEENSB_INSC_IfEEEEfNS9_4plusIvEENS9_8equal_toIvEEfEE10hipError_tPvRmT2_T3_T4_T5_mT6_T7_P12ihipStream_tbENKUlT_T0_E_clISt17integral_constantIbLb1EES12_IbLb0EEEEDaSY_SZ_EUlSY_E_NS1_11comp_targetILNS1_3genE10ELNS1_11target_archE1200ELNS1_3gpuE4ELNS1_3repE0EEENS1_30default_config_static_selectorELNS0_4arch9wavefront6targetE1EEEvT1_
	.globl	_ZN7rocprim17ROCPRIM_400000_NS6detail17trampoline_kernelINS0_14default_configENS1_27scan_by_key_config_selectorIifEEZZNS1_16scan_by_key_implILNS1_25lookback_scan_determinismE0ELb1ES3_N6thrust23THRUST_200600_302600_NS6detail15normal_iteratorINS9_10device_ptrIiEEEENSB_INSC_IjEEEENSB_INSC_IfEEEEfNS9_4plusIvEENS9_8equal_toIvEEfEE10hipError_tPvRmT2_T3_T4_T5_mT6_T7_P12ihipStream_tbENKUlT_T0_E_clISt17integral_constantIbLb1EES12_IbLb0EEEEDaSY_SZ_EUlSY_E_NS1_11comp_targetILNS1_3genE10ELNS1_11target_archE1200ELNS1_3gpuE4ELNS1_3repE0EEENS1_30default_config_static_selectorELNS0_4arch9wavefront6targetE1EEEvT1_
	.p2align	8
	.type	_ZN7rocprim17ROCPRIM_400000_NS6detail17trampoline_kernelINS0_14default_configENS1_27scan_by_key_config_selectorIifEEZZNS1_16scan_by_key_implILNS1_25lookback_scan_determinismE0ELb1ES3_N6thrust23THRUST_200600_302600_NS6detail15normal_iteratorINS9_10device_ptrIiEEEENSB_INSC_IjEEEENSB_INSC_IfEEEEfNS9_4plusIvEENS9_8equal_toIvEEfEE10hipError_tPvRmT2_T3_T4_T5_mT6_T7_P12ihipStream_tbENKUlT_T0_E_clISt17integral_constantIbLb1EES12_IbLb0EEEEDaSY_SZ_EUlSY_E_NS1_11comp_targetILNS1_3genE10ELNS1_11target_archE1200ELNS1_3gpuE4ELNS1_3repE0EEENS1_30default_config_static_selectorELNS0_4arch9wavefront6targetE1EEEvT1_,@function
_ZN7rocprim17ROCPRIM_400000_NS6detail17trampoline_kernelINS0_14default_configENS1_27scan_by_key_config_selectorIifEEZZNS1_16scan_by_key_implILNS1_25lookback_scan_determinismE0ELb1ES3_N6thrust23THRUST_200600_302600_NS6detail15normal_iteratorINS9_10device_ptrIiEEEENSB_INSC_IjEEEENSB_INSC_IfEEEEfNS9_4plusIvEENS9_8equal_toIvEEfEE10hipError_tPvRmT2_T3_T4_T5_mT6_T7_P12ihipStream_tbENKUlT_T0_E_clISt17integral_constantIbLb1EES12_IbLb0EEEEDaSY_SZ_EUlSY_E_NS1_11comp_targetILNS1_3genE10ELNS1_11target_archE1200ELNS1_3gpuE4ELNS1_3repE0EEENS1_30default_config_static_selectorELNS0_4arch9wavefront6targetE1EEEvT1_: ; @_ZN7rocprim17ROCPRIM_400000_NS6detail17trampoline_kernelINS0_14default_configENS1_27scan_by_key_config_selectorIifEEZZNS1_16scan_by_key_implILNS1_25lookback_scan_determinismE0ELb1ES3_N6thrust23THRUST_200600_302600_NS6detail15normal_iteratorINS9_10device_ptrIiEEEENSB_INSC_IjEEEENSB_INSC_IfEEEEfNS9_4plusIvEENS9_8equal_toIvEEfEE10hipError_tPvRmT2_T3_T4_T5_mT6_T7_P12ihipStream_tbENKUlT_T0_E_clISt17integral_constantIbLb1EES12_IbLb0EEEEDaSY_SZ_EUlSY_E_NS1_11comp_targetILNS1_3genE10ELNS1_11target_archE1200ELNS1_3gpuE4ELNS1_3repE0EEENS1_30default_config_static_selectorELNS0_4arch9wavefront6targetE1EEEvT1_
; %bb.0:
	.section	.rodata,"a",@progbits
	.p2align	6, 0x0
	.amdhsa_kernel _ZN7rocprim17ROCPRIM_400000_NS6detail17trampoline_kernelINS0_14default_configENS1_27scan_by_key_config_selectorIifEEZZNS1_16scan_by_key_implILNS1_25lookback_scan_determinismE0ELb1ES3_N6thrust23THRUST_200600_302600_NS6detail15normal_iteratorINS9_10device_ptrIiEEEENSB_INSC_IjEEEENSB_INSC_IfEEEEfNS9_4plusIvEENS9_8equal_toIvEEfEE10hipError_tPvRmT2_T3_T4_T5_mT6_T7_P12ihipStream_tbENKUlT_T0_E_clISt17integral_constantIbLb1EES12_IbLb0EEEEDaSY_SZ_EUlSY_E_NS1_11comp_targetILNS1_3genE10ELNS1_11target_archE1200ELNS1_3gpuE4ELNS1_3repE0EEENS1_30default_config_static_selectorELNS0_4arch9wavefront6targetE1EEEvT1_
		.amdhsa_group_segment_fixed_size 0
		.amdhsa_private_segment_fixed_size 0
		.amdhsa_kernarg_size 112
		.amdhsa_user_sgpr_count 6
		.amdhsa_user_sgpr_private_segment_buffer 1
		.amdhsa_user_sgpr_dispatch_ptr 0
		.amdhsa_user_sgpr_queue_ptr 0
		.amdhsa_user_sgpr_kernarg_segment_ptr 1
		.amdhsa_user_sgpr_dispatch_id 0
		.amdhsa_user_sgpr_flat_scratch_init 0
		.amdhsa_user_sgpr_kernarg_preload_length 0
		.amdhsa_user_sgpr_kernarg_preload_offset 0
		.amdhsa_user_sgpr_private_segment_size 0
		.amdhsa_uses_dynamic_stack 0
		.amdhsa_system_sgpr_private_segment_wavefront_offset 0
		.amdhsa_system_sgpr_workgroup_id_x 1
		.amdhsa_system_sgpr_workgroup_id_y 0
		.amdhsa_system_sgpr_workgroup_id_z 0
		.amdhsa_system_sgpr_workgroup_info 0
		.amdhsa_system_vgpr_workitem_id 0
		.amdhsa_next_free_vgpr 1
		.amdhsa_next_free_sgpr 0
		.amdhsa_accum_offset 4
		.amdhsa_reserve_vcc 0
		.amdhsa_reserve_flat_scratch 0
		.amdhsa_float_round_mode_32 0
		.amdhsa_float_round_mode_16_64 0
		.amdhsa_float_denorm_mode_32 3
		.amdhsa_float_denorm_mode_16_64 3
		.amdhsa_dx10_clamp 1
		.amdhsa_ieee_mode 1
		.amdhsa_fp16_overflow 0
		.amdhsa_tg_split 0
		.amdhsa_exception_fp_ieee_invalid_op 0
		.amdhsa_exception_fp_denorm_src 0
		.amdhsa_exception_fp_ieee_div_zero 0
		.amdhsa_exception_fp_ieee_overflow 0
		.amdhsa_exception_fp_ieee_underflow 0
		.amdhsa_exception_fp_ieee_inexact 0
		.amdhsa_exception_int_div_zero 0
	.end_amdhsa_kernel
	.section	.text._ZN7rocprim17ROCPRIM_400000_NS6detail17trampoline_kernelINS0_14default_configENS1_27scan_by_key_config_selectorIifEEZZNS1_16scan_by_key_implILNS1_25lookback_scan_determinismE0ELb1ES3_N6thrust23THRUST_200600_302600_NS6detail15normal_iteratorINS9_10device_ptrIiEEEENSB_INSC_IjEEEENSB_INSC_IfEEEEfNS9_4plusIvEENS9_8equal_toIvEEfEE10hipError_tPvRmT2_T3_T4_T5_mT6_T7_P12ihipStream_tbENKUlT_T0_E_clISt17integral_constantIbLb1EES12_IbLb0EEEEDaSY_SZ_EUlSY_E_NS1_11comp_targetILNS1_3genE10ELNS1_11target_archE1200ELNS1_3gpuE4ELNS1_3repE0EEENS1_30default_config_static_selectorELNS0_4arch9wavefront6targetE1EEEvT1_,"axG",@progbits,_ZN7rocprim17ROCPRIM_400000_NS6detail17trampoline_kernelINS0_14default_configENS1_27scan_by_key_config_selectorIifEEZZNS1_16scan_by_key_implILNS1_25lookback_scan_determinismE0ELb1ES3_N6thrust23THRUST_200600_302600_NS6detail15normal_iteratorINS9_10device_ptrIiEEEENSB_INSC_IjEEEENSB_INSC_IfEEEEfNS9_4plusIvEENS9_8equal_toIvEEfEE10hipError_tPvRmT2_T3_T4_T5_mT6_T7_P12ihipStream_tbENKUlT_T0_E_clISt17integral_constantIbLb1EES12_IbLb0EEEEDaSY_SZ_EUlSY_E_NS1_11comp_targetILNS1_3genE10ELNS1_11target_archE1200ELNS1_3gpuE4ELNS1_3repE0EEENS1_30default_config_static_selectorELNS0_4arch9wavefront6targetE1EEEvT1_,comdat
.Lfunc_end1704:
	.size	_ZN7rocprim17ROCPRIM_400000_NS6detail17trampoline_kernelINS0_14default_configENS1_27scan_by_key_config_selectorIifEEZZNS1_16scan_by_key_implILNS1_25lookback_scan_determinismE0ELb1ES3_N6thrust23THRUST_200600_302600_NS6detail15normal_iteratorINS9_10device_ptrIiEEEENSB_INSC_IjEEEENSB_INSC_IfEEEEfNS9_4plusIvEENS9_8equal_toIvEEfEE10hipError_tPvRmT2_T3_T4_T5_mT6_T7_P12ihipStream_tbENKUlT_T0_E_clISt17integral_constantIbLb1EES12_IbLb0EEEEDaSY_SZ_EUlSY_E_NS1_11comp_targetILNS1_3genE10ELNS1_11target_archE1200ELNS1_3gpuE4ELNS1_3repE0EEENS1_30default_config_static_selectorELNS0_4arch9wavefront6targetE1EEEvT1_, .Lfunc_end1704-_ZN7rocprim17ROCPRIM_400000_NS6detail17trampoline_kernelINS0_14default_configENS1_27scan_by_key_config_selectorIifEEZZNS1_16scan_by_key_implILNS1_25lookback_scan_determinismE0ELb1ES3_N6thrust23THRUST_200600_302600_NS6detail15normal_iteratorINS9_10device_ptrIiEEEENSB_INSC_IjEEEENSB_INSC_IfEEEEfNS9_4plusIvEENS9_8equal_toIvEEfEE10hipError_tPvRmT2_T3_T4_T5_mT6_T7_P12ihipStream_tbENKUlT_T0_E_clISt17integral_constantIbLb1EES12_IbLb0EEEEDaSY_SZ_EUlSY_E_NS1_11comp_targetILNS1_3genE10ELNS1_11target_archE1200ELNS1_3gpuE4ELNS1_3repE0EEENS1_30default_config_static_selectorELNS0_4arch9wavefront6targetE1EEEvT1_
                                        ; -- End function
	.section	.AMDGPU.csdata,"",@progbits
; Kernel info:
; codeLenInByte = 0
; NumSgprs: 4
; NumVgprs: 0
; NumAgprs: 0
; TotalNumVgprs: 0
; ScratchSize: 0
; MemoryBound: 0
; FloatMode: 240
; IeeeMode: 1
; LDSByteSize: 0 bytes/workgroup (compile time only)
; SGPRBlocks: 0
; VGPRBlocks: 0
; NumSGPRsForWavesPerEU: 4
; NumVGPRsForWavesPerEU: 1
; AccumOffset: 4
; Occupancy: 8
; WaveLimiterHint : 0
; COMPUTE_PGM_RSRC2:SCRATCH_EN: 0
; COMPUTE_PGM_RSRC2:USER_SGPR: 6
; COMPUTE_PGM_RSRC2:TRAP_HANDLER: 0
; COMPUTE_PGM_RSRC2:TGID_X_EN: 1
; COMPUTE_PGM_RSRC2:TGID_Y_EN: 0
; COMPUTE_PGM_RSRC2:TGID_Z_EN: 0
; COMPUTE_PGM_RSRC2:TIDIG_COMP_CNT: 0
; COMPUTE_PGM_RSRC3_GFX90A:ACCUM_OFFSET: 0
; COMPUTE_PGM_RSRC3_GFX90A:TG_SPLIT: 0
	.section	.text._ZN7rocprim17ROCPRIM_400000_NS6detail17trampoline_kernelINS0_14default_configENS1_27scan_by_key_config_selectorIifEEZZNS1_16scan_by_key_implILNS1_25lookback_scan_determinismE0ELb1ES3_N6thrust23THRUST_200600_302600_NS6detail15normal_iteratorINS9_10device_ptrIiEEEENSB_INSC_IjEEEENSB_INSC_IfEEEEfNS9_4plusIvEENS9_8equal_toIvEEfEE10hipError_tPvRmT2_T3_T4_T5_mT6_T7_P12ihipStream_tbENKUlT_T0_E_clISt17integral_constantIbLb1EES12_IbLb0EEEEDaSY_SZ_EUlSY_E_NS1_11comp_targetILNS1_3genE9ELNS1_11target_archE1100ELNS1_3gpuE3ELNS1_3repE0EEENS1_30default_config_static_selectorELNS0_4arch9wavefront6targetE1EEEvT1_,"axG",@progbits,_ZN7rocprim17ROCPRIM_400000_NS6detail17trampoline_kernelINS0_14default_configENS1_27scan_by_key_config_selectorIifEEZZNS1_16scan_by_key_implILNS1_25lookback_scan_determinismE0ELb1ES3_N6thrust23THRUST_200600_302600_NS6detail15normal_iteratorINS9_10device_ptrIiEEEENSB_INSC_IjEEEENSB_INSC_IfEEEEfNS9_4plusIvEENS9_8equal_toIvEEfEE10hipError_tPvRmT2_T3_T4_T5_mT6_T7_P12ihipStream_tbENKUlT_T0_E_clISt17integral_constantIbLb1EES12_IbLb0EEEEDaSY_SZ_EUlSY_E_NS1_11comp_targetILNS1_3genE9ELNS1_11target_archE1100ELNS1_3gpuE3ELNS1_3repE0EEENS1_30default_config_static_selectorELNS0_4arch9wavefront6targetE1EEEvT1_,comdat
	.protected	_ZN7rocprim17ROCPRIM_400000_NS6detail17trampoline_kernelINS0_14default_configENS1_27scan_by_key_config_selectorIifEEZZNS1_16scan_by_key_implILNS1_25lookback_scan_determinismE0ELb1ES3_N6thrust23THRUST_200600_302600_NS6detail15normal_iteratorINS9_10device_ptrIiEEEENSB_INSC_IjEEEENSB_INSC_IfEEEEfNS9_4plusIvEENS9_8equal_toIvEEfEE10hipError_tPvRmT2_T3_T4_T5_mT6_T7_P12ihipStream_tbENKUlT_T0_E_clISt17integral_constantIbLb1EES12_IbLb0EEEEDaSY_SZ_EUlSY_E_NS1_11comp_targetILNS1_3genE9ELNS1_11target_archE1100ELNS1_3gpuE3ELNS1_3repE0EEENS1_30default_config_static_selectorELNS0_4arch9wavefront6targetE1EEEvT1_ ; -- Begin function _ZN7rocprim17ROCPRIM_400000_NS6detail17trampoline_kernelINS0_14default_configENS1_27scan_by_key_config_selectorIifEEZZNS1_16scan_by_key_implILNS1_25lookback_scan_determinismE0ELb1ES3_N6thrust23THRUST_200600_302600_NS6detail15normal_iteratorINS9_10device_ptrIiEEEENSB_INSC_IjEEEENSB_INSC_IfEEEEfNS9_4plusIvEENS9_8equal_toIvEEfEE10hipError_tPvRmT2_T3_T4_T5_mT6_T7_P12ihipStream_tbENKUlT_T0_E_clISt17integral_constantIbLb1EES12_IbLb0EEEEDaSY_SZ_EUlSY_E_NS1_11comp_targetILNS1_3genE9ELNS1_11target_archE1100ELNS1_3gpuE3ELNS1_3repE0EEENS1_30default_config_static_selectorELNS0_4arch9wavefront6targetE1EEEvT1_
	.globl	_ZN7rocprim17ROCPRIM_400000_NS6detail17trampoline_kernelINS0_14default_configENS1_27scan_by_key_config_selectorIifEEZZNS1_16scan_by_key_implILNS1_25lookback_scan_determinismE0ELb1ES3_N6thrust23THRUST_200600_302600_NS6detail15normal_iteratorINS9_10device_ptrIiEEEENSB_INSC_IjEEEENSB_INSC_IfEEEEfNS9_4plusIvEENS9_8equal_toIvEEfEE10hipError_tPvRmT2_T3_T4_T5_mT6_T7_P12ihipStream_tbENKUlT_T0_E_clISt17integral_constantIbLb1EES12_IbLb0EEEEDaSY_SZ_EUlSY_E_NS1_11comp_targetILNS1_3genE9ELNS1_11target_archE1100ELNS1_3gpuE3ELNS1_3repE0EEENS1_30default_config_static_selectorELNS0_4arch9wavefront6targetE1EEEvT1_
	.p2align	8
	.type	_ZN7rocprim17ROCPRIM_400000_NS6detail17trampoline_kernelINS0_14default_configENS1_27scan_by_key_config_selectorIifEEZZNS1_16scan_by_key_implILNS1_25lookback_scan_determinismE0ELb1ES3_N6thrust23THRUST_200600_302600_NS6detail15normal_iteratorINS9_10device_ptrIiEEEENSB_INSC_IjEEEENSB_INSC_IfEEEEfNS9_4plusIvEENS9_8equal_toIvEEfEE10hipError_tPvRmT2_T3_T4_T5_mT6_T7_P12ihipStream_tbENKUlT_T0_E_clISt17integral_constantIbLb1EES12_IbLb0EEEEDaSY_SZ_EUlSY_E_NS1_11comp_targetILNS1_3genE9ELNS1_11target_archE1100ELNS1_3gpuE3ELNS1_3repE0EEENS1_30default_config_static_selectorELNS0_4arch9wavefront6targetE1EEEvT1_,@function
_ZN7rocprim17ROCPRIM_400000_NS6detail17trampoline_kernelINS0_14default_configENS1_27scan_by_key_config_selectorIifEEZZNS1_16scan_by_key_implILNS1_25lookback_scan_determinismE0ELb1ES3_N6thrust23THRUST_200600_302600_NS6detail15normal_iteratorINS9_10device_ptrIiEEEENSB_INSC_IjEEEENSB_INSC_IfEEEEfNS9_4plusIvEENS9_8equal_toIvEEfEE10hipError_tPvRmT2_T3_T4_T5_mT6_T7_P12ihipStream_tbENKUlT_T0_E_clISt17integral_constantIbLb1EES12_IbLb0EEEEDaSY_SZ_EUlSY_E_NS1_11comp_targetILNS1_3genE9ELNS1_11target_archE1100ELNS1_3gpuE3ELNS1_3repE0EEENS1_30default_config_static_selectorELNS0_4arch9wavefront6targetE1EEEvT1_: ; @_ZN7rocprim17ROCPRIM_400000_NS6detail17trampoline_kernelINS0_14default_configENS1_27scan_by_key_config_selectorIifEEZZNS1_16scan_by_key_implILNS1_25lookback_scan_determinismE0ELb1ES3_N6thrust23THRUST_200600_302600_NS6detail15normal_iteratorINS9_10device_ptrIiEEEENSB_INSC_IjEEEENSB_INSC_IfEEEEfNS9_4plusIvEENS9_8equal_toIvEEfEE10hipError_tPvRmT2_T3_T4_T5_mT6_T7_P12ihipStream_tbENKUlT_T0_E_clISt17integral_constantIbLb1EES12_IbLb0EEEEDaSY_SZ_EUlSY_E_NS1_11comp_targetILNS1_3genE9ELNS1_11target_archE1100ELNS1_3gpuE3ELNS1_3repE0EEENS1_30default_config_static_selectorELNS0_4arch9wavefront6targetE1EEEvT1_
; %bb.0:
	.section	.rodata,"a",@progbits
	.p2align	6, 0x0
	.amdhsa_kernel _ZN7rocprim17ROCPRIM_400000_NS6detail17trampoline_kernelINS0_14default_configENS1_27scan_by_key_config_selectorIifEEZZNS1_16scan_by_key_implILNS1_25lookback_scan_determinismE0ELb1ES3_N6thrust23THRUST_200600_302600_NS6detail15normal_iteratorINS9_10device_ptrIiEEEENSB_INSC_IjEEEENSB_INSC_IfEEEEfNS9_4plusIvEENS9_8equal_toIvEEfEE10hipError_tPvRmT2_T3_T4_T5_mT6_T7_P12ihipStream_tbENKUlT_T0_E_clISt17integral_constantIbLb1EES12_IbLb0EEEEDaSY_SZ_EUlSY_E_NS1_11comp_targetILNS1_3genE9ELNS1_11target_archE1100ELNS1_3gpuE3ELNS1_3repE0EEENS1_30default_config_static_selectorELNS0_4arch9wavefront6targetE1EEEvT1_
		.amdhsa_group_segment_fixed_size 0
		.amdhsa_private_segment_fixed_size 0
		.amdhsa_kernarg_size 112
		.amdhsa_user_sgpr_count 6
		.amdhsa_user_sgpr_private_segment_buffer 1
		.amdhsa_user_sgpr_dispatch_ptr 0
		.amdhsa_user_sgpr_queue_ptr 0
		.amdhsa_user_sgpr_kernarg_segment_ptr 1
		.amdhsa_user_sgpr_dispatch_id 0
		.amdhsa_user_sgpr_flat_scratch_init 0
		.amdhsa_user_sgpr_kernarg_preload_length 0
		.amdhsa_user_sgpr_kernarg_preload_offset 0
		.amdhsa_user_sgpr_private_segment_size 0
		.amdhsa_uses_dynamic_stack 0
		.amdhsa_system_sgpr_private_segment_wavefront_offset 0
		.amdhsa_system_sgpr_workgroup_id_x 1
		.amdhsa_system_sgpr_workgroup_id_y 0
		.amdhsa_system_sgpr_workgroup_id_z 0
		.amdhsa_system_sgpr_workgroup_info 0
		.amdhsa_system_vgpr_workitem_id 0
		.amdhsa_next_free_vgpr 1
		.amdhsa_next_free_sgpr 0
		.amdhsa_accum_offset 4
		.amdhsa_reserve_vcc 0
		.amdhsa_reserve_flat_scratch 0
		.amdhsa_float_round_mode_32 0
		.amdhsa_float_round_mode_16_64 0
		.amdhsa_float_denorm_mode_32 3
		.amdhsa_float_denorm_mode_16_64 3
		.amdhsa_dx10_clamp 1
		.amdhsa_ieee_mode 1
		.amdhsa_fp16_overflow 0
		.amdhsa_tg_split 0
		.amdhsa_exception_fp_ieee_invalid_op 0
		.amdhsa_exception_fp_denorm_src 0
		.amdhsa_exception_fp_ieee_div_zero 0
		.amdhsa_exception_fp_ieee_overflow 0
		.amdhsa_exception_fp_ieee_underflow 0
		.amdhsa_exception_fp_ieee_inexact 0
		.amdhsa_exception_int_div_zero 0
	.end_amdhsa_kernel
	.section	.text._ZN7rocprim17ROCPRIM_400000_NS6detail17trampoline_kernelINS0_14default_configENS1_27scan_by_key_config_selectorIifEEZZNS1_16scan_by_key_implILNS1_25lookback_scan_determinismE0ELb1ES3_N6thrust23THRUST_200600_302600_NS6detail15normal_iteratorINS9_10device_ptrIiEEEENSB_INSC_IjEEEENSB_INSC_IfEEEEfNS9_4plusIvEENS9_8equal_toIvEEfEE10hipError_tPvRmT2_T3_T4_T5_mT6_T7_P12ihipStream_tbENKUlT_T0_E_clISt17integral_constantIbLb1EES12_IbLb0EEEEDaSY_SZ_EUlSY_E_NS1_11comp_targetILNS1_3genE9ELNS1_11target_archE1100ELNS1_3gpuE3ELNS1_3repE0EEENS1_30default_config_static_selectorELNS0_4arch9wavefront6targetE1EEEvT1_,"axG",@progbits,_ZN7rocprim17ROCPRIM_400000_NS6detail17trampoline_kernelINS0_14default_configENS1_27scan_by_key_config_selectorIifEEZZNS1_16scan_by_key_implILNS1_25lookback_scan_determinismE0ELb1ES3_N6thrust23THRUST_200600_302600_NS6detail15normal_iteratorINS9_10device_ptrIiEEEENSB_INSC_IjEEEENSB_INSC_IfEEEEfNS9_4plusIvEENS9_8equal_toIvEEfEE10hipError_tPvRmT2_T3_T4_T5_mT6_T7_P12ihipStream_tbENKUlT_T0_E_clISt17integral_constantIbLb1EES12_IbLb0EEEEDaSY_SZ_EUlSY_E_NS1_11comp_targetILNS1_3genE9ELNS1_11target_archE1100ELNS1_3gpuE3ELNS1_3repE0EEENS1_30default_config_static_selectorELNS0_4arch9wavefront6targetE1EEEvT1_,comdat
.Lfunc_end1705:
	.size	_ZN7rocprim17ROCPRIM_400000_NS6detail17trampoline_kernelINS0_14default_configENS1_27scan_by_key_config_selectorIifEEZZNS1_16scan_by_key_implILNS1_25lookback_scan_determinismE0ELb1ES3_N6thrust23THRUST_200600_302600_NS6detail15normal_iteratorINS9_10device_ptrIiEEEENSB_INSC_IjEEEENSB_INSC_IfEEEEfNS9_4plusIvEENS9_8equal_toIvEEfEE10hipError_tPvRmT2_T3_T4_T5_mT6_T7_P12ihipStream_tbENKUlT_T0_E_clISt17integral_constantIbLb1EES12_IbLb0EEEEDaSY_SZ_EUlSY_E_NS1_11comp_targetILNS1_3genE9ELNS1_11target_archE1100ELNS1_3gpuE3ELNS1_3repE0EEENS1_30default_config_static_selectorELNS0_4arch9wavefront6targetE1EEEvT1_, .Lfunc_end1705-_ZN7rocprim17ROCPRIM_400000_NS6detail17trampoline_kernelINS0_14default_configENS1_27scan_by_key_config_selectorIifEEZZNS1_16scan_by_key_implILNS1_25lookback_scan_determinismE0ELb1ES3_N6thrust23THRUST_200600_302600_NS6detail15normal_iteratorINS9_10device_ptrIiEEEENSB_INSC_IjEEEENSB_INSC_IfEEEEfNS9_4plusIvEENS9_8equal_toIvEEfEE10hipError_tPvRmT2_T3_T4_T5_mT6_T7_P12ihipStream_tbENKUlT_T0_E_clISt17integral_constantIbLb1EES12_IbLb0EEEEDaSY_SZ_EUlSY_E_NS1_11comp_targetILNS1_3genE9ELNS1_11target_archE1100ELNS1_3gpuE3ELNS1_3repE0EEENS1_30default_config_static_selectorELNS0_4arch9wavefront6targetE1EEEvT1_
                                        ; -- End function
	.section	.AMDGPU.csdata,"",@progbits
; Kernel info:
; codeLenInByte = 0
; NumSgprs: 4
; NumVgprs: 0
; NumAgprs: 0
; TotalNumVgprs: 0
; ScratchSize: 0
; MemoryBound: 0
; FloatMode: 240
; IeeeMode: 1
; LDSByteSize: 0 bytes/workgroup (compile time only)
; SGPRBlocks: 0
; VGPRBlocks: 0
; NumSGPRsForWavesPerEU: 4
; NumVGPRsForWavesPerEU: 1
; AccumOffset: 4
; Occupancy: 8
; WaveLimiterHint : 0
; COMPUTE_PGM_RSRC2:SCRATCH_EN: 0
; COMPUTE_PGM_RSRC2:USER_SGPR: 6
; COMPUTE_PGM_RSRC2:TRAP_HANDLER: 0
; COMPUTE_PGM_RSRC2:TGID_X_EN: 1
; COMPUTE_PGM_RSRC2:TGID_Y_EN: 0
; COMPUTE_PGM_RSRC2:TGID_Z_EN: 0
; COMPUTE_PGM_RSRC2:TIDIG_COMP_CNT: 0
; COMPUTE_PGM_RSRC3_GFX90A:ACCUM_OFFSET: 0
; COMPUTE_PGM_RSRC3_GFX90A:TG_SPLIT: 0
	.section	.text._ZN7rocprim17ROCPRIM_400000_NS6detail17trampoline_kernelINS0_14default_configENS1_27scan_by_key_config_selectorIifEEZZNS1_16scan_by_key_implILNS1_25lookback_scan_determinismE0ELb1ES3_N6thrust23THRUST_200600_302600_NS6detail15normal_iteratorINS9_10device_ptrIiEEEENSB_INSC_IjEEEENSB_INSC_IfEEEEfNS9_4plusIvEENS9_8equal_toIvEEfEE10hipError_tPvRmT2_T3_T4_T5_mT6_T7_P12ihipStream_tbENKUlT_T0_E_clISt17integral_constantIbLb1EES12_IbLb0EEEEDaSY_SZ_EUlSY_E_NS1_11comp_targetILNS1_3genE8ELNS1_11target_archE1030ELNS1_3gpuE2ELNS1_3repE0EEENS1_30default_config_static_selectorELNS0_4arch9wavefront6targetE1EEEvT1_,"axG",@progbits,_ZN7rocprim17ROCPRIM_400000_NS6detail17trampoline_kernelINS0_14default_configENS1_27scan_by_key_config_selectorIifEEZZNS1_16scan_by_key_implILNS1_25lookback_scan_determinismE0ELb1ES3_N6thrust23THRUST_200600_302600_NS6detail15normal_iteratorINS9_10device_ptrIiEEEENSB_INSC_IjEEEENSB_INSC_IfEEEEfNS9_4plusIvEENS9_8equal_toIvEEfEE10hipError_tPvRmT2_T3_T4_T5_mT6_T7_P12ihipStream_tbENKUlT_T0_E_clISt17integral_constantIbLb1EES12_IbLb0EEEEDaSY_SZ_EUlSY_E_NS1_11comp_targetILNS1_3genE8ELNS1_11target_archE1030ELNS1_3gpuE2ELNS1_3repE0EEENS1_30default_config_static_selectorELNS0_4arch9wavefront6targetE1EEEvT1_,comdat
	.protected	_ZN7rocprim17ROCPRIM_400000_NS6detail17trampoline_kernelINS0_14default_configENS1_27scan_by_key_config_selectorIifEEZZNS1_16scan_by_key_implILNS1_25lookback_scan_determinismE0ELb1ES3_N6thrust23THRUST_200600_302600_NS6detail15normal_iteratorINS9_10device_ptrIiEEEENSB_INSC_IjEEEENSB_INSC_IfEEEEfNS9_4plusIvEENS9_8equal_toIvEEfEE10hipError_tPvRmT2_T3_T4_T5_mT6_T7_P12ihipStream_tbENKUlT_T0_E_clISt17integral_constantIbLb1EES12_IbLb0EEEEDaSY_SZ_EUlSY_E_NS1_11comp_targetILNS1_3genE8ELNS1_11target_archE1030ELNS1_3gpuE2ELNS1_3repE0EEENS1_30default_config_static_selectorELNS0_4arch9wavefront6targetE1EEEvT1_ ; -- Begin function _ZN7rocprim17ROCPRIM_400000_NS6detail17trampoline_kernelINS0_14default_configENS1_27scan_by_key_config_selectorIifEEZZNS1_16scan_by_key_implILNS1_25lookback_scan_determinismE0ELb1ES3_N6thrust23THRUST_200600_302600_NS6detail15normal_iteratorINS9_10device_ptrIiEEEENSB_INSC_IjEEEENSB_INSC_IfEEEEfNS9_4plusIvEENS9_8equal_toIvEEfEE10hipError_tPvRmT2_T3_T4_T5_mT6_T7_P12ihipStream_tbENKUlT_T0_E_clISt17integral_constantIbLb1EES12_IbLb0EEEEDaSY_SZ_EUlSY_E_NS1_11comp_targetILNS1_3genE8ELNS1_11target_archE1030ELNS1_3gpuE2ELNS1_3repE0EEENS1_30default_config_static_selectorELNS0_4arch9wavefront6targetE1EEEvT1_
	.globl	_ZN7rocprim17ROCPRIM_400000_NS6detail17trampoline_kernelINS0_14default_configENS1_27scan_by_key_config_selectorIifEEZZNS1_16scan_by_key_implILNS1_25lookback_scan_determinismE0ELb1ES3_N6thrust23THRUST_200600_302600_NS6detail15normal_iteratorINS9_10device_ptrIiEEEENSB_INSC_IjEEEENSB_INSC_IfEEEEfNS9_4plusIvEENS9_8equal_toIvEEfEE10hipError_tPvRmT2_T3_T4_T5_mT6_T7_P12ihipStream_tbENKUlT_T0_E_clISt17integral_constantIbLb1EES12_IbLb0EEEEDaSY_SZ_EUlSY_E_NS1_11comp_targetILNS1_3genE8ELNS1_11target_archE1030ELNS1_3gpuE2ELNS1_3repE0EEENS1_30default_config_static_selectorELNS0_4arch9wavefront6targetE1EEEvT1_
	.p2align	8
	.type	_ZN7rocprim17ROCPRIM_400000_NS6detail17trampoline_kernelINS0_14default_configENS1_27scan_by_key_config_selectorIifEEZZNS1_16scan_by_key_implILNS1_25lookback_scan_determinismE0ELb1ES3_N6thrust23THRUST_200600_302600_NS6detail15normal_iteratorINS9_10device_ptrIiEEEENSB_INSC_IjEEEENSB_INSC_IfEEEEfNS9_4plusIvEENS9_8equal_toIvEEfEE10hipError_tPvRmT2_T3_T4_T5_mT6_T7_P12ihipStream_tbENKUlT_T0_E_clISt17integral_constantIbLb1EES12_IbLb0EEEEDaSY_SZ_EUlSY_E_NS1_11comp_targetILNS1_3genE8ELNS1_11target_archE1030ELNS1_3gpuE2ELNS1_3repE0EEENS1_30default_config_static_selectorELNS0_4arch9wavefront6targetE1EEEvT1_,@function
_ZN7rocprim17ROCPRIM_400000_NS6detail17trampoline_kernelINS0_14default_configENS1_27scan_by_key_config_selectorIifEEZZNS1_16scan_by_key_implILNS1_25lookback_scan_determinismE0ELb1ES3_N6thrust23THRUST_200600_302600_NS6detail15normal_iteratorINS9_10device_ptrIiEEEENSB_INSC_IjEEEENSB_INSC_IfEEEEfNS9_4plusIvEENS9_8equal_toIvEEfEE10hipError_tPvRmT2_T3_T4_T5_mT6_T7_P12ihipStream_tbENKUlT_T0_E_clISt17integral_constantIbLb1EES12_IbLb0EEEEDaSY_SZ_EUlSY_E_NS1_11comp_targetILNS1_3genE8ELNS1_11target_archE1030ELNS1_3gpuE2ELNS1_3repE0EEENS1_30default_config_static_selectorELNS0_4arch9wavefront6targetE1EEEvT1_: ; @_ZN7rocprim17ROCPRIM_400000_NS6detail17trampoline_kernelINS0_14default_configENS1_27scan_by_key_config_selectorIifEEZZNS1_16scan_by_key_implILNS1_25lookback_scan_determinismE0ELb1ES3_N6thrust23THRUST_200600_302600_NS6detail15normal_iteratorINS9_10device_ptrIiEEEENSB_INSC_IjEEEENSB_INSC_IfEEEEfNS9_4plusIvEENS9_8equal_toIvEEfEE10hipError_tPvRmT2_T3_T4_T5_mT6_T7_P12ihipStream_tbENKUlT_T0_E_clISt17integral_constantIbLb1EES12_IbLb0EEEEDaSY_SZ_EUlSY_E_NS1_11comp_targetILNS1_3genE8ELNS1_11target_archE1030ELNS1_3gpuE2ELNS1_3repE0EEENS1_30default_config_static_selectorELNS0_4arch9wavefront6targetE1EEEvT1_
; %bb.0:
	.section	.rodata,"a",@progbits
	.p2align	6, 0x0
	.amdhsa_kernel _ZN7rocprim17ROCPRIM_400000_NS6detail17trampoline_kernelINS0_14default_configENS1_27scan_by_key_config_selectorIifEEZZNS1_16scan_by_key_implILNS1_25lookback_scan_determinismE0ELb1ES3_N6thrust23THRUST_200600_302600_NS6detail15normal_iteratorINS9_10device_ptrIiEEEENSB_INSC_IjEEEENSB_INSC_IfEEEEfNS9_4plusIvEENS9_8equal_toIvEEfEE10hipError_tPvRmT2_T3_T4_T5_mT6_T7_P12ihipStream_tbENKUlT_T0_E_clISt17integral_constantIbLb1EES12_IbLb0EEEEDaSY_SZ_EUlSY_E_NS1_11comp_targetILNS1_3genE8ELNS1_11target_archE1030ELNS1_3gpuE2ELNS1_3repE0EEENS1_30default_config_static_selectorELNS0_4arch9wavefront6targetE1EEEvT1_
		.amdhsa_group_segment_fixed_size 0
		.amdhsa_private_segment_fixed_size 0
		.amdhsa_kernarg_size 112
		.amdhsa_user_sgpr_count 6
		.amdhsa_user_sgpr_private_segment_buffer 1
		.amdhsa_user_sgpr_dispatch_ptr 0
		.amdhsa_user_sgpr_queue_ptr 0
		.amdhsa_user_sgpr_kernarg_segment_ptr 1
		.amdhsa_user_sgpr_dispatch_id 0
		.amdhsa_user_sgpr_flat_scratch_init 0
		.amdhsa_user_sgpr_kernarg_preload_length 0
		.amdhsa_user_sgpr_kernarg_preload_offset 0
		.amdhsa_user_sgpr_private_segment_size 0
		.amdhsa_uses_dynamic_stack 0
		.amdhsa_system_sgpr_private_segment_wavefront_offset 0
		.amdhsa_system_sgpr_workgroup_id_x 1
		.amdhsa_system_sgpr_workgroup_id_y 0
		.amdhsa_system_sgpr_workgroup_id_z 0
		.amdhsa_system_sgpr_workgroup_info 0
		.amdhsa_system_vgpr_workitem_id 0
		.amdhsa_next_free_vgpr 1
		.amdhsa_next_free_sgpr 0
		.amdhsa_accum_offset 4
		.amdhsa_reserve_vcc 0
		.amdhsa_reserve_flat_scratch 0
		.amdhsa_float_round_mode_32 0
		.amdhsa_float_round_mode_16_64 0
		.amdhsa_float_denorm_mode_32 3
		.amdhsa_float_denorm_mode_16_64 3
		.amdhsa_dx10_clamp 1
		.amdhsa_ieee_mode 1
		.amdhsa_fp16_overflow 0
		.amdhsa_tg_split 0
		.amdhsa_exception_fp_ieee_invalid_op 0
		.amdhsa_exception_fp_denorm_src 0
		.amdhsa_exception_fp_ieee_div_zero 0
		.amdhsa_exception_fp_ieee_overflow 0
		.amdhsa_exception_fp_ieee_underflow 0
		.amdhsa_exception_fp_ieee_inexact 0
		.amdhsa_exception_int_div_zero 0
	.end_amdhsa_kernel
	.section	.text._ZN7rocprim17ROCPRIM_400000_NS6detail17trampoline_kernelINS0_14default_configENS1_27scan_by_key_config_selectorIifEEZZNS1_16scan_by_key_implILNS1_25lookback_scan_determinismE0ELb1ES3_N6thrust23THRUST_200600_302600_NS6detail15normal_iteratorINS9_10device_ptrIiEEEENSB_INSC_IjEEEENSB_INSC_IfEEEEfNS9_4plusIvEENS9_8equal_toIvEEfEE10hipError_tPvRmT2_T3_T4_T5_mT6_T7_P12ihipStream_tbENKUlT_T0_E_clISt17integral_constantIbLb1EES12_IbLb0EEEEDaSY_SZ_EUlSY_E_NS1_11comp_targetILNS1_3genE8ELNS1_11target_archE1030ELNS1_3gpuE2ELNS1_3repE0EEENS1_30default_config_static_selectorELNS0_4arch9wavefront6targetE1EEEvT1_,"axG",@progbits,_ZN7rocprim17ROCPRIM_400000_NS6detail17trampoline_kernelINS0_14default_configENS1_27scan_by_key_config_selectorIifEEZZNS1_16scan_by_key_implILNS1_25lookback_scan_determinismE0ELb1ES3_N6thrust23THRUST_200600_302600_NS6detail15normal_iteratorINS9_10device_ptrIiEEEENSB_INSC_IjEEEENSB_INSC_IfEEEEfNS9_4plusIvEENS9_8equal_toIvEEfEE10hipError_tPvRmT2_T3_T4_T5_mT6_T7_P12ihipStream_tbENKUlT_T0_E_clISt17integral_constantIbLb1EES12_IbLb0EEEEDaSY_SZ_EUlSY_E_NS1_11comp_targetILNS1_3genE8ELNS1_11target_archE1030ELNS1_3gpuE2ELNS1_3repE0EEENS1_30default_config_static_selectorELNS0_4arch9wavefront6targetE1EEEvT1_,comdat
.Lfunc_end1706:
	.size	_ZN7rocprim17ROCPRIM_400000_NS6detail17trampoline_kernelINS0_14default_configENS1_27scan_by_key_config_selectorIifEEZZNS1_16scan_by_key_implILNS1_25lookback_scan_determinismE0ELb1ES3_N6thrust23THRUST_200600_302600_NS6detail15normal_iteratorINS9_10device_ptrIiEEEENSB_INSC_IjEEEENSB_INSC_IfEEEEfNS9_4plusIvEENS9_8equal_toIvEEfEE10hipError_tPvRmT2_T3_T4_T5_mT6_T7_P12ihipStream_tbENKUlT_T0_E_clISt17integral_constantIbLb1EES12_IbLb0EEEEDaSY_SZ_EUlSY_E_NS1_11comp_targetILNS1_3genE8ELNS1_11target_archE1030ELNS1_3gpuE2ELNS1_3repE0EEENS1_30default_config_static_selectorELNS0_4arch9wavefront6targetE1EEEvT1_, .Lfunc_end1706-_ZN7rocprim17ROCPRIM_400000_NS6detail17trampoline_kernelINS0_14default_configENS1_27scan_by_key_config_selectorIifEEZZNS1_16scan_by_key_implILNS1_25lookback_scan_determinismE0ELb1ES3_N6thrust23THRUST_200600_302600_NS6detail15normal_iteratorINS9_10device_ptrIiEEEENSB_INSC_IjEEEENSB_INSC_IfEEEEfNS9_4plusIvEENS9_8equal_toIvEEfEE10hipError_tPvRmT2_T3_T4_T5_mT6_T7_P12ihipStream_tbENKUlT_T0_E_clISt17integral_constantIbLb1EES12_IbLb0EEEEDaSY_SZ_EUlSY_E_NS1_11comp_targetILNS1_3genE8ELNS1_11target_archE1030ELNS1_3gpuE2ELNS1_3repE0EEENS1_30default_config_static_selectorELNS0_4arch9wavefront6targetE1EEEvT1_
                                        ; -- End function
	.section	.AMDGPU.csdata,"",@progbits
; Kernel info:
; codeLenInByte = 0
; NumSgprs: 4
; NumVgprs: 0
; NumAgprs: 0
; TotalNumVgprs: 0
; ScratchSize: 0
; MemoryBound: 0
; FloatMode: 240
; IeeeMode: 1
; LDSByteSize: 0 bytes/workgroup (compile time only)
; SGPRBlocks: 0
; VGPRBlocks: 0
; NumSGPRsForWavesPerEU: 4
; NumVGPRsForWavesPerEU: 1
; AccumOffset: 4
; Occupancy: 8
; WaveLimiterHint : 0
; COMPUTE_PGM_RSRC2:SCRATCH_EN: 0
; COMPUTE_PGM_RSRC2:USER_SGPR: 6
; COMPUTE_PGM_RSRC2:TRAP_HANDLER: 0
; COMPUTE_PGM_RSRC2:TGID_X_EN: 1
; COMPUTE_PGM_RSRC2:TGID_Y_EN: 0
; COMPUTE_PGM_RSRC2:TGID_Z_EN: 0
; COMPUTE_PGM_RSRC2:TIDIG_COMP_CNT: 0
; COMPUTE_PGM_RSRC3_GFX90A:ACCUM_OFFSET: 0
; COMPUTE_PGM_RSRC3_GFX90A:TG_SPLIT: 0
	.section	.text._ZN7rocprim17ROCPRIM_400000_NS6detail17trampoline_kernelINS0_14default_configENS1_27scan_by_key_config_selectorIifEEZZNS1_16scan_by_key_implILNS1_25lookback_scan_determinismE0ELb1ES3_N6thrust23THRUST_200600_302600_NS6detail15normal_iteratorINS9_10device_ptrIiEEEENSB_INSC_IjEEEENSB_INSC_IfEEEEfNS9_4plusIvEENS9_8equal_toIvEEfEE10hipError_tPvRmT2_T3_T4_T5_mT6_T7_P12ihipStream_tbENKUlT_T0_E_clISt17integral_constantIbLb0EES12_IbLb1EEEEDaSY_SZ_EUlSY_E_NS1_11comp_targetILNS1_3genE0ELNS1_11target_archE4294967295ELNS1_3gpuE0ELNS1_3repE0EEENS1_30default_config_static_selectorELNS0_4arch9wavefront6targetE1EEEvT1_,"axG",@progbits,_ZN7rocprim17ROCPRIM_400000_NS6detail17trampoline_kernelINS0_14default_configENS1_27scan_by_key_config_selectorIifEEZZNS1_16scan_by_key_implILNS1_25lookback_scan_determinismE0ELb1ES3_N6thrust23THRUST_200600_302600_NS6detail15normal_iteratorINS9_10device_ptrIiEEEENSB_INSC_IjEEEENSB_INSC_IfEEEEfNS9_4plusIvEENS9_8equal_toIvEEfEE10hipError_tPvRmT2_T3_T4_T5_mT6_T7_P12ihipStream_tbENKUlT_T0_E_clISt17integral_constantIbLb0EES12_IbLb1EEEEDaSY_SZ_EUlSY_E_NS1_11comp_targetILNS1_3genE0ELNS1_11target_archE4294967295ELNS1_3gpuE0ELNS1_3repE0EEENS1_30default_config_static_selectorELNS0_4arch9wavefront6targetE1EEEvT1_,comdat
	.protected	_ZN7rocprim17ROCPRIM_400000_NS6detail17trampoline_kernelINS0_14default_configENS1_27scan_by_key_config_selectorIifEEZZNS1_16scan_by_key_implILNS1_25lookback_scan_determinismE0ELb1ES3_N6thrust23THRUST_200600_302600_NS6detail15normal_iteratorINS9_10device_ptrIiEEEENSB_INSC_IjEEEENSB_INSC_IfEEEEfNS9_4plusIvEENS9_8equal_toIvEEfEE10hipError_tPvRmT2_T3_T4_T5_mT6_T7_P12ihipStream_tbENKUlT_T0_E_clISt17integral_constantIbLb0EES12_IbLb1EEEEDaSY_SZ_EUlSY_E_NS1_11comp_targetILNS1_3genE0ELNS1_11target_archE4294967295ELNS1_3gpuE0ELNS1_3repE0EEENS1_30default_config_static_selectorELNS0_4arch9wavefront6targetE1EEEvT1_ ; -- Begin function _ZN7rocprim17ROCPRIM_400000_NS6detail17trampoline_kernelINS0_14default_configENS1_27scan_by_key_config_selectorIifEEZZNS1_16scan_by_key_implILNS1_25lookback_scan_determinismE0ELb1ES3_N6thrust23THRUST_200600_302600_NS6detail15normal_iteratorINS9_10device_ptrIiEEEENSB_INSC_IjEEEENSB_INSC_IfEEEEfNS9_4plusIvEENS9_8equal_toIvEEfEE10hipError_tPvRmT2_T3_T4_T5_mT6_T7_P12ihipStream_tbENKUlT_T0_E_clISt17integral_constantIbLb0EES12_IbLb1EEEEDaSY_SZ_EUlSY_E_NS1_11comp_targetILNS1_3genE0ELNS1_11target_archE4294967295ELNS1_3gpuE0ELNS1_3repE0EEENS1_30default_config_static_selectorELNS0_4arch9wavefront6targetE1EEEvT1_
	.globl	_ZN7rocprim17ROCPRIM_400000_NS6detail17trampoline_kernelINS0_14default_configENS1_27scan_by_key_config_selectorIifEEZZNS1_16scan_by_key_implILNS1_25lookback_scan_determinismE0ELb1ES3_N6thrust23THRUST_200600_302600_NS6detail15normal_iteratorINS9_10device_ptrIiEEEENSB_INSC_IjEEEENSB_INSC_IfEEEEfNS9_4plusIvEENS9_8equal_toIvEEfEE10hipError_tPvRmT2_T3_T4_T5_mT6_T7_P12ihipStream_tbENKUlT_T0_E_clISt17integral_constantIbLb0EES12_IbLb1EEEEDaSY_SZ_EUlSY_E_NS1_11comp_targetILNS1_3genE0ELNS1_11target_archE4294967295ELNS1_3gpuE0ELNS1_3repE0EEENS1_30default_config_static_selectorELNS0_4arch9wavefront6targetE1EEEvT1_
	.p2align	8
	.type	_ZN7rocprim17ROCPRIM_400000_NS6detail17trampoline_kernelINS0_14default_configENS1_27scan_by_key_config_selectorIifEEZZNS1_16scan_by_key_implILNS1_25lookback_scan_determinismE0ELb1ES3_N6thrust23THRUST_200600_302600_NS6detail15normal_iteratorINS9_10device_ptrIiEEEENSB_INSC_IjEEEENSB_INSC_IfEEEEfNS9_4plusIvEENS9_8equal_toIvEEfEE10hipError_tPvRmT2_T3_T4_T5_mT6_T7_P12ihipStream_tbENKUlT_T0_E_clISt17integral_constantIbLb0EES12_IbLb1EEEEDaSY_SZ_EUlSY_E_NS1_11comp_targetILNS1_3genE0ELNS1_11target_archE4294967295ELNS1_3gpuE0ELNS1_3repE0EEENS1_30default_config_static_selectorELNS0_4arch9wavefront6targetE1EEEvT1_,@function
_ZN7rocprim17ROCPRIM_400000_NS6detail17trampoline_kernelINS0_14default_configENS1_27scan_by_key_config_selectorIifEEZZNS1_16scan_by_key_implILNS1_25lookback_scan_determinismE0ELb1ES3_N6thrust23THRUST_200600_302600_NS6detail15normal_iteratorINS9_10device_ptrIiEEEENSB_INSC_IjEEEENSB_INSC_IfEEEEfNS9_4plusIvEENS9_8equal_toIvEEfEE10hipError_tPvRmT2_T3_T4_T5_mT6_T7_P12ihipStream_tbENKUlT_T0_E_clISt17integral_constantIbLb0EES12_IbLb1EEEEDaSY_SZ_EUlSY_E_NS1_11comp_targetILNS1_3genE0ELNS1_11target_archE4294967295ELNS1_3gpuE0ELNS1_3repE0EEENS1_30default_config_static_selectorELNS0_4arch9wavefront6targetE1EEEvT1_: ; @_ZN7rocprim17ROCPRIM_400000_NS6detail17trampoline_kernelINS0_14default_configENS1_27scan_by_key_config_selectorIifEEZZNS1_16scan_by_key_implILNS1_25lookback_scan_determinismE0ELb1ES3_N6thrust23THRUST_200600_302600_NS6detail15normal_iteratorINS9_10device_ptrIiEEEENSB_INSC_IjEEEENSB_INSC_IfEEEEfNS9_4plusIvEENS9_8equal_toIvEEfEE10hipError_tPvRmT2_T3_T4_T5_mT6_T7_P12ihipStream_tbENKUlT_T0_E_clISt17integral_constantIbLb0EES12_IbLb1EEEEDaSY_SZ_EUlSY_E_NS1_11comp_targetILNS1_3genE0ELNS1_11target_archE4294967295ELNS1_3gpuE0ELNS1_3repE0EEENS1_30default_config_static_selectorELNS0_4arch9wavefront6targetE1EEEvT1_
; %bb.0:
	.section	.rodata,"a",@progbits
	.p2align	6, 0x0
	.amdhsa_kernel _ZN7rocprim17ROCPRIM_400000_NS6detail17trampoline_kernelINS0_14default_configENS1_27scan_by_key_config_selectorIifEEZZNS1_16scan_by_key_implILNS1_25lookback_scan_determinismE0ELb1ES3_N6thrust23THRUST_200600_302600_NS6detail15normal_iteratorINS9_10device_ptrIiEEEENSB_INSC_IjEEEENSB_INSC_IfEEEEfNS9_4plusIvEENS9_8equal_toIvEEfEE10hipError_tPvRmT2_T3_T4_T5_mT6_T7_P12ihipStream_tbENKUlT_T0_E_clISt17integral_constantIbLb0EES12_IbLb1EEEEDaSY_SZ_EUlSY_E_NS1_11comp_targetILNS1_3genE0ELNS1_11target_archE4294967295ELNS1_3gpuE0ELNS1_3repE0EEENS1_30default_config_static_selectorELNS0_4arch9wavefront6targetE1EEEvT1_
		.amdhsa_group_segment_fixed_size 0
		.amdhsa_private_segment_fixed_size 0
		.amdhsa_kernarg_size 112
		.amdhsa_user_sgpr_count 6
		.amdhsa_user_sgpr_private_segment_buffer 1
		.amdhsa_user_sgpr_dispatch_ptr 0
		.amdhsa_user_sgpr_queue_ptr 0
		.amdhsa_user_sgpr_kernarg_segment_ptr 1
		.amdhsa_user_sgpr_dispatch_id 0
		.amdhsa_user_sgpr_flat_scratch_init 0
		.amdhsa_user_sgpr_kernarg_preload_length 0
		.amdhsa_user_sgpr_kernarg_preload_offset 0
		.amdhsa_user_sgpr_private_segment_size 0
		.amdhsa_uses_dynamic_stack 0
		.amdhsa_system_sgpr_private_segment_wavefront_offset 0
		.amdhsa_system_sgpr_workgroup_id_x 1
		.amdhsa_system_sgpr_workgroup_id_y 0
		.amdhsa_system_sgpr_workgroup_id_z 0
		.amdhsa_system_sgpr_workgroup_info 0
		.amdhsa_system_vgpr_workitem_id 0
		.amdhsa_next_free_vgpr 1
		.amdhsa_next_free_sgpr 0
		.amdhsa_accum_offset 4
		.amdhsa_reserve_vcc 0
		.amdhsa_reserve_flat_scratch 0
		.amdhsa_float_round_mode_32 0
		.amdhsa_float_round_mode_16_64 0
		.amdhsa_float_denorm_mode_32 3
		.amdhsa_float_denorm_mode_16_64 3
		.amdhsa_dx10_clamp 1
		.amdhsa_ieee_mode 1
		.amdhsa_fp16_overflow 0
		.amdhsa_tg_split 0
		.amdhsa_exception_fp_ieee_invalid_op 0
		.amdhsa_exception_fp_denorm_src 0
		.amdhsa_exception_fp_ieee_div_zero 0
		.amdhsa_exception_fp_ieee_overflow 0
		.amdhsa_exception_fp_ieee_underflow 0
		.amdhsa_exception_fp_ieee_inexact 0
		.amdhsa_exception_int_div_zero 0
	.end_amdhsa_kernel
	.section	.text._ZN7rocprim17ROCPRIM_400000_NS6detail17trampoline_kernelINS0_14default_configENS1_27scan_by_key_config_selectorIifEEZZNS1_16scan_by_key_implILNS1_25lookback_scan_determinismE0ELb1ES3_N6thrust23THRUST_200600_302600_NS6detail15normal_iteratorINS9_10device_ptrIiEEEENSB_INSC_IjEEEENSB_INSC_IfEEEEfNS9_4plusIvEENS9_8equal_toIvEEfEE10hipError_tPvRmT2_T3_T4_T5_mT6_T7_P12ihipStream_tbENKUlT_T0_E_clISt17integral_constantIbLb0EES12_IbLb1EEEEDaSY_SZ_EUlSY_E_NS1_11comp_targetILNS1_3genE0ELNS1_11target_archE4294967295ELNS1_3gpuE0ELNS1_3repE0EEENS1_30default_config_static_selectorELNS0_4arch9wavefront6targetE1EEEvT1_,"axG",@progbits,_ZN7rocprim17ROCPRIM_400000_NS6detail17trampoline_kernelINS0_14default_configENS1_27scan_by_key_config_selectorIifEEZZNS1_16scan_by_key_implILNS1_25lookback_scan_determinismE0ELb1ES3_N6thrust23THRUST_200600_302600_NS6detail15normal_iteratorINS9_10device_ptrIiEEEENSB_INSC_IjEEEENSB_INSC_IfEEEEfNS9_4plusIvEENS9_8equal_toIvEEfEE10hipError_tPvRmT2_T3_T4_T5_mT6_T7_P12ihipStream_tbENKUlT_T0_E_clISt17integral_constantIbLb0EES12_IbLb1EEEEDaSY_SZ_EUlSY_E_NS1_11comp_targetILNS1_3genE0ELNS1_11target_archE4294967295ELNS1_3gpuE0ELNS1_3repE0EEENS1_30default_config_static_selectorELNS0_4arch9wavefront6targetE1EEEvT1_,comdat
.Lfunc_end1707:
	.size	_ZN7rocprim17ROCPRIM_400000_NS6detail17trampoline_kernelINS0_14default_configENS1_27scan_by_key_config_selectorIifEEZZNS1_16scan_by_key_implILNS1_25lookback_scan_determinismE0ELb1ES3_N6thrust23THRUST_200600_302600_NS6detail15normal_iteratorINS9_10device_ptrIiEEEENSB_INSC_IjEEEENSB_INSC_IfEEEEfNS9_4plusIvEENS9_8equal_toIvEEfEE10hipError_tPvRmT2_T3_T4_T5_mT6_T7_P12ihipStream_tbENKUlT_T0_E_clISt17integral_constantIbLb0EES12_IbLb1EEEEDaSY_SZ_EUlSY_E_NS1_11comp_targetILNS1_3genE0ELNS1_11target_archE4294967295ELNS1_3gpuE0ELNS1_3repE0EEENS1_30default_config_static_selectorELNS0_4arch9wavefront6targetE1EEEvT1_, .Lfunc_end1707-_ZN7rocprim17ROCPRIM_400000_NS6detail17trampoline_kernelINS0_14default_configENS1_27scan_by_key_config_selectorIifEEZZNS1_16scan_by_key_implILNS1_25lookback_scan_determinismE0ELb1ES3_N6thrust23THRUST_200600_302600_NS6detail15normal_iteratorINS9_10device_ptrIiEEEENSB_INSC_IjEEEENSB_INSC_IfEEEEfNS9_4plusIvEENS9_8equal_toIvEEfEE10hipError_tPvRmT2_T3_T4_T5_mT6_T7_P12ihipStream_tbENKUlT_T0_E_clISt17integral_constantIbLb0EES12_IbLb1EEEEDaSY_SZ_EUlSY_E_NS1_11comp_targetILNS1_3genE0ELNS1_11target_archE4294967295ELNS1_3gpuE0ELNS1_3repE0EEENS1_30default_config_static_selectorELNS0_4arch9wavefront6targetE1EEEvT1_
                                        ; -- End function
	.section	.AMDGPU.csdata,"",@progbits
; Kernel info:
; codeLenInByte = 0
; NumSgprs: 4
; NumVgprs: 0
; NumAgprs: 0
; TotalNumVgprs: 0
; ScratchSize: 0
; MemoryBound: 0
; FloatMode: 240
; IeeeMode: 1
; LDSByteSize: 0 bytes/workgroup (compile time only)
; SGPRBlocks: 0
; VGPRBlocks: 0
; NumSGPRsForWavesPerEU: 4
; NumVGPRsForWavesPerEU: 1
; AccumOffset: 4
; Occupancy: 8
; WaveLimiterHint : 0
; COMPUTE_PGM_RSRC2:SCRATCH_EN: 0
; COMPUTE_PGM_RSRC2:USER_SGPR: 6
; COMPUTE_PGM_RSRC2:TRAP_HANDLER: 0
; COMPUTE_PGM_RSRC2:TGID_X_EN: 1
; COMPUTE_PGM_RSRC2:TGID_Y_EN: 0
; COMPUTE_PGM_RSRC2:TGID_Z_EN: 0
; COMPUTE_PGM_RSRC2:TIDIG_COMP_CNT: 0
; COMPUTE_PGM_RSRC3_GFX90A:ACCUM_OFFSET: 0
; COMPUTE_PGM_RSRC3_GFX90A:TG_SPLIT: 0
	.section	.text._ZN7rocprim17ROCPRIM_400000_NS6detail17trampoline_kernelINS0_14default_configENS1_27scan_by_key_config_selectorIifEEZZNS1_16scan_by_key_implILNS1_25lookback_scan_determinismE0ELb1ES3_N6thrust23THRUST_200600_302600_NS6detail15normal_iteratorINS9_10device_ptrIiEEEENSB_INSC_IjEEEENSB_INSC_IfEEEEfNS9_4plusIvEENS9_8equal_toIvEEfEE10hipError_tPvRmT2_T3_T4_T5_mT6_T7_P12ihipStream_tbENKUlT_T0_E_clISt17integral_constantIbLb0EES12_IbLb1EEEEDaSY_SZ_EUlSY_E_NS1_11comp_targetILNS1_3genE10ELNS1_11target_archE1201ELNS1_3gpuE5ELNS1_3repE0EEENS1_30default_config_static_selectorELNS0_4arch9wavefront6targetE1EEEvT1_,"axG",@progbits,_ZN7rocprim17ROCPRIM_400000_NS6detail17trampoline_kernelINS0_14default_configENS1_27scan_by_key_config_selectorIifEEZZNS1_16scan_by_key_implILNS1_25lookback_scan_determinismE0ELb1ES3_N6thrust23THRUST_200600_302600_NS6detail15normal_iteratorINS9_10device_ptrIiEEEENSB_INSC_IjEEEENSB_INSC_IfEEEEfNS9_4plusIvEENS9_8equal_toIvEEfEE10hipError_tPvRmT2_T3_T4_T5_mT6_T7_P12ihipStream_tbENKUlT_T0_E_clISt17integral_constantIbLb0EES12_IbLb1EEEEDaSY_SZ_EUlSY_E_NS1_11comp_targetILNS1_3genE10ELNS1_11target_archE1201ELNS1_3gpuE5ELNS1_3repE0EEENS1_30default_config_static_selectorELNS0_4arch9wavefront6targetE1EEEvT1_,comdat
	.protected	_ZN7rocprim17ROCPRIM_400000_NS6detail17trampoline_kernelINS0_14default_configENS1_27scan_by_key_config_selectorIifEEZZNS1_16scan_by_key_implILNS1_25lookback_scan_determinismE0ELb1ES3_N6thrust23THRUST_200600_302600_NS6detail15normal_iteratorINS9_10device_ptrIiEEEENSB_INSC_IjEEEENSB_INSC_IfEEEEfNS9_4plusIvEENS9_8equal_toIvEEfEE10hipError_tPvRmT2_T3_T4_T5_mT6_T7_P12ihipStream_tbENKUlT_T0_E_clISt17integral_constantIbLb0EES12_IbLb1EEEEDaSY_SZ_EUlSY_E_NS1_11comp_targetILNS1_3genE10ELNS1_11target_archE1201ELNS1_3gpuE5ELNS1_3repE0EEENS1_30default_config_static_selectorELNS0_4arch9wavefront6targetE1EEEvT1_ ; -- Begin function _ZN7rocprim17ROCPRIM_400000_NS6detail17trampoline_kernelINS0_14default_configENS1_27scan_by_key_config_selectorIifEEZZNS1_16scan_by_key_implILNS1_25lookback_scan_determinismE0ELb1ES3_N6thrust23THRUST_200600_302600_NS6detail15normal_iteratorINS9_10device_ptrIiEEEENSB_INSC_IjEEEENSB_INSC_IfEEEEfNS9_4plusIvEENS9_8equal_toIvEEfEE10hipError_tPvRmT2_T3_T4_T5_mT6_T7_P12ihipStream_tbENKUlT_T0_E_clISt17integral_constantIbLb0EES12_IbLb1EEEEDaSY_SZ_EUlSY_E_NS1_11comp_targetILNS1_3genE10ELNS1_11target_archE1201ELNS1_3gpuE5ELNS1_3repE0EEENS1_30default_config_static_selectorELNS0_4arch9wavefront6targetE1EEEvT1_
	.globl	_ZN7rocprim17ROCPRIM_400000_NS6detail17trampoline_kernelINS0_14default_configENS1_27scan_by_key_config_selectorIifEEZZNS1_16scan_by_key_implILNS1_25lookback_scan_determinismE0ELb1ES3_N6thrust23THRUST_200600_302600_NS6detail15normal_iteratorINS9_10device_ptrIiEEEENSB_INSC_IjEEEENSB_INSC_IfEEEEfNS9_4plusIvEENS9_8equal_toIvEEfEE10hipError_tPvRmT2_T3_T4_T5_mT6_T7_P12ihipStream_tbENKUlT_T0_E_clISt17integral_constantIbLb0EES12_IbLb1EEEEDaSY_SZ_EUlSY_E_NS1_11comp_targetILNS1_3genE10ELNS1_11target_archE1201ELNS1_3gpuE5ELNS1_3repE0EEENS1_30default_config_static_selectorELNS0_4arch9wavefront6targetE1EEEvT1_
	.p2align	8
	.type	_ZN7rocprim17ROCPRIM_400000_NS6detail17trampoline_kernelINS0_14default_configENS1_27scan_by_key_config_selectorIifEEZZNS1_16scan_by_key_implILNS1_25lookback_scan_determinismE0ELb1ES3_N6thrust23THRUST_200600_302600_NS6detail15normal_iteratorINS9_10device_ptrIiEEEENSB_INSC_IjEEEENSB_INSC_IfEEEEfNS9_4plusIvEENS9_8equal_toIvEEfEE10hipError_tPvRmT2_T3_T4_T5_mT6_T7_P12ihipStream_tbENKUlT_T0_E_clISt17integral_constantIbLb0EES12_IbLb1EEEEDaSY_SZ_EUlSY_E_NS1_11comp_targetILNS1_3genE10ELNS1_11target_archE1201ELNS1_3gpuE5ELNS1_3repE0EEENS1_30default_config_static_selectorELNS0_4arch9wavefront6targetE1EEEvT1_,@function
_ZN7rocprim17ROCPRIM_400000_NS6detail17trampoline_kernelINS0_14default_configENS1_27scan_by_key_config_selectorIifEEZZNS1_16scan_by_key_implILNS1_25lookback_scan_determinismE0ELb1ES3_N6thrust23THRUST_200600_302600_NS6detail15normal_iteratorINS9_10device_ptrIiEEEENSB_INSC_IjEEEENSB_INSC_IfEEEEfNS9_4plusIvEENS9_8equal_toIvEEfEE10hipError_tPvRmT2_T3_T4_T5_mT6_T7_P12ihipStream_tbENKUlT_T0_E_clISt17integral_constantIbLb0EES12_IbLb1EEEEDaSY_SZ_EUlSY_E_NS1_11comp_targetILNS1_3genE10ELNS1_11target_archE1201ELNS1_3gpuE5ELNS1_3repE0EEENS1_30default_config_static_selectorELNS0_4arch9wavefront6targetE1EEEvT1_: ; @_ZN7rocprim17ROCPRIM_400000_NS6detail17trampoline_kernelINS0_14default_configENS1_27scan_by_key_config_selectorIifEEZZNS1_16scan_by_key_implILNS1_25lookback_scan_determinismE0ELb1ES3_N6thrust23THRUST_200600_302600_NS6detail15normal_iteratorINS9_10device_ptrIiEEEENSB_INSC_IjEEEENSB_INSC_IfEEEEfNS9_4plusIvEENS9_8equal_toIvEEfEE10hipError_tPvRmT2_T3_T4_T5_mT6_T7_P12ihipStream_tbENKUlT_T0_E_clISt17integral_constantIbLb0EES12_IbLb1EEEEDaSY_SZ_EUlSY_E_NS1_11comp_targetILNS1_3genE10ELNS1_11target_archE1201ELNS1_3gpuE5ELNS1_3repE0EEENS1_30default_config_static_selectorELNS0_4arch9wavefront6targetE1EEEvT1_
; %bb.0:
	.section	.rodata,"a",@progbits
	.p2align	6, 0x0
	.amdhsa_kernel _ZN7rocprim17ROCPRIM_400000_NS6detail17trampoline_kernelINS0_14default_configENS1_27scan_by_key_config_selectorIifEEZZNS1_16scan_by_key_implILNS1_25lookback_scan_determinismE0ELb1ES3_N6thrust23THRUST_200600_302600_NS6detail15normal_iteratorINS9_10device_ptrIiEEEENSB_INSC_IjEEEENSB_INSC_IfEEEEfNS9_4plusIvEENS9_8equal_toIvEEfEE10hipError_tPvRmT2_T3_T4_T5_mT6_T7_P12ihipStream_tbENKUlT_T0_E_clISt17integral_constantIbLb0EES12_IbLb1EEEEDaSY_SZ_EUlSY_E_NS1_11comp_targetILNS1_3genE10ELNS1_11target_archE1201ELNS1_3gpuE5ELNS1_3repE0EEENS1_30default_config_static_selectorELNS0_4arch9wavefront6targetE1EEEvT1_
		.amdhsa_group_segment_fixed_size 0
		.amdhsa_private_segment_fixed_size 0
		.amdhsa_kernarg_size 112
		.amdhsa_user_sgpr_count 6
		.amdhsa_user_sgpr_private_segment_buffer 1
		.amdhsa_user_sgpr_dispatch_ptr 0
		.amdhsa_user_sgpr_queue_ptr 0
		.amdhsa_user_sgpr_kernarg_segment_ptr 1
		.amdhsa_user_sgpr_dispatch_id 0
		.amdhsa_user_sgpr_flat_scratch_init 0
		.amdhsa_user_sgpr_kernarg_preload_length 0
		.amdhsa_user_sgpr_kernarg_preload_offset 0
		.amdhsa_user_sgpr_private_segment_size 0
		.amdhsa_uses_dynamic_stack 0
		.amdhsa_system_sgpr_private_segment_wavefront_offset 0
		.amdhsa_system_sgpr_workgroup_id_x 1
		.amdhsa_system_sgpr_workgroup_id_y 0
		.amdhsa_system_sgpr_workgroup_id_z 0
		.amdhsa_system_sgpr_workgroup_info 0
		.amdhsa_system_vgpr_workitem_id 0
		.amdhsa_next_free_vgpr 1
		.amdhsa_next_free_sgpr 0
		.amdhsa_accum_offset 4
		.amdhsa_reserve_vcc 0
		.amdhsa_reserve_flat_scratch 0
		.amdhsa_float_round_mode_32 0
		.amdhsa_float_round_mode_16_64 0
		.amdhsa_float_denorm_mode_32 3
		.amdhsa_float_denorm_mode_16_64 3
		.amdhsa_dx10_clamp 1
		.amdhsa_ieee_mode 1
		.amdhsa_fp16_overflow 0
		.amdhsa_tg_split 0
		.amdhsa_exception_fp_ieee_invalid_op 0
		.amdhsa_exception_fp_denorm_src 0
		.amdhsa_exception_fp_ieee_div_zero 0
		.amdhsa_exception_fp_ieee_overflow 0
		.amdhsa_exception_fp_ieee_underflow 0
		.amdhsa_exception_fp_ieee_inexact 0
		.amdhsa_exception_int_div_zero 0
	.end_amdhsa_kernel
	.section	.text._ZN7rocprim17ROCPRIM_400000_NS6detail17trampoline_kernelINS0_14default_configENS1_27scan_by_key_config_selectorIifEEZZNS1_16scan_by_key_implILNS1_25lookback_scan_determinismE0ELb1ES3_N6thrust23THRUST_200600_302600_NS6detail15normal_iteratorINS9_10device_ptrIiEEEENSB_INSC_IjEEEENSB_INSC_IfEEEEfNS9_4plusIvEENS9_8equal_toIvEEfEE10hipError_tPvRmT2_T3_T4_T5_mT6_T7_P12ihipStream_tbENKUlT_T0_E_clISt17integral_constantIbLb0EES12_IbLb1EEEEDaSY_SZ_EUlSY_E_NS1_11comp_targetILNS1_3genE10ELNS1_11target_archE1201ELNS1_3gpuE5ELNS1_3repE0EEENS1_30default_config_static_selectorELNS0_4arch9wavefront6targetE1EEEvT1_,"axG",@progbits,_ZN7rocprim17ROCPRIM_400000_NS6detail17trampoline_kernelINS0_14default_configENS1_27scan_by_key_config_selectorIifEEZZNS1_16scan_by_key_implILNS1_25lookback_scan_determinismE0ELb1ES3_N6thrust23THRUST_200600_302600_NS6detail15normal_iteratorINS9_10device_ptrIiEEEENSB_INSC_IjEEEENSB_INSC_IfEEEEfNS9_4plusIvEENS9_8equal_toIvEEfEE10hipError_tPvRmT2_T3_T4_T5_mT6_T7_P12ihipStream_tbENKUlT_T0_E_clISt17integral_constantIbLb0EES12_IbLb1EEEEDaSY_SZ_EUlSY_E_NS1_11comp_targetILNS1_3genE10ELNS1_11target_archE1201ELNS1_3gpuE5ELNS1_3repE0EEENS1_30default_config_static_selectorELNS0_4arch9wavefront6targetE1EEEvT1_,comdat
.Lfunc_end1708:
	.size	_ZN7rocprim17ROCPRIM_400000_NS6detail17trampoline_kernelINS0_14default_configENS1_27scan_by_key_config_selectorIifEEZZNS1_16scan_by_key_implILNS1_25lookback_scan_determinismE0ELb1ES3_N6thrust23THRUST_200600_302600_NS6detail15normal_iteratorINS9_10device_ptrIiEEEENSB_INSC_IjEEEENSB_INSC_IfEEEEfNS9_4plusIvEENS9_8equal_toIvEEfEE10hipError_tPvRmT2_T3_T4_T5_mT6_T7_P12ihipStream_tbENKUlT_T0_E_clISt17integral_constantIbLb0EES12_IbLb1EEEEDaSY_SZ_EUlSY_E_NS1_11comp_targetILNS1_3genE10ELNS1_11target_archE1201ELNS1_3gpuE5ELNS1_3repE0EEENS1_30default_config_static_selectorELNS0_4arch9wavefront6targetE1EEEvT1_, .Lfunc_end1708-_ZN7rocprim17ROCPRIM_400000_NS6detail17trampoline_kernelINS0_14default_configENS1_27scan_by_key_config_selectorIifEEZZNS1_16scan_by_key_implILNS1_25lookback_scan_determinismE0ELb1ES3_N6thrust23THRUST_200600_302600_NS6detail15normal_iteratorINS9_10device_ptrIiEEEENSB_INSC_IjEEEENSB_INSC_IfEEEEfNS9_4plusIvEENS9_8equal_toIvEEfEE10hipError_tPvRmT2_T3_T4_T5_mT6_T7_P12ihipStream_tbENKUlT_T0_E_clISt17integral_constantIbLb0EES12_IbLb1EEEEDaSY_SZ_EUlSY_E_NS1_11comp_targetILNS1_3genE10ELNS1_11target_archE1201ELNS1_3gpuE5ELNS1_3repE0EEENS1_30default_config_static_selectorELNS0_4arch9wavefront6targetE1EEEvT1_
                                        ; -- End function
	.section	.AMDGPU.csdata,"",@progbits
; Kernel info:
; codeLenInByte = 0
; NumSgprs: 4
; NumVgprs: 0
; NumAgprs: 0
; TotalNumVgprs: 0
; ScratchSize: 0
; MemoryBound: 0
; FloatMode: 240
; IeeeMode: 1
; LDSByteSize: 0 bytes/workgroup (compile time only)
; SGPRBlocks: 0
; VGPRBlocks: 0
; NumSGPRsForWavesPerEU: 4
; NumVGPRsForWavesPerEU: 1
; AccumOffset: 4
; Occupancy: 8
; WaveLimiterHint : 0
; COMPUTE_PGM_RSRC2:SCRATCH_EN: 0
; COMPUTE_PGM_RSRC2:USER_SGPR: 6
; COMPUTE_PGM_RSRC2:TRAP_HANDLER: 0
; COMPUTE_PGM_RSRC2:TGID_X_EN: 1
; COMPUTE_PGM_RSRC2:TGID_Y_EN: 0
; COMPUTE_PGM_RSRC2:TGID_Z_EN: 0
; COMPUTE_PGM_RSRC2:TIDIG_COMP_CNT: 0
; COMPUTE_PGM_RSRC3_GFX90A:ACCUM_OFFSET: 0
; COMPUTE_PGM_RSRC3_GFX90A:TG_SPLIT: 0
	.section	.text._ZN7rocprim17ROCPRIM_400000_NS6detail17trampoline_kernelINS0_14default_configENS1_27scan_by_key_config_selectorIifEEZZNS1_16scan_by_key_implILNS1_25lookback_scan_determinismE0ELb1ES3_N6thrust23THRUST_200600_302600_NS6detail15normal_iteratorINS9_10device_ptrIiEEEENSB_INSC_IjEEEENSB_INSC_IfEEEEfNS9_4plusIvEENS9_8equal_toIvEEfEE10hipError_tPvRmT2_T3_T4_T5_mT6_T7_P12ihipStream_tbENKUlT_T0_E_clISt17integral_constantIbLb0EES12_IbLb1EEEEDaSY_SZ_EUlSY_E_NS1_11comp_targetILNS1_3genE5ELNS1_11target_archE942ELNS1_3gpuE9ELNS1_3repE0EEENS1_30default_config_static_selectorELNS0_4arch9wavefront6targetE1EEEvT1_,"axG",@progbits,_ZN7rocprim17ROCPRIM_400000_NS6detail17trampoline_kernelINS0_14default_configENS1_27scan_by_key_config_selectorIifEEZZNS1_16scan_by_key_implILNS1_25lookback_scan_determinismE0ELb1ES3_N6thrust23THRUST_200600_302600_NS6detail15normal_iteratorINS9_10device_ptrIiEEEENSB_INSC_IjEEEENSB_INSC_IfEEEEfNS9_4plusIvEENS9_8equal_toIvEEfEE10hipError_tPvRmT2_T3_T4_T5_mT6_T7_P12ihipStream_tbENKUlT_T0_E_clISt17integral_constantIbLb0EES12_IbLb1EEEEDaSY_SZ_EUlSY_E_NS1_11comp_targetILNS1_3genE5ELNS1_11target_archE942ELNS1_3gpuE9ELNS1_3repE0EEENS1_30default_config_static_selectorELNS0_4arch9wavefront6targetE1EEEvT1_,comdat
	.protected	_ZN7rocprim17ROCPRIM_400000_NS6detail17trampoline_kernelINS0_14default_configENS1_27scan_by_key_config_selectorIifEEZZNS1_16scan_by_key_implILNS1_25lookback_scan_determinismE0ELb1ES3_N6thrust23THRUST_200600_302600_NS6detail15normal_iteratorINS9_10device_ptrIiEEEENSB_INSC_IjEEEENSB_INSC_IfEEEEfNS9_4plusIvEENS9_8equal_toIvEEfEE10hipError_tPvRmT2_T3_T4_T5_mT6_T7_P12ihipStream_tbENKUlT_T0_E_clISt17integral_constantIbLb0EES12_IbLb1EEEEDaSY_SZ_EUlSY_E_NS1_11comp_targetILNS1_3genE5ELNS1_11target_archE942ELNS1_3gpuE9ELNS1_3repE0EEENS1_30default_config_static_selectorELNS0_4arch9wavefront6targetE1EEEvT1_ ; -- Begin function _ZN7rocprim17ROCPRIM_400000_NS6detail17trampoline_kernelINS0_14default_configENS1_27scan_by_key_config_selectorIifEEZZNS1_16scan_by_key_implILNS1_25lookback_scan_determinismE0ELb1ES3_N6thrust23THRUST_200600_302600_NS6detail15normal_iteratorINS9_10device_ptrIiEEEENSB_INSC_IjEEEENSB_INSC_IfEEEEfNS9_4plusIvEENS9_8equal_toIvEEfEE10hipError_tPvRmT2_T3_T4_T5_mT6_T7_P12ihipStream_tbENKUlT_T0_E_clISt17integral_constantIbLb0EES12_IbLb1EEEEDaSY_SZ_EUlSY_E_NS1_11comp_targetILNS1_3genE5ELNS1_11target_archE942ELNS1_3gpuE9ELNS1_3repE0EEENS1_30default_config_static_selectorELNS0_4arch9wavefront6targetE1EEEvT1_
	.globl	_ZN7rocprim17ROCPRIM_400000_NS6detail17trampoline_kernelINS0_14default_configENS1_27scan_by_key_config_selectorIifEEZZNS1_16scan_by_key_implILNS1_25lookback_scan_determinismE0ELb1ES3_N6thrust23THRUST_200600_302600_NS6detail15normal_iteratorINS9_10device_ptrIiEEEENSB_INSC_IjEEEENSB_INSC_IfEEEEfNS9_4plusIvEENS9_8equal_toIvEEfEE10hipError_tPvRmT2_T3_T4_T5_mT6_T7_P12ihipStream_tbENKUlT_T0_E_clISt17integral_constantIbLb0EES12_IbLb1EEEEDaSY_SZ_EUlSY_E_NS1_11comp_targetILNS1_3genE5ELNS1_11target_archE942ELNS1_3gpuE9ELNS1_3repE0EEENS1_30default_config_static_selectorELNS0_4arch9wavefront6targetE1EEEvT1_
	.p2align	8
	.type	_ZN7rocprim17ROCPRIM_400000_NS6detail17trampoline_kernelINS0_14default_configENS1_27scan_by_key_config_selectorIifEEZZNS1_16scan_by_key_implILNS1_25lookback_scan_determinismE0ELb1ES3_N6thrust23THRUST_200600_302600_NS6detail15normal_iteratorINS9_10device_ptrIiEEEENSB_INSC_IjEEEENSB_INSC_IfEEEEfNS9_4plusIvEENS9_8equal_toIvEEfEE10hipError_tPvRmT2_T3_T4_T5_mT6_T7_P12ihipStream_tbENKUlT_T0_E_clISt17integral_constantIbLb0EES12_IbLb1EEEEDaSY_SZ_EUlSY_E_NS1_11comp_targetILNS1_3genE5ELNS1_11target_archE942ELNS1_3gpuE9ELNS1_3repE0EEENS1_30default_config_static_selectorELNS0_4arch9wavefront6targetE1EEEvT1_,@function
_ZN7rocprim17ROCPRIM_400000_NS6detail17trampoline_kernelINS0_14default_configENS1_27scan_by_key_config_selectorIifEEZZNS1_16scan_by_key_implILNS1_25lookback_scan_determinismE0ELb1ES3_N6thrust23THRUST_200600_302600_NS6detail15normal_iteratorINS9_10device_ptrIiEEEENSB_INSC_IjEEEENSB_INSC_IfEEEEfNS9_4plusIvEENS9_8equal_toIvEEfEE10hipError_tPvRmT2_T3_T4_T5_mT6_T7_P12ihipStream_tbENKUlT_T0_E_clISt17integral_constantIbLb0EES12_IbLb1EEEEDaSY_SZ_EUlSY_E_NS1_11comp_targetILNS1_3genE5ELNS1_11target_archE942ELNS1_3gpuE9ELNS1_3repE0EEENS1_30default_config_static_selectorELNS0_4arch9wavefront6targetE1EEEvT1_: ; @_ZN7rocprim17ROCPRIM_400000_NS6detail17trampoline_kernelINS0_14default_configENS1_27scan_by_key_config_selectorIifEEZZNS1_16scan_by_key_implILNS1_25lookback_scan_determinismE0ELb1ES3_N6thrust23THRUST_200600_302600_NS6detail15normal_iteratorINS9_10device_ptrIiEEEENSB_INSC_IjEEEENSB_INSC_IfEEEEfNS9_4plusIvEENS9_8equal_toIvEEfEE10hipError_tPvRmT2_T3_T4_T5_mT6_T7_P12ihipStream_tbENKUlT_T0_E_clISt17integral_constantIbLb0EES12_IbLb1EEEEDaSY_SZ_EUlSY_E_NS1_11comp_targetILNS1_3genE5ELNS1_11target_archE942ELNS1_3gpuE9ELNS1_3repE0EEENS1_30default_config_static_selectorELNS0_4arch9wavefront6targetE1EEEvT1_
; %bb.0:
	.section	.rodata,"a",@progbits
	.p2align	6, 0x0
	.amdhsa_kernel _ZN7rocprim17ROCPRIM_400000_NS6detail17trampoline_kernelINS0_14default_configENS1_27scan_by_key_config_selectorIifEEZZNS1_16scan_by_key_implILNS1_25lookback_scan_determinismE0ELb1ES3_N6thrust23THRUST_200600_302600_NS6detail15normal_iteratorINS9_10device_ptrIiEEEENSB_INSC_IjEEEENSB_INSC_IfEEEEfNS9_4plusIvEENS9_8equal_toIvEEfEE10hipError_tPvRmT2_T3_T4_T5_mT6_T7_P12ihipStream_tbENKUlT_T0_E_clISt17integral_constantIbLb0EES12_IbLb1EEEEDaSY_SZ_EUlSY_E_NS1_11comp_targetILNS1_3genE5ELNS1_11target_archE942ELNS1_3gpuE9ELNS1_3repE0EEENS1_30default_config_static_selectorELNS0_4arch9wavefront6targetE1EEEvT1_
		.amdhsa_group_segment_fixed_size 0
		.amdhsa_private_segment_fixed_size 0
		.amdhsa_kernarg_size 112
		.amdhsa_user_sgpr_count 6
		.amdhsa_user_sgpr_private_segment_buffer 1
		.amdhsa_user_sgpr_dispatch_ptr 0
		.amdhsa_user_sgpr_queue_ptr 0
		.amdhsa_user_sgpr_kernarg_segment_ptr 1
		.amdhsa_user_sgpr_dispatch_id 0
		.amdhsa_user_sgpr_flat_scratch_init 0
		.amdhsa_user_sgpr_kernarg_preload_length 0
		.amdhsa_user_sgpr_kernarg_preload_offset 0
		.amdhsa_user_sgpr_private_segment_size 0
		.amdhsa_uses_dynamic_stack 0
		.amdhsa_system_sgpr_private_segment_wavefront_offset 0
		.amdhsa_system_sgpr_workgroup_id_x 1
		.amdhsa_system_sgpr_workgroup_id_y 0
		.amdhsa_system_sgpr_workgroup_id_z 0
		.amdhsa_system_sgpr_workgroup_info 0
		.amdhsa_system_vgpr_workitem_id 0
		.amdhsa_next_free_vgpr 1
		.amdhsa_next_free_sgpr 0
		.amdhsa_accum_offset 4
		.amdhsa_reserve_vcc 0
		.amdhsa_reserve_flat_scratch 0
		.amdhsa_float_round_mode_32 0
		.amdhsa_float_round_mode_16_64 0
		.amdhsa_float_denorm_mode_32 3
		.amdhsa_float_denorm_mode_16_64 3
		.amdhsa_dx10_clamp 1
		.amdhsa_ieee_mode 1
		.amdhsa_fp16_overflow 0
		.amdhsa_tg_split 0
		.amdhsa_exception_fp_ieee_invalid_op 0
		.amdhsa_exception_fp_denorm_src 0
		.amdhsa_exception_fp_ieee_div_zero 0
		.amdhsa_exception_fp_ieee_overflow 0
		.amdhsa_exception_fp_ieee_underflow 0
		.amdhsa_exception_fp_ieee_inexact 0
		.amdhsa_exception_int_div_zero 0
	.end_amdhsa_kernel
	.section	.text._ZN7rocprim17ROCPRIM_400000_NS6detail17trampoline_kernelINS0_14default_configENS1_27scan_by_key_config_selectorIifEEZZNS1_16scan_by_key_implILNS1_25lookback_scan_determinismE0ELb1ES3_N6thrust23THRUST_200600_302600_NS6detail15normal_iteratorINS9_10device_ptrIiEEEENSB_INSC_IjEEEENSB_INSC_IfEEEEfNS9_4plusIvEENS9_8equal_toIvEEfEE10hipError_tPvRmT2_T3_T4_T5_mT6_T7_P12ihipStream_tbENKUlT_T0_E_clISt17integral_constantIbLb0EES12_IbLb1EEEEDaSY_SZ_EUlSY_E_NS1_11comp_targetILNS1_3genE5ELNS1_11target_archE942ELNS1_3gpuE9ELNS1_3repE0EEENS1_30default_config_static_selectorELNS0_4arch9wavefront6targetE1EEEvT1_,"axG",@progbits,_ZN7rocprim17ROCPRIM_400000_NS6detail17trampoline_kernelINS0_14default_configENS1_27scan_by_key_config_selectorIifEEZZNS1_16scan_by_key_implILNS1_25lookback_scan_determinismE0ELb1ES3_N6thrust23THRUST_200600_302600_NS6detail15normal_iteratorINS9_10device_ptrIiEEEENSB_INSC_IjEEEENSB_INSC_IfEEEEfNS9_4plusIvEENS9_8equal_toIvEEfEE10hipError_tPvRmT2_T3_T4_T5_mT6_T7_P12ihipStream_tbENKUlT_T0_E_clISt17integral_constantIbLb0EES12_IbLb1EEEEDaSY_SZ_EUlSY_E_NS1_11comp_targetILNS1_3genE5ELNS1_11target_archE942ELNS1_3gpuE9ELNS1_3repE0EEENS1_30default_config_static_selectorELNS0_4arch9wavefront6targetE1EEEvT1_,comdat
.Lfunc_end1709:
	.size	_ZN7rocprim17ROCPRIM_400000_NS6detail17trampoline_kernelINS0_14default_configENS1_27scan_by_key_config_selectorIifEEZZNS1_16scan_by_key_implILNS1_25lookback_scan_determinismE0ELb1ES3_N6thrust23THRUST_200600_302600_NS6detail15normal_iteratorINS9_10device_ptrIiEEEENSB_INSC_IjEEEENSB_INSC_IfEEEEfNS9_4plusIvEENS9_8equal_toIvEEfEE10hipError_tPvRmT2_T3_T4_T5_mT6_T7_P12ihipStream_tbENKUlT_T0_E_clISt17integral_constantIbLb0EES12_IbLb1EEEEDaSY_SZ_EUlSY_E_NS1_11comp_targetILNS1_3genE5ELNS1_11target_archE942ELNS1_3gpuE9ELNS1_3repE0EEENS1_30default_config_static_selectorELNS0_4arch9wavefront6targetE1EEEvT1_, .Lfunc_end1709-_ZN7rocprim17ROCPRIM_400000_NS6detail17trampoline_kernelINS0_14default_configENS1_27scan_by_key_config_selectorIifEEZZNS1_16scan_by_key_implILNS1_25lookback_scan_determinismE0ELb1ES3_N6thrust23THRUST_200600_302600_NS6detail15normal_iteratorINS9_10device_ptrIiEEEENSB_INSC_IjEEEENSB_INSC_IfEEEEfNS9_4plusIvEENS9_8equal_toIvEEfEE10hipError_tPvRmT2_T3_T4_T5_mT6_T7_P12ihipStream_tbENKUlT_T0_E_clISt17integral_constantIbLb0EES12_IbLb1EEEEDaSY_SZ_EUlSY_E_NS1_11comp_targetILNS1_3genE5ELNS1_11target_archE942ELNS1_3gpuE9ELNS1_3repE0EEENS1_30default_config_static_selectorELNS0_4arch9wavefront6targetE1EEEvT1_
                                        ; -- End function
	.section	.AMDGPU.csdata,"",@progbits
; Kernel info:
; codeLenInByte = 0
; NumSgprs: 4
; NumVgprs: 0
; NumAgprs: 0
; TotalNumVgprs: 0
; ScratchSize: 0
; MemoryBound: 0
; FloatMode: 240
; IeeeMode: 1
; LDSByteSize: 0 bytes/workgroup (compile time only)
; SGPRBlocks: 0
; VGPRBlocks: 0
; NumSGPRsForWavesPerEU: 4
; NumVGPRsForWavesPerEU: 1
; AccumOffset: 4
; Occupancy: 8
; WaveLimiterHint : 0
; COMPUTE_PGM_RSRC2:SCRATCH_EN: 0
; COMPUTE_PGM_RSRC2:USER_SGPR: 6
; COMPUTE_PGM_RSRC2:TRAP_HANDLER: 0
; COMPUTE_PGM_RSRC2:TGID_X_EN: 1
; COMPUTE_PGM_RSRC2:TGID_Y_EN: 0
; COMPUTE_PGM_RSRC2:TGID_Z_EN: 0
; COMPUTE_PGM_RSRC2:TIDIG_COMP_CNT: 0
; COMPUTE_PGM_RSRC3_GFX90A:ACCUM_OFFSET: 0
; COMPUTE_PGM_RSRC3_GFX90A:TG_SPLIT: 0
	.section	.text._ZN7rocprim17ROCPRIM_400000_NS6detail17trampoline_kernelINS0_14default_configENS1_27scan_by_key_config_selectorIifEEZZNS1_16scan_by_key_implILNS1_25lookback_scan_determinismE0ELb1ES3_N6thrust23THRUST_200600_302600_NS6detail15normal_iteratorINS9_10device_ptrIiEEEENSB_INSC_IjEEEENSB_INSC_IfEEEEfNS9_4plusIvEENS9_8equal_toIvEEfEE10hipError_tPvRmT2_T3_T4_T5_mT6_T7_P12ihipStream_tbENKUlT_T0_E_clISt17integral_constantIbLb0EES12_IbLb1EEEEDaSY_SZ_EUlSY_E_NS1_11comp_targetILNS1_3genE4ELNS1_11target_archE910ELNS1_3gpuE8ELNS1_3repE0EEENS1_30default_config_static_selectorELNS0_4arch9wavefront6targetE1EEEvT1_,"axG",@progbits,_ZN7rocprim17ROCPRIM_400000_NS6detail17trampoline_kernelINS0_14default_configENS1_27scan_by_key_config_selectorIifEEZZNS1_16scan_by_key_implILNS1_25lookback_scan_determinismE0ELb1ES3_N6thrust23THRUST_200600_302600_NS6detail15normal_iteratorINS9_10device_ptrIiEEEENSB_INSC_IjEEEENSB_INSC_IfEEEEfNS9_4plusIvEENS9_8equal_toIvEEfEE10hipError_tPvRmT2_T3_T4_T5_mT6_T7_P12ihipStream_tbENKUlT_T0_E_clISt17integral_constantIbLb0EES12_IbLb1EEEEDaSY_SZ_EUlSY_E_NS1_11comp_targetILNS1_3genE4ELNS1_11target_archE910ELNS1_3gpuE8ELNS1_3repE0EEENS1_30default_config_static_selectorELNS0_4arch9wavefront6targetE1EEEvT1_,comdat
	.protected	_ZN7rocprim17ROCPRIM_400000_NS6detail17trampoline_kernelINS0_14default_configENS1_27scan_by_key_config_selectorIifEEZZNS1_16scan_by_key_implILNS1_25lookback_scan_determinismE0ELb1ES3_N6thrust23THRUST_200600_302600_NS6detail15normal_iteratorINS9_10device_ptrIiEEEENSB_INSC_IjEEEENSB_INSC_IfEEEEfNS9_4plusIvEENS9_8equal_toIvEEfEE10hipError_tPvRmT2_T3_T4_T5_mT6_T7_P12ihipStream_tbENKUlT_T0_E_clISt17integral_constantIbLb0EES12_IbLb1EEEEDaSY_SZ_EUlSY_E_NS1_11comp_targetILNS1_3genE4ELNS1_11target_archE910ELNS1_3gpuE8ELNS1_3repE0EEENS1_30default_config_static_selectorELNS0_4arch9wavefront6targetE1EEEvT1_ ; -- Begin function _ZN7rocprim17ROCPRIM_400000_NS6detail17trampoline_kernelINS0_14default_configENS1_27scan_by_key_config_selectorIifEEZZNS1_16scan_by_key_implILNS1_25lookback_scan_determinismE0ELb1ES3_N6thrust23THRUST_200600_302600_NS6detail15normal_iteratorINS9_10device_ptrIiEEEENSB_INSC_IjEEEENSB_INSC_IfEEEEfNS9_4plusIvEENS9_8equal_toIvEEfEE10hipError_tPvRmT2_T3_T4_T5_mT6_T7_P12ihipStream_tbENKUlT_T0_E_clISt17integral_constantIbLb0EES12_IbLb1EEEEDaSY_SZ_EUlSY_E_NS1_11comp_targetILNS1_3genE4ELNS1_11target_archE910ELNS1_3gpuE8ELNS1_3repE0EEENS1_30default_config_static_selectorELNS0_4arch9wavefront6targetE1EEEvT1_
	.globl	_ZN7rocprim17ROCPRIM_400000_NS6detail17trampoline_kernelINS0_14default_configENS1_27scan_by_key_config_selectorIifEEZZNS1_16scan_by_key_implILNS1_25lookback_scan_determinismE0ELb1ES3_N6thrust23THRUST_200600_302600_NS6detail15normal_iteratorINS9_10device_ptrIiEEEENSB_INSC_IjEEEENSB_INSC_IfEEEEfNS9_4plusIvEENS9_8equal_toIvEEfEE10hipError_tPvRmT2_T3_T4_T5_mT6_T7_P12ihipStream_tbENKUlT_T0_E_clISt17integral_constantIbLb0EES12_IbLb1EEEEDaSY_SZ_EUlSY_E_NS1_11comp_targetILNS1_3genE4ELNS1_11target_archE910ELNS1_3gpuE8ELNS1_3repE0EEENS1_30default_config_static_selectorELNS0_4arch9wavefront6targetE1EEEvT1_
	.p2align	8
	.type	_ZN7rocprim17ROCPRIM_400000_NS6detail17trampoline_kernelINS0_14default_configENS1_27scan_by_key_config_selectorIifEEZZNS1_16scan_by_key_implILNS1_25lookback_scan_determinismE0ELb1ES3_N6thrust23THRUST_200600_302600_NS6detail15normal_iteratorINS9_10device_ptrIiEEEENSB_INSC_IjEEEENSB_INSC_IfEEEEfNS9_4plusIvEENS9_8equal_toIvEEfEE10hipError_tPvRmT2_T3_T4_T5_mT6_T7_P12ihipStream_tbENKUlT_T0_E_clISt17integral_constantIbLb0EES12_IbLb1EEEEDaSY_SZ_EUlSY_E_NS1_11comp_targetILNS1_3genE4ELNS1_11target_archE910ELNS1_3gpuE8ELNS1_3repE0EEENS1_30default_config_static_selectorELNS0_4arch9wavefront6targetE1EEEvT1_,@function
_ZN7rocprim17ROCPRIM_400000_NS6detail17trampoline_kernelINS0_14default_configENS1_27scan_by_key_config_selectorIifEEZZNS1_16scan_by_key_implILNS1_25lookback_scan_determinismE0ELb1ES3_N6thrust23THRUST_200600_302600_NS6detail15normal_iteratorINS9_10device_ptrIiEEEENSB_INSC_IjEEEENSB_INSC_IfEEEEfNS9_4plusIvEENS9_8equal_toIvEEfEE10hipError_tPvRmT2_T3_T4_T5_mT6_T7_P12ihipStream_tbENKUlT_T0_E_clISt17integral_constantIbLb0EES12_IbLb1EEEEDaSY_SZ_EUlSY_E_NS1_11comp_targetILNS1_3genE4ELNS1_11target_archE910ELNS1_3gpuE8ELNS1_3repE0EEENS1_30default_config_static_selectorELNS0_4arch9wavefront6targetE1EEEvT1_: ; @_ZN7rocprim17ROCPRIM_400000_NS6detail17trampoline_kernelINS0_14default_configENS1_27scan_by_key_config_selectorIifEEZZNS1_16scan_by_key_implILNS1_25lookback_scan_determinismE0ELb1ES3_N6thrust23THRUST_200600_302600_NS6detail15normal_iteratorINS9_10device_ptrIiEEEENSB_INSC_IjEEEENSB_INSC_IfEEEEfNS9_4plusIvEENS9_8equal_toIvEEfEE10hipError_tPvRmT2_T3_T4_T5_mT6_T7_P12ihipStream_tbENKUlT_T0_E_clISt17integral_constantIbLb0EES12_IbLb1EEEEDaSY_SZ_EUlSY_E_NS1_11comp_targetILNS1_3genE4ELNS1_11target_archE910ELNS1_3gpuE8ELNS1_3repE0EEENS1_30default_config_static_selectorELNS0_4arch9wavefront6targetE1EEEvT1_
; %bb.0:
	s_load_dword s54, s[4:5], 0x20
	s_load_dwordx4 s[44:47], s[4:5], 0x28
	s_load_dwordx2 s[52:53], s[4:5], 0x38
	v_cmp_eq_u32_e64 s[0:1], 0, v0
	s_and_saveexec_b64 s[2:3], s[0:1]
	s_cbranch_execz .LBB1710_4
; %bb.1:
	s_mov_b64 s[8:9], exec
	v_mbcnt_lo_u32_b32 v1, s8, 0
	v_mbcnt_hi_u32_b32 v1, s9, v1
	v_cmp_eq_u32_e32 vcc, 0, v1
                                        ; implicit-def: $vgpr2
	s_and_saveexec_b64 s[6:7], vcc
	s_cbranch_execz .LBB1710_3
; %bb.2:
	s_load_dwordx2 s[10:11], s[4:5], 0x68
	s_bcnt1_i32_b64 s8, s[8:9]
	v_mov_b32_e32 v2, 0
	v_mov_b32_e32 v3, s8
	s_waitcnt lgkmcnt(0)
	global_atomic_add v2, v2, v3, s[10:11] glc
.LBB1710_3:
	s_or_b64 exec, exec, s[6:7]
	s_waitcnt vmcnt(0)
	v_readfirstlane_b32 s6, v2
	v_add_u32_e32 v1, s6, v1
	v_mov_b32_e32 v2, 0
	ds_write_b32 v2, v1
.LBB1710_4:
	s_or_b64 exec, exec, s[2:3]
	s_load_dwordx8 s[36:43], s[4:5], 0x0
	s_load_dword s2, s[4:5], 0x40
	s_load_dwordx4 s[48:51], s[4:5], 0x48
	v_mov_b32_e32 v3, 0
	s_waitcnt lgkmcnt(0)
	s_lshl_b64 s[34:35], s[38:39], 2
	s_barrier
	ds_read_b32 v1, v3
	s_add_u32 s3, s36, s34
	s_addc_u32 s4, s37, s35
	s_add_u32 s5, s40, s34
	s_mul_i32 s7, s53, s2
	s_mul_hi_u32 s8, s52, s2
	s_addc_u32 s6, s41, s35
	s_add_i32 s7, s8, s7
	s_movk_i32 s8, 0xe00
	s_waitcnt lgkmcnt(0)
	v_mul_lo_u32 v2, v1, s8
	v_lshlrev_b64 v[16:17], 2, v[2:3]
	v_mov_b32_e32 v2, s4
	v_add_co_u32_e32 v14, vcc, s3, v16
	v_addc_co_u32_e32 v15, vcc, v2, v17, vcc
	v_mov_b32_e32 v2, s6
	v_add_co_u32_e32 v22, vcc, s5, v16
	s_mul_i32 s2, s52, s2
	v_addc_co_u32_e32 v23, vcc, v2, v17, vcc
	v_mov_b32_e32 v3, s7
	v_add_co_u32_e32 v2, vcc, s2, v1
	s_add_u32 s6, s48, -1
	v_addc_co_u32_e32 v3, vcc, 0, v3, vcc
	s_addc_u32 s7, s49, -1
	v_cmp_le_u64_e64 s[2:3], s[6:7], v[2:3]
	v_readfirstlane_b32 s47, v1
	s_mov_b64 s[4:5], -1
	s_and_b64 vcc, exec, s[2:3]
	s_mul_i32 s33, s6, 0xfffff200
	s_barrier
	s_barrier
	s_cbranch_vccz .LBB1710_80
; %bb.5:
	flat_load_dword v2, v[14:15]
	s_add_i32 s49, s33, s46
	v_cmp_gt_u32_e32 vcc, s49, v0
	s_waitcnt vmcnt(0) lgkmcnt(0)
	v_mov_b32_e32 v3, v2
	s_and_saveexec_b64 s[6:7], vcc
	s_cbranch_execz .LBB1710_7
; %bb.6:
	v_lshlrev_b32_e32 v1, 2, v0
	v_add_co_u32_e64 v4, s[4:5], v14, v1
	v_addc_co_u32_e64 v5, s[4:5], 0, v15, s[4:5]
	flat_load_dword v3, v[4:5]
.LBB1710_7:
	s_or_b64 exec, exec, s[6:7]
	v_or_b32_e32 v1, 0x100, v0
	v_cmp_gt_u32_e64 s[4:5], s49, v1
	v_mov_b32_e32 v4, v2
	s_and_saveexec_b64 s[8:9], s[4:5]
	s_cbranch_execz .LBB1710_9
; %bb.8:
	v_lshlrev_b32_e32 v1, 2, v0
	v_add_co_u32_e64 v4, s[6:7], v14, v1
	v_addc_co_u32_e64 v5, s[6:7], 0, v15, s[6:7]
	flat_load_dword v4, v[4:5] offset:1024
.LBB1710_9:
	s_or_b64 exec, exec, s[8:9]
	v_or_b32_e32 v1, 0x200, v0
	v_cmp_gt_u32_e64 s[6:7], s49, v1
	v_mov_b32_e32 v5, v2
	s_and_saveexec_b64 s[10:11], s[6:7]
	s_cbranch_execz .LBB1710_11
; %bb.10:
	v_lshlrev_b32_e32 v1, 2, v0
	v_add_co_u32_e64 v6, s[8:9], v14, v1
	v_addc_co_u32_e64 v7, s[8:9], 0, v15, s[8:9]
	flat_load_dword v5, v[6:7] offset:2048
.LBB1710_11:
	;; [unrolled: 12-line block ×3, first 2 shown]
	s_or_b64 exec, exec, s[12:13]
	v_or_b32_e32 v1, 0x400, v0
	v_cmp_gt_u32_e64 s[10:11], s49, v1
	v_lshlrev_b32_e32 v1, 2, v1
	v_mov_b32_e32 v7, v2
	s_and_saveexec_b64 s[14:15], s[10:11]
	s_cbranch_execz .LBB1710_15
; %bb.14:
	v_add_co_u32_e64 v8, s[12:13], v14, v1
	v_addc_co_u32_e64 v9, s[12:13], 0, v15, s[12:13]
	flat_load_dword v7, v[8:9]
.LBB1710_15:
	s_or_b64 exec, exec, s[14:15]
	v_or_b32_e32 v8, 0x500, v0
	v_cmp_gt_u32_e64 s[12:13], s49, v8
	v_lshlrev_b32_e32 v20, 2, v8
	v_mov_b32_e32 v8, v2
	s_and_saveexec_b64 s[16:17], s[12:13]
	s_cbranch_execz .LBB1710_17
; %bb.16:
	v_add_co_u32_e64 v8, s[14:15], v14, v20
	v_addc_co_u32_e64 v9, s[14:15], 0, v15, s[14:15]
	flat_load_dword v8, v[8:9]
.LBB1710_17:
	;; [unrolled: 12-line block ×9, first 2 shown]
	s_or_b64 exec, exec, s[30:31]
	v_or_b32_e32 v24, 0xd00, v0
	v_cmp_gt_u32_e64 s[28:29], s49, v24
	v_lshlrev_b32_e32 v32, 2, v24
	s_and_saveexec_b64 s[36:37], s[28:29]
	s_cbranch_execz .LBB1710_33
; %bb.32:
	v_add_co_u32_e64 v24, s[30:31], v14, v32
	v_addc_co_u32_e64 v25, s[30:31], 0, v15, s[30:31]
	flat_load_dword v2, v[24:25]
.LBB1710_33:
	s_or_b64 exec, exec, s[36:37]
	v_lshlrev_b32_e32 v33, 2, v0
	s_waitcnt vmcnt(0) lgkmcnt(0)
	ds_write2st64_b32 v33, v3, v4 offset1:4
	ds_write2st64_b32 v33, v5, v6 offset0:8 offset1:12
	ds_write2st64_b32 v33, v7, v8 offset0:16 offset1:20
	;; [unrolled: 1-line block ×6, first 2 shown]
	s_waitcnt lgkmcnt(0)
	s_barrier
	flat_load_dword v24, v[14:15]
	v_mad_u32_u24 v25, v0, 52, v33
	s_movk_i32 s30, 0xffcc
	ds_read2_b64 v[10:13], v25 offset1:1
	ds_read2_b64 v[6:9], v25 offset0:2 offset1:3
	ds_read2_b64 v[2:5], v25 offset0:4 offset1:5
	ds_read_b64 v[18:19], v25 offset:48
	v_mad_i32_i24 v34, v0, s30, v25
	s_movk_i32 s30, 0xff
	v_cmp_ne_u32_e64 s[30:31], s30, v0
	s_waitcnt lgkmcnt(0)
	ds_write_b32 v34, v10 offset:15360
	s_waitcnt lgkmcnt(0)
	s_barrier
	s_and_saveexec_b64 s[36:37], s[30:31]
	s_cbranch_execz .LBB1710_35
; %bb.34:
	s_waitcnt vmcnt(0)
	ds_read_b32 v24, v33 offset:15364
.LBB1710_35:
	s_or_b64 exec, exec, s[36:37]
	s_waitcnt lgkmcnt(0)
	s_barrier
	s_waitcnt lgkmcnt(0)
                                        ; implicit-def: $vgpr34
	s_and_saveexec_b64 s[30:31], vcc
	s_cbranch_execz .LBB1710_151
; %bb.36:
	v_add_co_u32_e32 v34, vcc, v22, v33
	v_addc_co_u32_e32 v35, vcc, 0, v23, vcc
	flat_load_dword v34, v[34:35]
	s_waitcnt vmcnt(0) lgkmcnt(0)
	v_cvt_f32_u32_e32 v34, v34
	s_or_b64 exec, exec, s[30:31]
                                        ; implicit-def: $vgpr35
	s_and_saveexec_b64 s[30:31], s[4:5]
	s_cbranch_execnz .LBB1710_152
.LBB1710_37:
	s_or_b64 exec, exec, s[30:31]
                                        ; implicit-def: $vgpr36
	s_and_saveexec_b64 s[4:5], s[6:7]
	s_cbranch_execz .LBB1710_153
.LBB1710_38:
	v_add_co_u32_e32 v36, vcc, v22, v33
	v_addc_co_u32_e32 v37, vcc, 0, v23, vcc
	flat_load_dword v36, v[36:37] offset:2048
	s_waitcnt vmcnt(0) lgkmcnt(0)
	v_cvt_f32_u32_e32 v36, v36
	s_or_b64 exec, exec, s[4:5]
                                        ; implicit-def: $vgpr37
	s_and_saveexec_b64 s[4:5], s[8:9]
	s_cbranch_execnz .LBB1710_154
.LBB1710_39:
	s_or_b64 exec, exec, s[4:5]
                                        ; implicit-def: $vgpr38
	s_and_saveexec_b64 s[4:5], s[10:11]
	s_cbranch_execz .LBB1710_155
.LBB1710_40:
	v_add_co_u32_e32 v38, vcc, v22, v1
	v_addc_co_u32_e32 v39, vcc, 0, v23, vcc
	flat_load_dword v1, v[38:39]
	s_waitcnt vmcnt(0) lgkmcnt(0)
	v_cvt_f32_u32_e32 v38, v1
	s_or_b64 exec, exec, s[4:5]
                                        ; implicit-def: $vgpr1
	s_and_saveexec_b64 s[4:5], s[12:13]
	s_cbranch_execnz .LBB1710_156
.LBB1710_41:
	s_or_b64 exec, exec, s[4:5]
                                        ; implicit-def: $vgpr20
	s_and_saveexec_b64 s[4:5], s[14:15]
	s_cbranch_execz .LBB1710_157
.LBB1710_42:
	v_add_co_u32_e32 v20, vcc, v22, v21
	v_addc_co_u32_e32 v21, vcc, 0, v23, vcc
	flat_load_dword v20, v[20:21]
	s_waitcnt vmcnt(0) lgkmcnt(0)
	v_cvt_f32_u32_e32 v20, v20
	s_or_b64 exec, exec, s[4:5]
                                        ; implicit-def: $vgpr21
	s_and_saveexec_b64 s[4:5], s[16:17]
	s_cbranch_execnz .LBB1710_158
.LBB1710_43:
	s_or_b64 exec, exec, s[4:5]
                                        ; implicit-def: $vgpr26
	s_and_saveexec_b64 s[4:5], s[18:19]
	s_cbranch_execz .LBB1710_159
.LBB1710_44:
	v_add_co_u32_e32 v26, vcc, v22, v27
	v_addc_co_u32_e32 v27, vcc, 0, v23, vcc
	flat_load_dword v26, v[26:27]
	s_waitcnt vmcnt(0) lgkmcnt(0)
	v_cvt_f32_u32_e32 v26, v26
	s_or_b64 exec, exec, s[4:5]
                                        ; implicit-def: $vgpr27
	s_and_saveexec_b64 s[4:5], s[20:21]
	s_cbranch_execnz .LBB1710_160
.LBB1710_45:
	s_or_b64 exec, exec, s[4:5]
                                        ; implicit-def: $vgpr28
	s_and_saveexec_b64 s[4:5], s[22:23]
	s_cbranch_execz .LBB1710_161
.LBB1710_46:
	v_add_co_u32_e32 v28, vcc, v22, v29
	v_addc_co_u32_e32 v29, vcc, 0, v23, vcc
	flat_load_dword v28, v[28:29]
	s_waitcnt vmcnt(0) lgkmcnt(0)
	v_cvt_f32_u32_e32 v28, v28
	s_or_b64 exec, exec, s[4:5]
                                        ; implicit-def: $vgpr29
	s_and_saveexec_b64 s[4:5], s[24:25]
	s_cbranch_execnz .LBB1710_162
.LBB1710_47:
	s_or_b64 exec, exec, s[4:5]
                                        ; implicit-def: $vgpr30
	s_and_saveexec_b64 s[4:5], s[26:27]
	s_cbranch_execz .LBB1710_49
.LBB1710_48:
	v_add_co_u32_e32 v30, vcc, v22, v31
	v_addc_co_u32_e32 v31, vcc, 0, v23, vcc
	flat_load_dword v30, v[30:31]
	s_waitcnt vmcnt(0) lgkmcnt(0)
	v_cvt_f32_u32_e32 v30, v30
.LBB1710_49:
	s_or_b64 exec, exec, s[4:5]
	v_mul_u32_u24_e32 v51, 14, v0
                                        ; implicit-def: $vgpr31
	s_and_saveexec_b64 s[4:5], s[28:29]
	s_cbranch_execz .LBB1710_51
; %bb.50:
	v_add_co_u32_e32 v40, vcc, v22, v32
	v_addc_co_u32_e32 v41, vcc, 0, v23, vcc
	flat_load_dword v31, v[40:41]
	s_waitcnt vmcnt(0) lgkmcnt(0)
	v_cvt_f32_u32_e32 v31, v31
.LBB1710_51:
	s_or_b64 exec, exec, s[4:5]
	ds_write2st64_b32 v33, v34, v35 offset1:4
	ds_write2st64_b32 v33, v36, v37 offset0:8 offset1:12
	ds_write2st64_b32 v33, v38, v1 offset0:16 offset1:20
	;; [unrolled: 1-line block ×6, first 2 shown]
	v_cmp_gt_u32_e32 vcc, s49, v51
	s_mov_b64 s[4:5], 0
	s_mov_b32 s48, 0
	v_mov_b32_e32 v1, 0
	v_mov_b32_e32 v26, 0
	s_mov_b64 s[10:11], 0
	v_mov_b32_e32 v40, 0
	v_mov_b32_e32 v30, 0
	v_mov_b32_e32 v41, 0
	v_mov_b32_e32 v50, 0
	v_mov_b32_e32 v34, 0
	v_mov_b32_e32 v39, 0
	v_mov_b32_e32 v49, 0
	v_mov_b32_e32 v28, 0
	v_mov_b32_e32 v38, 0
	v_mov_b32_e32 v48, 0
	v_mov_b32_e32 v37, 0
	v_mov_b32_e32 v36, 0
	v_mov_b32_e32 v47, 0
	v_mov_b32_e32 v29, 0
	v_mov_b32_e32 v35, 0
	v_mov_b32_e32 v46, 0
	v_mov_b32_e32 v42, 0
	v_mov_b32_e32 v33, 0
	v_mov_b32_e32 v45, 0
	v_mov_b32_e32 v31, 0
	v_mov_b32_e32 v32, 0
	v_mov_b32_e32 v44, 0
	v_mov_b32_e32 v43, 0
	v_mov_b32_e32 v27, 0
	s_waitcnt lgkmcnt(0)
	s_barrier
	s_waitcnt lgkmcnt(0)
                                        ; implicit-def: $sgpr8_sgpr9
                                        ; implicit-def: $vgpr20
	s_and_saveexec_b64 s[6:7], vcc
	s_cbranch_execz .LBB1710_79
; %bb.52:
	ds_read_b32 v20, v25
	v_or_b32_e32 v21, 1, v51
	v_cmp_ne_u32_e32 vcc, v10, v11
	v_mov_b32_e32 v10, s54
	v_cndmask_b32_e64 v1, 0, 1, vcc
	s_waitcnt lgkmcnt(0)
	v_cndmask_b32_e32 v30, v20, v10, vcc
	v_cmp_gt_u32_e32 vcc, s49, v21
	v_mov_b32_e32 v26, 0
	v_mov_b32_e32 v40, 0
	;; [unrolled: 1-line block ×24, first 2 shown]
                                        ; implicit-def: $sgpr12_sgpr13
                                        ; implicit-def: $vgpr20
	s_and_saveexec_b64 s[8:9], vcc
	s_cbranch_execz .LBB1710_78
; %bb.53:
	ds_read2_b32 v[20:21], v25 offset0:1 offset1:2
	v_add_u32_e32 v10, 2, v51
	v_cmp_ne_u32_e32 vcc, v11, v12
	v_mov_b32_e32 v11, s54
	v_cndmask_b32_e64 v34, 0, 1, vcc
	s_waitcnt lgkmcnt(0)
	v_cndmask_b32_e32 v28, v20, v11, vcc
	v_cmp_gt_u32_e32 vcc, s49, v10
	s_mov_b64 s[14:15], 0
	v_mov_b32_e32 v26, 0
	v_mov_b32_e32 v40, 0
	;; [unrolled: 1-line block ×22, first 2 shown]
                                        ; implicit-def: $sgpr12_sgpr13
                                        ; implicit-def: $vgpr20
	s_and_saveexec_b64 s[10:11], vcc
	s_cbranch_execz .LBB1710_77
; %bb.54:
	v_add_u32_e32 v10, 3, v51
	v_cmp_ne_u32_e32 vcc, v12, v13
	v_mov_b32_e32 v11, s54
	v_cndmask_b32_e64 v37, 0, 1, vcc
	v_cndmask_b32_e32 v29, v21, v11, vcc
	v_cmp_gt_u32_e32 vcc, s49, v10
	v_mov_b32_e32 v26, 0
	v_mov_b32_e32 v40, 0
	;; [unrolled: 1-line block ×20, first 2 shown]
                                        ; implicit-def: $sgpr16_sgpr17
                                        ; implicit-def: $vgpr20
	s_and_saveexec_b64 s[12:13], vcc
	s_cbranch_execz .LBB1710_76
; %bb.55:
	ds_read2_b32 v[10:11], v25 offset0:3 offset1:4
	v_add_u32_e32 v12, 4, v51
	v_cmp_ne_u32_e32 vcc, v13, v6
	v_mov_b32_e32 v13, s54
	v_cndmask_b32_e64 v42, 0, 1, vcc
	s_waitcnt lgkmcnt(0)
	v_cndmask_b32_e32 v31, v10, v13, vcc
	v_cmp_gt_u32_e32 vcc, s49, v12
	s_mov_b64 s[18:19], 0
	v_mov_b32_e32 v26, 0
	v_mov_b32_e32 v40, 0
	;; [unrolled: 1-line block ×18, first 2 shown]
                                        ; implicit-def: $sgpr16_sgpr17
                                        ; implicit-def: $vgpr20
	s_and_saveexec_b64 s[14:15], vcc
	s_cbranch_execz .LBB1710_75
; %bb.56:
	v_add_u32_e32 v10, 5, v51
	v_cmp_ne_u32_e32 vcc, v6, v7
	v_mov_b32_e32 v6, s54
	v_cndmask_b32_e64 v43, 0, 1, vcc
	v_cndmask_b32_e32 v27, v11, v6, vcc
	v_cmp_gt_u32_e32 vcc, s49, v10
	v_mov_b32_e32 v26, 0
	v_mov_b32_e32 v40, 0
	;; [unrolled: 1-line block ×16, first 2 shown]
                                        ; implicit-def: $sgpr20_sgpr21
                                        ; implicit-def: $vgpr20
	s_and_saveexec_b64 s[16:17], vcc
	s_cbranch_execz .LBB1710_74
; %bb.57:
	ds_read2_b32 v[10:11], v25 offset0:5 offset1:6
	v_add_u32_e32 v6, 6, v51
	v_cmp_ne_u32_e32 vcc, v7, v8
	v_mov_b32_e32 v7, s54
	v_cndmask_b32_e64 v44, 0, 1, vcc
	s_waitcnt lgkmcnt(0)
	v_cndmask_b32_e32 v32, v10, v7, vcc
	v_cmp_gt_u32_e32 vcc, s49, v6
	s_mov_b64 s[22:23], 0
	v_mov_b32_e32 v26, 0
	v_mov_b32_e32 v40, 0
	v_mov_b32_e32 v41, 0
	v_mov_b32_e32 v50, 0
	v_mov_b32_e32 v39, 0
	v_mov_b32_e32 v49, 0
	v_mov_b32_e32 v38, 0
	v_mov_b32_e32 v48, 0
	v_mov_b32_e32 v36, 0
	v_mov_b32_e32 v47, 0
	v_mov_b32_e32 v35, 0
	v_mov_b32_e32 v46, 0
	v_mov_b32_e32 v33, 0
	v_mov_b32_e32 v45, 0
                                        ; implicit-def: $sgpr20_sgpr21
                                        ; implicit-def: $vgpr20
	s_and_saveexec_b64 s[18:19], vcc
	s_cbranch_execz .LBB1710_73
; %bb.58:
	v_add_u32_e32 v6, 7, v51
	v_cmp_ne_u32_e32 vcc, v8, v9
	v_mov_b32_e32 v7, s54
	v_cndmask_b32_e64 v45, 0, 1, vcc
	v_cndmask_b32_e32 v33, v11, v7, vcc
	v_cmp_gt_u32_e32 vcc, s49, v6
	v_mov_b32_e32 v26, 0
	v_mov_b32_e32 v40, 0
	;; [unrolled: 1-line block ×12, first 2 shown]
                                        ; implicit-def: $sgpr24_sgpr25
                                        ; implicit-def: $vgpr20
	s_and_saveexec_b64 s[20:21], vcc
	s_cbranch_execz .LBB1710_72
; %bb.59:
	ds_read2_b32 v[6:7], v25 offset0:7 offset1:8
	v_add_u32_e32 v8, 8, v51
	v_cmp_ne_u32_e32 vcc, v9, v2
	v_mov_b32_e32 v9, s54
	v_cndmask_b32_e64 v46, 0, 1, vcc
	s_waitcnt lgkmcnt(0)
	v_cndmask_b32_e32 v35, v6, v9, vcc
	v_cmp_gt_u32_e32 vcc, s49, v8
	s_mov_b64 s[26:27], 0
	v_mov_b32_e32 v26, 0
	v_mov_b32_e32 v40, 0
	;; [unrolled: 1-line block ×10, first 2 shown]
                                        ; implicit-def: $sgpr24_sgpr25
                                        ; implicit-def: $vgpr20
	s_and_saveexec_b64 s[22:23], vcc
	s_cbranch_execz .LBB1710_71
; %bb.60:
	v_add_u32_e32 v6, 9, v51
	v_cmp_ne_u32_e32 vcc, v2, v3
	v_mov_b32_e32 v2, s54
	v_cndmask_b32_e64 v47, 0, 1, vcc
	v_cndmask_b32_e32 v36, v7, v2, vcc
	v_cmp_gt_u32_e32 vcc, s49, v6
	v_mov_b32_e32 v26, 0
	v_mov_b32_e32 v40, 0
	;; [unrolled: 1-line block ×8, first 2 shown]
                                        ; implicit-def: $sgpr28_sgpr29
                                        ; implicit-def: $vgpr20
	s_and_saveexec_b64 s[24:25], vcc
	s_cbranch_execz .LBB1710_70
; %bb.61:
	ds_read2_b32 v[6:7], v25 offset0:9 offset1:10
	v_add_u32_e32 v2, 10, v51
	v_cmp_ne_u32_e32 vcc, v3, v4
	v_mov_b32_e32 v3, s54
	v_cndmask_b32_e64 v48, 0, 1, vcc
	s_waitcnt lgkmcnt(0)
	v_cndmask_b32_e32 v38, v6, v3, vcc
	v_cmp_gt_u32_e32 vcc, s49, v2
	s_mov_b64 s[30:31], 0
	v_mov_b32_e32 v26, 0
	v_mov_b32_e32 v40, 0
	v_mov_b32_e32 v41, 0
	v_mov_b32_e32 v50, 0
	v_mov_b32_e32 v39, 0
	v_mov_b32_e32 v49, 0
                                        ; implicit-def: $sgpr28_sgpr29
                                        ; implicit-def: $vgpr20
	s_and_saveexec_b64 s[26:27], vcc
	s_cbranch_execz .LBB1710_69
; %bb.62:
	v_add_u32_e32 v2, 11, v51
	v_cmp_ne_u32_e32 vcc, v4, v5
	v_mov_b32_e32 v3, s54
	v_cndmask_b32_e64 v49, 0, 1, vcc
	v_cndmask_b32_e32 v39, v7, v3, vcc
	v_cmp_gt_u32_e32 vcc, s49, v2
	v_mov_b32_e32 v26, 0
	v_mov_b32_e32 v40, 0
	;; [unrolled: 1-line block ×4, first 2 shown]
                                        ; implicit-def: $sgpr36_sgpr37
                                        ; implicit-def: $vgpr20
	s_and_saveexec_b64 s[28:29], vcc
	s_cbranch_execz .LBB1710_68
; %bb.63:
	ds_read2_b32 v[2:3], v25 offset0:11 offset1:12
	v_add_u32_e32 v4, 12, v51
	v_cmp_ne_u32_e32 vcc, v5, v18
	v_mov_b32_e32 v5, s54
	v_cndmask_b32_e64 v50, 0, 1, vcc
	s_waitcnt lgkmcnt(0)
	v_cndmask_b32_e32 v41, v2, v5, vcc
	v_cmp_gt_u32_e32 vcc, s49, v4
	s_mov_b64 s[38:39], 0
	v_mov_b32_e32 v26, 0
	v_mov_b32_e32 v40, 0
                                        ; implicit-def: $sgpr40_sgpr41
                                        ; implicit-def: $vgpr20
	s_and_saveexec_b64 s[30:31], vcc
	s_cbranch_execz .LBB1710_67
; %bb.64:
	v_add_u32_e32 v2, 13, v51
	v_cmp_ne_u32_e32 vcc, v18, v19
	v_mov_b32_e32 v4, s54
	v_cndmask_b32_e64 v40, 0, 1, vcc
	v_cndmask_b32_e32 v26, v3, v4, vcc
	v_cmp_gt_u32_e32 vcc, s49, v2
	s_mov_b64 s[36:37], 0
                                        ; implicit-def: $sgpr38_sgpr39
                                        ; implicit-def: $vgpr20
	s_and_saveexec_b64 s[40:41], vcc
	s_xor_b64 s[40:41], exec, s[40:41]
	s_cbranch_execz .LBB1710_66
; %bb.65:
	ds_read_b32 v2, v25 offset:52
	v_mov_b32_e32 v3, s54
	s_waitcnt vmcnt(0)
	v_cmp_ne_u32_e32 vcc, v19, v24
	s_mov_b64 s[36:37], exec
	s_and_b64 s[38:39], vcc, exec
	s_waitcnt lgkmcnt(0)
	v_cndmask_b32_e32 v20, v2, v3, vcc
.LBB1710_66:
	s_or_b64 exec, exec, s[40:41]
	s_and_b64 s[40:41], s[38:39], exec
	s_and_b64 s[38:39], s[36:37], exec
.LBB1710_67:
	s_or_b64 exec, exec, s[30:31]
	s_and_b64 s[36:37], s[40:41], exec
	s_and_b64 s[30:31], s[38:39], exec
.LBB1710_68:
	s_or_b64 exec, exec, s[28:29]
	s_and_b64 s[28:29], s[36:37], exec
	s_and_b64 s[30:31], s[30:31], exec
.LBB1710_69:
	s_or_b64 exec, exec, s[26:27]
	s_and_b64 s[28:29], s[28:29], exec
	s_and_b64 s[26:27], s[30:31], exec
.LBB1710_70:
	s_or_b64 exec, exec, s[24:25]
	s_and_b64 s[24:25], s[28:29], exec
	s_and_b64 s[26:27], s[26:27], exec
.LBB1710_71:
	s_or_b64 exec, exec, s[22:23]
	s_and_b64 s[24:25], s[24:25], exec
	s_and_b64 s[22:23], s[26:27], exec
.LBB1710_72:
	s_or_b64 exec, exec, s[20:21]
	s_and_b64 s[20:21], s[24:25], exec
	s_and_b64 s[22:23], s[22:23], exec
.LBB1710_73:
	s_or_b64 exec, exec, s[18:19]
	s_and_b64 s[20:21], s[20:21], exec
	s_and_b64 s[18:19], s[22:23], exec
.LBB1710_74:
	s_or_b64 exec, exec, s[16:17]
	s_and_b64 s[16:17], s[20:21], exec
	s_and_b64 s[18:19], s[18:19], exec
.LBB1710_75:
	s_or_b64 exec, exec, s[14:15]
	s_and_b64 s[16:17], s[16:17], exec
	s_and_b64 s[14:15], s[18:19], exec
.LBB1710_76:
	s_or_b64 exec, exec, s[12:13]
	s_and_b64 s[12:13], s[16:17], exec
	s_and_b64 s[14:15], s[14:15], exec
.LBB1710_77:
	s_or_b64 exec, exec, s[10:11]
	s_and_b64 s[12:13], s[12:13], exec
	s_and_b64 s[10:11], s[14:15], exec
.LBB1710_78:
	s_or_b64 exec, exec, s[8:9]
	s_and_b64 s[8:9], s[12:13], exec
	s_and_b64 s[10:11], s[10:11], exec
.LBB1710_79:
	s_or_b64 exec, exec, s[6:7]
	s_mov_b32 s6, 0
	s_and_b64 vcc, exec, s[4:5]
	v_lshlrev_b32_e32 v51, 2, v0
	s_cbranch_vccnz .LBB1710_81
	s_branch .LBB1710_86
.LBB1710_80:
	s_mov_b64 s[10:11], 0
                                        ; implicit-def: $sgpr8_sgpr9
                                        ; implicit-def: $vgpr20
                                        ; implicit-def: $vgpr1
                                        ; implicit-def: $vgpr26
                                        ; implicit-def: $vgpr40
                                        ; implicit-def: $vgpr30
                                        ; implicit-def: $vgpr41
                                        ; implicit-def: $vgpr50
                                        ; implicit-def: $vgpr34
                                        ; implicit-def: $vgpr39
                                        ; implicit-def: $vgpr49
                                        ; implicit-def: $vgpr28
                                        ; implicit-def: $vgpr38
                                        ; implicit-def: $vgpr48
                                        ; implicit-def: $vgpr37
                                        ; implicit-def: $vgpr36
                                        ; implicit-def: $vgpr47
                                        ; implicit-def: $vgpr29
                                        ; implicit-def: $vgpr35
                                        ; implicit-def: $vgpr46
                                        ; implicit-def: $vgpr42
                                        ; implicit-def: $vgpr33
                                        ; implicit-def: $vgpr45
                                        ; implicit-def: $vgpr31
                                        ; implicit-def: $vgpr32
                                        ; implicit-def: $vgpr44
                                        ; implicit-def: $vgpr43
                                        ; implicit-def: $vgpr27
                                        ; implicit-def: $sgpr6
                                        ; implicit-def: $sgpr48
	s_and_b64 vcc, exec, s[4:5]
	v_lshlrev_b32_e32 v51, 2, v0
	s_cbranch_vccz .LBB1710_86
.LBB1710_81:
	v_add_co_u32_e32 v2, vcc, v14, v51
	v_addc_co_u32_e32 v3, vcc, 0, v15, vcc
	v_add_co_u32_e32 v4, vcc, 0x1000, v2
	v_addc_co_u32_e32 v5, vcc, 0, v3, vcc
	flat_load_dword v1, v[2:3]
	flat_load_dword v6, v[2:3] offset:1024
	flat_load_dword v7, v[2:3] offset:2048
	;; [unrolled: 1-line block ×3, first 2 shown]
	flat_load_dword v9, v[4:5]
	flat_load_dword v10, v[4:5] offset:1024
	flat_load_dword v11, v[4:5] offset:2048
	;; [unrolled: 1-line block ×3, first 2 shown]
	v_add_co_u32_e32 v4, vcc, 0x2000, v2
	v_addc_co_u32_e32 v5, vcc, 0, v3, vcc
	v_add_co_u32_e32 v2, vcc, 0x3000, v2
	v_addc_co_u32_e32 v3, vcc, 0, v3, vcc
	flat_load_dword v13, v[4:5]
	flat_load_dword v18, v[4:5] offset:1024
	flat_load_dword v19, v[4:5] offset:2048
	;; [unrolled: 1-line block ×3, first 2 shown]
	flat_load_dword v21, v[2:3]
	s_waitcnt vmcnt(0)
	flat_load_dword v24, v[2:3] offset:1024
	v_add_co_u32_e32 v2, vcc, 0x3000, v14
	v_addc_co_u32_e32 v3, vcc, 0, v15, vcc
	s_movk_i32 s4, 0xffcc
	s_movk_i32 s8, 0x1000
	;; [unrolled: 1-line block ×4, first 2 shown]
	s_waitcnt lgkmcnt(0)
	ds_write2st64_b32 v51, v1, v6 offset1:4
	ds_write2st64_b32 v51, v7, v8 offset0:8 offset1:12
	ds_write2st64_b32 v51, v9, v10 offset0:16 offset1:20
	;; [unrolled: 1-line block ×5, first 2 shown]
	s_waitcnt vmcnt(0)
	ds_write2st64_b32 v51, v21, v24 offset0:48 offset1:52
	s_waitcnt lgkmcnt(0)
	s_barrier
	flat_load_dword v52, v[2:3] offset:2048
	v_mad_u32_u24 v1, v0, 52, v51
	ds_read2_b64 v[10:13], v1 offset1:1
	ds_read2_b64 v[6:9], v1 offset0:2 offset1:3
	ds_read2_b64 v[2:5], v1 offset0:4 offset1:5
	ds_read_b64 v[14:15], v1 offset:48
	v_mad_i32_i24 v18, v0, s4, v1
	s_movk_i32 s4, 0xff
	v_cmp_ne_u32_e32 vcc, s4, v0
	s_waitcnt lgkmcnt(0)
	ds_write_b32 v18, v10 offset:15360
	s_waitcnt lgkmcnt(0)
	s_barrier
	s_and_saveexec_b64 s[4:5], vcc
	s_cbranch_execz .LBB1710_83
; %bb.82:
	s_waitcnt vmcnt(0)
	ds_read_b32 v52, v51 offset:15364
.LBB1710_83:
	s_or_b64 exec, exec, s[4:5]
	v_add_co_u32_e32 v18, vcc, v22, v51
	v_addc_co_u32_e32 v19, vcc, 0, v23, vcc
	v_add_co_u32_e32 v20, vcc, s8, v18
	v_addc_co_u32_e32 v21, vcc, 0, v19, vcc
	s_waitcnt lgkmcnt(0)
	s_barrier
	flat_load_dword v22, v[18:19]
	flat_load_dword v23, v[18:19] offset:1024
	flat_load_dword v24, v[18:19] offset:2048
	;; [unrolled: 1-line block ×3, first 2 shown]
	flat_load_dword v26, v[20:21]
	flat_load_dword v27, v[20:21] offset:1024
	flat_load_dword v28, v[20:21] offset:2048
	;; [unrolled: 1-line block ×3, first 2 shown]
	v_add_co_u32_e32 v20, vcc, s7, v18
	v_addc_co_u32_e32 v21, vcc, 0, v19, vcc
	v_add_co_u32_e32 v18, vcc, s6, v18
	v_addc_co_u32_e32 v19, vcc, 0, v19, vcc
	flat_load_dword v30, v[20:21]
	flat_load_dword v31, v[20:21] offset:1024
	flat_load_dword v32, v[20:21] offset:2048
	;; [unrolled: 1-line block ×3, first 2 shown]
	flat_load_dword v34, v[18:19]
	flat_load_dword v35, v[18:19] offset:1024
	v_cmp_ne_u32_e32 vcc, v10, v11
	v_cmp_eq_u32_e64 s[4:5], v10, v11
	s_waitcnt vmcnt(0) lgkmcnt(0)
	v_cvt_f32_u32_e32 v18, v22
	v_cvt_f32_u32_e32 v19, v23
	v_cvt_f32_u32_e32 v20, v24
	v_cvt_f32_u32_e32 v21, v25
	v_cvt_f32_u32_e32 v22, v26
	v_cvt_f32_u32_e32 v23, v27
	v_cvt_f32_u32_e32 v24, v28
	v_cvt_f32_u32_e32 v25, v29
	v_cvt_f32_u32_e32 v26, v30
	v_cvt_f32_u32_e32 v27, v31
	v_cvt_f32_u32_e32 v28, v32
	v_cvt_f32_u32_e32 v29, v33
	v_cvt_f32_u32_e32 v30, v34
	v_cvt_f32_u32_e32 v31, v35
	ds_write2st64_b32 v51, v18, v19 offset1:4
	ds_write2st64_b32 v51, v20, v21 offset0:8 offset1:12
	ds_write2st64_b32 v51, v22, v23 offset0:16 offset1:20
	;; [unrolled: 1-line block ×6, first 2 shown]
	s_waitcnt lgkmcnt(0)
	s_barrier
	ds_read2_b32 v[28:29], v1 offset0:1 offset1:2
	ds_read2_b32 v[26:27], v1 offset0:3 offset1:4
	;; [unrolled: 1-line block ×6, first 2 shown]
	ds_read_b32 v53, v1 offset:52
	v_mov_b32_e32 v30, s54
	s_and_saveexec_b64 s[6:7], s[4:5]
	s_cbranch_execz .LBB1710_85
; %bb.84:
	ds_read_b32 v30, v1
.LBB1710_85:
	s_or_b64 exec, exec, s[6:7]
	v_cmp_ne_u32_e64 s[8:9], v6, v7
	v_cmp_ne_u32_e64 s[14:15], v9, v2
	;; [unrolled: 1-line block ×3, first 2 shown]
	v_mov_b32_e32 v2, s54
	v_cndmask_b32_e64 v1, 0, 1, vcc
	v_cmp_ne_u32_e32 vcc, v11, v12
	v_cmp_ne_u32_e64 s[4:5], v12, v13
	v_cmp_ne_u32_e64 s[6:7], v13, v6
	v_cndmask_b32_e64 v43, 0, 1, s[8:9]
	v_cmp_ne_u32_e64 s[10:11], v7, v8
	v_cmp_ne_u32_e64 s[12:13], v8, v9
	;; [unrolled: 1-line block ×6, first 2 shown]
	s_waitcnt lgkmcnt(5)
	v_cndmask_b32_e64 v27, v27, v2, s[8:9]
	v_cmp_ne_u32_e64 s[8:9], v15, v52
	v_cndmask_b32_e64 v34, 0, 1, vcc
	v_cndmask_b32_e64 v37, 0, 1, s[4:5]
	v_cndmask_b32_e64 v42, 0, 1, s[6:7]
	;; [unrolled: 1-line block ×10, first 2 shown]
	v_cndmask_b32_e32 v28, v28, v2, vcc
	v_cndmask_b32_e64 v29, v29, v2, s[4:5]
	v_cndmask_b32_e64 v31, v26, v2, s[6:7]
	s_waitcnt lgkmcnt(4)
	v_cndmask_b32_e64 v32, v24, v2, s[10:11]
	v_cndmask_b32_e64 v33, v25, v2, s[12:13]
	s_waitcnt lgkmcnt(3)
	;; [unrolled: 3-line block ×5, first 2 shown]
	v_cndmask_b32_e64 v20, v53, v2, s[8:9]
	s_mov_b64 s[10:11], -1
                                        ; implicit-def: $sgpr6
                                        ; implicit-def: $sgpr48
.LBB1710_86:
	v_mov_b32_e32 v14, s48
	v_mov_b32_e32 v15, s6
	s_and_saveexec_b64 s[4:5], s[10:11]
; %bb.87:
	v_cndmask_b32_e64 v14, 0, 1, s[8:9]
	v_mov_b32_e32 v15, v20
; %bb.88:
	s_or_b64 exec, exec, s[4:5]
	v_or_b32_e32 v2, v14, v40
	s_cmp_lg_u32 s47, 0
	v_add_f32_e32 v54, v28, v30
	v_or_b32_e32 v53, v2, v50
	v_mbcnt_lo_u32_b32 v52, -1, 0
	s_barrier
	s_cbranch_scc0 .LBB1710_163
; %bb.89:
	v_mov_b32_e32 v2, 0
	v_cmp_eq_u16_sdwa s[4:5], v34, v2 src0_sel:BYTE_0 src1_sel:DWORD
	v_cndmask_b32_e64 v3, v28, v54, s[4:5]
	v_add_f32_e32 v3, v29, v3
	v_cmp_eq_u16_sdwa s[6:7], v37, v2 src0_sel:BYTE_0 src1_sel:DWORD
	v_cndmask_b32_e64 v3, v29, v3, s[6:7]
	v_add_f32_e32 v3, v31, v3
	;; [unrolled: 3-line block ×7, first 2 shown]
	v_cmp_eq_u16_sdwa s[18:19], v47, v2 src0_sel:BYTE_0 src1_sel:DWORD
	v_cmp_eq_u16_sdwa s[20:21], v48, v2 src0_sel:BYTE_0 src1_sel:DWORD
	;; [unrolled: 1-line block ×5, first 2 shown]
	v_cmp_eq_u16_sdwa vcc, v14, v2 src0_sel:BYTE_0 src1_sel:DWORD
	v_or_b32_e32 v2, v53, v49
	v_cndmask_b32_e64 v3, v36, v3, s[18:19]
	v_or_b32_e32 v2, v2, v48
	v_add_f32_e32 v3, v38, v3
	v_or_b32_e32 v2, v2, v47
	v_cndmask_b32_e64 v3, v38, v3, s[20:21]
	v_or_b32_e32 v2, v2, v46
	v_add_f32_e32 v3, v39, v3
	;; [unrolled: 4-line block ×5, first 2 shown]
	v_and_b32_e32 v2, 1, v2
	v_and_b32_e32 v5, 0xff, v1
	v_cndmask_b32_e32 v4, v15, v3, vcc
	v_cmp_eq_u32_e32 vcc, 1, v2
	v_mbcnt_hi_u32_b32 v11, -1, v52
	v_cndmask_b32_e64 v5, v5, 1, vcc
	v_and_b32_e32 v2, 15, v11
	v_mov_b32_dpp v6, v4 row_shr:1 row_mask:0xf bank_mask:0xf
	v_mov_b32_dpp v3, v5 row_shr:1 row_mask:0xf bank_mask:0xf
	v_cmp_ne_u32_e32 vcc, 0, v2
	s_and_saveexec_b64 s[28:29], vcc
; %bb.90:
	v_add_f32_e32 v6, v4, v6
	v_cmp_eq_u32_e32 vcc, 0, v5
	v_and_b32_e32 v5, 1, v5
	v_cndmask_b32_e32 v4, v4, v6, vcc
	v_and_b32_e32 v3, 1, v3
	v_cmp_eq_u32_e32 vcc, 1, v5
	v_cndmask_b32_e64 v5, v3, 1, vcc
; %bb.91:
	s_or_b64 exec, exec, s[28:29]
	v_mov_b32_dpp v6, v4 row_shr:2 row_mask:0xf bank_mask:0xf
	v_mov_b32_dpp v3, v5 row_shr:2 row_mask:0xf bank_mask:0xf
	v_cmp_lt_u32_e32 vcc, 1, v2
	s_and_saveexec_b64 s[28:29], vcc
; %bb.92:
	v_add_f32_e32 v6, v4, v6
	v_cmp_eq_u32_e32 vcc, 0, v5
	v_and_b32_e32 v5, 1, v5
	v_cndmask_b32_e32 v4, v4, v6, vcc
	v_and_b32_e32 v3, 1, v3
	v_cmp_eq_u32_e32 vcc, 1, v5
	v_cndmask_b32_e64 v5, v3, 1, vcc
; %bb.93:
	s_or_b64 exec, exec, s[28:29]
	v_mov_b32_dpp v6, v4 row_shr:4 row_mask:0xf bank_mask:0xf
	v_mov_b32_dpp v3, v5 row_shr:4 row_mask:0xf bank_mask:0xf
	v_cmp_lt_u32_e32 vcc, 3, v2
	;; [unrolled: 14-line block ×3, first 2 shown]
	s_and_saveexec_b64 s[28:29], vcc
; %bb.96:
	v_add_f32_e32 v2, v4, v6
	v_cmp_eq_u32_e32 vcc, 0, v5
	v_cndmask_b32_e32 v4, v4, v2, vcc
	v_and_b32_e32 v2, 1, v5
	v_and_b32_e32 v3, 1, v3
	v_cmp_eq_u32_e32 vcc, 1, v2
	v_cndmask_b32_e64 v5, v3, 1, vcc
; %bb.97:
	s_or_b64 exec, exec, s[28:29]
	v_and_b32_e32 v6, 16, v11
	v_mov_b32_dpp v3, v4 row_bcast:15 row_mask:0xf bank_mask:0xf
	v_mov_b32_dpp v2, v5 row_bcast:15 row_mask:0xf bank_mask:0xf
	v_cmp_ne_u32_e32 vcc, 0, v6
	s_and_saveexec_b64 s[28:29], vcc
; %bb.98:
	v_add_f32_e32 v3, v4, v3
	v_cmp_eq_u32_e32 vcc, 0, v5
	v_cndmask_b32_e32 v4, v4, v3, vcc
	v_and_b32_e32 v3, 1, v5
	v_and_b32_e32 v2, 1, v2
	v_cmp_eq_u32_e32 vcc, 1, v3
	v_cndmask_b32_e64 v5, v2, 1, vcc
; %bb.99:
	s_or_b64 exec, exec, s[28:29]
	v_mov_b32_dpp v3, v4 row_bcast:31 row_mask:0xf bank_mask:0xf
	v_mov_b32_dpp v2, v5 row_bcast:31 row_mask:0xf bank_mask:0xf
	v_cmp_lt_u32_e32 vcc, 31, v11
	s_and_saveexec_b64 s[28:29], vcc
; %bb.100:
	v_add_f32_e32 v3, v4, v3
	v_cmp_eq_u32_e32 vcc, 0, v5
	v_cndmask_b32_e32 v4, v4, v3, vcc
	v_and_b32_e32 v3, 1, v5
	v_and_b32_e32 v2, 1, v2
	v_cmp_eq_u32_e32 vcc, 1, v3
	v_cndmask_b32_e64 v5, v2, 1, vcc
; %bb.101:
	s_or_b64 exec, exec, s[28:29]
	v_or_b32_e32 v2, 63, v0
	v_lshrrev_b32_e32 v6, 6, v0
	v_cmp_eq_u32_e32 vcc, v2, v0
	s_and_saveexec_b64 s[28:29], vcc
	s_cbranch_execz .LBB1710_103
; %bb.102:
	v_lshlrev_b32_e32 v2, 3, v6
	ds_write_b32 v2, v4
	ds_write_b8 v2, v5 offset:4
.LBB1710_103:
	s_or_b64 exec, exec, s[28:29]
	v_cmp_gt_u32_e32 vcc, 4, v0
	s_waitcnt lgkmcnt(0)
	s_barrier
	s_and_saveexec_b64 s[28:29], vcc
	s_cbranch_execz .LBB1710_107
; %bb.104:
	v_lshlrev_b32_e32 v7, 3, v0
	ds_read_b64 v[2:3], v7
	v_and_b32_e32 v8, 3, v11
	v_cmp_ne_u32_e32 vcc, 0, v8
	s_waitcnt lgkmcnt(0)
	v_mov_b32_dpp v12, v2 row_shr:1 row_mask:0xf bank_mask:0xf
	v_mov_b32_dpp v10, v3 row_shr:1 row_mask:0xf bank_mask:0xf
	v_mov_b32_e32 v9, v3
	s_and_saveexec_b64 s[30:31], vcc
; %bb.105:
	v_mov_b32_e32 v9, 0
	v_add_f32_e32 v12, v2, v12
	v_cmp_eq_u16_sdwa vcc, v3, v9 src0_sel:BYTE_0 src1_sel:DWORD
	v_and_b32_e32 v9, 1, v3
	v_cndmask_b32_e32 v2, v2, v12, vcc
	v_and_b32_e32 v10, 1, v10
	v_cmp_eq_u32_e32 vcc, 1, v9
	v_cndmask_b32_e64 v9, v10, 1, vcc
	s_movk_i32 s36, 0xff00
	v_and_or_b32 v3, v3, s36, v9
; %bb.106:
	s_or_b64 exec, exec, s[30:31]
	v_mov_b32_e32 v13, 0
	v_mov_b32_dpp v12, v3 row_shr:2 row_mask:0xf bank_mask:0xf
	v_cmp_eq_u16_sdwa s[30:31], v9, v13 src0_sel:BYTE_0 src1_sel:DWORD
	v_and_b32_e32 v9, 1, v9
	v_and_b32_e32 v12, 1, v12
	v_cmp_eq_u32_e32 vcc, 1, v9
	v_mov_b32_dpp v10, v2 row_shr:2 row_mask:0xf bank_mask:0xf
	v_cndmask_b32_e64 v9, v12, 1, vcc
	v_cmp_lt_u32_e32 vcc, 1, v8
	v_add_f32_e32 v10, v2, v10
	v_cndmask_b32_e32 v3, v3, v9, vcc
	s_and_b64 vcc, vcc, s[30:31]
	v_cndmask_b32_e32 v2, v2, v10, vcc
	ds_write_b32 v7, v2
	ds_write_b8 v7, v3 offset:4
.LBB1710_107:
	s_or_b64 exec, exec, s[28:29]
	v_cmp_gt_u32_e32 vcc, 64, v0
	v_cmp_lt_u32_e64 s[28:29], 63, v0
	v_mov_b32_e32 v18, 0
	v_mov_b32_e32 v19, 0
	s_waitcnt lgkmcnt(0)
	s_barrier
	s_and_saveexec_b64 s[30:31], s[28:29]
	s_cbranch_execz .LBB1710_109
; %bb.108:
	v_lshl_add_u32 v2, v6, 3, -8
	ds_read_b32 v18, v2
	ds_read_u8 v19, v2 offset:4
	v_and_b32_e32 v2, 1, v5
	v_cmp_eq_u32_e64 s[28:29], 0, v5
	s_waitcnt lgkmcnt(0)
	v_add_f32_e32 v3, v4, v18
	v_and_b32_e32 v6, 1, v19
	v_cndmask_b32_e64 v4, v4, v3, s[28:29]
	v_cmp_eq_u32_e64 s[28:29], 1, v2
	v_cndmask_b32_e64 v5, v6, 1, s[28:29]
.LBB1710_109:
	s_or_b64 exec, exec, s[30:31]
	v_add_u32_e32 v2, -1, v11
	v_and_b32_e32 v3, 64, v11
	v_cmp_lt_i32_e64 s[28:29], v2, v3
	v_cndmask_b32_e64 v2, v2, v11, s[28:29]
	v_lshlrev_b32_e32 v2, 2, v2
	ds_bpermute_b32 v20, v2, v4
	ds_bpermute_b32 v21, v2, v5
	v_cmp_eq_u32_e64 s[28:29], 0, v11
	s_and_saveexec_b64 s[30:31], vcc
	s_cbranch_execz .LBB1710_150
; %bb.110:
	v_mov_b32_e32 v5, 0
	ds_read_b64 v[2:3], v5 offset:24
	s_waitcnt lgkmcnt(0)
	v_readfirstlane_b32 s40, v3
	s_and_saveexec_b64 s[36:37], s[28:29]
	s_cbranch_execz .LBB1710_112
; %bb.111:
	s_add_i32 s38, s47, 64
	s_mov_b32 s39, 0
	s_lshl_b64 s[48:49], s[38:39], 4
	s_add_u32 s48, s44, s48
	s_addc_u32 s49, s45, s49
	s_and_b32 s57, s40, 0xff000000
	s_mov_b32 s56, s39
	s_and_b32 s59, s40, 0xff0000
	s_mov_b32 s58, s39
	s_or_b64 s[56:57], s[58:59], s[56:57]
	s_and_b32 s59, s40, 0xff00
	s_or_b64 s[56:57], s[56:57], s[58:59]
	s_and_b32 s59, s40, 0xff
	s_or_b64 s[38:39], s[56:57], s[58:59]
	v_mov_b32_e32 v3, s39
	v_mov_b32_e32 v4, 1
	v_pk_mov_b32 v[6:7], s[48:49], s[48:49] op_sel:[0,1]
	;;#ASMSTART
	global_store_dwordx4 v[6:7], v[2:5] off	
s_waitcnt vmcnt(0)
	;;#ASMEND
.LBB1710_112:
	s_or_b64 exec, exec, s[36:37]
	v_xad_u32 v10, v11, -1, s47
	v_add_u32_e32 v4, 64, v10
	v_lshlrev_b64 v[6:7], 4, v[4:5]
	v_mov_b32_e32 v3, s45
	v_add_co_u32_e32 v12, vcc, s44, v6
	v_addc_co_u32_e32 v13, vcc, v3, v7, vcc
	;;#ASMSTART
	global_load_dwordx4 v[6:9], v[12:13] off glc	
s_waitcnt vmcnt(0)
	;;#ASMEND
	v_cmp_eq_u16_sdwa s[38:39], v8, v5 src0_sel:BYTE_0 src1_sel:DWORD
	s_and_saveexec_b64 s[36:37], s[38:39]
	s_cbranch_execz .LBB1710_116
; %bb.113:
	s_mov_b64 s[38:39], 0
	v_mov_b32_e32 v3, 0
.LBB1710_114:                           ; =>This Inner Loop Header: Depth=1
	;;#ASMSTART
	global_load_dwordx4 v[6:9], v[12:13] off glc	
s_waitcnt vmcnt(0)
	;;#ASMEND
	v_cmp_ne_u16_sdwa s[48:49], v8, v3 src0_sel:BYTE_0 src1_sel:DWORD
	s_or_b64 s[38:39], s[48:49], s[38:39]
	s_andn2_b64 exec, exec, s[38:39]
	s_cbranch_execnz .LBB1710_114
; %bb.115:
	s_or_b64 exec, exec, s[38:39]
.LBB1710_116:
	s_or_b64 exec, exec, s[36:37]
	v_mov_b32_e32 v3, 2
	v_cmp_eq_u16_sdwa s[36:37], v8, v3 src0_sel:BYTE_0 src1_sel:DWORD
	v_lshlrev_b64 v[4:5], v11, -1
	v_and_b32_e32 v3, s37, v5
	v_or_b32_e32 v3, 0x80000000, v3
	s_waitcnt vmcnt(0)
	v_ffbl_b32_e32 v24, v3
	v_and_b32_e32 v3, 63, v11
	v_cmp_ne_u32_e32 vcc, 63, v3
	v_addc_co_u32_e32 v13, vcc, 0, v11, vcc
	v_and_b32_e32 v12, 0xff, v7
	v_lshlrev_b32_e32 v22, 2, v13
	ds_bpermute_b32 v23, v22, v6
	ds_bpermute_b32 v13, v22, v12
	v_and_b32_e32 v9, s36, v4
	v_add_u32_e32 v24, 32, v24
	v_ffbl_b32_e32 v9, v9
	v_min_u32_e32 v9, v9, v24
	v_cmp_lt_u32_e32 vcc, v3, v9
	s_and_saveexec_b64 s[36:37], vcc
	s_cbranch_execz .LBB1710_118
; %bb.117:
	v_mov_b32_e32 v12, 0
	s_waitcnt lgkmcnt(1)
	v_add_f32_e32 v23, v6, v23
	v_cmp_eq_u16_sdwa vcc, v7, v12 src0_sel:BYTE_0 src1_sel:DWORD
	v_and_b32_e32 v7, 1, v7
	v_cndmask_b32_e32 v6, v6, v23, vcc
	s_waitcnt lgkmcnt(0)
	v_and_b32_e32 v12, 1, v13
	v_cmp_eq_u32_e32 vcc, 1, v7
	v_cndmask_b32_e64 v7, v12, 1, vcc
	v_and_b32_e32 v12, 0xffff, v7
.LBB1710_118:
	s_or_b64 exec, exec, s[36:37]
	v_cmp_gt_u32_e32 vcc, 62, v3
	s_waitcnt lgkmcnt(0)
	v_cndmask_b32_e64 v13, 0, 1, vcc
	v_lshlrev_b32_e32 v13, 1, v13
	v_add_lshl_u32 v23, v13, v11, 2
	ds_bpermute_b32 v25, v23, v6
	ds_bpermute_b32 v13, v23, v12
	v_add_u32_e32 v24, 2, v3
	v_cmp_le_u32_e32 vcc, v24, v9
	s_and_saveexec_b64 s[36:37], vcc
	s_cbranch_execz .LBB1710_120
; %bb.119:
	v_mov_b32_e32 v12, 0
	s_waitcnt lgkmcnt(1)
	v_add_f32_e32 v25, v6, v25
	v_cmp_eq_u16_sdwa vcc, v7, v12 src0_sel:BYTE_0 src1_sel:DWORD
	v_and_b32_e32 v7, 1, v7
	v_cndmask_b32_e32 v6, v6, v25, vcc
	s_waitcnt lgkmcnt(0)
	v_and_b32_e32 v12, 1, v13
	v_cmp_eq_u32_e32 vcc, 1, v7
	v_cndmask_b32_e64 v7, v12, 1, vcc
	v_and_b32_e32 v12, 0xffff, v7
.LBB1710_120:
	s_or_b64 exec, exec, s[36:37]
	v_cmp_gt_u32_e32 vcc, 60, v3
	s_waitcnt lgkmcnt(0)
	v_cndmask_b32_e64 v13, 0, 1, vcc
	v_lshlrev_b32_e32 v13, 2, v13
	v_add_lshl_u32 v25, v13, v11, 2
	ds_bpermute_b32 v56, v25, v6
	ds_bpermute_b32 v13, v25, v12
	v_add_u32_e32 v55, 4, v3
	v_cmp_le_u32_e32 vcc, v55, v9
	;; [unrolled: 25-line block ×5, first 2 shown]
	s_and_saveexec_b64 s[36:37], vcc
	s_cbranch_execz .LBB1710_128
; %bb.127:
	v_mov_b32_e32 v9, 0
	s_waitcnt lgkmcnt(1)
	v_add_f32_e32 v12, v6, v13
	v_cmp_eq_u16_sdwa vcc, v7, v9 src0_sel:BYTE_0 src1_sel:DWORD
	v_and_b32_e32 v7, 1, v7
	v_cndmask_b32_e32 v6, v6, v12, vcc
	s_waitcnt lgkmcnt(0)
	v_and_b32_e32 v9, 1, v11
	v_cmp_eq_u32_e32 vcc, 1, v7
	v_cndmask_b32_e64 v7, v9, 1, vcc
.LBB1710_128:
	s_or_b64 exec, exec, s[36:37]
	s_waitcnt lgkmcnt(0)
	v_mov_b32_e32 v11, 0
	v_mov_b32_e32 v64, 2
	s_branch .LBB1710_130
.LBB1710_129:                           ;   in Loop: Header=BB1710_130 Depth=1
	s_or_b64 exec, exec, s[36:37]
	s_waitcnt lgkmcnt(0)
	ds_bpermute_b32 v13, v61, v6
	ds_bpermute_b32 v12, v61, v12
	v_and_b32_e32 v65, 1, v7
	v_cmp_eq_u16_sdwa vcc, v7, v11 src0_sel:BYTE_0 src1_sel:DWORD
	v_subrev_u32_e32 v10, 64, v10
	s_waitcnt lgkmcnt(1)
	v_add_f32_e32 v13, v6, v13
	v_cndmask_b32_e32 v13, v6, v13, vcc
	v_cmp_eq_u32_e32 vcc, 1, v65
	s_waitcnt lgkmcnt(0)
	v_cndmask_b32_e64 v12, v12, 1, vcc
	v_cmp_gt_u32_e32 vcc, v63, v9
	v_cndmask_b32_e32 v6, v13, v6, vcc
	v_cndmask_b32_e32 v7, v12, v7, vcc
	v_add_f32_e32 v6, v62, v6
	v_cmp_eq_u16_sdwa vcc, v60, v11 src0_sel:BYTE_0 src1_sel:DWORD
	v_and_b32_e32 v9, 1, v60
	v_cndmask_b32_e32 v6, v62, v6, vcc
	v_and_b32_e32 v7, 1, v7
	v_cmp_eq_u32_e32 vcc, 1, v9
	v_cndmask_b32_e64 v7, v7, 1, vcc
.LBB1710_130:                           ; =>This Loop Header: Depth=1
                                        ;     Child Loop BB1710_133 Depth 2
	v_cmp_ne_u16_sdwa s[36:37], v8, v64 src0_sel:BYTE_0 src1_sel:DWORD
	v_mov_b32_e32 v60, v7
	v_cndmask_b32_e64 v7, 0, 1, s[36:37]
	;;#ASMSTART
	;;#ASMEND
	v_cmp_ne_u32_e32 vcc, 0, v7
	s_cmp_lg_u64 vcc, exec
	v_mov_b32_e32 v62, v6
	s_cbranch_scc1 .LBB1710_145
; %bb.131:                              ;   in Loop: Header=BB1710_130 Depth=1
	v_lshlrev_b64 v[6:7], 4, v[10:11]
	v_mov_b32_e32 v8, s45
	v_add_co_u32_e32 v12, vcc, s44, v6
	v_addc_co_u32_e32 v13, vcc, v8, v7, vcc
	;;#ASMSTART
	global_load_dwordx4 v[6:9], v[12:13] off glc	
s_waitcnt vmcnt(0)
	;;#ASMEND
	v_cmp_eq_u16_sdwa s[38:39], v8, v11 src0_sel:BYTE_0 src1_sel:DWORD
	s_and_saveexec_b64 s[36:37], s[38:39]
	s_cbranch_execz .LBB1710_135
; %bb.132:                              ;   in Loop: Header=BB1710_130 Depth=1
	s_mov_b64 s[38:39], 0
.LBB1710_133:                           ;   Parent Loop BB1710_130 Depth=1
                                        ; =>  This Inner Loop Header: Depth=2
	;;#ASMSTART
	global_load_dwordx4 v[6:9], v[12:13] off glc	
s_waitcnt vmcnt(0)
	;;#ASMEND
	v_cmp_ne_u16_sdwa s[48:49], v8, v11 src0_sel:BYTE_0 src1_sel:DWORD
	s_or_b64 s[38:39], s[48:49], s[38:39]
	s_andn2_b64 exec, exec, s[38:39]
	s_cbranch_execnz .LBB1710_133
; %bb.134:                              ;   in Loop: Header=BB1710_130 Depth=1
	s_or_b64 exec, exec, s[38:39]
.LBB1710_135:                           ;   in Loop: Header=BB1710_130 Depth=1
	s_or_b64 exec, exec, s[36:37]
	v_cmp_eq_u16_sdwa s[36:37], v8, v64 src0_sel:BYTE_0 src1_sel:DWORD
	v_and_b32_e32 v9, s37, v5
	v_and_b32_e32 v12, 0xff, v7
	v_or_b32_e32 v9, 0x80000000, v9
	ds_bpermute_b32 v65, v22, v6
	ds_bpermute_b32 v13, v22, v12
	v_and_b32_e32 v66, s36, v4
	v_ffbl_b32_e32 v9, v9
	v_add_u32_e32 v9, 32, v9
	v_ffbl_b32_e32 v66, v66
	v_min_u32_e32 v9, v66, v9
	v_cmp_lt_u32_e32 vcc, v3, v9
	s_and_saveexec_b64 s[36:37], vcc
	s_cbranch_execz .LBB1710_137
; %bb.136:                              ;   in Loop: Header=BB1710_130 Depth=1
	s_waitcnt lgkmcnt(1)
	v_add_f32_e32 v12, v6, v65
	v_cmp_eq_u16_sdwa vcc, v7, v11 src0_sel:BYTE_0 src1_sel:DWORD
	v_and_b32_e32 v7, 1, v7
	v_cndmask_b32_e32 v6, v6, v12, vcc
	s_waitcnt lgkmcnt(0)
	v_and_b32_e32 v12, 1, v13
	v_cmp_eq_u32_e32 vcc, 1, v7
	v_cndmask_b32_e64 v7, v12, 1, vcc
	v_and_b32_e32 v12, 0xffff, v7
.LBB1710_137:                           ;   in Loop: Header=BB1710_130 Depth=1
	s_or_b64 exec, exec, s[36:37]
	s_waitcnt lgkmcnt(1)
	ds_bpermute_b32 v65, v23, v6
	s_waitcnt lgkmcnt(1)
	ds_bpermute_b32 v13, v23, v12
	v_cmp_le_u32_e32 vcc, v24, v9
	s_and_saveexec_b64 s[36:37], vcc
	s_cbranch_execz .LBB1710_139
; %bb.138:                              ;   in Loop: Header=BB1710_130 Depth=1
	s_waitcnt lgkmcnt(1)
	v_add_f32_e32 v12, v6, v65
	v_cmp_eq_u16_sdwa vcc, v7, v11 src0_sel:BYTE_0 src1_sel:DWORD
	v_and_b32_e32 v7, 1, v7
	v_cndmask_b32_e32 v6, v6, v12, vcc
	s_waitcnt lgkmcnt(0)
	v_and_b32_e32 v12, 1, v13
	v_cmp_eq_u32_e32 vcc, 1, v7
	v_cndmask_b32_e64 v7, v12, 1, vcc
	v_and_b32_e32 v12, 0xffff, v7
.LBB1710_139:                           ;   in Loop: Header=BB1710_130 Depth=1
	s_or_b64 exec, exec, s[36:37]
	s_waitcnt lgkmcnt(1)
	ds_bpermute_b32 v65, v25, v6
	s_waitcnt lgkmcnt(1)
	ds_bpermute_b32 v13, v25, v12
	v_cmp_le_u32_e32 vcc, v55, v9
	;; [unrolled: 20-line block ×4, first 2 shown]
	s_and_saveexec_b64 s[36:37], vcc
	s_cbranch_execz .LBB1710_129
; %bb.144:                              ;   in Loop: Header=BB1710_130 Depth=1
	s_waitcnt lgkmcnt(1)
	v_add_f32_e32 v12, v6, v65
	v_cmp_eq_u16_sdwa vcc, v7, v11 src0_sel:BYTE_0 src1_sel:DWORD
	v_and_b32_e32 v7, 1, v7
	v_cndmask_b32_e32 v6, v6, v12, vcc
	s_waitcnt lgkmcnt(0)
	v_and_b32_e32 v12, 1, v13
	v_cmp_eq_u32_e32 vcc, 1, v7
	v_cndmask_b32_e64 v7, v12, 1, vcc
	v_and_b32_e32 v12, 0xffff, v7
	s_branch .LBB1710_129
.LBB1710_145:                           ;   in Loop: Header=BB1710_130 Depth=1
                                        ; implicit-def: $vgpr7
	s_cbranch_execz .LBB1710_130
; %bb.146:
	s_and_saveexec_b64 s[36:37], s[28:29]
	s_cbranch_execz .LBB1710_148
; %bb.147:
	s_and_b32 s38, s40, 0xff
	s_cmp_eq_u32 s38, 0
	s_cselect_b64 vcc, -1, 0
	s_bitcmp1_b32 s40, 0
	s_mov_b32 s39, 0
	s_cselect_b64 s[40:41], -1, 0
	s_add_i32 s38, s47, 64
	s_lshl_b64 s[38:39], s[38:39], 4
	v_add_f32_e32 v3, v62, v2
	s_add_u32 s38, s44, s38
	v_cndmask_b32_e32 v2, v2, v3, vcc
	v_and_b32_e32 v3, 1, v60
	s_addc_u32 s39, s45, s39
	v_cndmask_b32_e64 v3, v3, 1, s[40:41]
	v_mov_b32_e32 v4, 2
	v_mov_b32_e32 v5, 0
	v_pk_mov_b32 v[6:7], s[38:39], s[38:39] op_sel:[0,1]
	;;#ASMSTART
	global_store_dwordx4 v[6:7], v[2:5] off	
s_waitcnt vmcnt(0)
	;;#ASMEND
.LBB1710_148:
	s_or_b64 exec, exec, s[36:37]
	s_and_b64 exec, exec, s[0:1]
	s_cbranch_execz .LBB1710_150
; %bb.149:
	v_mov_b32_e32 v2, 0
	ds_write_b32 v2, v62 offset:24
	ds_write_b8 v2, v60 offset:28
.LBB1710_150:
	s_or_b64 exec, exec, s[30:31]
	v_mov_b32_e32 v3, 0
	s_waitcnt lgkmcnt(0)
	s_barrier
	ds_read_b32 v2, v3 offset:24
	v_cndmask_b32_e64 v4, v21, v19, s[28:29]
	v_cndmask_b32_e64 v5, v20, v18, s[28:29]
	v_cmp_eq_u32_sdwa vcc, v4, v3 src0_sel:BYTE_0 src1_sel:DWORD
	s_waitcnt lgkmcnt(0)
	v_add_f32_e32 v6, v5, v2
	v_cndmask_b32_e32 v4, v5, v6, vcc
	v_cndmask_b32_e64 v2, v4, v2, s[0:1]
	v_add_f32_e32 v4, v30, v2
	v_cmp_eq_u16_sdwa vcc, v1, v3 src0_sel:BYTE_0 src1_sel:DWORD
	v_cndmask_b32_e32 v3, v30, v4, vcc
	v_add_f32_e32 v4, v28, v3
	v_cndmask_b32_e64 v18, v28, v4, s[4:5]
	v_add_f32_e32 v4, v29, v18
	v_cndmask_b32_e64 v19, v29, v4, s[6:7]
	;; [unrolled: 2-line block ×10, first 2 shown]
	v_add_f32_e32 v4, v41, v23
	s_waitcnt vmcnt(0)
	v_cndmask_b32_e64 v24, v41, v4, s[24:25]
	v_add_f32_e32 v4, v26, v24
	v_cndmask_b32_e64 v25, v26, v4, s[26:27]
	s_branch .LBB1710_189
.LBB1710_151:
	s_or_b64 exec, exec, s[30:31]
                                        ; implicit-def: $vgpr35
	s_and_saveexec_b64 s[30:31], s[4:5]
	s_cbranch_execz .LBB1710_37
.LBB1710_152:
	v_add_co_u32_e32 v36, vcc, v22, v33
	v_addc_co_u32_e32 v37, vcc, 0, v23, vcc
	flat_load_dword v35, v[36:37] offset:1024
	s_waitcnt vmcnt(0) lgkmcnt(0)
	v_cvt_f32_u32_e32 v35, v35
	s_or_b64 exec, exec, s[30:31]
                                        ; implicit-def: $vgpr36
	s_and_saveexec_b64 s[4:5], s[6:7]
	s_cbranch_execnz .LBB1710_38
.LBB1710_153:
	s_or_b64 exec, exec, s[4:5]
                                        ; implicit-def: $vgpr37
	s_and_saveexec_b64 s[4:5], s[8:9]
	s_cbranch_execz .LBB1710_39
.LBB1710_154:
	v_add_co_u32_e32 v38, vcc, v22, v33
	v_addc_co_u32_e32 v39, vcc, 0, v23, vcc
	flat_load_dword v37, v[38:39] offset:3072
	s_waitcnt vmcnt(0) lgkmcnt(0)
	v_cvt_f32_u32_e32 v37, v37
	s_or_b64 exec, exec, s[4:5]
                                        ; implicit-def: $vgpr38
	s_and_saveexec_b64 s[4:5], s[10:11]
	s_cbranch_execnz .LBB1710_40
.LBB1710_155:
	s_or_b64 exec, exec, s[4:5]
                                        ; implicit-def: $vgpr1
	s_and_saveexec_b64 s[4:5], s[12:13]
	s_cbranch_execz .LBB1710_41
.LBB1710_156:
	v_add_co_u32_e32 v40, vcc, v22, v20
	v_addc_co_u32_e32 v41, vcc, 0, v23, vcc
	flat_load_dword v1, v[40:41]
	s_waitcnt vmcnt(0) lgkmcnt(0)
	v_cvt_f32_u32_e32 v1, v1
	s_or_b64 exec, exec, s[4:5]
                                        ; implicit-def: $vgpr20
	s_and_saveexec_b64 s[4:5], s[14:15]
	s_cbranch_execnz .LBB1710_42
.LBB1710_157:
	s_or_b64 exec, exec, s[4:5]
                                        ; implicit-def: $vgpr21
	s_and_saveexec_b64 s[4:5], s[16:17]
	s_cbranch_execz .LBB1710_43
.LBB1710_158:
	v_add_co_u32_e32 v40, vcc, v22, v26
	v_addc_co_u32_e32 v41, vcc, 0, v23, vcc
	flat_load_dword v21, v[40:41]
	s_waitcnt vmcnt(0) lgkmcnt(0)
	v_cvt_f32_u32_e32 v21, v21
	s_or_b64 exec, exec, s[4:5]
                                        ; implicit-def: $vgpr26
	s_and_saveexec_b64 s[4:5], s[18:19]
	s_cbranch_execnz .LBB1710_44
.LBB1710_159:
	s_or_b64 exec, exec, s[4:5]
                                        ; implicit-def: $vgpr27
	s_and_saveexec_b64 s[4:5], s[20:21]
	s_cbranch_execz .LBB1710_45
.LBB1710_160:
	v_add_co_u32_e32 v40, vcc, v22, v28
	v_addc_co_u32_e32 v41, vcc, 0, v23, vcc
	flat_load_dword v27, v[40:41]
	s_waitcnt vmcnt(0) lgkmcnt(0)
	v_cvt_f32_u32_e32 v27, v27
	s_or_b64 exec, exec, s[4:5]
                                        ; implicit-def: $vgpr28
	s_and_saveexec_b64 s[4:5], s[22:23]
	s_cbranch_execnz .LBB1710_46
.LBB1710_161:
	s_or_b64 exec, exec, s[4:5]
                                        ; implicit-def: $vgpr29
	s_and_saveexec_b64 s[4:5], s[24:25]
	s_cbranch_execz .LBB1710_47
.LBB1710_162:
	v_add_co_u32_e32 v40, vcc, v22, v30
	v_addc_co_u32_e32 v41, vcc, 0, v23, vcc
	flat_load_dword v29, v[40:41]
	s_waitcnt vmcnt(0) lgkmcnt(0)
	v_cvt_f32_u32_e32 v29, v29
	s_or_b64 exec, exec, s[4:5]
                                        ; implicit-def: $vgpr30
	s_and_saveexec_b64 s[4:5], s[26:27]
	s_cbranch_execz .LBB1710_49
	s_branch .LBB1710_48
.LBB1710_163:
                                        ; implicit-def: $vgpr25
                                        ; implicit-def: $vgpr23
                                        ; implicit-def: $vgpr21
                                        ; implicit-def: $vgpr19
                                        ; implicit-def: $vgpr10_vgpr11_vgpr12_vgpr13
                                        ; implicit-def: $vgpr6_vgpr7_vgpr8_vgpr9
                                        ; implicit-def: $vgpr2_vgpr3_vgpr4_vgpr5
	s_cbranch_execz .LBB1710_189
; %bb.164:
	s_cmp_lg_u64 s[52:53], 0
	s_cselect_b32 s5, s51, 0
	s_cselect_b32 s4, s50, 0
	s_cmp_eq_u64 s[4:5], 0
	v_mov_b32_e32 v4, s54
	s_cbranch_scc1 .LBB1710_166
; %bb.165:
	v_mov_b32_e32 v2, 0
	global_load_dword v4, v2, s[4:5]
.LBB1710_166:
	v_mov_b32_e32 v2, 0
	v_cmp_eq_u16_sdwa s[4:5], v34, v2 src0_sel:BYTE_0 src1_sel:DWORD
	v_cndmask_b32_e64 v3, v28, v54, s[4:5]
	v_add_f32_e32 v3, v29, v3
	v_cmp_eq_u16_sdwa s[6:7], v37, v2 src0_sel:BYTE_0 src1_sel:DWORD
	v_cndmask_b32_e64 v3, v29, v3, s[6:7]
	v_add_f32_e32 v3, v31, v3
	;; [unrolled: 3-line block ×7, first 2 shown]
	v_cmp_eq_u16_sdwa s[18:19], v47, v2 src0_sel:BYTE_0 src1_sel:DWORD
	v_cmp_eq_u16_sdwa s[20:21], v48, v2 src0_sel:BYTE_0 src1_sel:DWORD
	v_cmp_eq_u16_sdwa s[22:23], v49, v2 src0_sel:BYTE_0 src1_sel:DWORD
	v_cmp_eq_u16_sdwa s[24:25], v50, v2 src0_sel:BYTE_0 src1_sel:DWORD
	v_cmp_eq_u16_sdwa vcc, v40, v2 src0_sel:BYTE_0 src1_sel:DWORD
	v_cmp_eq_u16_sdwa s[26:27], v14, v2 src0_sel:BYTE_0 src1_sel:DWORD
	v_or_b32_e32 v2, v53, v49
	v_cndmask_b32_e64 v3, v36, v3, s[18:19]
	v_or_b32_e32 v2, v2, v48
	v_add_f32_e32 v3, v38, v3
	v_or_b32_e32 v2, v2, v47
	v_cndmask_b32_e64 v3, v38, v3, s[20:21]
	v_or_b32_e32 v2, v2, v46
	v_add_f32_e32 v3, v39, v3
	;; [unrolled: 4-line block ×4, first 2 shown]
	v_or_b32_e32 v2, v2, v37
	v_cndmask_b32_e32 v3, v26, v3, vcc
	v_or_b32_e32 v2, v2, v34
	v_add_f32_e32 v3, v15, v3
	v_and_b32_e32 v2, 1, v2
	v_and_b32_e32 v6, 0xff, v1
	v_cndmask_b32_e64 v5, v15, v3, s[26:27]
	v_cmp_eq_u32_e64 s[26:27], 1, v2
	v_cndmask_b32_e64 v7, v6, 1, s[26:27]
	v_mbcnt_hi_u32_b32 v6, -1, v52
	v_and_b32_e32 v2, 15, v6
	v_mov_b32_dpp v8, v5 row_shr:1 row_mask:0xf bank_mask:0xf
	v_mov_b32_dpp v3, v7 row_shr:1 row_mask:0xf bank_mask:0xf
	v_cmp_ne_u32_e64 s[26:27], 0, v2
	s_and_saveexec_b64 s[28:29], s[26:27]
; %bb.167:
	v_add_f32_e32 v8, v5, v8
	v_cmp_eq_u32_e64 s[26:27], 0, v7
	v_and_b32_e32 v7, 1, v7
	v_cndmask_b32_e64 v5, v5, v8, s[26:27]
	v_and_b32_e32 v3, 1, v3
	v_cmp_eq_u32_e64 s[26:27], 1, v7
	v_cndmask_b32_e64 v7, v3, 1, s[26:27]
; %bb.168:
	s_or_b64 exec, exec, s[28:29]
	v_mov_b32_dpp v8, v5 row_shr:2 row_mask:0xf bank_mask:0xf
	v_mov_b32_dpp v3, v7 row_shr:2 row_mask:0xf bank_mask:0xf
	v_cmp_lt_u32_e64 s[26:27], 1, v2
	s_and_saveexec_b64 s[28:29], s[26:27]
; %bb.169:
	v_add_f32_e32 v8, v5, v8
	v_cmp_eq_u32_e64 s[26:27], 0, v7
	v_and_b32_e32 v7, 1, v7
	v_cndmask_b32_e64 v5, v5, v8, s[26:27]
	v_and_b32_e32 v3, 1, v3
	v_cmp_eq_u32_e64 s[26:27], 1, v7
	v_cndmask_b32_e64 v7, v3, 1, s[26:27]
; %bb.170:
	s_or_b64 exec, exec, s[28:29]
	v_mov_b32_dpp v8, v5 row_shr:4 row_mask:0xf bank_mask:0xf
	v_mov_b32_dpp v3, v7 row_shr:4 row_mask:0xf bank_mask:0xf
	v_cmp_lt_u32_e64 s[26:27], 3, v2
	;; [unrolled: 14-line block ×3, first 2 shown]
	s_and_saveexec_b64 s[28:29], s[26:27]
; %bb.173:
	v_add_f32_e32 v2, v5, v8
	v_cmp_eq_u32_e64 s[26:27], 0, v7
	v_cndmask_b32_e64 v5, v5, v2, s[26:27]
	v_and_b32_e32 v2, 1, v7
	v_and_b32_e32 v3, 1, v3
	v_cmp_eq_u32_e64 s[26:27], 1, v2
	v_cndmask_b32_e64 v7, v3, 1, s[26:27]
; %bb.174:
	s_or_b64 exec, exec, s[28:29]
	v_and_b32_e32 v8, 16, v6
	v_mov_b32_dpp v3, v5 row_bcast:15 row_mask:0xf bank_mask:0xf
	v_mov_b32_dpp v2, v7 row_bcast:15 row_mask:0xf bank_mask:0xf
	v_cmp_ne_u32_e64 s[26:27], 0, v8
	s_and_saveexec_b64 s[28:29], s[26:27]
; %bb.175:
	v_add_f32_e32 v3, v5, v3
	v_cmp_eq_u32_e64 s[26:27], 0, v7
	v_cndmask_b32_e64 v5, v5, v3, s[26:27]
	v_and_b32_e32 v3, 1, v7
	v_and_b32_e32 v2, 1, v2
	v_cmp_eq_u32_e64 s[26:27], 1, v3
	v_cndmask_b32_e64 v7, v2, 1, s[26:27]
; %bb.176:
	s_or_b64 exec, exec, s[28:29]
	v_mov_b32_dpp v3, v5 row_bcast:31 row_mask:0xf bank_mask:0xf
	v_mov_b32_dpp v2, v7 row_bcast:31 row_mask:0xf bank_mask:0xf
	v_cmp_lt_u32_e64 s[26:27], 31, v6
	s_and_saveexec_b64 s[28:29], s[26:27]
; %bb.177:
	v_add_f32_e32 v3, v5, v3
	v_cmp_eq_u32_e64 s[26:27], 0, v7
	v_cndmask_b32_e64 v5, v5, v3, s[26:27]
	v_and_b32_e32 v3, 1, v7
	v_and_b32_e32 v2, 1, v2
	v_cmp_eq_u32_e64 s[26:27], 1, v3
	v_cndmask_b32_e64 v7, v2, 1, s[26:27]
; %bb.178:
	s_or_b64 exec, exec, s[28:29]
	v_or_b32_e32 v2, 63, v0
	v_lshrrev_b32_e32 v8, 6, v0
	v_cmp_eq_u32_e64 s[26:27], v2, v0
	s_and_saveexec_b64 s[28:29], s[26:27]
	s_cbranch_execz .LBB1710_180
; %bb.179:
	v_lshlrev_b32_e32 v2, 3, v8
	ds_write_b32 v2, v5
	ds_write_b8 v2, v7 offset:4
.LBB1710_180:
	s_or_b64 exec, exec, s[28:29]
	v_cmp_gt_u32_e64 s[26:27], 4, v0
	s_waitcnt lgkmcnt(0)
	s_barrier
	s_and_saveexec_b64 s[28:29], s[26:27]
	s_cbranch_execz .LBB1710_184
; %bb.181:
	v_lshlrev_b32_e32 v9, 3, v0
	ds_read_b64 v[2:3], v9
	v_and_b32_e32 v10, 3, v6
	v_cmp_ne_u32_e64 s[26:27], 0, v10
	s_waitcnt lgkmcnt(0)
	v_mov_b32_dpp v13, v2 row_shr:1 row_mask:0xf bank_mask:0xf
	v_mov_b32_dpp v12, v3 row_shr:1 row_mask:0xf bank_mask:0xf
	v_mov_b32_e32 v11, v3
	s_and_saveexec_b64 s[30:31], s[26:27]
; %bb.182:
	v_mov_b32_e32 v11, 0
	v_add_f32_e32 v13, v2, v13
	v_cmp_eq_u16_sdwa s[26:27], v3, v11 src0_sel:BYTE_0 src1_sel:DWORD
	v_and_b32_e32 v11, 1, v3
	v_cndmask_b32_e64 v2, v2, v13, s[26:27]
	v_and_b32_e32 v12, 1, v12
	v_cmp_eq_u32_e64 s[26:27], 1, v11
	v_cndmask_b32_e64 v11, v12, 1, s[26:27]
	s_movk_i32 s26, 0xff00
	v_and_or_b32 v3, v3, s26, v11
; %bb.183:
	s_or_b64 exec, exec, s[30:31]
	v_mov_b32_e32 v14, 0
	v_mov_b32_dpp v13, v3 row_shr:2 row_mask:0xf bank_mask:0xf
	v_cmp_eq_u16_sdwa s[30:31], v11, v14 src0_sel:BYTE_0 src1_sel:DWORD
	v_and_b32_e32 v11, 1, v11
	v_and_b32_e32 v13, 1, v13
	v_cmp_eq_u32_e64 s[26:27], 1, v11
	v_mov_b32_dpp v12, v2 row_shr:2 row_mask:0xf bank_mask:0xf
	v_cndmask_b32_e64 v11, v13, 1, s[26:27]
	v_cmp_lt_u32_e64 s[26:27], 1, v10
	v_add_f32_e32 v12, v2, v12
	v_cndmask_b32_e64 v3, v3, v11, s[26:27]
	s_and_b64 s[26:27], s[26:27], s[30:31]
	v_cndmask_b32_e64 v2, v2, v12, s[26:27]
	ds_write_b32 v9, v2
	ds_write_b8 v9, v3 offset:4
.LBB1710_184:
	s_or_b64 exec, exec, s[28:29]
	v_cmp_lt_u32_e64 s[26:27], 63, v0
	s_waitcnt vmcnt(0)
	v_mov_b32_e32 v2, v4
	s_waitcnt lgkmcnt(0)
	s_barrier
	s_and_saveexec_b64 s[28:29], s[26:27]
	s_cbranch_execz .LBB1710_186
; %bb.185:
	v_lshl_add_u32 v2, v8, 3, -8
	ds_read_b32 v3, v2
	ds_read_u8 v2, v2 offset:4
	s_waitcnt lgkmcnt(1)
	v_add_f32_e32 v8, v4, v3
	s_waitcnt lgkmcnt(0)
	v_cmp_eq_u16_e64 s[26:27], 0, v2
	v_cndmask_b32_e64 v2, v3, v8, s[26:27]
.LBB1710_186:
	s_or_b64 exec, exec, s[28:29]
	v_add_f32_e32 v3, v5, v2
	v_cmp_eq_u32_e64 s[26:27], 0, v7
	v_cndmask_b32_e64 v3, v5, v3, s[26:27]
	v_add_u32_e32 v5, -1, v6
	v_and_b32_e32 v7, 64, v6
	v_cmp_lt_i32_e64 s[26:27], v5, v7
	v_cndmask_b32_e64 v5, v5, v6, s[26:27]
	v_lshlrev_b32_e32 v5, 2, v5
	ds_bpermute_b32 v3, v5, v3
	v_cmp_eq_u32_e64 s[26:27], 0, v6
	v_mov_b32_e32 v15, 0
	s_waitcnt lgkmcnt(0)
	v_cndmask_b32_e64 v2, v3, v2, s[26:27]
	v_cndmask_b32_e64 v3, v2, v4, s[0:1]
	v_add_f32_e32 v3, v30, v3
	v_cmp_eq_u16_sdwa s[26:27], v1, v15 src0_sel:BYTE_0 src1_sel:DWORD
	v_cndmask_b32_e64 v3, v30, v3, s[26:27]
	v_add_f32_e32 v1, v28, v3
	v_cndmask_b32_e64 v18, v28, v1, s[4:5]
	v_add_f32_e32 v1, v29, v18
	;; [unrolled: 2-line block ×12, first 2 shown]
	s_and_saveexec_b64 s[4:5], s[0:1]
	s_cbranch_execz .LBB1710_188
; %bb.187:
	ds_read_b32 v2, v15 offset:24
	ds_read_u8 v5, v15 offset:28
	s_add_u32 s6, s44, 0x400
	s_addc_u32 s7, s45, 0
	v_mov_b32_e32 v14, 2
	s_waitcnt lgkmcnt(1)
	v_add_f32_e32 v8, v4, v2
	s_waitcnt lgkmcnt(0)
	v_cmp_eq_u16_e64 s[0:1], 0, v5
	v_cndmask_b32_e64 v12, v2, v8, s[0:1]
	v_and_b32_e32 v13, 0xffff, v5
	v_pk_mov_b32 v[8:9], s[6:7], s[6:7] op_sel:[0,1]
	;;#ASMSTART
	global_store_dwordx4 v[8:9], v[12:15] off	
s_waitcnt vmcnt(0)
	;;#ASMEND
	v_mov_b32_e32 v2, v4
.LBB1710_188:
	s_or_b64 exec, exec, s[4:5]
	v_cndmask_b32_e32 v25, v26, v1, vcc
.LBB1710_189:
	s_add_u32 s0, s42, s34
	s_addc_u32 s1, s43, s35
	v_mov_b32_e32 v1, s1
	v_add_co_u32_e32 v32, vcc, s0, v16
	v_addc_co_u32_e32 v33, vcc, v1, v17, vcc
	v_mul_u32_u24_e32 v1, 14, v0
	s_and_b64 vcc, exec, s[2:3]
	v_lshlrev_b32_e32 v4, 2, v1
	s_cbranch_vccz .LBB1710_217
; %bb.190:
	s_movk_i32 s0, 0xffcc
	v_mad_i32_i24 v5, v0, s0, v4
	s_barrier
	ds_write2_b64 v4, v[2:3], v[18:19] offset1:1
	ds_write2_b64 v4, v[6:7], v[20:21] offset0:2 offset1:3
	ds_write2_b64 v4, v[10:11], v[22:23] offset0:4 offset1:5
	s_waitcnt vmcnt(0)
	ds_write_b64 v4, v[24:25] offset:48
	s_waitcnt lgkmcnt(0)
	s_barrier
	ds_read2st64_b32 v[30:31], v5 offset0:4 offset1:8
	ds_read2st64_b32 v[28:29], v5 offset0:12 offset1:16
	;; [unrolled: 1-line block ×6, first 2 shown]
	ds_read_b32 v5, v5 offset:13312
	v_add_co_u32_e32 v12, vcc, v32, v51
	s_add_i32 s33, s33, s46
	v_addc_co_u32_e32 v13, vcc, 0, v33, vcc
	v_mov_b32_e32 v1, 0
	v_cmp_gt_u32_e32 vcc, s33, v0
	s_and_saveexec_b64 s[0:1], vcc
	s_cbranch_execz .LBB1710_192
; %bb.191:
	v_mul_i32_i24_e32 v34, 0xffffffcc, v0
	v_add_u32_e32 v34, v4, v34
	ds_read_b32 v34, v34
	s_waitcnt lgkmcnt(0)
	flat_store_dword v[12:13], v34
.LBB1710_192:
	s_or_b64 exec, exec, s[0:1]
	v_or_b32_e32 v34, 0x100, v0
	v_cmp_gt_u32_e32 vcc, s33, v34
	s_and_saveexec_b64 s[0:1], vcc
	s_cbranch_execz .LBB1710_194
; %bb.193:
	s_waitcnt lgkmcnt(0)
	flat_store_dword v[12:13], v30 offset:1024
.LBB1710_194:
	s_or_b64 exec, exec, s[0:1]
	s_waitcnt lgkmcnt(0)
	v_or_b32_e32 v30, 0x200, v0
	v_cmp_gt_u32_e32 vcc, s33, v30
	s_and_saveexec_b64 s[0:1], vcc
	s_cbranch_execz .LBB1710_196
; %bb.195:
	flat_store_dword v[12:13], v31 offset:2048
.LBB1710_196:
	s_or_b64 exec, exec, s[0:1]
	v_or_b32_e32 v30, 0x300, v0
	v_cmp_gt_u32_e32 vcc, s33, v30
	s_and_saveexec_b64 s[0:1], vcc
	s_cbranch_execz .LBB1710_198
; %bb.197:
	flat_store_dword v[12:13], v28 offset:3072
.LBB1710_198:
	s_or_b64 exec, exec, s[0:1]
	v_or_b32_e32 v28, 0x400, v0
	v_cmp_gt_u32_e32 vcc, s33, v28
	s_and_saveexec_b64 s[0:1], vcc
	s_cbranch_execz .LBB1710_200
; %bb.199:
	v_add_co_u32_e32 v30, vcc, 0x1000, v12
	v_addc_co_u32_e32 v31, vcc, 0, v13, vcc
	flat_store_dword v[30:31], v29
.LBB1710_200:
	s_or_b64 exec, exec, s[0:1]
	v_or_b32_e32 v28, 0x500, v0
	v_cmp_gt_u32_e32 vcc, s33, v28
	s_and_saveexec_b64 s[0:1], vcc
	s_cbranch_execz .LBB1710_202
; %bb.201:
	v_add_co_u32_e32 v28, vcc, 0x1000, v12
	v_addc_co_u32_e32 v29, vcc, 0, v13, vcc
	flat_store_dword v[28:29], v26 offset:1024
.LBB1710_202:
	s_or_b64 exec, exec, s[0:1]
	v_or_b32_e32 v26, 0x600, v0
	v_cmp_gt_u32_e32 vcc, s33, v26
	s_and_saveexec_b64 s[0:1], vcc
	s_cbranch_execz .LBB1710_204
; %bb.203:
	v_add_co_u32_e32 v28, vcc, 0x1000, v12
	v_addc_co_u32_e32 v29, vcc, 0, v13, vcc
	flat_store_dword v[28:29], v27 offset:2048
.LBB1710_204:
	;; [unrolled: 10-line block ×3, first 2 shown]
	s_or_b64 exec, exec, s[0:1]
	v_or_b32_e32 v16, 0x800, v0
	v_cmp_gt_u32_e32 vcc, s33, v16
	s_and_saveexec_b64 s[0:1], vcc
	s_cbranch_execz .LBB1710_208
; %bb.207:
	v_add_co_u32_e32 v26, vcc, 0x2000, v12
	v_addc_co_u32_e32 v27, vcc, 0, v13, vcc
	flat_store_dword v[26:27], v17
.LBB1710_208:
	s_or_b64 exec, exec, s[0:1]
	v_or_b32_e32 v16, 0x900, v0
	v_cmp_gt_u32_e32 vcc, s33, v16
	s_and_saveexec_b64 s[0:1], vcc
	s_cbranch_execz .LBB1710_210
; %bb.209:
	v_add_co_u32_e32 v16, vcc, 0x2000, v12
	v_addc_co_u32_e32 v17, vcc, 0, v13, vcc
	flat_store_dword v[16:17], v14 offset:1024
.LBB1710_210:
	s_or_b64 exec, exec, s[0:1]
	v_or_b32_e32 v14, 0xa00, v0
	v_cmp_gt_u32_e32 vcc, s33, v14
	s_and_saveexec_b64 s[0:1], vcc
	s_cbranch_execz .LBB1710_212
; %bb.211:
	v_add_co_u32_e32 v16, vcc, 0x2000, v12
	v_addc_co_u32_e32 v17, vcc, 0, v13, vcc
	flat_store_dword v[16:17], v15 offset:2048
.LBB1710_212:
	;; [unrolled: 10-line block ×3, first 2 shown]
	s_or_b64 exec, exec, s[0:1]
	v_or_b32_e32 v8, 0xc00, v0
	v_cmp_gt_u32_e32 vcc, s33, v8
	s_and_saveexec_b64 s[0:1], vcc
	s_cbranch_execz .LBB1710_216
; %bb.215:
	v_add_co_u32_e32 v12, vcc, 0x3000, v12
	v_addc_co_u32_e32 v13, vcc, 0, v13, vcc
	flat_store_dword v[12:13], v9
.LBB1710_216:
	s_or_b64 exec, exec, s[0:1]
	v_or_b32_e32 v8, 0xd00, v0
	v_cmp_gt_u32_e64 s[0:1], s33, v8
	s_branch .LBB1710_219
.LBB1710_217:
	s_mov_b64 s[0:1], 0
                                        ; implicit-def: $vgpr5
	s_cbranch_execz .LBB1710_219
; %bb.218:
	s_movk_i32 s2, 0xffcc
	s_waitcnt lgkmcnt(0)
	s_barrier
	ds_write2_b64 v4, v[2:3], v[18:19] offset1:1
	ds_write2_b64 v4, v[6:7], v[20:21] offset0:2 offset1:3
	ds_write2_b64 v4, v[10:11], v[22:23] offset0:4 offset1:5
	s_waitcnt vmcnt(0)
	ds_write_b64 v4, v[24:25] offset:48
	v_mad_i32_i24 v4, v0, s2, v4
	v_add_co_u32_e32 v16, vcc, v32, v51
	s_waitcnt lgkmcnt(0)
	s_barrier
	ds_read2st64_b32 v[2:3], v4 offset1:4
	ds_read2st64_b32 v[6:7], v4 offset0:8 offset1:12
	ds_read2st64_b32 v[8:9], v4 offset0:16 offset1:20
	;; [unrolled: 1-line block ×6, first 2 shown]
	v_addc_co_u32_e32 v17, vcc, 0, v33, vcc
	s_movk_i32 s2, 0x1000
	s_waitcnt lgkmcnt(6)
	flat_store_dword v[16:17], v2
	flat_store_dword v[16:17], v3 offset:1024
	s_waitcnt lgkmcnt(0)
	flat_store_dword v[16:17], v6 offset:2048
	flat_store_dword v[16:17], v7 offset:3072
	v_add_co_u32_e32 v2, vcc, s2, v16
	v_addc_co_u32_e32 v3, vcc, 0, v17, vcc
	flat_store_dword v[2:3], v8
	flat_store_dword v[2:3], v9 offset:1024
	flat_store_dword v[2:3], v10 offset:2048
	;; [unrolled: 1-line block ×3, first 2 shown]
	v_add_co_u32_e32 v2, vcc, 0x2000, v16
	v_addc_co_u32_e32 v3, vcc, 0, v17, vcc
	flat_store_dword v[2:3], v12
	flat_store_dword v[2:3], v13 offset:1024
	flat_store_dword v[2:3], v14 offset:2048
	;; [unrolled: 1-line block ×3, first 2 shown]
	v_add_co_u32_e32 v2, vcc, 0x3000, v16
	v_mov_b32_e32 v1, 0
	v_addc_co_u32_e32 v3, vcc, 0, v17, vcc
	s_or_b64 s[0:1], s[0:1], exec
	flat_store_dword v[2:3], v4
.LBB1710_219:
	s_and_saveexec_b64 s[2:3], s[0:1]
	s_cbranch_execz .LBB1710_221
; %bb.220:
	v_lshlrev_b64 v[0:1], 2, v[0:1]
	v_add_co_u32_e32 v0, vcc, v32, v0
	v_addc_co_u32_e32 v1, vcc, v33, v1, vcc
	v_add_co_u32_e32 v0, vcc, 0x3000, v0
	v_addc_co_u32_e32 v1, vcc, 0, v1, vcc
	flat_store_dword v[0:1], v5 offset:1024
	s_endpgm
.LBB1710_221:
	s_endpgm
	.section	.rodata,"a",@progbits
	.p2align	6, 0x0
	.amdhsa_kernel _ZN7rocprim17ROCPRIM_400000_NS6detail17trampoline_kernelINS0_14default_configENS1_27scan_by_key_config_selectorIifEEZZNS1_16scan_by_key_implILNS1_25lookback_scan_determinismE0ELb1ES3_N6thrust23THRUST_200600_302600_NS6detail15normal_iteratorINS9_10device_ptrIiEEEENSB_INSC_IjEEEENSB_INSC_IfEEEEfNS9_4plusIvEENS9_8equal_toIvEEfEE10hipError_tPvRmT2_T3_T4_T5_mT6_T7_P12ihipStream_tbENKUlT_T0_E_clISt17integral_constantIbLb0EES12_IbLb1EEEEDaSY_SZ_EUlSY_E_NS1_11comp_targetILNS1_3genE4ELNS1_11target_archE910ELNS1_3gpuE8ELNS1_3repE0EEENS1_30default_config_static_selectorELNS0_4arch9wavefront6targetE1EEEvT1_
		.amdhsa_group_segment_fixed_size 16384
		.amdhsa_private_segment_fixed_size 0
		.amdhsa_kernarg_size 112
		.amdhsa_user_sgpr_count 6
		.amdhsa_user_sgpr_private_segment_buffer 1
		.amdhsa_user_sgpr_dispatch_ptr 0
		.amdhsa_user_sgpr_queue_ptr 0
		.amdhsa_user_sgpr_kernarg_segment_ptr 1
		.amdhsa_user_sgpr_dispatch_id 0
		.amdhsa_user_sgpr_flat_scratch_init 0
		.amdhsa_user_sgpr_kernarg_preload_length 0
		.amdhsa_user_sgpr_kernarg_preload_offset 0
		.amdhsa_user_sgpr_private_segment_size 0
		.amdhsa_uses_dynamic_stack 0
		.amdhsa_system_sgpr_private_segment_wavefront_offset 0
		.amdhsa_system_sgpr_workgroup_id_x 1
		.amdhsa_system_sgpr_workgroup_id_y 0
		.amdhsa_system_sgpr_workgroup_id_z 0
		.amdhsa_system_sgpr_workgroup_info 0
		.amdhsa_system_vgpr_workitem_id 0
		.amdhsa_next_free_vgpr 67
		.amdhsa_next_free_sgpr 60
		.amdhsa_accum_offset 68
		.amdhsa_reserve_vcc 1
		.amdhsa_reserve_flat_scratch 0
		.amdhsa_float_round_mode_32 0
		.amdhsa_float_round_mode_16_64 0
		.amdhsa_float_denorm_mode_32 3
		.amdhsa_float_denorm_mode_16_64 3
		.amdhsa_dx10_clamp 1
		.amdhsa_ieee_mode 1
		.amdhsa_fp16_overflow 0
		.amdhsa_tg_split 0
		.amdhsa_exception_fp_ieee_invalid_op 0
		.amdhsa_exception_fp_denorm_src 0
		.amdhsa_exception_fp_ieee_div_zero 0
		.amdhsa_exception_fp_ieee_overflow 0
		.amdhsa_exception_fp_ieee_underflow 0
		.amdhsa_exception_fp_ieee_inexact 0
		.amdhsa_exception_int_div_zero 0
	.end_amdhsa_kernel
	.section	.text._ZN7rocprim17ROCPRIM_400000_NS6detail17trampoline_kernelINS0_14default_configENS1_27scan_by_key_config_selectorIifEEZZNS1_16scan_by_key_implILNS1_25lookback_scan_determinismE0ELb1ES3_N6thrust23THRUST_200600_302600_NS6detail15normal_iteratorINS9_10device_ptrIiEEEENSB_INSC_IjEEEENSB_INSC_IfEEEEfNS9_4plusIvEENS9_8equal_toIvEEfEE10hipError_tPvRmT2_T3_T4_T5_mT6_T7_P12ihipStream_tbENKUlT_T0_E_clISt17integral_constantIbLb0EES12_IbLb1EEEEDaSY_SZ_EUlSY_E_NS1_11comp_targetILNS1_3genE4ELNS1_11target_archE910ELNS1_3gpuE8ELNS1_3repE0EEENS1_30default_config_static_selectorELNS0_4arch9wavefront6targetE1EEEvT1_,"axG",@progbits,_ZN7rocprim17ROCPRIM_400000_NS6detail17trampoline_kernelINS0_14default_configENS1_27scan_by_key_config_selectorIifEEZZNS1_16scan_by_key_implILNS1_25lookback_scan_determinismE0ELb1ES3_N6thrust23THRUST_200600_302600_NS6detail15normal_iteratorINS9_10device_ptrIiEEEENSB_INSC_IjEEEENSB_INSC_IfEEEEfNS9_4plusIvEENS9_8equal_toIvEEfEE10hipError_tPvRmT2_T3_T4_T5_mT6_T7_P12ihipStream_tbENKUlT_T0_E_clISt17integral_constantIbLb0EES12_IbLb1EEEEDaSY_SZ_EUlSY_E_NS1_11comp_targetILNS1_3genE4ELNS1_11target_archE910ELNS1_3gpuE8ELNS1_3repE0EEENS1_30default_config_static_selectorELNS0_4arch9wavefront6targetE1EEEvT1_,comdat
.Lfunc_end1710:
	.size	_ZN7rocprim17ROCPRIM_400000_NS6detail17trampoline_kernelINS0_14default_configENS1_27scan_by_key_config_selectorIifEEZZNS1_16scan_by_key_implILNS1_25lookback_scan_determinismE0ELb1ES3_N6thrust23THRUST_200600_302600_NS6detail15normal_iteratorINS9_10device_ptrIiEEEENSB_INSC_IjEEEENSB_INSC_IfEEEEfNS9_4plusIvEENS9_8equal_toIvEEfEE10hipError_tPvRmT2_T3_T4_T5_mT6_T7_P12ihipStream_tbENKUlT_T0_E_clISt17integral_constantIbLb0EES12_IbLb1EEEEDaSY_SZ_EUlSY_E_NS1_11comp_targetILNS1_3genE4ELNS1_11target_archE910ELNS1_3gpuE8ELNS1_3repE0EEENS1_30default_config_static_selectorELNS0_4arch9wavefront6targetE1EEEvT1_, .Lfunc_end1710-_ZN7rocprim17ROCPRIM_400000_NS6detail17trampoline_kernelINS0_14default_configENS1_27scan_by_key_config_selectorIifEEZZNS1_16scan_by_key_implILNS1_25lookback_scan_determinismE0ELb1ES3_N6thrust23THRUST_200600_302600_NS6detail15normal_iteratorINS9_10device_ptrIiEEEENSB_INSC_IjEEEENSB_INSC_IfEEEEfNS9_4plusIvEENS9_8equal_toIvEEfEE10hipError_tPvRmT2_T3_T4_T5_mT6_T7_P12ihipStream_tbENKUlT_T0_E_clISt17integral_constantIbLb0EES12_IbLb1EEEEDaSY_SZ_EUlSY_E_NS1_11comp_targetILNS1_3genE4ELNS1_11target_archE910ELNS1_3gpuE8ELNS1_3repE0EEENS1_30default_config_static_selectorELNS0_4arch9wavefront6targetE1EEEvT1_
                                        ; -- End function
	.section	.AMDGPU.csdata,"",@progbits
; Kernel info:
; codeLenInByte = 10720
; NumSgprs: 64
; NumVgprs: 67
; NumAgprs: 0
; TotalNumVgprs: 67
; ScratchSize: 0
; MemoryBound: 0
; FloatMode: 240
; IeeeMode: 1
; LDSByteSize: 16384 bytes/workgroup (compile time only)
; SGPRBlocks: 7
; VGPRBlocks: 8
; NumSGPRsForWavesPerEU: 64
; NumVGPRsForWavesPerEU: 67
; AccumOffset: 68
; Occupancy: 4
; WaveLimiterHint : 1
; COMPUTE_PGM_RSRC2:SCRATCH_EN: 0
; COMPUTE_PGM_RSRC2:USER_SGPR: 6
; COMPUTE_PGM_RSRC2:TRAP_HANDLER: 0
; COMPUTE_PGM_RSRC2:TGID_X_EN: 1
; COMPUTE_PGM_RSRC2:TGID_Y_EN: 0
; COMPUTE_PGM_RSRC2:TGID_Z_EN: 0
; COMPUTE_PGM_RSRC2:TIDIG_COMP_CNT: 0
; COMPUTE_PGM_RSRC3_GFX90A:ACCUM_OFFSET: 16
; COMPUTE_PGM_RSRC3_GFX90A:TG_SPLIT: 0
	.section	.text._ZN7rocprim17ROCPRIM_400000_NS6detail17trampoline_kernelINS0_14default_configENS1_27scan_by_key_config_selectorIifEEZZNS1_16scan_by_key_implILNS1_25lookback_scan_determinismE0ELb1ES3_N6thrust23THRUST_200600_302600_NS6detail15normal_iteratorINS9_10device_ptrIiEEEENSB_INSC_IjEEEENSB_INSC_IfEEEEfNS9_4plusIvEENS9_8equal_toIvEEfEE10hipError_tPvRmT2_T3_T4_T5_mT6_T7_P12ihipStream_tbENKUlT_T0_E_clISt17integral_constantIbLb0EES12_IbLb1EEEEDaSY_SZ_EUlSY_E_NS1_11comp_targetILNS1_3genE3ELNS1_11target_archE908ELNS1_3gpuE7ELNS1_3repE0EEENS1_30default_config_static_selectorELNS0_4arch9wavefront6targetE1EEEvT1_,"axG",@progbits,_ZN7rocprim17ROCPRIM_400000_NS6detail17trampoline_kernelINS0_14default_configENS1_27scan_by_key_config_selectorIifEEZZNS1_16scan_by_key_implILNS1_25lookback_scan_determinismE0ELb1ES3_N6thrust23THRUST_200600_302600_NS6detail15normal_iteratorINS9_10device_ptrIiEEEENSB_INSC_IjEEEENSB_INSC_IfEEEEfNS9_4plusIvEENS9_8equal_toIvEEfEE10hipError_tPvRmT2_T3_T4_T5_mT6_T7_P12ihipStream_tbENKUlT_T0_E_clISt17integral_constantIbLb0EES12_IbLb1EEEEDaSY_SZ_EUlSY_E_NS1_11comp_targetILNS1_3genE3ELNS1_11target_archE908ELNS1_3gpuE7ELNS1_3repE0EEENS1_30default_config_static_selectorELNS0_4arch9wavefront6targetE1EEEvT1_,comdat
	.protected	_ZN7rocprim17ROCPRIM_400000_NS6detail17trampoline_kernelINS0_14default_configENS1_27scan_by_key_config_selectorIifEEZZNS1_16scan_by_key_implILNS1_25lookback_scan_determinismE0ELb1ES3_N6thrust23THRUST_200600_302600_NS6detail15normal_iteratorINS9_10device_ptrIiEEEENSB_INSC_IjEEEENSB_INSC_IfEEEEfNS9_4plusIvEENS9_8equal_toIvEEfEE10hipError_tPvRmT2_T3_T4_T5_mT6_T7_P12ihipStream_tbENKUlT_T0_E_clISt17integral_constantIbLb0EES12_IbLb1EEEEDaSY_SZ_EUlSY_E_NS1_11comp_targetILNS1_3genE3ELNS1_11target_archE908ELNS1_3gpuE7ELNS1_3repE0EEENS1_30default_config_static_selectorELNS0_4arch9wavefront6targetE1EEEvT1_ ; -- Begin function _ZN7rocprim17ROCPRIM_400000_NS6detail17trampoline_kernelINS0_14default_configENS1_27scan_by_key_config_selectorIifEEZZNS1_16scan_by_key_implILNS1_25lookback_scan_determinismE0ELb1ES3_N6thrust23THRUST_200600_302600_NS6detail15normal_iteratorINS9_10device_ptrIiEEEENSB_INSC_IjEEEENSB_INSC_IfEEEEfNS9_4plusIvEENS9_8equal_toIvEEfEE10hipError_tPvRmT2_T3_T4_T5_mT6_T7_P12ihipStream_tbENKUlT_T0_E_clISt17integral_constantIbLb0EES12_IbLb1EEEEDaSY_SZ_EUlSY_E_NS1_11comp_targetILNS1_3genE3ELNS1_11target_archE908ELNS1_3gpuE7ELNS1_3repE0EEENS1_30default_config_static_selectorELNS0_4arch9wavefront6targetE1EEEvT1_
	.globl	_ZN7rocprim17ROCPRIM_400000_NS6detail17trampoline_kernelINS0_14default_configENS1_27scan_by_key_config_selectorIifEEZZNS1_16scan_by_key_implILNS1_25lookback_scan_determinismE0ELb1ES3_N6thrust23THRUST_200600_302600_NS6detail15normal_iteratorINS9_10device_ptrIiEEEENSB_INSC_IjEEEENSB_INSC_IfEEEEfNS9_4plusIvEENS9_8equal_toIvEEfEE10hipError_tPvRmT2_T3_T4_T5_mT6_T7_P12ihipStream_tbENKUlT_T0_E_clISt17integral_constantIbLb0EES12_IbLb1EEEEDaSY_SZ_EUlSY_E_NS1_11comp_targetILNS1_3genE3ELNS1_11target_archE908ELNS1_3gpuE7ELNS1_3repE0EEENS1_30default_config_static_selectorELNS0_4arch9wavefront6targetE1EEEvT1_
	.p2align	8
	.type	_ZN7rocprim17ROCPRIM_400000_NS6detail17trampoline_kernelINS0_14default_configENS1_27scan_by_key_config_selectorIifEEZZNS1_16scan_by_key_implILNS1_25lookback_scan_determinismE0ELb1ES3_N6thrust23THRUST_200600_302600_NS6detail15normal_iteratorINS9_10device_ptrIiEEEENSB_INSC_IjEEEENSB_INSC_IfEEEEfNS9_4plusIvEENS9_8equal_toIvEEfEE10hipError_tPvRmT2_T3_T4_T5_mT6_T7_P12ihipStream_tbENKUlT_T0_E_clISt17integral_constantIbLb0EES12_IbLb1EEEEDaSY_SZ_EUlSY_E_NS1_11comp_targetILNS1_3genE3ELNS1_11target_archE908ELNS1_3gpuE7ELNS1_3repE0EEENS1_30default_config_static_selectorELNS0_4arch9wavefront6targetE1EEEvT1_,@function
_ZN7rocprim17ROCPRIM_400000_NS6detail17trampoline_kernelINS0_14default_configENS1_27scan_by_key_config_selectorIifEEZZNS1_16scan_by_key_implILNS1_25lookback_scan_determinismE0ELb1ES3_N6thrust23THRUST_200600_302600_NS6detail15normal_iteratorINS9_10device_ptrIiEEEENSB_INSC_IjEEEENSB_INSC_IfEEEEfNS9_4plusIvEENS9_8equal_toIvEEfEE10hipError_tPvRmT2_T3_T4_T5_mT6_T7_P12ihipStream_tbENKUlT_T0_E_clISt17integral_constantIbLb0EES12_IbLb1EEEEDaSY_SZ_EUlSY_E_NS1_11comp_targetILNS1_3genE3ELNS1_11target_archE908ELNS1_3gpuE7ELNS1_3repE0EEENS1_30default_config_static_selectorELNS0_4arch9wavefront6targetE1EEEvT1_: ; @_ZN7rocprim17ROCPRIM_400000_NS6detail17trampoline_kernelINS0_14default_configENS1_27scan_by_key_config_selectorIifEEZZNS1_16scan_by_key_implILNS1_25lookback_scan_determinismE0ELb1ES3_N6thrust23THRUST_200600_302600_NS6detail15normal_iteratorINS9_10device_ptrIiEEEENSB_INSC_IjEEEENSB_INSC_IfEEEEfNS9_4plusIvEENS9_8equal_toIvEEfEE10hipError_tPvRmT2_T3_T4_T5_mT6_T7_P12ihipStream_tbENKUlT_T0_E_clISt17integral_constantIbLb0EES12_IbLb1EEEEDaSY_SZ_EUlSY_E_NS1_11comp_targetILNS1_3genE3ELNS1_11target_archE908ELNS1_3gpuE7ELNS1_3repE0EEENS1_30default_config_static_selectorELNS0_4arch9wavefront6targetE1EEEvT1_
; %bb.0:
	.section	.rodata,"a",@progbits
	.p2align	6, 0x0
	.amdhsa_kernel _ZN7rocprim17ROCPRIM_400000_NS6detail17trampoline_kernelINS0_14default_configENS1_27scan_by_key_config_selectorIifEEZZNS1_16scan_by_key_implILNS1_25lookback_scan_determinismE0ELb1ES3_N6thrust23THRUST_200600_302600_NS6detail15normal_iteratorINS9_10device_ptrIiEEEENSB_INSC_IjEEEENSB_INSC_IfEEEEfNS9_4plusIvEENS9_8equal_toIvEEfEE10hipError_tPvRmT2_T3_T4_T5_mT6_T7_P12ihipStream_tbENKUlT_T0_E_clISt17integral_constantIbLb0EES12_IbLb1EEEEDaSY_SZ_EUlSY_E_NS1_11comp_targetILNS1_3genE3ELNS1_11target_archE908ELNS1_3gpuE7ELNS1_3repE0EEENS1_30default_config_static_selectorELNS0_4arch9wavefront6targetE1EEEvT1_
		.amdhsa_group_segment_fixed_size 0
		.amdhsa_private_segment_fixed_size 0
		.amdhsa_kernarg_size 112
		.amdhsa_user_sgpr_count 6
		.amdhsa_user_sgpr_private_segment_buffer 1
		.amdhsa_user_sgpr_dispatch_ptr 0
		.amdhsa_user_sgpr_queue_ptr 0
		.amdhsa_user_sgpr_kernarg_segment_ptr 1
		.amdhsa_user_sgpr_dispatch_id 0
		.amdhsa_user_sgpr_flat_scratch_init 0
		.amdhsa_user_sgpr_kernarg_preload_length 0
		.amdhsa_user_sgpr_kernarg_preload_offset 0
		.amdhsa_user_sgpr_private_segment_size 0
		.amdhsa_uses_dynamic_stack 0
		.amdhsa_system_sgpr_private_segment_wavefront_offset 0
		.amdhsa_system_sgpr_workgroup_id_x 1
		.amdhsa_system_sgpr_workgroup_id_y 0
		.amdhsa_system_sgpr_workgroup_id_z 0
		.amdhsa_system_sgpr_workgroup_info 0
		.amdhsa_system_vgpr_workitem_id 0
		.amdhsa_next_free_vgpr 1
		.amdhsa_next_free_sgpr 0
		.amdhsa_accum_offset 4
		.amdhsa_reserve_vcc 0
		.amdhsa_reserve_flat_scratch 0
		.amdhsa_float_round_mode_32 0
		.amdhsa_float_round_mode_16_64 0
		.amdhsa_float_denorm_mode_32 3
		.amdhsa_float_denorm_mode_16_64 3
		.amdhsa_dx10_clamp 1
		.amdhsa_ieee_mode 1
		.amdhsa_fp16_overflow 0
		.amdhsa_tg_split 0
		.amdhsa_exception_fp_ieee_invalid_op 0
		.amdhsa_exception_fp_denorm_src 0
		.amdhsa_exception_fp_ieee_div_zero 0
		.amdhsa_exception_fp_ieee_overflow 0
		.amdhsa_exception_fp_ieee_underflow 0
		.amdhsa_exception_fp_ieee_inexact 0
		.amdhsa_exception_int_div_zero 0
	.end_amdhsa_kernel
	.section	.text._ZN7rocprim17ROCPRIM_400000_NS6detail17trampoline_kernelINS0_14default_configENS1_27scan_by_key_config_selectorIifEEZZNS1_16scan_by_key_implILNS1_25lookback_scan_determinismE0ELb1ES3_N6thrust23THRUST_200600_302600_NS6detail15normal_iteratorINS9_10device_ptrIiEEEENSB_INSC_IjEEEENSB_INSC_IfEEEEfNS9_4plusIvEENS9_8equal_toIvEEfEE10hipError_tPvRmT2_T3_T4_T5_mT6_T7_P12ihipStream_tbENKUlT_T0_E_clISt17integral_constantIbLb0EES12_IbLb1EEEEDaSY_SZ_EUlSY_E_NS1_11comp_targetILNS1_3genE3ELNS1_11target_archE908ELNS1_3gpuE7ELNS1_3repE0EEENS1_30default_config_static_selectorELNS0_4arch9wavefront6targetE1EEEvT1_,"axG",@progbits,_ZN7rocprim17ROCPRIM_400000_NS6detail17trampoline_kernelINS0_14default_configENS1_27scan_by_key_config_selectorIifEEZZNS1_16scan_by_key_implILNS1_25lookback_scan_determinismE0ELb1ES3_N6thrust23THRUST_200600_302600_NS6detail15normal_iteratorINS9_10device_ptrIiEEEENSB_INSC_IjEEEENSB_INSC_IfEEEEfNS9_4plusIvEENS9_8equal_toIvEEfEE10hipError_tPvRmT2_T3_T4_T5_mT6_T7_P12ihipStream_tbENKUlT_T0_E_clISt17integral_constantIbLb0EES12_IbLb1EEEEDaSY_SZ_EUlSY_E_NS1_11comp_targetILNS1_3genE3ELNS1_11target_archE908ELNS1_3gpuE7ELNS1_3repE0EEENS1_30default_config_static_selectorELNS0_4arch9wavefront6targetE1EEEvT1_,comdat
.Lfunc_end1711:
	.size	_ZN7rocprim17ROCPRIM_400000_NS6detail17trampoline_kernelINS0_14default_configENS1_27scan_by_key_config_selectorIifEEZZNS1_16scan_by_key_implILNS1_25lookback_scan_determinismE0ELb1ES3_N6thrust23THRUST_200600_302600_NS6detail15normal_iteratorINS9_10device_ptrIiEEEENSB_INSC_IjEEEENSB_INSC_IfEEEEfNS9_4plusIvEENS9_8equal_toIvEEfEE10hipError_tPvRmT2_T3_T4_T5_mT6_T7_P12ihipStream_tbENKUlT_T0_E_clISt17integral_constantIbLb0EES12_IbLb1EEEEDaSY_SZ_EUlSY_E_NS1_11comp_targetILNS1_3genE3ELNS1_11target_archE908ELNS1_3gpuE7ELNS1_3repE0EEENS1_30default_config_static_selectorELNS0_4arch9wavefront6targetE1EEEvT1_, .Lfunc_end1711-_ZN7rocprim17ROCPRIM_400000_NS6detail17trampoline_kernelINS0_14default_configENS1_27scan_by_key_config_selectorIifEEZZNS1_16scan_by_key_implILNS1_25lookback_scan_determinismE0ELb1ES3_N6thrust23THRUST_200600_302600_NS6detail15normal_iteratorINS9_10device_ptrIiEEEENSB_INSC_IjEEEENSB_INSC_IfEEEEfNS9_4plusIvEENS9_8equal_toIvEEfEE10hipError_tPvRmT2_T3_T4_T5_mT6_T7_P12ihipStream_tbENKUlT_T0_E_clISt17integral_constantIbLb0EES12_IbLb1EEEEDaSY_SZ_EUlSY_E_NS1_11comp_targetILNS1_3genE3ELNS1_11target_archE908ELNS1_3gpuE7ELNS1_3repE0EEENS1_30default_config_static_selectorELNS0_4arch9wavefront6targetE1EEEvT1_
                                        ; -- End function
	.section	.AMDGPU.csdata,"",@progbits
; Kernel info:
; codeLenInByte = 0
; NumSgprs: 4
; NumVgprs: 0
; NumAgprs: 0
; TotalNumVgprs: 0
; ScratchSize: 0
; MemoryBound: 0
; FloatMode: 240
; IeeeMode: 1
; LDSByteSize: 0 bytes/workgroup (compile time only)
; SGPRBlocks: 0
; VGPRBlocks: 0
; NumSGPRsForWavesPerEU: 4
; NumVGPRsForWavesPerEU: 1
; AccumOffset: 4
; Occupancy: 8
; WaveLimiterHint : 0
; COMPUTE_PGM_RSRC2:SCRATCH_EN: 0
; COMPUTE_PGM_RSRC2:USER_SGPR: 6
; COMPUTE_PGM_RSRC2:TRAP_HANDLER: 0
; COMPUTE_PGM_RSRC2:TGID_X_EN: 1
; COMPUTE_PGM_RSRC2:TGID_Y_EN: 0
; COMPUTE_PGM_RSRC2:TGID_Z_EN: 0
; COMPUTE_PGM_RSRC2:TIDIG_COMP_CNT: 0
; COMPUTE_PGM_RSRC3_GFX90A:ACCUM_OFFSET: 0
; COMPUTE_PGM_RSRC3_GFX90A:TG_SPLIT: 0
	.section	.text._ZN7rocprim17ROCPRIM_400000_NS6detail17trampoline_kernelINS0_14default_configENS1_27scan_by_key_config_selectorIifEEZZNS1_16scan_by_key_implILNS1_25lookback_scan_determinismE0ELb1ES3_N6thrust23THRUST_200600_302600_NS6detail15normal_iteratorINS9_10device_ptrIiEEEENSB_INSC_IjEEEENSB_INSC_IfEEEEfNS9_4plusIvEENS9_8equal_toIvEEfEE10hipError_tPvRmT2_T3_T4_T5_mT6_T7_P12ihipStream_tbENKUlT_T0_E_clISt17integral_constantIbLb0EES12_IbLb1EEEEDaSY_SZ_EUlSY_E_NS1_11comp_targetILNS1_3genE2ELNS1_11target_archE906ELNS1_3gpuE6ELNS1_3repE0EEENS1_30default_config_static_selectorELNS0_4arch9wavefront6targetE1EEEvT1_,"axG",@progbits,_ZN7rocprim17ROCPRIM_400000_NS6detail17trampoline_kernelINS0_14default_configENS1_27scan_by_key_config_selectorIifEEZZNS1_16scan_by_key_implILNS1_25lookback_scan_determinismE0ELb1ES3_N6thrust23THRUST_200600_302600_NS6detail15normal_iteratorINS9_10device_ptrIiEEEENSB_INSC_IjEEEENSB_INSC_IfEEEEfNS9_4plusIvEENS9_8equal_toIvEEfEE10hipError_tPvRmT2_T3_T4_T5_mT6_T7_P12ihipStream_tbENKUlT_T0_E_clISt17integral_constantIbLb0EES12_IbLb1EEEEDaSY_SZ_EUlSY_E_NS1_11comp_targetILNS1_3genE2ELNS1_11target_archE906ELNS1_3gpuE6ELNS1_3repE0EEENS1_30default_config_static_selectorELNS0_4arch9wavefront6targetE1EEEvT1_,comdat
	.protected	_ZN7rocprim17ROCPRIM_400000_NS6detail17trampoline_kernelINS0_14default_configENS1_27scan_by_key_config_selectorIifEEZZNS1_16scan_by_key_implILNS1_25lookback_scan_determinismE0ELb1ES3_N6thrust23THRUST_200600_302600_NS6detail15normal_iteratorINS9_10device_ptrIiEEEENSB_INSC_IjEEEENSB_INSC_IfEEEEfNS9_4plusIvEENS9_8equal_toIvEEfEE10hipError_tPvRmT2_T3_T4_T5_mT6_T7_P12ihipStream_tbENKUlT_T0_E_clISt17integral_constantIbLb0EES12_IbLb1EEEEDaSY_SZ_EUlSY_E_NS1_11comp_targetILNS1_3genE2ELNS1_11target_archE906ELNS1_3gpuE6ELNS1_3repE0EEENS1_30default_config_static_selectorELNS0_4arch9wavefront6targetE1EEEvT1_ ; -- Begin function _ZN7rocprim17ROCPRIM_400000_NS6detail17trampoline_kernelINS0_14default_configENS1_27scan_by_key_config_selectorIifEEZZNS1_16scan_by_key_implILNS1_25lookback_scan_determinismE0ELb1ES3_N6thrust23THRUST_200600_302600_NS6detail15normal_iteratorINS9_10device_ptrIiEEEENSB_INSC_IjEEEENSB_INSC_IfEEEEfNS9_4plusIvEENS9_8equal_toIvEEfEE10hipError_tPvRmT2_T3_T4_T5_mT6_T7_P12ihipStream_tbENKUlT_T0_E_clISt17integral_constantIbLb0EES12_IbLb1EEEEDaSY_SZ_EUlSY_E_NS1_11comp_targetILNS1_3genE2ELNS1_11target_archE906ELNS1_3gpuE6ELNS1_3repE0EEENS1_30default_config_static_selectorELNS0_4arch9wavefront6targetE1EEEvT1_
	.globl	_ZN7rocprim17ROCPRIM_400000_NS6detail17trampoline_kernelINS0_14default_configENS1_27scan_by_key_config_selectorIifEEZZNS1_16scan_by_key_implILNS1_25lookback_scan_determinismE0ELb1ES3_N6thrust23THRUST_200600_302600_NS6detail15normal_iteratorINS9_10device_ptrIiEEEENSB_INSC_IjEEEENSB_INSC_IfEEEEfNS9_4plusIvEENS9_8equal_toIvEEfEE10hipError_tPvRmT2_T3_T4_T5_mT6_T7_P12ihipStream_tbENKUlT_T0_E_clISt17integral_constantIbLb0EES12_IbLb1EEEEDaSY_SZ_EUlSY_E_NS1_11comp_targetILNS1_3genE2ELNS1_11target_archE906ELNS1_3gpuE6ELNS1_3repE0EEENS1_30default_config_static_selectorELNS0_4arch9wavefront6targetE1EEEvT1_
	.p2align	8
	.type	_ZN7rocprim17ROCPRIM_400000_NS6detail17trampoline_kernelINS0_14default_configENS1_27scan_by_key_config_selectorIifEEZZNS1_16scan_by_key_implILNS1_25lookback_scan_determinismE0ELb1ES3_N6thrust23THRUST_200600_302600_NS6detail15normal_iteratorINS9_10device_ptrIiEEEENSB_INSC_IjEEEENSB_INSC_IfEEEEfNS9_4plusIvEENS9_8equal_toIvEEfEE10hipError_tPvRmT2_T3_T4_T5_mT6_T7_P12ihipStream_tbENKUlT_T0_E_clISt17integral_constantIbLb0EES12_IbLb1EEEEDaSY_SZ_EUlSY_E_NS1_11comp_targetILNS1_3genE2ELNS1_11target_archE906ELNS1_3gpuE6ELNS1_3repE0EEENS1_30default_config_static_selectorELNS0_4arch9wavefront6targetE1EEEvT1_,@function
_ZN7rocprim17ROCPRIM_400000_NS6detail17trampoline_kernelINS0_14default_configENS1_27scan_by_key_config_selectorIifEEZZNS1_16scan_by_key_implILNS1_25lookback_scan_determinismE0ELb1ES3_N6thrust23THRUST_200600_302600_NS6detail15normal_iteratorINS9_10device_ptrIiEEEENSB_INSC_IjEEEENSB_INSC_IfEEEEfNS9_4plusIvEENS9_8equal_toIvEEfEE10hipError_tPvRmT2_T3_T4_T5_mT6_T7_P12ihipStream_tbENKUlT_T0_E_clISt17integral_constantIbLb0EES12_IbLb1EEEEDaSY_SZ_EUlSY_E_NS1_11comp_targetILNS1_3genE2ELNS1_11target_archE906ELNS1_3gpuE6ELNS1_3repE0EEENS1_30default_config_static_selectorELNS0_4arch9wavefront6targetE1EEEvT1_: ; @_ZN7rocprim17ROCPRIM_400000_NS6detail17trampoline_kernelINS0_14default_configENS1_27scan_by_key_config_selectorIifEEZZNS1_16scan_by_key_implILNS1_25lookback_scan_determinismE0ELb1ES3_N6thrust23THRUST_200600_302600_NS6detail15normal_iteratorINS9_10device_ptrIiEEEENSB_INSC_IjEEEENSB_INSC_IfEEEEfNS9_4plusIvEENS9_8equal_toIvEEfEE10hipError_tPvRmT2_T3_T4_T5_mT6_T7_P12ihipStream_tbENKUlT_T0_E_clISt17integral_constantIbLb0EES12_IbLb1EEEEDaSY_SZ_EUlSY_E_NS1_11comp_targetILNS1_3genE2ELNS1_11target_archE906ELNS1_3gpuE6ELNS1_3repE0EEENS1_30default_config_static_selectorELNS0_4arch9wavefront6targetE1EEEvT1_
; %bb.0:
	.section	.rodata,"a",@progbits
	.p2align	6, 0x0
	.amdhsa_kernel _ZN7rocprim17ROCPRIM_400000_NS6detail17trampoline_kernelINS0_14default_configENS1_27scan_by_key_config_selectorIifEEZZNS1_16scan_by_key_implILNS1_25lookback_scan_determinismE0ELb1ES3_N6thrust23THRUST_200600_302600_NS6detail15normal_iteratorINS9_10device_ptrIiEEEENSB_INSC_IjEEEENSB_INSC_IfEEEEfNS9_4plusIvEENS9_8equal_toIvEEfEE10hipError_tPvRmT2_T3_T4_T5_mT6_T7_P12ihipStream_tbENKUlT_T0_E_clISt17integral_constantIbLb0EES12_IbLb1EEEEDaSY_SZ_EUlSY_E_NS1_11comp_targetILNS1_3genE2ELNS1_11target_archE906ELNS1_3gpuE6ELNS1_3repE0EEENS1_30default_config_static_selectorELNS0_4arch9wavefront6targetE1EEEvT1_
		.amdhsa_group_segment_fixed_size 0
		.amdhsa_private_segment_fixed_size 0
		.amdhsa_kernarg_size 112
		.amdhsa_user_sgpr_count 6
		.amdhsa_user_sgpr_private_segment_buffer 1
		.amdhsa_user_sgpr_dispatch_ptr 0
		.amdhsa_user_sgpr_queue_ptr 0
		.amdhsa_user_sgpr_kernarg_segment_ptr 1
		.amdhsa_user_sgpr_dispatch_id 0
		.amdhsa_user_sgpr_flat_scratch_init 0
		.amdhsa_user_sgpr_kernarg_preload_length 0
		.amdhsa_user_sgpr_kernarg_preload_offset 0
		.amdhsa_user_sgpr_private_segment_size 0
		.amdhsa_uses_dynamic_stack 0
		.amdhsa_system_sgpr_private_segment_wavefront_offset 0
		.amdhsa_system_sgpr_workgroup_id_x 1
		.amdhsa_system_sgpr_workgroup_id_y 0
		.amdhsa_system_sgpr_workgroup_id_z 0
		.amdhsa_system_sgpr_workgroup_info 0
		.amdhsa_system_vgpr_workitem_id 0
		.amdhsa_next_free_vgpr 1
		.amdhsa_next_free_sgpr 0
		.amdhsa_accum_offset 4
		.amdhsa_reserve_vcc 0
		.amdhsa_reserve_flat_scratch 0
		.amdhsa_float_round_mode_32 0
		.amdhsa_float_round_mode_16_64 0
		.amdhsa_float_denorm_mode_32 3
		.amdhsa_float_denorm_mode_16_64 3
		.amdhsa_dx10_clamp 1
		.amdhsa_ieee_mode 1
		.amdhsa_fp16_overflow 0
		.amdhsa_tg_split 0
		.amdhsa_exception_fp_ieee_invalid_op 0
		.amdhsa_exception_fp_denorm_src 0
		.amdhsa_exception_fp_ieee_div_zero 0
		.amdhsa_exception_fp_ieee_overflow 0
		.amdhsa_exception_fp_ieee_underflow 0
		.amdhsa_exception_fp_ieee_inexact 0
		.amdhsa_exception_int_div_zero 0
	.end_amdhsa_kernel
	.section	.text._ZN7rocprim17ROCPRIM_400000_NS6detail17trampoline_kernelINS0_14default_configENS1_27scan_by_key_config_selectorIifEEZZNS1_16scan_by_key_implILNS1_25lookback_scan_determinismE0ELb1ES3_N6thrust23THRUST_200600_302600_NS6detail15normal_iteratorINS9_10device_ptrIiEEEENSB_INSC_IjEEEENSB_INSC_IfEEEEfNS9_4plusIvEENS9_8equal_toIvEEfEE10hipError_tPvRmT2_T3_T4_T5_mT6_T7_P12ihipStream_tbENKUlT_T0_E_clISt17integral_constantIbLb0EES12_IbLb1EEEEDaSY_SZ_EUlSY_E_NS1_11comp_targetILNS1_3genE2ELNS1_11target_archE906ELNS1_3gpuE6ELNS1_3repE0EEENS1_30default_config_static_selectorELNS0_4arch9wavefront6targetE1EEEvT1_,"axG",@progbits,_ZN7rocprim17ROCPRIM_400000_NS6detail17trampoline_kernelINS0_14default_configENS1_27scan_by_key_config_selectorIifEEZZNS1_16scan_by_key_implILNS1_25lookback_scan_determinismE0ELb1ES3_N6thrust23THRUST_200600_302600_NS6detail15normal_iteratorINS9_10device_ptrIiEEEENSB_INSC_IjEEEENSB_INSC_IfEEEEfNS9_4plusIvEENS9_8equal_toIvEEfEE10hipError_tPvRmT2_T3_T4_T5_mT6_T7_P12ihipStream_tbENKUlT_T0_E_clISt17integral_constantIbLb0EES12_IbLb1EEEEDaSY_SZ_EUlSY_E_NS1_11comp_targetILNS1_3genE2ELNS1_11target_archE906ELNS1_3gpuE6ELNS1_3repE0EEENS1_30default_config_static_selectorELNS0_4arch9wavefront6targetE1EEEvT1_,comdat
.Lfunc_end1712:
	.size	_ZN7rocprim17ROCPRIM_400000_NS6detail17trampoline_kernelINS0_14default_configENS1_27scan_by_key_config_selectorIifEEZZNS1_16scan_by_key_implILNS1_25lookback_scan_determinismE0ELb1ES3_N6thrust23THRUST_200600_302600_NS6detail15normal_iteratorINS9_10device_ptrIiEEEENSB_INSC_IjEEEENSB_INSC_IfEEEEfNS9_4plusIvEENS9_8equal_toIvEEfEE10hipError_tPvRmT2_T3_T4_T5_mT6_T7_P12ihipStream_tbENKUlT_T0_E_clISt17integral_constantIbLb0EES12_IbLb1EEEEDaSY_SZ_EUlSY_E_NS1_11comp_targetILNS1_3genE2ELNS1_11target_archE906ELNS1_3gpuE6ELNS1_3repE0EEENS1_30default_config_static_selectorELNS0_4arch9wavefront6targetE1EEEvT1_, .Lfunc_end1712-_ZN7rocprim17ROCPRIM_400000_NS6detail17trampoline_kernelINS0_14default_configENS1_27scan_by_key_config_selectorIifEEZZNS1_16scan_by_key_implILNS1_25lookback_scan_determinismE0ELb1ES3_N6thrust23THRUST_200600_302600_NS6detail15normal_iteratorINS9_10device_ptrIiEEEENSB_INSC_IjEEEENSB_INSC_IfEEEEfNS9_4plusIvEENS9_8equal_toIvEEfEE10hipError_tPvRmT2_T3_T4_T5_mT6_T7_P12ihipStream_tbENKUlT_T0_E_clISt17integral_constantIbLb0EES12_IbLb1EEEEDaSY_SZ_EUlSY_E_NS1_11comp_targetILNS1_3genE2ELNS1_11target_archE906ELNS1_3gpuE6ELNS1_3repE0EEENS1_30default_config_static_selectorELNS0_4arch9wavefront6targetE1EEEvT1_
                                        ; -- End function
	.section	.AMDGPU.csdata,"",@progbits
; Kernel info:
; codeLenInByte = 0
; NumSgprs: 4
; NumVgprs: 0
; NumAgprs: 0
; TotalNumVgprs: 0
; ScratchSize: 0
; MemoryBound: 0
; FloatMode: 240
; IeeeMode: 1
; LDSByteSize: 0 bytes/workgroup (compile time only)
; SGPRBlocks: 0
; VGPRBlocks: 0
; NumSGPRsForWavesPerEU: 4
; NumVGPRsForWavesPerEU: 1
; AccumOffset: 4
; Occupancy: 8
; WaveLimiterHint : 0
; COMPUTE_PGM_RSRC2:SCRATCH_EN: 0
; COMPUTE_PGM_RSRC2:USER_SGPR: 6
; COMPUTE_PGM_RSRC2:TRAP_HANDLER: 0
; COMPUTE_PGM_RSRC2:TGID_X_EN: 1
; COMPUTE_PGM_RSRC2:TGID_Y_EN: 0
; COMPUTE_PGM_RSRC2:TGID_Z_EN: 0
; COMPUTE_PGM_RSRC2:TIDIG_COMP_CNT: 0
; COMPUTE_PGM_RSRC3_GFX90A:ACCUM_OFFSET: 0
; COMPUTE_PGM_RSRC3_GFX90A:TG_SPLIT: 0
	.section	.text._ZN7rocprim17ROCPRIM_400000_NS6detail17trampoline_kernelINS0_14default_configENS1_27scan_by_key_config_selectorIifEEZZNS1_16scan_by_key_implILNS1_25lookback_scan_determinismE0ELb1ES3_N6thrust23THRUST_200600_302600_NS6detail15normal_iteratorINS9_10device_ptrIiEEEENSB_INSC_IjEEEENSB_INSC_IfEEEEfNS9_4plusIvEENS9_8equal_toIvEEfEE10hipError_tPvRmT2_T3_T4_T5_mT6_T7_P12ihipStream_tbENKUlT_T0_E_clISt17integral_constantIbLb0EES12_IbLb1EEEEDaSY_SZ_EUlSY_E_NS1_11comp_targetILNS1_3genE10ELNS1_11target_archE1200ELNS1_3gpuE4ELNS1_3repE0EEENS1_30default_config_static_selectorELNS0_4arch9wavefront6targetE1EEEvT1_,"axG",@progbits,_ZN7rocprim17ROCPRIM_400000_NS6detail17trampoline_kernelINS0_14default_configENS1_27scan_by_key_config_selectorIifEEZZNS1_16scan_by_key_implILNS1_25lookback_scan_determinismE0ELb1ES3_N6thrust23THRUST_200600_302600_NS6detail15normal_iteratorINS9_10device_ptrIiEEEENSB_INSC_IjEEEENSB_INSC_IfEEEEfNS9_4plusIvEENS9_8equal_toIvEEfEE10hipError_tPvRmT2_T3_T4_T5_mT6_T7_P12ihipStream_tbENKUlT_T0_E_clISt17integral_constantIbLb0EES12_IbLb1EEEEDaSY_SZ_EUlSY_E_NS1_11comp_targetILNS1_3genE10ELNS1_11target_archE1200ELNS1_3gpuE4ELNS1_3repE0EEENS1_30default_config_static_selectorELNS0_4arch9wavefront6targetE1EEEvT1_,comdat
	.protected	_ZN7rocprim17ROCPRIM_400000_NS6detail17trampoline_kernelINS0_14default_configENS1_27scan_by_key_config_selectorIifEEZZNS1_16scan_by_key_implILNS1_25lookback_scan_determinismE0ELb1ES3_N6thrust23THRUST_200600_302600_NS6detail15normal_iteratorINS9_10device_ptrIiEEEENSB_INSC_IjEEEENSB_INSC_IfEEEEfNS9_4plusIvEENS9_8equal_toIvEEfEE10hipError_tPvRmT2_T3_T4_T5_mT6_T7_P12ihipStream_tbENKUlT_T0_E_clISt17integral_constantIbLb0EES12_IbLb1EEEEDaSY_SZ_EUlSY_E_NS1_11comp_targetILNS1_3genE10ELNS1_11target_archE1200ELNS1_3gpuE4ELNS1_3repE0EEENS1_30default_config_static_selectorELNS0_4arch9wavefront6targetE1EEEvT1_ ; -- Begin function _ZN7rocprim17ROCPRIM_400000_NS6detail17trampoline_kernelINS0_14default_configENS1_27scan_by_key_config_selectorIifEEZZNS1_16scan_by_key_implILNS1_25lookback_scan_determinismE0ELb1ES3_N6thrust23THRUST_200600_302600_NS6detail15normal_iteratorINS9_10device_ptrIiEEEENSB_INSC_IjEEEENSB_INSC_IfEEEEfNS9_4plusIvEENS9_8equal_toIvEEfEE10hipError_tPvRmT2_T3_T4_T5_mT6_T7_P12ihipStream_tbENKUlT_T0_E_clISt17integral_constantIbLb0EES12_IbLb1EEEEDaSY_SZ_EUlSY_E_NS1_11comp_targetILNS1_3genE10ELNS1_11target_archE1200ELNS1_3gpuE4ELNS1_3repE0EEENS1_30default_config_static_selectorELNS0_4arch9wavefront6targetE1EEEvT1_
	.globl	_ZN7rocprim17ROCPRIM_400000_NS6detail17trampoline_kernelINS0_14default_configENS1_27scan_by_key_config_selectorIifEEZZNS1_16scan_by_key_implILNS1_25lookback_scan_determinismE0ELb1ES3_N6thrust23THRUST_200600_302600_NS6detail15normal_iteratorINS9_10device_ptrIiEEEENSB_INSC_IjEEEENSB_INSC_IfEEEEfNS9_4plusIvEENS9_8equal_toIvEEfEE10hipError_tPvRmT2_T3_T4_T5_mT6_T7_P12ihipStream_tbENKUlT_T0_E_clISt17integral_constantIbLb0EES12_IbLb1EEEEDaSY_SZ_EUlSY_E_NS1_11comp_targetILNS1_3genE10ELNS1_11target_archE1200ELNS1_3gpuE4ELNS1_3repE0EEENS1_30default_config_static_selectorELNS0_4arch9wavefront6targetE1EEEvT1_
	.p2align	8
	.type	_ZN7rocprim17ROCPRIM_400000_NS6detail17trampoline_kernelINS0_14default_configENS1_27scan_by_key_config_selectorIifEEZZNS1_16scan_by_key_implILNS1_25lookback_scan_determinismE0ELb1ES3_N6thrust23THRUST_200600_302600_NS6detail15normal_iteratorINS9_10device_ptrIiEEEENSB_INSC_IjEEEENSB_INSC_IfEEEEfNS9_4plusIvEENS9_8equal_toIvEEfEE10hipError_tPvRmT2_T3_T4_T5_mT6_T7_P12ihipStream_tbENKUlT_T0_E_clISt17integral_constantIbLb0EES12_IbLb1EEEEDaSY_SZ_EUlSY_E_NS1_11comp_targetILNS1_3genE10ELNS1_11target_archE1200ELNS1_3gpuE4ELNS1_3repE0EEENS1_30default_config_static_selectorELNS0_4arch9wavefront6targetE1EEEvT1_,@function
_ZN7rocprim17ROCPRIM_400000_NS6detail17trampoline_kernelINS0_14default_configENS1_27scan_by_key_config_selectorIifEEZZNS1_16scan_by_key_implILNS1_25lookback_scan_determinismE0ELb1ES3_N6thrust23THRUST_200600_302600_NS6detail15normal_iteratorINS9_10device_ptrIiEEEENSB_INSC_IjEEEENSB_INSC_IfEEEEfNS9_4plusIvEENS9_8equal_toIvEEfEE10hipError_tPvRmT2_T3_T4_T5_mT6_T7_P12ihipStream_tbENKUlT_T0_E_clISt17integral_constantIbLb0EES12_IbLb1EEEEDaSY_SZ_EUlSY_E_NS1_11comp_targetILNS1_3genE10ELNS1_11target_archE1200ELNS1_3gpuE4ELNS1_3repE0EEENS1_30default_config_static_selectorELNS0_4arch9wavefront6targetE1EEEvT1_: ; @_ZN7rocprim17ROCPRIM_400000_NS6detail17trampoline_kernelINS0_14default_configENS1_27scan_by_key_config_selectorIifEEZZNS1_16scan_by_key_implILNS1_25lookback_scan_determinismE0ELb1ES3_N6thrust23THRUST_200600_302600_NS6detail15normal_iteratorINS9_10device_ptrIiEEEENSB_INSC_IjEEEENSB_INSC_IfEEEEfNS9_4plusIvEENS9_8equal_toIvEEfEE10hipError_tPvRmT2_T3_T4_T5_mT6_T7_P12ihipStream_tbENKUlT_T0_E_clISt17integral_constantIbLb0EES12_IbLb1EEEEDaSY_SZ_EUlSY_E_NS1_11comp_targetILNS1_3genE10ELNS1_11target_archE1200ELNS1_3gpuE4ELNS1_3repE0EEENS1_30default_config_static_selectorELNS0_4arch9wavefront6targetE1EEEvT1_
; %bb.0:
	.section	.rodata,"a",@progbits
	.p2align	6, 0x0
	.amdhsa_kernel _ZN7rocprim17ROCPRIM_400000_NS6detail17trampoline_kernelINS0_14default_configENS1_27scan_by_key_config_selectorIifEEZZNS1_16scan_by_key_implILNS1_25lookback_scan_determinismE0ELb1ES3_N6thrust23THRUST_200600_302600_NS6detail15normal_iteratorINS9_10device_ptrIiEEEENSB_INSC_IjEEEENSB_INSC_IfEEEEfNS9_4plusIvEENS9_8equal_toIvEEfEE10hipError_tPvRmT2_T3_T4_T5_mT6_T7_P12ihipStream_tbENKUlT_T0_E_clISt17integral_constantIbLb0EES12_IbLb1EEEEDaSY_SZ_EUlSY_E_NS1_11comp_targetILNS1_3genE10ELNS1_11target_archE1200ELNS1_3gpuE4ELNS1_3repE0EEENS1_30default_config_static_selectorELNS0_4arch9wavefront6targetE1EEEvT1_
		.amdhsa_group_segment_fixed_size 0
		.amdhsa_private_segment_fixed_size 0
		.amdhsa_kernarg_size 112
		.amdhsa_user_sgpr_count 6
		.amdhsa_user_sgpr_private_segment_buffer 1
		.amdhsa_user_sgpr_dispatch_ptr 0
		.amdhsa_user_sgpr_queue_ptr 0
		.amdhsa_user_sgpr_kernarg_segment_ptr 1
		.amdhsa_user_sgpr_dispatch_id 0
		.amdhsa_user_sgpr_flat_scratch_init 0
		.amdhsa_user_sgpr_kernarg_preload_length 0
		.amdhsa_user_sgpr_kernarg_preload_offset 0
		.amdhsa_user_sgpr_private_segment_size 0
		.amdhsa_uses_dynamic_stack 0
		.amdhsa_system_sgpr_private_segment_wavefront_offset 0
		.amdhsa_system_sgpr_workgroup_id_x 1
		.amdhsa_system_sgpr_workgroup_id_y 0
		.amdhsa_system_sgpr_workgroup_id_z 0
		.amdhsa_system_sgpr_workgroup_info 0
		.amdhsa_system_vgpr_workitem_id 0
		.amdhsa_next_free_vgpr 1
		.amdhsa_next_free_sgpr 0
		.amdhsa_accum_offset 4
		.amdhsa_reserve_vcc 0
		.amdhsa_reserve_flat_scratch 0
		.amdhsa_float_round_mode_32 0
		.amdhsa_float_round_mode_16_64 0
		.amdhsa_float_denorm_mode_32 3
		.amdhsa_float_denorm_mode_16_64 3
		.amdhsa_dx10_clamp 1
		.amdhsa_ieee_mode 1
		.amdhsa_fp16_overflow 0
		.amdhsa_tg_split 0
		.amdhsa_exception_fp_ieee_invalid_op 0
		.amdhsa_exception_fp_denorm_src 0
		.amdhsa_exception_fp_ieee_div_zero 0
		.amdhsa_exception_fp_ieee_overflow 0
		.amdhsa_exception_fp_ieee_underflow 0
		.amdhsa_exception_fp_ieee_inexact 0
		.amdhsa_exception_int_div_zero 0
	.end_amdhsa_kernel
	.section	.text._ZN7rocprim17ROCPRIM_400000_NS6detail17trampoline_kernelINS0_14default_configENS1_27scan_by_key_config_selectorIifEEZZNS1_16scan_by_key_implILNS1_25lookback_scan_determinismE0ELb1ES3_N6thrust23THRUST_200600_302600_NS6detail15normal_iteratorINS9_10device_ptrIiEEEENSB_INSC_IjEEEENSB_INSC_IfEEEEfNS9_4plusIvEENS9_8equal_toIvEEfEE10hipError_tPvRmT2_T3_T4_T5_mT6_T7_P12ihipStream_tbENKUlT_T0_E_clISt17integral_constantIbLb0EES12_IbLb1EEEEDaSY_SZ_EUlSY_E_NS1_11comp_targetILNS1_3genE10ELNS1_11target_archE1200ELNS1_3gpuE4ELNS1_3repE0EEENS1_30default_config_static_selectorELNS0_4arch9wavefront6targetE1EEEvT1_,"axG",@progbits,_ZN7rocprim17ROCPRIM_400000_NS6detail17trampoline_kernelINS0_14default_configENS1_27scan_by_key_config_selectorIifEEZZNS1_16scan_by_key_implILNS1_25lookback_scan_determinismE0ELb1ES3_N6thrust23THRUST_200600_302600_NS6detail15normal_iteratorINS9_10device_ptrIiEEEENSB_INSC_IjEEEENSB_INSC_IfEEEEfNS9_4plusIvEENS9_8equal_toIvEEfEE10hipError_tPvRmT2_T3_T4_T5_mT6_T7_P12ihipStream_tbENKUlT_T0_E_clISt17integral_constantIbLb0EES12_IbLb1EEEEDaSY_SZ_EUlSY_E_NS1_11comp_targetILNS1_3genE10ELNS1_11target_archE1200ELNS1_3gpuE4ELNS1_3repE0EEENS1_30default_config_static_selectorELNS0_4arch9wavefront6targetE1EEEvT1_,comdat
.Lfunc_end1713:
	.size	_ZN7rocprim17ROCPRIM_400000_NS6detail17trampoline_kernelINS0_14default_configENS1_27scan_by_key_config_selectorIifEEZZNS1_16scan_by_key_implILNS1_25lookback_scan_determinismE0ELb1ES3_N6thrust23THRUST_200600_302600_NS6detail15normal_iteratorINS9_10device_ptrIiEEEENSB_INSC_IjEEEENSB_INSC_IfEEEEfNS9_4plusIvEENS9_8equal_toIvEEfEE10hipError_tPvRmT2_T3_T4_T5_mT6_T7_P12ihipStream_tbENKUlT_T0_E_clISt17integral_constantIbLb0EES12_IbLb1EEEEDaSY_SZ_EUlSY_E_NS1_11comp_targetILNS1_3genE10ELNS1_11target_archE1200ELNS1_3gpuE4ELNS1_3repE0EEENS1_30default_config_static_selectorELNS0_4arch9wavefront6targetE1EEEvT1_, .Lfunc_end1713-_ZN7rocprim17ROCPRIM_400000_NS6detail17trampoline_kernelINS0_14default_configENS1_27scan_by_key_config_selectorIifEEZZNS1_16scan_by_key_implILNS1_25lookback_scan_determinismE0ELb1ES3_N6thrust23THRUST_200600_302600_NS6detail15normal_iteratorINS9_10device_ptrIiEEEENSB_INSC_IjEEEENSB_INSC_IfEEEEfNS9_4plusIvEENS9_8equal_toIvEEfEE10hipError_tPvRmT2_T3_T4_T5_mT6_T7_P12ihipStream_tbENKUlT_T0_E_clISt17integral_constantIbLb0EES12_IbLb1EEEEDaSY_SZ_EUlSY_E_NS1_11comp_targetILNS1_3genE10ELNS1_11target_archE1200ELNS1_3gpuE4ELNS1_3repE0EEENS1_30default_config_static_selectorELNS0_4arch9wavefront6targetE1EEEvT1_
                                        ; -- End function
	.section	.AMDGPU.csdata,"",@progbits
; Kernel info:
; codeLenInByte = 0
; NumSgprs: 4
; NumVgprs: 0
; NumAgprs: 0
; TotalNumVgprs: 0
; ScratchSize: 0
; MemoryBound: 0
; FloatMode: 240
; IeeeMode: 1
; LDSByteSize: 0 bytes/workgroup (compile time only)
; SGPRBlocks: 0
; VGPRBlocks: 0
; NumSGPRsForWavesPerEU: 4
; NumVGPRsForWavesPerEU: 1
; AccumOffset: 4
; Occupancy: 8
; WaveLimiterHint : 0
; COMPUTE_PGM_RSRC2:SCRATCH_EN: 0
; COMPUTE_PGM_RSRC2:USER_SGPR: 6
; COMPUTE_PGM_RSRC2:TRAP_HANDLER: 0
; COMPUTE_PGM_RSRC2:TGID_X_EN: 1
; COMPUTE_PGM_RSRC2:TGID_Y_EN: 0
; COMPUTE_PGM_RSRC2:TGID_Z_EN: 0
; COMPUTE_PGM_RSRC2:TIDIG_COMP_CNT: 0
; COMPUTE_PGM_RSRC3_GFX90A:ACCUM_OFFSET: 0
; COMPUTE_PGM_RSRC3_GFX90A:TG_SPLIT: 0
	.section	.text._ZN7rocprim17ROCPRIM_400000_NS6detail17trampoline_kernelINS0_14default_configENS1_27scan_by_key_config_selectorIifEEZZNS1_16scan_by_key_implILNS1_25lookback_scan_determinismE0ELb1ES3_N6thrust23THRUST_200600_302600_NS6detail15normal_iteratorINS9_10device_ptrIiEEEENSB_INSC_IjEEEENSB_INSC_IfEEEEfNS9_4plusIvEENS9_8equal_toIvEEfEE10hipError_tPvRmT2_T3_T4_T5_mT6_T7_P12ihipStream_tbENKUlT_T0_E_clISt17integral_constantIbLb0EES12_IbLb1EEEEDaSY_SZ_EUlSY_E_NS1_11comp_targetILNS1_3genE9ELNS1_11target_archE1100ELNS1_3gpuE3ELNS1_3repE0EEENS1_30default_config_static_selectorELNS0_4arch9wavefront6targetE1EEEvT1_,"axG",@progbits,_ZN7rocprim17ROCPRIM_400000_NS6detail17trampoline_kernelINS0_14default_configENS1_27scan_by_key_config_selectorIifEEZZNS1_16scan_by_key_implILNS1_25lookback_scan_determinismE0ELb1ES3_N6thrust23THRUST_200600_302600_NS6detail15normal_iteratorINS9_10device_ptrIiEEEENSB_INSC_IjEEEENSB_INSC_IfEEEEfNS9_4plusIvEENS9_8equal_toIvEEfEE10hipError_tPvRmT2_T3_T4_T5_mT6_T7_P12ihipStream_tbENKUlT_T0_E_clISt17integral_constantIbLb0EES12_IbLb1EEEEDaSY_SZ_EUlSY_E_NS1_11comp_targetILNS1_3genE9ELNS1_11target_archE1100ELNS1_3gpuE3ELNS1_3repE0EEENS1_30default_config_static_selectorELNS0_4arch9wavefront6targetE1EEEvT1_,comdat
	.protected	_ZN7rocprim17ROCPRIM_400000_NS6detail17trampoline_kernelINS0_14default_configENS1_27scan_by_key_config_selectorIifEEZZNS1_16scan_by_key_implILNS1_25lookback_scan_determinismE0ELb1ES3_N6thrust23THRUST_200600_302600_NS6detail15normal_iteratorINS9_10device_ptrIiEEEENSB_INSC_IjEEEENSB_INSC_IfEEEEfNS9_4plusIvEENS9_8equal_toIvEEfEE10hipError_tPvRmT2_T3_T4_T5_mT6_T7_P12ihipStream_tbENKUlT_T0_E_clISt17integral_constantIbLb0EES12_IbLb1EEEEDaSY_SZ_EUlSY_E_NS1_11comp_targetILNS1_3genE9ELNS1_11target_archE1100ELNS1_3gpuE3ELNS1_3repE0EEENS1_30default_config_static_selectorELNS0_4arch9wavefront6targetE1EEEvT1_ ; -- Begin function _ZN7rocprim17ROCPRIM_400000_NS6detail17trampoline_kernelINS0_14default_configENS1_27scan_by_key_config_selectorIifEEZZNS1_16scan_by_key_implILNS1_25lookback_scan_determinismE0ELb1ES3_N6thrust23THRUST_200600_302600_NS6detail15normal_iteratorINS9_10device_ptrIiEEEENSB_INSC_IjEEEENSB_INSC_IfEEEEfNS9_4plusIvEENS9_8equal_toIvEEfEE10hipError_tPvRmT2_T3_T4_T5_mT6_T7_P12ihipStream_tbENKUlT_T0_E_clISt17integral_constantIbLb0EES12_IbLb1EEEEDaSY_SZ_EUlSY_E_NS1_11comp_targetILNS1_3genE9ELNS1_11target_archE1100ELNS1_3gpuE3ELNS1_3repE0EEENS1_30default_config_static_selectorELNS0_4arch9wavefront6targetE1EEEvT1_
	.globl	_ZN7rocprim17ROCPRIM_400000_NS6detail17trampoline_kernelINS0_14default_configENS1_27scan_by_key_config_selectorIifEEZZNS1_16scan_by_key_implILNS1_25lookback_scan_determinismE0ELb1ES3_N6thrust23THRUST_200600_302600_NS6detail15normal_iteratorINS9_10device_ptrIiEEEENSB_INSC_IjEEEENSB_INSC_IfEEEEfNS9_4plusIvEENS9_8equal_toIvEEfEE10hipError_tPvRmT2_T3_T4_T5_mT6_T7_P12ihipStream_tbENKUlT_T0_E_clISt17integral_constantIbLb0EES12_IbLb1EEEEDaSY_SZ_EUlSY_E_NS1_11comp_targetILNS1_3genE9ELNS1_11target_archE1100ELNS1_3gpuE3ELNS1_3repE0EEENS1_30default_config_static_selectorELNS0_4arch9wavefront6targetE1EEEvT1_
	.p2align	8
	.type	_ZN7rocprim17ROCPRIM_400000_NS6detail17trampoline_kernelINS0_14default_configENS1_27scan_by_key_config_selectorIifEEZZNS1_16scan_by_key_implILNS1_25lookback_scan_determinismE0ELb1ES3_N6thrust23THRUST_200600_302600_NS6detail15normal_iteratorINS9_10device_ptrIiEEEENSB_INSC_IjEEEENSB_INSC_IfEEEEfNS9_4plusIvEENS9_8equal_toIvEEfEE10hipError_tPvRmT2_T3_T4_T5_mT6_T7_P12ihipStream_tbENKUlT_T0_E_clISt17integral_constantIbLb0EES12_IbLb1EEEEDaSY_SZ_EUlSY_E_NS1_11comp_targetILNS1_3genE9ELNS1_11target_archE1100ELNS1_3gpuE3ELNS1_3repE0EEENS1_30default_config_static_selectorELNS0_4arch9wavefront6targetE1EEEvT1_,@function
_ZN7rocprim17ROCPRIM_400000_NS6detail17trampoline_kernelINS0_14default_configENS1_27scan_by_key_config_selectorIifEEZZNS1_16scan_by_key_implILNS1_25lookback_scan_determinismE0ELb1ES3_N6thrust23THRUST_200600_302600_NS6detail15normal_iteratorINS9_10device_ptrIiEEEENSB_INSC_IjEEEENSB_INSC_IfEEEEfNS9_4plusIvEENS9_8equal_toIvEEfEE10hipError_tPvRmT2_T3_T4_T5_mT6_T7_P12ihipStream_tbENKUlT_T0_E_clISt17integral_constantIbLb0EES12_IbLb1EEEEDaSY_SZ_EUlSY_E_NS1_11comp_targetILNS1_3genE9ELNS1_11target_archE1100ELNS1_3gpuE3ELNS1_3repE0EEENS1_30default_config_static_selectorELNS0_4arch9wavefront6targetE1EEEvT1_: ; @_ZN7rocprim17ROCPRIM_400000_NS6detail17trampoline_kernelINS0_14default_configENS1_27scan_by_key_config_selectorIifEEZZNS1_16scan_by_key_implILNS1_25lookback_scan_determinismE0ELb1ES3_N6thrust23THRUST_200600_302600_NS6detail15normal_iteratorINS9_10device_ptrIiEEEENSB_INSC_IjEEEENSB_INSC_IfEEEEfNS9_4plusIvEENS9_8equal_toIvEEfEE10hipError_tPvRmT2_T3_T4_T5_mT6_T7_P12ihipStream_tbENKUlT_T0_E_clISt17integral_constantIbLb0EES12_IbLb1EEEEDaSY_SZ_EUlSY_E_NS1_11comp_targetILNS1_3genE9ELNS1_11target_archE1100ELNS1_3gpuE3ELNS1_3repE0EEENS1_30default_config_static_selectorELNS0_4arch9wavefront6targetE1EEEvT1_
; %bb.0:
	.section	.rodata,"a",@progbits
	.p2align	6, 0x0
	.amdhsa_kernel _ZN7rocprim17ROCPRIM_400000_NS6detail17trampoline_kernelINS0_14default_configENS1_27scan_by_key_config_selectorIifEEZZNS1_16scan_by_key_implILNS1_25lookback_scan_determinismE0ELb1ES3_N6thrust23THRUST_200600_302600_NS6detail15normal_iteratorINS9_10device_ptrIiEEEENSB_INSC_IjEEEENSB_INSC_IfEEEEfNS9_4plusIvEENS9_8equal_toIvEEfEE10hipError_tPvRmT2_T3_T4_T5_mT6_T7_P12ihipStream_tbENKUlT_T0_E_clISt17integral_constantIbLb0EES12_IbLb1EEEEDaSY_SZ_EUlSY_E_NS1_11comp_targetILNS1_3genE9ELNS1_11target_archE1100ELNS1_3gpuE3ELNS1_3repE0EEENS1_30default_config_static_selectorELNS0_4arch9wavefront6targetE1EEEvT1_
		.amdhsa_group_segment_fixed_size 0
		.amdhsa_private_segment_fixed_size 0
		.amdhsa_kernarg_size 112
		.amdhsa_user_sgpr_count 6
		.amdhsa_user_sgpr_private_segment_buffer 1
		.amdhsa_user_sgpr_dispatch_ptr 0
		.amdhsa_user_sgpr_queue_ptr 0
		.amdhsa_user_sgpr_kernarg_segment_ptr 1
		.amdhsa_user_sgpr_dispatch_id 0
		.amdhsa_user_sgpr_flat_scratch_init 0
		.amdhsa_user_sgpr_kernarg_preload_length 0
		.amdhsa_user_sgpr_kernarg_preload_offset 0
		.amdhsa_user_sgpr_private_segment_size 0
		.amdhsa_uses_dynamic_stack 0
		.amdhsa_system_sgpr_private_segment_wavefront_offset 0
		.amdhsa_system_sgpr_workgroup_id_x 1
		.amdhsa_system_sgpr_workgroup_id_y 0
		.amdhsa_system_sgpr_workgroup_id_z 0
		.amdhsa_system_sgpr_workgroup_info 0
		.amdhsa_system_vgpr_workitem_id 0
		.amdhsa_next_free_vgpr 1
		.amdhsa_next_free_sgpr 0
		.amdhsa_accum_offset 4
		.amdhsa_reserve_vcc 0
		.amdhsa_reserve_flat_scratch 0
		.amdhsa_float_round_mode_32 0
		.amdhsa_float_round_mode_16_64 0
		.amdhsa_float_denorm_mode_32 3
		.amdhsa_float_denorm_mode_16_64 3
		.amdhsa_dx10_clamp 1
		.amdhsa_ieee_mode 1
		.amdhsa_fp16_overflow 0
		.amdhsa_tg_split 0
		.amdhsa_exception_fp_ieee_invalid_op 0
		.amdhsa_exception_fp_denorm_src 0
		.amdhsa_exception_fp_ieee_div_zero 0
		.amdhsa_exception_fp_ieee_overflow 0
		.amdhsa_exception_fp_ieee_underflow 0
		.amdhsa_exception_fp_ieee_inexact 0
		.amdhsa_exception_int_div_zero 0
	.end_amdhsa_kernel
	.section	.text._ZN7rocprim17ROCPRIM_400000_NS6detail17trampoline_kernelINS0_14default_configENS1_27scan_by_key_config_selectorIifEEZZNS1_16scan_by_key_implILNS1_25lookback_scan_determinismE0ELb1ES3_N6thrust23THRUST_200600_302600_NS6detail15normal_iteratorINS9_10device_ptrIiEEEENSB_INSC_IjEEEENSB_INSC_IfEEEEfNS9_4plusIvEENS9_8equal_toIvEEfEE10hipError_tPvRmT2_T3_T4_T5_mT6_T7_P12ihipStream_tbENKUlT_T0_E_clISt17integral_constantIbLb0EES12_IbLb1EEEEDaSY_SZ_EUlSY_E_NS1_11comp_targetILNS1_3genE9ELNS1_11target_archE1100ELNS1_3gpuE3ELNS1_3repE0EEENS1_30default_config_static_selectorELNS0_4arch9wavefront6targetE1EEEvT1_,"axG",@progbits,_ZN7rocprim17ROCPRIM_400000_NS6detail17trampoline_kernelINS0_14default_configENS1_27scan_by_key_config_selectorIifEEZZNS1_16scan_by_key_implILNS1_25lookback_scan_determinismE0ELb1ES3_N6thrust23THRUST_200600_302600_NS6detail15normal_iteratorINS9_10device_ptrIiEEEENSB_INSC_IjEEEENSB_INSC_IfEEEEfNS9_4plusIvEENS9_8equal_toIvEEfEE10hipError_tPvRmT2_T3_T4_T5_mT6_T7_P12ihipStream_tbENKUlT_T0_E_clISt17integral_constantIbLb0EES12_IbLb1EEEEDaSY_SZ_EUlSY_E_NS1_11comp_targetILNS1_3genE9ELNS1_11target_archE1100ELNS1_3gpuE3ELNS1_3repE0EEENS1_30default_config_static_selectorELNS0_4arch9wavefront6targetE1EEEvT1_,comdat
.Lfunc_end1714:
	.size	_ZN7rocprim17ROCPRIM_400000_NS6detail17trampoline_kernelINS0_14default_configENS1_27scan_by_key_config_selectorIifEEZZNS1_16scan_by_key_implILNS1_25lookback_scan_determinismE0ELb1ES3_N6thrust23THRUST_200600_302600_NS6detail15normal_iteratorINS9_10device_ptrIiEEEENSB_INSC_IjEEEENSB_INSC_IfEEEEfNS9_4plusIvEENS9_8equal_toIvEEfEE10hipError_tPvRmT2_T3_T4_T5_mT6_T7_P12ihipStream_tbENKUlT_T0_E_clISt17integral_constantIbLb0EES12_IbLb1EEEEDaSY_SZ_EUlSY_E_NS1_11comp_targetILNS1_3genE9ELNS1_11target_archE1100ELNS1_3gpuE3ELNS1_3repE0EEENS1_30default_config_static_selectorELNS0_4arch9wavefront6targetE1EEEvT1_, .Lfunc_end1714-_ZN7rocprim17ROCPRIM_400000_NS6detail17trampoline_kernelINS0_14default_configENS1_27scan_by_key_config_selectorIifEEZZNS1_16scan_by_key_implILNS1_25lookback_scan_determinismE0ELb1ES3_N6thrust23THRUST_200600_302600_NS6detail15normal_iteratorINS9_10device_ptrIiEEEENSB_INSC_IjEEEENSB_INSC_IfEEEEfNS9_4plusIvEENS9_8equal_toIvEEfEE10hipError_tPvRmT2_T3_T4_T5_mT6_T7_P12ihipStream_tbENKUlT_T0_E_clISt17integral_constantIbLb0EES12_IbLb1EEEEDaSY_SZ_EUlSY_E_NS1_11comp_targetILNS1_3genE9ELNS1_11target_archE1100ELNS1_3gpuE3ELNS1_3repE0EEENS1_30default_config_static_selectorELNS0_4arch9wavefront6targetE1EEEvT1_
                                        ; -- End function
	.section	.AMDGPU.csdata,"",@progbits
; Kernel info:
; codeLenInByte = 0
; NumSgprs: 4
; NumVgprs: 0
; NumAgprs: 0
; TotalNumVgprs: 0
; ScratchSize: 0
; MemoryBound: 0
; FloatMode: 240
; IeeeMode: 1
; LDSByteSize: 0 bytes/workgroup (compile time only)
; SGPRBlocks: 0
; VGPRBlocks: 0
; NumSGPRsForWavesPerEU: 4
; NumVGPRsForWavesPerEU: 1
; AccumOffset: 4
; Occupancy: 8
; WaveLimiterHint : 0
; COMPUTE_PGM_RSRC2:SCRATCH_EN: 0
; COMPUTE_PGM_RSRC2:USER_SGPR: 6
; COMPUTE_PGM_RSRC2:TRAP_HANDLER: 0
; COMPUTE_PGM_RSRC2:TGID_X_EN: 1
; COMPUTE_PGM_RSRC2:TGID_Y_EN: 0
; COMPUTE_PGM_RSRC2:TGID_Z_EN: 0
; COMPUTE_PGM_RSRC2:TIDIG_COMP_CNT: 0
; COMPUTE_PGM_RSRC3_GFX90A:ACCUM_OFFSET: 0
; COMPUTE_PGM_RSRC3_GFX90A:TG_SPLIT: 0
	.section	.text._ZN7rocprim17ROCPRIM_400000_NS6detail17trampoline_kernelINS0_14default_configENS1_27scan_by_key_config_selectorIifEEZZNS1_16scan_by_key_implILNS1_25lookback_scan_determinismE0ELb1ES3_N6thrust23THRUST_200600_302600_NS6detail15normal_iteratorINS9_10device_ptrIiEEEENSB_INSC_IjEEEENSB_INSC_IfEEEEfNS9_4plusIvEENS9_8equal_toIvEEfEE10hipError_tPvRmT2_T3_T4_T5_mT6_T7_P12ihipStream_tbENKUlT_T0_E_clISt17integral_constantIbLb0EES12_IbLb1EEEEDaSY_SZ_EUlSY_E_NS1_11comp_targetILNS1_3genE8ELNS1_11target_archE1030ELNS1_3gpuE2ELNS1_3repE0EEENS1_30default_config_static_selectorELNS0_4arch9wavefront6targetE1EEEvT1_,"axG",@progbits,_ZN7rocprim17ROCPRIM_400000_NS6detail17trampoline_kernelINS0_14default_configENS1_27scan_by_key_config_selectorIifEEZZNS1_16scan_by_key_implILNS1_25lookback_scan_determinismE0ELb1ES3_N6thrust23THRUST_200600_302600_NS6detail15normal_iteratorINS9_10device_ptrIiEEEENSB_INSC_IjEEEENSB_INSC_IfEEEEfNS9_4plusIvEENS9_8equal_toIvEEfEE10hipError_tPvRmT2_T3_T4_T5_mT6_T7_P12ihipStream_tbENKUlT_T0_E_clISt17integral_constantIbLb0EES12_IbLb1EEEEDaSY_SZ_EUlSY_E_NS1_11comp_targetILNS1_3genE8ELNS1_11target_archE1030ELNS1_3gpuE2ELNS1_3repE0EEENS1_30default_config_static_selectorELNS0_4arch9wavefront6targetE1EEEvT1_,comdat
	.protected	_ZN7rocprim17ROCPRIM_400000_NS6detail17trampoline_kernelINS0_14default_configENS1_27scan_by_key_config_selectorIifEEZZNS1_16scan_by_key_implILNS1_25lookback_scan_determinismE0ELb1ES3_N6thrust23THRUST_200600_302600_NS6detail15normal_iteratorINS9_10device_ptrIiEEEENSB_INSC_IjEEEENSB_INSC_IfEEEEfNS9_4plusIvEENS9_8equal_toIvEEfEE10hipError_tPvRmT2_T3_T4_T5_mT6_T7_P12ihipStream_tbENKUlT_T0_E_clISt17integral_constantIbLb0EES12_IbLb1EEEEDaSY_SZ_EUlSY_E_NS1_11comp_targetILNS1_3genE8ELNS1_11target_archE1030ELNS1_3gpuE2ELNS1_3repE0EEENS1_30default_config_static_selectorELNS0_4arch9wavefront6targetE1EEEvT1_ ; -- Begin function _ZN7rocprim17ROCPRIM_400000_NS6detail17trampoline_kernelINS0_14default_configENS1_27scan_by_key_config_selectorIifEEZZNS1_16scan_by_key_implILNS1_25lookback_scan_determinismE0ELb1ES3_N6thrust23THRUST_200600_302600_NS6detail15normal_iteratorINS9_10device_ptrIiEEEENSB_INSC_IjEEEENSB_INSC_IfEEEEfNS9_4plusIvEENS9_8equal_toIvEEfEE10hipError_tPvRmT2_T3_T4_T5_mT6_T7_P12ihipStream_tbENKUlT_T0_E_clISt17integral_constantIbLb0EES12_IbLb1EEEEDaSY_SZ_EUlSY_E_NS1_11comp_targetILNS1_3genE8ELNS1_11target_archE1030ELNS1_3gpuE2ELNS1_3repE0EEENS1_30default_config_static_selectorELNS0_4arch9wavefront6targetE1EEEvT1_
	.globl	_ZN7rocprim17ROCPRIM_400000_NS6detail17trampoline_kernelINS0_14default_configENS1_27scan_by_key_config_selectorIifEEZZNS1_16scan_by_key_implILNS1_25lookback_scan_determinismE0ELb1ES3_N6thrust23THRUST_200600_302600_NS6detail15normal_iteratorINS9_10device_ptrIiEEEENSB_INSC_IjEEEENSB_INSC_IfEEEEfNS9_4plusIvEENS9_8equal_toIvEEfEE10hipError_tPvRmT2_T3_T4_T5_mT6_T7_P12ihipStream_tbENKUlT_T0_E_clISt17integral_constantIbLb0EES12_IbLb1EEEEDaSY_SZ_EUlSY_E_NS1_11comp_targetILNS1_3genE8ELNS1_11target_archE1030ELNS1_3gpuE2ELNS1_3repE0EEENS1_30default_config_static_selectorELNS0_4arch9wavefront6targetE1EEEvT1_
	.p2align	8
	.type	_ZN7rocprim17ROCPRIM_400000_NS6detail17trampoline_kernelINS0_14default_configENS1_27scan_by_key_config_selectorIifEEZZNS1_16scan_by_key_implILNS1_25lookback_scan_determinismE0ELb1ES3_N6thrust23THRUST_200600_302600_NS6detail15normal_iteratorINS9_10device_ptrIiEEEENSB_INSC_IjEEEENSB_INSC_IfEEEEfNS9_4plusIvEENS9_8equal_toIvEEfEE10hipError_tPvRmT2_T3_T4_T5_mT6_T7_P12ihipStream_tbENKUlT_T0_E_clISt17integral_constantIbLb0EES12_IbLb1EEEEDaSY_SZ_EUlSY_E_NS1_11comp_targetILNS1_3genE8ELNS1_11target_archE1030ELNS1_3gpuE2ELNS1_3repE0EEENS1_30default_config_static_selectorELNS0_4arch9wavefront6targetE1EEEvT1_,@function
_ZN7rocprim17ROCPRIM_400000_NS6detail17trampoline_kernelINS0_14default_configENS1_27scan_by_key_config_selectorIifEEZZNS1_16scan_by_key_implILNS1_25lookback_scan_determinismE0ELb1ES3_N6thrust23THRUST_200600_302600_NS6detail15normal_iteratorINS9_10device_ptrIiEEEENSB_INSC_IjEEEENSB_INSC_IfEEEEfNS9_4plusIvEENS9_8equal_toIvEEfEE10hipError_tPvRmT2_T3_T4_T5_mT6_T7_P12ihipStream_tbENKUlT_T0_E_clISt17integral_constantIbLb0EES12_IbLb1EEEEDaSY_SZ_EUlSY_E_NS1_11comp_targetILNS1_3genE8ELNS1_11target_archE1030ELNS1_3gpuE2ELNS1_3repE0EEENS1_30default_config_static_selectorELNS0_4arch9wavefront6targetE1EEEvT1_: ; @_ZN7rocprim17ROCPRIM_400000_NS6detail17trampoline_kernelINS0_14default_configENS1_27scan_by_key_config_selectorIifEEZZNS1_16scan_by_key_implILNS1_25lookback_scan_determinismE0ELb1ES3_N6thrust23THRUST_200600_302600_NS6detail15normal_iteratorINS9_10device_ptrIiEEEENSB_INSC_IjEEEENSB_INSC_IfEEEEfNS9_4plusIvEENS9_8equal_toIvEEfEE10hipError_tPvRmT2_T3_T4_T5_mT6_T7_P12ihipStream_tbENKUlT_T0_E_clISt17integral_constantIbLb0EES12_IbLb1EEEEDaSY_SZ_EUlSY_E_NS1_11comp_targetILNS1_3genE8ELNS1_11target_archE1030ELNS1_3gpuE2ELNS1_3repE0EEENS1_30default_config_static_selectorELNS0_4arch9wavefront6targetE1EEEvT1_
; %bb.0:
	.section	.rodata,"a",@progbits
	.p2align	6, 0x0
	.amdhsa_kernel _ZN7rocprim17ROCPRIM_400000_NS6detail17trampoline_kernelINS0_14default_configENS1_27scan_by_key_config_selectorIifEEZZNS1_16scan_by_key_implILNS1_25lookback_scan_determinismE0ELb1ES3_N6thrust23THRUST_200600_302600_NS6detail15normal_iteratorINS9_10device_ptrIiEEEENSB_INSC_IjEEEENSB_INSC_IfEEEEfNS9_4plusIvEENS9_8equal_toIvEEfEE10hipError_tPvRmT2_T3_T4_T5_mT6_T7_P12ihipStream_tbENKUlT_T0_E_clISt17integral_constantIbLb0EES12_IbLb1EEEEDaSY_SZ_EUlSY_E_NS1_11comp_targetILNS1_3genE8ELNS1_11target_archE1030ELNS1_3gpuE2ELNS1_3repE0EEENS1_30default_config_static_selectorELNS0_4arch9wavefront6targetE1EEEvT1_
		.amdhsa_group_segment_fixed_size 0
		.amdhsa_private_segment_fixed_size 0
		.amdhsa_kernarg_size 112
		.amdhsa_user_sgpr_count 6
		.amdhsa_user_sgpr_private_segment_buffer 1
		.amdhsa_user_sgpr_dispatch_ptr 0
		.amdhsa_user_sgpr_queue_ptr 0
		.amdhsa_user_sgpr_kernarg_segment_ptr 1
		.amdhsa_user_sgpr_dispatch_id 0
		.amdhsa_user_sgpr_flat_scratch_init 0
		.amdhsa_user_sgpr_kernarg_preload_length 0
		.amdhsa_user_sgpr_kernarg_preload_offset 0
		.amdhsa_user_sgpr_private_segment_size 0
		.amdhsa_uses_dynamic_stack 0
		.amdhsa_system_sgpr_private_segment_wavefront_offset 0
		.amdhsa_system_sgpr_workgroup_id_x 1
		.amdhsa_system_sgpr_workgroup_id_y 0
		.amdhsa_system_sgpr_workgroup_id_z 0
		.amdhsa_system_sgpr_workgroup_info 0
		.amdhsa_system_vgpr_workitem_id 0
		.amdhsa_next_free_vgpr 1
		.amdhsa_next_free_sgpr 0
		.amdhsa_accum_offset 4
		.amdhsa_reserve_vcc 0
		.amdhsa_reserve_flat_scratch 0
		.amdhsa_float_round_mode_32 0
		.amdhsa_float_round_mode_16_64 0
		.amdhsa_float_denorm_mode_32 3
		.amdhsa_float_denorm_mode_16_64 3
		.amdhsa_dx10_clamp 1
		.amdhsa_ieee_mode 1
		.amdhsa_fp16_overflow 0
		.amdhsa_tg_split 0
		.amdhsa_exception_fp_ieee_invalid_op 0
		.amdhsa_exception_fp_denorm_src 0
		.amdhsa_exception_fp_ieee_div_zero 0
		.amdhsa_exception_fp_ieee_overflow 0
		.amdhsa_exception_fp_ieee_underflow 0
		.amdhsa_exception_fp_ieee_inexact 0
		.amdhsa_exception_int_div_zero 0
	.end_amdhsa_kernel
	.section	.text._ZN7rocprim17ROCPRIM_400000_NS6detail17trampoline_kernelINS0_14default_configENS1_27scan_by_key_config_selectorIifEEZZNS1_16scan_by_key_implILNS1_25lookback_scan_determinismE0ELb1ES3_N6thrust23THRUST_200600_302600_NS6detail15normal_iteratorINS9_10device_ptrIiEEEENSB_INSC_IjEEEENSB_INSC_IfEEEEfNS9_4plusIvEENS9_8equal_toIvEEfEE10hipError_tPvRmT2_T3_T4_T5_mT6_T7_P12ihipStream_tbENKUlT_T0_E_clISt17integral_constantIbLb0EES12_IbLb1EEEEDaSY_SZ_EUlSY_E_NS1_11comp_targetILNS1_3genE8ELNS1_11target_archE1030ELNS1_3gpuE2ELNS1_3repE0EEENS1_30default_config_static_selectorELNS0_4arch9wavefront6targetE1EEEvT1_,"axG",@progbits,_ZN7rocprim17ROCPRIM_400000_NS6detail17trampoline_kernelINS0_14default_configENS1_27scan_by_key_config_selectorIifEEZZNS1_16scan_by_key_implILNS1_25lookback_scan_determinismE0ELb1ES3_N6thrust23THRUST_200600_302600_NS6detail15normal_iteratorINS9_10device_ptrIiEEEENSB_INSC_IjEEEENSB_INSC_IfEEEEfNS9_4plusIvEENS9_8equal_toIvEEfEE10hipError_tPvRmT2_T3_T4_T5_mT6_T7_P12ihipStream_tbENKUlT_T0_E_clISt17integral_constantIbLb0EES12_IbLb1EEEEDaSY_SZ_EUlSY_E_NS1_11comp_targetILNS1_3genE8ELNS1_11target_archE1030ELNS1_3gpuE2ELNS1_3repE0EEENS1_30default_config_static_selectorELNS0_4arch9wavefront6targetE1EEEvT1_,comdat
.Lfunc_end1715:
	.size	_ZN7rocprim17ROCPRIM_400000_NS6detail17trampoline_kernelINS0_14default_configENS1_27scan_by_key_config_selectorIifEEZZNS1_16scan_by_key_implILNS1_25lookback_scan_determinismE0ELb1ES3_N6thrust23THRUST_200600_302600_NS6detail15normal_iteratorINS9_10device_ptrIiEEEENSB_INSC_IjEEEENSB_INSC_IfEEEEfNS9_4plusIvEENS9_8equal_toIvEEfEE10hipError_tPvRmT2_T3_T4_T5_mT6_T7_P12ihipStream_tbENKUlT_T0_E_clISt17integral_constantIbLb0EES12_IbLb1EEEEDaSY_SZ_EUlSY_E_NS1_11comp_targetILNS1_3genE8ELNS1_11target_archE1030ELNS1_3gpuE2ELNS1_3repE0EEENS1_30default_config_static_selectorELNS0_4arch9wavefront6targetE1EEEvT1_, .Lfunc_end1715-_ZN7rocprim17ROCPRIM_400000_NS6detail17trampoline_kernelINS0_14default_configENS1_27scan_by_key_config_selectorIifEEZZNS1_16scan_by_key_implILNS1_25lookback_scan_determinismE0ELb1ES3_N6thrust23THRUST_200600_302600_NS6detail15normal_iteratorINS9_10device_ptrIiEEEENSB_INSC_IjEEEENSB_INSC_IfEEEEfNS9_4plusIvEENS9_8equal_toIvEEfEE10hipError_tPvRmT2_T3_T4_T5_mT6_T7_P12ihipStream_tbENKUlT_T0_E_clISt17integral_constantIbLb0EES12_IbLb1EEEEDaSY_SZ_EUlSY_E_NS1_11comp_targetILNS1_3genE8ELNS1_11target_archE1030ELNS1_3gpuE2ELNS1_3repE0EEENS1_30default_config_static_selectorELNS0_4arch9wavefront6targetE1EEEvT1_
                                        ; -- End function
	.section	.AMDGPU.csdata,"",@progbits
; Kernel info:
; codeLenInByte = 0
; NumSgprs: 4
; NumVgprs: 0
; NumAgprs: 0
; TotalNumVgprs: 0
; ScratchSize: 0
; MemoryBound: 0
; FloatMode: 240
; IeeeMode: 1
; LDSByteSize: 0 bytes/workgroup (compile time only)
; SGPRBlocks: 0
; VGPRBlocks: 0
; NumSGPRsForWavesPerEU: 4
; NumVGPRsForWavesPerEU: 1
; AccumOffset: 4
; Occupancy: 8
; WaveLimiterHint : 0
; COMPUTE_PGM_RSRC2:SCRATCH_EN: 0
; COMPUTE_PGM_RSRC2:USER_SGPR: 6
; COMPUTE_PGM_RSRC2:TRAP_HANDLER: 0
; COMPUTE_PGM_RSRC2:TGID_X_EN: 1
; COMPUTE_PGM_RSRC2:TGID_Y_EN: 0
; COMPUTE_PGM_RSRC2:TGID_Z_EN: 0
; COMPUTE_PGM_RSRC2:TIDIG_COMP_CNT: 0
; COMPUTE_PGM_RSRC3_GFX90A:ACCUM_OFFSET: 0
; COMPUTE_PGM_RSRC3_GFX90A:TG_SPLIT: 0
	.section	.text._ZN7rocprim17ROCPRIM_400000_NS6detail17trampoline_kernelINS0_14default_configENS1_27scan_by_key_config_selectorIiiEEZZNS1_16scan_by_key_implILNS1_25lookback_scan_determinismE0ELb1ES3_N6thrust23THRUST_200600_302600_NS6detail15normal_iteratorINS9_10device_ptrIiEEEENSB_INSC_IjEEEENSB_INSC_IfEEEEiNS9_4plusIvEENS9_8equal_toIvEEiEE10hipError_tPvRmT2_T3_T4_T5_mT6_T7_P12ihipStream_tbENKUlT_T0_E_clISt17integral_constantIbLb0EES13_EEDaSY_SZ_EUlSY_E_NS1_11comp_targetILNS1_3genE0ELNS1_11target_archE4294967295ELNS1_3gpuE0ELNS1_3repE0EEENS1_30default_config_static_selectorELNS0_4arch9wavefront6targetE1EEEvT1_,"axG",@progbits,_ZN7rocprim17ROCPRIM_400000_NS6detail17trampoline_kernelINS0_14default_configENS1_27scan_by_key_config_selectorIiiEEZZNS1_16scan_by_key_implILNS1_25lookback_scan_determinismE0ELb1ES3_N6thrust23THRUST_200600_302600_NS6detail15normal_iteratorINS9_10device_ptrIiEEEENSB_INSC_IjEEEENSB_INSC_IfEEEEiNS9_4plusIvEENS9_8equal_toIvEEiEE10hipError_tPvRmT2_T3_T4_T5_mT6_T7_P12ihipStream_tbENKUlT_T0_E_clISt17integral_constantIbLb0EES13_EEDaSY_SZ_EUlSY_E_NS1_11comp_targetILNS1_3genE0ELNS1_11target_archE4294967295ELNS1_3gpuE0ELNS1_3repE0EEENS1_30default_config_static_selectorELNS0_4arch9wavefront6targetE1EEEvT1_,comdat
	.protected	_ZN7rocprim17ROCPRIM_400000_NS6detail17trampoline_kernelINS0_14default_configENS1_27scan_by_key_config_selectorIiiEEZZNS1_16scan_by_key_implILNS1_25lookback_scan_determinismE0ELb1ES3_N6thrust23THRUST_200600_302600_NS6detail15normal_iteratorINS9_10device_ptrIiEEEENSB_INSC_IjEEEENSB_INSC_IfEEEEiNS9_4plusIvEENS9_8equal_toIvEEiEE10hipError_tPvRmT2_T3_T4_T5_mT6_T7_P12ihipStream_tbENKUlT_T0_E_clISt17integral_constantIbLb0EES13_EEDaSY_SZ_EUlSY_E_NS1_11comp_targetILNS1_3genE0ELNS1_11target_archE4294967295ELNS1_3gpuE0ELNS1_3repE0EEENS1_30default_config_static_selectorELNS0_4arch9wavefront6targetE1EEEvT1_ ; -- Begin function _ZN7rocprim17ROCPRIM_400000_NS6detail17trampoline_kernelINS0_14default_configENS1_27scan_by_key_config_selectorIiiEEZZNS1_16scan_by_key_implILNS1_25lookback_scan_determinismE0ELb1ES3_N6thrust23THRUST_200600_302600_NS6detail15normal_iteratorINS9_10device_ptrIiEEEENSB_INSC_IjEEEENSB_INSC_IfEEEEiNS9_4plusIvEENS9_8equal_toIvEEiEE10hipError_tPvRmT2_T3_T4_T5_mT6_T7_P12ihipStream_tbENKUlT_T0_E_clISt17integral_constantIbLb0EES13_EEDaSY_SZ_EUlSY_E_NS1_11comp_targetILNS1_3genE0ELNS1_11target_archE4294967295ELNS1_3gpuE0ELNS1_3repE0EEENS1_30default_config_static_selectorELNS0_4arch9wavefront6targetE1EEEvT1_
	.globl	_ZN7rocprim17ROCPRIM_400000_NS6detail17trampoline_kernelINS0_14default_configENS1_27scan_by_key_config_selectorIiiEEZZNS1_16scan_by_key_implILNS1_25lookback_scan_determinismE0ELb1ES3_N6thrust23THRUST_200600_302600_NS6detail15normal_iteratorINS9_10device_ptrIiEEEENSB_INSC_IjEEEENSB_INSC_IfEEEEiNS9_4plusIvEENS9_8equal_toIvEEiEE10hipError_tPvRmT2_T3_T4_T5_mT6_T7_P12ihipStream_tbENKUlT_T0_E_clISt17integral_constantIbLb0EES13_EEDaSY_SZ_EUlSY_E_NS1_11comp_targetILNS1_3genE0ELNS1_11target_archE4294967295ELNS1_3gpuE0ELNS1_3repE0EEENS1_30default_config_static_selectorELNS0_4arch9wavefront6targetE1EEEvT1_
	.p2align	8
	.type	_ZN7rocprim17ROCPRIM_400000_NS6detail17trampoline_kernelINS0_14default_configENS1_27scan_by_key_config_selectorIiiEEZZNS1_16scan_by_key_implILNS1_25lookback_scan_determinismE0ELb1ES3_N6thrust23THRUST_200600_302600_NS6detail15normal_iteratorINS9_10device_ptrIiEEEENSB_INSC_IjEEEENSB_INSC_IfEEEEiNS9_4plusIvEENS9_8equal_toIvEEiEE10hipError_tPvRmT2_T3_T4_T5_mT6_T7_P12ihipStream_tbENKUlT_T0_E_clISt17integral_constantIbLb0EES13_EEDaSY_SZ_EUlSY_E_NS1_11comp_targetILNS1_3genE0ELNS1_11target_archE4294967295ELNS1_3gpuE0ELNS1_3repE0EEENS1_30default_config_static_selectorELNS0_4arch9wavefront6targetE1EEEvT1_,@function
_ZN7rocprim17ROCPRIM_400000_NS6detail17trampoline_kernelINS0_14default_configENS1_27scan_by_key_config_selectorIiiEEZZNS1_16scan_by_key_implILNS1_25lookback_scan_determinismE0ELb1ES3_N6thrust23THRUST_200600_302600_NS6detail15normal_iteratorINS9_10device_ptrIiEEEENSB_INSC_IjEEEENSB_INSC_IfEEEEiNS9_4plusIvEENS9_8equal_toIvEEiEE10hipError_tPvRmT2_T3_T4_T5_mT6_T7_P12ihipStream_tbENKUlT_T0_E_clISt17integral_constantIbLb0EES13_EEDaSY_SZ_EUlSY_E_NS1_11comp_targetILNS1_3genE0ELNS1_11target_archE4294967295ELNS1_3gpuE0ELNS1_3repE0EEENS1_30default_config_static_selectorELNS0_4arch9wavefront6targetE1EEEvT1_: ; @_ZN7rocprim17ROCPRIM_400000_NS6detail17trampoline_kernelINS0_14default_configENS1_27scan_by_key_config_selectorIiiEEZZNS1_16scan_by_key_implILNS1_25lookback_scan_determinismE0ELb1ES3_N6thrust23THRUST_200600_302600_NS6detail15normal_iteratorINS9_10device_ptrIiEEEENSB_INSC_IjEEEENSB_INSC_IfEEEEiNS9_4plusIvEENS9_8equal_toIvEEiEE10hipError_tPvRmT2_T3_T4_T5_mT6_T7_P12ihipStream_tbENKUlT_T0_E_clISt17integral_constantIbLb0EES13_EEDaSY_SZ_EUlSY_E_NS1_11comp_targetILNS1_3genE0ELNS1_11target_archE4294967295ELNS1_3gpuE0ELNS1_3repE0EEENS1_30default_config_static_selectorELNS0_4arch9wavefront6targetE1EEEvT1_
; %bb.0:
	.section	.rodata,"a",@progbits
	.p2align	6, 0x0
	.amdhsa_kernel _ZN7rocprim17ROCPRIM_400000_NS6detail17trampoline_kernelINS0_14default_configENS1_27scan_by_key_config_selectorIiiEEZZNS1_16scan_by_key_implILNS1_25lookback_scan_determinismE0ELb1ES3_N6thrust23THRUST_200600_302600_NS6detail15normal_iteratorINS9_10device_ptrIiEEEENSB_INSC_IjEEEENSB_INSC_IfEEEEiNS9_4plusIvEENS9_8equal_toIvEEiEE10hipError_tPvRmT2_T3_T4_T5_mT6_T7_P12ihipStream_tbENKUlT_T0_E_clISt17integral_constantIbLb0EES13_EEDaSY_SZ_EUlSY_E_NS1_11comp_targetILNS1_3genE0ELNS1_11target_archE4294967295ELNS1_3gpuE0ELNS1_3repE0EEENS1_30default_config_static_selectorELNS0_4arch9wavefront6targetE1EEEvT1_
		.amdhsa_group_segment_fixed_size 0
		.amdhsa_private_segment_fixed_size 0
		.amdhsa_kernarg_size 112
		.amdhsa_user_sgpr_count 6
		.amdhsa_user_sgpr_private_segment_buffer 1
		.amdhsa_user_sgpr_dispatch_ptr 0
		.amdhsa_user_sgpr_queue_ptr 0
		.amdhsa_user_sgpr_kernarg_segment_ptr 1
		.amdhsa_user_sgpr_dispatch_id 0
		.amdhsa_user_sgpr_flat_scratch_init 0
		.amdhsa_user_sgpr_kernarg_preload_length 0
		.amdhsa_user_sgpr_kernarg_preload_offset 0
		.amdhsa_user_sgpr_private_segment_size 0
		.amdhsa_uses_dynamic_stack 0
		.amdhsa_system_sgpr_private_segment_wavefront_offset 0
		.amdhsa_system_sgpr_workgroup_id_x 1
		.amdhsa_system_sgpr_workgroup_id_y 0
		.amdhsa_system_sgpr_workgroup_id_z 0
		.amdhsa_system_sgpr_workgroup_info 0
		.amdhsa_system_vgpr_workitem_id 0
		.amdhsa_next_free_vgpr 1
		.amdhsa_next_free_sgpr 0
		.amdhsa_accum_offset 4
		.amdhsa_reserve_vcc 0
		.amdhsa_reserve_flat_scratch 0
		.amdhsa_float_round_mode_32 0
		.amdhsa_float_round_mode_16_64 0
		.amdhsa_float_denorm_mode_32 3
		.amdhsa_float_denorm_mode_16_64 3
		.amdhsa_dx10_clamp 1
		.amdhsa_ieee_mode 1
		.amdhsa_fp16_overflow 0
		.amdhsa_tg_split 0
		.amdhsa_exception_fp_ieee_invalid_op 0
		.amdhsa_exception_fp_denorm_src 0
		.amdhsa_exception_fp_ieee_div_zero 0
		.amdhsa_exception_fp_ieee_overflow 0
		.amdhsa_exception_fp_ieee_underflow 0
		.amdhsa_exception_fp_ieee_inexact 0
		.amdhsa_exception_int_div_zero 0
	.end_amdhsa_kernel
	.section	.text._ZN7rocprim17ROCPRIM_400000_NS6detail17trampoline_kernelINS0_14default_configENS1_27scan_by_key_config_selectorIiiEEZZNS1_16scan_by_key_implILNS1_25lookback_scan_determinismE0ELb1ES3_N6thrust23THRUST_200600_302600_NS6detail15normal_iteratorINS9_10device_ptrIiEEEENSB_INSC_IjEEEENSB_INSC_IfEEEEiNS9_4plusIvEENS9_8equal_toIvEEiEE10hipError_tPvRmT2_T3_T4_T5_mT6_T7_P12ihipStream_tbENKUlT_T0_E_clISt17integral_constantIbLb0EES13_EEDaSY_SZ_EUlSY_E_NS1_11comp_targetILNS1_3genE0ELNS1_11target_archE4294967295ELNS1_3gpuE0ELNS1_3repE0EEENS1_30default_config_static_selectorELNS0_4arch9wavefront6targetE1EEEvT1_,"axG",@progbits,_ZN7rocprim17ROCPRIM_400000_NS6detail17trampoline_kernelINS0_14default_configENS1_27scan_by_key_config_selectorIiiEEZZNS1_16scan_by_key_implILNS1_25lookback_scan_determinismE0ELb1ES3_N6thrust23THRUST_200600_302600_NS6detail15normal_iteratorINS9_10device_ptrIiEEEENSB_INSC_IjEEEENSB_INSC_IfEEEEiNS9_4plusIvEENS9_8equal_toIvEEiEE10hipError_tPvRmT2_T3_T4_T5_mT6_T7_P12ihipStream_tbENKUlT_T0_E_clISt17integral_constantIbLb0EES13_EEDaSY_SZ_EUlSY_E_NS1_11comp_targetILNS1_3genE0ELNS1_11target_archE4294967295ELNS1_3gpuE0ELNS1_3repE0EEENS1_30default_config_static_selectorELNS0_4arch9wavefront6targetE1EEEvT1_,comdat
.Lfunc_end1716:
	.size	_ZN7rocprim17ROCPRIM_400000_NS6detail17trampoline_kernelINS0_14default_configENS1_27scan_by_key_config_selectorIiiEEZZNS1_16scan_by_key_implILNS1_25lookback_scan_determinismE0ELb1ES3_N6thrust23THRUST_200600_302600_NS6detail15normal_iteratorINS9_10device_ptrIiEEEENSB_INSC_IjEEEENSB_INSC_IfEEEEiNS9_4plusIvEENS9_8equal_toIvEEiEE10hipError_tPvRmT2_T3_T4_T5_mT6_T7_P12ihipStream_tbENKUlT_T0_E_clISt17integral_constantIbLb0EES13_EEDaSY_SZ_EUlSY_E_NS1_11comp_targetILNS1_3genE0ELNS1_11target_archE4294967295ELNS1_3gpuE0ELNS1_3repE0EEENS1_30default_config_static_selectorELNS0_4arch9wavefront6targetE1EEEvT1_, .Lfunc_end1716-_ZN7rocprim17ROCPRIM_400000_NS6detail17trampoline_kernelINS0_14default_configENS1_27scan_by_key_config_selectorIiiEEZZNS1_16scan_by_key_implILNS1_25lookback_scan_determinismE0ELb1ES3_N6thrust23THRUST_200600_302600_NS6detail15normal_iteratorINS9_10device_ptrIiEEEENSB_INSC_IjEEEENSB_INSC_IfEEEEiNS9_4plusIvEENS9_8equal_toIvEEiEE10hipError_tPvRmT2_T3_T4_T5_mT6_T7_P12ihipStream_tbENKUlT_T0_E_clISt17integral_constantIbLb0EES13_EEDaSY_SZ_EUlSY_E_NS1_11comp_targetILNS1_3genE0ELNS1_11target_archE4294967295ELNS1_3gpuE0ELNS1_3repE0EEENS1_30default_config_static_selectorELNS0_4arch9wavefront6targetE1EEEvT1_
                                        ; -- End function
	.section	.AMDGPU.csdata,"",@progbits
; Kernel info:
; codeLenInByte = 0
; NumSgprs: 4
; NumVgprs: 0
; NumAgprs: 0
; TotalNumVgprs: 0
; ScratchSize: 0
; MemoryBound: 0
; FloatMode: 240
; IeeeMode: 1
; LDSByteSize: 0 bytes/workgroup (compile time only)
; SGPRBlocks: 0
; VGPRBlocks: 0
; NumSGPRsForWavesPerEU: 4
; NumVGPRsForWavesPerEU: 1
; AccumOffset: 4
; Occupancy: 8
; WaveLimiterHint : 0
; COMPUTE_PGM_RSRC2:SCRATCH_EN: 0
; COMPUTE_PGM_RSRC2:USER_SGPR: 6
; COMPUTE_PGM_RSRC2:TRAP_HANDLER: 0
; COMPUTE_PGM_RSRC2:TGID_X_EN: 1
; COMPUTE_PGM_RSRC2:TGID_Y_EN: 0
; COMPUTE_PGM_RSRC2:TGID_Z_EN: 0
; COMPUTE_PGM_RSRC2:TIDIG_COMP_CNT: 0
; COMPUTE_PGM_RSRC3_GFX90A:ACCUM_OFFSET: 0
; COMPUTE_PGM_RSRC3_GFX90A:TG_SPLIT: 0
	.section	.text._ZN7rocprim17ROCPRIM_400000_NS6detail17trampoline_kernelINS0_14default_configENS1_27scan_by_key_config_selectorIiiEEZZNS1_16scan_by_key_implILNS1_25lookback_scan_determinismE0ELb1ES3_N6thrust23THRUST_200600_302600_NS6detail15normal_iteratorINS9_10device_ptrIiEEEENSB_INSC_IjEEEENSB_INSC_IfEEEEiNS9_4plusIvEENS9_8equal_toIvEEiEE10hipError_tPvRmT2_T3_T4_T5_mT6_T7_P12ihipStream_tbENKUlT_T0_E_clISt17integral_constantIbLb0EES13_EEDaSY_SZ_EUlSY_E_NS1_11comp_targetILNS1_3genE10ELNS1_11target_archE1201ELNS1_3gpuE5ELNS1_3repE0EEENS1_30default_config_static_selectorELNS0_4arch9wavefront6targetE1EEEvT1_,"axG",@progbits,_ZN7rocprim17ROCPRIM_400000_NS6detail17trampoline_kernelINS0_14default_configENS1_27scan_by_key_config_selectorIiiEEZZNS1_16scan_by_key_implILNS1_25lookback_scan_determinismE0ELb1ES3_N6thrust23THRUST_200600_302600_NS6detail15normal_iteratorINS9_10device_ptrIiEEEENSB_INSC_IjEEEENSB_INSC_IfEEEEiNS9_4plusIvEENS9_8equal_toIvEEiEE10hipError_tPvRmT2_T3_T4_T5_mT6_T7_P12ihipStream_tbENKUlT_T0_E_clISt17integral_constantIbLb0EES13_EEDaSY_SZ_EUlSY_E_NS1_11comp_targetILNS1_3genE10ELNS1_11target_archE1201ELNS1_3gpuE5ELNS1_3repE0EEENS1_30default_config_static_selectorELNS0_4arch9wavefront6targetE1EEEvT1_,comdat
	.protected	_ZN7rocprim17ROCPRIM_400000_NS6detail17trampoline_kernelINS0_14default_configENS1_27scan_by_key_config_selectorIiiEEZZNS1_16scan_by_key_implILNS1_25lookback_scan_determinismE0ELb1ES3_N6thrust23THRUST_200600_302600_NS6detail15normal_iteratorINS9_10device_ptrIiEEEENSB_INSC_IjEEEENSB_INSC_IfEEEEiNS9_4plusIvEENS9_8equal_toIvEEiEE10hipError_tPvRmT2_T3_T4_T5_mT6_T7_P12ihipStream_tbENKUlT_T0_E_clISt17integral_constantIbLb0EES13_EEDaSY_SZ_EUlSY_E_NS1_11comp_targetILNS1_3genE10ELNS1_11target_archE1201ELNS1_3gpuE5ELNS1_3repE0EEENS1_30default_config_static_selectorELNS0_4arch9wavefront6targetE1EEEvT1_ ; -- Begin function _ZN7rocprim17ROCPRIM_400000_NS6detail17trampoline_kernelINS0_14default_configENS1_27scan_by_key_config_selectorIiiEEZZNS1_16scan_by_key_implILNS1_25lookback_scan_determinismE0ELb1ES3_N6thrust23THRUST_200600_302600_NS6detail15normal_iteratorINS9_10device_ptrIiEEEENSB_INSC_IjEEEENSB_INSC_IfEEEEiNS9_4plusIvEENS9_8equal_toIvEEiEE10hipError_tPvRmT2_T3_T4_T5_mT6_T7_P12ihipStream_tbENKUlT_T0_E_clISt17integral_constantIbLb0EES13_EEDaSY_SZ_EUlSY_E_NS1_11comp_targetILNS1_3genE10ELNS1_11target_archE1201ELNS1_3gpuE5ELNS1_3repE0EEENS1_30default_config_static_selectorELNS0_4arch9wavefront6targetE1EEEvT1_
	.globl	_ZN7rocprim17ROCPRIM_400000_NS6detail17trampoline_kernelINS0_14default_configENS1_27scan_by_key_config_selectorIiiEEZZNS1_16scan_by_key_implILNS1_25lookback_scan_determinismE0ELb1ES3_N6thrust23THRUST_200600_302600_NS6detail15normal_iteratorINS9_10device_ptrIiEEEENSB_INSC_IjEEEENSB_INSC_IfEEEEiNS9_4plusIvEENS9_8equal_toIvEEiEE10hipError_tPvRmT2_T3_T4_T5_mT6_T7_P12ihipStream_tbENKUlT_T0_E_clISt17integral_constantIbLb0EES13_EEDaSY_SZ_EUlSY_E_NS1_11comp_targetILNS1_3genE10ELNS1_11target_archE1201ELNS1_3gpuE5ELNS1_3repE0EEENS1_30default_config_static_selectorELNS0_4arch9wavefront6targetE1EEEvT1_
	.p2align	8
	.type	_ZN7rocprim17ROCPRIM_400000_NS6detail17trampoline_kernelINS0_14default_configENS1_27scan_by_key_config_selectorIiiEEZZNS1_16scan_by_key_implILNS1_25lookback_scan_determinismE0ELb1ES3_N6thrust23THRUST_200600_302600_NS6detail15normal_iteratorINS9_10device_ptrIiEEEENSB_INSC_IjEEEENSB_INSC_IfEEEEiNS9_4plusIvEENS9_8equal_toIvEEiEE10hipError_tPvRmT2_T3_T4_T5_mT6_T7_P12ihipStream_tbENKUlT_T0_E_clISt17integral_constantIbLb0EES13_EEDaSY_SZ_EUlSY_E_NS1_11comp_targetILNS1_3genE10ELNS1_11target_archE1201ELNS1_3gpuE5ELNS1_3repE0EEENS1_30default_config_static_selectorELNS0_4arch9wavefront6targetE1EEEvT1_,@function
_ZN7rocprim17ROCPRIM_400000_NS6detail17trampoline_kernelINS0_14default_configENS1_27scan_by_key_config_selectorIiiEEZZNS1_16scan_by_key_implILNS1_25lookback_scan_determinismE0ELb1ES3_N6thrust23THRUST_200600_302600_NS6detail15normal_iteratorINS9_10device_ptrIiEEEENSB_INSC_IjEEEENSB_INSC_IfEEEEiNS9_4plusIvEENS9_8equal_toIvEEiEE10hipError_tPvRmT2_T3_T4_T5_mT6_T7_P12ihipStream_tbENKUlT_T0_E_clISt17integral_constantIbLb0EES13_EEDaSY_SZ_EUlSY_E_NS1_11comp_targetILNS1_3genE10ELNS1_11target_archE1201ELNS1_3gpuE5ELNS1_3repE0EEENS1_30default_config_static_selectorELNS0_4arch9wavefront6targetE1EEEvT1_: ; @_ZN7rocprim17ROCPRIM_400000_NS6detail17trampoline_kernelINS0_14default_configENS1_27scan_by_key_config_selectorIiiEEZZNS1_16scan_by_key_implILNS1_25lookback_scan_determinismE0ELb1ES3_N6thrust23THRUST_200600_302600_NS6detail15normal_iteratorINS9_10device_ptrIiEEEENSB_INSC_IjEEEENSB_INSC_IfEEEEiNS9_4plusIvEENS9_8equal_toIvEEiEE10hipError_tPvRmT2_T3_T4_T5_mT6_T7_P12ihipStream_tbENKUlT_T0_E_clISt17integral_constantIbLb0EES13_EEDaSY_SZ_EUlSY_E_NS1_11comp_targetILNS1_3genE10ELNS1_11target_archE1201ELNS1_3gpuE5ELNS1_3repE0EEENS1_30default_config_static_selectorELNS0_4arch9wavefront6targetE1EEEvT1_
; %bb.0:
	.section	.rodata,"a",@progbits
	.p2align	6, 0x0
	.amdhsa_kernel _ZN7rocprim17ROCPRIM_400000_NS6detail17trampoline_kernelINS0_14default_configENS1_27scan_by_key_config_selectorIiiEEZZNS1_16scan_by_key_implILNS1_25lookback_scan_determinismE0ELb1ES3_N6thrust23THRUST_200600_302600_NS6detail15normal_iteratorINS9_10device_ptrIiEEEENSB_INSC_IjEEEENSB_INSC_IfEEEEiNS9_4plusIvEENS9_8equal_toIvEEiEE10hipError_tPvRmT2_T3_T4_T5_mT6_T7_P12ihipStream_tbENKUlT_T0_E_clISt17integral_constantIbLb0EES13_EEDaSY_SZ_EUlSY_E_NS1_11comp_targetILNS1_3genE10ELNS1_11target_archE1201ELNS1_3gpuE5ELNS1_3repE0EEENS1_30default_config_static_selectorELNS0_4arch9wavefront6targetE1EEEvT1_
		.amdhsa_group_segment_fixed_size 0
		.amdhsa_private_segment_fixed_size 0
		.amdhsa_kernarg_size 112
		.amdhsa_user_sgpr_count 6
		.amdhsa_user_sgpr_private_segment_buffer 1
		.amdhsa_user_sgpr_dispatch_ptr 0
		.amdhsa_user_sgpr_queue_ptr 0
		.amdhsa_user_sgpr_kernarg_segment_ptr 1
		.amdhsa_user_sgpr_dispatch_id 0
		.amdhsa_user_sgpr_flat_scratch_init 0
		.amdhsa_user_sgpr_kernarg_preload_length 0
		.amdhsa_user_sgpr_kernarg_preload_offset 0
		.amdhsa_user_sgpr_private_segment_size 0
		.amdhsa_uses_dynamic_stack 0
		.amdhsa_system_sgpr_private_segment_wavefront_offset 0
		.amdhsa_system_sgpr_workgroup_id_x 1
		.amdhsa_system_sgpr_workgroup_id_y 0
		.amdhsa_system_sgpr_workgroup_id_z 0
		.amdhsa_system_sgpr_workgroup_info 0
		.amdhsa_system_vgpr_workitem_id 0
		.amdhsa_next_free_vgpr 1
		.amdhsa_next_free_sgpr 0
		.amdhsa_accum_offset 4
		.amdhsa_reserve_vcc 0
		.amdhsa_reserve_flat_scratch 0
		.amdhsa_float_round_mode_32 0
		.amdhsa_float_round_mode_16_64 0
		.amdhsa_float_denorm_mode_32 3
		.amdhsa_float_denorm_mode_16_64 3
		.amdhsa_dx10_clamp 1
		.amdhsa_ieee_mode 1
		.amdhsa_fp16_overflow 0
		.amdhsa_tg_split 0
		.amdhsa_exception_fp_ieee_invalid_op 0
		.amdhsa_exception_fp_denorm_src 0
		.amdhsa_exception_fp_ieee_div_zero 0
		.amdhsa_exception_fp_ieee_overflow 0
		.amdhsa_exception_fp_ieee_underflow 0
		.amdhsa_exception_fp_ieee_inexact 0
		.amdhsa_exception_int_div_zero 0
	.end_amdhsa_kernel
	.section	.text._ZN7rocprim17ROCPRIM_400000_NS6detail17trampoline_kernelINS0_14default_configENS1_27scan_by_key_config_selectorIiiEEZZNS1_16scan_by_key_implILNS1_25lookback_scan_determinismE0ELb1ES3_N6thrust23THRUST_200600_302600_NS6detail15normal_iteratorINS9_10device_ptrIiEEEENSB_INSC_IjEEEENSB_INSC_IfEEEEiNS9_4plusIvEENS9_8equal_toIvEEiEE10hipError_tPvRmT2_T3_T4_T5_mT6_T7_P12ihipStream_tbENKUlT_T0_E_clISt17integral_constantIbLb0EES13_EEDaSY_SZ_EUlSY_E_NS1_11comp_targetILNS1_3genE10ELNS1_11target_archE1201ELNS1_3gpuE5ELNS1_3repE0EEENS1_30default_config_static_selectorELNS0_4arch9wavefront6targetE1EEEvT1_,"axG",@progbits,_ZN7rocprim17ROCPRIM_400000_NS6detail17trampoline_kernelINS0_14default_configENS1_27scan_by_key_config_selectorIiiEEZZNS1_16scan_by_key_implILNS1_25lookback_scan_determinismE0ELb1ES3_N6thrust23THRUST_200600_302600_NS6detail15normal_iteratorINS9_10device_ptrIiEEEENSB_INSC_IjEEEENSB_INSC_IfEEEEiNS9_4plusIvEENS9_8equal_toIvEEiEE10hipError_tPvRmT2_T3_T4_T5_mT6_T7_P12ihipStream_tbENKUlT_T0_E_clISt17integral_constantIbLb0EES13_EEDaSY_SZ_EUlSY_E_NS1_11comp_targetILNS1_3genE10ELNS1_11target_archE1201ELNS1_3gpuE5ELNS1_3repE0EEENS1_30default_config_static_selectorELNS0_4arch9wavefront6targetE1EEEvT1_,comdat
.Lfunc_end1717:
	.size	_ZN7rocprim17ROCPRIM_400000_NS6detail17trampoline_kernelINS0_14default_configENS1_27scan_by_key_config_selectorIiiEEZZNS1_16scan_by_key_implILNS1_25lookback_scan_determinismE0ELb1ES3_N6thrust23THRUST_200600_302600_NS6detail15normal_iteratorINS9_10device_ptrIiEEEENSB_INSC_IjEEEENSB_INSC_IfEEEEiNS9_4plusIvEENS9_8equal_toIvEEiEE10hipError_tPvRmT2_T3_T4_T5_mT6_T7_P12ihipStream_tbENKUlT_T0_E_clISt17integral_constantIbLb0EES13_EEDaSY_SZ_EUlSY_E_NS1_11comp_targetILNS1_3genE10ELNS1_11target_archE1201ELNS1_3gpuE5ELNS1_3repE0EEENS1_30default_config_static_selectorELNS0_4arch9wavefront6targetE1EEEvT1_, .Lfunc_end1717-_ZN7rocprim17ROCPRIM_400000_NS6detail17trampoline_kernelINS0_14default_configENS1_27scan_by_key_config_selectorIiiEEZZNS1_16scan_by_key_implILNS1_25lookback_scan_determinismE0ELb1ES3_N6thrust23THRUST_200600_302600_NS6detail15normal_iteratorINS9_10device_ptrIiEEEENSB_INSC_IjEEEENSB_INSC_IfEEEEiNS9_4plusIvEENS9_8equal_toIvEEiEE10hipError_tPvRmT2_T3_T4_T5_mT6_T7_P12ihipStream_tbENKUlT_T0_E_clISt17integral_constantIbLb0EES13_EEDaSY_SZ_EUlSY_E_NS1_11comp_targetILNS1_3genE10ELNS1_11target_archE1201ELNS1_3gpuE5ELNS1_3repE0EEENS1_30default_config_static_selectorELNS0_4arch9wavefront6targetE1EEEvT1_
                                        ; -- End function
	.section	.AMDGPU.csdata,"",@progbits
; Kernel info:
; codeLenInByte = 0
; NumSgprs: 4
; NumVgprs: 0
; NumAgprs: 0
; TotalNumVgprs: 0
; ScratchSize: 0
; MemoryBound: 0
; FloatMode: 240
; IeeeMode: 1
; LDSByteSize: 0 bytes/workgroup (compile time only)
; SGPRBlocks: 0
; VGPRBlocks: 0
; NumSGPRsForWavesPerEU: 4
; NumVGPRsForWavesPerEU: 1
; AccumOffset: 4
; Occupancy: 8
; WaveLimiterHint : 0
; COMPUTE_PGM_RSRC2:SCRATCH_EN: 0
; COMPUTE_PGM_RSRC2:USER_SGPR: 6
; COMPUTE_PGM_RSRC2:TRAP_HANDLER: 0
; COMPUTE_PGM_RSRC2:TGID_X_EN: 1
; COMPUTE_PGM_RSRC2:TGID_Y_EN: 0
; COMPUTE_PGM_RSRC2:TGID_Z_EN: 0
; COMPUTE_PGM_RSRC2:TIDIG_COMP_CNT: 0
; COMPUTE_PGM_RSRC3_GFX90A:ACCUM_OFFSET: 0
; COMPUTE_PGM_RSRC3_GFX90A:TG_SPLIT: 0
	.section	.text._ZN7rocprim17ROCPRIM_400000_NS6detail17trampoline_kernelINS0_14default_configENS1_27scan_by_key_config_selectorIiiEEZZNS1_16scan_by_key_implILNS1_25lookback_scan_determinismE0ELb1ES3_N6thrust23THRUST_200600_302600_NS6detail15normal_iteratorINS9_10device_ptrIiEEEENSB_INSC_IjEEEENSB_INSC_IfEEEEiNS9_4plusIvEENS9_8equal_toIvEEiEE10hipError_tPvRmT2_T3_T4_T5_mT6_T7_P12ihipStream_tbENKUlT_T0_E_clISt17integral_constantIbLb0EES13_EEDaSY_SZ_EUlSY_E_NS1_11comp_targetILNS1_3genE5ELNS1_11target_archE942ELNS1_3gpuE9ELNS1_3repE0EEENS1_30default_config_static_selectorELNS0_4arch9wavefront6targetE1EEEvT1_,"axG",@progbits,_ZN7rocprim17ROCPRIM_400000_NS6detail17trampoline_kernelINS0_14default_configENS1_27scan_by_key_config_selectorIiiEEZZNS1_16scan_by_key_implILNS1_25lookback_scan_determinismE0ELb1ES3_N6thrust23THRUST_200600_302600_NS6detail15normal_iteratorINS9_10device_ptrIiEEEENSB_INSC_IjEEEENSB_INSC_IfEEEEiNS9_4plusIvEENS9_8equal_toIvEEiEE10hipError_tPvRmT2_T3_T4_T5_mT6_T7_P12ihipStream_tbENKUlT_T0_E_clISt17integral_constantIbLb0EES13_EEDaSY_SZ_EUlSY_E_NS1_11comp_targetILNS1_3genE5ELNS1_11target_archE942ELNS1_3gpuE9ELNS1_3repE0EEENS1_30default_config_static_selectorELNS0_4arch9wavefront6targetE1EEEvT1_,comdat
	.protected	_ZN7rocprim17ROCPRIM_400000_NS6detail17trampoline_kernelINS0_14default_configENS1_27scan_by_key_config_selectorIiiEEZZNS1_16scan_by_key_implILNS1_25lookback_scan_determinismE0ELb1ES3_N6thrust23THRUST_200600_302600_NS6detail15normal_iteratorINS9_10device_ptrIiEEEENSB_INSC_IjEEEENSB_INSC_IfEEEEiNS9_4plusIvEENS9_8equal_toIvEEiEE10hipError_tPvRmT2_T3_T4_T5_mT6_T7_P12ihipStream_tbENKUlT_T0_E_clISt17integral_constantIbLb0EES13_EEDaSY_SZ_EUlSY_E_NS1_11comp_targetILNS1_3genE5ELNS1_11target_archE942ELNS1_3gpuE9ELNS1_3repE0EEENS1_30default_config_static_selectorELNS0_4arch9wavefront6targetE1EEEvT1_ ; -- Begin function _ZN7rocprim17ROCPRIM_400000_NS6detail17trampoline_kernelINS0_14default_configENS1_27scan_by_key_config_selectorIiiEEZZNS1_16scan_by_key_implILNS1_25lookback_scan_determinismE0ELb1ES3_N6thrust23THRUST_200600_302600_NS6detail15normal_iteratorINS9_10device_ptrIiEEEENSB_INSC_IjEEEENSB_INSC_IfEEEEiNS9_4plusIvEENS9_8equal_toIvEEiEE10hipError_tPvRmT2_T3_T4_T5_mT6_T7_P12ihipStream_tbENKUlT_T0_E_clISt17integral_constantIbLb0EES13_EEDaSY_SZ_EUlSY_E_NS1_11comp_targetILNS1_3genE5ELNS1_11target_archE942ELNS1_3gpuE9ELNS1_3repE0EEENS1_30default_config_static_selectorELNS0_4arch9wavefront6targetE1EEEvT1_
	.globl	_ZN7rocprim17ROCPRIM_400000_NS6detail17trampoline_kernelINS0_14default_configENS1_27scan_by_key_config_selectorIiiEEZZNS1_16scan_by_key_implILNS1_25lookback_scan_determinismE0ELb1ES3_N6thrust23THRUST_200600_302600_NS6detail15normal_iteratorINS9_10device_ptrIiEEEENSB_INSC_IjEEEENSB_INSC_IfEEEEiNS9_4plusIvEENS9_8equal_toIvEEiEE10hipError_tPvRmT2_T3_T4_T5_mT6_T7_P12ihipStream_tbENKUlT_T0_E_clISt17integral_constantIbLb0EES13_EEDaSY_SZ_EUlSY_E_NS1_11comp_targetILNS1_3genE5ELNS1_11target_archE942ELNS1_3gpuE9ELNS1_3repE0EEENS1_30default_config_static_selectorELNS0_4arch9wavefront6targetE1EEEvT1_
	.p2align	8
	.type	_ZN7rocprim17ROCPRIM_400000_NS6detail17trampoline_kernelINS0_14default_configENS1_27scan_by_key_config_selectorIiiEEZZNS1_16scan_by_key_implILNS1_25lookback_scan_determinismE0ELb1ES3_N6thrust23THRUST_200600_302600_NS6detail15normal_iteratorINS9_10device_ptrIiEEEENSB_INSC_IjEEEENSB_INSC_IfEEEEiNS9_4plusIvEENS9_8equal_toIvEEiEE10hipError_tPvRmT2_T3_T4_T5_mT6_T7_P12ihipStream_tbENKUlT_T0_E_clISt17integral_constantIbLb0EES13_EEDaSY_SZ_EUlSY_E_NS1_11comp_targetILNS1_3genE5ELNS1_11target_archE942ELNS1_3gpuE9ELNS1_3repE0EEENS1_30default_config_static_selectorELNS0_4arch9wavefront6targetE1EEEvT1_,@function
_ZN7rocprim17ROCPRIM_400000_NS6detail17trampoline_kernelINS0_14default_configENS1_27scan_by_key_config_selectorIiiEEZZNS1_16scan_by_key_implILNS1_25lookback_scan_determinismE0ELb1ES3_N6thrust23THRUST_200600_302600_NS6detail15normal_iteratorINS9_10device_ptrIiEEEENSB_INSC_IjEEEENSB_INSC_IfEEEEiNS9_4plusIvEENS9_8equal_toIvEEiEE10hipError_tPvRmT2_T3_T4_T5_mT6_T7_P12ihipStream_tbENKUlT_T0_E_clISt17integral_constantIbLb0EES13_EEDaSY_SZ_EUlSY_E_NS1_11comp_targetILNS1_3genE5ELNS1_11target_archE942ELNS1_3gpuE9ELNS1_3repE0EEENS1_30default_config_static_selectorELNS0_4arch9wavefront6targetE1EEEvT1_: ; @_ZN7rocprim17ROCPRIM_400000_NS6detail17trampoline_kernelINS0_14default_configENS1_27scan_by_key_config_selectorIiiEEZZNS1_16scan_by_key_implILNS1_25lookback_scan_determinismE0ELb1ES3_N6thrust23THRUST_200600_302600_NS6detail15normal_iteratorINS9_10device_ptrIiEEEENSB_INSC_IjEEEENSB_INSC_IfEEEEiNS9_4plusIvEENS9_8equal_toIvEEiEE10hipError_tPvRmT2_T3_T4_T5_mT6_T7_P12ihipStream_tbENKUlT_T0_E_clISt17integral_constantIbLb0EES13_EEDaSY_SZ_EUlSY_E_NS1_11comp_targetILNS1_3genE5ELNS1_11target_archE942ELNS1_3gpuE9ELNS1_3repE0EEENS1_30default_config_static_selectorELNS0_4arch9wavefront6targetE1EEEvT1_
; %bb.0:
	.section	.rodata,"a",@progbits
	.p2align	6, 0x0
	.amdhsa_kernel _ZN7rocprim17ROCPRIM_400000_NS6detail17trampoline_kernelINS0_14default_configENS1_27scan_by_key_config_selectorIiiEEZZNS1_16scan_by_key_implILNS1_25lookback_scan_determinismE0ELb1ES3_N6thrust23THRUST_200600_302600_NS6detail15normal_iteratorINS9_10device_ptrIiEEEENSB_INSC_IjEEEENSB_INSC_IfEEEEiNS9_4plusIvEENS9_8equal_toIvEEiEE10hipError_tPvRmT2_T3_T4_T5_mT6_T7_P12ihipStream_tbENKUlT_T0_E_clISt17integral_constantIbLb0EES13_EEDaSY_SZ_EUlSY_E_NS1_11comp_targetILNS1_3genE5ELNS1_11target_archE942ELNS1_3gpuE9ELNS1_3repE0EEENS1_30default_config_static_selectorELNS0_4arch9wavefront6targetE1EEEvT1_
		.amdhsa_group_segment_fixed_size 0
		.amdhsa_private_segment_fixed_size 0
		.amdhsa_kernarg_size 112
		.amdhsa_user_sgpr_count 6
		.amdhsa_user_sgpr_private_segment_buffer 1
		.amdhsa_user_sgpr_dispatch_ptr 0
		.amdhsa_user_sgpr_queue_ptr 0
		.amdhsa_user_sgpr_kernarg_segment_ptr 1
		.amdhsa_user_sgpr_dispatch_id 0
		.amdhsa_user_sgpr_flat_scratch_init 0
		.amdhsa_user_sgpr_kernarg_preload_length 0
		.amdhsa_user_sgpr_kernarg_preload_offset 0
		.amdhsa_user_sgpr_private_segment_size 0
		.amdhsa_uses_dynamic_stack 0
		.amdhsa_system_sgpr_private_segment_wavefront_offset 0
		.amdhsa_system_sgpr_workgroup_id_x 1
		.amdhsa_system_sgpr_workgroup_id_y 0
		.amdhsa_system_sgpr_workgroup_id_z 0
		.amdhsa_system_sgpr_workgroup_info 0
		.amdhsa_system_vgpr_workitem_id 0
		.amdhsa_next_free_vgpr 1
		.amdhsa_next_free_sgpr 0
		.amdhsa_accum_offset 4
		.amdhsa_reserve_vcc 0
		.amdhsa_reserve_flat_scratch 0
		.amdhsa_float_round_mode_32 0
		.amdhsa_float_round_mode_16_64 0
		.amdhsa_float_denorm_mode_32 3
		.amdhsa_float_denorm_mode_16_64 3
		.amdhsa_dx10_clamp 1
		.amdhsa_ieee_mode 1
		.amdhsa_fp16_overflow 0
		.amdhsa_tg_split 0
		.amdhsa_exception_fp_ieee_invalid_op 0
		.amdhsa_exception_fp_denorm_src 0
		.amdhsa_exception_fp_ieee_div_zero 0
		.amdhsa_exception_fp_ieee_overflow 0
		.amdhsa_exception_fp_ieee_underflow 0
		.amdhsa_exception_fp_ieee_inexact 0
		.amdhsa_exception_int_div_zero 0
	.end_amdhsa_kernel
	.section	.text._ZN7rocprim17ROCPRIM_400000_NS6detail17trampoline_kernelINS0_14default_configENS1_27scan_by_key_config_selectorIiiEEZZNS1_16scan_by_key_implILNS1_25lookback_scan_determinismE0ELb1ES3_N6thrust23THRUST_200600_302600_NS6detail15normal_iteratorINS9_10device_ptrIiEEEENSB_INSC_IjEEEENSB_INSC_IfEEEEiNS9_4plusIvEENS9_8equal_toIvEEiEE10hipError_tPvRmT2_T3_T4_T5_mT6_T7_P12ihipStream_tbENKUlT_T0_E_clISt17integral_constantIbLb0EES13_EEDaSY_SZ_EUlSY_E_NS1_11comp_targetILNS1_3genE5ELNS1_11target_archE942ELNS1_3gpuE9ELNS1_3repE0EEENS1_30default_config_static_selectorELNS0_4arch9wavefront6targetE1EEEvT1_,"axG",@progbits,_ZN7rocprim17ROCPRIM_400000_NS6detail17trampoline_kernelINS0_14default_configENS1_27scan_by_key_config_selectorIiiEEZZNS1_16scan_by_key_implILNS1_25lookback_scan_determinismE0ELb1ES3_N6thrust23THRUST_200600_302600_NS6detail15normal_iteratorINS9_10device_ptrIiEEEENSB_INSC_IjEEEENSB_INSC_IfEEEEiNS9_4plusIvEENS9_8equal_toIvEEiEE10hipError_tPvRmT2_T3_T4_T5_mT6_T7_P12ihipStream_tbENKUlT_T0_E_clISt17integral_constantIbLb0EES13_EEDaSY_SZ_EUlSY_E_NS1_11comp_targetILNS1_3genE5ELNS1_11target_archE942ELNS1_3gpuE9ELNS1_3repE0EEENS1_30default_config_static_selectorELNS0_4arch9wavefront6targetE1EEEvT1_,comdat
.Lfunc_end1718:
	.size	_ZN7rocprim17ROCPRIM_400000_NS6detail17trampoline_kernelINS0_14default_configENS1_27scan_by_key_config_selectorIiiEEZZNS1_16scan_by_key_implILNS1_25lookback_scan_determinismE0ELb1ES3_N6thrust23THRUST_200600_302600_NS6detail15normal_iteratorINS9_10device_ptrIiEEEENSB_INSC_IjEEEENSB_INSC_IfEEEEiNS9_4plusIvEENS9_8equal_toIvEEiEE10hipError_tPvRmT2_T3_T4_T5_mT6_T7_P12ihipStream_tbENKUlT_T0_E_clISt17integral_constantIbLb0EES13_EEDaSY_SZ_EUlSY_E_NS1_11comp_targetILNS1_3genE5ELNS1_11target_archE942ELNS1_3gpuE9ELNS1_3repE0EEENS1_30default_config_static_selectorELNS0_4arch9wavefront6targetE1EEEvT1_, .Lfunc_end1718-_ZN7rocprim17ROCPRIM_400000_NS6detail17trampoline_kernelINS0_14default_configENS1_27scan_by_key_config_selectorIiiEEZZNS1_16scan_by_key_implILNS1_25lookback_scan_determinismE0ELb1ES3_N6thrust23THRUST_200600_302600_NS6detail15normal_iteratorINS9_10device_ptrIiEEEENSB_INSC_IjEEEENSB_INSC_IfEEEEiNS9_4plusIvEENS9_8equal_toIvEEiEE10hipError_tPvRmT2_T3_T4_T5_mT6_T7_P12ihipStream_tbENKUlT_T0_E_clISt17integral_constantIbLb0EES13_EEDaSY_SZ_EUlSY_E_NS1_11comp_targetILNS1_3genE5ELNS1_11target_archE942ELNS1_3gpuE9ELNS1_3repE0EEENS1_30default_config_static_selectorELNS0_4arch9wavefront6targetE1EEEvT1_
                                        ; -- End function
	.section	.AMDGPU.csdata,"",@progbits
; Kernel info:
; codeLenInByte = 0
; NumSgprs: 4
; NumVgprs: 0
; NumAgprs: 0
; TotalNumVgprs: 0
; ScratchSize: 0
; MemoryBound: 0
; FloatMode: 240
; IeeeMode: 1
; LDSByteSize: 0 bytes/workgroup (compile time only)
; SGPRBlocks: 0
; VGPRBlocks: 0
; NumSGPRsForWavesPerEU: 4
; NumVGPRsForWavesPerEU: 1
; AccumOffset: 4
; Occupancy: 8
; WaveLimiterHint : 0
; COMPUTE_PGM_RSRC2:SCRATCH_EN: 0
; COMPUTE_PGM_RSRC2:USER_SGPR: 6
; COMPUTE_PGM_RSRC2:TRAP_HANDLER: 0
; COMPUTE_PGM_RSRC2:TGID_X_EN: 1
; COMPUTE_PGM_RSRC2:TGID_Y_EN: 0
; COMPUTE_PGM_RSRC2:TGID_Z_EN: 0
; COMPUTE_PGM_RSRC2:TIDIG_COMP_CNT: 0
; COMPUTE_PGM_RSRC3_GFX90A:ACCUM_OFFSET: 0
; COMPUTE_PGM_RSRC3_GFX90A:TG_SPLIT: 0
	.section	.text._ZN7rocprim17ROCPRIM_400000_NS6detail17trampoline_kernelINS0_14default_configENS1_27scan_by_key_config_selectorIiiEEZZNS1_16scan_by_key_implILNS1_25lookback_scan_determinismE0ELb1ES3_N6thrust23THRUST_200600_302600_NS6detail15normal_iteratorINS9_10device_ptrIiEEEENSB_INSC_IjEEEENSB_INSC_IfEEEEiNS9_4plusIvEENS9_8equal_toIvEEiEE10hipError_tPvRmT2_T3_T4_T5_mT6_T7_P12ihipStream_tbENKUlT_T0_E_clISt17integral_constantIbLb0EES13_EEDaSY_SZ_EUlSY_E_NS1_11comp_targetILNS1_3genE4ELNS1_11target_archE910ELNS1_3gpuE8ELNS1_3repE0EEENS1_30default_config_static_selectorELNS0_4arch9wavefront6targetE1EEEvT1_,"axG",@progbits,_ZN7rocprim17ROCPRIM_400000_NS6detail17trampoline_kernelINS0_14default_configENS1_27scan_by_key_config_selectorIiiEEZZNS1_16scan_by_key_implILNS1_25lookback_scan_determinismE0ELb1ES3_N6thrust23THRUST_200600_302600_NS6detail15normal_iteratorINS9_10device_ptrIiEEEENSB_INSC_IjEEEENSB_INSC_IfEEEEiNS9_4plusIvEENS9_8equal_toIvEEiEE10hipError_tPvRmT2_T3_T4_T5_mT6_T7_P12ihipStream_tbENKUlT_T0_E_clISt17integral_constantIbLb0EES13_EEDaSY_SZ_EUlSY_E_NS1_11comp_targetILNS1_3genE4ELNS1_11target_archE910ELNS1_3gpuE8ELNS1_3repE0EEENS1_30default_config_static_selectorELNS0_4arch9wavefront6targetE1EEEvT1_,comdat
	.protected	_ZN7rocprim17ROCPRIM_400000_NS6detail17trampoline_kernelINS0_14default_configENS1_27scan_by_key_config_selectorIiiEEZZNS1_16scan_by_key_implILNS1_25lookback_scan_determinismE0ELb1ES3_N6thrust23THRUST_200600_302600_NS6detail15normal_iteratorINS9_10device_ptrIiEEEENSB_INSC_IjEEEENSB_INSC_IfEEEEiNS9_4plusIvEENS9_8equal_toIvEEiEE10hipError_tPvRmT2_T3_T4_T5_mT6_T7_P12ihipStream_tbENKUlT_T0_E_clISt17integral_constantIbLb0EES13_EEDaSY_SZ_EUlSY_E_NS1_11comp_targetILNS1_3genE4ELNS1_11target_archE910ELNS1_3gpuE8ELNS1_3repE0EEENS1_30default_config_static_selectorELNS0_4arch9wavefront6targetE1EEEvT1_ ; -- Begin function _ZN7rocprim17ROCPRIM_400000_NS6detail17trampoline_kernelINS0_14default_configENS1_27scan_by_key_config_selectorIiiEEZZNS1_16scan_by_key_implILNS1_25lookback_scan_determinismE0ELb1ES3_N6thrust23THRUST_200600_302600_NS6detail15normal_iteratorINS9_10device_ptrIiEEEENSB_INSC_IjEEEENSB_INSC_IfEEEEiNS9_4plusIvEENS9_8equal_toIvEEiEE10hipError_tPvRmT2_T3_T4_T5_mT6_T7_P12ihipStream_tbENKUlT_T0_E_clISt17integral_constantIbLb0EES13_EEDaSY_SZ_EUlSY_E_NS1_11comp_targetILNS1_3genE4ELNS1_11target_archE910ELNS1_3gpuE8ELNS1_3repE0EEENS1_30default_config_static_selectorELNS0_4arch9wavefront6targetE1EEEvT1_
	.globl	_ZN7rocprim17ROCPRIM_400000_NS6detail17trampoline_kernelINS0_14default_configENS1_27scan_by_key_config_selectorIiiEEZZNS1_16scan_by_key_implILNS1_25lookback_scan_determinismE0ELb1ES3_N6thrust23THRUST_200600_302600_NS6detail15normal_iteratorINS9_10device_ptrIiEEEENSB_INSC_IjEEEENSB_INSC_IfEEEEiNS9_4plusIvEENS9_8equal_toIvEEiEE10hipError_tPvRmT2_T3_T4_T5_mT6_T7_P12ihipStream_tbENKUlT_T0_E_clISt17integral_constantIbLb0EES13_EEDaSY_SZ_EUlSY_E_NS1_11comp_targetILNS1_3genE4ELNS1_11target_archE910ELNS1_3gpuE8ELNS1_3repE0EEENS1_30default_config_static_selectorELNS0_4arch9wavefront6targetE1EEEvT1_
	.p2align	8
	.type	_ZN7rocprim17ROCPRIM_400000_NS6detail17trampoline_kernelINS0_14default_configENS1_27scan_by_key_config_selectorIiiEEZZNS1_16scan_by_key_implILNS1_25lookback_scan_determinismE0ELb1ES3_N6thrust23THRUST_200600_302600_NS6detail15normal_iteratorINS9_10device_ptrIiEEEENSB_INSC_IjEEEENSB_INSC_IfEEEEiNS9_4plusIvEENS9_8equal_toIvEEiEE10hipError_tPvRmT2_T3_T4_T5_mT6_T7_P12ihipStream_tbENKUlT_T0_E_clISt17integral_constantIbLb0EES13_EEDaSY_SZ_EUlSY_E_NS1_11comp_targetILNS1_3genE4ELNS1_11target_archE910ELNS1_3gpuE8ELNS1_3repE0EEENS1_30default_config_static_selectorELNS0_4arch9wavefront6targetE1EEEvT1_,@function
_ZN7rocprim17ROCPRIM_400000_NS6detail17trampoline_kernelINS0_14default_configENS1_27scan_by_key_config_selectorIiiEEZZNS1_16scan_by_key_implILNS1_25lookback_scan_determinismE0ELb1ES3_N6thrust23THRUST_200600_302600_NS6detail15normal_iteratorINS9_10device_ptrIiEEEENSB_INSC_IjEEEENSB_INSC_IfEEEEiNS9_4plusIvEENS9_8equal_toIvEEiEE10hipError_tPvRmT2_T3_T4_T5_mT6_T7_P12ihipStream_tbENKUlT_T0_E_clISt17integral_constantIbLb0EES13_EEDaSY_SZ_EUlSY_E_NS1_11comp_targetILNS1_3genE4ELNS1_11target_archE910ELNS1_3gpuE8ELNS1_3repE0EEENS1_30default_config_static_selectorELNS0_4arch9wavefront6targetE1EEEvT1_: ; @_ZN7rocprim17ROCPRIM_400000_NS6detail17trampoline_kernelINS0_14default_configENS1_27scan_by_key_config_selectorIiiEEZZNS1_16scan_by_key_implILNS1_25lookback_scan_determinismE0ELb1ES3_N6thrust23THRUST_200600_302600_NS6detail15normal_iteratorINS9_10device_ptrIiEEEENSB_INSC_IjEEEENSB_INSC_IfEEEEiNS9_4plusIvEENS9_8equal_toIvEEiEE10hipError_tPvRmT2_T3_T4_T5_mT6_T7_P12ihipStream_tbENKUlT_T0_E_clISt17integral_constantIbLb0EES13_EEDaSY_SZ_EUlSY_E_NS1_11comp_targetILNS1_3genE4ELNS1_11target_archE910ELNS1_3gpuE8ELNS1_3repE0EEENS1_30default_config_static_selectorELNS0_4arch9wavefront6targetE1EEEvT1_
; %bb.0:
	s_load_dwordx8 s[36:43], s[4:5], 0x0
	s_load_dword s56, s[4:5], 0x20
	s_load_dwordx4 s[44:47], s[4:5], 0x28
	s_load_dwordx2 s[52:53], s[4:5], 0x38
	s_load_dword s0, s[4:5], 0x40
	s_load_dwordx4 s[48:51], s[4:5], 0x48
	s_waitcnt lgkmcnt(0)
	s_lshl_b64 s[34:35], s[38:39], 2
	s_add_u32 s2, s36, s34
	s_addc_u32 s3, s37, s35
	s_add_u32 s4, s40, s34
	s_mul_i32 s1, s53, s0
	s_mul_hi_u32 s7, s52, s0
	s_addc_u32 s5, s41, s35
	s_add_i32 s8, s7, s1
	s_mul_i32 s9, s52, s0
	s_mul_i32 s0, s6, 0xe00
	s_mov_b32 s1, 0
	s_lshl_b64 s[36:37], s[0:1], 2
	s_add_u32 s38, s2, s36
	s_addc_u32 s39, s3, s37
	s_add_u32 s7, s4, s36
	s_addc_u32 s47, s5, s37
	;; [unrolled: 2-line block ×3, first 2 shown]
	s_add_u32 s4, s48, -1
	s_addc_u32 s5, s49, -1
	v_pk_mov_b32 v[2:3], s[4:5], s[4:5] op_sel:[0,1]
	v_cmp_ge_u64_e64 s[0:1], s[0:1], v[2:3]
	s_mov_b64 s[2:3], -1
	s_and_b64 vcc, exec, s[0:1]
	s_mul_i32 s33, s4, 0xfffff200
	s_barrier
	s_cbranch_vccz .LBB1719_76
; %bb.1:
	v_pk_mov_b32 v[2:3], s[38:39], s[38:39] op_sel:[0,1]
	flat_load_dword v1, v[2:3]
	s_add_i32 s54, s33, s46
	v_cmp_gt_u32_e32 vcc, s54, v0
	s_waitcnt vmcnt(0) lgkmcnt(0)
	v_mov_b32_e32 v13, v1
	s_and_saveexec_b64 s[4:5], vcc
	s_cbranch_execz .LBB1719_3
; %bb.2:
	v_lshlrev_b32_e32 v2, 2, v0
	v_mov_b32_e32 v3, s39
	v_add_co_u32_e64 v2, s[2:3], s38, v2
	v_addc_co_u32_e64 v3, s[2:3], 0, v3, s[2:3]
	flat_load_dword v13, v[2:3]
.LBB1719_3:
	s_or_b64 exec, exec, s[4:5]
	v_or_b32_e32 v2, 0x100, v0
	v_cmp_gt_u32_e64 s[2:3], s54, v2
	v_mov_b32_e32 v14, v1
	s_and_saveexec_b64 s[8:9], s[2:3]
	s_cbranch_execz .LBB1719_5
; %bb.4:
	v_lshlrev_b32_e32 v2, 2, v0
	v_mov_b32_e32 v3, s39
	v_add_co_u32_e64 v2, s[4:5], s38, v2
	v_addc_co_u32_e64 v3, s[4:5], 0, v3, s[4:5]
	flat_load_dword v14, v[2:3] offset:1024
.LBB1719_5:
	s_or_b64 exec, exec, s[8:9]
	v_or_b32_e32 v2, 0x200, v0
	v_cmp_gt_u32_e64 s[4:5], s54, v2
	v_mov_b32_e32 v15, v1
	s_and_saveexec_b64 s[10:11], s[4:5]
	s_cbranch_execz .LBB1719_7
; %bb.6:
	v_lshlrev_b32_e32 v2, 2, v0
	v_mov_b32_e32 v3, s39
	v_add_co_u32_e64 v2, s[8:9], s38, v2
	v_addc_co_u32_e64 v3, s[8:9], 0, v3, s[8:9]
	flat_load_dword v15, v[2:3] offset:2048
.LBB1719_7:
	;; [unrolled: 13-line block ×3, first 2 shown]
	s_or_b64 exec, exec, s[10:11]
	v_or_b32_e32 v2, 0x400, v0
	v_cmp_gt_u32_e64 s[8:9], s54, v2
	v_lshlrev_b32_e32 v2, 2, v2
	v_mov_b32_e32 v17, v1
	s_and_saveexec_b64 s[12:13], s[8:9]
	s_cbranch_execz .LBB1719_11
; %bb.10:
	v_mov_b32_e32 v3, s39
	v_add_co_u32_e64 v4, s[10:11], s38, v2
	v_addc_co_u32_e64 v5, s[10:11], 0, v3, s[10:11]
	flat_load_dword v17, v[4:5]
.LBB1719_11:
	s_or_b64 exec, exec, s[12:13]
	v_or_b32_e32 v3, 0x500, v0
	v_cmp_gt_u32_e64 s[10:11], s54, v3
	v_lshlrev_b32_e32 v3, 2, v3
	v_mov_b32_e32 v18, v1
	s_and_saveexec_b64 s[14:15], s[10:11]
	s_cbranch_execz .LBB1719_13
; %bb.12:
	v_mov_b32_e32 v5, s39
	v_add_co_u32_e64 v4, s[12:13], s38, v3
	v_addc_co_u32_e64 v5, s[12:13], 0, v5, s[12:13]
	flat_load_dword v18, v[4:5]
.LBB1719_13:
	;; [unrolled: 13-line block ×9, first 2 shown]
	s_or_b64 exec, exec, s[30:31]
	v_or_b32_e32 v11, 0xd00, v0
	v_cmp_gt_u32_e64 s[26:27], s54, v11
	v_lshlrev_b32_e32 v11, 2, v11
	s_and_saveexec_b64 s[40:41], s[26:27]
	s_cbranch_execz .LBB1719_29
; %bb.28:
	v_mov_b32_e32 v1, s39
	v_add_co_u32_e64 v26, s[30:31], s38, v11
	v_addc_co_u32_e64 v27, s[30:31], 0, v1, s[30:31]
	flat_load_dword v1, v[26:27]
.LBB1719_29:
	s_or_b64 exec, exec, s[40:41]
	v_lshlrev_b32_e32 v12, 2, v0
	s_waitcnt vmcnt(0) lgkmcnt(0)
	ds_write2st64_b32 v12, v13, v14 offset1:4
	ds_write2st64_b32 v12, v15, v16 offset0:8 offset1:12
	ds_write2st64_b32 v12, v17, v18 offset0:16 offset1:20
	;; [unrolled: 1-line block ×6, first 2 shown]
	v_pk_mov_b32 v[14:15], s[38:39], s[38:39] op_sel:[0,1]
	s_waitcnt lgkmcnt(0)
	s_barrier
	flat_load_dword v1, v[14:15]
	v_mad_u32_u24 v44, v0, 52, v12
	s_movk_i32 s30, 0xffcc
	ds_read2_b64 v[34:37], v44 offset1:1
	ds_read2_b64 v[30:33], v44 offset0:2 offset1:3
	ds_read2_b64 v[26:29], v44 offset0:4 offset1:5
	ds_read_b64 v[40:41], v44 offset:48
	v_mad_i32_i24 v13, v0, s30, v44
	s_movk_i32 s30, 0xff
	v_cmp_ne_u32_e64 s[30:31], s30, v0
	s_waitcnt lgkmcnt(0)
	ds_write_b32 v13, v34 offset:15360
	s_waitcnt lgkmcnt(0)
	s_barrier
	s_and_saveexec_b64 s[40:41], s[30:31]
	s_cbranch_execz .LBB1719_31
; %bb.30:
	s_waitcnt vmcnt(0)
	ds_read_b32 v1, v12 offset:15364
.LBB1719_31:
	s_or_b64 exec, exec, s[40:41]
	s_waitcnt lgkmcnt(0)
	s_barrier
	s_waitcnt lgkmcnt(0)
                                        ; implicit-def: $vgpr13
	s_and_saveexec_b64 s[30:31], vcc
	s_cbranch_execz .LBB1719_113
; %bb.32:
	v_mov_b32_e32 v13, s47
	v_add_co_u32_e32 v14, vcc, s7, v12
	v_addc_co_u32_e32 v15, vcc, 0, v13, vcc
	flat_load_dword v13, v[14:15]
	s_or_b64 exec, exec, s[30:31]
                                        ; implicit-def: $vgpr14
	s_and_saveexec_b64 s[30:31], s[2:3]
	s_cbranch_execnz .LBB1719_114
.LBB1719_33:
	s_or_b64 exec, exec, s[30:31]
                                        ; implicit-def: $vgpr15
	s_and_saveexec_b64 s[2:3], s[4:5]
	s_cbranch_execz .LBB1719_115
.LBB1719_34:
	v_mov_b32_e32 v15, s47
	v_add_co_u32_e32 v16, vcc, s7, v12
	v_addc_co_u32_e32 v17, vcc, 0, v15, vcc
	flat_load_dword v15, v[16:17] offset:2048
	s_or_b64 exec, exec, s[2:3]
                                        ; implicit-def: $vgpr16
	s_and_saveexec_b64 s[2:3], s[28:29]
	s_cbranch_execnz .LBB1719_116
.LBB1719_35:
	s_or_b64 exec, exec, s[2:3]
                                        ; implicit-def: $vgpr17
	s_and_saveexec_b64 s[2:3], s[8:9]
	s_cbranch_execz .LBB1719_117
.LBB1719_36:
	v_mov_b32_e32 v17, s47
	v_add_co_u32_e32 v18, vcc, s7, v2
	v_addc_co_u32_e32 v19, vcc, 0, v17, vcc
	flat_load_dword v17, v[18:19]
	s_or_b64 exec, exec, s[2:3]
                                        ; implicit-def: $vgpr2
	s_and_saveexec_b64 s[2:3], s[10:11]
	s_cbranch_execnz .LBB1719_118
.LBB1719_37:
	s_or_b64 exec, exec, s[2:3]
                                        ; implicit-def: $vgpr3
	s_and_saveexec_b64 s[2:3], s[12:13]
	s_cbranch_execz .LBB1719_119
.LBB1719_38:
	v_mov_b32_e32 v3, s47
	v_add_co_u32_e32 v18, vcc, s7, v4
	v_addc_co_u32_e32 v19, vcc, 0, v3, vcc
	flat_load_dword v3, v[18:19]
	s_or_b64 exec, exec, s[2:3]
                                        ; implicit-def: $vgpr4
	s_and_saveexec_b64 s[2:3], s[14:15]
	s_cbranch_execnz .LBB1719_120
.LBB1719_39:
	s_or_b64 exec, exec, s[2:3]
                                        ; implicit-def: $vgpr5
	s_and_saveexec_b64 s[2:3], s[16:17]
	s_cbranch_execz .LBB1719_121
.LBB1719_40:
	v_mov_b32_e32 v5, s47
	v_add_co_u32_e32 v18, vcc, s7, v6
	v_addc_co_u32_e32 v19, vcc, 0, v5, vcc
	flat_load_dword v5, v[18:19]
	s_or_b64 exec, exec, s[2:3]
                                        ; implicit-def: $vgpr6
	s_and_saveexec_b64 s[2:3], s[18:19]
	s_cbranch_execnz .LBB1719_122
.LBB1719_41:
	s_or_b64 exec, exec, s[2:3]
                                        ; implicit-def: $vgpr7
	s_and_saveexec_b64 s[2:3], s[20:21]
	s_cbranch_execz .LBB1719_123
.LBB1719_42:
	v_mov_b32_e32 v7, s47
	v_add_co_u32_e32 v18, vcc, s7, v8
	v_addc_co_u32_e32 v19, vcc, 0, v7, vcc
	flat_load_dword v7, v[18:19]
	s_or_b64 exec, exec, s[2:3]
                                        ; implicit-def: $vgpr8
	s_and_saveexec_b64 s[2:3], s[22:23]
	s_cbranch_execnz .LBB1719_124
.LBB1719_43:
	s_or_b64 exec, exec, s[2:3]
                                        ; implicit-def: $vgpr9
	s_and_saveexec_b64 s[2:3], s[24:25]
	s_cbranch_execz .LBB1719_45
.LBB1719_44:
	v_mov_b32_e32 v9, s47
	v_add_co_u32_e32 v18, vcc, s7, v10
	v_addc_co_u32_e32 v19, vcc, 0, v9, vcc
	flat_load_dword v9, v[18:19]
.LBB1719_45:
	s_or_b64 exec, exec, s[2:3]
	v_mul_u32_u24_e32 v45, 14, v0
                                        ; implicit-def: $vgpr10
	s_and_saveexec_b64 s[2:3], s[26:27]
	s_cbranch_execz .LBB1719_47
; %bb.46:
	v_mov_b32_e32 v18, s47
	v_add_co_u32_e32 v10, vcc, s7, v11
	v_addc_co_u32_e32 v11, vcc, 0, v18, vcc
	flat_load_dword v10, v[10:11]
.LBB1719_47:
	s_or_b64 exec, exec, s[2:3]
	s_mov_b32 s8, 0
	s_mov_b32 s9, s8
	s_waitcnt vmcnt(0) lgkmcnt(0)
	ds_write2st64_b32 v12, v13, v14 offset1:4
	ds_write2st64_b32 v12, v15, v16 offset0:8 offset1:12
	ds_write2st64_b32 v12, v17, v2 offset0:16 offset1:20
	;; [unrolled: 1-line block ×6, first 2 shown]
	s_mov_b32 s10, s8
	s_mov_b32 s11, s8
	;; [unrolled: 1-line block ×6, first 2 shown]
	v_pk_mov_b32 v[2:3], s[8:9], s[8:9] op_sel:[0,1]
	v_pk_mov_b32 v[8:9], s[14:15], s[14:15] op_sel:[0,1]
	;; [unrolled: 1-line block ×6, first 2 shown]
	v_cmp_gt_u32_e32 vcc, s54, v45
	s_mov_b64 s[2:3], 0
	v_pk_mov_b32 v[38:39], 0, 0
	s_mov_b64 s[18:19], 0
	v_pk_mov_b32 v[14:15], v[6:7], v[6:7] op_sel:[0,1]
	v_pk_mov_b32 v[12:13], v[4:5], v[4:5] op_sel:[0,1]
	;; [unrolled: 1-line block ×6, first 2 shown]
	s_waitcnt lgkmcnt(0)
	s_barrier
	s_waitcnt lgkmcnt(0)
                                        ; implicit-def: $sgpr16_sgpr17
                                        ; implicit-def: $vgpr42
	s_and_saveexec_b64 s[4:5], vcc
	s_cbranch_execz .LBB1719_75
; %bb.48:
	ds_read_b32 v2, v44
	v_mov_b32_e32 v4, s56
	v_cmp_eq_u32_e32 vcc, v34, v35
	v_or_b32_e32 v3, 1, v45
                                        ; implicit-def: $vgpr42
	s_waitcnt lgkmcnt(0)
	v_cndmask_b32_e32 v38, v4, v2, vcc
	v_cmp_ne_u32_e32 vcc, v34, v35
	v_cndmask_b32_e64 v39, 0, 1, vcc
	v_cmp_gt_u32_e32 vcc, s54, v3
	v_pk_mov_b32 v[2:3], s[8:9], s[8:9] op_sel:[0,1]
	v_pk_mov_b32 v[8:9], s[14:15], s[14:15] op_sel:[0,1]
	;; [unrolled: 1-line block ×12, first 2 shown]
                                        ; implicit-def: $sgpr8_sgpr9
	s_and_saveexec_b64 s[16:17], vcc
	s_cbranch_execz .LBB1719_74
; %bb.49:
	ds_read2_b32 v[42:43], v44 offset0:1 offset1:2
	s_mov_b32 s8, 0
	v_mov_b32_e32 v3, s56
	v_cmp_eq_u32_e32 vcc, v35, v36
	s_mov_b32 s14, s8
	s_mov_b32 s15, s8
	v_add_u32_e32 v2, 2, v45
	s_waitcnt lgkmcnt(0)
	v_cndmask_b32_e32 v8, v3, v42, vcc
	v_cmp_ne_u32_e32 vcc, v35, v36
	s_mov_b32 s9, s8
	s_mov_b32 s10, s8
	;; [unrolled: 1-line block ×5, first 2 shown]
	v_pk_mov_b32 v[16:17], s[14:15], s[14:15] op_sel:[0,1]
	v_cndmask_b32_e64 v9, 0, 1, vcc
	v_cmp_gt_u32_e32 vcc, s54, v2
	v_mov_b32_e32 v2, 0
	v_pk_mov_b32 v[14:15], s[12:13], s[12:13] op_sel:[0,1]
	v_pk_mov_b32 v[12:13], s[10:11], s[10:11] op_sel:[0,1]
	;; [unrolled: 1-line block ×4, first 2 shown]
	v_mov_b32_e32 v3, v2
	v_mov_b32_e32 v4, v2
	;; [unrolled: 1-line block ×5, first 2 shown]
	s_mov_b64 s[20:21], 0
	v_pk_mov_b32 v[22:23], v[14:15], v[14:15] op_sel:[0,1]
	v_pk_mov_b32 v[20:21], v[12:13], v[12:13] op_sel:[0,1]
	;; [unrolled: 1-line block ×3, first 2 shown]
                                        ; implicit-def: $sgpr24_sgpr25
                                        ; implicit-def: $vgpr42
	s_and_saveexec_b64 s[18:19], vcc
	s_cbranch_execz .LBB1719_73
; %bb.50:
	v_mov_b32_e32 v4, s56
	v_cmp_eq_u32_e32 vcc, v36, v37
	v_pk_mov_b32 v[16:17], s[14:15], s[14:15] op_sel:[0,1]
	v_add_u32_e32 v3, 3, v45
	v_cndmask_b32_e32 v6, v4, v43, vcc
	v_cmp_ne_u32_e32 vcc, v36, v37
	v_pk_mov_b32 v[14:15], s[12:13], s[12:13] op_sel:[0,1]
	v_pk_mov_b32 v[12:13], s[10:11], s[10:11] op_sel:[0,1]
	;; [unrolled: 1-line block ×4, first 2 shown]
	v_cndmask_b32_e64 v7, 0, 1, vcc
	v_cmp_gt_u32_e32 vcc, s54, v3
	v_mov_b32_e32 v3, v2
	v_mov_b32_e32 v4, v2
	v_mov_b32_e32 v5, v2
	s_mov_b64 s[22:23], 0
	v_pk_mov_b32 v[22:23], v[14:15], v[14:15] op_sel:[0,1]
	v_pk_mov_b32 v[20:21], v[12:13], v[12:13] op_sel:[0,1]
	;; [unrolled: 1-line block ×3, first 2 shown]
                                        ; implicit-def: $sgpr8_sgpr9
                                        ; implicit-def: $vgpr42
	s_and_saveexec_b64 s[20:21], vcc
	s_cbranch_execz .LBB1719_72
; %bb.51:
	ds_read2_b32 v[34:35], v44 offset0:3 offset1:4
	s_mov_b32 s8, 0
	s_mov_b32 s14, s8
	;; [unrolled: 1-line block ×3, first 2 shown]
	v_mov_b32_e32 v3, s56
	v_cmp_eq_u32_e32 vcc, v37, v30
	s_mov_b32 s9, s8
	s_mov_b32 s10, s8
	s_mov_b32 s11, s8
	s_mov_b32 s12, s8
	s_mov_b32 s13, s8
	v_pk_mov_b32 v[16:17], s[14:15], s[14:15] op_sel:[0,1]
	v_add_u32_e32 v2, 4, v45
	s_waitcnt lgkmcnt(0)
	v_cndmask_b32_e32 v4, v3, v34, vcc
	v_cmp_ne_u32_e32 vcc, v37, v30
	v_pk_mov_b32 v[14:15], s[12:13], s[12:13] op_sel:[0,1]
	v_pk_mov_b32 v[12:13], s[10:11], s[10:11] op_sel:[0,1]
	;; [unrolled: 1-line block ×4, first 2 shown]
	v_cndmask_b32_e64 v5, 0, 1, vcc
	v_cmp_gt_u32_e32 vcc, s54, v2
	v_mov_b32_e32 v2, s8
	v_mov_b32_e32 v3, s8
	s_mov_b64 s[24:25], 0
	v_pk_mov_b32 v[22:23], v[14:15], v[14:15] op_sel:[0,1]
	v_pk_mov_b32 v[20:21], v[12:13], v[12:13] op_sel:[0,1]
	;; [unrolled: 1-line block ×3, first 2 shown]
                                        ; implicit-def: $sgpr26_sgpr27
                                        ; implicit-def: $vgpr42
	s_and_saveexec_b64 s[22:23], vcc
	s_cbranch_execz .LBB1719_71
; %bb.52:
	v_mov_b32_e32 v2, s56
	v_cmp_eq_u32_e32 vcc, v30, v31
	v_add_u32_e32 v10, 5, v45
	v_cndmask_b32_e32 v2, v2, v35, vcc
	v_cmp_ne_u32_e32 vcc, v30, v31
	v_cndmask_b32_e64 v3, 0, 1, vcc
	v_cmp_gt_u32_e32 vcc, s54, v10
	v_pk_mov_b32 v[16:17], s[14:15], s[14:15] op_sel:[0,1]
	v_pk_mov_b32 v[14:15], s[12:13], s[12:13] op_sel:[0,1]
	;; [unrolled: 1-line block ×5, first 2 shown]
	s_mov_b64 s[28:29], 0
	v_pk_mov_b32 v[22:23], v[14:15], v[14:15] op_sel:[0,1]
	v_pk_mov_b32 v[20:21], v[12:13], v[12:13] op_sel:[0,1]
	;; [unrolled: 1-line block ×3, first 2 shown]
                                        ; implicit-def: $sgpr8_sgpr9
                                        ; implicit-def: $vgpr42
	s_and_saveexec_b64 s[24:25], vcc
	s_cbranch_execz .LBB1719_70
; %bb.53:
	ds_read2_b32 v[34:35], v44 offset0:5 offset1:6
	v_mov_b32_e32 v11, s56
	v_cmp_eq_u32_e32 vcc, v31, v32
	s_mov_b32 s8, 0
	v_add_u32_e32 v10, 6, v45
	s_waitcnt lgkmcnt(0)
	v_cndmask_b32_e32 v16, v11, v34, vcc
	v_cmp_ne_u32_e32 vcc, v31, v32
	s_mov_b32 s14, s8
	s_mov_b32 s15, s8
	v_cndmask_b32_e64 v17, 0, 1, vcc
	v_cmp_gt_u32_e32 vcc, s54, v10
	v_mov_b32_e32 v10, 0
	s_mov_b32 s9, s8
	s_mov_b32 s10, s8
	;; [unrolled: 1-line block ×5, first 2 shown]
	v_pk_mov_b32 v[24:25], s[14:15], s[14:15] op_sel:[0,1]
	v_mov_b32_e32 v11, v10
	v_mov_b32_e32 v12, v10
	;; [unrolled: 1-line block ×5, first 2 shown]
	v_pk_mov_b32 v[22:23], s[12:13], s[12:13] op_sel:[0,1]
	v_pk_mov_b32 v[20:21], s[10:11], s[10:11] op_sel:[0,1]
	;; [unrolled: 1-line block ×3, first 2 shown]
                                        ; implicit-def: $sgpr40_sgpr41
                                        ; implicit-def: $vgpr42
	s_and_saveexec_b64 s[26:27], vcc
	s_cbranch_execz .LBB1719_69
; %bb.54:
	v_mov_b32_e32 v12, s56
	v_cmp_eq_u32_e32 vcc, v32, v33
	v_add_u32_e32 v11, 7, v45
	v_cndmask_b32_e32 v14, v12, v35, vcc
	v_cmp_ne_u32_e32 vcc, v32, v33
	v_pk_mov_b32 v[24:25], s[14:15], s[14:15] op_sel:[0,1]
	v_cndmask_b32_e64 v15, 0, 1, vcc
	v_cmp_gt_u32_e32 vcc, s54, v11
	v_mov_b32_e32 v11, v10
	v_mov_b32_e32 v12, v10
	;; [unrolled: 1-line block ×3, first 2 shown]
	s_mov_b64 s[30:31], 0
	v_pk_mov_b32 v[22:23], s[12:13], s[12:13] op_sel:[0,1]
	v_pk_mov_b32 v[20:21], s[10:11], s[10:11] op_sel:[0,1]
	v_pk_mov_b32 v[18:19], s[8:9], s[8:9] op_sel:[0,1]
                                        ; implicit-def: $sgpr8_sgpr9
                                        ; implicit-def: $vgpr42
	s_and_saveexec_b64 s[28:29], vcc
	s_cbranch_execz .LBB1719_68
; %bb.55:
	ds_read2_b32 v[30:31], v44 offset0:7 offset1:8
	s_mov_b32 s8, 0
	v_mov_b32_e32 v11, s56
	v_cmp_eq_u32_e32 vcc, v33, v26
	s_mov_b32 s14, s8
	s_mov_b32 s15, s8
	v_add_u32_e32 v10, 8, v45
	s_waitcnt lgkmcnt(0)
	v_cndmask_b32_e32 v12, v11, v30, vcc
	v_cmp_ne_u32_e32 vcc, v33, v26
	s_mov_b32 s9, s8
	s_mov_b32 s10, s8
	;; [unrolled: 1-line block ×5, first 2 shown]
	v_pk_mov_b32 v[24:25], s[14:15], s[14:15] op_sel:[0,1]
	v_cndmask_b32_e64 v13, 0, 1, vcc
	v_cmp_gt_u32_e32 vcc, s54, v10
	v_mov_b32_e32 v10, s8
	v_mov_b32_e32 v11, s8
	s_mov_b64 s[40:41], 0
	v_pk_mov_b32 v[22:23], s[12:13], s[12:13] op_sel:[0,1]
	v_pk_mov_b32 v[20:21], s[10:11], s[10:11] op_sel:[0,1]
	v_pk_mov_b32 v[18:19], s[8:9], s[8:9] op_sel:[0,1]
                                        ; implicit-def: $sgpr48_sgpr49
                                        ; implicit-def: $vgpr42
	s_and_saveexec_b64 s[30:31], vcc
	s_cbranch_execz .LBB1719_67
; %bb.56:
	v_mov_b32_e32 v10, s56
	v_cmp_eq_u32_e32 vcc, v26, v27
	v_add_u32_e32 v18, 9, v45
	v_cndmask_b32_e32 v10, v10, v31, vcc
	v_cmp_ne_u32_e32 vcc, v26, v27
	v_cndmask_b32_e64 v11, 0, 1, vcc
	v_cmp_gt_u32_e32 vcc, s54, v18
	v_pk_mov_b32 v[24:25], s[14:15], s[14:15] op_sel:[0,1]
	v_pk_mov_b32 v[22:23], s[12:13], s[12:13] op_sel:[0,1]
	;; [unrolled: 1-line block ×4, first 2 shown]
                                        ; implicit-def: $sgpr10_sgpr11
                                        ; implicit-def: $vgpr42
	s_and_saveexec_b64 s[8:9], vcc
	s_cbranch_execz .LBB1719_66
; %bb.57:
	ds_read2_b32 v[30:31], v44 offset0:9 offset1:10
	v_mov_b32_e32 v18, s56
	v_cmp_eq_u32_e32 vcc, v27, v28
	v_add_u32_e32 v20, 10, v45
	v_mov_b32_e32 v22, 0
	s_waitcnt lgkmcnt(0)
	v_cndmask_b32_e32 v18, v18, v30, vcc
	v_cmp_ne_u32_e32 vcc, v27, v28
	v_cndmask_b32_e64 v19, 0, 1, vcc
	v_cmp_gt_u32_e32 vcc, s54, v20
	v_mov_b32_e32 v20, v22
	v_mov_b32_e32 v21, v22
	;; [unrolled: 1-line block ×5, first 2 shown]
	s_mov_b64 s[12:13], 0
                                        ; implicit-def: $sgpr40_sgpr41
                                        ; implicit-def: $vgpr42
	s_and_saveexec_b64 s[10:11], vcc
	s_cbranch_execz .LBB1719_65
; %bb.58:
	v_mov_b32_e32 v20, s56
	v_cmp_eq_u32_e32 vcc, v28, v29
	v_add_u32_e32 v23, 11, v45
	v_cndmask_b32_e32 v20, v20, v31, vcc
	v_cmp_ne_u32_e32 vcc, v28, v29
	v_cndmask_b32_e64 v21, 0, 1, vcc
	v_cmp_gt_u32_e32 vcc, s54, v23
	s_mov_b32 s40, 0
	v_mov_b32_e32 v23, v22
	v_mov_b32_e32 v24, v22
	;; [unrolled: 1-line block ×3, first 2 shown]
	s_mov_b64 s[14:15], 0
                                        ; implicit-def: $sgpr48_sgpr49
                                        ; implicit-def: $vgpr42
	s_and_saveexec_b64 s[12:13], vcc
	s_cbranch_execz .LBB1719_64
; %bb.59:
	ds_read2_b32 v[26:27], v44 offset0:11 offset1:12
	v_mov_b32_e32 v22, s56
	v_cmp_eq_u32_e32 vcc, v29, v40
	v_add_u32_e32 v24, 12, v45
	v_mov_b32_e32 v25, s40
	s_waitcnt lgkmcnt(0)
	v_cndmask_b32_e32 v22, v22, v26, vcc
	v_cmp_ne_u32_e32 vcc, v29, v40
	v_cndmask_b32_e64 v23, 0, 1, vcc
	v_cmp_gt_u32_e32 vcc, s54, v24
	v_mov_b32_e32 v24, s40
	s_mov_b64 s[40:41], 0
                                        ; implicit-def: $sgpr48_sgpr49
                                        ; implicit-def: $vgpr42
	s_and_saveexec_b64 s[14:15], vcc
	s_cbranch_execz .LBB1719_63
; %bb.60:
	v_mov_b32_e32 v24, s56
	v_cmp_eq_u32_e32 vcc, v40, v41
	v_add_u32_e32 v26, 13, v45
	v_cndmask_b32_e32 v24, v24, v27, vcc
	v_cmp_ne_u32_e32 vcc, v40, v41
	v_cndmask_b32_e64 v25, 0, 1, vcc
	v_cmp_gt_u32_e32 vcc, s54, v26
                                        ; implicit-def: $sgpr48_sgpr49
                                        ; implicit-def: $vgpr42
	s_and_saveexec_b64 s[54:55], vcc
	s_xor_b64 s[54:55], exec, s[54:55]
	s_cbranch_execz .LBB1719_62
; %bb.61:
	ds_read_b32 v26, v44 offset:52
	v_mov_b32_e32 v27, s56
	v_cmp_ne_u32_e32 vcc, v41, v1
	s_mov_b64 s[40:41], exec
	s_and_b64 s[48:49], vcc, exec
	s_waitcnt lgkmcnt(0)
	v_cndmask_b32_e32 v42, v26, v27, vcc
.LBB1719_62:
	s_or_b64 exec, exec, s[54:55]
	s_and_b64 s[48:49], s[48:49], exec
	s_and_b64 s[40:41], s[40:41], exec
.LBB1719_63:
	s_or_b64 exec, exec, s[14:15]
	s_and_b64 s[48:49], s[48:49], exec
	s_and_b64 s[14:15], s[40:41], exec
.LBB1719_64:
	s_or_b64 exec, exec, s[12:13]
	s_and_b64 s[40:41], s[48:49], exec
	s_and_b64 s[12:13], s[14:15], exec
.LBB1719_65:
	s_or_b64 exec, exec, s[10:11]
	s_and_b64 s[10:11], s[40:41], exec
	s_and_b64 s[40:41], s[12:13], exec
.LBB1719_66:
	s_or_b64 exec, exec, s[8:9]
	s_and_b64 s[48:49], s[10:11], exec
	s_and_b64 s[40:41], s[40:41], exec
.LBB1719_67:
	s_or_b64 exec, exec, s[30:31]
	s_and_b64 s[8:9], s[48:49], exec
	s_and_b64 s[30:31], s[40:41], exec
.LBB1719_68:
	s_or_b64 exec, exec, s[28:29]
	s_and_b64 s[40:41], s[8:9], exec
	s_and_b64 s[28:29], s[30:31], exec
.LBB1719_69:
	s_or_b64 exec, exec, s[26:27]
	s_and_b64 s[8:9], s[40:41], exec
	s_and_b64 s[28:29], s[28:29], exec
.LBB1719_70:
	s_or_b64 exec, exec, s[24:25]
	s_and_b64 s[26:27], s[8:9], exec
	s_and_b64 s[24:25], s[28:29], exec
.LBB1719_71:
	s_or_b64 exec, exec, s[22:23]
	s_and_b64 s[8:9], s[26:27], exec
	s_and_b64 s[22:23], s[24:25], exec
.LBB1719_72:
	s_or_b64 exec, exec, s[20:21]
	s_and_b64 s[24:25], s[8:9], exec
	s_and_b64 s[20:21], s[22:23], exec
.LBB1719_73:
	s_or_b64 exec, exec, s[18:19]
	s_and_b64 s[8:9], s[24:25], exec
	s_and_b64 s[18:19], s[20:21], exec
.LBB1719_74:
	s_or_b64 exec, exec, s[16:17]
	s_and_b64 s[16:17], s[8:9], exec
	s_and_b64 s[18:19], s[18:19], exec
.LBB1719_75:
	s_or_b64 exec, exec, s[4:5]
	s_and_b64 vcc, exec, s[2:3]
	v_lshlrev_b32_e32 v50, 2, v0
	s_cbranch_vccnz .LBB1719_77
	s_branch .LBB1719_82
.LBB1719_76:
	s_mov_b64 s[18:19], 0
                                        ; implicit-def: $sgpr16_sgpr17
                                        ; implicit-def: $vgpr2_vgpr3_vgpr4_vgpr5_vgpr6_vgpr7_vgpr8_vgpr9
                                        ; implicit-def: $vgpr10_vgpr11_vgpr12_vgpr13_vgpr14_vgpr15_vgpr16_vgpr17
                                        ; implicit-def: $vgpr18_vgpr19_vgpr20_vgpr21_vgpr22_vgpr23_vgpr24_vgpr25
                                        ; implicit-def: $vgpr42
                                        ; implicit-def: $vgpr38_vgpr39
	s_and_b64 vcc, exec, s[2:3]
	v_lshlrev_b32_e32 v50, 2, v0
	s_cbranch_vccz .LBB1719_82
.LBB1719_77:
	v_mov_b32_e32 v1, s39
	v_add_co_u32_e32 v2, vcc, s38, v50
	v_addc_co_u32_e32 v3, vcc, 0, v1, vcc
	v_add_co_u32_e32 v4, vcc, 0x1000, v2
	v_addc_co_u32_e32 v5, vcc, 0, v3, vcc
	flat_load_dword v1, v[2:3]
	flat_load_dword v6, v[2:3] offset:1024
	flat_load_dword v7, v[2:3] offset:2048
	;; [unrolled: 1-line block ×3, first 2 shown]
	flat_load_dword v9, v[4:5]
	flat_load_dword v10, v[4:5] offset:1024
	flat_load_dword v11, v[4:5] offset:2048
	;; [unrolled: 1-line block ×3, first 2 shown]
	v_add_co_u32_e32 v4, vcc, 0x2000, v2
	v_addc_co_u32_e32 v5, vcc, 0, v3, vcc
	v_add_co_u32_e32 v2, vcc, 0x3000, v2
	v_addc_co_u32_e32 v3, vcc, 0, v3, vcc
	flat_load_dword v13, v[4:5]
	flat_load_dword v14, v[4:5] offset:1024
	flat_load_dword v15, v[4:5] offset:2048
	;; [unrolled: 1-line block ×3, first 2 shown]
	flat_load_dword v17, v[2:3]
	flat_load_dword v18, v[2:3] offset:1024
	v_mov_b32_e32 v2, s38
	v_mov_b32_e32 v3, s39
	v_add_co_u32_e32 v2, vcc, 0x3000, v2
	v_addc_co_u32_e32 v3, vcc, 0, v3, vcc
	s_movk_i32 s4, 0xffcc
	s_movk_i32 s9, 0x1000
	s_mov_b32 s2, 0
	s_movk_i32 s8, 0x2000
	s_movk_i32 s3, 0x3000
	s_waitcnt vmcnt(0) lgkmcnt(0)
	ds_write2st64_b32 v50, v1, v6 offset1:4
	ds_write2st64_b32 v50, v7, v8 offset0:8 offset1:12
	ds_write2st64_b32 v50, v9, v10 offset0:16 offset1:20
	;; [unrolled: 1-line block ×6, first 2 shown]
	s_waitcnt lgkmcnt(0)
	s_barrier
	flat_load_dword v1, v[2:3] offset:2048
	v_mad_u32_u24 v6, v0, 52, v50
	v_mad_i32_i24 v2, v0, s4, v6
	s_movk_i32 s4, 0xff
	v_cmp_ne_u32_e32 vcc, s4, v0
	ds_read2_b32 v[26:27], v6 offset1:13
	ds_read2_b32 v[18:19], v6 offset0:7 offset1:8
	ds_read2_b32 v[20:21], v6 offset0:5 offset1:6
	;; [unrolled: 1-line block ×6, first 2 shown]
	s_waitcnt lgkmcnt(0)
	ds_write_b32 v2, v26 offset:15360
	s_waitcnt lgkmcnt(0)
	s_barrier
	s_and_saveexec_b64 s[4:5], vcc
	s_cbranch_execz .LBB1719_79
; %bb.78:
	s_waitcnt vmcnt(0)
	ds_read_b32 v1, v50 offset:15364
.LBB1719_79:
	s_or_b64 exec, exec, s[4:5]
	v_mov_b32_e32 v3, s47
	v_add_co_u32_e32 v2, vcc, s7, v50
	v_addc_co_u32_e32 v3, vcc, 0, v3, vcc
	v_add_co_u32_e32 v4, vcc, s9, v2
	v_addc_co_u32_e32 v5, vcc, 0, v3, vcc
	s_waitcnt lgkmcnt(0)
	s_barrier
	flat_load_dword v7, v[2:3]
	flat_load_dword v8, v[2:3] offset:1024
	flat_load_dword v9, v[2:3] offset:2048
	;; [unrolled: 1-line block ×3, first 2 shown]
	flat_load_dword v15, v[4:5]
	flat_load_dword v16, v[4:5] offset:1024
	flat_load_dword v17, v[4:5] offset:2048
	;; [unrolled: 1-line block ×3, first 2 shown]
	v_add_co_u32_e32 v4, vcc, s8, v2
	v_addc_co_u32_e32 v5, vcc, 0, v3, vcc
	v_add_co_u32_e32 v2, vcc, s3, v2
	v_addc_co_u32_e32 v3, vcc, 0, v3, vcc
	flat_load_dword v23, v[4:5]
	flat_load_dword v24, v[4:5] offset:1024
	flat_load_dword v25, v[4:5] offset:2048
	;; [unrolled: 1-line block ×3, first 2 shown]
	flat_load_dword v33, v[2:3]
	flat_load_dword v34, v[2:3] offset:1024
	s_mov_b32 s3, 1
	v_cmp_eq_u32_e32 vcc, v26, v12
	v_pk_mov_b32 v[38:39], s[2:3], s[2:3] op_sel:[0,1]
	s_waitcnt vmcnt(0) lgkmcnt(0)
	ds_write2st64_b32 v50, v7, v8 offset1:4
	ds_write2st64_b32 v50, v9, v14 offset0:8 offset1:12
	ds_write2st64_b32 v50, v15, v16 offset0:16 offset1:20
	;; [unrolled: 1-line block ×6, first 2 shown]
	s_waitcnt lgkmcnt(0)
	s_barrier
	ds_read2_b32 v[24:25], v6 offset0:7 offset1:8
	ds_read2_b32 v[14:15], v6 offset0:5 offset1:6
	;; [unrolled: 1-line block ×4, first 2 shown]
	ds_read_b32 v34, v6 offset:52
	ds_read2_b32 v[22:23], v6 offset0:11 offset1:12
	ds_read2_b32 v[32:33], v6 offset0:9 offset1:10
	v_mov_b32_e32 v7, s56
	s_and_saveexec_b64 s[2:3], vcc
	s_cbranch_execz .LBB1719_81
; %bb.80:
	ds_read_b32 v7, v6
	v_pk_mov_b32 v[38:39], 0, 0
.LBB1719_81:
	s_or_b64 exec, exec, s[2:3]
	v_mov_b32_e32 v26, s56
	v_cmp_eq_u32_e32 vcc, v12, v13
	s_waitcnt lgkmcnt(3)
	v_cndmask_b32_e32 v8, v26, v4, vcc
	v_cmp_eq_u32_e32 vcc, v13, v10
	v_cndmask_b32_e32 v6, v26, v5, vcc
	v_cmp_eq_u32_e32 vcc, v10, v11
	;; [unrolled: 2-line block ×3, first 2 shown]
	v_cndmask_b32_e32 v2, v26, v3, vcc
	v_cmp_ne_u32_e32 vcc, v12, v13
	v_cndmask_b32_e64 v9, 0, 1, vcc
	v_cmp_ne_u32_e32 vcc, v13, v10
	s_waitcnt lgkmcnt(0)
	v_or_b32_e32 v38, v38, v7
	v_cndmask_b32_e64 v7, 0, 1, vcc
	v_cmp_ne_u32_e32 vcc, v10, v11
	v_cndmask_b32_e64 v5, 0, 1, vcc
	v_cmp_ne_u32_e32 vcc, v11, v20
	v_cndmask_b32_e64 v3, 0, 1, vcc
	v_cmp_eq_u32_e32 vcc, v20, v21
	v_cndmask_b32_e32 v16, v26, v14, vcc
	v_cmp_eq_u32_e32 vcc, v21, v18
	v_cndmask_b32_e32 v14, v26, v15, vcc
	;; [unrolled: 2-line block ×4, first 2 shown]
	v_cmp_ne_u32_e32 vcc, v20, v21
	v_cndmask_b32_e64 v17, 0, 1, vcc
	v_cmp_ne_u32_e32 vcc, v21, v18
	v_cndmask_b32_e64 v15, 0, 1, vcc
	;; [unrolled: 2-line block ×4, first 2 shown]
	v_cmp_eq_u32_e32 vcc, v31, v27
	v_cndmask_b32_e32 v24, v26, v23, vcc
	v_cmp_eq_u32_e32 vcc, v30, v31
	v_cndmask_b32_e32 v22, v26, v22, vcc
	;; [unrolled: 2-line block ×4, first 2 shown]
	v_cmp_ne_u32_e32 vcc, v31, v27
	v_cndmask_b32_e64 v25, 0, 1, vcc
	v_cmp_ne_u32_e32 vcc, v30, v31
	v_cndmask_b32_e64 v23, 0, 1, vcc
	;; [unrolled: 2-line block ×3, first 2 shown]
	v_cmp_ne_u32_e32 vcc, v28, v29
	v_cmp_ne_u32_e64 s[16:17], v27, v1
	v_cndmask_b32_e64 v19, 0, 1, vcc
	v_cndmask_b32_e64 v42, v34, v26, s[16:17]
	s_mov_b64 s[18:19], -1
                                        ; implicit-def: $sgpr2_sgpr3
.LBB1719_82:
	v_pk_mov_b32 v[40:41], s[2:3], s[2:3] op_sel:[0,1]
	s_and_saveexec_b64 s[2:3], s[18:19]
; %bb.83:
	v_cndmask_b32_e64 v43, 0, 1, s[16:17]
	v_pk_mov_b32 v[40:41], v[42:43], v[42:43] op_sel:[0,1]
; %bb.84:
	s_or_b64 exec, exec, s[2:3]
	s_mov_b32 s26, 0
	s_cmp_lg_u32 s6, 0
	v_mbcnt_lo_u32_b32 v52, -1, 0
	v_lshrrev_b32_e32 v1, 6, v0
	v_or_b32_e32 v51, 63, v0
	s_barrier
	s_cbranch_scc0 .LBB1719_125
; %bb.85:
	s_mov_b32 s27, 1
	v_cmp_gt_u64_e64 s[2:3], s[26:27], v[8:9]
	v_cndmask_b32_e64 v27, 0, v38, s[2:3]
	v_add_u32_e32 v27, v27, v8
	v_cmp_gt_u64_e64 s[4:5], s[26:27], v[6:7]
	v_cndmask_b32_e64 v27, 0, v27, s[4:5]
	v_add_u32_e32 v27, v27, v6
	;; [unrolled: 3-line block ×12, first 2 shown]
	v_cmp_gt_u64_e32 vcc, s[26:27], v[40:41]
	v_cndmask_b32_e32 v27, 0, v27, vcc
	v_add_u32_e32 v28, v27, v40
	v_or3_b32 v27, v41, v25, v23
	v_or3_b32 v27, v27, v21, v19
	;; [unrolled: 1-line block ×6, first 2 shown]
	v_mov_b32_e32 v26, 0
	v_and_b32_e32 v27, 1, v27
	v_cmp_eq_u64_e32 vcc, 0, v[26:27]
	v_cndmask_b32_e32 v27, 1, v39, vcc
	v_and_b32_e32 v29, 0xff, v27
	v_mov_b32_dpp v31, v28 row_shr:1 row_mask:0xf bank_mask:0xf
	v_cmp_eq_u16_e32 vcc, 0, v29
	v_mov_b32_dpp v32, v29 row_shr:1 row_mask:0xf bank_mask:0xf
	v_and_b32_e32 v33, 1, v27
	v_mbcnt_hi_u32_b32 v46, -1, v52
	v_cndmask_b32_e32 v31, 0, v31, vcc
	v_and_b32_e32 v32, 1, v32
	v_cmp_eq_u32_e32 vcc, 1, v33
	v_and_b32_e32 v30, 15, v46
	v_cndmask_b32_e64 v32, v32, 1, vcc
	v_and_b32_e32 v33, 0xffff, v32
	v_cmp_eq_u32_e32 vcc, 0, v30
	v_cndmask_b32_e32 v27, v32, v27, vcc
	v_cndmask_b32_e32 v29, v33, v29, vcc
	v_and_b32_e32 v33, 1, v27
	v_cndmask_b32_e64 v31, v31, 0, vcc
	v_mov_b32_dpp v32, v29 row_shr:2 row_mask:0xf bank_mask:0xf
	v_and_b32_e32 v32, 1, v32
	v_cmp_eq_u32_e32 vcc, 1, v33
	v_cndmask_b32_e64 v32, v32, 1, vcc
	v_and_b32_e32 v33, 0xffff, v32
	v_cmp_lt_u32_e32 vcc, 1, v30
	v_add_u32_e32 v28, v31, v28
	v_cmp_eq_u16_sdwa s[26:27], v27, v26 src0_sel:BYTE_0 src1_sel:DWORD
	v_cndmask_b32_e32 v27, v27, v32, vcc
	v_cndmask_b32_e32 v29, v29, v33, vcc
	v_mov_b32_dpp v31, v28 row_shr:2 row_mask:0xf bank_mask:0xf
	s_and_b64 vcc, vcc, s[26:27]
	v_mov_b32_dpp v32, v29 row_shr:4 row_mask:0xf bank_mask:0xf
	v_and_b32_e32 v33, 1, v27
	v_cndmask_b32_e32 v31, 0, v31, vcc
	v_and_b32_e32 v32, 1, v32
	v_cmp_eq_u32_e32 vcc, 1, v33
	v_cndmask_b32_e64 v32, v32, 1, vcc
	v_and_b32_e32 v33, 0xffff, v32
	v_cmp_lt_u32_e32 vcc, 3, v30
	v_add_u32_e32 v28, v31, v28
	v_cmp_eq_u16_sdwa s[26:27], v27, v26 src0_sel:BYTE_0 src1_sel:DWORD
	v_cndmask_b32_e32 v27, v27, v32, vcc
	v_cndmask_b32_e32 v29, v29, v33, vcc
	v_mov_b32_dpp v31, v28 row_shr:4 row_mask:0xf bank_mask:0xf
	s_and_b64 vcc, vcc, s[26:27]
	v_mov_b32_dpp v32, v29 row_shr:8 row_mask:0xf bank_mask:0xf
	v_and_b32_e32 v33, 1, v27
	v_cndmask_b32_e32 v31, 0, v31, vcc
	v_and_b32_e32 v32, 1, v32
	v_cmp_eq_u32_e32 vcc, 1, v33
	v_cndmask_b32_e64 v32, v32, 1, vcc
	v_add_u32_e32 v28, v31, v28
	v_cmp_eq_u16_sdwa s[26:27], v27, v26 src0_sel:BYTE_0 src1_sel:DWORD
	v_and_b32_e32 v33, 0xffff, v32
	v_cmp_lt_u32_e32 vcc, 7, v30
	v_mov_b32_dpp v31, v28 row_shr:8 row_mask:0xf bank_mask:0xf
	v_cndmask_b32_e32 v27, v27, v32, vcc
	v_cndmask_b32_e32 v29, v29, v33, vcc
	s_and_b64 vcc, vcc, s[26:27]
	v_cndmask_b32_e32 v30, 0, v31, vcc
	v_add_u32_e32 v28, v30, v28
	v_mov_b32_dpp v31, v29 row_bcast:15 row_mask:0xf bank_mask:0xf
	v_cmp_eq_u16_sdwa vcc, v27, v26 src0_sel:BYTE_0 src1_sel:DWORD
	v_mov_b32_dpp v30, v28 row_bcast:15 row_mask:0xf bank_mask:0xf
	v_and_b32_e32 v34, 1, v27
	v_cndmask_b32_e32 v30, 0, v30, vcc
	v_and_b32_e32 v31, 1, v31
	v_cmp_eq_u32_e32 vcc, 1, v34
	v_and_b32_e32 v33, 16, v46
	v_cndmask_b32_e64 v31, v31, 1, vcc
	v_and_b32_e32 v34, 0xffff, v31
	v_cmp_eq_u32_e32 vcc, 0, v33
	v_cndmask_b32_e32 v27, v31, v27, vcc
	v_cndmask_b32_e32 v29, v34, v29, vcc
	v_bfe_i32 v32, v46, 4, 1
	v_cmp_eq_u16_sdwa s[26:27], v27, v26 src0_sel:BYTE_0 src1_sel:DWORD
	v_mov_b32_dpp v29, v29 row_bcast:31 row_mask:0xf bank_mask:0xf
	v_and_b32_e32 v26, 1, v27
	v_and_b32_e32 v30, v32, v30
	;; [unrolled: 1-line block ×3, first 2 shown]
	v_cmp_eq_u32_e32 vcc, 1, v26
	v_add_u32_e32 v28, v30, v28
	v_cndmask_b32_e64 v26, v29, 1, vcc
	v_cmp_lt_u32_e32 vcc, 31, v46
	v_mov_b32_dpp v30, v28 row_bcast:31 row_mask:0xf bank_mask:0xf
	v_cndmask_b32_e32 v29, v27, v26, vcc
	s_and_b64 vcc, vcc, s[26:27]
	v_cndmask_b32_e32 v26, 0, v30, vcc
	v_add_u32_e32 v28, v26, v28
	v_cmp_eq_u32_e32 vcc, v51, v0
	s_and_saveexec_b64 s[26:27], vcc
	s_cbranch_execz .LBB1719_87
; %bb.86:
	v_lshlrev_b32_e32 v26, 3, v1
	ds_write_b32 v26, v28
	ds_write_b8 v26, v29 offset:4
.LBB1719_87:
	s_or_b64 exec, exec, s[26:27]
	v_cmp_gt_u32_e32 vcc, 4, v0
	s_waitcnt lgkmcnt(0)
	s_barrier
	s_and_saveexec_b64 s[26:27], vcc
	s_cbranch_execz .LBB1719_91
; %bb.88:
	v_lshlrev_b32_e32 v30, 3, v0
	ds_read_b64 v[26:27], v30
	v_and_b32_e32 v31, 3, v46
	v_cmp_ne_u32_e32 vcc, 0, v31
	s_waitcnt lgkmcnt(0)
	v_mov_b32_dpp v32, v26 row_shr:1 row_mask:0xf bank_mask:0xf
	v_mov_b32_dpp v34, v27 row_shr:1 row_mask:0xf bank_mask:0xf
	v_mov_b32_e32 v33, v27
	s_and_saveexec_b64 s[30:31], vcc
	s_cbranch_execz .LBB1719_90
; %bb.89:
	v_and_b32_e32 v33, 1, v27
	v_and_b32_e32 v34, 1, v34
	v_cmp_eq_u32_e32 vcc, 1, v33
	v_mov_b32_e32 v33, 0
	v_cndmask_b32_e64 v34, v34, 1, vcc
	v_cmp_eq_u16_sdwa vcc, v27, v33 src0_sel:BYTE_0 src1_sel:DWORD
	v_cndmask_b32_e32 v32, 0, v32, vcc
	v_add_u32_e32 v26, v32, v26
	v_and_b32_e32 v32, 0xffff, v34
	s_movk_i32 s7, 0xff00
	v_and_or_b32 v33, v27, s7, v32
	v_mov_b32_e32 v27, v34
.LBB1719_90:
	s_or_b64 exec, exec, s[30:31]
	v_mov_b32_dpp v33, v33 row_shr:2 row_mask:0xf bank_mask:0xf
	v_and_b32_e32 v34, 1, v27
	v_and_b32_e32 v33, 1, v33
	v_cmp_eq_u32_e32 vcc, 1, v34
	v_mov_b32_e32 v34, 0
	v_cndmask_b32_e64 v33, v33, 1, vcc
	v_cmp_eq_u16_sdwa s[30:31], v27, v34 src0_sel:BYTE_0 src1_sel:DWORD
	v_cmp_lt_u32_e32 vcc, 1, v31
	v_mov_b32_dpp v32, v26 row_shr:2 row_mask:0xf bank_mask:0xf
	v_cndmask_b32_e32 v27, v27, v33, vcc
	s_and_b64 vcc, vcc, s[30:31]
	v_cndmask_b32_e32 v31, 0, v32, vcc
	v_add_u32_e32 v26, v31, v26
	ds_write_b32 v30, v26
	ds_write_b8 v30, v27 offset:4
.LBB1719_91:
	s_or_b64 exec, exec, s[26:27]
	v_cmp_gt_u32_e32 vcc, 64, v0
	v_cmp_lt_u32_e64 s[26:27], 63, v0
	v_mov_b32_e32 v42, 0
	v_mov_b32_e32 v43, 0
	s_waitcnt lgkmcnt(0)
	s_barrier
	s_and_saveexec_b64 s[30:31], s[26:27]
	s_cbranch_execz .LBB1719_93
; %bb.92:
	v_lshl_add_u32 v26, v1, 3, -8
	ds_read_b32 v42, v26
	ds_read_u8 v43, v26 offset:4
	v_mov_b32_e32 v27, 0
	v_and_b32_e32 v30, 1, v29
	v_cmp_eq_u16_sdwa s[26:27], v29, v27 src0_sel:BYTE_0 src1_sel:DWORD
	s_waitcnt lgkmcnt(1)
	v_cndmask_b32_e64 v26, 0, v42, s[26:27]
	v_cmp_eq_u32_e64 s[26:27], 1, v30
	v_add_u32_e32 v28, v26, v28
	s_waitcnt lgkmcnt(0)
	v_cndmask_b32_e64 v29, v43, 1, s[26:27]
.LBB1719_93:
	s_or_b64 exec, exec, s[30:31]
	v_and_b32_e32 v26, 0xff, v29
	v_add_u32_e32 v27, -1, v46
	v_and_b32_e32 v29, 64, v46
	v_cmp_lt_i32_e64 s[26:27], v27, v29
	v_cndmask_b32_e64 v27, v27, v46, s[26:27]
	v_lshlrev_b32_e32 v27, 2, v27
	ds_bpermute_b32 v44, v27, v28
	ds_bpermute_b32 v45, v27, v26
	v_cmp_eq_u32_e64 s[26:27], 0, v46
	s_and_saveexec_b64 s[38:39], vcc
	s_cbranch_execz .LBB1719_112
; %bb.94:
	v_mov_b32_e32 v29, 0
	ds_read_b64 v[26:27], v29 offset:24
	s_waitcnt lgkmcnt(0)
	v_readfirstlane_b32 s7, v27
	s_and_saveexec_b64 s[30:31], s[26:27]
	s_cbranch_execz .LBB1719_96
; %bb.95:
	s_add_i32 s40, s6, 64
	s_mov_b32 s41, 0
	s_lshl_b64 s[48:49], s[40:41], 4
	s_add_u32 s48, s44, s48
	s_addc_u32 s49, s45, s49
	s_and_b32 s55, s7, 0xff000000
	s_mov_b32 s54, s41
	s_and_b32 s59, s7, 0xff0000
	s_mov_b32 s58, s41
	s_or_b64 s[54:55], s[58:59], s[54:55]
	s_and_b32 s59, s7, 0xff00
	s_or_b64 s[54:55], s[54:55], s[58:59]
	s_and_b32 s59, s7, 0xff
	s_or_b64 s[40:41], s[54:55], s[58:59]
	v_mov_b32_e32 v27, s41
	v_mov_b32_e32 v28, 1
	v_pk_mov_b32 v[30:31], s[48:49], s[48:49] op_sel:[0,1]
	;;#ASMSTART
	global_store_dwordx4 v[30:31], v[26:29] off	
s_waitcnt vmcnt(0)
	;;#ASMEND
.LBB1719_96:
	s_or_b64 exec, exec, s[30:31]
	v_xad_u32 v34, v46, -1, s6
	v_add_u32_e32 v28, 64, v34
	v_lshlrev_b64 v[30:31], 4, v[28:29]
	v_mov_b32_e32 v27, s45
	v_add_co_u32_e32 v36, vcc, s44, v30
	v_addc_co_u32_e32 v37, vcc, v27, v31, vcc
	;;#ASMSTART
	global_load_dwordx4 v[30:33], v[36:37] off glc	
s_waitcnt vmcnt(0)
	;;#ASMEND
	v_and_b32_e32 v27, 0xff0000, v30
	v_or_b32_sdwa v27, v30, v27 dst_sel:DWORD dst_unused:UNUSED_PAD src0_sel:WORD_0 src1_sel:DWORD
	v_and_b32_e32 v28, 0xff000000, v30
	v_and_b32_e32 v30, 0xff, v31
	v_or3_b32 v31, 0, 0, v30
	v_or3_b32 v30, v27, v28, 0
	v_cmp_eq_u16_sdwa s[40:41], v32, v29 src0_sel:BYTE_0 src1_sel:DWORD
	s_and_saveexec_b64 s[30:31], s[40:41]
	s_cbranch_execz .LBB1719_100
; %bb.97:
	s_mov_b64 s[40:41], 0
	v_mov_b32_e32 v27, 0
.LBB1719_98:                            ; =>This Inner Loop Header: Depth=1
	;;#ASMSTART
	global_load_dwordx4 v[30:33], v[36:37] off glc	
s_waitcnt vmcnt(0)
	;;#ASMEND
	v_cmp_ne_u16_sdwa s[48:49], v32, v27 src0_sel:BYTE_0 src1_sel:DWORD
	s_or_b64 s[40:41], s[48:49], s[40:41]
	s_andn2_b64 exec, exec, s[40:41]
	s_cbranch_execnz .LBB1719_98
; %bb.99:
	s_or_b64 exec, exec, s[40:41]
	v_and_b32_e32 v31, 0xff, v31
.LBB1719_100:
	s_or_b64 exec, exec, s[30:31]
	v_mov_b32_e32 v27, 2
	v_cmp_eq_u16_sdwa s[30:31], v32, v27 src0_sel:BYTE_0 src1_sel:DWORD
	v_lshlrev_b64 v[28:29], v46, -1
	v_and_b32_e32 v33, s31, v29
	v_or_b32_e32 v33, 0x80000000, v33
	v_and_b32_e32 v35, s30, v28
	v_ffbl_b32_e32 v33, v33
	v_and_b32_e32 v47, 63, v46
	v_add_u32_e32 v33, 32, v33
	v_ffbl_b32_e32 v35, v35
	v_cmp_ne_u32_e32 vcc, 63, v47
	v_min_u32_e32 v33, v35, v33
	v_addc_co_u32_e32 v35, vcc, 0, v46, vcc
	v_lshlrev_b32_e32 v48, 2, v35
	ds_bpermute_b32 v35, v48, v31
	ds_bpermute_b32 v36, v48, v30
	s_mov_b32 s40, 0
	v_and_b32_e32 v37, 1, v31
	s_mov_b32 s41, 1
	s_waitcnt lgkmcnt(1)
	v_and_b32_e32 v35, 1, v35
	v_cmp_eq_u32_e32 vcc, 1, v37
	v_cndmask_b32_e64 v35, v35, 1, vcc
	v_cmp_gt_u64_e32 vcc, s[40:41], v[30:31]
	v_cmp_lt_u32_e64 s[30:31], v47, v33
	s_and_b64 vcc, s[30:31], vcc
	v_and_b32_e32 v37, 0xffff, v35
	v_cndmask_b32_e64 v54, v31, v35, s[30:31]
	s_waitcnt lgkmcnt(0)
	v_cndmask_b32_e32 v35, 0, v36, vcc
	v_cmp_gt_u32_e32 vcc, 62, v47
	v_cndmask_b32_e64 v36, 0, 1, vcc
	v_lshlrev_b32_e32 v36, 1, v36
	v_cndmask_b32_e64 v31, v31, v37, s[30:31]
	v_add_lshl_u32 v49, v36, v46, 2
	ds_bpermute_b32 v36, v49, v31
	v_add_u32_e32 v30, v35, v30
	ds_bpermute_b32 v37, v49, v30
	v_and_b32_e32 v35, 1, v54
	v_cmp_eq_u32_e32 vcc, 1, v35
	s_waitcnt lgkmcnt(1)
	v_and_b32_e32 v36, 1, v36
	v_mov_b32_e32 v35, 0
	v_add_u32_e32 v53, 2, v47
	v_cndmask_b32_e64 v36, v36, 1, vcc
	v_cmp_eq_u16_sdwa vcc, v54, v35 src0_sel:BYTE_0 src1_sel:DWORD
	v_and_b32_e32 v55, 0xffff, v36
	s_waitcnt lgkmcnt(0)
	v_cndmask_b32_e32 v37, 0, v37, vcc
	v_cmp_gt_u32_e32 vcc, v53, v33
	v_cndmask_b32_e32 v36, v36, v54, vcc
	v_cndmask_b32_e64 v37, v37, 0, vcc
	v_cndmask_b32_e32 v31, v55, v31, vcc
	v_cmp_gt_u32_e32 vcc, 60, v47
	v_cndmask_b32_e64 v54, 0, 1, vcc
	v_lshlrev_b32_e32 v54, 2, v54
	v_add_lshl_u32 v54, v54, v46, 2
	ds_bpermute_b32 v56, v54, v31
	v_add_u32_e32 v30, v37, v30
	ds_bpermute_b32 v37, v54, v30
	v_and_b32_e32 v57, 1, v36
	v_cmp_eq_u32_e32 vcc, 1, v57
	s_waitcnt lgkmcnt(1)
	v_and_b32_e32 v56, 1, v56
	v_add_u32_e32 v55, 4, v47
	v_cndmask_b32_e64 v56, v56, 1, vcc
	v_cmp_eq_u16_sdwa vcc, v36, v35 src0_sel:BYTE_0 src1_sel:DWORD
	v_and_b32_e32 v57, 0xffff, v56
	s_waitcnt lgkmcnt(0)
	v_cndmask_b32_e32 v37, 0, v37, vcc
	v_cmp_gt_u32_e32 vcc, v55, v33
	v_cndmask_b32_e32 v36, v56, v36, vcc
	v_cndmask_b32_e64 v37, v37, 0, vcc
	v_cndmask_b32_e32 v31, v57, v31, vcc
	v_cmp_gt_u32_e32 vcc, 56, v47
	v_cndmask_b32_e64 v56, 0, 1, vcc
	v_lshlrev_b32_e32 v56, 3, v56
	v_add_lshl_u32 v56, v56, v46, 2
	ds_bpermute_b32 v58, v56, v31
	v_add_u32_e32 v30, v37, v30
	ds_bpermute_b32 v37, v56, v30
	v_and_b32_e32 v59, 1, v36
	v_cmp_eq_u32_e32 vcc, 1, v59
	s_waitcnt lgkmcnt(1)
	v_and_b32_e32 v58, 1, v58
	;; [unrolled: 21-line block ×4, first 2 shown]
	v_add_u32_e32 v62, 32, v47
	v_cndmask_b32_e64 v31, v31, 1, vcc
	v_cmp_eq_u16_sdwa vcc, v36, v35 src0_sel:BYTE_0 src1_sel:DWORD
	s_waitcnt lgkmcnt(0)
	v_cndmask_b32_e32 v37, 0, v37, vcc
	v_cmp_gt_u32_e32 vcc, v62, v33
	v_cndmask_b32_e64 v33, v37, 0, vcc
	v_cndmask_b32_e32 v31, v31, v36, vcc
	v_add_u32_e32 v30, v33, v30
	s_branch .LBB1719_102
.LBB1719_101:                           ;   in Loop: Header=BB1719_102 Depth=1
	s_or_b64 exec, exec, s[30:31]
	v_cmp_eq_u16_sdwa s[30:31], v32, v27 src0_sel:BYTE_0 src1_sel:DWORD
	v_and_b32_e32 v33, s31, v29
	ds_bpermute_b32 v37, v48, v31
	v_or_b32_e32 v33, 0x80000000, v33
	v_and_b32_e32 v36, s30, v28
	v_ffbl_b32_e32 v33, v33
	v_add_u32_e32 v33, 32, v33
	v_ffbl_b32_e32 v36, v36
	v_min_u32_e32 v33, v36, v33
	ds_bpermute_b32 v36, v48, v30
	v_and_b32_e32 v63, 1, v31
	s_waitcnt lgkmcnt(1)
	v_and_b32_e32 v37, 1, v37
	v_cmp_eq_u32_e32 vcc, 1, v63
	v_cndmask_b32_e64 v37, v37, 1, vcc
	v_cmp_gt_u64_e32 vcc, s[40:41], v[30:31]
	v_and_b32_e32 v63, 0xffff, v37
	v_cmp_lt_u32_e64 s[30:31], v47, v33
	v_cndmask_b32_e64 v37, v31, v37, s[30:31]
	v_cndmask_b32_e64 v31, v31, v63, s[30:31]
	s_and_b64 vcc, s[30:31], vcc
	ds_bpermute_b32 v63, v49, v31
	s_waitcnt lgkmcnt(1)
	v_cndmask_b32_e32 v36, 0, v36, vcc
	v_add_u32_e32 v30, v36, v30
	ds_bpermute_b32 v36, v49, v30
	v_and_b32_e32 v64, 1, v37
	s_waitcnt lgkmcnt(1)
	v_and_b32_e32 v63, 1, v63
	v_cmp_eq_u32_e32 vcc, 1, v64
	v_cndmask_b32_e64 v63, v63, 1, vcc
	v_cmp_eq_u16_sdwa vcc, v37, v35 src0_sel:BYTE_0 src1_sel:DWORD
	v_and_b32_e32 v64, 0xffff, v63
	s_waitcnt lgkmcnt(0)
	v_cndmask_b32_e32 v36, 0, v36, vcc
	v_cmp_gt_u32_e32 vcc, v53, v33
	v_cndmask_b32_e32 v31, v64, v31, vcc
	v_cndmask_b32_e32 v37, v63, v37, vcc
	ds_bpermute_b32 v63, v54, v31
	v_cndmask_b32_e64 v36, v36, 0, vcc
	v_add_u32_e32 v30, v36, v30
	ds_bpermute_b32 v36, v54, v30
	v_and_b32_e32 v64, 1, v37
	s_waitcnt lgkmcnt(1)
	v_and_b32_e32 v63, 1, v63
	v_cmp_eq_u32_e32 vcc, 1, v64
	v_cndmask_b32_e64 v63, v63, 1, vcc
	v_cmp_eq_u16_sdwa vcc, v37, v35 src0_sel:BYTE_0 src1_sel:DWORD
	v_and_b32_e32 v64, 0xffff, v63
	s_waitcnt lgkmcnt(0)
	v_cndmask_b32_e32 v36, 0, v36, vcc
	v_cmp_gt_u32_e32 vcc, v55, v33
	v_cndmask_b32_e32 v31, v64, v31, vcc
	v_cndmask_b32_e32 v37, v63, v37, vcc
	ds_bpermute_b32 v63, v56, v31
	v_cndmask_b32_e64 v36, v36, 0, vcc
	;; [unrolled: 16-line block ×3, first 2 shown]
	v_add_u32_e32 v30, v36, v30
	ds_bpermute_b32 v36, v58, v30
	v_and_b32_e32 v64, 1, v37
	s_waitcnt lgkmcnt(1)
	v_and_b32_e32 v63, 1, v63
	v_cmp_eq_u32_e32 vcc, 1, v64
	v_cndmask_b32_e64 v63, v63, 1, vcc
	v_cmp_eq_u16_sdwa vcc, v37, v35 src0_sel:BYTE_0 src1_sel:DWORD
	v_and_b32_e32 v64, 0xffff, v63
	s_waitcnt lgkmcnt(0)
	v_cndmask_b32_e32 v36, 0, v36, vcc
	v_cmp_gt_u32_e32 vcc, v59, v33
	v_cndmask_b32_e64 v36, v36, 0, vcc
	v_cndmask_b32_e32 v31, v64, v31, vcc
	ds_bpermute_b32 v31, v61, v31
	v_add_u32_e32 v30, v36, v30
	ds_bpermute_b32 v36, v61, v30
	v_cndmask_b32_e32 v37, v63, v37, vcc
	v_and_b32_e32 v63, 1, v37
	v_cmp_eq_u32_e32 vcc, 1, v63
	s_waitcnt lgkmcnt(1)
	v_cndmask_b32_e64 v31, v31, 1, vcc
	v_cmp_eq_u16_sdwa vcc, v37, v35 src0_sel:BYTE_0 src1_sel:DWORD
	s_waitcnt lgkmcnt(0)
	v_cndmask_b32_e32 v36, 0, v36, vcc
	v_cmp_gt_u32_e32 vcc, v62, v33
	v_cndmask_b32_e64 v33, v36, 0, vcc
	v_cndmask_b32_e32 v31, v31, v37, vcc
	v_add_u32_e32 v30, v33, v30
	v_cmp_eq_u16_sdwa vcc, v46, v35 src0_sel:BYTE_0 src1_sel:DWORD
	v_and_b32_e32 v33, 1, v46
	v_cndmask_b32_e32 v30, 0, v30, vcc
	v_and_b32_e32 v31, 1, v31
	v_cmp_eq_u32_e32 vcc, 1, v33
	v_subrev_u32_e32 v34, 64, v34
	v_add_u32_e32 v30, v30, v60
	v_cndmask_b32_e64 v31, v31, 1, vcc
.LBB1719_102:                           ; =>This Loop Header: Depth=1
                                        ;     Child Loop BB1719_105 Depth 2
	v_cmp_ne_u16_sdwa s[30:31], v32, v27 src0_sel:BYTE_0 src1_sel:DWORD
	v_mov_b32_e32 v46, v31
	v_cndmask_b32_e64 v31, 0, 1, s[30:31]
	;;#ASMSTART
	;;#ASMEND
	v_cmp_ne_u32_e32 vcc, 0, v31
	s_cmp_lg_u64 vcc, exec
	v_mov_b32_e32 v60, v30
	s_cbranch_scc1 .LBB1719_107
; %bb.103:                              ;   in Loop: Header=BB1719_102 Depth=1
	v_lshlrev_b64 v[30:31], 4, v[34:35]
	v_mov_b32_e32 v32, s45
	v_add_co_u32_e32 v36, vcc, s44, v30
	v_addc_co_u32_e32 v37, vcc, v32, v31, vcc
	;;#ASMSTART
	global_load_dwordx4 v[30:33], v[36:37] off glc	
s_waitcnt vmcnt(0)
	;;#ASMEND
	v_and_b32_e32 v33, 0xff0000, v30
	v_or_b32_sdwa v33, v30, v33 dst_sel:DWORD dst_unused:UNUSED_PAD src0_sel:WORD_0 src1_sel:DWORD
	v_and_b32_e32 v30, 0xff000000, v30
	v_and_b32_e32 v31, 0xff, v31
	v_or3_b32 v31, 0, 0, v31
	v_or3_b32 v30, v33, v30, 0
	v_cmp_eq_u16_sdwa s[48:49], v32, v35 src0_sel:BYTE_0 src1_sel:DWORD
	s_and_saveexec_b64 s[30:31], s[48:49]
	s_cbranch_execz .LBB1719_101
; %bb.104:                              ;   in Loop: Header=BB1719_102 Depth=1
	s_mov_b64 s[48:49], 0
.LBB1719_105:                           ;   Parent Loop BB1719_102 Depth=1
                                        ; =>  This Inner Loop Header: Depth=2
	;;#ASMSTART
	global_load_dwordx4 v[30:33], v[36:37] off glc	
s_waitcnt vmcnt(0)
	;;#ASMEND
	v_cmp_ne_u16_sdwa s[54:55], v32, v35 src0_sel:BYTE_0 src1_sel:DWORD
	s_or_b64 s[48:49], s[54:55], s[48:49]
	s_andn2_b64 exec, exec, s[48:49]
	s_cbranch_execnz .LBB1719_105
; %bb.106:                              ;   in Loop: Header=BB1719_102 Depth=1
	s_or_b64 exec, exec, s[48:49]
	v_and_b32_e32 v31, 0xff, v31
	s_branch .LBB1719_101
.LBB1719_107:                           ;   in Loop: Header=BB1719_102 Depth=1
                                        ; implicit-def: $vgpr31
                                        ; implicit-def: $vgpr30
                                        ; implicit-def: $vgpr32
	s_cbranch_execz .LBB1719_102
; %bb.108:
	s_and_saveexec_b64 s[30:31], s[26:27]
	s_cbranch_execz .LBB1719_110
; %bb.109:
	s_and_b32 s40, s7, 0xff
	s_cmp_eq_u32 s40, 0
	s_cselect_b64 vcc, -1, 0
	s_bitcmp1_b32 s7, 0
	s_mov_b32 s41, 0
	s_cselect_b64 s[48:49], -1, 0
	s_add_i32 s40, s6, 64
	s_lshl_b64 s[6:7], s[40:41], 4
	v_cndmask_b32_e32 v27, 0, v60, vcc
	s_add_u32 s6, s44, s6
	v_add_u32_e32 v26, v27, v26
	v_and_b32_e32 v27, 1, v46
	s_addc_u32 s7, s45, s7
	v_mov_b32_e32 v29, 0
	v_cndmask_b32_e64 v27, v27, 1, s[48:49]
	v_mov_b32_e32 v28, 2
	v_pk_mov_b32 v[30:31], s[6:7], s[6:7] op_sel:[0,1]
	;;#ASMSTART
	global_store_dwordx4 v[30:31], v[26:29] off	
s_waitcnt vmcnt(0)
	;;#ASMEND
.LBB1719_110:
	s_or_b64 exec, exec, s[30:31]
	v_cmp_eq_u32_e32 vcc, 0, v0
	s_and_b64 exec, exec, vcc
	s_cbranch_execz .LBB1719_112
; %bb.111:
	v_mov_b32_e32 v26, 0
	ds_write_b32 v26, v60 offset:24
	ds_write_b8 v26, v46 offset:28
.LBB1719_112:
	s_or_b64 exec, exec, s[38:39]
	v_mov_b32_e32 v28, 0
	s_waitcnt lgkmcnt(0)
	s_barrier
	ds_read_b32 v26, v28 offset:24
	v_cndmask_b32_e64 v27, v45, v43, s[26:27]
	v_cmp_eq_u16_sdwa vcc, v27, v28 src0_sel:BYTE_0 src1_sel:DWORD
	v_cndmask_b32_e64 v29, v44, v42, s[26:27]
	s_waitcnt lgkmcnt(0)
	v_cndmask_b32_e32 v27, 0, v26, vcc
	v_add_u32_e32 v27, v27, v29
	v_cmp_eq_u32_e32 vcc, 0, v0
	v_and_b32_e32 v29, 0xff, v39
	v_cndmask_b32_e32 v26, v27, v26, vcc
	v_cmp_eq_u64_e32 vcc, 0, v[28:29]
	v_cndmask_b32_e32 v27, 0, v26, vcc
	v_add_u32_e32 v27, v27, v38
	v_cndmask_b32_e64 v28, 0, v27, s[2:3]
	v_add_u32_e32 v42, v28, v8
	v_cndmask_b32_e64 v28, 0, v42, s[4:5]
	;; [unrolled: 2-line block ×12, first 2 shown]
	v_add_u32_e32 v49, v28, v24
	s_branch .LBB1719_139
.LBB1719_113:
	s_or_b64 exec, exec, s[30:31]
                                        ; implicit-def: $vgpr14
	s_and_saveexec_b64 s[30:31], s[2:3]
	s_cbranch_execz .LBB1719_33
.LBB1719_114:
	v_mov_b32_e32 v15, s47
	v_add_co_u32_e32 v14, vcc, s7, v12
	v_addc_co_u32_e32 v15, vcc, 0, v15, vcc
	flat_load_dword v14, v[14:15] offset:1024
	s_or_b64 exec, exec, s[30:31]
                                        ; implicit-def: $vgpr15
	s_and_saveexec_b64 s[2:3], s[4:5]
	s_cbranch_execnz .LBB1719_34
.LBB1719_115:
	s_or_b64 exec, exec, s[2:3]
                                        ; implicit-def: $vgpr16
	s_and_saveexec_b64 s[2:3], s[28:29]
	s_cbranch_execz .LBB1719_35
.LBB1719_116:
	v_mov_b32_e32 v17, s47
	v_add_co_u32_e32 v16, vcc, s7, v12
	v_addc_co_u32_e32 v17, vcc, 0, v17, vcc
	flat_load_dword v16, v[16:17] offset:3072
	s_or_b64 exec, exec, s[2:3]
                                        ; implicit-def: $vgpr17
	s_and_saveexec_b64 s[2:3], s[8:9]
	s_cbranch_execnz .LBB1719_36
.LBB1719_117:
	s_or_b64 exec, exec, s[2:3]
                                        ; implicit-def: $vgpr2
	s_and_saveexec_b64 s[2:3], s[10:11]
	s_cbranch_execz .LBB1719_37
.LBB1719_118:
	v_mov_b32_e32 v18, s47
	v_add_co_u32_e32 v2, vcc, s7, v3
	v_addc_co_u32_e32 v3, vcc, 0, v18, vcc
	flat_load_dword v2, v[2:3]
	s_or_b64 exec, exec, s[2:3]
                                        ; implicit-def: $vgpr3
	s_and_saveexec_b64 s[2:3], s[12:13]
	s_cbranch_execnz .LBB1719_38
.LBB1719_119:
	s_or_b64 exec, exec, s[2:3]
                                        ; implicit-def: $vgpr4
	s_and_saveexec_b64 s[2:3], s[14:15]
	s_cbranch_execz .LBB1719_39
.LBB1719_120:
	v_mov_b32_e32 v18, s47
	v_add_co_u32_e32 v4, vcc, s7, v5
	v_addc_co_u32_e32 v5, vcc, 0, v18, vcc
	flat_load_dword v4, v[4:5]
	s_or_b64 exec, exec, s[2:3]
                                        ; implicit-def: $vgpr5
	s_and_saveexec_b64 s[2:3], s[16:17]
	s_cbranch_execnz .LBB1719_40
.LBB1719_121:
	s_or_b64 exec, exec, s[2:3]
                                        ; implicit-def: $vgpr6
	s_and_saveexec_b64 s[2:3], s[18:19]
	s_cbranch_execz .LBB1719_41
.LBB1719_122:
	v_mov_b32_e32 v18, s47
	v_add_co_u32_e32 v6, vcc, s7, v7
	v_addc_co_u32_e32 v7, vcc, 0, v18, vcc
	flat_load_dword v6, v[6:7]
	s_or_b64 exec, exec, s[2:3]
                                        ; implicit-def: $vgpr7
	s_and_saveexec_b64 s[2:3], s[20:21]
	s_cbranch_execnz .LBB1719_42
.LBB1719_123:
	s_or_b64 exec, exec, s[2:3]
                                        ; implicit-def: $vgpr8
	s_and_saveexec_b64 s[2:3], s[22:23]
	s_cbranch_execz .LBB1719_43
.LBB1719_124:
	v_mov_b32_e32 v18, s47
	v_add_co_u32_e32 v8, vcc, s7, v9
	v_addc_co_u32_e32 v9, vcc, 0, v18, vcc
	flat_load_dword v8, v[8:9]
	s_or_b64 exec, exec, s[2:3]
                                        ; implicit-def: $vgpr9
	s_and_saveexec_b64 s[2:3], s[24:25]
	s_cbranch_execz .LBB1719_45
	s_branch .LBB1719_44
.LBB1719_125:
                                        ; implicit-def: $vgpr49
                                        ; implicit-def: $vgpr47
                                        ; implicit-def: $vgpr45
                                        ; implicit-def: $vgpr43
                                        ; implicit-def: $vgpr34_vgpr35_vgpr36_vgpr37
                                        ; implicit-def: $vgpr30_vgpr31_vgpr32_vgpr33
                                        ; implicit-def: $vgpr26_vgpr27_vgpr28_vgpr29
	s_cbranch_execz .LBB1719_139
; %bb.126:
	s_cmp_lg_u64 s[52:53], 0
	s_cselect_b32 s3, s51, 0
	s_cselect_b32 s2, s50, 0
	s_mov_b32 s24, 0
	s_cmp_eq_u64 s[2:3], 0
	v_mov_b32_e32 v32, s56
	s_cbranch_scc1 .LBB1719_128
; %bb.127:
	v_mov_b32_e32 v26, 0
	global_load_dword v32, v26, s[2:3]
.LBB1719_128:
	s_mov_b32 s25, 1
	v_cmp_gt_u64_e32 vcc, s[24:25], v[8:9]
	v_cndmask_b32_e32 v27, 0, v38, vcc
	v_add_u32_e32 v27, v27, v8
	v_cmp_gt_u64_e64 s[2:3], s[24:25], v[6:7]
	v_cndmask_b32_e64 v27, 0, v27, s[2:3]
	v_add_u32_e32 v27, v27, v6
	v_cmp_gt_u64_e64 s[4:5], s[24:25], v[4:5]
	v_cndmask_b32_e64 v27, 0, v27, s[4:5]
	;; [unrolled: 3-line block ×11, first 2 shown]
	v_mov_b32_e32 v26, 0
	v_add_u32_e32 v27, v27, v24
	v_cmp_gt_u64_e64 s[24:25], s[24:25], v[40:41]
	v_or3_b32 v7, v23, v15, v7
	v_cndmask_b32_e64 v27, 0, v27, s[24:25]
	v_or3_b32 v9, v25, v17, v9
	v_and_b32_e32 v35, 1, v7
	v_mov_b32_e32 v34, v26
	v_add_u32_e32 v33, v27, v40
	v_and_b32_e32 v27, 1, v41
	v_or3_b32 v3, v19, v11, v3
	v_and_b32_e32 v31, 1, v9
	v_mov_b32_e32 v30, v26
	v_cmp_ne_u64_e64 s[26:27], 0, v[34:35]
	v_cmp_eq_u32_e64 s[24:25], 1, v27
	v_or3_b32 v5, v21, v13, v5
	v_and_b32_e32 v27, 1, v3
	v_cndmask_b32_e64 v3, 0, 1, s[26:27]
	v_cmp_ne_u64_e64 s[26:27], 0, v[30:31]
	v_and_b32_e32 v29, 1, v5
	v_mov_b32_e32 v28, v26
	v_cndmask_b32_e64 v5, 0, 1, s[26:27]
	v_lshlrev_b16_e32 v3, 2, v3
	v_lshlrev_b16_e32 v5, 3, v5
	v_cmp_ne_u64_e64 s[26:27], 0, v[28:29]
	v_or_b32_e32 v3, v5, v3
	v_cndmask_b32_e64 v5, 0, 1, s[26:27]
	v_cmp_ne_u64_e64 s[26:27], 0, v[26:27]
	v_lshlrev_b16_e32 v5, 1, v5
	v_cndmask_b32_e64 v7, 0, 1, s[26:27]
	v_or_b32_e32 v5, v7, v5
	v_and_b32_e32 v5, 3, v5
	v_or_b32_e32 v3, v5, v3
	v_and_b32_e32 v3, 15, v3
	v_cmp_ne_u16_e64 s[26:27], 0, v3
	s_or_b64 s[24:25], s[24:25], s[26:27]
	v_cndmask_b32_e64 v5, v39, 1, s[24:25]
	v_and_b32_e32 v7, 0xff, v5
	v_mov_b32_dpp v11, v33 row_shr:1 row_mask:0xf bank_mask:0xf
	v_cmp_eq_u16_e64 s[24:25], 0, v7
	v_mov_b32_dpp v13, v7 row_shr:1 row_mask:0xf bank_mask:0xf
	v_and_b32_e32 v15, 1, v5
	v_mbcnt_hi_u32_b32 v3, -1, v52
	v_cndmask_b32_e64 v11, 0, v11, s[24:25]
	v_and_b32_e32 v13, 1, v13
	v_cmp_eq_u32_e64 s[24:25], 1, v15
	v_and_b32_e32 v9, 15, v3
	v_cndmask_b32_e64 v13, v13, 1, s[24:25]
	v_and_b32_e32 v15, 0xffff, v13
	v_cmp_eq_u32_e64 s[24:25], 0, v9
	v_cndmask_b32_e64 v5, v13, v5, s[24:25]
	v_cndmask_b32_e64 v7, v15, v7, s[24:25]
	v_and_b32_e32 v17, 1, v5
	v_cndmask_b32_e64 v11, v11, 0, s[24:25]
	v_mov_b32_dpp v15, v7 row_shr:2 row_mask:0xf bank_mask:0xf
	v_and_b32_e32 v15, 1, v15
	v_cmp_eq_u32_e64 s[24:25], 1, v17
	v_cndmask_b32_e64 v15, v15, 1, s[24:25]
	v_and_b32_e32 v17, 0xffff, v15
	v_cmp_lt_u32_e64 s[24:25], 1, v9
	v_add_u32_e32 v11, v11, v33
	v_cmp_eq_u16_sdwa s[26:27], v5, v26 src0_sel:BYTE_0 src1_sel:DWORD
	v_cndmask_b32_e64 v5, v5, v15, s[24:25]
	v_cndmask_b32_e64 v7, v7, v17, s[24:25]
	v_mov_b32_dpp v13, v11 row_shr:2 row_mask:0xf bank_mask:0xf
	s_and_b64 s[24:25], s[24:25], s[26:27]
	v_mov_b32_dpp v15, v7 row_shr:4 row_mask:0xf bank_mask:0xf
	v_and_b32_e32 v17, 1, v5
	v_cndmask_b32_e64 v13, 0, v13, s[24:25]
	v_and_b32_e32 v15, 1, v15
	v_cmp_eq_u32_e64 s[24:25], 1, v17
	v_cndmask_b32_e64 v15, v15, 1, s[24:25]
	v_and_b32_e32 v17, 0xffff, v15
	v_cmp_lt_u32_e64 s[24:25], 3, v9
	v_add_u32_e32 v11, v13, v11
	v_cmp_eq_u16_sdwa s[26:27], v5, v26 src0_sel:BYTE_0 src1_sel:DWORD
	v_cndmask_b32_e64 v5, v5, v15, s[24:25]
	v_cndmask_b32_e64 v7, v7, v17, s[24:25]
	v_mov_b32_dpp v13, v11 row_shr:4 row_mask:0xf bank_mask:0xf
	s_and_b64 s[24:25], s[24:25], s[26:27]
	v_mov_b32_dpp v15, v7 row_shr:8 row_mask:0xf bank_mask:0xf
	v_and_b32_e32 v17, 1, v5
	v_cndmask_b32_e64 v13, 0, v13, s[24:25]
	v_and_b32_e32 v15, 1, v15
	v_cmp_eq_u32_e64 s[24:25], 1, v17
	v_cndmask_b32_e64 v15, v15, 1, s[24:25]
	v_add_u32_e32 v11, v13, v11
	v_cmp_eq_u16_sdwa s[26:27], v5, v26 src0_sel:BYTE_0 src1_sel:DWORD
	v_and_b32_e32 v17, 0xffff, v15
	v_cmp_lt_u32_e64 s[24:25], 7, v9
	v_mov_b32_dpp v13, v11 row_shr:8 row_mask:0xf bank_mask:0xf
	v_cndmask_b32_e64 v5, v5, v15, s[24:25]
	v_cndmask_b32_e64 v7, v7, v17, s[24:25]
	s_and_b64 s[24:25], s[24:25], s[26:27]
	v_cndmask_b32_e64 v9, 0, v13, s[24:25]
	v_add_u32_e32 v9, v9, v11
	v_mov_b32_dpp v13, v7 row_bcast:15 row_mask:0xf bank_mask:0xf
	v_cmp_eq_u16_sdwa s[24:25], v5, v26 src0_sel:BYTE_0 src1_sel:DWORD
	v_mov_b32_dpp v11, v9 row_bcast:15 row_mask:0xf bank_mask:0xf
	v_and_b32_e32 v19, 1, v5
	v_cndmask_b32_e64 v11, 0, v11, s[24:25]
	v_and_b32_e32 v13, 1, v13
	v_cmp_eq_u32_e64 s[24:25], 1, v19
	v_and_b32_e32 v17, 16, v3
	v_cndmask_b32_e64 v13, v13, 1, s[24:25]
	v_and_b32_e32 v19, 0xffff, v13
	v_cmp_eq_u32_e64 s[24:25], 0, v17
	v_cndmask_b32_e64 v5, v13, v5, s[24:25]
	v_cndmask_b32_e64 v7, v19, v7, s[24:25]
	v_bfe_i32 v15, v3, 4, 1
	v_and_b32_e32 v13, 1, v5
	v_mov_b32_dpp v7, v7 row_bcast:31 row_mask:0xf bank_mask:0xf
	v_and_b32_e32 v11, v15, v11
	v_and_b32_e32 v7, 1, v7
	v_cmp_eq_u32_e64 s[24:25], 1, v13
	v_add_u32_e32 v9, v11, v9
	v_cmp_eq_u16_sdwa s[26:27], v5, v26 src0_sel:BYTE_0 src1_sel:DWORD
	v_cndmask_b32_e64 v7, v7, 1, s[24:25]
	v_cmp_lt_u32_e64 s[24:25], 31, v3
	v_mov_b32_dpp v11, v9 row_bcast:31 row_mask:0xf bank_mask:0xf
	v_cndmask_b32_e64 v5, v5, v7, s[24:25]
	s_and_b64 s[24:25], s[24:25], s[26:27]
	v_cndmask_b32_e64 v7, 0, v11, s[24:25]
	v_add_u32_e32 v7, v7, v9
	v_cmp_eq_u32_e64 s[24:25], v51, v0
	s_and_saveexec_b64 s[26:27], s[24:25]
	s_cbranch_execz .LBB1719_130
; %bb.129:
	v_lshlrev_b32_e32 v9, 3, v1
	ds_write_b32 v9, v7
	ds_write_b8 v9, v5 offset:4
.LBB1719_130:
	s_or_b64 exec, exec, s[26:27]
	v_cmp_gt_u32_e64 s[24:25], 4, v0
	s_waitcnt lgkmcnt(0)
	s_barrier
	s_and_saveexec_b64 s[26:27], s[24:25]
	s_cbranch_execz .LBB1719_134
; %bb.131:
	v_lshlrev_b32_e32 v9, 3, v0
	ds_read_b64 v[26:27], v9
	v_and_b32_e32 v11, 3, v3
	v_cmp_ne_u32_e64 s[24:25], 0, v11
	s_waitcnt lgkmcnt(0)
	v_mov_b32_dpp v13, v26 row_shr:1 row_mask:0xf bank_mask:0xf
	v_mov_b32_dpp v17, v27 row_shr:1 row_mask:0xf bank_mask:0xf
	v_mov_b32_e32 v15, v27
	s_and_saveexec_b64 s[28:29], s[24:25]
	s_cbranch_execz .LBB1719_133
; %bb.132:
	v_and_b32_e32 v15, 1, v27
	v_and_b32_e32 v17, 1, v17
	v_cmp_eq_u32_e64 s[24:25], 1, v15
	v_mov_b32_e32 v15, 0
	v_cndmask_b32_e64 v17, v17, 1, s[24:25]
	v_cmp_eq_u16_sdwa s[24:25], v27, v15 src0_sel:BYTE_0 src1_sel:DWORD
	v_cndmask_b32_e64 v13, 0, v13, s[24:25]
	v_add_u32_e32 v26, v13, v26
	v_and_b32_e32 v13, 0xffff, v17
	s_movk_i32 s24, 0xff00
	v_and_or_b32 v15, v27, s24, v13
	v_mov_b32_e32 v27, v17
.LBB1719_133:
	s_or_b64 exec, exec, s[28:29]
	v_mov_b32_dpp v15, v15 row_shr:2 row_mask:0xf bank_mask:0xf
	v_and_b32_e32 v17, 1, v27
	v_and_b32_e32 v15, 1, v15
	v_cmp_eq_u32_e64 s[24:25], 1, v17
	v_mov_b32_e32 v17, 0
	v_cndmask_b32_e64 v15, v15, 1, s[24:25]
	v_cmp_eq_u16_sdwa s[28:29], v27, v17 src0_sel:BYTE_0 src1_sel:DWORD
	v_cmp_lt_u32_e64 s[24:25], 1, v11
	v_mov_b32_dpp v13, v26 row_shr:2 row_mask:0xf bank_mask:0xf
	v_cndmask_b32_e64 v11, v27, v15, s[24:25]
	s_and_b64 s[24:25], s[24:25], s[28:29]
	v_cndmask_b32_e64 v13, 0, v13, s[24:25]
	v_add_u32_e32 v13, v13, v26
	ds_write_b32 v9, v13
	ds_write_b8 v9, v11 offset:4
.LBB1719_134:
	s_or_b64 exec, exec, s[26:27]
	v_cmp_lt_u32_e64 s[24:25], 63, v0
	s_waitcnt vmcnt(0)
	v_mov_b32_e32 v9, v32
	s_waitcnt lgkmcnt(0)
	s_barrier
	s_and_saveexec_b64 s[26:27], s[24:25]
	s_cbranch_execz .LBB1719_136
; %bb.135:
	v_lshl_add_u32 v1, v1, 3, -8
	ds_read_u8 v9, v1 offset:4
	ds_read_b32 v1, v1
	s_waitcnt lgkmcnt(1)
	v_cmp_eq_u16_e64 s[24:25], 0, v9
	v_cndmask_b32_e64 v9, 0, v32, s[24:25]
	s_waitcnt lgkmcnt(0)
	v_add_u32_e32 v9, v9, v1
.LBB1719_136:
	s_or_b64 exec, exec, s[26:27]
	v_mov_b32_e32 v28, 0
	v_cmp_eq_u16_sdwa s[24:25], v5, v28 src0_sel:BYTE_0 src1_sel:DWORD
	v_cndmask_b32_e64 v1, 0, v9, s[24:25]
	v_add_u32_e32 v1, v1, v7
	v_add_u32_e32 v5, -1, v3
	v_and_b32_e32 v7, 64, v3
	v_cmp_lt_i32_e64 s[24:25], v5, v7
	v_cndmask_b32_e64 v5, v5, v3, s[24:25]
	v_lshlrev_b32_e32 v5, 2, v5
	ds_bpermute_b32 v1, v5, v1
	v_cmp_eq_u32_e64 s[24:25], 0, v3
	v_and_b32_e32 v29, 0xff, v39
	v_cmp_eq_u64_e64 s[26:27], 0, v[28:29]
	s_waitcnt lgkmcnt(0)
	v_cndmask_b32_e64 v26, v1, v9, s[24:25]
	v_cmp_eq_u32_e64 s[24:25], 0, v0
	v_cndmask_b32_e64 v1, v26, v32, s[24:25]
	v_cndmask_b32_e64 v1, 0, v1, s[26:27]
	v_add_u32_e32 v27, v1, v38
	v_cndmask_b32_e32 v1, 0, v27, vcc
	v_add_u32_e32 v42, v1, v8
	v_cndmask_b32_e64 v1, 0, v42, s[2:3]
	v_add_u32_e32 v43, v1, v6
	v_cndmask_b32_e64 v1, 0, v43, s[4:5]
	;; [unrolled: 2-line block ×11, first 2 shown]
	s_and_saveexec_b64 s[2:3], s[24:25]
	s_cbranch_execz .LBB1719_138
; %bb.137:
	ds_read_u8 v3, v28 offset:28
	ds_read_b32 v2, v28 offset:24
	s_add_u32 s4, s44, 0x400
	s_addc_u32 s5, s45, 0
	v_mov_b32_e32 v5, v28
	s_waitcnt lgkmcnt(1)
	v_cmp_eq_u16_e32 vcc, 0, v3
	v_cndmask_b32_e32 v4, 0, v32, vcc
	s_waitcnt lgkmcnt(0)
	v_add_u32_e32 v2, v4, v2
	v_and_b32_e32 v3, 0xffff, v3
	v_mov_b32_e32 v4, 2
	v_pk_mov_b32 v[6:7], s[4:5], s[4:5] op_sel:[0,1]
	;;#ASMSTART
	global_store_dwordx4 v[6:7], v[2:5] off	
s_waitcnt vmcnt(0)
	;;#ASMEND
	v_mov_b32_e32 v26, v32
.LBB1719_138:
	s_or_b64 exec, exec, s[2:3]
	v_add_u32_e32 v49, v1, v24
.LBB1719_139:
	s_add_u32 s2, s42, s34
	s_addc_u32 s3, s43, s35
	s_add_u32 s4, s2, s36
	v_mul_u32_u24_e32 v1, 14, v0
	s_addc_u32 s5, s3, s37
	s_and_b64 vcc, exec, s[0:1]
	v_lshlrev_b32_e32 v2, 2, v1
	s_cbranch_vccz .LBB1719_167
; %bb.140:
	s_movk_i32 s0, 0xffcc
	v_mad_i32_i24 v3, v0, s0, v2
	s_barrier
	ds_write2_b64 v2, v[26:27], v[42:43] offset1:1
	ds_write2_b64 v2, v[30:31], v[44:45] offset0:2 offset1:3
	ds_write2_b64 v2, v[34:35], v[46:47] offset0:4 offset1:5
	ds_write_b64 v2, v[48:49] offset:48
	s_waitcnt lgkmcnt(0)
	s_barrier
	ds_read2st64_b32 v[16:17], v3 offset0:4 offset1:8
	ds_read2st64_b32 v[14:15], v3 offset0:12 offset1:16
	;; [unrolled: 1-line block ×6, first 2 shown]
	ds_read_b32 v3, v3 offset:13312
	v_mov_b32_e32 v5, s5
	v_add_co_u32_e32 v4, vcc, s4, v50
	s_add_i32 s33, s33, s46
	v_addc_co_u32_e32 v5, vcc, 0, v5, vcc
	v_mov_b32_e32 v1, 0
	v_cmp_gt_u32_e32 vcc, s33, v0
	s_and_saveexec_b64 s[0:1], vcc
	s_cbranch_execz .LBB1719_142
; %bb.141:
	v_mul_i32_i24_e32 v18, 0xffffffcc, v0
	v_add_u32_e32 v18, v2, v18
	ds_read_b32 v18, v18
	s_waitcnt lgkmcnt(0)
	v_cvt_f32_i32_e32 v18, v18
	flat_store_dword v[4:5], v18
.LBB1719_142:
	s_or_b64 exec, exec, s[0:1]
	v_or_b32_e32 v18, 0x100, v0
	v_cmp_gt_u32_e32 vcc, s33, v18
	s_and_saveexec_b64 s[0:1], vcc
	s_cbranch_execz .LBB1719_144
; %bb.143:
	s_waitcnt lgkmcnt(0)
	v_cvt_f32_i32_e32 v16, v16
	flat_store_dword v[4:5], v16 offset:1024
.LBB1719_144:
	s_or_b64 exec, exec, s[0:1]
	s_waitcnt lgkmcnt(0)
	v_or_b32_e32 v16, 0x200, v0
	v_cmp_gt_u32_e32 vcc, s33, v16
	s_and_saveexec_b64 s[0:1], vcc
	s_cbranch_execz .LBB1719_146
; %bb.145:
	v_cvt_f32_i32_e32 v16, v17
	flat_store_dword v[4:5], v16 offset:2048
.LBB1719_146:
	s_or_b64 exec, exec, s[0:1]
	v_or_b32_e32 v16, 0x300, v0
	v_cmp_gt_u32_e32 vcc, s33, v16
	s_and_saveexec_b64 s[0:1], vcc
	s_cbranch_execz .LBB1719_148
; %bb.147:
	v_cvt_f32_i32_e32 v14, v14
	flat_store_dword v[4:5], v14 offset:3072
.LBB1719_148:
	s_or_b64 exec, exec, s[0:1]
	v_or_b32_e32 v14, 0x400, v0
	v_cmp_gt_u32_e32 vcc, s33, v14
	s_and_saveexec_b64 s[0:1], vcc
	s_cbranch_execz .LBB1719_150
; %bb.149:
	v_cvt_f32_i32_e32 v16, v15
	v_add_co_u32_e32 v14, vcc, 0x1000, v4
	v_addc_co_u32_e32 v15, vcc, 0, v5, vcc
	flat_store_dword v[14:15], v16
.LBB1719_150:
	s_or_b64 exec, exec, s[0:1]
	v_or_b32_e32 v14, 0x500, v0
	v_cmp_gt_u32_e32 vcc, s33, v14
	s_and_saveexec_b64 s[0:1], vcc
	s_cbranch_execz .LBB1719_152
; %bb.151:
	v_cvt_f32_i32_e32 v12, v12
	v_add_co_u32_e32 v14, vcc, 0x1000, v4
	v_addc_co_u32_e32 v15, vcc, 0, v5, vcc
	flat_store_dword v[14:15], v12 offset:1024
.LBB1719_152:
	s_or_b64 exec, exec, s[0:1]
	v_or_b32_e32 v12, 0x600, v0
	v_cmp_gt_u32_e32 vcc, s33, v12
	s_and_saveexec_b64 s[0:1], vcc
	s_cbranch_execz .LBB1719_154
; %bb.153:
	v_cvt_f32_i32_e32 v14, v13
	v_add_co_u32_e32 v12, vcc, 0x1000, v4
	v_addc_co_u32_e32 v13, vcc, 0, v5, vcc
	flat_store_dword v[12:13], v14 offset:2048
.LBB1719_154:
	;; [unrolled: 11-line block ×3, first 2 shown]
	s_or_b64 exec, exec, s[0:1]
	v_or_b32_e32 v10, 0x800, v0
	v_cmp_gt_u32_e32 vcc, s33, v10
	s_and_saveexec_b64 s[0:1], vcc
	s_cbranch_execz .LBB1719_158
; %bb.157:
	v_cvt_f32_i32_e32 v12, v11
	v_add_co_u32_e32 v10, vcc, 0x2000, v4
	v_addc_co_u32_e32 v11, vcc, 0, v5, vcc
	flat_store_dword v[10:11], v12
.LBB1719_158:
	s_or_b64 exec, exec, s[0:1]
	v_or_b32_e32 v10, 0x900, v0
	v_cmp_gt_u32_e32 vcc, s33, v10
	s_and_saveexec_b64 s[0:1], vcc
	s_cbranch_execz .LBB1719_160
; %bb.159:
	v_cvt_f32_i32_e32 v8, v8
	v_add_co_u32_e32 v10, vcc, 0x2000, v4
	v_addc_co_u32_e32 v11, vcc, 0, v5, vcc
	flat_store_dword v[10:11], v8 offset:1024
.LBB1719_160:
	s_or_b64 exec, exec, s[0:1]
	v_or_b32_e32 v8, 0xa00, v0
	v_cmp_gt_u32_e32 vcc, s33, v8
	s_and_saveexec_b64 s[0:1], vcc
	s_cbranch_execz .LBB1719_162
; %bb.161:
	v_cvt_f32_i32_e32 v10, v9
	v_add_co_u32_e32 v8, vcc, 0x2000, v4
	v_addc_co_u32_e32 v9, vcc, 0, v5, vcc
	flat_store_dword v[8:9], v10 offset:2048
.LBB1719_162:
	;; [unrolled: 11-line block ×3, first 2 shown]
	s_or_b64 exec, exec, s[0:1]
	v_or_b32_e32 v6, 0xc00, v0
	v_cmp_gt_u32_e32 vcc, s33, v6
	s_and_saveexec_b64 s[0:1], vcc
	s_cbranch_execz .LBB1719_166
; %bb.165:
	v_cvt_f32_i32_e32 v6, v7
	v_add_co_u32_e32 v4, vcc, 0x3000, v4
	v_addc_co_u32_e32 v5, vcc, 0, v5, vcc
	flat_store_dword v[4:5], v6
.LBB1719_166:
	s_or_b64 exec, exec, s[0:1]
	v_or_b32_e32 v4, 0xd00, v0
	v_cmp_gt_u32_e64 s[0:1], s33, v4
	s_branch .LBB1719_169
.LBB1719_167:
	s_mov_b64 s[0:1], 0
                                        ; implicit-def: $vgpr3
	s_cbranch_execz .LBB1719_169
; %bb.168:
	s_movk_i32 s2, 0xffcc
	s_waitcnt lgkmcnt(0)
	s_barrier
	ds_write2_b64 v2, v[26:27], v[42:43] offset1:1
	ds_write2_b64 v2, v[30:31], v[44:45] offset0:2 offset1:3
	ds_write2_b64 v2, v[34:35], v[46:47] offset0:4 offset1:5
	ds_write_b64 v2, v[48:49] offset:48
	v_mad_i32_i24 v2, v0, s2, v2
	s_waitcnt lgkmcnt(0)
	s_barrier
	ds_read2st64_b32 v[4:5], v2 offset1:4
	ds_read2st64_b32 v[6:7], v2 offset0:8 offset1:12
	ds_read2st64_b32 v[8:9], v2 offset0:16 offset1:20
	;; [unrolled: 1-line block ×6, first 2 shown]
	s_waitcnt lgkmcnt(0)
	v_cvt_f32_i32_e32 v4, v4
	v_cvt_f32_i32_e32 v5, v5
	v_mov_b32_e32 v17, s5
	v_add_co_u32_e32 v16, vcc, s4, v50
	v_cvt_f32_i32_e32 v6, v6
	v_addc_co_u32_e32 v17, vcc, 0, v17, vcc
	v_cvt_f32_i32_e32 v7, v7
	flat_store_dword v[16:17], v4
	flat_store_dword v[16:17], v5 offset:1024
	flat_store_dword v[16:17], v6 offset:2048
	;; [unrolled: 1-line block ×3, first 2 shown]
	v_cvt_f32_i32_e32 v6, v8
	s_movk_i32 s2, 0x1000
	v_cvt_f32_i32_e32 v7, v9
	v_add_co_u32_e32 v4, vcc, s2, v16
	v_cvt_f32_i32_e32 v8, v10
	v_addc_co_u32_e32 v5, vcc, 0, v17, vcc
	v_cvt_f32_i32_e32 v9, v11
	flat_store_dword v[4:5], v6
	flat_store_dword v[4:5], v7 offset:1024
	flat_store_dword v[4:5], v8 offset:2048
	;; [unrolled: 1-line block ×3, first 2 shown]
	v_cvt_f32_i32_e32 v6, v12
	s_movk_i32 s2, 0x2000
	v_cvt_f32_i32_e32 v7, v13
	v_add_co_u32_e32 v4, vcc, s2, v16
	v_cvt_f32_i32_e32 v8, v14
	v_cvt_f32_i32_e32 v2, v2
	v_addc_co_u32_e32 v5, vcc, 0, v17, vcc
	v_cvt_f32_i32_e32 v9, v15
	flat_store_dword v[4:5], v6
	flat_store_dword v[4:5], v7 offset:1024
	flat_store_dword v[4:5], v8 offset:2048
	;; [unrolled: 1-line block ×3, first 2 shown]
	v_add_co_u32_e32 v4, vcc, 0x3000, v16
	v_mov_b32_e32 v1, 0
	v_addc_co_u32_e32 v5, vcc, 0, v17, vcc
	s_or_b64 s[0:1], s[0:1], exec
	flat_store_dword v[4:5], v2
.LBB1719_169:
	s_and_saveexec_b64 s[2:3], s[0:1]
	s_cbranch_execz .LBB1719_171
; %bb.170:
	v_lshlrev_b64 v[0:1], 2, v[0:1]
	v_mov_b32_e32 v2, s5
	v_add_co_u32_e32 v0, vcc, s4, v0
	v_addc_co_u32_e32 v1, vcc, v2, v1, vcc
	v_cvt_f32_i32_e32 v2, v3
	v_add_co_u32_e32 v0, vcc, 0x3000, v0
	v_addc_co_u32_e32 v1, vcc, 0, v1, vcc
	flat_store_dword v[0:1], v2 offset:1024
	s_endpgm
.LBB1719_171:
	s_endpgm
	.section	.rodata,"a",@progbits
	.p2align	6, 0x0
	.amdhsa_kernel _ZN7rocprim17ROCPRIM_400000_NS6detail17trampoline_kernelINS0_14default_configENS1_27scan_by_key_config_selectorIiiEEZZNS1_16scan_by_key_implILNS1_25lookback_scan_determinismE0ELb1ES3_N6thrust23THRUST_200600_302600_NS6detail15normal_iteratorINS9_10device_ptrIiEEEENSB_INSC_IjEEEENSB_INSC_IfEEEEiNS9_4plusIvEENS9_8equal_toIvEEiEE10hipError_tPvRmT2_T3_T4_T5_mT6_T7_P12ihipStream_tbENKUlT_T0_E_clISt17integral_constantIbLb0EES13_EEDaSY_SZ_EUlSY_E_NS1_11comp_targetILNS1_3genE4ELNS1_11target_archE910ELNS1_3gpuE8ELNS1_3repE0EEENS1_30default_config_static_selectorELNS0_4arch9wavefront6targetE1EEEvT1_
		.amdhsa_group_segment_fixed_size 16384
		.amdhsa_private_segment_fixed_size 0
		.amdhsa_kernarg_size 112
		.amdhsa_user_sgpr_count 6
		.amdhsa_user_sgpr_private_segment_buffer 1
		.amdhsa_user_sgpr_dispatch_ptr 0
		.amdhsa_user_sgpr_queue_ptr 0
		.amdhsa_user_sgpr_kernarg_segment_ptr 1
		.amdhsa_user_sgpr_dispatch_id 0
		.amdhsa_user_sgpr_flat_scratch_init 0
		.amdhsa_user_sgpr_kernarg_preload_length 0
		.amdhsa_user_sgpr_kernarg_preload_offset 0
		.amdhsa_user_sgpr_private_segment_size 0
		.amdhsa_uses_dynamic_stack 0
		.amdhsa_system_sgpr_private_segment_wavefront_offset 0
		.amdhsa_system_sgpr_workgroup_id_x 1
		.amdhsa_system_sgpr_workgroup_id_y 0
		.amdhsa_system_sgpr_workgroup_id_z 0
		.amdhsa_system_sgpr_workgroup_info 0
		.amdhsa_system_vgpr_workitem_id 0
		.amdhsa_next_free_vgpr 65
		.amdhsa_next_free_sgpr 60
		.amdhsa_accum_offset 68
		.amdhsa_reserve_vcc 1
		.amdhsa_reserve_flat_scratch 0
		.amdhsa_float_round_mode_32 0
		.amdhsa_float_round_mode_16_64 0
		.amdhsa_float_denorm_mode_32 3
		.amdhsa_float_denorm_mode_16_64 3
		.amdhsa_dx10_clamp 1
		.amdhsa_ieee_mode 1
		.amdhsa_fp16_overflow 0
		.amdhsa_tg_split 0
		.amdhsa_exception_fp_ieee_invalid_op 0
		.amdhsa_exception_fp_denorm_src 0
		.amdhsa_exception_fp_ieee_div_zero 0
		.amdhsa_exception_fp_ieee_overflow 0
		.amdhsa_exception_fp_ieee_underflow 0
		.amdhsa_exception_fp_ieee_inexact 0
		.amdhsa_exception_int_div_zero 0
	.end_amdhsa_kernel
	.section	.text._ZN7rocprim17ROCPRIM_400000_NS6detail17trampoline_kernelINS0_14default_configENS1_27scan_by_key_config_selectorIiiEEZZNS1_16scan_by_key_implILNS1_25lookback_scan_determinismE0ELb1ES3_N6thrust23THRUST_200600_302600_NS6detail15normal_iteratorINS9_10device_ptrIiEEEENSB_INSC_IjEEEENSB_INSC_IfEEEEiNS9_4plusIvEENS9_8equal_toIvEEiEE10hipError_tPvRmT2_T3_T4_T5_mT6_T7_P12ihipStream_tbENKUlT_T0_E_clISt17integral_constantIbLb0EES13_EEDaSY_SZ_EUlSY_E_NS1_11comp_targetILNS1_3genE4ELNS1_11target_archE910ELNS1_3gpuE8ELNS1_3repE0EEENS1_30default_config_static_selectorELNS0_4arch9wavefront6targetE1EEEvT1_,"axG",@progbits,_ZN7rocprim17ROCPRIM_400000_NS6detail17trampoline_kernelINS0_14default_configENS1_27scan_by_key_config_selectorIiiEEZZNS1_16scan_by_key_implILNS1_25lookback_scan_determinismE0ELb1ES3_N6thrust23THRUST_200600_302600_NS6detail15normal_iteratorINS9_10device_ptrIiEEEENSB_INSC_IjEEEENSB_INSC_IfEEEEiNS9_4plusIvEENS9_8equal_toIvEEiEE10hipError_tPvRmT2_T3_T4_T5_mT6_T7_P12ihipStream_tbENKUlT_T0_E_clISt17integral_constantIbLb0EES13_EEDaSY_SZ_EUlSY_E_NS1_11comp_targetILNS1_3genE4ELNS1_11target_archE910ELNS1_3gpuE8ELNS1_3repE0EEENS1_30default_config_static_selectorELNS0_4arch9wavefront6targetE1EEEvT1_,comdat
.Lfunc_end1719:
	.size	_ZN7rocprim17ROCPRIM_400000_NS6detail17trampoline_kernelINS0_14default_configENS1_27scan_by_key_config_selectorIiiEEZZNS1_16scan_by_key_implILNS1_25lookback_scan_determinismE0ELb1ES3_N6thrust23THRUST_200600_302600_NS6detail15normal_iteratorINS9_10device_ptrIiEEEENSB_INSC_IjEEEENSB_INSC_IfEEEEiNS9_4plusIvEENS9_8equal_toIvEEiEE10hipError_tPvRmT2_T3_T4_T5_mT6_T7_P12ihipStream_tbENKUlT_T0_E_clISt17integral_constantIbLb0EES13_EEDaSY_SZ_EUlSY_E_NS1_11comp_targetILNS1_3genE4ELNS1_11target_archE910ELNS1_3gpuE8ELNS1_3repE0EEENS1_30default_config_static_selectorELNS0_4arch9wavefront6targetE1EEEvT1_, .Lfunc_end1719-_ZN7rocprim17ROCPRIM_400000_NS6detail17trampoline_kernelINS0_14default_configENS1_27scan_by_key_config_selectorIiiEEZZNS1_16scan_by_key_implILNS1_25lookback_scan_determinismE0ELb1ES3_N6thrust23THRUST_200600_302600_NS6detail15normal_iteratorINS9_10device_ptrIiEEEENSB_INSC_IjEEEENSB_INSC_IfEEEEiNS9_4plusIvEENS9_8equal_toIvEEiEE10hipError_tPvRmT2_T3_T4_T5_mT6_T7_P12ihipStream_tbENKUlT_T0_E_clISt17integral_constantIbLb0EES13_EEDaSY_SZ_EUlSY_E_NS1_11comp_targetILNS1_3genE4ELNS1_11target_archE910ELNS1_3gpuE8ELNS1_3repE0EEENS1_30default_config_static_selectorELNS0_4arch9wavefront6targetE1EEEvT1_
                                        ; -- End function
	.section	.AMDGPU.csdata,"",@progbits
; Kernel info:
; codeLenInByte = 11292
; NumSgprs: 64
; NumVgprs: 65
; NumAgprs: 0
; TotalNumVgprs: 65
; ScratchSize: 0
; MemoryBound: 0
; FloatMode: 240
; IeeeMode: 1
; LDSByteSize: 16384 bytes/workgroup (compile time only)
; SGPRBlocks: 7
; VGPRBlocks: 8
; NumSGPRsForWavesPerEU: 64
; NumVGPRsForWavesPerEU: 65
; AccumOffset: 68
; Occupancy: 4
; WaveLimiterHint : 1
; COMPUTE_PGM_RSRC2:SCRATCH_EN: 0
; COMPUTE_PGM_RSRC2:USER_SGPR: 6
; COMPUTE_PGM_RSRC2:TRAP_HANDLER: 0
; COMPUTE_PGM_RSRC2:TGID_X_EN: 1
; COMPUTE_PGM_RSRC2:TGID_Y_EN: 0
; COMPUTE_PGM_RSRC2:TGID_Z_EN: 0
; COMPUTE_PGM_RSRC2:TIDIG_COMP_CNT: 0
; COMPUTE_PGM_RSRC3_GFX90A:ACCUM_OFFSET: 16
; COMPUTE_PGM_RSRC3_GFX90A:TG_SPLIT: 0
	.section	.text._ZN7rocprim17ROCPRIM_400000_NS6detail17trampoline_kernelINS0_14default_configENS1_27scan_by_key_config_selectorIiiEEZZNS1_16scan_by_key_implILNS1_25lookback_scan_determinismE0ELb1ES3_N6thrust23THRUST_200600_302600_NS6detail15normal_iteratorINS9_10device_ptrIiEEEENSB_INSC_IjEEEENSB_INSC_IfEEEEiNS9_4plusIvEENS9_8equal_toIvEEiEE10hipError_tPvRmT2_T3_T4_T5_mT6_T7_P12ihipStream_tbENKUlT_T0_E_clISt17integral_constantIbLb0EES13_EEDaSY_SZ_EUlSY_E_NS1_11comp_targetILNS1_3genE3ELNS1_11target_archE908ELNS1_3gpuE7ELNS1_3repE0EEENS1_30default_config_static_selectorELNS0_4arch9wavefront6targetE1EEEvT1_,"axG",@progbits,_ZN7rocprim17ROCPRIM_400000_NS6detail17trampoline_kernelINS0_14default_configENS1_27scan_by_key_config_selectorIiiEEZZNS1_16scan_by_key_implILNS1_25lookback_scan_determinismE0ELb1ES3_N6thrust23THRUST_200600_302600_NS6detail15normal_iteratorINS9_10device_ptrIiEEEENSB_INSC_IjEEEENSB_INSC_IfEEEEiNS9_4plusIvEENS9_8equal_toIvEEiEE10hipError_tPvRmT2_T3_T4_T5_mT6_T7_P12ihipStream_tbENKUlT_T0_E_clISt17integral_constantIbLb0EES13_EEDaSY_SZ_EUlSY_E_NS1_11comp_targetILNS1_3genE3ELNS1_11target_archE908ELNS1_3gpuE7ELNS1_3repE0EEENS1_30default_config_static_selectorELNS0_4arch9wavefront6targetE1EEEvT1_,comdat
	.protected	_ZN7rocprim17ROCPRIM_400000_NS6detail17trampoline_kernelINS0_14default_configENS1_27scan_by_key_config_selectorIiiEEZZNS1_16scan_by_key_implILNS1_25lookback_scan_determinismE0ELb1ES3_N6thrust23THRUST_200600_302600_NS6detail15normal_iteratorINS9_10device_ptrIiEEEENSB_INSC_IjEEEENSB_INSC_IfEEEEiNS9_4plusIvEENS9_8equal_toIvEEiEE10hipError_tPvRmT2_T3_T4_T5_mT6_T7_P12ihipStream_tbENKUlT_T0_E_clISt17integral_constantIbLb0EES13_EEDaSY_SZ_EUlSY_E_NS1_11comp_targetILNS1_3genE3ELNS1_11target_archE908ELNS1_3gpuE7ELNS1_3repE0EEENS1_30default_config_static_selectorELNS0_4arch9wavefront6targetE1EEEvT1_ ; -- Begin function _ZN7rocprim17ROCPRIM_400000_NS6detail17trampoline_kernelINS0_14default_configENS1_27scan_by_key_config_selectorIiiEEZZNS1_16scan_by_key_implILNS1_25lookback_scan_determinismE0ELb1ES3_N6thrust23THRUST_200600_302600_NS6detail15normal_iteratorINS9_10device_ptrIiEEEENSB_INSC_IjEEEENSB_INSC_IfEEEEiNS9_4plusIvEENS9_8equal_toIvEEiEE10hipError_tPvRmT2_T3_T4_T5_mT6_T7_P12ihipStream_tbENKUlT_T0_E_clISt17integral_constantIbLb0EES13_EEDaSY_SZ_EUlSY_E_NS1_11comp_targetILNS1_3genE3ELNS1_11target_archE908ELNS1_3gpuE7ELNS1_3repE0EEENS1_30default_config_static_selectorELNS0_4arch9wavefront6targetE1EEEvT1_
	.globl	_ZN7rocprim17ROCPRIM_400000_NS6detail17trampoline_kernelINS0_14default_configENS1_27scan_by_key_config_selectorIiiEEZZNS1_16scan_by_key_implILNS1_25lookback_scan_determinismE0ELb1ES3_N6thrust23THRUST_200600_302600_NS6detail15normal_iteratorINS9_10device_ptrIiEEEENSB_INSC_IjEEEENSB_INSC_IfEEEEiNS9_4plusIvEENS9_8equal_toIvEEiEE10hipError_tPvRmT2_T3_T4_T5_mT6_T7_P12ihipStream_tbENKUlT_T0_E_clISt17integral_constantIbLb0EES13_EEDaSY_SZ_EUlSY_E_NS1_11comp_targetILNS1_3genE3ELNS1_11target_archE908ELNS1_3gpuE7ELNS1_3repE0EEENS1_30default_config_static_selectorELNS0_4arch9wavefront6targetE1EEEvT1_
	.p2align	8
	.type	_ZN7rocprim17ROCPRIM_400000_NS6detail17trampoline_kernelINS0_14default_configENS1_27scan_by_key_config_selectorIiiEEZZNS1_16scan_by_key_implILNS1_25lookback_scan_determinismE0ELb1ES3_N6thrust23THRUST_200600_302600_NS6detail15normal_iteratorINS9_10device_ptrIiEEEENSB_INSC_IjEEEENSB_INSC_IfEEEEiNS9_4plusIvEENS9_8equal_toIvEEiEE10hipError_tPvRmT2_T3_T4_T5_mT6_T7_P12ihipStream_tbENKUlT_T0_E_clISt17integral_constantIbLb0EES13_EEDaSY_SZ_EUlSY_E_NS1_11comp_targetILNS1_3genE3ELNS1_11target_archE908ELNS1_3gpuE7ELNS1_3repE0EEENS1_30default_config_static_selectorELNS0_4arch9wavefront6targetE1EEEvT1_,@function
_ZN7rocprim17ROCPRIM_400000_NS6detail17trampoline_kernelINS0_14default_configENS1_27scan_by_key_config_selectorIiiEEZZNS1_16scan_by_key_implILNS1_25lookback_scan_determinismE0ELb1ES3_N6thrust23THRUST_200600_302600_NS6detail15normal_iteratorINS9_10device_ptrIiEEEENSB_INSC_IjEEEENSB_INSC_IfEEEEiNS9_4plusIvEENS9_8equal_toIvEEiEE10hipError_tPvRmT2_T3_T4_T5_mT6_T7_P12ihipStream_tbENKUlT_T0_E_clISt17integral_constantIbLb0EES13_EEDaSY_SZ_EUlSY_E_NS1_11comp_targetILNS1_3genE3ELNS1_11target_archE908ELNS1_3gpuE7ELNS1_3repE0EEENS1_30default_config_static_selectorELNS0_4arch9wavefront6targetE1EEEvT1_: ; @_ZN7rocprim17ROCPRIM_400000_NS6detail17trampoline_kernelINS0_14default_configENS1_27scan_by_key_config_selectorIiiEEZZNS1_16scan_by_key_implILNS1_25lookback_scan_determinismE0ELb1ES3_N6thrust23THRUST_200600_302600_NS6detail15normal_iteratorINS9_10device_ptrIiEEEENSB_INSC_IjEEEENSB_INSC_IfEEEEiNS9_4plusIvEENS9_8equal_toIvEEiEE10hipError_tPvRmT2_T3_T4_T5_mT6_T7_P12ihipStream_tbENKUlT_T0_E_clISt17integral_constantIbLb0EES13_EEDaSY_SZ_EUlSY_E_NS1_11comp_targetILNS1_3genE3ELNS1_11target_archE908ELNS1_3gpuE7ELNS1_3repE0EEENS1_30default_config_static_selectorELNS0_4arch9wavefront6targetE1EEEvT1_
; %bb.0:
	.section	.rodata,"a",@progbits
	.p2align	6, 0x0
	.amdhsa_kernel _ZN7rocprim17ROCPRIM_400000_NS6detail17trampoline_kernelINS0_14default_configENS1_27scan_by_key_config_selectorIiiEEZZNS1_16scan_by_key_implILNS1_25lookback_scan_determinismE0ELb1ES3_N6thrust23THRUST_200600_302600_NS6detail15normal_iteratorINS9_10device_ptrIiEEEENSB_INSC_IjEEEENSB_INSC_IfEEEEiNS9_4plusIvEENS9_8equal_toIvEEiEE10hipError_tPvRmT2_T3_T4_T5_mT6_T7_P12ihipStream_tbENKUlT_T0_E_clISt17integral_constantIbLb0EES13_EEDaSY_SZ_EUlSY_E_NS1_11comp_targetILNS1_3genE3ELNS1_11target_archE908ELNS1_3gpuE7ELNS1_3repE0EEENS1_30default_config_static_selectorELNS0_4arch9wavefront6targetE1EEEvT1_
		.amdhsa_group_segment_fixed_size 0
		.amdhsa_private_segment_fixed_size 0
		.amdhsa_kernarg_size 112
		.amdhsa_user_sgpr_count 6
		.amdhsa_user_sgpr_private_segment_buffer 1
		.amdhsa_user_sgpr_dispatch_ptr 0
		.amdhsa_user_sgpr_queue_ptr 0
		.amdhsa_user_sgpr_kernarg_segment_ptr 1
		.amdhsa_user_sgpr_dispatch_id 0
		.amdhsa_user_sgpr_flat_scratch_init 0
		.amdhsa_user_sgpr_kernarg_preload_length 0
		.amdhsa_user_sgpr_kernarg_preload_offset 0
		.amdhsa_user_sgpr_private_segment_size 0
		.amdhsa_uses_dynamic_stack 0
		.amdhsa_system_sgpr_private_segment_wavefront_offset 0
		.amdhsa_system_sgpr_workgroup_id_x 1
		.amdhsa_system_sgpr_workgroup_id_y 0
		.amdhsa_system_sgpr_workgroup_id_z 0
		.amdhsa_system_sgpr_workgroup_info 0
		.amdhsa_system_vgpr_workitem_id 0
		.amdhsa_next_free_vgpr 1
		.amdhsa_next_free_sgpr 0
		.amdhsa_accum_offset 4
		.amdhsa_reserve_vcc 0
		.amdhsa_reserve_flat_scratch 0
		.amdhsa_float_round_mode_32 0
		.amdhsa_float_round_mode_16_64 0
		.amdhsa_float_denorm_mode_32 3
		.amdhsa_float_denorm_mode_16_64 3
		.amdhsa_dx10_clamp 1
		.amdhsa_ieee_mode 1
		.amdhsa_fp16_overflow 0
		.amdhsa_tg_split 0
		.amdhsa_exception_fp_ieee_invalid_op 0
		.amdhsa_exception_fp_denorm_src 0
		.amdhsa_exception_fp_ieee_div_zero 0
		.amdhsa_exception_fp_ieee_overflow 0
		.amdhsa_exception_fp_ieee_underflow 0
		.amdhsa_exception_fp_ieee_inexact 0
		.amdhsa_exception_int_div_zero 0
	.end_amdhsa_kernel
	.section	.text._ZN7rocprim17ROCPRIM_400000_NS6detail17trampoline_kernelINS0_14default_configENS1_27scan_by_key_config_selectorIiiEEZZNS1_16scan_by_key_implILNS1_25lookback_scan_determinismE0ELb1ES3_N6thrust23THRUST_200600_302600_NS6detail15normal_iteratorINS9_10device_ptrIiEEEENSB_INSC_IjEEEENSB_INSC_IfEEEEiNS9_4plusIvEENS9_8equal_toIvEEiEE10hipError_tPvRmT2_T3_T4_T5_mT6_T7_P12ihipStream_tbENKUlT_T0_E_clISt17integral_constantIbLb0EES13_EEDaSY_SZ_EUlSY_E_NS1_11comp_targetILNS1_3genE3ELNS1_11target_archE908ELNS1_3gpuE7ELNS1_3repE0EEENS1_30default_config_static_selectorELNS0_4arch9wavefront6targetE1EEEvT1_,"axG",@progbits,_ZN7rocprim17ROCPRIM_400000_NS6detail17trampoline_kernelINS0_14default_configENS1_27scan_by_key_config_selectorIiiEEZZNS1_16scan_by_key_implILNS1_25lookback_scan_determinismE0ELb1ES3_N6thrust23THRUST_200600_302600_NS6detail15normal_iteratorINS9_10device_ptrIiEEEENSB_INSC_IjEEEENSB_INSC_IfEEEEiNS9_4plusIvEENS9_8equal_toIvEEiEE10hipError_tPvRmT2_T3_T4_T5_mT6_T7_P12ihipStream_tbENKUlT_T0_E_clISt17integral_constantIbLb0EES13_EEDaSY_SZ_EUlSY_E_NS1_11comp_targetILNS1_3genE3ELNS1_11target_archE908ELNS1_3gpuE7ELNS1_3repE0EEENS1_30default_config_static_selectorELNS0_4arch9wavefront6targetE1EEEvT1_,comdat
.Lfunc_end1720:
	.size	_ZN7rocprim17ROCPRIM_400000_NS6detail17trampoline_kernelINS0_14default_configENS1_27scan_by_key_config_selectorIiiEEZZNS1_16scan_by_key_implILNS1_25lookback_scan_determinismE0ELb1ES3_N6thrust23THRUST_200600_302600_NS6detail15normal_iteratorINS9_10device_ptrIiEEEENSB_INSC_IjEEEENSB_INSC_IfEEEEiNS9_4plusIvEENS9_8equal_toIvEEiEE10hipError_tPvRmT2_T3_T4_T5_mT6_T7_P12ihipStream_tbENKUlT_T0_E_clISt17integral_constantIbLb0EES13_EEDaSY_SZ_EUlSY_E_NS1_11comp_targetILNS1_3genE3ELNS1_11target_archE908ELNS1_3gpuE7ELNS1_3repE0EEENS1_30default_config_static_selectorELNS0_4arch9wavefront6targetE1EEEvT1_, .Lfunc_end1720-_ZN7rocprim17ROCPRIM_400000_NS6detail17trampoline_kernelINS0_14default_configENS1_27scan_by_key_config_selectorIiiEEZZNS1_16scan_by_key_implILNS1_25lookback_scan_determinismE0ELb1ES3_N6thrust23THRUST_200600_302600_NS6detail15normal_iteratorINS9_10device_ptrIiEEEENSB_INSC_IjEEEENSB_INSC_IfEEEEiNS9_4plusIvEENS9_8equal_toIvEEiEE10hipError_tPvRmT2_T3_T4_T5_mT6_T7_P12ihipStream_tbENKUlT_T0_E_clISt17integral_constantIbLb0EES13_EEDaSY_SZ_EUlSY_E_NS1_11comp_targetILNS1_3genE3ELNS1_11target_archE908ELNS1_3gpuE7ELNS1_3repE0EEENS1_30default_config_static_selectorELNS0_4arch9wavefront6targetE1EEEvT1_
                                        ; -- End function
	.section	.AMDGPU.csdata,"",@progbits
; Kernel info:
; codeLenInByte = 0
; NumSgprs: 4
; NumVgprs: 0
; NumAgprs: 0
; TotalNumVgprs: 0
; ScratchSize: 0
; MemoryBound: 0
; FloatMode: 240
; IeeeMode: 1
; LDSByteSize: 0 bytes/workgroup (compile time only)
; SGPRBlocks: 0
; VGPRBlocks: 0
; NumSGPRsForWavesPerEU: 4
; NumVGPRsForWavesPerEU: 1
; AccumOffset: 4
; Occupancy: 8
; WaveLimiterHint : 0
; COMPUTE_PGM_RSRC2:SCRATCH_EN: 0
; COMPUTE_PGM_RSRC2:USER_SGPR: 6
; COMPUTE_PGM_RSRC2:TRAP_HANDLER: 0
; COMPUTE_PGM_RSRC2:TGID_X_EN: 1
; COMPUTE_PGM_RSRC2:TGID_Y_EN: 0
; COMPUTE_PGM_RSRC2:TGID_Z_EN: 0
; COMPUTE_PGM_RSRC2:TIDIG_COMP_CNT: 0
; COMPUTE_PGM_RSRC3_GFX90A:ACCUM_OFFSET: 0
; COMPUTE_PGM_RSRC3_GFX90A:TG_SPLIT: 0
	.section	.text._ZN7rocprim17ROCPRIM_400000_NS6detail17trampoline_kernelINS0_14default_configENS1_27scan_by_key_config_selectorIiiEEZZNS1_16scan_by_key_implILNS1_25lookback_scan_determinismE0ELb1ES3_N6thrust23THRUST_200600_302600_NS6detail15normal_iteratorINS9_10device_ptrIiEEEENSB_INSC_IjEEEENSB_INSC_IfEEEEiNS9_4plusIvEENS9_8equal_toIvEEiEE10hipError_tPvRmT2_T3_T4_T5_mT6_T7_P12ihipStream_tbENKUlT_T0_E_clISt17integral_constantIbLb0EES13_EEDaSY_SZ_EUlSY_E_NS1_11comp_targetILNS1_3genE2ELNS1_11target_archE906ELNS1_3gpuE6ELNS1_3repE0EEENS1_30default_config_static_selectorELNS0_4arch9wavefront6targetE1EEEvT1_,"axG",@progbits,_ZN7rocprim17ROCPRIM_400000_NS6detail17trampoline_kernelINS0_14default_configENS1_27scan_by_key_config_selectorIiiEEZZNS1_16scan_by_key_implILNS1_25lookback_scan_determinismE0ELb1ES3_N6thrust23THRUST_200600_302600_NS6detail15normal_iteratorINS9_10device_ptrIiEEEENSB_INSC_IjEEEENSB_INSC_IfEEEEiNS9_4plusIvEENS9_8equal_toIvEEiEE10hipError_tPvRmT2_T3_T4_T5_mT6_T7_P12ihipStream_tbENKUlT_T0_E_clISt17integral_constantIbLb0EES13_EEDaSY_SZ_EUlSY_E_NS1_11comp_targetILNS1_3genE2ELNS1_11target_archE906ELNS1_3gpuE6ELNS1_3repE0EEENS1_30default_config_static_selectorELNS0_4arch9wavefront6targetE1EEEvT1_,comdat
	.protected	_ZN7rocprim17ROCPRIM_400000_NS6detail17trampoline_kernelINS0_14default_configENS1_27scan_by_key_config_selectorIiiEEZZNS1_16scan_by_key_implILNS1_25lookback_scan_determinismE0ELb1ES3_N6thrust23THRUST_200600_302600_NS6detail15normal_iteratorINS9_10device_ptrIiEEEENSB_INSC_IjEEEENSB_INSC_IfEEEEiNS9_4plusIvEENS9_8equal_toIvEEiEE10hipError_tPvRmT2_T3_T4_T5_mT6_T7_P12ihipStream_tbENKUlT_T0_E_clISt17integral_constantIbLb0EES13_EEDaSY_SZ_EUlSY_E_NS1_11comp_targetILNS1_3genE2ELNS1_11target_archE906ELNS1_3gpuE6ELNS1_3repE0EEENS1_30default_config_static_selectorELNS0_4arch9wavefront6targetE1EEEvT1_ ; -- Begin function _ZN7rocprim17ROCPRIM_400000_NS6detail17trampoline_kernelINS0_14default_configENS1_27scan_by_key_config_selectorIiiEEZZNS1_16scan_by_key_implILNS1_25lookback_scan_determinismE0ELb1ES3_N6thrust23THRUST_200600_302600_NS6detail15normal_iteratorINS9_10device_ptrIiEEEENSB_INSC_IjEEEENSB_INSC_IfEEEEiNS9_4plusIvEENS9_8equal_toIvEEiEE10hipError_tPvRmT2_T3_T4_T5_mT6_T7_P12ihipStream_tbENKUlT_T0_E_clISt17integral_constantIbLb0EES13_EEDaSY_SZ_EUlSY_E_NS1_11comp_targetILNS1_3genE2ELNS1_11target_archE906ELNS1_3gpuE6ELNS1_3repE0EEENS1_30default_config_static_selectorELNS0_4arch9wavefront6targetE1EEEvT1_
	.globl	_ZN7rocprim17ROCPRIM_400000_NS6detail17trampoline_kernelINS0_14default_configENS1_27scan_by_key_config_selectorIiiEEZZNS1_16scan_by_key_implILNS1_25lookback_scan_determinismE0ELb1ES3_N6thrust23THRUST_200600_302600_NS6detail15normal_iteratorINS9_10device_ptrIiEEEENSB_INSC_IjEEEENSB_INSC_IfEEEEiNS9_4plusIvEENS9_8equal_toIvEEiEE10hipError_tPvRmT2_T3_T4_T5_mT6_T7_P12ihipStream_tbENKUlT_T0_E_clISt17integral_constantIbLb0EES13_EEDaSY_SZ_EUlSY_E_NS1_11comp_targetILNS1_3genE2ELNS1_11target_archE906ELNS1_3gpuE6ELNS1_3repE0EEENS1_30default_config_static_selectorELNS0_4arch9wavefront6targetE1EEEvT1_
	.p2align	8
	.type	_ZN7rocprim17ROCPRIM_400000_NS6detail17trampoline_kernelINS0_14default_configENS1_27scan_by_key_config_selectorIiiEEZZNS1_16scan_by_key_implILNS1_25lookback_scan_determinismE0ELb1ES3_N6thrust23THRUST_200600_302600_NS6detail15normal_iteratorINS9_10device_ptrIiEEEENSB_INSC_IjEEEENSB_INSC_IfEEEEiNS9_4plusIvEENS9_8equal_toIvEEiEE10hipError_tPvRmT2_T3_T4_T5_mT6_T7_P12ihipStream_tbENKUlT_T0_E_clISt17integral_constantIbLb0EES13_EEDaSY_SZ_EUlSY_E_NS1_11comp_targetILNS1_3genE2ELNS1_11target_archE906ELNS1_3gpuE6ELNS1_3repE0EEENS1_30default_config_static_selectorELNS0_4arch9wavefront6targetE1EEEvT1_,@function
_ZN7rocprim17ROCPRIM_400000_NS6detail17trampoline_kernelINS0_14default_configENS1_27scan_by_key_config_selectorIiiEEZZNS1_16scan_by_key_implILNS1_25lookback_scan_determinismE0ELb1ES3_N6thrust23THRUST_200600_302600_NS6detail15normal_iteratorINS9_10device_ptrIiEEEENSB_INSC_IjEEEENSB_INSC_IfEEEEiNS9_4plusIvEENS9_8equal_toIvEEiEE10hipError_tPvRmT2_T3_T4_T5_mT6_T7_P12ihipStream_tbENKUlT_T0_E_clISt17integral_constantIbLb0EES13_EEDaSY_SZ_EUlSY_E_NS1_11comp_targetILNS1_3genE2ELNS1_11target_archE906ELNS1_3gpuE6ELNS1_3repE0EEENS1_30default_config_static_selectorELNS0_4arch9wavefront6targetE1EEEvT1_: ; @_ZN7rocprim17ROCPRIM_400000_NS6detail17trampoline_kernelINS0_14default_configENS1_27scan_by_key_config_selectorIiiEEZZNS1_16scan_by_key_implILNS1_25lookback_scan_determinismE0ELb1ES3_N6thrust23THRUST_200600_302600_NS6detail15normal_iteratorINS9_10device_ptrIiEEEENSB_INSC_IjEEEENSB_INSC_IfEEEEiNS9_4plusIvEENS9_8equal_toIvEEiEE10hipError_tPvRmT2_T3_T4_T5_mT6_T7_P12ihipStream_tbENKUlT_T0_E_clISt17integral_constantIbLb0EES13_EEDaSY_SZ_EUlSY_E_NS1_11comp_targetILNS1_3genE2ELNS1_11target_archE906ELNS1_3gpuE6ELNS1_3repE0EEENS1_30default_config_static_selectorELNS0_4arch9wavefront6targetE1EEEvT1_
; %bb.0:
	.section	.rodata,"a",@progbits
	.p2align	6, 0x0
	.amdhsa_kernel _ZN7rocprim17ROCPRIM_400000_NS6detail17trampoline_kernelINS0_14default_configENS1_27scan_by_key_config_selectorIiiEEZZNS1_16scan_by_key_implILNS1_25lookback_scan_determinismE0ELb1ES3_N6thrust23THRUST_200600_302600_NS6detail15normal_iteratorINS9_10device_ptrIiEEEENSB_INSC_IjEEEENSB_INSC_IfEEEEiNS9_4plusIvEENS9_8equal_toIvEEiEE10hipError_tPvRmT2_T3_T4_T5_mT6_T7_P12ihipStream_tbENKUlT_T0_E_clISt17integral_constantIbLb0EES13_EEDaSY_SZ_EUlSY_E_NS1_11comp_targetILNS1_3genE2ELNS1_11target_archE906ELNS1_3gpuE6ELNS1_3repE0EEENS1_30default_config_static_selectorELNS0_4arch9wavefront6targetE1EEEvT1_
		.amdhsa_group_segment_fixed_size 0
		.amdhsa_private_segment_fixed_size 0
		.amdhsa_kernarg_size 112
		.amdhsa_user_sgpr_count 6
		.amdhsa_user_sgpr_private_segment_buffer 1
		.amdhsa_user_sgpr_dispatch_ptr 0
		.amdhsa_user_sgpr_queue_ptr 0
		.amdhsa_user_sgpr_kernarg_segment_ptr 1
		.amdhsa_user_sgpr_dispatch_id 0
		.amdhsa_user_sgpr_flat_scratch_init 0
		.amdhsa_user_sgpr_kernarg_preload_length 0
		.amdhsa_user_sgpr_kernarg_preload_offset 0
		.amdhsa_user_sgpr_private_segment_size 0
		.amdhsa_uses_dynamic_stack 0
		.amdhsa_system_sgpr_private_segment_wavefront_offset 0
		.amdhsa_system_sgpr_workgroup_id_x 1
		.amdhsa_system_sgpr_workgroup_id_y 0
		.amdhsa_system_sgpr_workgroup_id_z 0
		.amdhsa_system_sgpr_workgroup_info 0
		.amdhsa_system_vgpr_workitem_id 0
		.amdhsa_next_free_vgpr 1
		.amdhsa_next_free_sgpr 0
		.amdhsa_accum_offset 4
		.amdhsa_reserve_vcc 0
		.amdhsa_reserve_flat_scratch 0
		.amdhsa_float_round_mode_32 0
		.amdhsa_float_round_mode_16_64 0
		.amdhsa_float_denorm_mode_32 3
		.amdhsa_float_denorm_mode_16_64 3
		.amdhsa_dx10_clamp 1
		.amdhsa_ieee_mode 1
		.amdhsa_fp16_overflow 0
		.amdhsa_tg_split 0
		.amdhsa_exception_fp_ieee_invalid_op 0
		.amdhsa_exception_fp_denorm_src 0
		.amdhsa_exception_fp_ieee_div_zero 0
		.amdhsa_exception_fp_ieee_overflow 0
		.amdhsa_exception_fp_ieee_underflow 0
		.amdhsa_exception_fp_ieee_inexact 0
		.amdhsa_exception_int_div_zero 0
	.end_amdhsa_kernel
	.section	.text._ZN7rocprim17ROCPRIM_400000_NS6detail17trampoline_kernelINS0_14default_configENS1_27scan_by_key_config_selectorIiiEEZZNS1_16scan_by_key_implILNS1_25lookback_scan_determinismE0ELb1ES3_N6thrust23THRUST_200600_302600_NS6detail15normal_iteratorINS9_10device_ptrIiEEEENSB_INSC_IjEEEENSB_INSC_IfEEEEiNS9_4plusIvEENS9_8equal_toIvEEiEE10hipError_tPvRmT2_T3_T4_T5_mT6_T7_P12ihipStream_tbENKUlT_T0_E_clISt17integral_constantIbLb0EES13_EEDaSY_SZ_EUlSY_E_NS1_11comp_targetILNS1_3genE2ELNS1_11target_archE906ELNS1_3gpuE6ELNS1_3repE0EEENS1_30default_config_static_selectorELNS0_4arch9wavefront6targetE1EEEvT1_,"axG",@progbits,_ZN7rocprim17ROCPRIM_400000_NS6detail17trampoline_kernelINS0_14default_configENS1_27scan_by_key_config_selectorIiiEEZZNS1_16scan_by_key_implILNS1_25lookback_scan_determinismE0ELb1ES3_N6thrust23THRUST_200600_302600_NS6detail15normal_iteratorINS9_10device_ptrIiEEEENSB_INSC_IjEEEENSB_INSC_IfEEEEiNS9_4plusIvEENS9_8equal_toIvEEiEE10hipError_tPvRmT2_T3_T4_T5_mT6_T7_P12ihipStream_tbENKUlT_T0_E_clISt17integral_constantIbLb0EES13_EEDaSY_SZ_EUlSY_E_NS1_11comp_targetILNS1_3genE2ELNS1_11target_archE906ELNS1_3gpuE6ELNS1_3repE0EEENS1_30default_config_static_selectorELNS0_4arch9wavefront6targetE1EEEvT1_,comdat
.Lfunc_end1721:
	.size	_ZN7rocprim17ROCPRIM_400000_NS6detail17trampoline_kernelINS0_14default_configENS1_27scan_by_key_config_selectorIiiEEZZNS1_16scan_by_key_implILNS1_25lookback_scan_determinismE0ELb1ES3_N6thrust23THRUST_200600_302600_NS6detail15normal_iteratorINS9_10device_ptrIiEEEENSB_INSC_IjEEEENSB_INSC_IfEEEEiNS9_4plusIvEENS9_8equal_toIvEEiEE10hipError_tPvRmT2_T3_T4_T5_mT6_T7_P12ihipStream_tbENKUlT_T0_E_clISt17integral_constantIbLb0EES13_EEDaSY_SZ_EUlSY_E_NS1_11comp_targetILNS1_3genE2ELNS1_11target_archE906ELNS1_3gpuE6ELNS1_3repE0EEENS1_30default_config_static_selectorELNS0_4arch9wavefront6targetE1EEEvT1_, .Lfunc_end1721-_ZN7rocprim17ROCPRIM_400000_NS6detail17trampoline_kernelINS0_14default_configENS1_27scan_by_key_config_selectorIiiEEZZNS1_16scan_by_key_implILNS1_25lookback_scan_determinismE0ELb1ES3_N6thrust23THRUST_200600_302600_NS6detail15normal_iteratorINS9_10device_ptrIiEEEENSB_INSC_IjEEEENSB_INSC_IfEEEEiNS9_4plusIvEENS9_8equal_toIvEEiEE10hipError_tPvRmT2_T3_T4_T5_mT6_T7_P12ihipStream_tbENKUlT_T0_E_clISt17integral_constantIbLb0EES13_EEDaSY_SZ_EUlSY_E_NS1_11comp_targetILNS1_3genE2ELNS1_11target_archE906ELNS1_3gpuE6ELNS1_3repE0EEENS1_30default_config_static_selectorELNS0_4arch9wavefront6targetE1EEEvT1_
                                        ; -- End function
	.section	.AMDGPU.csdata,"",@progbits
; Kernel info:
; codeLenInByte = 0
; NumSgprs: 4
; NumVgprs: 0
; NumAgprs: 0
; TotalNumVgprs: 0
; ScratchSize: 0
; MemoryBound: 0
; FloatMode: 240
; IeeeMode: 1
; LDSByteSize: 0 bytes/workgroup (compile time only)
; SGPRBlocks: 0
; VGPRBlocks: 0
; NumSGPRsForWavesPerEU: 4
; NumVGPRsForWavesPerEU: 1
; AccumOffset: 4
; Occupancy: 8
; WaveLimiterHint : 0
; COMPUTE_PGM_RSRC2:SCRATCH_EN: 0
; COMPUTE_PGM_RSRC2:USER_SGPR: 6
; COMPUTE_PGM_RSRC2:TRAP_HANDLER: 0
; COMPUTE_PGM_RSRC2:TGID_X_EN: 1
; COMPUTE_PGM_RSRC2:TGID_Y_EN: 0
; COMPUTE_PGM_RSRC2:TGID_Z_EN: 0
; COMPUTE_PGM_RSRC2:TIDIG_COMP_CNT: 0
; COMPUTE_PGM_RSRC3_GFX90A:ACCUM_OFFSET: 0
; COMPUTE_PGM_RSRC3_GFX90A:TG_SPLIT: 0
	.section	.text._ZN7rocprim17ROCPRIM_400000_NS6detail17trampoline_kernelINS0_14default_configENS1_27scan_by_key_config_selectorIiiEEZZNS1_16scan_by_key_implILNS1_25lookback_scan_determinismE0ELb1ES3_N6thrust23THRUST_200600_302600_NS6detail15normal_iteratorINS9_10device_ptrIiEEEENSB_INSC_IjEEEENSB_INSC_IfEEEEiNS9_4plusIvEENS9_8equal_toIvEEiEE10hipError_tPvRmT2_T3_T4_T5_mT6_T7_P12ihipStream_tbENKUlT_T0_E_clISt17integral_constantIbLb0EES13_EEDaSY_SZ_EUlSY_E_NS1_11comp_targetILNS1_3genE10ELNS1_11target_archE1200ELNS1_3gpuE4ELNS1_3repE0EEENS1_30default_config_static_selectorELNS0_4arch9wavefront6targetE1EEEvT1_,"axG",@progbits,_ZN7rocprim17ROCPRIM_400000_NS6detail17trampoline_kernelINS0_14default_configENS1_27scan_by_key_config_selectorIiiEEZZNS1_16scan_by_key_implILNS1_25lookback_scan_determinismE0ELb1ES3_N6thrust23THRUST_200600_302600_NS6detail15normal_iteratorINS9_10device_ptrIiEEEENSB_INSC_IjEEEENSB_INSC_IfEEEEiNS9_4plusIvEENS9_8equal_toIvEEiEE10hipError_tPvRmT2_T3_T4_T5_mT6_T7_P12ihipStream_tbENKUlT_T0_E_clISt17integral_constantIbLb0EES13_EEDaSY_SZ_EUlSY_E_NS1_11comp_targetILNS1_3genE10ELNS1_11target_archE1200ELNS1_3gpuE4ELNS1_3repE0EEENS1_30default_config_static_selectorELNS0_4arch9wavefront6targetE1EEEvT1_,comdat
	.protected	_ZN7rocprim17ROCPRIM_400000_NS6detail17trampoline_kernelINS0_14default_configENS1_27scan_by_key_config_selectorIiiEEZZNS1_16scan_by_key_implILNS1_25lookback_scan_determinismE0ELb1ES3_N6thrust23THRUST_200600_302600_NS6detail15normal_iteratorINS9_10device_ptrIiEEEENSB_INSC_IjEEEENSB_INSC_IfEEEEiNS9_4plusIvEENS9_8equal_toIvEEiEE10hipError_tPvRmT2_T3_T4_T5_mT6_T7_P12ihipStream_tbENKUlT_T0_E_clISt17integral_constantIbLb0EES13_EEDaSY_SZ_EUlSY_E_NS1_11comp_targetILNS1_3genE10ELNS1_11target_archE1200ELNS1_3gpuE4ELNS1_3repE0EEENS1_30default_config_static_selectorELNS0_4arch9wavefront6targetE1EEEvT1_ ; -- Begin function _ZN7rocprim17ROCPRIM_400000_NS6detail17trampoline_kernelINS0_14default_configENS1_27scan_by_key_config_selectorIiiEEZZNS1_16scan_by_key_implILNS1_25lookback_scan_determinismE0ELb1ES3_N6thrust23THRUST_200600_302600_NS6detail15normal_iteratorINS9_10device_ptrIiEEEENSB_INSC_IjEEEENSB_INSC_IfEEEEiNS9_4plusIvEENS9_8equal_toIvEEiEE10hipError_tPvRmT2_T3_T4_T5_mT6_T7_P12ihipStream_tbENKUlT_T0_E_clISt17integral_constantIbLb0EES13_EEDaSY_SZ_EUlSY_E_NS1_11comp_targetILNS1_3genE10ELNS1_11target_archE1200ELNS1_3gpuE4ELNS1_3repE0EEENS1_30default_config_static_selectorELNS0_4arch9wavefront6targetE1EEEvT1_
	.globl	_ZN7rocprim17ROCPRIM_400000_NS6detail17trampoline_kernelINS0_14default_configENS1_27scan_by_key_config_selectorIiiEEZZNS1_16scan_by_key_implILNS1_25lookback_scan_determinismE0ELb1ES3_N6thrust23THRUST_200600_302600_NS6detail15normal_iteratorINS9_10device_ptrIiEEEENSB_INSC_IjEEEENSB_INSC_IfEEEEiNS9_4plusIvEENS9_8equal_toIvEEiEE10hipError_tPvRmT2_T3_T4_T5_mT6_T7_P12ihipStream_tbENKUlT_T0_E_clISt17integral_constantIbLb0EES13_EEDaSY_SZ_EUlSY_E_NS1_11comp_targetILNS1_3genE10ELNS1_11target_archE1200ELNS1_3gpuE4ELNS1_3repE0EEENS1_30default_config_static_selectorELNS0_4arch9wavefront6targetE1EEEvT1_
	.p2align	8
	.type	_ZN7rocprim17ROCPRIM_400000_NS6detail17trampoline_kernelINS0_14default_configENS1_27scan_by_key_config_selectorIiiEEZZNS1_16scan_by_key_implILNS1_25lookback_scan_determinismE0ELb1ES3_N6thrust23THRUST_200600_302600_NS6detail15normal_iteratorINS9_10device_ptrIiEEEENSB_INSC_IjEEEENSB_INSC_IfEEEEiNS9_4plusIvEENS9_8equal_toIvEEiEE10hipError_tPvRmT2_T3_T4_T5_mT6_T7_P12ihipStream_tbENKUlT_T0_E_clISt17integral_constantIbLb0EES13_EEDaSY_SZ_EUlSY_E_NS1_11comp_targetILNS1_3genE10ELNS1_11target_archE1200ELNS1_3gpuE4ELNS1_3repE0EEENS1_30default_config_static_selectorELNS0_4arch9wavefront6targetE1EEEvT1_,@function
_ZN7rocprim17ROCPRIM_400000_NS6detail17trampoline_kernelINS0_14default_configENS1_27scan_by_key_config_selectorIiiEEZZNS1_16scan_by_key_implILNS1_25lookback_scan_determinismE0ELb1ES3_N6thrust23THRUST_200600_302600_NS6detail15normal_iteratorINS9_10device_ptrIiEEEENSB_INSC_IjEEEENSB_INSC_IfEEEEiNS9_4plusIvEENS9_8equal_toIvEEiEE10hipError_tPvRmT2_T3_T4_T5_mT6_T7_P12ihipStream_tbENKUlT_T0_E_clISt17integral_constantIbLb0EES13_EEDaSY_SZ_EUlSY_E_NS1_11comp_targetILNS1_3genE10ELNS1_11target_archE1200ELNS1_3gpuE4ELNS1_3repE0EEENS1_30default_config_static_selectorELNS0_4arch9wavefront6targetE1EEEvT1_: ; @_ZN7rocprim17ROCPRIM_400000_NS6detail17trampoline_kernelINS0_14default_configENS1_27scan_by_key_config_selectorIiiEEZZNS1_16scan_by_key_implILNS1_25lookback_scan_determinismE0ELb1ES3_N6thrust23THRUST_200600_302600_NS6detail15normal_iteratorINS9_10device_ptrIiEEEENSB_INSC_IjEEEENSB_INSC_IfEEEEiNS9_4plusIvEENS9_8equal_toIvEEiEE10hipError_tPvRmT2_T3_T4_T5_mT6_T7_P12ihipStream_tbENKUlT_T0_E_clISt17integral_constantIbLb0EES13_EEDaSY_SZ_EUlSY_E_NS1_11comp_targetILNS1_3genE10ELNS1_11target_archE1200ELNS1_3gpuE4ELNS1_3repE0EEENS1_30default_config_static_selectorELNS0_4arch9wavefront6targetE1EEEvT1_
; %bb.0:
	.section	.rodata,"a",@progbits
	.p2align	6, 0x0
	.amdhsa_kernel _ZN7rocprim17ROCPRIM_400000_NS6detail17trampoline_kernelINS0_14default_configENS1_27scan_by_key_config_selectorIiiEEZZNS1_16scan_by_key_implILNS1_25lookback_scan_determinismE0ELb1ES3_N6thrust23THRUST_200600_302600_NS6detail15normal_iteratorINS9_10device_ptrIiEEEENSB_INSC_IjEEEENSB_INSC_IfEEEEiNS9_4plusIvEENS9_8equal_toIvEEiEE10hipError_tPvRmT2_T3_T4_T5_mT6_T7_P12ihipStream_tbENKUlT_T0_E_clISt17integral_constantIbLb0EES13_EEDaSY_SZ_EUlSY_E_NS1_11comp_targetILNS1_3genE10ELNS1_11target_archE1200ELNS1_3gpuE4ELNS1_3repE0EEENS1_30default_config_static_selectorELNS0_4arch9wavefront6targetE1EEEvT1_
		.amdhsa_group_segment_fixed_size 0
		.amdhsa_private_segment_fixed_size 0
		.amdhsa_kernarg_size 112
		.amdhsa_user_sgpr_count 6
		.amdhsa_user_sgpr_private_segment_buffer 1
		.amdhsa_user_sgpr_dispatch_ptr 0
		.amdhsa_user_sgpr_queue_ptr 0
		.amdhsa_user_sgpr_kernarg_segment_ptr 1
		.amdhsa_user_sgpr_dispatch_id 0
		.amdhsa_user_sgpr_flat_scratch_init 0
		.amdhsa_user_sgpr_kernarg_preload_length 0
		.amdhsa_user_sgpr_kernarg_preload_offset 0
		.amdhsa_user_sgpr_private_segment_size 0
		.amdhsa_uses_dynamic_stack 0
		.amdhsa_system_sgpr_private_segment_wavefront_offset 0
		.amdhsa_system_sgpr_workgroup_id_x 1
		.amdhsa_system_sgpr_workgroup_id_y 0
		.amdhsa_system_sgpr_workgroup_id_z 0
		.amdhsa_system_sgpr_workgroup_info 0
		.amdhsa_system_vgpr_workitem_id 0
		.amdhsa_next_free_vgpr 1
		.amdhsa_next_free_sgpr 0
		.amdhsa_accum_offset 4
		.amdhsa_reserve_vcc 0
		.amdhsa_reserve_flat_scratch 0
		.amdhsa_float_round_mode_32 0
		.amdhsa_float_round_mode_16_64 0
		.amdhsa_float_denorm_mode_32 3
		.amdhsa_float_denorm_mode_16_64 3
		.amdhsa_dx10_clamp 1
		.amdhsa_ieee_mode 1
		.amdhsa_fp16_overflow 0
		.amdhsa_tg_split 0
		.amdhsa_exception_fp_ieee_invalid_op 0
		.amdhsa_exception_fp_denorm_src 0
		.amdhsa_exception_fp_ieee_div_zero 0
		.amdhsa_exception_fp_ieee_overflow 0
		.amdhsa_exception_fp_ieee_underflow 0
		.amdhsa_exception_fp_ieee_inexact 0
		.amdhsa_exception_int_div_zero 0
	.end_amdhsa_kernel
	.section	.text._ZN7rocprim17ROCPRIM_400000_NS6detail17trampoline_kernelINS0_14default_configENS1_27scan_by_key_config_selectorIiiEEZZNS1_16scan_by_key_implILNS1_25lookback_scan_determinismE0ELb1ES3_N6thrust23THRUST_200600_302600_NS6detail15normal_iteratorINS9_10device_ptrIiEEEENSB_INSC_IjEEEENSB_INSC_IfEEEEiNS9_4plusIvEENS9_8equal_toIvEEiEE10hipError_tPvRmT2_T3_T4_T5_mT6_T7_P12ihipStream_tbENKUlT_T0_E_clISt17integral_constantIbLb0EES13_EEDaSY_SZ_EUlSY_E_NS1_11comp_targetILNS1_3genE10ELNS1_11target_archE1200ELNS1_3gpuE4ELNS1_3repE0EEENS1_30default_config_static_selectorELNS0_4arch9wavefront6targetE1EEEvT1_,"axG",@progbits,_ZN7rocprim17ROCPRIM_400000_NS6detail17trampoline_kernelINS0_14default_configENS1_27scan_by_key_config_selectorIiiEEZZNS1_16scan_by_key_implILNS1_25lookback_scan_determinismE0ELb1ES3_N6thrust23THRUST_200600_302600_NS6detail15normal_iteratorINS9_10device_ptrIiEEEENSB_INSC_IjEEEENSB_INSC_IfEEEEiNS9_4plusIvEENS9_8equal_toIvEEiEE10hipError_tPvRmT2_T3_T4_T5_mT6_T7_P12ihipStream_tbENKUlT_T0_E_clISt17integral_constantIbLb0EES13_EEDaSY_SZ_EUlSY_E_NS1_11comp_targetILNS1_3genE10ELNS1_11target_archE1200ELNS1_3gpuE4ELNS1_3repE0EEENS1_30default_config_static_selectorELNS0_4arch9wavefront6targetE1EEEvT1_,comdat
.Lfunc_end1722:
	.size	_ZN7rocprim17ROCPRIM_400000_NS6detail17trampoline_kernelINS0_14default_configENS1_27scan_by_key_config_selectorIiiEEZZNS1_16scan_by_key_implILNS1_25lookback_scan_determinismE0ELb1ES3_N6thrust23THRUST_200600_302600_NS6detail15normal_iteratorINS9_10device_ptrIiEEEENSB_INSC_IjEEEENSB_INSC_IfEEEEiNS9_4plusIvEENS9_8equal_toIvEEiEE10hipError_tPvRmT2_T3_T4_T5_mT6_T7_P12ihipStream_tbENKUlT_T0_E_clISt17integral_constantIbLb0EES13_EEDaSY_SZ_EUlSY_E_NS1_11comp_targetILNS1_3genE10ELNS1_11target_archE1200ELNS1_3gpuE4ELNS1_3repE0EEENS1_30default_config_static_selectorELNS0_4arch9wavefront6targetE1EEEvT1_, .Lfunc_end1722-_ZN7rocprim17ROCPRIM_400000_NS6detail17trampoline_kernelINS0_14default_configENS1_27scan_by_key_config_selectorIiiEEZZNS1_16scan_by_key_implILNS1_25lookback_scan_determinismE0ELb1ES3_N6thrust23THRUST_200600_302600_NS6detail15normal_iteratorINS9_10device_ptrIiEEEENSB_INSC_IjEEEENSB_INSC_IfEEEEiNS9_4plusIvEENS9_8equal_toIvEEiEE10hipError_tPvRmT2_T3_T4_T5_mT6_T7_P12ihipStream_tbENKUlT_T0_E_clISt17integral_constantIbLb0EES13_EEDaSY_SZ_EUlSY_E_NS1_11comp_targetILNS1_3genE10ELNS1_11target_archE1200ELNS1_3gpuE4ELNS1_3repE0EEENS1_30default_config_static_selectorELNS0_4arch9wavefront6targetE1EEEvT1_
                                        ; -- End function
	.section	.AMDGPU.csdata,"",@progbits
; Kernel info:
; codeLenInByte = 0
; NumSgprs: 4
; NumVgprs: 0
; NumAgprs: 0
; TotalNumVgprs: 0
; ScratchSize: 0
; MemoryBound: 0
; FloatMode: 240
; IeeeMode: 1
; LDSByteSize: 0 bytes/workgroup (compile time only)
; SGPRBlocks: 0
; VGPRBlocks: 0
; NumSGPRsForWavesPerEU: 4
; NumVGPRsForWavesPerEU: 1
; AccumOffset: 4
; Occupancy: 8
; WaveLimiterHint : 0
; COMPUTE_PGM_RSRC2:SCRATCH_EN: 0
; COMPUTE_PGM_RSRC2:USER_SGPR: 6
; COMPUTE_PGM_RSRC2:TRAP_HANDLER: 0
; COMPUTE_PGM_RSRC2:TGID_X_EN: 1
; COMPUTE_PGM_RSRC2:TGID_Y_EN: 0
; COMPUTE_PGM_RSRC2:TGID_Z_EN: 0
; COMPUTE_PGM_RSRC2:TIDIG_COMP_CNT: 0
; COMPUTE_PGM_RSRC3_GFX90A:ACCUM_OFFSET: 0
; COMPUTE_PGM_RSRC3_GFX90A:TG_SPLIT: 0
	.section	.text._ZN7rocprim17ROCPRIM_400000_NS6detail17trampoline_kernelINS0_14default_configENS1_27scan_by_key_config_selectorIiiEEZZNS1_16scan_by_key_implILNS1_25lookback_scan_determinismE0ELb1ES3_N6thrust23THRUST_200600_302600_NS6detail15normal_iteratorINS9_10device_ptrIiEEEENSB_INSC_IjEEEENSB_INSC_IfEEEEiNS9_4plusIvEENS9_8equal_toIvEEiEE10hipError_tPvRmT2_T3_T4_T5_mT6_T7_P12ihipStream_tbENKUlT_T0_E_clISt17integral_constantIbLb0EES13_EEDaSY_SZ_EUlSY_E_NS1_11comp_targetILNS1_3genE9ELNS1_11target_archE1100ELNS1_3gpuE3ELNS1_3repE0EEENS1_30default_config_static_selectorELNS0_4arch9wavefront6targetE1EEEvT1_,"axG",@progbits,_ZN7rocprim17ROCPRIM_400000_NS6detail17trampoline_kernelINS0_14default_configENS1_27scan_by_key_config_selectorIiiEEZZNS1_16scan_by_key_implILNS1_25lookback_scan_determinismE0ELb1ES3_N6thrust23THRUST_200600_302600_NS6detail15normal_iteratorINS9_10device_ptrIiEEEENSB_INSC_IjEEEENSB_INSC_IfEEEEiNS9_4plusIvEENS9_8equal_toIvEEiEE10hipError_tPvRmT2_T3_T4_T5_mT6_T7_P12ihipStream_tbENKUlT_T0_E_clISt17integral_constantIbLb0EES13_EEDaSY_SZ_EUlSY_E_NS1_11comp_targetILNS1_3genE9ELNS1_11target_archE1100ELNS1_3gpuE3ELNS1_3repE0EEENS1_30default_config_static_selectorELNS0_4arch9wavefront6targetE1EEEvT1_,comdat
	.protected	_ZN7rocprim17ROCPRIM_400000_NS6detail17trampoline_kernelINS0_14default_configENS1_27scan_by_key_config_selectorIiiEEZZNS1_16scan_by_key_implILNS1_25lookback_scan_determinismE0ELb1ES3_N6thrust23THRUST_200600_302600_NS6detail15normal_iteratorINS9_10device_ptrIiEEEENSB_INSC_IjEEEENSB_INSC_IfEEEEiNS9_4plusIvEENS9_8equal_toIvEEiEE10hipError_tPvRmT2_T3_T4_T5_mT6_T7_P12ihipStream_tbENKUlT_T0_E_clISt17integral_constantIbLb0EES13_EEDaSY_SZ_EUlSY_E_NS1_11comp_targetILNS1_3genE9ELNS1_11target_archE1100ELNS1_3gpuE3ELNS1_3repE0EEENS1_30default_config_static_selectorELNS0_4arch9wavefront6targetE1EEEvT1_ ; -- Begin function _ZN7rocprim17ROCPRIM_400000_NS6detail17trampoline_kernelINS0_14default_configENS1_27scan_by_key_config_selectorIiiEEZZNS1_16scan_by_key_implILNS1_25lookback_scan_determinismE0ELb1ES3_N6thrust23THRUST_200600_302600_NS6detail15normal_iteratorINS9_10device_ptrIiEEEENSB_INSC_IjEEEENSB_INSC_IfEEEEiNS9_4plusIvEENS9_8equal_toIvEEiEE10hipError_tPvRmT2_T3_T4_T5_mT6_T7_P12ihipStream_tbENKUlT_T0_E_clISt17integral_constantIbLb0EES13_EEDaSY_SZ_EUlSY_E_NS1_11comp_targetILNS1_3genE9ELNS1_11target_archE1100ELNS1_3gpuE3ELNS1_3repE0EEENS1_30default_config_static_selectorELNS0_4arch9wavefront6targetE1EEEvT1_
	.globl	_ZN7rocprim17ROCPRIM_400000_NS6detail17trampoline_kernelINS0_14default_configENS1_27scan_by_key_config_selectorIiiEEZZNS1_16scan_by_key_implILNS1_25lookback_scan_determinismE0ELb1ES3_N6thrust23THRUST_200600_302600_NS6detail15normal_iteratorINS9_10device_ptrIiEEEENSB_INSC_IjEEEENSB_INSC_IfEEEEiNS9_4plusIvEENS9_8equal_toIvEEiEE10hipError_tPvRmT2_T3_T4_T5_mT6_T7_P12ihipStream_tbENKUlT_T0_E_clISt17integral_constantIbLb0EES13_EEDaSY_SZ_EUlSY_E_NS1_11comp_targetILNS1_3genE9ELNS1_11target_archE1100ELNS1_3gpuE3ELNS1_3repE0EEENS1_30default_config_static_selectorELNS0_4arch9wavefront6targetE1EEEvT1_
	.p2align	8
	.type	_ZN7rocprim17ROCPRIM_400000_NS6detail17trampoline_kernelINS0_14default_configENS1_27scan_by_key_config_selectorIiiEEZZNS1_16scan_by_key_implILNS1_25lookback_scan_determinismE0ELb1ES3_N6thrust23THRUST_200600_302600_NS6detail15normal_iteratorINS9_10device_ptrIiEEEENSB_INSC_IjEEEENSB_INSC_IfEEEEiNS9_4plusIvEENS9_8equal_toIvEEiEE10hipError_tPvRmT2_T3_T4_T5_mT6_T7_P12ihipStream_tbENKUlT_T0_E_clISt17integral_constantIbLb0EES13_EEDaSY_SZ_EUlSY_E_NS1_11comp_targetILNS1_3genE9ELNS1_11target_archE1100ELNS1_3gpuE3ELNS1_3repE0EEENS1_30default_config_static_selectorELNS0_4arch9wavefront6targetE1EEEvT1_,@function
_ZN7rocprim17ROCPRIM_400000_NS6detail17trampoline_kernelINS0_14default_configENS1_27scan_by_key_config_selectorIiiEEZZNS1_16scan_by_key_implILNS1_25lookback_scan_determinismE0ELb1ES3_N6thrust23THRUST_200600_302600_NS6detail15normal_iteratorINS9_10device_ptrIiEEEENSB_INSC_IjEEEENSB_INSC_IfEEEEiNS9_4plusIvEENS9_8equal_toIvEEiEE10hipError_tPvRmT2_T3_T4_T5_mT6_T7_P12ihipStream_tbENKUlT_T0_E_clISt17integral_constantIbLb0EES13_EEDaSY_SZ_EUlSY_E_NS1_11comp_targetILNS1_3genE9ELNS1_11target_archE1100ELNS1_3gpuE3ELNS1_3repE0EEENS1_30default_config_static_selectorELNS0_4arch9wavefront6targetE1EEEvT1_: ; @_ZN7rocprim17ROCPRIM_400000_NS6detail17trampoline_kernelINS0_14default_configENS1_27scan_by_key_config_selectorIiiEEZZNS1_16scan_by_key_implILNS1_25lookback_scan_determinismE0ELb1ES3_N6thrust23THRUST_200600_302600_NS6detail15normal_iteratorINS9_10device_ptrIiEEEENSB_INSC_IjEEEENSB_INSC_IfEEEEiNS9_4plusIvEENS9_8equal_toIvEEiEE10hipError_tPvRmT2_T3_T4_T5_mT6_T7_P12ihipStream_tbENKUlT_T0_E_clISt17integral_constantIbLb0EES13_EEDaSY_SZ_EUlSY_E_NS1_11comp_targetILNS1_3genE9ELNS1_11target_archE1100ELNS1_3gpuE3ELNS1_3repE0EEENS1_30default_config_static_selectorELNS0_4arch9wavefront6targetE1EEEvT1_
; %bb.0:
	.section	.rodata,"a",@progbits
	.p2align	6, 0x0
	.amdhsa_kernel _ZN7rocprim17ROCPRIM_400000_NS6detail17trampoline_kernelINS0_14default_configENS1_27scan_by_key_config_selectorIiiEEZZNS1_16scan_by_key_implILNS1_25lookback_scan_determinismE0ELb1ES3_N6thrust23THRUST_200600_302600_NS6detail15normal_iteratorINS9_10device_ptrIiEEEENSB_INSC_IjEEEENSB_INSC_IfEEEEiNS9_4plusIvEENS9_8equal_toIvEEiEE10hipError_tPvRmT2_T3_T4_T5_mT6_T7_P12ihipStream_tbENKUlT_T0_E_clISt17integral_constantIbLb0EES13_EEDaSY_SZ_EUlSY_E_NS1_11comp_targetILNS1_3genE9ELNS1_11target_archE1100ELNS1_3gpuE3ELNS1_3repE0EEENS1_30default_config_static_selectorELNS0_4arch9wavefront6targetE1EEEvT1_
		.amdhsa_group_segment_fixed_size 0
		.amdhsa_private_segment_fixed_size 0
		.amdhsa_kernarg_size 112
		.amdhsa_user_sgpr_count 6
		.amdhsa_user_sgpr_private_segment_buffer 1
		.amdhsa_user_sgpr_dispatch_ptr 0
		.amdhsa_user_sgpr_queue_ptr 0
		.amdhsa_user_sgpr_kernarg_segment_ptr 1
		.amdhsa_user_sgpr_dispatch_id 0
		.amdhsa_user_sgpr_flat_scratch_init 0
		.amdhsa_user_sgpr_kernarg_preload_length 0
		.amdhsa_user_sgpr_kernarg_preload_offset 0
		.amdhsa_user_sgpr_private_segment_size 0
		.amdhsa_uses_dynamic_stack 0
		.amdhsa_system_sgpr_private_segment_wavefront_offset 0
		.amdhsa_system_sgpr_workgroup_id_x 1
		.amdhsa_system_sgpr_workgroup_id_y 0
		.amdhsa_system_sgpr_workgroup_id_z 0
		.amdhsa_system_sgpr_workgroup_info 0
		.amdhsa_system_vgpr_workitem_id 0
		.amdhsa_next_free_vgpr 1
		.amdhsa_next_free_sgpr 0
		.amdhsa_accum_offset 4
		.amdhsa_reserve_vcc 0
		.amdhsa_reserve_flat_scratch 0
		.amdhsa_float_round_mode_32 0
		.amdhsa_float_round_mode_16_64 0
		.amdhsa_float_denorm_mode_32 3
		.amdhsa_float_denorm_mode_16_64 3
		.amdhsa_dx10_clamp 1
		.amdhsa_ieee_mode 1
		.amdhsa_fp16_overflow 0
		.amdhsa_tg_split 0
		.amdhsa_exception_fp_ieee_invalid_op 0
		.amdhsa_exception_fp_denorm_src 0
		.amdhsa_exception_fp_ieee_div_zero 0
		.amdhsa_exception_fp_ieee_overflow 0
		.amdhsa_exception_fp_ieee_underflow 0
		.amdhsa_exception_fp_ieee_inexact 0
		.amdhsa_exception_int_div_zero 0
	.end_amdhsa_kernel
	.section	.text._ZN7rocprim17ROCPRIM_400000_NS6detail17trampoline_kernelINS0_14default_configENS1_27scan_by_key_config_selectorIiiEEZZNS1_16scan_by_key_implILNS1_25lookback_scan_determinismE0ELb1ES3_N6thrust23THRUST_200600_302600_NS6detail15normal_iteratorINS9_10device_ptrIiEEEENSB_INSC_IjEEEENSB_INSC_IfEEEEiNS9_4plusIvEENS9_8equal_toIvEEiEE10hipError_tPvRmT2_T3_T4_T5_mT6_T7_P12ihipStream_tbENKUlT_T0_E_clISt17integral_constantIbLb0EES13_EEDaSY_SZ_EUlSY_E_NS1_11comp_targetILNS1_3genE9ELNS1_11target_archE1100ELNS1_3gpuE3ELNS1_3repE0EEENS1_30default_config_static_selectorELNS0_4arch9wavefront6targetE1EEEvT1_,"axG",@progbits,_ZN7rocprim17ROCPRIM_400000_NS6detail17trampoline_kernelINS0_14default_configENS1_27scan_by_key_config_selectorIiiEEZZNS1_16scan_by_key_implILNS1_25lookback_scan_determinismE0ELb1ES3_N6thrust23THRUST_200600_302600_NS6detail15normal_iteratorINS9_10device_ptrIiEEEENSB_INSC_IjEEEENSB_INSC_IfEEEEiNS9_4plusIvEENS9_8equal_toIvEEiEE10hipError_tPvRmT2_T3_T4_T5_mT6_T7_P12ihipStream_tbENKUlT_T0_E_clISt17integral_constantIbLb0EES13_EEDaSY_SZ_EUlSY_E_NS1_11comp_targetILNS1_3genE9ELNS1_11target_archE1100ELNS1_3gpuE3ELNS1_3repE0EEENS1_30default_config_static_selectorELNS0_4arch9wavefront6targetE1EEEvT1_,comdat
.Lfunc_end1723:
	.size	_ZN7rocprim17ROCPRIM_400000_NS6detail17trampoline_kernelINS0_14default_configENS1_27scan_by_key_config_selectorIiiEEZZNS1_16scan_by_key_implILNS1_25lookback_scan_determinismE0ELb1ES3_N6thrust23THRUST_200600_302600_NS6detail15normal_iteratorINS9_10device_ptrIiEEEENSB_INSC_IjEEEENSB_INSC_IfEEEEiNS9_4plusIvEENS9_8equal_toIvEEiEE10hipError_tPvRmT2_T3_T4_T5_mT6_T7_P12ihipStream_tbENKUlT_T0_E_clISt17integral_constantIbLb0EES13_EEDaSY_SZ_EUlSY_E_NS1_11comp_targetILNS1_3genE9ELNS1_11target_archE1100ELNS1_3gpuE3ELNS1_3repE0EEENS1_30default_config_static_selectorELNS0_4arch9wavefront6targetE1EEEvT1_, .Lfunc_end1723-_ZN7rocprim17ROCPRIM_400000_NS6detail17trampoline_kernelINS0_14default_configENS1_27scan_by_key_config_selectorIiiEEZZNS1_16scan_by_key_implILNS1_25lookback_scan_determinismE0ELb1ES3_N6thrust23THRUST_200600_302600_NS6detail15normal_iteratorINS9_10device_ptrIiEEEENSB_INSC_IjEEEENSB_INSC_IfEEEEiNS9_4plusIvEENS9_8equal_toIvEEiEE10hipError_tPvRmT2_T3_T4_T5_mT6_T7_P12ihipStream_tbENKUlT_T0_E_clISt17integral_constantIbLb0EES13_EEDaSY_SZ_EUlSY_E_NS1_11comp_targetILNS1_3genE9ELNS1_11target_archE1100ELNS1_3gpuE3ELNS1_3repE0EEENS1_30default_config_static_selectorELNS0_4arch9wavefront6targetE1EEEvT1_
                                        ; -- End function
	.section	.AMDGPU.csdata,"",@progbits
; Kernel info:
; codeLenInByte = 0
; NumSgprs: 4
; NumVgprs: 0
; NumAgprs: 0
; TotalNumVgprs: 0
; ScratchSize: 0
; MemoryBound: 0
; FloatMode: 240
; IeeeMode: 1
; LDSByteSize: 0 bytes/workgroup (compile time only)
; SGPRBlocks: 0
; VGPRBlocks: 0
; NumSGPRsForWavesPerEU: 4
; NumVGPRsForWavesPerEU: 1
; AccumOffset: 4
; Occupancy: 8
; WaveLimiterHint : 0
; COMPUTE_PGM_RSRC2:SCRATCH_EN: 0
; COMPUTE_PGM_RSRC2:USER_SGPR: 6
; COMPUTE_PGM_RSRC2:TRAP_HANDLER: 0
; COMPUTE_PGM_RSRC2:TGID_X_EN: 1
; COMPUTE_PGM_RSRC2:TGID_Y_EN: 0
; COMPUTE_PGM_RSRC2:TGID_Z_EN: 0
; COMPUTE_PGM_RSRC2:TIDIG_COMP_CNT: 0
; COMPUTE_PGM_RSRC3_GFX90A:ACCUM_OFFSET: 0
; COMPUTE_PGM_RSRC3_GFX90A:TG_SPLIT: 0
	.section	.text._ZN7rocprim17ROCPRIM_400000_NS6detail17trampoline_kernelINS0_14default_configENS1_27scan_by_key_config_selectorIiiEEZZNS1_16scan_by_key_implILNS1_25lookback_scan_determinismE0ELb1ES3_N6thrust23THRUST_200600_302600_NS6detail15normal_iteratorINS9_10device_ptrIiEEEENSB_INSC_IjEEEENSB_INSC_IfEEEEiNS9_4plusIvEENS9_8equal_toIvEEiEE10hipError_tPvRmT2_T3_T4_T5_mT6_T7_P12ihipStream_tbENKUlT_T0_E_clISt17integral_constantIbLb0EES13_EEDaSY_SZ_EUlSY_E_NS1_11comp_targetILNS1_3genE8ELNS1_11target_archE1030ELNS1_3gpuE2ELNS1_3repE0EEENS1_30default_config_static_selectorELNS0_4arch9wavefront6targetE1EEEvT1_,"axG",@progbits,_ZN7rocprim17ROCPRIM_400000_NS6detail17trampoline_kernelINS0_14default_configENS1_27scan_by_key_config_selectorIiiEEZZNS1_16scan_by_key_implILNS1_25lookback_scan_determinismE0ELb1ES3_N6thrust23THRUST_200600_302600_NS6detail15normal_iteratorINS9_10device_ptrIiEEEENSB_INSC_IjEEEENSB_INSC_IfEEEEiNS9_4plusIvEENS9_8equal_toIvEEiEE10hipError_tPvRmT2_T3_T4_T5_mT6_T7_P12ihipStream_tbENKUlT_T0_E_clISt17integral_constantIbLb0EES13_EEDaSY_SZ_EUlSY_E_NS1_11comp_targetILNS1_3genE8ELNS1_11target_archE1030ELNS1_3gpuE2ELNS1_3repE0EEENS1_30default_config_static_selectorELNS0_4arch9wavefront6targetE1EEEvT1_,comdat
	.protected	_ZN7rocprim17ROCPRIM_400000_NS6detail17trampoline_kernelINS0_14default_configENS1_27scan_by_key_config_selectorIiiEEZZNS1_16scan_by_key_implILNS1_25lookback_scan_determinismE0ELb1ES3_N6thrust23THRUST_200600_302600_NS6detail15normal_iteratorINS9_10device_ptrIiEEEENSB_INSC_IjEEEENSB_INSC_IfEEEEiNS9_4plusIvEENS9_8equal_toIvEEiEE10hipError_tPvRmT2_T3_T4_T5_mT6_T7_P12ihipStream_tbENKUlT_T0_E_clISt17integral_constantIbLb0EES13_EEDaSY_SZ_EUlSY_E_NS1_11comp_targetILNS1_3genE8ELNS1_11target_archE1030ELNS1_3gpuE2ELNS1_3repE0EEENS1_30default_config_static_selectorELNS0_4arch9wavefront6targetE1EEEvT1_ ; -- Begin function _ZN7rocprim17ROCPRIM_400000_NS6detail17trampoline_kernelINS0_14default_configENS1_27scan_by_key_config_selectorIiiEEZZNS1_16scan_by_key_implILNS1_25lookback_scan_determinismE0ELb1ES3_N6thrust23THRUST_200600_302600_NS6detail15normal_iteratorINS9_10device_ptrIiEEEENSB_INSC_IjEEEENSB_INSC_IfEEEEiNS9_4plusIvEENS9_8equal_toIvEEiEE10hipError_tPvRmT2_T3_T4_T5_mT6_T7_P12ihipStream_tbENKUlT_T0_E_clISt17integral_constantIbLb0EES13_EEDaSY_SZ_EUlSY_E_NS1_11comp_targetILNS1_3genE8ELNS1_11target_archE1030ELNS1_3gpuE2ELNS1_3repE0EEENS1_30default_config_static_selectorELNS0_4arch9wavefront6targetE1EEEvT1_
	.globl	_ZN7rocprim17ROCPRIM_400000_NS6detail17trampoline_kernelINS0_14default_configENS1_27scan_by_key_config_selectorIiiEEZZNS1_16scan_by_key_implILNS1_25lookback_scan_determinismE0ELb1ES3_N6thrust23THRUST_200600_302600_NS6detail15normal_iteratorINS9_10device_ptrIiEEEENSB_INSC_IjEEEENSB_INSC_IfEEEEiNS9_4plusIvEENS9_8equal_toIvEEiEE10hipError_tPvRmT2_T3_T4_T5_mT6_T7_P12ihipStream_tbENKUlT_T0_E_clISt17integral_constantIbLb0EES13_EEDaSY_SZ_EUlSY_E_NS1_11comp_targetILNS1_3genE8ELNS1_11target_archE1030ELNS1_3gpuE2ELNS1_3repE0EEENS1_30default_config_static_selectorELNS0_4arch9wavefront6targetE1EEEvT1_
	.p2align	8
	.type	_ZN7rocprim17ROCPRIM_400000_NS6detail17trampoline_kernelINS0_14default_configENS1_27scan_by_key_config_selectorIiiEEZZNS1_16scan_by_key_implILNS1_25lookback_scan_determinismE0ELb1ES3_N6thrust23THRUST_200600_302600_NS6detail15normal_iteratorINS9_10device_ptrIiEEEENSB_INSC_IjEEEENSB_INSC_IfEEEEiNS9_4plusIvEENS9_8equal_toIvEEiEE10hipError_tPvRmT2_T3_T4_T5_mT6_T7_P12ihipStream_tbENKUlT_T0_E_clISt17integral_constantIbLb0EES13_EEDaSY_SZ_EUlSY_E_NS1_11comp_targetILNS1_3genE8ELNS1_11target_archE1030ELNS1_3gpuE2ELNS1_3repE0EEENS1_30default_config_static_selectorELNS0_4arch9wavefront6targetE1EEEvT1_,@function
_ZN7rocprim17ROCPRIM_400000_NS6detail17trampoline_kernelINS0_14default_configENS1_27scan_by_key_config_selectorIiiEEZZNS1_16scan_by_key_implILNS1_25lookback_scan_determinismE0ELb1ES3_N6thrust23THRUST_200600_302600_NS6detail15normal_iteratorINS9_10device_ptrIiEEEENSB_INSC_IjEEEENSB_INSC_IfEEEEiNS9_4plusIvEENS9_8equal_toIvEEiEE10hipError_tPvRmT2_T3_T4_T5_mT6_T7_P12ihipStream_tbENKUlT_T0_E_clISt17integral_constantIbLb0EES13_EEDaSY_SZ_EUlSY_E_NS1_11comp_targetILNS1_3genE8ELNS1_11target_archE1030ELNS1_3gpuE2ELNS1_3repE0EEENS1_30default_config_static_selectorELNS0_4arch9wavefront6targetE1EEEvT1_: ; @_ZN7rocprim17ROCPRIM_400000_NS6detail17trampoline_kernelINS0_14default_configENS1_27scan_by_key_config_selectorIiiEEZZNS1_16scan_by_key_implILNS1_25lookback_scan_determinismE0ELb1ES3_N6thrust23THRUST_200600_302600_NS6detail15normal_iteratorINS9_10device_ptrIiEEEENSB_INSC_IjEEEENSB_INSC_IfEEEEiNS9_4plusIvEENS9_8equal_toIvEEiEE10hipError_tPvRmT2_T3_T4_T5_mT6_T7_P12ihipStream_tbENKUlT_T0_E_clISt17integral_constantIbLb0EES13_EEDaSY_SZ_EUlSY_E_NS1_11comp_targetILNS1_3genE8ELNS1_11target_archE1030ELNS1_3gpuE2ELNS1_3repE0EEENS1_30default_config_static_selectorELNS0_4arch9wavefront6targetE1EEEvT1_
; %bb.0:
	.section	.rodata,"a",@progbits
	.p2align	6, 0x0
	.amdhsa_kernel _ZN7rocprim17ROCPRIM_400000_NS6detail17trampoline_kernelINS0_14default_configENS1_27scan_by_key_config_selectorIiiEEZZNS1_16scan_by_key_implILNS1_25lookback_scan_determinismE0ELb1ES3_N6thrust23THRUST_200600_302600_NS6detail15normal_iteratorINS9_10device_ptrIiEEEENSB_INSC_IjEEEENSB_INSC_IfEEEEiNS9_4plusIvEENS9_8equal_toIvEEiEE10hipError_tPvRmT2_T3_T4_T5_mT6_T7_P12ihipStream_tbENKUlT_T0_E_clISt17integral_constantIbLb0EES13_EEDaSY_SZ_EUlSY_E_NS1_11comp_targetILNS1_3genE8ELNS1_11target_archE1030ELNS1_3gpuE2ELNS1_3repE0EEENS1_30default_config_static_selectorELNS0_4arch9wavefront6targetE1EEEvT1_
		.amdhsa_group_segment_fixed_size 0
		.amdhsa_private_segment_fixed_size 0
		.amdhsa_kernarg_size 112
		.amdhsa_user_sgpr_count 6
		.amdhsa_user_sgpr_private_segment_buffer 1
		.amdhsa_user_sgpr_dispatch_ptr 0
		.amdhsa_user_sgpr_queue_ptr 0
		.amdhsa_user_sgpr_kernarg_segment_ptr 1
		.amdhsa_user_sgpr_dispatch_id 0
		.amdhsa_user_sgpr_flat_scratch_init 0
		.amdhsa_user_sgpr_kernarg_preload_length 0
		.amdhsa_user_sgpr_kernarg_preload_offset 0
		.amdhsa_user_sgpr_private_segment_size 0
		.amdhsa_uses_dynamic_stack 0
		.amdhsa_system_sgpr_private_segment_wavefront_offset 0
		.amdhsa_system_sgpr_workgroup_id_x 1
		.amdhsa_system_sgpr_workgroup_id_y 0
		.amdhsa_system_sgpr_workgroup_id_z 0
		.amdhsa_system_sgpr_workgroup_info 0
		.amdhsa_system_vgpr_workitem_id 0
		.amdhsa_next_free_vgpr 1
		.amdhsa_next_free_sgpr 0
		.amdhsa_accum_offset 4
		.amdhsa_reserve_vcc 0
		.amdhsa_reserve_flat_scratch 0
		.amdhsa_float_round_mode_32 0
		.amdhsa_float_round_mode_16_64 0
		.amdhsa_float_denorm_mode_32 3
		.amdhsa_float_denorm_mode_16_64 3
		.amdhsa_dx10_clamp 1
		.amdhsa_ieee_mode 1
		.amdhsa_fp16_overflow 0
		.amdhsa_tg_split 0
		.amdhsa_exception_fp_ieee_invalid_op 0
		.amdhsa_exception_fp_denorm_src 0
		.amdhsa_exception_fp_ieee_div_zero 0
		.amdhsa_exception_fp_ieee_overflow 0
		.amdhsa_exception_fp_ieee_underflow 0
		.amdhsa_exception_fp_ieee_inexact 0
		.amdhsa_exception_int_div_zero 0
	.end_amdhsa_kernel
	.section	.text._ZN7rocprim17ROCPRIM_400000_NS6detail17trampoline_kernelINS0_14default_configENS1_27scan_by_key_config_selectorIiiEEZZNS1_16scan_by_key_implILNS1_25lookback_scan_determinismE0ELb1ES3_N6thrust23THRUST_200600_302600_NS6detail15normal_iteratorINS9_10device_ptrIiEEEENSB_INSC_IjEEEENSB_INSC_IfEEEEiNS9_4plusIvEENS9_8equal_toIvEEiEE10hipError_tPvRmT2_T3_T4_T5_mT6_T7_P12ihipStream_tbENKUlT_T0_E_clISt17integral_constantIbLb0EES13_EEDaSY_SZ_EUlSY_E_NS1_11comp_targetILNS1_3genE8ELNS1_11target_archE1030ELNS1_3gpuE2ELNS1_3repE0EEENS1_30default_config_static_selectorELNS0_4arch9wavefront6targetE1EEEvT1_,"axG",@progbits,_ZN7rocprim17ROCPRIM_400000_NS6detail17trampoline_kernelINS0_14default_configENS1_27scan_by_key_config_selectorIiiEEZZNS1_16scan_by_key_implILNS1_25lookback_scan_determinismE0ELb1ES3_N6thrust23THRUST_200600_302600_NS6detail15normal_iteratorINS9_10device_ptrIiEEEENSB_INSC_IjEEEENSB_INSC_IfEEEEiNS9_4plusIvEENS9_8equal_toIvEEiEE10hipError_tPvRmT2_T3_T4_T5_mT6_T7_P12ihipStream_tbENKUlT_T0_E_clISt17integral_constantIbLb0EES13_EEDaSY_SZ_EUlSY_E_NS1_11comp_targetILNS1_3genE8ELNS1_11target_archE1030ELNS1_3gpuE2ELNS1_3repE0EEENS1_30default_config_static_selectorELNS0_4arch9wavefront6targetE1EEEvT1_,comdat
.Lfunc_end1724:
	.size	_ZN7rocprim17ROCPRIM_400000_NS6detail17trampoline_kernelINS0_14default_configENS1_27scan_by_key_config_selectorIiiEEZZNS1_16scan_by_key_implILNS1_25lookback_scan_determinismE0ELb1ES3_N6thrust23THRUST_200600_302600_NS6detail15normal_iteratorINS9_10device_ptrIiEEEENSB_INSC_IjEEEENSB_INSC_IfEEEEiNS9_4plusIvEENS9_8equal_toIvEEiEE10hipError_tPvRmT2_T3_T4_T5_mT6_T7_P12ihipStream_tbENKUlT_T0_E_clISt17integral_constantIbLb0EES13_EEDaSY_SZ_EUlSY_E_NS1_11comp_targetILNS1_3genE8ELNS1_11target_archE1030ELNS1_3gpuE2ELNS1_3repE0EEENS1_30default_config_static_selectorELNS0_4arch9wavefront6targetE1EEEvT1_, .Lfunc_end1724-_ZN7rocprim17ROCPRIM_400000_NS6detail17trampoline_kernelINS0_14default_configENS1_27scan_by_key_config_selectorIiiEEZZNS1_16scan_by_key_implILNS1_25lookback_scan_determinismE0ELb1ES3_N6thrust23THRUST_200600_302600_NS6detail15normal_iteratorINS9_10device_ptrIiEEEENSB_INSC_IjEEEENSB_INSC_IfEEEEiNS9_4plusIvEENS9_8equal_toIvEEiEE10hipError_tPvRmT2_T3_T4_T5_mT6_T7_P12ihipStream_tbENKUlT_T0_E_clISt17integral_constantIbLb0EES13_EEDaSY_SZ_EUlSY_E_NS1_11comp_targetILNS1_3genE8ELNS1_11target_archE1030ELNS1_3gpuE2ELNS1_3repE0EEENS1_30default_config_static_selectorELNS0_4arch9wavefront6targetE1EEEvT1_
                                        ; -- End function
	.section	.AMDGPU.csdata,"",@progbits
; Kernel info:
; codeLenInByte = 0
; NumSgprs: 4
; NumVgprs: 0
; NumAgprs: 0
; TotalNumVgprs: 0
; ScratchSize: 0
; MemoryBound: 0
; FloatMode: 240
; IeeeMode: 1
; LDSByteSize: 0 bytes/workgroup (compile time only)
; SGPRBlocks: 0
; VGPRBlocks: 0
; NumSGPRsForWavesPerEU: 4
; NumVGPRsForWavesPerEU: 1
; AccumOffset: 4
; Occupancy: 8
; WaveLimiterHint : 0
; COMPUTE_PGM_RSRC2:SCRATCH_EN: 0
; COMPUTE_PGM_RSRC2:USER_SGPR: 6
; COMPUTE_PGM_RSRC2:TRAP_HANDLER: 0
; COMPUTE_PGM_RSRC2:TGID_X_EN: 1
; COMPUTE_PGM_RSRC2:TGID_Y_EN: 0
; COMPUTE_PGM_RSRC2:TGID_Z_EN: 0
; COMPUTE_PGM_RSRC2:TIDIG_COMP_CNT: 0
; COMPUTE_PGM_RSRC3_GFX90A:ACCUM_OFFSET: 0
; COMPUTE_PGM_RSRC3_GFX90A:TG_SPLIT: 0
	.section	.text._ZN7rocprim17ROCPRIM_400000_NS6detail17trampoline_kernelINS0_14default_configENS1_27scan_by_key_config_selectorIiiEEZZNS1_16scan_by_key_implILNS1_25lookback_scan_determinismE0ELb1ES3_N6thrust23THRUST_200600_302600_NS6detail15normal_iteratorINS9_10device_ptrIiEEEENSB_INSC_IjEEEENSB_INSC_IfEEEEiNS9_4plusIvEENS9_8equal_toIvEEiEE10hipError_tPvRmT2_T3_T4_T5_mT6_T7_P12ihipStream_tbENKUlT_T0_E_clISt17integral_constantIbLb1EES13_EEDaSY_SZ_EUlSY_E_NS1_11comp_targetILNS1_3genE0ELNS1_11target_archE4294967295ELNS1_3gpuE0ELNS1_3repE0EEENS1_30default_config_static_selectorELNS0_4arch9wavefront6targetE1EEEvT1_,"axG",@progbits,_ZN7rocprim17ROCPRIM_400000_NS6detail17trampoline_kernelINS0_14default_configENS1_27scan_by_key_config_selectorIiiEEZZNS1_16scan_by_key_implILNS1_25lookback_scan_determinismE0ELb1ES3_N6thrust23THRUST_200600_302600_NS6detail15normal_iteratorINS9_10device_ptrIiEEEENSB_INSC_IjEEEENSB_INSC_IfEEEEiNS9_4plusIvEENS9_8equal_toIvEEiEE10hipError_tPvRmT2_T3_T4_T5_mT6_T7_P12ihipStream_tbENKUlT_T0_E_clISt17integral_constantIbLb1EES13_EEDaSY_SZ_EUlSY_E_NS1_11comp_targetILNS1_3genE0ELNS1_11target_archE4294967295ELNS1_3gpuE0ELNS1_3repE0EEENS1_30default_config_static_selectorELNS0_4arch9wavefront6targetE1EEEvT1_,comdat
	.protected	_ZN7rocprim17ROCPRIM_400000_NS6detail17trampoline_kernelINS0_14default_configENS1_27scan_by_key_config_selectorIiiEEZZNS1_16scan_by_key_implILNS1_25lookback_scan_determinismE0ELb1ES3_N6thrust23THRUST_200600_302600_NS6detail15normal_iteratorINS9_10device_ptrIiEEEENSB_INSC_IjEEEENSB_INSC_IfEEEEiNS9_4plusIvEENS9_8equal_toIvEEiEE10hipError_tPvRmT2_T3_T4_T5_mT6_T7_P12ihipStream_tbENKUlT_T0_E_clISt17integral_constantIbLb1EES13_EEDaSY_SZ_EUlSY_E_NS1_11comp_targetILNS1_3genE0ELNS1_11target_archE4294967295ELNS1_3gpuE0ELNS1_3repE0EEENS1_30default_config_static_selectorELNS0_4arch9wavefront6targetE1EEEvT1_ ; -- Begin function _ZN7rocprim17ROCPRIM_400000_NS6detail17trampoline_kernelINS0_14default_configENS1_27scan_by_key_config_selectorIiiEEZZNS1_16scan_by_key_implILNS1_25lookback_scan_determinismE0ELb1ES3_N6thrust23THRUST_200600_302600_NS6detail15normal_iteratorINS9_10device_ptrIiEEEENSB_INSC_IjEEEENSB_INSC_IfEEEEiNS9_4plusIvEENS9_8equal_toIvEEiEE10hipError_tPvRmT2_T3_T4_T5_mT6_T7_P12ihipStream_tbENKUlT_T0_E_clISt17integral_constantIbLb1EES13_EEDaSY_SZ_EUlSY_E_NS1_11comp_targetILNS1_3genE0ELNS1_11target_archE4294967295ELNS1_3gpuE0ELNS1_3repE0EEENS1_30default_config_static_selectorELNS0_4arch9wavefront6targetE1EEEvT1_
	.globl	_ZN7rocprim17ROCPRIM_400000_NS6detail17trampoline_kernelINS0_14default_configENS1_27scan_by_key_config_selectorIiiEEZZNS1_16scan_by_key_implILNS1_25lookback_scan_determinismE0ELb1ES3_N6thrust23THRUST_200600_302600_NS6detail15normal_iteratorINS9_10device_ptrIiEEEENSB_INSC_IjEEEENSB_INSC_IfEEEEiNS9_4plusIvEENS9_8equal_toIvEEiEE10hipError_tPvRmT2_T3_T4_T5_mT6_T7_P12ihipStream_tbENKUlT_T0_E_clISt17integral_constantIbLb1EES13_EEDaSY_SZ_EUlSY_E_NS1_11comp_targetILNS1_3genE0ELNS1_11target_archE4294967295ELNS1_3gpuE0ELNS1_3repE0EEENS1_30default_config_static_selectorELNS0_4arch9wavefront6targetE1EEEvT1_
	.p2align	8
	.type	_ZN7rocprim17ROCPRIM_400000_NS6detail17trampoline_kernelINS0_14default_configENS1_27scan_by_key_config_selectorIiiEEZZNS1_16scan_by_key_implILNS1_25lookback_scan_determinismE0ELb1ES3_N6thrust23THRUST_200600_302600_NS6detail15normal_iteratorINS9_10device_ptrIiEEEENSB_INSC_IjEEEENSB_INSC_IfEEEEiNS9_4plusIvEENS9_8equal_toIvEEiEE10hipError_tPvRmT2_T3_T4_T5_mT6_T7_P12ihipStream_tbENKUlT_T0_E_clISt17integral_constantIbLb1EES13_EEDaSY_SZ_EUlSY_E_NS1_11comp_targetILNS1_3genE0ELNS1_11target_archE4294967295ELNS1_3gpuE0ELNS1_3repE0EEENS1_30default_config_static_selectorELNS0_4arch9wavefront6targetE1EEEvT1_,@function
_ZN7rocprim17ROCPRIM_400000_NS6detail17trampoline_kernelINS0_14default_configENS1_27scan_by_key_config_selectorIiiEEZZNS1_16scan_by_key_implILNS1_25lookback_scan_determinismE0ELb1ES3_N6thrust23THRUST_200600_302600_NS6detail15normal_iteratorINS9_10device_ptrIiEEEENSB_INSC_IjEEEENSB_INSC_IfEEEEiNS9_4plusIvEENS9_8equal_toIvEEiEE10hipError_tPvRmT2_T3_T4_T5_mT6_T7_P12ihipStream_tbENKUlT_T0_E_clISt17integral_constantIbLb1EES13_EEDaSY_SZ_EUlSY_E_NS1_11comp_targetILNS1_3genE0ELNS1_11target_archE4294967295ELNS1_3gpuE0ELNS1_3repE0EEENS1_30default_config_static_selectorELNS0_4arch9wavefront6targetE1EEEvT1_: ; @_ZN7rocprim17ROCPRIM_400000_NS6detail17trampoline_kernelINS0_14default_configENS1_27scan_by_key_config_selectorIiiEEZZNS1_16scan_by_key_implILNS1_25lookback_scan_determinismE0ELb1ES3_N6thrust23THRUST_200600_302600_NS6detail15normal_iteratorINS9_10device_ptrIiEEEENSB_INSC_IjEEEENSB_INSC_IfEEEEiNS9_4plusIvEENS9_8equal_toIvEEiEE10hipError_tPvRmT2_T3_T4_T5_mT6_T7_P12ihipStream_tbENKUlT_T0_E_clISt17integral_constantIbLb1EES13_EEDaSY_SZ_EUlSY_E_NS1_11comp_targetILNS1_3genE0ELNS1_11target_archE4294967295ELNS1_3gpuE0ELNS1_3repE0EEENS1_30default_config_static_selectorELNS0_4arch9wavefront6targetE1EEEvT1_
; %bb.0:
	.section	.rodata,"a",@progbits
	.p2align	6, 0x0
	.amdhsa_kernel _ZN7rocprim17ROCPRIM_400000_NS6detail17trampoline_kernelINS0_14default_configENS1_27scan_by_key_config_selectorIiiEEZZNS1_16scan_by_key_implILNS1_25lookback_scan_determinismE0ELb1ES3_N6thrust23THRUST_200600_302600_NS6detail15normal_iteratorINS9_10device_ptrIiEEEENSB_INSC_IjEEEENSB_INSC_IfEEEEiNS9_4plusIvEENS9_8equal_toIvEEiEE10hipError_tPvRmT2_T3_T4_T5_mT6_T7_P12ihipStream_tbENKUlT_T0_E_clISt17integral_constantIbLb1EES13_EEDaSY_SZ_EUlSY_E_NS1_11comp_targetILNS1_3genE0ELNS1_11target_archE4294967295ELNS1_3gpuE0ELNS1_3repE0EEENS1_30default_config_static_selectorELNS0_4arch9wavefront6targetE1EEEvT1_
		.amdhsa_group_segment_fixed_size 0
		.amdhsa_private_segment_fixed_size 0
		.amdhsa_kernarg_size 112
		.amdhsa_user_sgpr_count 6
		.amdhsa_user_sgpr_private_segment_buffer 1
		.amdhsa_user_sgpr_dispatch_ptr 0
		.amdhsa_user_sgpr_queue_ptr 0
		.amdhsa_user_sgpr_kernarg_segment_ptr 1
		.amdhsa_user_sgpr_dispatch_id 0
		.amdhsa_user_sgpr_flat_scratch_init 0
		.amdhsa_user_sgpr_kernarg_preload_length 0
		.amdhsa_user_sgpr_kernarg_preload_offset 0
		.amdhsa_user_sgpr_private_segment_size 0
		.amdhsa_uses_dynamic_stack 0
		.amdhsa_system_sgpr_private_segment_wavefront_offset 0
		.amdhsa_system_sgpr_workgroup_id_x 1
		.amdhsa_system_sgpr_workgroup_id_y 0
		.amdhsa_system_sgpr_workgroup_id_z 0
		.amdhsa_system_sgpr_workgroup_info 0
		.amdhsa_system_vgpr_workitem_id 0
		.amdhsa_next_free_vgpr 1
		.amdhsa_next_free_sgpr 0
		.amdhsa_accum_offset 4
		.amdhsa_reserve_vcc 0
		.amdhsa_reserve_flat_scratch 0
		.amdhsa_float_round_mode_32 0
		.amdhsa_float_round_mode_16_64 0
		.amdhsa_float_denorm_mode_32 3
		.amdhsa_float_denorm_mode_16_64 3
		.amdhsa_dx10_clamp 1
		.amdhsa_ieee_mode 1
		.amdhsa_fp16_overflow 0
		.amdhsa_tg_split 0
		.amdhsa_exception_fp_ieee_invalid_op 0
		.amdhsa_exception_fp_denorm_src 0
		.amdhsa_exception_fp_ieee_div_zero 0
		.amdhsa_exception_fp_ieee_overflow 0
		.amdhsa_exception_fp_ieee_underflow 0
		.amdhsa_exception_fp_ieee_inexact 0
		.amdhsa_exception_int_div_zero 0
	.end_amdhsa_kernel
	.section	.text._ZN7rocprim17ROCPRIM_400000_NS6detail17trampoline_kernelINS0_14default_configENS1_27scan_by_key_config_selectorIiiEEZZNS1_16scan_by_key_implILNS1_25lookback_scan_determinismE0ELb1ES3_N6thrust23THRUST_200600_302600_NS6detail15normal_iteratorINS9_10device_ptrIiEEEENSB_INSC_IjEEEENSB_INSC_IfEEEEiNS9_4plusIvEENS9_8equal_toIvEEiEE10hipError_tPvRmT2_T3_T4_T5_mT6_T7_P12ihipStream_tbENKUlT_T0_E_clISt17integral_constantIbLb1EES13_EEDaSY_SZ_EUlSY_E_NS1_11comp_targetILNS1_3genE0ELNS1_11target_archE4294967295ELNS1_3gpuE0ELNS1_3repE0EEENS1_30default_config_static_selectorELNS0_4arch9wavefront6targetE1EEEvT1_,"axG",@progbits,_ZN7rocprim17ROCPRIM_400000_NS6detail17trampoline_kernelINS0_14default_configENS1_27scan_by_key_config_selectorIiiEEZZNS1_16scan_by_key_implILNS1_25lookback_scan_determinismE0ELb1ES3_N6thrust23THRUST_200600_302600_NS6detail15normal_iteratorINS9_10device_ptrIiEEEENSB_INSC_IjEEEENSB_INSC_IfEEEEiNS9_4plusIvEENS9_8equal_toIvEEiEE10hipError_tPvRmT2_T3_T4_T5_mT6_T7_P12ihipStream_tbENKUlT_T0_E_clISt17integral_constantIbLb1EES13_EEDaSY_SZ_EUlSY_E_NS1_11comp_targetILNS1_3genE0ELNS1_11target_archE4294967295ELNS1_3gpuE0ELNS1_3repE0EEENS1_30default_config_static_selectorELNS0_4arch9wavefront6targetE1EEEvT1_,comdat
.Lfunc_end1725:
	.size	_ZN7rocprim17ROCPRIM_400000_NS6detail17trampoline_kernelINS0_14default_configENS1_27scan_by_key_config_selectorIiiEEZZNS1_16scan_by_key_implILNS1_25lookback_scan_determinismE0ELb1ES3_N6thrust23THRUST_200600_302600_NS6detail15normal_iteratorINS9_10device_ptrIiEEEENSB_INSC_IjEEEENSB_INSC_IfEEEEiNS9_4plusIvEENS9_8equal_toIvEEiEE10hipError_tPvRmT2_T3_T4_T5_mT6_T7_P12ihipStream_tbENKUlT_T0_E_clISt17integral_constantIbLb1EES13_EEDaSY_SZ_EUlSY_E_NS1_11comp_targetILNS1_3genE0ELNS1_11target_archE4294967295ELNS1_3gpuE0ELNS1_3repE0EEENS1_30default_config_static_selectorELNS0_4arch9wavefront6targetE1EEEvT1_, .Lfunc_end1725-_ZN7rocprim17ROCPRIM_400000_NS6detail17trampoline_kernelINS0_14default_configENS1_27scan_by_key_config_selectorIiiEEZZNS1_16scan_by_key_implILNS1_25lookback_scan_determinismE0ELb1ES3_N6thrust23THRUST_200600_302600_NS6detail15normal_iteratorINS9_10device_ptrIiEEEENSB_INSC_IjEEEENSB_INSC_IfEEEEiNS9_4plusIvEENS9_8equal_toIvEEiEE10hipError_tPvRmT2_T3_T4_T5_mT6_T7_P12ihipStream_tbENKUlT_T0_E_clISt17integral_constantIbLb1EES13_EEDaSY_SZ_EUlSY_E_NS1_11comp_targetILNS1_3genE0ELNS1_11target_archE4294967295ELNS1_3gpuE0ELNS1_3repE0EEENS1_30default_config_static_selectorELNS0_4arch9wavefront6targetE1EEEvT1_
                                        ; -- End function
	.section	.AMDGPU.csdata,"",@progbits
; Kernel info:
; codeLenInByte = 0
; NumSgprs: 4
; NumVgprs: 0
; NumAgprs: 0
; TotalNumVgprs: 0
; ScratchSize: 0
; MemoryBound: 0
; FloatMode: 240
; IeeeMode: 1
; LDSByteSize: 0 bytes/workgroup (compile time only)
; SGPRBlocks: 0
; VGPRBlocks: 0
; NumSGPRsForWavesPerEU: 4
; NumVGPRsForWavesPerEU: 1
; AccumOffset: 4
; Occupancy: 8
; WaveLimiterHint : 0
; COMPUTE_PGM_RSRC2:SCRATCH_EN: 0
; COMPUTE_PGM_RSRC2:USER_SGPR: 6
; COMPUTE_PGM_RSRC2:TRAP_HANDLER: 0
; COMPUTE_PGM_RSRC2:TGID_X_EN: 1
; COMPUTE_PGM_RSRC2:TGID_Y_EN: 0
; COMPUTE_PGM_RSRC2:TGID_Z_EN: 0
; COMPUTE_PGM_RSRC2:TIDIG_COMP_CNT: 0
; COMPUTE_PGM_RSRC3_GFX90A:ACCUM_OFFSET: 0
; COMPUTE_PGM_RSRC3_GFX90A:TG_SPLIT: 0
	.section	.text._ZN7rocprim17ROCPRIM_400000_NS6detail17trampoline_kernelINS0_14default_configENS1_27scan_by_key_config_selectorIiiEEZZNS1_16scan_by_key_implILNS1_25lookback_scan_determinismE0ELb1ES3_N6thrust23THRUST_200600_302600_NS6detail15normal_iteratorINS9_10device_ptrIiEEEENSB_INSC_IjEEEENSB_INSC_IfEEEEiNS9_4plusIvEENS9_8equal_toIvEEiEE10hipError_tPvRmT2_T3_T4_T5_mT6_T7_P12ihipStream_tbENKUlT_T0_E_clISt17integral_constantIbLb1EES13_EEDaSY_SZ_EUlSY_E_NS1_11comp_targetILNS1_3genE10ELNS1_11target_archE1201ELNS1_3gpuE5ELNS1_3repE0EEENS1_30default_config_static_selectorELNS0_4arch9wavefront6targetE1EEEvT1_,"axG",@progbits,_ZN7rocprim17ROCPRIM_400000_NS6detail17trampoline_kernelINS0_14default_configENS1_27scan_by_key_config_selectorIiiEEZZNS1_16scan_by_key_implILNS1_25lookback_scan_determinismE0ELb1ES3_N6thrust23THRUST_200600_302600_NS6detail15normal_iteratorINS9_10device_ptrIiEEEENSB_INSC_IjEEEENSB_INSC_IfEEEEiNS9_4plusIvEENS9_8equal_toIvEEiEE10hipError_tPvRmT2_T3_T4_T5_mT6_T7_P12ihipStream_tbENKUlT_T0_E_clISt17integral_constantIbLb1EES13_EEDaSY_SZ_EUlSY_E_NS1_11comp_targetILNS1_3genE10ELNS1_11target_archE1201ELNS1_3gpuE5ELNS1_3repE0EEENS1_30default_config_static_selectorELNS0_4arch9wavefront6targetE1EEEvT1_,comdat
	.protected	_ZN7rocprim17ROCPRIM_400000_NS6detail17trampoline_kernelINS0_14default_configENS1_27scan_by_key_config_selectorIiiEEZZNS1_16scan_by_key_implILNS1_25lookback_scan_determinismE0ELb1ES3_N6thrust23THRUST_200600_302600_NS6detail15normal_iteratorINS9_10device_ptrIiEEEENSB_INSC_IjEEEENSB_INSC_IfEEEEiNS9_4plusIvEENS9_8equal_toIvEEiEE10hipError_tPvRmT2_T3_T4_T5_mT6_T7_P12ihipStream_tbENKUlT_T0_E_clISt17integral_constantIbLb1EES13_EEDaSY_SZ_EUlSY_E_NS1_11comp_targetILNS1_3genE10ELNS1_11target_archE1201ELNS1_3gpuE5ELNS1_3repE0EEENS1_30default_config_static_selectorELNS0_4arch9wavefront6targetE1EEEvT1_ ; -- Begin function _ZN7rocprim17ROCPRIM_400000_NS6detail17trampoline_kernelINS0_14default_configENS1_27scan_by_key_config_selectorIiiEEZZNS1_16scan_by_key_implILNS1_25lookback_scan_determinismE0ELb1ES3_N6thrust23THRUST_200600_302600_NS6detail15normal_iteratorINS9_10device_ptrIiEEEENSB_INSC_IjEEEENSB_INSC_IfEEEEiNS9_4plusIvEENS9_8equal_toIvEEiEE10hipError_tPvRmT2_T3_T4_T5_mT6_T7_P12ihipStream_tbENKUlT_T0_E_clISt17integral_constantIbLb1EES13_EEDaSY_SZ_EUlSY_E_NS1_11comp_targetILNS1_3genE10ELNS1_11target_archE1201ELNS1_3gpuE5ELNS1_3repE0EEENS1_30default_config_static_selectorELNS0_4arch9wavefront6targetE1EEEvT1_
	.globl	_ZN7rocprim17ROCPRIM_400000_NS6detail17trampoline_kernelINS0_14default_configENS1_27scan_by_key_config_selectorIiiEEZZNS1_16scan_by_key_implILNS1_25lookback_scan_determinismE0ELb1ES3_N6thrust23THRUST_200600_302600_NS6detail15normal_iteratorINS9_10device_ptrIiEEEENSB_INSC_IjEEEENSB_INSC_IfEEEEiNS9_4plusIvEENS9_8equal_toIvEEiEE10hipError_tPvRmT2_T3_T4_T5_mT6_T7_P12ihipStream_tbENKUlT_T0_E_clISt17integral_constantIbLb1EES13_EEDaSY_SZ_EUlSY_E_NS1_11comp_targetILNS1_3genE10ELNS1_11target_archE1201ELNS1_3gpuE5ELNS1_3repE0EEENS1_30default_config_static_selectorELNS0_4arch9wavefront6targetE1EEEvT1_
	.p2align	8
	.type	_ZN7rocprim17ROCPRIM_400000_NS6detail17trampoline_kernelINS0_14default_configENS1_27scan_by_key_config_selectorIiiEEZZNS1_16scan_by_key_implILNS1_25lookback_scan_determinismE0ELb1ES3_N6thrust23THRUST_200600_302600_NS6detail15normal_iteratorINS9_10device_ptrIiEEEENSB_INSC_IjEEEENSB_INSC_IfEEEEiNS9_4plusIvEENS9_8equal_toIvEEiEE10hipError_tPvRmT2_T3_T4_T5_mT6_T7_P12ihipStream_tbENKUlT_T0_E_clISt17integral_constantIbLb1EES13_EEDaSY_SZ_EUlSY_E_NS1_11comp_targetILNS1_3genE10ELNS1_11target_archE1201ELNS1_3gpuE5ELNS1_3repE0EEENS1_30default_config_static_selectorELNS0_4arch9wavefront6targetE1EEEvT1_,@function
_ZN7rocprim17ROCPRIM_400000_NS6detail17trampoline_kernelINS0_14default_configENS1_27scan_by_key_config_selectorIiiEEZZNS1_16scan_by_key_implILNS1_25lookback_scan_determinismE0ELb1ES3_N6thrust23THRUST_200600_302600_NS6detail15normal_iteratorINS9_10device_ptrIiEEEENSB_INSC_IjEEEENSB_INSC_IfEEEEiNS9_4plusIvEENS9_8equal_toIvEEiEE10hipError_tPvRmT2_T3_T4_T5_mT6_T7_P12ihipStream_tbENKUlT_T0_E_clISt17integral_constantIbLb1EES13_EEDaSY_SZ_EUlSY_E_NS1_11comp_targetILNS1_3genE10ELNS1_11target_archE1201ELNS1_3gpuE5ELNS1_3repE0EEENS1_30default_config_static_selectorELNS0_4arch9wavefront6targetE1EEEvT1_: ; @_ZN7rocprim17ROCPRIM_400000_NS6detail17trampoline_kernelINS0_14default_configENS1_27scan_by_key_config_selectorIiiEEZZNS1_16scan_by_key_implILNS1_25lookback_scan_determinismE0ELb1ES3_N6thrust23THRUST_200600_302600_NS6detail15normal_iteratorINS9_10device_ptrIiEEEENSB_INSC_IjEEEENSB_INSC_IfEEEEiNS9_4plusIvEENS9_8equal_toIvEEiEE10hipError_tPvRmT2_T3_T4_T5_mT6_T7_P12ihipStream_tbENKUlT_T0_E_clISt17integral_constantIbLb1EES13_EEDaSY_SZ_EUlSY_E_NS1_11comp_targetILNS1_3genE10ELNS1_11target_archE1201ELNS1_3gpuE5ELNS1_3repE0EEENS1_30default_config_static_selectorELNS0_4arch9wavefront6targetE1EEEvT1_
; %bb.0:
	.section	.rodata,"a",@progbits
	.p2align	6, 0x0
	.amdhsa_kernel _ZN7rocprim17ROCPRIM_400000_NS6detail17trampoline_kernelINS0_14default_configENS1_27scan_by_key_config_selectorIiiEEZZNS1_16scan_by_key_implILNS1_25lookback_scan_determinismE0ELb1ES3_N6thrust23THRUST_200600_302600_NS6detail15normal_iteratorINS9_10device_ptrIiEEEENSB_INSC_IjEEEENSB_INSC_IfEEEEiNS9_4plusIvEENS9_8equal_toIvEEiEE10hipError_tPvRmT2_T3_T4_T5_mT6_T7_P12ihipStream_tbENKUlT_T0_E_clISt17integral_constantIbLb1EES13_EEDaSY_SZ_EUlSY_E_NS1_11comp_targetILNS1_3genE10ELNS1_11target_archE1201ELNS1_3gpuE5ELNS1_3repE0EEENS1_30default_config_static_selectorELNS0_4arch9wavefront6targetE1EEEvT1_
		.amdhsa_group_segment_fixed_size 0
		.amdhsa_private_segment_fixed_size 0
		.amdhsa_kernarg_size 112
		.amdhsa_user_sgpr_count 6
		.amdhsa_user_sgpr_private_segment_buffer 1
		.amdhsa_user_sgpr_dispatch_ptr 0
		.amdhsa_user_sgpr_queue_ptr 0
		.amdhsa_user_sgpr_kernarg_segment_ptr 1
		.amdhsa_user_sgpr_dispatch_id 0
		.amdhsa_user_sgpr_flat_scratch_init 0
		.amdhsa_user_sgpr_kernarg_preload_length 0
		.amdhsa_user_sgpr_kernarg_preload_offset 0
		.amdhsa_user_sgpr_private_segment_size 0
		.amdhsa_uses_dynamic_stack 0
		.amdhsa_system_sgpr_private_segment_wavefront_offset 0
		.amdhsa_system_sgpr_workgroup_id_x 1
		.amdhsa_system_sgpr_workgroup_id_y 0
		.amdhsa_system_sgpr_workgroup_id_z 0
		.amdhsa_system_sgpr_workgroup_info 0
		.amdhsa_system_vgpr_workitem_id 0
		.amdhsa_next_free_vgpr 1
		.amdhsa_next_free_sgpr 0
		.amdhsa_accum_offset 4
		.amdhsa_reserve_vcc 0
		.amdhsa_reserve_flat_scratch 0
		.amdhsa_float_round_mode_32 0
		.amdhsa_float_round_mode_16_64 0
		.amdhsa_float_denorm_mode_32 3
		.amdhsa_float_denorm_mode_16_64 3
		.amdhsa_dx10_clamp 1
		.amdhsa_ieee_mode 1
		.amdhsa_fp16_overflow 0
		.amdhsa_tg_split 0
		.amdhsa_exception_fp_ieee_invalid_op 0
		.amdhsa_exception_fp_denorm_src 0
		.amdhsa_exception_fp_ieee_div_zero 0
		.amdhsa_exception_fp_ieee_overflow 0
		.amdhsa_exception_fp_ieee_underflow 0
		.amdhsa_exception_fp_ieee_inexact 0
		.amdhsa_exception_int_div_zero 0
	.end_amdhsa_kernel
	.section	.text._ZN7rocprim17ROCPRIM_400000_NS6detail17trampoline_kernelINS0_14default_configENS1_27scan_by_key_config_selectorIiiEEZZNS1_16scan_by_key_implILNS1_25lookback_scan_determinismE0ELb1ES3_N6thrust23THRUST_200600_302600_NS6detail15normal_iteratorINS9_10device_ptrIiEEEENSB_INSC_IjEEEENSB_INSC_IfEEEEiNS9_4plusIvEENS9_8equal_toIvEEiEE10hipError_tPvRmT2_T3_T4_T5_mT6_T7_P12ihipStream_tbENKUlT_T0_E_clISt17integral_constantIbLb1EES13_EEDaSY_SZ_EUlSY_E_NS1_11comp_targetILNS1_3genE10ELNS1_11target_archE1201ELNS1_3gpuE5ELNS1_3repE0EEENS1_30default_config_static_selectorELNS0_4arch9wavefront6targetE1EEEvT1_,"axG",@progbits,_ZN7rocprim17ROCPRIM_400000_NS6detail17trampoline_kernelINS0_14default_configENS1_27scan_by_key_config_selectorIiiEEZZNS1_16scan_by_key_implILNS1_25lookback_scan_determinismE0ELb1ES3_N6thrust23THRUST_200600_302600_NS6detail15normal_iteratorINS9_10device_ptrIiEEEENSB_INSC_IjEEEENSB_INSC_IfEEEEiNS9_4plusIvEENS9_8equal_toIvEEiEE10hipError_tPvRmT2_T3_T4_T5_mT6_T7_P12ihipStream_tbENKUlT_T0_E_clISt17integral_constantIbLb1EES13_EEDaSY_SZ_EUlSY_E_NS1_11comp_targetILNS1_3genE10ELNS1_11target_archE1201ELNS1_3gpuE5ELNS1_3repE0EEENS1_30default_config_static_selectorELNS0_4arch9wavefront6targetE1EEEvT1_,comdat
.Lfunc_end1726:
	.size	_ZN7rocprim17ROCPRIM_400000_NS6detail17trampoline_kernelINS0_14default_configENS1_27scan_by_key_config_selectorIiiEEZZNS1_16scan_by_key_implILNS1_25lookback_scan_determinismE0ELb1ES3_N6thrust23THRUST_200600_302600_NS6detail15normal_iteratorINS9_10device_ptrIiEEEENSB_INSC_IjEEEENSB_INSC_IfEEEEiNS9_4plusIvEENS9_8equal_toIvEEiEE10hipError_tPvRmT2_T3_T4_T5_mT6_T7_P12ihipStream_tbENKUlT_T0_E_clISt17integral_constantIbLb1EES13_EEDaSY_SZ_EUlSY_E_NS1_11comp_targetILNS1_3genE10ELNS1_11target_archE1201ELNS1_3gpuE5ELNS1_3repE0EEENS1_30default_config_static_selectorELNS0_4arch9wavefront6targetE1EEEvT1_, .Lfunc_end1726-_ZN7rocprim17ROCPRIM_400000_NS6detail17trampoline_kernelINS0_14default_configENS1_27scan_by_key_config_selectorIiiEEZZNS1_16scan_by_key_implILNS1_25lookback_scan_determinismE0ELb1ES3_N6thrust23THRUST_200600_302600_NS6detail15normal_iteratorINS9_10device_ptrIiEEEENSB_INSC_IjEEEENSB_INSC_IfEEEEiNS9_4plusIvEENS9_8equal_toIvEEiEE10hipError_tPvRmT2_T3_T4_T5_mT6_T7_P12ihipStream_tbENKUlT_T0_E_clISt17integral_constantIbLb1EES13_EEDaSY_SZ_EUlSY_E_NS1_11comp_targetILNS1_3genE10ELNS1_11target_archE1201ELNS1_3gpuE5ELNS1_3repE0EEENS1_30default_config_static_selectorELNS0_4arch9wavefront6targetE1EEEvT1_
                                        ; -- End function
	.section	.AMDGPU.csdata,"",@progbits
; Kernel info:
; codeLenInByte = 0
; NumSgprs: 4
; NumVgprs: 0
; NumAgprs: 0
; TotalNumVgprs: 0
; ScratchSize: 0
; MemoryBound: 0
; FloatMode: 240
; IeeeMode: 1
; LDSByteSize: 0 bytes/workgroup (compile time only)
; SGPRBlocks: 0
; VGPRBlocks: 0
; NumSGPRsForWavesPerEU: 4
; NumVGPRsForWavesPerEU: 1
; AccumOffset: 4
; Occupancy: 8
; WaveLimiterHint : 0
; COMPUTE_PGM_RSRC2:SCRATCH_EN: 0
; COMPUTE_PGM_RSRC2:USER_SGPR: 6
; COMPUTE_PGM_RSRC2:TRAP_HANDLER: 0
; COMPUTE_PGM_RSRC2:TGID_X_EN: 1
; COMPUTE_PGM_RSRC2:TGID_Y_EN: 0
; COMPUTE_PGM_RSRC2:TGID_Z_EN: 0
; COMPUTE_PGM_RSRC2:TIDIG_COMP_CNT: 0
; COMPUTE_PGM_RSRC3_GFX90A:ACCUM_OFFSET: 0
; COMPUTE_PGM_RSRC3_GFX90A:TG_SPLIT: 0
	.section	.text._ZN7rocprim17ROCPRIM_400000_NS6detail17trampoline_kernelINS0_14default_configENS1_27scan_by_key_config_selectorIiiEEZZNS1_16scan_by_key_implILNS1_25lookback_scan_determinismE0ELb1ES3_N6thrust23THRUST_200600_302600_NS6detail15normal_iteratorINS9_10device_ptrIiEEEENSB_INSC_IjEEEENSB_INSC_IfEEEEiNS9_4plusIvEENS9_8equal_toIvEEiEE10hipError_tPvRmT2_T3_T4_T5_mT6_T7_P12ihipStream_tbENKUlT_T0_E_clISt17integral_constantIbLb1EES13_EEDaSY_SZ_EUlSY_E_NS1_11comp_targetILNS1_3genE5ELNS1_11target_archE942ELNS1_3gpuE9ELNS1_3repE0EEENS1_30default_config_static_selectorELNS0_4arch9wavefront6targetE1EEEvT1_,"axG",@progbits,_ZN7rocprim17ROCPRIM_400000_NS6detail17trampoline_kernelINS0_14default_configENS1_27scan_by_key_config_selectorIiiEEZZNS1_16scan_by_key_implILNS1_25lookback_scan_determinismE0ELb1ES3_N6thrust23THRUST_200600_302600_NS6detail15normal_iteratorINS9_10device_ptrIiEEEENSB_INSC_IjEEEENSB_INSC_IfEEEEiNS9_4plusIvEENS9_8equal_toIvEEiEE10hipError_tPvRmT2_T3_T4_T5_mT6_T7_P12ihipStream_tbENKUlT_T0_E_clISt17integral_constantIbLb1EES13_EEDaSY_SZ_EUlSY_E_NS1_11comp_targetILNS1_3genE5ELNS1_11target_archE942ELNS1_3gpuE9ELNS1_3repE0EEENS1_30default_config_static_selectorELNS0_4arch9wavefront6targetE1EEEvT1_,comdat
	.protected	_ZN7rocprim17ROCPRIM_400000_NS6detail17trampoline_kernelINS0_14default_configENS1_27scan_by_key_config_selectorIiiEEZZNS1_16scan_by_key_implILNS1_25lookback_scan_determinismE0ELb1ES3_N6thrust23THRUST_200600_302600_NS6detail15normal_iteratorINS9_10device_ptrIiEEEENSB_INSC_IjEEEENSB_INSC_IfEEEEiNS9_4plusIvEENS9_8equal_toIvEEiEE10hipError_tPvRmT2_T3_T4_T5_mT6_T7_P12ihipStream_tbENKUlT_T0_E_clISt17integral_constantIbLb1EES13_EEDaSY_SZ_EUlSY_E_NS1_11comp_targetILNS1_3genE5ELNS1_11target_archE942ELNS1_3gpuE9ELNS1_3repE0EEENS1_30default_config_static_selectorELNS0_4arch9wavefront6targetE1EEEvT1_ ; -- Begin function _ZN7rocprim17ROCPRIM_400000_NS6detail17trampoline_kernelINS0_14default_configENS1_27scan_by_key_config_selectorIiiEEZZNS1_16scan_by_key_implILNS1_25lookback_scan_determinismE0ELb1ES3_N6thrust23THRUST_200600_302600_NS6detail15normal_iteratorINS9_10device_ptrIiEEEENSB_INSC_IjEEEENSB_INSC_IfEEEEiNS9_4plusIvEENS9_8equal_toIvEEiEE10hipError_tPvRmT2_T3_T4_T5_mT6_T7_P12ihipStream_tbENKUlT_T0_E_clISt17integral_constantIbLb1EES13_EEDaSY_SZ_EUlSY_E_NS1_11comp_targetILNS1_3genE5ELNS1_11target_archE942ELNS1_3gpuE9ELNS1_3repE0EEENS1_30default_config_static_selectorELNS0_4arch9wavefront6targetE1EEEvT1_
	.globl	_ZN7rocprim17ROCPRIM_400000_NS6detail17trampoline_kernelINS0_14default_configENS1_27scan_by_key_config_selectorIiiEEZZNS1_16scan_by_key_implILNS1_25lookback_scan_determinismE0ELb1ES3_N6thrust23THRUST_200600_302600_NS6detail15normal_iteratorINS9_10device_ptrIiEEEENSB_INSC_IjEEEENSB_INSC_IfEEEEiNS9_4plusIvEENS9_8equal_toIvEEiEE10hipError_tPvRmT2_T3_T4_T5_mT6_T7_P12ihipStream_tbENKUlT_T0_E_clISt17integral_constantIbLb1EES13_EEDaSY_SZ_EUlSY_E_NS1_11comp_targetILNS1_3genE5ELNS1_11target_archE942ELNS1_3gpuE9ELNS1_3repE0EEENS1_30default_config_static_selectorELNS0_4arch9wavefront6targetE1EEEvT1_
	.p2align	8
	.type	_ZN7rocprim17ROCPRIM_400000_NS6detail17trampoline_kernelINS0_14default_configENS1_27scan_by_key_config_selectorIiiEEZZNS1_16scan_by_key_implILNS1_25lookback_scan_determinismE0ELb1ES3_N6thrust23THRUST_200600_302600_NS6detail15normal_iteratorINS9_10device_ptrIiEEEENSB_INSC_IjEEEENSB_INSC_IfEEEEiNS9_4plusIvEENS9_8equal_toIvEEiEE10hipError_tPvRmT2_T3_T4_T5_mT6_T7_P12ihipStream_tbENKUlT_T0_E_clISt17integral_constantIbLb1EES13_EEDaSY_SZ_EUlSY_E_NS1_11comp_targetILNS1_3genE5ELNS1_11target_archE942ELNS1_3gpuE9ELNS1_3repE0EEENS1_30default_config_static_selectorELNS0_4arch9wavefront6targetE1EEEvT1_,@function
_ZN7rocprim17ROCPRIM_400000_NS6detail17trampoline_kernelINS0_14default_configENS1_27scan_by_key_config_selectorIiiEEZZNS1_16scan_by_key_implILNS1_25lookback_scan_determinismE0ELb1ES3_N6thrust23THRUST_200600_302600_NS6detail15normal_iteratorINS9_10device_ptrIiEEEENSB_INSC_IjEEEENSB_INSC_IfEEEEiNS9_4plusIvEENS9_8equal_toIvEEiEE10hipError_tPvRmT2_T3_T4_T5_mT6_T7_P12ihipStream_tbENKUlT_T0_E_clISt17integral_constantIbLb1EES13_EEDaSY_SZ_EUlSY_E_NS1_11comp_targetILNS1_3genE5ELNS1_11target_archE942ELNS1_3gpuE9ELNS1_3repE0EEENS1_30default_config_static_selectorELNS0_4arch9wavefront6targetE1EEEvT1_: ; @_ZN7rocprim17ROCPRIM_400000_NS6detail17trampoline_kernelINS0_14default_configENS1_27scan_by_key_config_selectorIiiEEZZNS1_16scan_by_key_implILNS1_25lookback_scan_determinismE0ELb1ES3_N6thrust23THRUST_200600_302600_NS6detail15normal_iteratorINS9_10device_ptrIiEEEENSB_INSC_IjEEEENSB_INSC_IfEEEEiNS9_4plusIvEENS9_8equal_toIvEEiEE10hipError_tPvRmT2_T3_T4_T5_mT6_T7_P12ihipStream_tbENKUlT_T0_E_clISt17integral_constantIbLb1EES13_EEDaSY_SZ_EUlSY_E_NS1_11comp_targetILNS1_3genE5ELNS1_11target_archE942ELNS1_3gpuE9ELNS1_3repE0EEENS1_30default_config_static_selectorELNS0_4arch9wavefront6targetE1EEEvT1_
; %bb.0:
	.section	.rodata,"a",@progbits
	.p2align	6, 0x0
	.amdhsa_kernel _ZN7rocprim17ROCPRIM_400000_NS6detail17trampoline_kernelINS0_14default_configENS1_27scan_by_key_config_selectorIiiEEZZNS1_16scan_by_key_implILNS1_25lookback_scan_determinismE0ELb1ES3_N6thrust23THRUST_200600_302600_NS6detail15normal_iteratorINS9_10device_ptrIiEEEENSB_INSC_IjEEEENSB_INSC_IfEEEEiNS9_4plusIvEENS9_8equal_toIvEEiEE10hipError_tPvRmT2_T3_T4_T5_mT6_T7_P12ihipStream_tbENKUlT_T0_E_clISt17integral_constantIbLb1EES13_EEDaSY_SZ_EUlSY_E_NS1_11comp_targetILNS1_3genE5ELNS1_11target_archE942ELNS1_3gpuE9ELNS1_3repE0EEENS1_30default_config_static_selectorELNS0_4arch9wavefront6targetE1EEEvT1_
		.amdhsa_group_segment_fixed_size 0
		.amdhsa_private_segment_fixed_size 0
		.amdhsa_kernarg_size 112
		.amdhsa_user_sgpr_count 6
		.amdhsa_user_sgpr_private_segment_buffer 1
		.amdhsa_user_sgpr_dispatch_ptr 0
		.amdhsa_user_sgpr_queue_ptr 0
		.amdhsa_user_sgpr_kernarg_segment_ptr 1
		.amdhsa_user_sgpr_dispatch_id 0
		.amdhsa_user_sgpr_flat_scratch_init 0
		.amdhsa_user_sgpr_kernarg_preload_length 0
		.amdhsa_user_sgpr_kernarg_preload_offset 0
		.amdhsa_user_sgpr_private_segment_size 0
		.amdhsa_uses_dynamic_stack 0
		.amdhsa_system_sgpr_private_segment_wavefront_offset 0
		.amdhsa_system_sgpr_workgroup_id_x 1
		.amdhsa_system_sgpr_workgroup_id_y 0
		.amdhsa_system_sgpr_workgroup_id_z 0
		.amdhsa_system_sgpr_workgroup_info 0
		.amdhsa_system_vgpr_workitem_id 0
		.amdhsa_next_free_vgpr 1
		.amdhsa_next_free_sgpr 0
		.amdhsa_accum_offset 4
		.amdhsa_reserve_vcc 0
		.amdhsa_reserve_flat_scratch 0
		.amdhsa_float_round_mode_32 0
		.amdhsa_float_round_mode_16_64 0
		.amdhsa_float_denorm_mode_32 3
		.amdhsa_float_denorm_mode_16_64 3
		.amdhsa_dx10_clamp 1
		.amdhsa_ieee_mode 1
		.amdhsa_fp16_overflow 0
		.amdhsa_tg_split 0
		.amdhsa_exception_fp_ieee_invalid_op 0
		.amdhsa_exception_fp_denorm_src 0
		.amdhsa_exception_fp_ieee_div_zero 0
		.amdhsa_exception_fp_ieee_overflow 0
		.amdhsa_exception_fp_ieee_underflow 0
		.amdhsa_exception_fp_ieee_inexact 0
		.amdhsa_exception_int_div_zero 0
	.end_amdhsa_kernel
	.section	.text._ZN7rocprim17ROCPRIM_400000_NS6detail17trampoline_kernelINS0_14default_configENS1_27scan_by_key_config_selectorIiiEEZZNS1_16scan_by_key_implILNS1_25lookback_scan_determinismE0ELb1ES3_N6thrust23THRUST_200600_302600_NS6detail15normal_iteratorINS9_10device_ptrIiEEEENSB_INSC_IjEEEENSB_INSC_IfEEEEiNS9_4plusIvEENS9_8equal_toIvEEiEE10hipError_tPvRmT2_T3_T4_T5_mT6_T7_P12ihipStream_tbENKUlT_T0_E_clISt17integral_constantIbLb1EES13_EEDaSY_SZ_EUlSY_E_NS1_11comp_targetILNS1_3genE5ELNS1_11target_archE942ELNS1_3gpuE9ELNS1_3repE0EEENS1_30default_config_static_selectorELNS0_4arch9wavefront6targetE1EEEvT1_,"axG",@progbits,_ZN7rocprim17ROCPRIM_400000_NS6detail17trampoline_kernelINS0_14default_configENS1_27scan_by_key_config_selectorIiiEEZZNS1_16scan_by_key_implILNS1_25lookback_scan_determinismE0ELb1ES3_N6thrust23THRUST_200600_302600_NS6detail15normal_iteratorINS9_10device_ptrIiEEEENSB_INSC_IjEEEENSB_INSC_IfEEEEiNS9_4plusIvEENS9_8equal_toIvEEiEE10hipError_tPvRmT2_T3_T4_T5_mT6_T7_P12ihipStream_tbENKUlT_T0_E_clISt17integral_constantIbLb1EES13_EEDaSY_SZ_EUlSY_E_NS1_11comp_targetILNS1_3genE5ELNS1_11target_archE942ELNS1_3gpuE9ELNS1_3repE0EEENS1_30default_config_static_selectorELNS0_4arch9wavefront6targetE1EEEvT1_,comdat
.Lfunc_end1727:
	.size	_ZN7rocprim17ROCPRIM_400000_NS6detail17trampoline_kernelINS0_14default_configENS1_27scan_by_key_config_selectorIiiEEZZNS1_16scan_by_key_implILNS1_25lookback_scan_determinismE0ELb1ES3_N6thrust23THRUST_200600_302600_NS6detail15normal_iteratorINS9_10device_ptrIiEEEENSB_INSC_IjEEEENSB_INSC_IfEEEEiNS9_4plusIvEENS9_8equal_toIvEEiEE10hipError_tPvRmT2_T3_T4_T5_mT6_T7_P12ihipStream_tbENKUlT_T0_E_clISt17integral_constantIbLb1EES13_EEDaSY_SZ_EUlSY_E_NS1_11comp_targetILNS1_3genE5ELNS1_11target_archE942ELNS1_3gpuE9ELNS1_3repE0EEENS1_30default_config_static_selectorELNS0_4arch9wavefront6targetE1EEEvT1_, .Lfunc_end1727-_ZN7rocprim17ROCPRIM_400000_NS6detail17trampoline_kernelINS0_14default_configENS1_27scan_by_key_config_selectorIiiEEZZNS1_16scan_by_key_implILNS1_25lookback_scan_determinismE0ELb1ES3_N6thrust23THRUST_200600_302600_NS6detail15normal_iteratorINS9_10device_ptrIiEEEENSB_INSC_IjEEEENSB_INSC_IfEEEEiNS9_4plusIvEENS9_8equal_toIvEEiEE10hipError_tPvRmT2_T3_T4_T5_mT6_T7_P12ihipStream_tbENKUlT_T0_E_clISt17integral_constantIbLb1EES13_EEDaSY_SZ_EUlSY_E_NS1_11comp_targetILNS1_3genE5ELNS1_11target_archE942ELNS1_3gpuE9ELNS1_3repE0EEENS1_30default_config_static_selectorELNS0_4arch9wavefront6targetE1EEEvT1_
                                        ; -- End function
	.section	.AMDGPU.csdata,"",@progbits
; Kernel info:
; codeLenInByte = 0
; NumSgprs: 4
; NumVgprs: 0
; NumAgprs: 0
; TotalNumVgprs: 0
; ScratchSize: 0
; MemoryBound: 0
; FloatMode: 240
; IeeeMode: 1
; LDSByteSize: 0 bytes/workgroup (compile time only)
; SGPRBlocks: 0
; VGPRBlocks: 0
; NumSGPRsForWavesPerEU: 4
; NumVGPRsForWavesPerEU: 1
; AccumOffset: 4
; Occupancy: 8
; WaveLimiterHint : 0
; COMPUTE_PGM_RSRC2:SCRATCH_EN: 0
; COMPUTE_PGM_RSRC2:USER_SGPR: 6
; COMPUTE_PGM_RSRC2:TRAP_HANDLER: 0
; COMPUTE_PGM_RSRC2:TGID_X_EN: 1
; COMPUTE_PGM_RSRC2:TGID_Y_EN: 0
; COMPUTE_PGM_RSRC2:TGID_Z_EN: 0
; COMPUTE_PGM_RSRC2:TIDIG_COMP_CNT: 0
; COMPUTE_PGM_RSRC3_GFX90A:ACCUM_OFFSET: 0
; COMPUTE_PGM_RSRC3_GFX90A:TG_SPLIT: 0
	.section	.text._ZN7rocprim17ROCPRIM_400000_NS6detail17trampoline_kernelINS0_14default_configENS1_27scan_by_key_config_selectorIiiEEZZNS1_16scan_by_key_implILNS1_25lookback_scan_determinismE0ELb1ES3_N6thrust23THRUST_200600_302600_NS6detail15normal_iteratorINS9_10device_ptrIiEEEENSB_INSC_IjEEEENSB_INSC_IfEEEEiNS9_4plusIvEENS9_8equal_toIvEEiEE10hipError_tPvRmT2_T3_T4_T5_mT6_T7_P12ihipStream_tbENKUlT_T0_E_clISt17integral_constantIbLb1EES13_EEDaSY_SZ_EUlSY_E_NS1_11comp_targetILNS1_3genE4ELNS1_11target_archE910ELNS1_3gpuE8ELNS1_3repE0EEENS1_30default_config_static_selectorELNS0_4arch9wavefront6targetE1EEEvT1_,"axG",@progbits,_ZN7rocprim17ROCPRIM_400000_NS6detail17trampoline_kernelINS0_14default_configENS1_27scan_by_key_config_selectorIiiEEZZNS1_16scan_by_key_implILNS1_25lookback_scan_determinismE0ELb1ES3_N6thrust23THRUST_200600_302600_NS6detail15normal_iteratorINS9_10device_ptrIiEEEENSB_INSC_IjEEEENSB_INSC_IfEEEEiNS9_4plusIvEENS9_8equal_toIvEEiEE10hipError_tPvRmT2_T3_T4_T5_mT6_T7_P12ihipStream_tbENKUlT_T0_E_clISt17integral_constantIbLb1EES13_EEDaSY_SZ_EUlSY_E_NS1_11comp_targetILNS1_3genE4ELNS1_11target_archE910ELNS1_3gpuE8ELNS1_3repE0EEENS1_30default_config_static_selectorELNS0_4arch9wavefront6targetE1EEEvT1_,comdat
	.protected	_ZN7rocprim17ROCPRIM_400000_NS6detail17trampoline_kernelINS0_14default_configENS1_27scan_by_key_config_selectorIiiEEZZNS1_16scan_by_key_implILNS1_25lookback_scan_determinismE0ELb1ES3_N6thrust23THRUST_200600_302600_NS6detail15normal_iteratorINS9_10device_ptrIiEEEENSB_INSC_IjEEEENSB_INSC_IfEEEEiNS9_4plusIvEENS9_8equal_toIvEEiEE10hipError_tPvRmT2_T3_T4_T5_mT6_T7_P12ihipStream_tbENKUlT_T0_E_clISt17integral_constantIbLb1EES13_EEDaSY_SZ_EUlSY_E_NS1_11comp_targetILNS1_3genE4ELNS1_11target_archE910ELNS1_3gpuE8ELNS1_3repE0EEENS1_30default_config_static_selectorELNS0_4arch9wavefront6targetE1EEEvT1_ ; -- Begin function _ZN7rocprim17ROCPRIM_400000_NS6detail17trampoline_kernelINS0_14default_configENS1_27scan_by_key_config_selectorIiiEEZZNS1_16scan_by_key_implILNS1_25lookback_scan_determinismE0ELb1ES3_N6thrust23THRUST_200600_302600_NS6detail15normal_iteratorINS9_10device_ptrIiEEEENSB_INSC_IjEEEENSB_INSC_IfEEEEiNS9_4plusIvEENS9_8equal_toIvEEiEE10hipError_tPvRmT2_T3_T4_T5_mT6_T7_P12ihipStream_tbENKUlT_T0_E_clISt17integral_constantIbLb1EES13_EEDaSY_SZ_EUlSY_E_NS1_11comp_targetILNS1_3genE4ELNS1_11target_archE910ELNS1_3gpuE8ELNS1_3repE0EEENS1_30default_config_static_selectorELNS0_4arch9wavefront6targetE1EEEvT1_
	.globl	_ZN7rocprim17ROCPRIM_400000_NS6detail17trampoline_kernelINS0_14default_configENS1_27scan_by_key_config_selectorIiiEEZZNS1_16scan_by_key_implILNS1_25lookback_scan_determinismE0ELb1ES3_N6thrust23THRUST_200600_302600_NS6detail15normal_iteratorINS9_10device_ptrIiEEEENSB_INSC_IjEEEENSB_INSC_IfEEEEiNS9_4plusIvEENS9_8equal_toIvEEiEE10hipError_tPvRmT2_T3_T4_T5_mT6_T7_P12ihipStream_tbENKUlT_T0_E_clISt17integral_constantIbLb1EES13_EEDaSY_SZ_EUlSY_E_NS1_11comp_targetILNS1_3genE4ELNS1_11target_archE910ELNS1_3gpuE8ELNS1_3repE0EEENS1_30default_config_static_selectorELNS0_4arch9wavefront6targetE1EEEvT1_
	.p2align	8
	.type	_ZN7rocprim17ROCPRIM_400000_NS6detail17trampoline_kernelINS0_14default_configENS1_27scan_by_key_config_selectorIiiEEZZNS1_16scan_by_key_implILNS1_25lookback_scan_determinismE0ELb1ES3_N6thrust23THRUST_200600_302600_NS6detail15normal_iteratorINS9_10device_ptrIiEEEENSB_INSC_IjEEEENSB_INSC_IfEEEEiNS9_4plusIvEENS9_8equal_toIvEEiEE10hipError_tPvRmT2_T3_T4_T5_mT6_T7_P12ihipStream_tbENKUlT_T0_E_clISt17integral_constantIbLb1EES13_EEDaSY_SZ_EUlSY_E_NS1_11comp_targetILNS1_3genE4ELNS1_11target_archE910ELNS1_3gpuE8ELNS1_3repE0EEENS1_30default_config_static_selectorELNS0_4arch9wavefront6targetE1EEEvT1_,@function
_ZN7rocprim17ROCPRIM_400000_NS6detail17trampoline_kernelINS0_14default_configENS1_27scan_by_key_config_selectorIiiEEZZNS1_16scan_by_key_implILNS1_25lookback_scan_determinismE0ELb1ES3_N6thrust23THRUST_200600_302600_NS6detail15normal_iteratorINS9_10device_ptrIiEEEENSB_INSC_IjEEEENSB_INSC_IfEEEEiNS9_4plusIvEENS9_8equal_toIvEEiEE10hipError_tPvRmT2_T3_T4_T5_mT6_T7_P12ihipStream_tbENKUlT_T0_E_clISt17integral_constantIbLb1EES13_EEDaSY_SZ_EUlSY_E_NS1_11comp_targetILNS1_3genE4ELNS1_11target_archE910ELNS1_3gpuE8ELNS1_3repE0EEENS1_30default_config_static_selectorELNS0_4arch9wavefront6targetE1EEEvT1_: ; @_ZN7rocprim17ROCPRIM_400000_NS6detail17trampoline_kernelINS0_14default_configENS1_27scan_by_key_config_selectorIiiEEZZNS1_16scan_by_key_implILNS1_25lookback_scan_determinismE0ELb1ES3_N6thrust23THRUST_200600_302600_NS6detail15normal_iteratorINS9_10device_ptrIiEEEENSB_INSC_IjEEEENSB_INSC_IfEEEEiNS9_4plusIvEENS9_8equal_toIvEEiEE10hipError_tPvRmT2_T3_T4_T5_mT6_T7_P12ihipStream_tbENKUlT_T0_E_clISt17integral_constantIbLb1EES13_EEDaSY_SZ_EUlSY_E_NS1_11comp_targetILNS1_3genE4ELNS1_11target_archE910ELNS1_3gpuE8ELNS1_3repE0EEENS1_30default_config_static_selectorELNS0_4arch9wavefront6targetE1EEEvT1_
; %bb.0:
	s_load_dword s54, s[4:5], 0x20
	s_load_dwordx4 s[44:47], s[4:5], 0x28
	s_load_dwordx2 s[52:53], s[4:5], 0x38
	v_cmp_eq_u32_e64 s[0:1], 0, v0
	s_and_saveexec_b64 s[2:3], s[0:1]
	s_cbranch_execz .LBB1728_4
; %bb.1:
	s_mov_b64 s[8:9], exec
	v_mbcnt_lo_u32_b32 v1, s8, 0
	v_mbcnt_hi_u32_b32 v1, s9, v1
	v_cmp_eq_u32_e32 vcc, 0, v1
                                        ; implicit-def: $vgpr2
	s_and_saveexec_b64 s[6:7], vcc
	s_cbranch_execz .LBB1728_3
; %bb.2:
	s_load_dwordx2 s[10:11], s[4:5], 0x68
	s_bcnt1_i32_b64 s8, s[8:9]
	v_mov_b32_e32 v2, 0
	v_mov_b32_e32 v3, s8
	s_waitcnt lgkmcnt(0)
	global_atomic_add v2, v2, v3, s[10:11] glc
.LBB1728_3:
	s_or_b64 exec, exec, s[6:7]
	s_waitcnt vmcnt(0)
	v_readfirstlane_b32 s6, v2
	v_add_u32_e32 v1, s6, v1
	v_mov_b32_e32 v2, 0
	ds_write_b32 v2, v1
.LBB1728_4:
	s_or_b64 exec, exec, s[2:3]
	s_load_dwordx8 s[36:43], s[4:5], 0x0
	s_load_dword s2, s[4:5], 0x40
	s_load_dwordx4 s[48:51], s[4:5], 0x48
	v_mov_b32_e32 v3, 0
	s_waitcnt lgkmcnt(0)
	s_lshl_b64 s[34:35], s[38:39], 2
	s_barrier
	ds_read_b32 v4, v3
	s_add_u32 s3, s36, s34
	s_addc_u32 s4, s37, s35
	s_add_u32 s5, s40, s34
	s_mul_i32 s7, s53, s2
	s_mul_hi_u32 s8, s52, s2
	s_addc_u32 s6, s41, s35
	s_add_i32 s7, s8, s7
	s_movk_i32 s8, 0xe00
	s_waitcnt lgkmcnt(0)
	v_mul_lo_u32 v2, v4, s8
	v_lshlrev_b64 v[38:39], 2, v[2:3]
	v_mov_b32_e32 v1, s4
	v_add_co_u32_e32 v42, vcc, s3, v38
	v_addc_co_u32_e32 v43, vcc, v1, v39, vcc
	v_mov_b32_e32 v2, s6
	v_add_co_u32_e32 v1, vcc, s5, v38
	s_mul_i32 s2, s52, s2
	v_addc_co_u32_e32 v48, vcc, v2, v39, vcc
	v_mov_b32_e32 v3, s7
	v_add_co_u32_e32 v2, vcc, s2, v4
	s_add_u32 s4, s48, -1
	v_addc_co_u32_e32 v3, vcc, 0, v3, vcc
	s_addc_u32 s5, s49, -1
	v_cmp_le_u64_e64 s[2:3], s[4:5], v[2:3]
	v_readfirstlane_b32 s47, v4
	s_mov_b64 s[12:13], -1
	s_and_b64 vcc, exec, s[2:3]
	s_mul_i32 s33, s4, 0xfffff200
	s_barrier
	s_barrier
	s_cbranch_vccz .LBB1728_80
; %bb.5:
	flat_load_dword v13, v[42:43]
	s_add_i32 s40, s33, s46
	v_cmp_gt_u32_e32 vcc, s40, v0
	s_waitcnt vmcnt(0) lgkmcnt(0)
	v_mov_b32_e32 v14, v13
	s_and_saveexec_b64 s[6:7], vcc
	s_cbranch_execz .LBB1728_7
; %bb.6:
	v_lshlrev_b32_e32 v2, 2, v0
	v_add_co_u32_e64 v2, s[4:5], v42, v2
	v_addc_co_u32_e64 v3, s[4:5], 0, v43, s[4:5]
	flat_load_dword v14, v[2:3]
.LBB1728_7:
	s_or_b64 exec, exec, s[6:7]
	v_or_b32_e32 v2, 0x100, v0
	v_cmp_gt_u32_e64 s[4:5], s40, v2
	v_mov_b32_e32 v15, v13
	s_and_saveexec_b64 s[8:9], s[4:5]
	s_cbranch_execz .LBB1728_9
; %bb.8:
	v_lshlrev_b32_e32 v2, 2, v0
	v_add_co_u32_e64 v2, s[6:7], v42, v2
	v_addc_co_u32_e64 v3, s[6:7], 0, v43, s[6:7]
	flat_load_dword v15, v[2:3] offset:1024
.LBB1728_9:
	s_or_b64 exec, exec, s[8:9]
	v_or_b32_e32 v2, 0x200, v0
	v_cmp_gt_u32_e64 s[6:7], s40, v2
	v_mov_b32_e32 v16, v13
	s_and_saveexec_b64 s[10:11], s[6:7]
	s_cbranch_execz .LBB1728_11
; %bb.10:
	v_lshlrev_b32_e32 v2, 2, v0
	v_add_co_u32_e64 v2, s[8:9], v42, v2
	v_addc_co_u32_e64 v3, s[8:9], 0, v43, s[8:9]
	flat_load_dword v16, v[2:3] offset:2048
.LBB1728_11:
	s_or_b64 exec, exec, s[10:11]
	v_or_b32_e32 v2, 0x300, v0
	v_cmp_gt_u32_e64 s[8:9], s40, v2
	v_mov_b32_e32 v17, v13
	s_and_saveexec_b64 s[12:13], s[8:9]
	s_cbranch_execz .LBB1728_13
; %bb.12:
	v_lshlrev_b32_e32 v2, 2, v0
	v_add_co_u32_e64 v2, s[10:11], v42, v2
	v_addc_co_u32_e64 v3, s[10:11], 0, v43, s[10:11]
	flat_load_dword v17, v[2:3] offset:3072
.LBB1728_13:
	s_or_b64 exec, exec, s[12:13]
	v_or_b32_e32 v2, 0x400, v0
	v_cmp_gt_u32_e64 s[10:11], s40, v2
	v_mov_b32_e32 v18, v13
	s_and_saveexec_b64 s[14:15], s[10:11]
	s_cbranch_execz .LBB1728_15
; %bb.14:
	v_lshlrev_b32_e32 v3, 2, v2
	v_add_co_u32_e64 v4, s[12:13], v42, v3
	v_addc_co_u32_e64 v5, s[12:13], 0, v43, s[12:13]
	flat_load_dword v18, v[4:5]
.LBB1728_15:
	s_or_b64 exec, exec, s[14:15]
	v_or_b32_e32 v3, 0x500, v0
	v_cmp_gt_u32_e64 s[12:13], s40, v3
	v_mov_b32_e32 v19, v13
	s_and_saveexec_b64 s[16:17], s[12:13]
	s_cbranch_execz .LBB1728_17
; %bb.16:
	v_lshlrev_b32_e32 v4, 2, v3
	v_add_co_u32_e64 v4, s[14:15], v42, v4
	v_addc_co_u32_e64 v5, s[14:15], 0, v43, s[14:15]
	flat_load_dword v19, v[4:5]
.LBB1728_17:
	;; [unrolled: 12-line block ×9, first 2 shown]
	s_or_b64 exec, exec, s[30:31]
	v_or_b32_e32 v11, 0xd00, v0
	v_cmp_gt_u32_e64 s[28:29], s40, v11
	s_and_saveexec_b64 s[36:37], s[28:29]
	s_cbranch_execz .LBB1728_33
; %bb.32:
	v_lshlrev_b32_e32 v12, 2, v11
	v_add_co_u32_e64 v12, s[30:31], v42, v12
	v_addc_co_u32_e64 v13, s[30:31], 0, v43, s[30:31]
	flat_load_dword v13, v[12:13]
.LBB1728_33:
	s_or_b64 exec, exec, s[36:37]
	v_lshlrev_b32_e32 v12, 2, v0
	s_waitcnt vmcnt(0) lgkmcnt(0)
	ds_write2st64_b32 v12, v14, v15 offset1:4
	ds_write2st64_b32 v12, v16, v17 offset0:8 offset1:12
	ds_write2st64_b32 v12, v18, v19 offset0:16 offset1:20
	;; [unrolled: 1-line block ×6, first 2 shown]
	s_waitcnt lgkmcnt(0)
	s_barrier
	flat_load_dword v49, v[42:43]
	v_mad_u32_u24 v50, v0, 52, v12
	s_movk_i32 s30, 0xffcc
	ds_read2_b64 v[34:37], v50 offset1:1
	ds_read2_b64 v[30:33], v50 offset0:2 offset1:3
	ds_read2_b64 v[26:29], v50 offset0:4 offset1:5
	ds_read_b64 v[44:45], v50 offset:48
	v_mad_i32_i24 v13, v0, s30, v50
	s_movk_i32 s30, 0xff
	v_cmp_ne_u32_e64 s[30:31], s30, v0
	s_waitcnt lgkmcnt(0)
	ds_write_b32 v13, v34 offset:15360
	s_waitcnt lgkmcnt(0)
	s_barrier
	s_and_saveexec_b64 s[36:37], s[30:31]
	s_cbranch_execz .LBB1728_35
; %bb.34:
	s_waitcnt vmcnt(0)
	ds_read_b32 v49, v12 offset:15364
.LBB1728_35:
	s_or_b64 exec, exec, s[36:37]
	s_waitcnt lgkmcnt(0)
	s_barrier
	s_waitcnt lgkmcnt(0)
                                        ; implicit-def: $vgpr13
	s_and_saveexec_b64 s[30:31], vcc
	s_cbranch_execz .LBB1728_121
; %bb.36:
	v_add_co_u32_e32 v14, vcc, v1, v12
	v_addc_co_u32_e32 v15, vcc, 0, v48, vcc
	flat_load_dword v13, v[14:15]
	s_or_b64 exec, exec, s[30:31]
                                        ; implicit-def: $vgpr14
	s_and_saveexec_b64 s[30:31], s[4:5]
	s_cbranch_execnz .LBB1728_122
.LBB1728_37:
	s_or_b64 exec, exec, s[30:31]
                                        ; implicit-def: $vgpr15
	s_and_saveexec_b64 s[4:5], s[6:7]
	s_cbranch_execz .LBB1728_123
.LBB1728_38:
	v_add_co_u32_e32 v16, vcc, v1, v12
	v_addc_co_u32_e32 v17, vcc, 0, v48, vcc
	flat_load_dword v15, v[16:17] offset:2048
	s_or_b64 exec, exec, s[4:5]
                                        ; implicit-def: $vgpr16
	s_and_saveexec_b64 s[4:5], s[8:9]
	s_cbranch_execnz .LBB1728_124
.LBB1728_39:
	s_or_b64 exec, exec, s[4:5]
                                        ; implicit-def: $vgpr17
	s_and_saveexec_b64 s[4:5], s[10:11]
	s_cbranch_execz .LBB1728_125
.LBB1728_40:
	v_lshlrev_b32_e32 v2, 2, v2
	v_add_co_u32_e32 v18, vcc, v1, v2
	v_addc_co_u32_e32 v19, vcc, 0, v48, vcc
	flat_load_dword v17, v[18:19]
	s_or_b64 exec, exec, s[4:5]
                                        ; implicit-def: $vgpr2
	s_and_saveexec_b64 s[4:5], s[12:13]
	s_cbranch_execnz .LBB1728_126
.LBB1728_41:
	s_or_b64 exec, exec, s[4:5]
                                        ; implicit-def: $vgpr3
	s_and_saveexec_b64 s[4:5], s[14:15]
	s_cbranch_execz .LBB1728_127
.LBB1728_42:
	v_lshlrev_b32_e32 v3, 2, v4
	v_add_co_u32_e32 v18, vcc, v1, v3
	v_addc_co_u32_e32 v19, vcc, 0, v48, vcc
	flat_load_dword v3, v[18:19]
	s_or_b64 exec, exec, s[4:5]
                                        ; implicit-def: $vgpr4
	s_and_saveexec_b64 s[4:5], s[16:17]
	s_cbranch_execnz .LBB1728_128
.LBB1728_43:
	s_or_b64 exec, exec, s[4:5]
                                        ; implicit-def: $vgpr5
	s_and_saveexec_b64 s[4:5], s[18:19]
	s_cbranch_execz .LBB1728_129
.LBB1728_44:
	v_lshlrev_b32_e32 v5, 2, v6
	v_add_co_u32_e32 v18, vcc, v1, v5
	v_addc_co_u32_e32 v19, vcc, 0, v48, vcc
	flat_load_dword v5, v[18:19]
	s_or_b64 exec, exec, s[4:5]
                                        ; implicit-def: $vgpr6
	s_and_saveexec_b64 s[4:5], s[20:21]
	s_cbranch_execnz .LBB1728_130
.LBB1728_45:
	s_or_b64 exec, exec, s[4:5]
                                        ; implicit-def: $vgpr7
	s_and_saveexec_b64 s[4:5], s[22:23]
	s_cbranch_execz .LBB1728_131
.LBB1728_46:
	v_lshlrev_b32_e32 v7, 2, v8
	v_add_co_u32_e32 v18, vcc, v1, v7
	v_addc_co_u32_e32 v19, vcc, 0, v48, vcc
	flat_load_dword v7, v[18:19]
	s_or_b64 exec, exec, s[4:5]
                                        ; implicit-def: $vgpr8
	s_and_saveexec_b64 s[4:5], s[24:25]
	s_cbranch_execnz .LBB1728_132
.LBB1728_47:
	s_or_b64 exec, exec, s[4:5]
                                        ; implicit-def: $vgpr9
	s_and_saveexec_b64 s[4:5], s[26:27]
	s_cbranch_execz .LBB1728_49
.LBB1728_48:
	v_lshlrev_b32_e32 v9, 2, v10
	v_add_co_u32_e32 v18, vcc, v1, v9
	v_addc_co_u32_e32 v19, vcc, 0, v48, vcc
	flat_load_dword v9, v[18:19]
.LBB1728_49:
	s_or_b64 exec, exec, s[4:5]
	v_mul_u32_u24_e32 v51, 14, v0
                                        ; implicit-def: $vgpr10
	s_and_saveexec_b64 s[4:5], s[28:29]
	s_cbranch_execz .LBB1728_51
; %bb.50:
	v_lshlrev_b32_e32 v10, 2, v11
	v_add_co_u32_e32 v10, vcc, v1, v10
	v_addc_co_u32_e32 v11, vcc, 0, v48, vcc
	flat_load_dword v10, v[10:11]
.LBB1728_51:
	s_or_b64 exec, exec, s[4:5]
	s_mov_b32 s4, 0
	s_mov_b32 s5, s4
	s_waitcnt vmcnt(0) lgkmcnt(0)
	ds_write2st64_b32 v12, v13, v14 offset1:4
	ds_write2st64_b32 v12, v15, v16 offset0:8 offset1:12
	ds_write2st64_b32 v12, v17, v2 offset0:16 offset1:20
	;; [unrolled: 1-line block ×6, first 2 shown]
	s_mov_b32 s6, s4
	s_mov_b32 s7, s4
	;; [unrolled: 1-line block ×6, first 2 shown]
	v_pk_mov_b32 v[2:3], s[4:5], s[4:5] op_sel:[0,1]
	v_pk_mov_b32 v[8:9], s[10:11], s[10:11] op_sel:[0,1]
	;; [unrolled: 1-line block ×6, first 2 shown]
	v_cmp_gt_u32_e32 vcc, s40, v51
	s_mov_b64 s[12:13], 0
	v_pk_mov_b32 v[40:41], 0, 0
	s_mov_b64 s[18:19], 0
	v_pk_mov_b32 v[14:15], v[6:7], v[6:7] op_sel:[0,1]
	v_pk_mov_b32 v[12:13], v[4:5], v[4:5] op_sel:[0,1]
	v_pk_mov_b32 v[10:11], v[2:3], v[2:3] op_sel:[0,1]
	v_pk_mov_b32 v[22:23], v[6:7], v[6:7] op_sel:[0,1]
	v_pk_mov_b32 v[20:21], v[4:5], v[4:5] op_sel:[0,1]
	v_pk_mov_b32 v[18:19], v[2:3], v[2:3] op_sel:[0,1]
	s_waitcnt lgkmcnt(0)
	s_barrier
	s_waitcnt lgkmcnt(0)
                                        ; implicit-def: $sgpr16_sgpr17
                                        ; implicit-def: $vgpr46
	s_and_saveexec_b64 s[14:15], vcc
	s_cbranch_execz .LBB1728_79
; %bb.52:
	ds_read_b32 v2, v50
	v_mov_b32_e32 v4, s54
	v_cmp_eq_u32_e32 vcc, v34, v35
	v_or_b32_e32 v3, 1, v51
                                        ; implicit-def: $vgpr46
	s_waitcnt lgkmcnt(0)
	v_cndmask_b32_e32 v40, v4, v2, vcc
	v_cmp_ne_u32_e32 vcc, v34, v35
	v_cndmask_b32_e64 v41, 0, 1, vcc
	v_cmp_gt_u32_e32 vcc, s40, v3
	v_pk_mov_b32 v[2:3], s[4:5], s[4:5] op_sel:[0,1]
	v_pk_mov_b32 v[8:9], s[10:11], s[10:11] op_sel:[0,1]
	;; [unrolled: 1-line block ×12, first 2 shown]
                                        ; implicit-def: $sgpr4_sgpr5
	s_and_saveexec_b64 s[16:17], vcc
	s_cbranch_execz .LBB1728_78
; %bb.53:
	ds_read2_b32 v[46:47], v50 offset0:1 offset1:2
	s_mov_b32 s4, 0
	v_mov_b32_e32 v3, s54
	v_cmp_eq_u32_e32 vcc, v35, v36
	s_mov_b32 s10, s4
	s_mov_b32 s11, s4
	v_add_u32_e32 v2, 2, v51
	s_waitcnt lgkmcnt(0)
	v_cndmask_b32_e32 v8, v3, v46, vcc
	v_cmp_ne_u32_e32 vcc, v35, v36
	s_mov_b32 s5, s4
	s_mov_b32 s6, s4
	;; [unrolled: 1-line block ×5, first 2 shown]
	v_pk_mov_b32 v[16:17], s[10:11], s[10:11] op_sel:[0,1]
	v_cndmask_b32_e64 v9, 0, 1, vcc
	v_cmp_gt_u32_e32 vcc, s40, v2
	v_mov_b32_e32 v2, 0
	v_pk_mov_b32 v[14:15], s[8:9], s[8:9] op_sel:[0,1]
	v_pk_mov_b32 v[12:13], s[6:7], s[6:7] op_sel:[0,1]
	;; [unrolled: 1-line block ×4, first 2 shown]
	v_mov_b32_e32 v3, v2
	v_mov_b32_e32 v4, v2
	v_mov_b32_e32 v5, v2
	v_mov_b32_e32 v6, v2
	v_mov_b32_e32 v7, v2
	s_mov_b64 s[20:21], 0
	v_pk_mov_b32 v[22:23], v[14:15], v[14:15] op_sel:[0,1]
	v_pk_mov_b32 v[20:21], v[12:13], v[12:13] op_sel:[0,1]
	;; [unrolled: 1-line block ×3, first 2 shown]
                                        ; implicit-def: $sgpr24_sgpr25
                                        ; implicit-def: $vgpr46
	s_and_saveexec_b64 s[18:19], vcc
	s_cbranch_execz .LBB1728_77
; %bb.54:
	v_mov_b32_e32 v4, s54
	v_cmp_eq_u32_e32 vcc, v36, v37
	v_pk_mov_b32 v[16:17], s[10:11], s[10:11] op_sel:[0,1]
	v_add_u32_e32 v3, 3, v51
	v_cndmask_b32_e32 v6, v4, v47, vcc
	v_cmp_ne_u32_e32 vcc, v36, v37
	v_pk_mov_b32 v[14:15], s[8:9], s[8:9] op_sel:[0,1]
	v_pk_mov_b32 v[12:13], s[6:7], s[6:7] op_sel:[0,1]
	;; [unrolled: 1-line block ×4, first 2 shown]
	v_cndmask_b32_e64 v7, 0, 1, vcc
	v_cmp_gt_u32_e32 vcc, s40, v3
	v_mov_b32_e32 v3, v2
	v_mov_b32_e32 v4, v2
	;; [unrolled: 1-line block ×3, first 2 shown]
	s_mov_b64 s[22:23], 0
	v_pk_mov_b32 v[22:23], v[14:15], v[14:15] op_sel:[0,1]
	v_pk_mov_b32 v[20:21], v[12:13], v[12:13] op_sel:[0,1]
	;; [unrolled: 1-line block ×3, first 2 shown]
                                        ; implicit-def: $sgpr4_sgpr5
                                        ; implicit-def: $vgpr46
	s_and_saveexec_b64 s[20:21], vcc
	s_cbranch_execz .LBB1728_76
; %bb.55:
	ds_read2_b32 v[34:35], v50 offset0:3 offset1:4
	s_mov_b32 s4, 0
	s_mov_b32 s10, s4
	;; [unrolled: 1-line block ×3, first 2 shown]
	v_mov_b32_e32 v3, s54
	v_cmp_eq_u32_e32 vcc, v37, v30
	s_mov_b32 s5, s4
	s_mov_b32 s6, s4
	;; [unrolled: 1-line block ×5, first 2 shown]
	v_pk_mov_b32 v[16:17], s[10:11], s[10:11] op_sel:[0,1]
	v_add_u32_e32 v2, 4, v51
	s_waitcnt lgkmcnt(0)
	v_cndmask_b32_e32 v4, v3, v34, vcc
	v_cmp_ne_u32_e32 vcc, v37, v30
	v_pk_mov_b32 v[14:15], s[8:9], s[8:9] op_sel:[0,1]
	v_pk_mov_b32 v[12:13], s[6:7], s[6:7] op_sel:[0,1]
	v_pk_mov_b32 v[10:11], s[4:5], s[4:5] op_sel:[0,1]
	v_pk_mov_b32 v[24:25], v[16:17], v[16:17] op_sel:[0,1]
	v_cndmask_b32_e64 v5, 0, 1, vcc
	v_cmp_gt_u32_e32 vcc, s40, v2
	v_mov_b32_e32 v2, s4
	v_mov_b32_e32 v3, s4
	s_mov_b64 s[24:25], 0
	v_pk_mov_b32 v[22:23], v[14:15], v[14:15] op_sel:[0,1]
	v_pk_mov_b32 v[20:21], v[12:13], v[12:13] op_sel:[0,1]
	;; [unrolled: 1-line block ×3, first 2 shown]
                                        ; implicit-def: $sgpr26_sgpr27
                                        ; implicit-def: $vgpr46
	s_and_saveexec_b64 s[22:23], vcc
	s_cbranch_execz .LBB1728_75
; %bb.56:
	v_mov_b32_e32 v2, s54
	v_cmp_eq_u32_e32 vcc, v30, v31
	v_add_u32_e32 v10, 5, v51
	v_cndmask_b32_e32 v2, v2, v35, vcc
	v_cmp_ne_u32_e32 vcc, v30, v31
	v_cndmask_b32_e64 v3, 0, 1, vcc
	v_cmp_gt_u32_e32 vcc, s40, v10
	v_pk_mov_b32 v[16:17], s[10:11], s[10:11] op_sel:[0,1]
	v_pk_mov_b32 v[14:15], s[8:9], s[8:9] op_sel:[0,1]
	;; [unrolled: 1-line block ×5, first 2 shown]
	s_mov_b64 s[28:29], 0
	v_pk_mov_b32 v[22:23], v[14:15], v[14:15] op_sel:[0,1]
	v_pk_mov_b32 v[20:21], v[12:13], v[12:13] op_sel:[0,1]
	v_pk_mov_b32 v[18:19], v[10:11], v[10:11] op_sel:[0,1]
                                        ; implicit-def: $sgpr4_sgpr5
                                        ; implicit-def: $vgpr46
	s_and_saveexec_b64 s[24:25], vcc
	s_cbranch_execz .LBB1728_74
; %bb.57:
	ds_read2_b32 v[34:35], v50 offset0:5 offset1:6
	v_mov_b32_e32 v11, s54
	v_cmp_eq_u32_e32 vcc, v31, v32
	s_mov_b32 s4, 0
	v_add_u32_e32 v10, 6, v51
	s_waitcnt lgkmcnt(0)
	v_cndmask_b32_e32 v16, v11, v34, vcc
	v_cmp_ne_u32_e32 vcc, v31, v32
	s_mov_b32 s10, s4
	s_mov_b32 s11, s4
	v_cndmask_b32_e64 v17, 0, 1, vcc
	v_cmp_gt_u32_e32 vcc, s40, v10
	v_mov_b32_e32 v10, 0
	s_mov_b32 s5, s4
	s_mov_b32 s6, s4
	;; [unrolled: 1-line block ×5, first 2 shown]
	v_pk_mov_b32 v[24:25], s[10:11], s[10:11] op_sel:[0,1]
	v_mov_b32_e32 v11, v10
	v_mov_b32_e32 v12, v10
	;; [unrolled: 1-line block ×5, first 2 shown]
	v_pk_mov_b32 v[22:23], s[8:9], s[8:9] op_sel:[0,1]
	v_pk_mov_b32 v[20:21], s[6:7], s[6:7] op_sel:[0,1]
	v_pk_mov_b32 v[18:19], s[4:5], s[4:5] op_sel:[0,1]
                                        ; implicit-def: $sgpr36_sgpr37
                                        ; implicit-def: $vgpr46
	s_and_saveexec_b64 s[26:27], vcc
	s_cbranch_execz .LBB1728_73
; %bb.58:
	v_mov_b32_e32 v12, s54
	v_cmp_eq_u32_e32 vcc, v32, v33
	v_add_u32_e32 v11, 7, v51
	v_cndmask_b32_e32 v14, v12, v35, vcc
	v_cmp_ne_u32_e32 vcc, v32, v33
	v_pk_mov_b32 v[24:25], s[10:11], s[10:11] op_sel:[0,1]
	v_cndmask_b32_e64 v15, 0, 1, vcc
	v_cmp_gt_u32_e32 vcc, s40, v11
	v_mov_b32_e32 v11, v10
	v_mov_b32_e32 v12, v10
	v_mov_b32_e32 v13, v10
	s_mov_b64 s[30:31], 0
	v_pk_mov_b32 v[22:23], s[8:9], s[8:9] op_sel:[0,1]
	v_pk_mov_b32 v[20:21], s[6:7], s[6:7] op_sel:[0,1]
	v_pk_mov_b32 v[18:19], s[4:5], s[4:5] op_sel:[0,1]
                                        ; implicit-def: $sgpr4_sgpr5
                                        ; implicit-def: $vgpr46
	s_and_saveexec_b64 s[28:29], vcc
	s_cbranch_execz .LBB1728_72
; %bb.59:
	ds_read2_b32 v[30:31], v50 offset0:7 offset1:8
	s_mov_b32 s4, 0
	v_mov_b32_e32 v11, s54
	v_cmp_eq_u32_e32 vcc, v33, v26
	s_mov_b32 s10, s4
	s_mov_b32 s11, s4
	v_add_u32_e32 v10, 8, v51
	s_waitcnt lgkmcnt(0)
	v_cndmask_b32_e32 v12, v11, v30, vcc
	v_cmp_ne_u32_e32 vcc, v33, v26
	s_mov_b32 s5, s4
	s_mov_b32 s6, s4
	;; [unrolled: 1-line block ×5, first 2 shown]
	v_pk_mov_b32 v[24:25], s[10:11], s[10:11] op_sel:[0,1]
	v_cndmask_b32_e64 v13, 0, 1, vcc
	v_cmp_gt_u32_e32 vcc, s40, v10
	v_mov_b32_e32 v10, s4
	v_mov_b32_e32 v11, s4
	s_mov_b64 s[36:37], 0
	v_pk_mov_b32 v[22:23], s[8:9], s[8:9] op_sel:[0,1]
	v_pk_mov_b32 v[20:21], s[6:7], s[6:7] op_sel:[0,1]
	;; [unrolled: 1-line block ×3, first 2 shown]
                                        ; implicit-def: $sgpr38_sgpr39
                                        ; implicit-def: $vgpr46
	s_and_saveexec_b64 s[30:31], vcc
	s_cbranch_execz .LBB1728_71
; %bb.60:
	v_mov_b32_e32 v10, s54
	v_cmp_eq_u32_e32 vcc, v26, v27
	v_add_u32_e32 v18, 9, v51
	v_cndmask_b32_e32 v10, v10, v31, vcc
	v_cmp_ne_u32_e32 vcc, v26, v27
	v_cndmask_b32_e64 v11, 0, 1, vcc
	v_cmp_gt_u32_e32 vcc, s40, v18
	v_pk_mov_b32 v[24:25], s[10:11], s[10:11] op_sel:[0,1]
	v_pk_mov_b32 v[22:23], s[8:9], s[8:9] op_sel:[0,1]
	;; [unrolled: 1-line block ×4, first 2 shown]
                                        ; implicit-def: $sgpr6_sgpr7
                                        ; implicit-def: $vgpr46
	s_and_saveexec_b64 s[4:5], vcc
	s_cbranch_execz .LBB1728_70
; %bb.61:
	ds_read2_b32 v[30:31], v50 offset0:9 offset1:10
	v_mov_b32_e32 v18, s54
	v_cmp_eq_u32_e32 vcc, v27, v28
	v_add_u32_e32 v20, 10, v51
	v_mov_b32_e32 v22, 0
	s_waitcnt lgkmcnt(0)
	v_cndmask_b32_e32 v18, v18, v30, vcc
	v_cmp_ne_u32_e32 vcc, v27, v28
	v_cndmask_b32_e64 v19, 0, 1, vcc
	v_cmp_gt_u32_e32 vcc, s40, v20
	v_mov_b32_e32 v20, v22
	v_mov_b32_e32 v21, v22
	;; [unrolled: 1-line block ×5, first 2 shown]
	s_mov_b64 s[8:9], 0
                                        ; implicit-def: $sgpr36_sgpr37
                                        ; implicit-def: $vgpr46
	s_and_saveexec_b64 s[6:7], vcc
	s_cbranch_execz .LBB1728_69
; %bb.62:
	v_mov_b32_e32 v20, s54
	v_cmp_eq_u32_e32 vcc, v28, v29
	v_add_u32_e32 v23, 11, v51
	v_cndmask_b32_e32 v20, v20, v31, vcc
	v_cmp_ne_u32_e32 vcc, v28, v29
	v_cndmask_b32_e64 v21, 0, 1, vcc
	v_cmp_gt_u32_e32 vcc, s40, v23
	s_mov_b32 s36, 0
	v_mov_b32_e32 v23, v22
	v_mov_b32_e32 v24, v22
	;; [unrolled: 1-line block ×3, first 2 shown]
	s_mov_b64 s[10:11], 0
                                        ; implicit-def: $sgpr38_sgpr39
                                        ; implicit-def: $vgpr46
	s_and_saveexec_b64 s[8:9], vcc
	s_cbranch_execz .LBB1728_68
; %bb.63:
	ds_read2_b32 v[26:27], v50 offset0:11 offset1:12
	v_mov_b32_e32 v22, s54
	v_cmp_eq_u32_e32 vcc, v29, v44
	v_add_u32_e32 v24, 12, v51
	v_mov_b32_e32 v25, s36
	s_waitcnt lgkmcnt(0)
	v_cndmask_b32_e32 v22, v22, v26, vcc
	v_cmp_ne_u32_e32 vcc, v29, v44
	v_cndmask_b32_e64 v23, 0, 1, vcc
	v_cmp_gt_u32_e32 vcc, s40, v24
	v_mov_b32_e32 v24, s36
	s_mov_b64 s[36:37], 0
                                        ; implicit-def: $sgpr38_sgpr39
                                        ; implicit-def: $vgpr46
	s_and_saveexec_b64 s[10:11], vcc
	s_cbranch_execz .LBB1728_67
; %bb.64:
	v_mov_b32_e32 v24, s54
	v_cmp_eq_u32_e32 vcc, v44, v45
	v_add_u32_e32 v26, 13, v51
	v_cndmask_b32_e32 v24, v24, v27, vcc
	v_cmp_ne_u32_e32 vcc, v44, v45
	v_cndmask_b32_e64 v25, 0, 1, vcc
	v_cmp_gt_u32_e32 vcc, s40, v26
                                        ; implicit-def: $sgpr38_sgpr39
                                        ; implicit-def: $vgpr46
	s_and_saveexec_b64 s[40:41], vcc
	s_xor_b64 s[40:41], exec, s[40:41]
	s_cbranch_execz .LBB1728_66
; %bb.65:
	ds_read_b32 v26, v50 offset:52
	v_mov_b32_e32 v27, s54
	v_cmp_ne_u32_e32 vcc, v45, v49
	s_mov_b64 s[36:37], exec
	s_and_b64 s[38:39], vcc, exec
	s_waitcnt lgkmcnt(0)
	v_cndmask_b32_e32 v46, v26, v27, vcc
.LBB1728_66:
	s_or_b64 exec, exec, s[40:41]
	s_and_b64 s[38:39], s[38:39], exec
	s_and_b64 s[36:37], s[36:37], exec
.LBB1728_67:
	s_or_b64 exec, exec, s[10:11]
	s_and_b64 s[38:39], s[38:39], exec
	s_and_b64 s[10:11], s[36:37], exec
.LBB1728_68:
	s_or_b64 exec, exec, s[8:9]
	s_and_b64 s[36:37], s[38:39], exec
	s_and_b64 s[8:9], s[10:11], exec
.LBB1728_69:
	s_or_b64 exec, exec, s[6:7]
	s_and_b64 s[6:7], s[36:37], exec
	s_and_b64 s[36:37], s[8:9], exec
.LBB1728_70:
	s_or_b64 exec, exec, s[4:5]
	s_and_b64 s[38:39], s[6:7], exec
	s_and_b64 s[36:37], s[36:37], exec
.LBB1728_71:
	s_or_b64 exec, exec, s[30:31]
	s_and_b64 s[4:5], s[38:39], exec
	s_and_b64 s[30:31], s[36:37], exec
.LBB1728_72:
	s_or_b64 exec, exec, s[28:29]
	s_and_b64 s[36:37], s[4:5], exec
	s_and_b64 s[28:29], s[30:31], exec
.LBB1728_73:
	s_or_b64 exec, exec, s[26:27]
	s_and_b64 s[4:5], s[36:37], exec
	s_and_b64 s[28:29], s[28:29], exec
.LBB1728_74:
	s_or_b64 exec, exec, s[24:25]
	s_and_b64 s[26:27], s[4:5], exec
	s_and_b64 s[24:25], s[28:29], exec
.LBB1728_75:
	s_or_b64 exec, exec, s[22:23]
	s_and_b64 s[4:5], s[26:27], exec
	s_and_b64 s[22:23], s[24:25], exec
.LBB1728_76:
	s_or_b64 exec, exec, s[20:21]
	s_and_b64 s[24:25], s[4:5], exec
	s_and_b64 s[20:21], s[22:23], exec
.LBB1728_77:
	s_or_b64 exec, exec, s[18:19]
	s_and_b64 s[4:5], s[24:25], exec
	s_and_b64 s[18:19], s[20:21], exec
.LBB1728_78:
	s_or_b64 exec, exec, s[16:17]
	s_and_b64 s[16:17], s[4:5], exec
	s_and_b64 s[18:19], s[18:19], exec
.LBB1728_79:
	s_or_b64 exec, exec, s[14:15]
	s_and_b64 vcc, exec, s[12:13]
	v_lshlrev_b32_e32 v52, 2, v0
	s_cbranch_vccnz .LBB1728_81
	s_branch .LBB1728_86
.LBB1728_80:
	s_mov_b64 s[18:19], 0
                                        ; implicit-def: $sgpr16_sgpr17
                                        ; implicit-def: $vgpr2_vgpr3_vgpr4_vgpr5_vgpr6_vgpr7_vgpr8_vgpr9
                                        ; implicit-def: $vgpr10_vgpr11_vgpr12_vgpr13_vgpr14_vgpr15_vgpr16_vgpr17
                                        ; implicit-def: $vgpr18_vgpr19_vgpr20_vgpr21_vgpr22_vgpr23_vgpr24_vgpr25
                                        ; implicit-def: $vgpr46
                                        ; implicit-def: $vgpr40_vgpr41
	s_and_b64 vcc, exec, s[12:13]
	v_lshlrev_b32_e32 v52, 2, v0
	s_cbranch_vccz .LBB1728_86
.LBB1728_81:
	v_add_co_u32_e32 v2, vcc, v42, v52
	v_addc_co_u32_e32 v3, vcc, 0, v43, vcc
	v_add_co_u32_e32 v4, vcc, 0x1000, v2
	v_addc_co_u32_e32 v5, vcc, 0, v3, vcc
	flat_load_dword v6, v[2:3]
	flat_load_dword v7, v[2:3] offset:1024
	flat_load_dword v8, v[2:3] offset:2048
	;; [unrolled: 1-line block ×3, first 2 shown]
	flat_load_dword v10, v[4:5]
	flat_load_dword v11, v[4:5] offset:1024
	flat_load_dword v12, v[4:5] offset:2048
	;; [unrolled: 1-line block ×3, first 2 shown]
	v_add_co_u32_e32 v4, vcc, 0x2000, v2
	v_addc_co_u32_e32 v5, vcc, 0, v3, vcc
	v_add_co_u32_e32 v2, vcc, 0x3000, v2
	v_addc_co_u32_e32 v3, vcc, 0, v3, vcc
	flat_load_dword v14, v[4:5]
	flat_load_dword v15, v[4:5] offset:1024
	flat_load_dword v16, v[4:5] offset:2048
	;; [unrolled: 1-line block ×3, first 2 shown]
	flat_load_dword v18, v[2:3]
	flat_load_dword v19, v[2:3] offset:1024
	v_add_co_u32_e32 v2, vcc, 0x3000, v42
	v_addc_co_u32_e32 v3, vcc, 0, v43, vcc
	s_movk_i32 s6, 0xffcc
	s_movk_i32 s9, 0x1000
	s_mov_b32 s4, 0
	s_movk_i32 s8, 0x2000
	s_movk_i32 s5, 0x3000
	s_waitcnt vmcnt(0) lgkmcnt(0)
	ds_write2st64_b32 v52, v6, v7 offset1:4
	ds_write2st64_b32 v52, v8, v9 offset0:8 offset1:12
	ds_write2st64_b32 v52, v10, v11 offset0:16 offset1:20
	;; [unrolled: 1-line block ×6, first 2 shown]
	s_waitcnt lgkmcnt(0)
	s_barrier
	flat_load_dword v34, v[2:3] offset:2048
	v_mad_u32_u24 v6, v0, 52, v52
	v_mad_i32_i24 v2, v0, s6, v6
	s_movk_i32 s6, 0xff
	v_cmp_ne_u32_e32 vcc, s6, v0
	ds_read2_b32 v[26:27], v6 offset1:13
	ds_read2_b32 v[18:19], v6 offset0:7 offset1:8
	ds_read2_b32 v[20:21], v6 offset0:5 offset1:6
	ds_read2_b32 v[10:11], v6 offset0:3 offset1:4
	ds_read2_b32 v[12:13], v6 offset0:1 offset1:2
	ds_read2_b32 v[30:31], v6 offset0:11 offset1:12
	ds_read2_b32 v[28:29], v6 offset0:9 offset1:10
	s_waitcnt lgkmcnt(0)
	ds_write_b32 v2, v26 offset:15360
	s_waitcnt lgkmcnt(0)
	s_barrier
	s_and_saveexec_b64 s[6:7], vcc
	s_cbranch_execz .LBB1728_83
; %bb.82:
	s_waitcnt vmcnt(0)
	ds_read_b32 v34, v52 offset:15364
.LBB1728_83:
	s_or_b64 exec, exec, s[6:7]
	v_add_co_u32_e32 v2, vcc, v1, v52
	v_addc_co_u32_e32 v3, vcc, 0, v48, vcc
	v_add_co_u32_e32 v4, vcc, s9, v2
	v_addc_co_u32_e32 v5, vcc, 0, v3, vcc
	s_waitcnt lgkmcnt(0)
	s_barrier
	flat_load_dword v1, v[2:3]
	flat_load_dword v7, v[2:3] offset:1024
	flat_load_dword v8, v[2:3] offset:2048
	;; [unrolled: 1-line block ×3, first 2 shown]
	flat_load_dword v14, v[4:5]
	flat_load_dword v15, v[4:5] offset:1024
	flat_load_dword v16, v[4:5] offset:2048
	;; [unrolled: 1-line block ×3, first 2 shown]
	v_add_co_u32_e32 v4, vcc, s8, v2
	v_addc_co_u32_e32 v5, vcc, 0, v3, vcc
	v_add_co_u32_e32 v2, vcc, s5, v2
	v_addc_co_u32_e32 v3, vcc, 0, v3, vcc
	flat_load_dword v22, v[4:5]
	flat_load_dword v23, v[4:5] offset:1024
	flat_load_dword v24, v[4:5] offset:2048
	;; [unrolled: 1-line block ×3, first 2 shown]
	flat_load_dword v32, v[2:3]
	flat_load_dword v33, v[2:3] offset:1024
	s_mov_b32 s5, 1
	v_cmp_eq_u32_e32 vcc, v26, v12
	v_pk_mov_b32 v[40:41], s[4:5], s[4:5] op_sel:[0,1]
	s_waitcnt vmcnt(0) lgkmcnt(0)
	ds_write2st64_b32 v52, v1, v7 offset1:4
	ds_write2st64_b32 v52, v8, v9 offset0:8 offset1:12
	ds_write2st64_b32 v52, v14, v15 offset0:16 offset1:20
	;; [unrolled: 1-line block ×6, first 2 shown]
	s_waitcnt lgkmcnt(0)
	s_barrier
	ds_read2_b32 v[24:25], v6 offset0:7 offset1:8
	ds_read2_b32 v[14:15], v6 offset0:5 offset1:6
	;; [unrolled: 1-line block ×4, first 2 shown]
	ds_read_b32 v1, v6 offset:52
	ds_read2_b32 v[22:23], v6 offset0:11 offset1:12
	ds_read2_b32 v[32:33], v6 offset0:9 offset1:10
	v_mov_b32_e32 v7, s54
	s_and_saveexec_b64 s[4:5], vcc
	s_cbranch_execz .LBB1728_85
; %bb.84:
	ds_read_b32 v7, v6
	v_pk_mov_b32 v[40:41], 0, 0
.LBB1728_85:
	s_or_b64 exec, exec, s[4:5]
	v_mov_b32_e32 v26, s54
	v_cmp_eq_u32_e32 vcc, v12, v13
	s_waitcnt lgkmcnt(3)
	v_cndmask_b32_e32 v8, v26, v4, vcc
	v_cmp_eq_u32_e32 vcc, v13, v10
	v_cndmask_b32_e32 v6, v26, v5, vcc
	v_cmp_eq_u32_e32 vcc, v10, v11
	;; [unrolled: 2-line block ×3, first 2 shown]
	v_cndmask_b32_e32 v2, v26, v3, vcc
	v_cmp_ne_u32_e32 vcc, v12, v13
	v_cndmask_b32_e64 v9, 0, 1, vcc
	v_cmp_ne_u32_e32 vcc, v13, v10
	s_waitcnt lgkmcnt(0)
	v_or_b32_e32 v40, v40, v7
	v_cndmask_b32_e64 v7, 0, 1, vcc
	v_cmp_ne_u32_e32 vcc, v10, v11
	v_cndmask_b32_e64 v5, 0, 1, vcc
	v_cmp_ne_u32_e32 vcc, v11, v20
	v_cndmask_b32_e64 v3, 0, 1, vcc
	v_cmp_eq_u32_e32 vcc, v20, v21
	v_cndmask_b32_e32 v16, v26, v14, vcc
	v_cmp_eq_u32_e32 vcc, v21, v18
	v_cndmask_b32_e32 v14, v26, v15, vcc
	;; [unrolled: 2-line block ×4, first 2 shown]
	v_cmp_ne_u32_e32 vcc, v20, v21
	v_cndmask_b32_e64 v17, 0, 1, vcc
	v_cmp_ne_u32_e32 vcc, v21, v18
	v_cndmask_b32_e64 v15, 0, 1, vcc
	;; [unrolled: 2-line block ×4, first 2 shown]
	v_cmp_eq_u32_e32 vcc, v31, v27
	v_cndmask_b32_e32 v24, v26, v23, vcc
	v_cmp_eq_u32_e32 vcc, v30, v31
	v_cndmask_b32_e32 v22, v26, v22, vcc
	;; [unrolled: 2-line block ×4, first 2 shown]
	v_cmp_ne_u32_e32 vcc, v31, v27
	v_cndmask_b32_e64 v25, 0, 1, vcc
	v_cmp_ne_u32_e32 vcc, v30, v31
	v_cndmask_b32_e64 v23, 0, 1, vcc
	;; [unrolled: 2-line block ×3, first 2 shown]
	v_cmp_ne_u32_e32 vcc, v28, v29
	v_cmp_ne_u32_e64 s[16:17], v27, v34
	v_cndmask_b32_e64 v19, 0, 1, vcc
	v_cndmask_b32_e64 v46, v1, v26, s[16:17]
	s_mov_b64 s[18:19], -1
                                        ; implicit-def: $sgpr12_sgpr13
.LBB1728_86:
	v_pk_mov_b32 v[42:43], s[12:13], s[12:13] op_sel:[0,1]
	s_and_saveexec_b64 s[4:5], s[18:19]
; %bb.87:
	v_cndmask_b32_e64 v47, 0, 1, s[16:17]
	v_pk_mov_b32 v[42:43], v[46:47], v[46:47] op_sel:[0,1]
; %bb.88:
	s_or_b64 exec, exec, s[4:5]
	s_mov_b32 s28, 0
	s_cmp_lg_u32 s47, 0
	v_mbcnt_lo_u32_b32 v54, -1, 0
	v_lshrrev_b32_e32 v1, 6, v0
	v_or_b32_e32 v53, 63, v0
	s_barrier
	s_cbranch_scc0 .LBB1728_133
; %bb.89:
	s_mov_b32 s29, 1
	v_cmp_gt_u64_e64 s[4:5], s[28:29], v[8:9]
	v_cndmask_b32_e64 v27, 0, v40, s[4:5]
	v_add_u32_e32 v27, v27, v8
	v_cmp_gt_u64_e64 s[6:7], s[28:29], v[6:7]
	v_cndmask_b32_e64 v27, 0, v27, s[6:7]
	v_add_u32_e32 v27, v27, v6
	;; [unrolled: 3-line block ×12, first 2 shown]
	v_cmp_gt_u64_e32 vcc, s[28:29], v[42:43]
	v_cndmask_b32_e32 v27, 0, v27, vcc
	v_add_u32_e32 v28, v27, v42
	v_or3_b32 v27, v43, v25, v23
	v_or3_b32 v27, v27, v21, v19
	;; [unrolled: 1-line block ×6, first 2 shown]
	v_mov_b32_e32 v26, 0
	v_and_b32_e32 v27, 1, v27
	v_cmp_eq_u64_e32 vcc, 0, v[26:27]
	v_cndmask_b32_e32 v27, 1, v41, vcc
	v_and_b32_e32 v29, 0xff, v27
	v_mov_b32_dpp v31, v28 row_shr:1 row_mask:0xf bank_mask:0xf
	v_cmp_eq_u16_e32 vcc, 0, v29
	v_mov_b32_dpp v32, v29 row_shr:1 row_mask:0xf bank_mask:0xf
	v_and_b32_e32 v33, 1, v27
	v_mbcnt_hi_u32_b32 v48, -1, v54
	v_cndmask_b32_e32 v31, 0, v31, vcc
	v_and_b32_e32 v32, 1, v32
	v_cmp_eq_u32_e32 vcc, 1, v33
	v_and_b32_e32 v30, 15, v48
	v_cndmask_b32_e64 v32, v32, 1, vcc
	v_and_b32_e32 v33, 0xffff, v32
	v_cmp_eq_u32_e32 vcc, 0, v30
	v_cndmask_b32_e32 v27, v32, v27, vcc
	v_cndmask_b32_e32 v29, v33, v29, vcc
	v_and_b32_e32 v33, 1, v27
	v_cndmask_b32_e64 v31, v31, 0, vcc
	v_mov_b32_dpp v32, v29 row_shr:2 row_mask:0xf bank_mask:0xf
	v_and_b32_e32 v32, 1, v32
	v_cmp_eq_u32_e32 vcc, 1, v33
	v_cndmask_b32_e64 v32, v32, 1, vcc
	v_and_b32_e32 v33, 0xffff, v32
	v_cmp_lt_u32_e32 vcc, 1, v30
	v_add_u32_e32 v28, v31, v28
	v_cmp_eq_u16_sdwa s[28:29], v27, v26 src0_sel:BYTE_0 src1_sel:DWORD
	v_cndmask_b32_e32 v27, v27, v32, vcc
	v_cndmask_b32_e32 v29, v29, v33, vcc
	v_mov_b32_dpp v31, v28 row_shr:2 row_mask:0xf bank_mask:0xf
	s_and_b64 vcc, vcc, s[28:29]
	v_mov_b32_dpp v32, v29 row_shr:4 row_mask:0xf bank_mask:0xf
	v_and_b32_e32 v33, 1, v27
	v_cndmask_b32_e32 v31, 0, v31, vcc
	v_and_b32_e32 v32, 1, v32
	v_cmp_eq_u32_e32 vcc, 1, v33
	v_cndmask_b32_e64 v32, v32, 1, vcc
	v_and_b32_e32 v33, 0xffff, v32
	v_cmp_lt_u32_e32 vcc, 3, v30
	v_add_u32_e32 v28, v31, v28
	v_cmp_eq_u16_sdwa s[28:29], v27, v26 src0_sel:BYTE_0 src1_sel:DWORD
	v_cndmask_b32_e32 v27, v27, v32, vcc
	v_cndmask_b32_e32 v29, v29, v33, vcc
	v_mov_b32_dpp v31, v28 row_shr:4 row_mask:0xf bank_mask:0xf
	s_and_b64 vcc, vcc, s[28:29]
	v_mov_b32_dpp v32, v29 row_shr:8 row_mask:0xf bank_mask:0xf
	v_and_b32_e32 v33, 1, v27
	v_cndmask_b32_e32 v31, 0, v31, vcc
	v_and_b32_e32 v32, 1, v32
	v_cmp_eq_u32_e32 vcc, 1, v33
	v_cndmask_b32_e64 v32, v32, 1, vcc
	v_add_u32_e32 v28, v31, v28
	v_cmp_eq_u16_sdwa s[28:29], v27, v26 src0_sel:BYTE_0 src1_sel:DWORD
	v_and_b32_e32 v33, 0xffff, v32
	v_cmp_lt_u32_e32 vcc, 7, v30
	v_mov_b32_dpp v31, v28 row_shr:8 row_mask:0xf bank_mask:0xf
	v_cndmask_b32_e32 v27, v27, v32, vcc
	v_cndmask_b32_e32 v29, v29, v33, vcc
	s_and_b64 vcc, vcc, s[28:29]
	v_cndmask_b32_e32 v30, 0, v31, vcc
	v_add_u32_e32 v28, v30, v28
	v_mov_b32_dpp v31, v29 row_bcast:15 row_mask:0xf bank_mask:0xf
	v_cmp_eq_u16_sdwa vcc, v27, v26 src0_sel:BYTE_0 src1_sel:DWORD
	v_mov_b32_dpp v30, v28 row_bcast:15 row_mask:0xf bank_mask:0xf
	v_and_b32_e32 v34, 1, v27
	v_cndmask_b32_e32 v30, 0, v30, vcc
	v_and_b32_e32 v31, 1, v31
	v_cmp_eq_u32_e32 vcc, 1, v34
	v_and_b32_e32 v33, 16, v48
	v_cndmask_b32_e64 v31, v31, 1, vcc
	v_and_b32_e32 v34, 0xffff, v31
	v_cmp_eq_u32_e32 vcc, 0, v33
	v_cndmask_b32_e32 v27, v31, v27, vcc
	v_cndmask_b32_e32 v29, v34, v29, vcc
	v_bfe_i32 v32, v48, 4, 1
	v_cmp_eq_u16_sdwa s[28:29], v27, v26 src0_sel:BYTE_0 src1_sel:DWORD
	v_mov_b32_dpp v29, v29 row_bcast:31 row_mask:0xf bank_mask:0xf
	v_and_b32_e32 v26, 1, v27
	v_and_b32_e32 v30, v32, v30
	;; [unrolled: 1-line block ×3, first 2 shown]
	v_cmp_eq_u32_e32 vcc, 1, v26
	v_add_u32_e32 v28, v30, v28
	v_cndmask_b32_e64 v26, v29, 1, vcc
	v_cmp_lt_u32_e32 vcc, 31, v48
	v_mov_b32_dpp v30, v28 row_bcast:31 row_mask:0xf bank_mask:0xf
	v_cndmask_b32_e32 v29, v27, v26, vcc
	s_and_b64 vcc, vcc, s[28:29]
	v_cndmask_b32_e32 v26, 0, v30, vcc
	v_add_u32_e32 v28, v26, v28
	v_cmp_eq_u32_e32 vcc, v53, v0
	s_and_saveexec_b64 s[28:29], vcc
	s_cbranch_execz .LBB1728_91
; %bb.90:
	v_lshlrev_b32_e32 v26, 3, v1
	ds_write_b32 v26, v28
	ds_write_b8 v26, v29 offset:4
.LBB1728_91:
	s_or_b64 exec, exec, s[28:29]
	v_cmp_gt_u32_e32 vcc, 4, v0
	s_waitcnt lgkmcnt(0)
	s_barrier
	s_and_saveexec_b64 s[28:29], vcc
	s_cbranch_execz .LBB1728_95
; %bb.92:
	v_lshlrev_b32_e32 v30, 3, v0
	ds_read_b64 v[26:27], v30
	v_and_b32_e32 v31, 3, v48
	v_cmp_ne_u32_e32 vcc, 0, v31
	s_waitcnt lgkmcnt(0)
	v_mov_b32_dpp v32, v26 row_shr:1 row_mask:0xf bank_mask:0xf
	v_mov_b32_dpp v34, v27 row_shr:1 row_mask:0xf bank_mask:0xf
	v_mov_b32_e32 v33, v27
	s_and_saveexec_b64 s[30:31], vcc
	s_cbranch_execz .LBB1728_94
; %bb.93:
	v_and_b32_e32 v33, 1, v27
	v_and_b32_e32 v34, 1, v34
	v_cmp_eq_u32_e32 vcc, 1, v33
	v_mov_b32_e32 v33, 0
	v_cndmask_b32_e64 v34, v34, 1, vcc
	v_cmp_eq_u16_sdwa vcc, v27, v33 src0_sel:BYTE_0 src1_sel:DWORD
	v_cndmask_b32_e32 v32, 0, v32, vcc
	v_add_u32_e32 v26, v32, v26
	v_and_b32_e32 v32, 0xffff, v34
	s_movk_i32 s36, 0xff00
	v_and_or_b32 v33, v27, s36, v32
	v_mov_b32_e32 v27, v34
.LBB1728_94:
	s_or_b64 exec, exec, s[30:31]
	v_mov_b32_dpp v33, v33 row_shr:2 row_mask:0xf bank_mask:0xf
	v_and_b32_e32 v34, 1, v27
	v_and_b32_e32 v33, 1, v33
	v_cmp_eq_u32_e32 vcc, 1, v34
	v_mov_b32_e32 v34, 0
	v_cndmask_b32_e64 v33, v33, 1, vcc
	v_cmp_eq_u16_sdwa s[30:31], v27, v34 src0_sel:BYTE_0 src1_sel:DWORD
	v_cmp_lt_u32_e32 vcc, 1, v31
	v_mov_b32_dpp v32, v26 row_shr:2 row_mask:0xf bank_mask:0xf
	v_cndmask_b32_e32 v27, v27, v33, vcc
	s_and_b64 vcc, vcc, s[30:31]
	v_cndmask_b32_e32 v31, 0, v32, vcc
	v_add_u32_e32 v26, v31, v26
	ds_write_b32 v30, v26
	ds_write_b8 v30, v27 offset:4
.LBB1728_95:
	s_or_b64 exec, exec, s[28:29]
	v_cmp_gt_u32_e32 vcc, 64, v0
	v_cmp_lt_u32_e64 s[28:29], 63, v0
	v_mov_b32_e32 v44, 0
	v_mov_b32_e32 v45, 0
	s_waitcnt lgkmcnt(0)
	s_barrier
	s_and_saveexec_b64 s[30:31], s[28:29]
	s_cbranch_execz .LBB1728_97
; %bb.96:
	v_lshl_add_u32 v26, v1, 3, -8
	ds_read_b32 v44, v26
	ds_read_u8 v45, v26 offset:4
	v_mov_b32_e32 v27, 0
	v_and_b32_e32 v30, 1, v29
	v_cmp_eq_u16_sdwa s[28:29], v29, v27 src0_sel:BYTE_0 src1_sel:DWORD
	s_waitcnt lgkmcnt(1)
	v_cndmask_b32_e64 v26, 0, v44, s[28:29]
	v_cmp_eq_u32_e64 s[28:29], 1, v30
	v_add_u32_e32 v28, v26, v28
	s_waitcnt lgkmcnt(0)
	v_cndmask_b32_e64 v29, v45, 1, s[28:29]
.LBB1728_97:
	s_or_b64 exec, exec, s[30:31]
	v_and_b32_e32 v26, 0xff, v29
	v_add_u32_e32 v27, -1, v48
	v_and_b32_e32 v29, 64, v48
	v_cmp_lt_i32_e64 s[28:29], v27, v29
	v_cndmask_b32_e64 v27, v27, v48, s[28:29]
	v_lshlrev_b32_e32 v27, 2, v27
	ds_bpermute_b32 v46, v27, v28
	ds_bpermute_b32 v47, v27, v26
	v_cmp_eq_u32_e64 s[28:29], 0, v48
	s_and_saveexec_b64 s[36:37], vcc
	s_cbranch_execz .LBB1728_120
; %bb.98:
	v_mov_b32_e32 v29, 0
	ds_read_b64 v[26:27], v29 offset:24
	s_waitcnt lgkmcnt(0)
	v_readfirstlane_b32 s48, v27
	s_and_saveexec_b64 s[30:31], s[28:29]
	s_cbranch_execz .LBB1728_100
; %bb.99:
	s_add_i32 s38, s47, 64
	s_mov_b32 s39, 0
	s_lshl_b64 s[40:41], s[38:39], 4
	s_add_u32 s40, s44, s40
	s_addc_u32 s41, s45, s41
	s_and_b32 s57, s48, 0xff000000
	s_mov_b32 s56, s39
	s_and_b32 s59, s48, 0xff0000
	s_mov_b32 s58, s39
	s_or_b64 s[56:57], s[58:59], s[56:57]
	s_and_b32 s59, s48, 0xff00
	s_or_b64 s[56:57], s[56:57], s[58:59]
	s_and_b32 s59, s48, 0xff
	s_or_b64 s[38:39], s[56:57], s[58:59]
	v_mov_b32_e32 v27, s39
	v_mov_b32_e32 v28, 1
	v_pk_mov_b32 v[30:31], s[40:41], s[40:41] op_sel:[0,1]
	;;#ASMSTART
	global_store_dwordx4 v[30:31], v[26:29] off	
s_waitcnt vmcnt(0)
	;;#ASMEND
.LBB1728_100:
	s_or_b64 exec, exec, s[30:31]
	v_xad_u32 v34, v48, -1, s47
	v_add_u32_e32 v28, 64, v34
	v_lshlrev_b64 v[30:31], 4, v[28:29]
	v_mov_b32_e32 v27, s45
	v_add_co_u32_e32 v36, vcc, s44, v30
	v_addc_co_u32_e32 v37, vcc, v27, v31, vcc
	;;#ASMSTART
	global_load_dwordx4 v[30:33], v[36:37] off glc	
s_waitcnt vmcnt(0)
	;;#ASMEND
	v_and_b32_e32 v27, 0xff0000, v30
	v_or_b32_sdwa v27, v30, v27 dst_sel:DWORD dst_unused:UNUSED_PAD src0_sel:WORD_0 src1_sel:DWORD
	v_and_b32_e32 v28, 0xff000000, v30
	v_and_b32_e32 v30, 0xff, v31
	v_or3_b32 v31, 0, 0, v30
	v_or3_b32 v30, v27, v28, 0
	v_cmp_eq_u16_sdwa s[38:39], v32, v29 src0_sel:BYTE_0 src1_sel:DWORD
	s_and_saveexec_b64 s[30:31], s[38:39]
	s_cbranch_execz .LBB1728_106
; %bb.101:
	s_mov_b32 s40, 1
	s_mov_b64 s[38:39], 0
	v_mov_b32_e32 v27, 0
.LBB1728_102:                           ; =>This Loop Header: Depth=1
                                        ;     Child Loop BB1728_103 Depth 2
	s_max_u32 s41, s40, 1
.LBB1728_103:                           ;   Parent Loop BB1728_102 Depth=1
                                        ; =>  This Inner Loop Header: Depth=2
	s_add_i32 s41, s41, -1
	s_cmp_eq_u32 s41, 0
	s_sleep 1
	s_cbranch_scc0 .LBB1728_103
; %bb.104:                              ;   in Loop: Header=BB1728_102 Depth=1
	s_cmp_lt_u32 s40, 32
	s_cselect_b64 s[56:57], -1, 0
	s_cmp_lg_u64 s[56:57], 0
	s_addc_u32 s40, s40, 0
	;;#ASMSTART
	global_load_dwordx4 v[30:33], v[36:37] off glc	
s_waitcnt vmcnt(0)
	;;#ASMEND
	v_cmp_ne_u16_sdwa s[56:57], v32, v27 src0_sel:BYTE_0 src1_sel:DWORD
	s_or_b64 s[38:39], s[56:57], s[38:39]
	s_andn2_b64 exec, exec, s[38:39]
	s_cbranch_execnz .LBB1728_102
; %bb.105:
	s_or_b64 exec, exec, s[38:39]
	v_and_b32_e32 v31, 0xff, v31
.LBB1728_106:
	s_or_b64 exec, exec, s[30:31]
	v_mov_b32_e32 v27, 2
	v_cmp_eq_u16_sdwa s[30:31], v32, v27 src0_sel:BYTE_0 src1_sel:DWORD
	v_lshlrev_b64 v[28:29], v48, -1
	v_and_b32_e32 v33, s31, v29
	v_or_b32_e32 v33, 0x80000000, v33
	v_and_b32_e32 v35, s30, v28
	v_ffbl_b32_e32 v33, v33
	v_and_b32_e32 v49, 63, v48
	v_add_u32_e32 v33, 32, v33
	v_ffbl_b32_e32 v35, v35
	v_cmp_ne_u32_e32 vcc, 63, v49
	v_min_u32_e32 v33, v35, v33
	v_addc_co_u32_e32 v35, vcc, 0, v48, vcc
	v_lshlrev_b32_e32 v50, 2, v35
	ds_bpermute_b32 v35, v50, v31
	ds_bpermute_b32 v36, v50, v30
	s_mov_b32 s38, 0
	v_and_b32_e32 v37, 1, v31
	s_mov_b32 s39, 1
	s_waitcnt lgkmcnt(1)
	v_and_b32_e32 v35, 1, v35
	v_cmp_eq_u32_e32 vcc, 1, v37
	v_cndmask_b32_e64 v35, v35, 1, vcc
	v_cmp_gt_u64_e32 vcc, s[38:39], v[30:31]
	v_cmp_lt_u32_e64 s[30:31], v49, v33
	s_and_b64 vcc, s[30:31], vcc
	v_and_b32_e32 v37, 0xffff, v35
	v_cndmask_b32_e64 v56, v31, v35, s[30:31]
	s_waitcnt lgkmcnt(0)
	v_cndmask_b32_e32 v35, 0, v36, vcc
	v_cmp_gt_u32_e32 vcc, 62, v49
	v_cndmask_b32_e64 v36, 0, 1, vcc
	v_lshlrev_b32_e32 v36, 1, v36
	v_cndmask_b32_e64 v31, v31, v37, s[30:31]
	v_add_lshl_u32 v51, v36, v48, 2
	ds_bpermute_b32 v36, v51, v31
	v_add_u32_e32 v30, v35, v30
	ds_bpermute_b32 v37, v51, v30
	v_and_b32_e32 v35, 1, v56
	v_cmp_eq_u32_e32 vcc, 1, v35
	s_waitcnt lgkmcnt(1)
	v_and_b32_e32 v36, 1, v36
	v_mov_b32_e32 v35, 0
	v_add_u32_e32 v55, 2, v49
	v_cndmask_b32_e64 v36, v36, 1, vcc
	v_cmp_eq_u16_sdwa vcc, v56, v35 src0_sel:BYTE_0 src1_sel:DWORD
	v_and_b32_e32 v57, 0xffff, v36
	s_waitcnt lgkmcnt(0)
	v_cndmask_b32_e32 v37, 0, v37, vcc
	v_cmp_gt_u32_e32 vcc, v55, v33
	v_cndmask_b32_e32 v36, v36, v56, vcc
	v_cndmask_b32_e64 v37, v37, 0, vcc
	v_cndmask_b32_e32 v31, v57, v31, vcc
	v_cmp_gt_u32_e32 vcc, 60, v49
	v_cndmask_b32_e64 v56, 0, 1, vcc
	v_lshlrev_b32_e32 v56, 2, v56
	v_add_lshl_u32 v56, v56, v48, 2
	ds_bpermute_b32 v58, v56, v31
	v_add_u32_e32 v30, v37, v30
	ds_bpermute_b32 v37, v56, v30
	v_and_b32_e32 v59, 1, v36
	v_cmp_eq_u32_e32 vcc, 1, v59
	s_waitcnt lgkmcnt(1)
	v_and_b32_e32 v58, 1, v58
	v_add_u32_e32 v57, 4, v49
	v_cndmask_b32_e64 v58, v58, 1, vcc
	v_cmp_eq_u16_sdwa vcc, v36, v35 src0_sel:BYTE_0 src1_sel:DWORD
	v_and_b32_e32 v59, 0xffff, v58
	s_waitcnt lgkmcnt(0)
	v_cndmask_b32_e32 v37, 0, v37, vcc
	v_cmp_gt_u32_e32 vcc, v57, v33
	v_cndmask_b32_e32 v36, v58, v36, vcc
	v_cndmask_b32_e64 v37, v37, 0, vcc
	v_cndmask_b32_e32 v31, v59, v31, vcc
	v_cmp_gt_u32_e32 vcc, 56, v49
	v_cndmask_b32_e64 v58, 0, 1, vcc
	v_lshlrev_b32_e32 v58, 3, v58
	v_add_lshl_u32 v58, v58, v48, 2
	ds_bpermute_b32 v60, v58, v31
	v_add_u32_e32 v30, v37, v30
	ds_bpermute_b32 v37, v58, v30
	v_and_b32_e32 v61, 1, v36
	v_cmp_eq_u32_e32 vcc, 1, v61
	s_waitcnt lgkmcnt(1)
	v_and_b32_e32 v60, 1, v60
	;; [unrolled: 21-line block ×4, first 2 shown]
	v_add_u32_e32 v64, 32, v49
	v_cndmask_b32_e64 v31, v31, 1, vcc
	v_cmp_eq_u16_sdwa vcc, v36, v35 src0_sel:BYTE_0 src1_sel:DWORD
	s_waitcnt lgkmcnt(0)
	v_cndmask_b32_e32 v37, 0, v37, vcc
	v_cmp_gt_u32_e32 vcc, v64, v33
	v_cndmask_b32_e64 v33, v37, 0, vcc
	v_cndmask_b32_e32 v31, v31, v36, vcc
	v_add_u32_e32 v30, v33, v30
	s_branch .LBB1728_108
.LBB1728_107:                           ;   in Loop: Header=BB1728_108 Depth=1
	s_or_b64 exec, exec, s[30:31]
	v_cmp_eq_u16_sdwa s[30:31], v32, v27 src0_sel:BYTE_0 src1_sel:DWORD
	v_and_b32_e32 v33, s31, v29
	ds_bpermute_b32 v37, v50, v31
	v_or_b32_e32 v33, 0x80000000, v33
	v_and_b32_e32 v36, s30, v28
	v_ffbl_b32_e32 v33, v33
	v_add_u32_e32 v33, 32, v33
	v_ffbl_b32_e32 v36, v36
	v_min_u32_e32 v33, v36, v33
	ds_bpermute_b32 v36, v50, v30
	v_and_b32_e32 v65, 1, v31
	s_waitcnt lgkmcnt(1)
	v_and_b32_e32 v37, 1, v37
	v_cmp_eq_u32_e32 vcc, 1, v65
	v_cndmask_b32_e64 v37, v37, 1, vcc
	v_cmp_gt_u64_e32 vcc, s[38:39], v[30:31]
	v_and_b32_e32 v65, 0xffff, v37
	v_cmp_lt_u32_e64 s[30:31], v49, v33
	v_cndmask_b32_e64 v37, v31, v37, s[30:31]
	v_cndmask_b32_e64 v31, v31, v65, s[30:31]
	s_and_b64 vcc, s[30:31], vcc
	ds_bpermute_b32 v65, v51, v31
	s_waitcnt lgkmcnt(1)
	v_cndmask_b32_e32 v36, 0, v36, vcc
	v_add_u32_e32 v30, v36, v30
	ds_bpermute_b32 v36, v51, v30
	v_and_b32_e32 v66, 1, v37
	s_waitcnt lgkmcnt(1)
	v_and_b32_e32 v65, 1, v65
	v_cmp_eq_u32_e32 vcc, 1, v66
	v_cndmask_b32_e64 v65, v65, 1, vcc
	v_cmp_eq_u16_sdwa vcc, v37, v35 src0_sel:BYTE_0 src1_sel:DWORD
	v_and_b32_e32 v66, 0xffff, v65
	s_waitcnt lgkmcnt(0)
	v_cndmask_b32_e32 v36, 0, v36, vcc
	v_cmp_gt_u32_e32 vcc, v55, v33
	v_cndmask_b32_e32 v31, v66, v31, vcc
	v_cndmask_b32_e32 v37, v65, v37, vcc
	ds_bpermute_b32 v65, v56, v31
	v_cndmask_b32_e64 v36, v36, 0, vcc
	v_add_u32_e32 v30, v36, v30
	ds_bpermute_b32 v36, v56, v30
	v_and_b32_e32 v66, 1, v37
	s_waitcnt lgkmcnt(1)
	v_and_b32_e32 v65, 1, v65
	v_cmp_eq_u32_e32 vcc, 1, v66
	v_cndmask_b32_e64 v65, v65, 1, vcc
	v_cmp_eq_u16_sdwa vcc, v37, v35 src0_sel:BYTE_0 src1_sel:DWORD
	v_and_b32_e32 v66, 0xffff, v65
	s_waitcnt lgkmcnt(0)
	v_cndmask_b32_e32 v36, 0, v36, vcc
	v_cmp_gt_u32_e32 vcc, v57, v33
	v_cndmask_b32_e32 v31, v66, v31, vcc
	v_cndmask_b32_e32 v37, v65, v37, vcc
	ds_bpermute_b32 v65, v58, v31
	v_cndmask_b32_e64 v36, v36, 0, vcc
	;; [unrolled: 16-line block ×3, first 2 shown]
	v_add_u32_e32 v30, v36, v30
	ds_bpermute_b32 v36, v60, v30
	v_and_b32_e32 v66, 1, v37
	s_waitcnt lgkmcnt(1)
	v_and_b32_e32 v65, 1, v65
	v_cmp_eq_u32_e32 vcc, 1, v66
	v_cndmask_b32_e64 v65, v65, 1, vcc
	v_cmp_eq_u16_sdwa vcc, v37, v35 src0_sel:BYTE_0 src1_sel:DWORD
	v_and_b32_e32 v66, 0xffff, v65
	s_waitcnt lgkmcnt(0)
	v_cndmask_b32_e32 v36, 0, v36, vcc
	v_cmp_gt_u32_e32 vcc, v61, v33
	v_cndmask_b32_e64 v36, v36, 0, vcc
	v_cndmask_b32_e32 v31, v66, v31, vcc
	ds_bpermute_b32 v31, v63, v31
	v_add_u32_e32 v30, v36, v30
	ds_bpermute_b32 v36, v63, v30
	v_cndmask_b32_e32 v37, v65, v37, vcc
	v_and_b32_e32 v65, 1, v37
	v_cmp_eq_u32_e32 vcc, 1, v65
	s_waitcnt lgkmcnt(1)
	v_cndmask_b32_e64 v31, v31, 1, vcc
	v_cmp_eq_u16_sdwa vcc, v37, v35 src0_sel:BYTE_0 src1_sel:DWORD
	s_waitcnt lgkmcnt(0)
	v_cndmask_b32_e32 v36, 0, v36, vcc
	v_cmp_gt_u32_e32 vcc, v64, v33
	v_cndmask_b32_e64 v33, v36, 0, vcc
	v_cndmask_b32_e32 v31, v31, v37, vcc
	v_add_u32_e32 v30, v33, v30
	v_cmp_eq_u16_sdwa vcc, v48, v35 src0_sel:BYTE_0 src1_sel:DWORD
	v_and_b32_e32 v33, 1, v48
	v_cndmask_b32_e32 v30, 0, v30, vcc
	v_and_b32_e32 v31, 1, v31
	v_cmp_eq_u32_e32 vcc, 1, v33
	v_subrev_u32_e32 v34, 64, v34
	v_add_u32_e32 v30, v30, v62
	v_cndmask_b32_e64 v31, v31, 1, vcc
.LBB1728_108:                           ; =>This Loop Header: Depth=1
                                        ;     Child Loop BB1728_111 Depth 2
                                        ;       Child Loop BB1728_112 Depth 3
	v_cmp_ne_u16_sdwa s[30:31], v32, v27 src0_sel:BYTE_0 src1_sel:DWORD
	v_mov_b32_e32 v48, v31
	v_cndmask_b32_e64 v31, 0, 1, s[30:31]
	;;#ASMSTART
	;;#ASMEND
	v_cmp_ne_u32_e32 vcc, 0, v31
	s_cmp_lg_u64 vcc, exec
	v_mov_b32_e32 v62, v30
	s_cbranch_scc1 .LBB1728_115
; %bb.109:                              ;   in Loop: Header=BB1728_108 Depth=1
	v_lshlrev_b64 v[30:31], 4, v[34:35]
	v_mov_b32_e32 v32, s45
	v_add_co_u32_e32 v36, vcc, s44, v30
	v_addc_co_u32_e32 v37, vcc, v32, v31, vcc
	;;#ASMSTART
	global_load_dwordx4 v[30:33], v[36:37] off glc	
s_waitcnt vmcnt(0)
	;;#ASMEND
	v_and_b32_e32 v33, 0xff0000, v30
	v_or_b32_sdwa v33, v30, v33 dst_sel:DWORD dst_unused:UNUSED_PAD src0_sel:WORD_0 src1_sel:DWORD
	v_and_b32_e32 v30, 0xff000000, v30
	v_and_b32_e32 v31, 0xff, v31
	v_or3_b32 v31, 0, 0, v31
	v_or3_b32 v30, v33, v30, 0
	v_cmp_eq_u16_sdwa s[40:41], v32, v35 src0_sel:BYTE_0 src1_sel:DWORD
	s_and_saveexec_b64 s[30:31], s[40:41]
	s_cbranch_execz .LBB1728_107
; %bb.110:                              ;   in Loop: Header=BB1728_108 Depth=1
	s_mov_b32 s49, 1
	s_mov_b64 s[40:41], 0
.LBB1728_111:                           ;   Parent Loop BB1728_108 Depth=1
                                        ; =>  This Loop Header: Depth=2
                                        ;       Child Loop BB1728_112 Depth 3
	s_max_u32 s55, s49, 1
.LBB1728_112:                           ;   Parent Loop BB1728_108 Depth=1
                                        ;     Parent Loop BB1728_111 Depth=2
                                        ; =>    This Inner Loop Header: Depth=3
	s_add_i32 s55, s55, -1
	s_cmp_eq_u32 s55, 0
	s_sleep 1
	s_cbranch_scc0 .LBB1728_112
; %bb.113:                              ;   in Loop: Header=BB1728_111 Depth=2
	s_cmp_lt_u32 s49, 32
	s_cselect_b64 s[56:57], -1, 0
	s_cmp_lg_u64 s[56:57], 0
	s_addc_u32 s49, s49, 0
	;;#ASMSTART
	global_load_dwordx4 v[30:33], v[36:37] off glc	
s_waitcnt vmcnt(0)
	;;#ASMEND
	v_cmp_ne_u16_sdwa s[56:57], v32, v35 src0_sel:BYTE_0 src1_sel:DWORD
	s_or_b64 s[40:41], s[56:57], s[40:41]
	s_andn2_b64 exec, exec, s[40:41]
	s_cbranch_execnz .LBB1728_111
; %bb.114:                              ;   in Loop: Header=BB1728_108 Depth=1
	s_or_b64 exec, exec, s[40:41]
	v_and_b32_e32 v31, 0xff, v31
	s_branch .LBB1728_107
.LBB1728_115:                           ;   in Loop: Header=BB1728_108 Depth=1
                                        ; implicit-def: $vgpr31
                                        ; implicit-def: $vgpr30
                                        ; implicit-def: $vgpr32
	s_cbranch_execz .LBB1728_108
; %bb.116:
	s_and_saveexec_b64 s[30:31], s[28:29]
	s_cbranch_execz .LBB1728_118
; %bb.117:
	s_and_b32 s38, s48, 0xff
	s_cmp_eq_u32 s38, 0
	s_cselect_b64 vcc, -1, 0
	s_bitcmp1_b32 s48, 0
	s_mov_b32 s39, 0
	s_cselect_b64 s[40:41], -1, 0
	s_add_i32 s38, s47, 64
	s_lshl_b64 s[38:39], s[38:39], 4
	v_cndmask_b32_e32 v27, 0, v62, vcc
	s_add_u32 s38, s44, s38
	v_add_u32_e32 v26, v27, v26
	v_and_b32_e32 v27, 1, v48
	s_addc_u32 s39, s45, s39
	v_mov_b32_e32 v29, 0
	v_cndmask_b32_e64 v27, v27, 1, s[40:41]
	v_mov_b32_e32 v28, 2
	v_pk_mov_b32 v[30:31], s[38:39], s[38:39] op_sel:[0,1]
	;;#ASMSTART
	global_store_dwordx4 v[30:31], v[26:29] off	
s_waitcnt vmcnt(0)
	;;#ASMEND
.LBB1728_118:
	s_or_b64 exec, exec, s[30:31]
	s_and_b64 exec, exec, s[0:1]
	s_cbranch_execz .LBB1728_120
; %bb.119:
	v_mov_b32_e32 v26, 0
	ds_write_b32 v26, v62 offset:24
	ds_write_b8 v26, v48 offset:28
.LBB1728_120:
	s_or_b64 exec, exec, s[36:37]
	v_mov_b32_e32 v28, 0
	s_waitcnt lgkmcnt(0)
	s_barrier
	ds_read_b32 v26, v28 offset:24
	v_cndmask_b32_e64 v27, v47, v45, s[28:29]
	v_cmp_eq_u16_sdwa vcc, v27, v28 src0_sel:BYTE_0 src1_sel:DWORD
	v_cndmask_b32_e64 v29, v46, v44, s[28:29]
	s_waitcnt lgkmcnt(0)
	v_cndmask_b32_e32 v27, 0, v26, vcc
	v_add_u32_e32 v27, v27, v29
	v_and_b32_e32 v29, 0xff, v41
	v_cndmask_b32_e64 v26, v27, v26, s[0:1]
	v_cmp_eq_u64_e32 vcc, 0, v[28:29]
	v_cndmask_b32_e32 v27, 0, v26, vcc
	v_add_u32_e32 v27, v27, v40
	v_cndmask_b32_e64 v28, 0, v27, s[4:5]
	v_add_u32_e32 v44, v28, v8
	v_cndmask_b32_e64 v28, 0, v44, s[6:7]
	;; [unrolled: 2-line block ×12, first 2 shown]
	v_add_u32_e32 v51, v28, v24
	s_branch .LBB1728_147
.LBB1728_121:
	s_or_b64 exec, exec, s[30:31]
                                        ; implicit-def: $vgpr14
	s_and_saveexec_b64 s[30:31], s[4:5]
	s_cbranch_execz .LBB1728_37
.LBB1728_122:
	v_add_co_u32_e32 v14, vcc, v1, v12
	v_addc_co_u32_e32 v15, vcc, 0, v48, vcc
	flat_load_dword v14, v[14:15] offset:1024
	s_or_b64 exec, exec, s[30:31]
                                        ; implicit-def: $vgpr15
	s_and_saveexec_b64 s[4:5], s[6:7]
	s_cbranch_execnz .LBB1728_38
.LBB1728_123:
	s_or_b64 exec, exec, s[4:5]
                                        ; implicit-def: $vgpr16
	s_and_saveexec_b64 s[4:5], s[8:9]
	s_cbranch_execz .LBB1728_39
.LBB1728_124:
	v_add_co_u32_e32 v16, vcc, v1, v12
	v_addc_co_u32_e32 v17, vcc, 0, v48, vcc
	flat_load_dword v16, v[16:17] offset:3072
	s_or_b64 exec, exec, s[4:5]
                                        ; implicit-def: $vgpr17
	s_and_saveexec_b64 s[4:5], s[10:11]
	s_cbranch_execnz .LBB1728_40
.LBB1728_125:
	s_or_b64 exec, exec, s[4:5]
                                        ; implicit-def: $vgpr2
	s_and_saveexec_b64 s[4:5], s[12:13]
	s_cbranch_execz .LBB1728_41
.LBB1728_126:
	v_lshlrev_b32_e32 v2, 2, v3
	v_add_co_u32_e32 v2, vcc, v1, v2
	v_addc_co_u32_e32 v3, vcc, 0, v48, vcc
	flat_load_dword v2, v[2:3]
	s_or_b64 exec, exec, s[4:5]
                                        ; implicit-def: $vgpr3
	s_and_saveexec_b64 s[4:5], s[14:15]
	s_cbranch_execnz .LBB1728_42
.LBB1728_127:
	s_or_b64 exec, exec, s[4:5]
                                        ; implicit-def: $vgpr4
	s_and_saveexec_b64 s[4:5], s[16:17]
	s_cbranch_execz .LBB1728_43
.LBB1728_128:
	v_lshlrev_b32_e32 v4, 2, v5
	v_add_co_u32_e32 v4, vcc, v1, v4
	v_addc_co_u32_e32 v5, vcc, 0, v48, vcc
	flat_load_dword v4, v[4:5]
	s_or_b64 exec, exec, s[4:5]
                                        ; implicit-def: $vgpr5
	s_and_saveexec_b64 s[4:5], s[18:19]
	s_cbranch_execnz .LBB1728_44
.LBB1728_129:
	s_or_b64 exec, exec, s[4:5]
                                        ; implicit-def: $vgpr6
	s_and_saveexec_b64 s[4:5], s[20:21]
	s_cbranch_execz .LBB1728_45
.LBB1728_130:
	v_lshlrev_b32_e32 v6, 2, v7
	v_add_co_u32_e32 v6, vcc, v1, v6
	v_addc_co_u32_e32 v7, vcc, 0, v48, vcc
	flat_load_dword v6, v[6:7]
	s_or_b64 exec, exec, s[4:5]
                                        ; implicit-def: $vgpr7
	s_and_saveexec_b64 s[4:5], s[22:23]
	s_cbranch_execnz .LBB1728_46
.LBB1728_131:
	s_or_b64 exec, exec, s[4:5]
                                        ; implicit-def: $vgpr8
	s_and_saveexec_b64 s[4:5], s[24:25]
	s_cbranch_execz .LBB1728_47
.LBB1728_132:
	v_lshlrev_b32_e32 v8, 2, v9
	v_add_co_u32_e32 v8, vcc, v1, v8
	v_addc_co_u32_e32 v9, vcc, 0, v48, vcc
	flat_load_dword v8, v[8:9]
	s_or_b64 exec, exec, s[4:5]
                                        ; implicit-def: $vgpr9
	s_and_saveexec_b64 s[4:5], s[26:27]
	s_cbranch_execz .LBB1728_49
	s_branch .LBB1728_48
.LBB1728_133:
                                        ; implicit-def: $vgpr51
                                        ; implicit-def: $vgpr49
                                        ; implicit-def: $vgpr47
                                        ; implicit-def: $vgpr45
                                        ; implicit-def: $vgpr34_vgpr35_vgpr36_vgpr37
                                        ; implicit-def: $vgpr30_vgpr31_vgpr32_vgpr33
                                        ; implicit-def: $vgpr26_vgpr27_vgpr28_vgpr29
	s_cbranch_execz .LBB1728_147
; %bb.134:
	s_cmp_lg_u64 s[52:53], 0
	s_cselect_b32 s5, s51, 0
	s_cselect_b32 s4, s50, 0
	s_mov_b32 s26, 0
	s_cmp_eq_u64 s[4:5], 0
	v_mov_b32_e32 v32, s54
	s_cbranch_scc1 .LBB1728_136
; %bb.135:
	v_mov_b32_e32 v26, 0
	global_load_dword v32, v26, s[4:5]
.LBB1728_136:
	s_mov_b32 s27, 1
	v_cmp_gt_u64_e32 vcc, s[26:27], v[8:9]
	v_cndmask_b32_e32 v27, 0, v40, vcc
	v_add_u32_e32 v27, v27, v8
	v_cmp_gt_u64_e64 s[4:5], s[26:27], v[6:7]
	v_cndmask_b32_e64 v27, 0, v27, s[4:5]
	v_add_u32_e32 v27, v27, v6
	v_cmp_gt_u64_e64 s[6:7], s[26:27], v[4:5]
	v_cndmask_b32_e64 v27, 0, v27, s[6:7]
	;; [unrolled: 3-line block ×11, first 2 shown]
	v_mov_b32_e32 v26, 0
	v_add_u32_e32 v27, v27, v24
	v_cmp_gt_u64_e64 s[26:27], s[26:27], v[42:43]
	v_or3_b32 v7, v23, v15, v7
	v_cndmask_b32_e64 v27, 0, v27, s[26:27]
	v_or3_b32 v9, v25, v17, v9
	v_and_b32_e32 v35, 1, v7
	v_mov_b32_e32 v34, v26
	v_add_u32_e32 v33, v27, v42
	v_and_b32_e32 v27, 1, v43
	v_or3_b32 v3, v19, v11, v3
	v_and_b32_e32 v31, 1, v9
	v_mov_b32_e32 v30, v26
	v_cmp_ne_u64_e64 s[28:29], 0, v[34:35]
	v_cmp_eq_u32_e64 s[26:27], 1, v27
	v_or3_b32 v5, v21, v13, v5
	v_and_b32_e32 v27, 1, v3
	v_cndmask_b32_e64 v3, 0, 1, s[28:29]
	v_cmp_ne_u64_e64 s[28:29], 0, v[30:31]
	v_and_b32_e32 v29, 1, v5
	v_mov_b32_e32 v28, v26
	v_cndmask_b32_e64 v5, 0, 1, s[28:29]
	v_lshlrev_b16_e32 v3, 2, v3
	v_lshlrev_b16_e32 v5, 3, v5
	v_cmp_ne_u64_e64 s[28:29], 0, v[28:29]
	v_or_b32_e32 v3, v5, v3
	v_cndmask_b32_e64 v5, 0, 1, s[28:29]
	v_cmp_ne_u64_e64 s[28:29], 0, v[26:27]
	v_lshlrev_b16_e32 v5, 1, v5
	v_cndmask_b32_e64 v7, 0, 1, s[28:29]
	v_or_b32_e32 v5, v7, v5
	v_and_b32_e32 v5, 3, v5
	v_or_b32_e32 v3, v5, v3
	v_and_b32_e32 v3, 15, v3
	v_cmp_ne_u16_e64 s[28:29], 0, v3
	s_or_b64 s[26:27], s[26:27], s[28:29]
	v_cndmask_b32_e64 v5, v41, 1, s[26:27]
	v_and_b32_e32 v7, 0xff, v5
	v_mov_b32_dpp v11, v33 row_shr:1 row_mask:0xf bank_mask:0xf
	v_cmp_eq_u16_e64 s[26:27], 0, v7
	v_mov_b32_dpp v13, v7 row_shr:1 row_mask:0xf bank_mask:0xf
	v_and_b32_e32 v15, 1, v5
	v_mbcnt_hi_u32_b32 v3, -1, v54
	v_cndmask_b32_e64 v11, 0, v11, s[26:27]
	v_and_b32_e32 v13, 1, v13
	v_cmp_eq_u32_e64 s[26:27], 1, v15
	v_and_b32_e32 v9, 15, v3
	v_cndmask_b32_e64 v13, v13, 1, s[26:27]
	v_and_b32_e32 v15, 0xffff, v13
	v_cmp_eq_u32_e64 s[26:27], 0, v9
	v_cndmask_b32_e64 v5, v13, v5, s[26:27]
	v_cndmask_b32_e64 v7, v15, v7, s[26:27]
	v_and_b32_e32 v17, 1, v5
	v_cndmask_b32_e64 v11, v11, 0, s[26:27]
	v_mov_b32_dpp v15, v7 row_shr:2 row_mask:0xf bank_mask:0xf
	v_and_b32_e32 v15, 1, v15
	v_cmp_eq_u32_e64 s[26:27], 1, v17
	v_cndmask_b32_e64 v15, v15, 1, s[26:27]
	v_and_b32_e32 v17, 0xffff, v15
	v_cmp_lt_u32_e64 s[26:27], 1, v9
	v_add_u32_e32 v11, v11, v33
	v_cmp_eq_u16_sdwa s[28:29], v5, v26 src0_sel:BYTE_0 src1_sel:DWORD
	v_cndmask_b32_e64 v5, v5, v15, s[26:27]
	v_cndmask_b32_e64 v7, v7, v17, s[26:27]
	v_mov_b32_dpp v13, v11 row_shr:2 row_mask:0xf bank_mask:0xf
	s_and_b64 s[26:27], s[26:27], s[28:29]
	v_mov_b32_dpp v15, v7 row_shr:4 row_mask:0xf bank_mask:0xf
	v_and_b32_e32 v17, 1, v5
	v_cndmask_b32_e64 v13, 0, v13, s[26:27]
	v_and_b32_e32 v15, 1, v15
	v_cmp_eq_u32_e64 s[26:27], 1, v17
	v_cndmask_b32_e64 v15, v15, 1, s[26:27]
	v_and_b32_e32 v17, 0xffff, v15
	v_cmp_lt_u32_e64 s[26:27], 3, v9
	v_add_u32_e32 v11, v13, v11
	v_cmp_eq_u16_sdwa s[28:29], v5, v26 src0_sel:BYTE_0 src1_sel:DWORD
	v_cndmask_b32_e64 v5, v5, v15, s[26:27]
	v_cndmask_b32_e64 v7, v7, v17, s[26:27]
	v_mov_b32_dpp v13, v11 row_shr:4 row_mask:0xf bank_mask:0xf
	s_and_b64 s[26:27], s[26:27], s[28:29]
	v_mov_b32_dpp v15, v7 row_shr:8 row_mask:0xf bank_mask:0xf
	v_and_b32_e32 v17, 1, v5
	v_cndmask_b32_e64 v13, 0, v13, s[26:27]
	v_and_b32_e32 v15, 1, v15
	v_cmp_eq_u32_e64 s[26:27], 1, v17
	v_cndmask_b32_e64 v15, v15, 1, s[26:27]
	v_add_u32_e32 v11, v13, v11
	v_cmp_eq_u16_sdwa s[28:29], v5, v26 src0_sel:BYTE_0 src1_sel:DWORD
	v_and_b32_e32 v17, 0xffff, v15
	v_cmp_lt_u32_e64 s[26:27], 7, v9
	v_mov_b32_dpp v13, v11 row_shr:8 row_mask:0xf bank_mask:0xf
	v_cndmask_b32_e64 v5, v5, v15, s[26:27]
	v_cndmask_b32_e64 v7, v7, v17, s[26:27]
	s_and_b64 s[26:27], s[26:27], s[28:29]
	v_cndmask_b32_e64 v9, 0, v13, s[26:27]
	v_add_u32_e32 v9, v9, v11
	v_mov_b32_dpp v13, v7 row_bcast:15 row_mask:0xf bank_mask:0xf
	v_cmp_eq_u16_sdwa s[26:27], v5, v26 src0_sel:BYTE_0 src1_sel:DWORD
	v_mov_b32_dpp v11, v9 row_bcast:15 row_mask:0xf bank_mask:0xf
	v_and_b32_e32 v19, 1, v5
	v_cndmask_b32_e64 v11, 0, v11, s[26:27]
	v_and_b32_e32 v13, 1, v13
	v_cmp_eq_u32_e64 s[26:27], 1, v19
	v_and_b32_e32 v17, 16, v3
	v_cndmask_b32_e64 v13, v13, 1, s[26:27]
	v_and_b32_e32 v19, 0xffff, v13
	v_cmp_eq_u32_e64 s[26:27], 0, v17
	v_cndmask_b32_e64 v5, v13, v5, s[26:27]
	v_cndmask_b32_e64 v7, v19, v7, s[26:27]
	v_bfe_i32 v15, v3, 4, 1
	v_and_b32_e32 v13, 1, v5
	v_mov_b32_dpp v7, v7 row_bcast:31 row_mask:0xf bank_mask:0xf
	v_and_b32_e32 v11, v15, v11
	v_and_b32_e32 v7, 1, v7
	v_cmp_eq_u32_e64 s[26:27], 1, v13
	v_add_u32_e32 v9, v11, v9
	v_cmp_eq_u16_sdwa s[28:29], v5, v26 src0_sel:BYTE_0 src1_sel:DWORD
	v_cndmask_b32_e64 v7, v7, 1, s[26:27]
	v_cmp_lt_u32_e64 s[26:27], 31, v3
	v_mov_b32_dpp v11, v9 row_bcast:31 row_mask:0xf bank_mask:0xf
	v_cndmask_b32_e64 v5, v5, v7, s[26:27]
	s_and_b64 s[26:27], s[26:27], s[28:29]
	v_cndmask_b32_e64 v7, 0, v11, s[26:27]
	v_add_u32_e32 v7, v7, v9
	v_cmp_eq_u32_e64 s[26:27], v53, v0
	s_and_saveexec_b64 s[28:29], s[26:27]
	s_cbranch_execz .LBB1728_138
; %bb.137:
	v_lshlrev_b32_e32 v9, 3, v1
	ds_write_b32 v9, v7
	ds_write_b8 v9, v5 offset:4
.LBB1728_138:
	s_or_b64 exec, exec, s[28:29]
	v_cmp_gt_u32_e64 s[26:27], 4, v0
	s_waitcnt lgkmcnt(0)
	s_barrier
	s_and_saveexec_b64 s[28:29], s[26:27]
	s_cbranch_execz .LBB1728_142
; %bb.139:
	v_lshlrev_b32_e32 v9, 3, v0
	ds_read_b64 v[26:27], v9
	v_and_b32_e32 v11, 3, v3
	v_cmp_ne_u32_e64 s[26:27], 0, v11
	s_waitcnt lgkmcnt(0)
	v_mov_b32_dpp v13, v26 row_shr:1 row_mask:0xf bank_mask:0xf
	v_mov_b32_dpp v17, v27 row_shr:1 row_mask:0xf bank_mask:0xf
	v_mov_b32_e32 v15, v27
	s_and_saveexec_b64 s[30:31], s[26:27]
	s_cbranch_execz .LBB1728_141
; %bb.140:
	v_and_b32_e32 v15, 1, v27
	v_and_b32_e32 v17, 1, v17
	v_cmp_eq_u32_e64 s[26:27], 1, v15
	v_mov_b32_e32 v15, 0
	v_cndmask_b32_e64 v17, v17, 1, s[26:27]
	v_cmp_eq_u16_sdwa s[26:27], v27, v15 src0_sel:BYTE_0 src1_sel:DWORD
	v_cndmask_b32_e64 v13, 0, v13, s[26:27]
	v_add_u32_e32 v26, v13, v26
	v_and_b32_e32 v13, 0xffff, v17
	s_movk_i32 s26, 0xff00
	v_and_or_b32 v15, v27, s26, v13
	v_mov_b32_e32 v27, v17
.LBB1728_141:
	s_or_b64 exec, exec, s[30:31]
	v_mov_b32_dpp v15, v15 row_shr:2 row_mask:0xf bank_mask:0xf
	v_and_b32_e32 v17, 1, v27
	v_and_b32_e32 v15, 1, v15
	v_cmp_eq_u32_e64 s[26:27], 1, v17
	v_mov_b32_e32 v17, 0
	v_cndmask_b32_e64 v15, v15, 1, s[26:27]
	v_cmp_eq_u16_sdwa s[30:31], v27, v17 src0_sel:BYTE_0 src1_sel:DWORD
	v_cmp_lt_u32_e64 s[26:27], 1, v11
	v_mov_b32_dpp v13, v26 row_shr:2 row_mask:0xf bank_mask:0xf
	v_cndmask_b32_e64 v11, v27, v15, s[26:27]
	s_and_b64 s[26:27], s[26:27], s[30:31]
	v_cndmask_b32_e64 v13, 0, v13, s[26:27]
	v_add_u32_e32 v13, v13, v26
	ds_write_b32 v9, v13
	ds_write_b8 v9, v11 offset:4
.LBB1728_142:
	s_or_b64 exec, exec, s[28:29]
	v_cmp_lt_u32_e64 s[26:27], 63, v0
	s_waitcnt vmcnt(0)
	v_mov_b32_e32 v9, v32
	s_waitcnt lgkmcnt(0)
	s_barrier
	s_and_saveexec_b64 s[28:29], s[26:27]
	s_cbranch_execz .LBB1728_144
; %bb.143:
	v_lshl_add_u32 v1, v1, 3, -8
	ds_read_u8 v9, v1 offset:4
	ds_read_b32 v1, v1
	s_waitcnt lgkmcnt(1)
	v_cmp_eq_u16_e64 s[26:27], 0, v9
	v_cndmask_b32_e64 v9, 0, v32, s[26:27]
	s_waitcnt lgkmcnt(0)
	v_add_u32_e32 v9, v9, v1
.LBB1728_144:
	s_or_b64 exec, exec, s[28:29]
	v_mov_b32_e32 v28, 0
	v_cmp_eq_u16_sdwa s[26:27], v5, v28 src0_sel:BYTE_0 src1_sel:DWORD
	v_cndmask_b32_e64 v1, 0, v9, s[26:27]
	v_add_u32_e32 v1, v1, v7
	v_add_u32_e32 v5, -1, v3
	v_and_b32_e32 v7, 64, v3
	v_cmp_lt_i32_e64 s[26:27], v5, v7
	v_cndmask_b32_e64 v5, v5, v3, s[26:27]
	v_lshlrev_b32_e32 v5, 2, v5
	ds_bpermute_b32 v1, v5, v1
	v_cmp_eq_u32_e64 s[26:27], 0, v3
	v_and_b32_e32 v29, 0xff, v41
	s_waitcnt lgkmcnt(0)
	v_cndmask_b32_e64 v26, v1, v9, s[26:27]
	v_cndmask_b32_e64 v1, v26, v32, s[0:1]
	v_cmp_eq_u64_e64 s[26:27], 0, v[28:29]
	v_cndmask_b32_e64 v1, 0, v1, s[26:27]
	v_add_u32_e32 v27, v1, v40
	v_cndmask_b32_e32 v1, 0, v27, vcc
	v_add_u32_e32 v44, v1, v8
	v_cndmask_b32_e64 v1, 0, v44, s[4:5]
	v_add_u32_e32 v45, v1, v6
	v_cndmask_b32_e64 v1, 0, v45, s[6:7]
	;; [unrolled: 2-line block ×11, first 2 shown]
	s_and_saveexec_b64 s[4:5], s[0:1]
	s_cbranch_execz .LBB1728_146
; %bb.145:
	ds_read_u8 v3, v28 offset:28
	ds_read_b32 v2, v28 offset:24
	s_add_u32 s0, s44, 0x400
	s_addc_u32 s1, s45, 0
	v_mov_b32_e32 v5, v28
	s_waitcnt lgkmcnt(1)
	v_cmp_eq_u16_e32 vcc, 0, v3
	v_cndmask_b32_e32 v4, 0, v32, vcc
	s_waitcnt lgkmcnt(0)
	v_add_u32_e32 v2, v4, v2
	v_and_b32_e32 v3, 0xffff, v3
	v_mov_b32_e32 v4, 2
	v_pk_mov_b32 v[6:7], s[0:1], s[0:1] op_sel:[0,1]
	;;#ASMSTART
	global_store_dwordx4 v[6:7], v[2:5] off	
s_waitcnt vmcnt(0)
	;;#ASMEND
	v_mov_b32_e32 v26, v32
.LBB1728_146:
	s_or_b64 exec, exec, s[4:5]
	v_add_u32_e32 v51, v1, v24
.LBB1728_147:
	s_add_u32 s0, s42, s34
	s_addc_u32 s1, s43, s35
	v_mov_b32_e32 v1, s1
	v_add_co_u32_e32 v18, vcc, s0, v38
	v_addc_co_u32_e32 v19, vcc, v1, v39, vcc
	v_mul_u32_u24_e32 v1, 14, v0
	s_and_b64 vcc, exec, s[2:3]
	v_lshlrev_b32_e32 v2, 2, v1
	s_cbranch_vccz .LBB1728_175
; %bb.148:
	s_movk_i32 s0, 0xffcc
	v_mad_i32_i24 v3, v0, s0, v2
	s_barrier
	ds_write2_b64 v2, v[26:27], v[44:45] offset1:1
	ds_write2_b64 v2, v[30:31], v[46:47] offset0:2 offset1:3
	ds_write2_b64 v2, v[34:35], v[48:49] offset0:4 offset1:5
	ds_write_b64 v2, v[50:51] offset:48
	s_waitcnt lgkmcnt(0)
	s_barrier
	ds_read2st64_b32 v[16:17], v3 offset0:4 offset1:8
	ds_read2st64_b32 v[14:15], v3 offset0:12 offset1:16
	;; [unrolled: 1-line block ×6, first 2 shown]
	ds_read_b32 v3, v3 offset:13312
	v_add_co_u32_e32 v4, vcc, v18, v52
	s_add_i32 s33, s33, s46
	v_addc_co_u32_e32 v5, vcc, 0, v19, vcc
	v_mov_b32_e32 v1, 0
	v_cmp_gt_u32_e32 vcc, s33, v0
	s_and_saveexec_b64 s[0:1], vcc
	s_cbranch_execz .LBB1728_150
; %bb.149:
	v_mul_i32_i24_e32 v20, 0xffffffcc, v0
	v_add_u32_e32 v20, v2, v20
	ds_read_b32 v20, v20
	s_waitcnt lgkmcnt(0)
	v_cvt_f32_i32_e32 v20, v20
	flat_store_dword v[4:5], v20
.LBB1728_150:
	s_or_b64 exec, exec, s[0:1]
	v_or_b32_e32 v20, 0x100, v0
	v_cmp_gt_u32_e32 vcc, s33, v20
	s_and_saveexec_b64 s[0:1], vcc
	s_cbranch_execz .LBB1728_152
; %bb.151:
	s_waitcnt lgkmcnt(0)
	v_cvt_f32_i32_e32 v16, v16
	flat_store_dword v[4:5], v16 offset:1024
.LBB1728_152:
	s_or_b64 exec, exec, s[0:1]
	s_waitcnt lgkmcnt(0)
	v_or_b32_e32 v16, 0x200, v0
	v_cmp_gt_u32_e32 vcc, s33, v16
	s_and_saveexec_b64 s[0:1], vcc
	s_cbranch_execz .LBB1728_154
; %bb.153:
	v_cvt_f32_i32_e32 v16, v17
	flat_store_dword v[4:5], v16 offset:2048
.LBB1728_154:
	s_or_b64 exec, exec, s[0:1]
	v_or_b32_e32 v16, 0x300, v0
	v_cmp_gt_u32_e32 vcc, s33, v16
	s_and_saveexec_b64 s[0:1], vcc
	s_cbranch_execz .LBB1728_156
; %bb.155:
	v_cvt_f32_i32_e32 v14, v14
	flat_store_dword v[4:5], v14 offset:3072
.LBB1728_156:
	s_or_b64 exec, exec, s[0:1]
	v_or_b32_e32 v14, 0x400, v0
	v_cmp_gt_u32_e32 vcc, s33, v14
	s_and_saveexec_b64 s[0:1], vcc
	s_cbranch_execz .LBB1728_158
; %bb.157:
	v_cvt_f32_i32_e32 v16, v15
	v_add_co_u32_e32 v14, vcc, 0x1000, v4
	v_addc_co_u32_e32 v15, vcc, 0, v5, vcc
	flat_store_dword v[14:15], v16
.LBB1728_158:
	s_or_b64 exec, exec, s[0:1]
	v_or_b32_e32 v14, 0x500, v0
	v_cmp_gt_u32_e32 vcc, s33, v14
	s_and_saveexec_b64 s[0:1], vcc
	s_cbranch_execz .LBB1728_160
; %bb.159:
	v_cvt_f32_i32_e32 v12, v12
	v_add_co_u32_e32 v14, vcc, 0x1000, v4
	v_addc_co_u32_e32 v15, vcc, 0, v5, vcc
	flat_store_dword v[14:15], v12 offset:1024
.LBB1728_160:
	s_or_b64 exec, exec, s[0:1]
	v_or_b32_e32 v12, 0x600, v0
	v_cmp_gt_u32_e32 vcc, s33, v12
	s_and_saveexec_b64 s[0:1], vcc
	s_cbranch_execz .LBB1728_162
; %bb.161:
	v_cvt_f32_i32_e32 v14, v13
	v_add_co_u32_e32 v12, vcc, 0x1000, v4
	v_addc_co_u32_e32 v13, vcc, 0, v5, vcc
	flat_store_dword v[12:13], v14 offset:2048
.LBB1728_162:
	s_or_b64 exec, exec, s[0:1]
	v_or_b32_e32 v12, 0x700, v0
	v_cmp_gt_u32_e32 vcc, s33, v12
	s_and_saveexec_b64 s[0:1], vcc
	s_cbranch_execz .LBB1728_164
; %bb.163:
	v_cvt_f32_i32_e32 v10, v10
	v_add_co_u32_e32 v12, vcc, 0x1000, v4
	v_addc_co_u32_e32 v13, vcc, 0, v5, vcc
	flat_store_dword v[12:13], v10 offset:3072
.LBB1728_164:
	s_or_b64 exec, exec, s[0:1]
	v_or_b32_e32 v10, 0x800, v0
	v_cmp_gt_u32_e32 vcc, s33, v10
	s_and_saveexec_b64 s[0:1], vcc
	s_cbranch_execz .LBB1728_166
; %bb.165:
	v_cvt_f32_i32_e32 v12, v11
	v_add_co_u32_e32 v10, vcc, 0x2000, v4
	v_addc_co_u32_e32 v11, vcc, 0, v5, vcc
	flat_store_dword v[10:11], v12
.LBB1728_166:
	s_or_b64 exec, exec, s[0:1]
	v_or_b32_e32 v10, 0x900, v0
	v_cmp_gt_u32_e32 vcc, s33, v10
	s_and_saveexec_b64 s[0:1], vcc
	s_cbranch_execz .LBB1728_168
; %bb.167:
	v_cvt_f32_i32_e32 v8, v8
	v_add_co_u32_e32 v10, vcc, 0x2000, v4
	v_addc_co_u32_e32 v11, vcc, 0, v5, vcc
	flat_store_dword v[10:11], v8 offset:1024
.LBB1728_168:
	s_or_b64 exec, exec, s[0:1]
	v_or_b32_e32 v8, 0xa00, v0
	v_cmp_gt_u32_e32 vcc, s33, v8
	s_and_saveexec_b64 s[0:1], vcc
	s_cbranch_execz .LBB1728_170
; %bb.169:
	v_cvt_f32_i32_e32 v10, v9
	v_add_co_u32_e32 v8, vcc, 0x2000, v4
	v_addc_co_u32_e32 v9, vcc, 0, v5, vcc
	flat_store_dword v[8:9], v10 offset:2048
.LBB1728_170:
	;; [unrolled: 11-line block ×3, first 2 shown]
	s_or_b64 exec, exec, s[0:1]
	v_or_b32_e32 v6, 0xc00, v0
	v_cmp_gt_u32_e32 vcc, s33, v6
	s_and_saveexec_b64 s[0:1], vcc
	s_cbranch_execz .LBB1728_174
; %bb.173:
	v_cvt_f32_i32_e32 v6, v7
	v_add_co_u32_e32 v4, vcc, 0x3000, v4
	v_addc_co_u32_e32 v5, vcc, 0, v5, vcc
	flat_store_dword v[4:5], v6
.LBB1728_174:
	s_or_b64 exec, exec, s[0:1]
	v_or_b32_e32 v4, 0xd00, v0
	v_cmp_gt_u32_e64 s[0:1], s33, v4
	s_branch .LBB1728_177
.LBB1728_175:
	s_mov_b64 s[0:1], 0
                                        ; implicit-def: $vgpr3
	s_cbranch_execz .LBB1728_177
; %bb.176:
	s_movk_i32 s2, 0xffcc
	s_waitcnt lgkmcnt(0)
	s_barrier
	ds_write2_b64 v2, v[26:27], v[44:45] offset1:1
	ds_write2_b64 v2, v[30:31], v[46:47] offset0:2 offset1:3
	ds_write2_b64 v2, v[34:35], v[48:49] offset0:4 offset1:5
	ds_write_b64 v2, v[50:51] offset:48
	v_mad_i32_i24 v2, v0, s2, v2
	s_waitcnt lgkmcnt(0)
	s_barrier
	ds_read2st64_b32 v[4:5], v2 offset1:4
	ds_read2st64_b32 v[6:7], v2 offset0:8 offset1:12
	ds_read2st64_b32 v[8:9], v2 offset0:16 offset1:20
	ds_read2st64_b32 v[10:11], v2 offset0:24 offset1:28
	ds_read2st64_b32 v[12:13], v2 offset0:32 offset1:36
	ds_read2st64_b32 v[14:15], v2 offset0:40 offset1:44
	ds_read2st64_b32 v[2:3], v2 offset0:48 offset1:52
	s_waitcnt lgkmcnt(0)
	v_cvt_f32_i32_e32 v4, v4
	v_cvt_f32_i32_e32 v5, v5
	v_add_co_u32_e32 v16, vcc, v18, v52
	v_cvt_f32_i32_e32 v6, v6
	v_addc_co_u32_e32 v17, vcc, 0, v19, vcc
	v_cvt_f32_i32_e32 v7, v7
	flat_store_dword v[16:17], v4
	flat_store_dword v[16:17], v5 offset:1024
	flat_store_dword v[16:17], v6 offset:2048
	;; [unrolled: 1-line block ×3, first 2 shown]
	v_cvt_f32_i32_e32 v6, v8
	s_movk_i32 s2, 0x1000
	v_cvt_f32_i32_e32 v7, v9
	v_add_co_u32_e32 v4, vcc, s2, v16
	v_cvt_f32_i32_e32 v8, v10
	v_addc_co_u32_e32 v5, vcc, 0, v17, vcc
	v_cvt_f32_i32_e32 v9, v11
	flat_store_dword v[4:5], v6
	flat_store_dword v[4:5], v7 offset:1024
	flat_store_dword v[4:5], v8 offset:2048
	;; [unrolled: 1-line block ×3, first 2 shown]
	v_cvt_f32_i32_e32 v6, v12
	s_movk_i32 s2, 0x2000
	v_cvt_f32_i32_e32 v7, v13
	v_add_co_u32_e32 v4, vcc, s2, v16
	v_cvt_f32_i32_e32 v8, v14
	v_cvt_f32_i32_e32 v2, v2
	v_addc_co_u32_e32 v5, vcc, 0, v17, vcc
	v_cvt_f32_i32_e32 v9, v15
	flat_store_dword v[4:5], v6
	flat_store_dword v[4:5], v7 offset:1024
	flat_store_dword v[4:5], v8 offset:2048
	;; [unrolled: 1-line block ×3, first 2 shown]
	v_add_co_u32_e32 v4, vcc, 0x3000, v16
	v_mov_b32_e32 v1, 0
	v_addc_co_u32_e32 v5, vcc, 0, v17, vcc
	s_or_b64 s[0:1], s[0:1], exec
	flat_store_dword v[4:5], v2
.LBB1728_177:
	s_and_saveexec_b64 s[2:3], s[0:1]
	s_cbranch_execz .LBB1728_179
; %bb.178:
	v_lshlrev_b64 v[0:1], 2, v[0:1]
	v_add_co_u32_e32 v0, vcc, v18, v0
	v_cvt_f32_i32_e32 v2, v3
	v_addc_co_u32_e32 v1, vcc, v19, v1, vcc
	v_add_co_u32_e32 v0, vcc, 0x3000, v0
	v_addc_co_u32_e32 v1, vcc, 0, v1, vcc
	flat_store_dword v[0:1], v2 offset:1024
	s_endpgm
.LBB1728_179:
	s_endpgm
	.section	.rodata,"a",@progbits
	.p2align	6, 0x0
	.amdhsa_kernel _ZN7rocprim17ROCPRIM_400000_NS6detail17trampoline_kernelINS0_14default_configENS1_27scan_by_key_config_selectorIiiEEZZNS1_16scan_by_key_implILNS1_25lookback_scan_determinismE0ELb1ES3_N6thrust23THRUST_200600_302600_NS6detail15normal_iteratorINS9_10device_ptrIiEEEENSB_INSC_IjEEEENSB_INSC_IfEEEEiNS9_4plusIvEENS9_8equal_toIvEEiEE10hipError_tPvRmT2_T3_T4_T5_mT6_T7_P12ihipStream_tbENKUlT_T0_E_clISt17integral_constantIbLb1EES13_EEDaSY_SZ_EUlSY_E_NS1_11comp_targetILNS1_3genE4ELNS1_11target_archE910ELNS1_3gpuE8ELNS1_3repE0EEENS1_30default_config_static_selectorELNS0_4arch9wavefront6targetE1EEEvT1_
		.amdhsa_group_segment_fixed_size 16384
		.amdhsa_private_segment_fixed_size 0
		.amdhsa_kernarg_size 112
		.amdhsa_user_sgpr_count 6
		.amdhsa_user_sgpr_private_segment_buffer 1
		.amdhsa_user_sgpr_dispatch_ptr 0
		.amdhsa_user_sgpr_queue_ptr 0
		.amdhsa_user_sgpr_kernarg_segment_ptr 1
		.amdhsa_user_sgpr_dispatch_id 0
		.amdhsa_user_sgpr_flat_scratch_init 0
		.amdhsa_user_sgpr_kernarg_preload_length 0
		.amdhsa_user_sgpr_kernarg_preload_offset 0
		.amdhsa_user_sgpr_private_segment_size 0
		.amdhsa_uses_dynamic_stack 0
		.amdhsa_system_sgpr_private_segment_wavefront_offset 0
		.amdhsa_system_sgpr_workgroup_id_x 1
		.amdhsa_system_sgpr_workgroup_id_y 0
		.amdhsa_system_sgpr_workgroup_id_z 0
		.amdhsa_system_sgpr_workgroup_info 0
		.amdhsa_system_vgpr_workitem_id 0
		.amdhsa_next_free_vgpr 67
		.amdhsa_next_free_sgpr 60
		.amdhsa_accum_offset 68
		.amdhsa_reserve_vcc 1
		.amdhsa_reserve_flat_scratch 0
		.amdhsa_float_round_mode_32 0
		.amdhsa_float_round_mode_16_64 0
		.amdhsa_float_denorm_mode_32 3
		.amdhsa_float_denorm_mode_16_64 3
		.amdhsa_dx10_clamp 1
		.amdhsa_ieee_mode 1
		.amdhsa_fp16_overflow 0
		.amdhsa_tg_split 0
		.amdhsa_exception_fp_ieee_invalid_op 0
		.amdhsa_exception_fp_denorm_src 0
		.amdhsa_exception_fp_ieee_div_zero 0
		.amdhsa_exception_fp_ieee_overflow 0
		.amdhsa_exception_fp_ieee_underflow 0
		.amdhsa_exception_fp_ieee_inexact 0
		.amdhsa_exception_int_div_zero 0
	.end_amdhsa_kernel
	.section	.text._ZN7rocprim17ROCPRIM_400000_NS6detail17trampoline_kernelINS0_14default_configENS1_27scan_by_key_config_selectorIiiEEZZNS1_16scan_by_key_implILNS1_25lookback_scan_determinismE0ELb1ES3_N6thrust23THRUST_200600_302600_NS6detail15normal_iteratorINS9_10device_ptrIiEEEENSB_INSC_IjEEEENSB_INSC_IfEEEEiNS9_4plusIvEENS9_8equal_toIvEEiEE10hipError_tPvRmT2_T3_T4_T5_mT6_T7_P12ihipStream_tbENKUlT_T0_E_clISt17integral_constantIbLb1EES13_EEDaSY_SZ_EUlSY_E_NS1_11comp_targetILNS1_3genE4ELNS1_11target_archE910ELNS1_3gpuE8ELNS1_3repE0EEENS1_30default_config_static_selectorELNS0_4arch9wavefront6targetE1EEEvT1_,"axG",@progbits,_ZN7rocprim17ROCPRIM_400000_NS6detail17trampoline_kernelINS0_14default_configENS1_27scan_by_key_config_selectorIiiEEZZNS1_16scan_by_key_implILNS1_25lookback_scan_determinismE0ELb1ES3_N6thrust23THRUST_200600_302600_NS6detail15normal_iteratorINS9_10device_ptrIiEEEENSB_INSC_IjEEEENSB_INSC_IfEEEEiNS9_4plusIvEENS9_8equal_toIvEEiEE10hipError_tPvRmT2_T3_T4_T5_mT6_T7_P12ihipStream_tbENKUlT_T0_E_clISt17integral_constantIbLb1EES13_EEDaSY_SZ_EUlSY_E_NS1_11comp_targetILNS1_3genE4ELNS1_11target_archE910ELNS1_3gpuE8ELNS1_3repE0EEENS1_30default_config_static_selectorELNS0_4arch9wavefront6targetE1EEEvT1_,comdat
.Lfunc_end1728:
	.size	_ZN7rocprim17ROCPRIM_400000_NS6detail17trampoline_kernelINS0_14default_configENS1_27scan_by_key_config_selectorIiiEEZZNS1_16scan_by_key_implILNS1_25lookback_scan_determinismE0ELb1ES3_N6thrust23THRUST_200600_302600_NS6detail15normal_iteratorINS9_10device_ptrIiEEEENSB_INSC_IjEEEENSB_INSC_IfEEEEiNS9_4plusIvEENS9_8equal_toIvEEiEE10hipError_tPvRmT2_T3_T4_T5_mT6_T7_P12ihipStream_tbENKUlT_T0_E_clISt17integral_constantIbLb1EES13_EEDaSY_SZ_EUlSY_E_NS1_11comp_targetILNS1_3genE4ELNS1_11target_archE910ELNS1_3gpuE8ELNS1_3repE0EEENS1_30default_config_static_selectorELNS0_4arch9wavefront6targetE1EEEvT1_, .Lfunc_end1728-_ZN7rocprim17ROCPRIM_400000_NS6detail17trampoline_kernelINS0_14default_configENS1_27scan_by_key_config_selectorIiiEEZZNS1_16scan_by_key_implILNS1_25lookback_scan_determinismE0ELb1ES3_N6thrust23THRUST_200600_302600_NS6detail15normal_iteratorINS9_10device_ptrIiEEEENSB_INSC_IjEEEENSB_INSC_IfEEEEiNS9_4plusIvEENS9_8equal_toIvEEiEE10hipError_tPvRmT2_T3_T4_T5_mT6_T7_P12ihipStream_tbENKUlT_T0_E_clISt17integral_constantIbLb1EES13_EEDaSY_SZ_EUlSY_E_NS1_11comp_targetILNS1_3genE4ELNS1_11target_archE910ELNS1_3gpuE8ELNS1_3repE0EEENS1_30default_config_static_selectorELNS0_4arch9wavefront6targetE1EEEvT1_
                                        ; -- End function
	.section	.AMDGPU.csdata,"",@progbits
; Kernel info:
; codeLenInByte = 11396
; NumSgprs: 64
; NumVgprs: 67
; NumAgprs: 0
; TotalNumVgprs: 67
; ScratchSize: 0
; MemoryBound: 0
; FloatMode: 240
; IeeeMode: 1
; LDSByteSize: 16384 bytes/workgroup (compile time only)
; SGPRBlocks: 7
; VGPRBlocks: 8
; NumSGPRsForWavesPerEU: 64
; NumVGPRsForWavesPerEU: 67
; AccumOffset: 68
; Occupancy: 4
; WaveLimiterHint : 1
; COMPUTE_PGM_RSRC2:SCRATCH_EN: 0
; COMPUTE_PGM_RSRC2:USER_SGPR: 6
; COMPUTE_PGM_RSRC2:TRAP_HANDLER: 0
; COMPUTE_PGM_RSRC2:TGID_X_EN: 1
; COMPUTE_PGM_RSRC2:TGID_Y_EN: 0
; COMPUTE_PGM_RSRC2:TGID_Z_EN: 0
; COMPUTE_PGM_RSRC2:TIDIG_COMP_CNT: 0
; COMPUTE_PGM_RSRC3_GFX90A:ACCUM_OFFSET: 16
; COMPUTE_PGM_RSRC3_GFX90A:TG_SPLIT: 0
	.section	.text._ZN7rocprim17ROCPRIM_400000_NS6detail17trampoline_kernelINS0_14default_configENS1_27scan_by_key_config_selectorIiiEEZZNS1_16scan_by_key_implILNS1_25lookback_scan_determinismE0ELb1ES3_N6thrust23THRUST_200600_302600_NS6detail15normal_iteratorINS9_10device_ptrIiEEEENSB_INSC_IjEEEENSB_INSC_IfEEEEiNS9_4plusIvEENS9_8equal_toIvEEiEE10hipError_tPvRmT2_T3_T4_T5_mT6_T7_P12ihipStream_tbENKUlT_T0_E_clISt17integral_constantIbLb1EES13_EEDaSY_SZ_EUlSY_E_NS1_11comp_targetILNS1_3genE3ELNS1_11target_archE908ELNS1_3gpuE7ELNS1_3repE0EEENS1_30default_config_static_selectorELNS0_4arch9wavefront6targetE1EEEvT1_,"axG",@progbits,_ZN7rocprim17ROCPRIM_400000_NS6detail17trampoline_kernelINS0_14default_configENS1_27scan_by_key_config_selectorIiiEEZZNS1_16scan_by_key_implILNS1_25lookback_scan_determinismE0ELb1ES3_N6thrust23THRUST_200600_302600_NS6detail15normal_iteratorINS9_10device_ptrIiEEEENSB_INSC_IjEEEENSB_INSC_IfEEEEiNS9_4plusIvEENS9_8equal_toIvEEiEE10hipError_tPvRmT2_T3_T4_T5_mT6_T7_P12ihipStream_tbENKUlT_T0_E_clISt17integral_constantIbLb1EES13_EEDaSY_SZ_EUlSY_E_NS1_11comp_targetILNS1_3genE3ELNS1_11target_archE908ELNS1_3gpuE7ELNS1_3repE0EEENS1_30default_config_static_selectorELNS0_4arch9wavefront6targetE1EEEvT1_,comdat
	.protected	_ZN7rocprim17ROCPRIM_400000_NS6detail17trampoline_kernelINS0_14default_configENS1_27scan_by_key_config_selectorIiiEEZZNS1_16scan_by_key_implILNS1_25lookback_scan_determinismE0ELb1ES3_N6thrust23THRUST_200600_302600_NS6detail15normal_iteratorINS9_10device_ptrIiEEEENSB_INSC_IjEEEENSB_INSC_IfEEEEiNS9_4plusIvEENS9_8equal_toIvEEiEE10hipError_tPvRmT2_T3_T4_T5_mT6_T7_P12ihipStream_tbENKUlT_T0_E_clISt17integral_constantIbLb1EES13_EEDaSY_SZ_EUlSY_E_NS1_11comp_targetILNS1_3genE3ELNS1_11target_archE908ELNS1_3gpuE7ELNS1_3repE0EEENS1_30default_config_static_selectorELNS0_4arch9wavefront6targetE1EEEvT1_ ; -- Begin function _ZN7rocprim17ROCPRIM_400000_NS6detail17trampoline_kernelINS0_14default_configENS1_27scan_by_key_config_selectorIiiEEZZNS1_16scan_by_key_implILNS1_25lookback_scan_determinismE0ELb1ES3_N6thrust23THRUST_200600_302600_NS6detail15normal_iteratorINS9_10device_ptrIiEEEENSB_INSC_IjEEEENSB_INSC_IfEEEEiNS9_4plusIvEENS9_8equal_toIvEEiEE10hipError_tPvRmT2_T3_T4_T5_mT6_T7_P12ihipStream_tbENKUlT_T0_E_clISt17integral_constantIbLb1EES13_EEDaSY_SZ_EUlSY_E_NS1_11comp_targetILNS1_3genE3ELNS1_11target_archE908ELNS1_3gpuE7ELNS1_3repE0EEENS1_30default_config_static_selectorELNS0_4arch9wavefront6targetE1EEEvT1_
	.globl	_ZN7rocprim17ROCPRIM_400000_NS6detail17trampoline_kernelINS0_14default_configENS1_27scan_by_key_config_selectorIiiEEZZNS1_16scan_by_key_implILNS1_25lookback_scan_determinismE0ELb1ES3_N6thrust23THRUST_200600_302600_NS6detail15normal_iteratorINS9_10device_ptrIiEEEENSB_INSC_IjEEEENSB_INSC_IfEEEEiNS9_4plusIvEENS9_8equal_toIvEEiEE10hipError_tPvRmT2_T3_T4_T5_mT6_T7_P12ihipStream_tbENKUlT_T0_E_clISt17integral_constantIbLb1EES13_EEDaSY_SZ_EUlSY_E_NS1_11comp_targetILNS1_3genE3ELNS1_11target_archE908ELNS1_3gpuE7ELNS1_3repE0EEENS1_30default_config_static_selectorELNS0_4arch9wavefront6targetE1EEEvT1_
	.p2align	8
	.type	_ZN7rocprim17ROCPRIM_400000_NS6detail17trampoline_kernelINS0_14default_configENS1_27scan_by_key_config_selectorIiiEEZZNS1_16scan_by_key_implILNS1_25lookback_scan_determinismE0ELb1ES3_N6thrust23THRUST_200600_302600_NS6detail15normal_iteratorINS9_10device_ptrIiEEEENSB_INSC_IjEEEENSB_INSC_IfEEEEiNS9_4plusIvEENS9_8equal_toIvEEiEE10hipError_tPvRmT2_T3_T4_T5_mT6_T7_P12ihipStream_tbENKUlT_T0_E_clISt17integral_constantIbLb1EES13_EEDaSY_SZ_EUlSY_E_NS1_11comp_targetILNS1_3genE3ELNS1_11target_archE908ELNS1_3gpuE7ELNS1_3repE0EEENS1_30default_config_static_selectorELNS0_4arch9wavefront6targetE1EEEvT1_,@function
_ZN7rocprim17ROCPRIM_400000_NS6detail17trampoline_kernelINS0_14default_configENS1_27scan_by_key_config_selectorIiiEEZZNS1_16scan_by_key_implILNS1_25lookback_scan_determinismE0ELb1ES3_N6thrust23THRUST_200600_302600_NS6detail15normal_iteratorINS9_10device_ptrIiEEEENSB_INSC_IjEEEENSB_INSC_IfEEEEiNS9_4plusIvEENS9_8equal_toIvEEiEE10hipError_tPvRmT2_T3_T4_T5_mT6_T7_P12ihipStream_tbENKUlT_T0_E_clISt17integral_constantIbLb1EES13_EEDaSY_SZ_EUlSY_E_NS1_11comp_targetILNS1_3genE3ELNS1_11target_archE908ELNS1_3gpuE7ELNS1_3repE0EEENS1_30default_config_static_selectorELNS0_4arch9wavefront6targetE1EEEvT1_: ; @_ZN7rocprim17ROCPRIM_400000_NS6detail17trampoline_kernelINS0_14default_configENS1_27scan_by_key_config_selectorIiiEEZZNS1_16scan_by_key_implILNS1_25lookback_scan_determinismE0ELb1ES3_N6thrust23THRUST_200600_302600_NS6detail15normal_iteratorINS9_10device_ptrIiEEEENSB_INSC_IjEEEENSB_INSC_IfEEEEiNS9_4plusIvEENS9_8equal_toIvEEiEE10hipError_tPvRmT2_T3_T4_T5_mT6_T7_P12ihipStream_tbENKUlT_T0_E_clISt17integral_constantIbLb1EES13_EEDaSY_SZ_EUlSY_E_NS1_11comp_targetILNS1_3genE3ELNS1_11target_archE908ELNS1_3gpuE7ELNS1_3repE0EEENS1_30default_config_static_selectorELNS0_4arch9wavefront6targetE1EEEvT1_
; %bb.0:
	.section	.rodata,"a",@progbits
	.p2align	6, 0x0
	.amdhsa_kernel _ZN7rocprim17ROCPRIM_400000_NS6detail17trampoline_kernelINS0_14default_configENS1_27scan_by_key_config_selectorIiiEEZZNS1_16scan_by_key_implILNS1_25lookback_scan_determinismE0ELb1ES3_N6thrust23THRUST_200600_302600_NS6detail15normal_iteratorINS9_10device_ptrIiEEEENSB_INSC_IjEEEENSB_INSC_IfEEEEiNS9_4plusIvEENS9_8equal_toIvEEiEE10hipError_tPvRmT2_T3_T4_T5_mT6_T7_P12ihipStream_tbENKUlT_T0_E_clISt17integral_constantIbLb1EES13_EEDaSY_SZ_EUlSY_E_NS1_11comp_targetILNS1_3genE3ELNS1_11target_archE908ELNS1_3gpuE7ELNS1_3repE0EEENS1_30default_config_static_selectorELNS0_4arch9wavefront6targetE1EEEvT1_
		.amdhsa_group_segment_fixed_size 0
		.amdhsa_private_segment_fixed_size 0
		.amdhsa_kernarg_size 112
		.amdhsa_user_sgpr_count 6
		.amdhsa_user_sgpr_private_segment_buffer 1
		.amdhsa_user_sgpr_dispatch_ptr 0
		.amdhsa_user_sgpr_queue_ptr 0
		.amdhsa_user_sgpr_kernarg_segment_ptr 1
		.amdhsa_user_sgpr_dispatch_id 0
		.amdhsa_user_sgpr_flat_scratch_init 0
		.amdhsa_user_sgpr_kernarg_preload_length 0
		.amdhsa_user_sgpr_kernarg_preload_offset 0
		.amdhsa_user_sgpr_private_segment_size 0
		.amdhsa_uses_dynamic_stack 0
		.amdhsa_system_sgpr_private_segment_wavefront_offset 0
		.amdhsa_system_sgpr_workgroup_id_x 1
		.amdhsa_system_sgpr_workgroup_id_y 0
		.amdhsa_system_sgpr_workgroup_id_z 0
		.amdhsa_system_sgpr_workgroup_info 0
		.amdhsa_system_vgpr_workitem_id 0
		.amdhsa_next_free_vgpr 1
		.amdhsa_next_free_sgpr 0
		.amdhsa_accum_offset 4
		.amdhsa_reserve_vcc 0
		.amdhsa_reserve_flat_scratch 0
		.amdhsa_float_round_mode_32 0
		.amdhsa_float_round_mode_16_64 0
		.amdhsa_float_denorm_mode_32 3
		.amdhsa_float_denorm_mode_16_64 3
		.amdhsa_dx10_clamp 1
		.amdhsa_ieee_mode 1
		.amdhsa_fp16_overflow 0
		.amdhsa_tg_split 0
		.amdhsa_exception_fp_ieee_invalid_op 0
		.amdhsa_exception_fp_denorm_src 0
		.amdhsa_exception_fp_ieee_div_zero 0
		.amdhsa_exception_fp_ieee_overflow 0
		.amdhsa_exception_fp_ieee_underflow 0
		.amdhsa_exception_fp_ieee_inexact 0
		.amdhsa_exception_int_div_zero 0
	.end_amdhsa_kernel
	.section	.text._ZN7rocprim17ROCPRIM_400000_NS6detail17trampoline_kernelINS0_14default_configENS1_27scan_by_key_config_selectorIiiEEZZNS1_16scan_by_key_implILNS1_25lookback_scan_determinismE0ELb1ES3_N6thrust23THRUST_200600_302600_NS6detail15normal_iteratorINS9_10device_ptrIiEEEENSB_INSC_IjEEEENSB_INSC_IfEEEEiNS9_4plusIvEENS9_8equal_toIvEEiEE10hipError_tPvRmT2_T3_T4_T5_mT6_T7_P12ihipStream_tbENKUlT_T0_E_clISt17integral_constantIbLb1EES13_EEDaSY_SZ_EUlSY_E_NS1_11comp_targetILNS1_3genE3ELNS1_11target_archE908ELNS1_3gpuE7ELNS1_3repE0EEENS1_30default_config_static_selectorELNS0_4arch9wavefront6targetE1EEEvT1_,"axG",@progbits,_ZN7rocprim17ROCPRIM_400000_NS6detail17trampoline_kernelINS0_14default_configENS1_27scan_by_key_config_selectorIiiEEZZNS1_16scan_by_key_implILNS1_25lookback_scan_determinismE0ELb1ES3_N6thrust23THRUST_200600_302600_NS6detail15normal_iteratorINS9_10device_ptrIiEEEENSB_INSC_IjEEEENSB_INSC_IfEEEEiNS9_4plusIvEENS9_8equal_toIvEEiEE10hipError_tPvRmT2_T3_T4_T5_mT6_T7_P12ihipStream_tbENKUlT_T0_E_clISt17integral_constantIbLb1EES13_EEDaSY_SZ_EUlSY_E_NS1_11comp_targetILNS1_3genE3ELNS1_11target_archE908ELNS1_3gpuE7ELNS1_3repE0EEENS1_30default_config_static_selectorELNS0_4arch9wavefront6targetE1EEEvT1_,comdat
.Lfunc_end1729:
	.size	_ZN7rocprim17ROCPRIM_400000_NS6detail17trampoline_kernelINS0_14default_configENS1_27scan_by_key_config_selectorIiiEEZZNS1_16scan_by_key_implILNS1_25lookback_scan_determinismE0ELb1ES3_N6thrust23THRUST_200600_302600_NS6detail15normal_iteratorINS9_10device_ptrIiEEEENSB_INSC_IjEEEENSB_INSC_IfEEEEiNS9_4plusIvEENS9_8equal_toIvEEiEE10hipError_tPvRmT2_T3_T4_T5_mT6_T7_P12ihipStream_tbENKUlT_T0_E_clISt17integral_constantIbLb1EES13_EEDaSY_SZ_EUlSY_E_NS1_11comp_targetILNS1_3genE3ELNS1_11target_archE908ELNS1_3gpuE7ELNS1_3repE0EEENS1_30default_config_static_selectorELNS0_4arch9wavefront6targetE1EEEvT1_, .Lfunc_end1729-_ZN7rocprim17ROCPRIM_400000_NS6detail17trampoline_kernelINS0_14default_configENS1_27scan_by_key_config_selectorIiiEEZZNS1_16scan_by_key_implILNS1_25lookback_scan_determinismE0ELb1ES3_N6thrust23THRUST_200600_302600_NS6detail15normal_iteratorINS9_10device_ptrIiEEEENSB_INSC_IjEEEENSB_INSC_IfEEEEiNS9_4plusIvEENS9_8equal_toIvEEiEE10hipError_tPvRmT2_T3_T4_T5_mT6_T7_P12ihipStream_tbENKUlT_T0_E_clISt17integral_constantIbLb1EES13_EEDaSY_SZ_EUlSY_E_NS1_11comp_targetILNS1_3genE3ELNS1_11target_archE908ELNS1_3gpuE7ELNS1_3repE0EEENS1_30default_config_static_selectorELNS0_4arch9wavefront6targetE1EEEvT1_
                                        ; -- End function
	.section	.AMDGPU.csdata,"",@progbits
; Kernel info:
; codeLenInByte = 0
; NumSgprs: 4
; NumVgprs: 0
; NumAgprs: 0
; TotalNumVgprs: 0
; ScratchSize: 0
; MemoryBound: 0
; FloatMode: 240
; IeeeMode: 1
; LDSByteSize: 0 bytes/workgroup (compile time only)
; SGPRBlocks: 0
; VGPRBlocks: 0
; NumSGPRsForWavesPerEU: 4
; NumVGPRsForWavesPerEU: 1
; AccumOffset: 4
; Occupancy: 8
; WaveLimiterHint : 0
; COMPUTE_PGM_RSRC2:SCRATCH_EN: 0
; COMPUTE_PGM_RSRC2:USER_SGPR: 6
; COMPUTE_PGM_RSRC2:TRAP_HANDLER: 0
; COMPUTE_PGM_RSRC2:TGID_X_EN: 1
; COMPUTE_PGM_RSRC2:TGID_Y_EN: 0
; COMPUTE_PGM_RSRC2:TGID_Z_EN: 0
; COMPUTE_PGM_RSRC2:TIDIG_COMP_CNT: 0
; COMPUTE_PGM_RSRC3_GFX90A:ACCUM_OFFSET: 0
; COMPUTE_PGM_RSRC3_GFX90A:TG_SPLIT: 0
	.section	.text._ZN7rocprim17ROCPRIM_400000_NS6detail17trampoline_kernelINS0_14default_configENS1_27scan_by_key_config_selectorIiiEEZZNS1_16scan_by_key_implILNS1_25lookback_scan_determinismE0ELb1ES3_N6thrust23THRUST_200600_302600_NS6detail15normal_iteratorINS9_10device_ptrIiEEEENSB_INSC_IjEEEENSB_INSC_IfEEEEiNS9_4plusIvEENS9_8equal_toIvEEiEE10hipError_tPvRmT2_T3_T4_T5_mT6_T7_P12ihipStream_tbENKUlT_T0_E_clISt17integral_constantIbLb1EES13_EEDaSY_SZ_EUlSY_E_NS1_11comp_targetILNS1_3genE2ELNS1_11target_archE906ELNS1_3gpuE6ELNS1_3repE0EEENS1_30default_config_static_selectorELNS0_4arch9wavefront6targetE1EEEvT1_,"axG",@progbits,_ZN7rocprim17ROCPRIM_400000_NS6detail17trampoline_kernelINS0_14default_configENS1_27scan_by_key_config_selectorIiiEEZZNS1_16scan_by_key_implILNS1_25lookback_scan_determinismE0ELb1ES3_N6thrust23THRUST_200600_302600_NS6detail15normal_iteratorINS9_10device_ptrIiEEEENSB_INSC_IjEEEENSB_INSC_IfEEEEiNS9_4plusIvEENS9_8equal_toIvEEiEE10hipError_tPvRmT2_T3_T4_T5_mT6_T7_P12ihipStream_tbENKUlT_T0_E_clISt17integral_constantIbLb1EES13_EEDaSY_SZ_EUlSY_E_NS1_11comp_targetILNS1_3genE2ELNS1_11target_archE906ELNS1_3gpuE6ELNS1_3repE0EEENS1_30default_config_static_selectorELNS0_4arch9wavefront6targetE1EEEvT1_,comdat
	.protected	_ZN7rocprim17ROCPRIM_400000_NS6detail17trampoline_kernelINS0_14default_configENS1_27scan_by_key_config_selectorIiiEEZZNS1_16scan_by_key_implILNS1_25lookback_scan_determinismE0ELb1ES3_N6thrust23THRUST_200600_302600_NS6detail15normal_iteratorINS9_10device_ptrIiEEEENSB_INSC_IjEEEENSB_INSC_IfEEEEiNS9_4plusIvEENS9_8equal_toIvEEiEE10hipError_tPvRmT2_T3_T4_T5_mT6_T7_P12ihipStream_tbENKUlT_T0_E_clISt17integral_constantIbLb1EES13_EEDaSY_SZ_EUlSY_E_NS1_11comp_targetILNS1_3genE2ELNS1_11target_archE906ELNS1_3gpuE6ELNS1_3repE0EEENS1_30default_config_static_selectorELNS0_4arch9wavefront6targetE1EEEvT1_ ; -- Begin function _ZN7rocprim17ROCPRIM_400000_NS6detail17trampoline_kernelINS0_14default_configENS1_27scan_by_key_config_selectorIiiEEZZNS1_16scan_by_key_implILNS1_25lookback_scan_determinismE0ELb1ES3_N6thrust23THRUST_200600_302600_NS6detail15normal_iteratorINS9_10device_ptrIiEEEENSB_INSC_IjEEEENSB_INSC_IfEEEEiNS9_4plusIvEENS9_8equal_toIvEEiEE10hipError_tPvRmT2_T3_T4_T5_mT6_T7_P12ihipStream_tbENKUlT_T0_E_clISt17integral_constantIbLb1EES13_EEDaSY_SZ_EUlSY_E_NS1_11comp_targetILNS1_3genE2ELNS1_11target_archE906ELNS1_3gpuE6ELNS1_3repE0EEENS1_30default_config_static_selectorELNS0_4arch9wavefront6targetE1EEEvT1_
	.globl	_ZN7rocprim17ROCPRIM_400000_NS6detail17trampoline_kernelINS0_14default_configENS1_27scan_by_key_config_selectorIiiEEZZNS1_16scan_by_key_implILNS1_25lookback_scan_determinismE0ELb1ES3_N6thrust23THRUST_200600_302600_NS6detail15normal_iteratorINS9_10device_ptrIiEEEENSB_INSC_IjEEEENSB_INSC_IfEEEEiNS9_4plusIvEENS9_8equal_toIvEEiEE10hipError_tPvRmT2_T3_T4_T5_mT6_T7_P12ihipStream_tbENKUlT_T0_E_clISt17integral_constantIbLb1EES13_EEDaSY_SZ_EUlSY_E_NS1_11comp_targetILNS1_3genE2ELNS1_11target_archE906ELNS1_3gpuE6ELNS1_3repE0EEENS1_30default_config_static_selectorELNS0_4arch9wavefront6targetE1EEEvT1_
	.p2align	8
	.type	_ZN7rocprim17ROCPRIM_400000_NS6detail17trampoline_kernelINS0_14default_configENS1_27scan_by_key_config_selectorIiiEEZZNS1_16scan_by_key_implILNS1_25lookback_scan_determinismE0ELb1ES3_N6thrust23THRUST_200600_302600_NS6detail15normal_iteratorINS9_10device_ptrIiEEEENSB_INSC_IjEEEENSB_INSC_IfEEEEiNS9_4plusIvEENS9_8equal_toIvEEiEE10hipError_tPvRmT2_T3_T4_T5_mT6_T7_P12ihipStream_tbENKUlT_T0_E_clISt17integral_constantIbLb1EES13_EEDaSY_SZ_EUlSY_E_NS1_11comp_targetILNS1_3genE2ELNS1_11target_archE906ELNS1_3gpuE6ELNS1_3repE0EEENS1_30default_config_static_selectorELNS0_4arch9wavefront6targetE1EEEvT1_,@function
_ZN7rocprim17ROCPRIM_400000_NS6detail17trampoline_kernelINS0_14default_configENS1_27scan_by_key_config_selectorIiiEEZZNS1_16scan_by_key_implILNS1_25lookback_scan_determinismE0ELb1ES3_N6thrust23THRUST_200600_302600_NS6detail15normal_iteratorINS9_10device_ptrIiEEEENSB_INSC_IjEEEENSB_INSC_IfEEEEiNS9_4plusIvEENS9_8equal_toIvEEiEE10hipError_tPvRmT2_T3_T4_T5_mT6_T7_P12ihipStream_tbENKUlT_T0_E_clISt17integral_constantIbLb1EES13_EEDaSY_SZ_EUlSY_E_NS1_11comp_targetILNS1_3genE2ELNS1_11target_archE906ELNS1_3gpuE6ELNS1_3repE0EEENS1_30default_config_static_selectorELNS0_4arch9wavefront6targetE1EEEvT1_: ; @_ZN7rocprim17ROCPRIM_400000_NS6detail17trampoline_kernelINS0_14default_configENS1_27scan_by_key_config_selectorIiiEEZZNS1_16scan_by_key_implILNS1_25lookback_scan_determinismE0ELb1ES3_N6thrust23THRUST_200600_302600_NS6detail15normal_iteratorINS9_10device_ptrIiEEEENSB_INSC_IjEEEENSB_INSC_IfEEEEiNS9_4plusIvEENS9_8equal_toIvEEiEE10hipError_tPvRmT2_T3_T4_T5_mT6_T7_P12ihipStream_tbENKUlT_T0_E_clISt17integral_constantIbLb1EES13_EEDaSY_SZ_EUlSY_E_NS1_11comp_targetILNS1_3genE2ELNS1_11target_archE906ELNS1_3gpuE6ELNS1_3repE0EEENS1_30default_config_static_selectorELNS0_4arch9wavefront6targetE1EEEvT1_
; %bb.0:
	.section	.rodata,"a",@progbits
	.p2align	6, 0x0
	.amdhsa_kernel _ZN7rocprim17ROCPRIM_400000_NS6detail17trampoline_kernelINS0_14default_configENS1_27scan_by_key_config_selectorIiiEEZZNS1_16scan_by_key_implILNS1_25lookback_scan_determinismE0ELb1ES3_N6thrust23THRUST_200600_302600_NS6detail15normal_iteratorINS9_10device_ptrIiEEEENSB_INSC_IjEEEENSB_INSC_IfEEEEiNS9_4plusIvEENS9_8equal_toIvEEiEE10hipError_tPvRmT2_T3_T4_T5_mT6_T7_P12ihipStream_tbENKUlT_T0_E_clISt17integral_constantIbLb1EES13_EEDaSY_SZ_EUlSY_E_NS1_11comp_targetILNS1_3genE2ELNS1_11target_archE906ELNS1_3gpuE6ELNS1_3repE0EEENS1_30default_config_static_selectorELNS0_4arch9wavefront6targetE1EEEvT1_
		.amdhsa_group_segment_fixed_size 0
		.amdhsa_private_segment_fixed_size 0
		.amdhsa_kernarg_size 112
		.amdhsa_user_sgpr_count 6
		.amdhsa_user_sgpr_private_segment_buffer 1
		.amdhsa_user_sgpr_dispatch_ptr 0
		.amdhsa_user_sgpr_queue_ptr 0
		.amdhsa_user_sgpr_kernarg_segment_ptr 1
		.amdhsa_user_sgpr_dispatch_id 0
		.amdhsa_user_sgpr_flat_scratch_init 0
		.amdhsa_user_sgpr_kernarg_preload_length 0
		.amdhsa_user_sgpr_kernarg_preload_offset 0
		.amdhsa_user_sgpr_private_segment_size 0
		.amdhsa_uses_dynamic_stack 0
		.amdhsa_system_sgpr_private_segment_wavefront_offset 0
		.amdhsa_system_sgpr_workgroup_id_x 1
		.amdhsa_system_sgpr_workgroup_id_y 0
		.amdhsa_system_sgpr_workgroup_id_z 0
		.amdhsa_system_sgpr_workgroup_info 0
		.amdhsa_system_vgpr_workitem_id 0
		.amdhsa_next_free_vgpr 1
		.amdhsa_next_free_sgpr 0
		.amdhsa_accum_offset 4
		.amdhsa_reserve_vcc 0
		.amdhsa_reserve_flat_scratch 0
		.amdhsa_float_round_mode_32 0
		.amdhsa_float_round_mode_16_64 0
		.amdhsa_float_denorm_mode_32 3
		.amdhsa_float_denorm_mode_16_64 3
		.amdhsa_dx10_clamp 1
		.amdhsa_ieee_mode 1
		.amdhsa_fp16_overflow 0
		.amdhsa_tg_split 0
		.amdhsa_exception_fp_ieee_invalid_op 0
		.amdhsa_exception_fp_denorm_src 0
		.amdhsa_exception_fp_ieee_div_zero 0
		.amdhsa_exception_fp_ieee_overflow 0
		.amdhsa_exception_fp_ieee_underflow 0
		.amdhsa_exception_fp_ieee_inexact 0
		.amdhsa_exception_int_div_zero 0
	.end_amdhsa_kernel
	.section	.text._ZN7rocprim17ROCPRIM_400000_NS6detail17trampoline_kernelINS0_14default_configENS1_27scan_by_key_config_selectorIiiEEZZNS1_16scan_by_key_implILNS1_25lookback_scan_determinismE0ELb1ES3_N6thrust23THRUST_200600_302600_NS6detail15normal_iteratorINS9_10device_ptrIiEEEENSB_INSC_IjEEEENSB_INSC_IfEEEEiNS9_4plusIvEENS9_8equal_toIvEEiEE10hipError_tPvRmT2_T3_T4_T5_mT6_T7_P12ihipStream_tbENKUlT_T0_E_clISt17integral_constantIbLb1EES13_EEDaSY_SZ_EUlSY_E_NS1_11comp_targetILNS1_3genE2ELNS1_11target_archE906ELNS1_3gpuE6ELNS1_3repE0EEENS1_30default_config_static_selectorELNS0_4arch9wavefront6targetE1EEEvT1_,"axG",@progbits,_ZN7rocprim17ROCPRIM_400000_NS6detail17trampoline_kernelINS0_14default_configENS1_27scan_by_key_config_selectorIiiEEZZNS1_16scan_by_key_implILNS1_25lookback_scan_determinismE0ELb1ES3_N6thrust23THRUST_200600_302600_NS6detail15normal_iteratorINS9_10device_ptrIiEEEENSB_INSC_IjEEEENSB_INSC_IfEEEEiNS9_4plusIvEENS9_8equal_toIvEEiEE10hipError_tPvRmT2_T3_T4_T5_mT6_T7_P12ihipStream_tbENKUlT_T0_E_clISt17integral_constantIbLb1EES13_EEDaSY_SZ_EUlSY_E_NS1_11comp_targetILNS1_3genE2ELNS1_11target_archE906ELNS1_3gpuE6ELNS1_3repE0EEENS1_30default_config_static_selectorELNS0_4arch9wavefront6targetE1EEEvT1_,comdat
.Lfunc_end1730:
	.size	_ZN7rocprim17ROCPRIM_400000_NS6detail17trampoline_kernelINS0_14default_configENS1_27scan_by_key_config_selectorIiiEEZZNS1_16scan_by_key_implILNS1_25lookback_scan_determinismE0ELb1ES3_N6thrust23THRUST_200600_302600_NS6detail15normal_iteratorINS9_10device_ptrIiEEEENSB_INSC_IjEEEENSB_INSC_IfEEEEiNS9_4plusIvEENS9_8equal_toIvEEiEE10hipError_tPvRmT2_T3_T4_T5_mT6_T7_P12ihipStream_tbENKUlT_T0_E_clISt17integral_constantIbLb1EES13_EEDaSY_SZ_EUlSY_E_NS1_11comp_targetILNS1_3genE2ELNS1_11target_archE906ELNS1_3gpuE6ELNS1_3repE0EEENS1_30default_config_static_selectorELNS0_4arch9wavefront6targetE1EEEvT1_, .Lfunc_end1730-_ZN7rocprim17ROCPRIM_400000_NS6detail17trampoline_kernelINS0_14default_configENS1_27scan_by_key_config_selectorIiiEEZZNS1_16scan_by_key_implILNS1_25lookback_scan_determinismE0ELb1ES3_N6thrust23THRUST_200600_302600_NS6detail15normal_iteratorINS9_10device_ptrIiEEEENSB_INSC_IjEEEENSB_INSC_IfEEEEiNS9_4plusIvEENS9_8equal_toIvEEiEE10hipError_tPvRmT2_T3_T4_T5_mT6_T7_P12ihipStream_tbENKUlT_T0_E_clISt17integral_constantIbLb1EES13_EEDaSY_SZ_EUlSY_E_NS1_11comp_targetILNS1_3genE2ELNS1_11target_archE906ELNS1_3gpuE6ELNS1_3repE0EEENS1_30default_config_static_selectorELNS0_4arch9wavefront6targetE1EEEvT1_
                                        ; -- End function
	.section	.AMDGPU.csdata,"",@progbits
; Kernel info:
; codeLenInByte = 0
; NumSgprs: 4
; NumVgprs: 0
; NumAgprs: 0
; TotalNumVgprs: 0
; ScratchSize: 0
; MemoryBound: 0
; FloatMode: 240
; IeeeMode: 1
; LDSByteSize: 0 bytes/workgroup (compile time only)
; SGPRBlocks: 0
; VGPRBlocks: 0
; NumSGPRsForWavesPerEU: 4
; NumVGPRsForWavesPerEU: 1
; AccumOffset: 4
; Occupancy: 8
; WaveLimiterHint : 0
; COMPUTE_PGM_RSRC2:SCRATCH_EN: 0
; COMPUTE_PGM_RSRC2:USER_SGPR: 6
; COMPUTE_PGM_RSRC2:TRAP_HANDLER: 0
; COMPUTE_PGM_RSRC2:TGID_X_EN: 1
; COMPUTE_PGM_RSRC2:TGID_Y_EN: 0
; COMPUTE_PGM_RSRC2:TGID_Z_EN: 0
; COMPUTE_PGM_RSRC2:TIDIG_COMP_CNT: 0
; COMPUTE_PGM_RSRC3_GFX90A:ACCUM_OFFSET: 0
; COMPUTE_PGM_RSRC3_GFX90A:TG_SPLIT: 0
	.section	.text._ZN7rocprim17ROCPRIM_400000_NS6detail17trampoline_kernelINS0_14default_configENS1_27scan_by_key_config_selectorIiiEEZZNS1_16scan_by_key_implILNS1_25lookback_scan_determinismE0ELb1ES3_N6thrust23THRUST_200600_302600_NS6detail15normal_iteratorINS9_10device_ptrIiEEEENSB_INSC_IjEEEENSB_INSC_IfEEEEiNS9_4plusIvEENS9_8equal_toIvEEiEE10hipError_tPvRmT2_T3_T4_T5_mT6_T7_P12ihipStream_tbENKUlT_T0_E_clISt17integral_constantIbLb1EES13_EEDaSY_SZ_EUlSY_E_NS1_11comp_targetILNS1_3genE10ELNS1_11target_archE1200ELNS1_3gpuE4ELNS1_3repE0EEENS1_30default_config_static_selectorELNS0_4arch9wavefront6targetE1EEEvT1_,"axG",@progbits,_ZN7rocprim17ROCPRIM_400000_NS6detail17trampoline_kernelINS0_14default_configENS1_27scan_by_key_config_selectorIiiEEZZNS1_16scan_by_key_implILNS1_25lookback_scan_determinismE0ELb1ES3_N6thrust23THRUST_200600_302600_NS6detail15normal_iteratorINS9_10device_ptrIiEEEENSB_INSC_IjEEEENSB_INSC_IfEEEEiNS9_4plusIvEENS9_8equal_toIvEEiEE10hipError_tPvRmT2_T3_T4_T5_mT6_T7_P12ihipStream_tbENKUlT_T0_E_clISt17integral_constantIbLb1EES13_EEDaSY_SZ_EUlSY_E_NS1_11comp_targetILNS1_3genE10ELNS1_11target_archE1200ELNS1_3gpuE4ELNS1_3repE0EEENS1_30default_config_static_selectorELNS0_4arch9wavefront6targetE1EEEvT1_,comdat
	.protected	_ZN7rocprim17ROCPRIM_400000_NS6detail17trampoline_kernelINS0_14default_configENS1_27scan_by_key_config_selectorIiiEEZZNS1_16scan_by_key_implILNS1_25lookback_scan_determinismE0ELb1ES3_N6thrust23THRUST_200600_302600_NS6detail15normal_iteratorINS9_10device_ptrIiEEEENSB_INSC_IjEEEENSB_INSC_IfEEEEiNS9_4plusIvEENS9_8equal_toIvEEiEE10hipError_tPvRmT2_T3_T4_T5_mT6_T7_P12ihipStream_tbENKUlT_T0_E_clISt17integral_constantIbLb1EES13_EEDaSY_SZ_EUlSY_E_NS1_11comp_targetILNS1_3genE10ELNS1_11target_archE1200ELNS1_3gpuE4ELNS1_3repE0EEENS1_30default_config_static_selectorELNS0_4arch9wavefront6targetE1EEEvT1_ ; -- Begin function _ZN7rocprim17ROCPRIM_400000_NS6detail17trampoline_kernelINS0_14default_configENS1_27scan_by_key_config_selectorIiiEEZZNS1_16scan_by_key_implILNS1_25lookback_scan_determinismE0ELb1ES3_N6thrust23THRUST_200600_302600_NS6detail15normal_iteratorINS9_10device_ptrIiEEEENSB_INSC_IjEEEENSB_INSC_IfEEEEiNS9_4plusIvEENS9_8equal_toIvEEiEE10hipError_tPvRmT2_T3_T4_T5_mT6_T7_P12ihipStream_tbENKUlT_T0_E_clISt17integral_constantIbLb1EES13_EEDaSY_SZ_EUlSY_E_NS1_11comp_targetILNS1_3genE10ELNS1_11target_archE1200ELNS1_3gpuE4ELNS1_3repE0EEENS1_30default_config_static_selectorELNS0_4arch9wavefront6targetE1EEEvT1_
	.globl	_ZN7rocprim17ROCPRIM_400000_NS6detail17trampoline_kernelINS0_14default_configENS1_27scan_by_key_config_selectorIiiEEZZNS1_16scan_by_key_implILNS1_25lookback_scan_determinismE0ELb1ES3_N6thrust23THRUST_200600_302600_NS6detail15normal_iteratorINS9_10device_ptrIiEEEENSB_INSC_IjEEEENSB_INSC_IfEEEEiNS9_4plusIvEENS9_8equal_toIvEEiEE10hipError_tPvRmT2_T3_T4_T5_mT6_T7_P12ihipStream_tbENKUlT_T0_E_clISt17integral_constantIbLb1EES13_EEDaSY_SZ_EUlSY_E_NS1_11comp_targetILNS1_3genE10ELNS1_11target_archE1200ELNS1_3gpuE4ELNS1_3repE0EEENS1_30default_config_static_selectorELNS0_4arch9wavefront6targetE1EEEvT1_
	.p2align	8
	.type	_ZN7rocprim17ROCPRIM_400000_NS6detail17trampoline_kernelINS0_14default_configENS1_27scan_by_key_config_selectorIiiEEZZNS1_16scan_by_key_implILNS1_25lookback_scan_determinismE0ELb1ES3_N6thrust23THRUST_200600_302600_NS6detail15normal_iteratorINS9_10device_ptrIiEEEENSB_INSC_IjEEEENSB_INSC_IfEEEEiNS9_4plusIvEENS9_8equal_toIvEEiEE10hipError_tPvRmT2_T3_T4_T5_mT6_T7_P12ihipStream_tbENKUlT_T0_E_clISt17integral_constantIbLb1EES13_EEDaSY_SZ_EUlSY_E_NS1_11comp_targetILNS1_3genE10ELNS1_11target_archE1200ELNS1_3gpuE4ELNS1_3repE0EEENS1_30default_config_static_selectorELNS0_4arch9wavefront6targetE1EEEvT1_,@function
_ZN7rocprim17ROCPRIM_400000_NS6detail17trampoline_kernelINS0_14default_configENS1_27scan_by_key_config_selectorIiiEEZZNS1_16scan_by_key_implILNS1_25lookback_scan_determinismE0ELb1ES3_N6thrust23THRUST_200600_302600_NS6detail15normal_iteratorINS9_10device_ptrIiEEEENSB_INSC_IjEEEENSB_INSC_IfEEEEiNS9_4plusIvEENS9_8equal_toIvEEiEE10hipError_tPvRmT2_T3_T4_T5_mT6_T7_P12ihipStream_tbENKUlT_T0_E_clISt17integral_constantIbLb1EES13_EEDaSY_SZ_EUlSY_E_NS1_11comp_targetILNS1_3genE10ELNS1_11target_archE1200ELNS1_3gpuE4ELNS1_3repE0EEENS1_30default_config_static_selectorELNS0_4arch9wavefront6targetE1EEEvT1_: ; @_ZN7rocprim17ROCPRIM_400000_NS6detail17trampoline_kernelINS0_14default_configENS1_27scan_by_key_config_selectorIiiEEZZNS1_16scan_by_key_implILNS1_25lookback_scan_determinismE0ELb1ES3_N6thrust23THRUST_200600_302600_NS6detail15normal_iteratorINS9_10device_ptrIiEEEENSB_INSC_IjEEEENSB_INSC_IfEEEEiNS9_4plusIvEENS9_8equal_toIvEEiEE10hipError_tPvRmT2_T3_T4_T5_mT6_T7_P12ihipStream_tbENKUlT_T0_E_clISt17integral_constantIbLb1EES13_EEDaSY_SZ_EUlSY_E_NS1_11comp_targetILNS1_3genE10ELNS1_11target_archE1200ELNS1_3gpuE4ELNS1_3repE0EEENS1_30default_config_static_selectorELNS0_4arch9wavefront6targetE1EEEvT1_
; %bb.0:
	.section	.rodata,"a",@progbits
	.p2align	6, 0x0
	.amdhsa_kernel _ZN7rocprim17ROCPRIM_400000_NS6detail17trampoline_kernelINS0_14default_configENS1_27scan_by_key_config_selectorIiiEEZZNS1_16scan_by_key_implILNS1_25lookback_scan_determinismE0ELb1ES3_N6thrust23THRUST_200600_302600_NS6detail15normal_iteratorINS9_10device_ptrIiEEEENSB_INSC_IjEEEENSB_INSC_IfEEEEiNS9_4plusIvEENS9_8equal_toIvEEiEE10hipError_tPvRmT2_T3_T4_T5_mT6_T7_P12ihipStream_tbENKUlT_T0_E_clISt17integral_constantIbLb1EES13_EEDaSY_SZ_EUlSY_E_NS1_11comp_targetILNS1_3genE10ELNS1_11target_archE1200ELNS1_3gpuE4ELNS1_3repE0EEENS1_30default_config_static_selectorELNS0_4arch9wavefront6targetE1EEEvT1_
		.amdhsa_group_segment_fixed_size 0
		.amdhsa_private_segment_fixed_size 0
		.amdhsa_kernarg_size 112
		.amdhsa_user_sgpr_count 6
		.amdhsa_user_sgpr_private_segment_buffer 1
		.amdhsa_user_sgpr_dispatch_ptr 0
		.amdhsa_user_sgpr_queue_ptr 0
		.amdhsa_user_sgpr_kernarg_segment_ptr 1
		.amdhsa_user_sgpr_dispatch_id 0
		.amdhsa_user_sgpr_flat_scratch_init 0
		.amdhsa_user_sgpr_kernarg_preload_length 0
		.amdhsa_user_sgpr_kernarg_preload_offset 0
		.amdhsa_user_sgpr_private_segment_size 0
		.amdhsa_uses_dynamic_stack 0
		.amdhsa_system_sgpr_private_segment_wavefront_offset 0
		.amdhsa_system_sgpr_workgroup_id_x 1
		.amdhsa_system_sgpr_workgroup_id_y 0
		.amdhsa_system_sgpr_workgroup_id_z 0
		.amdhsa_system_sgpr_workgroup_info 0
		.amdhsa_system_vgpr_workitem_id 0
		.amdhsa_next_free_vgpr 1
		.amdhsa_next_free_sgpr 0
		.amdhsa_accum_offset 4
		.amdhsa_reserve_vcc 0
		.amdhsa_reserve_flat_scratch 0
		.amdhsa_float_round_mode_32 0
		.amdhsa_float_round_mode_16_64 0
		.amdhsa_float_denorm_mode_32 3
		.amdhsa_float_denorm_mode_16_64 3
		.amdhsa_dx10_clamp 1
		.amdhsa_ieee_mode 1
		.amdhsa_fp16_overflow 0
		.amdhsa_tg_split 0
		.amdhsa_exception_fp_ieee_invalid_op 0
		.amdhsa_exception_fp_denorm_src 0
		.amdhsa_exception_fp_ieee_div_zero 0
		.amdhsa_exception_fp_ieee_overflow 0
		.amdhsa_exception_fp_ieee_underflow 0
		.amdhsa_exception_fp_ieee_inexact 0
		.amdhsa_exception_int_div_zero 0
	.end_amdhsa_kernel
	.section	.text._ZN7rocprim17ROCPRIM_400000_NS6detail17trampoline_kernelINS0_14default_configENS1_27scan_by_key_config_selectorIiiEEZZNS1_16scan_by_key_implILNS1_25lookback_scan_determinismE0ELb1ES3_N6thrust23THRUST_200600_302600_NS6detail15normal_iteratorINS9_10device_ptrIiEEEENSB_INSC_IjEEEENSB_INSC_IfEEEEiNS9_4plusIvEENS9_8equal_toIvEEiEE10hipError_tPvRmT2_T3_T4_T5_mT6_T7_P12ihipStream_tbENKUlT_T0_E_clISt17integral_constantIbLb1EES13_EEDaSY_SZ_EUlSY_E_NS1_11comp_targetILNS1_3genE10ELNS1_11target_archE1200ELNS1_3gpuE4ELNS1_3repE0EEENS1_30default_config_static_selectorELNS0_4arch9wavefront6targetE1EEEvT1_,"axG",@progbits,_ZN7rocprim17ROCPRIM_400000_NS6detail17trampoline_kernelINS0_14default_configENS1_27scan_by_key_config_selectorIiiEEZZNS1_16scan_by_key_implILNS1_25lookback_scan_determinismE0ELb1ES3_N6thrust23THRUST_200600_302600_NS6detail15normal_iteratorINS9_10device_ptrIiEEEENSB_INSC_IjEEEENSB_INSC_IfEEEEiNS9_4plusIvEENS9_8equal_toIvEEiEE10hipError_tPvRmT2_T3_T4_T5_mT6_T7_P12ihipStream_tbENKUlT_T0_E_clISt17integral_constantIbLb1EES13_EEDaSY_SZ_EUlSY_E_NS1_11comp_targetILNS1_3genE10ELNS1_11target_archE1200ELNS1_3gpuE4ELNS1_3repE0EEENS1_30default_config_static_selectorELNS0_4arch9wavefront6targetE1EEEvT1_,comdat
.Lfunc_end1731:
	.size	_ZN7rocprim17ROCPRIM_400000_NS6detail17trampoline_kernelINS0_14default_configENS1_27scan_by_key_config_selectorIiiEEZZNS1_16scan_by_key_implILNS1_25lookback_scan_determinismE0ELb1ES3_N6thrust23THRUST_200600_302600_NS6detail15normal_iteratorINS9_10device_ptrIiEEEENSB_INSC_IjEEEENSB_INSC_IfEEEEiNS9_4plusIvEENS9_8equal_toIvEEiEE10hipError_tPvRmT2_T3_T4_T5_mT6_T7_P12ihipStream_tbENKUlT_T0_E_clISt17integral_constantIbLb1EES13_EEDaSY_SZ_EUlSY_E_NS1_11comp_targetILNS1_3genE10ELNS1_11target_archE1200ELNS1_3gpuE4ELNS1_3repE0EEENS1_30default_config_static_selectorELNS0_4arch9wavefront6targetE1EEEvT1_, .Lfunc_end1731-_ZN7rocprim17ROCPRIM_400000_NS6detail17trampoline_kernelINS0_14default_configENS1_27scan_by_key_config_selectorIiiEEZZNS1_16scan_by_key_implILNS1_25lookback_scan_determinismE0ELb1ES3_N6thrust23THRUST_200600_302600_NS6detail15normal_iteratorINS9_10device_ptrIiEEEENSB_INSC_IjEEEENSB_INSC_IfEEEEiNS9_4plusIvEENS9_8equal_toIvEEiEE10hipError_tPvRmT2_T3_T4_T5_mT6_T7_P12ihipStream_tbENKUlT_T0_E_clISt17integral_constantIbLb1EES13_EEDaSY_SZ_EUlSY_E_NS1_11comp_targetILNS1_3genE10ELNS1_11target_archE1200ELNS1_3gpuE4ELNS1_3repE0EEENS1_30default_config_static_selectorELNS0_4arch9wavefront6targetE1EEEvT1_
                                        ; -- End function
	.section	.AMDGPU.csdata,"",@progbits
; Kernel info:
; codeLenInByte = 0
; NumSgprs: 4
; NumVgprs: 0
; NumAgprs: 0
; TotalNumVgprs: 0
; ScratchSize: 0
; MemoryBound: 0
; FloatMode: 240
; IeeeMode: 1
; LDSByteSize: 0 bytes/workgroup (compile time only)
; SGPRBlocks: 0
; VGPRBlocks: 0
; NumSGPRsForWavesPerEU: 4
; NumVGPRsForWavesPerEU: 1
; AccumOffset: 4
; Occupancy: 8
; WaveLimiterHint : 0
; COMPUTE_PGM_RSRC2:SCRATCH_EN: 0
; COMPUTE_PGM_RSRC2:USER_SGPR: 6
; COMPUTE_PGM_RSRC2:TRAP_HANDLER: 0
; COMPUTE_PGM_RSRC2:TGID_X_EN: 1
; COMPUTE_PGM_RSRC2:TGID_Y_EN: 0
; COMPUTE_PGM_RSRC2:TGID_Z_EN: 0
; COMPUTE_PGM_RSRC2:TIDIG_COMP_CNT: 0
; COMPUTE_PGM_RSRC3_GFX90A:ACCUM_OFFSET: 0
; COMPUTE_PGM_RSRC3_GFX90A:TG_SPLIT: 0
	.section	.text._ZN7rocprim17ROCPRIM_400000_NS6detail17trampoline_kernelINS0_14default_configENS1_27scan_by_key_config_selectorIiiEEZZNS1_16scan_by_key_implILNS1_25lookback_scan_determinismE0ELb1ES3_N6thrust23THRUST_200600_302600_NS6detail15normal_iteratorINS9_10device_ptrIiEEEENSB_INSC_IjEEEENSB_INSC_IfEEEEiNS9_4plusIvEENS9_8equal_toIvEEiEE10hipError_tPvRmT2_T3_T4_T5_mT6_T7_P12ihipStream_tbENKUlT_T0_E_clISt17integral_constantIbLb1EES13_EEDaSY_SZ_EUlSY_E_NS1_11comp_targetILNS1_3genE9ELNS1_11target_archE1100ELNS1_3gpuE3ELNS1_3repE0EEENS1_30default_config_static_selectorELNS0_4arch9wavefront6targetE1EEEvT1_,"axG",@progbits,_ZN7rocprim17ROCPRIM_400000_NS6detail17trampoline_kernelINS0_14default_configENS1_27scan_by_key_config_selectorIiiEEZZNS1_16scan_by_key_implILNS1_25lookback_scan_determinismE0ELb1ES3_N6thrust23THRUST_200600_302600_NS6detail15normal_iteratorINS9_10device_ptrIiEEEENSB_INSC_IjEEEENSB_INSC_IfEEEEiNS9_4plusIvEENS9_8equal_toIvEEiEE10hipError_tPvRmT2_T3_T4_T5_mT6_T7_P12ihipStream_tbENKUlT_T0_E_clISt17integral_constantIbLb1EES13_EEDaSY_SZ_EUlSY_E_NS1_11comp_targetILNS1_3genE9ELNS1_11target_archE1100ELNS1_3gpuE3ELNS1_3repE0EEENS1_30default_config_static_selectorELNS0_4arch9wavefront6targetE1EEEvT1_,comdat
	.protected	_ZN7rocprim17ROCPRIM_400000_NS6detail17trampoline_kernelINS0_14default_configENS1_27scan_by_key_config_selectorIiiEEZZNS1_16scan_by_key_implILNS1_25lookback_scan_determinismE0ELb1ES3_N6thrust23THRUST_200600_302600_NS6detail15normal_iteratorINS9_10device_ptrIiEEEENSB_INSC_IjEEEENSB_INSC_IfEEEEiNS9_4plusIvEENS9_8equal_toIvEEiEE10hipError_tPvRmT2_T3_T4_T5_mT6_T7_P12ihipStream_tbENKUlT_T0_E_clISt17integral_constantIbLb1EES13_EEDaSY_SZ_EUlSY_E_NS1_11comp_targetILNS1_3genE9ELNS1_11target_archE1100ELNS1_3gpuE3ELNS1_3repE0EEENS1_30default_config_static_selectorELNS0_4arch9wavefront6targetE1EEEvT1_ ; -- Begin function _ZN7rocprim17ROCPRIM_400000_NS6detail17trampoline_kernelINS0_14default_configENS1_27scan_by_key_config_selectorIiiEEZZNS1_16scan_by_key_implILNS1_25lookback_scan_determinismE0ELb1ES3_N6thrust23THRUST_200600_302600_NS6detail15normal_iteratorINS9_10device_ptrIiEEEENSB_INSC_IjEEEENSB_INSC_IfEEEEiNS9_4plusIvEENS9_8equal_toIvEEiEE10hipError_tPvRmT2_T3_T4_T5_mT6_T7_P12ihipStream_tbENKUlT_T0_E_clISt17integral_constantIbLb1EES13_EEDaSY_SZ_EUlSY_E_NS1_11comp_targetILNS1_3genE9ELNS1_11target_archE1100ELNS1_3gpuE3ELNS1_3repE0EEENS1_30default_config_static_selectorELNS0_4arch9wavefront6targetE1EEEvT1_
	.globl	_ZN7rocprim17ROCPRIM_400000_NS6detail17trampoline_kernelINS0_14default_configENS1_27scan_by_key_config_selectorIiiEEZZNS1_16scan_by_key_implILNS1_25lookback_scan_determinismE0ELb1ES3_N6thrust23THRUST_200600_302600_NS6detail15normal_iteratorINS9_10device_ptrIiEEEENSB_INSC_IjEEEENSB_INSC_IfEEEEiNS9_4plusIvEENS9_8equal_toIvEEiEE10hipError_tPvRmT2_T3_T4_T5_mT6_T7_P12ihipStream_tbENKUlT_T0_E_clISt17integral_constantIbLb1EES13_EEDaSY_SZ_EUlSY_E_NS1_11comp_targetILNS1_3genE9ELNS1_11target_archE1100ELNS1_3gpuE3ELNS1_3repE0EEENS1_30default_config_static_selectorELNS0_4arch9wavefront6targetE1EEEvT1_
	.p2align	8
	.type	_ZN7rocprim17ROCPRIM_400000_NS6detail17trampoline_kernelINS0_14default_configENS1_27scan_by_key_config_selectorIiiEEZZNS1_16scan_by_key_implILNS1_25lookback_scan_determinismE0ELb1ES3_N6thrust23THRUST_200600_302600_NS6detail15normal_iteratorINS9_10device_ptrIiEEEENSB_INSC_IjEEEENSB_INSC_IfEEEEiNS9_4plusIvEENS9_8equal_toIvEEiEE10hipError_tPvRmT2_T3_T4_T5_mT6_T7_P12ihipStream_tbENKUlT_T0_E_clISt17integral_constantIbLb1EES13_EEDaSY_SZ_EUlSY_E_NS1_11comp_targetILNS1_3genE9ELNS1_11target_archE1100ELNS1_3gpuE3ELNS1_3repE0EEENS1_30default_config_static_selectorELNS0_4arch9wavefront6targetE1EEEvT1_,@function
_ZN7rocprim17ROCPRIM_400000_NS6detail17trampoline_kernelINS0_14default_configENS1_27scan_by_key_config_selectorIiiEEZZNS1_16scan_by_key_implILNS1_25lookback_scan_determinismE0ELb1ES3_N6thrust23THRUST_200600_302600_NS6detail15normal_iteratorINS9_10device_ptrIiEEEENSB_INSC_IjEEEENSB_INSC_IfEEEEiNS9_4plusIvEENS9_8equal_toIvEEiEE10hipError_tPvRmT2_T3_T4_T5_mT6_T7_P12ihipStream_tbENKUlT_T0_E_clISt17integral_constantIbLb1EES13_EEDaSY_SZ_EUlSY_E_NS1_11comp_targetILNS1_3genE9ELNS1_11target_archE1100ELNS1_3gpuE3ELNS1_3repE0EEENS1_30default_config_static_selectorELNS0_4arch9wavefront6targetE1EEEvT1_: ; @_ZN7rocprim17ROCPRIM_400000_NS6detail17trampoline_kernelINS0_14default_configENS1_27scan_by_key_config_selectorIiiEEZZNS1_16scan_by_key_implILNS1_25lookback_scan_determinismE0ELb1ES3_N6thrust23THRUST_200600_302600_NS6detail15normal_iteratorINS9_10device_ptrIiEEEENSB_INSC_IjEEEENSB_INSC_IfEEEEiNS9_4plusIvEENS9_8equal_toIvEEiEE10hipError_tPvRmT2_T3_T4_T5_mT6_T7_P12ihipStream_tbENKUlT_T0_E_clISt17integral_constantIbLb1EES13_EEDaSY_SZ_EUlSY_E_NS1_11comp_targetILNS1_3genE9ELNS1_11target_archE1100ELNS1_3gpuE3ELNS1_3repE0EEENS1_30default_config_static_selectorELNS0_4arch9wavefront6targetE1EEEvT1_
; %bb.0:
	.section	.rodata,"a",@progbits
	.p2align	6, 0x0
	.amdhsa_kernel _ZN7rocprim17ROCPRIM_400000_NS6detail17trampoline_kernelINS0_14default_configENS1_27scan_by_key_config_selectorIiiEEZZNS1_16scan_by_key_implILNS1_25lookback_scan_determinismE0ELb1ES3_N6thrust23THRUST_200600_302600_NS6detail15normal_iteratorINS9_10device_ptrIiEEEENSB_INSC_IjEEEENSB_INSC_IfEEEEiNS9_4plusIvEENS9_8equal_toIvEEiEE10hipError_tPvRmT2_T3_T4_T5_mT6_T7_P12ihipStream_tbENKUlT_T0_E_clISt17integral_constantIbLb1EES13_EEDaSY_SZ_EUlSY_E_NS1_11comp_targetILNS1_3genE9ELNS1_11target_archE1100ELNS1_3gpuE3ELNS1_3repE0EEENS1_30default_config_static_selectorELNS0_4arch9wavefront6targetE1EEEvT1_
		.amdhsa_group_segment_fixed_size 0
		.amdhsa_private_segment_fixed_size 0
		.amdhsa_kernarg_size 112
		.amdhsa_user_sgpr_count 6
		.amdhsa_user_sgpr_private_segment_buffer 1
		.amdhsa_user_sgpr_dispatch_ptr 0
		.amdhsa_user_sgpr_queue_ptr 0
		.amdhsa_user_sgpr_kernarg_segment_ptr 1
		.amdhsa_user_sgpr_dispatch_id 0
		.amdhsa_user_sgpr_flat_scratch_init 0
		.amdhsa_user_sgpr_kernarg_preload_length 0
		.amdhsa_user_sgpr_kernarg_preload_offset 0
		.amdhsa_user_sgpr_private_segment_size 0
		.amdhsa_uses_dynamic_stack 0
		.amdhsa_system_sgpr_private_segment_wavefront_offset 0
		.amdhsa_system_sgpr_workgroup_id_x 1
		.amdhsa_system_sgpr_workgroup_id_y 0
		.amdhsa_system_sgpr_workgroup_id_z 0
		.amdhsa_system_sgpr_workgroup_info 0
		.amdhsa_system_vgpr_workitem_id 0
		.amdhsa_next_free_vgpr 1
		.amdhsa_next_free_sgpr 0
		.amdhsa_accum_offset 4
		.amdhsa_reserve_vcc 0
		.amdhsa_reserve_flat_scratch 0
		.amdhsa_float_round_mode_32 0
		.amdhsa_float_round_mode_16_64 0
		.amdhsa_float_denorm_mode_32 3
		.amdhsa_float_denorm_mode_16_64 3
		.amdhsa_dx10_clamp 1
		.amdhsa_ieee_mode 1
		.amdhsa_fp16_overflow 0
		.amdhsa_tg_split 0
		.amdhsa_exception_fp_ieee_invalid_op 0
		.amdhsa_exception_fp_denorm_src 0
		.amdhsa_exception_fp_ieee_div_zero 0
		.amdhsa_exception_fp_ieee_overflow 0
		.amdhsa_exception_fp_ieee_underflow 0
		.amdhsa_exception_fp_ieee_inexact 0
		.amdhsa_exception_int_div_zero 0
	.end_amdhsa_kernel
	.section	.text._ZN7rocprim17ROCPRIM_400000_NS6detail17trampoline_kernelINS0_14default_configENS1_27scan_by_key_config_selectorIiiEEZZNS1_16scan_by_key_implILNS1_25lookback_scan_determinismE0ELb1ES3_N6thrust23THRUST_200600_302600_NS6detail15normal_iteratorINS9_10device_ptrIiEEEENSB_INSC_IjEEEENSB_INSC_IfEEEEiNS9_4plusIvEENS9_8equal_toIvEEiEE10hipError_tPvRmT2_T3_T4_T5_mT6_T7_P12ihipStream_tbENKUlT_T0_E_clISt17integral_constantIbLb1EES13_EEDaSY_SZ_EUlSY_E_NS1_11comp_targetILNS1_3genE9ELNS1_11target_archE1100ELNS1_3gpuE3ELNS1_3repE0EEENS1_30default_config_static_selectorELNS0_4arch9wavefront6targetE1EEEvT1_,"axG",@progbits,_ZN7rocprim17ROCPRIM_400000_NS6detail17trampoline_kernelINS0_14default_configENS1_27scan_by_key_config_selectorIiiEEZZNS1_16scan_by_key_implILNS1_25lookback_scan_determinismE0ELb1ES3_N6thrust23THRUST_200600_302600_NS6detail15normal_iteratorINS9_10device_ptrIiEEEENSB_INSC_IjEEEENSB_INSC_IfEEEEiNS9_4plusIvEENS9_8equal_toIvEEiEE10hipError_tPvRmT2_T3_T4_T5_mT6_T7_P12ihipStream_tbENKUlT_T0_E_clISt17integral_constantIbLb1EES13_EEDaSY_SZ_EUlSY_E_NS1_11comp_targetILNS1_3genE9ELNS1_11target_archE1100ELNS1_3gpuE3ELNS1_3repE0EEENS1_30default_config_static_selectorELNS0_4arch9wavefront6targetE1EEEvT1_,comdat
.Lfunc_end1732:
	.size	_ZN7rocprim17ROCPRIM_400000_NS6detail17trampoline_kernelINS0_14default_configENS1_27scan_by_key_config_selectorIiiEEZZNS1_16scan_by_key_implILNS1_25lookback_scan_determinismE0ELb1ES3_N6thrust23THRUST_200600_302600_NS6detail15normal_iteratorINS9_10device_ptrIiEEEENSB_INSC_IjEEEENSB_INSC_IfEEEEiNS9_4plusIvEENS9_8equal_toIvEEiEE10hipError_tPvRmT2_T3_T4_T5_mT6_T7_P12ihipStream_tbENKUlT_T0_E_clISt17integral_constantIbLb1EES13_EEDaSY_SZ_EUlSY_E_NS1_11comp_targetILNS1_3genE9ELNS1_11target_archE1100ELNS1_3gpuE3ELNS1_3repE0EEENS1_30default_config_static_selectorELNS0_4arch9wavefront6targetE1EEEvT1_, .Lfunc_end1732-_ZN7rocprim17ROCPRIM_400000_NS6detail17trampoline_kernelINS0_14default_configENS1_27scan_by_key_config_selectorIiiEEZZNS1_16scan_by_key_implILNS1_25lookback_scan_determinismE0ELb1ES3_N6thrust23THRUST_200600_302600_NS6detail15normal_iteratorINS9_10device_ptrIiEEEENSB_INSC_IjEEEENSB_INSC_IfEEEEiNS9_4plusIvEENS9_8equal_toIvEEiEE10hipError_tPvRmT2_T3_T4_T5_mT6_T7_P12ihipStream_tbENKUlT_T0_E_clISt17integral_constantIbLb1EES13_EEDaSY_SZ_EUlSY_E_NS1_11comp_targetILNS1_3genE9ELNS1_11target_archE1100ELNS1_3gpuE3ELNS1_3repE0EEENS1_30default_config_static_selectorELNS0_4arch9wavefront6targetE1EEEvT1_
                                        ; -- End function
	.section	.AMDGPU.csdata,"",@progbits
; Kernel info:
; codeLenInByte = 0
; NumSgprs: 4
; NumVgprs: 0
; NumAgprs: 0
; TotalNumVgprs: 0
; ScratchSize: 0
; MemoryBound: 0
; FloatMode: 240
; IeeeMode: 1
; LDSByteSize: 0 bytes/workgroup (compile time only)
; SGPRBlocks: 0
; VGPRBlocks: 0
; NumSGPRsForWavesPerEU: 4
; NumVGPRsForWavesPerEU: 1
; AccumOffset: 4
; Occupancy: 8
; WaveLimiterHint : 0
; COMPUTE_PGM_RSRC2:SCRATCH_EN: 0
; COMPUTE_PGM_RSRC2:USER_SGPR: 6
; COMPUTE_PGM_RSRC2:TRAP_HANDLER: 0
; COMPUTE_PGM_RSRC2:TGID_X_EN: 1
; COMPUTE_PGM_RSRC2:TGID_Y_EN: 0
; COMPUTE_PGM_RSRC2:TGID_Z_EN: 0
; COMPUTE_PGM_RSRC2:TIDIG_COMP_CNT: 0
; COMPUTE_PGM_RSRC3_GFX90A:ACCUM_OFFSET: 0
; COMPUTE_PGM_RSRC3_GFX90A:TG_SPLIT: 0
	.section	.text._ZN7rocprim17ROCPRIM_400000_NS6detail17trampoline_kernelINS0_14default_configENS1_27scan_by_key_config_selectorIiiEEZZNS1_16scan_by_key_implILNS1_25lookback_scan_determinismE0ELb1ES3_N6thrust23THRUST_200600_302600_NS6detail15normal_iteratorINS9_10device_ptrIiEEEENSB_INSC_IjEEEENSB_INSC_IfEEEEiNS9_4plusIvEENS9_8equal_toIvEEiEE10hipError_tPvRmT2_T3_T4_T5_mT6_T7_P12ihipStream_tbENKUlT_T0_E_clISt17integral_constantIbLb1EES13_EEDaSY_SZ_EUlSY_E_NS1_11comp_targetILNS1_3genE8ELNS1_11target_archE1030ELNS1_3gpuE2ELNS1_3repE0EEENS1_30default_config_static_selectorELNS0_4arch9wavefront6targetE1EEEvT1_,"axG",@progbits,_ZN7rocprim17ROCPRIM_400000_NS6detail17trampoline_kernelINS0_14default_configENS1_27scan_by_key_config_selectorIiiEEZZNS1_16scan_by_key_implILNS1_25lookback_scan_determinismE0ELb1ES3_N6thrust23THRUST_200600_302600_NS6detail15normal_iteratorINS9_10device_ptrIiEEEENSB_INSC_IjEEEENSB_INSC_IfEEEEiNS9_4plusIvEENS9_8equal_toIvEEiEE10hipError_tPvRmT2_T3_T4_T5_mT6_T7_P12ihipStream_tbENKUlT_T0_E_clISt17integral_constantIbLb1EES13_EEDaSY_SZ_EUlSY_E_NS1_11comp_targetILNS1_3genE8ELNS1_11target_archE1030ELNS1_3gpuE2ELNS1_3repE0EEENS1_30default_config_static_selectorELNS0_4arch9wavefront6targetE1EEEvT1_,comdat
	.protected	_ZN7rocprim17ROCPRIM_400000_NS6detail17trampoline_kernelINS0_14default_configENS1_27scan_by_key_config_selectorIiiEEZZNS1_16scan_by_key_implILNS1_25lookback_scan_determinismE0ELb1ES3_N6thrust23THRUST_200600_302600_NS6detail15normal_iteratorINS9_10device_ptrIiEEEENSB_INSC_IjEEEENSB_INSC_IfEEEEiNS9_4plusIvEENS9_8equal_toIvEEiEE10hipError_tPvRmT2_T3_T4_T5_mT6_T7_P12ihipStream_tbENKUlT_T0_E_clISt17integral_constantIbLb1EES13_EEDaSY_SZ_EUlSY_E_NS1_11comp_targetILNS1_3genE8ELNS1_11target_archE1030ELNS1_3gpuE2ELNS1_3repE0EEENS1_30default_config_static_selectorELNS0_4arch9wavefront6targetE1EEEvT1_ ; -- Begin function _ZN7rocprim17ROCPRIM_400000_NS6detail17trampoline_kernelINS0_14default_configENS1_27scan_by_key_config_selectorIiiEEZZNS1_16scan_by_key_implILNS1_25lookback_scan_determinismE0ELb1ES3_N6thrust23THRUST_200600_302600_NS6detail15normal_iteratorINS9_10device_ptrIiEEEENSB_INSC_IjEEEENSB_INSC_IfEEEEiNS9_4plusIvEENS9_8equal_toIvEEiEE10hipError_tPvRmT2_T3_T4_T5_mT6_T7_P12ihipStream_tbENKUlT_T0_E_clISt17integral_constantIbLb1EES13_EEDaSY_SZ_EUlSY_E_NS1_11comp_targetILNS1_3genE8ELNS1_11target_archE1030ELNS1_3gpuE2ELNS1_3repE0EEENS1_30default_config_static_selectorELNS0_4arch9wavefront6targetE1EEEvT1_
	.globl	_ZN7rocprim17ROCPRIM_400000_NS6detail17trampoline_kernelINS0_14default_configENS1_27scan_by_key_config_selectorIiiEEZZNS1_16scan_by_key_implILNS1_25lookback_scan_determinismE0ELb1ES3_N6thrust23THRUST_200600_302600_NS6detail15normal_iteratorINS9_10device_ptrIiEEEENSB_INSC_IjEEEENSB_INSC_IfEEEEiNS9_4plusIvEENS9_8equal_toIvEEiEE10hipError_tPvRmT2_T3_T4_T5_mT6_T7_P12ihipStream_tbENKUlT_T0_E_clISt17integral_constantIbLb1EES13_EEDaSY_SZ_EUlSY_E_NS1_11comp_targetILNS1_3genE8ELNS1_11target_archE1030ELNS1_3gpuE2ELNS1_3repE0EEENS1_30default_config_static_selectorELNS0_4arch9wavefront6targetE1EEEvT1_
	.p2align	8
	.type	_ZN7rocprim17ROCPRIM_400000_NS6detail17trampoline_kernelINS0_14default_configENS1_27scan_by_key_config_selectorIiiEEZZNS1_16scan_by_key_implILNS1_25lookback_scan_determinismE0ELb1ES3_N6thrust23THRUST_200600_302600_NS6detail15normal_iteratorINS9_10device_ptrIiEEEENSB_INSC_IjEEEENSB_INSC_IfEEEEiNS9_4plusIvEENS9_8equal_toIvEEiEE10hipError_tPvRmT2_T3_T4_T5_mT6_T7_P12ihipStream_tbENKUlT_T0_E_clISt17integral_constantIbLb1EES13_EEDaSY_SZ_EUlSY_E_NS1_11comp_targetILNS1_3genE8ELNS1_11target_archE1030ELNS1_3gpuE2ELNS1_3repE0EEENS1_30default_config_static_selectorELNS0_4arch9wavefront6targetE1EEEvT1_,@function
_ZN7rocprim17ROCPRIM_400000_NS6detail17trampoline_kernelINS0_14default_configENS1_27scan_by_key_config_selectorIiiEEZZNS1_16scan_by_key_implILNS1_25lookback_scan_determinismE0ELb1ES3_N6thrust23THRUST_200600_302600_NS6detail15normal_iteratorINS9_10device_ptrIiEEEENSB_INSC_IjEEEENSB_INSC_IfEEEEiNS9_4plusIvEENS9_8equal_toIvEEiEE10hipError_tPvRmT2_T3_T4_T5_mT6_T7_P12ihipStream_tbENKUlT_T0_E_clISt17integral_constantIbLb1EES13_EEDaSY_SZ_EUlSY_E_NS1_11comp_targetILNS1_3genE8ELNS1_11target_archE1030ELNS1_3gpuE2ELNS1_3repE0EEENS1_30default_config_static_selectorELNS0_4arch9wavefront6targetE1EEEvT1_: ; @_ZN7rocprim17ROCPRIM_400000_NS6detail17trampoline_kernelINS0_14default_configENS1_27scan_by_key_config_selectorIiiEEZZNS1_16scan_by_key_implILNS1_25lookback_scan_determinismE0ELb1ES3_N6thrust23THRUST_200600_302600_NS6detail15normal_iteratorINS9_10device_ptrIiEEEENSB_INSC_IjEEEENSB_INSC_IfEEEEiNS9_4plusIvEENS9_8equal_toIvEEiEE10hipError_tPvRmT2_T3_T4_T5_mT6_T7_P12ihipStream_tbENKUlT_T0_E_clISt17integral_constantIbLb1EES13_EEDaSY_SZ_EUlSY_E_NS1_11comp_targetILNS1_3genE8ELNS1_11target_archE1030ELNS1_3gpuE2ELNS1_3repE0EEENS1_30default_config_static_selectorELNS0_4arch9wavefront6targetE1EEEvT1_
; %bb.0:
	.section	.rodata,"a",@progbits
	.p2align	6, 0x0
	.amdhsa_kernel _ZN7rocprim17ROCPRIM_400000_NS6detail17trampoline_kernelINS0_14default_configENS1_27scan_by_key_config_selectorIiiEEZZNS1_16scan_by_key_implILNS1_25lookback_scan_determinismE0ELb1ES3_N6thrust23THRUST_200600_302600_NS6detail15normal_iteratorINS9_10device_ptrIiEEEENSB_INSC_IjEEEENSB_INSC_IfEEEEiNS9_4plusIvEENS9_8equal_toIvEEiEE10hipError_tPvRmT2_T3_T4_T5_mT6_T7_P12ihipStream_tbENKUlT_T0_E_clISt17integral_constantIbLb1EES13_EEDaSY_SZ_EUlSY_E_NS1_11comp_targetILNS1_3genE8ELNS1_11target_archE1030ELNS1_3gpuE2ELNS1_3repE0EEENS1_30default_config_static_selectorELNS0_4arch9wavefront6targetE1EEEvT1_
		.amdhsa_group_segment_fixed_size 0
		.amdhsa_private_segment_fixed_size 0
		.amdhsa_kernarg_size 112
		.amdhsa_user_sgpr_count 6
		.amdhsa_user_sgpr_private_segment_buffer 1
		.amdhsa_user_sgpr_dispatch_ptr 0
		.amdhsa_user_sgpr_queue_ptr 0
		.amdhsa_user_sgpr_kernarg_segment_ptr 1
		.amdhsa_user_sgpr_dispatch_id 0
		.amdhsa_user_sgpr_flat_scratch_init 0
		.amdhsa_user_sgpr_kernarg_preload_length 0
		.amdhsa_user_sgpr_kernarg_preload_offset 0
		.amdhsa_user_sgpr_private_segment_size 0
		.amdhsa_uses_dynamic_stack 0
		.amdhsa_system_sgpr_private_segment_wavefront_offset 0
		.amdhsa_system_sgpr_workgroup_id_x 1
		.amdhsa_system_sgpr_workgroup_id_y 0
		.amdhsa_system_sgpr_workgroup_id_z 0
		.amdhsa_system_sgpr_workgroup_info 0
		.amdhsa_system_vgpr_workitem_id 0
		.amdhsa_next_free_vgpr 1
		.amdhsa_next_free_sgpr 0
		.amdhsa_accum_offset 4
		.amdhsa_reserve_vcc 0
		.amdhsa_reserve_flat_scratch 0
		.amdhsa_float_round_mode_32 0
		.amdhsa_float_round_mode_16_64 0
		.amdhsa_float_denorm_mode_32 3
		.amdhsa_float_denorm_mode_16_64 3
		.amdhsa_dx10_clamp 1
		.amdhsa_ieee_mode 1
		.amdhsa_fp16_overflow 0
		.amdhsa_tg_split 0
		.amdhsa_exception_fp_ieee_invalid_op 0
		.amdhsa_exception_fp_denorm_src 0
		.amdhsa_exception_fp_ieee_div_zero 0
		.amdhsa_exception_fp_ieee_overflow 0
		.amdhsa_exception_fp_ieee_underflow 0
		.amdhsa_exception_fp_ieee_inexact 0
		.amdhsa_exception_int_div_zero 0
	.end_amdhsa_kernel
	.section	.text._ZN7rocprim17ROCPRIM_400000_NS6detail17trampoline_kernelINS0_14default_configENS1_27scan_by_key_config_selectorIiiEEZZNS1_16scan_by_key_implILNS1_25lookback_scan_determinismE0ELb1ES3_N6thrust23THRUST_200600_302600_NS6detail15normal_iteratorINS9_10device_ptrIiEEEENSB_INSC_IjEEEENSB_INSC_IfEEEEiNS9_4plusIvEENS9_8equal_toIvEEiEE10hipError_tPvRmT2_T3_T4_T5_mT6_T7_P12ihipStream_tbENKUlT_T0_E_clISt17integral_constantIbLb1EES13_EEDaSY_SZ_EUlSY_E_NS1_11comp_targetILNS1_3genE8ELNS1_11target_archE1030ELNS1_3gpuE2ELNS1_3repE0EEENS1_30default_config_static_selectorELNS0_4arch9wavefront6targetE1EEEvT1_,"axG",@progbits,_ZN7rocprim17ROCPRIM_400000_NS6detail17trampoline_kernelINS0_14default_configENS1_27scan_by_key_config_selectorIiiEEZZNS1_16scan_by_key_implILNS1_25lookback_scan_determinismE0ELb1ES3_N6thrust23THRUST_200600_302600_NS6detail15normal_iteratorINS9_10device_ptrIiEEEENSB_INSC_IjEEEENSB_INSC_IfEEEEiNS9_4plusIvEENS9_8equal_toIvEEiEE10hipError_tPvRmT2_T3_T4_T5_mT6_T7_P12ihipStream_tbENKUlT_T0_E_clISt17integral_constantIbLb1EES13_EEDaSY_SZ_EUlSY_E_NS1_11comp_targetILNS1_3genE8ELNS1_11target_archE1030ELNS1_3gpuE2ELNS1_3repE0EEENS1_30default_config_static_selectorELNS0_4arch9wavefront6targetE1EEEvT1_,comdat
.Lfunc_end1733:
	.size	_ZN7rocprim17ROCPRIM_400000_NS6detail17trampoline_kernelINS0_14default_configENS1_27scan_by_key_config_selectorIiiEEZZNS1_16scan_by_key_implILNS1_25lookback_scan_determinismE0ELb1ES3_N6thrust23THRUST_200600_302600_NS6detail15normal_iteratorINS9_10device_ptrIiEEEENSB_INSC_IjEEEENSB_INSC_IfEEEEiNS9_4plusIvEENS9_8equal_toIvEEiEE10hipError_tPvRmT2_T3_T4_T5_mT6_T7_P12ihipStream_tbENKUlT_T0_E_clISt17integral_constantIbLb1EES13_EEDaSY_SZ_EUlSY_E_NS1_11comp_targetILNS1_3genE8ELNS1_11target_archE1030ELNS1_3gpuE2ELNS1_3repE0EEENS1_30default_config_static_selectorELNS0_4arch9wavefront6targetE1EEEvT1_, .Lfunc_end1733-_ZN7rocprim17ROCPRIM_400000_NS6detail17trampoline_kernelINS0_14default_configENS1_27scan_by_key_config_selectorIiiEEZZNS1_16scan_by_key_implILNS1_25lookback_scan_determinismE0ELb1ES3_N6thrust23THRUST_200600_302600_NS6detail15normal_iteratorINS9_10device_ptrIiEEEENSB_INSC_IjEEEENSB_INSC_IfEEEEiNS9_4plusIvEENS9_8equal_toIvEEiEE10hipError_tPvRmT2_T3_T4_T5_mT6_T7_P12ihipStream_tbENKUlT_T0_E_clISt17integral_constantIbLb1EES13_EEDaSY_SZ_EUlSY_E_NS1_11comp_targetILNS1_3genE8ELNS1_11target_archE1030ELNS1_3gpuE2ELNS1_3repE0EEENS1_30default_config_static_selectorELNS0_4arch9wavefront6targetE1EEEvT1_
                                        ; -- End function
	.section	.AMDGPU.csdata,"",@progbits
; Kernel info:
; codeLenInByte = 0
; NumSgprs: 4
; NumVgprs: 0
; NumAgprs: 0
; TotalNumVgprs: 0
; ScratchSize: 0
; MemoryBound: 0
; FloatMode: 240
; IeeeMode: 1
; LDSByteSize: 0 bytes/workgroup (compile time only)
; SGPRBlocks: 0
; VGPRBlocks: 0
; NumSGPRsForWavesPerEU: 4
; NumVGPRsForWavesPerEU: 1
; AccumOffset: 4
; Occupancy: 8
; WaveLimiterHint : 0
; COMPUTE_PGM_RSRC2:SCRATCH_EN: 0
; COMPUTE_PGM_RSRC2:USER_SGPR: 6
; COMPUTE_PGM_RSRC2:TRAP_HANDLER: 0
; COMPUTE_PGM_RSRC2:TGID_X_EN: 1
; COMPUTE_PGM_RSRC2:TGID_Y_EN: 0
; COMPUTE_PGM_RSRC2:TGID_Z_EN: 0
; COMPUTE_PGM_RSRC2:TIDIG_COMP_CNT: 0
; COMPUTE_PGM_RSRC3_GFX90A:ACCUM_OFFSET: 0
; COMPUTE_PGM_RSRC3_GFX90A:TG_SPLIT: 0
	.section	.text._ZN7rocprim17ROCPRIM_400000_NS6detail17trampoline_kernelINS0_14default_configENS1_27scan_by_key_config_selectorIiiEEZZNS1_16scan_by_key_implILNS1_25lookback_scan_determinismE0ELb1ES3_N6thrust23THRUST_200600_302600_NS6detail15normal_iteratorINS9_10device_ptrIiEEEENSB_INSC_IjEEEENSB_INSC_IfEEEEiNS9_4plusIvEENS9_8equal_toIvEEiEE10hipError_tPvRmT2_T3_T4_T5_mT6_T7_P12ihipStream_tbENKUlT_T0_E_clISt17integral_constantIbLb1EES12_IbLb0EEEEDaSY_SZ_EUlSY_E_NS1_11comp_targetILNS1_3genE0ELNS1_11target_archE4294967295ELNS1_3gpuE0ELNS1_3repE0EEENS1_30default_config_static_selectorELNS0_4arch9wavefront6targetE1EEEvT1_,"axG",@progbits,_ZN7rocprim17ROCPRIM_400000_NS6detail17trampoline_kernelINS0_14default_configENS1_27scan_by_key_config_selectorIiiEEZZNS1_16scan_by_key_implILNS1_25lookback_scan_determinismE0ELb1ES3_N6thrust23THRUST_200600_302600_NS6detail15normal_iteratorINS9_10device_ptrIiEEEENSB_INSC_IjEEEENSB_INSC_IfEEEEiNS9_4plusIvEENS9_8equal_toIvEEiEE10hipError_tPvRmT2_T3_T4_T5_mT6_T7_P12ihipStream_tbENKUlT_T0_E_clISt17integral_constantIbLb1EES12_IbLb0EEEEDaSY_SZ_EUlSY_E_NS1_11comp_targetILNS1_3genE0ELNS1_11target_archE4294967295ELNS1_3gpuE0ELNS1_3repE0EEENS1_30default_config_static_selectorELNS0_4arch9wavefront6targetE1EEEvT1_,comdat
	.protected	_ZN7rocprim17ROCPRIM_400000_NS6detail17trampoline_kernelINS0_14default_configENS1_27scan_by_key_config_selectorIiiEEZZNS1_16scan_by_key_implILNS1_25lookback_scan_determinismE0ELb1ES3_N6thrust23THRUST_200600_302600_NS6detail15normal_iteratorINS9_10device_ptrIiEEEENSB_INSC_IjEEEENSB_INSC_IfEEEEiNS9_4plusIvEENS9_8equal_toIvEEiEE10hipError_tPvRmT2_T3_T4_T5_mT6_T7_P12ihipStream_tbENKUlT_T0_E_clISt17integral_constantIbLb1EES12_IbLb0EEEEDaSY_SZ_EUlSY_E_NS1_11comp_targetILNS1_3genE0ELNS1_11target_archE4294967295ELNS1_3gpuE0ELNS1_3repE0EEENS1_30default_config_static_selectorELNS0_4arch9wavefront6targetE1EEEvT1_ ; -- Begin function _ZN7rocprim17ROCPRIM_400000_NS6detail17trampoline_kernelINS0_14default_configENS1_27scan_by_key_config_selectorIiiEEZZNS1_16scan_by_key_implILNS1_25lookback_scan_determinismE0ELb1ES3_N6thrust23THRUST_200600_302600_NS6detail15normal_iteratorINS9_10device_ptrIiEEEENSB_INSC_IjEEEENSB_INSC_IfEEEEiNS9_4plusIvEENS9_8equal_toIvEEiEE10hipError_tPvRmT2_T3_T4_T5_mT6_T7_P12ihipStream_tbENKUlT_T0_E_clISt17integral_constantIbLb1EES12_IbLb0EEEEDaSY_SZ_EUlSY_E_NS1_11comp_targetILNS1_3genE0ELNS1_11target_archE4294967295ELNS1_3gpuE0ELNS1_3repE0EEENS1_30default_config_static_selectorELNS0_4arch9wavefront6targetE1EEEvT1_
	.globl	_ZN7rocprim17ROCPRIM_400000_NS6detail17trampoline_kernelINS0_14default_configENS1_27scan_by_key_config_selectorIiiEEZZNS1_16scan_by_key_implILNS1_25lookback_scan_determinismE0ELb1ES3_N6thrust23THRUST_200600_302600_NS6detail15normal_iteratorINS9_10device_ptrIiEEEENSB_INSC_IjEEEENSB_INSC_IfEEEEiNS9_4plusIvEENS9_8equal_toIvEEiEE10hipError_tPvRmT2_T3_T4_T5_mT6_T7_P12ihipStream_tbENKUlT_T0_E_clISt17integral_constantIbLb1EES12_IbLb0EEEEDaSY_SZ_EUlSY_E_NS1_11comp_targetILNS1_3genE0ELNS1_11target_archE4294967295ELNS1_3gpuE0ELNS1_3repE0EEENS1_30default_config_static_selectorELNS0_4arch9wavefront6targetE1EEEvT1_
	.p2align	8
	.type	_ZN7rocprim17ROCPRIM_400000_NS6detail17trampoline_kernelINS0_14default_configENS1_27scan_by_key_config_selectorIiiEEZZNS1_16scan_by_key_implILNS1_25lookback_scan_determinismE0ELb1ES3_N6thrust23THRUST_200600_302600_NS6detail15normal_iteratorINS9_10device_ptrIiEEEENSB_INSC_IjEEEENSB_INSC_IfEEEEiNS9_4plusIvEENS9_8equal_toIvEEiEE10hipError_tPvRmT2_T3_T4_T5_mT6_T7_P12ihipStream_tbENKUlT_T0_E_clISt17integral_constantIbLb1EES12_IbLb0EEEEDaSY_SZ_EUlSY_E_NS1_11comp_targetILNS1_3genE0ELNS1_11target_archE4294967295ELNS1_3gpuE0ELNS1_3repE0EEENS1_30default_config_static_selectorELNS0_4arch9wavefront6targetE1EEEvT1_,@function
_ZN7rocprim17ROCPRIM_400000_NS6detail17trampoline_kernelINS0_14default_configENS1_27scan_by_key_config_selectorIiiEEZZNS1_16scan_by_key_implILNS1_25lookback_scan_determinismE0ELb1ES3_N6thrust23THRUST_200600_302600_NS6detail15normal_iteratorINS9_10device_ptrIiEEEENSB_INSC_IjEEEENSB_INSC_IfEEEEiNS9_4plusIvEENS9_8equal_toIvEEiEE10hipError_tPvRmT2_T3_T4_T5_mT6_T7_P12ihipStream_tbENKUlT_T0_E_clISt17integral_constantIbLb1EES12_IbLb0EEEEDaSY_SZ_EUlSY_E_NS1_11comp_targetILNS1_3genE0ELNS1_11target_archE4294967295ELNS1_3gpuE0ELNS1_3repE0EEENS1_30default_config_static_selectorELNS0_4arch9wavefront6targetE1EEEvT1_: ; @_ZN7rocprim17ROCPRIM_400000_NS6detail17trampoline_kernelINS0_14default_configENS1_27scan_by_key_config_selectorIiiEEZZNS1_16scan_by_key_implILNS1_25lookback_scan_determinismE0ELb1ES3_N6thrust23THRUST_200600_302600_NS6detail15normal_iteratorINS9_10device_ptrIiEEEENSB_INSC_IjEEEENSB_INSC_IfEEEEiNS9_4plusIvEENS9_8equal_toIvEEiEE10hipError_tPvRmT2_T3_T4_T5_mT6_T7_P12ihipStream_tbENKUlT_T0_E_clISt17integral_constantIbLb1EES12_IbLb0EEEEDaSY_SZ_EUlSY_E_NS1_11comp_targetILNS1_3genE0ELNS1_11target_archE4294967295ELNS1_3gpuE0ELNS1_3repE0EEENS1_30default_config_static_selectorELNS0_4arch9wavefront6targetE1EEEvT1_
; %bb.0:
	.section	.rodata,"a",@progbits
	.p2align	6, 0x0
	.amdhsa_kernel _ZN7rocprim17ROCPRIM_400000_NS6detail17trampoline_kernelINS0_14default_configENS1_27scan_by_key_config_selectorIiiEEZZNS1_16scan_by_key_implILNS1_25lookback_scan_determinismE0ELb1ES3_N6thrust23THRUST_200600_302600_NS6detail15normal_iteratorINS9_10device_ptrIiEEEENSB_INSC_IjEEEENSB_INSC_IfEEEEiNS9_4plusIvEENS9_8equal_toIvEEiEE10hipError_tPvRmT2_T3_T4_T5_mT6_T7_P12ihipStream_tbENKUlT_T0_E_clISt17integral_constantIbLb1EES12_IbLb0EEEEDaSY_SZ_EUlSY_E_NS1_11comp_targetILNS1_3genE0ELNS1_11target_archE4294967295ELNS1_3gpuE0ELNS1_3repE0EEENS1_30default_config_static_selectorELNS0_4arch9wavefront6targetE1EEEvT1_
		.amdhsa_group_segment_fixed_size 0
		.amdhsa_private_segment_fixed_size 0
		.amdhsa_kernarg_size 112
		.amdhsa_user_sgpr_count 6
		.amdhsa_user_sgpr_private_segment_buffer 1
		.amdhsa_user_sgpr_dispatch_ptr 0
		.amdhsa_user_sgpr_queue_ptr 0
		.amdhsa_user_sgpr_kernarg_segment_ptr 1
		.amdhsa_user_sgpr_dispatch_id 0
		.amdhsa_user_sgpr_flat_scratch_init 0
		.amdhsa_user_sgpr_kernarg_preload_length 0
		.amdhsa_user_sgpr_kernarg_preload_offset 0
		.amdhsa_user_sgpr_private_segment_size 0
		.amdhsa_uses_dynamic_stack 0
		.amdhsa_system_sgpr_private_segment_wavefront_offset 0
		.amdhsa_system_sgpr_workgroup_id_x 1
		.amdhsa_system_sgpr_workgroup_id_y 0
		.amdhsa_system_sgpr_workgroup_id_z 0
		.amdhsa_system_sgpr_workgroup_info 0
		.amdhsa_system_vgpr_workitem_id 0
		.amdhsa_next_free_vgpr 1
		.amdhsa_next_free_sgpr 0
		.amdhsa_accum_offset 4
		.amdhsa_reserve_vcc 0
		.amdhsa_reserve_flat_scratch 0
		.amdhsa_float_round_mode_32 0
		.amdhsa_float_round_mode_16_64 0
		.amdhsa_float_denorm_mode_32 3
		.amdhsa_float_denorm_mode_16_64 3
		.amdhsa_dx10_clamp 1
		.amdhsa_ieee_mode 1
		.amdhsa_fp16_overflow 0
		.amdhsa_tg_split 0
		.amdhsa_exception_fp_ieee_invalid_op 0
		.amdhsa_exception_fp_denorm_src 0
		.amdhsa_exception_fp_ieee_div_zero 0
		.amdhsa_exception_fp_ieee_overflow 0
		.amdhsa_exception_fp_ieee_underflow 0
		.amdhsa_exception_fp_ieee_inexact 0
		.amdhsa_exception_int_div_zero 0
	.end_amdhsa_kernel
	.section	.text._ZN7rocprim17ROCPRIM_400000_NS6detail17trampoline_kernelINS0_14default_configENS1_27scan_by_key_config_selectorIiiEEZZNS1_16scan_by_key_implILNS1_25lookback_scan_determinismE0ELb1ES3_N6thrust23THRUST_200600_302600_NS6detail15normal_iteratorINS9_10device_ptrIiEEEENSB_INSC_IjEEEENSB_INSC_IfEEEEiNS9_4plusIvEENS9_8equal_toIvEEiEE10hipError_tPvRmT2_T3_T4_T5_mT6_T7_P12ihipStream_tbENKUlT_T0_E_clISt17integral_constantIbLb1EES12_IbLb0EEEEDaSY_SZ_EUlSY_E_NS1_11comp_targetILNS1_3genE0ELNS1_11target_archE4294967295ELNS1_3gpuE0ELNS1_3repE0EEENS1_30default_config_static_selectorELNS0_4arch9wavefront6targetE1EEEvT1_,"axG",@progbits,_ZN7rocprim17ROCPRIM_400000_NS6detail17trampoline_kernelINS0_14default_configENS1_27scan_by_key_config_selectorIiiEEZZNS1_16scan_by_key_implILNS1_25lookback_scan_determinismE0ELb1ES3_N6thrust23THRUST_200600_302600_NS6detail15normal_iteratorINS9_10device_ptrIiEEEENSB_INSC_IjEEEENSB_INSC_IfEEEEiNS9_4plusIvEENS9_8equal_toIvEEiEE10hipError_tPvRmT2_T3_T4_T5_mT6_T7_P12ihipStream_tbENKUlT_T0_E_clISt17integral_constantIbLb1EES12_IbLb0EEEEDaSY_SZ_EUlSY_E_NS1_11comp_targetILNS1_3genE0ELNS1_11target_archE4294967295ELNS1_3gpuE0ELNS1_3repE0EEENS1_30default_config_static_selectorELNS0_4arch9wavefront6targetE1EEEvT1_,comdat
.Lfunc_end1734:
	.size	_ZN7rocprim17ROCPRIM_400000_NS6detail17trampoline_kernelINS0_14default_configENS1_27scan_by_key_config_selectorIiiEEZZNS1_16scan_by_key_implILNS1_25lookback_scan_determinismE0ELb1ES3_N6thrust23THRUST_200600_302600_NS6detail15normal_iteratorINS9_10device_ptrIiEEEENSB_INSC_IjEEEENSB_INSC_IfEEEEiNS9_4plusIvEENS9_8equal_toIvEEiEE10hipError_tPvRmT2_T3_T4_T5_mT6_T7_P12ihipStream_tbENKUlT_T0_E_clISt17integral_constantIbLb1EES12_IbLb0EEEEDaSY_SZ_EUlSY_E_NS1_11comp_targetILNS1_3genE0ELNS1_11target_archE4294967295ELNS1_3gpuE0ELNS1_3repE0EEENS1_30default_config_static_selectorELNS0_4arch9wavefront6targetE1EEEvT1_, .Lfunc_end1734-_ZN7rocprim17ROCPRIM_400000_NS6detail17trampoline_kernelINS0_14default_configENS1_27scan_by_key_config_selectorIiiEEZZNS1_16scan_by_key_implILNS1_25lookback_scan_determinismE0ELb1ES3_N6thrust23THRUST_200600_302600_NS6detail15normal_iteratorINS9_10device_ptrIiEEEENSB_INSC_IjEEEENSB_INSC_IfEEEEiNS9_4plusIvEENS9_8equal_toIvEEiEE10hipError_tPvRmT2_T3_T4_T5_mT6_T7_P12ihipStream_tbENKUlT_T0_E_clISt17integral_constantIbLb1EES12_IbLb0EEEEDaSY_SZ_EUlSY_E_NS1_11comp_targetILNS1_3genE0ELNS1_11target_archE4294967295ELNS1_3gpuE0ELNS1_3repE0EEENS1_30default_config_static_selectorELNS0_4arch9wavefront6targetE1EEEvT1_
                                        ; -- End function
	.section	.AMDGPU.csdata,"",@progbits
; Kernel info:
; codeLenInByte = 0
; NumSgprs: 4
; NumVgprs: 0
; NumAgprs: 0
; TotalNumVgprs: 0
; ScratchSize: 0
; MemoryBound: 0
; FloatMode: 240
; IeeeMode: 1
; LDSByteSize: 0 bytes/workgroup (compile time only)
; SGPRBlocks: 0
; VGPRBlocks: 0
; NumSGPRsForWavesPerEU: 4
; NumVGPRsForWavesPerEU: 1
; AccumOffset: 4
; Occupancy: 8
; WaveLimiterHint : 0
; COMPUTE_PGM_RSRC2:SCRATCH_EN: 0
; COMPUTE_PGM_RSRC2:USER_SGPR: 6
; COMPUTE_PGM_RSRC2:TRAP_HANDLER: 0
; COMPUTE_PGM_RSRC2:TGID_X_EN: 1
; COMPUTE_PGM_RSRC2:TGID_Y_EN: 0
; COMPUTE_PGM_RSRC2:TGID_Z_EN: 0
; COMPUTE_PGM_RSRC2:TIDIG_COMP_CNT: 0
; COMPUTE_PGM_RSRC3_GFX90A:ACCUM_OFFSET: 0
; COMPUTE_PGM_RSRC3_GFX90A:TG_SPLIT: 0
	.section	.text._ZN7rocprim17ROCPRIM_400000_NS6detail17trampoline_kernelINS0_14default_configENS1_27scan_by_key_config_selectorIiiEEZZNS1_16scan_by_key_implILNS1_25lookback_scan_determinismE0ELb1ES3_N6thrust23THRUST_200600_302600_NS6detail15normal_iteratorINS9_10device_ptrIiEEEENSB_INSC_IjEEEENSB_INSC_IfEEEEiNS9_4plusIvEENS9_8equal_toIvEEiEE10hipError_tPvRmT2_T3_T4_T5_mT6_T7_P12ihipStream_tbENKUlT_T0_E_clISt17integral_constantIbLb1EES12_IbLb0EEEEDaSY_SZ_EUlSY_E_NS1_11comp_targetILNS1_3genE10ELNS1_11target_archE1201ELNS1_3gpuE5ELNS1_3repE0EEENS1_30default_config_static_selectorELNS0_4arch9wavefront6targetE1EEEvT1_,"axG",@progbits,_ZN7rocprim17ROCPRIM_400000_NS6detail17trampoline_kernelINS0_14default_configENS1_27scan_by_key_config_selectorIiiEEZZNS1_16scan_by_key_implILNS1_25lookback_scan_determinismE0ELb1ES3_N6thrust23THRUST_200600_302600_NS6detail15normal_iteratorINS9_10device_ptrIiEEEENSB_INSC_IjEEEENSB_INSC_IfEEEEiNS9_4plusIvEENS9_8equal_toIvEEiEE10hipError_tPvRmT2_T3_T4_T5_mT6_T7_P12ihipStream_tbENKUlT_T0_E_clISt17integral_constantIbLb1EES12_IbLb0EEEEDaSY_SZ_EUlSY_E_NS1_11comp_targetILNS1_3genE10ELNS1_11target_archE1201ELNS1_3gpuE5ELNS1_3repE0EEENS1_30default_config_static_selectorELNS0_4arch9wavefront6targetE1EEEvT1_,comdat
	.protected	_ZN7rocprim17ROCPRIM_400000_NS6detail17trampoline_kernelINS0_14default_configENS1_27scan_by_key_config_selectorIiiEEZZNS1_16scan_by_key_implILNS1_25lookback_scan_determinismE0ELb1ES3_N6thrust23THRUST_200600_302600_NS6detail15normal_iteratorINS9_10device_ptrIiEEEENSB_INSC_IjEEEENSB_INSC_IfEEEEiNS9_4plusIvEENS9_8equal_toIvEEiEE10hipError_tPvRmT2_T3_T4_T5_mT6_T7_P12ihipStream_tbENKUlT_T0_E_clISt17integral_constantIbLb1EES12_IbLb0EEEEDaSY_SZ_EUlSY_E_NS1_11comp_targetILNS1_3genE10ELNS1_11target_archE1201ELNS1_3gpuE5ELNS1_3repE0EEENS1_30default_config_static_selectorELNS0_4arch9wavefront6targetE1EEEvT1_ ; -- Begin function _ZN7rocprim17ROCPRIM_400000_NS6detail17trampoline_kernelINS0_14default_configENS1_27scan_by_key_config_selectorIiiEEZZNS1_16scan_by_key_implILNS1_25lookback_scan_determinismE0ELb1ES3_N6thrust23THRUST_200600_302600_NS6detail15normal_iteratorINS9_10device_ptrIiEEEENSB_INSC_IjEEEENSB_INSC_IfEEEEiNS9_4plusIvEENS9_8equal_toIvEEiEE10hipError_tPvRmT2_T3_T4_T5_mT6_T7_P12ihipStream_tbENKUlT_T0_E_clISt17integral_constantIbLb1EES12_IbLb0EEEEDaSY_SZ_EUlSY_E_NS1_11comp_targetILNS1_3genE10ELNS1_11target_archE1201ELNS1_3gpuE5ELNS1_3repE0EEENS1_30default_config_static_selectorELNS0_4arch9wavefront6targetE1EEEvT1_
	.globl	_ZN7rocprim17ROCPRIM_400000_NS6detail17trampoline_kernelINS0_14default_configENS1_27scan_by_key_config_selectorIiiEEZZNS1_16scan_by_key_implILNS1_25lookback_scan_determinismE0ELb1ES3_N6thrust23THRUST_200600_302600_NS6detail15normal_iteratorINS9_10device_ptrIiEEEENSB_INSC_IjEEEENSB_INSC_IfEEEEiNS9_4plusIvEENS9_8equal_toIvEEiEE10hipError_tPvRmT2_T3_T4_T5_mT6_T7_P12ihipStream_tbENKUlT_T0_E_clISt17integral_constantIbLb1EES12_IbLb0EEEEDaSY_SZ_EUlSY_E_NS1_11comp_targetILNS1_3genE10ELNS1_11target_archE1201ELNS1_3gpuE5ELNS1_3repE0EEENS1_30default_config_static_selectorELNS0_4arch9wavefront6targetE1EEEvT1_
	.p2align	8
	.type	_ZN7rocprim17ROCPRIM_400000_NS6detail17trampoline_kernelINS0_14default_configENS1_27scan_by_key_config_selectorIiiEEZZNS1_16scan_by_key_implILNS1_25lookback_scan_determinismE0ELb1ES3_N6thrust23THRUST_200600_302600_NS6detail15normal_iteratorINS9_10device_ptrIiEEEENSB_INSC_IjEEEENSB_INSC_IfEEEEiNS9_4plusIvEENS9_8equal_toIvEEiEE10hipError_tPvRmT2_T3_T4_T5_mT6_T7_P12ihipStream_tbENKUlT_T0_E_clISt17integral_constantIbLb1EES12_IbLb0EEEEDaSY_SZ_EUlSY_E_NS1_11comp_targetILNS1_3genE10ELNS1_11target_archE1201ELNS1_3gpuE5ELNS1_3repE0EEENS1_30default_config_static_selectorELNS0_4arch9wavefront6targetE1EEEvT1_,@function
_ZN7rocprim17ROCPRIM_400000_NS6detail17trampoline_kernelINS0_14default_configENS1_27scan_by_key_config_selectorIiiEEZZNS1_16scan_by_key_implILNS1_25lookback_scan_determinismE0ELb1ES3_N6thrust23THRUST_200600_302600_NS6detail15normal_iteratorINS9_10device_ptrIiEEEENSB_INSC_IjEEEENSB_INSC_IfEEEEiNS9_4plusIvEENS9_8equal_toIvEEiEE10hipError_tPvRmT2_T3_T4_T5_mT6_T7_P12ihipStream_tbENKUlT_T0_E_clISt17integral_constantIbLb1EES12_IbLb0EEEEDaSY_SZ_EUlSY_E_NS1_11comp_targetILNS1_3genE10ELNS1_11target_archE1201ELNS1_3gpuE5ELNS1_3repE0EEENS1_30default_config_static_selectorELNS0_4arch9wavefront6targetE1EEEvT1_: ; @_ZN7rocprim17ROCPRIM_400000_NS6detail17trampoline_kernelINS0_14default_configENS1_27scan_by_key_config_selectorIiiEEZZNS1_16scan_by_key_implILNS1_25lookback_scan_determinismE0ELb1ES3_N6thrust23THRUST_200600_302600_NS6detail15normal_iteratorINS9_10device_ptrIiEEEENSB_INSC_IjEEEENSB_INSC_IfEEEEiNS9_4plusIvEENS9_8equal_toIvEEiEE10hipError_tPvRmT2_T3_T4_T5_mT6_T7_P12ihipStream_tbENKUlT_T0_E_clISt17integral_constantIbLb1EES12_IbLb0EEEEDaSY_SZ_EUlSY_E_NS1_11comp_targetILNS1_3genE10ELNS1_11target_archE1201ELNS1_3gpuE5ELNS1_3repE0EEENS1_30default_config_static_selectorELNS0_4arch9wavefront6targetE1EEEvT1_
; %bb.0:
	.section	.rodata,"a",@progbits
	.p2align	6, 0x0
	.amdhsa_kernel _ZN7rocprim17ROCPRIM_400000_NS6detail17trampoline_kernelINS0_14default_configENS1_27scan_by_key_config_selectorIiiEEZZNS1_16scan_by_key_implILNS1_25lookback_scan_determinismE0ELb1ES3_N6thrust23THRUST_200600_302600_NS6detail15normal_iteratorINS9_10device_ptrIiEEEENSB_INSC_IjEEEENSB_INSC_IfEEEEiNS9_4plusIvEENS9_8equal_toIvEEiEE10hipError_tPvRmT2_T3_T4_T5_mT6_T7_P12ihipStream_tbENKUlT_T0_E_clISt17integral_constantIbLb1EES12_IbLb0EEEEDaSY_SZ_EUlSY_E_NS1_11comp_targetILNS1_3genE10ELNS1_11target_archE1201ELNS1_3gpuE5ELNS1_3repE0EEENS1_30default_config_static_selectorELNS0_4arch9wavefront6targetE1EEEvT1_
		.amdhsa_group_segment_fixed_size 0
		.amdhsa_private_segment_fixed_size 0
		.amdhsa_kernarg_size 112
		.amdhsa_user_sgpr_count 6
		.amdhsa_user_sgpr_private_segment_buffer 1
		.amdhsa_user_sgpr_dispatch_ptr 0
		.amdhsa_user_sgpr_queue_ptr 0
		.amdhsa_user_sgpr_kernarg_segment_ptr 1
		.amdhsa_user_sgpr_dispatch_id 0
		.amdhsa_user_sgpr_flat_scratch_init 0
		.amdhsa_user_sgpr_kernarg_preload_length 0
		.amdhsa_user_sgpr_kernarg_preload_offset 0
		.amdhsa_user_sgpr_private_segment_size 0
		.amdhsa_uses_dynamic_stack 0
		.amdhsa_system_sgpr_private_segment_wavefront_offset 0
		.amdhsa_system_sgpr_workgroup_id_x 1
		.amdhsa_system_sgpr_workgroup_id_y 0
		.amdhsa_system_sgpr_workgroup_id_z 0
		.amdhsa_system_sgpr_workgroup_info 0
		.amdhsa_system_vgpr_workitem_id 0
		.amdhsa_next_free_vgpr 1
		.amdhsa_next_free_sgpr 0
		.amdhsa_accum_offset 4
		.amdhsa_reserve_vcc 0
		.amdhsa_reserve_flat_scratch 0
		.amdhsa_float_round_mode_32 0
		.amdhsa_float_round_mode_16_64 0
		.amdhsa_float_denorm_mode_32 3
		.amdhsa_float_denorm_mode_16_64 3
		.amdhsa_dx10_clamp 1
		.amdhsa_ieee_mode 1
		.amdhsa_fp16_overflow 0
		.amdhsa_tg_split 0
		.amdhsa_exception_fp_ieee_invalid_op 0
		.amdhsa_exception_fp_denorm_src 0
		.amdhsa_exception_fp_ieee_div_zero 0
		.amdhsa_exception_fp_ieee_overflow 0
		.amdhsa_exception_fp_ieee_underflow 0
		.amdhsa_exception_fp_ieee_inexact 0
		.amdhsa_exception_int_div_zero 0
	.end_amdhsa_kernel
	.section	.text._ZN7rocprim17ROCPRIM_400000_NS6detail17trampoline_kernelINS0_14default_configENS1_27scan_by_key_config_selectorIiiEEZZNS1_16scan_by_key_implILNS1_25lookback_scan_determinismE0ELb1ES3_N6thrust23THRUST_200600_302600_NS6detail15normal_iteratorINS9_10device_ptrIiEEEENSB_INSC_IjEEEENSB_INSC_IfEEEEiNS9_4plusIvEENS9_8equal_toIvEEiEE10hipError_tPvRmT2_T3_T4_T5_mT6_T7_P12ihipStream_tbENKUlT_T0_E_clISt17integral_constantIbLb1EES12_IbLb0EEEEDaSY_SZ_EUlSY_E_NS1_11comp_targetILNS1_3genE10ELNS1_11target_archE1201ELNS1_3gpuE5ELNS1_3repE0EEENS1_30default_config_static_selectorELNS0_4arch9wavefront6targetE1EEEvT1_,"axG",@progbits,_ZN7rocprim17ROCPRIM_400000_NS6detail17trampoline_kernelINS0_14default_configENS1_27scan_by_key_config_selectorIiiEEZZNS1_16scan_by_key_implILNS1_25lookback_scan_determinismE0ELb1ES3_N6thrust23THRUST_200600_302600_NS6detail15normal_iteratorINS9_10device_ptrIiEEEENSB_INSC_IjEEEENSB_INSC_IfEEEEiNS9_4plusIvEENS9_8equal_toIvEEiEE10hipError_tPvRmT2_T3_T4_T5_mT6_T7_P12ihipStream_tbENKUlT_T0_E_clISt17integral_constantIbLb1EES12_IbLb0EEEEDaSY_SZ_EUlSY_E_NS1_11comp_targetILNS1_3genE10ELNS1_11target_archE1201ELNS1_3gpuE5ELNS1_3repE0EEENS1_30default_config_static_selectorELNS0_4arch9wavefront6targetE1EEEvT1_,comdat
.Lfunc_end1735:
	.size	_ZN7rocprim17ROCPRIM_400000_NS6detail17trampoline_kernelINS0_14default_configENS1_27scan_by_key_config_selectorIiiEEZZNS1_16scan_by_key_implILNS1_25lookback_scan_determinismE0ELb1ES3_N6thrust23THRUST_200600_302600_NS6detail15normal_iteratorINS9_10device_ptrIiEEEENSB_INSC_IjEEEENSB_INSC_IfEEEEiNS9_4plusIvEENS9_8equal_toIvEEiEE10hipError_tPvRmT2_T3_T4_T5_mT6_T7_P12ihipStream_tbENKUlT_T0_E_clISt17integral_constantIbLb1EES12_IbLb0EEEEDaSY_SZ_EUlSY_E_NS1_11comp_targetILNS1_3genE10ELNS1_11target_archE1201ELNS1_3gpuE5ELNS1_3repE0EEENS1_30default_config_static_selectorELNS0_4arch9wavefront6targetE1EEEvT1_, .Lfunc_end1735-_ZN7rocprim17ROCPRIM_400000_NS6detail17trampoline_kernelINS0_14default_configENS1_27scan_by_key_config_selectorIiiEEZZNS1_16scan_by_key_implILNS1_25lookback_scan_determinismE0ELb1ES3_N6thrust23THRUST_200600_302600_NS6detail15normal_iteratorINS9_10device_ptrIiEEEENSB_INSC_IjEEEENSB_INSC_IfEEEEiNS9_4plusIvEENS9_8equal_toIvEEiEE10hipError_tPvRmT2_T3_T4_T5_mT6_T7_P12ihipStream_tbENKUlT_T0_E_clISt17integral_constantIbLb1EES12_IbLb0EEEEDaSY_SZ_EUlSY_E_NS1_11comp_targetILNS1_3genE10ELNS1_11target_archE1201ELNS1_3gpuE5ELNS1_3repE0EEENS1_30default_config_static_selectorELNS0_4arch9wavefront6targetE1EEEvT1_
                                        ; -- End function
	.section	.AMDGPU.csdata,"",@progbits
; Kernel info:
; codeLenInByte = 0
; NumSgprs: 4
; NumVgprs: 0
; NumAgprs: 0
; TotalNumVgprs: 0
; ScratchSize: 0
; MemoryBound: 0
; FloatMode: 240
; IeeeMode: 1
; LDSByteSize: 0 bytes/workgroup (compile time only)
; SGPRBlocks: 0
; VGPRBlocks: 0
; NumSGPRsForWavesPerEU: 4
; NumVGPRsForWavesPerEU: 1
; AccumOffset: 4
; Occupancy: 8
; WaveLimiterHint : 0
; COMPUTE_PGM_RSRC2:SCRATCH_EN: 0
; COMPUTE_PGM_RSRC2:USER_SGPR: 6
; COMPUTE_PGM_RSRC2:TRAP_HANDLER: 0
; COMPUTE_PGM_RSRC2:TGID_X_EN: 1
; COMPUTE_PGM_RSRC2:TGID_Y_EN: 0
; COMPUTE_PGM_RSRC2:TGID_Z_EN: 0
; COMPUTE_PGM_RSRC2:TIDIG_COMP_CNT: 0
; COMPUTE_PGM_RSRC3_GFX90A:ACCUM_OFFSET: 0
; COMPUTE_PGM_RSRC3_GFX90A:TG_SPLIT: 0
	.section	.text._ZN7rocprim17ROCPRIM_400000_NS6detail17trampoline_kernelINS0_14default_configENS1_27scan_by_key_config_selectorIiiEEZZNS1_16scan_by_key_implILNS1_25lookback_scan_determinismE0ELb1ES3_N6thrust23THRUST_200600_302600_NS6detail15normal_iteratorINS9_10device_ptrIiEEEENSB_INSC_IjEEEENSB_INSC_IfEEEEiNS9_4plusIvEENS9_8equal_toIvEEiEE10hipError_tPvRmT2_T3_T4_T5_mT6_T7_P12ihipStream_tbENKUlT_T0_E_clISt17integral_constantIbLb1EES12_IbLb0EEEEDaSY_SZ_EUlSY_E_NS1_11comp_targetILNS1_3genE5ELNS1_11target_archE942ELNS1_3gpuE9ELNS1_3repE0EEENS1_30default_config_static_selectorELNS0_4arch9wavefront6targetE1EEEvT1_,"axG",@progbits,_ZN7rocprim17ROCPRIM_400000_NS6detail17trampoline_kernelINS0_14default_configENS1_27scan_by_key_config_selectorIiiEEZZNS1_16scan_by_key_implILNS1_25lookback_scan_determinismE0ELb1ES3_N6thrust23THRUST_200600_302600_NS6detail15normal_iteratorINS9_10device_ptrIiEEEENSB_INSC_IjEEEENSB_INSC_IfEEEEiNS9_4plusIvEENS9_8equal_toIvEEiEE10hipError_tPvRmT2_T3_T4_T5_mT6_T7_P12ihipStream_tbENKUlT_T0_E_clISt17integral_constantIbLb1EES12_IbLb0EEEEDaSY_SZ_EUlSY_E_NS1_11comp_targetILNS1_3genE5ELNS1_11target_archE942ELNS1_3gpuE9ELNS1_3repE0EEENS1_30default_config_static_selectorELNS0_4arch9wavefront6targetE1EEEvT1_,comdat
	.protected	_ZN7rocprim17ROCPRIM_400000_NS6detail17trampoline_kernelINS0_14default_configENS1_27scan_by_key_config_selectorIiiEEZZNS1_16scan_by_key_implILNS1_25lookback_scan_determinismE0ELb1ES3_N6thrust23THRUST_200600_302600_NS6detail15normal_iteratorINS9_10device_ptrIiEEEENSB_INSC_IjEEEENSB_INSC_IfEEEEiNS9_4plusIvEENS9_8equal_toIvEEiEE10hipError_tPvRmT2_T3_T4_T5_mT6_T7_P12ihipStream_tbENKUlT_T0_E_clISt17integral_constantIbLb1EES12_IbLb0EEEEDaSY_SZ_EUlSY_E_NS1_11comp_targetILNS1_3genE5ELNS1_11target_archE942ELNS1_3gpuE9ELNS1_3repE0EEENS1_30default_config_static_selectorELNS0_4arch9wavefront6targetE1EEEvT1_ ; -- Begin function _ZN7rocprim17ROCPRIM_400000_NS6detail17trampoline_kernelINS0_14default_configENS1_27scan_by_key_config_selectorIiiEEZZNS1_16scan_by_key_implILNS1_25lookback_scan_determinismE0ELb1ES3_N6thrust23THRUST_200600_302600_NS6detail15normal_iteratorINS9_10device_ptrIiEEEENSB_INSC_IjEEEENSB_INSC_IfEEEEiNS9_4plusIvEENS9_8equal_toIvEEiEE10hipError_tPvRmT2_T3_T4_T5_mT6_T7_P12ihipStream_tbENKUlT_T0_E_clISt17integral_constantIbLb1EES12_IbLb0EEEEDaSY_SZ_EUlSY_E_NS1_11comp_targetILNS1_3genE5ELNS1_11target_archE942ELNS1_3gpuE9ELNS1_3repE0EEENS1_30default_config_static_selectorELNS0_4arch9wavefront6targetE1EEEvT1_
	.globl	_ZN7rocprim17ROCPRIM_400000_NS6detail17trampoline_kernelINS0_14default_configENS1_27scan_by_key_config_selectorIiiEEZZNS1_16scan_by_key_implILNS1_25lookback_scan_determinismE0ELb1ES3_N6thrust23THRUST_200600_302600_NS6detail15normal_iteratorINS9_10device_ptrIiEEEENSB_INSC_IjEEEENSB_INSC_IfEEEEiNS9_4plusIvEENS9_8equal_toIvEEiEE10hipError_tPvRmT2_T3_T4_T5_mT6_T7_P12ihipStream_tbENKUlT_T0_E_clISt17integral_constantIbLb1EES12_IbLb0EEEEDaSY_SZ_EUlSY_E_NS1_11comp_targetILNS1_3genE5ELNS1_11target_archE942ELNS1_3gpuE9ELNS1_3repE0EEENS1_30default_config_static_selectorELNS0_4arch9wavefront6targetE1EEEvT1_
	.p2align	8
	.type	_ZN7rocprim17ROCPRIM_400000_NS6detail17trampoline_kernelINS0_14default_configENS1_27scan_by_key_config_selectorIiiEEZZNS1_16scan_by_key_implILNS1_25lookback_scan_determinismE0ELb1ES3_N6thrust23THRUST_200600_302600_NS6detail15normal_iteratorINS9_10device_ptrIiEEEENSB_INSC_IjEEEENSB_INSC_IfEEEEiNS9_4plusIvEENS9_8equal_toIvEEiEE10hipError_tPvRmT2_T3_T4_T5_mT6_T7_P12ihipStream_tbENKUlT_T0_E_clISt17integral_constantIbLb1EES12_IbLb0EEEEDaSY_SZ_EUlSY_E_NS1_11comp_targetILNS1_3genE5ELNS1_11target_archE942ELNS1_3gpuE9ELNS1_3repE0EEENS1_30default_config_static_selectorELNS0_4arch9wavefront6targetE1EEEvT1_,@function
_ZN7rocprim17ROCPRIM_400000_NS6detail17trampoline_kernelINS0_14default_configENS1_27scan_by_key_config_selectorIiiEEZZNS1_16scan_by_key_implILNS1_25lookback_scan_determinismE0ELb1ES3_N6thrust23THRUST_200600_302600_NS6detail15normal_iteratorINS9_10device_ptrIiEEEENSB_INSC_IjEEEENSB_INSC_IfEEEEiNS9_4plusIvEENS9_8equal_toIvEEiEE10hipError_tPvRmT2_T3_T4_T5_mT6_T7_P12ihipStream_tbENKUlT_T0_E_clISt17integral_constantIbLb1EES12_IbLb0EEEEDaSY_SZ_EUlSY_E_NS1_11comp_targetILNS1_3genE5ELNS1_11target_archE942ELNS1_3gpuE9ELNS1_3repE0EEENS1_30default_config_static_selectorELNS0_4arch9wavefront6targetE1EEEvT1_: ; @_ZN7rocprim17ROCPRIM_400000_NS6detail17trampoline_kernelINS0_14default_configENS1_27scan_by_key_config_selectorIiiEEZZNS1_16scan_by_key_implILNS1_25lookback_scan_determinismE0ELb1ES3_N6thrust23THRUST_200600_302600_NS6detail15normal_iteratorINS9_10device_ptrIiEEEENSB_INSC_IjEEEENSB_INSC_IfEEEEiNS9_4plusIvEENS9_8equal_toIvEEiEE10hipError_tPvRmT2_T3_T4_T5_mT6_T7_P12ihipStream_tbENKUlT_T0_E_clISt17integral_constantIbLb1EES12_IbLb0EEEEDaSY_SZ_EUlSY_E_NS1_11comp_targetILNS1_3genE5ELNS1_11target_archE942ELNS1_3gpuE9ELNS1_3repE0EEENS1_30default_config_static_selectorELNS0_4arch9wavefront6targetE1EEEvT1_
; %bb.0:
	.section	.rodata,"a",@progbits
	.p2align	6, 0x0
	.amdhsa_kernel _ZN7rocprim17ROCPRIM_400000_NS6detail17trampoline_kernelINS0_14default_configENS1_27scan_by_key_config_selectorIiiEEZZNS1_16scan_by_key_implILNS1_25lookback_scan_determinismE0ELb1ES3_N6thrust23THRUST_200600_302600_NS6detail15normal_iteratorINS9_10device_ptrIiEEEENSB_INSC_IjEEEENSB_INSC_IfEEEEiNS9_4plusIvEENS9_8equal_toIvEEiEE10hipError_tPvRmT2_T3_T4_T5_mT6_T7_P12ihipStream_tbENKUlT_T0_E_clISt17integral_constantIbLb1EES12_IbLb0EEEEDaSY_SZ_EUlSY_E_NS1_11comp_targetILNS1_3genE5ELNS1_11target_archE942ELNS1_3gpuE9ELNS1_3repE0EEENS1_30default_config_static_selectorELNS0_4arch9wavefront6targetE1EEEvT1_
		.amdhsa_group_segment_fixed_size 0
		.amdhsa_private_segment_fixed_size 0
		.amdhsa_kernarg_size 112
		.amdhsa_user_sgpr_count 6
		.amdhsa_user_sgpr_private_segment_buffer 1
		.amdhsa_user_sgpr_dispatch_ptr 0
		.amdhsa_user_sgpr_queue_ptr 0
		.amdhsa_user_sgpr_kernarg_segment_ptr 1
		.amdhsa_user_sgpr_dispatch_id 0
		.amdhsa_user_sgpr_flat_scratch_init 0
		.amdhsa_user_sgpr_kernarg_preload_length 0
		.amdhsa_user_sgpr_kernarg_preload_offset 0
		.amdhsa_user_sgpr_private_segment_size 0
		.amdhsa_uses_dynamic_stack 0
		.amdhsa_system_sgpr_private_segment_wavefront_offset 0
		.amdhsa_system_sgpr_workgroup_id_x 1
		.amdhsa_system_sgpr_workgroup_id_y 0
		.amdhsa_system_sgpr_workgroup_id_z 0
		.amdhsa_system_sgpr_workgroup_info 0
		.amdhsa_system_vgpr_workitem_id 0
		.amdhsa_next_free_vgpr 1
		.amdhsa_next_free_sgpr 0
		.amdhsa_accum_offset 4
		.amdhsa_reserve_vcc 0
		.amdhsa_reserve_flat_scratch 0
		.amdhsa_float_round_mode_32 0
		.amdhsa_float_round_mode_16_64 0
		.amdhsa_float_denorm_mode_32 3
		.amdhsa_float_denorm_mode_16_64 3
		.amdhsa_dx10_clamp 1
		.amdhsa_ieee_mode 1
		.amdhsa_fp16_overflow 0
		.amdhsa_tg_split 0
		.amdhsa_exception_fp_ieee_invalid_op 0
		.amdhsa_exception_fp_denorm_src 0
		.amdhsa_exception_fp_ieee_div_zero 0
		.amdhsa_exception_fp_ieee_overflow 0
		.amdhsa_exception_fp_ieee_underflow 0
		.amdhsa_exception_fp_ieee_inexact 0
		.amdhsa_exception_int_div_zero 0
	.end_amdhsa_kernel
	.section	.text._ZN7rocprim17ROCPRIM_400000_NS6detail17trampoline_kernelINS0_14default_configENS1_27scan_by_key_config_selectorIiiEEZZNS1_16scan_by_key_implILNS1_25lookback_scan_determinismE0ELb1ES3_N6thrust23THRUST_200600_302600_NS6detail15normal_iteratorINS9_10device_ptrIiEEEENSB_INSC_IjEEEENSB_INSC_IfEEEEiNS9_4plusIvEENS9_8equal_toIvEEiEE10hipError_tPvRmT2_T3_T4_T5_mT6_T7_P12ihipStream_tbENKUlT_T0_E_clISt17integral_constantIbLb1EES12_IbLb0EEEEDaSY_SZ_EUlSY_E_NS1_11comp_targetILNS1_3genE5ELNS1_11target_archE942ELNS1_3gpuE9ELNS1_3repE0EEENS1_30default_config_static_selectorELNS0_4arch9wavefront6targetE1EEEvT1_,"axG",@progbits,_ZN7rocprim17ROCPRIM_400000_NS6detail17trampoline_kernelINS0_14default_configENS1_27scan_by_key_config_selectorIiiEEZZNS1_16scan_by_key_implILNS1_25lookback_scan_determinismE0ELb1ES3_N6thrust23THRUST_200600_302600_NS6detail15normal_iteratorINS9_10device_ptrIiEEEENSB_INSC_IjEEEENSB_INSC_IfEEEEiNS9_4plusIvEENS9_8equal_toIvEEiEE10hipError_tPvRmT2_T3_T4_T5_mT6_T7_P12ihipStream_tbENKUlT_T0_E_clISt17integral_constantIbLb1EES12_IbLb0EEEEDaSY_SZ_EUlSY_E_NS1_11comp_targetILNS1_3genE5ELNS1_11target_archE942ELNS1_3gpuE9ELNS1_3repE0EEENS1_30default_config_static_selectorELNS0_4arch9wavefront6targetE1EEEvT1_,comdat
.Lfunc_end1736:
	.size	_ZN7rocprim17ROCPRIM_400000_NS6detail17trampoline_kernelINS0_14default_configENS1_27scan_by_key_config_selectorIiiEEZZNS1_16scan_by_key_implILNS1_25lookback_scan_determinismE0ELb1ES3_N6thrust23THRUST_200600_302600_NS6detail15normal_iteratorINS9_10device_ptrIiEEEENSB_INSC_IjEEEENSB_INSC_IfEEEEiNS9_4plusIvEENS9_8equal_toIvEEiEE10hipError_tPvRmT2_T3_T4_T5_mT6_T7_P12ihipStream_tbENKUlT_T0_E_clISt17integral_constantIbLb1EES12_IbLb0EEEEDaSY_SZ_EUlSY_E_NS1_11comp_targetILNS1_3genE5ELNS1_11target_archE942ELNS1_3gpuE9ELNS1_3repE0EEENS1_30default_config_static_selectorELNS0_4arch9wavefront6targetE1EEEvT1_, .Lfunc_end1736-_ZN7rocprim17ROCPRIM_400000_NS6detail17trampoline_kernelINS0_14default_configENS1_27scan_by_key_config_selectorIiiEEZZNS1_16scan_by_key_implILNS1_25lookback_scan_determinismE0ELb1ES3_N6thrust23THRUST_200600_302600_NS6detail15normal_iteratorINS9_10device_ptrIiEEEENSB_INSC_IjEEEENSB_INSC_IfEEEEiNS9_4plusIvEENS9_8equal_toIvEEiEE10hipError_tPvRmT2_T3_T4_T5_mT6_T7_P12ihipStream_tbENKUlT_T0_E_clISt17integral_constantIbLb1EES12_IbLb0EEEEDaSY_SZ_EUlSY_E_NS1_11comp_targetILNS1_3genE5ELNS1_11target_archE942ELNS1_3gpuE9ELNS1_3repE0EEENS1_30default_config_static_selectorELNS0_4arch9wavefront6targetE1EEEvT1_
                                        ; -- End function
	.section	.AMDGPU.csdata,"",@progbits
; Kernel info:
; codeLenInByte = 0
; NumSgprs: 4
; NumVgprs: 0
; NumAgprs: 0
; TotalNumVgprs: 0
; ScratchSize: 0
; MemoryBound: 0
; FloatMode: 240
; IeeeMode: 1
; LDSByteSize: 0 bytes/workgroup (compile time only)
; SGPRBlocks: 0
; VGPRBlocks: 0
; NumSGPRsForWavesPerEU: 4
; NumVGPRsForWavesPerEU: 1
; AccumOffset: 4
; Occupancy: 8
; WaveLimiterHint : 0
; COMPUTE_PGM_RSRC2:SCRATCH_EN: 0
; COMPUTE_PGM_RSRC2:USER_SGPR: 6
; COMPUTE_PGM_RSRC2:TRAP_HANDLER: 0
; COMPUTE_PGM_RSRC2:TGID_X_EN: 1
; COMPUTE_PGM_RSRC2:TGID_Y_EN: 0
; COMPUTE_PGM_RSRC2:TGID_Z_EN: 0
; COMPUTE_PGM_RSRC2:TIDIG_COMP_CNT: 0
; COMPUTE_PGM_RSRC3_GFX90A:ACCUM_OFFSET: 0
; COMPUTE_PGM_RSRC3_GFX90A:TG_SPLIT: 0
	.section	.text._ZN7rocprim17ROCPRIM_400000_NS6detail17trampoline_kernelINS0_14default_configENS1_27scan_by_key_config_selectorIiiEEZZNS1_16scan_by_key_implILNS1_25lookback_scan_determinismE0ELb1ES3_N6thrust23THRUST_200600_302600_NS6detail15normal_iteratorINS9_10device_ptrIiEEEENSB_INSC_IjEEEENSB_INSC_IfEEEEiNS9_4plusIvEENS9_8equal_toIvEEiEE10hipError_tPvRmT2_T3_T4_T5_mT6_T7_P12ihipStream_tbENKUlT_T0_E_clISt17integral_constantIbLb1EES12_IbLb0EEEEDaSY_SZ_EUlSY_E_NS1_11comp_targetILNS1_3genE4ELNS1_11target_archE910ELNS1_3gpuE8ELNS1_3repE0EEENS1_30default_config_static_selectorELNS0_4arch9wavefront6targetE1EEEvT1_,"axG",@progbits,_ZN7rocprim17ROCPRIM_400000_NS6detail17trampoline_kernelINS0_14default_configENS1_27scan_by_key_config_selectorIiiEEZZNS1_16scan_by_key_implILNS1_25lookback_scan_determinismE0ELb1ES3_N6thrust23THRUST_200600_302600_NS6detail15normal_iteratorINS9_10device_ptrIiEEEENSB_INSC_IjEEEENSB_INSC_IfEEEEiNS9_4plusIvEENS9_8equal_toIvEEiEE10hipError_tPvRmT2_T3_T4_T5_mT6_T7_P12ihipStream_tbENKUlT_T0_E_clISt17integral_constantIbLb1EES12_IbLb0EEEEDaSY_SZ_EUlSY_E_NS1_11comp_targetILNS1_3genE4ELNS1_11target_archE910ELNS1_3gpuE8ELNS1_3repE0EEENS1_30default_config_static_selectorELNS0_4arch9wavefront6targetE1EEEvT1_,comdat
	.protected	_ZN7rocprim17ROCPRIM_400000_NS6detail17trampoline_kernelINS0_14default_configENS1_27scan_by_key_config_selectorIiiEEZZNS1_16scan_by_key_implILNS1_25lookback_scan_determinismE0ELb1ES3_N6thrust23THRUST_200600_302600_NS6detail15normal_iteratorINS9_10device_ptrIiEEEENSB_INSC_IjEEEENSB_INSC_IfEEEEiNS9_4plusIvEENS9_8equal_toIvEEiEE10hipError_tPvRmT2_T3_T4_T5_mT6_T7_P12ihipStream_tbENKUlT_T0_E_clISt17integral_constantIbLb1EES12_IbLb0EEEEDaSY_SZ_EUlSY_E_NS1_11comp_targetILNS1_3genE4ELNS1_11target_archE910ELNS1_3gpuE8ELNS1_3repE0EEENS1_30default_config_static_selectorELNS0_4arch9wavefront6targetE1EEEvT1_ ; -- Begin function _ZN7rocprim17ROCPRIM_400000_NS6detail17trampoline_kernelINS0_14default_configENS1_27scan_by_key_config_selectorIiiEEZZNS1_16scan_by_key_implILNS1_25lookback_scan_determinismE0ELb1ES3_N6thrust23THRUST_200600_302600_NS6detail15normal_iteratorINS9_10device_ptrIiEEEENSB_INSC_IjEEEENSB_INSC_IfEEEEiNS9_4plusIvEENS9_8equal_toIvEEiEE10hipError_tPvRmT2_T3_T4_T5_mT6_T7_P12ihipStream_tbENKUlT_T0_E_clISt17integral_constantIbLb1EES12_IbLb0EEEEDaSY_SZ_EUlSY_E_NS1_11comp_targetILNS1_3genE4ELNS1_11target_archE910ELNS1_3gpuE8ELNS1_3repE0EEENS1_30default_config_static_selectorELNS0_4arch9wavefront6targetE1EEEvT1_
	.globl	_ZN7rocprim17ROCPRIM_400000_NS6detail17trampoline_kernelINS0_14default_configENS1_27scan_by_key_config_selectorIiiEEZZNS1_16scan_by_key_implILNS1_25lookback_scan_determinismE0ELb1ES3_N6thrust23THRUST_200600_302600_NS6detail15normal_iteratorINS9_10device_ptrIiEEEENSB_INSC_IjEEEENSB_INSC_IfEEEEiNS9_4plusIvEENS9_8equal_toIvEEiEE10hipError_tPvRmT2_T3_T4_T5_mT6_T7_P12ihipStream_tbENKUlT_T0_E_clISt17integral_constantIbLb1EES12_IbLb0EEEEDaSY_SZ_EUlSY_E_NS1_11comp_targetILNS1_3genE4ELNS1_11target_archE910ELNS1_3gpuE8ELNS1_3repE0EEENS1_30default_config_static_selectorELNS0_4arch9wavefront6targetE1EEEvT1_
	.p2align	8
	.type	_ZN7rocprim17ROCPRIM_400000_NS6detail17trampoline_kernelINS0_14default_configENS1_27scan_by_key_config_selectorIiiEEZZNS1_16scan_by_key_implILNS1_25lookback_scan_determinismE0ELb1ES3_N6thrust23THRUST_200600_302600_NS6detail15normal_iteratorINS9_10device_ptrIiEEEENSB_INSC_IjEEEENSB_INSC_IfEEEEiNS9_4plusIvEENS9_8equal_toIvEEiEE10hipError_tPvRmT2_T3_T4_T5_mT6_T7_P12ihipStream_tbENKUlT_T0_E_clISt17integral_constantIbLb1EES12_IbLb0EEEEDaSY_SZ_EUlSY_E_NS1_11comp_targetILNS1_3genE4ELNS1_11target_archE910ELNS1_3gpuE8ELNS1_3repE0EEENS1_30default_config_static_selectorELNS0_4arch9wavefront6targetE1EEEvT1_,@function
_ZN7rocprim17ROCPRIM_400000_NS6detail17trampoline_kernelINS0_14default_configENS1_27scan_by_key_config_selectorIiiEEZZNS1_16scan_by_key_implILNS1_25lookback_scan_determinismE0ELb1ES3_N6thrust23THRUST_200600_302600_NS6detail15normal_iteratorINS9_10device_ptrIiEEEENSB_INSC_IjEEEENSB_INSC_IfEEEEiNS9_4plusIvEENS9_8equal_toIvEEiEE10hipError_tPvRmT2_T3_T4_T5_mT6_T7_P12ihipStream_tbENKUlT_T0_E_clISt17integral_constantIbLb1EES12_IbLb0EEEEDaSY_SZ_EUlSY_E_NS1_11comp_targetILNS1_3genE4ELNS1_11target_archE910ELNS1_3gpuE8ELNS1_3repE0EEENS1_30default_config_static_selectorELNS0_4arch9wavefront6targetE1EEEvT1_: ; @_ZN7rocprim17ROCPRIM_400000_NS6detail17trampoline_kernelINS0_14default_configENS1_27scan_by_key_config_selectorIiiEEZZNS1_16scan_by_key_implILNS1_25lookback_scan_determinismE0ELb1ES3_N6thrust23THRUST_200600_302600_NS6detail15normal_iteratorINS9_10device_ptrIiEEEENSB_INSC_IjEEEENSB_INSC_IfEEEEiNS9_4plusIvEENS9_8equal_toIvEEiEE10hipError_tPvRmT2_T3_T4_T5_mT6_T7_P12ihipStream_tbENKUlT_T0_E_clISt17integral_constantIbLb1EES12_IbLb0EEEEDaSY_SZ_EUlSY_E_NS1_11comp_targetILNS1_3genE4ELNS1_11target_archE910ELNS1_3gpuE8ELNS1_3repE0EEENS1_30default_config_static_selectorELNS0_4arch9wavefront6targetE1EEEvT1_
; %bb.0:
	s_load_dwordx8 s[36:43], s[4:5], 0x0
	s_load_dword s56, s[4:5], 0x20
	s_load_dwordx4 s[44:47], s[4:5], 0x28
	s_load_dwordx2 s[52:53], s[4:5], 0x38
	s_load_dword s0, s[4:5], 0x40
	s_load_dwordx4 s[48:51], s[4:5], 0x48
	s_waitcnt lgkmcnt(0)
	s_lshl_b64 s[34:35], s[38:39], 2
	s_add_u32 s2, s36, s34
	s_addc_u32 s3, s37, s35
	s_add_u32 s4, s40, s34
	s_mul_i32 s1, s53, s0
	s_mul_hi_u32 s7, s52, s0
	s_addc_u32 s5, s41, s35
	s_add_i32 s8, s7, s1
	s_mul_i32 s9, s52, s0
	s_mul_i32 s0, s6, 0xe00
	s_mov_b32 s1, 0
	s_lshl_b64 s[36:37], s[0:1], 2
	s_add_u32 s38, s2, s36
	s_addc_u32 s39, s3, s37
	s_add_u32 s7, s4, s36
	s_addc_u32 s47, s5, s37
	;; [unrolled: 2-line block ×3, first 2 shown]
	s_add_u32 s4, s48, -1
	s_addc_u32 s5, s49, -1
	v_pk_mov_b32 v[2:3], s[4:5], s[4:5] op_sel:[0,1]
	v_cmp_ge_u64_e64 s[0:1], s[0:1], v[2:3]
	s_mov_b64 s[2:3], -1
	s_and_b64 vcc, exec, s[0:1]
	s_mul_i32 s33, s4, 0xfffff200
	s_barrier
	s_cbranch_vccz .LBB1737_76
; %bb.1:
	v_pk_mov_b32 v[2:3], s[38:39], s[38:39] op_sel:[0,1]
	flat_load_dword v1, v[2:3]
	s_add_i32 s54, s33, s46
	v_cmp_gt_u32_e32 vcc, s54, v0
	s_waitcnt vmcnt(0) lgkmcnt(0)
	v_mov_b32_e32 v13, v1
	s_and_saveexec_b64 s[4:5], vcc
	s_cbranch_execz .LBB1737_3
; %bb.2:
	v_lshlrev_b32_e32 v2, 2, v0
	v_mov_b32_e32 v3, s39
	v_add_co_u32_e64 v2, s[2:3], s38, v2
	v_addc_co_u32_e64 v3, s[2:3], 0, v3, s[2:3]
	flat_load_dword v13, v[2:3]
.LBB1737_3:
	s_or_b64 exec, exec, s[4:5]
	v_or_b32_e32 v2, 0x100, v0
	v_cmp_gt_u32_e64 s[2:3], s54, v2
	v_mov_b32_e32 v14, v1
	s_and_saveexec_b64 s[8:9], s[2:3]
	s_cbranch_execz .LBB1737_5
; %bb.4:
	v_lshlrev_b32_e32 v2, 2, v0
	v_mov_b32_e32 v3, s39
	v_add_co_u32_e64 v2, s[4:5], s38, v2
	v_addc_co_u32_e64 v3, s[4:5], 0, v3, s[4:5]
	flat_load_dword v14, v[2:3] offset:1024
.LBB1737_5:
	s_or_b64 exec, exec, s[8:9]
	v_or_b32_e32 v2, 0x200, v0
	v_cmp_gt_u32_e64 s[4:5], s54, v2
	v_mov_b32_e32 v15, v1
	s_and_saveexec_b64 s[10:11], s[4:5]
	s_cbranch_execz .LBB1737_7
; %bb.6:
	v_lshlrev_b32_e32 v2, 2, v0
	v_mov_b32_e32 v3, s39
	v_add_co_u32_e64 v2, s[8:9], s38, v2
	v_addc_co_u32_e64 v3, s[8:9], 0, v3, s[8:9]
	flat_load_dword v15, v[2:3] offset:2048
.LBB1737_7:
	;; [unrolled: 13-line block ×3, first 2 shown]
	s_or_b64 exec, exec, s[10:11]
	v_or_b32_e32 v2, 0x400, v0
	v_cmp_gt_u32_e64 s[8:9], s54, v2
	v_mov_b32_e32 v17, v1
	s_and_saveexec_b64 s[12:13], s[8:9]
	s_cbranch_execz .LBB1737_11
; %bb.10:
	v_lshlrev_b32_e32 v3, 2, v2
	v_mov_b32_e32 v5, s39
	v_add_co_u32_e64 v4, s[10:11], s38, v3
	v_addc_co_u32_e64 v5, s[10:11], 0, v5, s[10:11]
	flat_load_dword v17, v[4:5]
.LBB1737_11:
	s_or_b64 exec, exec, s[12:13]
	v_or_b32_e32 v3, 0x500, v0
	v_cmp_gt_u32_e64 s[10:11], s54, v3
	v_mov_b32_e32 v18, v1
	s_and_saveexec_b64 s[14:15], s[10:11]
	s_cbranch_execz .LBB1737_13
; %bb.12:
	v_lshlrev_b32_e32 v4, 2, v3
	v_mov_b32_e32 v5, s39
	v_add_co_u32_e64 v4, s[12:13], s38, v4
	v_addc_co_u32_e64 v5, s[12:13], 0, v5, s[12:13]
	flat_load_dword v18, v[4:5]
.LBB1737_13:
	;; [unrolled: 13-line block ×9, first 2 shown]
	s_or_b64 exec, exec, s[30:31]
	v_or_b32_e32 v11, 0xd00, v0
	v_cmp_gt_u32_e64 s[26:27], s54, v11
	s_and_saveexec_b64 s[40:41], s[26:27]
	s_cbranch_execz .LBB1737_29
; %bb.28:
	v_lshlrev_b32_e32 v1, 2, v11
	v_mov_b32_e32 v12, s39
	v_add_co_u32_e64 v26, s[30:31], s38, v1
	v_addc_co_u32_e64 v27, s[30:31], 0, v12, s[30:31]
	flat_load_dword v1, v[26:27]
.LBB1737_29:
	s_or_b64 exec, exec, s[40:41]
	v_lshlrev_b32_e32 v12, 2, v0
	s_waitcnt vmcnt(0) lgkmcnt(0)
	ds_write2st64_b32 v12, v13, v14 offset1:4
	ds_write2st64_b32 v12, v15, v16 offset0:8 offset1:12
	ds_write2st64_b32 v12, v17, v18 offset0:16 offset1:20
	;; [unrolled: 1-line block ×6, first 2 shown]
	v_pk_mov_b32 v[14:15], s[38:39], s[38:39] op_sel:[0,1]
	s_waitcnt lgkmcnt(0)
	s_barrier
	flat_load_dword v1, v[14:15]
	v_mad_u32_u24 v44, v0, 52, v12
	s_movk_i32 s30, 0xffcc
	ds_read2_b64 v[34:37], v44 offset1:1
	ds_read2_b64 v[30:33], v44 offset0:2 offset1:3
	ds_read2_b64 v[26:29], v44 offset0:4 offset1:5
	ds_read_b64 v[40:41], v44 offset:48
	v_mad_i32_i24 v13, v0, s30, v44
	s_movk_i32 s30, 0xff
	v_cmp_ne_u32_e64 s[30:31], s30, v0
	s_waitcnt lgkmcnt(0)
	ds_write_b32 v13, v34 offset:15360
	s_waitcnt lgkmcnt(0)
	s_barrier
	s_and_saveexec_b64 s[40:41], s[30:31]
	s_cbranch_execz .LBB1737_31
; %bb.30:
	s_waitcnt vmcnt(0)
	ds_read_b32 v1, v12 offset:15364
.LBB1737_31:
	s_or_b64 exec, exec, s[40:41]
	s_waitcnt lgkmcnt(0)
	s_barrier
	s_waitcnt lgkmcnt(0)
                                        ; implicit-def: $vgpr13
	s_and_saveexec_b64 s[30:31], vcc
	s_cbranch_execz .LBB1737_117
; %bb.32:
	v_mov_b32_e32 v13, s47
	v_add_co_u32_e32 v14, vcc, s7, v12
	v_addc_co_u32_e32 v15, vcc, 0, v13, vcc
	flat_load_dword v13, v[14:15]
	s_or_b64 exec, exec, s[30:31]
                                        ; implicit-def: $vgpr14
	s_and_saveexec_b64 s[30:31], s[2:3]
	s_cbranch_execnz .LBB1737_118
.LBB1737_33:
	s_or_b64 exec, exec, s[30:31]
                                        ; implicit-def: $vgpr15
	s_and_saveexec_b64 s[2:3], s[4:5]
	s_cbranch_execz .LBB1737_119
.LBB1737_34:
	v_mov_b32_e32 v15, s47
	v_add_co_u32_e32 v16, vcc, s7, v12
	v_addc_co_u32_e32 v17, vcc, 0, v15, vcc
	flat_load_dword v15, v[16:17] offset:2048
	s_or_b64 exec, exec, s[2:3]
                                        ; implicit-def: $vgpr16
	s_and_saveexec_b64 s[2:3], s[28:29]
	s_cbranch_execnz .LBB1737_120
.LBB1737_35:
	s_or_b64 exec, exec, s[2:3]
                                        ; implicit-def: $vgpr17
	s_and_saveexec_b64 s[2:3], s[8:9]
	s_cbranch_execz .LBB1737_121
.LBB1737_36:
	v_lshlrev_b32_e32 v2, 2, v2
	v_mov_b32_e32 v17, s47
	v_add_co_u32_e32 v18, vcc, s7, v2
	v_addc_co_u32_e32 v19, vcc, 0, v17, vcc
	flat_load_dword v17, v[18:19]
	s_or_b64 exec, exec, s[2:3]
                                        ; implicit-def: $vgpr2
	s_and_saveexec_b64 s[2:3], s[10:11]
	s_cbranch_execnz .LBB1737_122
.LBB1737_37:
	s_or_b64 exec, exec, s[2:3]
                                        ; implicit-def: $vgpr3
	s_and_saveexec_b64 s[2:3], s[12:13]
	s_cbranch_execz .LBB1737_123
.LBB1737_38:
	v_lshlrev_b32_e32 v3, 2, v4
	v_mov_b32_e32 v4, s47
	v_add_co_u32_e32 v18, vcc, s7, v3
	v_addc_co_u32_e32 v19, vcc, 0, v4, vcc
	flat_load_dword v3, v[18:19]
	s_or_b64 exec, exec, s[2:3]
                                        ; implicit-def: $vgpr4
	s_and_saveexec_b64 s[2:3], s[14:15]
	s_cbranch_execnz .LBB1737_124
.LBB1737_39:
	s_or_b64 exec, exec, s[2:3]
                                        ; implicit-def: $vgpr5
	s_and_saveexec_b64 s[2:3], s[16:17]
	s_cbranch_execz .LBB1737_125
.LBB1737_40:
	v_lshlrev_b32_e32 v5, 2, v6
	v_mov_b32_e32 v6, s47
	v_add_co_u32_e32 v18, vcc, s7, v5
	v_addc_co_u32_e32 v19, vcc, 0, v6, vcc
	flat_load_dword v5, v[18:19]
	s_or_b64 exec, exec, s[2:3]
                                        ; implicit-def: $vgpr6
	s_and_saveexec_b64 s[2:3], s[18:19]
	s_cbranch_execnz .LBB1737_126
.LBB1737_41:
	s_or_b64 exec, exec, s[2:3]
                                        ; implicit-def: $vgpr7
	s_and_saveexec_b64 s[2:3], s[20:21]
	s_cbranch_execz .LBB1737_127
.LBB1737_42:
	v_lshlrev_b32_e32 v7, 2, v8
	v_mov_b32_e32 v8, s47
	v_add_co_u32_e32 v18, vcc, s7, v7
	v_addc_co_u32_e32 v19, vcc, 0, v8, vcc
	flat_load_dword v7, v[18:19]
	s_or_b64 exec, exec, s[2:3]
                                        ; implicit-def: $vgpr8
	s_and_saveexec_b64 s[2:3], s[22:23]
	s_cbranch_execnz .LBB1737_128
.LBB1737_43:
	s_or_b64 exec, exec, s[2:3]
                                        ; implicit-def: $vgpr9
	s_and_saveexec_b64 s[2:3], s[24:25]
	s_cbranch_execz .LBB1737_45
.LBB1737_44:
	v_lshlrev_b32_e32 v9, 2, v10
	v_mov_b32_e32 v10, s47
	v_add_co_u32_e32 v18, vcc, s7, v9
	v_addc_co_u32_e32 v19, vcc, 0, v10, vcc
	flat_load_dword v9, v[18:19]
.LBB1737_45:
	s_or_b64 exec, exec, s[2:3]
	v_mul_u32_u24_e32 v45, 14, v0
                                        ; implicit-def: $vgpr10
	s_and_saveexec_b64 s[2:3], s[26:27]
	s_cbranch_execz .LBB1737_47
; %bb.46:
	v_lshlrev_b32_e32 v10, 2, v11
	v_mov_b32_e32 v11, s47
	v_add_co_u32_e32 v10, vcc, s7, v10
	v_addc_co_u32_e32 v11, vcc, 0, v11, vcc
	flat_load_dword v10, v[10:11]
.LBB1737_47:
	s_or_b64 exec, exec, s[2:3]
	s_mov_b32 s8, 0
	s_mov_b32 s9, s8
	s_waitcnt vmcnt(0) lgkmcnt(0)
	ds_write2st64_b32 v12, v13, v14 offset1:4
	ds_write2st64_b32 v12, v15, v16 offset0:8 offset1:12
	ds_write2st64_b32 v12, v17, v2 offset0:16 offset1:20
	;; [unrolled: 1-line block ×6, first 2 shown]
	s_mov_b32 s10, s8
	s_mov_b32 s11, s8
	;; [unrolled: 1-line block ×6, first 2 shown]
	v_pk_mov_b32 v[2:3], s[8:9], s[8:9] op_sel:[0,1]
	v_pk_mov_b32 v[8:9], s[14:15], s[14:15] op_sel:[0,1]
	;; [unrolled: 1-line block ×6, first 2 shown]
	v_cmp_gt_u32_e32 vcc, s54, v45
	s_mov_b64 s[2:3], 0
	v_pk_mov_b32 v[38:39], 0, 0
	s_mov_b64 s[18:19], 0
	v_pk_mov_b32 v[14:15], v[6:7], v[6:7] op_sel:[0,1]
	v_pk_mov_b32 v[12:13], v[4:5], v[4:5] op_sel:[0,1]
	;; [unrolled: 1-line block ×6, first 2 shown]
	s_waitcnt lgkmcnt(0)
	s_barrier
	s_waitcnt lgkmcnt(0)
                                        ; implicit-def: $sgpr16_sgpr17
                                        ; implicit-def: $vgpr42
	s_and_saveexec_b64 s[4:5], vcc
	s_cbranch_execz .LBB1737_75
; %bb.48:
	ds_read_b32 v2, v44
	v_mov_b32_e32 v4, s56
	v_cmp_eq_u32_e32 vcc, v34, v35
	v_or_b32_e32 v3, 1, v45
                                        ; implicit-def: $vgpr42
	s_waitcnt lgkmcnt(0)
	v_cndmask_b32_e32 v38, v4, v2, vcc
	v_cmp_ne_u32_e32 vcc, v34, v35
	v_cndmask_b32_e64 v39, 0, 1, vcc
	v_cmp_gt_u32_e32 vcc, s54, v3
	v_pk_mov_b32 v[2:3], s[8:9], s[8:9] op_sel:[0,1]
	v_pk_mov_b32 v[8:9], s[14:15], s[14:15] op_sel:[0,1]
	;; [unrolled: 1-line block ×12, first 2 shown]
                                        ; implicit-def: $sgpr8_sgpr9
	s_and_saveexec_b64 s[16:17], vcc
	s_cbranch_execz .LBB1737_74
; %bb.49:
	ds_read2_b32 v[42:43], v44 offset0:1 offset1:2
	s_mov_b32 s8, 0
	v_mov_b32_e32 v3, s56
	v_cmp_eq_u32_e32 vcc, v35, v36
	s_mov_b32 s14, s8
	s_mov_b32 s15, s8
	v_add_u32_e32 v2, 2, v45
	s_waitcnt lgkmcnt(0)
	v_cndmask_b32_e32 v8, v3, v42, vcc
	v_cmp_ne_u32_e32 vcc, v35, v36
	s_mov_b32 s9, s8
	s_mov_b32 s10, s8
	;; [unrolled: 1-line block ×5, first 2 shown]
	v_pk_mov_b32 v[16:17], s[14:15], s[14:15] op_sel:[0,1]
	v_cndmask_b32_e64 v9, 0, 1, vcc
	v_cmp_gt_u32_e32 vcc, s54, v2
	v_mov_b32_e32 v2, 0
	v_pk_mov_b32 v[14:15], s[12:13], s[12:13] op_sel:[0,1]
	v_pk_mov_b32 v[12:13], s[10:11], s[10:11] op_sel:[0,1]
	;; [unrolled: 1-line block ×4, first 2 shown]
	v_mov_b32_e32 v3, v2
	v_mov_b32_e32 v4, v2
	;; [unrolled: 1-line block ×5, first 2 shown]
	s_mov_b64 s[20:21], 0
	v_pk_mov_b32 v[22:23], v[14:15], v[14:15] op_sel:[0,1]
	v_pk_mov_b32 v[20:21], v[12:13], v[12:13] op_sel:[0,1]
	;; [unrolled: 1-line block ×3, first 2 shown]
                                        ; implicit-def: $sgpr24_sgpr25
                                        ; implicit-def: $vgpr42
	s_and_saveexec_b64 s[18:19], vcc
	s_cbranch_execz .LBB1737_73
; %bb.50:
	v_mov_b32_e32 v4, s56
	v_cmp_eq_u32_e32 vcc, v36, v37
	v_pk_mov_b32 v[16:17], s[14:15], s[14:15] op_sel:[0,1]
	v_add_u32_e32 v3, 3, v45
	v_cndmask_b32_e32 v6, v4, v43, vcc
	v_cmp_ne_u32_e32 vcc, v36, v37
	v_pk_mov_b32 v[14:15], s[12:13], s[12:13] op_sel:[0,1]
	v_pk_mov_b32 v[12:13], s[10:11], s[10:11] op_sel:[0,1]
	;; [unrolled: 1-line block ×4, first 2 shown]
	v_cndmask_b32_e64 v7, 0, 1, vcc
	v_cmp_gt_u32_e32 vcc, s54, v3
	v_mov_b32_e32 v3, v2
	v_mov_b32_e32 v4, v2
	;; [unrolled: 1-line block ×3, first 2 shown]
	s_mov_b64 s[22:23], 0
	v_pk_mov_b32 v[22:23], v[14:15], v[14:15] op_sel:[0,1]
	v_pk_mov_b32 v[20:21], v[12:13], v[12:13] op_sel:[0,1]
	;; [unrolled: 1-line block ×3, first 2 shown]
                                        ; implicit-def: $sgpr8_sgpr9
                                        ; implicit-def: $vgpr42
	s_and_saveexec_b64 s[20:21], vcc
	s_cbranch_execz .LBB1737_72
; %bb.51:
	ds_read2_b32 v[34:35], v44 offset0:3 offset1:4
	s_mov_b32 s8, 0
	s_mov_b32 s14, s8
	;; [unrolled: 1-line block ×3, first 2 shown]
	v_mov_b32_e32 v3, s56
	v_cmp_eq_u32_e32 vcc, v37, v30
	s_mov_b32 s9, s8
	s_mov_b32 s10, s8
	;; [unrolled: 1-line block ×5, first 2 shown]
	v_pk_mov_b32 v[16:17], s[14:15], s[14:15] op_sel:[0,1]
	v_add_u32_e32 v2, 4, v45
	s_waitcnt lgkmcnt(0)
	v_cndmask_b32_e32 v4, v3, v34, vcc
	v_cmp_ne_u32_e32 vcc, v37, v30
	v_pk_mov_b32 v[14:15], s[12:13], s[12:13] op_sel:[0,1]
	v_pk_mov_b32 v[12:13], s[10:11], s[10:11] op_sel:[0,1]
	v_pk_mov_b32 v[10:11], s[8:9], s[8:9] op_sel:[0,1]
	v_pk_mov_b32 v[24:25], v[16:17], v[16:17] op_sel:[0,1]
	v_cndmask_b32_e64 v5, 0, 1, vcc
	v_cmp_gt_u32_e32 vcc, s54, v2
	v_mov_b32_e32 v2, s8
	v_mov_b32_e32 v3, s8
	s_mov_b64 s[24:25], 0
	v_pk_mov_b32 v[22:23], v[14:15], v[14:15] op_sel:[0,1]
	v_pk_mov_b32 v[20:21], v[12:13], v[12:13] op_sel:[0,1]
	v_pk_mov_b32 v[18:19], v[10:11], v[10:11] op_sel:[0,1]
                                        ; implicit-def: $sgpr26_sgpr27
                                        ; implicit-def: $vgpr42
	s_and_saveexec_b64 s[22:23], vcc
	s_cbranch_execz .LBB1737_71
; %bb.52:
	v_mov_b32_e32 v2, s56
	v_cmp_eq_u32_e32 vcc, v30, v31
	v_add_u32_e32 v10, 5, v45
	v_cndmask_b32_e32 v2, v2, v35, vcc
	v_cmp_ne_u32_e32 vcc, v30, v31
	v_cndmask_b32_e64 v3, 0, 1, vcc
	v_cmp_gt_u32_e32 vcc, s54, v10
	v_pk_mov_b32 v[16:17], s[14:15], s[14:15] op_sel:[0,1]
	v_pk_mov_b32 v[14:15], s[12:13], s[12:13] op_sel:[0,1]
	;; [unrolled: 1-line block ×5, first 2 shown]
	s_mov_b64 s[28:29], 0
	v_pk_mov_b32 v[22:23], v[14:15], v[14:15] op_sel:[0,1]
	v_pk_mov_b32 v[20:21], v[12:13], v[12:13] op_sel:[0,1]
	;; [unrolled: 1-line block ×3, first 2 shown]
                                        ; implicit-def: $sgpr8_sgpr9
                                        ; implicit-def: $vgpr42
	s_and_saveexec_b64 s[24:25], vcc
	s_cbranch_execz .LBB1737_70
; %bb.53:
	ds_read2_b32 v[34:35], v44 offset0:5 offset1:6
	v_mov_b32_e32 v11, s56
	v_cmp_eq_u32_e32 vcc, v31, v32
	s_mov_b32 s8, 0
	v_add_u32_e32 v10, 6, v45
	s_waitcnt lgkmcnt(0)
	v_cndmask_b32_e32 v16, v11, v34, vcc
	v_cmp_ne_u32_e32 vcc, v31, v32
	s_mov_b32 s14, s8
	s_mov_b32 s15, s8
	v_cndmask_b32_e64 v17, 0, 1, vcc
	v_cmp_gt_u32_e32 vcc, s54, v10
	v_mov_b32_e32 v10, 0
	s_mov_b32 s9, s8
	s_mov_b32 s10, s8
	;; [unrolled: 1-line block ×5, first 2 shown]
	v_pk_mov_b32 v[24:25], s[14:15], s[14:15] op_sel:[0,1]
	v_mov_b32_e32 v11, v10
	v_mov_b32_e32 v12, v10
	;; [unrolled: 1-line block ×5, first 2 shown]
	v_pk_mov_b32 v[22:23], s[12:13], s[12:13] op_sel:[0,1]
	v_pk_mov_b32 v[20:21], s[10:11], s[10:11] op_sel:[0,1]
	;; [unrolled: 1-line block ×3, first 2 shown]
                                        ; implicit-def: $sgpr40_sgpr41
                                        ; implicit-def: $vgpr42
	s_and_saveexec_b64 s[26:27], vcc
	s_cbranch_execz .LBB1737_69
; %bb.54:
	v_mov_b32_e32 v12, s56
	v_cmp_eq_u32_e32 vcc, v32, v33
	v_add_u32_e32 v11, 7, v45
	v_cndmask_b32_e32 v14, v12, v35, vcc
	v_cmp_ne_u32_e32 vcc, v32, v33
	v_pk_mov_b32 v[24:25], s[14:15], s[14:15] op_sel:[0,1]
	v_cndmask_b32_e64 v15, 0, 1, vcc
	v_cmp_gt_u32_e32 vcc, s54, v11
	v_mov_b32_e32 v11, v10
	v_mov_b32_e32 v12, v10
	;; [unrolled: 1-line block ×3, first 2 shown]
	s_mov_b64 s[30:31], 0
	v_pk_mov_b32 v[22:23], s[12:13], s[12:13] op_sel:[0,1]
	v_pk_mov_b32 v[20:21], s[10:11], s[10:11] op_sel:[0,1]
	;; [unrolled: 1-line block ×3, first 2 shown]
                                        ; implicit-def: $sgpr8_sgpr9
                                        ; implicit-def: $vgpr42
	s_and_saveexec_b64 s[28:29], vcc
	s_cbranch_execz .LBB1737_68
; %bb.55:
	ds_read2_b32 v[30:31], v44 offset0:7 offset1:8
	s_mov_b32 s8, 0
	v_mov_b32_e32 v11, s56
	v_cmp_eq_u32_e32 vcc, v33, v26
	s_mov_b32 s14, s8
	s_mov_b32 s15, s8
	v_add_u32_e32 v10, 8, v45
	s_waitcnt lgkmcnt(0)
	v_cndmask_b32_e32 v12, v11, v30, vcc
	v_cmp_ne_u32_e32 vcc, v33, v26
	s_mov_b32 s9, s8
	s_mov_b32 s10, s8
	;; [unrolled: 1-line block ×5, first 2 shown]
	v_pk_mov_b32 v[24:25], s[14:15], s[14:15] op_sel:[0,1]
	v_cndmask_b32_e64 v13, 0, 1, vcc
	v_cmp_gt_u32_e32 vcc, s54, v10
	v_mov_b32_e32 v10, s8
	v_mov_b32_e32 v11, s8
	s_mov_b64 s[40:41], 0
	v_pk_mov_b32 v[22:23], s[12:13], s[12:13] op_sel:[0,1]
	v_pk_mov_b32 v[20:21], s[10:11], s[10:11] op_sel:[0,1]
	;; [unrolled: 1-line block ×3, first 2 shown]
                                        ; implicit-def: $sgpr48_sgpr49
                                        ; implicit-def: $vgpr42
	s_and_saveexec_b64 s[30:31], vcc
	s_cbranch_execz .LBB1737_67
; %bb.56:
	v_mov_b32_e32 v10, s56
	v_cmp_eq_u32_e32 vcc, v26, v27
	v_add_u32_e32 v18, 9, v45
	v_cndmask_b32_e32 v10, v10, v31, vcc
	v_cmp_ne_u32_e32 vcc, v26, v27
	v_cndmask_b32_e64 v11, 0, 1, vcc
	v_cmp_gt_u32_e32 vcc, s54, v18
	v_pk_mov_b32 v[24:25], s[14:15], s[14:15] op_sel:[0,1]
	v_pk_mov_b32 v[22:23], s[12:13], s[12:13] op_sel:[0,1]
	;; [unrolled: 1-line block ×4, first 2 shown]
                                        ; implicit-def: $sgpr10_sgpr11
                                        ; implicit-def: $vgpr42
	s_and_saveexec_b64 s[8:9], vcc
	s_cbranch_execz .LBB1737_66
; %bb.57:
	ds_read2_b32 v[30:31], v44 offset0:9 offset1:10
	v_mov_b32_e32 v18, s56
	v_cmp_eq_u32_e32 vcc, v27, v28
	v_add_u32_e32 v20, 10, v45
	v_mov_b32_e32 v22, 0
	s_waitcnt lgkmcnt(0)
	v_cndmask_b32_e32 v18, v18, v30, vcc
	v_cmp_ne_u32_e32 vcc, v27, v28
	v_cndmask_b32_e64 v19, 0, 1, vcc
	v_cmp_gt_u32_e32 vcc, s54, v20
	v_mov_b32_e32 v20, v22
	v_mov_b32_e32 v21, v22
	;; [unrolled: 1-line block ×5, first 2 shown]
	s_mov_b64 s[12:13], 0
                                        ; implicit-def: $sgpr40_sgpr41
                                        ; implicit-def: $vgpr42
	s_and_saveexec_b64 s[10:11], vcc
	s_cbranch_execz .LBB1737_65
; %bb.58:
	v_mov_b32_e32 v20, s56
	v_cmp_eq_u32_e32 vcc, v28, v29
	v_add_u32_e32 v23, 11, v45
	v_cndmask_b32_e32 v20, v20, v31, vcc
	v_cmp_ne_u32_e32 vcc, v28, v29
	v_cndmask_b32_e64 v21, 0, 1, vcc
	v_cmp_gt_u32_e32 vcc, s54, v23
	s_mov_b32 s40, 0
	v_mov_b32_e32 v23, v22
	v_mov_b32_e32 v24, v22
	;; [unrolled: 1-line block ×3, first 2 shown]
	s_mov_b64 s[14:15], 0
                                        ; implicit-def: $sgpr48_sgpr49
                                        ; implicit-def: $vgpr42
	s_and_saveexec_b64 s[12:13], vcc
	s_cbranch_execz .LBB1737_64
; %bb.59:
	ds_read2_b32 v[26:27], v44 offset0:11 offset1:12
	v_mov_b32_e32 v22, s56
	v_cmp_eq_u32_e32 vcc, v29, v40
	v_add_u32_e32 v24, 12, v45
	v_mov_b32_e32 v25, s40
	s_waitcnt lgkmcnt(0)
	v_cndmask_b32_e32 v22, v22, v26, vcc
	v_cmp_ne_u32_e32 vcc, v29, v40
	v_cndmask_b32_e64 v23, 0, 1, vcc
	v_cmp_gt_u32_e32 vcc, s54, v24
	v_mov_b32_e32 v24, s40
	s_mov_b64 s[40:41], 0
                                        ; implicit-def: $sgpr48_sgpr49
                                        ; implicit-def: $vgpr42
	s_and_saveexec_b64 s[14:15], vcc
	s_cbranch_execz .LBB1737_63
; %bb.60:
	v_mov_b32_e32 v24, s56
	v_cmp_eq_u32_e32 vcc, v40, v41
	v_add_u32_e32 v26, 13, v45
	v_cndmask_b32_e32 v24, v24, v27, vcc
	v_cmp_ne_u32_e32 vcc, v40, v41
	v_cndmask_b32_e64 v25, 0, 1, vcc
	v_cmp_gt_u32_e32 vcc, s54, v26
                                        ; implicit-def: $sgpr48_sgpr49
                                        ; implicit-def: $vgpr42
	s_and_saveexec_b64 s[54:55], vcc
	s_xor_b64 s[54:55], exec, s[54:55]
	s_cbranch_execz .LBB1737_62
; %bb.61:
	ds_read_b32 v26, v44 offset:52
	v_mov_b32_e32 v27, s56
	v_cmp_ne_u32_e32 vcc, v41, v1
	s_mov_b64 s[40:41], exec
	s_and_b64 s[48:49], vcc, exec
	s_waitcnt lgkmcnt(0)
	v_cndmask_b32_e32 v42, v26, v27, vcc
.LBB1737_62:
	s_or_b64 exec, exec, s[54:55]
	s_and_b64 s[48:49], s[48:49], exec
	s_and_b64 s[40:41], s[40:41], exec
.LBB1737_63:
	s_or_b64 exec, exec, s[14:15]
	s_and_b64 s[48:49], s[48:49], exec
	s_and_b64 s[14:15], s[40:41], exec
.LBB1737_64:
	s_or_b64 exec, exec, s[12:13]
	s_and_b64 s[40:41], s[48:49], exec
	s_and_b64 s[12:13], s[14:15], exec
.LBB1737_65:
	s_or_b64 exec, exec, s[10:11]
	s_and_b64 s[10:11], s[40:41], exec
	s_and_b64 s[40:41], s[12:13], exec
.LBB1737_66:
	s_or_b64 exec, exec, s[8:9]
	s_and_b64 s[48:49], s[10:11], exec
	s_and_b64 s[40:41], s[40:41], exec
.LBB1737_67:
	s_or_b64 exec, exec, s[30:31]
	s_and_b64 s[8:9], s[48:49], exec
	s_and_b64 s[30:31], s[40:41], exec
.LBB1737_68:
	s_or_b64 exec, exec, s[28:29]
	s_and_b64 s[40:41], s[8:9], exec
	s_and_b64 s[28:29], s[30:31], exec
.LBB1737_69:
	s_or_b64 exec, exec, s[26:27]
	s_and_b64 s[8:9], s[40:41], exec
	s_and_b64 s[28:29], s[28:29], exec
.LBB1737_70:
	s_or_b64 exec, exec, s[24:25]
	s_and_b64 s[26:27], s[8:9], exec
	s_and_b64 s[24:25], s[28:29], exec
.LBB1737_71:
	s_or_b64 exec, exec, s[22:23]
	s_and_b64 s[8:9], s[26:27], exec
	s_and_b64 s[22:23], s[24:25], exec
.LBB1737_72:
	s_or_b64 exec, exec, s[20:21]
	s_and_b64 s[24:25], s[8:9], exec
	s_and_b64 s[20:21], s[22:23], exec
.LBB1737_73:
	s_or_b64 exec, exec, s[18:19]
	s_and_b64 s[8:9], s[24:25], exec
	s_and_b64 s[18:19], s[20:21], exec
.LBB1737_74:
	s_or_b64 exec, exec, s[16:17]
	s_and_b64 s[16:17], s[8:9], exec
	s_and_b64 s[18:19], s[18:19], exec
.LBB1737_75:
	s_or_b64 exec, exec, s[4:5]
	s_and_b64 vcc, exec, s[2:3]
	v_lshlrev_b32_e32 v50, 2, v0
	s_cbranch_vccnz .LBB1737_77
	s_branch .LBB1737_82
.LBB1737_76:
	s_mov_b64 s[18:19], 0
                                        ; implicit-def: $sgpr16_sgpr17
                                        ; implicit-def: $vgpr2_vgpr3_vgpr4_vgpr5_vgpr6_vgpr7_vgpr8_vgpr9
                                        ; implicit-def: $vgpr10_vgpr11_vgpr12_vgpr13_vgpr14_vgpr15_vgpr16_vgpr17
                                        ; implicit-def: $vgpr18_vgpr19_vgpr20_vgpr21_vgpr22_vgpr23_vgpr24_vgpr25
                                        ; implicit-def: $vgpr42
                                        ; implicit-def: $vgpr38_vgpr39
	s_and_b64 vcc, exec, s[2:3]
	v_lshlrev_b32_e32 v50, 2, v0
	s_cbranch_vccz .LBB1737_82
.LBB1737_77:
	v_mov_b32_e32 v1, s39
	v_add_co_u32_e32 v2, vcc, s38, v50
	v_addc_co_u32_e32 v3, vcc, 0, v1, vcc
	v_add_co_u32_e32 v4, vcc, 0x1000, v2
	v_addc_co_u32_e32 v5, vcc, 0, v3, vcc
	flat_load_dword v1, v[2:3]
	flat_load_dword v6, v[2:3] offset:1024
	flat_load_dword v7, v[2:3] offset:2048
	;; [unrolled: 1-line block ×3, first 2 shown]
	flat_load_dword v9, v[4:5]
	flat_load_dword v10, v[4:5] offset:1024
	flat_load_dword v11, v[4:5] offset:2048
	;; [unrolled: 1-line block ×3, first 2 shown]
	v_add_co_u32_e32 v4, vcc, 0x2000, v2
	v_addc_co_u32_e32 v5, vcc, 0, v3, vcc
	v_add_co_u32_e32 v2, vcc, 0x3000, v2
	v_addc_co_u32_e32 v3, vcc, 0, v3, vcc
	flat_load_dword v13, v[4:5]
	flat_load_dword v14, v[4:5] offset:1024
	flat_load_dword v15, v[4:5] offset:2048
	;; [unrolled: 1-line block ×3, first 2 shown]
	flat_load_dword v17, v[2:3]
	flat_load_dword v18, v[2:3] offset:1024
	v_mov_b32_e32 v2, s38
	v_mov_b32_e32 v3, s39
	v_add_co_u32_e32 v2, vcc, 0x3000, v2
	v_addc_co_u32_e32 v3, vcc, 0, v3, vcc
	s_movk_i32 s4, 0xffcc
	s_movk_i32 s9, 0x1000
	s_mov_b32 s2, 0
	s_movk_i32 s8, 0x2000
	s_movk_i32 s3, 0x3000
	s_waitcnt vmcnt(0) lgkmcnt(0)
	ds_write2st64_b32 v50, v1, v6 offset1:4
	ds_write2st64_b32 v50, v7, v8 offset0:8 offset1:12
	ds_write2st64_b32 v50, v9, v10 offset0:16 offset1:20
	;; [unrolled: 1-line block ×6, first 2 shown]
	s_waitcnt lgkmcnt(0)
	s_barrier
	flat_load_dword v1, v[2:3] offset:2048
	v_mad_u32_u24 v6, v0, 52, v50
	v_mad_i32_i24 v2, v0, s4, v6
	s_movk_i32 s4, 0xff
	v_cmp_ne_u32_e32 vcc, s4, v0
	ds_read2_b32 v[26:27], v6 offset1:13
	ds_read2_b32 v[18:19], v6 offset0:7 offset1:8
	ds_read2_b32 v[20:21], v6 offset0:5 offset1:6
	;; [unrolled: 1-line block ×6, first 2 shown]
	s_waitcnt lgkmcnt(0)
	ds_write_b32 v2, v26 offset:15360
	s_waitcnt lgkmcnt(0)
	s_barrier
	s_and_saveexec_b64 s[4:5], vcc
	s_cbranch_execz .LBB1737_79
; %bb.78:
	s_waitcnt vmcnt(0)
	ds_read_b32 v1, v50 offset:15364
.LBB1737_79:
	s_or_b64 exec, exec, s[4:5]
	v_mov_b32_e32 v3, s47
	v_add_co_u32_e32 v2, vcc, s7, v50
	v_addc_co_u32_e32 v3, vcc, 0, v3, vcc
	v_add_co_u32_e32 v4, vcc, s9, v2
	v_addc_co_u32_e32 v5, vcc, 0, v3, vcc
	s_waitcnt lgkmcnt(0)
	s_barrier
	flat_load_dword v7, v[2:3]
	flat_load_dword v8, v[2:3] offset:1024
	flat_load_dword v9, v[2:3] offset:2048
	;; [unrolled: 1-line block ×3, first 2 shown]
	flat_load_dword v15, v[4:5]
	flat_load_dword v16, v[4:5] offset:1024
	flat_load_dword v17, v[4:5] offset:2048
	;; [unrolled: 1-line block ×3, first 2 shown]
	v_add_co_u32_e32 v4, vcc, s8, v2
	v_addc_co_u32_e32 v5, vcc, 0, v3, vcc
	v_add_co_u32_e32 v2, vcc, s3, v2
	v_addc_co_u32_e32 v3, vcc, 0, v3, vcc
	flat_load_dword v23, v[4:5]
	flat_load_dword v24, v[4:5] offset:1024
	flat_load_dword v25, v[4:5] offset:2048
	;; [unrolled: 1-line block ×3, first 2 shown]
	flat_load_dword v33, v[2:3]
	flat_load_dword v34, v[2:3] offset:1024
	s_mov_b32 s3, 1
	v_cmp_eq_u32_e32 vcc, v26, v12
	v_pk_mov_b32 v[38:39], s[2:3], s[2:3] op_sel:[0,1]
	s_waitcnt vmcnt(0) lgkmcnt(0)
	ds_write2st64_b32 v50, v7, v8 offset1:4
	ds_write2st64_b32 v50, v9, v14 offset0:8 offset1:12
	ds_write2st64_b32 v50, v15, v16 offset0:16 offset1:20
	;; [unrolled: 1-line block ×6, first 2 shown]
	s_waitcnt lgkmcnt(0)
	s_barrier
	ds_read2_b32 v[24:25], v6 offset0:7 offset1:8
	ds_read2_b32 v[14:15], v6 offset0:5 offset1:6
	;; [unrolled: 1-line block ×4, first 2 shown]
	ds_read_b32 v34, v6 offset:52
	ds_read2_b32 v[22:23], v6 offset0:11 offset1:12
	ds_read2_b32 v[32:33], v6 offset0:9 offset1:10
	v_mov_b32_e32 v7, s56
	s_and_saveexec_b64 s[2:3], vcc
	s_cbranch_execz .LBB1737_81
; %bb.80:
	ds_read_b32 v7, v6
	v_pk_mov_b32 v[38:39], 0, 0
.LBB1737_81:
	s_or_b64 exec, exec, s[2:3]
	v_mov_b32_e32 v26, s56
	v_cmp_eq_u32_e32 vcc, v12, v13
	s_waitcnt lgkmcnt(3)
	v_cndmask_b32_e32 v8, v26, v4, vcc
	v_cmp_eq_u32_e32 vcc, v13, v10
	v_cndmask_b32_e32 v6, v26, v5, vcc
	v_cmp_eq_u32_e32 vcc, v10, v11
	v_cndmask_b32_e32 v4, v26, v2, vcc
	v_cmp_eq_u32_e32 vcc, v11, v20
	v_cndmask_b32_e32 v2, v26, v3, vcc
	v_cmp_ne_u32_e32 vcc, v12, v13
	v_cndmask_b32_e64 v9, 0, 1, vcc
	v_cmp_ne_u32_e32 vcc, v13, v10
	s_waitcnt lgkmcnt(0)
	v_or_b32_e32 v38, v38, v7
	v_cndmask_b32_e64 v7, 0, 1, vcc
	v_cmp_ne_u32_e32 vcc, v10, v11
	v_cndmask_b32_e64 v5, 0, 1, vcc
	v_cmp_ne_u32_e32 vcc, v11, v20
	v_cndmask_b32_e64 v3, 0, 1, vcc
	v_cmp_eq_u32_e32 vcc, v20, v21
	v_cndmask_b32_e32 v16, v26, v14, vcc
	v_cmp_eq_u32_e32 vcc, v21, v18
	v_cndmask_b32_e32 v14, v26, v15, vcc
	v_cmp_eq_u32_e32 vcc, v18, v19
	v_cndmask_b32_e32 v12, v26, v24, vcc
	v_cmp_eq_u32_e32 vcc, v19, v28
	v_cndmask_b32_e32 v10, v26, v25, vcc
	v_cmp_ne_u32_e32 vcc, v20, v21
	v_cndmask_b32_e64 v17, 0, 1, vcc
	v_cmp_ne_u32_e32 vcc, v21, v18
	v_cndmask_b32_e64 v15, 0, 1, vcc
	;; [unrolled: 2-line block ×4, first 2 shown]
	v_cmp_eq_u32_e32 vcc, v31, v27
	v_cndmask_b32_e32 v24, v26, v23, vcc
	v_cmp_eq_u32_e32 vcc, v30, v31
	v_cndmask_b32_e32 v22, v26, v22, vcc
	;; [unrolled: 2-line block ×4, first 2 shown]
	v_cmp_ne_u32_e32 vcc, v31, v27
	v_cndmask_b32_e64 v25, 0, 1, vcc
	v_cmp_ne_u32_e32 vcc, v30, v31
	v_cndmask_b32_e64 v23, 0, 1, vcc
	;; [unrolled: 2-line block ×3, first 2 shown]
	v_cmp_ne_u32_e32 vcc, v28, v29
	v_cmp_ne_u32_e64 s[16:17], v27, v1
	v_cndmask_b32_e64 v19, 0, 1, vcc
	v_cndmask_b32_e64 v42, v34, v26, s[16:17]
	s_mov_b64 s[18:19], -1
                                        ; implicit-def: $sgpr2_sgpr3
.LBB1737_82:
	v_pk_mov_b32 v[40:41], s[2:3], s[2:3] op_sel:[0,1]
	s_and_saveexec_b64 s[2:3], s[18:19]
; %bb.83:
	v_cndmask_b32_e64 v43, 0, 1, s[16:17]
	v_pk_mov_b32 v[40:41], v[42:43], v[42:43] op_sel:[0,1]
; %bb.84:
	s_or_b64 exec, exec, s[2:3]
	s_mov_b32 s26, 0
	s_cmp_lg_u32 s6, 0
	v_mbcnt_lo_u32_b32 v52, -1, 0
	v_lshrrev_b32_e32 v1, 6, v0
	v_or_b32_e32 v51, 63, v0
	s_barrier
	s_cbranch_scc0 .LBB1737_129
; %bb.85:
	s_mov_b32 s27, 1
	v_cmp_gt_u64_e64 s[2:3], s[26:27], v[8:9]
	v_cndmask_b32_e64 v27, 0, v38, s[2:3]
	v_add_u32_e32 v27, v27, v8
	v_cmp_gt_u64_e64 s[4:5], s[26:27], v[6:7]
	v_cndmask_b32_e64 v27, 0, v27, s[4:5]
	v_add_u32_e32 v27, v27, v6
	;; [unrolled: 3-line block ×12, first 2 shown]
	v_cmp_gt_u64_e32 vcc, s[26:27], v[40:41]
	v_cndmask_b32_e32 v27, 0, v27, vcc
	v_add_u32_e32 v28, v27, v40
	v_or3_b32 v27, v41, v25, v23
	v_or3_b32 v27, v27, v21, v19
	;; [unrolled: 1-line block ×6, first 2 shown]
	v_mov_b32_e32 v26, 0
	v_and_b32_e32 v27, 1, v27
	v_cmp_eq_u64_e32 vcc, 0, v[26:27]
	v_cndmask_b32_e32 v27, 1, v39, vcc
	v_and_b32_e32 v29, 0xff, v27
	v_mov_b32_dpp v31, v28 row_shr:1 row_mask:0xf bank_mask:0xf
	v_cmp_eq_u16_e32 vcc, 0, v29
	v_mov_b32_dpp v32, v29 row_shr:1 row_mask:0xf bank_mask:0xf
	v_and_b32_e32 v33, 1, v27
	v_mbcnt_hi_u32_b32 v46, -1, v52
	v_cndmask_b32_e32 v31, 0, v31, vcc
	v_and_b32_e32 v32, 1, v32
	v_cmp_eq_u32_e32 vcc, 1, v33
	v_and_b32_e32 v30, 15, v46
	v_cndmask_b32_e64 v32, v32, 1, vcc
	v_and_b32_e32 v33, 0xffff, v32
	v_cmp_eq_u32_e32 vcc, 0, v30
	v_cndmask_b32_e32 v27, v32, v27, vcc
	v_cndmask_b32_e32 v29, v33, v29, vcc
	v_and_b32_e32 v33, 1, v27
	v_cndmask_b32_e64 v31, v31, 0, vcc
	v_mov_b32_dpp v32, v29 row_shr:2 row_mask:0xf bank_mask:0xf
	v_and_b32_e32 v32, 1, v32
	v_cmp_eq_u32_e32 vcc, 1, v33
	v_cndmask_b32_e64 v32, v32, 1, vcc
	v_and_b32_e32 v33, 0xffff, v32
	v_cmp_lt_u32_e32 vcc, 1, v30
	v_add_u32_e32 v28, v31, v28
	v_cmp_eq_u16_sdwa s[26:27], v27, v26 src0_sel:BYTE_0 src1_sel:DWORD
	v_cndmask_b32_e32 v27, v27, v32, vcc
	v_cndmask_b32_e32 v29, v29, v33, vcc
	v_mov_b32_dpp v31, v28 row_shr:2 row_mask:0xf bank_mask:0xf
	s_and_b64 vcc, vcc, s[26:27]
	v_mov_b32_dpp v32, v29 row_shr:4 row_mask:0xf bank_mask:0xf
	v_and_b32_e32 v33, 1, v27
	v_cndmask_b32_e32 v31, 0, v31, vcc
	v_and_b32_e32 v32, 1, v32
	v_cmp_eq_u32_e32 vcc, 1, v33
	v_cndmask_b32_e64 v32, v32, 1, vcc
	v_and_b32_e32 v33, 0xffff, v32
	v_cmp_lt_u32_e32 vcc, 3, v30
	v_add_u32_e32 v28, v31, v28
	v_cmp_eq_u16_sdwa s[26:27], v27, v26 src0_sel:BYTE_0 src1_sel:DWORD
	v_cndmask_b32_e32 v27, v27, v32, vcc
	v_cndmask_b32_e32 v29, v29, v33, vcc
	v_mov_b32_dpp v31, v28 row_shr:4 row_mask:0xf bank_mask:0xf
	s_and_b64 vcc, vcc, s[26:27]
	v_mov_b32_dpp v32, v29 row_shr:8 row_mask:0xf bank_mask:0xf
	v_and_b32_e32 v33, 1, v27
	v_cndmask_b32_e32 v31, 0, v31, vcc
	v_and_b32_e32 v32, 1, v32
	v_cmp_eq_u32_e32 vcc, 1, v33
	v_cndmask_b32_e64 v32, v32, 1, vcc
	v_add_u32_e32 v28, v31, v28
	v_cmp_eq_u16_sdwa s[26:27], v27, v26 src0_sel:BYTE_0 src1_sel:DWORD
	v_and_b32_e32 v33, 0xffff, v32
	v_cmp_lt_u32_e32 vcc, 7, v30
	v_mov_b32_dpp v31, v28 row_shr:8 row_mask:0xf bank_mask:0xf
	v_cndmask_b32_e32 v27, v27, v32, vcc
	v_cndmask_b32_e32 v29, v29, v33, vcc
	s_and_b64 vcc, vcc, s[26:27]
	v_cndmask_b32_e32 v30, 0, v31, vcc
	v_add_u32_e32 v28, v30, v28
	v_mov_b32_dpp v31, v29 row_bcast:15 row_mask:0xf bank_mask:0xf
	v_cmp_eq_u16_sdwa vcc, v27, v26 src0_sel:BYTE_0 src1_sel:DWORD
	v_mov_b32_dpp v30, v28 row_bcast:15 row_mask:0xf bank_mask:0xf
	v_and_b32_e32 v34, 1, v27
	v_cndmask_b32_e32 v30, 0, v30, vcc
	v_and_b32_e32 v31, 1, v31
	v_cmp_eq_u32_e32 vcc, 1, v34
	v_and_b32_e32 v33, 16, v46
	v_cndmask_b32_e64 v31, v31, 1, vcc
	v_and_b32_e32 v34, 0xffff, v31
	v_cmp_eq_u32_e32 vcc, 0, v33
	v_cndmask_b32_e32 v27, v31, v27, vcc
	v_cndmask_b32_e32 v29, v34, v29, vcc
	v_bfe_i32 v32, v46, 4, 1
	v_cmp_eq_u16_sdwa s[26:27], v27, v26 src0_sel:BYTE_0 src1_sel:DWORD
	v_mov_b32_dpp v29, v29 row_bcast:31 row_mask:0xf bank_mask:0xf
	v_and_b32_e32 v26, 1, v27
	v_and_b32_e32 v30, v32, v30
	;; [unrolled: 1-line block ×3, first 2 shown]
	v_cmp_eq_u32_e32 vcc, 1, v26
	v_add_u32_e32 v28, v30, v28
	v_cndmask_b32_e64 v26, v29, 1, vcc
	v_cmp_lt_u32_e32 vcc, 31, v46
	v_mov_b32_dpp v30, v28 row_bcast:31 row_mask:0xf bank_mask:0xf
	v_cndmask_b32_e32 v29, v27, v26, vcc
	s_and_b64 vcc, vcc, s[26:27]
	v_cndmask_b32_e32 v26, 0, v30, vcc
	v_add_u32_e32 v28, v26, v28
	v_cmp_eq_u32_e32 vcc, v51, v0
	s_and_saveexec_b64 s[26:27], vcc
	s_cbranch_execz .LBB1737_87
; %bb.86:
	v_lshlrev_b32_e32 v26, 3, v1
	ds_write_b32 v26, v28
	ds_write_b8 v26, v29 offset:4
.LBB1737_87:
	s_or_b64 exec, exec, s[26:27]
	v_cmp_gt_u32_e32 vcc, 4, v0
	s_waitcnt lgkmcnt(0)
	s_barrier
	s_and_saveexec_b64 s[26:27], vcc
	s_cbranch_execz .LBB1737_91
; %bb.88:
	v_lshlrev_b32_e32 v30, 3, v0
	ds_read_b64 v[26:27], v30
	v_and_b32_e32 v31, 3, v46
	v_cmp_ne_u32_e32 vcc, 0, v31
	s_waitcnt lgkmcnt(0)
	v_mov_b32_dpp v32, v26 row_shr:1 row_mask:0xf bank_mask:0xf
	v_mov_b32_dpp v34, v27 row_shr:1 row_mask:0xf bank_mask:0xf
	v_mov_b32_e32 v33, v27
	s_and_saveexec_b64 s[30:31], vcc
	s_cbranch_execz .LBB1737_90
; %bb.89:
	v_and_b32_e32 v33, 1, v27
	v_and_b32_e32 v34, 1, v34
	v_cmp_eq_u32_e32 vcc, 1, v33
	v_mov_b32_e32 v33, 0
	v_cndmask_b32_e64 v34, v34, 1, vcc
	v_cmp_eq_u16_sdwa vcc, v27, v33 src0_sel:BYTE_0 src1_sel:DWORD
	v_cndmask_b32_e32 v32, 0, v32, vcc
	v_add_u32_e32 v26, v32, v26
	v_and_b32_e32 v32, 0xffff, v34
	s_movk_i32 s7, 0xff00
	v_and_or_b32 v33, v27, s7, v32
	v_mov_b32_e32 v27, v34
.LBB1737_90:
	s_or_b64 exec, exec, s[30:31]
	v_mov_b32_dpp v33, v33 row_shr:2 row_mask:0xf bank_mask:0xf
	v_and_b32_e32 v34, 1, v27
	v_and_b32_e32 v33, 1, v33
	v_cmp_eq_u32_e32 vcc, 1, v34
	v_mov_b32_e32 v34, 0
	v_cndmask_b32_e64 v33, v33, 1, vcc
	v_cmp_eq_u16_sdwa s[30:31], v27, v34 src0_sel:BYTE_0 src1_sel:DWORD
	v_cmp_lt_u32_e32 vcc, 1, v31
	v_mov_b32_dpp v32, v26 row_shr:2 row_mask:0xf bank_mask:0xf
	v_cndmask_b32_e32 v27, v27, v33, vcc
	s_and_b64 vcc, vcc, s[30:31]
	v_cndmask_b32_e32 v31, 0, v32, vcc
	v_add_u32_e32 v26, v31, v26
	ds_write_b32 v30, v26
	ds_write_b8 v30, v27 offset:4
.LBB1737_91:
	s_or_b64 exec, exec, s[26:27]
	v_cmp_gt_u32_e32 vcc, 64, v0
	v_cmp_lt_u32_e64 s[26:27], 63, v0
	v_mov_b32_e32 v42, 0
	v_mov_b32_e32 v43, 0
	s_waitcnt lgkmcnt(0)
	s_barrier
	s_and_saveexec_b64 s[30:31], s[26:27]
	s_cbranch_execz .LBB1737_93
; %bb.92:
	v_lshl_add_u32 v26, v1, 3, -8
	ds_read_b32 v42, v26
	ds_read_u8 v43, v26 offset:4
	v_mov_b32_e32 v27, 0
	v_and_b32_e32 v30, 1, v29
	v_cmp_eq_u16_sdwa s[26:27], v29, v27 src0_sel:BYTE_0 src1_sel:DWORD
	s_waitcnt lgkmcnt(1)
	v_cndmask_b32_e64 v26, 0, v42, s[26:27]
	v_cmp_eq_u32_e64 s[26:27], 1, v30
	v_add_u32_e32 v28, v26, v28
	s_waitcnt lgkmcnt(0)
	v_cndmask_b32_e64 v29, v43, 1, s[26:27]
.LBB1737_93:
	s_or_b64 exec, exec, s[30:31]
	v_and_b32_e32 v26, 0xff, v29
	v_add_u32_e32 v27, -1, v46
	v_and_b32_e32 v29, 64, v46
	v_cmp_lt_i32_e64 s[26:27], v27, v29
	v_cndmask_b32_e64 v27, v27, v46, s[26:27]
	v_lshlrev_b32_e32 v27, 2, v27
	ds_bpermute_b32 v44, v27, v28
	ds_bpermute_b32 v45, v27, v26
	v_cmp_eq_u32_e64 s[26:27], 0, v46
	s_and_saveexec_b64 s[38:39], vcc
	s_cbranch_execz .LBB1737_116
; %bb.94:
	v_mov_b32_e32 v29, 0
	ds_read_b64 v[26:27], v29 offset:24
	s_waitcnt lgkmcnt(0)
	v_readfirstlane_b32 s7, v27
	s_and_saveexec_b64 s[30:31], s[26:27]
	s_cbranch_execz .LBB1737_96
; %bb.95:
	s_add_i32 s40, s6, 64
	s_mov_b32 s41, 0
	s_lshl_b64 s[48:49], s[40:41], 4
	s_add_u32 s48, s44, s48
	s_addc_u32 s49, s45, s49
	s_and_b32 s55, s7, 0xff000000
	s_mov_b32 s54, s41
	s_and_b32 s59, s7, 0xff0000
	s_mov_b32 s58, s41
	s_or_b64 s[54:55], s[58:59], s[54:55]
	s_and_b32 s59, s7, 0xff00
	s_or_b64 s[54:55], s[54:55], s[58:59]
	s_and_b32 s59, s7, 0xff
	s_or_b64 s[40:41], s[54:55], s[58:59]
	v_mov_b32_e32 v27, s41
	v_mov_b32_e32 v28, 1
	v_pk_mov_b32 v[30:31], s[48:49], s[48:49] op_sel:[0,1]
	;;#ASMSTART
	global_store_dwordx4 v[30:31], v[26:29] off	
s_waitcnt vmcnt(0)
	;;#ASMEND
.LBB1737_96:
	s_or_b64 exec, exec, s[30:31]
	v_xad_u32 v34, v46, -1, s6
	v_add_u32_e32 v28, 64, v34
	v_lshlrev_b64 v[30:31], 4, v[28:29]
	v_mov_b32_e32 v27, s45
	v_add_co_u32_e32 v36, vcc, s44, v30
	v_addc_co_u32_e32 v37, vcc, v27, v31, vcc
	;;#ASMSTART
	global_load_dwordx4 v[30:33], v[36:37] off glc	
s_waitcnt vmcnt(0)
	;;#ASMEND
	v_and_b32_e32 v27, 0xff0000, v30
	v_or_b32_sdwa v27, v30, v27 dst_sel:DWORD dst_unused:UNUSED_PAD src0_sel:WORD_0 src1_sel:DWORD
	v_and_b32_e32 v28, 0xff000000, v30
	v_and_b32_e32 v30, 0xff, v31
	v_or3_b32 v31, 0, 0, v30
	v_or3_b32 v30, v27, v28, 0
	v_cmp_eq_u16_sdwa s[40:41], v32, v29 src0_sel:BYTE_0 src1_sel:DWORD
	s_and_saveexec_b64 s[30:31], s[40:41]
	s_cbranch_execz .LBB1737_102
; %bb.97:
	s_mov_b32 s47, 1
	s_mov_b64 s[40:41], 0
	v_mov_b32_e32 v27, 0
.LBB1737_98:                            ; =>This Loop Header: Depth=1
                                        ;     Child Loop BB1737_99 Depth 2
	s_max_u32 s48, s47, 1
.LBB1737_99:                            ;   Parent Loop BB1737_98 Depth=1
                                        ; =>  This Inner Loop Header: Depth=2
	s_add_i32 s48, s48, -1
	s_cmp_eq_u32 s48, 0
	s_sleep 1
	s_cbranch_scc0 .LBB1737_99
; %bb.100:                              ;   in Loop: Header=BB1737_98 Depth=1
	s_cmp_lt_u32 s47, 32
	s_cselect_b64 s[48:49], -1, 0
	s_cmp_lg_u64 s[48:49], 0
	s_addc_u32 s47, s47, 0
	;;#ASMSTART
	global_load_dwordx4 v[30:33], v[36:37] off glc	
s_waitcnt vmcnt(0)
	;;#ASMEND
	v_cmp_ne_u16_sdwa s[48:49], v32, v27 src0_sel:BYTE_0 src1_sel:DWORD
	s_or_b64 s[40:41], s[48:49], s[40:41]
	s_andn2_b64 exec, exec, s[40:41]
	s_cbranch_execnz .LBB1737_98
; %bb.101:
	s_or_b64 exec, exec, s[40:41]
	v_and_b32_e32 v31, 0xff, v31
.LBB1737_102:
	s_or_b64 exec, exec, s[30:31]
	v_mov_b32_e32 v27, 2
	v_cmp_eq_u16_sdwa s[30:31], v32, v27 src0_sel:BYTE_0 src1_sel:DWORD
	v_lshlrev_b64 v[28:29], v46, -1
	v_and_b32_e32 v33, s31, v29
	v_or_b32_e32 v33, 0x80000000, v33
	v_and_b32_e32 v35, s30, v28
	v_ffbl_b32_e32 v33, v33
	v_and_b32_e32 v47, 63, v46
	v_add_u32_e32 v33, 32, v33
	v_ffbl_b32_e32 v35, v35
	v_cmp_ne_u32_e32 vcc, 63, v47
	v_min_u32_e32 v33, v35, v33
	v_addc_co_u32_e32 v35, vcc, 0, v46, vcc
	v_lshlrev_b32_e32 v48, 2, v35
	ds_bpermute_b32 v35, v48, v31
	ds_bpermute_b32 v36, v48, v30
	s_mov_b32 s40, 0
	v_and_b32_e32 v37, 1, v31
	s_mov_b32 s41, 1
	s_waitcnt lgkmcnt(1)
	v_and_b32_e32 v35, 1, v35
	v_cmp_eq_u32_e32 vcc, 1, v37
	v_cndmask_b32_e64 v35, v35, 1, vcc
	v_cmp_gt_u64_e32 vcc, s[40:41], v[30:31]
	v_cmp_lt_u32_e64 s[30:31], v47, v33
	s_and_b64 vcc, s[30:31], vcc
	v_and_b32_e32 v37, 0xffff, v35
	v_cndmask_b32_e64 v54, v31, v35, s[30:31]
	s_waitcnt lgkmcnt(0)
	v_cndmask_b32_e32 v35, 0, v36, vcc
	v_cmp_gt_u32_e32 vcc, 62, v47
	v_cndmask_b32_e64 v36, 0, 1, vcc
	v_lshlrev_b32_e32 v36, 1, v36
	v_cndmask_b32_e64 v31, v31, v37, s[30:31]
	v_add_lshl_u32 v49, v36, v46, 2
	ds_bpermute_b32 v36, v49, v31
	v_add_u32_e32 v30, v35, v30
	ds_bpermute_b32 v37, v49, v30
	v_and_b32_e32 v35, 1, v54
	v_cmp_eq_u32_e32 vcc, 1, v35
	s_waitcnt lgkmcnt(1)
	v_and_b32_e32 v36, 1, v36
	v_mov_b32_e32 v35, 0
	v_add_u32_e32 v53, 2, v47
	v_cndmask_b32_e64 v36, v36, 1, vcc
	v_cmp_eq_u16_sdwa vcc, v54, v35 src0_sel:BYTE_0 src1_sel:DWORD
	v_and_b32_e32 v55, 0xffff, v36
	s_waitcnt lgkmcnt(0)
	v_cndmask_b32_e32 v37, 0, v37, vcc
	v_cmp_gt_u32_e32 vcc, v53, v33
	v_cndmask_b32_e32 v36, v36, v54, vcc
	v_cndmask_b32_e64 v37, v37, 0, vcc
	v_cndmask_b32_e32 v31, v55, v31, vcc
	v_cmp_gt_u32_e32 vcc, 60, v47
	v_cndmask_b32_e64 v54, 0, 1, vcc
	v_lshlrev_b32_e32 v54, 2, v54
	v_add_lshl_u32 v54, v54, v46, 2
	ds_bpermute_b32 v56, v54, v31
	v_add_u32_e32 v30, v37, v30
	ds_bpermute_b32 v37, v54, v30
	v_and_b32_e32 v57, 1, v36
	v_cmp_eq_u32_e32 vcc, 1, v57
	s_waitcnt lgkmcnt(1)
	v_and_b32_e32 v56, 1, v56
	v_add_u32_e32 v55, 4, v47
	v_cndmask_b32_e64 v56, v56, 1, vcc
	v_cmp_eq_u16_sdwa vcc, v36, v35 src0_sel:BYTE_0 src1_sel:DWORD
	v_and_b32_e32 v57, 0xffff, v56
	s_waitcnt lgkmcnt(0)
	v_cndmask_b32_e32 v37, 0, v37, vcc
	v_cmp_gt_u32_e32 vcc, v55, v33
	v_cndmask_b32_e32 v36, v56, v36, vcc
	v_cndmask_b32_e64 v37, v37, 0, vcc
	v_cndmask_b32_e32 v31, v57, v31, vcc
	v_cmp_gt_u32_e32 vcc, 56, v47
	v_cndmask_b32_e64 v56, 0, 1, vcc
	v_lshlrev_b32_e32 v56, 3, v56
	v_add_lshl_u32 v56, v56, v46, 2
	ds_bpermute_b32 v58, v56, v31
	v_add_u32_e32 v30, v37, v30
	ds_bpermute_b32 v37, v56, v30
	v_and_b32_e32 v59, 1, v36
	v_cmp_eq_u32_e32 vcc, 1, v59
	s_waitcnt lgkmcnt(1)
	v_and_b32_e32 v58, 1, v58
	;; [unrolled: 21-line block ×4, first 2 shown]
	v_add_u32_e32 v62, 32, v47
	v_cndmask_b32_e64 v31, v31, 1, vcc
	v_cmp_eq_u16_sdwa vcc, v36, v35 src0_sel:BYTE_0 src1_sel:DWORD
	s_waitcnt lgkmcnt(0)
	v_cndmask_b32_e32 v37, 0, v37, vcc
	v_cmp_gt_u32_e32 vcc, v62, v33
	v_cndmask_b32_e64 v33, v37, 0, vcc
	v_cndmask_b32_e32 v31, v31, v36, vcc
	v_add_u32_e32 v30, v33, v30
	s_branch .LBB1737_104
.LBB1737_103:                           ;   in Loop: Header=BB1737_104 Depth=1
	s_or_b64 exec, exec, s[30:31]
	v_cmp_eq_u16_sdwa s[30:31], v32, v27 src0_sel:BYTE_0 src1_sel:DWORD
	v_and_b32_e32 v33, s31, v29
	ds_bpermute_b32 v37, v48, v31
	v_or_b32_e32 v33, 0x80000000, v33
	v_and_b32_e32 v36, s30, v28
	v_ffbl_b32_e32 v33, v33
	v_add_u32_e32 v33, 32, v33
	v_ffbl_b32_e32 v36, v36
	v_min_u32_e32 v33, v36, v33
	ds_bpermute_b32 v36, v48, v30
	v_and_b32_e32 v63, 1, v31
	s_waitcnt lgkmcnt(1)
	v_and_b32_e32 v37, 1, v37
	v_cmp_eq_u32_e32 vcc, 1, v63
	v_cndmask_b32_e64 v37, v37, 1, vcc
	v_cmp_gt_u64_e32 vcc, s[40:41], v[30:31]
	v_and_b32_e32 v63, 0xffff, v37
	v_cmp_lt_u32_e64 s[30:31], v47, v33
	v_cndmask_b32_e64 v37, v31, v37, s[30:31]
	v_cndmask_b32_e64 v31, v31, v63, s[30:31]
	s_and_b64 vcc, s[30:31], vcc
	ds_bpermute_b32 v63, v49, v31
	s_waitcnt lgkmcnt(1)
	v_cndmask_b32_e32 v36, 0, v36, vcc
	v_add_u32_e32 v30, v36, v30
	ds_bpermute_b32 v36, v49, v30
	v_and_b32_e32 v64, 1, v37
	s_waitcnt lgkmcnt(1)
	v_and_b32_e32 v63, 1, v63
	v_cmp_eq_u32_e32 vcc, 1, v64
	v_cndmask_b32_e64 v63, v63, 1, vcc
	v_cmp_eq_u16_sdwa vcc, v37, v35 src0_sel:BYTE_0 src1_sel:DWORD
	v_and_b32_e32 v64, 0xffff, v63
	s_waitcnt lgkmcnt(0)
	v_cndmask_b32_e32 v36, 0, v36, vcc
	v_cmp_gt_u32_e32 vcc, v53, v33
	v_cndmask_b32_e32 v31, v64, v31, vcc
	v_cndmask_b32_e32 v37, v63, v37, vcc
	ds_bpermute_b32 v63, v54, v31
	v_cndmask_b32_e64 v36, v36, 0, vcc
	v_add_u32_e32 v30, v36, v30
	ds_bpermute_b32 v36, v54, v30
	v_and_b32_e32 v64, 1, v37
	s_waitcnt lgkmcnt(1)
	v_and_b32_e32 v63, 1, v63
	v_cmp_eq_u32_e32 vcc, 1, v64
	v_cndmask_b32_e64 v63, v63, 1, vcc
	v_cmp_eq_u16_sdwa vcc, v37, v35 src0_sel:BYTE_0 src1_sel:DWORD
	v_and_b32_e32 v64, 0xffff, v63
	s_waitcnt lgkmcnt(0)
	v_cndmask_b32_e32 v36, 0, v36, vcc
	v_cmp_gt_u32_e32 vcc, v55, v33
	v_cndmask_b32_e32 v31, v64, v31, vcc
	v_cndmask_b32_e32 v37, v63, v37, vcc
	ds_bpermute_b32 v63, v56, v31
	v_cndmask_b32_e64 v36, v36, 0, vcc
	v_add_u32_e32 v30, v36, v30
	ds_bpermute_b32 v36, v56, v30
	v_and_b32_e32 v64, 1, v37
	s_waitcnt lgkmcnt(1)
	v_and_b32_e32 v63, 1, v63
	v_cmp_eq_u32_e32 vcc, 1, v64
	v_cndmask_b32_e64 v63, v63, 1, vcc
	v_cmp_eq_u16_sdwa vcc, v37, v35 src0_sel:BYTE_0 src1_sel:DWORD
	v_and_b32_e32 v64, 0xffff, v63
	s_waitcnt lgkmcnt(0)
	v_cndmask_b32_e32 v36, 0, v36, vcc
	v_cmp_gt_u32_e32 vcc, v57, v33
	v_cndmask_b32_e32 v31, v64, v31, vcc
	v_cndmask_b32_e32 v37, v63, v37, vcc
	ds_bpermute_b32 v63, v58, v31
	v_cndmask_b32_e64 v36, v36, 0, vcc
	v_add_u32_e32 v30, v36, v30
	ds_bpermute_b32 v36, v58, v30
	v_and_b32_e32 v64, 1, v37
	s_waitcnt lgkmcnt(1)
	v_and_b32_e32 v63, 1, v63
	v_cmp_eq_u32_e32 vcc, 1, v64
	v_cndmask_b32_e64 v63, v63, 1, vcc
	v_cmp_eq_u16_sdwa vcc, v37, v35 src0_sel:BYTE_0 src1_sel:DWORD
	v_and_b32_e32 v64, 0xffff, v63
	s_waitcnt lgkmcnt(0)
	v_cndmask_b32_e32 v36, 0, v36, vcc
	v_cmp_gt_u32_e32 vcc, v59, v33
	v_cndmask_b32_e64 v36, v36, 0, vcc
	v_cndmask_b32_e32 v31, v64, v31, vcc
	ds_bpermute_b32 v31, v61, v31
	v_add_u32_e32 v30, v36, v30
	ds_bpermute_b32 v36, v61, v30
	v_cndmask_b32_e32 v37, v63, v37, vcc
	v_and_b32_e32 v63, 1, v37
	v_cmp_eq_u32_e32 vcc, 1, v63
	s_waitcnt lgkmcnt(1)
	v_cndmask_b32_e64 v31, v31, 1, vcc
	v_cmp_eq_u16_sdwa vcc, v37, v35 src0_sel:BYTE_0 src1_sel:DWORD
	s_waitcnt lgkmcnt(0)
	v_cndmask_b32_e32 v36, 0, v36, vcc
	v_cmp_gt_u32_e32 vcc, v62, v33
	v_cndmask_b32_e64 v33, v36, 0, vcc
	v_cndmask_b32_e32 v31, v31, v37, vcc
	v_add_u32_e32 v30, v33, v30
	v_cmp_eq_u16_sdwa vcc, v46, v35 src0_sel:BYTE_0 src1_sel:DWORD
	v_and_b32_e32 v33, 1, v46
	v_cndmask_b32_e32 v30, 0, v30, vcc
	v_and_b32_e32 v31, 1, v31
	v_cmp_eq_u32_e32 vcc, 1, v33
	v_subrev_u32_e32 v34, 64, v34
	v_add_u32_e32 v30, v30, v60
	v_cndmask_b32_e64 v31, v31, 1, vcc
.LBB1737_104:                           ; =>This Loop Header: Depth=1
                                        ;     Child Loop BB1737_107 Depth 2
                                        ;       Child Loop BB1737_108 Depth 3
	v_cmp_ne_u16_sdwa s[30:31], v32, v27 src0_sel:BYTE_0 src1_sel:DWORD
	v_mov_b32_e32 v46, v31
	v_cndmask_b32_e64 v31, 0, 1, s[30:31]
	;;#ASMSTART
	;;#ASMEND
	v_cmp_ne_u32_e32 vcc, 0, v31
	s_cmp_lg_u64 vcc, exec
	v_mov_b32_e32 v60, v30
	s_cbranch_scc1 .LBB1737_111
; %bb.105:                              ;   in Loop: Header=BB1737_104 Depth=1
	v_lshlrev_b64 v[30:31], 4, v[34:35]
	v_mov_b32_e32 v32, s45
	v_add_co_u32_e32 v36, vcc, s44, v30
	v_addc_co_u32_e32 v37, vcc, v32, v31, vcc
	;;#ASMSTART
	global_load_dwordx4 v[30:33], v[36:37] off glc	
s_waitcnt vmcnt(0)
	;;#ASMEND
	v_and_b32_e32 v33, 0xff0000, v30
	v_or_b32_sdwa v33, v30, v33 dst_sel:DWORD dst_unused:UNUSED_PAD src0_sel:WORD_0 src1_sel:DWORD
	v_and_b32_e32 v30, 0xff000000, v30
	v_and_b32_e32 v31, 0xff, v31
	v_or3_b32 v31, 0, 0, v31
	v_or3_b32 v30, v33, v30, 0
	v_cmp_eq_u16_sdwa s[48:49], v32, v35 src0_sel:BYTE_0 src1_sel:DWORD
	s_and_saveexec_b64 s[30:31], s[48:49]
	s_cbranch_execz .LBB1737_103
; %bb.106:                              ;   in Loop: Header=BB1737_104 Depth=1
	s_mov_b32 s47, 1
	s_mov_b64 s[48:49], 0
.LBB1737_107:                           ;   Parent Loop BB1737_104 Depth=1
                                        ; =>  This Loop Header: Depth=2
                                        ;       Child Loop BB1737_108 Depth 3
	s_max_u32 s54, s47, 1
.LBB1737_108:                           ;   Parent Loop BB1737_104 Depth=1
                                        ;     Parent Loop BB1737_107 Depth=2
                                        ; =>    This Inner Loop Header: Depth=3
	s_add_i32 s54, s54, -1
	s_cmp_eq_u32 s54, 0
	s_sleep 1
	s_cbranch_scc0 .LBB1737_108
; %bb.109:                              ;   in Loop: Header=BB1737_107 Depth=2
	s_cmp_lt_u32 s47, 32
	s_cselect_b64 s[54:55], -1, 0
	s_cmp_lg_u64 s[54:55], 0
	s_addc_u32 s47, s47, 0
	;;#ASMSTART
	global_load_dwordx4 v[30:33], v[36:37] off glc	
s_waitcnt vmcnt(0)
	;;#ASMEND
	v_cmp_ne_u16_sdwa s[54:55], v32, v35 src0_sel:BYTE_0 src1_sel:DWORD
	s_or_b64 s[48:49], s[54:55], s[48:49]
	s_andn2_b64 exec, exec, s[48:49]
	s_cbranch_execnz .LBB1737_107
; %bb.110:                              ;   in Loop: Header=BB1737_104 Depth=1
	s_or_b64 exec, exec, s[48:49]
	v_and_b32_e32 v31, 0xff, v31
	s_branch .LBB1737_103
.LBB1737_111:                           ;   in Loop: Header=BB1737_104 Depth=1
                                        ; implicit-def: $vgpr31
                                        ; implicit-def: $vgpr30
                                        ; implicit-def: $vgpr32
	s_cbranch_execz .LBB1737_104
; %bb.112:
	s_and_saveexec_b64 s[30:31], s[26:27]
	s_cbranch_execz .LBB1737_114
; %bb.113:
	s_and_b32 s40, s7, 0xff
	s_cmp_eq_u32 s40, 0
	s_cselect_b64 vcc, -1, 0
	s_bitcmp1_b32 s7, 0
	s_mov_b32 s41, 0
	s_cselect_b64 s[48:49], -1, 0
	s_add_i32 s40, s6, 64
	s_lshl_b64 s[6:7], s[40:41], 4
	v_cndmask_b32_e32 v27, 0, v60, vcc
	s_add_u32 s6, s44, s6
	v_add_u32_e32 v26, v27, v26
	v_and_b32_e32 v27, 1, v46
	s_addc_u32 s7, s45, s7
	v_mov_b32_e32 v29, 0
	v_cndmask_b32_e64 v27, v27, 1, s[48:49]
	v_mov_b32_e32 v28, 2
	v_pk_mov_b32 v[30:31], s[6:7], s[6:7] op_sel:[0,1]
	;;#ASMSTART
	global_store_dwordx4 v[30:31], v[26:29] off	
s_waitcnt vmcnt(0)
	;;#ASMEND
.LBB1737_114:
	s_or_b64 exec, exec, s[30:31]
	v_cmp_eq_u32_e32 vcc, 0, v0
	s_and_b64 exec, exec, vcc
	s_cbranch_execz .LBB1737_116
; %bb.115:
	v_mov_b32_e32 v26, 0
	ds_write_b32 v26, v60 offset:24
	ds_write_b8 v26, v46 offset:28
.LBB1737_116:
	s_or_b64 exec, exec, s[38:39]
	v_mov_b32_e32 v28, 0
	s_waitcnt lgkmcnt(0)
	s_barrier
	ds_read_b32 v26, v28 offset:24
	v_cndmask_b32_e64 v27, v45, v43, s[26:27]
	v_cmp_eq_u16_sdwa vcc, v27, v28 src0_sel:BYTE_0 src1_sel:DWORD
	v_cndmask_b32_e64 v29, v44, v42, s[26:27]
	s_waitcnt lgkmcnt(0)
	v_cndmask_b32_e32 v27, 0, v26, vcc
	v_add_u32_e32 v27, v27, v29
	v_cmp_eq_u32_e32 vcc, 0, v0
	v_and_b32_e32 v29, 0xff, v39
	v_cndmask_b32_e32 v26, v27, v26, vcc
	v_cmp_eq_u64_e32 vcc, 0, v[28:29]
	v_cndmask_b32_e32 v27, 0, v26, vcc
	v_add_u32_e32 v27, v27, v38
	v_cndmask_b32_e64 v28, 0, v27, s[2:3]
	v_add_u32_e32 v42, v28, v8
	v_cndmask_b32_e64 v28, 0, v42, s[4:5]
	;; [unrolled: 2-line block ×12, first 2 shown]
	v_add_u32_e32 v49, v28, v24
	s_branch .LBB1737_143
.LBB1737_117:
	s_or_b64 exec, exec, s[30:31]
                                        ; implicit-def: $vgpr14
	s_and_saveexec_b64 s[30:31], s[2:3]
	s_cbranch_execz .LBB1737_33
.LBB1737_118:
	v_mov_b32_e32 v15, s47
	v_add_co_u32_e32 v14, vcc, s7, v12
	v_addc_co_u32_e32 v15, vcc, 0, v15, vcc
	flat_load_dword v14, v[14:15] offset:1024
	s_or_b64 exec, exec, s[30:31]
                                        ; implicit-def: $vgpr15
	s_and_saveexec_b64 s[2:3], s[4:5]
	s_cbranch_execnz .LBB1737_34
.LBB1737_119:
	s_or_b64 exec, exec, s[2:3]
                                        ; implicit-def: $vgpr16
	s_and_saveexec_b64 s[2:3], s[28:29]
	s_cbranch_execz .LBB1737_35
.LBB1737_120:
	v_mov_b32_e32 v17, s47
	v_add_co_u32_e32 v16, vcc, s7, v12
	v_addc_co_u32_e32 v17, vcc, 0, v17, vcc
	flat_load_dword v16, v[16:17] offset:3072
	s_or_b64 exec, exec, s[2:3]
                                        ; implicit-def: $vgpr17
	s_and_saveexec_b64 s[2:3], s[8:9]
	s_cbranch_execnz .LBB1737_36
.LBB1737_121:
	s_or_b64 exec, exec, s[2:3]
                                        ; implicit-def: $vgpr2
	s_and_saveexec_b64 s[2:3], s[10:11]
	s_cbranch_execz .LBB1737_37
.LBB1737_122:
	v_lshlrev_b32_e32 v2, 2, v3
	v_mov_b32_e32 v3, s47
	v_add_co_u32_e32 v2, vcc, s7, v2
	v_addc_co_u32_e32 v3, vcc, 0, v3, vcc
	flat_load_dword v2, v[2:3]
	s_or_b64 exec, exec, s[2:3]
                                        ; implicit-def: $vgpr3
	s_and_saveexec_b64 s[2:3], s[12:13]
	s_cbranch_execnz .LBB1737_38
.LBB1737_123:
	s_or_b64 exec, exec, s[2:3]
                                        ; implicit-def: $vgpr4
	s_and_saveexec_b64 s[2:3], s[14:15]
	s_cbranch_execz .LBB1737_39
.LBB1737_124:
	v_lshlrev_b32_e32 v4, 2, v5
	v_mov_b32_e32 v5, s47
	v_add_co_u32_e32 v4, vcc, s7, v4
	v_addc_co_u32_e32 v5, vcc, 0, v5, vcc
	flat_load_dword v4, v[4:5]
	s_or_b64 exec, exec, s[2:3]
                                        ; implicit-def: $vgpr5
	s_and_saveexec_b64 s[2:3], s[16:17]
	s_cbranch_execnz .LBB1737_40
.LBB1737_125:
	s_or_b64 exec, exec, s[2:3]
                                        ; implicit-def: $vgpr6
	s_and_saveexec_b64 s[2:3], s[18:19]
	s_cbranch_execz .LBB1737_41
.LBB1737_126:
	v_lshlrev_b32_e32 v6, 2, v7
	v_mov_b32_e32 v7, s47
	v_add_co_u32_e32 v6, vcc, s7, v6
	v_addc_co_u32_e32 v7, vcc, 0, v7, vcc
	flat_load_dword v6, v[6:7]
	s_or_b64 exec, exec, s[2:3]
                                        ; implicit-def: $vgpr7
	s_and_saveexec_b64 s[2:3], s[20:21]
	s_cbranch_execnz .LBB1737_42
.LBB1737_127:
	s_or_b64 exec, exec, s[2:3]
                                        ; implicit-def: $vgpr8
	s_and_saveexec_b64 s[2:3], s[22:23]
	s_cbranch_execz .LBB1737_43
.LBB1737_128:
	v_lshlrev_b32_e32 v8, 2, v9
	v_mov_b32_e32 v9, s47
	v_add_co_u32_e32 v8, vcc, s7, v8
	v_addc_co_u32_e32 v9, vcc, 0, v9, vcc
	flat_load_dword v8, v[8:9]
	s_or_b64 exec, exec, s[2:3]
                                        ; implicit-def: $vgpr9
	s_and_saveexec_b64 s[2:3], s[24:25]
	s_cbranch_execz .LBB1737_45
	s_branch .LBB1737_44
.LBB1737_129:
                                        ; implicit-def: $vgpr49
                                        ; implicit-def: $vgpr47
                                        ; implicit-def: $vgpr45
                                        ; implicit-def: $vgpr43
                                        ; implicit-def: $vgpr34_vgpr35_vgpr36_vgpr37
                                        ; implicit-def: $vgpr30_vgpr31_vgpr32_vgpr33
                                        ; implicit-def: $vgpr26_vgpr27_vgpr28_vgpr29
	s_cbranch_execz .LBB1737_143
; %bb.130:
	s_cmp_lg_u64 s[52:53], 0
	s_cselect_b32 s3, s51, 0
	s_cselect_b32 s2, s50, 0
	s_mov_b32 s24, 0
	s_cmp_eq_u64 s[2:3], 0
	v_mov_b32_e32 v32, s56
	s_cbranch_scc1 .LBB1737_132
; %bb.131:
	v_mov_b32_e32 v26, 0
	global_load_dword v32, v26, s[2:3]
.LBB1737_132:
	s_mov_b32 s25, 1
	v_cmp_gt_u64_e32 vcc, s[24:25], v[8:9]
	v_cndmask_b32_e32 v27, 0, v38, vcc
	v_add_u32_e32 v27, v27, v8
	v_cmp_gt_u64_e64 s[2:3], s[24:25], v[6:7]
	v_cndmask_b32_e64 v27, 0, v27, s[2:3]
	v_add_u32_e32 v27, v27, v6
	v_cmp_gt_u64_e64 s[4:5], s[24:25], v[4:5]
	v_cndmask_b32_e64 v27, 0, v27, s[4:5]
	;; [unrolled: 3-line block ×11, first 2 shown]
	v_mov_b32_e32 v26, 0
	v_add_u32_e32 v27, v27, v24
	v_cmp_gt_u64_e64 s[24:25], s[24:25], v[40:41]
	v_or3_b32 v7, v23, v15, v7
	v_cndmask_b32_e64 v27, 0, v27, s[24:25]
	v_or3_b32 v9, v25, v17, v9
	v_and_b32_e32 v35, 1, v7
	v_mov_b32_e32 v34, v26
	v_add_u32_e32 v33, v27, v40
	v_and_b32_e32 v27, 1, v41
	v_or3_b32 v3, v19, v11, v3
	v_and_b32_e32 v31, 1, v9
	v_mov_b32_e32 v30, v26
	v_cmp_ne_u64_e64 s[26:27], 0, v[34:35]
	v_cmp_eq_u32_e64 s[24:25], 1, v27
	v_or3_b32 v5, v21, v13, v5
	v_and_b32_e32 v27, 1, v3
	v_cndmask_b32_e64 v3, 0, 1, s[26:27]
	v_cmp_ne_u64_e64 s[26:27], 0, v[30:31]
	v_and_b32_e32 v29, 1, v5
	v_mov_b32_e32 v28, v26
	v_cndmask_b32_e64 v5, 0, 1, s[26:27]
	v_lshlrev_b16_e32 v3, 2, v3
	v_lshlrev_b16_e32 v5, 3, v5
	v_cmp_ne_u64_e64 s[26:27], 0, v[28:29]
	v_or_b32_e32 v3, v5, v3
	v_cndmask_b32_e64 v5, 0, 1, s[26:27]
	v_cmp_ne_u64_e64 s[26:27], 0, v[26:27]
	v_lshlrev_b16_e32 v5, 1, v5
	v_cndmask_b32_e64 v7, 0, 1, s[26:27]
	v_or_b32_e32 v5, v7, v5
	v_and_b32_e32 v5, 3, v5
	v_or_b32_e32 v3, v5, v3
	v_and_b32_e32 v3, 15, v3
	v_cmp_ne_u16_e64 s[26:27], 0, v3
	s_or_b64 s[24:25], s[24:25], s[26:27]
	v_cndmask_b32_e64 v5, v39, 1, s[24:25]
	v_and_b32_e32 v7, 0xff, v5
	v_mov_b32_dpp v11, v33 row_shr:1 row_mask:0xf bank_mask:0xf
	v_cmp_eq_u16_e64 s[24:25], 0, v7
	v_mov_b32_dpp v13, v7 row_shr:1 row_mask:0xf bank_mask:0xf
	v_and_b32_e32 v15, 1, v5
	v_mbcnt_hi_u32_b32 v3, -1, v52
	v_cndmask_b32_e64 v11, 0, v11, s[24:25]
	v_and_b32_e32 v13, 1, v13
	v_cmp_eq_u32_e64 s[24:25], 1, v15
	v_and_b32_e32 v9, 15, v3
	v_cndmask_b32_e64 v13, v13, 1, s[24:25]
	v_and_b32_e32 v15, 0xffff, v13
	v_cmp_eq_u32_e64 s[24:25], 0, v9
	v_cndmask_b32_e64 v5, v13, v5, s[24:25]
	v_cndmask_b32_e64 v7, v15, v7, s[24:25]
	v_and_b32_e32 v17, 1, v5
	v_cndmask_b32_e64 v11, v11, 0, s[24:25]
	v_mov_b32_dpp v15, v7 row_shr:2 row_mask:0xf bank_mask:0xf
	v_and_b32_e32 v15, 1, v15
	v_cmp_eq_u32_e64 s[24:25], 1, v17
	v_cndmask_b32_e64 v15, v15, 1, s[24:25]
	v_and_b32_e32 v17, 0xffff, v15
	v_cmp_lt_u32_e64 s[24:25], 1, v9
	v_add_u32_e32 v11, v11, v33
	v_cmp_eq_u16_sdwa s[26:27], v5, v26 src0_sel:BYTE_0 src1_sel:DWORD
	v_cndmask_b32_e64 v5, v5, v15, s[24:25]
	v_cndmask_b32_e64 v7, v7, v17, s[24:25]
	v_mov_b32_dpp v13, v11 row_shr:2 row_mask:0xf bank_mask:0xf
	s_and_b64 s[24:25], s[24:25], s[26:27]
	v_mov_b32_dpp v15, v7 row_shr:4 row_mask:0xf bank_mask:0xf
	v_and_b32_e32 v17, 1, v5
	v_cndmask_b32_e64 v13, 0, v13, s[24:25]
	v_and_b32_e32 v15, 1, v15
	v_cmp_eq_u32_e64 s[24:25], 1, v17
	v_cndmask_b32_e64 v15, v15, 1, s[24:25]
	v_and_b32_e32 v17, 0xffff, v15
	v_cmp_lt_u32_e64 s[24:25], 3, v9
	v_add_u32_e32 v11, v13, v11
	v_cmp_eq_u16_sdwa s[26:27], v5, v26 src0_sel:BYTE_0 src1_sel:DWORD
	v_cndmask_b32_e64 v5, v5, v15, s[24:25]
	v_cndmask_b32_e64 v7, v7, v17, s[24:25]
	v_mov_b32_dpp v13, v11 row_shr:4 row_mask:0xf bank_mask:0xf
	s_and_b64 s[24:25], s[24:25], s[26:27]
	v_mov_b32_dpp v15, v7 row_shr:8 row_mask:0xf bank_mask:0xf
	v_and_b32_e32 v17, 1, v5
	v_cndmask_b32_e64 v13, 0, v13, s[24:25]
	v_and_b32_e32 v15, 1, v15
	v_cmp_eq_u32_e64 s[24:25], 1, v17
	v_cndmask_b32_e64 v15, v15, 1, s[24:25]
	v_add_u32_e32 v11, v13, v11
	v_cmp_eq_u16_sdwa s[26:27], v5, v26 src0_sel:BYTE_0 src1_sel:DWORD
	v_and_b32_e32 v17, 0xffff, v15
	v_cmp_lt_u32_e64 s[24:25], 7, v9
	v_mov_b32_dpp v13, v11 row_shr:8 row_mask:0xf bank_mask:0xf
	v_cndmask_b32_e64 v5, v5, v15, s[24:25]
	v_cndmask_b32_e64 v7, v7, v17, s[24:25]
	s_and_b64 s[24:25], s[24:25], s[26:27]
	v_cndmask_b32_e64 v9, 0, v13, s[24:25]
	v_add_u32_e32 v9, v9, v11
	v_mov_b32_dpp v13, v7 row_bcast:15 row_mask:0xf bank_mask:0xf
	v_cmp_eq_u16_sdwa s[24:25], v5, v26 src0_sel:BYTE_0 src1_sel:DWORD
	v_mov_b32_dpp v11, v9 row_bcast:15 row_mask:0xf bank_mask:0xf
	v_and_b32_e32 v19, 1, v5
	v_cndmask_b32_e64 v11, 0, v11, s[24:25]
	v_and_b32_e32 v13, 1, v13
	v_cmp_eq_u32_e64 s[24:25], 1, v19
	v_and_b32_e32 v17, 16, v3
	v_cndmask_b32_e64 v13, v13, 1, s[24:25]
	v_and_b32_e32 v19, 0xffff, v13
	v_cmp_eq_u32_e64 s[24:25], 0, v17
	v_cndmask_b32_e64 v5, v13, v5, s[24:25]
	v_cndmask_b32_e64 v7, v19, v7, s[24:25]
	v_bfe_i32 v15, v3, 4, 1
	v_and_b32_e32 v13, 1, v5
	v_mov_b32_dpp v7, v7 row_bcast:31 row_mask:0xf bank_mask:0xf
	v_and_b32_e32 v11, v15, v11
	v_and_b32_e32 v7, 1, v7
	v_cmp_eq_u32_e64 s[24:25], 1, v13
	v_add_u32_e32 v9, v11, v9
	v_cmp_eq_u16_sdwa s[26:27], v5, v26 src0_sel:BYTE_0 src1_sel:DWORD
	v_cndmask_b32_e64 v7, v7, 1, s[24:25]
	v_cmp_lt_u32_e64 s[24:25], 31, v3
	v_mov_b32_dpp v11, v9 row_bcast:31 row_mask:0xf bank_mask:0xf
	v_cndmask_b32_e64 v5, v5, v7, s[24:25]
	s_and_b64 s[24:25], s[24:25], s[26:27]
	v_cndmask_b32_e64 v7, 0, v11, s[24:25]
	v_add_u32_e32 v7, v7, v9
	v_cmp_eq_u32_e64 s[24:25], v51, v0
	s_and_saveexec_b64 s[26:27], s[24:25]
	s_cbranch_execz .LBB1737_134
; %bb.133:
	v_lshlrev_b32_e32 v9, 3, v1
	ds_write_b32 v9, v7
	ds_write_b8 v9, v5 offset:4
.LBB1737_134:
	s_or_b64 exec, exec, s[26:27]
	v_cmp_gt_u32_e64 s[24:25], 4, v0
	s_waitcnt lgkmcnt(0)
	s_barrier
	s_and_saveexec_b64 s[26:27], s[24:25]
	s_cbranch_execz .LBB1737_138
; %bb.135:
	v_lshlrev_b32_e32 v9, 3, v0
	ds_read_b64 v[26:27], v9
	v_and_b32_e32 v11, 3, v3
	v_cmp_ne_u32_e64 s[24:25], 0, v11
	s_waitcnt lgkmcnt(0)
	v_mov_b32_dpp v13, v26 row_shr:1 row_mask:0xf bank_mask:0xf
	v_mov_b32_dpp v17, v27 row_shr:1 row_mask:0xf bank_mask:0xf
	v_mov_b32_e32 v15, v27
	s_and_saveexec_b64 s[28:29], s[24:25]
	s_cbranch_execz .LBB1737_137
; %bb.136:
	v_and_b32_e32 v15, 1, v27
	v_and_b32_e32 v17, 1, v17
	v_cmp_eq_u32_e64 s[24:25], 1, v15
	v_mov_b32_e32 v15, 0
	v_cndmask_b32_e64 v17, v17, 1, s[24:25]
	v_cmp_eq_u16_sdwa s[24:25], v27, v15 src0_sel:BYTE_0 src1_sel:DWORD
	v_cndmask_b32_e64 v13, 0, v13, s[24:25]
	v_add_u32_e32 v26, v13, v26
	v_and_b32_e32 v13, 0xffff, v17
	s_movk_i32 s24, 0xff00
	v_and_or_b32 v15, v27, s24, v13
	v_mov_b32_e32 v27, v17
.LBB1737_137:
	s_or_b64 exec, exec, s[28:29]
	v_mov_b32_dpp v15, v15 row_shr:2 row_mask:0xf bank_mask:0xf
	v_and_b32_e32 v17, 1, v27
	v_and_b32_e32 v15, 1, v15
	v_cmp_eq_u32_e64 s[24:25], 1, v17
	v_mov_b32_e32 v17, 0
	v_cndmask_b32_e64 v15, v15, 1, s[24:25]
	v_cmp_eq_u16_sdwa s[28:29], v27, v17 src0_sel:BYTE_0 src1_sel:DWORD
	v_cmp_lt_u32_e64 s[24:25], 1, v11
	v_mov_b32_dpp v13, v26 row_shr:2 row_mask:0xf bank_mask:0xf
	v_cndmask_b32_e64 v11, v27, v15, s[24:25]
	s_and_b64 s[24:25], s[24:25], s[28:29]
	v_cndmask_b32_e64 v13, 0, v13, s[24:25]
	v_add_u32_e32 v13, v13, v26
	ds_write_b32 v9, v13
	ds_write_b8 v9, v11 offset:4
.LBB1737_138:
	s_or_b64 exec, exec, s[26:27]
	v_cmp_lt_u32_e64 s[24:25], 63, v0
	s_waitcnt vmcnt(0)
	v_mov_b32_e32 v9, v32
	s_waitcnt lgkmcnt(0)
	s_barrier
	s_and_saveexec_b64 s[26:27], s[24:25]
	s_cbranch_execz .LBB1737_140
; %bb.139:
	v_lshl_add_u32 v1, v1, 3, -8
	ds_read_u8 v9, v1 offset:4
	ds_read_b32 v1, v1
	s_waitcnt lgkmcnt(1)
	v_cmp_eq_u16_e64 s[24:25], 0, v9
	v_cndmask_b32_e64 v9, 0, v32, s[24:25]
	s_waitcnt lgkmcnt(0)
	v_add_u32_e32 v9, v9, v1
.LBB1737_140:
	s_or_b64 exec, exec, s[26:27]
	v_mov_b32_e32 v28, 0
	v_cmp_eq_u16_sdwa s[24:25], v5, v28 src0_sel:BYTE_0 src1_sel:DWORD
	v_cndmask_b32_e64 v1, 0, v9, s[24:25]
	v_add_u32_e32 v1, v1, v7
	v_add_u32_e32 v5, -1, v3
	v_and_b32_e32 v7, 64, v3
	v_cmp_lt_i32_e64 s[24:25], v5, v7
	v_cndmask_b32_e64 v5, v5, v3, s[24:25]
	v_lshlrev_b32_e32 v5, 2, v5
	ds_bpermute_b32 v1, v5, v1
	v_cmp_eq_u32_e64 s[24:25], 0, v3
	v_and_b32_e32 v29, 0xff, v39
	v_cmp_eq_u64_e64 s[26:27], 0, v[28:29]
	s_waitcnt lgkmcnt(0)
	v_cndmask_b32_e64 v26, v1, v9, s[24:25]
	v_cmp_eq_u32_e64 s[24:25], 0, v0
	v_cndmask_b32_e64 v1, v26, v32, s[24:25]
	v_cndmask_b32_e64 v1, 0, v1, s[26:27]
	v_add_u32_e32 v27, v1, v38
	v_cndmask_b32_e32 v1, 0, v27, vcc
	v_add_u32_e32 v42, v1, v8
	v_cndmask_b32_e64 v1, 0, v42, s[2:3]
	v_add_u32_e32 v43, v1, v6
	v_cndmask_b32_e64 v1, 0, v43, s[4:5]
	;; [unrolled: 2-line block ×11, first 2 shown]
	s_and_saveexec_b64 s[2:3], s[24:25]
	s_cbranch_execz .LBB1737_142
; %bb.141:
	ds_read_u8 v3, v28 offset:28
	ds_read_b32 v2, v28 offset:24
	s_add_u32 s4, s44, 0x400
	s_addc_u32 s5, s45, 0
	v_mov_b32_e32 v5, v28
	s_waitcnt lgkmcnt(1)
	v_cmp_eq_u16_e32 vcc, 0, v3
	v_cndmask_b32_e32 v4, 0, v32, vcc
	s_waitcnt lgkmcnt(0)
	v_add_u32_e32 v2, v4, v2
	v_and_b32_e32 v3, 0xffff, v3
	v_mov_b32_e32 v4, 2
	v_pk_mov_b32 v[6:7], s[4:5], s[4:5] op_sel:[0,1]
	;;#ASMSTART
	global_store_dwordx4 v[6:7], v[2:5] off	
s_waitcnt vmcnt(0)
	;;#ASMEND
	v_mov_b32_e32 v26, v32
.LBB1737_142:
	s_or_b64 exec, exec, s[2:3]
	v_add_u32_e32 v49, v1, v24
.LBB1737_143:
	s_add_u32 s2, s42, s34
	s_addc_u32 s3, s43, s35
	s_add_u32 s4, s2, s36
	v_mul_u32_u24_e32 v1, 14, v0
	s_addc_u32 s5, s3, s37
	s_and_b64 vcc, exec, s[0:1]
	v_lshlrev_b32_e32 v2, 2, v1
	s_cbranch_vccz .LBB1737_171
; %bb.144:
	s_movk_i32 s0, 0xffcc
	v_mad_i32_i24 v3, v0, s0, v2
	s_barrier
	ds_write2_b64 v2, v[26:27], v[42:43] offset1:1
	ds_write2_b64 v2, v[30:31], v[44:45] offset0:2 offset1:3
	ds_write2_b64 v2, v[34:35], v[46:47] offset0:4 offset1:5
	ds_write_b64 v2, v[48:49] offset:48
	s_waitcnt lgkmcnt(0)
	s_barrier
	ds_read2st64_b32 v[16:17], v3 offset0:4 offset1:8
	ds_read2st64_b32 v[14:15], v3 offset0:12 offset1:16
	;; [unrolled: 1-line block ×6, first 2 shown]
	ds_read_b32 v3, v3 offset:13312
	v_mov_b32_e32 v5, s5
	v_add_co_u32_e32 v4, vcc, s4, v50
	s_add_i32 s33, s33, s46
	v_addc_co_u32_e32 v5, vcc, 0, v5, vcc
	v_mov_b32_e32 v1, 0
	v_cmp_gt_u32_e32 vcc, s33, v0
	s_and_saveexec_b64 s[0:1], vcc
	s_cbranch_execz .LBB1737_146
; %bb.145:
	v_mul_i32_i24_e32 v18, 0xffffffcc, v0
	v_add_u32_e32 v18, v2, v18
	ds_read_b32 v18, v18
	s_waitcnt lgkmcnt(0)
	v_cvt_f32_i32_e32 v18, v18
	flat_store_dword v[4:5], v18
.LBB1737_146:
	s_or_b64 exec, exec, s[0:1]
	v_or_b32_e32 v18, 0x100, v0
	v_cmp_gt_u32_e32 vcc, s33, v18
	s_and_saveexec_b64 s[0:1], vcc
	s_cbranch_execz .LBB1737_148
; %bb.147:
	s_waitcnt lgkmcnt(0)
	v_cvt_f32_i32_e32 v16, v16
	flat_store_dword v[4:5], v16 offset:1024
.LBB1737_148:
	s_or_b64 exec, exec, s[0:1]
	s_waitcnt lgkmcnt(0)
	v_or_b32_e32 v16, 0x200, v0
	v_cmp_gt_u32_e32 vcc, s33, v16
	s_and_saveexec_b64 s[0:1], vcc
	s_cbranch_execz .LBB1737_150
; %bb.149:
	v_cvt_f32_i32_e32 v16, v17
	flat_store_dword v[4:5], v16 offset:2048
.LBB1737_150:
	s_or_b64 exec, exec, s[0:1]
	v_or_b32_e32 v16, 0x300, v0
	v_cmp_gt_u32_e32 vcc, s33, v16
	s_and_saveexec_b64 s[0:1], vcc
	s_cbranch_execz .LBB1737_152
; %bb.151:
	v_cvt_f32_i32_e32 v14, v14
	flat_store_dword v[4:5], v14 offset:3072
.LBB1737_152:
	s_or_b64 exec, exec, s[0:1]
	v_or_b32_e32 v14, 0x400, v0
	v_cmp_gt_u32_e32 vcc, s33, v14
	s_and_saveexec_b64 s[0:1], vcc
	s_cbranch_execz .LBB1737_154
; %bb.153:
	v_cvt_f32_i32_e32 v16, v15
	v_add_co_u32_e32 v14, vcc, 0x1000, v4
	v_addc_co_u32_e32 v15, vcc, 0, v5, vcc
	flat_store_dword v[14:15], v16
.LBB1737_154:
	s_or_b64 exec, exec, s[0:1]
	v_or_b32_e32 v14, 0x500, v0
	v_cmp_gt_u32_e32 vcc, s33, v14
	s_and_saveexec_b64 s[0:1], vcc
	s_cbranch_execz .LBB1737_156
; %bb.155:
	v_cvt_f32_i32_e32 v12, v12
	v_add_co_u32_e32 v14, vcc, 0x1000, v4
	v_addc_co_u32_e32 v15, vcc, 0, v5, vcc
	flat_store_dword v[14:15], v12 offset:1024
.LBB1737_156:
	s_or_b64 exec, exec, s[0:1]
	v_or_b32_e32 v12, 0x600, v0
	v_cmp_gt_u32_e32 vcc, s33, v12
	s_and_saveexec_b64 s[0:1], vcc
	s_cbranch_execz .LBB1737_158
; %bb.157:
	v_cvt_f32_i32_e32 v14, v13
	v_add_co_u32_e32 v12, vcc, 0x1000, v4
	v_addc_co_u32_e32 v13, vcc, 0, v5, vcc
	flat_store_dword v[12:13], v14 offset:2048
.LBB1737_158:
	;; [unrolled: 11-line block ×3, first 2 shown]
	s_or_b64 exec, exec, s[0:1]
	v_or_b32_e32 v10, 0x800, v0
	v_cmp_gt_u32_e32 vcc, s33, v10
	s_and_saveexec_b64 s[0:1], vcc
	s_cbranch_execz .LBB1737_162
; %bb.161:
	v_cvt_f32_i32_e32 v12, v11
	v_add_co_u32_e32 v10, vcc, 0x2000, v4
	v_addc_co_u32_e32 v11, vcc, 0, v5, vcc
	flat_store_dword v[10:11], v12
.LBB1737_162:
	s_or_b64 exec, exec, s[0:1]
	v_or_b32_e32 v10, 0x900, v0
	v_cmp_gt_u32_e32 vcc, s33, v10
	s_and_saveexec_b64 s[0:1], vcc
	s_cbranch_execz .LBB1737_164
; %bb.163:
	v_cvt_f32_i32_e32 v8, v8
	v_add_co_u32_e32 v10, vcc, 0x2000, v4
	v_addc_co_u32_e32 v11, vcc, 0, v5, vcc
	flat_store_dword v[10:11], v8 offset:1024
.LBB1737_164:
	s_or_b64 exec, exec, s[0:1]
	v_or_b32_e32 v8, 0xa00, v0
	v_cmp_gt_u32_e32 vcc, s33, v8
	s_and_saveexec_b64 s[0:1], vcc
	s_cbranch_execz .LBB1737_166
; %bb.165:
	v_cvt_f32_i32_e32 v10, v9
	v_add_co_u32_e32 v8, vcc, 0x2000, v4
	v_addc_co_u32_e32 v9, vcc, 0, v5, vcc
	flat_store_dword v[8:9], v10 offset:2048
.LBB1737_166:
	;; [unrolled: 11-line block ×3, first 2 shown]
	s_or_b64 exec, exec, s[0:1]
	v_or_b32_e32 v6, 0xc00, v0
	v_cmp_gt_u32_e32 vcc, s33, v6
	s_and_saveexec_b64 s[0:1], vcc
	s_cbranch_execz .LBB1737_170
; %bb.169:
	v_cvt_f32_i32_e32 v6, v7
	v_add_co_u32_e32 v4, vcc, 0x3000, v4
	v_addc_co_u32_e32 v5, vcc, 0, v5, vcc
	flat_store_dword v[4:5], v6
.LBB1737_170:
	s_or_b64 exec, exec, s[0:1]
	v_or_b32_e32 v4, 0xd00, v0
	v_cmp_gt_u32_e64 s[0:1], s33, v4
	s_branch .LBB1737_173
.LBB1737_171:
	s_mov_b64 s[0:1], 0
                                        ; implicit-def: $vgpr3
	s_cbranch_execz .LBB1737_173
; %bb.172:
	s_movk_i32 s2, 0xffcc
	s_waitcnt lgkmcnt(0)
	s_barrier
	ds_write2_b64 v2, v[26:27], v[42:43] offset1:1
	ds_write2_b64 v2, v[30:31], v[44:45] offset0:2 offset1:3
	ds_write2_b64 v2, v[34:35], v[46:47] offset0:4 offset1:5
	ds_write_b64 v2, v[48:49] offset:48
	v_mad_i32_i24 v2, v0, s2, v2
	s_waitcnt lgkmcnt(0)
	s_barrier
	ds_read2st64_b32 v[4:5], v2 offset1:4
	ds_read2st64_b32 v[6:7], v2 offset0:8 offset1:12
	ds_read2st64_b32 v[8:9], v2 offset0:16 offset1:20
	;; [unrolled: 1-line block ×6, first 2 shown]
	s_waitcnt lgkmcnt(0)
	v_cvt_f32_i32_e32 v4, v4
	v_cvt_f32_i32_e32 v5, v5
	v_mov_b32_e32 v17, s5
	v_add_co_u32_e32 v16, vcc, s4, v50
	v_cvt_f32_i32_e32 v6, v6
	v_addc_co_u32_e32 v17, vcc, 0, v17, vcc
	v_cvt_f32_i32_e32 v7, v7
	flat_store_dword v[16:17], v4
	flat_store_dword v[16:17], v5 offset:1024
	flat_store_dword v[16:17], v6 offset:2048
	;; [unrolled: 1-line block ×3, first 2 shown]
	v_cvt_f32_i32_e32 v6, v8
	s_movk_i32 s2, 0x1000
	v_cvt_f32_i32_e32 v7, v9
	v_add_co_u32_e32 v4, vcc, s2, v16
	v_cvt_f32_i32_e32 v8, v10
	v_addc_co_u32_e32 v5, vcc, 0, v17, vcc
	v_cvt_f32_i32_e32 v9, v11
	flat_store_dword v[4:5], v6
	flat_store_dword v[4:5], v7 offset:1024
	flat_store_dword v[4:5], v8 offset:2048
	;; [unrolled: 1-line block ×3, first 2 shown]
	v_cvt_f32_i32_e32 v6, v12
	s_movk_i32 s2, 0x2000
	v_cvt_f32_i32_e32 v7, v13
	v_add_co_u32_e32 v4, vcc, s2, v16
	v_cvt_f32_i32_e32 v8, v14
	v_cvt_f32_i32_e32 v2, v2
	v_addc_co_u32_e32 v5, vcc, 0, v17, vcc
	v_cvt_f32_i32_e32 v9, v15
	flat_store_dword v[4:5], v6
	flat_store_dword v[4:5], v7 offset:1024
	flat_store_dword v[4:5], v8 offset:2048
	;; [unrolled: 1-line block ×3, first 2 shown]
	v_add_co_u32_e32 v4, vcc, 0x3000, v16
	v_mov_b32_e32 v1, 0
	v_addc_co_u32_e32 v5, vcc, 0, v17, vcc
	s_or_b64 s[0:1], s[0:1], exec
	flat_store_dword v[4:5], v2
.LBB1737_173:
	s_and_saveexec_b64 s[2:3], s[0:1]
	s_cbranch_execz .LBB1737_175
; %bb.174:
	v_lshlrev_b64 v[0:1], 2, v[0:1]
	v_mov_b32_e32 v2, s5
	v_add_co_u32_e32 v0, vcc, s4, v0
	v_addc_co_u32_e32 v1, vcc, v2, v1, vcc
	v_cvt_f32_i32_e32 v2, v3
	v_add_co_u32_e32 v0, vcc, 0x3000, v0
	v_addc_co_u32_e32 v1, vcc, 0, v1, vcc
	flat_store_dword v[0:1], v2 offset:1024
	s_endpgm
.LBB1737_175:
	s_endpgm
	.section	.rodata,"a",@progbits
	.p2align	6, 0x0
	.amdhsa_kernel _ZN7rocprim17ROCPRIM_400000_NS6detail17trampoline_kernelINS0_14default_configENS1_27scan_by_key_config_selectorIiiEEZZNS1_16scan_by_key_implILNS1_25lookback_scan_determinismE0ELb1ES3_N6thrust23THRUST_200600_302600_NS6detail15normal_iteratorINS9_10device_ptrIiEEEENSB_INSC_IjEEEENSB_INSC_IfEEEEiNS9_4plusIvEENS9_8equal_toIvEEiEE10hipError_tPvRmT2_T3_T4_T5_mT6_T7_P12ihipStream_tbENKUlT_T0_E_clISt17integral_constantIbLb1EES12_IbLb0EEEEDaSY_SZ_EUlSY_E_NS1_11comp_targetILNS1_3genE4ELNS1_11target_archE910ELNS1_3gpuE8ELNS1_3repE0EEENS1_30default_config_static_selectorELNS0_4arch9wavefront6targetE1EEEvT1_
		.amdhsa_group_segment_fixed_size 16384
		.amdhsa_private_segment_fixed_size 0
		.amdhsa_kernarg_size 112
		.amdhsa_user_sgpr_count 6
		.amdhsa_user_sgpr_private_segment_buffer 1
		.amdhsa_user_sgpr_dispatch_ptr 0
		.amdhsa_user_sgpr_queue_ptr 0
		.amdhsa_user_sgpr_kernarg_segment_ptr 1
		.amdhsa_user_sgpr_dispatch_id 0
		.amdhsa_user_sgpr_flat_scratch_init 0
		.amdhsa_user_sgpr_kernarg_preload_length 0
		.amdhsa_user_sgpr_kernarg_preload_offset 0
		.amdhsa_user_sgpr_private_segment_size 0
		.amdhsa_uses_dynamic_stack 0
		.amdhsa_system_sgpr_private_segment_wavefront_offset 0
		.amdhsa_system_sgpr_workgroup_id_x 1
		.amdhsa_system_sgpr_workgroup_id_y 0
		.amdhsa_system_sgpr_workgroup_id_z 0
		.amdhsa_system_sgpr_workgroup_info 0
		.amdhsa_system_vgpr_workitem_id 0
		.amdhsa_next_free_vgpr 65
		.amdhsa_next_free_sgpr 60
		.amdhsa_accum_offset 68
		.amdhsa_reserve_vcc 1
		.amdhsa_reserve_flat_scratch 0
		.amdhsa_float_round_mode_32 0
		.amdhsa_float_round_mode_16_64 0
		.amdhsa_float_denorm_mode_32 3
		.amdhsa_float_denorm_mode_16_64 3
		.amdhsa_dx10_clamp 1
		.amdhsa_ieee_mode 1
		.amdhsa_fp16_overflow 0
		.amdhsa_tg_split 0
		.amdhsa_exception_fp_ieee_invalid_op 0
		.amdhsa_exception_fp_denorm_src 0
		.amdhsa_exception_fp_ieee_div_zero 0
		.amdhsa_exception_fp_ieee_overflow 0
		.amdhsa_exception_fp_ieee_underflow 0
		.amdhsa_exception_fp_ieee_inexact 0
		.amdhsa_exception_int_div_zero 0
	.end_amdhsa_kernel
	.section	.text._ZN7rocprim17ROCPRIM_400000_NS6detail17trampoline_kernelINS0_14default_configENS1_27scan_by_key_config_selectorIiiEEZZNS1_16scan_by_key_implILNS1_25lookback_scan_determinismE0ELb1ES3_N6thrust23THRUST_200600_302600_NS6detail15normal_iteratorINS9_10device_ptrIiEEEENSB_INSC_IjEEEENSB_INSC_IfEEEEiNS9_4plusIvEENS9_8equal_toIvEEiEE10hipError_tPvRmT2_T3_T4_T5_mT6_T7_P12ihipStream_tbENKUlT_T0_E_clISt17integral_constantIbLb1EES12_IbLb0EEEEDaSY_SZ_EUlSY_E_NS1_11comp_targetILNS1_3genE4ELNS1_11target_archE910ELNS1_3gpuE8ELNS1_3repE0EEENS1_30default_config_static_selectorELNS0_4arch9wavefront6targetE1EEEvT1_,"axG",@progbits,_ZN7rocprim17ROCPRIM_400000_NS6detail17trampoline_kernelINS0_14default_configENS1_27scan_by_key_config_selectorIiiEEZZNS1_16scan_by_key_implILNS1_25lookback_scan_determinismE0ELb1ES3_N6thrust23THRUST_200600_302600_NS6detail15normal_iteratorINS9_10device_ptrIiEEEENSB_INSC_IjEEEENSB_INSC_IfEEEEiNS9_4plusIvEENS9_8equal_toIvEEiEE10hipError_tPvRmT2_T3_T4_T5_mT6_T7_P12ihipStream_tbENKUlT_T0_E_clISt17integral_constantIbLb1EES12_IbLb0EEEEDaSY_SZ_EUlSY_E_NS1_11comp_targetILNS1_3genE4ELNS1_11target_archE910ELNS1_3gpuE8ELNS1_3repE0EEENS1_30default_config_static_selectorELNS0_4arch9wavefront6targetE1EEEvT1_,comdat
.Lfunc_end1737:
	.size	_ZN7rocprim17ROCPRIM_400000_NS6detail17trampoline_kernelINS0_14default_configENS1_27scan_by_key_config_selectorIiiEEZZNS1_16scan_by_key_implILNS1_25lookback_scan_determinismE0ELb1ES3_N6thrust23THRUST_200600_302600_NS6detail15normal_iteratorINS9_10device_ptrIiEEEENSB_INSC_IjEEEENSB_INSC_IfEEEEiNS9_4plusIvEENS9_8equal_toIvEEiEE10hipError_tPvRmT2_T3_T4_T5_mT6_T7_P12ihipStream_tbENKUlT_T0_E_clISt17integral_constantIbLb1EES12_IbLb0EEEEDaSY_SZ_EUlSY_E_NS1_11comp_targetILNS1_3genE4ELNS1_11target_archE910ELNS1_3gpuE8ELNS1_3repE0EEENS1_30default_config_static_selectorELNS0_4arch9wavefront6targetE1EEEvT1_, .Lfunc_end1737-_ZN7rocprim17ROCPRIM_400000_NS6detail17trampoline_kernelINS0_14default_configENS1_27scan_by_key_config_selectorIiiEEZZNS1_16scan_by_key_implILNS1_25lookback_scan_determinismE0ELb1ES3_N6thrust23THRUST_200600_302600_NS6detail15normal_iteratorINS9_10device_ptrIiEEEENSB_INSC_IjEEEENSB_INSC_IfEEEEiNS9_4plusIvEENS9_8equal_toIvEEiEE10hipError_tPvRmT2_T3_T4_T5_mT6_T7_P12ihipStream_tbENKUlT_T0_E_clISt17integral_constantIbLb1EES12_IbLb0EEEEDaSY_SZ_EUlSY_E_NS1_11comp_targetILNS1_3genE4ELNS1_11target_archE910ELNS1_3gpuE8ELNS1_3repE0EEENS1_30default_config_static_selectorELNS0_4arch9wavefront6targetE1EEEvT1_
                                        ; -- End function
	.section	.AMDGPU.csdata,"",@progbits
; Kernel info:
; codeLenInByte = 11412
; NumSgprs: 64
; NumVgprs: 65
; NumAgprs: 0
; TotalNumVgprs: 65
; ScratchSize: 0
; MemoryBound: 0
; FloatMode: 240
; IeeeMode: 1
; LDSByteSize: 16384 bytes/workgroup (compile time only)
; SGPRBlocks: 7
; VGPRBlocks: 8
; NumSGPRsForWavesPerEU: 64
; NumVGPRsForWavesPerEU: 65
; AccumOffset: 68
; Occupancy: 4
; WaveLimiterHint : 1
; COMPUTE_PGM_RSRC2:SCRATCH_EN: 0
; COMPUTE_PGM_RSRC2:USER_SGPR: 6
; COMPUTE_PGM_RSRC2:TRAP_HANDLER: 0
; COMPUTE_PGM_RSRC2:TGID_X_EN: 1
; COMPUTE_PGM_RSRC2:TGID_Y_EN: 0
; COMPUTE_PGM_RSRC2:TGID_Z_EN: 0
; COMPUTE_PGM_RSRC2:TIDIG_COMP_CNT: 0
; COMPUTE_PGM_RSRC3_GFX90A:ACCUM_OFFSET: 16
; COMPUTE_PGM_RSRC3_GFX90A:TG_SPLIT: 0
	.section	.text._ZN7rocprim17ROCPRIM_400000_NS6detail17trampoline_kernelINS0_14default_configENS1_27scan_by_key_config_selectorIiiEEZZNS1_16scan_by_key_implILNS1_25lookback_scan_determinismE0ELb1ES3_N6thrust23THRUST_200600_302600_NS6detail15normal_iteratorINS9_10device_ptrIiEEEENSB_INSC_IjEEEENSB_INSC_IfEEEEiNS9_4plusIvEENS9_8equal_toIvEEiEE10hipError_tPvRmT2_T3_T4_T5_mT6_T7_P12ihipStream_tbENKUlT_T0_E_clISt17integral_constantIbLb1EES12_IbLb0EEEEDaSY_SZ_EUlSY_E_NS1_11comp_targetILNS1_3genE3ELNS1_11target_archE908ELNS1_3gpuE7ELNS1_3repE0EEENS1_30default_config_static_selectorELNS0_4arch9wavefront6targetE1EEEvT1_,"axG",@progbits,_ZN7rocprim17ROCPRIM_400000_NS6detail17trampoline_kernelINS0_14default_configENS1_27scan_by_key_config_selectorIiiEEZZNS1_16scan_by_key_implILNS1_25lookback_scan_determinismE0ELb1ES3_N6thrust23THRUST_200600_302600_NS6detail15normal_iteratorINS9_10device_ptrIiEEEENSB_INSC_IjEEEENSB_INSC_IfEEEEiNS9_4plusIvEENS9_8equal_toIvEEiEE10hipError_tPvRmT2_T3_T4_T5_mT6_T7_P12ihipStream_tbENKUlT_T0_E_clISt17integral_constantIbLb1EES12_IbLb0EEEEDaSY_SZ_EUlSY_E_NS1_11comp_targetILNS1_3genE3ELNS1_11target_archE908ELNS1_3gpuE7ELNS1_3repE0EEENS1_30default_config_static_selectorELNS0_4arch9wavefront6targetE1EEEvT1_,comdat
	.protected	_ZN7rocprim17ROCPRIM_400000_NS6detail17trampoline_kernelINS0_14default_configENS1_27scan_by_key_config_selectorIiiEEZZNS1_16scan_by_key_implILNS1_25lookback_scan_determinismE0ELb1ES3_N6thrust23THRUST_200600_302600_NS6detail15normal_iteratorINS9_10device_ptrIiEEEENSB_INSC_IjEEEENSB_INSC_IfEEEEiNS9_4plusIvEENS9_8equal_toIvEEiEE10hipError_tPvRmT2_T3_T4_T5_mT6_T7_P12ihipStream_tbENKUlT_T0_E_clISt17integral_constantIbLb1EES12_IbLb0EEEEDaSY_SZ_EUlSY_E_NS1_11comp_targetILNS1_3genE3ELNS1_11target_archE908ELNS1_3gpuE7ELNS1_3repE0EEENS1_30default_config_static_selectorELNS0_4arch9wavefront6targetE1EEEvT1_ ; -- Begin function _ZN7rocprim17ROCPRIM_400000_NS6detail17trampoline_kernelINS0_14default_configENS1_27scan_by_key_config_selectorIiiEEZZNS1_16scan_by_key_implILNS1_25lookback_scan_determinismE0ELb1ES3_N6thrust23THRUST_200600_302600_NS6detail15normal_iteratorINS9_10device_ptrIiEEEENSB_INSC_IjEEEENSB_INSC_IfEEEEiNS9_4plusIvEENS9_8equal_toIvEEiEE10hipError_tPvRmT2_T3_T4_T5_mT6_T7_P12ihipStream_tbENKUlT_T0_E_clISt17integral_constantIbLb1EES12_IbLb0EEEEDaSY_SZ_EUlSY_E_NS1_11comp_targetILNS1_3genE3ELNS1_11target_archE908ELNS1_3gpuE7ELNS1_3repE0EEENS1_30default_config_static_selectorELNS0_4arch9wavefront6targetE1EEEvT1_
	.globl	_ZN7rocprim17ROCPRIM_400000_NS6detail17trampoline_kernelINS0_14default_configENS1_27scan_by_key_config_selectorIiiEEZZNS1_16scan_by_key_implILNS1_25lookback_scan_determinismE0ELb1ES3_N6thrust23THRUST_200600_302600_NS6detail15normal_iteratorINS9_10device_ptrIiEEEENSB_INSC_IjEEEENSB_INSC_IfEEEEiNS9_4plusIvEENS9_8equal_toIvEEiEE10hipError_tPvRmT2_T3_T4_T5_mT6_T7_P12ihipStream_tbENKUlT_T0_E_clISt17integral_constantIbLb1EES12_IbLb0EEEEDaSY_SZ_EUlSY_E_NS1_11comp_targetILNS1_3genE3ELNS1_11target_archE908ELNS1_3gpuE7ELNS1_3repE0EEENS1_30default_config_static_selectorELNS0_4arch9wavefront6targetE1EEEvT1_
	.p2align	8
	.type	_ZN7rocprim17ROCPRIM_400000_NS6detail17trampoline_kernelINS0_14default_configENS1_27scan_by_key_config_selectorIiiEEZZNS1_16scan_by_key_implILNS1_25lookback_scan_determinismE0ELb1ES3_N6thrust23THRUST_200600_302600_NS6detail15normal_iteratorINS9_10device_ptrIiEEEENSB_INSC_IjEEEENSB_INSC_IfEEEEiNS9_4plusIvEENS9_8equal_toIvEEiEE10hipError_tPvRmT2_T3_T4_T5_mT6_T7_P12ihipStream_tbENKUlT_T0_E_clISt17integral_constantIbLb1EES12_IbLb0EEEEDaSY_SZ_EUlSY_E_NS1_11comp_targetILNS1_3genE3ELNS1_11target_archE908ELNS1_3gpuE7ELNS1_3repE0EEENS1_30default_config_static_selectorELNS0_4arch9wavefront6targetE1EEEvT1_,@function
_ZN7rocprim17ROCPRIM_400000_NS6detail17trampoline_kernelINS0_14default_configENS1_27scan_by_key_config_selectorIiiEEZZNS1_16scan_by_key_implILNS1_25lookback_scan_determinismE0ELb1ES3_N6thrust23THRUST_200600_302600_NS6detail15normal_iteratorINS9_10device_ptrIiEEEENSB_INSC_IjEEEENSB_INSC_IfEEEEiNS9_4plusIvEENS9_8equal_toIvEEiEE10hipError_tPvRmT2_T3_T4_T5_mT6_T7_P12ihipStream_tbENKUlT_T0_E_clISt17integral_constantIbLb1EES12_IbLb0EEEEDaSY_SZ_EUlSY_E_NS1_11comp_targetILNS1_3genE3ELNS1_11target_archE908ELNS1_3gpuE7ELNS1_3repE0EEENS1_30default_config_static_selectorELNS0_4arch9wavefront6targetE1EEEvT1_: ; @_ZN7rocprim17ROCPRIM_400000_NS6detail17trampoline_kernelINS0_14default_configENS1_27scan_by_key_config_selectorIiiEEZZNS1_16scan_by_key_implILNS1_25lookback_scan_determinismE0ELb1ES3_N6thrust23THRUST_200600_302600_NS6detail15normal_iteratorINS9_10device_ptrIiEEEENSB_INSC_IjEEEENSB_INSC_IfEEEEiNS9_4plusIvEENS9_8equal_toIvEEiEE10hipError_tPvRmT2_T3_T4_T5_mT6_T7_P12ihipStream_tbENKUlT_T0_E_clISt17integral_constantIbLb1EES12_IbLb0EEEEDaSY_SZ_EUlSY_E_NS1_11comp_targetILNS1_3genE3ELNS1_11target_archE908ELNS1_3gpuE7ELNS1_3repE0EEENS1_30default_config_static_selectorELNS0_4arch9wavefront6targetE1EEEvT1_
; %bb.0:
	.section	.rodata,"a",@progbits
	.p2align	6, 0x0
	.amdhsa_kernel _ZN7rocprim17ROCPRIM_400000_NS6detail17trampoline_kernelINS0_14default_configENS1_27scan_by_key_config_selectorIiiEEZZNS1_16scan_by_key_implILNS1_25lookback_scan_determinismE0ELb1ES3_N6thrust23THRUST_200600_302600_NS6detail15normal_iteratorINS9_10device_ptrIiEEEENSB_INSC_IjEEEENSB_INSC_IfEEEEiNS9_4plusIvEENS9_8equal_toIvEEiEE10hipError_tPvRmT2_T3_T4_T5_mT6_T7_P12ihipStream_tbENKUlT_T0_E_clISt17integral_constantIbLb1EES12_IbLb0EEEEDaSY_SZ_EUlSY_E_NS1_11comp_targetILNS1_3genE3ELNS1_11target_archE908ELNS1_3gpuE7ELNS1_3repE0EEENS1_30default_config_static_selectorELNS0_4arch9wavefront6targetE1EEEvT1_
		.amdhsa_group_segment_fixed_size 0
		.amdhsa_private_segment_fixed_size 0
		.amdhsa_kernarg_size 112
		.amdhsa_user_sgpr_count 6
		.amdhsa_user_sgpr_private_segment_buffer 1
		.amdhsa_user_sgpr_dispatch_ptr 0
		.amdhsa_user_sgpr_queue_ptr 0
		.amdhsa_user_sgpr_kernarg_segment_ptr 1
		.amdhsa_user_sgpr_dispatch_id 0
		.amdhsa_user_sgpr_flat_scratch_init 0
		.amdhsa_user_sgpr_kernarg_preload_length 0
		.amdhsa_user_sgpr_kernarg_preload_offset 0
		.amdhsa_user_sgpr_private_segment_size 0
		.amdhsa_uses_dynamic_stack 0
		.amdhsa_system_sgpr_private_segment_wavefront_offset 0
		.amdhsa_system_sgpr_workgroup_id_x 1
		.amdhsa_system_sgpr_workgroup_id_y 0
		.amdhsa_system_sgpr_workgroup_id_z 0
		.amdhsa_system_sgpr_workgroup_info 0
		.amdhsa_system_vgpr_workitem_id 0
		.amdhsa_next_free_vgpr 1
		.amdhsa_next_free_sgpr 0
		.amdhsa_accum_offset 4
		.amdhsa_reserve_vcc 0
		.amdhsa_reserve_flat_scratch 0
		.amdhsa_float_round_mode_32 0
		.amdhsa_float_round_mode_16_64 0
		.amdhsa_float_denorm_mode_32 3
		.amdhsa_float_denorm_mode_16_64 3
		.amdhsa_dx10_clamp 1
		.amdhsa_ieee_mode 1
		.amdhsa_fp16_overflow 0
		.amdhsa_tg_split 0
		.amdhsa_exception_fp_ieee_invalid_op 0
		.amdhsa_exception_fp_denorm_src 0
		.amdhsa_exception_fp_ieee_div_zero 0
		.amdhsa_exception_fp_ieee_overflow 0
		.amdhsa_exception_fp_ieee_underflow 0
		.amdhsa_exception_fp_ieee_inexact 0
		.amdhsa_exception_int_div_zero 0
	.end_amdhsa_kernel
	.section	.text._ZN7rocprim17ROCPRIM_400000_NS6detail17trampoline_kernelINS0_14default_configENS1_27scan_by_key_config_selectorIiiEEZZNS1_16scan_by_key_implILNS1_25lookback_scan_determinismE0ELb1ES3_N6thrust23THRUST_200600_302600_NS6detail15normal_iteratorINS9_10device_ptrIiEEEENSB_INSC_IjEEEENSB_INSC_IfEEEEiNS9_4plusIvEENS9_8equal_toIvEEiEE10hipError_tPvRmT2_T3_T4_T5_mT6_T7_P12ihipStream_tbENKUlT_T0_E_clISt17integral_constantIbLb1EES12_IbLb0EEEEDaSY_SZ_EUlSY_E_NS1_11comp_targetILNS1_3genE3ELNS1_11target_archE908ELNS1_3gpuE7ELNS1_3repE0EEENS1_30default_config_static_selectorELNS0_4arch9wavefront6targetE1EEEvT1_,"axG",@progbits,_ZN7rocprim17ROCPRIM_400000_NS6detail17trampoline_kernelINS0_14default_configENS1_27scan_by_key_config_selectorIiiEEZZNS1_16scan_by_key_implILNS1_25lookback_scan_determinismE0ELb1ES3_N6thrust23THRUST_200600_302600_NS6detail15normal_iteratorINS9_10device_ptrIiEEEENSB_INSC_IjEEEENSB_INSC_IfEEEEiNS9_4plusIvEENS9_8equal_toIvEEiEE10hipError_tPvRmT2_T3_T4_T5_mT6_T7_P12ihipStream_tbENKUlT_T0_E_clISt17integral_constantIbLb1EES12_IbLb0EEEEDaSY_SZ_EUlSY_E_NS1_11comp_targetILNS1_3genE3ELNS1_11target_archE908ELNS1_3gpuE7ELNS1_3repE0EEENS1_30default_config_static_selectorELNS0_4arch9wavefront6targetE1EEEvT1_,comdat
.Lfunc_end1738:
	.size	_ZN7rocprim17ROCPRIM_400000_NS6detail17trampoline_kernelINS0_14default_configENS1_27scan_by_key_config_selectorIiiEEZZNS1_16scan_by_key_implILNS1_25lookback_scan_determinismE0ELb1ES3_N6thrust23THRUST_200600_302600_NS6detail15normal_iteratorINS9_10device_ptrIiEEEENSB_INSC_IjEEEENSB_INSC_IfEEEEiNS9_4plusIvEENS9_8equal_toIvEEiEE10hipError_tPvRmT2_T3_T4_T5_mT6_T7_P12ihipStream_tbENKUlT_T0_E_clISt17integral_constantIbLb1EES12_IbLb0EEEEDaSY_SZ_EUlSY_E_NS1_11comp_targetILNS1_3genE3ELNS1_11target_archE908ELNS1_3gpuE7ELNS1_3repE0EEENS1_30default_config_static_selectorELNS0_4arch9wavefront6targetE1EEEvT1_, .Lfunc_end1738-_ZN7rocprim17ROCPRIM_400000_NS6detail17trampoline_kernelINS0_14default_configENS1_27scan_by_key_config_selectorIiiEEZZNS1_16scan_by_key_implILNS1_25lookback_scan_determinismE0ELb1ES3_N6thrust23THRUST_200600_302600_NS6detail15normal_iteratorINS9_10device_ptrIiEEEENSB_INSC_IjEEEENSB_INSC_IfEEEEiNS9_4plusIvEENS9_8equal_toIvEEiEE10hipError_tPvRmT2_T3_T4_T5_mT6_T7_P12ihipStream_tbENKUlT_T0_E_clISt17integral_constantIbLb1EES12_IbLb0EEEEDaSY_SZ_EUlSY_E_NS1_11comp_targetILNS1_3genE3ELNS1_11target_archE908ELNS1_3gpuE7ELNS1_3repE0EEENS1_30default_config_static_selectorELNS0_4arch9wavefront6targetE1EEEvT1_
                                        ; -- End function
	.section	.AMDGPU.csdata,"",@progbits
; Kernel info:
; codeLenInByte = 0
; NumSgprs: 4
; NumVgprs: 0
; NumAgprs: 0
; TotalNumVgprs: 0
; ScratchSize: 0
; MemoryBound: 0
; FloatMode: 240
; IeeeMode: 1
; LDSByteSize: 0 bytes/workgroup (compile time only)
; SGPRBlocks: 0
; VGPRBlocks: 0
; NumSGPRsForWavesPerEU: 4
; NumVGPRsForWavesPerEU: 1
; AccumOffset: 4
; Occupancy: 8
; WaveLimiterHint : 0
; COMPUTE_PGM_RSRC2:SCRATCH_EN: 0
; COMPUTE_PGM_RSRC2:USER_SGPR: 6
; COMPUTE_PGM_RSRC2:TRAP_HANDLER: 0
; COMPUTE_PGM_RSRC2:TGID_X_EN: 1
; COMPUTE_PGM_RSRC2:TGID_Y_EN: 0
; COMPUTE_PGM_RSRC2:TGID_Z_EN: 0
; COMPUTE_PGM_RSRC2:TIDIG_COMP_CNT: 0
; COMPUTE_PGM_RSRC3_GFX90A:ACCUM_OFFSET: 0
; COMPUTE_PGM_RSRC3_GFX90A:TG_SPLIT: 0
	.section	.text._ZN7rocprim17ROCPRIM_400000_NS6detail17trampoline_kernelINS0_14default_configENS1_27scan_by_key_config_selectorIiiEEZZNS1_16scan_by_key_implILNS1_25lookback_scan_determinismE0ELb1ES3_N6thrust23THRUST_200600_302600_NS6detail15normal_iteratorINS9_10device_ptrIiEEEENSB_INSC_IjEEEENSB_INSC_IfEEEEiNS9_4plusIvEENS9_8equal_toIvEEiEE10hipError_tPvRmT2_T3_T4_T5_mT6_T7_P12ihipStream_tbENKUlT_T0_E_clISt17integral_constantIbLb1EES12_IbLb0EEEEDaSY_SZ_EUlSY_E_NS1_11comp_targetILNS1_3genE2ELNS1_11target_archE906ELNS1_3gpuE6ELNS1_3repE0EEENS1_30default_config_static_selectorELNS0_4arch9wavefront6targetE1EEEvT1_,"axG",@progbits,_ZN7rocprim17ROCPRIM_400000_NS6detail17trampoline_kernelINS0_14default_configENS1_27scan_by_key_config_selectorIiiEEZZNS1_16scan_by_key_implILNS1_25lookback_scan_determinismE0ELb1ES3_N6thrust23THRUST_200600_302600_NS6detail15normal_iteratorINS9_10device_ptrIiEEEENSB_INSC_IjEEEENSB_INSC_IfEEEEiNS9_4plusIvEENS9_8equal_toIvEEiEE10hipError_tPvRmT2_T3_T4_T5_mT6_T7_P12ihipStream_tbENKUlT_T0_E_clISt17integral_constantIbLb1EES12_IbLb0EEEEDaSY_SZ_EUlSY_E_NS1_11comp_targetILNS1_3genE2ELNS1_11target_archE906ELNS1_3gpuE6ELNS1_3repE0EEENS1_30default_config_static_selectorELNS0_4arch9wavefront6targetE1EEEvT1_,comdat
	.protected	_ZN7rocprim17ROCPRIM_400000_NS6detail17trampoline_kernelINS0_14default_configENS1_27scan_by_key_config_selectorIiiEEZZNS1_16scan_by_key_implILNS1_25lookback_scan_determinismE0ELb1ES3_N6thrust23THRUST_200600_302600_NS6detail15normal_iteratorINS9_10device_ptrIiEEEENSB_INSC_IjEEEENSB_INSC_IfEEEEiNS9_4plusIvEENS9_8equal_toIvEEiEE10hipError_tPvRmT2_T3_T4_T5_mT6_T7_P12ihipStream_tbENKUlT_T0_E_clISt17integral_constantIbLb1EES12_IbLb0EEEEDaSY_SZ_EUlSY_E_NS1_11comp_targetILNS1_3genE2ELNS1_11target_archE906ELNS1_3gpuE6ELNS1_3repE0EEENS1_30default_config_static_selectorELNS0_4arch9wavefront6targetE1EEEvT1_ ; -- Begin function _ZN7rocprim17ROCPRIM_400000_NS6detail17trampoline_kernelINS0_14default_configENS1_27scan_by_key_config_selectorIiiEEZZNS1_16scan_by_key_implILNS1_25lookback_scan_determinismE0ELb1ES3_N6thrust23THRUST_200600_302600_NS6detail15normal_iteratorINS9_10device_ptrIiEEEENSB_INSC_IjEEEENSB_INSC_IfEEEEiNS9_4plusIvEENS9_8equal_toIvEEiEE10hipError_tPvRmT2_T3_T4_T5_mT6_T7_P12ihipStream_tbENKUlT_T0_E_clISt17integral_constantIbLb1EES12_IbLb0EEEEDaSY_SZ_EUlSY_E_NS1_11comp_targetILNS1_3genE2ELNS1_11target_archE906ELNS1_3gpuE6ELNS1_3repE0EEENS1_30default_config_static_selectorELNS0_4arch9wavefront6targetE1EEEvT1_
	.globl	_ZN7rocprim17ROCPRIM_400000_NS6detail17trampoline_kernelINS0_14default_configENS1_27scan_by_key_config_selectorIiiEEZZNS1_16scan_by_key_implILNS1_25lookback_scan_determinismE0ELb1ES3_N6thrust23THRUST_200600_302600_NS6detail15normal_iteratorINS9_10device_ptrIiEEEENSB_INSC_IjEEEENSB_INSC_IfEEEEiNS9_4plusIvEENS9_8equal_toIvEEiEE10hipError_tPvRmT2_T3_T4_T5_mT6_T7_P12ihipStream_tbENKUlT_T0_E_clISt17integral_constantIbLb1EES12_IbLb0EEEEDaSY_SZ_EUlSY_E_NS1_11comp_targetILNS1_3genE2ELNS1_11target_archE906ELNS1_3gpuE6ELNS1_3repE0EEENS1_30default_config_static_selectorELNS0_4arch9wavefront6targetE1EEEvT1_
	.p2align	8
	.type	_ZN7rocprim17ROCPRIM_400000_NS6detail17trampoline_kernelINS0_14default_configENS1_27scan_by_key_config_selectorIiiEEZZNS1_16scan_by_key_implILNS1_25lookback_scan_determinismE0ELb1ES3_N6thrust23THRUST_200600_302600_NS6detail15normal_iteratorINS9_10device_ptrIiEEEENSB_INSC_IjEEEENSB_INSC_IfEEEEiNS9_4plusIvEENS9_8equal_toIvEEiEE10hipError_tPvRmT2_T3_T4_T5_mT6_T7_P12ihipStream_tbENKUlT_T0_E_clISt17integral_constantIbLb1EES12_IbLb0EEEEDaSY_SZ_EUlSY_E_NS1_11comp_targetILNS1_3genE2ELNS1_11target_archE906ELNS1_3gpuE6ELNS1_3repE0EEENS1_30default_config_static_selectorELNS0_4arch9wavefront6targetE1EEEvT1_,@function
_ZN7rocprim17ROCPRIM_400000_NS6detail17trampoline_kernelINS0_14default_configENS1_27scan_by_key_config_selectorIiiEEZZNS1_16scan_by_key_implILNS1_25lookback_scan_determinismE0ELb1ES3_N6thrust23THRUST_200600_302600_NS6detail15normal_iteratorINS9_10device_ptrIiEEEENSB_INSC_IjEEEENSB_INSC_IfEEEEiNS9_4plusIvEENS9_8equal_toIvEEiEE10hipError_tPvRmT2_T3_T4_T5_mT6_T7_P12ihipStream_tbENKUlT_T0_E_clISt17integral_constantIbLb1EES12_IbLb0EEEEDaSY_SZ_EUlSY_E_NS1_11comp_targetILNS1_3genE2ELNS1_11target_archE906ELNS1_3gpuE6ELNS1_3repE0EEENS1_30default_config_static_selectorELNS0_4arch9wavefront6targetE1EEEvT1_: ; @_ZN7rocprim17ROCPRIM_400000_NS6detail17trampoline_kernelINS0_14default_configENS1_27scan_by_key_config_selectorIiiEEZZNS1_16scan_by_key_implILNS1_25lookback_scan_determinismE0ELb1ES3_N6thrust23THRUST_200600_302600_NS6detail15normal_iteratorINS9_10device_ptrIiEEEENSB_INSC_IjEEEENSB_INSC_IfEEEEiNS9_4plusIvEENS9_8equal_toIvEEiEE10hipError_tPvRmT2_T3_T4_T5_mT6_T7_P12ihipStream_tbENKUlT_T0_E_clISt17integral_constantIbLb1EES12_IbLb0EEEEDaSY_SZ_EUlSY_E_NS1_11comp_targetILNS1_3genE2ELNS1_11target_archE906ELNS1_3gpuE6ELNS1_3repE0EEENS1_30default_config_static_selectorELNS0_4arch9wavefront6targetE1EEEvT1_
; %bb.0:
	.section	.rodata,"a",@progbits
	.p2align	6, 0x0
	.amdhsa_kernel _ZN7rocprim17ROCPRIM_400000_NS6detail17trampoline_kernelINS0_14default_configENS1_27scan_by_key_config_selectorIiiEEZZNS1_16scan_by_key_implILNS1_25lookback_scan_determinismE0ELb1ES3_N6thrust23THRUST_200600_302600_NS6detail15normal_iteratorINS9_10device_ptrIiEEEENSB_INSC_IjEEEENSB_INSC_IfEEEEiNS9_4plusIvEENS9_8equal_toIvEEiEE10hipError_tPvRmT2_T3_T4_T5_mT6_T7_P12ihipStream_tbENKUlT_T0_E_clISt17integral_constantIbLb1EES12_IbLb0EEEEDaSY_SZ_EUlSY_E_NS1_11comp_targetILNS1_3genE2ELNS1_11target_archE906ELNS1_3gpuE6ELNS1_3repE0EEENS1_30default_config_static_selectorELNS0_4arch9wavefront6targetE1EEEvT1_
		.amdhsa_group_segment_fixed_size 0
		.amdhsa_private_segment_fixed_size 0
		.amdhsa_kernarg_size 112
		.amdhsa_user_sgpr_count 6
		.amdhsa_user_sgpr_private_segment_buffer 1
		.amdhsa_user_sgpr_dispatch_ptr 0
		.amdhsa_user_sgpr_queue_ptr 0
		.amdhsa_user_sgpr_kernarg_segment_ptr 1
		.amdhsa_user_sgpr_dispatch_id 0
		.amdhsa_user_sgpr_flat_scratch_init 0
		.amdhsa_user_sgpr_kernarg_preload_length 0
		.amdhsa_user_sgpr_kernarg_preload_offset 0
		.amdhsa_user_sgpr_private_segment_size 0
		.amdhsa_uses_dynamic_stack 0
		.amdhsa_system_sgpr_private_segment_wavefront_offset 0
		.amdhsa_system_sgpr_workgroup_id_x 1
		.amdhsa_system_sgpr_workgroup_id_y 0
		.amdhsa_system_sgpr_workgroup_id_z 0
		.amdhsa_system_sgpr_workgroup_info 0
		.amdhsa_system_vgpr_workitem_id 0
		.amdhsa_next_free_vgpr 1
		.amdhsa_next_free_sgpr 0
		.amdhsa_accum_offset 4
		.amdhsa_reserve_vcc 0
		.amdhsa_reserve_flat_scratch 0
		.amdhsa_float_round_mode_32 0
		.amdhsa_float_round_mode_16_64 0
		.amdhsa_float_denorm_mode_32 3
		.amdhsa_float_denorm_mode_16_64 3
		.amdhsa_dx10_clamp 1
		.amdhsa_ieee_mode 1
		.amdhsa_fp16_overflow 0
		.amdhsa_tg_split 0
		.amdhsa_exception_fp_ieee_invalid_op 0
		.amdhsa_exception_fp_denorm_src 0
		.amdhsa_exception_fp_ieee_div_zero 0
		.amdhsa_exception_fp_ieee_overflow 0
		.amdhsa_exception_fp_ieee_underflow 0
		.amdhsa_exception_fp_ieee_inexact 0
		.amdhsa_exception_int_div_zero 0
	.end_amdhsa_kernel
	.section	.text._ZN7rocprim17ROCPRIM_400000_NS6detail17trampoline_kernelINS0_14default_configENS1_27scan_by_key_config_selectorIiiEEZZNS1_16scan_by_key_implILNS1_25lookback_scan_determinismE0ELb1ES3_N6thrust23THRUST_200600_302600_NS6detail15normal_iteratorINS9_10device_ptrIiEEEENSB_INSC_IjEEEENSB_INSC_IfEEEEiNS9_4plusIvEENS9_8equal_toIvEEiEE10hipError_tPvRmT2_T3_T4_T5_mT6_T7_P12ihipStream_tbENKUlT_T0_E_clISt17integral_constantIbLb1EES12_IbLb0EEEEDaSY_SZ_EUlSY_E_NS1_11comp_targetILNS1_3genE2ELNS1_11target_archE906ELNS1_3gpuE6ELNS1_3repE0EEENS1_30default_config_static_selectorELNS0_4arch9wavefront6targetE1EEEvT1_,"axG",@progbits,_ZN7rocprim17ROCPRIM_400000_NS6detail17trampoline_kernelINS0_14default_configENS1_27scan_by_key_config_selectorIiiEEZZNS1_16scan_by_key_implILNS1_25lookback_scan_determinismE0ELb1ES3_N6thrust23THRUST_200600_302600_NS6detail15normal_iteratorINS9_10device_ptrIiEEEENSB_INSC_IjEEEENSB_INSC_IfEEEEiNS9_4plusIvEENS9_8equal_toIvEEiEE10hipError_tPvRmT2_T3_T4_T5_mT6_T7_P12ihipStream_tbENKUlT_T0_E_clISt17integral_constantIbLb1EES12_IbLb0EEEEDaSY_SZ_EUlSY_E_NS1_11comp_targetILNS1_3genE2ELNS1_11target_archE906ELNS1_3gpuE6ELNS1_3repE0EEENS1_30default_config_static_selectorELNS0_4arch9wavefront6targetE1EEEvT1_,comdat
.Lfunc_end1739:
	.size	_ZN7rocprim17ROCPRIM_400000_NS6detail17trampoline_kernelINS0_14default_configENS1_27scan_by_key_config_selectorIiiEEZZNS1_16scan_by_key_implILNS1_25lookback_scan_determinismE0ELb1ES3_N6thrust23THRUST_200600_302600_NS6detail15normal_iteratorINS9_10device_ptrIiEEEENSB_INSC_IjEEEENSB_INSC_IfEEEEiNS9_4plusIvEENS9_8equal_toIvEEiEE10hipError_tPvRmT2_T3_T4_T5_mT6_T7_P12ihipStream_tbENKUlT_T0_E_clISt17integral_constantIbLb1EES12_IbLb0EEEEDaSY_SZ_EUlSY_E_NS1_11comp_targetILNS1_3genE2ELNS1_11target_archE906ELNS1_3gpuE6ELNS1_3repE0EEENS1_30default_config_static_selectorELNS0_4arch9wavefront6targetE1EEEvT1_, .Lfunc_end1739-_ZN7rocprim17ROCPRIM_400000_NS6detail17trampoline_kernelINS0_14default_configENS1_27scan_by_key_config_selectorIiiEEZZNS1_16scan_by_key_implILNS1_25lookback_scan_determinismE0ELb1ES3_N6thrust23THRUST_200600_302600_NS6detail15normal_iteratorINS9_10device_ptrIiEEEENSB_INSC_IjEEEENSB_INSC_IfEEEEiNS9_4plusIvEENS9_8equal_toIvEEiEE10hipError_tPvRmT2_T3_T4_T5_mT6_T7_P12ihipStream_tbENKUlT_T0_E_clISt17integral_constantIbLb1EES12_IbLb0EEEEDaSY_SZ_EUlSY_E_NS1_11comp_targetILNS1_3genE2ELNS1_11target_archE906ELNS1_3gpuE6ELNS1_3repE0EEENS1_30default_config_static_selectorELNS0_4arch9wavefront6targetE1EEEvT1_
                                        ; -- End function
	.section	.AMDGPU.csdata,"",@progbits
; Kernel info:
; codeLenInByte = 0
; NumSgprs: 4
; NumVgprs: 0
; NumAgprs: 0
; TotalNumVgprs: 0
; ScratchSize: 0
; MemoryBound: 0
; FloatMode: 240
; IeeeMode: 1
; LDSByteSize: 0 bytes/workgroup (compile time only)
; SGPRBlocks: 0
; VGPRBlocks: 0
; NumSGPRsForWavesPerEU: 4
; NumVGPRsForWavesPerEU: 1
; AccumOffset: 4
; Occupancy: 8
; WaveLimiterHint : 0
; COMPUTE_PGM_RSRC2:SCRATCH_EN: 0
; COMPUTE_PGM_RSRC2:USER_SGPR: 6
; COMPUTE_PGM_RSRC2:TRAP_HANDLER: 0
; COMPUTE_PGM_RSRC2:TGID_X_EN: 1
; COMPUTE_PGM_RSRC2:TGID_Y_EN: 0
; COMPUTE_PGM_RSRC2:TGID_Z_EN: 0
; COMPUTE_PGM_RSRC2:TIDIG_COMP_CNT: 0
; COMPUTE_PGM_RSRC3_GFX90A:ACCUM_OFFSET: 0
; COMPUTE_PGM_RSRC3_GFX90A:TG_SPLIT: 0
	.section	.text._ZN7rocprim17ROCPRIM_400000_NS6detail17trampoline_kernelINS0_14default_configENS1_27scan_by_key_config_selectorIiiEEZZNS1_16scan_by_key_implILNS1_25lookback_scan_determinismE0ELb1ES3_N6thrust23THRUST_200600_302600_NS6detail15normal_iteratorINS9_10device_ptrIiEEEENSB_INSC_IjEEEENSB_INSC_IfEEEEiNS9_4plusIvEENS9_8equal_toIvEEiEE10hipError_tPvRmT2_T3_T4_T5_mT6_T7_P12ihipStream_tbENKUlT_T0_E_clISt17integral_constantIbLb1EES12_IbLb0EEEEDaSY_SZ_EUlSY_E_NS1_11comp_targetILNS1_3genE10ELNS1_11target_archE1200ELNS1_3gpuE4ELNS1_3repE0EEENS1_30default_config_static_selectorELNS0_4arch9wavefront6targetE1EEEvT1_,"axG",@progbits,_ZN7rocprim17ROCPRIM_400000_NS6detail17trampoline_kernelINS0_14default_configENS1_27scan_by_key_config_selectorIiiEEZZNS1_16scan_by_key_implILNS1_25lookback_scan_determinismE0ELb1ES3_N6thrust23THRUST_200600_302600_NS6detail15normal_iteratorINS9_10device_ptrIiEEEENSB_INSC_IjEEEENSB_INSC_IfEEEEiNS9_4plusIvEENS9_8equal_toIvEEiEE10hipError_tPvRmT2_T3_T4_T5_mT6_T7_P12ihipStream_tbENKUlT_T0_E_clISt17integral_constantIbLb1EES12_IbLb0EEEEDaSY_SZ_EUlSY_E_NS1_11comp_targetILNS1_3genE10ELNS1_11target_archE1200ELNS1_3gpuE4ELNS1_3repE0EEENS1_30default_config_static_selectorELNS0_4arch9wavefront6targetE1EEEvT1_,comdat
	.protected	_ZN7rocprim17ROCPRIM_400000_NS6detail17trampoline_kernelINS0_14default_configENS1_27scan_by_key_config_selectorIiiEEZZNS1_16scan_by_key_implILNS1_25lookback_scan_determinismE0ELb1ES3_N6thrust23THRUST_200600_302600_NS6detail15normal_iteratorINS9_10device_ptrIiEEEENSB_INSC_IjEEEENSB_INSC_IfEEEEiNS9_4plusIvEENS9_8equal_toIvEEiEE10hipError_tPvRmT2_T3_T4_T5_mT6_T7_P12ihipStream_tbENKUlT_T0_E_clISt17integral_constantIbLb1EES12_IbLb0EEEEDaSY_SZ_EUlSY_E_NS1_11comp_targetILNS1_3genE10ELNS1_11target_archE1200ELNS1_3gpuE4ELNS1_3repE0EEENS1_30default_config_static_selectorELNS0_4arch9wavefront6targetE1EEEvT1_ ; -- Begin function _ZN7rocprim17ROCPRIM_400000_NS6detail17trampoline_kernelINS0_14default_configENS1_27scan_by_key_config_selectorIiiEEZZNS1_16scan_by_key_implILNS1_25lookback_scan_determinismE0ELb1ES3_N6thrust23THRUST_200600_302600_NS6detail15normal_iteratorINS9_10device_ptrIiEEEENSB_INSC_IjEEEENSB_INSC_IfEEEEiNS9_4plusIvEENS9_8equal_toIvEEiEE10hipError_tPvRmT2_T3_T4_T5_mT6_T7_P12ihipStream_tbENKUlT_T0_E_clISt17integral_constantIbLb1EES12_IbLb0EEEEDaSY_SZ_EUlSY_E_NS1_11comp_targetILNS1_3genE10ELNS1_11target_archE1200ELNS1_3gpuE4ELNS1_3repE0EEENS1_30default_config_static_selectorELNS0_4arch9wavefront6targetE1EEEvT1_
	.globl	_ZN7rocprim17ROCPRIM_400000_NS6detail17trampoline_kernelINS0_14default_configENS1_27scan_by_key_config_selectorIiiEEZZNS1_16scan_by_key_implILNS1_25lookback_scan_determinismE0ELb1ES3_N6thrust23THRUST_200600_302600_NS6detail15normal_iteratorINS9_10device_ptrIiEEEENSB_INSC_IjEEEENSB_INSC_IfEEEEiNS9_4plusIvEENS9_8equal_toIvEEiEE10hipError_tPvRmT2_T3_T4_T5_mT6_T7_P12ihipStream_tbENKUlT_T0_E_clISt17integral_constantIbLb1EES12_IbLb0EEEEDaSY_SZ_EUlSY_E_NS1_11comp_targetILNS1_3genE10ELNS1_11target_archE1200ELNS1_3gpuE4ELNS1_3repE0EEENS1_30default_config_static_selectorELNS0_4arch9wavefront6targetE1EEEvT1_
	.p2align	8
	.type	_ZN7rocprim17ROCPRIM_400000_NS6detail17trampoline_kernelINS0_14default_configENS1_27scan_by_key_config_selectorIiiEEZZNS1_16scan_by_key_implILNS1_25lookback_scan_determinismE0ELb1ES3_N6thrust23THRUST_200600_302600_NS6detail15normal_iteratorINS9_10device_ptrIiEEEENSB_INSC_IjEEEENSB_INSC_IfEEEEiNS9_4plusIvEENS9_8equal_toIvEEiEE10hipError_tPvRmT2_T3_T4_T5_mT6_T7_P12ihipStream_tbENKUlT_T0_E_clISt17integral_constantIbLb1EES12_IbLb0EEEEDaSY_SZ_EUlSY_E_NS1_11comp_targetILNS1_3genE10ELNS1_11target_archE1200ELNS1_3gpuE4ELNS1_3repE0EEENS1_30default_config_static_selectorELNS0_4arch9wavefront6targetE1EEEvT1_,@function
_ZN7rocprim17ROCPRIM_400000_NS6detail17trampoline_kernelINS0_14default_configENS1_27scan_by_key_config_selectorIiiEEZZNS1_16scan_by_key_implILNS1_25lookback_scan_determinismE0ELb1ES3_N6thrust23THRUST_200600_302600_NS6detail15normal_iteratorINS9_10device_ptrIiEEEENSB_INSC_IjEEEENSB_INSC_IfEEEEiNS9_4plusIvEENS9_8equal_toIvEEiEE10hipError_tPvRmT2_T3_T4_T5_mT6_T7_P12ihipStream_tbENKUlT_T0_E_clISt17integral_constantIbLb1EES12_IbLb0EEEEDaSY_SZ_EUlSY_E_NS1_11comp_targetILNS1_3genE10ELNS1_11target_archE1200ELNS1_3gpuE4ELNS1_3repE0EEENS1_30default_config_static_selectorELNS0_4arch9wavefront6targetE1EEEvT1_: ; @_ZN7rocprim17ROCPRIM_400000_NS6detail17trampoline_kernelINS0_14default_configENS1_27scan_by_key_config_selectorIiiEEZZNS1_16scan_by_key_implILNS1_25lookback_scan_determinismE0ELb1ES3_N6thrust23THRUST_200600_302600_NS6detail15normal_iteratorINS9_10device_ptrIiEEEENSB_INSC_IjEEEENSB_INSC_IfEEEEiNS9_4plusIvEENS9_8equal_toIvEEiEE10hipError_tPvRmT2_T3_T4_T5_mT6_T7_P12ihipStream_tbENKUlT_T0_E_clISt17integral_constantIbLb1EES12_IbLb0EEEEDaSY_SZ_EUlSY_E_NS1_11comp_targetILNS1_3genE10ELNS1_11target_archE1200ELNS1_3gpuE4ELNS1_3repE0EEENS1_30default_config_static_selectorELNS0_4arch9wavefront6targetE1EEEvT1_
; %bb.0:
	.section	.rodata,"a",@progbits
	.p2align	6, 0x0
	.amdhsa_kernel _ZN7rocprim17ROCPRIM_400000_NS6detail17trampoline_kernelINS0_14default_configENS1_27scan_by_key_config_selectorIiiEEZZNS1_16scan_by_key_implILNS1_25lookback_scan_determinismE0ELb1ES3_N6thrust23THRUST_200600_302600_NS6detail15normal_iteratorINS9_10device_ptrIiEEEENSB_INSC_IjEEEENSB_INSC_IfEEEEiNS9_4plusIvEENS9_8equal_toIvEEiEE10hipError_tPvRmT2_T3_T4_T5_mT6_T7_P12ihipStream_tbENKUlT_T0_E_clISt17integral_constantIbLb1EES12_IbLb0EEEEDaSY_SZ_EUlSY_E_NS1_11comp_targetILNS1_3genE10ELNS1_11target_archE1200ELNS1_3gpuE4ELNS1_3repE0EEENS1_30default_config_static_selectorELNS0_4arch9wavefront6targetE1EEEvT1_
		.amdhsa_group_segment_fixed_size 0
		.amdhsa_private_segment_fixed_size 0
		.amdhsa_kernarg_size 112
		.amdhsa_user_sgpr_count 6
		.amdhsa_user_sgpr_private_segment_buffer 1
		.amdhsa_user_sgpr_dispatch_ptr 0
		.amdhsa_user_sgpr_queue_ptr 0
		.amdhsa_user_sgpr_kernarg_segment_ptr 1
		.amdhsa_user_sgpr_dispatch_id 0
		.amdhsa_user_sgpr_flat_scratch_init 0
		.amdhsa_user_sgpr_kernarg_preload_length 0
		.amdhsa_user_sgpr_kernarg_preload_offset 0
		.amdhsa_user_sgpr_private_segment_size 0
		.amdhsa_uses_dynamic_stack 0
		.amdhsa_system_sgpr_private_segment_wavefront_offset 0
		.amdhsa_system_sgpr_workgroup_id_x 1
		.amdhsa_system_sgpr_workgroup_id_y 0
		.amdhsa_system_sgpr_workgroup_id_z 0
		.amdhsa_system_sgpr_workgroup_info 0
		.amdhsa_system_vgpr_workitem_id 0
		.amdhsa_next_free_vgpr 1
		.amdhsa_next_free_sgpr 0
		.amdhsa_accum_offset 4
		.amdhsa_reserve_vcc 0
		.amdhsa_reserve_flat_scratch 0
		.amdhsa_float_round_mode_32 0
		.amdhsa_float_round_mode_16_64 0
		.amdhsa_float_denorm_mode_32 3
		.amdhsa_float_denorm_mode_16_64 3
		.amdhsa_dx10_clamp 1
		.amdhsa_ieee_mode 1
		.amdhsa_fp16_overflow 0
		.amdhsa_tg_split 0
		.amdhsa_exception_fp_ieee_invalid_op 0
		.amdhsa_exception_fp_denorm_src 0
		.amdhsa_exception_fp_ieee_div_zero 0
		.amdhsa_exception_fp_ieee_overflow 0
		.amdhsa_exception_fp_ieee_underflow 0
		.amdhsa_exception_fp_ieee_inexact 0
		.amdhsa_exception_int_div_zero 0
	.end_amdhsa_kernel
	.section	.text._ZN7rocprim17ROCPRIM_400000_NS6detail17trampoline_kernelINS0_14default_configENS1_27scan_by_key_config_selectorIiiEEZZNS1_16scan_by_key_implILNS1_25lookback_scan_determinismE0ELb1ES3_N6thrust23THRUST_200600_302600_NS6detail15normal_iteratorINS9_10device_ptrIiEEEENSB_INSC_IjEEEENSB_INSC_IfEEEEiNS9_4plusIvEENS9_8equal_toIvEEiEE10hipError_tPvRmT2_T3_T4_T5_mT6_T7_P12ihipStream_tbENKUlT_T0_E_clISt17integral_constantIbLb1EES12_IbLb0EEEEDaSY_SZ_EUlSY_E_NS1_11comp_targetILNS1_3genE10ELNS1_11target_archE1200ELNS1_3gpuE4ELNS1_3repE0EEENS1_30default_config_static_selectorELNS0_4arch9wavefront6targetE1EEEvT1_,"axG",@progbits,_ZN7rocprim17ROCPRIM_400000_NS6detail17trampoline_kernelINS0_14default_configENS1_27scan_by_key_config_selectorIiiEEZZNS1_16scan_by_key_implILNS1_25lookback_scan_determinismE0ELb1ES3_N6thrust23THRUST_200600_302600_NS6detail15normal_iteratorINS9_10device_ptrIiEEEENSB_INSC_IjEEEENSB_INSC_IfEEEEiNS9_4plusIvEENS9_8equal_toIvEEiEE10hipError_tPvRmT2_T3_T4_T5_mT6_T7_P12ihipStream_tbENKUlT_T0_E_clISt17integral_constantIbLb1EES12_IbLb0EEEEDaSY_SZ_EUlSY_E_NS1_11comp_targetILNS1_3genE10ELNS1_11target_archE1200ELNS1_3gpuE4ELNS1_3repE0EEENS1_30default_config_static_selectorELNS0_4arch9wavefront6targetE1EEEvT1_,comdat
.Lfunc_end1740:
	.size	_ZN7rocprim17ROCPRIM_400000_NS6detail17trampoline_kernelINS0_14default_configENS1_27scan_by_key_config_selectorIiiEEZZNS1_16scan_by_key_implILNS1_25lookback_scan_determinismE0ELb1ES3_N6thrust23THRUST_200600_302600_NS6detail15normal_iteratorINS9_10device_ptrIiEEEENSB_INSC_IjEEEENSB_INSC_IfEEEEiNS9_4plusIvEENS9_8equal_toIvEEiEE10hipError_tPvRmT2_T3_T4_T5_mT6_T7_P12ihipStream_tbENKUlT_T0_E_clISt17integral_constantIbLb1EES12_IbLb0EEEEDaSY_SZ_EUlSY_E_NS1_11comp_targetILNS1_3genE10ELNS1_11target_archE1200ELNS1_3gpuE4ELNS1_3repE0EEENS1_30default_config_static_selectorELNS0_4arch9wavefront6targetE1EEEvT1_, .Lfunc_end1740-_ZN7rocprim17ROCPRIM_400000_NS6detail17trampoline_kernelINS0_14default_configENS1_27scan_by_key_config_selectorIiiEEZZNS1_16scan_by_key_implILNS1_25lookback_scan_determinismE0ELb1ES3_N6thrust23THRUST_200600_302600_NS6detail15normal_iteratorINS9_10device_ptrIiEEEENSB_INSC_IjEEEENSB_INSC_IfEEEEiNS9_4plusIvEENS9_8equal_toIvEEiEE10hipError_tPvRmT2_T3_T4_T5_mT6_T7_P12ihipStream_tbENKUlT_T0_E_clISt17integral_constantIbLb1EES12_IbLb0EEEEDaSY_SZ_EUlSY_E_NS1_11comp_targetILNS1_3genE10ELNS1_11target_archE1200ELNS1_3gpuE4ELNS1_3repE0EEENS1_30default_config_static_selectorELNS0_4arch9wavefront6targetE1EEEvT1_
                                        ; -- End function
	.section	.AMDGPU.csdata,"",@progbits
; Kernel info:
; codeLenInByte = 0
; NumSgprs: 4
; NumVgprs: 0
; NumAgprs: 0
; TotalNumVgprs: 0
; ScratchSize: 0
; MemoryBound: 0
; FloatMode: 240
; IeeeMode: 1
; LDSByteSize: 0 bytes/workgroup (compile time only)
; SGPRBlocks: 0
; VGPRBlocks: 0
; NumSGPRsForWavesPerEU: 4
; NumVGPRsForWavesPerEU: 1
; AccumOffset: 4
; Occupancy: 8
; WaveLimiterHint : 0
; COMPUTE_PGM_RSRC2:SCRATCH_EN: 0
; COMPUTE_PGM_RSRC2:USER_SGPR: 6
; COMPUTE_PGM_RSRC2:TRAP_HANDLER: 0
; COMPUTE_PGM_RSRC2:TGID_X_EN: 1
; COMPUTE_PGM_RSRC2:TGID_Y_EN: 0
; COMPUTE_PGM_RSRC2:TGID_Z_EN: 0
; COMPUTE_PGM_RSRC2:TIDIG_COMP_CNT: 0
; COMPUTE_PGM_RSRC3_GFX90A:ACCUM_OFFSET: 0
; COMPUTE_PGM_RSRC3_GFX90A:TG_SPLIT: 0
	.section	.text._ZN7rocprim17ROCPRIM_400000_NS6detail17trampoline_kernelINS0_14default_configENS1_27scan_by_key_config_selectorIiiEEZZNS1_16scan_by_key_implILNS1_25lookback_scan_determinismE0ELb1ES3_N6thrust23THRUST_200600_302600_NS6detail15normal_iteratorINS9_10device_ptrIiEEEENSB_INSC_IjEEEENSB_INSC_IfEEEEiNS9_4plusIvEENS9_8equal_toIvEEiEE10hipError_tPvRmT2_T3_T4_T5_mT6_T7_P12ihipStream_tbENKUlT_T0_E_clISt17integral_constantIbLb1EES12_IbLb0EEEEDaSY_SZ_EUlSY_E_NS1_11comp_targetILNS1_3genE9ELNS1_11target_archE1100ELNS1_3gpuE3ELNS1_3repE0EEENS1_30default_config_static_selectorELNS0_4arch9wavefront6targetE1EEEvT1_,"axG",@progbits,_ZN7rocprim17ROCPRIM_400000_NS6detail17trampoline_kernelINS0_14default_configENS1_27scan_by_key_config_selectorIiiEEZZNS1_16scan_by_key_implILNS1_25lookback_scan_determinismE0ELb1ES3_N6thrust23THRUST_200600_302600_NS6detail15normal_iteratorINS9_10device_ptrIiEEEENSB_INSC_IjEEEENSB_INSC_IfEEEEiNS9_4plusIvEENS9_8equal_toIvEEiEE10hipError_tPvRmT2_T3_T4_T5_mT6_T7_P12ihipStream_tbENKUlT_T0_E_clISt17integral_constantIbLb1EES12_IbLb0EEEEDaSY_SZ_EUlSY_E_NS1_11comp_targetILNS1_3genE9ELNS1_11target_archE1100ELNS1_3gpuE3ELNS1_3repE0EEENS1_30default_config_static_selectorELNS0_4arch9wavefront6targetE1EEEvT1_,comdat
	.protected	_ZN7rocprim17ROCPRIM_400000_NS6detail17trampoline_kernelINS0_14default_configENS1_27scan_by_key_config_selectorIiiEEZZNS1_16scan_by_key_implILNS1_25lookback_scan_determinismE0ELb1ES3_N6thrust23THRUST_200600_302600_NS6detail15normal_iteratorINS9_10device_ptrIiEEEENSB_INSC_IjEEEENSB_INSC_IfEEEEiNS9_4plusIvEENS9_8equal_toIvEEiEE10hipError_tPvRmT2_T3_T4_T5_mT6_T7_P12ihipStream_tbENKUlT_T0_E_clISt17integral_constantIbLb1EES12_IbLb0EEEEDaSY_SZ_EUlSY_E_NS1_11comp_targetILNS1_3genE9ELNS1_11target_archE1100ELNS1_3gpuE3ELNS1_3repE0EEENS1_30default_config_static_selectorELNS0_4arch9wavefront6targetE1EEEvT1_ ; -- Begin function _ZN7rocprim17ROCPRIM_400000_NS6detail17trampoline_kernelINS0_14default_configENS1_27scan_by_key_config_selectorIiiEEZZNS1_16scan_by_key_implILNS1_25lookback_scan_determinismE0ELb1ES3_N6thrust23THRUST_200600_302600_NS6detail15normal_iteratorINS9_10device_ptrIiEEEENSB_INSC_IjEEEENSB_INSC_IfEEEEiNS9_4plusIvEENS9_8equal_toIvEEiEE10hipError_tPvRmT2_T3_T4_T5_mT6_T7_P12ihipStream_tbENKUlT_T0_E_clISt17integral_constantIbLb1EES12_IbLb0EEEEDaSY_SZ_EUlSY_E_NS1_11comp_targetILNS1_3genE9ELNS1_11target_archE1100ELNS1_3gpuE3ELNS1_3repE0EEENS1_30default_config_static_selectorELNS0_4arch9wavefront6targetE1EEEvT1_
	.globl	_ZN7rocprim17ROCPRIM_400000_NS6detail17trampoline_kernelINS0_14default_configENS1_27scan_by_key_config_selectorIiiEEZZNS1_16scan_by_key_implILNS1_25lookback_scan_determinismE0ELb1ES3_N6thrust23THRUST_200600_302600_NS6detail15normal_iteratorINS9_10device_ptrIiEEEENSB_INSC_IjEEEENSB_INSC_IfEEEEiNS9_4plusIvEENS9_8equal_toIvEEiEE10hipError_tPvRmT2_T3_T4_T5_mT6_T7_P12ihipStream_tbENKUlT_T0_E_clISt17integral_constantIbLb1EES12_IbLb0EEEEDaSY_SZ_EUlSY_E_NS1_11comp_targetILNS1_3genE9ELNS1_11target_archE1100ELNS1_3gpuE3ELNS1_3repE0EEENS1_30default_config_static_selectorELNS0_4arch9wavefront6targetE1EEEvT1_
	.p2align	8
	.type	_ZN7rocprim17ROCPRIM_400000_NS6detail17trampoline_kernelINS0_14default_configENS1_27scan_by_key_config_selectorIiiEEZZNS1_16scan_by_key_implILNS1_25lookback_scan_determinismE0ELb1ES3_N6thrust23THRUST_200600_302600_NS6detail15normal_iteratorINS9_10device_ptrIiEEEENSB_INSC_IjEEEENSB_INSC_IfEEEEiNS9_4plusIvEENS9_8equal_toIvEEiEE10hipError_tPvRmT2_T3_T4_T5_mT6_T7_P12ihipStream_tbENKUlT_T0_E_clISt17integral_constantIbLb1EES12_IbLb0EEEEDaSY_SZ_EUlSY_E_NS1_11comp_targetILNS1_3genE9ELNS1_11target_archE1100ELNS1_3gpuE3ELNS1_3repE0EEENS1_30default_config_static_selectorELNS0_4arch9wavefront6targetE1EEEvT1_,@function
_ZN7rocprim17ROCPRIM_400000_NS6detail17trampoline_kernelINS0_14default_configENS1_27scan_by_key_config_selectorIiiEEZZNS1_16scan_by_key_implILNS1_25lookback_scan_determinismE0ELb1ES3_N6thrust23THRUST_200600_302600_NS6detail15normal_iteratorINS9_10device_ptrIiEEEENSB_INSC_IjEEEENSB_INSC_IfEEEEiNS9_4plusIvEENS9_8equal_toIvEEiEE10hipError_tPvRmT2_T3_T4_T5_mT6_T7_P12ihipStream_tbENKUlT_T0_E_clISt17integral_constantIbLb1EES12_IbLb0EEEEDaSY_SZ_EUlSY_E_NS1_11comp_targetILNS1_3genE9ELNS1_11target_archE1100ELNS1_3gpuE3ELNS1_3repE0EEENS1_30default_config_static_selectorELNS0_4arch9wavefront6targetE1EEEvT1_: ; @_ZN7rocprim17ROCPRIM_400000_NS6detail17trampoline_kernelINS0_14default_configENS1_27scan_by_key_config_selectorIiiEEZZNS1_16scan_by_key_implILNS1_25lookback_scan_determinismE0ELb1ES3_N6thrust23THRUST_200600_302600_NS6detail15normal_iteratorINS9_10device_ptrIiEEEENSB_INSC_IjEEEENSB_INSC_IfEEEEiNS9_4plusIvEENS9_8equal_toIvEEiEE10hipError_tPvRmT2_T3_T4_T5_mT6_T7_P12ihipStream_tbENKUlT_T0_E_clISt17integral_constantIbLb1EES12_IbLb0EEEEDaSY_SZ_EUlSY_E_NS1_11comp_targetILNS1_3genE9ELNS1_11target_archE1100ELNS1_3gpuE3ELNS1_3repE0EEENS1_30default_config_static_selectorELNS0_4arch9wavefront6targetE1EEEvT1_
; %bb.0:
	.section	.rodata,"a",@progbits
	.p2align	6, 0x0
	.amdhsa_kernel _ZN7rocprim17ROCPRIM_400000_NS6detail17trampoline_kernelINS0_14default_configENS1_27scan_by_key_config_selectorIiiEEZZNS1_16scan_by_key_implILNS1_25lookback_scan_determinismE0ELb1ES3_N6thrust23THRUST_200600_302600_NS6detail15normal_iteratorINS9_10device_ptrIiEEEENSB_INSC_IjEEEENSB_INSC_IfEEEEiNS9_4plusIvEENS9_8equal_toIvEEiEE10hipError_tPvRmT2_T3_T4_T5_mT6_T7_P12ihipStream_tbENKUlT_T0_E_clISt17integral_constantIbLb1EES12_IbLb0EEEEDaSY_SZ_EUlSY_E_NS1_11comp_targetILNS1_3genE9ELNS1_11target_archE1100ELNS1_3gpuE3ELNS1_3repE0EEENS1_30default_config_static_selectorELNS0_4arch9wavefront6targetE1EEEvT1_
		.amdhsa_group_segment_fixed_size 0
		.amdhsa_private_segment_fixed_size 0
		.amdhsa_kernarg_size 112
		.amdhsa_user_sgpr_count 6
		.amdhsa_user_sgpr_private_segment_buffer 1
		.amdhsa_user_sgpr_dispatch_ptr 0
		.amdhsa_user_sgpr_queue_ptr 0
		.amdhsa_user_sgpr_kernarg_segment_ptr 1
		.amdhsa_user_sgpr_dispatch_id 0
		.amdhsa_user_sgpr_flat_scratch_init 0
		.amdhsa_user_sgpr_kernarg_preload_length 0
		.amdhsa_user_sgpr_kernarg_preload_offset 0
		.amdhsa_user_sgpr_private_segment_size 0
		.amdhsa_uses_dynamic_stack 0
		.amdhsa_system_sgpr_private_segment_wavefront_offset 0
		.amdhsa_system_sgpr_workgroup_id_x 1
		.amdhsa_system_sgpr_workgroup_id_y 0
		.amdhsa_system_sgpr_workgroup_id_z 0
		.amdhsa_system_sgpr_workgroup_info 0
		.amdhsa_system_vgpr_workitem_id 0
		.amdhsa_next_free_vgpr 1
		.amdhsa_next_free_sgpr 0
		.amdhsa_accum_offset 4
		.amdhsa_reserve_vcc 0
		.amdhsa_reserve_flat_scratch 0
		.amdhsa_float_round_mode_32 0
		.amdhsa_float_round_mode_16_64 0
		.amdhsa_float_denorm_mode_32 3
		.amdhsa_float_denorm_mode_16_64 3
		.amdhsa_dx10_clamp 1
		.amdhsa_ieee_mode 1
		.amdhsa_fp16_overflow 0
		.amdhsa_tg_split 0
		.amdhsa_exception_fp_ieee_invalid_op 0
		.amdhsa_exception_fp_denorm_src 0
		.amdhsa_exception_fp_ieee_div_zero 0
		.amdhsa_exception_fp_ieee_overflow 0
		.amdhsa_exception_fp_ieee_underflow 0
		.amdhsa_exception_fp_ieee_inexact 0
		.amdhsa_exception_int_div_zero 0
	.end_amdhsa_kernel
	.section	.text._ZN7rocprim17ROCPRIM_400000_NS6detail17trampoline_kernelINS0_14default_configENS1_27scan_by_key_config_selectorIiiEEZZNS1_16scan_by_key_implILNS1_25lookback_scan_determinismE0ELb1ES3_N6thrust23THRUST_200600_302600_NS6detail15normal_iteratorINS9_10device_ptrIiEEEENSB_INSC_IjEEEENSB_INSC_IfEEEEiNS9_4plusIvEENS9_8equal_toIvEEiEE10hipError_tPvRmT2_T3_T4_T5_mT6_T7_P12ihipStream_tbENKUlT_T0_E_clISt17integral_constantIbLb1EES12_IbLb0EEEEDaSY_SZ_EUlSY_E_NS1_11comp_targetILNS1_3genE9ELNS1_11target_archE1100ELNS1_3gpuE3ELNS1_3repE0EEENS1_30default_config_static_selectorELNS0_4arch9wavefront6targetE1EEEvT1_,"axG",@progbits,_ZN7rocprim17ROCPRIM_400000_NS6detail17trampoline_kernelINS0_14default_configENS1_27scan_by_key_config_selectorIiiEEZZNS1_16scan_by_key_implILNS1_25lookback_scan_determinismE0ELb1ES3_N6thrust23THRUST_200600_302600_NS6detail15normal_iteratorINS9_10device_ptrIiEEEENSB_INSC_IjEEEENSB_INSC_IfEEEEiNS9_4plusIvEENS9_8equal_toIvEEiEE10hipError_tPvRmT2_T3_T4_T5_mT6_T7_P12ihipStream_tbENKUlT_T0_E_clISt17integral_constantIbLb1EES12_IbLb0EEEEDaSY_SZ_EUlSY_E_NS1_11comp_targetILNS1_3genE9ELNS1_11target_archE1100ELNS1_3gpuE3ELNS1_3repE0EEENS1_30default_config_static_selectorELNS0_4arch9wavefront6targetE1EEEvT1_,comdat
.Lfunc_end1741:
	.size	_ZN7rocprim17ROCPRIM_400000_NS6detail17trampoline_kernelINS0_14default_configENS1_27scan_by_key_config_selectorIiiEEZZNS1_16scan_by_key_implILNS1_25lookback_scan_determinismE0ELb1ES3_N6thrust23THRUST_200600_302600_NS6detail15normal_iteratorINS9_10device_ptrIiEEEENSB_INSC_IjEEEENSB_INSC_IfEEEEiNS9_4plusIvEENS9_8equal_toIvEEiEE10hipError_tPvRmT2_T3_T4_T5_mT6_T7_P12ihipStream_tbENKUlT_T0_E_clISt17integral_constantIbLb1EES12_IbLb0EEEEDaSY_SZ_EUlSY_E_NS1_11comp_targetILNS1_3genE9ELNS1_11target_archE1100ELNS1_3gpuE3ELNS1_3repE0EEENS1_30default_config_static_selectorELNS0_4arch9wavefront6targetE1EEEvT1_, .Lfunc_end1741-_ZN7rocprim17ROCPRIM_400000_NS6detail17trampoline_kernelINS0_14default_configENS1_27scan_by_key_config_selectorIiiEEZZNS1_16scan_by_key_implILNS1_25lookback_scan_determinismE0ELb1ES3_N6thrust23THRUST_200600_302600_NS6detail15normal_iteratorINS9_10device_ptrIiEEEENSB_INSC_IjEEEENSB_INSC_IfEEEEiNS9_4plusIvEENS9_8equal_toIvEEiEE10hipError_tPvRmT2_T3_T4_T5_mT6_T7_P12ihipStream_tbENKUlT_T0_E_clISt17integral_constantIbLb1EES12_IbLb0EEEEDaSY_SZ_EUlSY_E_NS1_11comp_targetILNS1_3genE9ELNS1_11target_archE1100ELNS1_3gpuE3ELNS1_3repE0EEENS1_30default_config_static_selectorELNS0_4arch9wavefront6targetE1EEEvT1_
                                        ; -- End function
	.section	.AMDGPU.csdata,"",@progbits
; Kernel info:
; codeLenInByte = 0
; NumSgprs: 4
; NumVgprs: 0
; NumAgprs: 0
; TotalNumVgprs: 0
; ScratchSize: 0
; MemoryBound: 0
; FloatMode: 240
; IeeeMode: 1
; LDSByteSize: 0 bytes/workgroup (compile time only)
; SGPRBlocks: 0
; VGPRBlocks: 0
; NumSGPRsForWavesPerEU: 4
; NumVGPRsForWavesPerEU: 1
; AccumOffset: 4
; Occupancy: 8
; WaveLimiterHint : 0
; COMPUTE_PGM_RSRC2:SCRATCH_EN: 0
; COMPUTE_PGM_RSRC2:USER_SGPR: 6
; COMPUTE_PGM_RSRC2:TRAP_HANDLER: 0
; COMPUTE_PGM_RSRC2:TGID_X_EN: 1
; COMPUTE_PGM_RSRC2:TGID_Y_EN: 0
; COMPUTE_PGM_RSRC2:TGID_Z_EN: 0
; COMPUTE_PGM_RSRC2:TIDIG_COMP_CNT: 0
; COMPUTE_PGM_RSRC3_GFX90A:ACCUM_OFFSET: 0
; COMPUTE_PGM_RSRC3_GFX90A:TG_SPLIT: 0
	.section	.text._ZN7rocprim17ROCPRIM_400000_NS6detail17trampoline_kernelINS0_14default_configENS1_27scan_by_key_config_selectorIiiEEZZNS1_16scan_by_key_implILNS1_25lookback_scan_determinismE0ELb1ES3_N6thrust23THRUST_200600_302600_NS6detail15normal_iteratorINS9_10device_ptrIiEEEENSB_INSC_IjEEEENSB_INSC_IfEEEEiNS9_4plusIvEENS9_8equal_toIvEEiEE10hipError_tPvRmT2_T3_T4_T5_mT6_T7_P12ihipStream_tbENKUlT_T0_E_clISt17integral_constantIbLb1EES12_IbLb0EEEEDaSY_SZ_EUlSY_E_NS1_11comp_targetILNS1_3genE8ELNS1_11target_archE1030ELNS1_3gpuE2ELNS1_3repE0EEENS1_30default_config_static_selectorELNS0_4arch9wavefront6targetE1EEEvT1_,"axG",@progbits,_ZN7rocprim17ROCPRIM_400000_NS6detail17trampoline_kernelINS0_14default_configENS1_27scan_by_key_config_selectorIiiEEZZNS1_16scan_by_key_implILNS1_25lookback_scan_determinismE0ELb1ES3_N6thrust23THRUST_200600_302600_NS6detail15normal_iteratorINS9_10device_ptrIiEEEENSB_INSC_IjEEEENSB_INSC_IfEEEEiNS9_4plusIvEENS9_8equal_toIvEEiEE10hipError_tPvRmT2_T3_T4_T5_mT6_T7_P12ihipStream_tbENKUlT_T0_E_clISt17integral_constantIbLb1EES12_IbLb0EEEEDaSY_SZ_EUlSY_E_NS1_11comp_targetILNS1_3genE8ELNS1_11target_archE1030ELNS1_3gpuE2ELNS1_3repE0EEENS1_30default_config_static_selectorELNS0_4arch9wavefront6targetE1EEEvT1_,comdat
	.protected	_ZN7rocprim17ROCPRIM_400000_NS6detail17trampoline_kernelINS0_14default_configENS1_27scan_by_key_config_selectorIiiEEZZNS1_16scan_by_key_implILNS1_25lookback_scan_determinismE0ELb1ES3_N6thrust23THRUST_200600_302600_NS6detail15normal_iteratorINS9_10device_ptrIiEEEENSB_INSC_IjEEEENSB_INSC_IfEEEEiNS9_4plusIvEENS9_8equal_toIvEEiEE10hipError_tPvRmT2_T3_T4_T5_mT6_T7_P12ihipStream_tbENKUlT_T0_E_clISt17integral_constantIbLb1EES12_IbLb0EEEEDaSY_SZ_EUlSY_E_NS1_11comp_targetILNS1_3genE8ELNS1_11target_archE1030ELNS1_3gpuE2ELNS1_3repE0EEENS1_30default_config_static_selectorELNS0_4arch9wavefront6targetE1EEEvT1_ ; -- Begin function _ZN7rocprim17ROCPRIM_400000_NS6detail17trampoline_kernelINS0_14default_configENS1_27scan_by_key_config_selectorIiiEEZZNS1_16scan_by_key_implILNS1_25lookback_scan_determinismE0ELb1ES3_N6thrust23THRUST_200600_302600_NS6detail15normal_iteratorINS9_10device_ptrIiEEEENSB_INSC_IjEEEENSB_INSC_IfEEEEiNS9_4plusIvEENS9_8equal_toIvEEiEE10hipError_tPvRmT2_T3_T4_T5_mT6_T7_P12ihipStream_tbENKUlT_T0_E_clISt17integral_constantIbLb1EES12_IbLb0EEEEDaSY_SZ_EUlSY_E_NS1_11comp_targetILNS1_3genE8ELNS1_11target_archE1030ELNS1_3gpuE2ELNS1_3repE0EEENS1_30default_config_static_selectorELNS0_4arch9wavefront6targetE1EEEvT1_
	.globl	_ZN7rocprim17ROCPRIM_400000_NS6detail17trampoline_kernelINS0_14default_configENS1_27scan_by_key_config_selectorIiiEEZZNS1_16scan_by_key_implILNS1_25lookback_scan_determinismE0ELb1ES3_N6thrust23THRUST_200600_302600_NS6detail15normal_iteratorINS9_10device_ptrIiEEEENSB_INSC_IjEEEENSB_INSC_IfEEEEiNS9_4plusIvEENS9_8equal_toIvEEiEE10hipError_tPvRmT2_T3_T4_T5_mT6_T7_P12ihipStream_tbENKUlT_T0_E_clISt17integral_constantIbLb1EES12_IbLb0EEEEDaSY_SZ_EUlSY_E_NS1_11comp_targetILNS1_3genE8ELNS1_11target_archE1030ELNS1_3gpuE2ELNS1_3repE0EEENS1_30default_config_static_selectorELNS0_4arch9wavefront6targetE1EEEvT1_
	.p2align	8
	.type	_ZN7rocprim17ROCPRIM_400000_NS6detail17trampoline_kernelINS0_14default_configENS1_27scan_by_key_config_selectorIiiEEZZNS1_16scan_by_key_implILNS1_25lookback_scan_determinismE0ELb1ES3_N6thrust23THRUST_200600_302600_NS6detail15normal_iteratorINS9_10device_ptrIiEEEENSB_INSC_IjEEEENSB_INSC_IfEEEEiNS9_4plusIvEENS9_8equal_toIvEEiEE10hipError_tPvRmT2_T3_T4_T5_mT6_T7_P12ihipStream_tbENKUlT_T0_E_clISt17integral_constantIbLb1EES12_IbLb0EEEEDaSY_SZ_EUlSY_E_NS1_11comp_targetILNS1_3genE8ELNS1_11target_archE1030ELNS1_3gpuE2ELNS1_3repE0EEENS1_30default_config_static_selectorELNS0_4arch9wavefront6targetE1EEEvT1_,@function
_ZN7rocprim17ROCPRIM_400000_NS6detail17trampoline_kernelINS0_14default_configENS1_27scan_by_key_config_selectorIiiEEZZNS1_16scan_by_key_implILNS1_25lookback_scan_determinismE0ELb1ES3_N6thrust23THRUST_200600_302600_NS6detail15normal_iteratorINS9_10device_ptrIiEEEENSB_INSC_IjEEEENSB_INSC_IfEEEEiNS9_4plusIvEENS9_8equal_toIvEEiEE10hipError_tPvRmT2_T3_T4_T5_mT6_T7_P12ihipStream_tbENKUlT_T0_E_clISt17integral_constantIbLb1EES12_IbLb0EEEEDaSY_SZ_EUlSY_E_NS1_11comp_targetILNS1_3genE8ELNS1_11target_archE1030ELNS1_3gpuE2ELNS1_3repE0EEENS1_30default_config_static_selectorELNS0_4arch9wavefront6targetE1EEEvT1_: ; @_ZN7rocprim17ROCPRIM_400000_NS6detail17trampoline_kernelINS0_14default_configENS1_27scan_by_key_config_selectorIiiEEZZNS1_16scan_by_key_implILNS1_25lookback_scan_determinismE0ELb1ES3_N6thrust23THRUST_200600_302600_NS6detail15normal_iteratorINS9_10device_ptrIiEEEENSB_INSC_IjEEEENSB_INSC_IfEEEEiNS9_4plusIvEENS9_8equal_toIvEEiEE10hipError_tPvRmT2_T3_T4_T5_mT6_T7_P12ihipStream_tbENKUlT_T0_E_clISt17integral_constantIbLb1EES12_IbLb0EEEEDaSY_SZ_EUlSY_E_NS1_11comp_targetILNS1_3genE8ELNS1_11target_archE1030ELNS1_3gpuE2ELNS1_3repE0EEENS1_30default_config_static_selectorELNS0_4arch9wavefront6targetE1EEEvT1_
; %bb.0:
	.section	.rodata,"a",@progbits
	.p2align	6, 0x0
	.amdhsa_kernel _ZN7rocprim17ROCPRIM_400000_NS6detail17trampoline_kernelINS0_14default_configENS1_27scan_by_key_config_selectorIiiEEZZNS1_16scan_by_key_implILNS1_25lookback_scan_determinismE0ELb1ES3_N6thrust23THRUST_200600_302600_NS6detail15normal_iteratorINS9_10device_ptrIiEEEENSB_INSC_IjEEEENSB_INSC_IfEEEEiNS9_4plusIvEENS9_8equal_toIvEEiEE10hipError_tPvRmT2_T3_T4_T5_mT6_T7_P12ihipStream_tbENKUlT_T0_E_clISt17integral_constantIbLb1EES12_IbLb0EEEEDaSY_SZ_EUlSY_E_NS1_11comp_targetILNS1_3genE8ELNS1_11target_archE1030ELNS1_3gpuE2ELNS1_3repE0EEENS1_30default_config_static_selectorELNS0_4arch9wavefront6targetE1EEEvT1_
		.amdhsa_group_segment_fixed_size 0
		.amdhsa_private_segment_fixed_size 0
		.amdhsa_kernarg_size 112
		.amdhsa_user_sgpr_count 6
		.amdhsa_user_sgpr_private_segment_buffer 1
		.amdhsa_user_sgpr_dispatch_ptr 0
		.amdhsa_user_sgpr_queue_ptr 0
		.amdhsa_user_sgpr_kernarg_segment_ptr 1
		.amdhsa_user_sgpr_dispatch_id 0
		.amdhsa_user_sgpr_flat_scratch_init 0
		.amdhsa_user_sgpr_kernarg_preload_length 0
		.amdhsa_user_sgpr_kernarg_preload_offset 0
		.amdhsa_user_sgpr_private_segment_size 0
		.amdhsa_uses_dynamic_stack 0
		.amdhsa_system_sgpr_private_segment_wavefront_offset 0
		.amdhsa_system_sgpr_workgroup_id_x 1
		.amdhsa_system_sgpr_workgroup_id_y 0
		.amdhsa_system_sgpr_workgroup_id_z 0
		.amdhsa_system_sgpr_workgroup_info 0
		.amdhsa_system_vgpr_workitem_id 0
		.amdhsa_next_free_vgpr 1
		.amdhsa_next_free_sgpr 0
		.amdhsa_accum_offset 4
		.amdhsa_reserve_vcc 0
		.amdhsa_reserve_flat_scratch 0
		.amdhsa_float_round_mode_32 0
		.amdhsa_float_round_mode_16_64 0
		.amdhsa_float_denorm_mode_32 3
		.amdhsa_float_denorm_mode_16_64 3
		.amdhsa_dx10_clamp 1
		.amdhsa_ieee_mode 1
		.amdhsa_fp16_overflow 0
		.amdhsa_tg_split 0
		.amdhsa_exception_fp_ieee_invalid_op 0
		.amdhsa_exception_fp_denorm_src 0
		.amdhsa_exception_fp_ieee_div_zero 0
		.amdhsa_exception_fp_ieee_overflow 0
		.amdhsa_exception_fp_ieee_underflow 0
		.amdhsa_exception_fp_ieee_inexact 0
		.amdhsa_exception_int_div_zero 0
	.end_amdhsa_kernel
	.section	.text._ZN7rocprim17ROCPRIM_400000_NS6detail17trampoline_kernelINS0_14default_configENS1_27scan_by_key_config_selectorIiiEEZZNS1_16scan_by_key_implILNS1_25lookback_scan_determinismE0ELb1ES3_N6thrust23THRUST_200600_302600_NS6detail15normal_iteratorINS9_10device_ptrIiEEEENSB_INSC_IjEEEENSB_INSC_IfEEEEiNS9_4plusIvEENS9_8equal_toIvEEiEE10hipError_tPvRmT2_T3_T4_T5_mT6_T7_P12ihipStream_tbENKUlT_T0_E_clISt17integral_constantIbLb1EES12_IbLb0EEEEDaSY_SZ_EUlSY_E_NS1_11comp_targetILNS1_3genE8ELNS1_11target_archE1030ELNS1_3gpuE2ELNS1_3repE0EEENS1_30default_config_static_selectorELNS0_4arch9wavefront6targetE1EEEvT1_,"axG",@progbits,_ZN7rocprim17ROCPRIM_400000_NS6detail17trampoline_kernelINS0_14default_configENS1_27scan_by_key_config_selectorIiiEEZZNS1_16scan_by_key_implILNS1_25lookback_scan_determinismE0ELb1ES3_N6thrust23THRUST_200600_302600_NS6detail15normal_iteratorINS9_10device_ptrIiEEEENSB_INSC_IjEEEENSB_INSC_IfEEEEiNS9_4plusIvEENS9_8equal_toIvEEiEE10hipError_tPvRmT2_T3_T4_T5_mT6_T7_P12ihipStream_tbENKUlT_T0_E_clISt17integral_constantIbLb1EES12_IbLb0EEEEDaSY_SZ_EUlSY_E_NS1_11comp_targetILNS1_3genE8ELNS1_11target_archE1030ELNS1_3gpuE2ELNS1_3repE0EEENS1_30default_config_static_selectorELNS0_4arch9wavefront6targetE1EEEvT1_,comdat
.Lfunc_end1742:
	.size	_ZN7rocprim17ROCPRIM_400000_NS6detail17trampoline_kernelINS0_14default_configENS1_27scan_by_key_config_selectorIiiEEZZNS1_16scan_by_key_implILNS1_25lookback_scan_determinismE0ELb1ES3_N6thrust23THRUST_200600_302600_NS6detail15normal_iteratorINS9_10device_ptrIiEEEENSB_INSC_IjEEEENSB_INSC_IfEEEEiNS9_4plusIvEENS9_8equal_toIvEEiEE10hipError_tPvRmT2_T3_T4_T5_mT6_T7_P12ihipStream_tbENKUlT_T0_E_clISt17integral_constantIbLb1EES12_IbLb0EEEEDaSY_SZ_EUlSY_E_NS1_11comp_targetILNS1_3genE8ELNS1_11target_archE1030ELNS1_3gpuE2ELNS1_3repE0EEENS1_30default_config_static_selectorELNS0_4arch9wavefront6targetE1EEEvT1_, .Lfunc_end1742-_ZN7rocprim17ROCPRIM_400000_NS6detail17trampoline_kernelINS0_14default_configENS1_27scan_by_key_config_selectorIiiEEZZNS1_16scan_by_key_implILNS1_25lookback_scan_determinismE0ELb1ES3_N6thrust23THRUST_200600_302600_NS6detail15normal_iteratorINS9_10device_ptrIiEEEENSB_INSC_IjEEEENSB_INSC_IfEEEEiNS9_4plusIvEENS9_8equal_toIvEEiEE10hipError_tPvRmT2_T3_T4_T5_mT6_T7_P12ihipStream_tbENKUlT_T0_E_clISt17integral_constantIbLb1EES12_IbLb0EEEEDaSY_SZ_EUlSY_E_NS1_11comp_targetILNS1_3genE8ELNS1_11target_archE1030ELNS1_3gpuE2ELNS1_3repE0EEENS1_30default_config_static_selectorELNS0_4arch9wavefront6targetE1EEEvT1_
                                        ; -- End function
	.section	.AMDGPU.csdata,"",@progbits
; Kernel info:
; codeLenInByte = 0
; NumSgprs: 4
; NumVgprs: 0
; NumAgprs: 0
; TotalNumVgprs: 0
; ScratchSize: 0
; MemoryBound: 0
; FloatMode: 240
; IeeeMode: 1
; LDSByteSize: 0 bytes/workgroup (compile time only)
; SGPRBlocks: 0
; VGPRBlocks: 0
; NumSGPRsForWavesPerEU: 4
; NumVGPRsForWavesPerEU: 1
; AccumOffset: 4
; Occupancy: 8
; WaveLimiterHint : 0
; COMPUTE_PGM_RSRC2:SCRATCH_EN: 0
; COMPUTE_PGM_RSRC2:USER_SGPR: 6
; COMPUTE_PGM_RSRC2:TRAP_HANDLER: 0
; COMPUTE_PGM_RSRC2:TGID_X_EN: 1
; COMPUTE_PGM_RSRC2:TGID_Y_EN: 0
; COMPUTE_PGM_RSRC2:TGID_Z_EN: 0
; COMPUTE_PGM_RSRC2:TIDIG_COMP_CNT: 0
; COMPUTE_PGM_RSRC3_GFX90A:ACCUM_OFFSET: 0
; COMPUTE_PGM_RSRC3_GFX90A:TG_SPLIT: 0
	.section	.text._ZN7rocprim17ROCPRIM_400000_NS6detail17trampoline_kernelINS0_14default_configENS1_27scan_by_key_config_selectorIiiEEZZNS1_16scan_by_key_implILNS1_25lookback_scan_determinismE0ELb1ES3_N6thrust23THRUST_200600_302600_NS6detail15normal_iteratorINS9_10device_ptrIiEEEENSB_INSC_IjEEEENSB_INSC_IfEEEEiNS9_4plusIvEENS9_8equal_toIvEEiEE10hipError_tPvRmT2_T3_T4_T5_mT6_T7_P12ihipStream_tbENKUlT_T0_E_clISt17integral_constantIbLb0EES12_IbLb1EEEEDaSY_SZ_EUlSY_E_NS1_11comp_targetILNS1_3genE0ELNS1_11target_archE4294967295ELNS1_3gpuE0ELNS1_3repE0EEENS1_30default_config_static_selectorELNS0_4arch9wavefront6targetE1EEEvT1_,"axG",@progbits,_ZN7rocprim17ROCPRIM_400000_NS6detail17trampoline_kernelINS0_14default_configENS1_27scan_by_key_config_selectorIiiEEZZNS1_16scan_by_key_implILNS1_25lookback_scan_determinismE0ELb1ES3_N6thrust23THRUST_200600_302600_NS6detail15normal_iteratorINS9_10device_ptrIiEEEENSB_INSC_IjEEEENSB_INSC_IfEEEEiNS9_4plusIvEENS9_8equal_toIvEEiEE10hipError_tPvRmT2_T3_T4_T5_mT6_T7_P12ihipStream_tbENKUlT_T0_E_clISt17integral_constantIbLb0EES12_IbLb1EEEEDaSY_SZ_EUlSY_E_NS1_11comp_targetILNS1_3genE0ELNS1_11target_archE4294967295ELNS1_3gpuE0ELNS1_3repE0EEENS1_30default_config_static_selectorELNS0_4arch9wavefront6targetE1EEEvT1_,comdat
	.protected	_ZN7rocprim17ROCPRIM_400000_NS6detail17trampoline_kernelINS0_14default_configENS1_27scan_by_key_config_selectorIiiEEZZNS1_16scan_by_key_implILNS1_25lookback_scan_determinismE0ELb1ES3_N6thrust23THRUST_200600_302600_NS6detail15normal_iteratorINS9_10device_ptrIiEEEENSB_INSC_IjEEEENSB_INSC_IfEEEEiNS9_4plusIvEENS9_8equal_toIvEEiEE10hipError_tPvRmT2_T3_T4_T5_mT6_T7_P12ihipStream_tbENKUlT_T0_E_clISt17integral_constantIbLb0EES12_IbLb1EEEEDaSY_SZ_EUlSY_E_NS1_11comp_targetILNS1_3genE0ELNS1_11target_archE4294967295ELNS1_3gpuE0ELNS1_3repE0EEENS1_30default_config_static_selectorELNS0_4arch9wavefront6targetE1EEEvT1_ ; -- Begin function _ZN7rocprim17ROCPRIM_400000_NS6detail17trampoline_kernelINS0_14default_configENS1_27scan_by_key_config_selectorIiiEEZZNS1_16scan_by_key_implILNS1_25lookback_scan_determinismE0ELb1ES3_N6thrust23THRUST_200600_302600_NS6detail15normal_iteratorINS9_10device_ptrIiEEEENSB_INSC_IjEEEENSB_INSC_IfEEEEiNS9_4plusIvEENS9_8equal_toIvEEiEE10hipError_tPvRmT2_T3_T4_T5_mT6_T7_P12ihipStream_tbENKUlT_T0_E_clISt17integral_constantIbLb0EES12_IbLb1EEEEDaSY_SZ_EUlSY_E_NS1_11comp_targetILNS1_3genE0ELNS1_11target_archE4294967295ELNS1_3gpuE0ELNS1_3repE0EEENS1_30default_config_static_selectorELNS0_4arch9wavefront6targetE1EEEvT1_
	.globl	_ZN7rocprim17ROCPRIM_400000_NS6detail17trampoline_kernelINS0_14default_configENS1_27scan_by_key_config_selectorIiiEEZZNS1_16scan_by_key_implILNS1_25lookback_scan_determinismE0ELb1ES3_N6thrust23THRUST_200600_302600_NS6detail15normal_iteratorINS9_10device_ptrIiEEEENSB_INSC_IjEEEENSB_INSC_IfEEEEiNS9_4plusIvEENS9_8equal_toIvEEiEE10hipError_tPvRmT2_T3_T4_T5_mT6_T7_P12ihipStream_tbENKUlT_T0_E_clISt17integral_constantIbLb0EES12_IbLb1EEEEDaSY_SZ_EUlSY_E_NS1_11comp_targetILNS1_3genE0ELNS1_11target_archE4294967295ELNS1_3gpuE0ELNS1_3repE0EEENS1_30default_config_static_selectorELNS0_4arch9wavefront6targetE1EEEvT1_
	.p2align	8
	.type	_ZN7rocprim17ROCPRIM_400000_NS6detail17trampoline_kernelINS0_14default_configENS1_27scan_by_key_config_selectorIiiEEZZNS1_16scan_by_key_implILNS1_25lookback_scan_determinismE0ELb1ES3_N6thrust23THRUST_200600_302600_NS6detail15normal_iteratorINS9_10device_ptrIiEEEENSB_INSC_IjEEEENSB_INSC_IfEEEEiNS9_4plusIvEENS9_8equal_toIvEEiEE10hipError_tPvRmT2_T3_T4_T5_mT6_T7_P12ihipStream_tbENKUlT_T0_E_clISt17integral_constantIbLb0EES12_IbLb1EEEEDaSY_SZ_EUlSY_E_NS1_11comp_targetILNS1_3genE0ELNS1_11target_archE4294967295ELNS1_3gpuE0ELNS1_3repE0EEENS1_30default_config_static_selectorELNS0_4arch9wavefront6targetE1EEEvT1_,@function
_ZN7rocprim17ROCPRIM_400000_NS6detail17trampoline_kernelINS0_14default_configENS1_27scan_by_key_config_selectorIiiEEZZNS1_16scan_by_key_implILNS1_25lookback_scan_determinismE0ELb1ES3_N6thrust23THRUST_200600_302600_NS6detail15normal_iteratorINS9_10device_ptrIiEEEENSB_INSC_IjEEEENSB_INSC_IfEEEEiNS9_4plusIvEENS9_8equal_toIvEEiEE10hipError_tPvRmT2_T3_T4_T5_mT6_T7_P12ihipStream_tbENKUlT_T0_E_clISt17integral_constantIbLb0EES12_IbLb1EEEEDaSY_SZ_EUlSY_E_NS1_11comp_targetILNS1_3genE0ELNS1_11target_archE4294967295ELNS1_3gpuE0ELNS1_3repE0EEENS1_30default_config_static_selectorELNS0_4arch9wavefront6targetE1EEEvT1_: ; @_ZN7rocprim17ROCPRIM_400000_NS6detail17trampoline_kernelINS0_14default_configENS1_27scan_by_key_config_selectorIiiEEZZNS1_16scan_by_key_implILNS1_25lookback_scan_determinismE0ELb1ES3_N6thrust23THRUST_200600_302600_NS6detail15normal_iteratorINS9_10device_ptrIiEEEENSB_INSC_IjEEEENSB_INSC_IfEEEEiNS9_4plusIvEENS9_8equal_toIvEEiEE10hipError_tPvRmT2_T3_T4_T5_mT6_T7_P12ihipStream_tbENKUlT_T0_E_clISt17integral_constantIbLb0EES12_IbLb1EEEEDaSY_SZ_EUlSY_E_NS1_11comp_targetILNS1_3genE0ELNS1_11target_archE4294967295ELNS1_3gpuE0ELNS1_3repE0EEENS1_30default_config_static_selectorELNS0_4arch9wavefront6targetE1EEEvT1_
; %bb.0:
	.section	.rodata,"a",@progbits
	.p2align	6, 0x0
	.amdhsa_kernel _ZN7rocprim17ROCPRIM_400000_NS6detail17trampoline_kernelINS0_14default_configENS1_27scan_by_key_config_selectorIiiEEZZNS1_16scan_by_key_implILNS1_25lookback_scan_determinismE0ELb1ES3_N6thrust23THRUST_200600_302600_NS6detail15normal_iteratorINS9_10device_ptrIiEEEENSB_INSC_IjEEEENSB_INSC_IfEEEEiNS9_4plusIvEENS9_8equal_toIvEEiEE10hipError_tPvRmT2_T3_T4_T5_mT6_T7_P12ihipStream_tbENKUlT_T0_E_clISt17integral_constantIbLb0EES12_IbLb1EEEEDaSY_SZ_EUlSY_E_NS1_11comp_targetILNS1_3genE0ELNS1_11target_archE4294967295ELNS1_3gpuE0ELNS1_3repE0EEENS1_30default_config_static_selectorELNS0_4arch9wavefront6targetE1EEEvT1_
		.amdhsa_group_segment_fixed_size 0
		.amdhsa_private_segment_fixed_size 0
		.amdhsa_kernarg_size 112
		.amdhsa_user_sgpr_count 6
		.amdhsa_user_sgpr_private_segment_buffer 1
		.amdhsa_user_sgpr_dispatch_ptr 0
		.amdhsa_user_sgpr_queue_ptr 0
		.amdhsa_user_sgpr_kernarg_segment_ptr 1
		.amdhsa_user_sgpr_dispatch_id 0
		.amdhsa_user_sgpr_flat_scratch_init 0
		.amdhsa_user_sgpr_kernarg_preload_length 0
		.amdhsa_user_sgpr_kernarg_preload_offset 0
		.amdhsa_user_sgpr_private_segment_size 0
		.amdhsa_uses_dynamic_stack 0
		.amdhsa_system_sgpr_private_segment_wavefront_offset 0
		.amdhsa_system_sgpr_workgroup_id_x 1
		.amdhsa_system_sgpr_workgroup_id_y 0
		.amdhsa_system_sgpr_workgroup_id_z 0
		.amdhsa_system_sgpr_workgroup_info 0
		.amdhsa_system_vgpr_workitem_id 0
		.amdhsa_next_free_vgpr 1
		.amdhsa_next_free_sgpr 0
		.amdhsa_accum_offset 4
		.amdhsa_reserve_vcc 0
		.amdhsa_reserve_flat_scratch 0
		.amdhsa_float_round_mode_32 0
		.amdhsa_float_round_mode_16_64 0
		.amdhsa_float_denorm_mode_32 3
		.amdhsa_float_denorm_mode_16_64 3
		.amdhsa_dx10_clamp 1
		.amdhsa_ieee_mode 1
		.amdhsa_fp16_overflow 0
		.amdhsa_tg_split 0
		.amdhsa_exception_fp_ieee_invalid_op 0
		.amdhsa_exception_fp_denorm_src 0
		.amdhsa_exception_fp_ieee_div_zero 0
		.amdhsa_exception_fp_ieee_overflow 0
		.amdhsa_exception_fp_ieee_underflow 0
		.amdhsa_exception_fp_ieee_inexact 0
		.amdhsa_exception_int_div_zero 0
	.end_amdhsa_kernel
	.section	.text._ZN7rocprim17ROCPRIM_400000_NS6detail17trampoline_kernelINS0_14default_configENS1_27scan_by_key_config_selectorIiiEEZZNS1_16scan_by_key_implILNS1_25lookback_scan_determinismE0ELb1ES3_N6thrust23THRUST_200600_302600_NS6detail15normal_iteratorINS9_10device_ptrIiEEEENSB_INSC_IjEEEENSB_INSC_IfEEEEiNS9_4plusIvEENS9_8equal_toIvEEiEE10hipError_tPvRmT2_T3_T4_T5_mT6_T7_P12ihipStream_tbENKUlT_T0_E_clISt17integral_constantIbLb0EES12_IbLb1EEEEDaSY_SZ_EUlSY_E_NS1_11comp_targetILNS1_3genE0ELNS1_11target_archE4294967295ELNS1_3gpuE0ELNS1_3repE0EEENS1_30default_config_static_selectorELNS0_4arch9wavefront6targetE1EEEvT1_,"axG",@progbits,_ZN7rocprim17ROCPRIM_400000_NS6detail17trampoline_kernelINS0_14default_configENS1_27scan_by_key_config_selectorIiiEEZZNS1_16scan_by_key_implILNS1_25lookback_scan_determinismE0ELb1ES3_N6thrust23THRUST_200600_302600_NS6detail15normal_iteratorINS9_10device_ptrIiEEEENSB_INSC_IjEEEENSB_INSC_IfEEEEiNS9_4plusIvEENS9_8equal_toIvEEiEE10hipError_tPvRmT2_T3_T4_T5_mT6_T7_P12ihipStream_tbENKUlT_T0_E_clISt17integral_constantIbLb0EES12_IbLb1EEEEDaSY_SZ_EUlSY_E_NS1_11comp_targetILNS1_3genE0ELNS1_11target_archE4294967295ELNS1_3gpuE0ELNS1_3repE0EEENS1_30default_config_static_selectorELNS0_4arch9wavefront6targetE1EEEvT1_,comdat
.Lfunc_end1743:
	.size	_ZN7rocprim17ROCPRIM_400000_NS6detail17trampoline_kernelINS0_14default_configENS1_27scan_by_key_config_selectorIiiEEZZNS1_16scan_by_key_implILNS1_25lookback_scan_determinismE0ELb1ES3_N6thrust23THRUST_200600_302600_NS6detail15normal_iteratorINS9_10device_ptrIiEEEENSB_INSC_IjEEEENSB_INSC_IfEEEEiNS9_4plusIvEENS9_8equal_toIvEEiEE10hipError_tPvRmT2_T3_T4_T5_mT6_T7_P12ihipStream_tbENKUlT_T0_E_clISt17integral_constantIbLb0EES12_IbLb1EEEEDaSY_SZ_EUlSY_E_NS1_11comp_targetILNS1_3genE0ELNS1_11target_archE4294967295ELNS1_3gpuE0ELNS1_3repE0EEENS1_30default_config_static_selectorELNS0_4arch9wavefront6targetE1EEEvT1_, .Lfunc_end1743-_ZN7rocprim17ROCPRIM_400000_NS6detail17trampoline_kernelINS0_14default_configENS1_27scan_by_key_config_selectorIiiEEZZNS1_16scan_by_key_implILNS1_25lookback_scan_determinismE0ELb1ES3_N6thrust23THRUST_200600_302600_NS6detail15normal_iteratorINS9_10device_ptrIiEEEENSB_INSC_IjEEEENSB_INSC_IfEEEEiNS9_4plusIvEENS9_8equal_toIvEEiEE10hipError_tPvRmT2_T3_T4_T5_mT6_T7_P12ihipStream_tbENKUlT_T0_E_clISt17integral_constantIbLb0EES12_IbLb1EEEEDaSY_SZ_EUlSY_E_NS1_11comp_targetILNS1_3genE0ELNS1_11target_archE4294967295ELNS1_3gpuE0ELNS1_3repE0EEENS1_30default_config_static_selectorELNS0_4arch9wavefront6targetE1EEEvT1_
                                        ; -- End function
	.section	.AMDGPU.csdata,"",@progbits
; Kernel info:
; codeLenInByte = 0
; NumSgprs: 4
; NumVgprs: 0
; NumAgprs: 0
; TotalNumVgprs: 0
; ScratchSize: 0
; MemoryBound: 0
; FloatMode: 240
; IeeeMode: 1
; LDSByteSize: 0 bytes/workgroup (compile time only)
; SGPRBlocks: 0
; VGPRBlocks: 0
; NumSGPRsForWavesPerEU: 4
; NumVGPRsForWavesPerEU: 1
; AccumOffset: 4
; Occupancy: 8
; WaveLimiterHint : 0
; COMPUTE_PGM_RSRC2:SCRATCH_EN: 0
; COMPUTE_PGM_RSRC2:USER_SGPR: 6
; COMPUTE_PGM_RSRC2:TRAP_HANDLER: 0
; COMPUTE_PGM_RSRC2:TGID_X_EN: 1
; COMPUTE_PGM_RSRC2:TGID_Y_EN: 0
; COMPUTE_PGM_RSRC2:TGID_Z_EN: 0
; COMPUTE_PGM_RSRC2:TIDIG_COMP_CNT: 0
; COMPUTE_PGM_RSRC3_GFX90A:ACCUM_OFFSET: 0
; COMPUTE_PGM_RSRC3_GFX90A:TG_SPLIT: 0
	.section	.text._ZN7rocprim17ROCPRIM_400000_NS6detail17trampoline_kernelINS0_14default_configENS1_27scan_by_key_config_selectorIiiEEZZNS1_16scan_by_key_implILNS1_25lookback_scan_determinismE0ELb1ES3_N6thrust23THRUST_200600_302600_NS6detail15normal_iteratorINS9_10device_ptrIiEEEENSB_INSC_IjEEEENSB_INSC_IfEEEEiNS9_4plusIvEENS9_8equal_toIvEEiEE10hipError_tPvRmT2_T3_T4_T5_mT6_T7_P12ihipStream_tbENKUlT_T0_E_clISt17integral_constantIbLb0EES12_IbLb1EEEEDaSY_SZ_EUlSY_E_NS1_11comp_targetILNS1_3genE10ELNS1_11target_archE1201ELNS1_3gpuE5ELNS1_3repE0EEENS1_30default_config_static_selectorELNS0_4arch9wavefront6targetE1EEEvT1_,"axG",@progbits,_ZN7rocprim17ROCPRIM_400000_NS6detail17trampoline_kernelINS0_14default_configENS1_27scan_by_key_config_selectorIiiEEZZNS1_16scan_by_key_implILNS1_25lookback_scan_determinismE0ELb1ES3_N6thrust23THRUST_200600_302600_NS6detail15normal_iteratorINS9_10device_ptrIiEEEENSB_INSC_IjEEEENSB_INSC_IfEEEEiNS9_4plusIvEENS9_8equal_toIvEEiEE10hipError_tPvRmT2_T3_T4_T5_mT6_T7_P12ihipStream_tbENKUlT_T0_E_clISt17integral_constantIbLb0EES12_IbLb1EEEEDaSY_SZ_EUlSY_E_NS1_11comp_targetILNS1_3genE10ELNS1_11target_archE1201ELNS1_3gpuE5ELNS1_3repE0EEENS1_30default_config_static_selectorELNS0_4arch9wavefront6targetE1EEEvT1_,comdat
	.protected	_ZN7rocprim17ROCPRIM_400000_NS6detail17trampoline_kernelINS0_14default_configENS1_27scan_by_key_config_selectorIiiEEZZNS1_16scan_by_key_implILNS1_25lookback_scan_determinismE0ELb1ES3_N6thrust23THRUST_200600_302600_NS6detail15normal_iteratorINS9_10device_ptrIiEEEENSB_INSC_IjEEEENSB_INSC_IfEEEEiNS9_4plusIvEENS9_8equal_toIvEEiEE10hipError_tPvRmT2_T3_T4_T5_mT6_T7_P12ihipStream_tbENKUlT_T0_E_clISt17integral_constantIbLb0EES12_IbLb1EEEEDaSY_SZ_EUlSY_E_NS1_11comp_targetILNS1_3genE10ELNS1_11target_archE1201ELNS1_3gpuE5ELNS1_3repE0EEENS1_30default_config_static_selectorELNS0_4arch9wavefront6targetE1EEEvT1_ ; -- Begin function _ZN7rocprim17ROCPRIM_400000_NS6detail17trampoline_kernelINS0_14default_configENS1_27scan_by_key_config_selectorIiiEEZZNS1_16scan_by_key_implILNS1_25lookback_scan_determinismE0ELb1ES3_N6thrust23THRUST_200600_302600_NS6detail15normal_iteratorINS9_10device_ptrIiEEEENSB_INSC_IjEEEENSB_INSC_IfEEEEiNS9_4plusIvEENS9_8equal_toIvEEiEE10hipError_tPvRmT2_T3_T4_T5_mT6_T7_P12ihipStream_tbENKUlT_T0_E_clISt17integral_constantIbLb0EES12_IbLb1EEEEDaSY_SZ_EUlSY_E_NS1_11comp_targetILNS1_3genE10ELNS1_11target_archE1201ELNS1_3gpuE5ELNS1_3repE0EEENS1_30default_config_static_selectorELNS0_4arch9wavefront6targetE1EEEvT1_
	.globl	_ZN7rocprim17ROCPRIM_400000_NS6detail17trampoline_kernelINS0_14default_configENS1_27scan_by_key_config_selectorIiiEEZZNS1_16scan_by_key_implILNS1_25lookback_scan_determinismE0ELb1ES3_N6thrust23THRUST_200600_302600_NS6detail15normal_iteratorINS9_10device_ptrIiEEEENSB_INSC_IjEEEENSB_INSC_IfEEEEiNS9_4plusIvEENS9_8equal_toIvEEiEE10hipError_tPvRmT2_T3_T4_T5_mT6_T7_P12ihipStream_tbENKUlT_T0_E_clISt17integral_constantIbLb0EES12_IbLb1EEEEDaSY_SZ_EUlSY_E_NS1_11comp_targetILNS1_3genE10ELNS1_11target_archE1201ELNS1_3gpuE5ELNS1_3repE0EEENS1_30default_config_static_selectorELNS0_4arch9wavefront6targetE1EEEvT1_
	.p2align	8
	.type	_ZN7rocprim17ROCPRIM_400000_NS6detail17trampoline_kernelINS0_14default_configENS1_27scan_by_key_config_selectorIiiEEZZNS1_16scan_by_key_implILNS1_25lookback_scan_determinismE0ELb1ES3_N6thrust23THRUST_200600_302600_NS6detail15normal_iteratorINS9_10device_ptrIiEEEENSB_INSC_IjEEEENSB_INSC_IfEEEEiNS9_4plusIvEENS9_8equal_toIvEEiEE10hipError_tPvRmT2_T3_T4_T5_mT6_T7_P12ihipStream_tbENKUlT_T0_E_clISt17integral_constantIbLb0EES12_IbLb1EEEEDaSY_SZ_EUlSY_E_NS1_11comp_targetILNS1_3genE10ELNS1_11target_archE1201ELNS1_3gpuE5ELNS1_3repE0EEENS1_30default_config_static_selectorELNS0_4arch9wavefront6targetE1EEEvT1_,@function
_ZN7rocprim17ROCPRIM_400000_NS6detail17trampoline_kernelINS0_14default_configENS1_27scan_by_key_config_selectorIiiEEZZNS1_16scan_by_key_implILNS1_25lookback_scan_determinismE0ELb1ES3_N6thrust23THRUST_200600_302600_NS6detail15normal_iteratorINS9_10device_ptrIiEEEENSB_INSC_IjEEEENSB_INSC_IfEEEEiNS9_4plusIvEENS9_8equal_toIvEEiEE10hipError_tPvRmT2_T3_T4_T5_mT6_T7_P12ihipStream_tbENKUlT_T0_E_clISt17integral_constantIbLb0EES12_IbLb1EEEEDaSY_SZ_EUlSY_E_NS1_11comp_targetILNS1_3genE10ELNS1_11target_archE1201ELNS1_3gpuE5ELNS1_3repE0EEENS1_30default_config_static_selectorELNS0_4arch9wavefront6targetE1EEEvT1_: ; @_ZN7rocprim17ROCPRIM_400000_NS6detail17trampoline_kernelINS0_14default_configENS1_27scan_by_key_config_selectorIiiEEZZNS1_16scan_by_key_implILNS1_25lookback_scan_determinismE0ELb1ES3_N6thrust23THRUST_200600_302600_NS6detail15normal_iteratorINS9_10device_ptrIiEEEENSB_INSC_IjEEEENSB_INSC_IfEEEEiNS9_4plusIvEENS9_8equal_toIvEEiEE10hipError_tPvRmT2_T3_T4_T5_mT6_T7_P12ihipStream_tbENKUlT_T0_E_clISt17integral_constantIbLb0EES12_IbLb1EEEEDaSY_SZ_EUlSY_E_NS1_11comp_targetILNS1_3genE10ELNS1_11target_archE1201ELNS1_3gpuE5ELNS1_3repE0EEENS1_30default_config_static_selectorELNS0_4arch9wavefront6targetE1EEEvT1_
; %bb.0:
	.section	.rodata,"a",@progbits
	.p2align	6, 0x0
	.amdhsa_kernel _ZN7rocprim17ROCPRIM_400000_NS6detail17trampoline_kernelINS0_14default_configENS1_27scan_by_key_config_selectorIiiEEZZNS1_16scan_by_key_implILNS1_25lookback_scan_determinismE0ELb1ES3_N6thrust23THRUST_200600_302600_NS6detail15normal_iteratorINS9_10device_ptrIiEEEENSB_INSC_IjEEEENSB_INSC_IfEEEEiNS9_4plusIvEENS9_8equal_toIvEEiEE10hipError_tPvRmT2_T3_T4_T5_mT6_T7_P12ihipStream_tbENKUlT_T0_E_clISt17integral_constantIbLb0EES12_IbLb1EEEEDaSY_SZ_EUlSY_E_NS1_11comp_targetILNS1_3genE10ELNS1_11target_archE1201ELNS1_3gpuE5ELNS1_3repE0EEENS1_30default_config_static_selectorELNS0_4arch9wavefront6targetE1EEEvT1_
		.amdhsa_group_segment_fixed_size 0
		.amdhsa_private_segment_fixed_size 0
		.amdhsa_kernarg_size 112
		.amdhsa_user_sgpr_count 6
		.amdhsa_user_sgpr_private_segment_buffer 1
		.amdhsa_user_sgpr_dispatch_ptr 0
		.amdhsa_user_sgpr_queue_ptr 0
		.amdhsa_user_sgpr_kernarg_segment_ptr 1
		.amdhsa_user_sgpr_dispatch_id 0
		.amdhsa_user_sgpr_flat_scratch_init 0
		.amdhsa_user_sgpr_kernarg_preload_length 0
		.amdhsa_user_sgpr_kernarg_preload_offset 0
		.amdhsa_user_sgpr_private_segment_size 0
		.amdhsa_uses_dynamic_stack 0
		.amdhsa_system_sgpr_private_segment_wavefront_offset 0
		.amdhsa_system_sgpr_workgroup_id_x 1
		.amdhsa_system_sgpr_workgroup_id_y 0
		.amdhsa_system_sgpr_workgroup_id_z 0
		.amdhsa_system_sgpr_workgroup_info 0
		.amdhsa_system_vgpr_workitem_id 0
		.amdhsa_next_free_vgpr 1
		.amdhsa_next_free_sgpr 0
		.amdhsa_accum_offset 4
		.amdhsa_reserve_vcc 0
		.amdhsa_reserve_flat_scratch 0
		.amdhsa_float_round_mode_32 0
		.amdhsa_float_round_mode_16_64 0
		.amdhsa_float_denorm_mode_32 3
		.amdhsa_float_denorm_mode_16_64 3
		.amdhsa_dx10_clamp 1
		.amdhsa_ieee_mode 1
		.amdhsa_fp16_overflow 0
		.amdhsa_tg_split 0
		.amdhsa_exception_fp_ieee_invalid_op 0
		.amdhsa_exception_fp_denorm_src 0
		.amdhsa_exception_fp_ieee_div_zero 0
		.amdhsa_exception_fp_ieee_overflow 0
		.amdhsa_exception_fp_ieee_underflow 0
		.amdhsa_exception_fp_ieee_inexact 0
		.amdhsa_exception_int_div_zero 0
	.end_amdhsa_kernel
	.section	.text._ZN7rocprim17ROCPRIM_400000_NS6detail17trampoline_kernelINS0_14default_configENS1_27scan_by_key_config_selectorIiiEEZZNS1_16scan_by_key_implILNS1_25lookback_scan_determinismE0ELb1ES3_N6thrust23THRUST_200600_302600_NS6detail15normal_iteratorINS9_10device_ptrIiEEEENSB_INSC_IjEEEENSB_INSC_IfEEEEiNS9_4plusIvEENS9_8equal_toIvEEiEE10hipError_tPvRmT2_T3_T4_T5_mT6_T7_P12ihipStream_tbENKUlT_T0_E_clISt17integral_constantIbLb0EES12_IbLb1EEEEDaSY_SZ_EUlSY_E_NS1_11comp_targetILNS1_3genE10ELNS1_11target_archE1201ELNS1_3gpuE5ELNS1_3repE0EEENS1_30default_config_static_selectorELNS0_4arch9wavefront6targetE1EEEvT1_,"axG",@progbits,_ZN7rocprim17ROCPRIM_400000_NS6detail17trampoline_kernelINS0_14default_configENS1_27scan_by_key_config_selectorIiiEEZZNS1_16scan_by_key_implILNS1_25lookback_scan_determinismE0ELb1ES3_N6thrust23THRUST_200600_302600_NS6detail15normal_iteratorINS9_10device_ptrIiEEEENSB_INSC_IjEEEENSB_INSC_IfEEEEiNS9_4plusIvEENS9_8equal_toIvEEiEE10hipError_tPvRmT2_T3_T4_T5_mT6_T7_P12ihipStream_tbENKUlT_T0_E_clISt17integral_constantIbLb0EES12_IbLb1EEEEDaSY_SZ_EUlSY_E_NS1_11comp_targetILNS1_3genE10ELNS1_11target_archE1201ELNS1_3gpuE5ELNS1_3repE0EEENS1_30default_config_static_selectorELNS0_4arch9wavefront6targetE1EEEvT1_,comdat
.Lfunc_end1744:
	.size	_ZN7rocprim17ROCPRIM_400000_NS6detail17trampoline_kernelINS0_14default_configENS1_27scan_by_key_config_selectorIiiEEZZNS1_16scan_by_key_implILNS1_25lookback_scan_determinismE0ELb1ES3_N6thrust23THRUST_200600_302600_NS6detail15normal_iteratorINS9_10device_ptrIiEEEENSB_INSC_IjEEEENSB_INSC_IfEEEEiNS9_4plusIvEENS9_8equal_toIvEEiEE10hipError_tPvRmT2_T3_T4_T5_mT6_T7_P12ihipStream_tbENKUlT_T0_E_clISt17integral_constantIbLb0EES12_IbLb1EEEEDaSY_SZ_EUlSY_E_NS1_11comp_targetILNS1_3genE10ELNS1_11target_archE1201ELNS1_3gpuE5ELNS1_3repE0EEENS1_30default_config_static_selectorELNS0_4arch9wavefront6targetE1EEEvT1_, .Lfunc_end1744-_ZN7rocprim17ROCPRIM_400000_NS6detail17trampoline_kernelINS0_14default_configENS1_27scan_by_key_config_selectorIiiEEZZNS1_16scan_by_key_implILNS1_25lookback_scan_determinismE0ELb1ES3_N6thrust23THRUST_200600_302600_NS6detail15normal_iteratorINS9_10device_ptrIiEEEENSB_INSC_IjEEEENSB_INSC_IfEEEEiNS9_4plusIvEENS9_8equal_toIvEEiEE10hipError_tPvRmT2_T3_T4_T5_mT6_T7_P12ihipStream_tbENKUlT_T0_E_clISt17integral_constantIbLb0EES12_IbLb1EEEEDaSY_SZ_EUlSY_E_NS1_11comp_targetILNS1_3genE10ELNS1_11target_archE1201ELNS1_3gpuE5ELNS1_3repE0EEENS1_30default_config_static_selectorELNS0_4arch9wavefront6targetE1EEEvT1_
                                        ; -- End function
	.section	.AMDGPU.csdata,"",@progbits
; Kernel info:
; codeLenInByte = 0
; NumSgprs: 4
; NumVgprs: 0
; NumAgprs: 0
; TotalNumVgprs: 0
; ScratchSize: 0
; MemoryBound: 0
; FloatMode: 240
; IeeeMode: 1
; LDSByteSize: 0 bytes/workgroup (compile time only)
; SGPRBlocks: 0
; VGPRBlocks: 0
; NumSGPRsForWavesPerEU: 4
; NumVGPRsForWavesPerEU: 1
; AccumOffset: 4
; Occupancy: 8
; WaveLimiterHint : 0
; COMPUTE_PGM_RSRC2:SCRATCH_EN: 0
; COMPUTE_PGM_RSRC2:USER_SGPR: 6
; COMPUTE_PGM_RSRC2:TRAP_HANDLER: 0
; COMPUTE_PGM_RSRC2:TGID_X_EN: 1
; COMPUTE_PGM_RSRC2:TGID_Y_EN: 0
; COMPUTE_PGM_RSRC2:TGID_Z_EN: 0
; COMPUTE_PGM_RSRC2:TIDIG_COMP_CNT: 0
; COMPUTE_PGM_RSRC3_GFX90A:ACCUM_OFFSET: 0
; COMPUTE_PGM_RSRC3_GFX90A:TG_SPLIT: 0
	.section	.text._ZN7rocprim17ROCPRIM_400000_NS6detail17trampoline_kernelINS0_14default_configENS1_27scan_by_key_config_selectorIiiEEZZNS1_16scan_by_key_implILNS1_25lookback_scan_determinismE0ELb1ES3_N6thrust23THRUST_200600_302600_NS6detail15normal_iteratorINS9_10device_ptrIiEEEENSB_INSC_IjEEEENSB_INSC_IfEEEEiNS9_4plusIvEENS9_8equal_toIvEEiEE10hipError_tPvRmT2_T3_T4_T5_mT6_T7_P12ihipStream_tbENKUlT_T0_E_clISt17integral_constantIbLb0EES12_IbLb1EEEEDaSY_SZ_EUlSY_E_NS1_11comp_targetILNS1_3genE5ELNS1_11target_archE942ELNS1_3gpuE9ELNS1_3repE0EEENS1_30default_config_static_selectorELNS0_4arch9wavefront6targetE1EEEvT1_,"axG",@progbits,_ZN7rocprim17ROCPRIM_400000_NS6detail17trampoline_kernelINS0_14default_configENS1_27scan_by_key_config_selectorIiiEEZZNS1_16scan_by_key_implILNS1_25lookback_scan_determinismE0ELb1ES3_N6thrust23THRUST_200600_302600_NS6detail15normal_iteratorINS9_10device_ptrIiEEEENSB_INSC_IjEEEENSB_INSC_IfEEEEiNS9_4plusIvEENS9_8equal_toIvEEiEE10hipError_tPvRmT2_T3_T4_T5_mT6_T7_P12ihipStream_tbENKUlT_T0_E_clISt17integral_constantIbLb0EES12_IbLb1EEEEDaSY_SZ_EUlSY_E_NS1_11comp_targetILNS1_3genE5ELNS1_11target_archE942ELNS1_3gpuE9ELNS1_3repE0EEENS1_30default_config_static_selectorELNS0_4arch9wavefront6targetE1EEEvT1_,comdat
	.protected	_ZN7rocprim17ROCPRIM_400000_NS6detail17trampoline_kernelINS0_14default_configENS1_27scan_by_key_config_selectorIiiEEZZNS1_16scan_by_key_implILNS1_25lookback_scan_determinismE0ELb1ES3_N6thrust23THRUST_200600_302600_NS6detail15normal_iteratorINS9_10device_ptrIiEEEENSB_INSC_IjEEEENSB_INSC_IfEEEEiNS9_4plusIvEENS9_8equal_toIvEEiEE10hipError_tPvRmT2_T3_T4_T5_mT6_T7_P12ihipStream_tbENKUlT_T0_E_clISt17integral_constantIbLb0EES12_IbLb1EEEEDaSY_SZ_EUlSY_E_NS1_11comp_targetILNS1_3genE5ELNS1_11target_archE942ELNS1_3gpuE9ELNS1_3repE0EEENS1_30default_config_static_selectorELNS0_4arch9wavefront6targetE1EEEvT1_ ; -- Begin function _ZN7rocprim17ROCPRIM_400000_NS6detail17trampoline_kernelINS0_14default_configENS1_27scan_by_key_config_selectorIiiEEZZNS1_16scan_by_key_implILNS1_25lookback_scan_determinismE0ELb1ES3_N6thrust23THRUST_200600_302600_NS6detail15normal_iteratorINS9_10device_ptrIiEEEENSB_INSC_IjEEEENSB_INSC_IfEEEEiNS9_4plusIvEENS9_8equal_toIvEEiEE10hipError_tPvRmT2_T3_T4_T5_mT6_T7_P12ihipStream_tbENKUlT_T0_E_clISt17integral_constantIbLb0EES12_IbLb1EEEEDaSY_SZ_EUlSY_E_NS1_11comp_targetILNS1_3genE5ELNS1_11target_archE942ELNS1_3gpuE9ELNS1_3repE0EEENS1_30default_config_static_selectorELNS0_4arch9wavefront6targetE1EEEvT1_
	.globl	_ZN7rocprim17ROCPRIM_400000_NS6detail17trampoline_kernelINS0_14default_configENS1_27scan_by_key_config_selectorIiiEEZZNS1_16scan_by_key_implILNS1_25lookback_scan_determinismE0ELb1ES3_N6thrust23THRUST_200600_302600_NS6detail15normal_iteratorINS9_10device_ptrIiEEEENSB_INSC_IjEEEENSB_INSC_IfEEEEiNS9_4plusIvEENS9_8equal_toIvEEiEE10hipError_tPvRmT2_T3_T4_T5_mT6_T7_P12ihipStream_tbENKUlT_T0_E_clISt17integral_constantIbLb0EES12_IbLb1EEEEDaSY_SZ_EUlSY_E_NS1_11comp_targetILNS1_3genE5ELNS1_11target_archE942ELNS1_3gpuE9ELNS1_3repE0EEENS1_30default_config_static_selectorELNS0_4arch9wavefront6targetE1EEEvT1_
	.p2align	8
	.type	_ZN7rocprim17ROCPRIM_400000_NS6detail17trampoline_kernelINS0_14default_configENS1_27scan_by_key_config_selectorIiiEEZZNS1_16scan_by_key_implILNS1_25lookback_scan_determinismE0ELb1ES3_N6thrust23THRUST_200600_302600_NS6detail15normal_iteratorINS9_10device_ptrIiEEEENSB_INSC_IjEEEENSB_INSC_IfEEEEiNS9_4plusIvEENS9_8equal_toIvEEiEE10hipError_tPvRmT2_T3_T4_T5_mT6_T7_P12ihipStream_tbENKUlT_T0_E_clISt17integral_constantIbLb0EES12_IbLb1EEEEDaSY_SZ_EUlSY_E_NS1_11comp_targetILNS1_3genE5ELNS1_11target_archE942ELNS1_3gpuE9ELNS1_3repE0EEENS1_30default_config_static_selectorELNS0_4arch9wavefront6targetE1EEEvT1_,@function
_ZN7rocprim17ROCPRIM_400000_NS6detail17trampoline_kernelINS0_14default_configENS1_27scan_by_key_config_selectorIiiEEZZNS1_16scan_by_key_implILNS1_25lookback_scan_determinismE0ELb1ES3_N6thrust23THRUST_200600_302600_NS6detail15normal_iteratorINS9_10device_ptrIiEEEENSB_INSC_IjEEEENSB_INSC_IfEEEEiNS9_4plusIvEENS9_8equal_toIvEEiEE10hipError_tPvRmT2_T3_T4_T5_mT6_T7_P12ihipStream_tbENKUlT_T0_E_clISt17integral_constantIbLb0EES12_IbLb1EEEEDaSY_SZ_EUlSY_E_NS1_11comp_targetILNS1_3genE5ELNS1_11target_archE942ELNS1_3gpuE9ELNS1_3repE0EEENS1_30default_config_static_selectorELNS0_4arch9wavefront6targetE1EEEvT1_: ; @_ZN7rocprim17ROCPRIM_400000_NS6detail17trampoline_kernelINS0_14default_configENS1_27scan_by_key_config_selectorIiiEEZZNS1_16scan_by_key_implILNS1_25lookback_scan_determinismE0ELb1ES3_N6thrust23THRUST_200600_302600_NS6detail15normal_iteratorINS9_10device_ptrIiEEEENSB_INSC_IjEEEENSB_INSC_IfEEEEiNS9_4plusIvEENS9_8equal_toIvEEiEE10hipError_tPvRmT2_T3_T4_T5_mT6_T7_P12ihipStream_tbENKUlT_T0_E_clISt17integral_constantIbLb0EES12_IbLb1EEEEDaSY_SZ_EUlSY_E_NS1_11comp_targetILNS1_3genE5ELNS1_11target_archE942ELNS1_3gpuE9ELNS1_3repE0EEENS1_30default_config_static_selectorELNS0_4arch9wavefront6targetE1EEEvT1_
; %bb.0:
	.section	.rodata,"a",@progbits
	.p2align	6, 0x0
	.amdhsa_kernel _ZN7rocprim17ROCPRIM_400000_NS6detail17trampoline_kernelINS0_14default_configENS1_27scan_by_key_config_selectorIiiEEZZNS1_16scan_by_key_implILNS1_25lookback_scan_determinismE0ELb1ES3_N6thrust23THRUST_200600_302600_NS6detail15normal_iteratorINS9_10device_ptrIiEEEENSB_INSC_IjEEEENSB_INSC_IfEEEEiNS9_4plusIvEENS9_8equal_toIvEEiEE10hipError_tPvRmT2_T3_T4_T5_mT6_T7_P12ihipStream_tbENKUlT_T0_E_clISt17integral_constantIbLb0EES12_IbLb1EEEEDaSY_SZ_EUlSY_E_NS1_11comp_targetILNS1_3genE5ELNS1_11target_archE942ELNS1_3gpuE9ELNS1_3repE0EEENS1_30default_config_static_selectorELNS0_4arch9wavefront6targetE1EEEvT1_
		.amdhsa_group_segment_fixed_size 0
		.amdhsa_private_segment_fixed_size 0
		.amdhsa_kernarg_size 112
		.amdhsa_user_sgpr_count 6
		.amdhsa_user_sgpr_private_segment_buffer 1
		.amdhsa_user_sgpr_dispatch_ptr 0
		.amdhsa_user_sgpr_queue_ptr 0
		.amdhsa_user_sgpr_kernarg_segment_ptr 1
		.amdhsa_user_sgpr_dispatch_id 0
		.amdhsa_user_sgpr_flat_scratch_init 0
		.amdhsa_user_sgpr_kernarg_preload_length 0
		.amdhsa_user_sgpr_kernarg_preload_offset 0
		.amdhsa_user_sgpr_private_segment_size 0
		.amdhsa_uses_dynamic_stack 0
		.amdhsa_system_sgpr_private_segment_wavefront_offset 0
		.amdhsa_system_sgpr_workgroup_id_x 1
		.amdhsa_system_sgpr_workgroup_id_y 0
		.amdhsa_system_sgpr_workgroup_id_z 0
		.amdhsa_system_sgpr_workgroup_info 0
		.amdhsa_system_vgpr_workitem_id 0
		.amdhsa_next_free_vgpr 1
		.amdhsa_next_free_sgpr 0
		.amdhsa_accum_offset 4
		.amdhsa_reserve_vcc 0
		.amdhsa_reserve_flat_scratch 0
		.amdhsa_float_round_mode_32 0
		.amdhsa_float_round_mode_16_64 0
		.amdhsa_float_denorm_mode_32 3
		.amdhsa_float_denorm_mode_16_64 3
		.amdhsa_dx10_clamp 1
		.amdhsa_ieee_mode 1
		.amdhsa_fp16_overflow 0
		.amdhsa_tg_split 0
		.amdhsa_exception_fp_ieee_invalid_op 0
		.amdhsa_exception_fp_denorm_src 0
		.amdhsa_exception_fp_ieee_div_zero 0
		.amdhsa_exception_fp_ieee_overflow 0
		.amdhsa_exception_fp_ieee_underflow 0
		.amdhsa_exception_fp_ieee_inexact 0
		.amdhsa_exception_int_div_zero 0
	.end_amdhsa_kernel
	.section	.text._ZN7rocprim17ROCPRIM_400000_NS6detail17trampoline_kernelINS0_14default_configENS1_27scan_by_key_config_selectorIiiEEZZNS1_16scan_by_key_implILNS1_25lookback_scan_determinismE0ELb1ES3_N6thrust23THRUST_200600_302600_NS6detail15normal_iteratorINS9_10device_ptrIiEEEENSB_INSC_IjEEEENSB_INSC_IfEEEEiNS9_4plusIvEENS9_8equal_toIvEEiEE10hipError_tPvRmT2_T3_T4_T5_mT6_T7_P12ihipStream_tbENKUlT_T0_E_clISt17integral_constantIbLb0EES12_IbLb1EEEEDaSY_SZ_EUlSY_E_NS1_11comp_targetILNS1_3genE5ELNS1_11target_archE942ELNS1_3gpuE9ELNS1_3repE0EEENS1_30default_config_static_selectorELNS0_4arch9wavefront6targetE1EEEvT1_,"axG",@progbits,_ZN7rocprim17ROCPRIM_400000_NS6detail17trampoline_kernelINS0_14default_configENS1_27scan_by_key_config_selectorIiiEEZZNS1_16scan_by_key_implILNS1_25lookback_scan_determinismE0ELb1ES3_N6thrust23THRUST_200600_302600_NS6detail15normal_iteratorINS9_10device_ptrIiEEEENSB_INSC_IjEEEENSB_INSC_IfEEEEiNS9_4plusIvEENS9_8equal_toIvEEiEE10hipError_tPvRmT2_T3_T4_T5_mT6_T7_P12ihipStream_tbENKUlT_T0_E_clISt17integral_constantIbLb0EES12_IbLb1EEEEDaSY_SZ_EUlSY_E_NS1_11comp_targetILNS1_3genE5ELNS1_11target_archE942ELNS1_3gpuE9ELNS1_3repE0EEENS1_30default_config_static_selectorELNS0_4arch9wavefront6targetE1EEEvT1_,comdat
.Lfunc_end1745:
	.size	_ZN7rocprim17ROCPRIM_400000_NS6detail17trampoline_kernelINS0_14default_configENS1_27scan_by_key_config_selectorIiiEEZZNS1_16scan_by_key_implILNS1_25lookback_scan_determinismE0ELb1ES3_N6thrust23THRUST_200600_302600_NS6detail15normal_iteratorINS9_10device_ptrIiEEEENSB_INSC_IjEEEENSB_INSC_IfEEEEiNS9_4plusIvEENS9_8equal_toIvEEiEE10hipError_tPvRmT2_T3_T4_T5_mT6_T7_P12ihipStream_tbENKUlT_T0_E_clISt17integral_constantIbLb0EES12_IbLb1EEEEDaSY_SZ_EUlSY_E_NS1_11comp_targetILNS1_3genE5ELNS1_11target_archE942ELNS1_3gpuE9ELNS1_3repE0EEENS1_30default_config_static_selectorELNS0_4arch9wavefront6targetE1EEEvT1_, .Lfunc_end1745-_ZN7rocprim17ROCPRIM_400000_NS6detail17trampoline_kernelINS0_14default_configENS1_27scan_by_key_config_selectorIiiEEZZNS1_16scan_by_key_implILNS1_25lookback_scan_determinismE0ELb1ES3_N6thrust23THRUST_200600_302600_NS6detail15normal_iteratorINS9_10device_ptrIiEEEENSB_INSC_IjEEEENSB_INSC_IfEEEEiNS9_4plusIvEENS9_8equal_toIvEEiEE10hipError_tPvRmT2_T3_T4_T5_mT6_T7_P12ihipStream_tbENKUlT_T0_E_clISt17integral_constantIbLb0EES12_IbLb1EEEEDaSY_SZ_EUlSY_E_NS1_11comp_targetILNS1_3genE5ELNS1_11target_archE942ELNS1_3gpuE9ELNS1_3repE0EEENS1_30default_config_static_selectorELNS0_4arch9wavefront6targetE1EEEvT1_
                                        ; -- End function
	.section	.AMDGPU.csdata,"",@progbits
; Kernel info:
; codeLenInByte = 0
; NumSgprs: 4
; NumVgprs: 0
; NumAgprs: 0
; TotalNumVgprs: 0
; ScratchSize: 0
; MemoryBound: 0
; FloatMode: 240
; IeeeMode: 1
; LDSByteSize: 0 bytes/workgroup (compile time only)
; SGPRBlocks: 0
; VGPRBlocks: 0
; NumSGPRsForWavesPerEU: 4
; NumVGPRsForWavesPerEU: 1
; AccumOffset: 4
; Occupancy: 8
; WaveLimiterHint : 0
; COMPUTE_PGM_RSRC2:SCRATCH_EN: 0
; COMPUTE_PGM_RSRC2:USER_SGPR: 6
; COMPUTE_PGM_RSRC2:TRAP_HANDLER: 0
; COMPUTE_PGM_RSRC2:TGID_X_EN: 1
; COMPUTE_PGM_RSRC2:TGID_Y_EN: 0
; COMPUTE_PGM_RSRC2:TGID_Z_EN: 0
; COMPUTE_PGM_RSRC2:TIDIG_COMP_CNT: 0
; COMPUTE_PGM_RSRC3_GFX90A:ACCUM_OFFSET: 0
; COMPUTE_PGM_RSRC3_GFX90A:TG_SPLIT: 0
	.section	.text._ZN7rocprim17ROCPRIM_400000_NS6detail17trampoline_kernelINS0_14default_configENS1_27scan_by_key_config_selectorIiiEEZZNS1_16scan_by_key_implILNS1_25lookback_scan_determinismE0ELb1ES3_N6thrust23THRUST_200600_302600_NS6detail15normal_iteratorINS9_10device_ptrIiEEEENSB_INSC_IjEEEENSB_INSC_IfEEEEiNS9_4plusIvEENS9_8equal_toIvEEiEE10hipError_tPvRmT2_T3_T4_T5_mT6_T7_P12ihipStream_tbENKUlT_T0_E_clISt17integral_constantIbLb0EES12_IbLb1EEEEDaSY_SZ_EUlSY_E_NS1_11comp_targetILNS1_3genE4ELNS1_11target_archE910ELNS1_3gpuE8ELNS1_3repE0EEENS1_30default_config_static_selectorELNS0_4arch9wavefront6targetE1EEEvT1_,"axG",@progbits,_ZN7rocprim17ROCPRIM_400000_NS6detail17trampoline_kernelINS0_14default_configENS1_27scan_by_key_config_selectorIiiEEZZNS1_16scan_by_key_implILNS1_25lookback_scan_determinismE0ELb1ES3_N6thrust23THRUST_200600_302600_NS6detail15normal_iteratorINS9_10device_ptrIiEEEENSB_INSC_IjEEEENSB_INSC_IfEEEEiNS9_4plusIvEENS9_8equal_toIvEEiEE10hipError_tPvRmT2_T3_T4_T5_mT6_T7_P12ihipStream_tbENKUlT_T0_E_clISt17integral_constantIbLb0EES12_IbLb1EEEEDaSY_SZ_EUlSY_E_NS1_11comp_targetILNS1_3genE4ELNS1_11target_archE910ELNS1_3gpuE8ELNS1_3repE0EEENS1_30default_config_static_selectorELNS0_4arch9wavefront6targetE1EEEvT1_,comdat
	.protected	_ZN7rocprim17ROCPRIM_400000_NS6detail17trampoline_kernelINS0_14default_configENS1_27scan_by_key_config_selectorIiiEEZZNS1_16scan_by_key_implILNS1_25lookback_scan_determinismE0ELb1ES3_N6thrust23THRUST_200600_302600_NS6detail15normal_iteratorINS9_10device_ptrIiEEEENSB_INSC_IjEEEENSB_INSC_IfEEEEiNS9_4plusIvEENS9_8equal_toIvEEiEE10hipError_tPvRmT2_T3_T4_T5_mT6_T7_P12ihipStream_tbENKUlT_T0_E_clISt17integral_constantIbLb0EES12_IbLb1EEEEDaSY_SZ_EUlSY_E_NS1_11comp_targetILNS1_3genE4ELNS1_11target_archE910ELNS1_3gpuE8ELNS1_3repE0EEENS1_30default_config_static_selectorELNS0_4arch9wavefront6targetE1EEEvT1_ ; -- Begin function _ZN7rocprim17ROCPRIM_400000_NS6detail17trampoline_kernelINS0_14default_configENS1_27scan_by_key_config_selectorIiiEEZZNS1_16scan_by_key_implILNS1_25lookback_scan_determinismE0ELb1ES3_N6thrust23THRUST_200600_302600_NS6detail15normal_iteratorINS9_10device_ptrIiEEEENSB_INSC_IjEEEENSB_INSC_IfEEEEiNS9_4plusIvEENS9_8equal_toIvEEiEE10hipError_tPvRmT2_T3_T4_T5_mT6_T7_P12ihipStream_tbENKUlT_T0_E_clISt17integral_constantIbLb0EES12_IbLb1EEEEDaSY_SZ_EUlSY_E_NS1_11comp_targetILNS1_3genE4ELNS1_11target_archE910ELNS1_3gpuE8ELNS1_3repE0EEENS1_30default_config_static_selectorELNS0_4arch9wavefront6targetE1EEEvT1_
	.globl	_ZN7rocprim17ROCPRIM_400000_NS6detail17trampoline_kernelINS0_14default_configENS1_27scan_by_key_config_selectorIiiEEZZNS1_16scan_by_key_implILNS1_25lookback_scan_determinismE0ELb1ES3_N6thrust23THRUST_200600_302600_NS6detail15normal_iteratorINS9_10device_ptrIiEEEENSB_INSC_IjEEEENSB_INSC_IfEEEEiNS9_4plusIvEENS9_8equal_toIvEEiEE10hipError_tPvRmT2_T3_T4_T5_mT6_T7_P12ihipStream_tbENKUlT_T0_E_clISt17integral_constantIbLb0EES12_IbLb1EEEEDaSY_SZ_EUlSY_E_NS1_11comp_targetILNS1_3genE4ELNS1_11target_archE910ELNS1_3gpuE8ELNS1_3repE0EEENS1_30default_config_static_selectorELNS0_4arch9wavefront6targetE1EEEvT1_
	.p2align	8
	.type	_ZN7rocprim17ROCPRIM_400000_NS6detail17trampoline_kernelINS0_14default_configENS1_27scan_by_key_config_selectorIiiEEZZNS1_16scan_by_key_implILNS1_25lookback_scan_determinismE0ELb1ES3_N6thrust23THRUST_200600_302600_NS6detail15normal_iteratorINS9_10device_ptrIiEEEENSB_INSC_IjEEEENSB_INSC_IfEEEEiNS9_4plusIvEENS9_8equal_toIvEEiEE10hipError_tPvRmT2_T3_T4_T5_mT6_T7_P12ihipStream_tbENKUlT_T0_E_clISt17integral_constantIbLb0EES12_IbLb1EEEEDaSY_SZ_EUlSY_E_NS1_11comp_targetILNS1_3genE4ELNS1_11target_archE910ELNS1_3gpuE8ELNS1_3repE0EEENS1_30default_config_static_selectorELNS0_4arch9wavefront6targetE1EEEvT1_,@function
_ZN7rocprim17ROCPRIM_400000_NS6detail17trampoline_kernelINS0_14default_configENS1_27scan_by_key_config_selectorIiiEEZZNS1_16scan_by_key_implILNS1_25lookback_scan_determinismE0ELb1ES3_N6thrust23THRUST_200600_302600_NS6detail15normal_iteratorINS9_10device_ptrIiEEEENSB_INSC_IjEEEENSB_INSC_IfEEEEiNS9_4plusIvEENS9_8equal_toIvEEiEE10hipError_tPvRmT2_T3_T4_T5_mT6_T7_P12ihipStream_tbENKUlT_T0_E_clISt17integral_constantIbLb0EES12_IbLb1EEEEDaSY_SZ_EUlSY_E_NS1_11comp_targetILNS1_3genE4ELNS1_11target_archE910ELNS1_3gpuE8ELNS1_3repE0EEENS1_30default_config_static_selectorELNS0_4arch9wavefront6targetE1EEEvT1_: ; @_ZN7rocprim17ROCPRIM_400000_NS6detail17trampoline_kernelINS0_14default_configENS1_27scan_by_key_config_selectorIiiEEZZNS1_16scan_by_key_implILNS1_25lookback_scan_determinismE0ELb1ES3_N6thrust23THRUST_200600_302600_NS6detail15normal_iteratorINS9_10device_ptrIiEEEENSB_INSC_IjEEEENSB_INSC_IfEEEEiNS9_4plusIvEENS9_8equal_toIvEEiEE10hipError_tPvRmT2_T3_T4_T5_mT6_T7_P12ihipStream_tbENKUlT_T0_E_clISt17integral_constantIbLb0EES12_IbLb1EEEEDaSY_SZ_EUlSY_E_NS1_11comp_targetILNS1_3genE4ELNS1_11target_archE910ELNS1_3gpuE8ELNS1_3repE0EEENS1_30default_config_static_selectorELNS0_4arch9wavefront6targetE1EEEvT1_
; %bb.0:
	s_load_dword s54, s[4:5], 0x20
	s_load_dwordx4 s[44:47], s[4:5], 0x28
	s_load_dwordx2 s[52:53], s[4:5], 0x38
	v_cmp_eq_u32_e64 s[0:1], 0, v0
	s_and_saveexec_b64 s[2:3], s[0:1]
	s_cbranch_execz .LBB1746_4
; %bb.1:
	s_mov_b64 s[8:9], exec
	v_mbcnt_lo_u32_b32 v1, s8, 0
	v_mbcnt_hi_u32_b32 v1, s9, v1
	v_cmp_eq_u32_e32 vcc, 0, v1
                                        ; implicit-def: $vgpr2
	s_and_saveexec_b64 s[6:7], vcc
	s_cbranch_execz .LBB1746_3
; %bb.2:
	s_load_dwordx2 s[10:11], s[4:5], 0x68
	s_bcnt1_i32_b64 s8, s[8:9]
	v_mov_b32_e32 v2, 0
	v_mov_b32_e32 v3, s8
	s_waitcnt lgkmcnt(0)
	global_atomic_add v2, v2, v3, s[10:11] glc
.LBB1746_3:
	s_or_b64 exec, exec, s[6:7]
	s_waitcnt vmcnt(0)
	v_readfirstlane_b32 s6, v2
	v_add_u32_e32 v1, s6, v1
	v_mov_b32_e32 v2, 0
	ds_write_b32 v2, v1
.LBB1746_4:
	s_or_b64 exec, exec, s[2:3]
	s_load_dwordx8 s[36:43], s[4:5], 0x0
	s_load_dword s2, s[4:5], 0x40
	s_load_dwordx4 s[48:51], s[4:5], 0x48
	v_mov_b32_e32 v3, 0
	s_waitcnt lgkmcnt(0)
	s_lshl_b64 s[34:35], s[38:39], 2
	s_barrier
	ds_read_b32 v4, v3
	s_add_u32 s3, s36, s34
	s_addc_u32 s4, s37, s35
	s_add_u32 s5, s40, s34
	s_mul_i32 s7, s53, s2
	s_mul_hi_u32 s8, s52, s2
	s_addc_u32 s6, s41, s35
	s_add_i32 s7, s8, s7
	s_movk_i32 s8, 0xe00
	s_waitcnt lgkmcnt(0)
	v_mul_lo_u32 v2, v4, s8
	v_lshlrev_b64 v[38:39], 2, v[2:3]
	v_mov_b32_e32 v1, s4
	v_add_co_u32_e32 v42, vcc, s3, v38
	v_addc_co_u32_e32 v43, vcc, v1, v39, vcc
	v_mov_b32_e32 v2, s6
	v_add_co_u32_e32 v1, vcc, s5, v38
	s_mul_i32 s2, s52, s2
	v_addc_co_u32_e32 v48, vcc, v2, v39, vcc
	v_mov_b32_e32 v3, s7
	v_add_co_u32_e32 v2, vcc, s2, v4
	s_add_u32 s4, s48, -1
	v_addc_co_u32_e32 v3, vcc, 0, v3, vcc
	s_addc_u32 s5, s49, -1
	v_cmp_le_u64_e64 s[2:3], s[4:5], v[2:3]
	v_readfirstlane_b32 s47, v4
	s_mov_b64 s[12:13], -1
	s_and_b64 vcc, exec, s[2:3]
	s_mul_i32 s33, s4, 0xfffff200
	s_barrier
	s_barrier
	s_cbranch_vccz .LBB1746_80
; %bb.5:
	flat_load_dword v13, v[42:43]
	s_add_i32 s40, s33, s46
	v_cmp_gt_u32_e32 vcc, s40, v0
	s_waitcnt vmcnt(0) lgkmcnt(0)
	v_mov_b32_e32 v14, v13
	s_and_saveexec_b64 s[6:7], vcc
	s_cbranch_execz .LBB1746_7
; %bb.6:
	v_lshlrev_b32_e32 v2, 2, v0
	v_add_co_u32_e64 v2, s[4:5], v42, v2
	v_addc_co_u32_e64 v3, s[4:5], 0, v43, s[4:5]
	flat_load_dword v14, v[2:3]
.LBB1746_7:
	s_or_b64 exec, exec, s[6:7]
	v_or_b32_e32 v2, 0x100, v0
	v_cmp_gt_u32_e64 s[4:5], s40, v2
	v_mov_b32_e32 v15, v13
	s_and_saveexec_b64 s[8:9], s[4:5]
	s_cbranch_execz .LBB1746_9
; %bb.8:
	v_lshlrev_b32_e32 v2, 2, v0
	v_add_co_u32_e64 v2, s[6:7], v42, v2
	v_addc_co_u32_e64 v3, s[6:7], 0, v43, s[6:7]
	flat_load_dword v15, v[2:3] offset:1024
.LBB1746_9:
	s_or_b64 exec, exec, s[8:9]
	v_or_b32_e32 v2, 0x200, v0
	v_cmp_gt_u32_e64 s[6:7], s40, v2
	v_mov_b32_e32 v16, v13
	s_and_saveexec_b64 s[10:11], s[6:7]
	s_cbranch_execz .LBB1746_11
; %bb.10:
	v_lshlrev_b32_e32 v2, 2, v0
	v_add_co_u32_e64 v2, s[8:9], v42, v2
	v_addc_co_u32_e64 v3, s[8:9], 0, v43, s[8:9]
	flat_load_dword v16, v[2:3] offset:2048
.LBB1746_11:
	s_or_b64 exec, exec, s[10:11]
	v_or_b32_e32 v2, 0x300, v0
	v_cmp_gt_u32_e64 s[8:9], s40, v2
	v_mov_b32_e32 v17, v13
	s_and_saveexec_b64 s[12:13], s[8:9]
	s_cbranch_execz .LBB1746_13
; %bb.12:
	v_lshlrev_b32_e32 v2, 2, v0
	v_add_co_u32_e64 v2, s[10:11], v42, v2
	v_addc_co_u32_e64 v3, s[10:11], 0, v43, s[10:11]
	flat_load_dword v17, v[2:3] offset:3072
.LBB1746_13:
	s_or_b64 exec, exec, s[12:13]
	v_or_b32_e32 v2, 0x400, v0
	v_cmp_gt_u32_e64 s[10:11], s40, v2
	v_lshlrev_b32_e32 v2, 2, v2
	v_mov_b32_e32 v18, v13
	s_and_saveexec_b64 s[14:15], s[10:11]
	s_cbranch_execz .LBB1746_15
; %bb.14:
	v_add_co_u32_e64 v4, s[12:13], v42, v2
	v_addc_co_u32_e64 v5, s[12:13], 0, v43, s[12:13]
	flat_load_dword v18, v[4:5]
.LBB1746_15:
	s_or_b64 exec, exec, s[14:15]
	v_or_b32_e32 v3, 0x500, v0
	v_cmp_gt_u32_e64 s[12:13], s40, v3
	v_lshlrev_b32_e32 v3, 2, v3
	v_mov_b32_e32 v19, v13
	s_and_saveexec_b64 s[16:17], s[12:13]
	s_cbranch_execz .LBB1746_17
; %bb.16:
	v_add_co_u32_e64 v4, s[14:15], v42, v3
	v_addc_co_u32_e64 v5, s[14:15], 0, v43, s[14:15]
	flat_load_dword v19, v[4:5]
.LBB1746_17:
	;; [unrolled: 12-line block ×9, first 2 shown]
	s_or_b64 exec, exec, s[30:31]
	v_or_b32_e32 v11, 0xd00, v0
	v_cmp_gt_u32_e64 s[28:29], s40, v11
	v_lshlrev_b32_e32 v11, 2, v11
	s_and_saveexec_b64 s[36:37], s[28:29]
	s_cbranch_execz .LBB1746_33
; %bb.32:
	v_add_co_u32_e64 v12, s[30:31], v42, v11
	v_addc_co_u32_e64 v13, s[30:31], 0, v43, s[30:31]
	flat_load_dword v13, v[12:13]
.LBB1746_33:
	s_or_b64 exec, exec, s[36:37]
	v_lshlrev_b32_e32 v12, 2, v0
	s_waitcnt vmcnt(0) lgkmcnt(0)
	ds_write2st64_b32 v12, v14, v15 offset1:4
	ds_write2st64_b32 v12, v16, v17 offset0:8 offset1:12
	ds_write2st64_b32 v12, v18, v19 offset0:16 offset1:20
	;; [unrolled: 1-line block ×6, first 2 shown]
	s_waitcnt lgkmcnt(0)
	s_barrier
	flat_load_dword v49, v[42:43]
	v_mad_u32_u24 v50, v0, 52, v12
	s_movk_i32 s30, 0xffcc
	ds_read2_b64 v[34:37], v50 offset1:1
	ds_read2_b64 v[30:33], v50 offset0:2 offset1:3
	ds_read2_b64 v[26:29], v50 offset0:4 offset1:5
	ds_read_b64 v[44:45], v50 offset:48
	v_mad_i32_i24 v13, v0, s30, v50
	s_movk_i32 s30, 0xff
	v_cmp_ne_u32_e64 s[30:31], s30, v0
	s_waitcnt lgkmcnt(0)
	ds_write_b32 v13, v34 offset:15360
	s_waitcnt lgkmcnt(0)
	s_barrier
	s_and_saveexec_b64 s[36:37], s[30:31]
	s_cbranch_execz .LBB1746_35
; %bb.34:
	s_waitcnt vmcnt(0)
	ds_read_b32 v49, v12 offset:15364
.LBB1746_35:
	s_or_b64 exec, exec, s[36:37]
	s_waitcnt lgkmcnt(0)
	s_barrier
	s_waitcnt lgkmcnt(0)
                                        ; implicit-def: $vgpr13
	s_and_saveexec_b64 s[30:31], vcc
	s_cbranch_execz .LBB1746_117
; %bb.36:
	v_add_co_u32_e32 v14, vcc, v1, v12
	v_addc_co_u32_e32 v15, vcc, 0, v48, vcc
	flat_load_dword v13, v[14:15]
	s_or_b64 exec, exec, s[30:31]
                                        ; implicit-def: $vgpr14
	s_and_saveexec_b64 s[30:31], s[4:5]
	s_cbranch_execnz .LBB1746_118
.LBB1746_37:
	s_or_b64 exec, exec, s[30:31]
                                        ; implicit-def: $vgpr15
	s_and_saveexec_b64 s[4:5], s[6:7]
	s_cbranch_execz .LBB1746_119
.LBB1746_38:
	v_add_co_u32_e32 v16, vcc, v1, v12
	v_addc_co_u32_e32 v17, vcc, 0, v48, vcc
	flat_load_dword v15, v[16:17] offset:2048
	s_or_b64 exec, exec, s[4:5]
                                        ; implicit-def: $vgpr16
	s_and_saveexec_b64 s[4:5], s[8:9]
	s_cbranch_execnz .LBB1746_120
.LBB1746_39:
	s_or_b64 exec, exec, s[4:5]
                                        ; implicit-def: $vgpr17
	s_and_saveexec_b64 s[4:5], s[10:11]
	s_cbranch_execz .LBB1746_121
.LBB1746_40:
	v_add_co_u32_e32 v18, vcc, v1, v2
	v_addc_co_u32_e32 v19, vcc, 0, v48, vcc
	flat_load_dword v17, v[18:19]
	s_or_b64 exec, exec, s[4:5]
                                        ; implicit-def: $vgpr2
	s_and_saveexec_b64 s[4:5], s[12:13]
	s_cbranch_execnz .LBB1746_122
.LBB1746_41:
	s_or_b64 exec, exec, s[4:5]
                                        ; implicit-def: $vgpr3
	s_and_saveexec_b64 s[4:5], s[14:15]
	s_cbranch_execz .LBB1746_123
.LBB1746_42:
	v_add_co_u32_e32 v18, vcc, v1, v4
	v_addc_co_u32_e32 v19, vcc, 0, v48, vcc
	flat_load_dword v3, v[18:19]
	s_or_b64 exec, exec, s[4:5]
                                        ; implicit-def: $vgpr4
	s_and_saveexec_b64 s[4:5], s[16:17]
	s_cbranch_execnz .LBB1746_124
.LBB1746_43:
	s_or_b64 exec, exec, s[4:5]
                                        ; implicit-def: $vgpr5
	s_and_saveexec_b64 s[4:5], s[18:19]
	s_cbranch_execz .LBB1746_125
.LBB1746_44:
	v_add_co_u32_e32 v18, vcc, v1, v6
	v_addc_co_u32_e32 v19, vcc, 0, v48, vcc
	flat_load_dword v5, v[18:19]
	s_or_b64 exec, exec, s[4:5]
                                        ; implicit-def: $vgpr6
	s_and_saveexec_b64 s[4:5], s[20:21]
	s_cbranch_execnz .LBB1746_126
.LBB1746_45:
	s_or_b64 exec, exec, s[4:5]
                                        ; implicit-def: $vgpr7
	s_and_saveexec_b64 s[4:5], s[22:23]
	s_cbranch_execz .LBB1746_127
.LBB1746_46:
	v_add_co_u32_e32 v18, vcc, v1, v8
	v_addc_co_u32_e32 v19, vcc, 0, v48, vcc
	flat_load_dword v7, v[18:19]
	s_or_b64 exec, exec, s[4:5]
                                        ; implicit-def: $vgpr8
	s_and_saveexec_b64 s[4:5], s[24:25]
	s_cbranch_execnz .LBB1746_128
.LBB1746_47:
	s_or_b64 exec, exec, s[4:5]
                                        ; implicit-def: $vgpr9
	s_and_saveexec_b64 s[4:5], s[26:27]
	s_cbranch_execz .LBB1746_49
.LBB1746_48:
	v_add_co_u32_e32 v18, vcc, v1, v10
	v_addc_co_u32_e32 v19, vcc, 0, v48, vcc
	flat_load_dword v9, v[18:19]
.LBB1746_49:
	s_or_b64 exec, exec, s[4:5]
	v_mul_u32_u24_e32 v51, 14, v0
                                        ; implicit-def: $vgpr10
	s_and_saveexec_b64 s[4:5], s[28:29]
	s_cbranch_execz .LBB1746_51
; %bb.50:
	v_add_co_u32_e32 v10, vcc, v1, v11
	v_addc_co_u32_e32 v11, vcc, 0, v48, vcc
	flat_load_dword v10, v[10:11]
.LBB1746_51:
	s_or_b64 exec, exec, s[4:5]
	s_mov_b32 s4, 0
	s_mov_b32 s5, s4
	s_waitcnt vmcnt(0) lgkmcnt(0)
	ds_write2st64_b32 v12, v13, v14 offset1:4
	ds_write2st64_b32 v12, v15, v16 offset0:8 offset1:12
	ds_write2st64_b32 v12, v17, v2 offset0:16 offset1:20
	;; [unrolled: 1-line block ×6, first 2 shown]
	s_mov_b32 s6, s4
	s_mov_b32 s7, s4
	;; [unrolled: 1-line block ×6, first 2 shown]
	v_pk_mov_b32 v[2:3], s[4:5], s[4:5] op_sel:[0,1]
	v_pk_mov_b32 v[8:9], s[10:11], s[10:11] op_sel:[0,1]
	;; [unrolled: 1-line block ×6, first 2 shown]
	v_cmp_gt_u32_e32 vcc, s40, v51
	s_mov_b64 s[12:13], 0
	v_pk_mov_b32 v[40:41], 0, 0
	s_mov_b64 s[18:19], 0
	v_pk_mov_b32 v[14:15], v[6:7], v[6:7] op_sel:[0,1]
	v_pk_mov_b32 v[12:13], v[4:5], v[4:5] op_sel:[0,1]
	;; [unrolled: 1-line block ×6, first 2 shown]
	s_waitcnt lgkmcnt(0)
	s_barrier
	s_waitcnt lgkmcnt(0)
                                        ; implicit-def: $sgpr16_sgpr17
                                        ; implicit-def: $vgpr46
	s_and_saveexec_b64 s[14:15], vcc
	s_cbranch_execz .LBB1746_79
; %bb.52:
	ds_read_b32 v2, v50
	v_mov_b32_e32 v4, s54
	v_cmp_eq_u32_e32 vcc, v34, v35
	v_or_b32_e32 v3, 1, v51
                                        ; implicit-def: $vgpr46
	s_waitcnt lgkmcnt(0)
	v_cndmask_b32_e32 v40, v4, v2, vcc
	v_cmp_ne_u32_e32 vcc, v34, v35
	v_cndmask_b32_e64 v41, 0, 1, vcc
	v_cmp_gt_u32_e32 vcc, s40, v3
	v_pk_mov_b32 v[2:3], s[4:5], s[4:5] op_sel:[0,1]
	v_pk_mov_b32 v[8:9], s[10:11], s[10:11] op_sel:[0,1]
	;; [unrolled: 1-line block ×12, first 2 shown]
                                        ; implicit-def: $sgpr4_sgpr5
	s_and_saveexec_b64 s[16:17], vcc
	s_cbranch_execz .LBB1746_78
; %bb.53:
	ds_read2_b32 v[46:47], v50 offset0:1 offset1:2
	s_mov_b32 s4, 0
	v_mov_b32_e32 v3, s54
	v_cmp_eq_u32_e32 vcc, v35, v36
	s_mov_b32 s10, s4
	s_mov_b32 s11, s4
	v_add_u32_e32 v2, 2, v51
	s_waitcnt lgkmcnt(0)
	v_cndmask_b32_e32 v8, v3, v46, vcc
	v_cmp_ne_u32_e32 vcc, v35, v36
	s_mov_b32 s5, s4
	s_mov_b32 s6, s4
	;; [unrolled: 1-line block ×5, first 2 shown]
	v_pk_mov_b32 v[16:17], s[10:11], s[10:11] op_sel:[0,1]
	v_cndmask_b32_e64 v9, 0, 1, vcc
	v_cmp_gt_u32_e32 vcc, s40, v2
	v_mov_b32_e32 v2, 0
	v_pk_mov_b32 v[14:15], s[8:9], s[8:9] op_sel:[0,1]
	v_pk_mov_b32 v[12:13], s[6:7], s[6:7] op_sel:[0,1]
	;; [unrolled: 1-line block ×4, first 2 shown]
	v_mov_b32_e32 v3, v2
	v_mov_b32_e32 v4, v2
	;; [unrolled: 1-line block ×5, first 2 shown]
	s_mov_b64 s[20:21], 0
	v_pk_mov_b32 v[22:23], v[14:15], v[14:15] op_sel:[0,1]
	v_pk_mov_b32 v[20:21], v[12:13], v[12:13] op_sel:[0,1]
	v_pk_mov_b32 v[18:19], v[10:11], v[10:11] op_sel:[0,1]
                                        ; implicit-def: $sgpr24_sgpr25
                                        ; implicit-def: $vgpr46
	s_and_saveexec_b64 s[18:19], vcc
	s_cbranch_execz .LBB1746_77
; %bb.54:
	v_mov_b32_e32 v4, s54
	v_cmp_eq_u32_e32 vcc, v36, v37
	v_pk_mov_b32 v[16:17], s[10:11], s[10:11] op_sel:[0,1]
	v_add_u32_e32 v3, 3, v51
	v_cndmask_b32_e32 v6, v4, v47, vcc
	v_cmp_ne_u32_e32 vcc, v36, v37
	v_pk_mov_b32 v[14:15], s[8:9], s[8:9] op_sel:[0,1]
	v_pk_mov_b32 v[12:13], s[6:7], s[6:7] op_sel:[0,1]
	;; [unrolled: 1-line block ×4, first 2 shown]
	v_cndmask_b32_e64 v7, 0, 1, vcc
	v_cmp_gt_u32_e32 vcc, s40, v3
	v_mov_b32_e32 v3, v2
	v_mov_b32_e32 v4, v2
	;; [unrolled: 1-line block ×3, first 2 shown]
	s_mov_b64 s[22:23], 0
	v_pk_mov_b32 v[22:23], v[14:15], v[14:15] op_sel:[0,1]
	v_pk_mov_b32 v[20:21], v[12:13], v[12:13] op_sel:[0,1]
	;; [unrolled: 1-line block ×3, first 2 shown]
                                        ; implicit-def: $sgpr4_sgpr5
                                        ; implicit-def: $vgpr46
	s_and_saveexec_b64 s[20:21], vcc
	s_cbranch_execz .LBB1746_76
; %bb.55:
	ds_read2_b32 v[34:35], v50 offset0:3 offset1:4
	s_mov_b32 s4, 0
	s_mov_b32 s10, s4
	;; [unrolled: 1-line block ×3, first 2 shown]
	v_mov_b32_e32 v3, s54
	v_cmp_eq_u32_e32 vcc, v37, v30
	s_mov_b32 s5, s4
	s_mov_b32 s6, s4
	s_mov_b32 s7, s4
	s_mov_b32 s8, s4
	s_mov_b32 s9, s4
	v_pk_mov_b32 v[16:17], s[10:11], s[10:11] op_sel:[0,1]
	v_add_u32_e32 v2, 4, v51
	s_waitcnt lgkmcnt(0)
	v_cndmask_b32_e32 v4, v3, v34, vcc
	v_cmp_ne_u32_e32 vcc, v37, v30
	v_pk_mov_b32 v[14:15], s[8:9], s[8:9] op_sel:[0,1]
	v_pk_mov_b32 v[12:13], s[6:7], s[6:7] op_sel:[0,1]
	;; [unrolled: 1-line block ×4, first 2 shown]
	v_cndmask_b32_e64 v5, 0, 1, vcc
	v_cmp_gt_u32_e32 vcc, s40, v2
	v_mov_b32_e32 v2, s4
	v_mov_b32_e32 v3, s4
	s_mov_b64 s[24:25], 0
	v_pk_mov_b32 v[22:23], v[14:15], v[14:15] op_sel:[0,1]
	v_pk_mov_b32 v[20:21], v[12:13], v[12:13] op_sel:[0,1]
	;; [unrolled: 1-line block ×3, first 2 shown]
                                        ; implicit-def: $sgpr26_sgpr27
                                        ; implicit-def: $vgpr46
	s_and_saveexec_b64 s[22:23], vcc
	s_cbranch_execz .LBB1746_75
; %bb.56:
	v_mov_b32_e32 v2, s54
	v_cmp_eq_u32_e32 vcc, v30, v31
	v_add_u32_e32 v10, 5, v51
	v_cndmask_b32_e32 v2, v2, v35, vcc
	v_cmp_ne_u32_e32 vcc, v30, v31
	v_cndmask_b32_e64 v3, 0, 1, vcc
	v_cmp_gt_u32_e32 vcc, s40, v10
	v_pk_mov_b32 v[16:17], s[10:11], s[10:11] op_sel:[0,1]
	v_pk_mov_b32 v[14:15], s[8:9], s[8:9] op_sel:[0,1]
	;; [unrolled: 1-line block ×5, first 2 shown]
	s_mov_b64 s[28:29], 0
	v_pk_mov_b32 v[22:23], v[14:15], v[14:15] op_sel:[0,1]
	v_pk_mov_b32 v[20:21], v[12:13], v[12:13] op_sel:[0,1]
	;; [unrolled: 1-line block ×3, first 2 shown]
                                        ; implicit-def: $sgpr4_sgpr5
                                        ; implicit-def: $vgpr46
	s_and_saveexec_b64 s[24:25], vcc
	s_cbranch_execz .LBB1746_74
; %bb.57:
	ds_read2_b32 v[34:35], v50 offset0:5 offset1:6
	v_mov_b32_e32 v11, s54
	v_cmp_eq_u32_e32 vcc, v31, v32
	s_mov_b32 s4, 0
	v_add_u32_e32 v10, 6, v51
	s_waitcnt lgkmcnt(0)
	v_cndmask_b32_e32 v16, v11, v34, vcc
	v_cmp_ne_u32_e32 vcc, v31, v32
	s_mov_b32 s10, s4
	s_mov_b32 s11, s4
	v_cndmask_b32_e64 v17, 0, 1, vcc
	v_cmp_gt_u32_e32 vcc, s40, v10
	v_mov_b32_e32 v10, 0
	s_mov_b32 s5, s4
	s_mov_b32 s6, s4
	;; [unrolled: 1-line block ×5, first 2 shown]
	v_pk_mov_b32 v[24:25], s[10:11], s[10:11] op_sel:[0,1]
	v_mov_b32_e32 v11, v10
	v_mov_b32_e32 v12, v10
	;; [unrolled: 1-line block ×5, first 2 shown]
	v_pk_mov_b32 v[22:23], s[8:9], s[8:9] op_sel:[0,1]
	v_pk_mov_b32 v[20:21], s[6:7], s[6:7] op_sel:[0,1]
	;; [unrolled: 1-line block ×3, first 2 shown]
                                        ; implicit-def: $sgpr36_sgpr37
                                        ; implicit-def: $vgpr46
	s_and_saveexec_b64 s[26:27], vcc
	s_cbranch_execz .LBB1746_73
; %bb.58:
	v_mov_b32_e32 v12, s54
	v_cmp_eq_u32_e32 vcc, v32, v33
	v_add_u32_e32 v11, 7, v51
	v_cndmask_b32_e32 v14, v12, v35, vcc
	v_cmp_ne_u32_e32 vcc, v32, v33
	v_pk_mov_b32 v[24:25], s[10:11], s[10:11] op_sel:[0,1]
	v_cndmask_b32_e64 v15, 0, 1, vcc
	v_cmp_gt_u32_e32 vcc, s40, v11
	v_mov_b32_e32 v11, v10
	v_mov_b32_e32 v12, v10
	;; [unrolled: 1-line block ×3, first 2 shown]
	s_mov_b64 s[30:31], 0
	v_pk_mov_b32 v[22:23], s[8:9], s[8:9] op_sel:[0,1]
	v_pk_mov_b32 v[20:21], s[6:7], s[6:7] op_sel:[0,1]
	;; [unrolled: 1-line block ×3, first 2 shown]
                                        ; implicit-def: $sgpr4_sgpr5
                                        ; implicit-def: $vgpr46
	s_and_saveexec_b64 s[28:29], vcc
	s_cbranch_execz .LBB1746_72
; %bb.59:
	ds_read2_b32 v[30:31], v50 offset0:7 offset1:8
	s_mov_b32 s4, 0
	v_mov_b32_e32 v11, s54
	v_cmp_eq_u32_e32 vcc, v33, v26
	s_mov_b32 s10, s4
	s_mov_b32 s11, s4
	v_add_u32_e32 v10, 8, v51
	s_waitcnt lgkmcnt(0)
	v_cndmask_b32_e32 v12, v11, v30, vcc
	v_cmp_ne_u32_e32 vcc, v33, v26
	s_mov_b32 s5, s4
	s_mov_b32 s6, s4
	;; [unrolled: 1-line block ×5, first 2 shown]
	v_pk_mov_b32 v[24:25], s[10:11], s[10:11] op_sel:[0,1]
	v_cndmask_b32_e64 v13, 0, 1, vcc
	v_cmp_gt_u32_e32 vcc, s40, v10
	v_mov_b32_e32 v10, s4
	v_mov_b32_e32 v11, s4
	s_mov_b64 s[36:37], 0
	v_pk_mov_b32 v[22:23], s[8:9], s[8:9] op_sel:[0,1]
	v_pk_mov_b32 v[20:21], s[6:7], s[6:7] op_sel:[0,1]
	;; [unrolled: 1-line block ×3, first 2 shown]
                                        ; implicit-def: $sgpr38_sgpr39
                                        ; implicit-def: $vgpr46
	s_and_saveexec_b64 s[30:31], vcc
	s_cbranch_execz .LBB1746_71
; %bb.60:
	v_mov_b32_e32 v10, s54
	v_cmp_eq_u32_e32 vcc, v26, v27
	v_add_u32_e32 v18, 9, v51
	v_cndmask_b32_e32 v10, v10, v31, vcc
	v_cmp_ne_u32_e32 vcc, v26, v27
	v_cndmask_b32_e64 v11, 0, 1, vcc
	v_cmp_gt_u32_e32 vcc, s40, v18
	v_pk_mov_b32 v[24:25], s[10:11], s[10:11] op_sel:[0,1]
	v_pk_mov_b32 v[22:23], s[8:9], s[8:9] op_sel:[0,1]
	;; [unrolled: 1-line block ×4, first 2 shown]
                                        ; implicit-def: $sgpr6_sgpr7
                                        ; implicit-def: $vgpr46
	s_and_saveexec_b64 s[4:5], vcc
	s_cbranch_execz .LBB1746_70
; %bb.61:
	ds_read2_b32 v[30:31], v50 offset0:9 offset1:10
	v_mov_b32_e32 v18, s54
	v_cmp_eq_u32_e32 vcc, v27, v28
	v_add_u32_e32 v20, 10, v51
	v_mov_b32_e32 v22, 0
	s_waitcnt lgkmcnt(0)
	v_cndmask_b32_e32 v18, v18, v30, vcc
	v_cmp_ne_u32_e32 vcc, v27, v28
	v_cndmask_b32_e64 v19, 0, 1, vcc
	v_cmp_gt_u32_e32 vcc, s40, v20
	v_mov_b32_e32 v20, v22
	v_mov_b32_e32 v21, v22
	;; [unrolled: 1-line block ×5, first 2 shown]
	s_mov_b64 s[8:9], 0
                                        ; implicit-def: $sgpr36_sgpr37
                                        ; implicit-def: $vgpr46
	s_and_saveexec_b64 s[6:7], vcc
	s_cbranch_execz .LBB1746_69
; %bb.62:
	v_mov_b32_e32 v20, s54
	v_cmp_eq_u32_e32 vcc, v28, v29
	v_add_u32_e32 v23, 11, v51
	v_cndmask_b32_e32 v20, v20, v31, vcc
	v_cmp_ne_u32_e32 vcc, v28, v29
	v_cndmask_b32_e64 v21, 0, 1, vcc
	v_cmp_gt_u32_e32 vcc, s40, v23
	s_mov_b32 s36, 0
	v_mov_b32_e32 v23, v22
	v_mov_b32_e32 v24, v22
	;; [unrolled: 1-line block ×3, first 2 shown]
	s_mov_b64 s[10:11], 0
                                        ; implicit-def: $sgpr38_sgpr39
                                        ; implicit-def: $vgpr46
	s_and_saveexec_b64 s[8:9], vcc
	s_cbranch_execz .LBB1746_68
; %bb.63:
	ds_read2_b32 v[26:27], v50 offset0:11 offset1:12
	v_mov_b32_e32 v22, s54
	v_cmp_eq_u32_e32 vcc, v29, v44
	v_add_u32_e32 v24, 12, v51
	v_mov_b32_e32 v25, s36
	s_waitcnt lgkmcnt(0)
	v_cndmask_b32_e32 v22, v22, v26, vcc
	v_cmp_ne_u32_e32 vcc, v29, v44
	v_cndmask_b32_e64 v23, 0, 1, vcc
	v_cmp_gt_u32_e32 vcc, s40, v24
	v_mov_b32_e32 v24, s36
	s_mov_b64 s[36:37], 0
                                        ; implicit-def: $sgpr38_sgpr39
                                        ; implicit-def: $vgpr46
	s_and_saveexec_b64 s[10:11], vcc
	s_cbranch_execz .LBB1746_67
; %bb.64:
	v_mov_b32_e32 v24, s54
	v_cmp_eq_u32_e32 vcc, v44, v45
	v_add_u32_e32 v26, 13, v51
	v_cndmask_b32_e32 v24, v24, v27, vcc
	v_cmp_ne_u32_e32 vcc, v44, v45
	v_cndmask_b32_e64 v25, 0, 1, vcc
	v_cmp_gt_u32_e32 vcc, s40, v26
                                        ; implicit-def: $sgpr38_sgpr39
                                        ; implicit-def: $vgpr46
	s_and_saveexec_b64 s[40:41], vcc
	s_xor_b64 s[40:41], exec, s[40:41]
	s_cbranch_execz .LBB1746_66
; %bb.65:
	ds_read_b32 v26, v50 offset:52
	v_mov_b32_e32 v27, s54
	v_cmp_ne_u32_e32 vcc, v45, v49
	s_mov_b64 s[36:37], exec
	s_and_b64 s[38:39], vcc, exec
	s_waitcnt lgkmcnt(0)
	v_cndmask_b32_e32 v46, v26, v27, vcc
.LBB1746_66:
	s_or_b64 exec, exec, s[40:41]
	s_and_b64 s[38:39], s[38:39], exec
	s_and_b64 s[36:37], s[36:37], exec
.LBB1746_67:
	s_or_b64 exec, exec, s[10:11]
	s_and_b64 s[38:39], s[38:39], exec
	s_and_b64 s[10:11], s[36:37], exec
.LBB1746_68:
	s_or_b64 exec, exec, s[8:9]
	s_and_b64 s[36:37], s[38:39], exec
	s_and_b64 s[8:9], s[10:11], exec
.LBB1746_69:
	s_or_b64 exec, exec, s[6:7]
	s_and_b64 s[6:7], s[36:37], exec
	s_and_b64 s[36:37], s[8:9], exec
.LBB1746_70:
	s_or_b64 exec, exec, s[4:5]
	s_and_b64 s[38:39], s[6:7], exec
	s_and_b64 s[36:37], s[36:37], exec
.LBB1746_71:
	s_or_b64 exec, exec, s[30:31]
	s_and_b64 s[4:5], s[38:39], exec
	s_and_b64 s[30:31], s[36:37], exec
.LBB1746_72:
	s_or_b64 exec, exec, s[28:29]
	s_and_b64 s[36:37], s[4:5], exec
	s_and_b64 s[28:29], s[30:31], exec
.LBB1746_73:
	s_or_b64 exec, exec, s[26:27]
	s_and_b64 s[4:5], s[36:37], exec
	s_and_b64 s[28:29], s[28:29], exec
.LBB1746_74:
	s_or_b64 exec, exec, s[24:25]
	s_and_b64 s[26:27], s[4:5], exec
	s_and_b64 s[24:25], s[28:29], exec
.LBB1746_75:
	s_or_b64 exec, exec, s[22:23]
	s_and_b64 s[4:5], s[26:27], exec
	s_and_b64 s[22:23], s[24:25], exec
.LBB1746_76:
	s_or_b64 exec, exec, s[20:21]
	s_and_b64 s[24:25], s[4:5], exec
	s_and_b64 s[20:21], s[22:23], exec
.LBB1746_77:
	s_or_b64 exec, exec, s[18:19]
	s_and_b64 s[4:5], s[24:25], exec
	s_and_b64 s[18:19], s[20:21], exec
.LBB1746_78:
	s_or_b64 exec, exec, s[16:17]
	s_and_b64 s[16:17], s[4:5], exec
	s_and_b64 s[18:19], s[18:19], exec
.LBB1746_79:
	s_or_b64 exec, exec, s[14:15]
	s_and_b64 vcc, exec, s[12:13]
	v_lshlrev_b32_e32 v52, 2, v0
	s_cbranch_vccnz .LBB1746_81
	s_branch .LBB1746_86
.LBB1746_80:
	s_mov_b64 s[18:19], 0
                                        ; implicit-def: $sgpr16_sgpr17
                                        ; implicit-def: $vgpr2_vgpr3_vgpr4_vgpr5_vgpr6_vgpr7_vgpr8_vgpr9
                                        ; implicit-def: $vgpr10_vgpr11_vgpr12_vgpr13_vgpr14_vgpr15_vgpr16_vgpr17
                                        ; implicit-def: $vgpr18_vgpr19_vgpr20_vgpr21_vgpr22_vgpr23_vgpr24_vgpr25
                                        ; implicit-def: $vgpr46
                                        ; implicit-def: $vgpr40_vgpr41
	s_and_b64 vcc, exec, s[12:13]
	v_lshlrev_b32_e32 v52, 2, v0
	s_cbranch_vccz .LBB1746_86
.LBB1746_81:
	v_add_co_u32_e32 v2, vcc, v42, v52
	v_addc_co_u32_e32 v3, vcc, 0, v43, vcc
	v_add_co_u32_e32 v4, vcc, 0x1000, v2
	v_addc_co_u32_e32 v5, vcc, 0, v3, vcc
	flat_load_dword v6, v[2:3]
	flat_load_dword v7, v[2:3] offset:1024
	flat_load_dword v8, v[2:3] offset:2048
	;; [unrolled: 1-line block ×3, first 2 shown]
	flat_load_dword v10, v[4:5]
	flat_load_dword v11, v[4:5] offset:1024
	flat_load_dword v12, v[4:5] offset:2048
	;; [unrolled: 1-line block ×3, first 2 shown]
	v_add_co_u32_e32 v4, vcc, 0x2000, v2
	v_addc_co_u32_e32 v5, vcc, 0, v3, vcc
	v_add_co_u32_e32 v2, vcc, 0x3000, v2
	v_addc_co_u32_e32 v3, vcc, 0, v3, vcc
	flat_load_dword v14, v[4:5]
	flat_load_dword v15, v[4:5] offset:1024
	flat_load_dword v16, v[4:5] offset:2048
	;; [unrolled: 1-line block ×3, first 2 shown]
	flat_load_dword v18, v[2:3]
	flat_load_dword v19, v[2:3] offset:1024
	v_add_co_u32_e32 v2, vcc, 0x3000, v42
	v_addc_co_u32_e32 v3, vcc, 0, v43, vcc
	s_movk_i32 s6, 0xffcc
	s_movk_i32 s9, 0x1000
	s_mov_b32 s4, 0
	s_movk_i32 s8, 0x2000
	s_movk_i32 s5, 0x3000
	s_waitcnt vmcnt(0) lgkmcnt(0)
	ds_write2st64_b32 v52, v6, v7 offset1:4
	ds_write2st64_b32 v52, v8, v9 offset0:8 offset1:12
	ds_write2st64_b32 v52, v10, v11 offset0:16 offset1:20
	;; [unrolled: 1-line block ×6, first 2 shown]
	s_waitcnt lgkmcnt(0)
	s_barrier
	flat_load_dword v34, v[2:3] offset:2048
	v_mad_u32_u24 v6, v0, 52, v52
	v_mad_i32_i24 v2, v0, s6, v6
	s_movk_i32 s6, 0xff
	v_cmp_ne_u32_e32 vcc, s6, v0
	ds_read2_b32 v[26:27], v6 offset1:13
	ds_read2_b32 v[18:19], v6 offset0:7 offset1:8
	ds_read2_b32 v[20:21], v6 offset0:5 offset1:6
	ds_read2_b32 v[10:11], v6 offset0:3 offset1:4
	ds_read2_b32 v[12:13], v6 offset0:1 offset1:2
	ds_read2_b32 v[30:31], v6 offset0:11 offset1:12
	ds_read2_b32 v[28:29], v6 offset0:9 offset1:10
	s_waitcnt lgkmcnt(0)
	ds_write_b32 v2, v26 offset:15360
	s_waitcnt lgkmcnt(0)
	s_barrier
	s_and_saveexec_b64 s[6:7], vcc
	s_cbranch_execz .LBB1746_83
; %bb.82:
	s_waitcnt vmcnt(0)
	ds_read_b32 v34, v52 offset:15364
.LBB1746_83:
	s_or_b64 exec, exec, s[6:7]
	v_add_co_u32_e32 v2, vcc, v1, v52
	v_addc_co_u32_e32 v3, vcc, 0, v48, vcc
	v_add_co_u32_e32 v4, vcc, s9, v2
	v_addc_co_u32_e32 v5, vcc, 0, v3, vcc
	s_waitcnt lgkmcnt(0)
	s_barrier
	flat_load_dword v1, v[2:3]
	flat_load_dword v7, v[2:3] offset:1024
	flat_load_dword v8, v[2:3] offset:2048
	;; [unrolled: 1-line block ×3, first 2 shown]
	flat_load_dword v14, v[4:5]
	flat_load_dword v15, v[4:5] offset:1024
	flat_load_dword v16, v[4:5] offset:2048
	;; [unrolled: 1-line block ×3, first 2 shown]
	v_add_co_u32_e32 v4, vcc, s8, v2
	v_addc_co_u32_e32 v5, vcc, 0, v3, vcc
	v_add_co_u32_e32 v2, vcc, s5, v2
	v_addc_co_u32_e32 v3, vcc, 0, v3, vcc
	flat_load_dword v22, v[4:5]
	flat_load_dword v23, v[4:5] offset:1024
	flat_load_dword v24, v[4:5] offset:2048
	;; [unrolled: 1-line block ×3, first 2 shown]
	flat_load_dword v32, v[2:3]
	flat_load_dword v33, v[2:3] offset:1024
	s_mov_b32 s5, 1
	v_cmp_eq_u32_e32 vcc, v26, v12
	v_pk_mov_b32 v[40:41], s[4:5], s[4:5] op_sel:[0,1]
	s_waitcnt vmcnt(0) lgkmcnt(0)
	ds_write2st64_b32 v52, v1, v7 offset1:4
	ds_write2st64_b32 v52, v8, v9 offset0:8 offset1:12
	ds_write2st64_b32 v52, v14, v15 offset0:16 offset1:20
	;; [unrolled: 1-line block ×6, first 2 shown]
	s_waitcnt lgkmcnt(0)
	s_barrier
	ds_read2_b32 v[24:25], v6 offset0:7 offset1:8
	ds_read2_b32 v[14:15], v6 offset0:5 offset1:6
	;; [unrolled: 1-line block ×4, first 2 shown]
	ds_read_b32 v1, v6 offset:52
	ds_read2_b32 v[22:23], v6 offset0:11 offset1:12
	ds_read2_b32 v[32:33], v6 offset0:9 offset1:10
	v_mov_b32_e32 v7, s54
	s_and_saveexec_b64 s[4:5], vcc
	s_cbranch_execz .LBB1746_85
; %bb.84:
	ds_read_b32 v7, v6
	v_pk_mov_b32 v[40:41], 0, 0
.LBB1746_85:
	s_or_b64 exec, exec, s[4:5]
	v_mov_b32_e32 v26, s54
	v_cmp_eq_u32_e32 vcc, v12, v13
	s_waitcnt lgkmcnt(3)
	v_cndmask_b32_e32 v8, v26, v4, vcc
	v_cmp_eq_u32_e32 vcc, v13, v10
	v_cndmask_b32_e32 v6, v26, v5, vcc
	v_cmp_eq_u32_e32 vcc, v10, v11
	v_cndmask_b32_e32 v4, v26, v2, vcc
	v_cmp_eq_u32_e32 vcc, v11, v20
	v_cndmask_b32_e32 v2, v26, v3, vcc
	v_cmp_ne_u32_e32 vcc, v12, v13
	v_cndmask_b32_e64 v9, 0, 1, vcc
	v_cmp_ne_u32_e32 vcc, v13, v10
	s_waitcnt lgkmcnt(0)
	v_or_b32_e32 v40, v40, v7
	v_cndmask_b32_e64 v7, 0, 1, vcc
	v_cmp_ne_u32_e32 vcc, v10, v11
	v_cndmask_b32_e64 v5, 0, 1, vcc
	v_cmp_ne_u32_e32 vcc, v11, v20
	v_cndmask_b32_e64 v3, 0, 1, vcc
	v_cmp_eq_u32_e32 vcc, v20, v21
	v_cndmask_b32_e32 v16, v26, v14, vcc
	v_cmp_eq_u32_e32 vcc, v21, v18
	v_cndmask_b32_e32 v14, v26, v15, vcc
	v_cmp_eq_u32_e32 vcc, v18, v19
	v_cndmask_b32_e32 v12, v26, v24, vcc
	v_cmp_eq_u32_e32 vcc, v19, v28
	v_cndmask_b32_e32 v10, v26, v25, vcc
	v_cmp_ne_u32_e32 vcc, v20, v21
	v_cndmask_b32_e64 v17, 0, 1, vcc
	v_cmp_ne_u32_e32 vcc, v21, v18
	v_cndmask_b32_e64 v15, 0, 1, vcc
	;; [unrolled: 2-line block ×4, first 2 shown]
	v_cmp_eq_u32_e32 vcc, v31, v27
	v_cndmask_b32_e32 v24, v26, v23, vcc
	v_cmp_eq_u32_e32 vcc, v30, v31
	v_cndmask_b32_e32 v22, v26, v22, vcc
	;; [unrolled: 2-line block ×4, first 2 shown]
	v_cmp_ne_u32_e32 vcc, v31, v27
	v_cndmask_b32_e64 v25, 0, 1, vcc
	v_cmp_ne_u32_e32 vcc, v30, v31
	v_cndmask_b32_e64 v23, 0, 1, vcc
	;; [unrolled: 2-line block ×3, first 2 shown]
	v_cmp_ne_u32_e32 vcc, v28, v29
	v_cmp_ne_u32_e64 s[16:17], v27, v34
	v_cndmask_b32_e64 v19, 0, 1, vcc
	v_cndmask_b32_e64 v46, v1, v26, s[16:17]
	s_mov_b64 s[18:19], -1
                                        ; implicit-def: $sgpr12_sgpr13
.LBB1746_86:
	v_pk_mov_b32 v[42:43], s[12:13], s[12:13] op_sel:[0,1]
	s_and_saveexec_b64 s[4:5], s[18:19]
; %bb.87:
	v_cndmask_b32_e64 v47, 0, 1, s[16:17]
	v_pk_mov_b32 v[42:43], v[46:47], v[46:47] op_sel:[0,1]
; %bb.88:
	s_or_b64 exec, exec, s[4:5]
	s_mov_b32 s28, 0
	s_cmp_lg_u32 s47, 0
	v_mbcnt_lo_u32_b32 v54, -1, 0
	v_lshrrev_b32_e32 v1, 6, v0
	v_or_b32_e32 v53, 63, v0
	s_barrier
	s_cbranch_scc0 .LBB1746_129
; %bb.89:
	s_mov_b32 s29, 1
	v_cmp_gt_u64_e64 s[4:5], s[28:29], v[8:9]
	v_cndmask_b32_e64 v27, 0, v40, s[4:5]
	v_add_u32_e32 v27, v27, v8
	v_cmp_gt_u64_e64 s[6:7], s[28:29], v[6:7]
	v_cndmask_b32_e64 v27, 0, v27, s[6:7]
	v_add_u32_e32 v27, v27, v6
	;; [unrolled: 3-line block ×12, first 2 shown]
	v_cmp_gt_u64_e32 vcc, s[28:29], v[42:43]
	v_cndmask_b32_e32 v27, 0, v27, vcc
	v_add_u32_e32 v28, v27, v42
	v_or3_b32 v27, v43, v25, v23
	v_or3_b32 v27, v27, v21, v19
	;; [unrolled: 1-line block ×6, first 2 shown]
	v_mov_b32_e32 v26, 0
	v_and_b32_e32 v27, 1, v27
	v_cmp_eq_u64_e32 vcc, 0, v[26:27]
	v_cndmask_b32_e32 v27, 1, v41, vcc
	v_and_b32_e32 v29, 0xff, v27
	v_mov_b32_dpp v31, v28 row_shr:1 row_mask:0xf bank_mask:0xf
	v_cmp_eq_u16_e32 vcc, 0, v29
	v_mov_b32_dpp v32, v29 row_shr:1 row_mask:0xf bank_mask:0xf
	v_and_b32_e32 v33, 1, v27
	v_mbcnt_hi_u32_b32 v48, -1, v54
	v_cndmask_b32_e32 v31, 0, v31, vcc
	v_and_b32_e32 v32, 1, v32
	v_cmp_eq_u32_e32 vcc, 1, v33
	v_and_b32_e32 v30, 15, v48
	v_cndmask_b32_e64 v32, v32, 1, vcc
	v_and_b32_e32 v33, 0xffff, v32
	v_cmp_eq_u32_e32 vcc, 0, v30
	v_cndmask_b32_e32 v27, v32, v27, vcc
	v_cndmask_b32_e32 v29, v33, v29, vcc
	v_and_b32_e32 v33, 1, v27
	v_cndmask_b32_e64 v31, v31, 0, vcc
	v_mov_b32_dpp v32, v29 row_shr:2 row_mask:0xf bank_mask:0xf
	v_and_b32_e32 v32, 1, v32
	v_cmp_eq_u32_e32 vcc, 1, v33
	v_cndmask_b32_e64 v32, v32, 1, vcc
	v_and_b32_e32 v33, 0xffff, v32
	v_cmp_lt_u32_e32 vcc, 1, v30
	v_add_u32_e32 v28, v31, v28
	v_cmp_eq_u16_sdwa s[28:29], v27, v26 src0_sel:BYTE_0 src1_sel:DWORD
	v_cndmask_b32_e32 v27, v27, v32, vcc
	v_cndmask_b32_e32 v29, v29, v33, vcc
	v_mov_b32_dpp v31, v28 row_shr:2 row_mask:0xf bank_mask:0xf
	s_and_b64 vcc, vcc, s[28:29]
	v_mov_b32_dpp v32, v29 row_shr:4 row_mask:0xf bank_mask:0xf
	v_and_b32_e32 v33, 1, v27
	v_cndmask_b32_e32 v31, 0, v31, vcc
	v_and_b32_e32 v32, 1, v32
	v_cmp_eq_u32_e32 vcc, 1, v33
	v_cndmask_b32_e64 v32, v32, 1, vcc
	v_and_b32_e32 v33, 0xffff, v32
	v_cmp_lt_u32_e32 vcc, 3, v30
	v_add_u32_e32 v28, v31, v28
	v_cmp_eq_u16_sdwa s[28:29], v27, v26 src0_sel:BYTE_0 src1_sel:DWORD
	v_cndmask_b32_e32 v27, v27, v32, vcc
	v_cndmask_b32_e32 v29, v29, v33, vcc
	v_mov_b32_dpp v31, v28 row_shr:4 row_mask:0xf bank_mask:0xf
	s_and_b64 vcc, vcc, s[28:29]
	v_mov_b32_dpp v32, v29 row_shr:8 row_mask:0xf bank_mask:0xf
	v_and_b32_e32 v33, 1, v27
	v_cndmask_b32_e32 v31, 0, v31, vcc
	v_and_b32_e32 v32, 1, v32
	v_cmp_eq_u32_e32 vcc, 1, v33
	v_cndmask_b32_e64 v32, v32, 1, vcc
	v_add_u32_e32 v28, v31, v28
	v_cmp_eq_u16_sdwa s[28:29], v27, v26 src0_sel:BYTE_0 src1_sel:DWORD
	v_and_b32_e32 v33, 0xffff, v32
	v_cmp_lt_u32_e32 vcc, 7, v30
	v_mov_b32_dpp v31, v28 row_shr:8 row_mask:0xf bank_mask:0xf
	v_cndmask_b32_e32 v27, v27, v32, vcc
	v_cndmask_b32_e32 v29, v29, v33, vcc
	s_and_b64 vcc, vcc, s[28:29]
	v_cndmask_b32_e32 v30, 0, v31, vcc
	v_add_u32_e32 v28, v30, v28
	v_mov_b32_dpp v31, v29 row_bcast:15 row_mask:0xf bank_mask:0xf
	v_cmp_eq_u16_sdwa vcc, v27, v26 src0_sel:BYTE_0 src1_sel:DWORD
	v_mov_b32_dpp v30, v28 row_bcast:15 row_mask:0xf bank_mask:0xf
	v_and_b32_e32 v34, 1, v27
	v_cndmask_b32_e32 v30, 0, v30, vcc
	v_and_b32_e32 v31, 1, v31
	v_cmp_eq_u32_e32 vcc, 1, v34
	v_and_b32_e32 v33, 16, v48
	v_cndmask_b32_e64 v31, v31, 1, vcc
	v_and_b32_e32 v34, 0xffff, v31
	v_cmp_eq_u32_e32 vcc, 0, v33
	v_cndmask_b32_e32 v27, v31, v27, vcc
	v_cndmask_b32_e32 v29, v34, v29, vcc
	v_bfe_i32 v32, v48, 4, 1
	v_cmp_eq_u16_sdwa s[28:29], v27, v26 src0_sel:BYTE_0 src1_sel:DWORD
	v_mov_b32_dpp v29, v29 row_bcast:31 row_mask:0xf bank_mask:0xf
	v_and_b32_e32 v26, 1, v27
	v_and_b32_e32 v30, v32, v30
	;; [unrolled: 1-line block ×3, first 2 shown]
	v_cmp_eq_u32_e32 vcc, 1, v26
	v_add_u32_e32 v28, v30, v28
	v_cndmask_b32_e64 v26, v29, 1, vcc
	v_cmp_lt_u32_e32 vcc, 31, v48
	v_mov_b32_dpp v30, v28 row_bcast:31 row_mask:0xf bank_mask:0xf
	v_cndmask_b32_e32 v29, v27, v26, vcc
	s_and_b64 vcc, vcc, s[28:29]
	v_cndmask_b32_e32 v26, 0, v30, vcc
	v_add_u32_e32 v28, v26, v28
	v_cmp_eq_u32_e32 vcc, v53, v0
	s_and_saveexec_b64 s[28:29], vcc
	s_cbranch_execz .LBB1746_91
; %bb.90:
	v_lshlrev_b32_e32 v26, 3, v1
	ds_write_b32 v26, v28
	ds_write_b8 v26, v29 offset:4
.LBB1746_91:
	s_or_b64 exec, exec, s[28:29]
	v_cmp_gt_u32_e32 vcc, 4, v0
	s_waitcnt lgkmcnt(0)
	s_barrier
	s_and_saveexec_b64 s[28:29], vcc
	s_cbranch_execz .LBB1746_95
; %bb.92:
	v_lshlrev_b32_e32 v30, 3, v0
	ds_read_b64 v[26:27], v30
	v_and_b32_e32 v31, 3, v48
	v_cmp_ne_u32_e32 vcc, 0, v31
	s_waitcnt lgkmcnt(0)
	v_mov_b32_dpp v32, v26 row_shr:1 row_mask:0xf bank_mask:0xf
	v_mov_b32_dpp v34, v27 row_shr:1 row_mask:0xf bank_mask:0xf
	v_mov_b32_e32 v33, v27
	s_and_saveexec_b64 s[30:31], vcc
	s_cbranch_execz .LBB1746_94
; %bb.93:
	v_and_b32_e32 v33, 1, v27
	v_and_b32_e32 v34, 1, v34
	v_cmp_eq_u32_e32 vcc, 1, v33
	v_mov_b32_e32 v33, 0
	v_cndmask_b32_e64 v34, v34, 1, vcc
	v_cmp_eq_u16_sdwa vcc, v27, v33 src0_sel:BYTE_0 src1_sel:DWORD
	v_cndmask_b32_e32 v32, 0, v32, vcc
	v_add_u32_e32 v26, v32, v26
	v_and_b32_e32 v32, 0xffff, v34
	s_movk_i32 s36, 0xff00
	v_and_or_b32 v33, v27, s36, v32
	v_mov_b32_e32 v27, v34
.LBB1746_94:
	s_or_b64 exec, exec, s[30:31]
	v_mov_b32_dpp v33, v33 row_shr:2 row_mask:0xf bank_mask:0xf
	v_and_b32_e32 v34, 1, v27
	v_and_b32_e32 v33, 1, v33
	v_cmp_eq_u32_e32 vcc, 1, v34
	v_mov_b32_e32 v34, 0
	v_cndmask_b32_e64 v33, v33, 1, vcc
	v_cmp_eq_u16_sdwa s[30:31], v27, v34 src0_sel:BYTE_0 src1_sel:DWORD
	v_cmp_lt_u32_e32 vcc, 1, v31
	v_mov_b32_dpp v32, v26 row_shr:2 row_mask:0xf bank_mask:0xf
	v_cndmask_b32_e32 v27, v27, v33, vcc
	s_and_b64 vcc, vcc, s[30:31]
	v_cndmask_b32_e32 v31, 0, v32, vcc
	v_add_u32_e32 v26, v31, v26
	ds_write_b32 v30, v26
	ds_write_b8 v30, v27 offset:4
.LBB1746_95:
	s_or_b64 exec, exec, s[28:29]
	v_cmp_gt_u32_e32 vcc, 64, v0
	v_cmp_lt_u32_e64 s[28:29], 63, v0
	v_mov_b32_e32 v44, 0
	v_mov_b32_e32 v45, 0
	s_waitcnt lgkmcnt(0)
	s_barrier
	s_and_saveexec_b64 s[30:31], s[28:29]
	s_cbranch_execz .LBB1746_97
; %bb.96:
	v_lshl_add_u32 v26, v1, 3, -8
	ds_read_b32 v44, v26
	ds_read_u8 v45, v26 offset:4
	v_mov_b32_e32 v27, 0
	v_and_b32_e32 v30, 1, v29
	v_cmp_eq_u16_sdwa s[28:29], v29, v27 src0_sel:BYTE_0 src1_sel:DWORD
	s_waitcnt lgkmcnt(1)
	v_cndmask_b32_e64 v26, 0, v44, s[28:29]
	v_cmp_eq_u32_e64 s[28:29], 1, v30
	v_add_u32_e32 v28, v26, v28
	s_waitcnt lgkmcnt(0)
	v_cndmask_b32_e64 v29, v45, 1, s[28:29]
.LBB1746_97:
	s_or_b64 exec, exec, s[30:31]
	v_and_b32_e32 v26, 0xff, v29
	v_add_u32_e32 v27, -1, v48
	v_and_b32_e32 v29, 64, v48
	v_cmp_lt_i32_e64 s[28:29], v27, v29
	v_cndmask_b32_e64 v27, v27, v48, s[28:29]
	v_lshlrev_b32_e32 v27, 2, v27
	ds_bpermute_b32 v46, v27, v28
	ds_bpermute_b32 v47, v27, v26
	v_cmp_eq_u32_e64 s[28:29], 0, v48
	s_and_saveexec_b64 s[36:37], vcc
	s_cbranch_execz .LBB1746_116
; %bb.98:
	v_mov_b32_e32 v29, 0
	ds_read_b64 v[26:27], v29 offset:24
	s_waitcnt lgkmcnt(0)
	v_readfirstlane_b32 s48, v27
	s_and_saveexec_b64 s[30:31], s[28:29]
	s_cbranch_execz .LBB1746_100
; %bb.99:
	s_add_i32 s38, s47, 64
	s_mov_b32 s39, 0
	s_lshl_b64 s[40:41], s[38:39], 4
	s_add_u32 s40, s44, s40
	s_addc_u32 s41, s45, s41
	s_and_b32 s57, s48, 0xff000000
	s_mov_b32 s56, s39
	s_and_b32 s59, s48, 0xff0000
	s_mov_b32 s58, s39
	s_or_b64 s[56:57], s[58:59], s[56:57]
	s_and_b32 s59, s48, 0xff00
	s_or_b64 s[56:57], s[56:57], s[58:59]
	s_and_b32 s59, s48, 0xff
	s_or_b64 s[38:39], s[56:57], s[58:59]
	v_mov_b32_e32 v27, s39
	v_mov_b32_e32 v28, 1
	v_pk_mov_b32 v[30:31], s[40:41], s[40:41] op_sel:[0,1]
	;;#ASMSTART
	global_store_dwordx4 v[30:31], v[26:29] off	
s_waitcnt vmcnt(0)
	;;#ASMEND
.LBB1746_100:
	s_or_b64 exec, exec, s[30:31]
	v_xad_u32 v34, v48, -1, s47
	v_add_u32_e32 v28, 64, v34
	v_lshlrev_b64 v[30:31], 4, v[28:29]
	v_mov_b32_e32 v27, s45
	v_add_co_u32_e32 v36, vcc, s44, v30
	v_addc_co_u32_e32 v37, vcc, v27, v31, vcc
	;;#ASMSTART
	global_load_dwordx4 v[30:33], v[36:37] off glc	
s_waitcnt vmcnt(0)
	;;#ASMEND
	v_and_b32_e32 v27, 0xff0000, v30
	v_or_b32_sdwa v27, v30, v27 dst_sel:DWORD dst_unused:UNUSED_PAD src0_sel:WORD_0 src1_sel:DWORD
	v_and_b32_e32 v28, 0xff000000, v30
	v_and_b32_e32 v30, 0xff, v31
	v_or3_b32 v31, 0, 0, v30
	v_or3_b32 v30, v27, v28, 0
	v_cmp_eq_u16_sdwa s[38:39], v32, v29 src0_sel:BYTE_0 src1_sel:DWORD
	s_and_saveexec_b64 s[30:31], s[38:39]
	s_cbranch_execz .LBB1746_104
; %bb.101:
	s_mov_b64 s[38:39], 0
	v_mov_b32_e32 v27, 0
.LBB1746_102:                           ; =>This Inner Loop Header: Depth=1
	;;#ASMSTART
	global_load_dwordx4 v[30:33], v[36:37] off glc	
s_waitcnt vmcnt(0)
	;;#ASMEND
	v_cmp_ne_u16_sdwa s[40:41], v32, v27 src0_sel:BYTE_0 src1_sel:DWORD
	s_or_b64 s[38:39], s[40:41], s[38:39]
	s_andn2_b64 exec, exec, s[38:39]
	s_cbranch_execnz .LBB1746_102
; %bb.103:
	s_or_b64 exec, exec, s[38:39]
	v_and_b32_e32 v31, 0xff, v31
.LBB1746_104:
	s_or_b64 exec, exec, s[30:31]
	v_mov_b32_e32 v27, 2
	v_cmp_eq_u16_sdwa s[30:31], v32, v27 src0_sel:BYTE_0 src1_sel:DWORD
	v_lshlrev_b64 v[28:29], v48, -1
	v_and_b32_e32 v33, s31, v29
	v_or_b32_e32 v33, 0x80000000, v33
	v_and_b32_e32 v35, s30, v28
	v_ffbl_b32_e32 v33, v33
	v_and_b32_e32 v49, 63, v48
	v_add_u32_e32 v33, 32, v33
	v_ffbl_b32_e32 v35, v35
	v_cmp_ne_u32_e32 vcc, 63, v49
	v_min_u32_e32 v33, v35, v33
	v_addc_co_u32_e32 v35, vcc, 0, v48, vcc
	v_lshlrev_b32_e32 v50, 2, v35
	ds_bpermute_b32 v35, v50, v31
	ds_bpermute_b32 v36, v50, v30
	s_mov_b32 s38, 0
	v_and_b32_e32 v37, 1, v31
	s_mov_b32 s39, 1
	s_waitcnt lgkmcnt(1)
	v_and_b32_e32 v35, 1, v35
	v_cmp_eq_u32_e32 vcc, 1, v37
	v_cndmask_b32_e64 v35, v35, 1, vcc
	v_cmp_gt_u64_e32 vcc, s[38:39], v[30:31]
	v_cmp_lt_u32_e64 s[30:31], v49, v33
	s_and_b64 vcc, s[30:31], vcc
	v_and_b32_e32 v37, 0xffff, v35
	v_cndmask_b32_e64 v56, v31, v35, s[30:31]
	s_waitcnt lgkmcnt(0)
	v_cndmask_b32_e32 v35, 0, v36, vcc
	v_cmp_gt_u32_e32 vcc, 62, v49
	v_cndmask_b32_e64 v36, 0, 1, vcc
	v_lshlrev_b32_e32 v36, 1, v36
	v_cndmask_b32_e64 v31, v31, v37, s[30:31]
	v_add_lshl_u32 v51, v36, v48, 2
	ds_bpermute_b32 v36, v51, v31
	v_add_u32_e32 v30, v35, v30
	ds_bpermute_b32 v37, v51, v30
	v_and_b32_e32 v35, 1, v56
	v_cmp_eq_u32_e32 vcc, 1, v35
	s_waitcnt lgkmcnt(1)
	v_and_b32_e32 v36, 1, v36
	v_mov_b32_e32 v35, 0
	v_add_u32_e32 v55, 2, v49
	v_cndmask_b32_e64 v36, v36, 1, vcc
	v_cmp_eq_u16_sdwa vcc, v56, v35 src0_sel:BYTE_0 src1_sel:DWORD
	v_and_b32_e32 v57, 0xffff, v36
	s_waitcnt lgkmcnt(0)
	v_cndmask_b32_e32 v37, 0, v37, vcc
	v_cmp_gt_u32_e32 vcc, v55, v33
	v_cndmask_b32_e32 v36, v36, v56, vcc
	v_cndmask_b32_e64 v37, v37, 0, vcc
	v_cndmask_b32_e32 v31, v57, v31, vcc
	v_cmp_gt_u32_e32 vcc, 60, v49
	v_cndmask_b32_e64 v56, 0, 1, vcc
	v_lshlrev_b32_e32 v56, 2, v56
	v_add_lshl_u32 v56, v56, v48, 2
	ds_bpermute_b32 v58, v56, v31
	v_add_u32_e32 v30, v37, v30
	ds_bpermute_b32 v37, v56, v30
	v_and_b32_e32 v59, 1, v36
	v_cmp_eq_u32_e32 vcc, 1, v59
	s_waitcnt lgkmcnt(1)
	v_and_b32_e32 v58, 1, v58
	v_add_u32_e32 v57, 4, v49
	v_cndmask_b32_e64 v58, v58, 1, vcc
	v_cmp_eq_u16_sdwa vcc, v36, v35 src0_sel:BYTE_0 src1_sel:DWORD
	v_and_b32_e32 v59, 0xffff, v58
	s_waitcnt lgkmcnt(0)
	v_cndmask_b32_e32 v37, 0, v37, vcc
	v_cmp_gt_u32_e32 vcc, v57, v33
	v_cndmask_b32_e32 v36, v58, v36, vcc
	v_cndmask_b32_e64 v37, v37, 0, vcc
	v_cndmask_b32_e32 v31, v59, v31, vcc
	v_cmp_gt_u32_e32 vcc, 56, v49
	v_cndmask_b32_e64 v58, 0, 1, vcc
	v_lshlrev_b32_e32 v58, 3, v58
	v_add_lshl_u32 v58, v58, v48, 2
	ds_bpermute_b32 v60, v58, v31
	v_add_u32_e32 v30, v37, v30
	ds_bpermute_b32 v37, v58, v30
	v_and_b32_e32 v61, 1, v36
	v_cmp_eq_u32_e32 vcc, 1, v61
	s_waitcnt lgkmcnt(1)
	v_and_b32_e32 v60, 1, v60
	;; [unrolled: 21-line block ×4, first 2 shown]
	v_add_u32_e32 v64, 32, v49
	v_cndmask_b32_e64 v31, v31, 1, vcc
	v_cmp_eq_u16_sdwa vcc, v36, v35 src0_sel:BYTE_0 src1_sel:DWORD
	s_waitcnt lgkmcnt(0)
	v_cndmask_b32_e32 v37, 0, v37, vcc
	v_cmp_gt_u32_e32 vcc, v64, v33
	v_cndmask_b32_e64 v33, v37, 0, vcc
	v_cndmask_b32_e32 v31, v31, v36, vcc
	v_add_u32_e32 v30, v33, v30
	s_branch .LBB1746_106
.LBB1746_105:                           ;   in Loop: Header=BB1746_106 Depth=1
	s_or_b64 exec, exec, s[30:31]
	v_cmp_eq_u16_sdwa s[30:31], v32, v27 src0_sel:BYTE_0 src1_sel:DWORD
	v_and_b32_e32 v33, s31, v29
	ds_bpermute_b32 v37, v50, v31
	v_or_b32_e32 v33, 0x80000000, v33
	v_and_b32_e32 v36, s30, v28
	v_ffbl_b32_e32 v33, v33
	v_add_u32_e32 v33, 32, v33
	v_ffbl_b32_e32 v36, v36
	v_min_u32_e32 v33, v36, v33
	ds_bpermute_b32 v36, v50, v30
	v_and_b32_e32 v65, 1, v31
	s_waitcnt lgkmcnt(1)
	v_and_b32_e32 v37, 1, v37
	v_cmp_eq_u32_e32 vcc, 1, v65
	v_cndmask_b32_e64 v37, v37, 1, vcc
	v_cmp_gt_u64_e32 vcc, s[38:39], v[30:31]
	v_and_b32_e32 v65, 0xffff, v37
	v_cmp_lt_u32_e64 s[30:31], v49, v33
	v_cndmask_b32_e64 v37, v31, v37, s[30:31]
	v_cndmask_b32_e64 v31, v31, v65, s[30:31]
	s_and_b64 vcc, s[30:31], vcc
	ds_bpermute_b32 v65, v51, v31
	s_waitcnt lgkmcnt(1)
	v_cndmask_b32_e32 v36, 0, v36, vcc
	v_add_u32_e32 v30, v36, v30
	ds_bpermute_b32 v36, v51, v30
	v_and_b32_e32 v66, 1, v37
	s_waitcnt lgkmcnt(1)
	v_and_b32_e32 v65, 1, v65
	v_cmp_eq_u32_e32 vcc, 1, v66
	v_cndmask_b32_e64 v65, v65, 1, vcc
	v_cmp_eq_u16_sdwa vcc, v37, v35 src0_sel:BYTE_0 src1_sel:DWORD
	v_and_b32_e32 v66, 0xffff, v65
	s_waitcnt lgkmcnt(0)
	v_cndmask_b32_e32 v36, 0, v36, vcc
	v_cmp_gt_u32_e32 vcc, v55, v33
	v_cndmask_b32_e32 v31, v66, v31, vcc
	v_cndmask_b32_e32 v37, v65, v37, vcc
	ds_bpermute_b32 v65, v56, v31
	v_cndmask_b32_e64 v36, v36, 0, vcc
	v_add_u32_e32 v30, v36, v30
	ds_bpermute_b32 v36, v56, v30
	v_and_b32_e32 v66, 1, v37
	s_waitcnt lgkmcnt(1)
	v_and_b32_e32 v65, 1, v65
	v_cmp_eq_u32_e32 vcc, 1, v66
	v_cndmask_b32_e64 v65, v65, 1, vcc
	v_cmp_eq_u16_sdwa vcc, v37, v35 src0_sel:BYTE_0 src1_sel:DWORD
	v_and_b32_e32 v66, 0xffff, v65
	s_waitcnt lgkmcnt(0)
	v_cndmask_b32_e32 v36, 0, v36, vcc
	v_cmp_gt_u32_e32 vcc, v57, v33
	v_cndmask_b32_e32 v31, v66, v31, vcc
	v_cndmask_b32_e32 v37, v65, v37, vcc
	ds_bpermute_b32 v65, v58, v31
	v_cndmask_b32_e64 v36, v36, 0, vcc
	;; [unrolled: 16-line block ×3, first 2 shown]
	v_add_u32_e32 v30, v36, v30
	ds_bpermute_b32 v36, v60, v30
	v_and_b32_e32 v66, 1, v37
	s_waitcnt lgkmcnt(1)
	v_and_b32_e32 v65, 1, v65
	v_cmp_eq_u32_e32 vcc, 1, v66
	v_cndmask_b32_e64 v65, v65, 1, vcc
	v_cmp_eq_u16_sdwa vcc, v37, v35 src0_sel:BYTE_0 src1_sel:DWORD
	v_and_b32_e32 v66, 0xffff, v65
	s_waitcnt lgkmcnt(0)
	v_cndmask_b32_e32 v36, 0, v36, vcc
	v_cmp_gt_u32_e32 vcc, v61, v33
	v_cndmask_b32_e64 v36, v36, 0, vcc
	v_cndmask_b32_e32 v31, v66, v31, vcc
	ds_bpermute_b32 v31, v63, v31
	v_add_u32_e32 v30, v36, v30
	ds_bpermute_b32 v36, v63, v30
	v_cndmask_b32_e32 v37, v65, v37, vcc
	v_and_b32_e32 v65, 1, v37
	v_cmp_eq_u32_e32 vcc, 1, v65
	s_waitcnt lgkmcnt(1)
	v_cndmask_b32_e64 v31, v31, 1, vcc
	v_cmp_eq_u16_sdwa vcc, v37, v35 src0_sel:BYTE_0 src1_sel:DWORD
	s_waitcnt lgkmcnt(0)
	v_cndmask_b32_e32 v36, 0, v36, vcc
	v_cmp_gt_u32_e32 vcc, v64, v33
	v_cndmask_b32_e64 v33, v36, 0, vcc
	v_cndmask_b32_e32 v31, v31, v37, vcc
	v_add_u32_e32 v30, v33, v30
	v_cmp_eq_u16_sdwa vcc, v48, v35 src0_sel:BYTE_0 src1_sel:DWORD
	v_and_b32_e32 v33, 1, v48
	v_cndmask_b32_e32 v30, 0, v30, vcc
	v_and_b32_e32 v31, 1, v31
	v_cmp_eq_u32_e32 vcc, 1, v33
	v_subrev_u32_e32 v34, 64, v34
	v_add_u32_e32 v30, v30, v62
	v_cndmask_b32_e64 v31, v31, 1, vcc
.LBB1746_106:                           ; =>This Loop Header: Depth=1
                                        ;     Child Loop BB1746_109 Depth 2
	v_cmp_ne_u16_sdwa s[30:31], v32, v27 src0_sel:BYTE_0 src1_sel:DWORD
	v_mov_b32_e32 v48, v31
	v_cndmask_b32_e64 v31, 0, 1, s[30:31]
	;;#ASMSTART
	;;#ASMEND
	v_cmp_ne_u32_e32 vcc, 0, v31
	s_cmp_lg_u64 vcc, exec
	v_mov_b32_e32 v62, v30
	s_cbranch_scc1 .LBB1746_111
; %bb.107:                              ;   in Loop: Header=BB1746_106 Depth=1
	v_lshlrev_b64 v[30:31], 4, v[34:35]
	v_mov_b32_e32 v32, s45
	v_add_co_u32_e32 v36, vcc, s44, v30
	v_addc_co_u32_e32 v37, vcc, v32, v31, vcc
	;;#ASMSTART
	global_load_dwordx4 v[30:33], v[36:37] off glc	
s_waitcnt vmcnt(0)
	;;#ASMEND
	v_and_b32_e32 v33, 0xff0000, v30
	v_or_b32_sdwa v33, v30, v33 dst_sel:DWORD dst_unused:UNUSED_PAD src0_sel:WORD_0 src1_sel:DWORD
	v_and_b32_e32 v30, 0xff000000, v30
	v_and_b32_e32 v31, 0xff, v31
	v_or3_b32 v31, 0, 0, v31
	v_or3_b32 v30, v33, v30, 0
	v_cmp_eq_u16_sdwa s[40:41], v32, v35 src0_sel:BYTE_0 src1_sel:DWORD
	s_and_saveexec_b64 s[30:31], s[40:41]
	s_cbranch_execz .LBB1746_105
; %bb.108:                              ;   in Loop: Header=BB1746_106 Depth=1
	s_mov_b64 s[40:41], 0
.LBB1746_109:                           ;   Parent Loop BB1746_106 Depth=1
                                        ; =>  This Inner Loop Header: Depth=2
	;;#ASMSTART
	global_load_dwordx4 v[30:33], v[36:37] off glc	
s_waitcnt vmcnt(0)
	;;#ASMEND
	v_cmp_ne_u16_sdwa s[56:57], v32, v35 src0_sel:BYTE_0 src1_sel:DWORD
	s_or_b64 s[40:41], s[56:57], s[40:41]
	s_andn2_b64 exec, exec, s[40:41]
	s_cbranch_execnz .LBB1746_109
; %bb.110:                              ;   in Loop: Header=BB1746_106 Depth=1
	s_or_b64 exec, exec, s[40:41]
	v_and_b32_e32 v31, 0xff, v31
	s_branch .LBB1746_105
.LBB1746_111:                           ;   in Loop: Header=BB1746_106 Depth=1
                                        ; implicit-def: $vgpr31
                                        ; implicit-def: $vgpr30
                                        ; implicit-def: $vgpr32
	s_cbranch_execz .LBB1746_106
; %bb.112:
	s_and_saveexec_b64 s[30:31], s[28:29]
	s_cbranch_execz .LBB1746_114
; %bb.113:
	s_and_b32 s38, s48, 0xff
	s_cmp_eq_u32 s38, 0
	s_cselect_b64 vcc, -1, 0
	s_bitcmp1_b32 s48, 0
	s_mov_b32 s39, 0
	s_cselect_b64 s[40:41], -1, 0
	s_add_i32 s38, s47, 64
	s_lshl_b64 s[38:39], s[38:39], 4
	v_cndmask_b32_e32 v27, 0, v62, vcc
	s_add_u32 s38, s44, s38
	v_add_u32_e32 v26, v27, v26
	v_and_b32_e32 v27, 1, v48
	s_addc_u32 s39, s45, s39
	v_mov_b32_e32 v29, 0
	v_cndmask_b32_e64 v27, v27, 1, s[40:41]
	v_mov_b32_e32 v28, 2
	v_pk_mov_b32 v[30:31], s[38:39], s[38:39] op_sel:[0,1]
	;;#ASMSTART
	global_store_dwordx4 v[30:31], v[26:29] off	
s_waitcnt vmcnt(0)
	;;#ASMEND
.LBB1746_114:
	s_or_b64 exec, exec, s[30:31]
	s_and_b64 exec, exec, s[0:1]
	s_cbranch_execz .LBB1746_116
; %bb.115:
	v_mov_b32_e32 v26, 0
	ds_write_b32 v26, v62 offset:24
	ds_write_b8 v26, v48 offset:28
.LBB1746_116:
	s_or_b64 exec, exec, s[36:37]
	v_mov_b32_e32 v28, 0
	s_waitcnt lgkmcnt(0)
	s_barrier
	ds_read_b32 v26, v28 offset:24
	v_cndmask_b32_e64 v27, v47, v45, s[28:29]
	v_cmp_eq_u16_sdwa vcc, v27, v28 src0_sel:BYTE_0 src1_sel:DWORD
	v_cndmask_b32_e64 v29, v46, v44, s[28:29]
	s_waitcnt lgkmcnt(0)
	v_cndmask_b32_e32 v27, 0, v26, vcc
	v_add_u32_e32 v27, v27, v29
	v_and_b32_e32 v29, 0xff, v41
	v_cndmask_b32_e64 v26, v27, v26, s[0:1]
	v_cmp_eq_u64_e32 vcc, 0, v[28:29]
	v_cndmask_b32_e32 v27, 0, v26, vcc
	v_add_u32_e32 v27, v27, v40
	v_cndmask_b32_e64 v28, 0, v27, s[4:5]
	v_add_u32_e32 v44, v28, v8
	v_cndmask_b32_e64 v28, 0, v44, s[6:7]
	;; [unrolled: 2-line block ×12, first 2 shown]
	v_add_u32_e32 v51, v28, v24
	s_branch .LBB1746_143
.LBB1746_117:
	s_or_b64 exec, exec, s[30:31]
                                        ; implicit-def: $vgpr14
	s_and_saveexec_b64 s[30:31], s[4:5]
	s_cbranch_execz .LBB1746_37
.LBB1746_118:
	v_add_co_u32_e32 v14, vcc, v1, v12
	v_addc_co_u32_e32 v15, vcc, 0, v48, vcc
	flat_load_dword v14, v[14:15] offset:1024
	s_or_b64 exec, exec, s[30:31]
                                        ; implicit-def: $vgpr15
	s_and_saveexec_b64 s[4:5], s[6:7]
	s_cbranch_execnz .LBB1746_38
.LBB1746_119:
	s_or_b64 exec, exec, s[4:5]
                                        ; implicit-def: $vgpr16
	s_and_saveexec_b64 s[4:5], s[8:9]
	s_cbranch_execz .LBB1746_39
.LBB1746_120:
	v_add_co_u32_e32 v16, vcc, v1, v12
	v_addc_co_u32_e32 v17, vcc, 0, v48, vcc
	flat_load_dword v16, v[16:17] offset:3072
	s_or_b64 exec, exec, s[4:5]
                                        ; implicit-def: $vgpr17
	s_and_saveexec_b64 s[4:5], s[10:11]
	s_cbranch_execnz .LBB1746_40
.LBB1746_121:
	s_or_b64 exec, exec, s[4:5]
                                        ; implicit-def: $vgpr2
	s_and_saveexec_b64 s[4:5], s[12:13]
	s_cbranch_execz .LBB1746_41
.LBB1746_122:
	v_add_co_u32_e32 v2, vcc, v1, v3
	v_addc_co_u32_e32 v3, vcc, 0, v48, vcc
	flat_load_dword v2, v[2:3]
	s_or_b64 exec, exec, s[4:5]
                                        ; implicit-def: $vgpr3
	s_and_saveexec_b64 s[4:5], s[14:15]
	s_cbranch_execnz .LBB1746_42
.LBB1746_123:
	s_or_b64 exec, exec, s[4:5]
                                        ; implicit-def: $vgpr4
	s_and_saveexec_b64 s[4:5], s[16:17]
	s_cbranch_execz .LBB1746_43
.LBB1746_124:
	v_add_co_u32_e32 v4, vcc, v1, v5
	v_addc_co_u32_e32 v5, vcc, 0, v48, vcc
	flat_load_dword v4, v[4:5]
	s_or_b64 exec, exec, s[4:5]
                                        ; implicit-def: $vgpr5
	s_and_saveexec_b64 s[4:5], s[18:19]
	s_cbranch_execnz .LBB1746_44
.LBB1746_125:
	s_or_b64 exec, exec, s[4:5]
                                        ; implicit-def: $vgpr6
	s_and_saveexec_b64 s[4:5], s[20:21]
	s_cbranch_execz .LBB1746_45
.LBB1746_126:
	v_add_co_u32_e32 v6, vcc, v1, v7
	v_addc_co_u32_e32 v7, vcc, 0, v48, vcc
	flat_load_dword v6, v[6:7]
	s_or_b64 exec, exec, s[4:5]
                                        ; implicit-def: $vgpr7
	s_and_saveexec_b64 s[4:5], s[22:23]
	s_cbranch_execnz .LBB1746_46
.LBB1746_127:
	s_or_b64 exec, exec, s[4:5]
                                        ; implicit-def: $vgpr8
	s_and_saveexec_b64 s[4:5], s[24:25]
	s_cbranch_execz .LBB1746_47
.LBB1746_128:
	v_add_co_u32_e32 v8, vcc, v1, v9
	v_addc_co_u32_e32 v9, vcc, 0, v48, vcc
	flat_load_dword v8, v[8:9]
	s_or_b64 exec, exec, s[4:5]
                                        ; implicit-def: $vgpr9
	s_and_saveexec_b64 s[4:5], s[26:27]
	s_cbranch_execz .LBB1746_49
	s_branch .LBB1746_48
.LBB1746_129:
                                        ; implicit-def: $vgpr51
                                        ; implicit-def: $vgpr49
                                        ; implicit-def: $vgpr47
                                        ; implicit-def: $vgpr45
                                        ; implicit-def: $vgpr34_vgpr35_vgpr36_vgpr37
                                        ; implicit-def: $vgpr30_vgpr31_vgpr32_vgpr33
                                        ; implicit-def: $vgpr26_vgpr27_vgpr28_vgpr29
	s_cbranch_execz .LBB1746_143
; %bb.130:
	s_cmp_lg_u64 s[52:53], 0
	s_cselect_b32 s5, s51, 0
	s_cselect_b32 s4, s50, 0
	s_mov_b32 s26, 0
	s_cmp_eq_u64 s[4:5], 0
	v_mov_b32_e32 v32, s54
	s_cbranch_scc1 .LBB1746_132
; %bb.131:
	v_mov_b32_e32 v26, 0
	global_load_dword v32, v26, s[4:5]
.LBB1746_132:
	s_mov_b32 s27, 1
	v_cmp_gt_u64_e32 vcc, s[26:27], v[8:9]
	v_cndmask_b32_e32 v27, 0, v40, vcc
	v_add_u32_e32 v27, v27, v8
	v_cmp_gt_u64_e64 s[4:5], s[26:27], v[6:7]
	v_cndmask_b32_e64 v27, 0, v27, s[4:5]
	v_add_u32_e32 v27, v27, v6
	v_cmp_gt_u64_e64 s[6:7], s[26:27], v[4:5]
	v_cndmask_b32_e64 v27, 0, v27, s[6:7]
	;; [unrolled: 3-line block ×11, first 2 shown]
	v_mov_b32_e32 v26, 0
	v_add_u32_e32 v27, v27, v24
	v_cmp_gt_u64_e64 s[26:27], s[26:27], v[42:43]
	v_or3_b32 v7, v23, v15, v7
	v_cndmask_b32_e64 v27, 0, v27, s[26:27]
	v_or3_b32 v9, v25, v17, v9
	v_and_b32_e32 v35, 1, v7
	v_mov_b32_e32 v34, v26
	v_add_u32_e32 v33, v27, v42
	v_and_b32_e32 v27, 1, v43
	v_or3_b32 v3, v19, v11, v3
	v_and_b32_e32 v31, 1, v9
	v_mov_b32_e32 v30, v26
	v_cmp_ne_u64_e64 s[28:29], 0, v[34:35]
	v_cmp_eq_u32_e64 s[26:27], 1, v27
	v_or3_b32 v5, v21, v13, v5
	v_and_b32_e32 v27, 1, v3
	v_cndmask_b32_e64 v3, 0, 1, s[28:29]
	v_cmp_ne_u64_e64 s[28:29], 0, v[30:31]
	v_and_b32_e32 v29, 1, v5
	v_mov_b32_e32 v28, v26
	v_cndmask_b32_e64 v5, 0, 1, s[28:29]
	v_lshlrev_b16_e32 v3, 2, v3
	v_lshlrev_b16_e32 v5, 3, v5
	v_cmp_ne_u64_e64 s[28:29], 0, v[28:29]
	v_or_b32_e32 v3, v5, v3
	v_cndmask_b32_e64 v5, 0, 1, s[28:29]
	v_cmp_ne_u64_e64 s[28:29], 0, v[26:27]
	v_lshlrev_b16_e32 v5, 1, v5
	v_cndmask_b32_e64 v7, 0, 1, s[28:29]
	v_or_b32_e32 v5, v7, v5
	v_and_b32_e32 v5, 3, v5
	v_or_b32_e32 v3, v5, v3
	v_and_b32_e32 v3, 15, v3
	v_cmp_ne_u16_e64 s[28:29], 0, v3
	s_or_b64 s[26:27], s[26:27], s[28:29]
	v_cndmask_b32_e64 v5, v41, 1, s[26:27]
	v_and_b32_e32 v7, 0xff, v5
	v_mov_b32_dpp v11, v33 row_shr:1 row_mask:0xf bank_mask:0xf
	v_cmp_eq_u16_e64 s[26:27], 0, v7
	v_mov_b32_dpp v13, v7 row_shr:1 row_mask:0xf bank_mask:0xf
	v_and_b32_e32 v15, 1, v5
	v_mbcnt_hi_u32_b32 v3, -1, v54
	v_cndmask_b32_e64 v11, 0, v11, s[26:27]
	v_and_b32_e32 v13, 1, v13
	v_cmp_eq_u32_e64 s[26:27], 1, v15
	v_and_b32_e32 v9, 15, v3
	v_cndmask_b32_e64 v13, v13, 1, s[26:27]
	v_and_b32_e32 v15, 0xffff, v13
	v_cmp_eq_u32_e64 s[26:27], 0, v9
	v_cndmask_b32_e64 v5, v13, v5, s[26:27]
	v_cndmask_b32_e64 v7, v15, v7, s[26:27]
	v_and_b32_e32 v17, 1, v5
	v_cndmask_b32_e64 v11, v11, 0, s[26:27]
	v_mov_b32_dpp v15, v7 row_shr:2 row_mask:0xf bank_mask:0xf
	v_and_b32_e32 v15, 1, v15
	v_cmp_eq_u32_e64 s[26:27], 1, v17
	v_cndmask_b32_e64 v15, v15, 1, s[26:27]
	v_and_b32_e32 v17, 0xffff, v15
	v_cmp_lt_u32_e64 s[26:27], 1, v9
	v_add_u32_e32 v11, v11, v33
	v_cmp_eq_u16_sdwa s[28:29], v5, v26 src0_sel:BYTE_0 src1_sel:DWORD
	v_cndmask_b32_e64 v5, v5, v15, s[26:27]
	v_cndmask_b32_e64 v7, v7, v17, s[26:27]
	v_mov_b32_dpp v13, v11 row_shr:2 row_mask:0xf bank_mask:0xf
	s_and_b64 s[26:27], s[26:27], s[28:29]
	v_mov_b32_dpp v15, v7 row_shr:4 row_mask:0xf bank_mask:0xf
	v_and_b32_e32 v17, 1, v5
	v_cndmask_b32_e64 v13, 0, v13, s[26:27]
	v_and_b32_e32 v15, 1, v15
	v_cmp_eq_u32_e64 s[26:27], 1, v17
	v_cndmask_b32_e64 v15, v15, 1, s[26:27]
	v_and_b32_e32 v17, 0xffff, v15
	v_cmp_lt_u32_e64 s[26:27], 3, v9
	v_add_u32_e32 v11, v13, v11
	v_cmp_eq_u16_sdwa s[28:29], v5, v26 src0_sel:BYTE_0 src1_sel:DWORD
	v_cndmask_b32_e64 v5, v5, v15, s[26:27]
	v_cndmask_b32_e64 v7, v7, v17, s[26:27]
	v_mov_b32_dpp v13, v11 row_shr:4 row_mask:0xf bank_mask:0xf
	s_and_b64 s[26:27], s[26:27], s[28:29]
	v_mov_b32_dpp v15, v7 row_shr:8 row_mask:0xf bank_mask:0xf
	v_and_b32_e32 v17, 1, v5
	v_cndmask_b32_e64 v13, 0, v13, s[26:27]
	v_and_b32_e32 v15, 1, v15
	v_cmp_eq_u32_e64 s[26:27], 1, v17
	v_cndmask_b32_e64 v15, v15, 1, s[26:27]
	v_add_u32_e32 v11, v13, v11
	v_cmp_eq_u16_sdwa s[28:29], v5, v26 src0_sel:BYTE_0 src1_sel:DWORD
	v_and_b32_e32 v17, 0xffff, v15
	v_cmp_lt_u32_e64 s[26:27], 7, v9
	v_mov_b32_dpp v13, v11 row_shr:8 row_mask:0xf bank_mask:0xf
	v_cndmask_b32_e64 v5, v5, v15, s[26:27]
	v_cndmask_b32_e64 v7, v7, v17, s[26:27]
	s_and_b64 s[26:27], s[26:27], s[28:29]
	v_cndmask_b32_e64 v9, 0, v13, s[26:27]
	v_add_u32_e32 v9, v9, v11
	v_mov_b32_dpp v13, v7 row_bcast:15 row_mask:0xf bank_mask:0xf
	v_cmp_eq_u16_sdwa s[26:27], v5, v26 src0_sel:BYTE_0 src1_sel:DWORD
	v_mov_b32_dpp v11, v9 row_bcast:15 row_mask:0xf bank_mask:0xf
	v_and_b32_e32 v19, 1, v5
	v_cndmask_b32_e64 v11, 0, v11, s[26:27]
	v_and_b32_e32 v13, 1, v13
	v_cmp_eq_u32_e64 s[26:27], 1, v19
	v_and_b32_e32 v17, 16, v3
	v_cndmask_b32_e64 v13, v13, 1, s[26:27]
	v_and_b32_e32 v19, 0xffff, v13
	v_cmp_eq_u32_e64 s[26:27], 0, v17
	v_cndmask_b32_e64 v5, v13, v5, s[26:27]
	v_cndmask_b32_e64 v7, v19, v7, s[26:27]
	v_bfe_i32 v15, v3, 4, 1
	v_and_b32_e32 v13, 1, v5
	v_mov_b32_dpp v7, v7 row_bcast:31 row_mask:0xf bank_mask:0xf
	v_and_b32_e32 v11, v15, v11
	v_and_b32_e32 v7, 1, v7
	v_cmp_eq_u32_e64 s[26:27], 1, v13
	v_add_u32_e32 v9, v11, v9
	v_cmp_eq_u16_sdwa s[28:29], v5, v26 src0_sel:BYTE_0 src1_sel:DWORD
	v_cndmask_b32_e64 v7, v7, 1, s[26:27]
	v_cmp_lt_u32_e64 s[26:27], 31, v3
	v_mov_b32_dpp v11, v9 row_bcast:31 row_mask:0xf bank_mask:0xf
	v_cndmask_b32_e64 v5, v5, v7, s[26:27]
	s_and_b64 s[26:27], s[26:27], s[28:29]
	v_cndmask_b32_e64 v7, 0, v11, s[26:27]
	v_add_u32_e32 v7, v7, v9
	v_cmp_eq_u32_e64 s[26:27], v53, v0
	s_and_saveexec_b64 s[28:29], s[26:27]
	s_cbranch_execz .LBB1746_134
; %bb.133:
	v_lshlrev_b32_e32 v9, 3, v1
	ds_write_b32 v9, v7
	ds_write_b8 v9, v5 offset:4
.LBB1746_134:
	s_or_b64 exec, exec, s[28:29]
	v_cmp_gt_u32_e64 s[26:27], 4, v0
	s_waitcnt lgkmcnt(0)
	s_barrier
	s_and_saveexec_b64 s[28:29], s[26:27]
	s_cbranch_execz .LBB1746_138
; %bb.135:
	v_lshlrev_b32_e32 v9, 3, v0
	ds_read_b64 v[26:27], v9
	v_and_b32_e32 v11, 3, v3
	v_cmp_ne_u32_e64 s[26:27], 0, v11
	s_waitcnt lgkmcnt(0)
	v_mov_b32_dpp v13, v26 row_shr:1 row_mask:0xf bank_mask:0xf
	v_mov_b32_dpp v17, v27 row_shr:1 row_mask:0xf bank_mask:0xf
	v_mov_b32_e32 v15, v27
	s_and_saveexec_b64 s[30:31], s[26:27]
	s_cbranch_execz .LBB1746_137
; %bb.136:
	v_and_b32_e32 v15, 1, v27
	v_and_b32_e32 v17, 1, v17
	v_cmp_eq_u32_e64 s[26:27], 1, v15
	v_mov_b32_e32 v15, 0
	v_cndmask_b32_e64 v17, v17, 1, s[26:27]
	v_cmp_eq_u16_sdwa s[26:27], v27, v15 src0_sel:BYTE_0 src1_sel:DWORD
	v_cndmask_b32_e64 v13, 0, v13, s[26:27]
	v_add_u32_e32 v26, v13, v26
	v_and_b32_e32 v13, 0xffff, v17
	s_movk_i32 s26, 0xff00
	v_and_or_b32 v15, v27, s26, v13
	v_mov_b32_e32 v27, v17
.LBB1746_137:
	s_or_b64 exec, exec, s[30:31]
	v_mov_b32_dpp v15, v15 row_shr:2 row_mask:0xf bank_mask:0xf
	v_and_b32_e32 v17, 1, v27
	v_and_b32_e32 v15, 1, v15
	v_cmp_eq_u32_e64 s[26:27], 1, v17
	v_mov_b32_e32 v17, 0
	v_cndmask_b32_e64 v15, v15, 1, s[26:27]
	v_cmp_eq_u16_sdwa s[30:31], v27, v17 src0_sel:BYTE_0 src1_sel:DWORD
	v_cmp_lt_u32_e64 s[26:27], 1, v11
	v_mov_b32_dpp v13, v26 row_shr:2 row_mask:0xf bank_mask:0xf
	v_cndmask_b32_e64 v11, v27, v15, s[26:27]
	s_and_b64 s[26:27], s[26:27], s[30:31]
	v_cndmask_b32_e64 v13, 0, v13, s[26:27]
	v_add_u32_e32 v13, v13, v26
	ds_write_b32 v9, v13
	ds_write_b8 v9, v11 offset:4
.LBB1746_138:
	s_or_b64 exec, exec, s[28:29]
	v_cmp_lt_u32_e64 s[26:27], 63, v0
	s_waitcnt vmcnt(0)
	v_mov_b32_e32 v9, v32
	s_waitcnt lgkmcnt(0)
	s_barrier
	s_and_saveexec_b64 s[28:29], s[26:27]
	s_cbranch_execz .LBB1746_140
; %bb.139:
	v_lshl_add_u32 v1, v1, 3, -8
	ds_read_u8 v9, v1 offset:4
	ds_read_b32 v1, v1
	s_waitcnt lgkmcnt(1)
	v_cmp_eq_u16_e64 s[26:27], 0, v9
	v_cndmask_b32_e64 v9, 0, v32, s[26:27]
	s_waitcnt lgkmcnt(0)
	v_add_u32_e32 v9, v9, v1
.LBB1746_140:
	s_or_b64 exec, exec, s[28:29]
	v_mov_b32_e32 v28, 0
	v_cmp_eq_u16_sdwa s[26:27], v5, v28 src0_sel:BYTE_0 src1_sel:DWORD
	v_cndmask_b32_e64 v1, 0, v9, s[26:27]
	v_add_u32_e32 v1, v1, v7
	v_add_u32_e32 v5, -1, v3
	v_and_b32_e32 v7, 64, v3
	v_cmp_lt_i32_e64 s[26:27], v5, v7
	v_cndmask_b32_e64 v5, v5, v3, s[26:27]
	v_lshlrev_b32_e32 v5, 2, v5
	ds_bpermute_b32 v1, v5, v1
	v_cmp_eq_u32_e64 s[26:27], 0, v3
	v_and_b32_e32 v29, 0xff, v41
	s_waitcnt lgkmcnt(0)
	v_cndmask_b32_e64 v26, v1, v9, s[26:27]
	v_cndmask_b32_e64 v1, v26, v32, s[0:1]
	v_cmp_eq_u64_e64 s[26:27], 0, v[28:29]
	v_cndmask_b32_e64 v1, 0, v1, s[26:27]
	v_add_u32_e32 v27, v1, v40
	v_cndmask_b32_e32 v1, 0, v27, vcc
	v_add_u32_e32 v44, v1, v8
	v_cndmask_b32_e64 v1, 0, v44, s[4:5]
	v_add_u32_e32 v45, v1, v6
	v_cndmask_b32_e64 v1, 0, v45, s[6:7]
	;; [unrolled: 2-line block ×11, first 2 shown]
	s_and_saveexec_b64 s[4:5], s[0:1]
	s_cbranch_execz .LBB1746_142
; %bb.141:
	ds_read_u8 v3, v28 offset:28
	ds_read_b32 v2, v28 offset:24
	s_add_u32 s0, s44, 0x400
	s_addc_u32 s1, s45, 0
	v_mov_b32_e32 v5, v28
	s_waitcnt lgkmcnt(1)
	v_cmp_eq_u16_e32 vcc, 0, v3
	v_cndmask_b32_e32 v4, 0, v32, vcc
	s_waitcnt lgkmcnt(0)
	v_add_u32_e32 v2, v4, v2
	v_and_b32_e32 v3, 0xffff, v3
	v_mov_b32_e32 v4, 2
	v_pk_mov_b32 v[6:7], s[0:1], s[0:1] op_sel:[0,1]
	;;#ASMSTART
	global_store_dwordx4 v[6:7], v[2:5] off	
s_waitcnt vmcnt(0)
	;;#ASMEND
	v_mov_b32_e32 v26, v32
.LBB1746_142:
	s_or_b64 exec, exec, s[4:5]
	v_add_u32_e32 v51, v1, v24
.LBB1746_143:
	s_add_u32 s0, s42, s34
	s_addc_u32 s1, s43, s35
	v_mov_b32_e32 v1, s1
	v_add_co_u32_e32 v18, vcc, s0, v38
	v_addc_co_u32_e32 v19, vcc, v1, v39, vcc
	v_mul_u32_u24_e32 v1, 14, v0
	s_and_b64 vcc, exec, s[2:3]
	v_lshlrev_b32_e32 v2, 2, v1
	s_cbranch_vccz .LBB1746_171
; %bb.144:
	s_movk_i32 s0, 0xffcc
	v_mad_i32_i24 v3, v0, s0, v2
	s_barrier
	ds_write2_b64 v2, v[26:27], v[44:45] offset1:1
	ds_write2_b64 v2, v[30:31], v[46:47] offset0:2 offset1:3
	ds_write2_b64 v2, v[34:35], v[48:49] offset0:4 offset1:5
	ds_write_b64 v2, v[50:51] offset:48
	s_waitcnt lgkmcnt(0)
	s_barrier
	ds_read2st64_b32 v[16:17], v3 offset0:4 offset1:8
	ds_read2st64_b32 v[14:15], v3 offset0:12 offset1:16
	;; [unrolled: 1-line block ×6, first 2 shown]
	ds_read_b32 v3, v3 offset:13312
	v_add_co_u32_e32 v4, vcc, v18, v52
	s_add_i32 s33, s33, s46
	v_addc_co_u32_e32 v5, vcc, 0, v19, vcc
	v_mov_b32_e32 v1, 0
	v_cmp_gt_u32_e32 vcc, s33, v0
	s_and_saveexec_b64 s[0:1], vcc
	s_cbranch_execz .LBB1746_146
; %bb.145:
	v_mul_i32_i24_e32 v20, 0xffffffcc, v0
	v_add_u32_e32 v20, v2, v20
	ds_read_b32 v20, v20
	s_waitcnt lgkmcnt(0)
	v_cvt_f32_i32_e32 v20, v20
	flat_store_dword v[4:5], v20
.LBB1746_146:
	s_or_b64 exec, exec, s[0:1]
	v_or_b32_e32 v20, 0x100, v0
	v_cmp_gt_u32_e32 vcc, s33, v20
	s_and_saveexec_b64 s[0:1], vcc
	s_cbranch_execz .LBB1746_148
; %bb.147:
	s_waitcnt lgkmcnt(0)
	v_cvt_f32_i32_e32 v16, v16
	flat_store_dword v[4:5], v16 offset:1024
.LBB1746_148:
	s_or_b64 exec, exec, s[0:1]
	s_waitcnt lgkmcnt(0)
	v_or_b32_e32 v16, 0x200, v0
	v_cmp_gt_u32_e32 vcc, s33, v16
	s_and_saveexec_b64 s[0:1], vcc
	s_cbranch_execz .LBB1746_150
; %bb.149:
	v_cvt_f32_i32_e32 v16, v17
	flat_store_dword v[4:5], v16 offset:2048
.LBB1746_150:
	s_or_b64 exec, exec, s[0:1]
	v_or_b32_e32 v16, 0x300, v0
	v_cmp_gt_u32_e32 vcc, s33, v16
	s_and_saveexec_b64 s[0:1], vcc
	s_cbranch_execz .LBB1746_152
; %bb.151:
	v_cvt_f32_i32_e32 v14, v14
	flat_store_dword v[4:5], v14 offset:3072
.LBB1746_152:
	s_or_b64 exec, exec, s[0:1]
	v_or_b32_e32 v14, 0x400, v0
	v_cmp_gt_u32_e32 vcc, s33, v14
	s_and_saveexec_b64 s[0:1], vcc
	s_cbranch_execz .LBB1746_154
; %bb.153:
	v_cvt_f32_i32_e32 v16, v15
	v_add_co_u32_e32 v14, vcc, 0x1000, v4
	v_addc_co_u32_e32 v15, vcc, 0, v5, vcc
	flat_store_dword v[14:15], v16
.LBB1746_154:
	s_or_b64 exec, exec, s[0:1]
	v_or_b32_e32 v14, 0x500, v0
	v_cmp_gt_u32_e32 vcc, s33, v14
	s_and_saveexec_b64 s[0:1], vcc
	s_cbranch_execz .LBB1746_156
; %bb.155:
	v_cvt_f32_i32_e32 v12, v12
	v_add_co_u32_e32 v14, vcc, 0x1000, v4
	v_addc_co_u32_e32 v15, vcc, 0, v5, vcc
	flat_store_dword v[14:15], v12 offset:1024
.LBB1746_156:
	s_or_b64 exec, exec, s[0:1]
	v_or_b32_e32 v12, 0x600, v0
	v_cmp_gt_u32_e32 vcc, s33, v12
	s_and_saveexec_b64 s[0:1], vcc
	s_cbranch_execz .LBB1746_158
; %bb.157:
	v_cvt_f32_i32_e32 v14, v13
	v_add_co_u32_e32 v12, vcc, 0x1000, v4
	v_addc_co_u32_e32 v13, vcc, 0, v5, vcc
	flat_store_dword v[12:13], v14 offset:2048
.LBB1746_158:
	;; [unrolled: 11-line block ×3, first 2 shown]
	s_or_b64 exec, exec, s[0:1]
	v_or_b32_e32 v10, 0x800, v0
	v_cmp_gt_u32_e32 vcc, s33, v10
	s_and_saveexec_b64 s[0:1], vcc
	s_cbranch_execz .LBB1746_162
; %bb.161:
	v_cvt_f32_i32_e32 v12, v11
	v_add_co_u32_e32 v10, vcc, 0x2000, v4
	v_addc_co_u32_e32 v11, vcc, 0, v5, vcc
	flat_store_dword v[10:11], v12
.LBB1746_162:
	s_or_b64 exec, exec, s[0:1]
	v_or_b32_e32 v10, 0x900, v0
	v_cmp_gt_u32_e32 vcc, s33, v10
	s_and_saveexec_b64 s[0:1], vcc
	s_cbranch_execz .LBB1746_164
; %bb.163:
	v_cvt_f32_i32_e32 v8, v8
	v_add_co_u32_e32 v10, vcc, 0x2000, v4
	v_addc_co_u32_e32 v11, vcc, 0, v5, vcc
	flat_store_dword v[10:11], v8 offset:1024
.LBB1746_164:
	s_or_b64 exec, exec, s[0:1]
	v_or_b32_e32 v8, 0xa00, v0
	v_cmp_gt_u32_e32 vcc, s33, v8
	s_and_saveexec_b64 s[0:1], vcc
	s_cbranch_execz .LBB1746_166
; %bb.165:
	v_cvt_f32_i32_e32 v10, v9
	v_add_co_u32_e32 v8, vcc, 0x2000, v4
	v_addc_co_u32_e32 v9, vcc, 0, v5, vcc
	flat_store_dword v[8:9], v10 offset:2048
.LBB1746_166:
	;; [unrolled: 11-line block ×3, first 2 shown]
	s_or_b64 exec, exec, s[0:1]
	v_or_b32_e32 v6, 0xc00, v0
	v_cmp_gt_u32_e32 vcc, s33, v6
	s_and_saveexec_b64 s[0:1], vcc
	s_cbranch_execz .LBB1746_170
; %bb.169:
	v_cvt_f32_i32_e32 v6, v7
	v_add_co_u32_e32 v4, vcc, 0x3000, v4
	v_addc_co_u32_e32 v5, vcc, 0, v5, vcc
	flat_store_dword v[4:5], v6
.LBB1746_170:
	s_or_b64 exec, exec, s[0:1]
	v_or_b32_e32 v4, 0xd00, v0
	v_cmp_gt_u32_e64 s[0:1], s33, v4
	s_branch .LBB1746_173
.LBB1746_171:
	s_mov_b64 s[0:1], 0
                                        ; implicit-def: $vgpr3
	s_cbranch_execz .LBB1746_173
; %bb.172:
	s_movk_i32 s2, 0xffcc
	s_waitcnt lgkmcnt(0)
	s_barrier
	ds_write2_b64 v2, v[26:27], v[44:45] offset1:1
	ds_write2_b64 v2, v[30:31], v[46:47] offset0:2 offset1:3
	ds_write2_b64 v2, v[34:35], v[48:49] offset0:4 offset1:5
	ds_write_b64 v2, v[50:51] offset:48
	v_mad_i32_i24 v2, v0, s2, v2
	s_waitcnt lgkmcnt(0)
	s_barrier
	ds_read2st64_b32 v[4:5], v2 offset1:4
	ds_read2st64_b32 v[6:7], v2 offset0:8 offset1:12
	ds_read2st64_b32 v[8:9], v2 offset0:16 offset1:20
	;; [unrolled: 1-line block ×6, first 2 shown]
	s_waitcnt lgkmcnt(0)
	v_cvt_f32_i32_e32 v4, v4
	v_cvt_f32_i32_e32 v5, v5
	v_add_co_u32_e32 v16, vcc, v18, v52
	v_cvt_f32_i32_e32 v6, v6
	v_addc_co_u32_e32 v17, vcc, 0, v19, vcc
	v_cvt_f32_i32_e32 v7, v7
	flat_store_dword v[16:17], v4
	flat_store_dword v[16:17], v5 offset:1024
	flat_store_dword v[16:17], v6 offset:2048
	;; [unrolled: 1-line block ×3, first 2 shown]
	v_cvt_f32_i32_e32 v6, v8
	s_movk_i32 s2, 0x1000
	v_cvt_f32_i32_e32 v7, v9
	v_add_co_u32_e32 v4, vcc, s2, v16
	v_cvt_f32_i32_e32 v8, v10
	v_addc_co_u32_e32 v5, vcc, 0, v17, vcc
	v_cvt_f32_i32_e32 v9, v11
	flat_store_dword v[4:5], v6
	flat_store_dword v[4:5], v7 offset:1024
	flat_store_dword v[4:5], v8 offset:2048
	;; [unrolled: 1-line block ×3, first 2 shown]
	v_cvt_f32_i32_e32 v6, v12
	s_movk_i32 s2, 0x2000
	v_cvt_f32_i32_e32 v7, v13
	v_add_co_u32_e32 v4, vcc, s2, v16
	v_cvt_f32_i32_e32 v8, v14
	v_cvt_f32_i32_e32 v2, v2
	v_addc_co_u32_e32 v5, vcc, 0, v17, vcc
	v_cvt_f32_i32_e32 v9, v15
	flat_store_dword v[4:5], v6
	flat_store_dword v[4:5], v7 offset:1024
	flat_store_dword v[4:5], v8 offset:2048
	;; [unrolled: 1-line block ×3, first 2 shown]
	v_add_co_u32_e32 v4, vcc, 0x3000, v16
	v_mov_b32_e32 v1, 0
	v_addc_co_u32_e32 v5, vcc, 0, v17, vcc
	s_or_b64 s[0:1], s[0:1], exec
	flat_store_dword v[4:5], v2
.LBB1746_173:
	s_and_saveexec_b64 s[2:3], s[0:1]
	s_cbranch_execz .LBB1746_175
; %bb.174:
	v_lshlrev_b64 v[0:1], 2, v[0:1]
	v_add_co_u32_e32 v0, vcc, v18, v0
	v_cvt_f32_i32_e32 v2, v3
	v_addc_co_u32_e32 v1, vcc, v19, v1, vcc
	v_add_co_u32_e32 v0, vcc, 0x3000, v0
	v_addc_co_u32_e32 v1, vcc, 0, v1, vcc
	flat_store_dword v[0:1], v2 offset:1024
	s_endpgm
.LBB1746_175:
	s_endpgm
	.section	.rodata,"a",@progbits
	.p2align	6, 0x0
	.amdhsa_kernel _ZN7rocprim17ROCPRIM_400000_NS6detail17trampoline_kernelINS0_14default_configENS1_27scan_by_key_config_selectorIiiEEZZNS1_16scan_by_key_implILNS1_25lookback_scan_determinismE0ELb1ES3_N6thrust23THRUST_200600_302600_NS6detail15normal_iteratorINS9_10device_ptrIiEEEENSB_INSC_IjEEEENSB_INSC_IfEEEEiNS9_4plusIvEENS9_8equal_toIvEEiEE10hipError_tPvRmT2_T3_T4_T5_mT6_T7_P12ihipStream_tbENKUlT_T0_E_clISt17integral_constantIbLb0EES12_IbLb1EEEEDaSY_SZ_EUlSY_E_NS1_11comp_targetILNS1_3genE4ELNS1_11target_archE910ELNS1_3gpuE8ELNS1_3repE0EEENS1_30default_config_static_selectorELNS0_4arch9wavefront6targetE1EEEvT1_
		.amdhsa_group_segment_fixed_size 16384
		.amdhsa_private_segment_fixed_size 0
		.amdhsa_kernarg_size 112
		.amdhsa_user_sgpr_count 6
		.amdhsa_user_sgpr_private_segment_buffer 1
		.amdhsa_user_sgpr_dispatch_ptr 0
		.amdhsa_user_sgpr_queue_ptr 0
		.amdhsa_user_sgpr_kernarg_segment_ptr 1
		.amdhsa_user_sgpr_dispatch_id 0
		.amdhsa_user_sgpr_flat_scratch_init 0
		.amdhsa_user_sgpr_kernarg_preload_length 0
		.amdhsa_user_sgpr_kernarg_preload_offset 0
		.amdhsa_user_sgpr_private_segment_size 0
		.amdhsa_uses_dynamic_stack 0
		.amdhsa_system_sgpr_private_segment_wavefront_offset 0
		.amdhsa_system_sgpr_workgroup_id_x 1
		.amdhsa_system_sgpr_workgroup_id_y 0
		.amdhsa_system_sgpr_workgroup_id_z 0
		.amdhsa_system_sgpr_workgroup_info 0
		.amdhsa_system_vgpr_workitem_id 0
		.amdhsa_next_free_vgpr 67
		.amdhsa_next_free_sgpr 60
		.amdhsa_accum_offset 68
		.amdhsa_reserve_vcc 1
		.amdhsa_reserve_flat_scratch 0
		.amdhsa_float_round_mode_32 0
		.amdhsa_float_round_mode_16_64 0
		.amdhsa_float_denorm_mode_32 3
		.amdhsa_float_denorm_mode_16_64 3
		.amdhsa_dx10_clamp 1
		.amdhsa_ieee_mode 1
		.amdhsa_fp16_overflow 0
		.amdhsa_tg_split 0
		.amdhsa_exception_fp_ieee_invalid_op 0
		.amdhsa_exception_fp_denorm_src 0
		.amdhsa_exception_fp_ieee_div_zero 0
		.amdhsa_exception_fp_ieee_overflow 0
		.amdhsa_exception_fp_ieee_underflow 0
		.amdhsa_exception_fp_ieee_inexact 0
		.amdhsa_exception_int_div_zero 0
	.end_amdhsa_kernel
	.section	.text._ZN7rocprim17ROCPRIM_400000_NS6detail17trampoline_kernelINS0_14default_configENS1_27scan_by_key_config_selectorIiiEEZZNS1_16scan_by_key_implILNS1_25lookback_scan_determinismE0ELb1ES3_N6thrust23THRUST_200600_302600_NS6detail15normal_iteratorINS9_10device_ptrIiEEEENSB_INSC_IjEEEENSB_INSC_IfEEEEiNS9_4plusIvEENS9_8equal_toIvEEiEE10hipError_tPvRmT2_T3_T4_T5_mT6_T7_P12ihipStream_tbENKUlT_T0_E_clISt17integral_constantIbLb0EES12_IbLb1EEEEDaSY_SZ_EUlSY_E_NS1_11comp_targetILNS1_3genE4ELNS1_11target_archE910ELNS1_3gpuE8ELNS1_3repE0EEENS1_30default_config_static_selectorELNS0_4arch9wavefront6targetE1EEEvT1_,"axG",@progbits,_ZN7rocprim17ROCPRIM_400000_NS6detail17trampoline_kernelINS0_14default_configENS1_27scan_by_key_config_selectorIiiEEZZNS1_16scan_by_key_implILNS1_25lookback_scan_determinismE0ELb1ES3_N6thrust23THRUST_200600_302600_NS6detail15normal_iteratorINS9_10device_ptrIiEEEENSB_INSC_IjEEEENSB_INSC_IfEEEEiNS9_4plusIvEENS9_8equal_toIvEEiEE10hipError_tPvRmT2_T3_T4_T5_mT6_T7_P12ihipStream_tbENKUlT_T0_E_clISt17integral_constantIbLb0EES12_IbLb1EEEEDaSY_SZ_EUlSY_E_NS1_11comp_targetILNS1_3genE4ELNS1_11target_archE910ELNS1_3gpuE8ELNS1_3repE0EEENS1_30default_config_static_selectorELNS0_4arch9wavefront6targetE1EEEvT1_,comdat
.Lfunc_end1746:
	.size	_ZN7rocprim17ROCPRIM_400000_NS6detail17trampoline_kernelINS0_14default_configENS1_27scan_by_key_config_selectorIiiEEZZNS1_16scan_by_key_implILNS1_25lookback_scan_determinismE0ELb1ES3_N6thrust23THRUST_200600_302600_NS6detail15normal_iteratorINS9_10device_ptrIiEEEENSB_INSC_IjEEEENSB_INSC_IfEEEEiNS9_4plusIvEENS9_8equal_toIvEEiEE10hipError_tPvRmT2_T3_T4_T5_mT6_T7_P12ihipStream_tbENKUlT_T0_E_clISt17integral_constantIbLb0EES12_IbLb1EEEEDaSY_SZ_EUlSY_E_NS1_11comp_targetILNS1_3genE4ELNS1_11target_archE910ELNS1_3gpuE8ELNS1_3repE0EEENS1_30default_config_static_selectorELNS0_4arch9wavefront6targetE1EEEvT1_, .Lfunc_end1746-_ZN7rocprim17ROCPRIM_400000_NS6detail17trampoline_kernelINS0_14default_configENS1_27scan_by_key_config_selectorIiiEEZZNS1_16scan_by_key_implILNS1_25lookback_scan_determinismE0ELb1ES3_N6thrust23THRUST_200600_302600_NS6detail15normal_iteratorINS9_10device_ptrIiEEEENSB_INSC_IjEEEENSB_INSC_IfEEEEiNS9_4plusIvEENS9_8equal_toIvEEiEE10hipError_tPvRmT2_T3_T4_T5_mT6_T7_P12ihipStream_tbENKUlT_T0_E_clISt17integral_constantIbLb0EES12_IbLb1EEEEDaSY_SZ_EUlSY_E_NS1_11comp_targetILNS1_3genE4ELNS1_11target_archE910ELNS1_3gpuE8ELNS1_3repE0EEENS1_30default_config_static_selectorELNS0_4arch9wavefront6targetE1EEEvT1_
                                        ; -- End function
	.section	.AMDGPU.csdata,"",@progbits
; Kernel info:
; codeLenInByte = 11276
; NumSgprs: 64
; NumVgprs: 67
; NumAgprs: 0
; TotalNumVgprs: 67
; ScratchSize: 0
; MemoryBound: 0
; FloatMode: 240
; IeeeMode: 1
; LDSByteSize: 16384 bytes/workgroup (compile time only)
; SGPRBlocks: 7
; VGPRBlocks: 8
; NumSGPRsForWavesPerEU: 64
; NumVGPRsForWavesPerEU: 67
; AccumOffset: 68
; Occupancy: 4
; WaveLimiterHint : 1
; COMPUTE_PGM_RSRC2:SCRATCH_EN: 0
; COMPUTE_PGM_RSRC2:USER_SGPR: 6
; COMPUTE_PGM_RSRC2:TRAP_HANDLER: 0
; COMPUTE_PGM_RSRC2:TGID_X_EN: 1
; COMPUTE_PGM_RSRC2:TGID_Y_EN: 0
; COMPUTE_PGM_RSRC2:TGID_Z_EN: 0
; COMPUTE_PGM_RSRC2:TIDIG_COMP_CNT: 0
; COMPUTE_PGM_RSRC3_GFX90A:ACCUM_OFFSET: 16
; COMPUTE_PGM_RSRC3_GFX90A:TG_SPLIT: 0
	.section	.text._ZN7rocprim17ROCPRIM_400000_NS6detail17trampoline_kernelINS0_14default_configENS1_27scan_by_key_config_selectorIiiEEZZNS1_16scan_by_key_implILNS1_25lookback_scan_determinismE0ELb1ES3_N6thrust23THRUST_200600_302600_NS6detail15normal_iteratorINS9_10device_ptrIiEEEENSB_INSC_IjEEEENSB_INSC_IfEEEEiNS9_4plusIvEENS9_8equal_toIvEEiEE10hipError_tPvRmT2_T3_T4_T5_mT6_T7_P12ihipStream_tbENKUlT_T0_E_clISt17integral_constantIbLb0EES12_IbLb1EEEEDaSY_SZ_EUlSY_E_NS1_11comp_targetILNS1_3genE3ELNS1_11target_archE908ELNS1_3gpuE7ELNS1_3repE0EEENS1_30default_config_static_selectorELNS0_4arch9wavefront6targetE1EEEvT1_,"axG",@progbits,_ZN7rocprim17ROCPRIM_400000_NS6detail17trampoline_kernelINS0_14default_configENS1_27scan_by_key_config_selectorIiiEEZZNS1_16scan_by_key_implILNS1_25lookback_scan_determinismE0ELb1ES3_N6thrust23THRUST_200600_302600_NS6detail15normal_iteratorINS9_10device_ptrIiEEEENSB_INSC_IjEEEENSB_INSC_IfEEEEiNS9_4plusIvEENS9_8equal_toIvEEiEE10hipError_tPvRmT2_T3_T4_T5_mT6_T7_P12ihipStream_tbENKUlT_T0_E_clISt17integral_constantIbLb0EES12_IbLb1EEEEDaSY_SZ_EUlSY_E_NS1_11comp_targetILNS1_3genE3ELNS1_11target_archE908ELNS1_3gpuE7ELNS1_3repE0EEENS1_30default_config_static_selectorELNS0_4arch9wavefront6targetE1EEEvT1_,comdat
	.protected	_ZN7rocprim17ROCPRIM_400000_NS6detail17trampoline_kernelINS0_14default_configENS1_27scan_by_key_config_selectorIiiEEZZNS1_16scan_by_key_implILNS1_25lookback_scan_determinismE0ELb1ES3_N6thrust23THRUST_200600_302600_NS6detail15normal_iteratorINS9_10device_ptrIiEEEENSB_INSC_IjEEEENSB_INSC_IfEEEEiNS9_4plusIvEENS9_8equal_toIvEEiEE10hipError_tPvRmT2_T3_T4_T5_mT6_T7_P12ihipStream_tbENKUlT_T0_E_clISt17integral_constantIbLb0EES12_IbLb1EEEEDaSY_SZ_EUlSY_E_NS1_11comp_targetILNS1_3genE3ELNS1_11target_archE908ELNS1_3gpuE7ELNS1_3repE0EEENS1_30default_config_static_selectorELNS0_4arch9wavefront6targetE1EEEvT1_ ; -- Begin function _ZN7rocprim17ROCPRIM_400000_NS6detail17trampoline_kernelINS0_14default_configENS1_27scan_by_key_config_selectorIiiEEZZNS1_16scan_by_key_implILNS1_25lookback_scan_determinismE0ELb1ES3_N6thrust23THRUST_200600_302600_NS6detail15normal_iteratorINS9_10device_ptrIiEEEENSB_INSC_IjEEEENSB_INSC_IfEEEEiNS9_4plusIvEENS9_8equal_toIvEEiEE10hipError_tPvRmT2_T3_T4_T5_mT6_T7_P12ihipStream_tbENKUlT_T0_E_clISt17integral_constantIbLb0EES12_IbLb1EEEEDaSY_SZ_EUlSY_E_NS1_11comp_targetILNS1_3genE3ELNS1_11target_archE908ELNS1_3gpuE7ELNS1_3repE0EEENS1_30default_config_static_selectorELNS0_4arch9wavefront6targetE1EEEvT1_
	.globl	_ZN7rocprim17ROCPRIM_400000_NS6detail17trampoline_kernelINS0_14default_configENS1_27scan_by_key_config_selectorIiiEEZZNS1_16scan_by_key_implILNS1_25lookback_scan_determinismE0ELb1ES3_N6thrust23THRUST_200600_302600_NS6detail15normal_iteratorINS9_10device_ptrIiEEEENSB_INSC_IjEEEENSB_INSC_IfEEEEiNS9_4plusIvEENS9_8equal_toIvEEiEE10hipError_tPvRmT2_T3_T4_T5_mT6_T7_P12ihipStream_tbENKUlT_T0_E_clISt17integral_constantIbLb0EES12_IbLb1EEEEDaSY_SZ_EUlSY_E_NS1_11comp_targetILNS1_3genE3ELNS1_11target_archE908ELNS1_3gpuE7ELNS1_3repE0EEENS1_30default_config_static_selectorELNS0_4arch9wavefront6targetE1EEEvT1_
	.p2align	8
	.type	_ZN7rocprim17ROCPRIM_400000_NS6detail17trampoline_kernelINS0_14default_configENS1_27scan_by_key_config_selectorIiiEEZZNS1_16scan_by_key_implILNS1_25lookback_scan_determinismE0ELb1ES3_N6thrust23THRUST_200600_302600_NS6detail15normal_iteratorINS9_10device_ptrIiEEEENSB_INSC_IjEEEENSB_INSC_IfEEEEiNS9_4plusIvEENS9_8equal_toIvEEiEE10hipError_tPvRmT2_T3_T4_T5_mT6_T7_P12ihipStream_tbENKUlT_T0_E_clISt17integral_constantIbLb0EES12_IbLb1EEEEDaSY_SZ_EUlSY_E_NS1_11comp_targetILNS1_3genE3ELNS1_11target_archE908ELNS1_3gpuE7ELNS1_3repE0EEENS1_30default_config_static_selectorELNS0_4arch9wavefront6targetE1EEEvT1_,@function
_ZN7rocprim17ROCPRIM_400000_NS6detail17trampoline_kernelINS0_14default_configENS1_27scan_by_key_config_selectorIiiEEZZNS1_16scan_by_key_implILNS1_25lookback_scan_determinismE0ELb1ES3_N6thrust23THRUST_200600_302600_NS6detail15normal_iteratorINS9_10device_ptrIiEEEENSB_INSC_IjEEEENSB_INSC_IfEEEEiNS9_4plusIvEENS9_8equal_toIvEEiEE10hipError_tPvRmT2_T3_T4_T5_mT6_T7_P12ihipStream_tbENKUlT_T0_E_clISt17integral_constantIbLb0EES12_IbLb1EEEEDaSY_SZ_EUlSY_E_NS1_11comp_targetILNS1_3genE3ELNS1_11target_archE908ELNS1_3gpuE7ELNS1_3repE0EEENS1_30default_config_static_selectorELNS0_4arch9wavefront6targetE1EEEvT1_: ; @_ZN7rocprim17ROCPRIM_400000_NS6detail17trampoline_kernelINS0_14default_configENS1_27scan_by_key_config_selectorIiiEEZZNS1_16scan_by_key_implILNS1_25lookback_scan_determinismE0ELb1ES3_N6thrust23THRUST_200600_302600_NS6detail15normal_iteratorINS9_10device_ptrIiEEEENSB_INSC_IjEEEENSB_INSC_IfEEEEiNS9_4plusIvEENS9_8equal_toIvEEiEE10hipError_tPvRmT2_T3_T4_T5_mT6_T7_P12ihipStream_tbENKUlT_T0_E_clISt17integral_constantIbLb0EES12_IbLb1EEEEDaSY_SZ_EUlSY_E_NS1_11comp_targetILNS1_3genE3ELNS1_11target_archE908ELNS1_3gpuE7ELNS1_3repE0EEENS1_30default_config_static_selectorELNS0_4arch9wavefront6targetE1EEEvT1_
; %bb.0:
	.section	.rodata,"a",@progbits
	.p2align	6, 0x0
	.amdhsa_kernel _ZN7rocprim17ROCPRIM_400000_NS6detail17trampoline_kernelINS0_14default_configENS1_27scan_by_key_config_selectorIiiEEZZNS1_16scan_by_key_implILNS1_25lookback_scan_determinismE0ELb1ES3_N6thrust23THRUST_200600_302600_NS6detail15normal_iteratorINS9_10device_ptrIiEEEENSB_INSC_IjEEEENSB_INSC_IfEEEEiNS9_4plusIvEENS9_8equal_toIvEEiEE10hipError_tPvRmT2_T3_T4_T5_mT6_T7_P12ihipStream_tbENKUlT_T0_E_clISt17integral_constantIbLb0EES12_IbLb1EEEEDaSY_SZ_EUlSY_E_NS1_11comp_targetILNS1_3genE3ELNS1_11target_archE908ELNS1_3gpuE7ELNS1_3repE0EEENS1_30default_config_static_selectorELNS0_4arch9wavefront6targetE1EEEvT1_
		.amdhsa_group_segment_fixed_size 0
		.amdhsa_private_segment_fixed_size 0
		.amdhsa_kernarg_size 112
		.amdhsa_user_sgpr_count 6
		.amdhsa_user_sgpr_private_segment_buffer 1
		.amdhsa_user_sgpr_dispatch_ptr 0
		.amdhsa_user_sgpr_queue_ptr 0
		.amdhsa_user_sgpr_kernarg_segment_ptr 1
		.amdhsa_user_sgpr_dispatch_id 0
		.amdhsa_user_sgpr_flat_scratch_init 0
		.amdhsa_user_sgpr_kernarg_preload_length 0
		.amdhsa_user_sgpr_kernarg_preload_offset 0
		.amdhsa_user_sgpr_private_segment_size 0
		.amdhsa_uses_dynamic_stack 0
		.amdhsa_system_sgpr_private_segment_wavefront_offset 0
		.amdhsa_system_sgpr_workgroup_id_x 1
		.amdhsa_system_sgpr_workgroup_id_y 0
		.amdhsa_system_sgpr_workgroup_id_z 0
		.amdhsa_system_sgpr_workgroup_info 0
		.amdhsa_system_vgpr_workitem_id 0
		.amdhsa_next_free_vgpr 1
		.amdhsa_next_free_sgpr 0
		.amdhsa_accum_offset 4
		.amdhsa_reserve_vcc 0
		.amdhsa_reserve_flat_scratch 0
		.amdhsa_float_round_mode_32 0
		.amdhsa_float_round_mode_16_64 0
		.amdhsa_float_denorm_mode_32 3
		.amdhsa_float_denorm_mode_16_64 3
		.amdhsa_dx10_clamp 1
		.amdhsa_ieee_mode 1
		.amdhsa_fp16_overflow 0
		.amdhsa_tg_split 0
		.amdhsa_exception_fp_ieee_invalid_op 0
		.amdhsa_exception_fp_denorm_src 0
		.amdhsa_exception_fp_ieee_div_zero 0
		.amdhsa_exception_fp_ieee_overflow 0
		.amdhsa_exception_fp_ieee_underflow 0
		.amdhsa_exception_fp_ieee_inexact 0
		.amdhsa_exception_int_div_zero 0
	.end_amdhsa_kernel
	.section	.text._ZN7rocprim17ROCPRIM_400000_NS6detail17trampoline_kernelINS0_14default_configENS1_27scan_by_key_config_selectorIiiEEZZNS1_16scan_by_key_implILNS1_25lookback_scan_determinismE0ELb1ES3_N6thrust23THRUST_200600_302600_NS6detail15normal_iteratorINS9_10device_ptrIiEEEENSB_INSC_IjEEEENSB_INSC_IfEEEEiNS9_4plusIvEENS9_8equal_toIvEEiEE10hipError_tPvRmT2_T3_T4_T5_mT6_T7_P12ihipStream_tbENKUlT_T0_E_clISt17integral_constantIbLb0EES12_IbLb1EEEEDaSY_SZ_EUlSY_E_NS1_11comp_targetILNS1_3genE3ELNS1_11target_archE908ELNS1_3gpuE7ELNS1_3repE0EEENS1_30default_config_static_selectorELNS0_4arch9wavefront6targetE1EEEvT1_,"axG",@progbits,_ZN7rocprim17ROCPRIM_400000_NS6detail17trampoline_kernelINS0_14default_configENS1_27scan_by_key_config_selectorIiiEEZZNS1_16scan_by_key_implILNS1_25lookback_scan_determinismE0ELb1ES3_N6thrust23THRUST_200600_302600_NS6detail15normal_iteratorINS9_10device_ptrIiEEEENSB_INSC_IjEEEENSB_INSC_IfEEEEiNS9_4plusIvEENS9_8equal_toIvEEiEE10hipError_tPvRmT2_T3_T4_T5_mT6_T7_P12ihipStream_tbENKUlT_T0_E_clISt17integral_constantIbLb0EES12_IbLb1EEEEDaSY_SZ_EUlSY_E_NS1_11comp_targetILNS1_3genE3ELNS1_11target_archE908ELNS1_3gpuE7ELNS1_3repE0EEENS1_30default_config_static_selectorELNS0_4arch9wavefront6targetE1EEEvT1_,comdat
.Lfunc_end1747:
	.size	_ZN7rocprim17ROCPRIM_400000_NS6detail17trampoline_kernelINS0_14default_configENS1_27scan_by_key_config_selectorIiiEEZZNS1_16scan_by_key_implILNS1_25lookback_scan_determinismE0ELb1ES3_N6thrust23THRUST_200600_302600_NS6detail15normal_iteratorINS9_10device_ptrIiEEEENSB_INSC_IjEEEENSB_INSC_IfEEEEiNS9_4plusIvEENS9_8equal_toIvEEiEE10hipError_tPvRmT2_T3_T4_T5_mT6_T7_P12ihipStream_tbENKUlT_T0_E_clISt17integral_constantIbLb0EES12_IbLb1EEEEDaSY_SZ_EUlSY_E_NS1_11comp_targetILNS1_3genE3ELNS1_11target_archE908ELNS1_3gpuE7ELNS1_3repE0EEENS1_30default_config_static_selectorELNS0_4arch9wavefront6targetE1EEEvT1_, .Lfunc_end1747-_ZN7rocprim17ROCPRIM_400000_NS6detail17trampoline_kernelINS0_14default_configENS1_27scan_by_key_config_selectorIiiEEZZNS1_16scan_by_key_implILNS1_25lookback_scan_determinismE0ELb1ES3_N6thrust23THRUST_200600_302600_NS6detail15normal_iteratorINS9_10device_ptrIiEEEENSB_INSC_IjEEEENSB_INSC_IfEEEEiNS9_4plusIvEENS9_8equal_toIvEEiEE10hipError_tPvRmT2_T3_T4_T5_mT6_T7_P12ihipStream_tbENKUlT_T0_E_clISt17integral_constantIbLb0EES12_IbLb1EEEEDaSY_SZ_EUlSY_E_NS1_11comp_targetILNS1_3genE3ELNS1_11target_archE908ELNS1_3gpuE7ELNS1_3repE0EEENS1_30default_config_static_selectorELNS0_4arch9wavefront6targetE1EEEvT1_
                                        ; -- End function
	.section	.AMDGPU.csdata,"",@progbits
; Kernel info:
; codeLenInByte = 0
; NumSgprs: 4
; NumVgprs: 0
; NumAgprs: 0
; TotalNumVgprs: 0
; ScratchSize: 0
; MemoryBound: 0
; FloatMode: 240
; IeeeMode: 1
; LDSByteSize: 0 bytes/workgroup (compile time only)
; SGPRBlocks: 0
; VGPRBlocks: 0
; NumSGPRsForWavesPerEU: 4
; NumVGPRsForWavesPerEU: 1
; AccumOffset: 4
; Occupancy: 8
; WaveLimiterHint : 0
; COMPUTE_PGM_RSRC2:SCRATCH_EN: 0
; COMPUTE_PGM_RSRC2:USER_SGPR: 6
; COMPUTE_PGM_RSRC2:TRAP_HANDLER: 0
; COMPUTE_PGM_RSRC2:TGID_X_EN: 1
; COMPUTE_PGM_RSRC2:TGID_Y_EN: 0
; COMPUTE_PGM_RSRC2:TGID_Z_EN: 0
; COMPUTE_PGM_RSRC2:TIDIG_COMP_CNT: 0
; COMPUTE_PGM_RSRC3_GFX90A:ACCUM_OFFSET: 0
; COMPUTE_PGM_RSRC3_GFX90A:TG_SPLIT: 0
	.section	.text._ZN7rocprim17ROCPRIM_400000_NS6detail17trampoline_kernelINS0_14default_configENS1_27scan_by_key_config_selectorIiiEEZZNS1_16scan_by_key_implILNS1_25lookback_scan_determinismE0ELb1ES3_N6thrust23THRUST_200600_302600_NS6detail15normal_iteratorINS9_10device_ptrIiEEEENSB_INSC_IjEEEENSB_INSC_IfEEEEiNS9_4plusIvEENS9_8equal_toIvEEiEE10hipError_tPvRmT2_T3_T4_T5_mT6_T7_P12ihipStream_tbENKUlT_T0_E_clISt17integral_constantIbLb0EES12_IbLb1EEEEDaSY_SZ_EUlSY_E_NS1_11comp_targetILNS1_3genE2ELNS1_11target_archE906ELNS1_3gpuE6ELNS1_3repE0EEENS1_30default_config_static_selectorELNS0_4arch9wavefront6targetE1EEEvT1_,"axG",@progbits,_ZN7rocprim17ROCPRIM_400000_NS6detail17trampoline_kernelINS0_14default_configENS1_27scan_by_key_config_selectorIiiEEZZNS1_16scan_by_key_implILNS1_25lookback_scan_determinismE0ELb1ES3_N6thrust23THRUST_200600_302600_NS6detail15normal_iteratorINS9_10device_ptrIiEEEENSB_INSC_IjEEEENSB_INSC_IfEEEEiNS9_4plusIvEENS9_8equal_toIvEEiEE10hipError_tPvRmT2_T3_T4_T5_mT6_T7_P12ihipStream_tbENKUlT_T0_E_clISt17integral_constantIbLb0EES12_IbLb1EEEEDaSY_SZ_EUlSY_E_NS1_11comp_targetILNS1_3genE2ELNS1_11target_archE906ELNS1_3gpuE6ELNS1_3repE0EEENS1_30default_config_static_selectorELNS0_4arch9wavefront6targetE1EEEvT1_,comdat
	.protected	_ZN7rocprim17ROCPRIM_400000_NS6detail17trampoline_kernelINS0_14default_configENS1_27scan_by_key_config_selectorIiiEEZZNS1_16scan_by_key_implILNS1_25lookback_scan_determinismE0ELb1ES3_N6thrust23THRUST_200600_302600_NS6detail15normal_iteratorINS9_10device_ptrIiEEEENSB_INSC_IjEEEENSB_INSC_IfEEEEiNS9_4plusIvEENS9_8equal_toIvEEiEE10hipError_tPvRmT2_T3_T4_T5_mT6_T7_P12ihipStream_tbENKUlT_T0_E_clISt17integral_constantIbLb0EES12_IbLb1EEEEDaSY_SZ_EUlSY_E_NS1_11comp_targetILNS1_3genE2ELNS1_11target_archE906ELNS1_3gpuE6ELNS1_3repE0EEENS1_30default_config_static_selectorELNS0_4arch9wavefront6targetE1EEEvT1_ ; -- Begin function _ZN7rocprim17ROCPRIM_400000_NS6detail17trampoline_kernelINS0_14default_configENS1_27scan_by_key_config_selectorIiiEEZZNS1_16scan_by_key_implILNS1_25lookback_scan_determinismE0ELb1ES3_N6thrust23THRUST_200600_302600_NS6detail15normal_iteratorINS9_10device_ptrIiEEEENSB_INSC_IjEEEENSB_INSC_IfEEEEiNS9_4plusIvEENS9_8equal_toIvEEiEE10hipError_tPvRmT2_T3_T4_T5_mT6_T7_P12ihipStream_tbENKUlT_T0_E_clISt17integral_constantIbLb0EES12_IbLb1EEEEDaSY_SZ_EUlSY_E_NS1_11comp_targetILNS1_3genE2ELNS1_11target_archE906ELNS1_3gpuE6ELNS1_3repE0EEENS1_30default_config_static_selectorELNS0_4arch9wavefront6targetE1EEEvT1_
	.globl	_ZN7rocprim17ROCPRIM_400000_NS6detail17trampoline_kernelINS0_14default_configENS1_27scan_by_key_config_selectorIiiEEZZNS1_16scan_by_key_implILNS1_25lookback_scan_determinismE0ELb1ES3_N6thrust23THRUST_200600_302600_NS6detail15normal_iteratorINS9_10device_ptrIiEEEENSB_INSC_IjEEEENSB_INSC_IfEEEEiNS9_4plusIvEENS9_8equal_toIvEEiEE10hipError_tPvRmT2_T3_T4_T5_mT6_T7_P12ihipStream_tbENKUlT_T0_E_clISt17integral_constantIbLb0EES12_IbLb1EEEEDaSY_SZ_EUlSY_E_NS1_11comp_targetILNS1_3genE2ELNS1_11target_archE906ELNS1_3gpuE6ELNS1_3repE0EEENS1_30default_config_static_selectorELNS0_4arch9wavefront6targetE1EEEvT1_
	.p2align	8
	.type	_ZN7rocprim17ROCPRIM_400000_NS6detail17trampoline_kernelINS0_14default_configENS1_27scan_by_key_config_selectorIiiEEZZNS1_16scan_by_key_implILNS1_25lookback_scan_determinismE0ELb1ES3_N6thrust23THRUST_200600_302600_NS6detail15normal_iteratorINS9_10device_ptrIiEEEENSB_INSC_IjEEEENSB_INSC_IfEEEEiNS9_4plusIvEENS9_8equal_toIvEEiEE10hipError_tPvRmT2_T3_T4_T5_mT6_T7_P12ihipStream_tbENKUlT_T0_E_clISt17integral_constantIbLb0EES12_IbLb1EEEEDaSY_SZ_EUlSY_E_NS1_11comp_targetILNS1_3genE2ELNS1_11target_archE906ELNS1_3gpuE6ELNS1_3repE0EEENS1_30default_config_static_selectorELNS0_4arch9wavefront6targetE1EEEvT1_,@function
_ZN7rocprim17ROCPRIM_400000_NS6detail17trampoline_kernelINS0_14default_configENS1_27scan_by_key_config_selectorIiiEEZZNS1_16scan_by_key_implILNS1_25lookback_scan_determinismE0ELb1ES3_N6thrust23THRUST_200600_302600_NS6detail15normal_iteratorINS9_10device_ptrIiEEEENSB_INSC_IjEEEENSB_INSC_IfEEEEiNS9_4plusIvEENS9_8equal_toIvEEiEE10hipError_tPvRmT2_T3_T4_T5_mT6_T7_P12ihipStream_tbENKUlT_T0_E_clISt17integral_constantIbLb0EES12_IbLb1EEEEDaSY_SZ_EUlSY_E_NS1_11comp_targetILNS1_3genE2ELNS1_11target_archE906ELNS1_3gpuE6ELNS1_3repE0EEENS1_30default_config_static_selectorELNS0_4arch9wavefront6targetE1EEEvT1_: ; @_ZN7rocprim17ROCPRIM_400000_NS6detail17trampoline_kernelINS0_14default_configENS1_27scan_by_key_config_selectorIiiEEZZNS1_16scan_by_key_implILNS1_25lookback_scan_determinismE0ELb1ES3_N6thrust23THRUST_200600_302600_NS6detail15normal_iteratorINS9_10device_ptrIiEEEENSB_INSC_IjEEEENSB_INSC_IfEEEEiNS9_4plusIvEENS9_8equal_toIvEEiEE10hipError_tPvRmT2_T3_T4_T5_mT6_T7_P12ihipStream_tbENKUlT_T0_E_clISt17integral_constantIbLb0EES12_IbLb1EEEEDaSY_SZ_EUlSY_E_NS1_11comp_targetILNS1_3genE2ELNS1_11target_archE906ELNS1_3gpuE6ELNS1_3repE0EEENS1_30default_config_static_selectorELNS0_4arch9wavefront6targetE1EEEvT1_
; %bb.0:
	.section	.rodata,"a",@progbits
	.p2align	6, 0x0
	.amdhsa_kernel _ZN7rocprim17ROCPRIM_400000_NS6detail17trampoline_kernelINS0_14default_configENS1_27scan_by_key_config_selectorIiiEEZZNS1_16scan_by_key_implILNS1_25lookback_scan_determinismE0ELb1ES3_N6thrust23THRUST_200600_302600_NS6detail15normal_iteratorINS9_10device_ptrIiEEEENSB_INSC_IjEEEENSB_INSC_IfEEEEiNS9_4plusIvEENS9_8equal_toIvEEiEE10hipError_tPvRmT2_T3_T4_T5_mT6_T7_P12ihipStream_tbENKUlT_T0_E_clISt17integral_constantIbLb0EES12_IbLb1EEEEDaSY_SZ_EUlSY_E_NS1_11comp_targetILNS1_3genE2ELNS1_11target_archE906ELNS1_3gpuE6ELNS1_3repE0EEENS1_30default_config_static_selectorELNS0_4arch9wavefront6targetE1EEEvT1_
		.amdhsa_group_segment_fixed_size 0
		.amdhsa_private_segment_fixed_size 0
		.amdhsa_kernarg_size 112
		.amdhsa_user_sgpr_count 6
		.amdhsa_user_sgpr_private_segment_buffer 1
		.amdhsa_user_sgpr_dispatch_ptr 0
		.amdhsa_user_sgpr_queue_ptr 0
		.amdhsa_user_sgpr_kernarg_segment_ptr 1
		.amdhsa_user_sgpr_dispatch_id 0
		.amdhsa_user_sgpr_flat_scratch_init 0
		.amdhsa_user_sgpr_kernarg_preload_length 0
		.amdhsa_user_sgpr_kernarg_preload_offset 0
		.amdhsa_user_sgpr_private_segment_size 0
		.amdhsa_uses_dynamic_stack 0
		.amdhsa_system_sgpr_private_segment_wavefront_offset 0
		.amdhsa_system_sgpr_workgroup_id_x 1
		.amdhsa_system_sgpr_workgroup_id_y 0
		.amdhsa_system_sgpr_workgroup_id_z 0
		.amdhsa_system_sgpr_workgroup_info 0
		.amdhsa_system_vgpr_workitem_id 0
		.amdhsa_next_free_vgpr 1
		.amdhsa_next_free_sgpr 0
		.amdhsa_accum_offset 4
		.amdhsa_reserve_vcc 0
		.amdhsa_reserve_flat_scratch 0
		.amdhsa_float_round_mode_32 0
		.amdhsa_float_round_mode_16_64 0
		.amdhsa_float_denorm_mode_32 3
		.amdhsa_float_denorm_mode_16_64 3
		.amdhsa_dx10_clamp 1
		.amdhsa_ieee_mode 1
		.amdhsa_fp16_overflow 0
		.amdhsa_tg_split 0
		.amdhsa_exception_fp_ieee_invalid_op 0
		.amdhsa_exception_fp_denorm_src 0
		.amdhsa_exception_fp_ieee_div_zero 0
		.amdhsa_exception_fp_ieee_overflow 0
		.amdhsa_exception_fp_ieee_underflow 0
		.amdhsa_exception_fp_ieee_inexact 0
		.amdhsa_exception_int_div_zero 0
	.end_amdhsa_kernel
	.section	.text._ZN7rocprim17ROCPRIM_400000_NS6detail17trampoline_kernelINS0_14default_configENS1_27scan_by_key_config_selectorIiiEEZZNS1_16scan_by_key_implILNS1_25lookback_scan_determinismE0ELb1ES3_N6thrust23THRUST_200600_302600_NS6detail15normal_iteratorINS9_10device_ptrIiEEEENSB_INSC_IjEEEENSB_INSC_IfEEEEiNS9_4plusIvEENS9_8equal_toIvEEiEE10hipError_tPvRmT2_T3_T4_T5_mT6_T7_P12ihipStream_tbENKUlT_T0_E_clISt17integral_constantIbLb0EES12_IbLb1EEEEDaSY_SZ_EUlSY_E_NS1_11comp_targetILNS1_3genE2ELNS1_11target_archE906ELNS1_3gpuE6ELNS1_3repE0EEENS1_30default_config_static_selectorELNS0_4arch9wavefront6targetE1EEEvT1_,"axG",@progbits,_ZN7rocprim17ROCPRIM_400000_NS6detail17trampoline_kernelINS0_14default_configENS1_27scan_by_key_config_selectorIiiEEZZNS1_16scan_by_key_implILNS1_25lookback_scan_determinismE0ELb1ES3_N6thrust23THRUST_200600_302600_NS6detail15normal_iteratorINS9_10device_ptrIiEEEENSB_INSC_IjEEEENSB_INSC_IfEEEEiNS9_4plusIvEENS9_8equal_toIvEEiEE10hipError_tPvRmT2_T3_T4_T5_mT6_T7_P12ihipStream_tbENKUlT_T0_E_clISt17integral_constantIbLb0EES12_IbLb1EEEEDaSY_SZ_EUlSY_E_NS1_11comp_targetILNS1_3genE2ELNS1_11target_archE906ELNS1_3gpuE6ELNS1_3repE0EEENS1_30default_config_static_selectorELNS0_4arch9wavefront6targetE1EEEvT1_,comdat
.Lfunc_end1748:
	.size	_ZN7rocprim17ROCPRIM_400000_NS6detail17trampoline_kernelINS0_14default_configENS1_27scan_by_key_config_selectorIiiEEZZNS1_16scan_by_key_implILNS1_25lookback_scan_determinismE0ELb1ES3_N6thrust23THRUST_200600_302600_NS6detail15normal_iteratorINS9_10device_ptrIiEEEENSB_INSC_IjEEEENSB_INSC_IfEEEEiNS9_4plusIvEENS9_8equal_toIvEEiEE10hipError_tPvRmT2_T3_T4_T5_mT6_T7_P12ihipStream_tbENKUlT_T0_E_clISt17integral_constantIbLb0EES12_IbLb1EEEEDaSY_SZ_EUlSY_E_NS1_11comp_targetILNS1_3genE2ELNS1_11target_archE906ELNS1_3gpuE6ELNS1_3repE0EEENS1_30default_config_static_selectorELNS0_4arch9wavefront6targetE1EEEvT1_, .Lfunc_end1748-_ZN7rocprim17ROCPRIM_400000_NS6detail17trampoline_kernelINS0_14default_configENS1_27scan_by_key_config_selectorIiiEEZZNS1_16scan_by_key_implILNS1_25lookback_scan_determinismE0ELb1ES3_N6thrust23THRUST_200600_302600_NS6detail15normal_iteratorINS9_10device_ptrIiEEEENSB_INSC_IjEEEENSB_INSC_IfEEEEiNS9_4plusIvEENS9_8equal_toIvEEiEE10hipError_tPvRmT2_T3_T4_T5_mT6_T7_P12ihipStream_tbENKUlT_T0_E_clISt17integral_constantIbLb0EES12_IbLb1EEEEDaSY_SZ_EUlSY_E_NS1_11comp_targetILNS1_3genE2ELNS1_11target_archE906ELNS1_3gpuE6ELNS1_3repE0EEENS1_30default_config_static_selectorELNS0_4arch9wavefront6targetE1EEEvT1_
                                        ; -- End function
	.section	.AMDGPU.csdata,"",@progbits
; Kernel info:
; codeLenInByte = 0
; NumSgprs: 4
; NumVgprs: 0
; NumAgprs: 0
; TotalNumVgprs: 0
; ScratchSize: 0
; MemoryBound: 0
; FloatMode: 240
; IeeeMode: 1
; LDSByteSize: 0 bytes/workgroup (compile time only)
; SGPRBlocks: 0
; VGPRBlocks: 0
; NumSGPRsForWavesPerEU: 4
; NumVGPRsForWavesPerEU: 1
; AccumOffset: 4
; Occupancy: 8
; WaveLimiterHint : 0
; COMPUTE_PGM_RSRC2:SCRATCH_EN: 0
; COMPUTE_PGM_RSRC2:USER_SGPR: 6
; COMPUTE_PGM_RSRC2:TRAP_HANDLER: 0
; COMPUTE_PGM_RSRC2:TGID_X_EN: 1
; COMPUTE_PGM_RSRC2:TGID_Y_EN: 0
; COMPUTE_PGM_RSRC2:TGID_Z_EN: 0
; COMPUTE_PGM_RSRC2:TIDIG_COMP_CNT: 0
; COMPUTE_PGM_RSRC3_GFX90A:ACCUM_OFFSET: 0
; COMPUTE_PGM_RSRC3_GFX90A:TG_SPLIT: 0
	.section	.text._ZN7rocprim17ROCPRIM_400000_NS6detail17trampoline_kernelINS0_14default_configENS1_27scan_by_key_config_selectorIiiEEZZNS1_16scan_by_key_implILNS1_25lookback_scan_determinismE0ELb1ES3_N6thrust23THRUST_200600_302600_NS6detail15normal_iteratorINS9_10device_ptrIiEEEENSB_INSC_IjEEEENSB_INSC_IfEEEEiNS9_4plusIvEENS9_8equal_toIvEEiEE10hipError_tPvRmT2_T3_T4_T5_mT6_T7_P12ihipStream_tbENKUlT_T0_E_clISt17integral_constantIbLb0EES12_IbLb1EEEEDaSY_SZ_EUlSY_E_NS1_11comp_targetILNS1_3genE10ELNS1_11target_archE1200ELNS1_3gpuE4ELNS1_3repE0EEENS1_30default_config_static_selectorELNS0_4arch9wavefront6targetE1EEEvT1_,"axG",@progbits,_ZN7rocprim17ROCPRIM_400000_NS6detail17trampoline_kernelINS0_14default_configENS1_27scan_by_key_config_selectorIiiEEZZNS1_16scan_by_key_implILNS1_25lookback_scan_determinismE0ELb1ES3_N6thrust23THRUST_200600_302600_NS6detail15normal_iteratorINS9_10device_ptrIiEEEENSB_INSC_IjEEEENSB_INSC_IfEEEEiNS9_4plusIvEENS9_8equal_toIvEEiEE10hipError_tPvRmT2_T3_T4_T5_mT6_T7_P12ihipStream_tbENKUlT_T0_E_clISt17integral_constantIbLb0EES12_IbLb1EEEEDaSY_SZ_EUlSY_E_NS1_11comp_targetILNS1_3genE10ELNS1_11target_archE1200ELNS1_3gpuE4ELNS1_3repE0EEENS1_30default_config_static_selectorELNS0_4arch9wavefront6targetE1EEEvT1_,comdat
	.protected	_ZN7rocprim17ROCPRIM_400000_NS6detail17trampoline_kernelINS0_14default_configENS1_27scan_by_key_config_selectorIiiEEZZNS1_16scan_by_key_implILNS1_25lookback_scan_determinismE0ELb1ES3_N6thrust23THRUST_200600_302600_NS6detail15normal_iteratorINS9_10device_ptrIiEEEENSB_INSC_IjEEEENSB_INSC_IfEEEEiNS9_4plusIvEENS9_8equal_toIvEEiEE10hipError_tPvRmT2_T3_T4_T5_mT6_T7_P12ihipStream_tbENKUlT_T0_E_clISt17integral_constantIbLb0EES12_IbLb1EEEEDaSY_SZ_EUlSY_E_NS1_11comp_targetILNS1_3genE10ELNS1_11target_archE1200ELNS1_3gpuE4ELNS1_3repE0EEENS1_30default_config_static_selectorELNS0_4arch9wavefront6targetE1EEEvT1_ ; -- Begin function _ZN7rocprim17ROCPRIM_400000_NS6detail17trampoline_kernelINS0_14default_configENS1_27scan_by_key_config_selectorIiiEEZZNS1_16scan_by_key_implILNS1_25lookback_scan_determinismE0ELb1ES3_N6thrust23THRUST_200600_302600_NS6detail15normal_iteratorINS9_10device_ptrIiEEEENSB_INSC_IjEEEENSB_INSC_IfEEEEiNS9_4plusIvEENS9_8equal_toIvEEiEE10hipError_tPvRmT2_T3_T4_T5_mT6_T7_P12ihipStream_tbENKUlT_T0_E_clISt17integral_constantIbLb0EES12_IbLb1EEEEDaSY_SZ_EUlSY_E_NS1_11comp_targetILNS1_3genE10ELNS1_11target_archE1200ELNS1_3gpuE4ELNS1_3repE0EEENS1_30default_config_static_selectorELNS0_4arch9wavefront6targetE1EEEvT1_
	.globl	_ZN7rocprim17ROCPRIM_400000_NS6detail17trampoline_kernelINS0_14default_configENS1_27scan_by_key_config_selectorIiiEEZZNS1_16scan_by_key_implILNS1_25lookback_scan_determinismE0ELb1ES3_N6thrust23THRUST_200600_302600_NS6detail15normal_iteratorINS9_10device_ptrIiEEEENSB_INSC_IjEEEENSB_INSC_IfEEEEiNS9_4plusIvEENS9_8equal_toIvEEiEE10hipError_tPvRmT2_T3_T4_T5_mT6_T7_P12ihipStream_tbENKUlT_T0_E_clISt17integral_constantIbLb0EES12_IbLb1EEEEDaSY_SZ_EUlSY_E_NS1_11comp_targetILNS1_3genE10ELNS1_11target_archE1200ELNS1_3gpuE4ELNS1_3repE0EEENS1_30default_config_static_selectorELNS0_4arch9wavefront6targetE1EEEvT1_
	.p2align	8
	.type	_ZN7rocprim17ROCPRIM_400000_NS6detail17trampoline_kernelINS0_14default_configENS1_27scan_by_key_config_selectorIiiEEZZNS1_16scan_by_key_implILNS1_25lookback_scan_determinismE0ELb1ES3_N6thrust23THRUST_200600_302600_NS6detail15normal_iteratorINS9_10device_ptrIiEEEENSB_INSC_IjEEEENSB_INSC_IfEEEEiNS9_4plusIvEENS9_8equal_toIvEEiEE10hipError_tPvRmT2_T3_T4_T5_mT6_T7_P12ihipStream_tbENKUlT_T0_E_clISt17integral_constantIbLb0EES12_IbLb1EEEEDaSY_SZ_EUlSY_E_NS1_11comp_targetILNS1_3genE10ELNS1_11target_archE1200ELNS1_3gpuE4ELNS1_3repE0EEENS1_30default_config_static_selectorELNS0_4arch9wavefront6targetE1EEEvT1_,@function
_ZN7rocprim17ROCPRIM_400000_NS6detail17trampoline_kernelINS0_14default_configENS1_27scan_by_key_config_selectorIiiEEZZNS1_16scan_by_key_implILNS1_25lookback_scan_determinismE0ELb1ES3_N6thrust23THRUST_200600_302600_NS6detail15normal_iteratorINS9_10device_ptrIiEEEENSB_INSC_IjEEEENSB_INSC_IfEEEEiNS9_4plusIvEENS9_8equal_toIvEEiEE10hipError_tPvRmT2_T3_T4_T5_mT6_T7_P12ihipStream_tbENKUlT_T0_E_clISt17integral_constantIbLb0EES12_IbLb1EEEEDaSY_SZ_EUlSY_E_NS1_11comp_targetILNS1_3genE10ELNS1_11target_archE1200ELNS1_3gpuE4ELNS1_3repE0EEENS1_30default_config_static_selectorELNS0_4arch9wavefront6targetE1EEEvT1_: ; @_ZN7rocprim17ROCPRIM_400000_NS6detail17trampoline_kernelINS0_14default_configENS1_27scan_by_key_config_selectorIiiEEZZNS1_16scan_by_key_implILNS1_25lookback_scan_determinismE0ELb1ES3_N6thrust23THRUST_200600_302600_NS6detail15normal_iteratorINS9_10device_ptrIiEEEENSB_INSC_IjEEEENSB_INSC_IfEEEEiNS9_4plusIvEENS9_8equal_toIvEEiEE10hipError_tPvRmT2_T3_T4_T5_mT6_T7_P12ihipStream_tbENKUlT_T0_E_clISt17integral_constantIbLb0EES12_IbLb1EEEEDaSY_SZ_EUlSY_E_NS1_11comp_targetILNS1_3genE10ELNS1_11target_archE1200ELNS1_3gpuE4ELNS1_3repE0EEENS1_30default_config_static_selectorELNS0_4arch9wavefront6targetE1EEEvT1_
; %bb.0:
	.section	.rodata,"a",@progbits
	.p2align	6, 0x0
	.amdhsa_kernel _ZN7rocprim17ROCPRIM_400000_NS6detail17trampoline_kernelINS0_14default_configENS1_27scan_by_key_config_selectorIiiEEZZNS1_16scan_by_key_implILNS1_25lookback_scan_determinismE0ELb1ES3_N6thrust23THRUST_200600_302600_NS6detail15normal_iteratorINS9_10device_ptrIiEEEENSB_INSC_IjEEEENSB_INSC_IfEEEEiNS9_4plusIvEENS9_8equal_toIvEEiEE10hipError_tPvRmT2_T3_T4_T5_mT6_T7_P12ihipStream_tbENKUlT_T0_E_clISt17integral_constantIbLb0EES12_IbLb1EEEEDaSY_SZ_EUlSY_E_NS1_11comp_targetILNS1_3genE10ELNS1_11target_archE1200ELNS1_3gpuE4ELNS1_3repE0EEENS1_30default_config_static_selectorELNS0_4arch9wavefront6targetE1EEEvT1_
		.amdhsa_group_segment_fixed_size 0
		.amdhsa_private_segment_fixed_size 0
		.amdhsa_kernarg_size 112
		.amdhsa_user_sgpr_count 6
		.amdhsa_user_sgpr_private_segment_buffer 1
		.amdhsa_user_sgpr_dispatch_ptr 0
		.amdhsa_user_sgpr_queue_ptr 0
		.amdhsa_user_sgpr_kernarg_segment_ptr 1
		.amdhsa_user_sgpr_dispatch_id 0
		.amdhsa_user_sgpr_flat_scratch_init 0
		.amdhsa_user_sgpr_kernarg_preload_length 0
		.amdhsa_user_sgpr_kernarg_preload_offset 0
		.amdhsa_user_sgpr_private_segment_size 0
		.amdhsa_uses_dynamic_stack 0
		.amdhsa_system_sgpr_private_segment_wavefront_offset 0
		.amdhsa_system_sgpr_workgroup_id_x 1
		.amdhsa_system_sgpr_workgroup_id_y 0
		.amdhsa_system_sgpr_workgroup_id_z 0
		.amdhsa_system_sgpr_workgroup_info 0
		.amdhsa_system_vgpr_workitem_id 0
		.amdhsa_next_free_vgpr 1
		.amdhsa_next_free_sgpr 0
		.amdhsa_accum_offset 4
		.amdhsa_reserve_vcc 0
		.amdhsa_reserve_flat_scratch 0
		.amdhsa_float_round_mode_32 0
		.amdhsa_float_round_mode_16_64 0
		.amdhsa_float_denorm_mode_32 3
		.amdhsa_float_denorm_mode_16_64 3
		.amdhsa_dx10_clamp 1
		.amdhsa_ieee_mode 1
		.amdhsa_fp16_overflow 0
		.amdhsa_tg_split 0
		.amdhsa_exception_fp_ieee_invalid_op 0
		.amdhsa_exception_fp_denorm_src 0
		.amdhsa_exception_fp_ieee_div_zero 0
		.amdhsa_exception_fp_ieee_overflow 0
		.amdhsa_exception_fp_ieee_underflow 0
		.amdhsa_exception_fp_ieee_inexact 0
		.amdhsa_exception_int_div_zero 0
	.end_amdhsa_kernel
	.section	.text._ZN7rocprim17ROCPRIM_400000_NS6detail17trampoline_kernelINS0_14default_configENS1_27scan_by_key_config_selectorIiiEEZZNS1_16scan_by_key_implILNS1_25lookback_scan_determinismE0ELb1ES3_N6thrust23THRUST_200600_302600_NS6detail15normal_iteratorINS9_10device_ptrIiEEEENSB_INSC_IjEEEENSB_INSC_IfEEEEiNS9_4plusIvEENS9_8equal_toIvEEiEE10hipError_tPvRmT2_T3_T4_T5_mT6_T7_P12ihipStream_tbENKUlT_T0_E_clISt17integral_constantIbLb0EES12_IbLb1EEEEDaSY_SZ_EUlSY_E_NS1_11comp_targetILNS1_3genE10ELNS1_11target_archE1200ELNS1_3gpuE4ELNS1_3repE0EEENS1_30default_config_static_selectorELNS0_4arch9wavefront6targetE1EEEvT1_,"axG",@progbits,_ZN7rocprim17ROCPRIM_400000_NS6detail17trampoline_kernelINS0_14default_configENS1_27scan_by_key_config_selectorIiiEEZZNS1_16scan_by_key_implILNS1_25lookback_scan_determinismE0ELb1ES3_N6thrust23THRUST_200600_302600_NS6detail15normal_iteratorINS9_10device_ptrIiEEEENSB_INSC_IjEEEENSB_INSC_IfEEEEiNS9_4plusIvEENS9_8equal_toIvEEiEE10hipError_tPvRmT2_T3_T4_T5_mT6_T7_P12ihipStream_tbENKUlT_T0_E_clISt17integral_constantIbLb0EES12_IbLb1EEEEDaSY_SZ_EUlSY_E_NS1_11comp_targetILNS1_3genE10ELNS1_11target_archE1200ELNS1_3gpuE4ELNS1_3repE0EEENS1_30default_config_static_selectorELNS0_4arch9wavefront6targetE1EEEvT1_,comdat
.Lfunc_end1749:
	.size	_ZN7rocprim17ROCPRIM_400000_NS6detail17trampoline_kernelINS0_14default_configENS1_27scan_by_key_config_selectorIiiEEZZNS1_16scan_by_key_implILNS1_25lookback_scan_determinismE0ELb1ES3_N6thrust23THRUST_200600_302600_NS6detail15normal_iteratorINS9_10device_ptrIiEEEENSB_INSC_IjEEEENSB_INSC_IfEEEEiNS9_4plusIvEENS9_8equal_toIvEEiEE10hipError_tPvRmT2_T3_T4_T5_mT6_T7_P12ihipStream_tbENKUlT_T0_E_clISt17integral_constantIbLb0EES12_IbLb1EEEEDaSY_SZ_EUlSY_E_NS1_11comp_targetILNS1_3genE10ELNS1_11target_archE1200ELNS1_3gpuE4ELNS1_3repE0EEENS1_30default_config_static_selectorELNS0_4arch9wavefront6targetE1EEEvT1_, .Lfunc_end1749-_ZN7rocprim17ROCPRIM_400000_NS6detail17trampoline_kernelINS0_14default_configENS1_27scan_by_key_config_selectorIiiEEZZNS1_16scan_by_key_implILNS1_25lookback_scan_determinismE0ELb1ES3_N6thrust23THRUST_200600_302600_NS6detail15normal_iteratorINS9_10device_ptrIiEEEENSB_INSC_IjEEEENSB_INSC_IfEEEEiNS9_4plusIvEENS9_8equal_toIvEEiEE10hipError_tPvRmT2_T3_T4_T5_mT6_T7_P12ihipStream_tbENKUlT_T0_E_clISt17integral_constantIbLb0EES12_IbLb1EEEEDaSY_SZ_EUlSY_E_NS1_11comp_targetILNS1_3genE10ELNS1_11target_archE1200ELNS1_3gpuE4ELNS1_3repE0EEENS1_30default_config_static_selectorELNS0_4arch9wavefront6targetE1EEEvT1_
                                        ; -- End function
	.section	.AMDGPU.csdata,"",@progbits
; Kernel info:
; codeLenInByte = 0
; NumSgprs: 4
; NumVgprs: 0
; NumAgprs: 0
; TotalNumVgprs: 0
; ScratchSize: 0
; MemoryBound: 0
; FloatMode: 240
; IeeeMode: 1
; LDSByteSize: 0 bytes/workgroup (compile time only)
; SGPRBlocks: 0
; VGPRBlocks: 0
; NumSGPRsForWavesPerEU: 4
; NumVGPRsForWavesPerEU: 1
; AccumOffset: 4
; Occupancy: 8
; WaveLimiterHint : 0
; COMPUTE_PGM_RSRC2:SCRATCH_EN: 0
; COMPUTE_PGM_RSRC2:USER_SGPR: 6
; COMPUTE_PGM_RSRC2:TRAP_HANDLER: 0
; COMPUTE_PGM_RSRC2:TGID_X_EN: 1
; COMPUTE_PGM_RSRC2:TGID_Y_EN: 0
; COMPUTE_PGM_RSRC2:TGID_Z_EN: 0
; COMPUTE_PGM_RSRC2:TIDIG_COMP_CNT: 0
; COMPUTE_PGM_RSRC3_GFX90A:ACCUM_OFFSET: 0
; COMPUTE_PGM_RSRC3_GFX90A:TG_SPLIT: 0
	.section	.text._ZN7rocprim17ROCPRIM_400000_NS6detail17trampoline_kernelINS0_14default_configENS1_27scan_by_key_config_selectorIiiEEZZNS1_16scan_by_key_implILNS1_25lookback_scan_determinismE0ELb1ES3_N6thrust23THRUST_200600_302600_NS6detail15normal_iteratorINS9_10device_ptrIiEEEENSB_INSC_IjEEEENSB_INSC_IfEEEEiNS9_4plusIvEENS9_8equal_toIvEEiEE10hipError_tPvRmT2_T3_T4_T5_mT6_T7_P12ihipStream_tbENKUlT_T0_E_clISt17integral_constantIbLb0EES12_IbLb1EEEEDaSY_SZ_EUlSY_E_NS1_11comp_targetILNS1_3genE9ELNS1_11target_archE1100ELNS1_3gpuE3ELNS1_3repE0EEENS1_30default_config_static_selectorELNS0_4arch9wavefront6targetE1EEEvT1_,"axG",@progbits,_ZN7rocprim17ROCPRIM_400000_NS6detail17trampoline_kernelINS0_14default_configENS1_27scan_by_key_config_selectorIiiEEZZNS1_16scan_by_key_implILNS1_25lookback_scan_determinismE0ELb1ES3_N6thrust23THRUST_200600_302600_NS6detail15normal_iteratorINS9_10device_ptrIiEEEENSB_INSC_IjEEEENSB_INSC_IfEEEEiNS9_4plusIvEENS9_8equal_toIvEEiEE10hipError_tPvRmT2_T3_T4_T5_mT6_T7_P12ihipStream_tbENKUlT_T0_E_clISt17integral_constantIbLb0EES12_IbLb1EEEEDaSY_SZ_EUlSY_E_NS1_11comp_targetILNS1_3genE9ELNS1_11target_archE1100ELNS1_3gpuE3ELNS1_3repE0EEENS1_30default_config_static_selectorELNS0_4arch9wavefront6targetE1EEEvT1_,comdat
	.protected	_ZN7rocprim17ROCPRIM_400000_NS6detail17trampoline_kernelINS0_14default_configENS1_27scan_by_key_config_selectorIiiEEZZNS1_16scan_by_key_implILNS1_25lookback_scan_determinismE0ELb1ES3_N6thrust23THRUST_200600_302600_NS6detail15normal_iteratorINS9_10device_ptrIiEEEENSB_INSC_IjEEEENSB_INSC_IfEEEEiNS9_4plusIvEENS9_8equal_toIvEEiEE10hipError_tPvRmT2_T3_T4_T5_mT6_T7_P12ihipStream_tbENKUlT_T0_E_clISt17integral_constantIbLb0EES12_IbLb1EEEEDaSY_SZ_EUlSY_E_NS1_11comp_targetILNS1_3genE9ELNS1_11target_archE1100ELNS1_3gpuE3ELNS1_3repE0EEENS1_30default_config_static_selectorELNS0_4arch9wavefront6targetE1EEEvT1_ ; -- Begin function _ZN7rocprim17ROCPRIM_400000_NS6detail17trampoline_kernelINS0_14default_configENS1_27scan_by_key_config_selectorIiiEEZZNS1_16scan_by_key_implILNS1_25lookback_scan_determinismE0ELb1ES3_N6thrust23THRUST_200600_302600_NS6detail15normal_iteratorINS9_10device_ptrIiEEEENSB_INSC_IjEEEENSB_INSC_IfEEEEiNS9_4plusIvEENS9_8equal_toIvEEiEE10hipError_tPvRmT2_T3_T4_T5_mT6_T7_P12ihipStream_tbENKUlT_T0_E_clISt17integral_constantIbLb0EES12_IbLb1EEEEDaSY_SZ_EUlSY_E_NS1_11comp_targetILNS1_3genE9ELNS1_11target_archE1100ELNS1_3gpuE3ELNS1_3repE0EEENS1_30default_config_static_selectorELNS0_4arch9wavefront6targetE1EEEvT1_
	.globl	_ZN7rocprim17ROCPRIM_400000_NS6detail17trampoline_kernelINS0_14default_configENS1_27scan_by_key_config_selectorIiiEEZZNS1_16scan_by_key_implILNS1_25lookback_scan_determinismE0ELb1ES3_N6thrust23THRUST_200600_302600_NS6detail15normal_iteratorINS9_10device_ptrIiEEEENSB_INSC_IjEEEENSB_INSC_IfEEEEiNS9_4plusIvEENS9_8equal_toIvEEiEE10hipError_tPvRmT2_T3_T4_T5_mT6_T7_P12ihipStream_tbENKUlT_T0_E_clISt17integral_constantIbLb0EES12_IbLb1EEEEDaSY_SZ_EUlSY_E_NS1_11comp_targetILNS1_3genE9ELNS1_11target_archE1100ELNS1_3gpuE3ELNS1_3repE0EEENS1_30default_config_static_selectorELNS0_4arch9wavefront6targetE1EEEvT1_
	.p2align	8
	.type	_ZN7rocprim17ROCPRIM_400000_NS6detail17trampoline_kernelINS0_14default_configENS1_27scan_by_key_config_selectorIiiEEZZNS1_16scan_by_key_implILNS1_25lookback_scan_determinismE0ELb1ES3_N6thrust23THRUST_200600_302600_NS6detail15normal_iteratorINS9_10device_ptrIiEEEENSB_INSC_IjEEEENSB_INSC_IfEEEEiNS9_4plusIvEENS9_8equal_toIvEEiEE10hipError_tPvRmT2_T3_T4_T5_mT6_T7_P12ihipStream_tbENKUlT_T0_E_clISt17integral_constantIbLb0EES12_IbLb1EEEEDaSY_SZ_EUlSY_E_NS1_11comp_targetILNS1_3genE9ELNS1_11target_archE1100ELNS1_3gpuE3ELNS1_3repE0EEENS1_30default_config_static_selectorELNS0_4arch9wavefront6targetE1EEEvT1_,@function
_ZN7rocprim17ROCPRIM_400000_NS6detail17trampoline_kernelINS0_14default_configENS1_27scan_by_key_config_selectorIiiEEZZNS1_16scan_by_key_implILNS1_25lookback_scan_determinismE0ELb1ES3_N6thrust23THRUST_200600_302600_NS6detail15normal_iteratorINS9_10device_ptrIiEEEENSB_INSC_IjEEEENSB_INSC_IfEEEEiNS9_4plusIvEENS9_8equal_toIvEEiEE10hipError_tPvRmT2_T3_T4_T5_mT6_T7_P12ihipStream_tbENKUlT_T0_E_clISt17integral_constantIbLb0EES12_IbLb1EEEEDaSY_SZ_EUlSY_E_NS1_11comp_targetILNS1_3genE9ELNS1_11target_archE1100ELNS1_3gpuE3ELNS1_3repE0EEENS1_30default_config_static_selectorELNS0_4arch9wavefront6targetE1EEEvT1_: ; @_ZN7rocprim17ROCPRIM_400000_NS6detail17trampoline_kernelINS0_14default_configENS1_27scan_by_key_config_selectorIiiEEZZNS1_16scan_by_key_implILNS1_25lookback_scan_determinismE0ELb1ES3_N6thrust23THRUST_200600_302600_NS6detail15normal_iteratorINS9_10device_ptrIiEEEENSB_INSC_IjEEEENSB_INSC_IfEEEEiNS9_4plusIvEENS9_8equal_toIvEEiEE10hipError_tPvRmT2_T3_T4_T5_mT6_T7_P12ihipStream_tbENKUlT_T0_E_clISt17integral_constantIbLb0EES12_IbLb1EEEEDaSY_SZ_EUlSY_E_NS1_11comp_targetILNS1_3genE9ELNS1_11target_archE1100ELNS1_3gpuE3ELNS1_3repE0EEENS1_30default_config_static_selectorELNS0_4arch9wavefront6targetE1EEEvT1_
; %bb.0:
	.section	.rodata,"a",@progbits
	.p2align	6, 0x0
	.amdhsa_kernel _ZN7rocprim17ROCPRIM_400000_NS6detail17trampoline_kernelINS0_14default_configENS1_27scan_by_key_config_selectorIiiEEZZNS1_16scan_by_key_implILNS1_25lookback_scan_determinismE0ELb1ES3_N6thrust23THRUST_200600_302600_NS6detail15normal_iteratorINS9_10device_ptrIiEEEENSB_INSC_IjEEEENSB_INSC_IfEEEEiNS9_4plusIvEENS9_8equal_toIvEEiEE10hipError_tPvRmT2_T3_T4_T5_mT6_T7_P12ihipStream_tbENKUlT_T0_E_clISt17integral_constantIbLb0EES12_IbLb1EEEEDaSY_SZ_EUlSY_E_NS1_11comp_targetILNS1_3genE9ELNS1_11target_archE1100ELNS1_3gpuE3ELNS1_3repE0EEENS1_30default_config_static_selectorELNS0_4arch9wavefront6targetE1EEEvT1_
		.amdhsa_group_segment_fixed_size 0
		.amdhsa_private_segment_fixed_size 0
		.amdhsa_kernarg_size 112
		.amdhsa_user_sgpr_count 6
		.amdhsa_user_sgpr_private_segment_buffer 1
		.amdhsa_user_sgpr_dispatch_ptr 0
		.amdhsa_user_sgpr_queue_ptr 0
		.amdhsa_user_sgpr_kernarg_segment_ptr 1
		.amdhsa_user_sgpr_dispatch_id 0
		.amdhsa_user_sgpr_flat_scratch_init 0
		.amdhsa_user_sgpr_kernarg_preload_length 0
		.amdhsa_user_sgpr_kernarg_preload_offset 0
		.amdhsa_user_sgpr_private_segment_size 0
		.amdhsa_uses_dynamic_stack 0
		.amdhsa_system_sgpr_private_segment_wavefront_offset 0
		.amdhsa_system_sgpr_workgroup_id_x 1
		.amdhsa_system_sgpr_workgroup_id_y 0
		.amdhsa_system_sgpr_workgroup_id_z 0
		.amdhsa_system_sgpr_workgroup_info 0
		.amdhsa_system_vgpr_workitem_id 0
		.amdhsa_next_free_vgpr 1
		.amdhsa_next_free_sgpr 0
		.amdhsa_accum_offset 4
		.amdhsa_reserve_vcc 0
		.amdhsa_reserve_flat_scratch 0
		.amdhsa_float_round_mode_32 0
		.amdhsa_float_round_mode_16_64 0
		.amdhsa_float_denorm_mode_32 3
		.amdhsa_float_denorm_mode_16_64 3
		.amdhsa_dx10_clamp 1
		.amdhsa_ieee_mode 1
		.amdhsa_fp16_overflow 0
		.amdhsa_tg_split 0
		.amdhsa_exception_fp_ieee_invalid_op 0
		.amdhsa_exception_fp_denorm_src 0
		.amdhsa_exception_fp_ieee_div_zero 0
		.amdhsa_exception_fp_ieee_overflow 0
		.amdhsa_exception_fp_ieee_underflow 0
		.amdhsa_exception_fp_ieee_inexact 0
		.amdhsa_exception_int_div_zero 0
	.end_amdhsa_kernel
	.section	.text._ZN7rocprim17ROCPRIM_400000_NS6detail17trampoline_kernelINS0_14default_configENS1_27scan_by_key_config_selectorIiiEEZZNS1_16scan_by_key_implILNS1_25lookback_scan_determinismE0ELb1ES3_N6thrust23THRUST_200600_302600_NS6detail15normal_iteratorINS9_10device_ptrIiEEEENSB_INSC_IjEEEENSB_INSC_IfEEEEiNS9_4plusIvEENS9_8equal_toIvEEiEE10hipError_tPvRmT2_T3_T4_T5_mT6_T7_P12ihipStream_tbENKUlT_T0_E_clISt17integral_constantIbLb0EES12_IbLb1EEEEDaSY_SZ_EUlSY_E_NS1_11comp_targetILNS1_3genE9ELNS1_11target_archE1100ELNS1_3gpuE3ELNS1_3repE0EEENS1_30default_config_static_selectorELNS0_4arch9wavefront6targetE1EEEvT1_,"axG",@progbits,_ZN7rocprim17ROCPRIM_400000_NS6detail17trampoline_kernelINS0_14default_configENS1_27scan_by_key_config_selectorIiiEEZZNS1_16scan_by_key_implILNS1_25lookback_scan_determinismE0ELb1ES3_N6thrust23THRUST_200600_302600_NS6detail15normal_iteratorINS9_10device_ptrIiEEEENSB_INSC_IjEEEENSB_INSC_IfEEEEiNS9_4plusIvEENS9_8equal_toIvEEiEE10hipError_tPvRmT2_T3_T4_T5_mT6_T7_P12ihipStream_tbENKUlT_T0_E_clISt17integral_constantIbLb0EES12_IbLb1EEEEDaSY_SZ_EUlSY_E_NS1_11comp_targetILNS1_3genE9ELNS1_11target_archE1100ELNS1_3gpuE3ELNS1_3repE0EEENS1_30default_config_static_selectorELNS0_4arch9wavefront6targetE1EEEvT1_,comdat
.Lfunc_end1750:
	.size	_ZN7rocprim17ROCPRIM_400000_NS6detail17trampoline_kernelINS0_14default_configENS1_27scan_by_key_config_selectorIiiEEZZNS1_16scan_by_key_implILNS1_25lookback_scan_determinismE0ELb1ES3_N6thrust23THRUST_200600_302600_NS6detail15normal_iteratorINS9_10device_ptrIiEEEENSB_INSC_IjEEEENSB_INSC_IfEEEEiNS9_4plusIvEENS9_8equal_toIvEEiEE10hipError_tPvRmT2_T3_T4_T5_mT6_T7_P12ihipStream_tbENKUlT_T0_E_clISt17integral_constantIbLb0EES12_IbLb1EEEEDaSY_SZ_EUlSY_E_NS1_11comp_targetILNS1_3genE9ELNS1_11target_archE1100ELNS1_3gpuE3ELNS1_3repE0EEENS1_30default_config_static_selectorELNS0_4arch9wavefront6targetE1EEEvT1_, .Lfunc_end1750-_ZN7rocprim17ROCPRIM_400000_NS6detail17trampoline_kernelINS0_14default_configENS1_27scan_by_key_config_selectorIiiEEZZNS1_16scan_by_key_implILNS1_25lookback_scan_determinismE0ELb1ES3_N6thrust23THRUST_200600_302600_NS6detail15normal_iteratorINS9_10device_ptrIiEEEENSB_INSC_IjEEEENSB_INSC_IfEEEEiNS9_4plusIvEENS9_8equal_toIvEEiEE10hipError_tPvRmT2_T3_T4_T5_mT6_T7_P12ihipStream_tbENKUlT_T0_E_clISt17integral_constantIbLb0EES12_IbLb1EEEEDaSY_SZ_EUlSY_E_NS1_11comp_targetILNS1_3genE9ELNS1_11target_archE1100ELNS1_3gpuE3ELNS1_3repE0EEENS1_30default_config_static_selectorELNS0_4arch9wavefront6targetE1EEEvT1_
                                        ; -- End function
	.section	.AMDGPU.csdata,"",@progbits
; Kernel info:
; codeLenInByte = 0
; NumSgprs: 4
; NumVgprs: 0
; NumAgprs: 0
; TotalNumVgprs: 0
; ScratchSize: 0
; MemoryBound: 0
; FloatMode: 240
; IeeeMode: 1
; LDSByteSize: 0 bytes/workgroup (compile time only)
; SGPRBlocks: 0
; VGPRBlocks: 0
; NumSGPRsForWavesPerEU: 4
; NumVGPRsForWavesPerEU: 1
; AccumOffset: 4
; Occupancy: 8
; WaveLimiterHint : 0
; COMPUTE_PGM_RSRC2:SCRATCH_EN: 0
; COMPUTE_PGM_RSRC2:USER_SGPR: 6
; COMPUTE_PGM_RSRC2:TRAP_HANDLER: 0
; COMPUTE_PGM_RSRC2:TGID_X_EN: 1
; COMPUTE_PGM_RSRC2:TGID_Y_EN: 0
; COMPUTE_PGM_RSRC2:TGID_Z_EN: 0
; COMPUTE_PGM_RSRC2:TIDIG_COMP_CNT: 0
; COMPUTE_PGM_RSRC3_GFX90A:ACCUM_OFFSET: 0
; COMPUTE_PGM_RSRC3_GFX90A:TG_SPLIT: 0
	.section	.text._ZN7rocprim17ROCPRIM_400000_NS6detail17trampoline_kernelINS0_14default_configENS1_27scan_by_key_config_selectorIiiEEZZNS1_16scan_by_key_implILNS1_25lookback_scan_determinismE0ELb1ES3_N6thrust23THRUST_200600_302600_NS6detail15normal_iteratorINS9_10device_ptrIiEEEENSB_INSC_IjEEEENSB_INSC_IfEEEEiNS9_4plusIvEENS9_8equal_toIvEEiEE10hipError_tPvRmT2_T3_T4_T5_mT6_T7_P12ihipStream_tbENKUlT_T0_E_clISt17integral_constantIbLb0EES12_IbLb1EEEEDaSY_SZ_EUlSY_E_NS1_11comp_targetILNS1_3genE8ELNS1_11target_archE1030ELNS1_3gpuE2ELNS1_3repE0EEENS1_30default_config_static_selectorELNS0_4arch9wavefront6targetE1EEEvT1_,"axG",@progbits,_ZN7rocprim17ROCPRIM_400000_NS6detail17trampoline_kernelINS0_14default_configENS1_27scan_by_key_config_selectorIiiEEZZNS1_16scan_by_key_implILNS1_25lookback_scan_determinismE0ELb1ES3_N6thrust23THRUST_200600_302600_NS6detail15normal_iteratorINS9_10device_ptrIiEEEENSB_INSC_IjEEEENSB_INSC_IfEEEEiNS9_4plusIvEENS9_8equal_toIvEEiEE10hipError_tPvRmT2_T3_T4_T5_mT6_T7_P12ihipStream_tbENKUlT_T0_E_clISt17integral_constantIbLb0EES12_IbLb1EEEEDaSY_SZ_EUlSY_E_NS1_11comp_targetILNS1_3genE8ELNS1_11target_archE1030ELNS1_3gpuE2ELNS1_3repE0EEENS1_30default_config_static_selectorELNS0_4arch9wavefront6targetE1EEEvT1_,comdat
	.protected	_ZN7rocprim17ROCPRIM_400000_NS6detail17trampoline_kernelINS0_14default_configENS1_27scan_by_key_config_selectorIiiEEZZNS1_16scan_by_key_implILNS1_25lookback_scan_determinismE0ELb1ES3_N6thrust23THRUST_200600_302600_NS6detail15normal_iteratorINS9_10device_ptrIiEEEENSB_INSC_IjEEEENSB_INSC_IfEEEEiNS9_4plusIvEENS9_8equal_toIvEEiEE10hipError_tPvRmT2_T3_T4_T5_mT6_T7_P12ihipStream_tbENKUlT_T0_E_clISt17integral_constantIbLb0EES12_IbLb1EEEEDaSY_SZ_EUlSY_E_NS1_11comp_targetILNS1_3genE8ELNS1_11target_archE1030ELNS1_3gpuE2ELNS1_3repE0EEENS1_30default_config_static_selectorELNS0_4arch9wavefront6targetE1EEEvT1_ ; -- Begin function _ZN7rocprim17ROCPRIM_400000_NS6detail17trampoline_kernelINS0_14default_configENS1_27scan_by_key_config_selectorIiiEEZZNS1_16scan_by_key_implILNS1_25lookback_scan_determinismE0ELb1ES3_N6thrust23THRUST_200600_302600_NS6detail15normal_iteratorINS9_10device_ptrIiEEEENSB_INSC_IjEEEENSB_INSC_IfEEEEiNS9_4plusIvEENS9_8equal_toIvEEiEE10hipError_tPvRmT2_T3_T4_T5_mT6_T7_P12ihipStream_tbENKUlT_T0_E_clISt17integral_constantIbLb0EES12_IbLb1EEEEDaSY_SZ_EUlSY_E_NS1_11comp_targetILNS1_3genE8ELNS1_11target_archE1030ELNS1_3gpuE2ELNS1_3repE0EEENS1_30default_config_static_selectorELNS0_4arch9wavefront6targetE1EEEvT1_
	.globl	_ZN7rocprim17ROCPRIM_400000_NS6detail17trampoline_kernelINS0_14default_configENS1_27scan_by_key_config_selectorIiiEEZZNS1_16scan_by_key_implILNS1_25lookback_scan_determinismE0ELb1ES3_N6thrust23THRUST_200600_302600_NS6detail15normal_iteratorINS9_10device_ptrIiEEEENSB_INSC_IjEEEENSB_INSC_IfEEEEiNS9_4plusIvEENS9_8equal_toIvEEiEE10hipError_tPvRmT2_T3_T4_T5_mT6_T7_P12ihipStream_tbENKUlT_T0_E_clISt17integral_constantIbLb0EES12_IbLb1EEEEDaSY_SZ_EUlSY_E_NS1_11comp_targetILNS1_3genE8ELNS1_11target_archE1030ELNS1_3gpuE2ELNS1_3repE0EEENS1_30default_config_static_selectorELNS0_4arch9wavefront6targetE1EEEvT1_
	.p2align	8
	.type	_ZN7rocprim17ROCPRIM_400000_NS6detail17trampoline_kernelINS0_14default_configENS1_27scan_by_key_config_selectorIiiEEZZNS1_16scan_by_key_implILNS1_25lookback_scan_determinismE0ELb1ES3_N6thrust23THRUST_200600_302600_NS6detail15normal_iteratorINS9_10device_ptrIiEEEENSB_INSC_IjEEEENSB_INSC_IfEEEEiNS9_4plusIvEENS9_8equal_toIvEEiEE10hipError_tPvRmT2_T3_T4_T5_mT6_T7_P12ihipStream_tbENKUlT_T0_E_clISt17integral_constantIbLb0EES12_IbLb1EEEEDaSY_SZ_EUlSY_E_NS1_11comp_targetILNS1_3genE8ELNS1_11target_archE1030ELNS1_3gpuE2ELNS1_3repE0EEENS1_30default_config_static_selectorELNS0_4arch9wavefront6targetE1EEEvT1_,@function
_ZN7rocprim17ROCPRIM_400000_NS6detail17trampoline_kernelINS0_14default_configENS1_27scan_by_key_config_selectorIiiEEZZNS1_16scan_by_key_implILNS1_25lookback_scan_determinismE0ELb1ES3_N6thrust23THRUST_200600_302600_NS6detail15normal_iteratorINS9_10device_ptrIiEEEENSB_INSC_IjEEEENSB_INSC_IfEEEEiNS9_4plusIvEENS9_8equal_toIvEEiEE10hipError_tPvRmT2_T3_T4_T5_mT6_T7_P12ihipStream_tbENKUlT_T0_E_clISt17integral_constantIbLb0EES12_IbLb1EEEEDaSY_SZ_EUlSY_E_NS1_11comp_targetILNS1_3genE8ELNS1_11target_archE1030ELNS1_3gpuE2ELNS1_3repE0EEENS1_30default_config_static_selectorELNS0_4arch9wavefront6targetE1EEEvT1_: ; @_ZN7rocprim17ROCPRIM_400000_NS6detail17trampoline_kernelINS0_14default_configENS1_27scan_by_key_config_selectorIiiEEZZNS1_16scan_by_key_implILNS1_25lookback_scan_determinismE0ELb1ES3_N6thrust23THRUST_200600_302600_NS6detail15normal_iteratorINS9_10device_ptrIiEEEENSB_INSC_IjEEEENSB_INSC_IfEEEEiNS9_4plusIvEENS9_8equal_toIvEEiEE10hipError_tPvRmT2_T3_T4_T5_mT6_T7_P12ihipStream_tbENKUlT_T0_E_clISt17integral_constantIbLb0EES12_IbLb1EEEEDaSY_SZ_EUlSY_E_NS1_11comp_targetILNS1_3genE8ELNS1_11target_archE1030ELNS1_3gpuE2ELNS1_3repE0EEENS1_30default_config_static_selectorELNS0_4arch9wavefront6targetE1EEEvT1_
; %bb.0:
	.section	.rodata,"a",@progbits
	.p2align	6, 0x0
	.amdhsa_kernel _ZN7rocprim17ROCPRIM_400000_NS6detail17trampoline_kernelINS0_14default_configENS1_27scan_by_key_config_selectorIiiEEZZNS1_16scan_by_key_implILNS1_25lookback_scan_determinismE0ELb1ES3_N6thrust23THRUST_200600_302600_NS6detail15normal_iteratorINS9_10device_ptrIiEEEENSB_INSC_IjEEEENSB_INSC_IfEEEEiNS9_4plusIvEENS9_8equal_toIvEEiEE10hipError_tPvRmT2_T3_T4_T5_mT6_T7_P12ihipStream_tbENKUlT_T0_E_clISt17integral_constantIbLb0EES12_IbLb1EEEEDaSY_SZ_EUlSY_E_NS1_11comp_targetILNS1_3genE8ELNS1_11target_archE1030ELNS1_3gpuE2ELNS1_3repE0EEENS1_30default_config_static_selectorELNS0_4arch9wavefront6targetE1EEEvT1_
		.amdhsa_group_segment_fixed_size 0
		.amdhsa_private_segment_fixed_size 0
		.amdhsa_kernarg_size 112
		.amdhsa_user_sgpr_count 6
		.amdhsa_user_sgpr_private_segment_buffer 1
		.amdhsa_user_sgpr_dispatch_ptr 0
		.amdhsa_user_sgpr_queue_ptr 0
		.amdhsa_user_sgpr_kernarg_segment_ptr 1
		.amdhsa_user_sgpr_dispatch_id 0
		.amdhsa_user_sgpr_flat_scratch_init 0
		.amdhsa_user_sgpr_kernarg_preload_length 0
		.amdhsa_user_sgpr_kernarg_preload_offset 0
		.amdhsa_user_sgpr_private_segment_size 0
		.amdhsa_uses_dynamic_stack 0
		.amdhsa_system_sgpr_private_segment_wavefront_offset 0
		.amdhsa_system_sgpr_workgroup_id_x 1
		.amdhsa_system_sgpr_workgroup_id_y 0
		.amdhsa_system_sgpr_workgroup_id_z 0
		.amdhsa_system_sgpr_workgroup_info 0
		.amdhsa_system_vgpr_workitem_id 0
		.amdhsa_next_free_vgpr 1
		.amdhsa_next_free_sgpr 0
		.amdhsa_accum_offset 4
		.amdhsa_reserve_vcc 0
		.amdhsa_reserve_flat_scratch 0
		.amdhsa_float_round_mode_32 0
		.amdhsa_float_round_mode_16_64 0
		.amdhsa_float_denorm_mode_32 3
		.amdhsa_float_denorm_mode_16_64 3
		.amdhsa_dx10_clamp 1
		.amdhsa_ieee_mode 1
		.amdhsa_fp16_overflow 0
		.amdhsa_tg_split 0
		.amdhsa_exception_fp_ieee_invalid_op 0
		.amdhsa_exception_fp_denorm_src 0
		.amdhsa_exception_fp_ieee_div_zero 0
		.amdhsa_exception_fp_ieee_overflow 0
		.amdhsa_exception_fp_ieee_underflow 0
		.amdhsa_exception_fp_ieee_inexact 0
		.amdhsa_exception_int_div_zero 0
	.end_amdhsa_kernel
	.section	.text._ZN7rocprim17ROCPRIM_400000_NS6detail17trampoline_kernelINS0_14default_configENS1_27scan_by_key_config_selectorIiiEEZZNS1_16scan_by_key_implILNS1_25lookback_scan_determinismE0ELb1ES3_N6thrust23THRUST_200600_302600_NS6detail15normal_iteratorINS9_10device_ptrIiEEEENSB_INSC_IjEEEENSB_INSC_IfEEEEiNS9_4plusIvEENS9_8equal_toIvEEiEE10hipError_tPvRmT2_T3_T4_T5_mT6_T7_P12ihipStream_tbENKUlT_T0_E_clISt17integral_constantIbLb0EES12_IbLb1EEEEDaSY_SZ_EUlSY_E_NS1_11comp_targetILNS1_3genE8ELNS1_11target_archE1030ELNS1_3gpuE2ELNS1_3repE0EEENS1_30default_config_static_selectorELNS0_4arch9wavefront6targetE1EEEvT1_,"axG",@progbits,_ZN7rocprim17ROCPRIM_400000_NS6detail17trampoline_kernelINS0_14default_configENS1_27scan_by_key_config_selectorIiiEEZZNS1_16scan_by_key_implILNS1_25lookback_scan_determinismE0ELb1ES3_N6thrust23THRUST_200600_302600_NS6detail15normal_iteratorINS9_10device_ptrIiEEEENSB_INSC_IjEEEENSB_INSC_IfEEEEiNS9_4plusIvEENS9_8equal_toIvEEiEE10hipError_tPvRmT2_T3_T4_T5_mT6_T7_P12ihipStream_tbENKUlT_T0_E_clISt17integral_constantIbLb0EES12_IbLb1EEEEDaSY_SZ_EUlSY_E_NS1_11comp_targetILNS1_3genE8ELNS1_11target_archE1030ELNS1_3gpuE2ELNS1_3repE0EEENS1_30default_config_static_selectorELNS0_4arch9wavefront6targetE1EEEvT1_,comdat
.Lfunc_end1751:
	.size	_ZN7rocprim17ROCPRIM_400000_NS6detail17trampoline_kernelINS0_14default_configENS1_27scan_by_key_config_selectorIiiEEZZNS1_16scan_by_key_implILNS1_25lookback_scan_determinismE0ELb1ES3_N6thrust23THRUST_200600_302600_NS6detail15normal_iteratorINS9_10device_ptrIiEEEENSB_INSC_IjEEEENSB_INSC_IfEEEEiNS9_4plusIvEENS9_8equal_toIvEEiEE10hipError_tPvRmT2_T3_T4_T5_mT6_T7_P12ihipStream_tbENKUlT_T0_E_clISt17integral_constantIbLb0EES12_IbLb1EEEEDaSY_SZ_EUlSY_E_NS1_11comp_targetILNS1_3genE8ELNS1_11target_archE1030ELNS1_3gpuE2ELNS1_3repE0EEENS1_30default_config_static_selectorELNS0_4arch9wavefront6targetE1EEEvT1_, .Lfunc_end1751-_ZN7rocprim17ROCPRIM_400000_NS6detail17trampoline_kernelINS0_14default_configENS1_27scan_by_key_config_selectorIiiEEZZNS1_16scan_by_key_implILNS1_25lookback_scan_determinismE0ELb1ES3_N6thrust23THRUST_200600_302600_NS6detail15normal_iteratorINS9_10device_ptrIiEEEENSB_INSC_IjEEEENSB_INSC_IfEEEEiNS9_4plusIvEENS9_8equal_toIvEEiEE10hipError_tPvRmT2_T3_T4_T5_mT6_T7_P12ihipStream_tbENKUlT_T0_E_clISt17integral_constantIbLb0EES12_IbLb1EEEEDaSY_SZ_EUlSY_E_NS1_11comp_targetILNS1_3genE8ELNS1_11target_archE1030ELNS1_3gpuE2ELNS1_3repE0EEENS1_30default_config_static_selectorELNS0_4arch9wavefront6targetE1EEEvT1_
                                        ; -- End function
	.section	.AMDGPU.csdata,"",@progbits
; Kernel info:
; codeLenInByte = 0
; NumSgprs: 4
; NumVgprs: 0
; NumAgprs: 0
; TotalNumVgprs: 0
; ScratchSize: 0
; MemoryBound: 0
; FloatMode: 240
; IeeeMode: 1
; LDSByteSize: 0 bytes/workgroup (compile time only)
; SGPRBlocks: 0
; VGPRBlocks: 0
; NumSGPRsForWavesPerEU: 4
; NumVGPRsForWavesPerEU: 1
; AccumOffset: 4
; Occupancy: 8
; WaveLimiterHint : 0
; COMPUTE_PGM_RSRC2:SCRATCH_EN: 0
; COMPUTE_PGM_RSRC2:USER_SGPR: 6
; COMPUTE_PGM_RSRC2:TRAP_HANDLER: 0
; COMPUTE_PGM_RSRC2:TGID_X_EN: 1
; COMPUTE_PGM_RSRC2:TGID_Y_EN: 0
; COMPUTE_PGM_RSRC2:TGID_Z_EN: 0
; COMPUTE_PGM_RSRC2:TIDIG_COMP_CNT: 0
; COMPUTE_PGM_RSRC3_GFX90A:ACCUM_OFFSET: 0
; COMPUTE_PGM_RSRC3_GFX90A:TG_SPLIT: 0
	.section	.text._ZN7rocprim17ROCPRIM_400000_NS6detail17trampoline_kernelINS0_14default_configENS1_27scan_by_key_config_selectorIiiEEZZNS1_16scan_by_key_implILNS1_25lookback_scan_determinismE0ELb1ES3_N6thrust23THRUST_200600_302600_NS6detail15normal_iteratorINS9_10device_ptrIiEEEENSB_INSC_IjEEEESE_iNS9_4plusIvEENS9_8equal_toIvEEiEE10hipError_tPvRmT2_T3_T4_T5_mT6_T7_P12ihipStream_tbENKUlT_T0_E_clISt17integral_constantIbLb0EES11_EEDaSW_SX_EUlSW_E_NS1_11comp_targetILNS1_3genE0ELNS1_11target_archE4294967295ELNS1_3gpuE0ELNS1_3repE0EEENS1_30default_config_static_selectorELNS0_4arch9wavefront6targetE1EEEvT1_,"axG",@progbits,_ZN7rocprim17ROCPRIM_400000_NS6detail17trampoline_kernelINS0_14default_configENS1_27scan_by_key_config_selectorIiiEEZZNS1_16scan_by_key_implILNS1_25lookback_scan_determinismE0ELb1ES3_N6thrust23THRUST_200600_302600_NS6detail15normal_iteratorINS9_10device_ptrIiEEEENSB_INSC_IjEEEESE_iNS9_4plusIvEENS9_8equal_toIvEEiEE10hipError_tPvRmT2_T3_T4_T5_mT6_T7_P12ihipStream_tbENKUlT_T0_E_clISt17integral_constantIbLb0EES11_EEDaSW_SX_EUlSW_E_NS1_11comp_targetILNS1_3genE0ELNS1_11target_archE4294967295ELNS1_3gpuE0ELNS1_3repE0EEENS1_30default_config_static_selectorELNS0_4arch9wavefront6targetE1EEEvT1_,comdat
	.protected	_ZN7rocprim17ROCPRIM_400000_NS6detail17trampoline_kernelINS0_14default_configENS1_27scan_by_key_config_selectorIiiEEZZNS1_16scan_by_key_implILNS1_25lookback_scan_determinismE0ELb1ES3_N6thrust23THRUST_200600_302600_NS6detail15normal_iteratorINS9_10device_ptrIiEEEENSB_INSC_IjEEEESE_iNS9_4plusIvEENS9_8equal_toIvEEiEE10hipError_tPvRmT2_T3_T4_T5_mT6_T7_P12ihipStream_tbENKUlT_T0_E_clISt17integral_constantIbLb0EES11_EEDaSW_SX_EUlSW_E_NS1_11comp_targetILNS1_3genE0ELNS1_11target_archE4294967295ELNS1_3gpuE0ELNS1_3repE0EEENS1_30default_config_static_selectorELNS0_4arch9wavefront6targetE1EEEvT1_ ; -- Begin function _ZN7rocprim17ROCPRIM_400000_NS6detail17trampoline_kernelINS0_14default_configENS1_27scan_by_key_config_selectorIiiEEZZNS1_16scan_by_key_implILNS1_25lookback_scan_determinismE0ELb1ES3_N6thrust23THRUST_200600_302600_NS6detail15normal_iteratorINS9_10device_ptrIiEEEENSB_INSC_IjEEEESE_iNS9_4plusIvEENS9_8equal_toIvEEiEE10hipError_tPvRmT2_T3_T4_T5_mT6_T7_P12ihipStream_tbENKUlT_T0_E_clISt17integral_constantIbLb0EES11_EEDaSW_SX_EUlSW_E_NS1_11comp_targetILNS1_3genE0ELNS1_11target_archE4294967295ELNS1_3gpuE0ELNS1_3repE0EEENS1_30default_config_static_selectorELNS0_4arch9wavefront6targetE1EEEvT1_
	.globl	_ZN7rocprim17ROCPRIM_400000_NS6detail17trampoline_kernelINS0_14default_configENS1_27scan_by_key_config_selectorIiiEEZZNS1_16scan_by_key_implILNS1_25lookback_scan_determinismE0ELb1ES3_N6thrust23THRUST_200600_302600_NS6detail15normal_iteratorINS9_10device_ptrIiEEEENSB_INSC_IjEEEESE_iNS9_4plusIvEENS9_8equal_toIvEEiEE10hipError_tPvRmT2_T3_T4_T5_mT6_T7_P12ihipStream_tbENKUlT_T0_E_clISt17integral_constantIbLb0EES11_EEDaSW_SX_EUlSW_E_NS1_11comp_targetILNS1_3genE0ELNS1_11target_archE4294967295ELNS1_3gpuE0ELNS1_3repE0EEENS1_30default_config_static_selectorELNS0_4arch9wavefront6targetE1EEEvT1_
	.p2align	8
	.type	_ZN7rocprim17ROCPRIM_400000_NS6detail17trampoline_kernelINS0_14default_configENS1_27scan_by_key_config_selectorIiiEEZZNS1_16scan_by_key_implILNS1_25lookback_scan_determinismE0ELb1ES3_N6thrust23THRUST_200600_302600_NS6detail15normal_iteratorINS9_10device_ptrIiEEEENSB_INSC_IjEEEESE_iNS9_4plusIvEENS9_8equal_toIvEEiEE10hipError_tPvRmT2_T3_T4_T5_mT6_T7_P12ihipStream_tbENKUlT_T0_E_clISt17integral_constantIbLb0EES11_EEDaSW_SX_EUlSW_E_NS1_11comp_targetILNS1_3genE0ELNS1_11target_archE4294967295ELNS1_3gpuE0ELNS1_3repE0EEENS1_30default_config_static_selectorELNS0_4arch9wavefront6targetE1EEEvT1_,@function
_ZN7rocprim17ROCPRIM_400000_NS6detail17trampoline_kernelINS0_14default_configENS1_27scan_by_key_config_selectorIiiEEZZNS1_16scan_by_key_implILNS1_25lookback_scan_determinismE0ELb1ES3_N6thrust23THRUST_200600_302600_NS6detail15normal_iteratorINS9_10device_ptrIiEEEENSB_INSC_IjEEEESE_iNS9_4plusIvEENS9_8equal_toIvEEiEE10hipError_tPvRmT2_T3_T4_T5_mT6_T7_P12ihipStream_tbENKUlT_T0_E_clISt17integral_constantIbLb0EES11_EEDaSW_SX_EUlSW_E_NS1_11comp_targetILNS1_3genE0ELNS1_11target_archE4294967295ELNS1_3gpuE0ELNS1_3repE0EEENS1_30default_config_static_selectorELNS0_4arch9wavefront6targetE1EEEvT1_: ; @_ZN7rocprim17ROCPRIM_400000_NS6detail17trampoline_kernelINS0_14default_configENS1_27scan_by_key_config_selectorIiiEEZZNS1_16scan_by_key_implILNS1_25lookback_scan_determinismE0ELb1ES3_N6thrust23THRUST_200600_302600_NS6detail15normal_iteratorINS9_10device_ptrIiEEEENSB_INSC_IjEEEESE_iNS9_4plusIvEENS9_8equal_toIvEEiEE10hipError_tPvRmT2_T3_T4_T5_mT6_T7_P12ihipStream_tbENKUlT_T0_E_clISt17integral_constantIbLb0EES11_EEDaSW_SX_EUlSW_E_NS1_11comp_targetILNS1_3genE0ELNS1_11target_archE4294967295ELNS1_3gpuE0ELNS1_3repE0EEENS1_30default_config_static_selectorELNS0_4arch9wavefront6targetE1EEEvT1_
; %bb.0:
	.section	.rodata,"a",@progbits
	.p2align	6, 0x0
	.amdhsa_kernel _ZN7rocprim17ROCPRIM_400000_NS6detail17trampoline_kernelINS0_14default_configENS1_27scan_by_key_config_selectorIiiEEZZNS1_16scan_by_key_implILNS1_25lookback_scan_determinismE0ELb1ES3_N6thrust23THRUST_200600_302600_NS6detail15normal_iteratorINS9_10device_ptrIiEEEENSB_INSC_IjEEEESE_iNS9_4plusIvEENS9_8equal_toIvEEiEE10hipError_tPvRmT2_T3_T4_T5_mT6_T7_P12ihipStream_tbENKUlT_T0_E_clISt17integral_constantIbLb0EES11_EEDaSW_SX_EUlSW_E_NS1_11comp_targetILNS1_3genE0ELNS1_11target_archE4294967295ELNS1_3gpuE0ELNS1_3repE0EEENS1_30default_config_static_selectorELNS0_4arch9wavefront6targetE1EEEvT1_
		.amdhsa_group_segment_fixed_size 0
		.amdhsa_private_segment_fixed_size 0
		.amdhsa_kernarg_size 112
		.amdhsa_user_sgpr_count 6
		.amdhsa_user_sgpr_private_segment_buffer 1
		.amdhsa_user_sgpr_dispatch_ptr 0
		.amdhsa_user_sgpr_queue_ptr 0
		.amdhsa_user_sgpr_kernarg_segment_ptr 1
		.amdhsa_user_sgpr_dispatch_id 0
		.amdhsa_user_sgpr_flat_scratch_init 0
		.amdhsa_user_sgpr_kernarg_preload_length 0
		.amdhsa_user_sgpr_kernarg_preload_offset 0
		.amdhsa_user_sgpr_private_segment_size 0
		.amdhsa_uses_dynamic_stack 0
		.amdhsa_system_sgpr_private_segment_wavefront_offset 0
		.amdhsa_system_sgpr_workgroup_id_x 1
		.amdhsa_system_sgpr_workgroup_id_y 0
		.amdhsa_system_sgpr_workgroup_id_z 0
		.amdhsa_system_sgpr_workgroup_info 0
		.amdhsa_system_vgpr_workitem_id 0
		.amdhsa_next_free_vgpr 1
		.amdhsa_next_free_sgpr 0
		.amdhsa_accum_offset 4
		.amdhsa_reserve_vcc 0
		.amdhsa_reserve_flat_scratch 0
		.amdhsa_float_round_mode_32 0
		.amdhsa_float_round_mode_16_64 0
		.amdhsa_float_denorm_mode_32 3
		.amdhsa_float_denorm_mode_16_64 3
		.amdhsa_dx10_clamp 1
		.amdhsa_ieee_mode 1
		.amdhsa_fp16_overflow 0
		.amdhsa_tg_split 0
		.amdhsa_exception_fp_ieee_invalid_op 0
		.amdhsa_exception_fp_denorm_src 0
		.amdhsa_exception_fp_ieee_div_zero 0
		.amdhsa_exception_fp_ieee_overflow 0
		.amdhsa_exception_fp_ieee_underflow 0
		.amdhsa_exception_fp_ieee_inexact 0
		.amdhsa_exception_int_div_zero 0
	.end_amdhsa_kernel
	.section	.text._ZN7rocprim17ROCPRIM_400000_NS6detail17trampoline_kernelINS0_14default_configENS1_27scan_by_key_config_selectorIiiEEZZNS1_16scan_by_key_implILNS1_25lookback_scan_determinismE0ELb1ES3_N6thrust23THRUST_200600_302600_NS6detail15normal_iteratorINS9_10device_ptrIiEEEENSB_INSC_IjEEEESE_iNS9_4plusIvEENS9_8equal_toIvEEiEE10hipError_tPvRmT2_T3_T4_T5_mT6_T7_P12ihipStream_tbENKUlT_T0_E_clISt17integral_constantIbLb0EES11_EEDaSW_SX_EUlSW_E_NS1_11comp_targetILNS1_3genE0ELNS1_11target_archE4294967295ELNS1_3gpuE0ELNS1_3repE0EEENS1_30default_config_static_selectorELNS0_4arch9wavefront6targetE1EEEvT1_,"axG",@progbits,_ZN7rocprim17ROCPRIM_400000_NS6detail17trampoline_kernelINS0_14default_configENS1_27scan_by_key_config_selectorIiiEEZZNS1_16scan_by_key_implILNS1_25lookback_scan_determinismE0ELb1ES3_N6thrust23THRUST_200600_302600_NS6detail15normal_iteratorINS9_10device_ptrIiEEEENSB_INSC_IjEEEESE_iNS9_4plusIvEENS9_8equal_toIvEEiEE10hipError_tPvRmT2_T3_T4_T5_mT6_T7_P12ihipStream_tbENKUlT_T0_E_clISt17integral_constantIbLb0EES11_EEDaSW_SX_EUlSW_E_NS1_11comp_targetILNS1_3genE0ELNS1_11target_archE4294967295ELNS1_3gpuE0ELNS1_3repE0EEENS1_30default_config_static_selectorELNS0_4arch9wavefront6targetE1EEEvT1_,comdat
.Lfunc_end1752:
	.size	_ZN7rocprim17ROCPRIM_400000_NS6detail17trampoline_kernelINS0_14default_configENS1_27scan_by_key_config_selectorIiiEEZZNS1_16scan_by_key_implILNS1_25lookback_scan_determinismE0ELb1ES3_N6thrust23THRUST_200600_302600_NS6detail15normal_iteratorINS9_10device_ptrIiEEEENSB_INSC_IjEEEESE_iNS9_4plusIvEENS9_8equal_toIvEEiEE10hipError_tPvRmT2_T3_T4_T5_mT6_T7_P12ihipStream_tbENKUlT_T0_E_clISt17integral_constantIbLb0EES11_EEDaSW_SX_EUlSW_E_NS1_11comp_targetILNS1_3genE0ELNS1_11target_archE4294967295ELNS1_3gpuE0ELNS1_3repE0EEENS1_30default_config_static_selectorELNS0_4arch9wavefront6targetE1EEEvT1_, .Lfunc_end1752-_ZN7rocprim17ROCPRIM_400000_NS6detail17trampoline_kernelINS0_14default_configENS1_27scan_by_key_config_selectorIiiEEZZNS1_16scan_by_key_implILNS1_25lookback_scan_determinismE0ELb1ES3_N6thrust23THRUST_200600_302600_NS6detail15normal_iteratorINS9_10device_ptrIiEEEENSB_INSC_IjEEEESE_iNS9_4plusIvEENS9_8equal_toIvEEiEE10hipError_tPvRmT2_T3_T4_T5_mT6_T7_P12ihipStream_tbENKUlT_T0_E_clISt17integral_constantIbLb0EES11_EEDaSW_SX_EUlSW_E_NS1_11comp_targetILNS1_3genE0ELNS1_11target_archE4294967295ELNS1_3gpuE0ELNS1_3repE0EEENS1_30default_config_static_selectorELNS0_4arch9wavefront6targetE1EEEvT1_
                                        ; -- End function
	.section	.AMDGPU.csdata,"",@progbits
; Kernel info:
; codeLenInByte = 0
; NumSgprs: 4
; NumVgprs: 0
; NumAgprs: 0
; TotalNumVgprs: 0
; ScratchSize: 0
; MemoryBound: 0
; FloatMode: 240
; IeeeMode: 1
; LDSByteSize: 0 bytes/workgroup (compile time only)
; SGPRBlocks: 0
; VGPRBlocks: 0
; NumSGPRsForWavesPerEU: 4
; NumVGPRsForWavesPerEU: 1
; AccumOffset: 4
; Occupancy: 8
; WaveLimiterHint : 0
; COMPUTE_PGM_RSRC2:SCRATCH_EN: 0
; COMPUTE_PGM_RSRC2:USER_SGPR: 6
; COMPUTE_PGM_RSRC2:TRAP_HANDLER: 0
; COMPUTE_PGM_RSRC2:TGID_X_EN: 1
; COMPUTE_PGM_RSRC2:TGID_Y_EN: 0
; COMPUTE_PGM_RSRC2:TGID_Z_EN: 0
; COMPUTE_PGM_RSRC2:TIDIG_COMP_CNT: 0
; COMPUTE_PGM_RSRC3_GFX90A:ACCUM_OFFSET: 0
; COMPUTE_PGM_RSRC3_GFX90A:TG_SPLIT: 0
	.section	.text._ZN7rocprim17ROCPRIM_400000_NS6detail17trampoline_kernelINS0_14default_configENS1_27scan_by_key_config_selectorIiiEEZZNS1_16scan_by_key_implILNS1_25lookback_scan_determinismE0ELb1ES3_N6thrust23THRUST_200600_302600_NS6detail15normal_iteratorINS9_10device_ptrIiEEEENSB_INSC_IjEEEESE_iNS9_4plusIvEENS9_8equal_toIvEEiEE10hipError_tPvRmT2_T3_T4_T5_mT6_T7_P12ihipStream_tbENKUlT_T0_E_clISt17integral_constantIbLb0EES11_EEDaSW_SX_EUlSW_E_NS1_11comp_targetILNS1_3genE10ELNS1_11target_archE1201ELNS1_3gpuE5ELNS1_3repE0EEENS1_30default_config_static_selectorELNS0_4arch9wavefront6targetE1EEEvT1_,"axG",@progbits,_ZN7rocprim17ROCPRIM_400000_NS6detail17trampoline_kernelINS0_14default_configENS1_27scan_by_key_config_selectorIiiEEZZNS1_16scan_by_key_implILNS1_25lookback_scan_determinismE0ELb1ES3_N6thrust23THRUST_200600_302600_NS6detail15normal_iteratorINS9_10device_ptrIiEEEENSB_INSC_IjEEEESE_iNS9_4plusIvEENS9_8equal_toIvEEiEE10hipError_tPvRmT2_T3_T4_T5_mT6_T7_P12ihipStream_tbENKUlT_T0_E_clISt17integral_constantIbLb0EES11_EEDaSW_SX_EUlSW_E_NS1_11comp_targetILNS1_3genE10ELNS1_11target_archE1201ELNS1_3gpuE5ELNS1_3repE0EEENS1_30default_config_static_selectorELNS0_4arch9wavefront6targetE1EEEvT1_,comdat
	.protected	_ZN7rocprim17ROCPRIM_400000_NS6detail17trampoline_kernelINS0_14default_configENS1_27scan_by_key_config_selectorIiiEEZZNS1_16scan_by_key_implILNS1_25lookback_scan_determinismE0ELb1ES3_N6thrust23THRUST_200600_302600_NS6detail15normal_iteratorINS9_10device_ptrIiEEEENSB_INSC_IjEEEESE_iNS9_4plusIvEENS9_8equal_toIvEEiEE10hipError_tPvRmT2_T3_T4_T5_mT6_T7_P12ihipStream_tbENKUlT_T0_E_clISt17integral_constantIbLb0EES11_EEDaSW_SX_EUlSW_E_NS1_11comp_targetILNS1_3genE10ELNS1_11target_archE1201ELNS1_3gpuE5ELNS1_3repE0EEENS1_30default_config_static_selectorELNS0_4arch9wavefront6targetE1EEEvT1_ ; -- Begin function _ZN7rocprim17ROCPRIM_400000_NS6detail17trampoline_kernelINS0_14default_configENS1_27scan_by_key_config_selectorIiiEEZZNS1_16scan_by_key_implILNS1_25lookback_scan_determinismE0ELb1ES3_N6thrust23THRUST_200600_302600_NS6detail15normal_iteratorINS9_10device_ptrIiEEEENSB_INSC_IjEEEESE_iNS9_4plusIvEENS9_8equal_toIvEEiEE10hipError_tPvRmT2_T3_T4_T5_mT6_T7_P12ihipStream_tbENKUlT_T0_E_clISt17integral_constantIbLb0EES11_EEDaSW_SX_EUlSW_E_NS1_11comp_targetILNS1_3genE10ELNS1_11target_archE1201ELNS1_3gpuE5ELNS1_3repE0EEENS1_30default_config_static_selectorELNS0_4arch9wavefront6targetE1EEEvT1_
	.globl	_ZN7rocprim17ROCPRIM_400000_NS6detail17trampoline_kernelINS0_14default_configENS1_27scan_by_key_config_selectorIiiEEZZNS1_16scan_by_key_implILNS1_25lookback_scan_determinismE0ELb1ES3_N6thrust23THRUST_200600_302600_NS6detail15normal_iteratorINS9_10device_ptrIiEEEENSB_INSC_IjEEEESE_iNS9_4plusIvEENS9_8equal_toIvEEiEE10hipError_tPvRmT2_T3_T4_T5_mT6_T7_P12ihipStream_tbENKUlT_T0_E_clISt17integral_constantIbLb0EES11_EEDaSW_SX_EUlSW_E_NS1_11comp_targetILNS1_3genE10ELNS1_11target_archE1201ELNS1_3gpuE5ELNS1_3repE0EEENS1_30default_config_static_selectorELNS0_4arch9wavefront6targetE1EEEvT1_
	.p2align	8
	.type	_ZN7rocprim17ROCPRIM_400000_NS6detail17trampoline_kernelINS0_14default_configENS1_27scan_by_key_config_selectorIiiEEZZNS1_16scan_by_key_implILNS1_25lookback_scan_determinismE0ELb1ES3_N6thrust23THRUST_200600_302600_NS6detail15normal_iteratorINS9_10device_ptrIiEEEENSB_INSC_IjEEEESE_iNS9_4plusIvEENS9_8equal_toIvEEiEE10hipError_tPvRmT2_T3_T4_T5_mT6_T7_P12ihipStream_tbENKUlT_T0_E_clISt17integral_constantIbLb0EES11_EEDaSW_SX_EUlSW_E_NS1_11comp_targetILNS1_3genE10ELNS1_11target_archE1201ELNS1_3gpuE5ELNS1_3repE0EEENS1_30default_config_static_selectorELNS0_4arch9wavefront6targetE1EEEvT1_,@function
_ZN7rocprim17ROCPRIM_400000_NS6detail17trampoline_kernelINS0_14default_configENS1_27scan_by_key_config_selectorIiiEEZZNS1_16scan_by_key_implILNS1_25lookback_scan_determinismE0ELb1ES3_N6thrust23THRUST_200600_302600_NS6detail15normal_iteratorINS9_10device_ptrIiEEEENSB_INSC_IjEEEESE_iNS9_4plusIvEENS9_8equal_toIvEEiEE10hipError_tPvRmT2_T3_T4_T5_mT6_T7_P12ihipStream_tbENKUlT_T0_E_clISt17integral_constantIbLb0EES11_EEDaSW_SX_EUlSW_E_NS1_11comp_targetILNS1_3genE10ELNS1_11target_archE1201ELNS1_3gpuE5ELNS1_3repE0EEENS1_30default_config_static_selectorELNS0_4arch9wavefront6targetE1EEEvT1_: ; @_ZN7rocprim17ROCPRIM_400000_NS6detail17trampoline_kernelINS0_14default_configENS1_27scan_by_key_config_selectorIiiEEZZNS1_16scan_by_key_implILNS1_25lookback_scan_determinismE0ELb1ES3_N6thrust23THRUST_200600_302600_NS6detail15normal_iteratorINS9_10device_ptrIiEEEENSB_INSC_IjEEEESE_iNS9_4plusIvEENS9_8equal_toIvEEiEE10hipError_tPvRmT2_T3_T4_T5_mT6_T7_P12ihipStream_tbENKUlT_T0_E_clISt17integral_constantIbLb0EES11_EEDaSW_SX_EUlSW_E_NS1_11comp_targetILNS1_3genE10ELNS1_11target_archE1201ELNS1_3gpuE5ELNS1_3repE0EEENS1_30default_config_static_selectorELNS0_4arch9wavefront6targetE1EEEvT1_
; %bb.0:
	.section	.rodata,"a",@progbits
	.p2align	6, 0x0
	.amdhsa_kernel _ZN7rocprim17ROCPRIM_400000_NS6detail17trampoline_kernelINS0_14default_configENS1_27scan_by_key_config_selectorIiiEEZZNS1_16scan_by_key_implILNS1_25lookback_scan_determinismE0ELb1ES3_N6thrust23THRUST_200600_302600_NS6detail15normal_iteratorINS9_10device_ptrIiEEEENSB_INSC_IjEEEESE_iNS9_4plusIvEENS9_8equal_toIvEEiEE10hipError_tPvRmT2_T3_T4_T5_mT6_T7_P12ihipStream_tbENKUlT_T0_E_clISt17integral_constantIbLb0EES11_EEDaSW_SX_EUlSW_E_NS1_11comp_targetILNS1_3genE10ELNS1_11target_archE1201ELNS1_3gpuE5ELNS1_3repE0EEENS1_30default_config_static_selectorELNS0_4arch9wavefront6targetE1EEEvT1_
		.amdhsa_group_segment_fixed_size 0
		.amdhsa_private_segment_fixed_size 0
		.amdhsa_kernarg_size 112
		.amdhsa_user_sgpr_count 6
		.amdhsa_user_sgpr_private_segment_buffer 1
		.amdhsa_user_sgpr_dispatch_ptr 0
		.amdhsa_user_sgpr_queue_ptr 0
		.amdhsa_user_sgpr_kernarg_segment_ptr 1
		.amdhsa_user_sgpr_dispatch_id 0
		.amdhsa_user_sgpr_flat_scratch_init 0
		.amdhsa_user_sgpr_kernarg_preload_length 0
		.amdhsa_user_sgpr_kernarg_preload_offset 0
		.amdhsa_user_sgpr_private_segment_size 0
		.amdhsa_uses_dynamic_stack 0
		.amdhsa_system_sgpr_private_segment_wavefront_offset 0
		.amdhsa_system_sgpr_workgroup_id_x 1
		.amdhsa_system_sgpr_workgroup_id_y 0
		.amdhsa_system_sgpr_workgroup_id_z 0
		.amdhsa_system_sgpr_workgroup_info 0
		.amdhsa_system_vgpr_workitem_id 0
		.amdhsa_next_free_vgpr 1
		.amdhsa_next_free_sgpr 0
		.amdhsa_accum_offset 4
		.amdhsa_reserve_vcc 0
		.amdhsa_reserve_flat_scratch 0
		.amdhsa_float_round_mode_32 0
		.amdhsa_float_round_mode_16_64 0
		.amdhsa_float_denorm_mode_32 3
		.amdhsa_float_denorm_mode_16_64 3
		.amdhsa_dx10_clamp 1
		.amdhsa_ieee_mode 1
		.amdhsa_fp16_overflow 0
		.amdhsa_tg_split 0
		.amdhsa_exception_fp_ieee_invalid_op 0
		.amdhsa_exception_fp_denorm_src 0
		.amdhsa_exception_fp_ieee_div_zero 0
		.amdhsa_exception_fp_ieee_overflow 0
		.amdhsa_exception_fp_ieee_underflow 0
		.amdhsa_exception_fp_ieee_inexact 0
		.amdhsa_exception_int_div_zero 0
	.end_amdhsa_kernel
	.section	.text._ZN7rocprim17ROCPRIM_400000_NS6detail17trampoline_kernelINS0_14default_configENS1_27scan_by_key_config_selectorIiiEEZZNS1_16scan_by_key_implILNS1_25lookback_scan_determinismE0ELb1ES3_N6thrust23THRUST_200600_302600_NS6detail15normal_iteratorINS9_10device_ptrIiEEEENSB_INSC_IjEEEESE_iNS9_4plusIvEENS9_8equal_toIvEEiEE10hipError_tPvRmT2_T3_T4_T5_mT6_T7_P12ihipStream_tbENKUlT_T0_E_clISt17integral_constantIbLb0EES11_EEDaSW_SX_EUlSW_E_NS1_11comp_targetILNS1_3genE10ELNS1_11target_archE1201ELNS1_3gpuE5ELNS1_3repE0EEENS1_30default_config_static_selectorELNS0_4arch9wavefront6targetE1EEEvT1_,"axG",@progbits,_ZN7rocprim17ROCPRIM_400000_NS6detail17trampoline_kernelINS0_14default_configENS1_27scan_by_key_config_selectorIiiEEZZNS1_16scan_by_key_implILNS1_25lookback_scan_determinismE0ELb1ES3_N6thrust23THRUST_200600_302600_NS6detail15normal_iteratorINS9_10device_ptrIiEEEENSB_INSC_IjEEEESE_iNS9_4plusIvEENS9_8equal_toIvEEiEE10hipError_tPvRmT2_T3_T4_T5_mT6_T7_P12ihipStream_tbENKUlT_T0_E_clISt17integral_constantIbLb0EES11_EEDaSW_SX_EUlSW_E_NS1_11comp_targetILNS1_3genE10ELNS1_11target_archE1201ELNS1_3gpuE5ELNS1_3repE0EEENS1_30default_config_static_selectorELNS0_4arch9wavefront6targetE1EEEvT1_,comdat
.Lfunc_end1753:
	.size	_ZN7rocprim17ROCPRIM_400000_NS6detail17trampoline_kernelINS0_14default_configENS1_27scan_by_key_config_selectorIiiEEZZNS1_16scan_by_key_implILNS1_25lookback_scan_determinismE0ELb1ES3_N6thrust23THRUST_200600_302600_NS6detail15normal_iteratorINS9_10device_ptrIiEEEENSB_INSC_IjEEEESE_iNS9_4plusIvEENS9_8equal_toIvEEiEE10hipError_tPvRmT2_T3_T4_T5_mT6_T7_P12ihipStream_tbENKUlT_T0_E_clISt17integral_constantIbLb0EES11_EEDaSW_SX_EUlSW_E_NS1_11comp_targetILNS1_3genE10ELNS1_11target_archE1201ELNS1_3gpuE5ELNS1_3repE0EEENS1_30default_config_static_selectorELNS0_4arch9wavefront6targetE1EEEvT1_, .Lfunc_end1753-_ZN7rocprim17ROCPRIM_400000_NS6detail17trampoline_kernelINS0_14default_configENS1_27scan_by_key_config_selectorIiiEEZZNS1_16scan_by_key_implILNS1_25lookback_scan_determinismE0ELb1ES3_N6thrust23THRUST_200600_302600_NS6detail15normal_iteratorINS9_10device_ptrIiEEEENSB_INSC_IjEEEESE_iNS9_4plusIvEENS9_8equal_toIvEEiEE10hipError_tPvRmT2_T3_T4_T5_mT6_T7_P12ihipStream_tbENKUlT_T0_E_clISt17integral_constantIbLb0EES11_EEDaSW_SX_EUlSW_E_NS1_11comp_targetILNS1_3genE10ELNS1_11target_archE1201ELNS1_3gpuE5ELNS1_3repE0EEENS1_30default_config_static_selectorELNS0_4arch9wavefront6targetE1EEEvT1_
                                        ; -- End function
	.section	.AMDGPU.csdata,"",@progbits
; Kernel info:
; codeLenInByte = 0
; NumSgprs: 4
; NumVgprs: 0
; NumAgprs: 0
; TotalNumVgprs: 0
; ScratchSize: 0
; MemoryBound: 0
; FloatMode: 240
; IeeeMode: 1
; LDSByteSize: 0 bytes/workgroup (compile time only)
; SGPRBlocks: 0
; VGPRBlocks: 0
; NumSGPRsForWavesPerEU: 4
; NumVGPRsForWavesPerEU: 1
; AccumOffset: 4
; Occupancy: 8
; WaveLimiterHint : 0
; COMPUTE_PGM_RSRC2:SCRATCH_EN: 0
; COMPUTE_PGM_RSRC2:USER_SGPR: 6
; COMPUTE_PGM_RSRC2:TRAP_HANDLER: 0
; COMPUTE_PGM_RSRC2:TGID_X_EN: 1
; COMPUTE_PGM_RSRC2:TGID_Y_EN: 0
; COMPUTE_PGM_RSRC2:TGID_Z_EN: 0
; COMPUTE_PGM_RSRC2:TIDIG_COMP_CNT: 0
; COMPUTE_PGM_RSRC3_GFX90A:ACCUM_OFFSET: 0
; COMPUTE_PGM_RSRC3_GFX90A:TG_SPLIT: 0
	.section	.text._ZN7rocprim17ROCPRIM_400000_NS6detail17trampoline_kernelINS0_14default_configENS1_27scan_by_key_config_selectorIiiEEZZNS1_16scan_by_key_implILNS1_25lookback_scan_determinismE0ELb1ES3_N6thrust23THRUST_200600_302600_NS6detail15normal_iteratorINS9_10device_ptrIiEEEENSB_INSC_IjEEEESE_iNS9_4plusIvEENS9_8equal_toIvEEiEE10hipError_tPvRmT2_T3_T4_T5_mT6_T7_P12ihipStream_tbENKUlT_T0_E_clISt17integral_constantIbLb0EES11_EEDaSW_SX_EUlSW_E_NS1_11comp_targetILNS1_3genE5ELNS1_11target_archE942ELNS1_3gpuE9ELNS1_3repE0EEENS1_30default_config_static_selectorELNS0_4arch9wavefront6targetE1EEEvT1_,"axG",@progbits,_ZN7rocprim17ROCPRIM_400000_NS6detail17trampoline_kernelINS0_14default_configENS1_27scan_by_key_config_selectorIiiEEZZNS1_16scan_by_key_implILNS1_25lookback_scan_determinismE0ELb1ES3_N6thrust23THRUST_200600_302600_NS6detail15normal_iteratorINS9_10device_ptrIiEEEENSB_INSC_IjEEEESE_iNS9_4plusIvEENS9_8equal_toIvEEiEE10hipError_tPvRmT2_T3_T4_T5_mT6_T7_P12ihipStream_tbENKUlT_T0_E_clISt17integral_constantIbLb0EES11_EEDaSW_SX_EUlSW_E_NS1_11comp_targetILNS1_3genE5ELNS1_11target_archE942ELNS1_3gpuE9ELNS1_3repE0EEENS1_30default_config_static_selectorELNS0_4arch9wavefront6targetE1EEEvT1_,comdat
	.protected	_ZN7rocprim17ROCPRIM_400000_NS6detail17trampoline_kernelINS0_14default_configENS1_27scan_by_key_config_selectorIiiEEZZNS1_16scan_by_key_implILNS1_25lookback_scan_determinismE0ELb1ES3_N6thrust23THRUST_200600_302600_NS6detail15normal_iteratorINS9_10device_ptrIiEEEENSB_INSC_IjEEEESE_iNS9_4plusIvEENS9_8equal_toIvEEiEE10hipError_tPvRmT2_T3_T4_T5_mT6_T7_P12ihipStream_tbENKUlT_T0_E_clISt17integral_constantIbLb0EES11_EEDaSW_SX_EUlSW_E_NS1_11comp_targetILNS1_3genE5ELNS1_11target_archE942ELNS1_3gpuE9ELNS1_3repE0EEENS1_30default_config_static_selectorELNS0_4arch9wavefront6targetE1EEEvT1_ ; -- Begin function _ZN7rocprim17ROCPRIM_400000_NS6detail17trampoline_kernelINS0_14default_configENS1_27scan_by_key_config_selectorIiiEEZZNS1_16scan_by_key_implILNS1_25lookback_scan_determinismE0ELb1ES3_N6thrust23THRUST_200600_302600_NS6detail15normal_iteratorINS9_10device_ptrIiEEEENSB_INSC_IjEEEESE_iNS9_4plusIvEENS9_8equal_toIvEEiEE10hipError_tPvRmT2_T3_T4_T5_mT6_T7_P12ihipStream_tbENKUlT_T0_E_clISt17integral_constantIbLb0EES11_EEDaSW_SX_EUlSW_E_NS1_11comp_targetILNS1_3genE5ELNS1_11target_archE942ELNS1_3gpuE9ELNS1_3repE0EEENS1_30default_config_static_selectorELNS0_4arch9wavefront6targetE1EEEvT1_
	.globl	_ZN7rocprim17ROCPRIM_400000_NS6detail17trampoline_kernelINS0_14default_configENS1_27scan_by_key_config_selectorIiiEEZZNS1_16scan_by_key_implILNS1_25lookback_scan_determinismE0ELb1ES3_N6thrust23THRUST_200600_302600_NS6detail15normal_iteratorINS9_10device_ptrIiEEEENSB_INSC_IjEEEESE_iNS9_4plusIvEENS9_8equal_toIvEEiEE10hipError_tPvRmT2_T3_T4_T5_mT6_T7_P12ihipStream_tbENKUlT_T0_E_clISt17integral_constantIbLb0EES11_EEDaSW_SX_EUlSW_E_NS1_11comp_targetILNS1_3genE5ELNS1_11target_archE942ELNS1_3gpuE9ELNS1_3repE0EEENS1_30default_config_static_selectorELNS0_4arch9wavefront6targetE1EEEvT1_
	.p2align	8
	.type	_ZN7rocprim17ROCPRIM_400000_NS6detail17trampoline_kernelINS0_14default_configENS1_27scan_by_key_config_selectorIiiEEZZNS1_16scan_by_key_implILNS1_25lookback_scan_determinismE0ELb1ES3_N6thrust23THRUST_200600_302600_NS6detail15normal_iteratorINS9_10device_ptrIiEEEENSB_INSC_IjEEEESE_iNS9_4plusIvEENS9_8equal_toIvEEiEE10hipError_tPvRmT2_T3_T4_T5_mT6_T7_P12ihipStream_tbENKUlT_T0_E_clISt17integral_constantIbLb0EES11_EEDaSW_SX_EUlSW_E_NS1_11comp_targetILNS1_3genE5ELNS1_11target_archE942ELNS1_3gpuE9ELNS1_3repE0EEENS1_30default_config_static_selectorELNS0_4arch9wavefront6targetE1EEEvT1_,@function
_ZN7rocprim17ROCPRIM_400000_NS6detail17trampoline_kernelINS0_14default_configENS1_27scan_by_key_config_selectorIiiEEZZNS1_16scan_by_key_implILNS1_25lookback_scan_determinismE0ELb1ES3_N6thrust23THRUST_200600_302600_NS6detail15normal_iteratorINS9_10device_ptrIiEEEENSB_INSC_IjEEEESE_iNS9_4plusIvEENS9_8equal_toIvEEiEE10hipError_tPvRmT2_T3_T4_T5_mT6_T7_P12ihipStream_tbENKUlT_T0_E_clISt17integral_constantIbLb0EES11_EEDaSW_SX_EUlSW_E_NS1_11comp_targetILNS1_3genE5ELNS1_11target_archE942ELNS1_3gpuE9ELNS1_3repE0EEENS1_30default_config_static_selectorELNS0_4arch9wavefront6targetE1EEEvT1_: ; @_ZN7rocprim17ROCPRIM_400000_NS6detail17trampoline_kernelINS0_14default_configENS1_27scan_by_key_config_selectorIiiEEZZNS1_16scan_by_key_implILNS1_25lookback_scan_determinismE0ELb1ES3_N6thrust23THRUST_200600_302600_NS6detail15normal_iteratorINS9_10device_ptrIiEEEENSB_INSC_IjEEEESE_iNS9_4plusIvEENS9_8equal_toIvEEiEE10hipError_tPvRmT2_T3_T4_T5_mT6_T7_P12ihipStream_tbENKUlT_T0_E_clISt17integral_constantIbLb0EES11_EEDaSW_SX_EUlSW_E_NS1_11comp_targetILNS1_3genE5ELNS1_11target_archE942ELNS1_3gpuE9ELNS1_3repE0EEENS1_30default_config_static_selectorELNS0_4arch9wavefront6targetE1EEEvT1_
; %bb.0:
	.section	.rodata,"a",@progbits
	.p2align	6, 0x0
	.amdhsa_kernel _ZN7rocprim17ROCPRIM_400000_NS6detail17trampoline_kernelINS0_14default_configENS1_27scan_by_key_config_selectorIiiEEZZNS1_16scan_by_key_implILNS1_25lookback_scan_determinismE0ELb1ES3_N6thrust23THRUST_200600_302600_NS6detail15normal_iteratorINS9_10device_ptrIiEEEENSB_INSC_IjEEEESE_iNS9_4plusIvEENS9_8equal_toIvEEiEE10hipError_tPvRmT2_T3_T4_T5_mT6_T7_P12ihipStream_tbENKUlT_T0_E_clISt17integral_constantIbLb0EES11_EEDaSW_SX_EUlSW_E_NS1_11comp_targetILNS1_3genE5ELNS1_11target_archE942ELNS1_3gpuE9ELNS1_3repE0EEENS1_30default_config_static_selectorELNS0_4arch9wavefront6targetE1EEEvT1_
		.amdhsa_group_segment_fixed_size 0
		.amdhsa_private_segment_fixed_size 0
		.amdhsa_kernarg_size 112
		.amdhsa_user_sgpr_count 6
		.amdhsa_user_sgpr_private_segment_buffer 1
		.amdhsa_user_sgpr_dispatch_ptr 0
		.amdhsa_user_sgpr_queue_ptr 0
		.amdhsa_user_sgpr_kernarg_segment_ptr 1
		.amdhsa_user_sgpr_dispatch_id 0
		.amdhsa_user_sgpr_flat_scratch_init 0
		.amdhsa_user_sgpr_kernarg_preload_length 0
		.amdhsa_user_sgpr_kernarg_preload_offset 0
		.amdhsa_user_sgpr_private_segment_size 0
		.amdhsa_uses_dynamic_stack 0
		.amdhsa_system_sgpr_private_segment_wavefront_offset 0
		.amdhsa_system_sgpr_workgroup_id_x 1
		.amdhsa_system_sgpr_workgroup_id_y 0
		.amdhsa_system_sgpr_workgroup_id_z 0
		.amdhsa_system_sgpr_workgroup_info 0
		.amdhsa_system_vgpr_workitem_id 0
		.amdhsa_next_free_vgpr 1
		.amdhsa_next_free_sgpr 0
		.amdhsa_accum_offset 4
		.amdhsa_reserve_vcc 0
		.amdhsa_reserve_flat_scratch 0
		.amdhsa_float_round_mode_32 0
		.amdhsa_float_round_mode_16_64 0
		.amdhsa_float_denorm_mode_32 3
		.amdhsa_float_denorm_mode_16_64 3
		.amdhsa_dx10_clamp 1
		.amdhsa_ieee_mode 1
		.amdhsa_fp16_overflow 0
		.amdhsa_tg_split 0
		.amdhsa_exception_fp_ieee_invalid_op 0
		.amdhsa_exception_fp_denorm_src 0
		.amdhsa_exception_fp_ieee_div_zero 0
		.amdhsa_exception_fp_ieee_overflow 0
		.amdhsa_exception_fp_ieee_underflow 0
		.amdhsa_exception_fp_ieee_inexact 0
		.amdhsa_exception_int_div_zero 0
	.end_amdhsa_kernel
	.section	.text._ZN7rocprim17ROCPRIM_400000_NS6detail17trampoline_kernelINS0_14default_configENS1_27scan_by_key_config_selectorIiiEEZZNS1_16scan_by_key_implILNS1_25lookback_scan_determinismE0ELb1ES3_N6thrust23THRUST_200600_302600_NS6detail15normal_iteratorINS9_10device_ptrIiEEEENSB_INSC_IjEEEESE_iNS9_4plusIvEENS9_8equal_toIvEEiEE10hipError_tPvRmT2_T3_T4_T5_mT6_T7_P12ihipStream_tbENKUlT_T0_E_clISt17integral_constantIbLb0EES11_EEDaSW_SX_EUlSW_E_NS1_11comp_targetILNS1_3genE5ELNS1_11target_archE942ELNS1_3gpuE9ELNS1_3repE0EEENS1_30default_config_static_selectorELNS0_4arch9wavefront6targetE1EEEvT1_,"axG",@progbits,_ZN7rocprim17ROCPRIM_400000_NS6detail17trampoline_kernelINS0_14default_configENS1_27scan_by_key_config_selectorIiiEEZZNS1_16scan_by_key_implILNS1_25lookback_scan_determinismE0ELb1ES3_N6thrust23THRUST_200600_302600_NS6detail15normal_iteratorINS9_10device_ptrIiEEEENSB_INSC_IjEEEESE_iNS9_4plusIvEENS9_8equal_toIvEEiEE10hipError_tPvRmT2_T3_T4_T5_mT6_T7_P12ihipStream_tbENKUlT_T0_E_clISt17integral_constantIbLb0EES11_EEDaSW_SX_EUlSW_E_NS1_11comp_targetILNS1_3genE5ELNS1_11target_archE942ELNS1_3gpuE9ELNS1_3repE0EEENS1_30default_config_static_selectorELNS0_4arch9wavefront6targetE1EEEvT1_,comdat
.Lfunc_end1754:
	.size	_ZN7rocprim17ROCPRIM_400000_NS6detail17trampoline_kernelINS0_14default_configENS1_27scan_by_key_config_selectorIiiEEZZNS1_16scan_by_key_implILNS1_25lookback_scan_determinismE0ELb1ES3_N6thrust23THRUST_200600_302600_NS6detail15normal_iteratorINS9_10device_ptrIiEEEENSB_INSC_IjEEEESE_iNS9_4plusIvEENS9_8equal_toIvEEiEE10hipError_tPvRmT2_T3_T4_T5_mT6_T7_P12ihipStream_tbENKUlT_T0_E_clISt17integral_constantIbLb0EES11_EEDaSW_SX_EUlSW_E_NS1_11comp_targetILNS1_3genE5ELNS1_11target_archE942ELNS1_3gpuE9ELNS1_3repE0EEENS1_30default_config_static_selectorELNS0_4arch9wavefront6targetE1EEEvT1_, .Lfunc_end1754-_ZN7rocprim17ROCPRIM_400000_NS6detail17trampoline_kernelINS0_14default_configENS1_27scan_by_key_config_selectorIiiEEZZNS1_16scan_by_key_implILNS1_25lookback_scan_determinismE0ELb1ES3_N6thrust23THRUST_200600_302600_NS6detail15normal_iteratorINS9_10device_ptrIiEEEENSB_INSC_IjEEEESE_iNS9_4plusIvEENS9_8equal_toIvEEiEE10hipError_tPvRmT2_T3_T4_T5_mT6_T7_P12ihipStream_tbENKUlT_T0_E_clISt17integral_constantIbLb0EES11_EEDaSW_SX_EUlSW_E_NS1_11comp_targetILNS1_3genE5ELNS1_11target_archE942ELNS1_3gpuE9ELNS1_3repE0EEENS1_30default_config_static_selectorELNS0_4arch9wavefront6targetE1EEEvT1_
                                        ; -- End function
	.section	.AMDGPU.csdata,"",@progbits
; Kernel info:
; codeLenInByte = 0
; NumSgprs: 4
; NumVgprs: 0
; NumAgprs: 0
; TotalNumVgprs: 0
; ScratchSize: 0
; MemoryBound: 0
; FloatMode: 240
; IeeeMode: 1
; LDSByteSize: 0 bytes/workgroup (compile time only)
; SGPRBlocks: 0
; VGPRBlocks: 0
; NumSGPRsForWavesPerEU: 4
; NumVGPRsForWavesPerEU: 1
; AccumOffset: 4
; Occupancy: 8
; WaveLimiterHint : 0
; COMPUTE_PGM_RSRC2:SCRATCH_EN: 0
; COMPUTE_PGM_RSRC2:USER_SGPR: 6
; COMPUTE_PGM_RSRC2:TRAP_HANDLER: 0
; COMPUTE_PGM_RSRC2:TGID_X_EN: 1
; COMPUTE_PGM_RSRC2:TGID_Y_EN: 0
; COMPUTE_PGM_RSRC2:TGID_Z_EN: 0
; COMPUTE_PGM_RSRC2:TIDIG_COMP_CNT: 0
; COMPUTE_PGM_RSRC3_GFX90A:ACCUM_OFFSET: 0
; COMPUTE_PGM_RSRC3_GFX90A:TG_SPLIT: 0
	.section	.text._ZN7rocprim17ROCPRIM_400000_NS6detail17trampoline_kernelINS0_14default_configENS1_27scan_by_key_config_selectorIiiEEZZNS1_16scan_by_key_implILNS1_25lookback_scan_determinismE0ELb1ES3_N6thrust23THRUST_200600_302600_NS6detail15normal_iteratorINS9_10device_ptrIiEEEENSB_INSC_IjEEEESE_iNS9_4plusIvEENS9_8equal_toIvEEiEE10hipError_tPvRmT2_T3_T4_T5_mT6_T7_P12ihipStream_tbENKUlT_T0_E_clISt17integral_constantIbLb0EES11_EEDaSW_SX_EUlSW_E_NS1_11comp_targetILNS1_3genE4ELNS1_11target_archE910ELNS1_3gpuE8ELNS1_3repE0EEENS1_30default_config_static_selectorELNS0_4arch9wavefront6targetE1EEEvT1_,"axG",@progbits,_ZN7rocprim17ROCPRIM_400000_NS6detail17trampoline_kernelINS0_14default_configENS1_27scan_by_key_config_selectorIiiEEZZNS1_16scan_by_key_implILNS1_25lookback_scan_determinismE0ELb1ES3_N6thrust23THRUST_200600_302600_NS6detail15normal_iteratorINS9_10device_ptrIiEEEENSB_INSC_IjEEEESE_iNS9_4plusIvEENS9_8equal_toIvEEiEE10hipError_tPvRmT2_T3_T4_T5_mT6_T7_P12ihipStream_tbENKUlT_T0_E_clISt17integral_constantIbLb0EES11_EEDaSW_SX_EUlSW_E_NS1_11comp_targetILNS1_3genE4ELNS1_11target_archE910ELNS1_3gpuE8ELNS1_3repE0EEENS1_30default_config_static_selectorELNS0_4arch9wavefront6targetE1EEEvT1_,comdat
	.protected	_ZN7rocprim17ROCPRIM_400000_NS6detail17trampoline_kernelINS0_14default_configENS1_27scan_by_key_config_selectorIiiEEZZNS1_16scan_by_key_implILNS1_25lookback_scan_determinismE0ELb1ES3_N6thrust23THRUST_200600_302600_NS6detail15normal_iteratorINS9_10device_ptrIiEEEENSB_INSC_IjEEEESE_iNS9_4plusIvEENS9_8equal_toIvEEiEE10hipError_tPvRmT2_T3_T4_T5_mT6_T7_P12ihipStream_tbENKUlT_T0_E_clISt17integral_constantIbLb0EES11_EEDaSW_SX_EUlSW_E_NS1_11comp_targetILNS1_3genE4ELNS1_11target_archE910ELNS1_3gpuE8ELNS1_3repE0EEENS1_30default_config_static_selectorELNS0_4arch9wavefront6targetE1EEEvT1_ ; -- Begin function _ZN7rocprim17ROCPRIM_400000_NS6detail17trampoline_kernelINS0_14default_configENS1_27scan_by_key_config_selectorIiiEEZZNS1_16scan_by_key_implILNS1_25lookback_scan_determinismE0ELb1ES3_N6thrust23THRUST_200600_302600_NS6detail15normal_iteratorINS9_10device_ptrIiEEEENSB_INSC_IjEEEESE_iNS9_4plusIvEENS9_8equal_toIvEEiEE10hipError_tPvRmT2_T3_T4_T5_mT6_T7_P12ihipStream_tbENKUlT_T0_E_clISt17integral_constantIbLb0EES11_EEDaSW_SX_EUlSW_E_NS1_11comp_targetILNS1_3genE4ELNS1_11target_archE910ELNS1_3gpuE8ELNS1_3repE0EEENS1_30default_config_static_selectorELNS0_4arch9wavefront6targetE1EEEvT1_
	.globl	_ZN7rocprim17ROCPRIM_400000_NS6detail17trampoline_kernelINS0_14default_configENS1_27scan_by_key_config_selectorIiiEEZZNS1_16scan_by_key_implILNS1_25lookback_scan_determinismE0ELb1ES3_N6thrust23THRUST_200600_302600_NS6detail15normal_iteratorINS9_10device_ptrIiEEEENSB_INSC_IjEEEESE_iNS9_4plusIvEENS9_8equal_toIvEEiEE10hipError_tPvRmT2_T3_T4_T5_mT6_T7_P12ihipStream_tbENKUlT_T0_E_clISt17integral_constantIbLb0EES11_EEDaSW_SX_EUlSW_E_NS1_11comp_targetILNS1_3genE4ELNS1_11target_archE910ELNS1_3gpuE8ELNS1_3repE0EEENS1_30default_config_static_selectorELNS0_4arch9wavefront6targetE1EEEvT1_
	.p2align	8
	.type	_ZN7rocprim17ROCPRIM_400000_NS6detail17trampoline_kernelINS0_14default_configENS1_27scan_by_key_config_selectorIiiEEZZNS1_16scan_by_key_implILNS1_25lookback_scan_determinismE0ELb1ES3_N6thrust23THRUST_200600_302600_NS6detail15normal_iteratorINS9_10device_ptrIiEEEENSB_INSC_IjEEEESE_iNS9_4plusIvEENS9_8equal_toIvEEiEE10hipError_tPvRmT2_T3_T4_T5_mT6_T7_P12ihipStream_tbENKUlT_T0_E_clISt17integral_constantIbLb0EES11_EEDaSW_SX_EUlSW_E_NS1_11comp_targetILNS1_3genE4ELNS1_11target_archE910ELNS1_3gpuE8ELNS1_3repE0EEENS1_30default_config_static_selectorELNS0_4arch9wavefront6targetE1EEEvT1_,@function
_ZN7rocprim17ROCPRIM_400000_NS6detail17trampoline_kernelINS0_14default_configENS1_27scan_by_key_config_selectorIiiEEZZNS1_16scan_by_key_implILNS1_25lookback_scan_determinismE0ELb1ES3_N6thrust23THRUST_200600_302600_NS6detail15normal_iteratorINS9_10device_ptrIiEEEENSB_INSC_IjEEEESE_iNS9_4plusIvEENS9_8equal_toIvEEiEE10hipError_tPvRmT2_T3_T4_T5_mT6_T7_P12ihipStream_tbENKUlT_T0_E_clISt17integral_constantIbLb0EES11_EEDaSW_SX_EUlSW_E_NS1_11comp_targetILNS1_3genE4ELNS1_11target_archE910ELNS1_3gpuE8ELNS1_3repE0EEENS1_30default_config_static_selectorELNS0_4arch9wavefront6targetE1EEEvT1_: ; @_ZN7rocprim17ROCPRIM_400000_NS6detail17trampoline_kernelINS0_14default_configENS1_27scan_by_key_config_selectorIiiEEZZNS1_16scan_by_key_implILNS1_25lookback_scan_determinismE0ELb1ES3_N6thrust23THRUST_200600_302600_NS6detail15normal_iteratorINS9_10device_ptrIiEEEENSB_INSC_IjEEEESE_iNS9_4plusIvEENS9_8equal_toIvEEiEE10hipError_tPvRmT2_T3_T4_T5_mT6_T7_P12ihipStream_tbENKUlT_T0_E_clISt17integral_constantIbLb0EES11_EEDaSW_SX_EUlSW_E_NS1_11comp_targetILNS1_3genE4ELNS1_11target_archE910ELNS1_3gpuE8ELNS1_3repE0EEENS1_30default_config_static_selectorELNS0_4arch9wavefront6targetE1EEEvT1_
; %bb.0:
	s_load_dwordx8 s[36:43], s[4:5], 0x0
	s_load_dword s56, s[4:5], 0x20
	s_load_dwordx4 s[44:47], s[4:5], 0x28
	s_load_dwordx2 s[52:53], s[4:5], 0x38
	s_load_dword s0, s[4:5], 0x40
	s_load_dwordx4 s[48:51], s[4:5], 0x48
	s_waitcnt lgkmcnt(0)
	s_lshl_b64 s[34:35], s[38:39], 2
	s_add_u32 s2, s36, s34
	s_addc_u32 s3, s37, s35
	s_add_u32 s4, s40, s34
	s_mul_i32 s1, s53, s0
	s_mul_hi_u32 s7, s52, s0
	s_addc_u32 s5, s41, s35
	s_add_i32 s8, s7, s1
	s_mul_i32 s9, s52, s0
	s_mul_i32 s0, s6, 0xe00
	s_mov_b32 s1, 0
	s_lshl_b64 s[36:37], s[0:1], 2
	s_add_u32 s38, s2, s36
	s_addc_u32 s39, s3, s37
	s_add_u32 s7, s4, s36
	s_addc_u32 s47, s5, s37
	;; [unrolled: 2-line block ×3, first 2 shown]
	s_add_u32 s4, s48, -1
	s_addc_u32 s5, s49, -1
	v_pk_mov_b32 v[2:3], s[4:5], s[4:5] op_sel:[0,1]
	v_cmp_ge_u64_e64 s[0:1], s[0:1], v[2:3]
	s_mov_b64 s[2:3], -1
	s_and_b64 vcc, exec, s[0:1]
	s_mul_i32 s33, s4, 0xfffff200
	s_barrier
	s_cbranch_vccz .LBB1755_76
; %bb.1:
	v_pk_mov_b32 v[2:3], s[38:39], s[38:39] op_sel:[0,1]
	flat_load_dword v1, v[2:3]
	s_add_i32 s54, s33, s46
	v_cmp_gt_u32_e32 vcc, s54, v0
	s_waitcnt vmcnt(0) lgkmcnt(0)
	v_mov_b32_e32 v13, v1
	s_and_saveexec_b64 s[4:5], vcc
	s_cbranch_execz .LBB1755_3
; %bb.2:
	v_lshlrev_b32_e32 v2, 2, v0
	v_mov_b32_e32 v3, s39
	v_add_co_u32_e64 v2, s[2:3], s38, v2
	v_addc_co_u32_e64 v3, s[2:3], 0, v3, s[2:3]
	flat_load_dword v13, v[2:3]
.LBB1755_3:
	s_or_b64 exec, exec, s[4:5]
	v_or_b32_e32 v2, 0x100, v0
	v_cmp_gt_u32_e64 s[2:3], s54, v2
	v_mov_b32_e32 v14, v1
	s_and_saveexec_b64 s[8:9], s[2:3]
	s_cbranch_execz .LBB1755_5
; %bb.4:
	v_lshlrev_b32_e32 v2, 2, v0
	v_mov_b32_e32 v3, s39
	v_add_co_u32_e64 v2, s[4:5], s38, v2
	v_addc_co_u32_e64 v3, s[4:5], 0, v3, s[4:5]
	flat_load_dword v14, v[2:3] offset:1024
.LBB1755_5:
	s_or_b64 exec, exec, s[8:9]
	v_or_b32_e32 v2, 0x200, v0
	v_cmp_gt_u32_e64 s[4:5], s54, v2
	v_mov_b32_e32 v15, v1
	s_and_saveexec_b64 s[10:11], s[4:5]
	s_cbranch_execz .LBB1755_7
; %bb.6:
	v_lshlrev_b32_e32 v2, 2, v0
	v_mov_b32_e32 v3, s39
	v_add_co_u32_e64 v2, s[8:9], s38, v2
	v_addc_co_u32_e64 v3, s[8:9], 0, v3, s[8:9]
	flat_load_dword v15, v[2:3] offset:2048
.LBB1755_7:
	;; [unrolled: 13-line block ×3, first 2 shown]
	s_or_b64 exec, exec, s[10:11]
	v_or_b32_e32 v2, 0x400, v0
	v_cmp_gt_u32_e64 s[8:9], s54, v2
	v_lshlrev_b32_e32 v2, 2, v2
	v_mov_b32_e32 v17, v1
	s_and_saveexec_b64 s[12:13], s[8:9]
	s_cbranch_execz .LBB1755_11
; %bb.10:
	v_mov_b32_e32 v3, s39
	v_add_co_u32_e64 v4, s[10:11], s38, v2
	v_addc_co_u32_e64 v5, s[10:11], 0, v3, s[10:11]
	flat_load_dword v17, v[4:5]
.LBB1755_11:
	s_or_b64 exec, exec, s[12:13]
	v_or_b32_e32 v3, 0x500, v0
	v_cmp_gt_u32_e64 s[10:11], s54, v3
	v_lshlrev_b32_e32 v3, 2, v3
	v_mov_b32_e32 v18, v1
	s_and_saveexec_b64 s[14:15], s[10:11]
	s_cbranch_execz .LBB1755_13
; %bb.12:
	v_mov_b32_e32 v5, s39
	v_add_co_u32_e64 v4, s[12:13], s38, v3
	v_addc_co_u32_e64 v5, s[12:13], 0, v5, s[12:13]
	flat_load_dword v18, v[4:5]
.LBB1755_13:
	s_or_b64 exec, exec, s[14:15]
	v_or_b32_e32 v4, 0x600, v0
	v_cmp_gt_u32_e64 s[12:13], s54, v4
	v_lshlrev_b32_e32 v4, 2, v4
	v_mov_b32_e32 v19, v1
	s_and_saveexec_b64 s[16:17], s[12:13]
	s_cbranch_execz .LBB1755_15
; %bb.14:
	v_mov_b32_e32 v5, s39
	v_add_co_u32_e64 v6, s[14:15], s38, v4
	v_addc_co_u32_e64 v7, s[14:15], 0, v5, s[14:15]
	flat_load_dword v19, v[6:7]
.LBB1755_15:
	s_or_b64 exec, exec, s[16:17]
	v_or_b32_e32 v5, 0x700, v0
	v_cmp_gt_u32_e64 s[14:15], s54, v5
	v_lshlrev_b32_e32 v5, 2, v5
	v_mov_b32_e32 v20, v1
	s_and_saveexec_b64 s[18:19], s[14:15]
	s_cbranch_execz .LBB1755_17
; %bb.16:
	v_mov_b32_e32 v7, s39
	v_add_co_u32_e64 v6, s[16:17], s38, v5
	v_addc_co_u32_e64 v7, s[16:17], 0, v7, s[16:17]
	flat_load_dword v20, v[6:7]
.LBB1755_17:
	s_or_b64 exec, exec, s[18:19]
	v_or_b32_e32 v6, 0x800, v0
	v_cmp_gt_u32_e64 s[16:17], s54, v6
	v_lshlrev_b32_e32 v6, 2, v6
	v_mov_b32_e32 v21, v1
	s_and_saveexec_b64 s[20:21], s[16:17]
	s_cbranch_execz .LBB1755_19
; %bb.18:
	v_mov_b32_e32 v7, s39
	v_add_co_u32_e64 v8, s[18:19], s38, v6
	v_addc_co_u32_e64 v9, s[18:19], 0, v7, s[18:19]
	flat_load_dword v21, v[8:9]
.LBB1755_19:
	s_or_b64 exec, exec, s[20:21]
	v_or_b32_e32 v7, 0x900, v0
	v_cmp_gt_u32_e64 s[18:19], s54, v7
	v_lshlrev_b32_e32 v7, 2, v7
	v_mov_b32_e32 v22, v1
	s_and_saveexec_b64 s[22:23], s[18:19]
	s_cbranch_execz .LBB1755_21
; %bb.20:
	v_mov_b32_e32 v9, s39
	v_add_co_u32_e64 v8, s[20:21], s38, v7
	v_addc_co_u32_e64 v9, s[20:21], 0, v9, s[20:21]
	flat_load_dword v22, v[8:9]
.LBB1755_21:
	s_or_b64 exec, exec, s[22:23]
	v_or_b32_e32 v8, 0xa00, v0
	v_cmp_gt_u32_e64 s[20:21], s54, v8
	v_lshlrev_b32_e32 v8, 2, v8
	v_mov_b32_e32 v23, v1
	s_and_saveexec_b64 s[24:25], s[20:21]
	s_cbranch_execz .LBB1755_23
; %bb.22:
	v_mov_b32_e32 v9, s39
	v_add_co_u32_e64 v10, s[22:23], s38, v8
	v_addc_co_u32_e64 v11, s[22:23], 0, v9, s[22:23]
	flat_load_dword v23, v[10:11]
.LBB1755_23:
	s_or_b64 exec, exec, s[24:25]
	v_or_b32_e32 v9, 0xb00, v0
	v_cmp_gt_u32_e64 s[22:23], s54, v9
	v_lshlrev_b32_e32 v9, 2, v9
	v_mov_b32_e32 v24, v1
	s_and_saveexec_b64 s[26:27], s[22:23]
	s_cbranch_execz .LBB1755_25
; %bb.24:
	v_mov_b32_e32 v11, s39
	v_add_co_u32_e64 v10, s[24:25], s38, v9
	v_addc_co_u32_e64 v11, s[24:25], 0, v11, s[24:25]
	flat_load_dword v24, v[10:11]
.LBB1755_25:
	s_or_b64 exec, exec, s[26:27]
	v_or_b32_e32 v10, 0xc00, v0
	v_cmp_gt_u32_e64 s[24:25], s54, v10
	v_lshlrev_b32_e32 v10, 2, v10
	v_mov_b32_e32 v25, v1
	s_and_saveexec_b64 s[30:31], s[24:25]
	s_cbranch_execz .LBB1755_27
; %bb.26:
	v_mov_b32_e32 v11, s39
	v_add_co_u32_e64 v26, s[26:27], s38, v10
	v_addc_co_u32_e64 v27, s[26:27], 0, v11, s[26:27]
	flat_load_dword v25, v[26:27]
.LBB1755_27:
	s_or_b64 exec, exec, s[30:31]
	v_or_b32_e32 v11, 0xd00, v0
	v_cmp_gt_u32_e64 s[26:27], s54, v11
	v_lshlrev_b32_e32 v11, 2, v11
	s_and_saveexec_b64 s[40:41], s[26:27]
	s_cbranch_execz .LBB1755_29
; %bb.28:
	v_mov_b32_e32 v1, s39
	v_add_co_u32_e64 v26, s[30:31], s38, v11
	v_addc_co_u32_e64 v27, s[30:31], 0, v1, s[30:31]
	flat_load_dword v1, v[26:27]
.LBB1755_29:
	s_or_b64 exec, exec, s[40:41]
	v_lshlrev_b32_e32 v12, 2, v0
	s_waitcnt vmcnt(0) lgkmcnt(0)
	ds_write2st64_b32 v12, v13, v14 offset1:4
	ds_write2st64_b32 v12, v15, v16 offset0:8 offset1:12
	ds_write2st64_b32 v12, v17, v18 offset0:16 offset1:20
	;; [unrolled: 1-line block ×6, first 2 shown]
	v_pk_mov_b32 v[14:15], s[38:39], s[38:39] op_sel:[0,1]
	s_waitcnt lgkmcnt(0)
	s_barrier
	flat_load_dword v1, v[14:15]
	v_mad_u32_u24 v44, v0, 52, v12
	s_movk_i32 s30, 0xffcc
	ds_read2_b64 v[34:37], v44 offset1:1
	ds_read2_b64 v[30:33], v44 offset0:2 offset1:3
	ds_read2_b64 v[26:29], v44 offset0:4 offset1:5
	ds_read_b64 v[40:41], v44 offset:48
	v_mad_i32_i24 v13, v0, s30, v44
	s_movk_i32 s30, 0xff
	v_cmp_ne_u32_e64 s[30:31], s30, v0
	s_waitcnt lgkmcnt(0)
	ds_write_b32 v13, v34 offset:15360
	s_waitcnt lgkmcnt(0)
	s_barrier
	s_and_saveexec_b64 s[40:41], s[30:31]
	s_cbranch_execz .LBB1755_31
; %bb.30:
	s_waitcnt vmcnt(0)
	ds_read_b32 v1, v12 offset:15364
.LBB1755_31:
	s_or_b64 exec, exec, s[40:41]
	s_waitcnt lgkmcnt(0)
	s_barrier
	s_waitcnt lgkmcnt(0)
                                        ; implicit-def: $vgpr13
	s_and_saveexec_b64 s[30:31], vcc
	s_cbranch_execz .LBB1755_113
; %bb.32:
	v_mov_b32_e32 v13, s47
	v_add_co_u32_e32 v14, vcc, s7, v12
	v_addc_co_u32_e32 v15, vcc, 0, v13, vcc
	flat_load_dword v13, v[14:15]
	s_or_b64 exec, exec, s[30:31]
                                        ; implicit-def: $vgpr14
	s_and_saveexec_b64 s[30:31], s[2:3]
	s_cbranch_execnz .LBB1755_114
.LBB1755_33:
	s_or_b64 exec, exec, s[30:31]
                                        ; implicit-def: $vgpr15
	s_and_saveexec_b64 s[2:3], s[4:5]
	s_cbranch_execz .LBB1755_115
.LBB1755_34:
	v_mov_b32_e32 v15, s47
	v_add_co_u32_e32 v16, vcc, s7, v12
	v_addc_co_u32_e32 v17, vcc, 0, v15, vcc
	flat_load_dword v15, v[16:17] offset:2048
	s_or_b64 exec, exec, s[2:3]
                                        ; implicit-def: $vgpr16
	s_and_saveexec_b64 s[2:3], s[28:29]
	s_cbranch_execnz .LBB1755_116
.LBB1755_35:
	s_or_b64 exec, exec, s[2:3]
                                        ; implicit-def: $vgpr17
	s_and_saveexec_b64 s[2:3], s[8:9]
	s_cbranch_execz .LBB1755_117
.LBB1755_36:
	v_mov_b32_e32 v17, s47
	v_add_co_u32_e32 v18, vcc, s7, v2
	v_addc_co_u32_e32 v19, vcc, 0, v17, vcc
	flat_load_dword v17, v[18:19]
	s_or_b64 exec, exec, s[2:3]
                                        ; implicit-def: $vgpr2
	s_and_saveexec_b64 s[2:3], s[10:11]
	s_cbranch_execnz .LBB1755_118
.LBB1755_37:
	s_or_b64 exec, exec, s[2:3]
                                        ; implicit-def: $vgpr3
	s_and_saveexec_b64 s[2:3], s[12:13]
	s_cbranch_execz .LBB1755_119
.LBB1755_38:
	v_mov_b32_e32 v3, s47
	v_add_co_u32_e32 v18, vcc, s7, v4
	v_addc_co_u32_e32 v19, vcc, 0, v3, vcc
	flat_load_dword v3, v[18:19]
	s_or_b64 exec, exec, s[2:3]
                                        ; implicit-def: $vgpr4
	s_and_saveexec_b64 s[2:3], s[14:15]
	s_cbranch_execnz .LBB1755_120
.LBB1755_39:
	s_or_b64 exec, exec, s[2:3]
                                        ; implicit-def: $vgpr5
	s_and_saveexec_b64 s[2:3], s[16:17]
	s_cbranch_execz .LBB1755_121
.LBB1755_40:
	v_mov_b32_e32 v5, s47
	v_add_co_u32_e32 v18, vcc, s7, v6
	v_addc_co_u32_e32 v19, vcc, 0, v5, vcc
	flat_load_dword v5, v[18:19]
	s_or_b64 exec, exec, s[2:3]
                                        ; implicit-def: $vgpr6
	s_and_saveexec_b64 s[2:3], s[18:19]
	s_cbranch_execnz .LBB1755_122
.LBB1755_41:
	s_or_b64 exec, exec, s[2:3]
                                        ; implicit-def: $vgpr7
	s_and_saveexec_b64 s[2:3], s[20:21]
	s_cbranch_execz .LBB1755_123
.LBB1755_42:
	v_mov_b32_e32 v7, s47
	v_add_co_u32_e32 v18, vcc, s7, v8
	v_addc_co_u32_e32 v19, vcc, 0, v7, vcc
	flat_load_dword v7, v[18:19]
	s_or_b64 exec, exec, s[2:3]
                                        ; implicit-def: $vgpr8
	s_and_saveexec_b64 s[2:3], s[22:23]
	s_cbranch_execnz .LBB1755_124
.LBB1755_43:
	s_or_b64 exec, exec, s[2:3]
                                        ; implicit-def: $vgpr9
	s_and_saveexec_b64 s[2:3], s[24:25]
	s_cbranch_execz .LBB1755_45
.LBB1755_44:
	v_mov_b32_e32 v9, s47
	v_add_co_u32_e32 v18, vcc, s7, v10
	v_addc_co_u32_e32 v19, vcc, 0, v9, vcc
	flat_load_dword v9, v[18:19]
.LBB1755_45:
	s_or_b64 exec, exec, s[2:3]
	v_mul_u32_u24_e32 v45, 14, v0
                                        ; implicit-def: $vgpr10
	s_and_saveexec_b64 s[2:3], s[26:27]
	s_cbranch_execz .LBB1755_47
; %bb.46:
	v_mov_b32_e32 v18, s47
	v_add_co_u32_e32 v10, vcc, s7, v11
	v_addc_co_u32_e32 v11, vcc, 0, v18, vcc
	flat_load_dword v10, v[10:11]
.LBB1755_47:
	s_or_b64 exec, exec, s[2:3]
	s_mov_b32 s8, 0
	s_mov_b32 s9, s8
	s_waitcnt vmcnt(0) lgkmcnt(0)
	ds_write2st64_b32 v12, v13, v14 offset1:4
	ds_write2st64_b32 v12, v15, v16 offset0:8 offset1:12
	ds_write2st64_b32 v12, v17, v2 offset0:16 offset1:20
	ds_write2st64_b32 v12, v3, v4 offset0:24 offset1:28
	ds_write2st64_b32 v12, v5, v6 offset0:32 offset1:36
	ds_write2st64_b32 v12, v7, v8 offset0:40 offset1:44
	ds_write2st64_b32 v12, v9, v10 offset0:48 offset1:52
	s_mov_b32 s10, s8
	s_mov_b32 s11, s8
	;; [unrolled: 1-line block ×6, first 2 shown]
	v_pk_mov_b32 v[2:3], s[8:9], s[8:9] op_sel:[0,1]
	v_pk_mov_b32 v[8:9], s[14:15], s[14:15] op_sel:[0,1]
	;; [unrolled: 1-line block ×6, first 2 shown]
	v_cmp_gt_u32_e32 vcc, s54, v45
	s_mov_b64 s[2:3], 0
	v_pk_mov_b32 v[38:39], 0, 0
	s_mov_b64 s[18:19], 0
	v_pk_mov_b32 v[14:15], v[6:7], v[6:7] op_sel:[0,1]
	v_pk_mov_b32 v[12:13], v[4:5], v[4:5] op_sel:[0,1]
	v_pk_mov_b32 v[10:11], v[2:3], v[2:3] op_sel:[0,1]
	v_pk_mov_b32 v[22:23], v[6:7], v[6:7] op_sel:[0,1]
	v_pk_mov_b32 v[20:21], v[4:5], v[4:5] op_sel:[0,1]
	v_pk_mov_b32 v[18:19], v[2:3], v[2:3] op_sel:[0,1]
	s_waitcnt lgkmcnt(0)
	s_barrier
	s_waitcnt lgkmcnt(0)
                                        ; implicit-def: $sgpr16_sgpr17
                                        ; implicit-def: $vgpr42
	s_and_saveexec_b64 s[4:5], vcc
	s_cbranch_execz .LBB1755_75
; %bb.48:
	ds_read_b32 v2, v44
	v_mov_b32_e32 v4, s56
	v_cmp_eq_u32_e32 vcc, v34, v35
	v_or_b32_e32 v3, 1, v45
                                        ; implicit-def: $vgpr42
	s_waitcnt lgkmcnt(0)
	v_cndmask_b32_e32 v38, v4, v2, vcc
	v_cmp_ne_u32_e32 vcc, v34, v35
	v_cndmask_b32_e64 v39, 0, 1, vcc
	v_cmp_gt_u32_e32 vcc, s54, v3
	v_pk_mov_b32 v[2:3], s[8:9], s[8:9] op_sel:[0,1]
	v_pk_mov_b32 v[8:9], s[14:15], s[14:15] op_sel:[0,1]
	;; [unrolled: 1-line block ×12, first 2 shown]
                                        ; implicit-def: $sgpr8_sgpr9
	s_and_saveexec_b64 s[16:17], vcc
	s_cbranch_execz .LBB1755_74
; %bb.49:
	ds_read2_b32 v[42:43], v44 offset0:1 offset1:2
	s_mov_b32 s8, 0
	v_mov_b32_e32 v3, s56
	v_cmp_eq_u32_e32 vcc, v35, v36
	s_mov_b32 s14, s8
	s_mov_b32 s15, s8
	v_add_u32_e32 v2, 2, v45
	s_waitcnt lgkmcnt(0)
	v_cndmask_b32_e32 v8, v3, v42, vcc
	v_cmp_ne_u32_e32 vcc, v35, v36
	s_mov_b32 s9, s8
	s_mov_b32 s10, s8
	;; [unrolled: 1-line block ×5, first 2 shown]
	v_pk_mov_b32 v[16:17], s[14:15], s[14:15] op_sel:[0,1]
	v_cndmask_b32_e64 v9, 0, 1, vcc
	v_cmp_gt_u32_e32 vcc, s54, v2
	v_mov_b32_e32 v2, 0
	v_pk_mov_b32 v[14:15], s[12:13], s[12:13] op_sel:[0,1]
	v_pk_mov_b32 v[12:13], s[10:11], s[10:11] op_sel:[0,1]
	v_pk_mov_b32 v[10:11], s[8:9], s[8:9] op_sel:[0,1]
	v_pk_mov_b32 v[24:25], v[16:17], v[16:17] op_sel:[0,1]
	v_mov_b32_e32 v3, v2
	v_mov_b32_e32 v4, v2
	;; [unrolled: 1-line block ×5, first 2 shown]
	s_mov_b64 s[20:21], 0
	v_pk_mov_b32 v[22:23], v[14:15], v[14:15] op_sel:[0,1]
	v_pk_mov_b32 v[20:21], v[12:13], v[12:13] op_sel:[0,1]
	;; [unrolled: 1-line block ×3, first 2 shown]
                                        ; implicit-def: $sgpr24_sgpr25
                                        ; implicit-def: $vgpr42
	s_and_saveexec_b64 s[18:19], vcc
	s_cbranch_execz .LBB1755_73
; %bb.50:
	v_mov_b32_e32 v4, s56
	v_cmp_eq_u32_e32 vcc, v36, v37
	v_pk_mov_b32 v[16:17], s[14:15], s[14:15] op_sel:[0,1]
	v_add_u32_e32 v3, 3, v45
	v_cndmask_b32_e32 v6, v4, v43, vcc
	v_cmp_ne_u32_e32 vcc, v36, v37
	v_pk_mov_b32 v[14:15], s[12:13], s[12:13] op_sel:[0,1]
	v_pk_mov_b32 v[12:13], s[10:11], s[10:11] op_sel:[0,1]
	;; [unrolled: 1-line block ×4, first 2 shown]
	v_cndmask_b32_e64 v7, 0, 1, vcc
	v_cmp_gt_u32_e32 vcc, s54, v3
	v_mov_b32_e32 v3, v2
	v_mov_b32_e32 v4, v2
	;; [unrolled: 1-line block ×3, first 2 shown]
	s_mov_b64 s[22:23], 0
	v_pk_mov_b32 v[22:23], v[14:15], v[14:15] op_sel:[0,1]
	v_pk_mov_b32 v[20:21], v[12:13], v[12:13] op_sel:[0,1]
	;; [unrolled: 1-line block ×3, first 2 shown]
                                        ; implicit-def: $sgpr8_sgpr9
                                        ; implicit-def: $vgpr42
	s_and_saveexec_b64 s[20:21], vcc
	s_cbranch_execz .LBB1755_72
; %bb.51:
	ds_read2_b32 v[34:35], v44 offset0:3 offset1:4
	s_mov_b32 s8, 0
	s_mov_b32 s14, s8
	;; [unrolled: 1-line block ×3, first 2 shown]
	v_mov_b32_e32 v3, s56
	v_cmp_eq_u32_e32 vcc, v37, v30
	s_mov_b32 s9, s8
	s_mov_b32 s10, s8
	;; [unrolled: 1-line block ×5, first 2 shown]
	v_pk_mov_b32 v[16:17], s[14:15], s[14:15] op_sel:[0,1]
	v_add_u32_e32 v2, 4, v45
	s_waitcnt lgkmcnt(0)
	v_cndmask_b32_e32 v4, v3, v34, vcc
	v_cmp_ne_u32_e32 vcc, v37, v30
	v_pk_mov_b32 v[14:15], s[12:13], s[12:13] op_sel:[0,1]
	v_pk_mov_b32 v[12:13], s[10:11], s[10:11] op_sel:[0,1]
	;; [unrolled: 1-line block ×4, first 2 shown]
	v_cndmask_b32_e64 v5, 0, 1, vcc
	v_cmp_gt_u32_e32 vcc, s54, v2
	v_mov_b32_e32 v2, s8
	v_mov_b32_e32 v3, s8
	s_mov_b64 s[24:25], 0
	v_pk_mov_b32 v[22:23], v[14:15], v[14:15] op_sel:[0,1]
	v_pk_mov_b32 v[20:21], v[12:13], v[12:13] op_sel:[0,1]
	;; [unrolled: 1-line block ×3, first 2 shown]
                                        ; implicit-def: $sgpr26_sgpr27
                                        ; implicit-def: $vgpr42
	s_and_saveexec_b64 s[22:23], vcc
	s_cbranch_execz .LBB1755_71
; %bb.52:
	v_mov_b32_e32 v2, s56
	v_cmp_eq_u32_e32 vcc, v30, v31
	v_add_u32_e32 v10, 5, v45
	v_cndmask_b32_e32 v2, v2, v35, vcc
	v_cmp_ne_u32_e32 vcc, v30, v31
	v_cndmask_b32_e64 v3, 0, 1, vcc
	v_cmp_gt_u32_e32 vcc, s54, v10
	v_pk_mov_b32 v[16:17], s[14:15], s[14:15] op_sel:[0,1]
	v_pk_mov_b32 v[14:15], s[12:13], s[12:13] op_sel:[0,1]
	;; [unrolled: 1-line block ×5, first 2 shown]
	s_mov_b64 s[28:29], 0
	v_pk_mov_b32 v[22:23], v[14:15], v[14:15] op_sel:[0,1]
	v_pk_mov_b32 v[20:21], v[12:13], v[12:13] op_sel:[0,1]
	;; [unrolled: 1-line block ×3, first 2 shown]
                                        ; implicit-def: $sgpr8_sgpr9
                                        ; implicit-def: $vgpr42
	s_and_saveexec_b64 s[24:25], vcc
	s_cbranch_execz .LBB1755_70
; %bb.53:
	ds_read2_b32 v[34:35], v44 offset0:5 offset1:6
	v_mov_b32_e32 v11, s56
	v_cmp_eq_u32_e32 vcc, v31, v32
	s_mov_b32 s8, 0
	v_add_u32_e32 v10, 6, v45
	s_waitcnt lgkmcnt(0)
	v_cndmask_b32_e32 v16, v11, v34, vcc
	v_cmp_ne_u32_e32 vcc, v31, v32
	s_mov_b32 s14, s8
	s_mov_b32 s15, s8
	v_cndmask_b32_e64 v17, 0, 1, vcc
	v_cmp_gt_u32_e32 vcc, s54, v10
	v_mov_b32_e32 v10, 0
	s_mov_b32 s9, s8
	s_mov_b32 s10, s8
	;; [unrolled: 1-line block ×5, first 2 shown]
	v_pk_mov_b32 v[24:25], s[14:15], s[14:15] op_sel:[0,1]
	v_mov_b32_e32 v11, v10
	v_mov_b32_e32 v12, v10
	;; [unrolled: 1-line block ×5, first 2 shown]
	v_pk_mov_b32 v[22:23], s[12:13], s[12:13] op_sel:[0,1]
	v_pk_mov_b32 v[20:21], s[10:11], s[10:11] op_sel:[0,1]
	;; [unrolled: 1-line block ×3, first 2 shown]
                                        ; implicit-def: $sgpr40_sgpr41
                                        ; implicit-def: $vgpr42
	s_and_saveexec_b64 s[26:27], vcc
	s_cbranch_execz .LBB1755_69
; %bb.54:
	v_mov_b32_e32 v12, s56
	v_cmp_eq_u32_e32 vcc, v32, v33
	v_add_u32_e32 v11, 7, v45
	v_cndmask_b32_e32 v14, v12, v35, vcc
	v_cmp_ne_u32_e32 vcc, v32, v33
	v_pk_mov_b32 v[24:25], s[14:15], s[14:15] op_sel:[0,1]
	v_cndmask_b32_e64 v15, 0, 1, vcc
	v_cmp_gt_u32_e32 vcc, s54, v11
	v_mov_b32_e32 v11, v10
	v_mov_b32_e32 v12, v10
	;; [unrolled: 1-line block ×3, first 2 shown]
	s_mov_b64 s[30:31], 0
	v_pk_mov_b32 v[22:23], s[12:13], s[12:13] op_sel:[0,1]
	v_pk_mov_b32 v[20:21], s[10:11], s[10:11] op_sel:[0,1]
	;; [unrolled: 1-line block ×3, first 2 shown]
                                        ; implicit-def: $sgpr8_sgpr9
                                        ; implicit-def: $vgpr42
	s_and_saveexec_b64 s[28:29], vcc
	s_cbranch_execz .LBB1755_68
; %bb.55:
	ds_read2_b32 v[30:31], v44 offset0:7 offset1:8
	s_mov_b32 s8, 0
	v_mov_b32_e32 v11, s56
	v_cmp_eq_u32_e32 vcc, v33, v26
	s_mov_b32 s14, s8
	s_mov_b32 s15, s8
	v_add_u32_e32 v10, 8, v45
	s_waitcnt lgkmcnt(0)
	v_cndmask_b32_e32 v12, v11, v30, vcc
	v_cmp_ne_u32_e32 vcc, v33, v26
	s_mov_b32 s9, s8
	s_mov_b32 s10, s8
	;; [unrolled: 1-line block ×5, first 2 shown]
	v_pk_mov_b32 v[24:25], s[14:15], s[14:15] op_sel:[0,1]
	v_cndmask_b32_e64 v13, 0, 1, vcc
	v_cmp_gt_u32_e32 vcc, s54, v10
	v_mov_b32_e32 v10, s8
	v_mov_b32_e32 v11, s8
	s_mov_b64 s[40:41], 0
	v_pk_mov_b32 v[22:23], s[12:13], s[12:13] op_sel:[0,1]
	v_pk_mov_b32 v[20:21], s[10:11], s[10:11] op_sel:[0,1]
	;; [unrolled: 1-line block ×3, first 2 shown]
                                        ; implicit-def: $sgpr48_sgpr49
                                        ; implicit-def: $vgpr42
	s_and_saveexec_b64 s[30:31], vcc
	s_cbranch_execz .LBB1755_67
; %bb.56:
	v_mov_b32_e32 v10, s56
	v_cmp_eq_u32_e32 vcc, v26, v27
	v_add_u32_e32 v18, 9, v45
	v_cndmask_b32_e32 v10, v10, v31, vcc
	v_cmp_ne_u32_e32 vcc, v26, v27
	v_cndmask_b32_e64 v11, 0, 1, vcc
	v_cmp_gt_u32_e32 vcc, s54, v18
	v_pk_mov_b32 v[24:25], s[14:15], s[14:15] op_sel:[0,1]
	v_pk_mov_b32 v[22:23], s[12:13], s[12:13] op_sel:[0,1]
	;; [unrolled: 1-line block ×4, first 2 shown]
                                        ; implicit-def: $sgpr10_sgpr11
                                        ; implicit-def: $vgpr42
	s_and_saveexec_b64 s[8:9], vcc
	s_cbranch_execz .LBB1755_66
; %bb.57:
	ds_read2_b32 v[30:31], v44 offset0:9 offset1:10
	v_mov_b32_e32 v18, s56
	v_cmp_eq_u32_e32 vcc, v27, v28
	v_add_u32_e32 v20, 10, v45
	v_mov_b32_e32 v22, 0
	s_waitcnt lgkmcnt(0)
	v_cndmask_b32_e32 v18, v18, v30, vcc
	v_cmp_ne_u32_e32 vcc, v27, v28
	v_cndmask_b32_e64 v19, 0, 1, vcc
	v_cmp_gt_u32_e32 vcc, s54, v20
	v_mov_b32_e32 v20, v22
	v_mov_b32_e32 v21, v22
	;; [unrolled: 1-line block ×5, first 2 shown]
	s_mov_b64 s[12:13], 0
                                        ; implicit-def: $sgpr40_sgpr41
                                        ; implicit-def: $vgpr42
	s_and_saveexec_b64 s[10:11], vcc
	s_cbranch_execz .LBB1755_65
; %bb.58:
	v_mov_b32_e32 v20, s56
	v_cmp_eq_u32_e32 vcc, v28, v29
	v_add_u32_e32 v23, 11, v45
	v_cndmask_b32_e32 v20, v20, v31, vcc
	v_cmp_ne_u32_e32 vcc, v28, v29
	v_cndmask_b32_e64 v21, 0, 1, vcc
	v_cmp_gt_u32_e32 vcc, s54, v23
	s_mov_b32 s40, 0
	v_mov_b32_e32 v23, v22
	v_mov_b32_e32 v24, v22
	;; [unrolled: 1-line block ×3, first 2 shown]
	s_mov_b64 s[14:15], 0
                                        ; implicit-def: $sgpr48_sgpr49
                                        ; implicit-def: $vgpr42
	s_and_saveexec_b64 s[12:13], vcc
	s_cbranch_execz .LBB1755_64
; %bb.59:
	ds_read2_b32 v[26:27], v44 offset0:11 offset1:12
	v_mov_b32_e32 v22, s56
	v_cmp_eq_u32_e32 vcc, v29, v40
	v_add_u32_e32 v24, 12, v45
	v_mov_b32_e32 v25, s40
	s_waitcnt lgkmcnt(0)
	v_cndmask_b32_e32 v22, v22, v26, vcc
	v_cmp_ne_u32_e32 vcc, v29, v40
	v_cndmask_b32_e64 v23, 0, 1, vcc
	v_cmp_gt_u32_e32 vcc, s54, v24
	v_mov_b32_e32 v24, s40
	s_mov_b64 s[40:41], 0
                                        ; implicit-def: $sgpr48_sgpr49
                                        ; implicit-def: $vgpr42
	s_and_saveexec_b64 s[14:15], vcc
	s_cbranch_execz .LBB1755_63
; %bb.60:
	v_mov_b32_e32 v24, s56
	v_cmp_eq_u32_e32 vcc, v40, v41
	v_add_u32_e32 v26, 13, v45
	v_cndmask_b32_e32 v24, v24, v27, vcc
	v_cmp_ne_u32_e32 vcc, v40, v41
	v_cndmask_b32_e64 v25, 0, 1, vcc
	v_cmp_gt_u32_e32 vcc, s54, v26
                                        ; implicit-def: $sgpr48_sgpr49
                                        ; implicit-def: $vgpr42
	s_and_saveexec_b64 s[54:55], vcc
	s_xor_b64 s[54:55], exec, s[54:55]
	s_cbranch_execz .LBB1755_62
; %bb.61:
	ds_read_b32 v26, v44 offset:52
	v_mov_b32_e32 v27, s56
	v_cmp_ne_u32_e32 vcc, v41, v1
	s_mov_b64 s[40:41], exec
	s_and_b64 s[48:49], vcc, exec
	s_waitcnt lgkmcnt(0)
	v_cndmask_b32_e32 v42, v26, v27, vcc
.LBB1755_62:
	s_or_b64 exec, exec, s[54:55]
	s_and_b64 s[48:49], s[48:49], exec
	s_and_b64 s[40:41], s[40:41], exec
.LBB1755_63:
	s_or_b64 exec, exec, s[14:15]
	s_and_b64 s[48:49], s[48:49], exec
	s_and_b64 s[14:15], s[40:41], exec
.LBB1755_64:
	s_or_b64 exec, exec, s[12:13]
	s_and_b64 s[40:41], s[48:49], exec
	s_and_b64 s[12:13], s[14:15], exec
.LBB1755_65:
	s_or_b64 exec, exec, s[10:11]
	s_and_b64 s[10:11], s[40:41], exec
	s_and_b64 s[40:41], s[12:13], exec
.LBB1755_66:
	s_or_b64 exec, exec, s[8:9]
	s_and_b64 s[48:49], s[10:11], exec
	s_and_b64 s[40:41], s[40:41], exec
.LBB1755_67:
	s_or_b64 exec, exec, s[30:31]
	s_and_b64 s[8:9], s[48:49], exec
	s_and_b64 s[30:31], s[40:41], exec
.LBB1755_68:
	s_or_b64 exec, exec, s[28:29]
	s_and_b64 s[40:41], s[8:9], exec
	s_and_b64 s[28:29], s[30:31], exec
.LBB1755_69:
	s_or_b64 exec, exec, s[26:27]
	s_and_b64 s[8:9], s[40:41], exec
	s_and_b64 s[28:29], s[28:29], exec
.LBB1755_70:
	s_or_b64 exec, exec, s[24:25]
	s_and_b64 s[26:27], s[8:9], exec
	s_and_b64 s[24:25], s[28:29], exec
.LBB1755_71:
	s_or_b64 exec, exec, s[22:23]
	s_and_b64 s[8:9], s[26:27], exec
	s_and_b64 s[22:23], s[24:25], exec
.LBB1755_72:
	s_or_b64 exec, exec, s[20:21]
	s_and_b64 s[24:25], s[8:9], exec
	s_and_b64 s[20:21], s[22:23], exec
.LBB1755_73:
	s_or_b64 exec, exec, s[18:19]
	s_and_b64 s[8:9], s[24:25], exec
	s_and_b64 s[18:19], s[20:21], exec
.LBB1755_74:
	s_or_b64 exec, exec, s[16:17]
	s_and_b64 s[16:17], s[8:9], exec
	s_and_b64 s[18:19], s[18:19], exec
.LBB1755_75:
	s_or_b64 exec, exec, s[4:5]
	s_and_b64 vcc, exec, s[2:3]
	v_lshlrev_b32_e32 v50, 2, v0
	s_cbranch_vccnz .LBB1755_77
	s_branch .LBB1755_82
.LBB1755_76:
	s_mov_b64 s[18:19], 0
                                        ; implicit-def: $sgpr16_sgpr17
                                        ; implicit-def: $vgpr2_vgpr3_vgpr4_vgpr5_vgpr6_vgpr7_vgpr8_vgpr9
                                        ; implicit-def: $vgpr10_vgpr11_vgpr12_vgpr13_vgpr14_vgpr15_vgpr16_vgpr17
                                        ; implicit-def: $vgpr18_vgpr19_vgpr20_vgpr21_vgpr22_vgpr23_vgpr24_vgpr25
                                        ; implicit-def: $vgpr42
                                        ; implicit-def: $vgpr38_vgpr39
	s_and_b64 vcc, exec, s[2:3]
	v_lshlrev_b32_e32 v50, 2, v0
	s_cbranch_vccz .LBB1755_82
.LBB1755_77:
	v_mov_b32_e32 v1, s39
	v_add_co_u32_e32 v2, vcc, s38, v50
	v_addc_co_u32_e32 v3, vcc, 0, v1, vcc
	v_add_co_u32_e32 v4, vcc, 0x1000, v2
	v_addc_co_u32_e32 v5, vcc, 0, v3, vcc
	flat_load_dword v1, v[2:3]
	flat_load_dword v6, v[2:3] offset:1024
	flat_load_dword v7, v[2:3] offset:2048
	;; [unrolled: 1-line block ×3, first 2 shown]
	flat_load_dword v9, v[4:5]
	flat_load_dword v10, v[4:5] offset:1024
	flat_load_dword v11, v[4:5] offset:2048
	;; [unrolled: 1-line block ×3, first 2 shown]
	v_add_co_u32_e32 v4, vcc, 0x2000, v2
	v_addc_co_u32_e32 v5, vcc, 0, v3, vcc
	v_add_co_u32_e32 v2, vcc, 0x3000, v2
	v_addc_co_u32_e32 v3, vcc, 0, v3, vcc
	flat_load_dword v13, v[4:5]
	flat_load_dword v14, v[4:5] offset:1024
	flat_load_dword v15, v[4:5] offset:2048
	;; [unrolled: 1-line block ×3, first 2 shown]
	flat_load_dword v17, v[2:3]
	flat_load_dword v18, v[2:3] offset:1024
	v_mov_b32_e32 v2, s38
	v_mov_b32_e32 v3, s39
	v_add_co_u32_e32 v2, vcc, 0x3000, v2
	v_addc_co_u32_e32 v3, vcc, 0, v3, vcc
	s_movk_i32 s4, 0xffcc
	s_movk_i32 s9, 0x1000
	s_mov_b32 s2, 0
	s_movk_i32 s8, 0x2000
	s_movk_i32 s3, 0x3000
	s_waitcnt vmcnt(0) lgkmcnt(0)
	ds_write2st64_b32 v50, v1, v6 offset1:4
	ds_write2st64_b32 v50, v7, v8 offset0:8 offset1:12
	ds_write2st64_b32 v50, v9, v10 offset0:16 offset1:20
	;; [unrolled: 1-line block ×6, first 2 shown]
	s_waitcnt lgkmcnt(0)
	s_barrier
	flat_load_dword v1, v[2:3] offset:2048
	v_mad_u32_u24 v6, v0, 52, v50
	v_mad_i32_i24 v2, v0, s4, v6
	s_movk_i32 s4, 0xff
	v_cmp_ne_u32_e32 vcc, s4, v0
	ds_read2_b32 v[26:27], v6 offset1:13
	ds_read2_b32 v[18:19], v6 offset0:7 offset1:8
	ds_read2_b32 v[20:21], v6 offset0:5 offset1:6
	;; [unrolled: 1-line block ×6, first 2 shown]
	s_waitcnt lgkmcnt(0)
	ds_write_b32 v2, v26 offset:15360
	s_waitcnt lgkmcnt(0)
	s_barrier
	s_and_saveexec_b64 s[4:5], vcc
	s_cbranch_execz .LBB1755_79
; %bb.78:
	s_waitcnt vmcnt(0)
	ds_read_b32 v1, v50 offset:15364
.LBB1755_79:
	s_or_b64 exec, exec, s[4:5]
	v_mov_b32_e32 v3, s47
	v_add_co_u32_e32 v2, vcc, s7, v50
	v_addc_co_u32_e32 v3, vcc, 0, v3, vcc
	v_add_co_u32_e32 v4, vcc, s9, v2
	v_addc_co_u32_e32 v5, vcc, 0, v3, vcc
	s_waitcnt lgkmcnt(0)
	s_barrier
	flat_load_dword v7, v[2:3]
	flat_load_dword v8, v[2:3] offset:1024
	flat_load_dword v9, v[2:3] offset:2048
	;; [unrolled: 1-line block ×3, first 2 shown]
	flat_load_dword v15, v[4:5]
	flat_load_dword v16, v[4:5] offset:1024
	flat_load_dword v17, v[4:5] offset:2048
	flat_load_dword v22, v[4:5] offset:3072
	v_add_co_u32_e32 v4, vcc, s8, v2
	v_addc_co_u32_e32 v5, vcc, 0, v3, vcc
	v_add_co_u32_e32 v2, vcc, s3, v2
	v_addc_co_u32_e32 v3, vcc, 0, v3, vcc
	flat_load_dword v23, v[4:5]
	flat_load_dword v24, v[4:5] offset:1024
	flat_load_dword v25, v[4:5] offset:2048
	;; [unrolled: 1-line block ×3, first 2 shown]
	flat_load_dword v33, v[2:3]
	flat_load_dword v34, v[2:3] offset:1024
	s_mov_b32 s3, 1
	v_cmp_eq_u32_e32 vcc, v26, v12
	v_pk_mov_b32 v[38:39], s[2:3], s[2:3] op_sel:[0,1]
	s_waitcnt vmcnt(0) lgkmcnt(0)
	ds_write2st64_b32 v50, v7, v8 offset1:4
	ds_write2st64_b32 v50, v9, v14 offset0:8 offset1:12
	ds_write2st64_b32 v50, v15, v16 offset0:16 offset1:20
	;; [unrolled: 1-line block ×6, first 2 shown]
	s_waitcnt lgkmcnt(0)
	s_barrier
	ds_read2_b32 v[24:25], v6 offset0:7 offset1:8
	ds_read2_b32 v[14:15], v6 offset0:5 offset1:6
	;; [unrolled: 1-line block ×4, first 2 shown]
	ds_read_b32 v34, v6 offset:52
	ds_read2_b32 v[22:23], v6 offset0:11 offset1:12
	ds_read2_b32 v[32:33], v6 offset0:9 offset1:10
	v_mov_b32_e32 v7, s56
	s_and_saveexec_b64 s[2:3], vcc
	s_cbranch_execz .LBB1755_81
; %bb.80:
	ds_read_b32 v7, v6
	v_pk_mov_b32 v[38:39], 0, 0
.LBB1755_81:
	s_or_b64 exec, exec, s[2:3]
	v_mov_b32_e32 v26, s56
	v_cmp_eq_u32_e32 vcc, v12, v13
	s_waitcnt lgkmcnt(3)
	v_cndmask_b32_e32 v8, v26, v4, vcc
	v_cmp_eq_u32_e32 vcc, v13, v10
	v_cndmask_b32_e32 v6, v26, v5, vcc
	v_cmp_eq_u32_e32 vcc, v10, v11
	;; [unrolled: 2-line block ×3, first 2 shown]
	v_cndmask_b32_e32 v2, v26, v3, vcc
	v_cmp_ne_u32_e32 vcc, v12, v13
	v_cndmask_b32_e64 v9, 0, 1, vcc
	v_cmp_ne_u32_e32 vcc, v13, v10
	s_waitcnt lgkmcnt(0)
	v_or_b32_e32 v38, v38, v7
	v_cndmask_b32_e64 v7, 0, 1, vcc
	v_cmp_ne_u32_e32 vcc, v10, v11
	v_cndmask_b32_e64 v5, 0, 1, vcc
	v_cmp_ne_u32_e32 vcc, v11, v20
	v_cndmask_b32_e64 v3, 0, 1, vcc
	v_cmp_eq_u32_e32 vcc, v20, v21
	v_cndmask_b32_e32 v16, v26, v14, vcc
	v_cmp_eq_u32_e32 vcc, v21, v18
	v_cndmask_b32_e32 v14, v26, v15, vcc
	;; [unrolled: 2-line block ×4, first 2 shown]
	v_cmp_ne_u32_e32 vcc, v20, v21
	v_cndmask_b32_e64 v17, 0, 1, vcc
	v_cmp_ne_u32_e32 vcc, v21, v18
	v_cndmask_b32_e64 v15, 0, 1, vcc
	v_cmp_ne_u32_e32 vcc, v18, v19
	v_cndmask_b32_e64 v13, 0, 1, vcc
	v_cmp_ne_u32_e32 vcc, v19, v28
	v_cndmask_b32_e64 v11, 0, 1, vcc
	v_cmp_eq_u32_e32 vcc, v31, v27
	v_cndmask_b32_e32 v24, v26, v23, vcc
	v_cmp_eq_u32_e32 vcc, v30, v31
	v_cndmask_b32_e32 v22, v26, v22, vcc
	;; [unrolled: 2-line block ×4, first 2 shown]
	v_cmp_ne_u32_e32 vcc, v31, v27
	v_cndmask_b32_e64 v25, 0, 1, vcc
	v_cmp_ne_u32_e32 vcc, v30, v31
	v_cndmask_b32_e64 v23, 0, 1, vcc
	;; [unrolled: 2-line block ×3, first 2 shown]
	v_cmp_ne_u32_e32 vcc, v28, v29
	v_cmp_ne_u32_e64 s[16:17], v27, v1
	v_cndmask_b32_e64 v19, 0, 1, vcc
	v_cndmask_b32_e64 v42, v34, v26, s[16:17]
	s_mov_b64 s[18:19], -1
                                        ; implicit-def: $sgpr2_sgpr3
.LBB1755_82:
	v_pk_mov_b32 v[40:41], s[2:3], s[2:3] op_sel:[0,1]
	s_and_saveexec_b64 s[2:3], s[18:19]
; %bb.83:
	v_cndmask_b32_e64 v43, 0, 1, s[16:17]
	v_pk_mov_b32 v[40:41], v[42:43], v[42:43] op_sel:[0,1]
; %bb.84:
	s_or_b64 exec, exec, s[2:3]
	s_mov_b32 s26, 0
	s_cmp_lg_u32 s6, 0
	v_mbcnt_lo_u32_b32 v52, -1, 0
	v_lshrrev_b32_e32 v1, 6, v0
	v_or_b32_e32 v51, 63, v0
	s_barrier
	s_cbranch_scc0 .LBB1755_125
; %bb.85:
	s_mov_b32 s27, 1
	v_cmp_gt_u64_e64 s[2:3], s[26:27], v[8:9]
	v_cndmask_b32_e64 v27, 0, v38, s[2:3]
	v_add_u32_e32 v27, v27, v8
	v_cmp_gt_u64_e64 s[4:5], s[26:27], v[6:7]
	v_cndmask_b32_e64 v27, 0, v27, s[4:5]
	v_add_u32_e32 v27, v27, v6
	;; [unrolled: 3-line block ×12, first 2 shown]
	v_cmp_gt_u64_e32 vcc, s[26:27], v[40:41]
	v_cndmask_b32_e32 v27, 0, v27, vcc
	v_add_u32_e32 v28, v27, v40
	v_or3_b32 v27, v41, v25, v23
	v_or3_b32 v27, v27, v21, v19
	;; [unrolled: 1-line block ×6, first 2 shown]
	v_mov_b32_e32 v26, 0
	v_and_b32_e32 v27, 1, v27
	v_cmp_eq_u64_e32 vcc, 0, v[26:27]
	v_cndmask_b32_e32 v27, 1, v39, vcc
	v_and_b32_e32 v29, 0xff, v27
	v_mov_b32_dpp v31, v28 row_shr:1 row_mask:0xf bank_mask:0xf
	v_cmp_eq_u16_e32 vcc, 0, v29
	v_mov_b32_dpp v32, v29 row_shr:1 row_mask:0xf bank_mask:0xf
	v_and_b32_e32 v33, 1, v27
	v_mbcnt_hi_u32_b32 v46, -1, v52
	v_cndmask_b32_e32 v31, 0, v31, vcc
	v_and_b32_e32 v32, 1, v32
	v_cmp_eq_u32_e32 vcc, 1, v33
	v_and_b32_e32 v30, 15, v46
	v_cndmask_b32_e64 v32, v32, 1, vcc
	v_and_b32_e32 v33, 0xffff, v32
	v_cmp_eq_u32_e32 vcc, 0, v30
	v_cndmask_b32_e32 v27, v32, v27, vcc
	v_cndmask_b32_e32 v29, v33, v29, vcc
	v_and_b32_e32 v33, 1, v27
	v_cndmask_b32_e64 v31, v31, 0, vcc
	v_mov_b32_dpp v32, v29 row_shr:2 row_mask:0xf bank_mask:0xf
	v_and_b32_e32 v32, 1, v32
	v_cmp_eq_u32_e32 vcc, 1, v33
	v_cndmask_b32_e64 v32, v32, 1, vcc
	v_and_b32_e32 v33, 0xffff, v32
	v_cmp_lt_u32_e32 vcc, 1, v30
	v_add_u32_e32 v28, v31, v28
	v_cmp_eq_u16_sdwa s[26:27], v27, v26 src0_sel:BYTE_0 src1_sel:DWORD
	v_cndmask_b32_e32 v27, v27, v32, vcc
	v_cndmask_b32_e32 v29, v29, v33, vcc
	v_mov_b32_dpp v31, v28 row_shr:2 row_mask:0xf bank_mask:0xf
	s_and_b64 vcc, vcc, s[26:27]
	v_mov_b32_dpp v32, v29 row_shr:4 row_mask:0xf bank_mask:0xf
	v_and_b32_e32 v33, 1, v27
	v_cndmask_b32_e32 v31, 0, v31, vcc
	v_and_b32_e32 v32, 1, v32
	v_cmp_eq_u32_e32 vcc, 1, v33
	v_cndmask_b32_e64 v32, v32, 1, vcc
	v_and_b32_e32 v33, 0xffff, v32
	v_cmp_lt_u32_e32 vcc, 3, v30
	v_add_u32_e32 v28, v31, v28
	v_cmp_eq_u16_sdwa s[26:27], v27, v26 src0_sel:BYTE_0 src1_sel:DWORD
	v_cndmask_b32_e32 v27, v27, v32, vcc
	v_cndmask_b32_e32 v29, v29, v33, vcc
	v_mov_b32_dpp v31, v28 row_shr:4 row_mask:0xf bank_mask:0xf
	s_and_b64 vcc, vcc, s[26:27]
	v_mov_b32_dpp v32, v29 row_shr:8 row_mask:0xf bank_mask:0xf
	v_and_b32_e32 v33, 1, v27
	v_cndmask_b32_e32 v31, 0, v31, vcc
	v_and_b32_e32 v32, 1, v32
	v_cmp_eq_u32_e32 vcc, 1, v33
	v_cndmask_b32_e64 v32, v32, 1, vcc
	v_add_u32_e32 v28, v31, v28
	v_cmp_eq_u16_sdwa s[26:27], v27, v26 src0_sel:BYTE_0 src1_sel:DWORD
	v_and_b32_e32 v33, 0xffff, v32
	v_cmp_lt_u32_e32 vcc, 7, v30
	v_mov_b32_dpp v31, v28 row_shr:8 row_mask:0xf bank_mask:0xf
	v_cndmask_b32_e32 v27, v27, v32, vcc
	v_cndmask_b32_e32 v29, v29, v33, vcc
	s_and_b64 vcc, vcc, s[26:27]
	v_cndmask_b32_e32 v30, 0, v31, vcc
	v_add_u32_e32 v28, v30, v28
	v_mov_b32_dpp v31, v29 row_bcast:15 row_mask:0xf bank_mask:0xf
	v_cmp_eq_u16_sdwa vcc, v27, v26 src0_sel:BYTE_0 src1_sel:DWORD
	v_mov_b32_dpp v30, v28 row_bcast:15 row_mask:0xf bank_mask:0xf
	v_and_b32_e32 v34, 1, v27
	v_cndmask_b32_e32 v30, 0, v30, vcc
	v_and_b32_e32 v31, 1, v31
	v_cmp_eq_u32_e32 vcc, 1, v34
	v_and_b32_e32 v33, 16, v46
	v_cndmask_b32_e64 v31, v31, 1, vcc
	v_and_b32_e32 v34, 0xffff, v31
	v_cmp_eq_u32_e32 vcc, 0, v33
	v_cndmask_b32_e32 v27, v31, v27, vcc
	v_cndmask_b32_e32 v29, v34, v29, vcc
	v_bfe_i32 v32, v46, 4, 1
	v_cmp_eq_u16_sdwa s[26:27], v27, v26 src0_sel:BYTE_0 src1_sel:DWORD
	v_mov_b32_dpp v29, v29 row_bcast:31 row_mask:0xf bank_mask:0xf
	v_and_b32_e32 v26, 1, v27
	v_and_b32_e32 v30, v32, v30
	;; [unrolled: 1-line block ×3, first 2 shown]
	v_cmp_eq_u32_e32 vcc, 1, v26
	v_add_u32_e32 v28, v30, v28
	v_cndmask_b32_e64 v26, v29, 1, vcc
	v_cmp_lt_u32_e32 vcc, 31, v46
	v_mov_b32_dpp v30, v28 row_bcast:31 row_mask:0xf bank_mask:0xf
	v_cndmask_b32_e32 v29, v27, v26, vcc
	s_and_b64 vcc, vcc, s[26:27]
	v_cndmask_b32_e32 v26, 0, v30, vcc
	v_add_u32_e32 v28, v26, v28
	v_cmp_eq_u32_e32 vcc, v51, v0
	s_and_saveexec_b64 s[26:27], vcc
	s_cbranch_execz .LBB1755_87
; %bb.86:
	v_lshlrev_b32_e32 v26, 3, v1
	ds_write_b32 v26, v28
	ds_write_b8 v26, v29 offset:4
.LBB1755_87:
	s_or_b64 exec, exec, s[26:27]
	v_cmp_gt_u32_e32 vcc, 4, v0
	s_waitcnt lgkmcnt(0)
	s_barrier
	s_and_saveexec_b64 s[26:27], vcc
	s_cbranch_execz .LBB1755_91
; %bb.88:
	v_lshlrev_b32_e32 v30, 3, v0
	ds_read_b64 v[26:27], v30
	v_and_b32_e32 v31, 3, v46
	v_cmp_ne_u32_e32 vcc, 0, v31
	s_waitcnt lgkmcnt(0)
	v_mov_b32_dpp v32, v26 row_shr:1 row_mask:0xf bank_mask:0xf
	v_mov_b32_dpp v34, v27 row_shr:1 row_mask:0xf bank_mask:0xf
	v_mov_b32_e32 v33, v27
	s_and_saveexec_b64 s[30:31], vcc
	s_cbranch_execz .LBB1755_90
; %bb.89:
	v_and_b32_e32 v33, 1, v27
	v_and_b32_e32 v34, 1, v34
	v_cmp_eq_u32_e32 vcc, 1, v33
	v_mov_b32_e32 v33, 0
	v_cndmask_b32_e64 v34, v34, 1, vcc
	v_cmp_eq_u16_sdwa vcc, v27, v33 src0_sel:BYTE_0 src1_sel:DWORD
	v_cndmask_b32_e32 v32, 0, v32, vcc
	v_add_u32_e32 v26, v32, v26
	v_and_b32_e32 v32, 0xffff, v34
	s_movk_i32 s7, 0xff00
	v_and_or_b32 v33, v27, s7, v32
	v_mov_b32_e32 v27, v34
.LBB1755_90:
	s_or_b64 exec, exec, s[30:31]
	v_mov_b32_dpp v33, v33 row_shr:2 row_mask:0xf bank_mask:0xf
	v_and_b32_e32 v34, 1, v27
	v_and_b32_e32 v33, 1, v33
	v_cmp_eq_u32_e32 vcc, 1, v34
	v_mov_b32_e32 v34, 0
	v_cndmask_b32_e64 v33, v33, 1, vcc
	v_cmp_eq_u16_sdwa s[30:31], v27, v34 src0_sel:BYTE_0 src1_sel:DWORD
	v_cmp_lt_u32_e32 vcc, 1, v31
	v_mov_b32_dpp v32, v26 row_shr:2 row_mask:0xf bank_mask:0xf
	v_cndmask_b32_e32 v27, v27, v33, vcc
	s_and_b64 vcc, vcc, s[30:31]
	v_cndmask_b32_e32 v31, 0, v32, vcc
	v_add_u32_e32 v26, v31, v26
	ds_write_b32 v30, v26
	ds_write_b8 v30, v27 offset:4
.LBB1755_91:
	s_or_b64 exec, exec, s[26:27]
	v_cmp_gt_u32_e32 vcc, 64, v0
	v_cmp_lt_u32_e64 s[26:27], 63, v0
	v_mov_b32_e32 v42, 0
	v_mov_b32_e32 v43, 0
	s_waitcnt lgkmcnt(0)
	s_barrier
	s_and_saveexec_b64 s[30:31], s[26:27]
	s_cbranch_execz .LBB1755_93
; %bb.92:
	v_lshl_add_u32 v26, v1, 3, -8
	ds_read_b32 v42, v26
	ds_read_u8 v43, v26 offset:4
	v_mov_b32_e32 v27, 0
	v_and_b32_e32 v30, 1, v29
	v_cmp_eq_u16_sdwa s[26:27], v29, v27 src0_sel:BYTE_0 src1_sel:DWORD
	s_waitcnt lgkmcnt(1)
	v_cndmask_b32_e64 v26, 0, v42, s[26:27]
	v_cmp_eq_u32_e64 s[26:27], 1, v30
	v_add_u32_e32 v28, v26, v28
	s_waitcnt lgkmcnt(0)
	v_cndmask_b32_e64 v29, v43, 1, s[26:27]
.LBB1755_93:
	s_or_b64 exec, exec, s[30:31]
	v_and_b32_e32 v26, 0xff, v29
	v_add_u32_e32 v27, -1, v46
	v_and_b32_e32 v29, 64, v46
	v_cmp_lt_i32_e64 s[26:27], v27, v29
	v_cndmask_b32_e64 v27, v27, v46, s[26:27]
	v_lshlrev_b32_e32 v27, 2, v27
	ds_bpermute_b32 v44, v27, v28
	ds_bpermute_b32 v45, v27, v26
	v_cmp_eq_u32_e64 s[26:27], 0, v46
	s_and_saveexec_b64 s[38:39], vcc
	s_cbranch_execz .LBB1755_112
; %bb.94:
	v_mov_b32_e32 v29, 0
	ds_read_b64 v[26:27], v29 offset:24
	s_waitcnt lgkmcnt(0)
	v_readfirstlane_b32 s7, v27
	s_and_saveexec_b64 s[30:31], s[26:27]
	s_cbranch_execz .LBB1755_96
; %bb.95:
	s_add_i32 s40, s6, 64
	s_mov_b32 s41, 0
	s_lshl_b64 s[48:49], s[40:41], 4
	s_add_u32 s48, s44, s48
	s_addc_u32 s49, s45, s49
	s_and_b32 s55, s7, 0xff000000
	s_mov_b32 s54, s41
	s_and_b32 s59, s7, 0xff0000
	s_mov_b32 s58, s41
	s_or_b64 s[54:55], s[58:59], s[54:55]
	s_and_b32 s59, s7, 0xff00
	s_or_b64 s[54:55], s[54:55], s[58:59]
	s_and_b32 s59, s7, 0xff
	s_or_b64 s[40:41], s[54:55], s[58:59]
	v_mov_b32_e32 v27, s41
	v_mov_b32_e32 v28, 1
	v_pk_mov_b32 v[30:31], s[48:49], s[48:49] op_sel:[0,1]
	;;#ASMSTART
	global_store_dwordx4 v[30:31], v[26:29] off	
s_waitcnt vmcnt(0)
	;;#ASMEND
.LBB1755_96:
	s_or_b64 exec, exec, s[30:31]
	v_xad_u32 v34, v46, -1, s6
	v_add_u32_e32 v28, 64, v34
	v_lshlrev_b64 v[30:31], 4, v[28:29]
	v_mov_b32_e32 v27, s45
	v_add_co_u32_e32 v36, vcc, s44, v30
	v_addc_co_u32_e32 v37, vcc, v27, v31, vcc
	;;#ASMSTART
	global_load_dwordx4 v[30:33], v[36:37] off glc	
s_waitcnt vmcnt(0)
	;;#ASMEND
	v_and_b32_e32 v27, 0xff0000, v30
	v_or_b32_sdwa v27, v30, v27 dst_sel:DWORD dst_unused:UNUSED_PAD src0_sel:WORD_0 src1_sel:DWORD
	v_and_b32_e32 v28, 0xff000000, v30
	v_and_b32_e32 v30, 0xff, v31
	v_or3_b32 v31, 0, 0, v30
	v_or3_b32 v30, v27, v28, 0
	v_cmp_eq_u16_sdwa s[40:41], v32, v29 src0_sel:BYTE_0 src1_sel:DWORD
	s_and_saveexec_b64 s[30:31], s[40:41]
	s_cbranch_execz .LBB1755_100
; %bb.97:
	s_mov_b64 s[40:41], 0
	v_mov_b32_e32 v27, 0
.LBB1755_98:                            ; =>This Inner Loop Header: Depth=1
	;;#ASMSTART
	global_load_dwordx4 v[30:33], v[36:37] off glc	
s_waitcnt vmcnt(0)
	;;#ASMEND
	v_cmp_ne_u16_sdwa s[48:49], v32, v27 src0_sel:BYTE_0 src1_sel:DWORD
	s_or_b64 s[40:41], s[48:49], s[40:41]
	s_andn2_b64 exec, exec, s[40:41]
	s_cbranch_execnz .LBB1755_98
; %bb.99:
	s_or_b64 exec, exec, s[40:41]
	v_and_b32_e32 v31, 0xff, v31
.LBB1755_100:
	s_or_b64 exec, exec, s[30:31]
	v_mov_b32_e32 v27, 2
	v_cmp_eq_u16_sdwa s[30:31], v32, v27 src0_sel:BYTE_0 src1_sel:DWORD
	v_lshlrev_b64 v[28:29], v46, -1
	v_and_b32_e32 v33, s31, v29
	v_or_b32_e32 v33, 0x80000000, v33
	v_and_b32_e32 v35, s30, v28
	v_ffbl_b32_e32 v33, v33
	v_and_b32_e32 v47, 63, v46
	v_add_u32_e32 v33, 32, v33
	v_ffbl_b32_e32 v35, v35
	v_cmp_ne_u32_e32 vcc, 63, v47
	v_min_u32_e32 v33, v35, v33
	v_addc_co_u32_e32 v35, vcc, 0, v46, vcc
	v_lshlrev_b32_e32 v48, 2, v35
	ds_bpermute_b32 v35, v48, v31
	ds_bpermute_b32 v36, v48, v30
	s_mov_b32 s40, 0
	v_and_b32_e32 v37, 1, v31
	s_mov_b32 s41, 1
	s_waitcnt lgkmcnt(1)
	v_and_b32_e32 v35, 1, v35
	v_cmp_eq_u32_e32 vcc, 1, v37
	v_cndmask_b32_e64 v35, v35, 1, vcc
	v_cmp_gt_u64_e32 vcc, s[40:41], v[30:31]
	v_cmp_lt_u32_e64 s[30:31], v47, v33
	s_and_b64 vcc, s[30:31], vcc
	v_and_b32_e32 v37, 0xffff, v35
	v_cndmask_b32_e64 v54, v31, v35, s[30:31]
	s_waitcnt lgkmcnt(0)
	v_cndmask_b32_e32 v35, 0, v36, vcc
	v_cmp_gt_u32_e32 vcc, 62, v47
	v_cndmask_b32_e64 v36, 0, 1, vcc
	v_lshlrev_b32_e32 v36, 1, v36
	v_cndmask_b32_e64 v31, v31, v37, s[30:31]
	v_add_lshl_u32 v49, v36, v46, 2
	ds_bpermute_b32 v36, v49, v31
	v_add_u32_e32 v30, v35, v30
	ds_bpermute_b32 v37, v49, v30
	v_and_b32_e32 v35, 1, v54
	v_cmp_eq_u32_e32 vcc, 1, v35
	s_waitcnt lgkmcnt(1)
	v_and_b32_e32 v36, 1, v36
	v_mov_b32_e32 v35, 0
	v_add_u32_e32 v53, 2, v47
	v_cndmask_b32_e64 v36, v36, 1, vcc
	v_cmp_eq_u16_sdwa vcc, v54, v35 src0_sel:BYTE_0 src1_sel:DWORD
	v_and_b32_e32 v55, 0xffff, v36
	s_waitcnt lgkmcnt(0)
	v_cndmask_b32_e32 v37, 0, v37, vcc
	v_cmp_gt_u32_e32 vcc, v53, v33
	v_cndmask_b32_e32 v36, v36, v54, vcc
	v_cndmask_b32_e64 v37, v37, 0, vcc
	v_cndmask_b32_e32 v31, v55, v31, vcc
	v_cmp_gt_u32_e32 vcc, 60, v47
	v_cndmask_b32_e64 v54, 0, 1, vcc
	v_lshlrev_b32_e32 v54, 2, v54
	v_add_lshl_u32 v54, v54, v46, 2
	ds_bpermute_b32 v56, v54, v31
	v_add_u32_e32 v30, v37, v30
	ds_bpermute_b32 v37, v54, v30
	v_and_b32_e32 v57, 1, v36
	v_cmp_eq_u32_e32 vcc, 1, v57
	s_waitcnt lgkmcnt(1)
	v_and_b32_e32 v56, 1, v56
	v_add_u32_e32 v55, 4, v47
	v_cndmask_b32_e64 v56, v56, 1, vcc
	v_cmp_eq_u16_sdwa vcc, v36, v35 src0_sel:BYTE_0 src1_sel:DWORD
	v_and_b32_e32 v57, 0xffff, v56
	s_waitcnt lgkmcnt(0)
	v_cndmask_b32_e32 v37, 0, v37, vcc
	v_cmp_gt_u32_e32 vcc, v55, v33
	v_cndmask_b32_e32 v36, v56, v36, vcc
	v_cndmask_b32_e64 v37, v37, 0, vcc
	v_cndmask_b32_e32 v31, v57, v31, vcc
	v_cmp_gt_u32_e32 vcc, 56, v47
	v_cndmask_b32_e64 v56, 0, 1, vcc
	v_lshlrev_b32_e32 v56, 3, v56
	v_add_lshl_u32 v56, v56, v46, 2
	ds_bpermute_b32 v58, v56, v31
	v_add_u32_e32 v30, v37, v30
	ds_bpermute_b32 v37, v56, v30
	v_and_b32_e32 v59, 1, v36
	v_cmp_eq_u32_e32 vcc, 1, v59
	s_waitcnt lgkmcnt(1)
	v_and_b32_e32 v58, 1, v58
	;; [unrolled: 21-line block ×4, first 2 shown]
	v_add_u32_e32 v62, 32, v47
	v_cndmask_b32_e64 v31, v31, 1, vcc
	v_cmp_eq_u16_sdwa vcc, v36, v35 src0_sel:BYTE_0 src1_sel:DWORD
	s_waitcnt lgkmcnt(0)
	v_cndmask_b32_e32 v37, 0, v37, vcc
	v_cmp_gt_u32_e32 vcc, v62, v33
	v_cndmask_b32_e64 v33, v37, 0, vcc
	v_cndmask_b32_e32 v31, v31, v36, vcc
	v_add_u32_e32 v30, v33, v30
	s_branch .LBB1755_102
.LBB1755_101:                           ;   in Loop: Header=BB1755_102 Depth=1
	s_or_b64 exec, exec, s[30:31]
	v_cmp_eq_u16_sdwa s[30:31], v32, v27 src0_sel:BYTE_0 src1_sel:DWORD
	v_and_b32_e32 v33, s31, v29
	ds_bpermute_b32 v37, v48, v31
	v_or_b32_e32 v33, 0x80000000, v33
	v_and_b32_e32 v36, s30, v28
	v_ffbl_b32_e32 v33, v33
	v_add_u32_e32 v33, 32, v33
	v_ffbl_b32_e32 v36, v36
	v_min_u32_e32 v33, v36, v33
	ds_bpermute_b32 v36, v48, v30
	v_and_b32_e32 v63, 1, v31
	s_waitcnt lgkmcnt(1)
	v_and_b32_e32 v37, 1, v37
	v_cmp_eq_u32_e32 vcc, 1, v63
	v_cndmask_b32_e64 v37, v37, 1, vcc
	v_cmp_gt_u64_e32 vcc, s[40:41], v[30:31]
	v_and_b32_e32 v63, 0xffff, v37
	v_cmp_lt_u32_e64 s[30:31], v47, v33
	v_cndmask_b32_e64 v37, v31, v37, s[30:31]
	v_cndmask_b32_e64 v31, v31, v63, s[30:31]
	s_and_b64 vcc, s[30:31], vcc
	ds_bpermute_b32 v63, v49, v31
	s_waitcnt lgkmcnt(1)
	v_cndmask_b32_e32 v36, 0, v36, vcc
	v_add_u32_e32 v30, v36, v30
	ds_bpermute_b32 v36, v49, v30
	v_and_b32_e32 v64, 1, v37
	s_waitcnt lgkmcnt(1)
	v_and_b32_e32 v63, 1, v63
	v_cmp_eq_u32_e32 vcc, 1, v64
	v_cndmask_b32_e64 v63, v63, 1, vcc
	v_cmp_eq_u16_sdwa vcc, v37, v35 src0_sel:BYTE_0 src1_sel:DWORD
	v_and_b32_e32 v64, 0xffff, v63
	s_waitcnt lgkmcnt(0)
	v_cndmask_b32_e32 v36, 0, v36, vcc
	v_cmp_gt_u32_e32 vcc, v53, v33
	v_cndmask_b32_e32 v31, v64, v31, vcc
	v_cndmask_b32_e32 v37, v63, v37, vcc
	ds_bpermute_b32 v63, v54, v31
	v_cndmask_b32_e64 v36, v36, 0, vcc
	v_add_u32_e32 v30, v36, v30
	ds_bpermute_b32 v36, v54, v30
	v_and_b32_e32 v64, 1, v37
	s_waitcnt lgkmcnt(1)
	v_and_b32_e32 v63, 1, v63
	v_cmp_eq_u32_e32 vcc, 1, v64
	v_cndmask_b32_e64 v63, v63, 1, vcc
	v_cmp_eq_u16_sdwa vcc, v37, v35 src0_sel:BYTE_0 src1_sel:DWORD
	v_and_b32_e32 v64, 0xffff, v63
	s_waitcnt lgkmcnt(0)
	v_cndmask_b32_e32 v36, 0, v36, vcc
	v_cmp_gt_u32_e32 vcc, v55, v33
	v_cndmask_b32_e32 v31, v64, v31, vcc
	v_cndmask_b32_e32 v37, v63, v37, vcc
	ds_bpermute_b32 v63, v56, v31
	v_cndmask_b32_e64 v36, v36, 0, vcc
	;; [unrolled: 16-line block ×3, first 2 shown]
	v_add_u32_e32 v30, v36, v30
	ds_bpermute_b32 v36, v58, v30
	v_and_b32_e32 v64, 1, v37
	s_waitcnt lgkmcnt(1)
	v_and_b32_e32 v63, 1, v63
	v_cmp_eq_u32_e32 vcc, 1, v64
	v_cndmask_b32_e64 v63, v63, 1, vcc
	v_cmp_eq_u16_sdwa vcc, v37, v35 src0_sel:BYTE_0 src1_sel:DWORD
	v_and_b32_e32 v64, 0xffff, v63
	s_waitcnt lgkmcnt(0)
	v_cndmask_b32_e32 v36, 0, v36, vcc
	v_cmp_gt_u32_e32 vcc, v59, v33
	v_cndmask_b32_e64 v36, v36, 0, vcc
	v_cndmask_b32_e32 v31, v64, v31, vcc
	ds_bpermute_b32 v31, v61, v31
	v_add_u32_e32 v30, v36, v30
	ds_bpermute_b32 v36, v61, v30
	v_cndmask_b32_e32 v37, v63, v37, vcc
	v_and_b32_e32 v63, 1, v37
	v_cmp_eq_u32_e32 vcc, 1, v63
	s_waitcnt lgkmcnt(1)
	v_cndmask_b32_e64 v31, v31, 1, vcc
	v_cmp_eq_u16_sdwa vcc, v37, v35 src0_sel:BYTE_0 src1_sel:DWORD
	s_waitcnt lgkmcnt(0)
	v_cndmask_b32_e32 v36, 0, v36, vcc
	v_cmp_gt_u32_e32 vcc, v62, v33
	v_cndmask_b32_e64 v33, v36, 0, vcc
	v_cndmask_b32_e32 v31, v31, v37, vcc
	v_add_u32_e32 v30, v33, v30
	v_cmp_eq_u16_sdwa vcc, v46, v35 src0_sel:BYTE_0 src1_sel:DWORD
	v_and_b32_e32 v33, 1, v46
	v_cndmask_b32_e32 v30, 0, v30, vcc
	v_and_b32_e32 v31, 1, v31
	v_cmp_eq_u32_e32 vcc, 1, v33
	v_subrev_u32_e32 v34, 64, v34
	v_add_u32_e32 v30, v30, v60
	v_cndmask_b32_e64 v31, v31, 1, vcc
.LBB1755_102:                           ; =>This Loop Header: Depth=1
                                        ;     Child Loop BB1755_105 Depth 2
	v_cmp_ne_u16_sdwa s[30:31], v32, v27 src0_sel:BYTE_0 src1_sel:DWORD
	v_mov_b32_e32 v46, v31
	v_cndmask_b32_e64 v31, 0, 1, s[30:31]
	;;#ASMSTART
	;;#ASMEND
	v_cmp_ne_u32_e32 vcc, 0, v31
	s_cmp_lg_u64 vcc, exec
	v_mov_b32_e32 v60, v30
	s_cbranch_scc1 .LBB1755_107
; %bb.103:                              ;   in Loop: Header=BB1755_102 Depth=1
	v_lshlrev_b64 v[30:31], 4, v[34:35]
	v_mov_b32_e32 v32, s45
	v_add_co_u32_e32 v36, vcc, s44, v30
	v_addc_co_u32_e32 v37, vcc, v32, v31, vcc
	;;#ASMSTART
	global_load_dwordx4 v[30:33], v[36:37] off glc	
s_waitcnt vmcnt(0)
	;;#ASMEND
	v_and_b32_e32 v33, 0xff0000, v30
	v_or_b32_sdwa v33, v30, v33 dst_sel:DWORD dst_unused:UNUSED_PAD src0_sel:WORD_0 src1_sel:DWORD
	v_and_b32_e32 v30, 0xff000000, v30
	v_and_b32_e32 v31, 0xff, v31
	v_or3_b32 v31, 0, 0, v31
	v_or3_b32 v30, v33, v30, 0
	v_cmp_eq_u16_sdwa s[48:49], v32, v35 src0_sel:BYTE_0 src1_sel:DWORD
	s_and_saveexec_b64 s[30:31], s[48:49]
	s_cbranch_execz .LBB1755_101
; %bb.104:                              ;   in Loop: Header=BB1755_102 Depth=1
	s_mov_b64 s[48:49], 0
.LBB1755_105:                           ;   Parent Loop BB1755_102 Depth=1
                                        ; =>  This Inner Loop Header: Depth=2
	;;#ASMSTART
	global_load_dwordx4 v[30:33], v[36:37] off glc	
s_waitcnt vmcnt(0)
	;;#ASMEND
	v_cmp_ne_u16_sdwa s[54:55], v32, v35 src0_sel:BYTE_0 src1_sel:DWORD
	s_or_b64 s[48:49], s[54:55], s[48:49]
	s_andn2_b64 exec, exec, s[48:49]
	s_cbranch_execnz .LBB1755_105
; %bb.106:                              ;   in Loop: Header=BB1755_102 Depth=1
	s_or_b64 exec, exec, s[48:49]
	v_and_b32_e32 v31, 0xff, v31
	s_branch .LBB1755_101
.LBB1755_107:                           ;   in Loop: Header=BB1755_102 Depth=1
                                        ; implicit-def: $vgpr31
                                        ; implicit-def: $vgpr30
                                        ; implicit-def: $vgpr32
	s_cbranch_execz .LBB1755_102
; %bb.108:
	s_and_saveexec_b64 s[30:31], s[26:27]
	s_cbranch_execz .LBB1755_110
; %bb.109:
	s_and_b32 s40, s7, 0xff
	s_cmp_eq_u32 s40, 0
	s_cselect_b64 vcc, -1, 0
	s_bitcmp1_b32 s7, 0
	s_mov_b32 s41, 0
	s_cselect_b64 s[48:49], -1, 0
	s_add_i32 s40, s6, 64
	s_lshl_b64 s[6:7], s[40:41], 4
	v_cndmask_b32_e32 v27, 0, v60, vcc
	s_add_u32 s6, s44, s6
	v_add_u32_e32 v26, v27, v26
	v_and_b32_e32 v27, 1, v46
	s_addc_u32 s7, s45, s7
	v_mov_b32_e32 v29, 0
	v_cndmask_b32_e64 v27, v27, 1, s[48:49]
	v_mov_b32_e32 v28, 2
	v_pk_mov_b32 v[30:31], s[6:7], s[6:7] op_sel:[0,1]
	;;#ASMSTART
	global_store_dwordx4 v[30:31], v[26:29] off	
s_waitcnt vmcnt(0)
	;;#ASMEND
.LBB1755_110:
	s_or_b64 exec, exec, s[30:31]
	v_cmp_eq_u32_e32 vcc, 0, v0
	s_and_b64 exec, exec, vcc
	s_cbranch_execz .LBB1755_112
; %bb.111:
	v_mov_b32_e32 v26, 0
	ds_write_b32 v26, v60 offset:24
	ds_write_b8 v26, v46 offset:28
.LBB1755_112:
	s_or_b64 exec, exec, s[38:39]
	v_mov_b32_e32 v28, 0
	s_waitcnt lgkmcnt(0)
	s_barrier
	ds_read_b32 v26, v28 offset:24
	v_cndmask_b32_e64 v27, v45, v43, s[26:27]
	v_cmp_eq_u16_sdwa vcc, v27, v28 src0_sel:BYTE_0 src1_sel:DWORD
	v_cndmask_b32_e64 v29, v44, v42, s[26:27]
	s_waitcnt lgkmcnt(0)
	v_cndmask_b32_e32 v27, 0, v26, vcc
	v_add_u32_e32 v27, v27, v29
	v_cmp_eq_u32_e32 vcc, 0, v0
	v_and_b32_e32 v29, 0xff, v39
	v_cndmask_b32_e32 v26, v27, v26, vcc
	v_cmp_eq_u64_e32 vcc, 0, v[28:29]
	v_cndmask_b32_e32 v27, 0, v26, vcc
	v_add_u32_e32 v27, v27, v38
	v_cndmask_b32_e64 v28, 0, v27, s[2:3]
	v_add_u32_e32 v42, v28, v8
	v_cndmask_b32_e64 v28, 0, v42, s[4:5]
	;; [unrolled: 2-line block ×12, first 2 shown]
	v_add_u32_e32 v49, v28, v24
	s_branch .LBB1755_139
.LBB1755_113:
	s_or_b64 exec, exec, s[30:31]
                                        ; implicit-def: $vgpr14
	s_and_saveexec_b64 s[30:31], s[2:3]
	s_cbranch_execz .LBB1755_33
.LBB1755_114:
	v_mov_b32_e32 v15, s47
	v_add_co_u32_e32 v14, vcc, s7, v12
	v_addc_co_u32_e32 v15, vcc, 0, v15, vcc
	flat_load_dword v14, v[14:15] offset:1024
	s_or_b64 exec, exec, s[30:31]
                                        ; implicit-def: $vgpr15
	s_and_saveexec_b64 s[2:3], s[4:5]
	s_cbranch_execnz .LBB1755_34
.LBB1755_115:
	s_or_b64 exec, exec, s[2:3]
                                        ; implicit-def: $vgpr16
	s_and_saveexec_b64 s[2:3], s[28:29]
	s_cbranch_execz .LBB1755_35
.LBB1755_116:
	v_mov_b32_e32 v17, s47
	v_add_co_u32_e32 v16, vcc, s7, v12
	v_addc_co_u32_e32 v17, vcc, 0, v17, vcc
	flat_load_dword v16, v[16:17] offset:3072
	s_or_b64 exec, exec, s[2:3]
                                        ; implicit-def: $vgpr17
	s_and_saveexec_b64 s[2:3], s[8:9]
	s_cbranch_execnz .LBB1755_36
.LBB1755_117:
	s_or_b64 exec, exec, s[2:3]
                                        ; implicit-def: $vgpr2
	s_and_saveexec_b64 s[2:3], s[10:11]
	s_cbranch_execz .LBB1755_37
.LBB1755_118:
	v_mov_b32_e32 v18, s47
	v_add_co_u32_e32 v2, vcc, s7, v3
	v_addc_co_u32_e32 v3, vcc, 0, v18, vcc
	flat_load_dword v2, v[2:3]
	s_or_b64 exec, exec, s[2:3]
                                        ; implicit-def: $vgpr3
	s_and_saveexec_b64 s[2:3], s[12:13]
	s_cbranch_execnz .LBB1755_38
.LBB1755_119:
	s_or_b64 exec, exec, s[2:3]
                                        ; implicit-def: $vgpr4
	s_and_saveexec_b64 s[2:3], s[14:15]
	s_cbranch_execz .LBB1755_39
.LBB1755_120:
	v_mov_b32_e32 v18, s47
	v_add_co_u32_e32 v4, vcc, s7, v5
	v_addc_co_u32_e32 v5, vcc, 0, v18, vcc
	flat_load_dword v4, v[4:5]
	s_or_b64 exec, exec, s[2:3]
                                        ; implicit-def: $vgpr5
	s_and_saveexec_b64 s[2:3], s[16:17]
	s_cbranch_execnz .LBB1755_40
.LBB1755_121:
	s_or_b64 exec, exec, s[2:3]
                                        ; implicit-def: $vgpr6
	s_and_saveexec_b64 s[2:3], s[18:19]
	s_cbranch_execz .LBB1755_41
.LBB1755_122:
	v_mov_b32_e32 v18, s47
	v_add_co_u32_e32 v6, vcc, s7, v7
	v_addc_co_u32_e32 v7, vcc, 0, v18, vcc
	flat_load_dword v6, v[6:7]
	s_or_b64 exec, exec, s[2:3]
                                        ; implicit-def: $vgpr7
	s_and_saveexec_b64 s[2:3], s[20:21]
	s_cbranch_execnz .LBB1755_42
.LBB1755_123:
	s_or_b64 exec, exec, s[2:3]
                                        ; implicit-def: $vgpr8
	s_and_saveexec_b64 s[2:3], s[22:23]
	s_cbranch_execz .LBB1755_43
.LBB1755_124:
	v_mov_b32_e32 v18, s47
	v_add_co_u32_e32 v8, vcc, s7, v9
	v_addc_co_u32_e32 v9, vcc, 0, v18, vcc
	flat_load_dword v8, v[8:9]
	s_or_b64 exec, exec, s[2:3]
                                        ; implicit-def: $vgpr9
	s_and_saveexec_b64 s[2:3], s[24:25]
	s_cbranch_execz .LBB1755_45
	s_branch .LBB1755_44
.LBB1755_125:
                                        ; implicit-def: $vgpr49
                                        ; implicit-def: $vgpr47
                                        ; implicit-def: $vgpr45
                                        ; implicit-def: $vgpr43
                                        ; implicit-def: $vgpr34_vgpr35_vgpr36_vgpr37
                                        ; implicit-def: $vgpr30_vgpr31_vgpr32_vgpr33
                                        ; implicit-def: $vgpr26_vgpr27_vgpr28_vgpr29
	s_cbranch_execz .LBB1755_139
; %bb.126:
	s_cmp_lg_u64 s[52:53], 0
	s_cselect_b32 s3, s51, 0
	s_cselect_b32 s2, s50, 0
	s_mov_b32 s24, 0
	s_cmp_eq_u64 s[2:3], 0
	v_mov_b32_e32 v32, s56
	s_cbranch_scc1 .LBB1755_128
; %bb.127:
	v_mov_b32_e32 v26, 0
	global_load_dword v32, v26, s[2:3]
.LBB1755_128:
	s_mov_b32 s25, 1
	v_cmp_gt_u64_e32 vcc, s[24:25], v[8:9]
	v_cndmask_b32_e32 v27, 0, v38, vcc
	v_add_u32_e32 v27, v27, v8
	v_cmp_gt_u64_e64 s[2:3], s[24:25], v[6:7]
	v_cndmask_b32_e64 v27, 0, v27, s[2:3]
	v_add_u32_e32 v27, v27, v6
	v_cmp_gt_u64_e64 s[4:5], s[24:25], v[4:5]
	v_cndmask_b32_e64 v27, 0, v27, s[4:5]
	;; [unrolled: 3-line block ×11, first 2 shown]
	v_mov_b32_e32 v26, 0
	v_add_u32_e32 v27, v27, v24
	v_cmp_gt_u64_e64 s[24:25], s[24:25], v[40:41]
	v_or3_b32 v7, v23, v15, v7
	v_cndmask_b32_e64 v27, 0, v27, s[24:25]
	v_or3_b32 v9, v25, v17, v9
	v_and_b32_e32 v35, 1, v7
	v_mov_b32_e32 v34, v26
	v_add_u32_e32 v33, v27, v40
	v_and_b32_e32 v27, 1, v41
	v_or3_b32 v3, v19, v11, v3
	v_and_b32_e32 v31, 1, v9
	v_mov_b32_e32 v30, v26
	v_cmp_ne_u64_e64 s[26:27], 0, v[34:35]
	v_cmp_eq_u32_e64 s[24:25], 1, v27
	v_or3_b32 v5, v21, v13, v5
	v_and_b32_e32 v27, 1, v3
	v_cndmask_b32_e64 v3, 0, 1, s[26:27]
	v_cmp_ne_u64_e64 s[26:27], 0, v[30:31]
	v_and_b32_e32 v29, 1, v5
	v_mov_b32_e32 v28, v26
	v_cndmask_b32_e64 v5, 0, 1, s[26:27]
	v_lshlrev_b16_e32 v3, 2, v3
	v_lshlrev_b16_e32 v5, 3, v5
	v_cmp_ne_u64_e64 s[26:27], 0, v[28:29]
	v_or_b32_e32 v3, v5, v3
	v_cndmask_b32_e64 v5, 0, 1, s[26:27]
	v_cmp_ne_u64_e64 s[26:27], 0, v[26:27]
	v_lshlrev_b16_e32 v5, 1, v5
	v_cndmask_b32_e64 v7, 0, 1, s[26:27]
	v_or_b32_e32 v5, v7, v5
	v_and_b32_e32 v5, 3, v5
	v_or_b32_e32 v3, v5, v3
	v_and_b32_e32 v3, 15, v3
	v_cmp_ne_u16_e64 s[26:27], 0, v3
	s_or_b64 s[24:25], s[24:25], s[26:27]
	v_cndmask_b32_e64 v5, v39, 1, s[24:25]
	v_and_b32_e32 v7, 0xff, v5
	v_mov_b32_dpp v11, v33 row_shr:1 row_mask:0xf bank_mask:0xf
	v_cmp_eq_u16_e64 s[24:25], 0, v7
	v_mov_b32_dpp v13, v7 row_shr:1 row_mask:0xf bank_mask:0xf
	v_and_b32_e32 v15, 1, v5
	v_mbcnt_hi_u32_b32 v3, -1, v52
	v_cndmask_b32_e64 v11, 0, v11, s[24:25]
	v_and_b32_e32 v13, 1, v13
	v_cmp_eq_u32_e64 s[24:25], 1, v15
	v_and_b32_e32 v9, 15, v3
	v_cndmask_b32_e64 v13, v13, 1, s[24:25]
	v_and_b32_e32 v15, 0xffff, v13
	v_cmp_eq_u32_e64 s[24:25], 0, v9
	v_cndmask_b32_e64 v5, v13, v5, s[24:25]
	v_cndmask_b32_e64 v7, v15, v7, s[24:25]
	v_and_b32_e32 v17, 1, v5
	v_cndmask_b32_e64 v11, v11, 0, s[24:25]
	v_mov_b32_dpp v15, v7 row_shr:2 row_mask:0xf bank_mask:0xf
	v_and_b32_e32 v15, 1, v15
	v_cmp_eq_u32_e64 s[24:25], 1, v17
	v_cndmask_b32_e64 v15, v15, 1, s[24:25]
	v_and_b32_e32 v17, 0xffff, v15
	v_cmp_lt_u32_e64 s[24:25], 1, v9
	v_add_u32_e32 v11, v11, v33
	v_cmp_eq_u16_sdwa s[26:27], v5, v26 src0_sel:BYTE_0 src1_sel:DWORD
	v_cndmask_b32_e64 v5, v5, v15, s[24:25]
	v_cndmask_b32_e64 v7, v7, v17, s[24:25]
	v_mov_b32_dpp v13, v11 row_shr:2 row_mask:0xf bank_mask:0xf
	s_and_b64 s[24:25], s[24:25], s[26:27]
	v_mov_b32_dpp v15, v7 row_shr:4 row_mask:0xf bank_mask:0xf
	v_and_b32_e32 v17, 1, v5
	v_cndmask_b32_e64 v13, 0, v13, s[24:25]
	v_and_b32_e32 v15, 1, v15
	v_cmp_eq_u32_e64 s[24:25], 1, v17
	v_cndmask_b32_e64 v15, v15, 1, s[24:25]
	v_and_b32_e32 v17, 0xffff, v15
	v_cmp_lt_u32_e64 s[24:25], 3, v9
	v_add_u32_e32 v11, v13, v11
	v_cmp_eq_u16_sdwa s[26:27], v5, v26 src0_sel:BYTE_0 src1_sel:DWORD
	v_cndmask_b32_e64 v5, v5, v15, s[24:25]
	v_cndmask_b32_e64 v7, v7, v17, s[24:25]
	v_mov_b32_dpp v13, v11 row_shr:4 row_mask:0xf bank_mask:0xf
	s_and_b64 s[24:25], s[24:25], s[26:27]
	v_mov_b32_dpp v15, v7 row_shr:8 row_mask:0xf bank_mask:0xf
	v_and_b32_e32 v17, 1, v5
	v_cndmask_b32_e64 v13, 0, v13, s[24:25]
	v_and_b32_e32 v15, 1, v15
	v_cmp_eq_u32_e64 s[24:25], 1, v17
	v_cndmask_b32_e64 v15, v15, 1, s[24:25]
	v_add_u32_e32 v11, v13, v11
	v_cmp_eq_u16_sdwa s[26:27], v5, v26 src0_sel:BYTE_0 src1_sel:DWORD
	v_and_b32_e32 v17, 0xffff, v15
	v_cmp_lt_u32_e64 s[24:25], 7, v9
	v_mov_b32_dpp v13, v11 row_shr:8 row_mask:0xf bank_mask:0xf
	v_cndmask_b32_e64 v5, v5, v15, s[24:25]
	v_cndmask_b32_e64 v7, v7, v17, s[24:25]
	s_and_b64 s[24:25], s[24:25], s[26:27]
	v_cndmask_b32_e64 v9, 0, v13, s[24:25]
	v_add_u32_e32 v9, v9, v11
	v_mov_b32_dpp v13, v7 row_bcast:15 row_mask:0xf bank_mask:0xf
	v_cmp_eq_u16_sdwa s[24:25], v5, v26 src0_sel:BYTE_0 src1_sel:DWORD
	v_mov_b32_dpp v11, v9 row_bcast:15 row_mask:0xf bank_mask:0xf
	v_and_b32_e32 v19, 1, v5
	v_cndmask_b32_e64 v11, 0, v11, s[24:25]
	v_and_b32_e32 v13, 1, v13
	v_cmp_eq_u32_e64 s[24:25], 1, v19
	v_and_b32_e32 v17, 16, v3
	v_cndmask_b32_e64 v13, v13, 1, s[24:25]
	v_and_b32_e32 v19, 0xffff, v13
	v_cmp_eq_u32_e64 s[24:25], 0, v17
	v_cndmask_b32_e64 v5, v13, v5, s[24:25]
	v_cndmask_b32_e64 v7, v19, v7, s[24:25]
	v_bfe_i32 v15, v3, 4, 1
	v_and_b32_e32 v13, 1, v5
	v_mov_b32_dpp v7, v7 row_bcast:31 row_mask:0xf bank_mask:0xf
	v_and_b32_e32 v11, v15, v11
	v_and_b32_e32 v7, 1, v7
	v_cmp_eq_u32_e64 s[24:25], 1, v13
	v_add_u32_e32 v9, v11, v9
	v_cmp_eq_u16_sdwa s[26:27], v5, v26 src0_sel:BYTE_0 src1_sel:DWORD
	v_cndmask_b32_e64 v7, v7, 1, s[24:25]
	v_cmp_lt_u32_e64 s[24:25], 31, v3
	v_mov_b32_dpp v11, v9 row_bcast:31 row_mask:0xf bank_mask:0xf
	v_cndmask_b32_e64 v5, v5, v7, s[24:25]
	s_and_b64 s[24:25], s[24:25], s[26:27]
	v_cndmask_b32_e64 v7, 0, v11, s[24:25]
	v_add_u32_e32 v7, v7, v9
	v_cmp_eq_u32_e64 s[24:25], v51, v0
	s_and_saveexec_b64 s[26:27], s[24:25]
	s_cbranch_execz .LBB1755_130
; %bb.129:
	v_lshlrev_b32_e32 v9, 3, v1
	ds_write_b32 v9, v7
	ds_write_b8 v9, v5 offset:4
.LBB1755_130:
	s_or_b64 exec, exec, s[26:27]
	v_cmp_gt_u32_e64 s[24:25], 4, v0
	s_waitcnt lgkmcnt(0)
	s_barrier
	s_and_saveexec_b64 s[26:27], s[24:25]
	s_cbranch_execz .LBB1755_134
; %bb.131:
	v_lshlrev_b32_e32 v9, 3, v0
	ds_read_b64 v[26:27], v9
	v_and_b32_e32 v11, 3, v3
	v_cmp_ne_u32_e64 s[24:25], 0, v11
	s_waitcnt lgkmcnt(0)
	v_mov_b32_dpp v13, v26 row_shr:1 row_mask:0xf bank_mask:0xf
	v_mov_b32_dpp v17, v27 row_shr:1 row_mask:0xf bank_mask:0xf
	v_mov_b32_e32 v15, v27
	s_and_saveexec_b64 s[28:29], s[24:25]
	s_cbranch_execz .LBB1755_133
; %bb.132:
	v_and_b32_e32 v15, 1, v27
	v_and_b32_e32 v17, 1, v17
	v_cmp_eq_u32_e64 s[24:25], 1, v15
	v_mov_b32_e32 v15, 0
	v_cndmask_b32_e64 v17, v17, 1, s[24:25]
	v_cmp_eq_u16_sdwa s[24:25], v27, v15 src0_sel:BYTE_0 src1_sel:DWORD
	v_cndmask_b32_e64 v13, 0, v13, s[24:25]
	v_add_u32_e32 v26, v13, v26
	v_and_b32_e32 v13, 0xffff, v17
	s_movk_i32 s24, 0xff00
	v_and_or_b32 v15, v27, s24, v13
	v_mov_b32_e32 v27, v17
.LBB1755_133:
	s_or_b64 exec, exec, s[28:29]
	v_mov_b32_dpp v15, v15 row_shr:2 row_mask:0xf bank_mask:0xf
	v_and_b32_e32 v17, 1, v27
	v_and_b32_e32 v15, 1, v15
	v_cmp_eq_u32_e64 s[24:25], 1, v17
	v_mov_b32_e32 v17, 0
	v_cndmask_b32_e64 v15, v15, 1, s[24:25]
	v_cmp_eq_u16_sdwa s[28:29], v27, v17 src0_sel:BYTE_0 src1_sel:DWORD
	v_cmp_lt_u32_e64 s[24:25], 1, v11
	v_mov_b32_dpp v13, v26 row_shr:2 row_mask:0xf bank_mask:0xf
	v_cndmask_b32_e64 v11, v27, v15, s[24:25]
	s_and_b64 s[24:25], s[24:25], s[28:29]
	v_cndmask_b32_e64 v13, 0, v13, s[24:25]
	v_add_u32_e32 v13, v13, v26
	ds_write_b32 v9, v13
	ds_write_b8 v9, v11 offset:4
.LBB1755_134:
	s_or_b64 exec, exec, s[26:27]
	v_cmp_lt_u32_e64 s[24:25], 63, v0
	s_waitcnt vmcnt(0)
	v_mov_b32_e32 v9, v32
	s_waitcnt lgkmcnt(0)
	s_barrier
	s_and_saveexec_b64 s[26:27], s[24:25]
	s_cbranch_execz .LBB1755_136
; %bb.135:
	v_lshl_add_u32 v1, v1, 3, -8
	ds_read_u8 v9, v1 offset:4
	ds_read_b32 v1, v1
	s_waitcnt lgkmcnt(1)
	v_cmp_eq_u16_e64 s[24:25], 0, v9
	v_cndmask_b32_e64 v9, 0, v32, s[24:25]
	s_waitcnt lgkmcnt(0)
	v_add_u32_e32 v9, v9, v1
.LBB1755_136:
	s_or_b64 exec, exec, s[26:27]
	v_mov_b32_e32 v28, 0
	v_cmp_eq_u16_sdwa s[24:25], v5, v28 src0_sel:BYTE_0 src1_sel:DWORD
	v_cndmask_b32_e64 v1, 0, v9, s[24:25]
	v_add_u32_e32 v1, v1, v7
	v_add_u32_e32 v5, -1, v3
	v_and_b32_e32 v7, 64, v3
	v_cmp_lt_i32_e64 s[24:25], v5, v7
	v_cndmask_b32_e64 v5, v5, v3, s[24:25]
	v_lshlrev_b32_e32 v5, 2, v5
	ds_bpermute_b32 v1, v5, v1
	v_cmp_eq_u32_e64 s[24:25], 0, v3
	v_and_b32_e32 v29, 0xff, v39
	v_cmp_eq_u64_e64 s[26:27], 0, v[28:29]
	s_waitcnt lgkmcnt(0)
	v_cndmask_b32_e64 v26, v1, v9, s[24:25]
	v_cmp_eq_u32_e64 s[24:25], 0, v0
	v_cndmask_b32_e64 v1, v26, v32, s[24:25]
	v_cndmask_b32_e64 v1, 0, v1, s[26:27]
	v_add_u32_e32 v27, v1, v38
	v_cndmask_b32_e32 v1, 0, v27, vcc
	v_add_u32_e32 v42, v1, v8
	v_cndmask_b32_e64 v1, 0, v42, s[2:3]
	v_add_u32_e32 v43, v1, v6
	v_cndmask_b32_e64 v1, 0, v43, s[4:5]
	;; [unrolled: 2-line block ×11, first 2 shown]
	s_and_saveexec_b64 s[2:3], s[24:25]
	s_cbranch_execz .LBB1755_138
; %bb.137:
	ds_read_u8 v3, v28 offset:28
	ds_read_b32 v2, v28 offset:24
	s_add_u32 s4, s44, 0x400
	s_addc_u32 s5, s45, 0
	v_mov_b32_e32 v5, v28
	s_waitcnt lgkmcnt(1)
	v_cmp_eq_u16_e32 vcc, 0, v3
	v_cndmask_b32_e32 v4, 0, v32, vcc
	s_waitcnt lgkmcnt(0)
	v_add_u32_e32 v2, v4, v2
	v_and_b32_e32 v3, 0xffff, v3
	v_mov_b32_e32 v4, 2
	v_pk_mov_b32 v[6:7], s[4:5], s[4:5] op_sel:[0,1]
	;;#ASMSTART
	global_store_dwordx4 v[6:7], v[2:5] off	
s_waitcnt vmcnt(0)
	;;#ASMEND
	v_mov_b32_e32 v26, v32
.LBB1755_138:
	s_or_b64 exec, exec, s[2:3]
	v_add_u32_e32 v49, v1, v24
.LBB1755_139:
	s_add_u32 s2, s42, s34
	s_addc_u32 s3, s43, s35
	s_add_u32 s4, s2, s36
	v_mul_u32_u24_e32 v1, 14, v0
	s_addc_u32 s5, s3, s37
	s_and_b64 vcc, exec, s[0:1]
	v_lshlrev_b32_e32 v2, 2, v1
	s_cbranch_vccz .LBB1755_167
; %bb.140:
	s_movk_i32 s0, 0xffcc
	v_mad_i32_i24 v3, v0, s0, v2
	s_barrier
	ds_write2_b64 v2, v[26:27], v[42:43] offset1:1
	ds_write2_b64 v2, v[30:31], v[44:45] offset0:2 offset1:3
	ds_write2_b64 v2, v[34:35], v[46:47] offset0:4 offset1:5
	ds_write_b64 v2, v[48:49] offset:48
	s_waitcnt lgkmcnt(0)
	s_barrier
	ds_read2st64_b32 v[16:17], v3 offset0:4 offset1:8
	ds_read2st64_b32 v[14:15], v3 offset0:12 offset1:16
	;; [unrolled: 1-line block ×6, first 2 shown]
	ds_read_b32 v3, v3 offset:13312
	v_mov_b32_e32 v7, s5
	v_add_co_u32_e32 v6, vcc, s4, v50
	s_add_i32 s33, s33, s46
	v_addc_co_u32_e32 v7, vcc, 0, v7, vcc
	v_mov_b32_e32 v1, 0
	v_cmp_gt_u32_e32 vcc, s33, v0
	s_and_saveexec_b64 s[0:1], vcc
	s_cbranch_execz .LBB1755_142
; %bb.141:
	v_mul_i32_i24_e32 v18, 0xffffffcc, v0
	v_add_u32_e32 v18, v2, v18
	ds_read_b32 v18, v18
	s_waitcnt lgkmcnt(0)
	flat_store_dword v[6:7], v18
.LBB1755_142:
	s_or_b64 exec, exec, s[0:1]
	v_or_b32_e32 v18, 0x100, v0
	v_cmp_gt_u32_e32 vcc, s33, v18
	s_and_saveexec_b64 s[0:1], vcc
	s_cbranch_execz .LBB1755_144
; %bb.143:
	s_waitcnt lgkmcnt(0)
	flat_store_dword v[6:7], v16 offset:1024
.LBB1755_144:
	s_or_b64 exec, exec, s[0:1]
	s_waitcnt lgkmcnt(0)
	v_or_b32_e32 v16, 0x200, v0
	v_cmp_gt_u32_e32 vcc, s33, v16
	s_and_saveexec_b64 s[0:1], vcc
	s_cbranch_execz .LBB1755_146
; %bb.145:
	flat_store_dword v[6:7], v17 offset:2048
.LBB1755_146:
	s_or_b64 exec, exec, s[0:1]
	v_or_b32_e32 v16, 0x300, v0
	v_cmp_gt_u32_e32 vcc, s33, v16
	s_and_saveexec_b64 s[0:1], vcc
	s_cbranch_execz .LBB1755_148
; %bb.147:
	flat_store_dword v[6:7], v14 offset:3072
.LBB1755_148:
	s_or_b64 exec, exec, s[0:1]
	v_or_b32_e32 v14, 0x400, v0
	v_cmp_gt_u32_e32 vcc, s33, v14
	s_and_saveexec_b64 s[0:1], vcc
	s_cbranch_execz .LBB1755_150
; %bb.149:
	v_add_co_u32_e32 v16, vcc, 0x1000, v6
	v_addc_co_u32_e32 v17, vcc, 0, v7, vcc
	flat_store_dword v[16:17], v15
.LBB1755_150:
	s_or_b64 exec, exec, s[0:1]
	v_or_b32_e32 v14, 0x500, v0
	v_cmp_gt_u32_e32 vcc, s33, v14
	s_and_saveexec_b64 s[0:1], vcc
	s_cbranch_execz .LBB1755_152
; %bb.151:
	v_add_co_u32_e32 v14, vcc, 0x1000, v6
	v_addc_co_u32_e32 v15, vcc, 0, v7, vcc
	flat_store_dword v[14:15], v12 offset:1024
.LBB1755_152:
	s_or_b64 exec, exec, s[0:1]
	v_or_b32_e32 v12, 0x600, v0
	v_cmp_gt_u32_e32 vcc, s33, v12
	s_and_saveexec_b64 s[0:1], vcc
	s_cbranch_execz .LBB1755_154
; %bb.153:
	v_add_co_u32_e32 v14, vcc, 0x1000, v6
	v_addc_co_u32_e32 v15, vcc, 0, v7, vcc
	flat_store_dword v[14:15], v13 offset:2048
.LBB1755_154:
	;; [unrolled: 10-line block ×3, first 2 shown]
	s_or_b64 exec, exec, s[0:1]
	v_or_b32_e32 v10, 0x800, v0
	v_cmp_gt_u32_e32 vcc, s33, v10
	s_and_saveexec_b64 s[0:1], vcc
	s_cbranch_execz .LBB1755_158
; %bb.157:
	v_add_co_u32_e32 v12, vcc, 0x2000, v6
	v_addc_co_u32_e32 v13, vcc, 0, v7, vcc
	flat_store_dword v[12:13], v11
.LBB1755_158:
	s_or_b64 exec, exec, s[0:1]
	v_or_b32_e32 v10, 0x900, v0
	v_cmp_gt_u32_e32 vcc, s33, v10
	s_and_saveexec_b64 s[0:1], vcc
	s_cbranch_execz .LBB1755_160
; %bb.159:
	v_add_co_u32_e32 v10, vcc, 0x2000, v6
	v_addc_co_u32_e32 v11, vcc, 0, v7, vcc
	flat_store_dword v[10:11], v8 offset:1024
.LBB1755_160:
	s_or_b64 exec, exec, s[0:1]
	v_or_b32_e32 v8, 0xa00, v0
	v_cmp_gt_u32_e32 vcc, s33, v8
	s_and_saveexec_b64 s[0:1], vcc
	s_cbranch_execz .LBB1755_162
; %bb.161:
	v_add_co_u32_e32 v10, vcc, 0x2000, v6
	v_addc_co_u32_e32 v11, vcc, 0, v7, vcc
	flat_store_dword v[10:11], v9 offset:2048
.LBB1755_162:
	;; [unrolled: 10-line block ×3, first 2 shown]
	s_or_b64 exec, exec, s[0:1]
	v_or_b32_e32 v4, 0xc00, v0
	v_cmp_gt_u32_e32 vcc, s33, v4
	s_and_saveexec_b64 s[0:1], vcc
	s_cbranch_execz .LBB1755_166
; %bb.165:
	v_add_co_u32_e32 v6, vcc, 0x3000, v6
	v_addc_co_u32_e32 v7, vcc, 0, v7, vcc
	flat_store_dword v[6:7], v5
.LBB1755_166:
	s_or_b64 exec, exec, s[0:1]
	v_or_b32_e32 v4, 0xd00, v0
	v_cmp_gt_u32_e64 s[0:1], s33, v4
	s_branch .LBB1755_169
.LBB1755_167:
	s_mov_b64 s[0:1], 0
                                        ; implicit-def: $vgpr3
	s_cbranch_execz .LBB1755_169
; %bb.168:
	s_movk_i32 s2, 0xffcc
	s_waitcnt lgkmcnt(0)
	s_barrier
	ds_write2_b64 v2, v[26:27], v[42:43] offset1:1
	ds_write2_b64 v2, v[30:31], v[44:45] offset0:2 offset1:3
	ds_write2_b64 v2, v[34:35], v[46:47] offset0:4 offset1:5
	ds_write_b64 v2, v[48:49] offset:48
	v_mad_i32_i24 v2, v0, s2, v2
	v_mov_b32_e32 v17, s5
	v_add_co_u32_e32 v16, vcc, s4, v50
	s_waitcnt lgkmcnt(0)
	s_barrier
	ds_read2st64_b32 v[4:5], v2 offset1:4
	ds_read2st64_b32 v[6:7], v2 offset0:8 offset1:12
	ds_read2st64_b32 v[8:9], v2 offset0:16 offset1:20
	;; [unrolled: 1-line block ×6, first 2 shown]
	v_addc_co_u32_e32 v17, vcc, 0, v17, vcc
	s_movk_i32 s2, 0x1000
	s_waitcnt lgkmcnt(0)
	flat_store_dword v[16:17], v4
	flat_store_dword v[16:17], v5 offset:1024
	flat_store_dword v[16:17], v6 offset:2048
	;; [unrolled: 1-line block ×3, first 2 shown]
	v_add_co_u32_e32 v4, vcc, s2, v16
	v_addc_co_u32_e32 v5, vcc, 0, v17, vcc
	flat_store_dword v[4:5], v8
	flat_store_dword v[4:5], v9 offset:1024
	flat_store_dword v[4:5], v10 offset:2048
	;; [unrolled: 1-line block ×3, first 2 shown]
	v_add_co_u32_e32 v4, vcc, 0x2000, v16
	v_addc_co_u32_e32 v5, vcc, 0, v17, vcc
	flat_store_dword v[4:5], v12
	flat_store_dword v[4:5], v13 offset:1024
	flat_store_dword v[4:5], v14 offset:2048
	;; [unrolled: 1-line block ×3, first 2 shown]
	v_add_co_u32_e32 v4, vcc, 0x3000, v16
	v_mov_b32_e32 v1, 0
	v_addc_co_u32_e32 v5, vcc, 0, v17, vcc
	s_or_b64 s[0:1], s[0:1], exec
	flat_store_dword v[4:5], v2
.LBB1755_169:
	s_and_saveexec_b64 s[2:3], s[0:1]
	s_cbranch_execz .LBB1755_171
; %bb.170:
	v_lshlrev_b64 v[0:1], 2, v[0:1]
	v_mov_b32_e32 v2, s5
	v_add_co_u32_e32 v0, vcc, s4, v0
	v_addc_co_u32_e32 v1, vcc, v2, v1, vcc
	v_add_co_u32_e32 v0, vcc, 0x3000, v0
	v_addc_co_u32_e32 v1, vcc, 0, v1, vcc
	flat_store_dword v[0:1], v3 offset:1024
	s_endpgm
.LBB1755_171:
	s_endpgm
	.section	.rodata,"a",@progbits
	.p2align	6, 0x0
	.amdhsa_kernel _ZN7rocprim17ROCPRIM_400000_NS6detail17trampoline_kernelINS0_14default_configENS1_27scan_by_key_config_selectorIiiEEZZNS1_16scan_by_key_implILNS1_25lookback_scan_determinismE0ELb1ES3_N6thrust23THRUST_200600_302600_NS6detail15normal_iteratorINS9_10device_ptrIiEEEENSB_INSC_IjEEEESE_iNS9_4plusIvEENS9_8equal_toIvEEiEE10hipError_tPvRmT2_T3_T4_T5_mT6_T7_P12ihipStream_tbENKUlT_T0_E_clISt17integral_constantIbLb0EES11_EEDaSW_SX_EUlSW_E_NS1_11comp_targetILNS1_3genE4ELNS1_11target_archE910ELNS1_3gpuE8ELNS1_3repE0EEENS1_30default_config_static_selectorELNS0_4arch9wavefront6targetE1EEEvT1_
		.amdhsa_group_segment_fixed_size 16384
		.amdhsa_private_segment_fixed_size 0
		.amdhsa_kernarg_size 112
		.amdhsa_user_sgpr_count 6
		.amdhsa_user_sgpr_private_segment_buffer 1
		.amdhsa_user_sgpr_dispatch_ptr 0
		.amdhsa_user_sgpr_queue_ptr 0
		.amdhsa_user_sgpr_kernarg_segment_ptr 1
		.amdhsa_user_sgpr_dispatch_id 0
		.amdhsa_user_sgpr_flat_scratch_init 0
		.amdhsa_user_sgpr_kernarg_preload_length 0
		.amdhsa_user_sgpr_kernarg_preload_offset 0
		.amdhsa_user_sgpr_private_segment_size 0
		.amdhsa_uses_dynamic_stack 0
		.amdhsa_system_sgpr_private_segment_wavefront_offset 0
		.amdhsa_system_sgpr_workgroup_id_x 1
		.amdhsa_system_sgpr_workgroup_id_y 0
		.amdhsa_system_sgpr_workgroup_id_z 0
		.amdhsa_system_sgpr_workgroup_info 0
		.amdhsa_system_vgpr_workitem_id 0
		.amdhsa_next_free_vgpr 65
		.amdhsa_next_free_sgpr 60
		.amdhsa_accum_offset 68
		.amdhsa_reserve_vcc 1
		.amdhsa_reserve_flat_scratch 0
		.amdhsa_float_round_mode_32 0
		.amdhsa_float_round_mode_16_64 0
		.amdhsa_float_denorm_mode_32 3
		.amdhsa_float_denorm_mode_16_64 3
		.amdhsa_dx10_clamp 1
		.amdhsa_ieee_mode 1
		.amdhsa_fp16_overflow 0
		.amdhsa_tg_split 0
		.amdhsa_exception_fp_ieee_invalid_op 0
		.amdhsa_exception_fp_denorm_src 0
		.amdhsa_exception_fp_ieee_div_zero 0
		.amdhsa_exception_fp_ieee_overflow 0
		.amdhsa_exception_fp_ieee_underflow 0
		.amdhsa_exception_fp_ieee_inexact 0
		.amdhsa_exception_int_div_zero 0
	.end_amdhsa_kernel
	.section	.text._ZN7rocprim17ROCPRIM_400000_NS6detail17trampoline_kernelINS0_14default_configENS1_27scan_by_key_config_selectorIiiEEZZNS1_16scan_by_key_implILNS1_25lookback_scan_determinismE0ELb1ES3_N6thrust23THRUST_200600_302600_NS6detail15normal_iteratorINS9_10device_ptrIiEEEENSB_INSC_IjEEEESE_iNS9_4plusIvEENS9_8equal_toIvEEiEE10hipError_tPvRmT2_T3_T4_T5_mT6_T7_P12ihipStream_tbENKUlT_T0_E_clISt17integral_constantIbLb0EES11_EEDaSW_SX_EUlSW_E_NS1_11comp_targetILNS1_3genE4ELNS1_11target_archE910ELNS1_3gpuE8ELNS1_3repE0EEENS1_30default_config_static_selectorELNS0_4arch9wavefront6targetE1EEEvT1_,"axG",@progbits,_ZN7rocprim17ROCPRIM_400000_NS6detail17trampoline_kernelINS0_14default_configENS1_27scan_by_key_config_selectorIiiEEZZNS1_16scan_by_key_implILNS1_25lookback_scan_determinismE0ELb1ES3_N6thrust23THRUST_200600_302600_NS6detail15normal_iteratorINS9_10device_ptrIiEEEENSB_INSC_IjEEEESE_iNS9_4plusIvEENS9_8equal_toIvEEiEE10hipError_tPvRmT2_T3_T4_T5_mT6_T7_P12ihipStream_tbENKUlT_T0_E_clISt17integral_constantIbLb0EES11_EEDaSW_SX_EUlSW_E_NS1_11comp_targetILNS1_3genE4ELNS1_11target_archE910ELNS1_3gpuE8ELNS1_3repE0EEENS1_30default_config_static_selectorELNS0_4arch9wavefront6targetE1EEEvT1_,comdat
.Lfunc_end1755:
	.size	_ZN7rocprim17ROCPRIM_400000_NS6detail17trampoline_kernelINS0_14default_configENS1_27scan_by_key_config_selectorIiiEEZZNS1_16scan_by_key_implILNS1_25lookback_scan_determinismE0ELb1ES3_N6thrust23THRUST_200600_302600_NS6detail15normal_iteratorINS9_10device_ptrIiEEEENSB_INSC_IjEEEESE_iNS9_4plusIvEENS9_8equal_toIvEEiEE10hipError_tPvRmT2_T3_T4_T5_mT6_T7_P12ihipStream_tbENKUlT_T0_E_clISt17integral_constantIbLb0EES11_EEDaSW_SX_EUlSW_E_NS1_11comp_targetILNS1_3genE4ELNS1_11target_archE910ELNS1_3gpuE8ELNS1_3repE0EEENS1_30default_config_static_selectorELNS0_4arch9wavefront6targetE1EEEvT1_, .Lfunc_end1755-_ZN7rocprim17ROCPRIM_400000_NS6detail17trampoline_kernelINS0_14default_configENS1_27scan_by_key_config_selectorIiiEEZZNS1_16scan_by_key_implILNS1_25lookback_scan_determinismE0ELb1ES3_N6thrust23THRUST_200600_302600_NS6detail15normal_iteratorINS9_10device_ptrIiEEEENSB_INSC_IjEEEESE_iNS9_4plusIvEENS9_8equal_toIvEEiEE10hipError_tPvRmT2_T3_T4_T5_mT6_T7_P12ihipStream_tbENKUlT_T0_E_clISt17integral_constantIbLb0EES11_EEDaSW_SX_EUlSW_E_NS1_11comp_targetILNS1_3genE4ELNS1_11target_archE910ELNS1_3gpuE8ELNS1_3repE0EEENS1_30default_config_static_selectorELNS0_4arch9wavefront6targetE1EEEvT1_
                                        ; -- End function
	.section	.AMDGPU.csdata,"",@progbits
; Kernel info:
; codeLenInByte = 11184
; NumSgprs: 64
; NumVgprs: 65
; NumAgprs: 0
; TotalNumVgprs: 65
; ScratchSize: 0
; MemoryBound: 0
; FloatMode: 240
; IeeeMode: 1
; LDSByteSize: 16384 bytes/workgroup (compile time only)
; SGPRBlocks: 7
; VGPRBlocks: 8
; NumSGPRsForWavesPerEU: 64
; NumVGPRsForWavesPerEU: 65
; AccumOffset: 68
; Occupancy: 4
; WaveLimiterHint : 1
; COMPUTE_PGM_RSRC2:SCRATCH_EN: 0
; COMPUTE_PGM_RSRC2:USER_SGPR: 6
; COMPUTE_PGM_RSRC2:TRAP_HANDLER: 0
; COMPUTE_PGM_RSRC2:TGID_X_EN: 1
; COMPUTE_PGM_RSRC2:TGID_Y_EN: 0
; COMPUTE_PGM_RSRC2:TGID_Z_EN: 0
; COMPUTE_PGM_RSRC2:TIDIG_COMP_CNT: 0
; COMPUTE_PGM_RSRC3_GFX90A:ACCUM_OFFSET: 16
; COMPUTE_PGM_RSRC3_GFX90A:TG_SPLIT: 0
	.section	.text._ZN7rocprim17ROCPRIM_400000_NS6detail17trampoline_kernelINS0_14default_configENS1_27scan_by_key_config_selectorIiiEEZZNS1_16scan_by_key_implILNS1_25lookback_scan_determinismE0ELb1ES3_N6thrust23THRUST_200600_302600_NS6detail15normal_iteratorINS9_10device_ptrIiEEEENSB_INSC_IjEEEESE_iNS9_4plusIvEENS9_8equal_toIvEEiEE10hipError_tPvRmT2_T3_T4_T5_mT6_T7_P12ihipStream_tbENKUlT_T0_E_clISt17integral_constantIbLb0EES11_EEDaSW_SX_EUlSW_E_NS1_11comp_targetILNS1_3genE3ELNS1_11target_archE908ELNS1_3gpuE7ELNS1_3repE0EEENS1_30default_config_static_selectorELNS0_4arch9wavefront6targetE1EEEvT1_,"axG",@progbits,_ZN7rocprim17ROCPRIM_400000_NS6detail17trampoline_kernelINS0_14default_configENS1_27scan_by_key_config_selectorIiiEEZZNS1_16scan_by_key_implILNS1_25lookback_scan_determinismE0ELb1ES3_N6thrust23THRUST_200600_302600_NS6detail15normal_iteratorINS9_10device_ptrIiEEEENSB_INSC_IjEEEESE_iNS9_4plusIvEENS9_8equal_toIvEEiEE10hipError_tPvRmT2_T3_T4_T5_mT6_T7_P12ihipStream_tbENKUlT_T0_E_clISt17integral_constantIbLb0EES11_EEDaSW_SX_EUlSW_E_NS1_11comp_targetILNS1_3genE3ELNS1_11target_archE908ELNS1_3gpuE7ELNS1_3repE0EEENS1_30default_config_static_selectorELNS0_4arch9wavefront6targetE1EEEvT1_,comdat
	.protected	_ZN7rocprim17ROCPRIM_400000_NS6detail17trampoline_kernelINS0_14default_configENS1_27scan_by_key_config_selectorIiiEEZZNS1_16scan_by_key_implILNS1_25lookback_scan_determinismE0ELb1ES3_N6thrust23THRUST_200600_302600_NS6detail15normal_iteratorINS9_10device_ptrIiEEEENSB_INSC_IjEEEESE_iNS9_4plusIvEENS9_8equal_toIvEEiEE10hipError_tPvRmT2_T3_T4_T5_mT6_T7_P12ihipStream_tbENKUlT_T0_E_clISt17integral_constantIbLb0EES11_EEDaSW_SX_EUlSW_E_NS1_11comp_targetILNS1_3genE3ELNS1_11target_archE908ELNS1_3gpuE7ELNS1_3repE0EEENS1_30default_config_static_selectorELNS0_4arch9wavefront6targetE1EEEvT1_ ; -- Begin function _ZN7rocprim17ROCPRIM_400000_NS6detail17trampoline_kernelINS0_14default_configENS1_27scan_by_key_config_selectorIiiEEZZNS1_16scan_by_key_implILNS1_25lookback_scan_determinismE0ELb1ES3_N6thrust23THRUST_200600_302600_NS6detail15normal_iteratorINS9_10device_ptrIiEEEENSB_INSC_IjEEEESE_iNS9_4plusIvEENS9_8equal_toIvEEiEE10hipError_tPvRmT2_T3_T4_T5_mT6_T7_P12ihipStream_tbENKUlT_T0_E_clISt17integral_constantIbLb0EES11_EEDaSW_SX_EUlSW_E_NS1_11comp_targetILNS1_3genE3ELNS1_11target_archE908ELNS1_3gpuE7ELNS1_3repE0EEENS1_30default_config_static_selectorELNS0_4arch9wavefront6targetE1EEEvT1_
	.globl	_ZN7rocprim17ROCPRIM_400000_NS6detail17trampoline_kernelINS0_14default_configENS1_27scan_by_key_config_selectorIiiEEZZNS1_16scan_by_key_implILNS1_25lookback_scan_determinismE0ELb1ES3_N6thrust23THRUST_200600_302600_NS6detail15normal_iteratorINS9_10device_ptrIiEEEENSB_INSC_IjEEEESE_iNS9_4plusIvEENS9_8equal_toIvEEiEE10hipError_tPvRmT2_T3_T4_T5_mT6_T7_P12ihipStream_tbENKUlT_T0_E_clISt17integral_constantIbLb0EES11_EEDaSW_SX_EUlSW_E_NS1_11comp_targetILNS1_3genE3ELNS1_11target_archE908ELNS1_3gpuE7ELNS1_3repE0EEENS1_30default_config_static_selectorELNS0_4arch9wavefront6targetE1EEEvT1_
	.p2align	8
	.type	_ZN7rocprim17ROCPRIM_400000_NS6detail17trampoline_kernelINS0_14default_configENS1_27scan_by_key_config_selectorIiiEEZZNS1_16scan_by_key_implILNS1_25lookback_scan_determinismE0ELb1ES3_N6thrust23THRUST_200600_302600_NS6detail15normal_iteratorINS9_10device_ptrIiEEEENSB_INSC_IjEEEESE_iNS9_4plusIvEENS9_8equal_toIvEEiEE10hipError_tPvRmT2_T3_T4_T5_mT6_T7_P12ihipStream_tbENKUlT_T0_E_clISt17integral_constantIbLb0EES11_EEDaSW_SX_EUlSW_E_NS1_11comp_targetILNS1_3genE3ELNS1_11target_archE908ELNS1_3gpuE7ELNS1_3repE0EEENS1_30default_config_static_selectorELNS0_4arch9wavefront6targetE1EEEvT1_,@function
_ZN7rocprim17ROCPRIM_400000_NS6detail17trampoline_kernelINS0_14default_configENS1_27scan_by_key_config_selectorIiiEEZZNS1_16scan_by_key_implILNS1_25lookback_scan_determinismE0ELb1ES3_N6thrust23THRUST_200600_302600_NS6detail15normal_iteratorINS9_10device_ptrIiEEEENSB_INSC_IjEEEESE_iNS9_4plusIvEENS9_8equal_toIvEEiEE10hipError_tPvRmT2_T3_T4_T5_mT6_T7_P12ihipStream_tbENKUlT_T0_E_clISt17integral_constantIbLb0EES11_EEDaSW_SX_EUlSW_E_NS1_11comp_targetILNS1_3genE3ELNS1_11target_archE908ELNS1_3gpuE7ELNS1_3repE0EEENS1_30default_config_static_selectorELNS0_4arch9wavefront6targetE1EEEvT1_: ; @_ZN7rocprim17ROCPRIM_400000_NS6detail17trampoline_kernelINS0_14default_configENS1_27scan_by_key_config_selectorIiiEEZZNS1_16scan_by_key_implILNS1_25lookback_scan_determinismE0ELb1ES3_N6thrust23THRUST_200600_302600_NS6detail15normal_iteratorINS9_10device_ptrIiEEEENSB_INSC_IjEEEESE_iNS9_4plusIvEENS9_8equal_toIvEEiEE10hipError_tPvRmT2_T3_T4_T5_mT6_T7_P12ihipStream_tbENKUlT_T0_E_clISt17integral_constantIbLb0EES11_EEDaSW_SX_EUlSW_E_NS1_11comp_targetILNS1_3genE3ELNS1_11target_archE908ELNS1_3gpuE7ELNS1_3repE0EEENS1_30default_config_static_selectorELNS0_4arch9wavefront6targetE1EEEvT1_
; %bb.0:
	.section	.rodata,"a",@progbits
	.p2align	6, 0x0
	.amdhsa_kernel _ZN7rocprim17ROCPRIM_400000_NS6detail17trampoline_kernelINS0_14default_configENS1_27scan_by_key_config_selectorIiiEEZZNS1_16scan_by_key_implILNS1_25lookback_scan_determinismE0ELb1ES3_N6thrust23THRUST_200600_302600_NS6detail15normal_iteratorINS9_10device_ptrIiEEEENSB_INSC_IjEEEESE_iNS9_4plusIvEENS9_8equal_toIvEEiEE10hipError_tPvRmT2_T3_T4_T5_mT6_T7_P12ihipStream_tbENKUlT_T0_E_clISt17integral_constantIbLb0EES11_EEDaSW_SX_EUlSW_E_NS1_11comp_targetILNS1_3genE3ELNS1_11target_archE908ELNS1_3gpuE7ELNS1_3repE0EEENS1_30default_config_static_selectorELNS0_4arch9wavefront6targetE1EEEvT1_
		.amdhsa_group_segment_fixed_size 0
		.amdhsa_private_segment_fixed_size 0
		.amdhsa_kernarg_size 112
		.amdhsa_user_sgpr_count 6
		.amdhsa_user_sgpr_private_segment_buffer 1
		.amdhsa_user_sgpr_dispatch_ptr 0
		.amdhsa_user_sgpr_queue_ptr 0
		.amdhsa_user_sgpr_kernarg_segment_ptr 1
		.amdhsa_user_sgpr_dispatch_id 0
		.amdhsa_user_sgpr_flat_scratch_init 0
		.amdhsa_user_sgpr_kernarg_preload_length 0
		.amdhsa_user_sgpr_kernarg_preload_offset 0
		.amdhsa_user_sgpr_private_segment_size 0
		.amdhsa_uses_dynamic_stack 0
		.amdhsa_system_sgpr_private_segment_wavefront_offset 0
		.amdhsa_system_sgpr_workgroup_id_x 1
		.amdhsa_system_sgpr_workgroup_id_y 0
		.amdhsa_system_sgpr_workgroup_id_z 0
		.amdhsa_system_sgpr_workgroup_info 0
		.amdhsa_system_vgpr_workitem_id 0
		.amdhsa_next_free_vgpr 1
		.amdhsa_next_free_sgpr 0
		.amdhsa_accum_offset 4
		.amdhsa_reserve_vcc 0
		.amdhsa_reserve_flat_scratch 0
		.amdhsa_float_round_mode_32 0
		.amdhsa_float_round_mode_16_64 0
		.amdhsa_float_denorm_mode_32 3
		.amdhsa_float_denorm_mode_16_64 3
		.amdhsa_dx10_clamp 1
		.amdhsa_ieee_mode 1
		.amdhsa_fp16_overflow 0
		.amdhsa_tg_split 0
		.amdhsa_exception_fp_ieee_invalid_op 0
		.amdhsa_exception_fp_denorm_src 0
		.amdhsa_exception_fp_ieee_div_zero 0
		.amdhsa_exception_fp_ieee_overflow 0
		.amdhsa_exception_fp_ieee_underflow 0
		.amdhsa_exception_fp_ieee_inexact 0
		.amdhsa_exception_int_div_zero 0
	.end_amdhsa_kernel
	.section	.text._ZN7rocprim17ROCPRIM_400000_NS6detail17trampoline_kernelINS0_14default_configENS1_27scan_by_key_config_selectorIiiEEZZNS1_16scan_by_key_implILNS1_25lookback_scan_determinismE0ELb1ES3_N6thrust23THRUST_200600_302600_NS6detail15normal_iteratorINS9_10device_ptrIiEEEENSB_INSC_IjEEEESE_iNS9_4plusIvEENS9_8equal_toIvEEiEE10hipError_tPvRmT2_T3_T4_T5_mT6_T7_P12ihipStream_tbENKUlT_T0_E_clISt17integral_constantIbLb0EES11_EEDaSW_SX_EUlSW_E_NS1_11comp_targetILNS1_3genE3ELNS1_11target_archE908ELNS1_3gpuE7ELNS1_3repE0EEENS1_30default_config_static_selectorELNS0_4arch9wavefront6targetE1EEEvT1_,"axG",@progbits,_ZN7rocprim17ROCPRIM_400000_NS6detail17trampoline_kernelINS0_14default_configENS1_27scan_by_key_config_selectorIiiEEZZNS1_16scan_by_key_implILNS1_25lookback_scan_determinismE0ELb1ES3_N6thrust23THRUST_200600_302600_NS6detail15normal_iteratorINS9_10device_ptrIiEEEENSB_INSC_IjEEEESE_iNS9_4plusIvEENS9_8equal_toIvEEiEE10hipError_tPvRmT2_T3_T4_T5_mT6_T7_P12ihipStream_tbENKUlT_T0_E_clISt17integral_constantIbLb0EES11_EEDaSW_SX_EUlSW_E_NS1_11comp_targetILNS1_3genE3ELNS1_11target_archE908ELNS1_3gpuE7ELNS1_3repE0EEENS1_30default_config_static_selectorELNS0_4arch9wavefront6targetE1EEEvT1_,comdat
.Lfunc_end1756:
	.size	_ZN7rocprim17ROCPRIM_400000_NS6detail17trampoline_kernelINS0_14default_configENS1_27scan_by_key_config_selectorIiiEEZZNS1_16scan_by_key_implILNS1_25lookback_scan_determinismE0ELb1ES3_N6thrust23THRUST_200600_302600_NS6detail15normal_iteratorINS9_10device_ptrIiEEEENSB_INSC_IjEEEESE_iNS9_4plusIvEENS9_8equal_toIvEEiEE10hipError_tPvRmT2_T3_T4_T5_mT6_T7_P12ihipStream_tbENKUlT_T0_E_clISt17integral_constantIbLb0EES11_EEDaSW_SX_EUlSW_E_NS1_11comp_targetILNS1_3genE3ELNS1_11target_archE908ELNS1_3gpuE7ELNS1_3repE0EEENS1_30default_config_static_selectorELNS0_4arch9wavefront6targetE1EEEvT1_, .Lfunc_end1756-_ZN7rocprim17ROCPRIM_400000_NS6detail17trampoline_kernelINS0_14default_configENS1_27scan_by_key_config_selectorIiiEEZZNS1_16scan_by_key_implILNS1_25lookback_scan_determinismE0ELb1ES3_N6thrust23THRUST_200600_302600_NS6detail15normal_iteratorINS9_10device_ptrIiEEEENSB_INSC_IjEEEESE_iNS9_4plusIvEENS9_8equal_toIvEEiEE10hipError_tPvRmT2_T3_T4_T5_mT6_T7_P12ihipStream_tbENKUlT_T0_E_clISt17integral_constantIbLb0EES11_EEDaSW_SX_EUlSW_E_NS1_11comp_targetILNS1_3genE3ELNS1_11target_archE908ELNS1_3gpuE7ELNS1_3repE0EEENS1_30default_config_static_selectorELNS0_4arch9wavefront6targetE1EEEvT1_
                                        ; -- End function
	.section	.AMDGPU.csdata,"",@progbits
; Kernel info:
; codeLenInByte = 0
; NumSgprs: 4
; NumVgprs: 0
; NumAgprs: 0
; TotalNumVgprs: 0
; ScratchSize: 0
; MemoryBound: 0
; FloatMode: 240
; IeeeMode: 1
; LDSByteSize: 0 bytes/workgroup (compile time only)
; SGPRBlocks: 0
; VGPRBlocks: 0
; NumSGPRsForWavesPerEU: 4
; NumVGPRsForWavesPerEU: 1
; AccumOffset: 4
; Occupancy: 8
; WaveLimiterHint : 0
; COMPUTE_PGM_RSRC2:SCRATCH_EN: 0
; COMPUTE_PGM_RSRC2:USER_SGPR: 6
; COMPUTE_PGM_RSRC2:TRAP_HANDLER: 0
; COMPUTE_PGM_RSRC2:TGID_X_EN: 1
; COMPUTE_PGM_RSRC2:TGID_Y_EN: 0
; COMPUTE_PGM_RSRC2:TGID_Z_EN: 0
; COMPUTE_PGM_RSRC2:TIDIG_COMP_CNT: 0
; COMPUTE_PGM_RSRC3_GFX90A:ACCUM_OFFSET: 0
; COMPUTE_PGM_RSRC3_GFX90A:TG_SPLIT: 0
	.section	.text._ZN7rocprim17ROCPRIM_400000_NS6detail17trampoline_kernelINS0_14default_configENS1_27scan_by_key_config_selectorIiiEEZZNS1_16scan_by_key_implILNS1_25lookback_scan_determinismE0ELb1ES3_N6thrust23THRUST_200600_302600_NS6detail15normal_iteratorINS9_10device_ptrIiEEEENSB_INSC_IjEEEESE_iNS9_4plusIvEENS9_8equal_toIvEEiEE10hipError_tPvRmT2_T3_T4_T5_mT6_T7_P12ihipStream_tbENKUlT_T0_E_clISt17integral_constantIbLb0EES11_EEDaSW_SX_EUlSW_E_NS1_11comp_targetILNS1_3genE2ELNS1_11target_archE906ELNS1_3gpuE6ELNS1_3repE0EEENS1_30default_config_static_selectorELNS0_4arch9wavefront6targetE1EEEvT1_,"axG",@progbits,_ZN7rocprim17ROCPRIM_400000_NS6detail17trampoline_kernelINS0_14default_configENS1_27scan_by_key_config_selectorIiiEEZZNS1_16scan_by_key_implILNS1_25lookback_scan_determinismE0ELb1ES3_N6thrust23THRUST_200600_302600_NS6detail15normal_iteratorINS9_10device_ptrIiEEEENSB_INSC_IjEEEESE_iNS9_4plusIvEENS9_8equal_toIvEEiEE10hipError_tPvRmT2_T3_T4_T5_mT6_T7_P12ihipStream_tbENKUlT_T0_E_clISt17integral_constantIbLb0EES11_EEDaSW_SX_EUlSW_E_NS1_11comp_targetILNS1_3genE2ELNS1_11target_archE906ELNS1_3gpuE6ELNS1_3repE0EEENS1_30default_config_static_selectorELNS0_4arch9wavefront6targetE1EEEvT1_,comdat
	.protected	_ZN7rocprim17ROCPRIM_400000_NS6detail17trampoline_kernelINS0_14default_configENS1_27scan_by_key_config_selectorIiiEEZZNS1_16scan_by_key_implILNS1_25lookback_scan_determinismE0ELb1ES3_N6thrust23THRUST_200600_302600_NS6detail15normal_iteratorINS9_10device_ptrIiEEEENSB_INSC_IjEEEESE_iNS9_4plusIvEENS9_8equal_toIvEEiEE10hipError_tPvRmT2_T3_T4_T5_mT6_T7_P12ihipStream_tbENKUlT_T0_E_clISt17integral_constantIbLb0EES11_EEDaSW_SX_EUlSW_E_NS1_11comp_targetILNS1_3genE2ELNS1_11target_archE906ELNS1_3gpuE6ELNS1_3repE0EEENS1_30default_config_static_selectorELNS0_4arch9wavefront6targetE1EEEvT1_ ; -- Begin function _ZN7rocprim17ROCPRIM_400000_NS6detail17trampoline_kernelINS0_14default_configENS1_27scan_by_key_config_selectorIiiEEZZNS1_16scan_by_key_implILNS1_25lookback_scan_determinismE0ELb1ES3_N6thrust23THRUST_200600_302600_NS6detail15normal_iteratorINS9_10device_ptrIiEEEENSB_INSC_IjEEEESE_iNS9_4plusIvEENS9_8equal_toIvEEiEE10hipError_tPvRmT2_T3_T4_T5_mT6_T7_P12ihipStream_tbENKUlT_T0_E_clISt17integral_constantIbLb0EES11_EEDaSW_SX_EUlSW_E_NS1_11comp_targetILNS1_3genE2ELNS1_11target_archE906ELNS1_3gpuE6ELNS1_3repE0EEENS1_30default_config_static_selectorELNS0_4arch9wavefront6targetE1EEEvT1_
	.globl	_ZN7rocprim17ROCPRIM_400000_NS6detail17trampoline_kernelINS0_14default_configENS1_27scan_by_key_config_selectorIiiEEZZNS1_16scan_by_key_implILNS1_25lookback_scan_determinismE0ELb1ES3_N6thrust23THRUST_200600_302600_NS6detail15normal_iteratorINS9_10device_ptrIiEEEENSB_INSC_IjEEEESE_iNS9_4plusIvEENS9_8equal_toIvEEiEE10hipError_tPvRmT2_T3_T4_T5_mT6_T7_P12ihipStream_tbENKUlT_T0_E_clISt17integral_constantIbLb0EES11_EEDaSW_SX_EUlSW_E_NS1_11comp_targetILNS1_3genE2ELNS1_11target_archE906ELNS1_3gpuE6ELNS1_3repE0EEENS1_30default_config_static_selectorELNS0_4arch9wavefront6targetE1EEEvT1_
	.p2align	8
	.type	_ZN7rocprim17ROCPRIM_400000_NS6detail17trampoline_kernelINS0_14default_configENS1_27scan_by_key_config_selectorIiiEEZZNS1_16scan_by_key_implILNS1_25lookback_scan_determinismE0ELb1ES3_N6thrust23THRUST_200600_302600_NS6detail15normal_iteratorINS9_10device_ptrIiEEEENSB_INSC_IjEEEESE_iNS9_4plusIvEENS9_8equal_toIvEEiEE10hipError_tPvRmT2_T3_T4_T5_mT6_T7_P12ihipStream_tbENKUlT_T0_E_clISt17integral_constantIbLb0EES11_EEDaSW_SX_EUlSW_E_NS1_11comp_targetILNS1_3genE2ELNS1_11target_archE906ELNS1_3gpuE6ELNS1_3repE0EEENS1_30default_config_static_selectorELNS0_4arch9wavefront6targetE1EEEvT1_,@function
_ZN7rocprim17ROCPRIM_400000_NS6detail17trampoline_kernelINS0_14default_configENS1_27scan_by_key_config_selectorIiiEEZZNS1_16scan_by_key_implILNS1_25lookback_scan_determinismE0ELb1ES3_N6thrust23THRUST_200600_302600_NS6detail15normal_iteratorINS9_10device_ptrIiEEEENSB_INSC_IjEEEESE_iNS9_4plusIvEENS9_8equal_toIvEEiEE10hipError_tPvRmT2_T3_T4_T5_mT6_T7_P12ihipStream_tbENKUlT_T0_E_clISt17integral_constantIbLb0EES11_EEDaSW_SX_EUlSW_E_NS1_11comp_targetILNS1_3genE2ELNS1_11target_archE906ELNS1_3gpuE6ELNS1_3repE0EEENS1_30default_config_static_selectorELNS0_4arch9wavefront6targetE1EEEvT1_: ; @_ZN7rocprim17ROCPRIM_400000_NS6detail17trampoline_kernelINS0_14default_configENS1_27scan_by_key_config_selectorIiiEEZZNS1_16scan_by_key_implILNS1_25lookback_scan_determinismE0ELb1ES3_N6thrust23THRUST_200600_302600_NS6detail15normal_iteratorINS9_10device_ptrIiEEEENSB_INSC_IjEEEESE_iNS9_4plusIvEENS9_8equal_toIvEEiEE10hipError_tPvRmT2_T3_T4_T5_mT6_T7_P12ihipStream_tbENKUlT_T0_E_clISt17integral_constantIbLb0EES11_EEDaSW_SX_EUlSW_E_NS1_11comp_targetILNS1_3genE2ELNS1_11target_archE906ELNS1_3gpuE6ELNS1_3repE0EEENS1_30default_config_static_selectorELNS0_4arch9wavefront6targetE1EEEvT1_
; %bb.0:
	.section	.rodata,"a",@progbits
	.p2align	6, 0x0
	.amdhsa_kernel _ZN7rocprim17ROCPRIM_400000_NS6detail17trampoline_kernelINS0_14default_configENS1_27scan_by_key_config_selectorIiiEEZZNS1_16scan_by_key_implILNS1_25lookback_scan_determinismE0ELb1ES3_N6thrust23THRUST_200600_302600_NS6detail15normal_iteratorINS9_10device_ptrIiEEEENSB_INSC_IjEEEESE_iNS9_4plusIvEENS9_8equal_toIvEEiEE10hipError_tPvRmT2_T3_T4_T5_mT6_T7_P12ihipStream_tbENKUlT_T0_E_clISt17integral_constantIbLb0EES11_EEDaSW_SX_EUlSW_E_NS1_11comp_targetILNS1_3genE2ELNS1_11target_archE906ELNS1_3gpuE6ELNS1_3repE0EEENS1_30default_config_static_selectorELNS0_4arch9wavefront6targetE1EEEvT1_
		.amdhsa_group_segment_fixed_size 0
		.amdhsa_private_segment_fixed_size 0
		.amdhsa_kernarg_size 112
		.amdhsa_user_sgpr_count 6
		.amdhsa_user_sgpr_private_segment_buffer 1
		.amdhsa_user_sgpr_dispatch_ptr 0
		.amdhsa_user_sgpr_queue_ptr 0
		.amdhsa_user_sgpr_kernarg_segment_ptr 1
		.amdhsa_user_sgpr_dispatch_id 0
		.amdhsa_user_sgpr_flat_scratch_init 0
		.amdhsa_user_sgpr_kernarg_preload_length 0
		.amdhsa_user_sgpr_kernarg_preload_offset 0
		.amdhsa_user_sgpr_private_segment_size 0
		.amdhsa_uses_dynamic_stack 0
		.amdhsa_system_sgpr_private_segment_wavefront_offset 0
		.amdhsa_system_sgpr_workgroup_id_x 1
		.amdhsa_system_sgpr_workgroup_id_y 0
		.amdhsa_system_sgpr_workgroup_id_z 0
		.amdhsa_system_sgpr_workgroup_info 0
		.amdhsa_system_vgpr_workitem_id 0
		.amdhsa_next_free_vgpr 1
		.amdhsa_next_free_sgpr 0
		.amdhsa_accum_offset 4
		.amdhsa_reserve_vcc 0
		.amdhsa_reserve_flat_scratch 0
		.amdhsa_float_round_mode_32 0
		.amdhsa_float_round_mode_16_64 0
		.amdhsa_float_denorm_mode_32 3
		.amdhsa_float_denorm_mode_16_64 3
		.amdhsa_dx10_clamp 1
		.amdhsa_ieee_mode 1
		.amdhsa_fp16_overflow 0
		.amdhsa_tg_split 0
		.amdhsa_exception_fp_ieee_invalid_op 0
		.amdhsa_exception_fp_denorm_src 0
		.amdhsa_exception_fp_ieee_div_zero 0
		.amdhsa_exception_fp_ieee_overflow 0
		.amdhsa_exception_fp_ieee_underflow 0
		.amdhsa_exception_fp_ieee_inexact 0
		.amdhsa_exception_int_div_zero 0
	.end_amdhsa_kernel
	.section	.text._ZN7rocprim17ROCPRIM_400000_NS6detail17trampoline_kernelINS0_14default_configENS1_27scan_by_key_config_selectorIiiEEZZNS1_16scan_by_key_implILNS1_25lookback_scan_determinismE0ELb1ES3_N6thrust23THRUST_200600_302600_NS6detail15normal_iteratorINS9_10device_ptrIiEEEENSB_INSC_IjEEEESE_iNS9_4plusIvEENS9_8equal_toIvEEiEE10hipError_tPvRmT2_T3_T4_T5_mT6_T7_P12ihipStream_tbENKUlT_T0_E_clISt17integral_constantIbLb0EES11_EEDaSW_SX_EUlSW_E_NS1_11comp_targetILNS1_3genE2ELNS1_11target_archE906ELNS1_3gpuE6ELNS1_3repE0EEENS1_30default_config_static_selectorELNS0_4arch9wavefront6targetE1EEEvT1_,"axG",@progbits,_ZN7rocprim17ROCPRIM_400000_NS6detail17trampoline_kernelINS0_14default_configENS1_27scan_by_key_config_selectorIiiEEZZNS1_16scan_by_key_implILNS1_25lookback_scan_determinismE0ELb1ES3_N6thrust23THRUST_200600_302600_NS6detail15normal_iteratorINS9_10device_ptrIiEEEENSB_INSC_IjEEEESE_iNS9_4plusIvEENS9_8equal_toIvEEiEE10hipError_tPvRmT2_T3_T4_T5_mT6_T7_P12ihipStream_tbENKUlT_T0_E_clISt17integral_constantIbLb0EES11_EEDaSW_SX_EUlSW_E_NS1_11comp_targetILNS1_3genE2ELNS1_11target_archE906ELNS1_3gpuE6ELNS1_3repE0EEENS1_30default_config_static_selectorELNS0_4arch9wavefront6targetE1EEEvT1_,comdat
.Lfunc_end1757:
	.size	_ZN7rocprim17ROCPRIM_400000_NS6detail17trampoline_kernelINS0_14default_configENS1_27scan_by_key_config_selectorIiiEEZZNS1_16scan_by_key_implILNS1_25lookback_scan_determinismE0ELb1ES3_N6thrust23THRUST_200600_302600_NS6detail15normal_iteratorINS9_10device_ptrIiEEEENSB_INSC_IjEEEESE_iNS9_4plusIvEENS9_8equal_toIvEEiEE10hipError_tPvRmT2_T3_T4_T5_mT6_T7_P12ihipStream_tbENKUlT_T0_E_clISt17integral_constantIbLb0EES11_EEDaSW_SX_EUlSW_E_NS1_11comp_targetILNS1_3genE2ELNS1_11target_archE906ELNS1_3gpuE6ELNS1_3repE0EEENS1_30default_config_static_selectorELNS0_4arch9wavefront6targetE1EEEvT1_, .Lfunc_end1757-_ZN7rocprim17ROCPRIM_400000_NS6detail17trampoline_kernelINS0_14default_configENS1_27scan_by_key_config_selectorIiiEEZZNS1_16scan_by_key_implILNS1_25lookback_scan_determinismE0ELb1ES3_N6thrust23THRUST_200600_302600_NS6detail15normal_iteratorINS9_10device_ptrIiEEEENSB_INSC_IjEEEESE_iNS9_4plusIvEENS9_8equal_toIvEEiEE10hipError_tPvRmT2_T3_T4_T5_mT6_T7_P12ihipStream_tbENKUlT_T0_E_clISt17integral_constantIbLb0EES11_EEDaSW_SX_EUlSW_E_NS1_11comp_targetILNS1_3genE2ELNS1_11target_archE906ELNS1_3gpuE6ELNS1_3repE0EEENS1_30default_config_static_selectorELNS0_4arch9wavefront6targetE1EEEvT1_
                                        ; -- End function
	.section	.AMDGPU.csdata,"",@progbits
; Kernel info:
; codeLenInByte = 0
; NumSgprs: 4
; NumVgprs: 0
; NumAgprs: 0
; TotalNumVgprs: 0
; ScratchSize: 0
; MemoryBound: 0
; FloatMode: 240
; IeeeMode: 1
; LDSByteSize: 0 bytes/workgroup (compile time only)
; SGPRBlocks: 0
; VGPRBlocks: 0
; NumSGPRsForWavesPerEU: 4
; NumVGPRsForWavesPerEU: 1
; AccumOffset: 4
; Occupancy: 8
; WaveLimiterHint : 0
; COMPUTE_PGM_RSRC2:SCRATCH_EN: 0
; COMPUTE_PGM_RSRC2:USER_SGPR: 6
; COMPUTE_PGM_RSRC2:TRAP_HANDLER: 0
; COMPUTE_PGM_RSRC2:TGID_X_EN: 1
; COMPUTE_PGM_RSRC2:TGID_Y_EN: 0
; COMPUTE_PGM_RSRC2:TGID_Z_EN: 0
; COMPUTE_PGM_RSRC2:TIDIG_COMP_CNT: 0
; COMPUTE_PGM_RSRC3_GFX90A:ACCUM_OFFSET: 0
; COMPUTE_PGM_RSRC3_GFX90A:TG_SPLIT: 0
	.section	.text._ZN7rocprim17ROCPRIM_400000_NS6detail17trampoline_kernelINS0_14default_configENS1_27scan_by_key_config_selectorIiiEEZZNS1_16scan_by_key_implILNS1_25lookback_scan_determinismE0ELb1ES3_N6thrust23THRUST_200600_302600_NS6detail15normal_iteratorINS9_10device_ptrIiEEEENSB_INSC_IjEEEESE_iNS9_4plusIvEENS9_8equal_toIvEEiEE10hipError_tPvRmT2_T3_T4_T5_mT6_T7_P12ihipStream_tbENKUlT_T0_E_clISt17integral_constantIbLb0EES11_EEDaSW_SX_EUlSW_E_NS1_11comp_targetILNS1_3genE10ELNS1_11target_archE1200ELNS1_3gpuE4ELNS1_3repE0EEENS1_30default_config_static_selectorELNS0_4arch9wavefront6targetE1EEEvT1_,"axG",@progbits,_ZN7rocprim17ROCPRIM_400000_NS6detail17trampoline_kernelINS0_14default_configENS1_27scan_by_key_config_selectorIiiEEZZNS1_16scan_by_key_implILNS1_25lookback_scan_determinismE0ELb1ES3_N6thrust23THRUST_200600_302600_NS6detail15normal_iteratorINS9_10device_ptrIiEEEENSB_INSC_IjEEEESE_iNS9_4plusIvEENS9_8equal_toIvEEiEE10hipError_tPvRmT2_T3_T4_T5_mT6_T7_P12ihipStream_tbENKUlT_T0_E_clISt17integral_constantIbLb0EES11_EEDaSW_SX_EUlSW_E_NS1_11comp_targetILNS1_3genE10ELNS1_11target_archE1200ELNS1_3gpuE4ELNS1_3repE0EEENS1_30default_config_static_selectorELNS0_4arch9wavefront6targetE1EEEvT1_,comdat
	.protected	_ZN7rocprim17ROCPRIM_400000_NS6detail17trampoline_kernelINS0_14default_configENS1_27scan_by_key_config_selectorIiiEEZZNS1_16scan_by_key_implILNS1_25lookback_scan_determinismE0ELb1ES3_N6thrust23THRUST_200600_302600_NS6detail15normal_iteratorINS9_10device_ptrIiEEEENSB_INSC_IjEEEESE_iNS9_4plusIvEENS9_8equal_toIvEEiEE10hipError_tPvRmT2_T3_T4_T5_mT6_T7_P12ihipStream_tbENKUlT_T0_E_clISt17integral_constantIbLb0EES11_EEDaSW_SX_EUlSW_E_NS1_11comp_targetILNS1_3genE10ELNS1_11target_archE1200ELNS1_3gpuE4ELNS1_3repE0EEENS1_30default_config_static_selectorELNS0_4arch9wavefront6targetE1EEEvT1_ ; -- Begin function _ZN7rocprim17ROCPRIM_400000_NS6detail17trampoline_kernelINS0_14default_configENS1_27scan_by_key_config_selectorIiiEEZZNS1_16scan_by_key_implILNS1_25lookback_scan_determinismE0ELb1ES3_N6thrust23THRUST_200600_302600_NS6detail15normal_iteratorINS9_10device_ptrIiEEEENSB_INSC_IjEEEESE_iNS9_4plusIvEENS9_8equal_toIvEEiEE10hipError_tPvRmT2_T3_T4_T5_mT6_T7_P12ihipStream_tbENKUlT_T0_E_clISt17integral_constantIbLb0EES11_EEDaSW_SX_EUlSW_E_NS1_11comp_targetILNS1_3genE10ELNS1_11target_archE1200ELNS1_3gpuE4ELNS1_3repE0EEENS1_30default_config_static_selectorELNS0_4arch9wavefront6targetE1EEEvT1_
	.globl	_ZN7rocprim17ROCPRIM_400000_NS6detail17trampoline_kernelINS0_14default_configENS1_27scan_by_key_config_selectorIiiEEZZNS1_16scan_by_key_implILNS1_25lookback_scan_determinismE0ELb1ES3_N6thrust23THRUST_200600_302600_NS6detail15normal_iteratorINS9_10device_ptrIiEEEENSB_INSC_IjEEEESE_iNS9_4plusIvEENS9_8equal_toIvEEiEE10hipError_tPvRmT2_T3_T4_T5_mT6_T7_P12ihipStream_tbENKUlT_T0_E_clISt17integral_constantIbLb0EES11_EEDaSW_SX_EUlSW_E_NS1_11comp_targetILNS1_3genE10ELNS1_11target_archE1200ELNS1_3gpuE4ELNS1_3repE0EEENS1_30default_config_static_selectorELNS0_4arch9wavefront6targetE1EEEvT1_
	.p2align	8
	.type	_ZN7rocprim17ROCPRIM_400000_NS6detail17trampoline_kernelINS0_14default_configENS1_27scan_by_key_config_selectorIiiEEZZNS1_16scan_by_key_implILNS1_25lookback_scan_determinismE0ELb1ES3_N6thrust23THRUST_200600_302600_NS6detail15normal_iteratorINS9_10device_ptrIiEEEENSB_INSC_IjEEEESE_iNS9_4plusIvEENS9_8equal_toIvEEiEE10hipError_tPvRmT2_T3_T4_T5_mT6_T7_P12ihipStream_tbENKUlT_T0_E_clISt17integral_constantIbLb0EES11_EEDaSW_SX_EUlSW_E_NS1_11comp_targetILNS1_3genE10ELNS1_11target_archE1200ELNS1_3gpuE4ELNS1_3repE0EEENS1_30default_config_static_selectorELNS0_4arch9wavefront6targetE1EEEvT1_,@function
_ZN7rocprim17ROCPRIM_400000_NS6detail17trampoline_kernelINS0_14default_configENS1_27scan_by_key_config_selectorIiiEEZZNS1_16scan_by_key_implILNS1_25lookback_scan_determinismE0ELb1ES3_N6thrust23THRUST_200600_302600_NS6detail15normal_iteratorINS9_10device_ptrIiEEEENSB_INSC_IjEEEESE_iNS9_4plusIvEENS9_8equal_toIvEEiEE10hipError_tPvRmT2_T3_T4_T5_mT6_T7_P12ihipStream_tbENKUlT_T0_E_clISt17integral_constantIbLb0EES11_EEDaSW_SX_EUlSW_E_NS1_11comp_targetILNS1_3genE10ELNS1_11target_archE1200ELNS1_3gpuE4ELNS1_3repE0EEENS1_30default_config_static_selectorELNS0_4arch9wavefront6targetE1EEEvT1_: ; @_ZN7rocprim17ROCPRIM_400000_NS6detail17trampoline_kernelINS0_14default_configENS1_27scan_by_key_config_selectorIiiEEZZNS1_16scan_by_key_implILNS1_25lookback_scan_determinismE0ELb1ES3_N6thrust23THRUST_200600_302600_NS6detail15normal_iteratorINS9_10device_ptrIiEEEENSB_INSC_IjEEEESE_iNS9_4plusIvEENS9_8equal_toIvEEiEE10hipError_tPvRmT2_T3_T4_T5_mT6_T7_P12ihipStream_tbENKUlT_T0_E_clISt17integral_constantIbLb0EES11_EEDaSW_SX_EUlSW_E_NS1_11comp_targetILNS1_3genE10ELNS1_11target_archE1200ELNS1_3gpuE4ELNS1_3repE0EEENS1_30default_config_static_selectorELNS0_4arch9wavefront6targetE1EEEvT1_
; %bb.0:
	.section	.rodata,"a",@progbits
	.p2align	6, 0x0
	.amdhsa_kernel _ZN7rocprim17ROCPRIM_400000_NS6detail17trampoline_kernelINS0_14default_configENS1_27scan_by_key_config_selectorIiiEEZZNS1_16scan_by_key_implILNS1_25lookback_scan_determinismE0ELb1ES3_N6thrust23THRUST_200600_302600_NS6detail15normal_iteratorINS9_10device_ptrIiEEEENSB_INSC_IjEEEESE_iNS9_4plusIvEENS9_8equal_toIvEEiEE10hipError_tPvRmT2_T3_T4_T5_mT6_T7_P12ihipStream_tbENKUlT_T0_E_clISt17integral_constantIbLb0EES11_EEDaSW_SX_EUlSW_E_NS1_11comp_targetILNS1_3genE10ELNS1_11target_archE1200ELNS1_3gpuE4ELNS1_3repE0EEENS1_30default_config_static_selectorELNS0_4arch9wavefront6targetE1EEEvT1_
		.amdhsa_group_segment_fixed_size 0
		.amdhsa_private_segment_fixed_size 0
		.amdhsa_kernarg_size 112
		.amdhsa_user_sgpr_count 6
		.amdhsa_user_sgpr_private_segment_buffer 1
		.amdhsa_user_sgpr_dispatch_ptr 0
		.amdhsa_user_sgpr_queue_ptr 0
		.amdhsa_user_sgpr_kernarg_segment_ptr 1
		.amdhsa_user_sgpr_dispatch_id 0
		.amdhsa_user_sgpr_flat_scratch_init 0
		.amdhsa_user_sgpr_kernarg_preload_length 0
		.amdhsa_user_sgpr_kernarg_preload_offset 0
		.amdhsa_user_sgpr_private_segment_size 0
		.amdhsa_uses_dynamic_stack 0
		.amdhsa_system_sgpr_private_segment_wavefront_offset 0
		.amdhsa_system_sgpr_workgroup_id_x 1
		.amdhsa_system_sgpr_workgroup_id_y 0
		.amdhsa_system_sgpr_workgroup_id_z 0
		.amdhsa_system_sgpr_workgroup_info 0
		.amdhsa_system_vgpr_workitem_id 0
		.amdhsa_next_free_vgpr 1
		.amdhsa_next_free_sgpr 0
		.amdhsa_accum_offset 4
		.amdhsa_reserve_vcc 0
		.amdhsa_reserve_flat_scratch 0
		.amdhsa_float_round_mode_32 0
		.amdhsa_float_round_mode_16_64 0
		.amdhsa_float_denorm_mode_32 3
		.amdhsa_float_denorm_mode_16_64 3
		.amdhsa_dx10_clamp 1
		.amdhsa_ieee_mode 1
		.amdhsa_fp16_overflow 0
		.amdhsa_tg_split 0
		.amdhsa_exception_fp_ieee_invalid_op 0
		.amdhsa_exception_fp_denorm_src 0
		.amdhsa_exception_fp_ieee_div_zero 0
		.amdhsa_exception_fp_ieee_overflow 0
		.amdhsa_exception_fp_ieee_underflow 0
		.amdhsa_exception_fp_ieee_inexact 0
		.amdhsa_exception_int_div_zero 0
	.end_amdhsa_kernel
	.section	.text._ZN7rocprim17ROCPRIM_400000_NS6detail17trampoline_kernelINS0_14default_configENS1_27scan_by_key_config_selectorIiiEEZZNS1_16scan_by_key_implILNS1_25lookback_scan_determinismE0ELb1ES3_N6thrust23THRUST_200600_302600_NS6detail15normal_iteratorINS9_10device_ptrIiEEEENSB_INSC_IjEEEESE_iNS9_4plusIvEENS9_8equal_toIvEEiEE10hipError_tPvRmT2_T3_T4_T5_mT6_T7_P12ihipStream_tbENKUlT_T0_E_clISt17integral_constantIbLb0EES11_EEDaSW_SX_EUlSW_E_NS1_11comp_targetILNS1_3genE10ELNS1_11target_archE1200ELNS1_3gpuE4ELNS1_3repE0EEENS1_30default_config_static_selectorELNS0_4arch9wavefront6targetE1EEEvT1_,"axG",@progbits,_ZN7rocprim17ROCPRIM_400000_NS6detail17trampoline_kernelINS0_14default_configENS1_27scan_by_key_config_selectorIiiEEZZNS1_16scan_by_key_implILNS1_25lookback_scan_determinismE0ELb1ES3_N6thrust23THRUST_200600_302600_NS6detail15normal_iteratorINS9_10device_ptrIiEEEENSB_INSC_IjEEEESE_iNS9_4plusIvEENS9_8equal_toIvEEiEE10hipError_tPvRmT2_T3_T4_T5_mT6_T7_P12ihipStream_tbENKUlT_T0_E_clISt17integral_constantIbLb0EES11_EEDaSW_SX_EUlSW_E_NS1_11comp_targetILNS1_3genE10ELNS1_11target_archE1200ELNS1_3gpuE4ELNS1_3repE0EEENS1_30default_config_static_selectorELNS0_4arch9wavefront6targetE1EEEvT1_,comdat
.Lfunc_end1758:
	.size	_ZN7rocprim17ROCPRIM_400000_NS6detail17trampoline_kernelINS0_14default_configENS1_27scan_by_key_config_selectorIiiEEZZNS1_16scan_by_key_implILNS1_25lookback_scan_determinismE0ELb1ES3_N6thrust23THRUST_200600_302600_NS6detail15normal_iteratorINS9_10device_ptrIiEEEENSB_INSC_IjEEEESE_iNS9_4plusIvEENS9_8equal_toIvEEiEE10hipError_tPvRmT2_T3_T4_T5_mT6_T7_P12ihipStream_tbENKUlT_T0_E_clISt17integral_constantIbLb0EES11_EEDaSW_SX_EUlSW_E_NS1_11comp_targetILNS1_3genE10ELNS1_11target_archE1200ELNS1_3gpuE4ELNS1_3repE0EEENS1_30default_config_static_selectorELNS0_4arch9wavefront6targetE1EEEvT1_, .Lfunc_end1758-_ZN7rocprim17ROCPRIM_400000_NS6detail17trampoline_kernelINS0_14default_configENS1_27scan_by_key_config_selectorIiiEEZZNS1_16scan_by_key_implILNS1_25lookback_scan_determinismE0ELb1ES3_N6thrust23THRUST_200600_302600_NS6detail15normal_iteratorINS9_10device_ptrIiEEEENSB_INSC_IjEEEESE_iNS9_4plusIvEENS9_8equal_toIvEEiEE10hipError_tPvRmT2_T3_T4_T5_mT6_T7_P12ihipStream_tbENKUlT_T0_E_clISt17integral_constantIbLb0EES11_EEDaSW_SX_EUlSW_E_NS1_11comp_targetILNS1_3genE10ELNS1_11target_archE1200ELNS1_3gpuE4ELNS1_3repE0EEENS1_30default_config_static_selectorELNS0_4arch9wavefront6targetE1EEEvT1_
                                        ; -- End function
	.section	.AMDGPU.csdata,"",@progbits
; Kernel info:
; codeLenInByte = 0
; NumSgprs: 4
; NumVgprs: 0
; NumAgprs: 0
; TotalNumVgprs: 0
; ScratchSize: 0
; MemoryBound: 0
; FloatMode: 240
; IeeeMode: 1
; LDSByteSize: 0 bytes/workgroup (compile time only)
; SGPRBlocks: 0
; VGPRBlocks: 0
; NumSGPRsForWavesPerEU: 4
; NumVGPRsForWavesPerEU: 1
; AccumOffset: 4
; Occupancy: 8
; WaveLimiterHint : 0
; COMPUTE_PGM_RSRC2:SCRATCH_EN: 0
; COMPUTE_PGM_RSRC2:USER_SGPR: 6
; COMPUTE_PGM_RSRC2:TRAP_HANDLER: 0
; COMPUTE_PGM_RSRC2:TGID_X_EN: 1
; COMPUTE_PGM_RSRC2:TGID_Y_EN: 0
; COMPUTE_PGM_RSRC2:TGID_Z_EN: 0
; COMPUTE_PGM_RSRC2:TIDIG_COMP_CNT: 0
; COMPUTE_PGM_RSRC3_GFX90A:ACCUM_OFFSET: 0
; COMPUTE_PGM_RSRC3_GFX90A:TG_SPLIT: 0
	.section	.text._ZN7rocprim17ROCPRIM_400000_NS6detail17trampoline_kernelINS0_14default_configENS1_27scan_by_key_config_selectorIiiEEZZNS1_16scan_by_key_implILNS1_25lookback_scan_determinismE0ELb1ES3_N6thrust23THRUST_200600_302600_NS6detail15normal_iteratorINS9_10device_ptrIiEEEENSB_INSC_IjEEEESE_iNS9_4plusIvEENS9_8equal_toIvEEiEE10hipError_tPvRmT2_T3_T4_T5_mT6_T7_P12ihipStream_tbENKUlT_T0_E_clISt17integral_constantIbLb0EES11_EEDaSW_SX_EUlSW_E_NS1_11comp_targetILNS1_3genE9ELNS1_11target_archE1100ELNS1_3gpuE3ELNS1_3repE0EEENS1_30default_config_static_selectorELNS0_4arch9wavefront6targetE1EEEvT1_,"axG",@progbits,_ZN7rocprim17ROCPRIM_400000_NS6detail17trampoline_kernelINS0_14default_configENS1_27scan_by_key_config_selectorIiiEEZZNS1_16scan_by_key_implILNS1_25lookback_scan_determinismE0ELb1ES3_N6thrust23THRUST_200600_302600_NS6detail15normal_iteratorINS9_10device_ptrIiEEEENSB_INSC_IjEEEESE_iNS9_4plusIvEENS9_8equal_toIvEEiEE10hipError_tPvRmT2_T3_T4_T5_mT6_T7_P12ihipStream_tbENKUlT_T0_E_clISt17integral_constantIbLb0EES11_EEDaSW_SX_EUlSW_E_NS1_11comp_targetILNS1_3genE9ELNS1_11target_archE1100ELNS1_3gpuE3ELNS1_3repE0EEENS1_30default_config_static_selectorELNS0_4arch9wavefront6targetE1EEEvT1_,comdat
	.protected	_ZN7rocprim17ROCPRIM_400000_NS6detail17trampoline_kernelINS0_14default_configENS1_27scan_by_key_config_selectorIiiEEZZNS1_16scan_by_key_implILNS1_25lookback_scan_determinismE0ELb1ES3_N6thrust23THRUST_200600_302600_NS6detail15normal_iteratorINS9_10device_ptrIiEEEENSB_INSC_IjEEEESE_iNS9_4plusIvEENS9_8equal_toIvEEiEE10hipError_tPvRmT2_T3_T4_T5_mT6_T7_P12ihipStream_tbENKUlT_T0_E_clISt17integral_constantIbLb0EES11_EEDaSW_SX_EUlSW_E_NS1_11comp_targetILNS1_3genE9ELNS1_11target_archE1100ELNS1_3gpuE3ELNS1_3repE0EEENS1_30default_config_static_selectorELNS0_4arch9wavefront6targetE1EEEvT1_ ; -- Begin function _ZN7rocprim17ROCPRIM_400000_NS6detail17trampoline_kernelINS0_14default_configENS1_27scan_by_key_config_selectorIiiEEZZNS1_16scan_by_key_implILNS1_25lookback_scan_determinismE0ELb1ES3_N6thrust23THRUST_200600_302600_NS6detail15normal_iteratorINS9_10device_ptrIiEEEENSB_INSC_IjEEEESE_iNS9_4plusIvEENS9_8equal_toIvEEiEE10hipError_tPvRmT2_T3_T4_T5_mT6_T7_P12ihipStream_tbENKUlT_T0_E_clISt17integral_constantIbLb0EES11_EEDaSW_SX_EUlSW_E_NS1_11comp_targetILNS1_3genE9ELNS1_11target_archE1100ELNS1_3gpuE3ELNS1_3repE0EEENS1_30default_config_static_selectorELNS0_4arch9wavefront6targetE1EEEvT1_
	.globl	_ZN7rocprim17ROCPRIM_400000_NS6detail17trampoline_kernelINS0_14default_configENS1_27scan_by_key_config_selectorIiiEEZZNS1_16scan_by_key_implILNS1_25lookback_scan_determinismE0ELb1ES3_N6thrust23THRUST_200600_302600_NS6detail15normal_iteratorINS9_10device_ptrIiEEEENSB_INSC_IjEEEESE_iNS9_4plusIvEENS9_8equal_toIvEEiEE10hipError_tPvRmT2_T3_T4_T5_mT6_T7_P12ihipStream_tbENKUlT_T0_E_clISt17integral_constantIbLb0EES11_EEDaSW_SX_EUlSW_E_NS1_11comp_targetILNS1_3genE9ELNS1_11target_archE1100ELNS1_3gpuE3ELNS1_3repE0EEENS1_30default_config_static_selectorELNS0_4arch9wavefront6targetE1EEEvT1_
	.p2align	8
	.type	_ZN7rocprim17ROCPRIM_400000_NS6detail17trampoline_kernelINS0_14default_configENS1_27scan_by_key_config_selectorIiiEEZZNS1_16scan_by_key_implILNS1_25lookback_scan_determinismE0ELb1ES3_N6thrust23THRUST_200600_302600_NS6detail15normal_iteratorINS9_10device_ptrIiEEEENSB_INSC_IjEEEESE_iNS9_4plusIvEENS9_8equal_toIvEEiEE10hipError_tPvRmT2_T3_T4_T5_mT6_T7_P12ihipStream_tbENKUlT_T0_E_clISt17integral_constantIbLb0EES11_EEDaSW_SX_EUlSW_E_NS1_11comp_targetILNS1_3genE9ELNS1_11target_archE1100ELNS1_3gpuE3ELNS1_3repE0EEENS1_30default_config_static_selectorELNS0_4arch9wavefront6targetE1EEEvT1_,@function
_ZN7rocprim17ROCPRIM_400000_NS6detail17trampoline_kernelINS0_14default_configENS1_27scan_by_key_config_selectorIiiEEZZNS1_16scan_by_key_implILNS1_25lookback_scan_determinismE0ELb1ES3_N6thrust23THRUST_200600_302600_NS6detail15normal_iteratorINS9_10device_ptrIiEEEENSB_INSC_IjEEEESE_iNS9_4plusIvEENS9_8equal_toIvEEiEE10hipError_tPvRmT2_T3_T4_T5_mT6_T7_P12ihipStream_tbENKUlT_T0_E_clISt17integral_constantIbLb0EES11_EEDaSW_SX_EUlSW_E_NS1_11comp_targetILNS1_3genE9ELNS1_11target_archE1100ELNS1_3gpuE3ELNS1_3repE0EEENS1_30default_config_static_selectorELNS0_4arch9wavefront6targetE1EEEvT1_: ; @_ZN7rocprim17ROCPRIM_400000_NS6detail17trampoline_kernelINS0_14default_configENS1_27scan_by_key_config_selectorIiiEEZZNS1_16scan_by_key_implILNS1_25lookback_scan_determinismE0ELb1ES3_N6thrust23THRUST_200600_302600_NS6detail15normal_iteratorINS9_10device_ptrIiEEEENSB_INSC_IjEEEESE_iNS9_4plusIvEENS9_8equal_toIvEEiEE10hipError_tPvRmT2_T3_T4_T5_mT6_T7_P12ihipStream_tbENKUlT_T0_E_clISt17integral_constantIbLb0EES11_EEDaSW_SX_EUlSW_E_NS1_11comp_targetILNS1_3genE9ELNS1_11target_archE1100ELNS1_3gpuE3ELNS1_3repE0EEENS1_30default_config_static_selectorELNS0_4arch9wavefront6targetE1EEEvT1_
; %bb.0:
	.section	.rodata,"a",@progbits
	.p2align	6, 0x0
	.amdhsa_kernel _ZN7rocprim17ROCPRIM_400000_NS6detail17trampoline_kernelINS0_14default_configENS1_27scan_by_key_config_selectorIiiEEZZNS1_16scan_by_key_implILNS1_25lookback_scan_determinismE0ELb1ES3_N6thrust23THRUST_200600_302600_NS6detail15normal_iteratorINS9_10device_ptrIiEEEENSB_INSC_IjEEEESE_iNS9_4plusIvEENS9_8equal_toIvEEiEE10hipError_tPvRmT2_T3_T4_T5_mT6_T7_P12ihipStream_tbENKUlT_T0_E_clISt17integral_constantIbLb0EES11_EEDaSW_SX_EUlSW_E_NS1_11comp_targetILNS1_3genE9ELNS1_11target_archE1100ELNS1_3gpuE3ELNS1_3repE0EEENS1_30default_config_static_selectorELNS0_4arch9wavefront6targetE1EEEvT1_
		.amdhsa_group_segment_fixed_size 0
		.amdhsa_private_segment_fixed_size 0
		.amdhsa_kernarg_size 112
		.amdhsa_user_sgpr_count 6
		.amdhsa_user_sgpr_private_segment_buffer 1
		.amdhsa_user_sgpr_dispatch_ptr 0
		.amdhsa_user_sgpr_queue_ptr 0
		.amdhsa_user_sgpr_kernarg_segment_ptr 1
		.amdhsa_user_sgpr_dispatch_id 0
		.amdhsa_user_sgpr_flat_scratch_init 0
		.amdhsa_user_sgpr_kernarg_preload_length 0
		.amdhsa_user_sgpr_kernarg_preload_offset 0
		.amdhsa_user_sgpr_private_segment_size 0
		.amdhsa_uses_dynamic_stack 0
		.amdhsa_system_sgpr_private_segment_wavefront_offset 0
		.amdhsa_system_sgpr_workgroup_id_x 1
		.amdhsa_system_sgpr_workgroup_id_y 0
		.amdhsa_system_sgpr_workgroup_id_z 0
		.amdhsa_system_sgpr_workgroup_info 0
		.amdhsa_system_vgpr_workitem_id 0
		.amdhsa_next_free_vgpr 1
		.amdhsa_next_free_sgpr 0
		.amdhsa_accum_offset 4
		.amdhsa_reserve_vcc 0
		.amdhsa_reserve_flat_scratch 0
		.amdhsa_float_round_mode_32 0
		.amdhsa_float_round_mode_16_64 0
		.amdhsa_float_denorm_mode_32 3
		.amdhsa_float_denorm_mode_16_64 3
		.amdhsa_dx10_clamp 1
		.amdhsa_ieee_mode 1
		.amdhsa_fp16_overflow 0
		.amdhsa_tg_split 0
		.amdhsa_exception_fp_ieee_invalid_op 0
		.amdhsa_exception_fp_denorm_src 0
		.amdhsa_exception_fp_ieee_div_zero 0
		.amdhsa_exception_fp_ieee_overflow 0
		.amdhsa_exception_fp_ieee_underflow 0
		.amdhsa_exception_fp_ieee_inexact 0
		.amdhsa_exception_int_div_zero 0
	.end_amdhsa_kernel
	.section	.text._ZN7rocprim17ROCPRIM_400000_NS6detail17trampoline_kernelINS0_14default_configENS1_27scan_by_key_config_selectorIiiEEZZNS1_16scan_by_key_implILNS1_25lookback_scan_determinismE0ELb1ES3_N6thrust23THRUST_200600_302600_NS6detail15normal_iteratorINS9_10device_ptrIiEEEENSB_INSC_IjEEEESE_iNS9_4plusIvEENS9_8equal_toIvEEiEE10hipError_tPvRmT2_T3_T4_T5_mT6_T7_P12ihipStream_tbENKUlT_T0_E_clISt17integral_constantIbLb0EES11_EEDaSW_SX_EUlSW_E_NS1_11comp_targetILNS1_3genE9ELNS1_11target_archE1100ELNS1_3gpuE3ELNS1_3repE0EEENS1_30default_config_static_selectorELNS0_4arch9wavefront6targetE1EEEvT1_,"axG",@progbits,_ZN7rocprim17ROCPRIM_400000_NS6detail17trampoline_kernelINS0_14default_configENS1_27scan_by_key_config_selectorIiiEEZZNS1_16scan_by_key_implILNS1_25lookback_scan_determinismE0ELb1ES3_N6thrust23THRUST_200600_302600_NS6detail15normal_iteratorINS9_10device_ptrIiEEEENSB_INSC_IjEEEESE_iNS9_4plusIvEENS9_8equal_toIvEEiEE10hipError_tPvRmT2_T3_T4_T5_mT6_T7_P12ihipStream_tbENKUlT_T0_E_clISt17integral_constantIbLb0EES11_EEDaSW_SX_EUlSW_E_NS1_11comp_targetILNS1_3genE9ELNS1_11target_archE1100ELNS1_3gpuE3ELNS1_3repE0EEENS1_30default_config_static_selectorELNS0_4arch9wavefront6targetE1EEEvT1_,comdat
.Lfunc_end1759:
	.size	_ZN7rocprim17ROCPRIM_400000_NS6detail17trampoline_kernelINS0_14default_configENS1_27scan_by_key_config_selectorIiiEEZZNS1_16scan_by_key_implILNS1_25lookback_scan_determinismE0ELb1ES3_N6thrust23THRUST_200600_302600_NS6detail15normal_iteratorINS9_10device_ptrIiEEEENSB_INSC_IjEEEESE_iNS9_4plusIvEENS9_8equal_toIvEEiEE10hipError_tPvRmT2_T3_T4_T5_mT6_T7_P12ihipStream_tbENKUlT_T0_E_clISt17integral_constantIbLb0EES11_EEDaSW_SX_EUlSW_E_NS1_11comp_targetILNS1_3genE9ELNS1_11target_archE1100ELNS1_3gpuE3ELNS1_3repE0EEENS1_30default_config_static_selectorELNS0_4arch9wavefront6targetE1EEEvT1_, .Lfunc_end1759-_ZN7rocprim17ROCPRIM_400000_NS6detail17trampoline_kernelINS0_14default_configENS1_27scan_by_key_config_selectorIiiEEZZNS1_16scan_by_key_implILNS1_25lookback_scan_determinismE0ELb1ES3_N6thrust23THRUST_200600_302600_NS6detail15normal_iteratorINS9_10device_ptrIiEEEENSB_INSC_IjEEEESE_iNS9_4plusIvEENS9_8equal_toIvEEiEE10hipError_tPvRmT2_T3_T4_T5_mT6_T7_P12ihipStream_tbENKUlT_T0_E_clISt17integral_constantIbLb0EES11_EEDaSW_SX_EUlSW_E_NS1_11comp_targetILNS1_3genE9ELNS1_11target_archE1100ELNS1_3gpuE3ELNS1_3repE0EEENS1_30default_config_static_selectorELNS0_4arch9wavefront6targetE1EEEvT1_
                                        ; -- End function
	.section	.AMDGPU.csdata,"",@progbits
; Kernel info:
; codeLenInByte = 0
; NumSgprs: 4
; NumVgprs: 0
; NumAgprs: 0
; TotalNumVgprs: 0
; ScratchSize: 0
; MemoryBound: 0
; FloatMode: 240
; IeeeMode: 1
; LDSByteSize: 0 bytes/workgroup (compile time only)
; SGPRBlocks: 0
; VGPRBlocks: 0
; NumSGPRsForWavesPerEU: 4
; NumVGPRsForWavesPerEU: 1
; AccumOffset: 4
; Occupancy: 8
; WaveLimiterHint : 0
; COMPUTE_PGM_RSRC2:SCRATCH_EN: 0
; COMPUTE_PGM_RSRC2:USER_SGPR: 6
; COMPUTE_PGM_RSRC2:TRAP_HANDLER: 0
; COMPUTE_PGM_RSRC2:TGID_X_EN: 1
; COMPUTE_PGM_RSRC2:TGID_Y_EN: 0
; COMPUTE_PGM_RSRC2:TGID_Z_EN: 0
; COMPUTE_PGM_RSRC2:TIDIG_COMP_CNT: 0
; COMPUTE_PGM_RSRC3_GFX90A:ACCUM_OFFSET: 0
; COMPUTE_PGM_RSRC3_GFX90A:TG_SPLIT: 0
	.section	.text._ZN7rocprim17ROCPRIM_400000_NS6detail17trampoline_kernelINS0_14default_configENS1_27scan_by_key_config_selectorIiiEEZZNS1_16scan_by_key_implILNS1_25lookback_scan_determinismE0ELb1ES3_N6thrust23THRUST_200600_302600_NS6detail15normal_iteratorINS9_10device_ptrIiEEEENSB_INSC_IjEEEESE_iNS9_4plusIvEENS9_8equal_toIvEEiEE10hipError_tPvRmT2_T3_T4_T5_mT6_T7_P12ihipStream_tbENKUlT_T0_E_clISt17integral_constantIbLb0EES11_EEDaSW_SX_EUlSW_E_NS1_11comp_targetILNS1_3genE8ELNS1_11target_archE1030ELNS1_3gpuE2ELNS1_3repE0EEENS1_30default_config_static_selectorELNS0_4arch9wavefront6targetE1EEEvT1_,"axG",@progbits,_ZN7rocprim17ROCPRIM_400000_NS6detail17trampoline_kernelINS0_14default_configENS1_27scan_by_key_config_selectorIiiEEZZNS1_16scan_by_key_implILNS1_25lookback_scan_determinismE0ELb1ES3_N6thrust23THRUST_200600_302600_NS6detail15normal_iteratorINS9_10device_ptrIiEEEENSB_INSC_IjEEEESE_iNS9_4plusIvEENS9_8equal_toIvEEiEE10hipError_tPvRmT2_T3_T4_T5_mT6_T7_P12ihipStream_tbENKUlT_T0_E_clISt17integral_constantIbLb0EES11_EEDaSW_SX_EUlSW_E_NS1_11comp_targetILNS1_3genE8ELNS1_11target_archE1030ELNS1_3gpuE2ELNS1_3repE0EEENS1_30default_config_static_selectorELNS0_4arch9wavefront6targetE1EEEvT1_,comdat
	.protected	_ZN7rocprim17ROCPRIM_400000_NS6detail17trampoline_kernelINS0_14default_configENS1_27scan_by_key_config_selectorIiiEEZZNS1_16scan_by_key_implILNS1_25lookback_scan_determinismE0ELb1ES3_N6thrust23THRUST_200600_302600_NS6detail15normal_iteratorINS9_10device_ptrIiEEEENSB_INSC_IjEEEESE_iNS9_4plusIvEENS9_8equal_toIvEEiEE10hipError_tPvRmT2_T3_T4_T5_mT6_T7_P12ihipStream_tbENKUlT_T0_E_clISt17integral_constantIbLb0EES11_EEDaSW_SX_EUlSW_E_NS1_11comp_targetILNS1_3genE8ELNS1_11target_archE1030ELNS1_3gpuE2ELNS1_3repE0EEENS1_30default_config_static_selectorELNS0_4arch9wavefront6targetE1EEEvT1_ ; -- Begin function _ZN7rocprim17ROCPRIM_400000_NS6detail17trampoline_kernelINS0_14default_configENS1_27scan_by_key_config_selectorIiiEEZZNS1_16scan_by_key_implILNS1_25lookback_scan_determinismE0ELb1ES3_N6thrust23THRUST_200600_302600_NS6detail15normal_iteratorINS9_10device_ptrIiEEEENSB_INSC_IjEEEESE_iNS9_4plusIvEENS9_8equal_toIvEEiEE10hipError_tPvRmT2_T3_T4_T5_mT6_T7_P12ihipStream_tbENKUlT_T0_E_clISt17integral_constantIbLb0EES11_EEDaSW_SX_EUlSW_E_NS1_11comp_targetILNS1_3genE8ELNS1_11target_archE1030ELNS1_3gpuE2ELNS1_3repE0EEENS1_30default_config_static_selectorELNS0_4arch9wavefront6targetE1EEEvT1_
	.globl	_ZN7rocprim17ROCPRIM_400000_NS6detail17trampoline_kernelINS0_14default_configENS1_27scan_by_key_config_selectorIiiEEZZNS1_16scan_by_key_implILNS1_25lookback_scan_determinismE0ELb1ES3_N6thrust23THRUST_200600_302600_NS6detail15normal_iteratorINS9_10device_ptrIiEEEENSB_INSC_IjEEEESE_iNS9_4plusIvEENS9_8equal_toIvEEiEE10hipError_tPvRmT2_T3_T4_T5_mT6_T7_P12ihipStream_tbENKUlT_T0_E_clISt17integral_constantIbLb0EES11_EEDaSW_SX_EUlSW_E_NS1_11comp_targetILNS1_3genE8ELNS1_11target_archE1030ELNS1_3gpuE2ELNS1_3repE0EEENS1_30default_config_static_selectorELNS0_4arch9wavefront6targetE1EEEvT1_
	.p2align	8
	.type	_ZN7rocprim17ROCPRIM_400000_NS6detail17trampoline_kernelINS0_14default_configENS1_27scan_by_key_config_selectorIiiEEZZNS1_16scan_by_key_implILNS1_25lookback_scan_determinismE0ELb1ES3_N6thrust23THRUST_200600_302600_NS6detail15normal_iteratorINS9_10device_ptrIiEEEENSB_INSC_IjEEEESE_iNS9_4plusIvEENS9_8equal_toIvEEiEE10hipError_tPvRmT2_T3_T4_T5_mT6_T7_P12ihipStream_tbENKUlT_T0_E_clISt17integral_constantIbLb0EES11_EEDaSW_SX_EUlSW_E_NS1_11comp_targetILNS1_3genE8ELNS1_11target_archE1030ELNS1_3gpuE2ELNS1_3repE0EEENS1_30default_config_static_selectorELNS0_4arch9wavefront6targetE1EEEvT1_,@function
_ZN7rocprim17ROCPRIM_400000_NS6detail17trampoline_kernelINS0_14default_configENS1_27scan_by_key_config_selectorIiiEEZZNS1_16scan_by_key_implILNS1_25lookback_scan_determinismE0ELb1ES3_N6thrust23THRUST_200600_302600_NS6detail15normal_iteratorINS9_10device_ptrIiEEEENSB_INSC_IjEEEESE_iNS9_4plusIvEENS9_8equal_toIvEEiEE10hipError_tPvRmT2_T3_T4_T5_mT6_T7_P12ihipStream_tbENKUlT_T0_E_clISt17integral_constantIbLb0EES11_EEDaSW_SX_EUlSW_E_NS1_11comp_targetILNS1_3genE8ELNS1_11target_archE1030ELNS1_3gpuE2ELNS1_3repE0EEENS1_30default_config_static_selectorELNS0_4arch9wavefront6targetE1EEEvT1_: ; @_ZN7rocprim17ROCPRIM_400000_NS6detail17trampoline_kernelINS0_14default_configENS1_27scan_by_key_config_selectorIiiEEZZNS1_16scan_by_key_implILNS1_25lookback_scan_determinismE0ELb1ES3_N6thrust23THRUST_200600_302600_NS6detail15normal_iteratorINS9_10device_ptrIiEEEENSB_INSC_IjEEEESE_iNS9_4plusIvEENS9_8equal_toIvEEiEE10hipError_tPvRmT2_T3_T4_T5_mT6_T7_P12ihipStream_tbENKUlT_T0_E_clISt17integral_constantIbLb0EES11_EEDaSW_SX_EUlSW_E_NS1_11comp_targetILNS1_3genE8ELNS1_11target_archE1030ELNS1_3gpuE2ELNS1_3repE0EEENS1_30default_config_static_selectorELNS0_4arch9wavefront6targetE1EEEvT1_
; %bb.0:
	.section	.rodata,"a",@progbits
	.p2align	6, 0x0
	.amdhsa_kernel _ZN7rocprim17ROCPRIM_400000_NS6detail17trampoline_kernelINS0_14default_configENS1_27scan_by_key_config_selectorIiiEEZZNS1_16scan_by_key_implILNS1_25lookback_scan_determinismE0ELb1ES3_N6thrust23THRUST_200600_302600_NS6detail15normal_iteratorINS9_10device_ptrIiEEEENSB_INSC_IjEEEESE_iNS9_4plusIvEENS9_8equal_toIvEEiEE10hipError_tPvRmT2_T3_T4_T5_mT6_T7_P12ihipStream_tbENKUlT_T0_E_clISt17integral_constantIbLb0EES11_EEDaSW_SX_EUlSW_E_NS1_11comp_targetILNS1_3genE8ELNS1_11target_archE1030ELNS1_3gpuE2ELNS1_3repE0EEENS1_30default_config_static_selectorELNS0_4arch9wavefront6targetE1EEEvT1_
		.amdhsa_group_segment_fixed_size 0
		.amdhsa_private_segment_fixed_size 0
		.amdhsa_kernarg_size 112
		.amdhsa_user_sgpr_count 6
		.amdhsa_user_sgpr_private_segment_buffer 1
		.amdhsa_user_sgpr_dispatch_ptr 0
		.amdhsa_user_sgpr_queue_ptr 0
		.amdhsa_user_sgpr_kernarg_segment_ptr 1
		.amdhsa_user_sgpr_dispatch_id 0
		.amdhsa_user_sgpr_flat_scratch_init 0
		.amdhsa_user_sgpr_kernarg_preload_length 0
		.amdhsa_user_sgpr_kernarg_preload_offset 0
		.amdhsa_user_sgpr_private_segment_size 0
		.amdhsa_uses_dynamic_stack 0
		.amdhsa_system_sgpr_private_segment_wavefront_offset 0
		.amdhsa_system_sgpr_workgroup_id_x 1
		.amdhsa_system_sgpr_workgroup_id_y 0
		.amdhsa_system_sgpr_workgroup_id_z 0
		.amdhsa_system_sgpr_workgroup_info 0
		.amdhsa_system_vgpr_workitem_id 0
		.amdhsa_next_free_vgpr 1
		.amdhsa_next_free_sgpr 0
		.amdhsa_accum_offset 4
		.amdhsa_reserve_vcc 0
		.amdhsa_reserve_flat_scratch 0
		.amdhsa_float_round_mode_32 0
		.amdhsa_float_round_mode_16_64 0
		.amdhsa_float_denorm_mode_32 3
		.amdhsa_float_denorm_mode_16_64 3
		.amdhsa_dx10_clamp 1
		.amdhsa_ieee_mode 1
		.amdhsa_fp16_overflow 0
		.amdhsa_tg_split 0
		.amdhsa_exception_fp_ieee_invalid_op 0
		.amdhsa_exception_fp_denorm_src 0
		.amdhsa_exception_fp_ieee_div_zero 0
		.amdhsa_exception_fp_ieee_overflow 0
		.amdhsa_exception_fp_ieee_underflow 0
		.amdhsa_exception_fp_ieee_inexact 0
		.amdhsa_exception_int_div_zero 0
	.end_amdhsa_kernel
	.section	.text._ZN7rocprim17ROCPRIM_400000_NS6detail17trampoline_kernelINS0_14default_configENS1_27scan_by_key_config_selectorIiiEEZZNS1_16scan_by_key_implILNS1_25lookback_scan_determinismE0ELb1ES3_N6thrust23THRUST_200600_302600_NS6detail15normal_iteratorINS9_10device_ptrIiEEEENSB_INSC_IjEEEESE_iNS9_4plusIvEENS9_8equal_toIvEEiEE10hipError_tPvRmT2_T3_T4_T5_mT6_T7_P12ihipStream_tbENKUlT_T0_E_clISt17integral_constantIbLb0EES11_EEDaSW_SX_EUlSW_E_NS1_11comp_targetILNS1_3genE8ELNS1_11target_archE1030ELNS1_3gpuE2ELNS1_3repE0EEENS1_30default_config_static_selectorELNS0_4arch9wavefront6targetE1EEEvT1_,"axG",@progbits,_ZN7rocprim17ROCPRIM_400000_NS6detail17trampoline_kernelINS0_14default_configENS1_27scan_by_key_config_selectorIiiEEZZNS1_16scan_by_key_implILNS1_25lookback_scan_determinismE0ELb1ES3_N6thrust23THRUST_200600_302600_NS6detail15normal_iteratorINS9_10device_ptrIiEEEENSB_INSC_IjEEEESE_iNS9_4plusIvEENS9_8equal_toIvEEiEE10hipError_tPvRmT2_T3_T4_T5_mT6_T7_P12ihipStream_tbENKUlT_T0_E_clISt17integral_constantIbLb0EES11_EEDaSW_SX_EUlSW_E_NS1_11comp_targetILNS1_3genE8ELNS1_11target_archE1030ELNS1_3gpuE2ELNS1_3repE0EEENS1_30default_config_static_selectorELNS0_4arch9wavefront6targetE1EEEvT1_,comdat
.Lfunc_end1760:
	.size	_ZN7rocprim17ROCPRIM_400000_NS6detail17trampoline_kernelINS0_14default_configENS1_27scan_by_key_config_selectorIiiEEZZNS1_16scan_by_key_implILNS1_25lookback_scan_determinismE0ELb1ES3_N6thrust23THRUST_200600_302600_NS6detail15normal_iteratorINS9_10device_ptrIiEEEENSB_INSC_IjEEEESE_iNS9_4plusIvEENS9_8equal_toIvEEiEE10hipError_tPvRmT2_T3_T4_T5_mT6_T7_P12ihipStream_tbENKUlT_T0_E_clISt17integral_constantIbLb0EES11_EEDaSW_SX_EUlSW_E_NS1_11comp_targetILNS1_3genE8ELNS1_11target_archE1030ELNS1_3gpuE2ELNS1_3repE0EEENS1_30default_config_static_selectorELNS0_4arch9wavefront6targetE1EEEvT1_, .Lfunc_end1760-_ZN7rocprim17ROCPRIM_400000_NS6detail17trampoline_kernelINS0_14default_configENS1_27scan_by_key_config_selectorIiiEEZZNS1_16scan_by_key_implILNS1_25lookback_scan_determinismE0ELb1ES3_N6thrust23THRUST_200600_302600_NS6detail15normal_iteratorINS9_10device_ptrIiEEEENSB_INSC_IjEEEESE_iNS9_4plusIvEENS9_8equal_toIvEEiEE10hipError_tPvRmT2_T3_T4_T5_mT6_T7_P12ihipStream_tbENKUlT_T0_E_clISt17integral_constantIbLb0EES11_EEDaSW_SX_EUlSW_E_NS1_11comp_targetILNS1_3genE8ELNS1_11target_archE1030ELNS1_3gpuE2ELNS1_3repE0EEENS1_30default_config_static_selectorELNS0_4arch9wavefront6targetE1EEEvT1_
                                        ; -- End function
	.section	.AMDGPU.csdata,"",@progbits
; Kernel info:
; codeLenInByte = 0
; NumSgprs: 4
; NumVgprs: 0
; NumAgprs: 0
; TotalNumVgprs: 0
; ScratchSize: 0
; MemoryBound: 0
; FloatMode: 240
; IeeeMode: 1
; LDSByteSize: 0 bytes/workgroup (compile time only)
; SGPRBlocks: 0
; VGPRBlocks: 0
; NumSGPRsForWavesPerEU: 4
; NumVGPRsForWavesPerEU: 1
; AccumOffset: 4
; Occupancy: 8
; WaveLimiterHint : 0
; COMPUTE_PGM_RSRC2:SCRATCH_EN: 0
; COMPUTE_PGM_RSRC2:USER_SGPR: 6
; COMPUTE_PGM_RSRC2:TRAP_HANDLER: 0
; COMPUTE_PGM_RSRC2:TGID_X_EN: 1
; COMPUTE_PGM_RSRC2:TGID_Y_EN: 0
; COMPUTE_PGM_RSRC2:TGID_Z_EN: 0
; COMPUTE_PGM_RSRC2:TIDIG_COMP_CNT: 0
; COMPUTE_PGM_RSRC3_GFX90A:ACCUM_OFFSET: 0
; COMPUTE_PGM_RSRC3_GFX90A:TG_SPLIT: 0
	.section	.text._ZN7rocprim17ROCPRIM_400000_NS6detail17trampoline_kernelINS0_14default_configENS1_27scan_by_key_config_selectorIiiEEZZNS1_16scan_by_key_implILNS1_25lookback_scan_determinismE0ELb1ES3_N6thrust23THRUST_200600_302600_NS6detail15normal_iteratorINS9_10device_ptrIiEEEENSB_INSC_IjEEEESE_iNS9_4plusIvEENS9_8equal_toIvEEiEE10hipError_tPvRmT2_T3_T4_T5_mT6_T7_P12ihipStream_tbENKUlT_T0_E_clISt17integral_constantIbLb1EES11_EEDaSW_SX_EUlSW_E_NS1_11comp_targetILNS1_3genE0ELNS1_11target_archE4294967295ELNS1_3gpuE0ELNS1_3repE0EEENS1_30default_config_static_selectorELNS0_4arch9wavefront6targetE1EEEvT1_,"axG",@progbits,_ZN7rocprim17ROCPRIM_400000_NS6detail17trampoline_kernelINS0_14default_configENS1_27scan_by_key_config_selectorIiiEEZZNS1_16scan_by_key_implILNS1_25lookback_scan_determinismE0ELb1ES3_N6thrust23THRUST_200600_302600_NS6detail15normal_iteratorINS9_10device_ptrIiEEEENSB_INSC_IjEEEESE_iNS9_4plusIvEENS9_8equal_toIvEEiEE10hipError_tPvRmT2_T3_T4_T5_mT6_T7_P12ihipStream_tbENKUlT_T0_E_clISt17integral_constantIbLb1EES11_EEDaSW_SX_EUlSW_E_NS1_11comp_targetILNS1_3genE0ELNS1_11target_archE4294967295ELNS1_3gpuE0ELNS1_3repE0EEENS1_30default_config_static_selectorELNS0_4arch9wavefront6targetE1EEEvT1_,comdat
	.protected	_ZN7rocprim17ROCPRIM_400000_NS6detail17trampoline_kernelINS0_14default_configENS1_27scan_by_key_config_selectorIiiEEZZNS1_16scan_by_key_implILNS1_25lookback_scan_determinismE0ELb1ES3_N6thrust23THRUST_200600_302600_NS6detail15normal_iteratorINS9_10device_ptrIiEEEENSB_INSC_IjEEEESE_iNS9_4plusIvEENS9_8equal_toIvEEiEE10hipError_tPvRmT2_T3_T4_T5_mT6_T7_P12ihipStream_tbENKUlT_T0_E_clISt17integral_constantIbLb1EES11_EEDaSW_SX_EUlSW_E_NS1_11comp_targetILNS1_3genE0ELNS1_11target_archE4294967295ELNS1_3gpuE0ELNS1_3repE0EEENS1_30default_config_static_selectorELNS0_4arch9wavefront6targetE1EEEvT1_ ; -- Begin function _ZN7rocprim17ROCPRIM_400000_NS6detail17trampoline_kernelINS0_14default_configENS1_27scan_by_key_config_selectorIiiEEZZNS1_16scan_by_key_implILNS1_25lookback_scan_determinismE0ELb1ES3_N6thrust23THRUST_200600_302600_NS6detail15normal_iteratorINS9_10device_ptrIiEEEENSB_INSC_IjEEEESE_iNS9_4plusIvEENS9_8equal_toIvEEiEE10hipError_tPvRmT2_T3_T4_T5_mT6_T7_P12ihipStream_tbENKUlT_T0_E_clISt17integral_constantIbLb1EES11_EEDaSW_SX_EUlSW_E_NS1_11comp_targetILNS1_3genE0ELNS1_11target_archE4294967295ELNS1_3gpuE0ELNS1_3repE0EEENS1_30default_config_static_selectorELNS0_4arch9wavefront6targetE1EEEvT1_
	.globl	_ZN7rocprim17ROCPRIM_400000_NS6detail17trampoline_kernelINS0_14default_configENS1_27scan_by_key_config_selectorIiiEEZZNS1_16scan_by_key_implILNS1_25lookback_scan_determinismE0ELb1ES3_N6thrust23THRUST_200600_302600_NS6detail15normal_iteratorINS9_10device_ptrIiEEEENSB_INSC_IjEEEESE_iNS9_4plusIvEENS9_8equal_toIvEEiEE10hipError_tPvRmT2_T3_T4_T5_mT6_T7_P12ihipStream_tbENKUlT_T0_E_clISt17integral_constantIbLb1EES11_EEDaSW_SX_EUlSW_E_NS1_11comp_targetILNS1_3genE0ELNS1_11target_archE4294967295ELNS1_3gpuE0ELNS1_3repE0EEENS1_30default_config_static_selectorELNS0_4arch9wavefront6targetE1EEEvT1_
	.p2align	8
	.type	_ZN7rocprim17ROCPRIM_400000_NS6detail17trampoline_kernelINS0_14default_configENS1_27scan_by_key_config_selectorIiiEEZZNS1_16scan_by_key_implILNS1_25lookback_scan_determinismE0ELb1ES3_N6thrust23THRUST_200600_302600_NS6detail15normal_iteratorINS9_10device_ptrIiEEEENSB_INSC_IjEEEESE_iNS9_4plusIvEENS9_8equal_toIvEEiEE10hipError_tPvRmT2_T3_T4_T5_mT6_T7_P12ihipStream_tbENKUlT_T0_E_clISt17integral_constantIbLb1EES11_EEDaSW_SX_EUlSW_E_NS1_11comp_targetILNS1_3genE0ELNS1_11target_archE4294967295ELNS1_3gpuE0ELNS1_3repE0EEENS1_30default_config_static_selectorELNS0_4arch9wavefront6targetE1EEEvT1_,@function
_ZN7rocprim17ROCPRIM_400000_NS6detail17trampoline_kernelINS0_14default_configENS1_27scan_by_key_config_selectorIiiEEZZNS1_16scan_by_key_implILNS1_25lookback_scan_determinismE0ELb1ES3_N6thrust23THRUST_200600_302600_NS6detail15normal_iteratorINS9_10device_ptrIiEEEENSB_INSC_IjEEEESE_iNS9_4plusIvEENS9_8equal_toIvEEiEE10hipError_tPvRmT2_T3_T4_T5_mT6_T7_P12ihipStream_tbENKUlT_T0_E_clISt17integral_constantIbLb1EES11_EEDaSW_SX_EUlSW_E_NS1_11comp_targetILNS1_3genE0ELNS1_11target_archE4294967295ELNS1_3gpuE0ELNS1_3repE0EEENS1_30default_config_static_selectorELNS0_4arch9wavefront6targetE1EEEvT1_: ; @_ZN7rocprim17ROCPRIM_400000_NS6detail17trampoline_kernelINS0_14default_configENS1_27scan_by_key_config_selectorIiiEEZZNS1_16scan_by_key_implILNS1_25lookback_scan_determinismE0ELb1ES3_N6thrust23THRUST_200600_302600_NS6detail15normal_iteratorINS9_10device_ptrIiEEEENSB_INSC_IjEEEESE_iNS9_4plusIvEENS9_8equal_toIvEEiEE10hipError_tPvRmT2_T3_T4_T5_mT6_T7_P12ihipStream_tbENKUlT_T0_E_clISt17integral_constantIbLb1EES11_EEDaSW_SX_EUlSW_E_NS1_11comp_targetILNS1_3genE0ELNS1_11target_archE4294967295ELNS1_3gpuE0ELNS1_3repE0EEENS1_30default_config_static_selectorELNS0_4arch9wavefront6targetE1EEEvT1_
; %bb.0:
	.section	.rodata,"a",@progbits
	.p2align	6, 0x0
	.amdhsa_kernel _ZN7rocprim17ROCPRIM_400000_NS6detail17trampoline_kernelINS0_14default_configENS1_27scan_by_key_config_selectorIiiEEZZNS1_16scan_by_key_implILNS1_25lookback_scan_determinismE0ELb1ES3_N6thrust23THRUST_200600_302600_NS6detail15normal_iteratorINS9_10device_ptrIiEEEENSB_INSC_IjEEEESE_iNS9_4plusIvEENS9_8equal_toIvEEiEE10hipError_tPvRmT2_T3_T4_T5_mT6_T7_P12ihipStream_tbENKUlT_T0_E_clISt17integral_constantIbLb1EES11_EEDaSW_SX_EUlSW_E_NS1_11comp_targetILNS1_3genE0ELNS1_11target_archE4294967295ELNS1_3gpuE0ELNS1_3repE0EEENS1_30default_config_static_selectorELNS0_4arch9wavefront6targetE1EEEvT1_
		.amdhsa_group_segment_fixed_size 0
		.amdhsa_private_segment_fixed_size 0
		.amdhsa_kernarg_size 112
		.amdhsa_user_sgpr_count 6
		.amdhsa_user_sgpr_private_segment_buffer 1
		.amdhsa_user_sgpr_dispatch_ptr 0
		.amdhsa_user_sgpr_queue_ptr 0
		.amdhsa_user_sgpr_kernarg_segment_ptr 1
		.amdhsa_user_sgpr_dispatch_id 0
		.amdhsa_user_sgpr_flat_scratch_init 0
		.amdhsa_user_sgpr_kernarg_preload_length 0
		.amdhsa_user_sgpr_kernarg_preload_offset 0
		.amdhsa_user_sgpr_private_segment_size 0
		.amdhsa_uses_dynamic_stack 0
		.amdhsa_system_sgpr_private_segment_wavefront_offset 0
		.amdhsa_system_sgpr_workgroup_id_x 1
		.amdhsa_system_sgpr_workgroup_id_y 0
		.amdhsa_system_sgpr_workgroup_id_z 0
		.amdhsa_system_sgpr_workgroup_info 0
		.amdhsa_system_vgpr_workitem_id 0
		.amdhsa_next_free_vgpr 1
		.amdhsa_next_free_sgpr 0
		.amdhsa_accum_offset 4
		.amdhsa_reserve_vcc 0
		.amdhsa_reserve_flat_scratch 0
		.amdhsa_float_round_mode_32 0
		.amdhsa_float_round_mode_16_64 0
		.amdhsa_float_denorm_mode_32 3
		.amdhsa_float_denorm_mode_16_64 3
		.amdhsa_dx10_clamp 1
		.amdhsa_ieee_mode 1
		.amdhsa_fp16_overflow 0
		.amdhsa_tg_split 0
		.amdhsa_exception_fp_ieee_invalid_op 0
		.amdhsa_exception_fp_denorm_src 0
		.amdhsa_exception_fp_ieee_div_zero 0
		.amdhsa_exception_fp_ieee_overflow 0
		.amdhsa_exception_fp_ieee_underflow 0
		.amdhsa_exception_fp_ieee_inexact 0
		.amdhsa_exception_int_div_zero 0
	.end_amdhsa_kernel
	.section	.text._ZN7rocprim17ROCPRIM_400000_NS6detail17trampoline_kernelINS0_14default_configENS1_27scan_by_key_config_selectorIiiEEZZNS1_16scan_by_key_implILNS1_25lookback_scan_determinismE0ELb1ES3_N6thrust23THRUST_200600_302600_NS6detail15normal_iteratorINS9_10device_ptrIiEEEENSB_INSC_IjEEEESE_iNS9_4plusIvEENS9_8equal_toIvEEiEE10hipError_tPvRmT2_T3_T4_T5_mT6_T7_P12ihipStream_tbENKUlT_T0_E_clISt17integral_constantIbLb1EES11_EEDaSW_SX_EUlSW_E_NS1_11comp_targetILNS1_3genE0ELNS1_11target_archE4294967295ELNS1_3gpuE0ELNS1_3repE0EEENS1_30default_config_static_selectorELNS0_4arch9wavefront6targetE1EEEvT1_,"axG",@progbits,_ZN7rocprim17ROCPRIM_400000_NS6detail17trampoline_kernelINS0_14default_configENS1_27scan_by_key_config_selectorIiiEEZZNS1_16scan_by_key_implILNS1_25lookback_scan_determinismE0ELb1ES3_N6thrust23THRUST_200600_302600_NS6detail15normal_iteratorINS9_10device_ptrIiEEEENSB_INSC_IjEEEESE_iNS9_4plusIvEENS9_8equal_toIvEEiEE10hipError_tPvRmT2_T3_T4_T5_mT6_T7_P12ihipStream_tbENKUlT_T0_E_clISt17integral_constantIbLb1EES11_EEDaSW_SX_EUlSW_E_NS1_11comp_targetILNS1_3genE0ELNS1_11target_archE4294967295ELNS1_3gpuE0ELNS1_3repE0EEENS1_30default_config_static_selectorELNS0_4arch9wavefront6targetE1EEEvT1_,comdat
.Lfunc_end1761:
	.size	_ZN7rocprim17ROCPRIM_400000_NS6detail17trampoline_kernelINS0_14default_configENS1_27scan_by_key_config_selectorIiiEEZZNS1_16scan_by_key_implILNS1_25lookback_scan_determinismE0ELb1ES3_N6thrust23THRUST_200600_302600_NS6detail15normal_iteratorINS9_10device_ptrIiEEEENSB_INSC_IjEEEESE_iNS9_4plusIvEENS9_8equal_toIvEEiEE10hipError_tPvRmT2_T3_T4_T5_mT6_T7_P12ihipStream_tbENKUlT_T0_E_clISt17integral_constantIbLb1EES11_EEDaSW_SX_EUlSW_E_NS1_11comp_targetILNS1_3genE0ELNS1_11target_archE4294967295ELNS1_3gpuE0ELNS1_3repE0EEENS1_30default_config_static_selectorELNS0_4arch9wavefront6targetE1EEEvT1_, .Lfunc_end1761-_ZN7rocprim17ROCPRIM_400000_NS6detail17trampoline_kernelINS0_14default_configENS1_27scan_by_key_config_selectorIiiEEZZNS1_16scan_by_key_implILNS1_25lookback_scan_determinismE0ELb1ES3_N6thrust23THRUST_200600_302600_NS6detail15normal_iteratorINS9_10device_ptrIiEEEENSB_INSC_IjEEEESE_iNS9_4plusIvEENS9_8equal_toIvEEiEE10hipError_tPvRmT2_T3_T4_T5_mT6_T7_P12ihipStream_tbENKUlT_T0_E_clISt17integral_constantIbLb1EES11_EEDaSW_SX_EUlSW_E_NS1_11comp_targetILNS1_3genE0ELNS1_11target_archE4294967295ELNS1_3gpuE0ELNS1_3repE0EEENS1_30default_config_static_selectorELNS0_4arch9wavefront6targetE1EEEvT1_
                                        ; -- End function
	.section	.AMDGPU.csdata,"",@progbits
; Kernel info:
; codeLenInByte = 0
; NumSgprs: 4
; NumVgprs: 0
; NumAgprs: 0
; TotalNumVgprs: 0
; ScratchSize: 0
; MemoryBound: 0
; FloatMode: 240
; IeeeMode: 1
; LDSByteSize: 0 bytes/workgroup (compile time only)
; SGPRBlocks: 0
; VGPRBlocks: 0
; NumSGPRsForWavesPerEU: 4
; NumVGPRsForWavesPerEU: 1
; AccumOffset: 4
; Occupancy: 8
; WaveLimiterHint : 0
; COMPUTE_PGM_RSRC2:SCRATCH_EN: 0
; COMPUTE_PGM_RSRC2:USER_SGPR: 6
; COMPUTE_PGM_RSRC2:TRAP_HANDLER: 0
; COMPUTE_PGM_RSRC2:TGID_X_EN: 1
; COMPUTE_PGM_RSRC2:TGID_Y_EN: 0
; COMPUTE_PGM_RSRC2:TGID_Z_EN: 0
; COMPUTE_PGM_RSRC2:TIDIG_COMP_CNT: 0
; COMPUTE_PGM_RSRC3_GFX90A:ACCUM_OFFSET: 0
; COMPUTE_PGM_RSRC3_GFX90A:TG_SPLIT: 0
	.section	.text._ZN7rocprim17ROCPRIM_400000_NS6detail17trampoline_kernelINS0_14default_configENS1_27scan_by_key_config_selectorIiiEEZZNS1_16scan_by_key_implILNS1_25lookback_scan_determinismE0ELb1ES3_N6thrust23THRUST_200600_302600_NS6detail15normal_iteratorINS9_10device_ptrIiEEEENSB_INSC_IjEEEESE_iNS9_4plusIvEENS9_8equal_toIvEEiEE10hipError_tPvRmT2_T3_T4_T5_mT6_T7_P12ihipStream_tbENKUlT_T0_E_clISt17integral_constantIbLb1EES11_EEDaSW_SX_EUlSW_E_NS1_11comp_targetILNS1_3genE10ELNS1_11target_archE1201ELNS1_3gpuE5ELNS1_3repE0EEENS1_30default_config_static_selectorELNS0_4arch9wavefront6targetE1EEEvT1_,"axG",@progbits,_ZN7rocprim17ROCPRIM_400000_NS6detail17trampoline_kernelINS0_14default_configENS1_27scan_by_key_config_selectorIiiEEZZNS1_16scan_by_key_implILNS1_25lookback_scan_determinismE0ELb1ES3_N6thrust23THRUST_200600_302600_NS6detail15normal_iteratorINS9_10device_ptrIiEEEENSB_INSC_IjEEEESE_iNS9_4plusIvEENS9_8equal_toIvEEiEE10hipError_tPvRmT2_T3_T4_T5_mT6_T7_P12ihipStream_tbENKUlT_T0_E_clISt17integral_constantIbLb1EES11_EEDaSW_SX_EUlSW_E_NS1_11comp_targetILNS1_3genE10ELNS1_11target_archE1201ELNS1_3gpuE5ELNS1_3repE0EEENS1_30default_config_static_selectorELNS0_4arch9wavefront6targetE1EEEvT1_,comdat
	.protected	_ZN7rocprim17ROCPRIM_400000_NS6detail17trampoline_kernelINS0_14default_configENS1_27scan_by_key_config_selectorIiiEEZZNS1_16scan_by_key_implILNS1_25lookback_scan_determinismE0ELb1ES3_N6thrust23THRUST_200600_302600_NS6detail15normal_iteratorINS9_10device_ptrIiEEEENSB_INSC_IjEEEESE_iNS9_4plusIvEENS9_8equal_toIvEEiEE10hipError_tPvRmT2_T3_T4_T5_mT6_T7_P12ihipStream_tbENKUlT_T0_E_clISt17integral_constantIbLb1EES11_EEDaSW_SX_EUlSW_E_NS1_11comp_targetILNS1_3genE10ELNS1_11target_archE1201ELNS1_3gpuE5ELNS1_3repE0EEENS1_30default_config_static_selectorELNS0_4arch9wavefront6targetE1EEEvT1_ ; -- Begin function _ZN7rocprim17ROCPRIM_400000_NS6detail17trampoline_kernelINS0_14default_configENS1_27scan_by_key_config_selectorIiiEEZZNS1_16scan_by_key_implILNS1_25lookback_scan_determinismE0ELb1ES3_N6thrust23THRUST_200600_302600_NS6detail15normal_iteratorINS9_10device_ptrIiEEEENSB_INSC_IjEEEESE_iNS9_4plusIvEENS9_8equal_toIvEEiEE10hipError_tPvRmT2_T3_T4_T5_mT6_T7_P12ihipStream_tbENKUlT_T0_E_clISt17integral_constantIbLb1EES11_EEDaSW_SX_EUlSW_E_NS1_11comp_targetILNS1_3genE10ELNS1_11target_archE1201ELNS1_3gpuE5ELNS1_3repE0EEENS1_30default_config_static_selectorELNS0_4arch9wavefront6targetE1EEEvT1_
	.globl	_ZN7rocprim17ROCPRIM_400000_NS6detail17trampoline_kernelINS0_14default_configENS1_27scan_by_key_config_selectorIiiEEZZNS1_16scan_by_key_implILNS1_25lookback_scan_determinismE0ELb1ES3_N6thrust23THRUST_200600_302600_NS6detail15normal_iteratorINS9_10device_ptrIiEEEENSB_INSC_IjEEEESE_iNS9_4plusIvEENS9_8equal_toIvEEiEE10hipError_tPvRmT2_T3_T4_T5_mT6_T7_P12ihipStream_tbENKUlT_T0_E_clISt17integral_constantIbLb1EES11_EEDaSW_SX_EUlSW_E_NS1_11comp_targetILNS1_3genE10ELNS1_11target_archE1201ELNS1_3gpuE5ELNS1_3repE0EEENS1_30default_config_static_selectorELNS0_4arch9wavefront6targetE1EEEvT1_
	.p2align	8
	.type	_ZN7rocprim17ROCPRIM_400000_NS6detail17trampoline_kernelINS0_14default_configENS1_27scan_by_key_config_selectorIiiEEZZNS1_16scan_by_key_implILNS1_25lookback_scan_determinismE0ELb1ES3_N6thrust23THRUST_200600_302600_NS6detail15normal_iteratorINS9_10device_ptrIiEEEENSB_INSC_IjEEEESE_iNS9_4plusIvEENS9_8equal_toIvEEiEE10hipError_tPvRmT2_T3_T4_T5_mT6_T7_P12ihipStream_tbENKUlT_T0_E_clISt17integral_constantIbLb1EES11_EEDaSW_SX_EUlSW_E_NS1_11comp_targetILNS1_3genE10ELNS1_11target_archE1201ELNS1_3gpuE5ELNS1_3repE0EEENS1_30default_config_static_selectorELNS0_4arch9wavefront6targetE1EEEvT1_,@function
_ZN7rocprim17ROCPRIM_400000_NS6detail17trampoline_kernelINS0_14default_configENS1_27scan_by_key_config_selectorIiiEEZZNS1_16scan_by_key_implILNS1_25lookback_scan_determinismE0ELb1ES3_N6thrust23THRUST_200600_302600_NS6detail15normal_iteratorINS9_10device_ptrIiEEEENSB_INSC_IjEEEESE_iNS9_4plusIvEENS9_8equal_toIvEEiEE10hipError_tPvRmT2_T3_T4_T5_mT6_T7_P12ihipStream_tbENKUlT_T0_E_clISt17integral_constantIbLb1EES11_EEDaSW_SX_EUlSW_E_NS1_11comp_targetILNS1_3genE10ELNS1_11target_archE1201ELNS1_3gpuE5ELNS1_3repE0EEENS1_30default_config_static_selectorELNS0_4arch9wavefront6targetE1EEEvT1_: ; @_ZN7rocprim17ROCPRIM_400000_NS6detail17trampoline_kernelINS0_14default_configENS1_27scan_by_key_config_selectorIiiEEZZNS1_16scan_by_key_implILNS1_25lookback_scan_determinismE0ELb1ES3_N6thrust23THRUST_200600_302600_NS6detail15normal_iteratorINS9_10device_ptrIiEEEENSB_INSC_IjEEEESE_iNS9_4plusIvEENS9_8equal_toIvEEiEE10hipError_tPvRmT2_T3_T4_T5_mT6_T7_P12ihipStream_tbENKUlT_T0_E_clISt17integral_constantIbLb1EES11_EEDaSW_SX_EUlSW_E_NS1_11comp_targetILNS1_3genE10ELNS1_11target_archE1201ELNS1_3gpuE5ELNS1_3repE0EEENS1_30default_config_static_selectorELNS0_4arch9wavefront6targetE1EEEvT1_
; %bb.0:
	.section	.rodata,"a",@progbits
	.p2align	6, 0x0
	.amdhsa_kernel _ZN7rocprim17ROCPRIM_400000_NS6detail17trampoline_kernelINS0_14default_configENS1_27scan_by_key_config_selectorIiiEEZZNS1_16scan_by_key_implILNS1_25lookback_scan_determinismE0ELb1ES3_N6thrust23THRUST_200600_302600_NS6detail15normal_iteratorINS9_10device_ptrIiEEEENSB_INSC_IjEEEESE_iNS9_4plusIvEENS9_8equal_toIvEEiEE10hipError_tPvRmT2_T3_T4_T5_mT6_T7_P12ihipStream_tbENKUlT_T0_E_clISt17integral_constantIbLb1EES11_EEDaSW_SX_EUlSW_E_NS1_11comp_targetILNS1_3genE10ELNS1_11target_archE1201ELNS1_3gpuE5ELNS1_3repE0EEENS1_30default_config_static_selectorELNS0_4arch9wavefront6targetE1EEEvT1_
		.amdhsa_group_segment_fixed_size 0
		.amdhsa_private_segment_fixed_size 0
		.amdhsa_kernarg_size 112
		.amdhsa_user_sgpr_count 6
		.amdhsa_user_sgpr_private_segment_buffer 1
		.amdhsa_user_sgpr_dispatch_ptr 0
		.amdhsa_user_sgpr_queue_ptr 0
		.amdhsa_user_sgpr_kernarg_segment_ptr 1
		.amdhsa_user_sgpr_dispatch_id 0
		.amdhsa_user_sgpr_flat_scratch_init 0
		.amdhsa_user_sgpr_kernarg_preload_length 0
		.amdhsa_user_sgpr_kernarg_preload_offset 0
		.amdhsa_user_sgpr_private_segment_size 0
		.amdhsa_uses_dynamic_stack 0
		.amdhsa_system_sgpr_private_segment_wavefront_offset 0
		.amdhsa_system_sgpr_workgroup_id_x 1
		.amdhsa_system_sgpr_workgroup_id_y 0
		.amdhsa_system_sgpr_workgroup_id_z 0
		.amdhsa_system_sgpr_workgroup_info 0
		.amdhsa_system_vgpr_workitem_id 0
		.amdhsa_next_free_vgpr 1
		.amdhsa_next_free_sgpr 0
		.amdhsa_accum_offset 4
		.amdhsa_reserve_vcc 0
		.amdhsa_reserve_flat_scratch 0
		.amdhsa_float_round_mode_32 0
		.amdhsa_float_round_mode_16_64 0
		.amdhsa_float_denorm_mode_32 3
		.amdhsa_float_denorm_mode_16_64 3
		.amdhsa_dx10_clamp 1
		.amdhsa_ieee_mode 1
		.amdhsa_fp16_overflow 0
		.amdhsa_tg_split 0
		.amdhsa_exception_fp_ieee_invalid_op 0
		.amdhsa_exception_fp_denorm_src 0
		.amdhsa_exception_fp_ieee_div_zero 0
		.amdhsa_exception_fp_ieee_overflow 0
		.amdhsa_exception_fp_ieee_underflow 0
		.amdhsa_exception_fp_ieee_inexact 0
		.amdhsa_exception_int_div_zero 0
	.end_amdhsa_kernel
	.section	.text._ZN7rocprim17ROCPRIM_400000_NS6detail17trampoline_kernelINS0_14default_configENS1_27scan_by_key_config_selectorIiiEEZZNS1_16scan_by_key_implILNS1_25lookback_scan_determinismE0ELb1ES3_N6thrust23THRUST_200600_302600_NS6detail15normal_iteratorINS9_10device_ptrIiEEEENSB_INSC_IjEEEESE_iNS9_4plusIvEENS9_8equal_toIvEEiEE10hipError_tPvRmT2_T3_T4_T5_mT6_T7_P12ihipStream_tbENKUlT_T0_E_clISt17integral_constantIbLb1EES11_EEDaSW_SX_EUlSW_E_NS1_11comp_targetILNS1_3genE10ELNS1_11target_archE1201ELNS1_3gpuE5ELNS1_3repE0EEENS1_30default_config_static_selectorELNS0_4arch9wavefront6targetE1EEEvT1_,"axG",@progbits,_ZN7rocprim17ROCPRIM_400000_NS6detail17trampoline_kernelINS0_14default_configENS1_27scan_by_key_config_selectorIiiEEZZNS1_16scan_by_key_implILNS1_25lookback_scan_determinismE0ELb1ES3_N6thrust23THRUST_200600_302600_NS6detail15normal_iteratorINS9_10device_ptrIiEEEENSB_INSC_IjEEEESE_iNS9_4plusIvEENS9_8equal_toIvEEiEE10hipError_tPvRmT2_T3_T4_T5_mT6_T7_P12ihipStream_tbENKUlT_T0_E_clISt17integral_constantIbLb1EES11_EEDaSW_SX_EUlSW_E_NS1_11comp_targetILNS1_3genE10ELNS1_11target_archE1201ELNS1_3gpuE5ELNS1_3repE0EEENS1_30default_config_static_selectorELNS0_4arch9wavefront6targetE1EEEvT1_,comdat
.Lfunc_end1762:
	.size	_ZN7rocprim17ROCPRIM_400000_NS6detail17trampoline_kernelINS0_14default_configENS1_27scan_by_key_config_selectorIiiEEZZNS1_16scan_by_key_implILNS1_25lookback_scan_determinismE0ELb1ES3_N6thrust23THRUST_200600_302600_NS6detail15normal_iteratorINS9_10device_ptrIiEEEENSB_INSC_IjEEEESE_iNS9_4plusIvEENS9_8equal_toIvEEiEE10hipError_tPvRmT2_T3_T4_T5_mT6_T7_P12ihipStream_tbENKUlT_T0_E_clISt17integral_constantIbLb1EES11_EEDaSW_SX_EUlSW_E_NS1_11comp_targetILNS1_3genE10ELNS1_11target_archE1201ELNS1_3gpuE5ELNS1_3repE0EEENS1_30default_config_static_selectorELNS0_4arch9wavefront6targetE1EEEvT1_, .Lfunc_end1762-_ZN7rocprim17ROCPRIM_400000_NS6detail17trampoline_kernelINS0_14default_configENS1_27scan_by_key_config_selectorIiiEEZZNS1_16scan_by_key_implILNS1_25lookback_scan_determinismE0ELb1ES3_N6thrust23THRUST_200600_302600_NS6detail15normal_iteratorINS9_10device_ptrIiEEEENSB_INSC_IjEEEESE_iNS9_4plusIvEENS9_8equal_toIvEEiEE10hipError_tPvRmT2_T3_T4_T5_mT6_T7_P12ihipStream_tbENKUlT_T0_E_clISt17integral_constantIbLb1EES11_EEDaSW_SX_EUlSW_E_NS1_11comp_targetILNS1_3genE10ELNS1_11target_archE1201ELNS1_3gpuE5ELNS1_3repE0EEENS1_30default_config_static_selectorELNS0_4arch9wavefront6targetE1EEEvT1_
                                        ; -- End function
	.section	.AMDGPU.csdata,"",@progbits
; Kernel info:
; codeLenInByte = 0
; NumSgprs: 4
; NumVgprs: 0
; NumAgprs: 0
; TotalNumVgprs: 0
; ScratchSize: 0
; MemoryBound: 0
; FloatMode: 240
; IeeeMode: 1
; LDSByteSize: 0 bytes/workgroup (compile time only)
; SGPRBlocks: 0
; VGPRBlocks: 0
; NumSGPRsForWavesPerEU: 4
; NumVGPRsForWavesPerEU: 1
; AccumOffset: 4
; Occupancy: 8
; WaveLimiterHint : 0
; COMPUTE_PGM_RSRC2:SCRATCH_EN: 0
; COMPUTE_PGM_RSRC2:USER_SGPR: 6
; COMPUTE_PGM_RSRC2:TRAP_HANDLER: 0
; COMPUTE_PGM_RSRC2:TGID_X_EN: 1
; COMPUTE_PGM_RSRC2:TGID_Y_EN: 0
; COMPUTE_PGM_RSRC2:TGID_Z_EN: 0
; COMPUTE_PGM_RSRC2:TIDIG_COMP_CNT: 0
; COMPUTE_PGM_RSRC3_GFX90A:ACCUM_OFFSET: 0
; COMPUTE_PGM_RSRC3_GFX90A:TG_SPLIT: 0
	.section	.text._ZN7rocprim17ROCPRIM_400000_NS6detail17trampoline_kernelINS0_14default_configENS1_27scan_by_key_config_selectorIiiEEZZNS1_16scan_by_key_implILNS1_25lookback_scan_determinismE0ELb1ES3_N6thrust23THRUST_200600_302600_NS6detail15normal_iteratorINS9_10device_ptrIiEEEENSB_INSC_IjEEEESE_iNS9_4plusIvEENS9_8equal_toIvEEiEE10hipError_tPvRmT2_T3_T4_T5_mT6_T7_P12ihipStream_tbENKUlT_T0_E_clISt17integral_constantIbLb1EES11_EEDaSW_SX_EUlSW_E_NS1_11comp_targetILNS1_3genE5ELNS1_11target_archE942ELNS1_3gpuE9ELNS1_3repE0EEENS1_30default_config_static_selectorELNS0_4arch9wavefront6targetE1EEEvT1_,"axG",@progbits,_ZN7rocprim17ROCPRIM_400000_NS6detail17trampoline_kernelINS0_14default_configENS1_27scan_by_key_config_selectorIiiEEZZNS1_16scan_by_key_implILNS1_25lookback_scan_determinismE0ELb1ES3_N6thrust23THRUST_200600_302600_NS6detail15normal_iteratorINS9_10device_ptrIiEEEENSB_INSC_IjEEEESE_iNS9_4plusIvEENS9_8equal_toIvEEiEE10hipError_tPvRmT2_T3_T4_T5_mT6_T7_P12ihipStream_tbENKUlT_T0_E_clISt17integral_constantIbLb1EES11_EEDaSW_SX_EUlSW_E_NS1_11comp_targetILNS1_3genE5ELNS1_11target_archE942ELNS1_3gpuE9ELNS1_3repE0EEENS1_30default_config_static_selectorELNS0_4arch9wavefront6targetE1EEEvT1_,comdat
	.protected	_ZN7rocprim17ROCPRIM_400000_NS6detail17trampoline_kernelINS0_14default_configENS1_27scan_by_key_config_selectorIiiEEZZNS1_16scan_by_key_implILNS1_25lookback_scan_determinismE0ELb1ES3_N6thrust23THRUST_200600_302600_NS6detail15normal_iteratorINS9_10device_ptrIiEEEENSB_INSC_IjEEEESE_iNS9_4plusIvEENS9_8equal_toIvEEiEE10hipError_tPvRmT2_T3_T4_T5_mT6_T7_P12ihipStream_tbENKUlT_T0_E_clISt17integral_constantIbLb1EES11_EEDaSW_SX_EUlSW_E_NS1_11comp_targetILNS1_3genE5ELNS1_11target_archE942ELNS1_3gpuE9ELNS1_3repE0EEENS1_30default_config_static_selectorELNS0_4arch9wavefront6targetE1EEEvT1_ ; -- Begin function _ZN7rocprim17ROCPRIM_400000_NS6detail17trampoline_kernelINS0_14default_configENS1_27scan_by_key_config_selectorIiiEEZZNS1_16scan_by_key_implILNS1_25lookback_scan_determinismE0ELb1ES3_N6thrust23THRUST_200600_302600_NS6detail15normal_iteratorINS9_10device_ptrIiEEEENSB_INSC_IjEEEESE_iNS9_4plusIvEENS9_8equal_toIvEEiEE10hipError_tPvRmT2_T3_T4_T5_mT6_T7_P12ihipStream_tbENKUlT_T0_E_clISt17integral_constantIbLb1EES11_EEDaSW_SX_EUlSW_E_NS1_11comp_targetILNS1_3genE5ELNS1_11target_archE942ELNS1_3gpuE9ELNS1_3repE0EEENS1_30default_config_static_selectorELNS0_4arch9wavefront6targetE1EEEvT1_
	.globl	_ZN7rocprim17ROCPRIM_400000_NS6detail17trampoline_kernelINS0_14default_configENS1_27scan_by_key_config_selectorIiiEEZZNS1_16scan_by_key_implILNS1_25lookback_scan_determinismE0ELb1ES3_N6thrust23THRUST_200600_302600_NS6detail15normal_iteratorINS9_10device_ptrIiEEEENSB_INSC_IjEEEESE_iNS9_4plusIvEENS9_8equal_toIvEEiEE10hipError_tPvRmT2_T3_T4_T5_mT6_T7_P12ihipStream_tbENKUlT_T0_E_clISt17integral_constantIbLb1EES11_EEDaSW_SX_EUlSW_E_NS1_11comp_targetILNS1_3genE5ELNS1_11target_archE942ELNS1_3gpuE9ELNS1_3repE0EEENS1_30default_config_static_selectorELNS0_4arch9wavefront6targetE1EEEvT1_
	.p2align	8
	.type	_ZN7rocprim17ROCPRIM_400000_NS6detail17trampoline_kernelINS0_14default_configENS1_27scan_by_key_config_selectorIiiEEZZNS1_16scan_by_key_implILNS1_25lookback_scan_determinismE0ELb1ES3_N6thrust23THRUST_200600_302600_NS6detail15normal_iteratorINS9_10device_ptrIiEEEENSB_INSC_IjEEEESE_iNS9_4plusIvEENS9_8equal_toIvEEiEE10hipError_tPvRmT2_T3_T4_T5_mT6_T7_P12ihipStream_tbENKUlT_T0_E_clISt17integral_constantIbLb1EES11_EEDaSW_SX_EUlSW_E_NS1_11comp_targetILNS1_3genE5ELNS1_11target_archE942ELNS1_3gpuE9ELNS1_3repE0EEENS1_30default_config_static_selectorELNS0_4arch9wavefront6targetE1EEEvT1_,@function
_ZN7rocprim17ROCPRIM_400000_NS6detail17trampoline_kernelINS0_14default_configENS1_27scan_by_key_config_selectorIiiEEZZNS1_16scan_by_key_implILNS1_25lookback_scan_determinismE0ELb1ES3_N6thrust23THRUST_200600_302600_NS6detail15normal_iteratorINS9_10device_ptrIiEEEENSB_INSC_IjEEEESE_iNS9_4plusIvEENS9_8equal_toIvEEiEE10hipError_tPvRmT2_T3_T4_T5_mT6_T7_P12ihipStream_tbENKUlT_T0_E_clISt17integral_constantIbLb1EES11_EEDaSW_SX_EUlSW_E_NS1_11comp_targetILNS1_3genE5ELNS1_11target_archE942ELNS1_3gpuE9ELNS1_3repE0EEENS1_30default_config_static_selectorELNS0_4arch9wavefront6targetE1EEEvT1_: ; @_ZN7rocprim17ROCPRIM_400000_NS6detail17trampoline_kernelINS0_14default_configENS1_27scan_by_key_config_selectorIiiEEZZNS1_16scan_by_key_implILNS1_25lookback_scan_determinismE0ELb1ES3_N6thrust23THRUST_200600_302600_NS6detail15normal_iteratorINS9_10device_ptrIiEEEENSB_INSC_IjEEEESE_iNS9_4plusIvEENS9_8equal_toIvEEiEE10hipError_tPvRmT2_T3_T4_T5_mT6_T7_P12ihipStream_tbENKUlT_T0_E_clISt17integral_constantIbLb1EES11_EEDaSW_SX_EUlSW_E_NS1_11comp_targetILNS1_3genE5ELNS1_11target_archE942ELNS1_3gpuE9ELNS1_3repE0EEENS1_30default_config_static_selectorELNS0_4arch9wavefront6targetE1EEEvT1_
; %bb.0:
	.section	.rodata,"a",@progbits
	.p2align	6, 0x0
	.amdhsa_kernel _ZN7rocprim17ROCPRIM_400000_NS6detail17trampoline_kernelINS0_14default_configENS1_27scan_by_key_config_selectorIiiEEZZNS1_16scan_by_key_implILNS1_25lookback_scan_determinismE0ELb1ES3_N6thrust23THRUST_200600_302600_NS6detail15normal_iteratorINS9_10device_ptrIiEEEENSB_INSC_IjEEEESE_iNS9_4plusIvEENS9_8equal_toIvEEiEE10hipError_tPvRmT2_T3_T4_T5_mT6_T7_P12ihipStream_tbENKUlT_T0_E_clISt17integral_constantIbLb1EES11_EEDaSW_SX_EUlSW_E_NS1_11comp_targetILNS1_3genE5ELNS1_11target_archE942ELNS1_3gpuE9ELNS1_3repE0EEENS1_30default_config_static_selectorELNS0_4arch9wavefront6targetE1EEEvT1_
		.amdhsa_group_segment_fixed_size 0
		.amdhsa_private_segment_fixed_size 0
		.amdhsa_kernarg_size 112
		.amdhsa_user_sgpr_count 6
		.amdhsa_user_sgpr_private_segment_buffer 1
		.amdhsa_user_sgpr_dispatch_ptr 0
		.amdhsa_user_sgpr_queue_ptr 0
		.amdhsa_user_sgpr_kernarg_segment_ptr 1
		.amdhsa_user_sgpr_dispatch_id 0
		.amdhsa_user_sgpr_flat_scratch_init 0
		.amdhsa_user_sgpr_kernarg_preload_length 0
		.amdhsa_user_sgpr_kernarg_preload_offset 0
		.amdhsa_user_sgpr_private_segment_size 0
		.amdhsa_uses_dynamic_stack 0
		.amdhsa_system_sgpr_private_segment_wavefront_offset 0
		.amdhsa_system_sgpr_workgroup_id_x 1
		.amdhsa_system_sgpr_workgroup_id_y 0
		.amdhsa_system_sgpr_workgroup_id_z 0
		.amdhsa_system_sgpr_workgroup_info 0
		.amdhsa_system_vgpr_workitem_id 0
		.amdhsa_next_free_vgpr 1
		.amdhsa_next_free_sgpr 0
		.amdhsa_accum_offset 4
		.amdhsa_reserve_vcc 0
		.amdhsa_reserve_flat_scratch 0
		.amdhsa_float_round_mode_32 0
		.amdhsa_float_round_mode_16_64 0
		.amdhsa_float_denorm_mode_32 3
		.amdhsa_float_denorm_mode_16_64 3
		.amdhsa_dx10_clamp 1
		.amdhsa_ieee_mode 1
		.amdhsa_fp16_overflow 0
		.amdhsa_tg_split 0
		.amdhsa_exception_fp_ieee_invalid_op 0
		.amdhsa_exception_fp_denorm_src 0
		.amdhsa_exception_fp_ieee_div_zero 0
		.amdhsa_exception_fp_ieee_overflow 0
		.amdhsa_exception_fp_ieee_underflow 0
		.amdhsa_exception_fp_ieee_inexact 0
		.amdhsa_exception_int_div_zero 0
	.end_amdhsa_kernel
	.section	.text._ZN7rocprim17ROCPRIM_400000_NS6detail17trampoline_kernelINS0_14default_configENS1_27scan_by_key_config_selectorIiiEEZZNS1_16scan_by_key_implILNS1_25lookback_scan_determinismE0ELb1ES3_N6thrust23THRUST_200600_302600_NS6detail15normal_iteratorINS9_10device_ptrIiEEEENSB_INSC_IjEEEESE_iNS9_4plusIvEENS9_8equal_toIvEEiEE10hipError_tPvRmT2_T3_T4_T5_mT6_T7_P12ihipStream_tbENKUlT_T0_E_clISt17integral_constantIbLb1EES11_EEDaSW_SX_EUlSW_E_NS1_11comp_targetILNS1_3genE5ELNS1_11target_archE942ELNS1_3gpuE9ELNS1_3repE0EEENS1_30default_config_static_selectorELNS0_4arch9wavefront6targetE1EEEvT1_,"axG",@progbits,_ZN7rocprim17ROCPRIM_400000_NS6detail17trampoline_kernelINS0_14default_configENS1_27scan_by_key_config_selectorIiiEEZZNS1_16scan_by_key_implILNS1_25lookback_scan_determinismE0ELb1ES3_N6thrust23THRUST_200600_302600_NS6detail15normal_iteratorINS9_10device_ptrIiEEEENSB_INSC_IjEEEESE_iNS9_4plusIvEENS9_8equal_toIvEEiEE10hipError_tPvRmT2_T3_T4_T5_mT6_T7_P12ihipStream_tbENKUlT_T0_E_clISt17integral_constantIbLb1EES11_EEDaSW_SX_EUlSW_E_NS1_11comp_targetILNS1_3genE5ELNS1_11target_archE942ELNS1_3gpuE9ELNS1_3repE0EEENS1_30default_config_static_selectorELNS0_4arch9wavefront6targetE1EEEvT1_,comdat
.Lfunc_end1763:
	.size	_ZN7rocprim17ROCPRIM_400000_NS6detail17trampoline_kernelINS0_14default_configENS1_27scan_by_key_config_selectorIiiEEZZNS1_16scan_by_key_implILNS1_25lookback_scan_determinismE0ELb1ES3_N6thrust23THRUST_200600_302600_NS6detail15normal_iteratorINS9_10device_ptrIiEEEENSB_INSC_IjEEEESE_iNS9_4plusIvEENS9_8equal_toIvEEiEE10hipError_tPvRmT2_T3_T4_T5_mT6_T7_P12ihipStream_tbENKUlT_T0_E_clISt17integral_constantIbLb1EES11_EEDaSW_SX_EUlSW_E_NS1_11comp_targetILNS1_3genE5ELNS1_11target_archE942ELNS1_3gpuE9ELNS1_3repE0EEENS1_30default_config_static_selectorELNS0_4arch9wavefront6targetE1EEEvT1_, .Lfunc_end1763-_ZN7rocprim17ROCPRIM_400000_NS6detail17trampoline_kernelINS0_14default_configENS1_27scan_by_key_config_selectorIiiEEZZNS1_16scan_by_key_implILNS1_25lookback_scan_determinismE0ELb1ES3_N6thrust23THRUST_200600_302600_NS6detail15normal_iteratorINS9_10device_ptrIiEEEENSB_INSC_IjEEEESE_iNS9_4plusIvEENS9_8equal_toIvEEiEE10hipError_tPvRmT2_T3_T4_T5_mT6_T7_P12ihipStream_tbENKUlT_T0_E_clISt17integral_constantIbLb1EES11_EEDaSW_SX_EUlSW_E_NS1_11comp_targetILNS1_3genE5ELNS1_11target_archE942ELNS1_3gpuE9ELNS1_3repE0EEENS1_30default_config_static_selectorELNS0_4arch9wavefront6targetE1EEEvT1_
                                        ; -- End function
	.section	.AMDGPU.csdata,"",@progbits
; Kernel info:
; codeLenInByte = 0
; NumSgprs: 4
; NumVgprs: 0
; NumAgprs: 0
; TotalNumVgprs: 0
; ScratchSize: 0
; MemoryBound: 0
; FloatMode: 240
; IeeeMode: 1
; LDSByteSize: 0 bytes/workgroup (compile time only)
; SGPRBlocks: 0
; VGPRBlocks: 0
; NumSGPRsForWavesPerEU: 4
; NumVGPRsForWavesPerEU: 1
; AccumOffset: 4
; Occupancy: 8
; WaveLimiterHint : 0
; COMPUTE_PGM_RSRC2:SCRATCH_EN: 0
; COMPUTE_PGM_RSRC2:USER_SGPR: 6
; COMPUTE_PGM_RSRC2:TRAP_HANDLER: 0
; COMPUTE_PGM_RSRC2:TGID_X_EN: 1
; COMPUTE_PGM_RSRC2:TGID_Y_EN: 0
; COMPUTE_PGM_RSRC2:TGID_Z_EN: 0
; COMPUTE_PGM_RSRC2:TIDIG_COMP_CNT: 0
; COMPUTE_PGM_RSRC3_GFX90A:ACCUM_OFFSET: 0
; COMPUTE_PGM_RSRC3_GFX90A:TG_SPLIT: 0
	.section	.text._ZN7rocprim17ROCPRIM_400000_NS6detail17trampoline_kernelINS0_14default_configENS1_27scan_by_key_config_selectorIiiEEZZNS1_16scan_by_key_implILNS1_25lookback_scan_determinismE0ELb1ES3_N6thrust23THRUST_200600_302600_NS6detail15normal_iteratorINS9_10device_ptrIiEEEENSB_INSC_IjEEEESE_iNS9_4plusIvEENS9_8equal_toIvEEiEE10hipError_tPvRmT2_T3_T4_T5_mT6_T7_P12ihipStream_tbENKUlT_T0_E_clISt17integral_constantIbLb1EES11_EEDaSW_SX_EUlSW_E_NS1_11comp_targetILNS1_3genE4ELNS1_11target_archE910ELNS1_3gpuE8ELNS1_3repE0EEENS1_30default_config_static_selectorELNS0_4arch9wavefront6targetE1EEEvT1_,"axG",@progbits,_ZN7rocprim17ROCPRIM_400000_NS6detail17trampoline_kernelINS0_14default_configENS1_27scan_by_key_config_selectorIiiEEZZNS1_16scan_by_key_implILNS1_25lookback_scan_determinismE0ELb1ES3_N6thrust23THRUST_200600_302600_NS6detail15normal_iteratorINS9_10device_ptrIiEEEENSB_INSC_IjEEEESE_iNS9_4plusIvEENS9_8equal_toIvEEiEE10hipError_tPvRmT2_T3_T4_T5_mT6_T7_P12ihipStream_tbENKUlT_T0_E_clISt17integral_constantIbLb1EES11_EEDaSW_SX_EUlSW_E_NS1_11comp_targetILNS1_3genE4ELNS1_11target_archE910ELNS1_3gpuE8ELNS1_3repE0EEENS1_30default_config_static_selectorELNS0_4arch9wavefront6targetE1EEEvT1_,comdat
	.protected	_ZN7rocprim17ROCPRIM_400000_NS6detail17trampoline_kernelINS0_14default_configENS1_27scan_by_key_config_selectorIiiEEZZNS1_16scan_by_key_implILNS1_25lookback_scan_determinismE0ELb1ES3_N6thrust23THRUST_200600_302600_NS6detail15normal_iteratorINS9_10device_ptrIiEEEENSB_INSC_IjEEEESE_iNS9_4plusIvEENS9_8equal_toIvEEiEE10hipError_tPvRmT2_T3_T4_T5_mT6_T7_P12ihipStream_tbENKUlT_T0_E_clISt17integral_constantIbLb1EES11_EEDaSW_SX_EUlSW_E_NS1_11comp_targetILNS1_3genE4ELNS1_11target_archE910ELNS1_3gpuE8ELNS1_3repE0EEENS1_30default_config_static_selectorELNS0_4arch9wavefront6targetE1EEEvT1_ ; -- Begin function _ZN7rocprim17ROCPRIM_400000_NS6detail17trampoline_kernelINS0_14default_configENS1_27scan_by_key_config_selectorIiiEEZZNS1_16scan_by_key_implILNS1_25lookback_scan_determinismE0ELb1ES3_N6thrust23THRUST_200600_302600_NS6detail15normal_iteratorINS9_10device_ptrIiEEEENSB_INSC_IjEEEESE_iNS9_4plusIvEENS9_8equal_toIvEEiEE10hipError_tPvRmT2_T3_T4_T5_mT6_T7_P12ihipStream_tbENKUlT_T0_E_clISt17integral_constantIbLb1EES11_EEDaSW_SX_EUlSW_E_NS1_11comp_targetILNS1_3genE4ELNS1_11target_archE910ELNS1_3gpuE8ELNS1_3repE0EEENS1_30default_config_static_selectorELNS0_4arch9wavefront6targetE1EEEvT1_
	.globl	_ZN7rocprim17ROCPRIM_400000_NS6detail17trampoline_kernelINS0_14default_configENS1_27scan_by_key_config_selectorIiiEEZZNS1_16scan_by_key_implILNS1_25lookback_scan_determinismE0ELb1ES3_N6thrust23THRUST_200600_302600_NS6detail15normal_iteratorINS9_10device_ptrIiEEEENSB_INSC_IjEEEESE_iNS9_4plusIvEENS9_8equal_toIvEEiEE10hipError_tPvRmT2_T3_T4_T5_mT6_T7_P12ihipStream_tbENKUlT_T0_E_clISt17integral_constantIbLb1EES11_EEDaSW_SX_EUlSW_E_NS1_11comp_targetILNS1_3genE4ELNS1_11target_archE910ELNS1_3gpuE8ELNS1_3repE0EEENS1_30default_config_static_selectorELNS0_4arch9wavefront6targetE1EEEvT1_
	.p2align	8
	.type	_ZN7rocprim17ROCPRIM_400000_NS6detail17trampoline_kernelINS0_14default_configENS1_27scan_by_key_config_selectorIiiEEZZNS1_16scan_by_key_implILNS1_25lookback_scan_determinismE0ELb1ES3_N6thrust23THRUST_200600_302600_NS6detail15normal_iteratorINS9_10device_ptrIiEEEENSB_INSC_IjEEEESE_iNS9_4plusIvEENS9_8equal_toIvEEiEE10hipError_tPvRmT2_T3_T4_T5_mT6_T7_P12ihipStream_tbENKUlT_T0_E_clISt17integral_constantIbLb1EES11_EEDaSW_SX_EUlSW_E_NS1_11comp_targetILNS1_3genE4ELNS1_11target_archE910ELNS1_3gpuE8ELNS1_3repE0EEENS1_30default_config_static_selectorELNS0_4arch9wavefront6targetE1EEEvT1_,@function
_ZN7rocprim17ROCPRIM_400000_NS6detail17trampoline_kernelINS0_14default_configENS1_27scan_by_key_config_selectorIiiEEZZNS1_16scan_by_key_implILNS1_25lookback_scan_determinismE0ELb1ES3_N6thrust23THRUST_200600_302600_NS6detail15normal_iteratorINS9_10device_ptrIiEEEENSB_INSC_IjEEEESE_iNS9_4plusIvEENS9_8equal_toIvEEiEE10hipError_tPvRmT2_T3_T4_T5_mT6_T7_P12ihipStream_tbENKUlT_T0_E_clISt17integral_constantIbLb1EES11_EEDaSW_SX_EUlSW_E_NS1_11comp_targetILNS1_3genE4ELNS1_11target_archE910ELNS1_3gpuE8ELNS1_3repE0EEENS1_30default_config_static_selectorELNS0_4arch9wavefront6targetE1EEEvT1_: ; @_ZN7rocprim17ROCPRIM_400000_NS6detail17trampoline_kernelINS0_14default_configENS1_27scan_by_key_config_selectorIiiEEZZNS1_16scan_by_key_implILNS1_25lookback_scan_determinismE0ELb1ES3_N6thrust23THRUST_200600_302600_NS6detail15normal_iteratorINS9_10device_ptrIiEEEENSB_INSC_IjEEEESE_iNS9_4plusIvEENS9_8equal_toIvEEiEE10hipError_tPvRmT2_T3_T4_T5_mT6_T7_P12ihipStream_tbENKUlT_T0_E_clISt17integral_constantIbLb1EES11_EEDaSW_SX_EUlSW_E_NS1_11comp_targetILNS1_3genE4ELNS1_11target_archE910ELNS1_3gpuE8ELNS1_3repE0EEENS1_30default_config_static_selectorELNS0_4arch9wavefront6targetE1EEEvT1_
; %bb.0:
	s_load_dword s54, s[4:5], 0x20
	s_load_dwordx4 s[44:47], s[4:5], 0x28
	s_load_dwordx2 s[52:53], s[4:5], 0x38
	v_cmp_eq_u32_e64 s[0:1], 0, v0
	s_and_saveexec_b64 s[2:3], s[0:1]
	s_cbranch_execz .LBB1764_4
; %bb.1:
	s_mov_b64 s[8:9], exec
	v_mbcnt_lo_u32_b32 v1, s8, 0
	v_mbcnt_hi_u32_b32 v1, s9, v1
	v_cmp_eq_u32_e32 vcc, 0, v1
                                        ; implicit-def: $vgpr2
	s_and_saveexec_b64 s[6:7], vcc
	s_cbranch_execz .LBB1764_3
; %bb.2:
	s_load_dwordx2 s[10:11], s[4:5], 0x68
	s_bcnt1_i32_b64 s8, s[8:9]
	v_mov_b32_e32 v2, 0
	v_mov_b32_e32 v3, s8
	s_waitcnt lgkmcnt(0)
	global_atomic_add v2, v2, v3, s[10:11] glc
.LBB1764_3:
	s_or_b64 exec, exec, s[6:7]
	s_waitcnt vmcnt(0)
	v_readfirstlane_b32 s6, v2
	v_add_u32_e32 v1, s6, v1
	v_mov_b32_e32 v2, 0
	ds_write_b32 v2, v1
.LBB1764_4:
	s_or_b64 exec, exec, s[2:3]
	s_load_dwordx8 s[36:43], s[4:5], 0x0
	s_load_dword s2, s[4:5], 0x40
	s_load_dwordx4 s[48:51], s[4:5], 0x48
	v_mov_b32_e32 v3, 0
	s_waitcnt lgkmcnt(0)
	s_lshl_b64 s[34:35], s[38:39], 2
	s_barrier
	ds_read_b32 v4, v3
	s_add_u32 s3, s36, s34
	s_addc_u32 s4, s37, s35
	s_add_u32 s5, s40, s34
	s_mul_i32 s7, s53, s2
	s_mul_hi_u32 s8, s52, s2
	s_addc_u32 s6, s41, s35
	s_add_i32 s7, s8, s7
	s_movk_i32 s8, 0xe00
	s_waitcnt lgkmcnt(0)
	v_mul_lo_u32 v2, v4, s8
	v_lshlrev_b64 v[38:39], 2, v[2:3]
	v_mov_b32_e32 v1, s4
	v_add_co_u32_e32 v42, vcc, s3, v38
	v_addc_co_u32_e32 v43, vcc, v1, v39, vcc
	v_mov_b32_e32 v2, s6
	v_add_co_u32_e32 v1, vcc, s5, v38
	s_mul_i32 s2, s52, s2
	v_addc_co_u32_e32 v48, vcc, v2, v39, vcc
	v_mov_b32_e32 v3, s7
	v_add_co_u32_e32 v2, vcc, s2, v4
	s_add_u32 s4, s48, -1
	v_addc_co_u32_e32 v3, vcc, 0, v3, vcc
	s_addc_u32 s5, s49, -1
	v_cmp_le_u64_e64 s[2:3], s[4:5], v[2:3]
	v_readfirstlane_b32 s47, v4
	s_mov_b64 s[12:13], -1
	s_and_b64 vcc, exec, s[2:3]
	s_mul_i32 s33, s4, 0xfffff200
	s_barrier
	s_barrier
	s_cbranch_vccz .LBB1764_80
; %bb.5:
	flat_load_dword v13, v[42:43]
	s_add_i32 s40, s33, s46
	v_cmp_gt_u32_e32 vcc, s40, v0
	s_waitcnt vmcnt(0) lgkmcnt(0)
	v_mov_b32_e32 v14, v13
	s_and_saveexec_b64 s[6:7], vcc
	s_cbranch_execz .LBB1764_7
; %bb.6:
	v_lshlrev_b32_e32 v2, 2, v0
	v_add_co_u32_e64 v2, s[4:5], v42, v2
	v_addc_co_u32_e64 v3, s[4:5], 0, v43, s[4:5]
	flat_load_dword v14, v[2:3]
.LBB1764_7:
	s_or_b64 exec, exec, s[6:7]
	v_or_b32_e32 v2, 0x100, v0
	v_cmp_gt_u32_e64 s[4:5], s40, v2
	v_mov_b32_e32 v15, v13
	s_and_saveexec_b64 s[8:9], s[4:5]
	s_cbranch_execz .LBB1764_9
; %bb.8:
	v_lshlrev_b32_e32 v2, 2, v0
	v_add_co_u32_e64 v2, s[6:7], v42, v2
	v_addc_co_u32_e64 v3, s[6:7], 0, v43, s[6:7]
	flat_load_dword v15, v[2:3] offset:1024
.LBB1764_9:
	s_or_b64 exec, exec, s[8:9]
	v_or_b32_e32 v2, 0x200, v0
	v_cmp_gt_u32_e64 s[6:7], s40, v2
	v_mov_b32_e32 v16, v13
	s_and_saveexec_b64 s[10:11], s[6:7]
	s_cbranch_execz .LBB1764_11
; %bb.10:
	v_lshlrev_b32_e32 v2, 2, v0
	v_add_co_u32_e64 v2, s[8:9], v42, v2
	v_addc_co_u32_e64 v3, s[8:9], 0, v43, s[8:9]
	flat_load_dword v16, v[2:3] offset:2048
.LBB1764_11:
	;; [unrolled: 12-line block ×3, first 2 shown]
	s_or_b64 exec, exec, s[12:13]
	v_or_b32_e32 v2, 0x400, v0
	v_cmp_gt_u32_e64 s[10:11], s40, v2
	v_mov_b32_e32 v18, v13
	s_and_saveexec_b64 s[14:15], s[10:11]
	s_cbranch_execz .LBB1764_15
; %bb.14:
	v_lshlrev_b32_e32 v3, 2, v2
	v_add_co_u32_e64 v4, s[12:13], v42, v3
	v_addc_co_u32_e64 v5, s[12:13], 0, v43, s[12:13]
	flat_load_dword v18, v[4:5]
.LBB1764_15:
	s_or_b64 exec, exec, s[14:15]
	v_or_b32_e32 v3, 0x500, v0
	v_cmp_gt_u32_e64 s[12:13], s40, v3
	v_mov_b32_e32 v19, v13
	s_and_saveexec_b64 s[16:17], s[12:13]
	s_cbranch_execz .LBB1764_17
; %bb.16:
	v_lshlrev_b32_e32 v4, 2, v3
	v_add_co_u32_e64 v4, s[14:15], v42, v4
	v_addc_co_u32_e64 v5, s[14:15], 0, v43, s[14:15]
	flat_load_dword v19, v[4:5]
.LBB1764_17:
	;; [unrolled: 12-line block ×9, first 2 shown]
	s_or_b64 exec, exec, s[30:31]
	v_or_b32_e32 v11, 0xd00, v0
	v_cmp_gt_u32_e64 s[28:29], s40, v11
	s_and_saveexec_b64 s[36:37], s[28:29]
	s_cbranch_execz .LBB1764_33
; %bb.32:
	v_lshlrev_b32_e32 v12, 2, v11
	v_add_co_u32_e64 v12, s[30:31], v42, v12
	v_addc_co_u32_e64 v13, s[30:31], 0, v43, s[30:31]
	flat_load_dword v13, v[12:13]
.LBB1764_33:
	s_or_b64 exec, exec, s[36:37]
	v_lshlrev_b32_e32 v12, 2, v0
	s_waitcnt vmcnt(0) lgkmcnt(0)
	ds_write2st64_b32 v12, v14, v15 offset1:4
	ds_write2st64_b32 v12, v16, v17 offset0:8 offset1:12
	ds_write2st64_b32 v12, v18, v19 offset0:16 offset1:20
	;; [unrolled: 1-line block ×6, first 2 shown]
	s_waitcnt lgkmcnt(0)
	s_barrier
	flat_load_dword v49, v[42:43]
	v_mad_u32_u24 v50, v0, 52, v12
	s_movk_i32 s30, 0xffcc
	ds_read2_b64 v[34:37], v50 offset1:1
	ds_read2_b64 v[30:33], v50 offset0:2 offset1:3
	ds_read2_b64 v[26:29], v50 offset0:4 offset1:5
	ds_read_b64 v[44:45], v50 offset:48
	v_mad_i32_i24 v13, v0, s30, v50
	s_movk_i32 s30, 0xff
	v_cmp_ne_u32_e64 s[30:31], s30, v0
	s_waitcnt lgkmcnt(0)
	ds_write_b32 v13, v34 offset:15360
	s_waitcnt lgkmcnt(0)
	s_barrier
	s_and_saveexec_b64 s[36:37], s[30:31]
	s_cbranch_execz .LBB1764_35
; %bb.34:
	s_waitcnt vmcnt(0)
	ds_read_b32 v49, v12 offset:15364
.LBB1764_35:
	s_or_b64 exec, exec, s[36:37]
	s_waitcnt lgkmcnt(0)
	s_barrier
	s_waitcnt lgkmcnt(0)
                                        ; implicit-def: $vgpr13
	s_and_saveexec_b64 s[30:31], vcc
	s_cbranch_execz .LBB1764_121
; %bb.36:
	v_add_co_u32_e32 v14, vcc, v1, v12
	v_addc_co_u32_e32 v15, vcc, 0, v48, vcc
	flat_load_dword v13, v[14:15]
	s_or_b64 exec, exec, s[30:31]
                                        ; implicit-def: $vgpr14
	s_and_saveexec_b64 s[30:31], s[4:5]
	s_cbranch_execnz .LBB1764_122
.LBB1764_37:
	s_or_b64 exec, exec, s[30:31]
                                        ; implicit-def: $vgpr15
	s_and_saveexec_b64 s[4:5], s[6:7]
	s_cbranch_execz .LBB1764_123
.LBB1764_38:
	v_add_co_u32_e32 v16, vcc, v1, v12
	v_addc_co_u32_e32 v17, vcc, 0, v48, vcc
	flat_load_dword v15, v[16:17] offset:2048
	s_or_b64 exec, exec, s[4:5]
                                        ; implicit-def: $vgpr16
	s_and_saveexec_b64 s[4:5], s[8:9]
	s_cbranch_execnz .LBB1764_124
.LBB1764_39:
	s_or_b64 exec, exec, s[4:5]
                                        ; implicit-def: $vgpr17
	s_and_saveexec_b64 s[4:5], s[10:11]
	s_cbranch_execz .LBB1764_125
.LBB1764_40:
	v_lshlrev_b32_e32 v2, 2, v2
	v_add_co_u32_e32 v18, vcc, v1, v2
	v_addc_co_u32_e32 v19, vcc, 0, v48, vcc
	flat_load_dword v17, v[18:19]
	s_or_b64 exec, exec, s[4:5]
                                        ; implicit-def: $vgpr2
	s_and_saveexec_b64 s[4:5], s[12:13]
	s_cbranch_execnz .LBB1764_126
.LBB1764_41:
	s_or_b64 exec, exec, s[4:5]
                                        ; implicit-def: $vgpr3
	s_and_saveexec_b64 s[4:5], s[14:15]
	s_cbranch_execz .LBB1764_127
.LBB1764_42:
	v_lshlrev_b32_e32 v3, 2, v4
	v_add_co_u32_e32 v18, vcc, v1, v3
	v_addc_co_u32_e32 v19, vcc, 0, v48, vcc
	flat_load_dword v3, v[18:19]
	s_or_b64 exec, exec, s[4:5]
                                        ; implicit-def: $vgpr4
	s_and_saveexec_b64 s[4:5], s[16:17]
	s_cbranch_execnz .LBB1764_128
.LBB1764_43:
	s_or_b64 exec, exec, s[4:5]
                                        ; implicit-def: $vgpr5
	s_and_saveexec_b64 s[4:5], s[18:19]
	s_cbranch_execz .LBB1764_129
.LBB1764_44:
	v_lshlrev_b32_e32 v5, 2, v6
	v_add_co_u32_e32 v18, vcc, v1, v5
	v_addc_co_u32_e32 v19, vcc, 0, v48, vcc
	flat_load_dword v5, v[18:19]
	s_or_b64 exec, exec, s[4:5]
                                        ; implicit-def: $vgpr6
	s_and_saveexec_b64 s[4:5], s[20:21]
	s_cbranch_execnz .LBB1764_130
.LBB1764_45:
	s_or_b64 exec, exec, s[4:5]
                                        ; implicit-def: $vgpr7
	s_and_saveexec_b64 s[4:5], s[22:23]
	s_cbranch_execz .LBB1764_131
.LBB1764_46:
	v_lshlrev_b32_e32 v7, 2, v8
	v_add_co_u32_e32 v18, vcc, v1, v7
	v_addc_co_u32_e32 v19, vcc, 0, v48, vcc
	flat_load_dword v7, v[18:19]
	s_or_b64 exec, exec, s[4:5]
                                        ; implicit-def: $vgpr8
	s_and_saveexec_b64 s[4:5], s[24:25]
	s_cbranch_execnz .LBB1764_132
.LBB1764_47:
	s_or_b64 exec, exec, s[4:5]
                                        ; implicit-def: $vgpr9
	s_and_saveexec_b64 s[4:5], s[26:27]
	s_cbranch_execz .LBB1764_49
.LBB1764_48:
	v_lshlrev_b32_e32 v9, 2, v10
	v_add_co_u32_e32 v18, vcc, v1, v9
	v_addc_co_u32_e32 v19, vcc, 0, v48, vcc
	flat_load_dword v9, v[18:19]
.LBB1764_49:
	s_or_b64 exec, exec, s[4:5]
	v_mul_u32_u24_e32 v51, 14, v0
                                        ; implicit-def: $vgpr10
	s_and_saveexec_b64 s[4:5], s[28:29]
	s_cbranch_execz .LBB1764_51
; %bb.50:
	v_lshlrev_b32_e32 v10, 2, v11
	v_add_co_u32_e32 v10, vcc, v1, v10
	v_addc_co_u32_e32 v11, vcc, 0, v48, vcc
	flat_load_dword v10, v[10:11]
.LBB1764_51:
	s_or_b64 exec, exec, s[4:5]
	s_mov_b32 s4, 0
	s_mov_b32 s5, s4
	s_waitcnt vmcnt(0) lgkmcnt(0)
	ds_write2st64_b32 v12, v13, v14 offset1:4
	ds_write2st64_b32 v12, v15, v16 offset0:8 offset1:12
	ds_write2st64_b32 v12, v17, v2 offset0:16 offset1:20
	;; [unrolled: 1-line block ×6, first 2 shown]
	s_mov_b32 s6, s4
	s_mov_b32 s7, s4
	;; [unrolled: 1-line block ×6, first 2 shown]
	v_pk_mov_b32 v[2:3], s[4:5], s[4:5] op_sel:[0,1]
	v_pk_mov_b32 v[8:9], s[10:11], s[10:11] op_sel:[0,1]
	;; [unrolled: 1-line block ×6, first 2 shown]
	v_cmp_gt_u32_e32 vcc, s40, v51
	s_mov_b64 s[12:13], 0
	v_pk_mov_b32 v[40:41], 0, 0
	s_mov_b64 s[18:19], 0
	v_pk_mov_b32 v[14:15], v[6:7], v[6:7] op_sel:[0,1]
	v_pk_mov_b32 v[12:13], v[4:5], v[4:5] op_sel:[0,1]
	;; [unrolled: 1-line block ×6, first 2 shown]
	s_waitcnt lgkmcnt(0)
	s_barrier
	s_waitcnt lgkmcnt(0)
                                        ; implicit-def: $sgpr16_sgpr17
                                        ; implicit-def: $vgpr46
	s_and_saveexec_b64 s[14:15], vcc
	s_cbranch_execz .LBB1764_79
; %bb.52:
	ds_read_b32 v2, v50
	v_mov_b32_e32 v4, s54
	v_cmp_eq_u32_e32 vcc, v34, v35
	v_or_b32_e32 v3, 1, v51
                                        ; implicit-def: $vgpr46
	s_waitcnt lgkmcnt(0)
	v_cndmask_b32_e32 v40, v4, v2, vcc
	v_cmp_ne_u32_e32 vcc, v34, v35
	v_cndmask_b32_e64 v41, 0, 1, vcc
	v_cmp_gt_u32_e32 vcc, s40, v3
	v_pk_mov_b32 v[2:3], s[4:5], s[4:5] op_sel:[0,1]
	v_pk_mov_b32 v[8:9], s[10:11], s[10:11] op_sel:[0,1]
	;; [unrolled: 1-line block ×12, first 2 shown]
                                        ; implicit-def: $sgpr4_sgpr5
	s_and_saveexec_b64 s[16:17], vcc
	s_cbranch_execz .LBB1764_78
; %bb.53:
	ds_read2_b32 v[46:47], v50 offset0:1 offset1:2
	s_mov_b32 s4, 0
	v_mov_b32_e32 v3, s54
	v_cmp_eq_u32_e32 vcc, v35, v36
	s_mov_b32 s10, s4
	s_mov_b32 s11, s4
	v_add_u32_e32 v2, 2, v51
	s_waitcnt lgkmcnt(0)
	v_cndmask_b32_e32 v8, v3, v46, vcc
	v_cmp_ne_u32_e32 vcc, v35, v36
	s_mov_b32 s5, s4
	s_mov_b32 s6, s4
	;; [unrolled: 1-line block ×5, first 2 shown]
	v_pk_mov_b32 v[16:17], s[10:11], s[10:11] op_sel:[0,1]
	v_cndmask_b32_e64 v9, 0, 1, vcc
	v_cmp_gt_u32_e32 vcc, s40, v2
	v_mov_b32_e32 v2, 0
	v_pk_mov_b32 v[14:15], s[8:9], s[8:9] op_sel:[0,1]
	v_pk_mov_b32 v[12:13], s[6:7], s[6:7] op_sel:[0,1]
	;; [unrolled: 1-line block ×4, first 2 shown]
	v_mov_b32_e32 v3, v2
	v_mov_b32_e32 v4, v2
	;; [unrolled: 1-line block ×5, first 2 shown]
	s_mov_b64 s[20:21], 0
	v_pk_mov_b32 v[22:23], v[14:15], v[14:15] op_sel:[0,1]
	v_pk_mov_b32 v[20:21], v[12:13], v[12:13] op_sel:[0,1]
	;; [unrolled: 1-line block ×3, first 2 shown]
                                        ; implicit-def: $sgpr24_sgpr25
                                        ; implicit-def: $vgpr46
	s_and_saveexec_b64 s[18:19], vcc
	s_cbranch_execz .LBB1764_77
; %bb.54:
	v_mov_b32_e32 v4, s54
	v_cmp_eq_u32_e32 vcc, v36, v37
	v_pk_mov_b32 v[16:17], s[10:11], s[10:11] op_sel:[0,1]
	v_add_u32_e32 v3, 3, v51
	v_cndmask_b32_e32 v6, v4, v47, vcc
	v_cmp_ne_u32_e32 vcc, v36, v37
	v_pk_mov_b32 v[14:15], s[8:9], s[8:9] op_sel:[0,1]
	v_pk_mov_b32 v[12:13], s[6:7], s[6:7] op_sel:[0,1]
	;; [unrolled: 1-line block ×4, first 2 shown]
	v_cndmask_b32_e64 v7, 0, 1, vcc
	v_cmp_gt_u32_e32 vcc, s40, v3
	v_mov_b32_e32 v3, v2
	v_mov_b32_e32 v4, v2
	;; [unrolled: 1-line block ×3, first 2 shown]
	s_mov_b64 s[22:23], 0
	v_pk_mov_b32 v[22:23], v[14:15], v[14:15] op_sel:[0,1]
	v_pk_mov_b32 v[20:21], v[12:13], v[12:13] op_sel:[0,1]
	;; [unrolled: 1-line block ×3, first 2 shown]
                                        ; implicit-def: $sgpr4_sgpr5
                                        ; implicit-def: $vgpr46
	s_and_saveexec_b64 s[20:21], vcc
	s_cbranch_execz .LBB1764_76
; %bb.55:
	ds_read2_b32 v[34:35], v50 offset0:3 offset1:4
	s_mov_b32 s4, 0
	s_mov_b32 s10, s4
	;; [unrolled: 1-line block ×3, first 2 shown]
	v_mov_b32_e32 v3, s54
	v_cmp_eq_u32_e32 vcc, v37, v30
	s_mov_b32 s5, s4
	s_mov_b32 s6, s4
	;; [unrolled: 1-line block ×5, first 2 shown]
	v_pk_mov_b32 v[16:17], s[10:11], s[10:11] op_sel:[0,1]
	v_add_u32_e32 v2, 4, v51
	s_waitcnt lgkmcnt(0)
	v_cndmask_b32_e32 v4, v3, v34, vcc
	v_cmp_ne_u32_e32 vcc, v37, v30
	v_pk_mov_b32 v[14:15], s[8:9], s[8:9] op_sel:[0,1]
	v_pk_mov_b32 v[12:13], s[6:7], s[6:7] op_sel:[0,1]
	v_pk_mov_b32 v[10:11], s[4:5], s[4:5] op_sel:[0,1]
	v_pk_mov_b32 v[24:25], v[16:17], v[16:17] op_sel:[0,1]
	v_cndmask_b32_e64 v5, 0, 1, vcc
	v_cmp_gt_u32_e32 vcc, s40, v2
	v_mov_b32_e32 v2, s4
	v_mov_b32_e32 v3, s4
	s_mov_b64 s[24:25], 0
	v_pk_mov_b32 v[22:23], v[14:15], v[14:15] op_sel:[0,1]
	v_pk_mov_b32 v[20:21], v[12:13], v[12:13] op_sel:[0,1]
	;; [unrolled: 1-line block ×3, first 2 shown]
                                        ; implicit-def: $sgpr26_sgpr27
                                        ; implicit-def: $vgpr46
	s_and_saveexec_b64 s[22:23], vcc
	s_cbranch_execz .LBB1764_75
; %bb.56:
	v_mov_b32_e32 v2, s54
	v_cmp_eq_u32_e32 vcc, v30, v31
	v_add_u32_e32 v10, 5, v51
	v_cndmask_b32_e32 v2, v2, v35, vcc
	v_cmp_ne_u32_e32 vcc, v30, v31
	v_cndmask_b32_e64 v3, 0, 1, vcc
	v_cmp_gt_u32_e32 vcc, s40, v10
	v_pk_mov_b32 v[16:17], s[10:11], s[10:11] op_sel:[0,1]
	v_pk_mov_b32 v[14:15], s[8:9], s[8:9] op_sel:[0,1]
	;; [unrolled: 1-line block ×5, first 2 shown]
	s_mov_b64 s[28:29], 0
	v_pk_mov_b32 v[22:23], v[14:15], v[14:15] op_sel:[0,1]
	v_pk_mov_b32 v[20:21], v[12:13], v[12:13] op_sel:[0,1]
	;; [unrolled: 1-line block ×3, first 2 shown]
                                        ; implicit-def: $sgpr4_sgpr5
                                        ; implicit-def: $vgpr46
	s_and_saveexec_b64 s[24:25], vcc
	s_cbranch_execz .LBB1764_74
; %bb.57:
	ds_read2_b32 v[34:35], v50 offset0:5 offset1:6
	v_mov_b32_e32 v11, s54
	v_cmp_eq_u32_e32 vcc, v31, v32
	s_mov_b32 s4, 0
	v_add_u32_e32 v10, 6, v51
	s_waitcnt lgkmcnt(0)
	v_cndmask_b32_e32 v16, v11, v34, vcc
	v_cmp_ne_u32_e32 vcc, v31, v32
	s_mov_b32 s10, s4
	s_mov_b32 s11, s4
	v_cndmask_b32_e64 v17, 0, 1, vcc
	v_cmp_gt_u32_e32 vcc, s40, v10
	v_mov_b32_e32 v10, 0
	s_mov_b32 s5, s4
	s_mov_b32 s6, s4
	;; [unrolled: 1-line block ×5, first 2 shown]
	v_pk_mov_b32 v[24:25], s[10:11], s[10:11] op_sel:[0,1]
	v_mov_b32_e32 v11, v10
	v_mov_b32_e32 v12, v10
	;; [unrolled: 1-line block ×5, first 2 shown]
	v_pk_mov_b32 v[22:23], s[8:9], s[8:9] op_sel:[0,1]
	v_pk_mov_b32 v[20:21], s[6:7], s[6:7] op_sel:[0,1]
	;; [unrolled: 1-line block ×3, first 2 shown]
                                        ; implicit-def: $sgpr36_sgpr37
                                        ; implicit-def: $vgpr46
	s_and_saveexec_b64 s[26:27], vcc
	s_cbranch_execz .LBB1764_73
; %bb.58:
	v_mov_b32_e32 v12, s54
	v_cmp_eq_u32_e32 vcc, v32, v33
	v_add_u32_e32 v11, 7, v51
	v_cndmask_b32_e32 v14, v12, v35, vcc
	v_cmp_ne_u32_e32 vcc, v32, v33
	v_pk_mov_b32 v[24:25], s[10:11], s[10:11] op_sel:[0,1]
	v_cndmask_b32_e64 v15, 0, 1, vcc
	v_cmp_gt_u32_e32 vcc, s40, v11
	v_mov_b32_e32 v11, v10
	v_mov_b32_e32 v12, v10
	v_mov_b32_e32 v13, v10
	s_mov_b64 s[30:31], 0
	v_pk_mov_b32 v[22:23], s[8:9], s[8:9] op_sel:[0,1]
	v_pk_mov_b32 v[20:21], s[6:7], s[6:7] op_sel:[0,1]
	;; [unrolled: 1-line block ×3, first 2 shown]
                                        ; implicit-def: $sgpr4_sgpr5
                                        ; implicit-def: $vgpr46
	s_and_saveexec_b64 s[28:29], vcc
	s_cbranch_execz .LBB1764_72
; %bb.59:
	ds_read2_b32 v[30:31], v50 offset0:7 offset1:8
	s_mov_b32 s4, 0
	v_mov_b32_e32 v11, s54
	v_cmp_eq_u32_e32 vcc, v33, v26
	s_mov_b32 s10, s4
	s_mov_b32 s11, s4
	v_add_u32_e32 v10, 8, v51
	s_waitcnt lgkmcnt(0)
	v_cndmask_b32_e32 v12, v11, v30, vcc
	v_cmp_ne_u32_e32 vcc, v33, v26
	s_mov_b32 s5, s4
	s_mov_b32 s6, s4
	;; [unrolled: 1-line block ×5, first 2 shown]
	v_pk_mov_b32 v[24:25], s[10:11], s[10:11] op_sel:[0,1]
	v_cndmask_b32_e64 v13, 0, 1, vcc
	v_cmp_gt_u32_e32 vcc, s40, v10
	v_mov_b32_e32 v10, s4
	v_mov_b32_e32 v11, s4
	s_mov_b64 s[36:37], 0
	v_pk_mov_b32 v[22:23], s[8:9], s[8:9] op_sel:[0,1]
	v_pk_mov_b32 v[20:21], s[6:7], s[6:7] op_sel:[0,1]
	;; [unrolled: 1-line block ×3, first 2 shown]
                                        ; implicit-def: $sgpr38_sgpr39
                                        ; implicit-def: $vgpr46
	s_and_saveexec_b64 s[30:31], vcc
	s_cbranch_execz .LBB1764_71
; %bb.60:
	v_mov_b32_e32 v10, s54
	v_cmp_eq_u32_e32 vcc, v26, v27
	v_add_u32_e32 v18, 9, v51
	v_cndmask_b32_e32 v10, v10, v31, vcc
	v_cmp_ne_u32_e32 vcc, v26, v27
	v_cndmask_b32_e64 v11, 0, 1, vcc
	v_cmp_gt_u32_e32 vcc, s40, v18
	v_pk_mov_b32 v[24:25], s[10:11], s[10:11] op_sel:[0,1]
	v_pk_mov_b32 v[22:23], s[8:9], s[8:9] op_sel:[0,1]
	;; [unrolled: 1-line block ×4, first 2 shown]
                                        ; implicit-def: $sgpr6_sgpr7
                                        ; implicit-def: $vgpr46
	s_and_saveexec_b64 s[4:5], vcc
	s_cbranch_execz .LBB1764_70
; %bb.61:
	ds_read2_b32 v[30:31], v50 offset0:9 offset1:10
	v_mov_b32_e32 v18, s54
	v_cmp_eq_u32_e32 vcc, v27, v28
	v_add_u32_e32 v20, 10, v51
	v_mov_b32_e32 v22, 0
	s_waitcnt lgkmcnt(0)
	v_cndmask_b32_e32 v18, v18, v30, vcc
	v_cmp_ne_u32_e32 vcc, v27, v28
	v_cndmask_b32_e64 v19, 0, 1, vcc
	v_cmp_gt_u32_e32 vcc, s40, v20
	v_mov_b32_e32 v20, v22
	v_mov_b32_e32 v21, v22
	;; [unrolled: 1-line block ×5, first 2 shown]
	s_mov_b64 s[8:9], 0
                                        ; implicit-def: $sgpr36_sgpr37
                                        ; implicit-def: $vgpr46
	s_and_saveexec_b64 s[6:7], vcc
	s_cbranch_execz .LBB1764_69
; %bb.62:
	v_mov_b32_e32 v20, s54
	v_cmp_eq_u32_e32 vcc, v28, v29
	v_add_u32_e32 v23, 11, v51
	v_cndmask_b32_e32 v20, v20, v31, vcc
	v_cmp_ne_u32_e32 vcc, v28, v29
	v_cndmask_b32_e64 v21, 0, 1, vcc
	v_cmp_gt_u32_e32 vcc, s40, v23
	s_mov_b32 s36, 0
	v_mov_b32_e32 v23, v22
	v_mov_b32_e32 v24, v22
	;; [unrolled: 1-line block ×3, first 2 shown]
	s_mov_b64 s[10:11], 0
                                        ; implicit-def: $sgpr38_sgpr39
                                        ; implicit-def: $vgpr46
	s_and_saveexec_b64 s[8:9], vcc
	s_cbranch_execz .LBB1764_68
; %bb.63:
	ds_read2_b32 v[26:27], v50 offset0:11 offset1:12
	v_mov_b32_e32 v22, s54
	v_cmp_eq_u32_e32 vcc, v29, v44
	v_add_u32_e32 v24, 12, v51
	v_mov_b32_e32 v25, s36
	s_waitcnt lgkmcnt(0)
	v_cndmask_b32_e32 v22, v22, v26, vcc
	v_cmp_ne_u32_e32 vcc, v29, v44
	v_cndmask_b32_e64 v23, 0, 1, vcc
	v_cmp_gt_u32_e32 vcc, s40, v24
	v_mov_b32_e32 v24, s36
	s_mov_b64 s[36:37], 0
                                        ; implicit-def: $sgpr38_sgpr39
                                        ; implicit-def: $vgpr46
	s_and_saveexec_b64 s[10:11], vcc
	s_cbranch_execz .LBB1764_67
; %bb.64:
	v_mov_b32_e32 v24, s54
	v_cmp_eq_u32_e32 vcc, v44, v45
	v_add_u32_e32 v26, 13, v51
	v_cndmask_b32_e32 v24, v24, v27, vcc
	v_cmp_ne_u32_e32 vcc, v44, v45
	v_cndmask_b32_e64 v25, 0, 1, vcc
	v_cmp_gt_u32_e32 vcc, s40, v26
                                        ; implicit-def: $sgpr38_sgpr39
                                        ; implicit-def: $vgpr46
	s_and_saveexec_b64 s[40:41], vcc
	s_xor_b64 s[40:41], exec, s[40:41]
	s_cbranch_execz .LBB1764_66
; %bb.65:
	ds_read_b32 v26, v50 offset:52
	v_mov_b32_e32 v27, s54
	v_cmp_ne_u32_e32 vcc, v45, v49
	s_mov_b64 s[36:37], exec
	s_and_b64 s[38:39], vcc, exec
	s_waitcnt lgkmcnt(0)
	v_cndmask_b32_e32 v46, v26, v27, vcc
.LBB1764_66:
	s_or_b64 exec, exec, s[40:41]
	s_and_b64 s[38:39], s[38:39], exec
	s_and_b64 s[36:37], s[36:37], exec
.LBB1764_67:
	s_or_b64 exec, exec, s[10:11]
	s_and_b64 s[38:39], s[38:39], exec
	s_and_b64 s[10:11], s[36:37], exec
.LBB1764_68:
	s_or_b64 exec, exec, s[8:9]
	s_and_b64 s[36:37], s[38:39], exec
	s_and_b64 s[8:9], s[10:11], exec
.LBB1764_69:
	s_or_b64 exec, exec, s[6:7]
	s_and_b64 s[6:7], s[36:37], exec
	s_and_b64 s[36:37], s[8:9], exec
.LBB1764_70:
	s_or_b64 exec, exec, s[4:5]
	s_and_b64 s[38:39], s[6:7], exec
	s_and_b64 s[36:37], s[36:37], exec
.LBB1764_71:
	s_or_b64 exec, exec, s[30:31]
	s_and_b64 s[4:5], s[38:39], exec
	s_and_b64 s[30:31], s[36:37], exec
.LBB1764_72:
	s_or_b64 exec, exec, s[28:29]
	s_and_b64 s[36:37], s[4:5], exec
	s_and_b64 s[28:29], s[30:31], exec
.LBB1764_73:
	s_or_b64 exec, exec, s[26:27]
	s_and_b64 s[4:5], s[36:37], exec
	s_and_b64 s[28:29], s[28:29], exec
.LBB1764_74:
	s_or_b64 exec, exec, s[24:25]
	s_and_b64 s[26:27], s[4:5], exec
	s_and_b64 s[24:25], s[28:29], exec
.LBB1764_75:
	s_or_b64 exec, exec, s[22:23]
	s_and_b64 s[4:5], s[26:27], exec
	s_and_b64 s[22:23], s[24:25], exec
.LBB1764_76:
	s_or_b64 exec, exec, s[20:21]
	s_and_b64 s[24:25], s[4:5], exec
	s_and_b64 s[20:21], s[22:23], exec
.LBB1764_77:
	s_or_b64 exec, exec, s[18:19]
	s_and_b64 s[4:5], s[24:25], exec
	s_and_b64 s[18:19], s[20:21], exec
.LBB1764_78:
	s_or_b64 exec, exec, s[16:17]
	s_and_b64 s[16:17], s[4:5], exec
	s_and_b64 s[18:19], s[18:19], exec
.LBB1764_79:
	s_or_b64 exec, exec, s[14:15]
	s_and_b64 vcc, exec, s[12:13]
	v_lshlrev_b32_e32 v52, 2, v0
	s_cbranch_vccnz .LBB1764_81
	s_branch .LBB1764_86
.LBB1764_80:
	s_mov_b64 s[18:19], 0
                                        ; implicit-def: $sgpr16_sgpr17
                                        ; implicit-def: $vgpr2_vgpr3_vgpr4_vgpr5_vgpr6_vgpr7_vgpr8_vgpr9
                                        ; implicit-def: $vgpr10_vgpr11_vgpr12_vgpr13_vgpr14_vgpr15_vgpr16_vgpr17
                                        ; implicit-def: $vgpr18_vgpr19_vgpr20_vgpr21_vgpr22_vgpr23_vgpr24_vgpr25
                                        ; implicit-def: $vgpr46
                                        ; implicit-def: $vgpr40_vgpr41
	s_and_b64 vcc, exec, s[12:13]
	v_lshlrev_b32_e32 v52, 2, v0
	s_cbranch_vccz .LBB1764_86
.LBB1764_81:
	v_add_co_u32_e32 v2, vcc, v42, v52
	v_addc_co_u32_e32 v3, vcc, 0, v43, vcc
	v_add_co_u32_e32 v4, vcc, 0x1000, v2
	v_addc_co_u32_e32 v5, vcc, 0, v3, vcc
	flat_load_dword v6, v[2:3]
	flat_load_dword v7, v[2:3] offset:1024
	flat_load_dword v8, v[2:3] offset:2048
	;; [unrolled: 1-line block ×3, first 2 shown]
	flat_load_dword v10, v[4:5]
	flat_load_dword v11, v[4:5] offset:1024
	flat_load_dword v12, v[4:5] offset:2048
	;; [unrolled: 1-line block ×3, first 2 shown]
	v_add_co_u32_e32 v4, vcc, 0x2000, v2
	v_addc_co_u32_e32 v5, vcc, 0, v3, vcc
	v_add_co_u32_e32 v2, vcc, 0x3000, v2
	v_addc_co_u32_e32 v3, vcc, 0, v3, vcc
	flat_load_dword v14, v[4:5]
	flat_load_dword v15, v[4:5] offset:1024
	flat_load_dword v16, v[4:5] offset:2048
	;; [unrolled: 1-line block ×3, first 2 shown]
	flat_load_dword v18, v[2:3]
	flat_load_dword v19, v[2:3] offset:1024
	v_add_co_u32_e32 v2, vcc, 0x3000, v42
	v_addc_co_u32_e32 v3, vcc, 0, v43, vcc
	s_movk_i32 s6, 0xffcc
	s_movk_i32 s9, 0x1000
	s_mov_b32 s4, 0
	s_movk_i32 s8, 0x2000
	s_movk_i32 s5, 0x3000
	s_waitcnt vmcnt(0) lgkmcnt(0)
	ds_write2st64_b32 v52, v6, v7 offset1:4
	ds_write2st64_b32 v52, v8, v9 offset0:8 offset1:12
	ds_write2st64_b32 v52, v10, v11 offset0:16 offset1:20
	;; [unrolled: 1-line block ×6, first 2 shown]
	s_waitcnt lgkmcnt(0)
	s_barrier
	flat_load_dword v34, v[2:3] offset:2048
	v_mad_u32_u24 v6, v0, 52, v52
	v_mad_i32_i24 v2, v0, s6, v6
	s_movk_i32 s6, 0xff
	v_cmp_ne_u32_e32 vcc, s6, v0
	ds_read2_b32 v[26:27], v6 offset1:13
	ds_read2_b32 v[18:19], v6 offset0:7 offset1:8
	ds_read2_b32 v[20:21], v6 offset0:5 offset1:6
	;; [unrolled: 1-line block ×6, first 2 shown]
	s_waitcnt lgkmcnt(0)
	ds_write_b32 v2, v26 offset:15360
	s_waitcnt lgkmcnt(0)
	s_barrier
	s_and_saveexec_b64 s[6:7], vcc
	s_cbranch_execz .LBB1764_83
; %bb.82:
	s_waitcnt vmcnt(0)
	ds_read_b32 v34, v52 offset:15364
.LBB1764_83:
	s_or_b64 exec, exec, s[6:7]
	v_add_co_u32_e32 v2, vcc, v1, v52
	v_addc_co_u32_e32 v3, vcc, 0, v48, vcc
	v_add_co_u32_e32 v4, vcc, s9, v2
	v_addc_co_u32_e32 v5, vcc, 0, v3, vcc
	s_waitcnt lgkmcnt(0)
	s_barrier
	flat_load_dword v1, v[2:3]
	flat_load_dword v7, v[2:3] offset:1024
	flat_load_dword v8, v[2:3] offset:2048
	;; [unrolled: 1-line block ×3, first 2 shown]
	flat_load_dword v14, v[4:5]
	flat_load_dword v15, v[4:5] offset:1024
	flat_load_dword v16, v[4:5] offset:2048
	;; [unrolled: 1-line block ×3, first 2 shown]
	v_add_co_u32_e32 v4, vcc, s8, v2
	v_addc_co_u32_e32 v5, vcc, 0, v3, vcc
	v_add_co_u32_e32 v2, vcc, s5, v2
	v_addc_co_u32_e32 v3, vcc, 0, v3, vcc
	flat_load_dword v22, v[4:5]
	flat_load_dword v23, v[4:5] offset:1024
	flat_load_dword v24, v[4:5] offset:2048
	;; [unrolled: 1-line block ×3, first 2 shown]
	flat_load_dword v32, v[2:3]
	flat_load_dword v33, v[2:3] offset:1024
	s_mov_b32 s5, 1
	v_cmp_eq_u32_e32 vcc, v26, v12
	v_pk_mov_b32 v[40:41], s[4:5], s[4:5] op_sel:[0,1]
	s_waitcnt vmcnt(0) lgkmcnt(0)
	ds_write2st64_b32 v52, v1, v7 offset1:4
	ds_write2st64_b32 v52, v8, v9 offset0:8 offset1:12
	ds_write2st64_b32 v52, v14, v15 offset0:16 offset1:20
	;; [unrolled: 1-line block ×6, first 2 shown]
	s_waitcnt lgkmcnt(0)
	s_barrier
	ds_read2_b32 v[24:25], v6 offset0:7 offset1:8
	ds_read2_b32 v[14:15], v6 offset0:5 offset1:6
	;; [unrolled: 1-line block ×4, first 2 shown]
	ds_read_b32 v1, v6 offset:52
	ds_read2_b32 v[22:23], v6 offset0:11 offset1:12
	ds_read2_b32 v[32:33], v6 offset0:9 offset1:10
	v_mov_b32_e32 v7, s54
	s_and_saveexec_b64 s[4:5], vcc
	s_cbranch_execz .LBB1764_85
; %bb.84:
	ds_read_b32 v7, v6
	v_pk_mov_b32 v[40:41], 0, 0
.LBB1764_85:
	s_or_b64 exec, exec, s[4:5]
	v_mov_b32_e32 v26, s54
	v_cmp_eq_u32_e32 vcc, v12, v13
	s_waitcnt lgkmcnt(3)
	v_cndmask_b32_e32 v8, v26, v4, vcc
	v_cmp_eq_u32_e32 vcc, v13, v10
	v_cndmask_b32_e32 v6, v26, v5, vcc
	v_cmp_eq_u32_e32 vcc, v10, v11
	;; [unrolled: 2-line block ×3, first 2 shown]
	v_cndmask_b32_e32 v2, v26, v3, vcc
	v_cmp_ne_u32_e32 vcc, v12, v13
	v_cndmask_b32_e64 v9, 0, 1, vcc
	v_cmp_ne_u32_e32 vcc, v13, v10
	s_waitcnt lgkmcnt(0)
	v_or_b32_e32 v40, v40, v7
	v_cndmask_b32_e64 v7, 0, 1, vcc
	v_cmp_ne_u32_e32 vcc, v10, v11
	v_cndmask_b32_e64 v5, 0, 1, vcc
	v_cmp_ne_u32_e32 vcc, v11, v20
	v_cndmask_b32_e64 v3, 0, 1, vcc
	v_cmp_eq_u32_e32 vcc, v20, v21
	v_cndmask_b32_e32 v16, v26, v14, vcc
	v_cmp_eq_u32_e32 vcc, v21, v18
	v_cndmask_b32_e32 v14, v26, v15, vcc
	;; [unrolled: 2-line block ×4, first 2 shown]
	v_cmp_ne_u32_e32 vcc, v20, v21
	v_cndmask_b32_e64 v17, 0, 1, vcc
	v_cmp_ne_u32_e32 vcc, v21, v18
	v_cndmask_b32_e64 v15, 0, 1, vcc
	;; [unrolled: 2-line block ×4, first 2 shown]
	v_cmp_eq_u32_e32 vcc, v31, v27
	v_cndmask_b32_e32 v24, v26, v23, vcc
	v_cmp_eq_u32_e32 vcc, v30, v31
	v_cndmask_b32_e32 v22, v26, v22, vcc
	;; [unrolled: 2-line block ×4, first 2 shown]
	v_cmp_ne_u32_e32 vcc, v31, v27
	v_cndmask_b32_e64 v25, 0, 1, vcc
	v_cmp_ne_u32_e32 vcc, v30, v31
	v_cndmask_b32_e64 v23, 0, 1, vcc
	;; [unrolled: 2-line block ×3, first 2 shown]
	v_cmp_ne_u32_e32 vcc, v28, v29
	v_cmp_ne_u32_e64 s[16:17], v27, v34
	v_cndmask_b32_e64 v19, 0, 1, vcc
	v_cndmask_b32_e64 v46, v1, v26, s[16:17]
	s_mov_b64 s[18:19], -1
                                        ; implicit-def: $sgpr12_sgpr13
.LBB1764_86:
	v_pk_mov_b32 v[42:43], s[12:13], s[12:13] op_sel:[0,1]
	s_and_saveexec_b64 s[4:5], s[18:19]
; %bb.87:
	v_cndmask_b32_e64 v47, 0, 1, s[16:17]
	v_pk_mov_b32 v[42:43], v[46:47], v[46:47] op_sel:[0,1]
; %bb.88:
	s_or_b64 exec, exec, s[4:5]
	s_mov_b32 s28, 0
	s_cmp_lg_u32 s47, 0
	v_mbcnt_lo_u32_b32 v54, -1, 0
	v_lshrrev_b32_e32 v1, 6, v0
	v_or_b32_e32 v53, 63, v0
	s_barrier
	s_cbranch_scc0 .LBB1764_133
; %bb.89:
	s_mov_b32 s29, 1
	v_cmp_gt_u64_e64 s[4:5], s[28:29], v[8:9]
	v_cndmask_b32_e64 v27, 0, v40, s[4:5]
	v_add_u32_e32 v27, v27, v8
	v_cmp_gt_u64_e64 s[6:7], s[28:29], v[6:7]
	v_cndmask_b32_e64 v27, 0, v27, s[6:7]
	v_add_u32_e32 v27, v27, v6
	;; [unrolled: 3-line block ×12, first 2 shown]
	v_cmp_gt_u64_e32 vcc, s[28:29], v[42:43]
	v_cndmask_b32_e32 v27, 0, v27, vcc
	v_add_u32_e32 v28, v27, v42
	v_or3_b32 v27, v43, v25, v23
	v_or3_b32 v27, v27, v21, v19
	;; [unrolled: 1-line block ×6, first 2 shown]
	v_mov_b32_e32 v26, 0
	v_and_b32_e32 v27, 1, v27
	v_cmp_eq_u64_e32 vcc, 0, v[26:27]
	v_cndmask_b32_e32 v27, 1, v41, vcc
	v_and_b32_e32 v29, 0xff, v27
	v_mov_b32_dpp v31, v28 row_shr:1 row_mask:0xf bank_mask:0xf
	v_cmp_eq_u16_e32 vcc, 0, v29
	v_mov_b32_dpp v32, v29 row_shr:1 row_mask:0xf bank_mask:0xf
	v_and_b32_e32 v33, 1, v27
	v_mbcnt_hi_u32_b32 v48, -1, v54
	v_cndmask_b32_e32 v31, 0, v31, vcc
	v_and_b32_e32 v32, 1, v32
	v_cmp_eq_u32_e32 vcc, 1, v33
	v_and_b32_e32 v30, 15, v48
	v_cndmask_b32_e64 v32, v32, 1, vcc
	v_and_b32_e32 v33, 0xffff, v32
	v_cmp_eq_u32_e32 vcc, 0, v30
	v_cndmask_b32_e32 v27, v32, v27, vcc
	v_cndmask_b32_e32 v29, v33, v29, vcc
	v_and_b32_e32 v33, 1, v27
	v_cndmask_b32_e64 v31, v31, 0, vcc
	v_mov_b32_dpp v32, v29 row_shr:2 row_mask:0xf bank_mask:0xf
	v_and_b32_e32 v32, 1, v32
	v_cmp_eq_u32_e32 vcc, 1, v33
	v_cndmask_b32_e64 v32, v32, 1, vcc
	v_and_b32_e32 v33, 0xffff, v32
	v_cmp_lt_u32_e32 vcc, 1, v30
	v_add_u32_e32 v28, v31, v28
	v_cmp_eq_u16_sdwa s[28:29], v27, v26 src0_sel:BYTE_0 src1_sel:DWORD
	v_cndmask_b32_e32 v27, v27, v32, vcc
	v_cndmask_b32_e32 v29, v29, v33, vcc
	v_mov_b32_dpp v31, v28 row_shr:2 row_mask:0xf bank_mask:0xf
	s_and_b64 vcc, vcc, s[28:29]
	v_mov_b32_dpp v32, v29 row_shr:4 row_mask:0xf bank_mask:0xf
	v_and_b32_e32 v33, 1, v27
	v_cndmask_b32_e32 v31, 0, v31, vcc
	v_and_b32_e32 v32, 1, v32
	v_cmp_eq_u32_e32 vcc, 1, v33
	v_cndmask_b32_e64 v32, v32, 1, vcc
	v_and_b32_e32 v33, 0xffff, v32
	v_cmp_lt_u32_e32 vcc, 3, v30
	v_add_u32_e32 v28, v31, v28
	v_cmp_eq_u16_sdwa s[28:29], v27, v26 src0_sel:BYTE_0 src1_sel:DWORD
	v_cndmask_b32_e32 v27, v27, v32, vcc
	v_cndmask_b32_e32 v29, v29, v33, vcc
	v_mov_b32_dpp v31, v28 row_shr:4 row_mask:0xf bank_mask:0xf
	s_and_b64 vcc, vcc, s[28:29]
	v_mov_b32_dpp v32, v29 row_shr:8 row_mask:0xf bank_mask:0xf
	v_and_b32_e32 v33, 1, v27
	v_cndmask_b32_e32 v31, 0, v31, vcc
	v_and_b32_e32 v32, 1, v32
	v_cmp_eq_u32_e32 vcc, 1, v33
	v_cndmask_b32_e64 v32, v32, 1, vcc
	v_add_u32_e32 v28, v31, v28
	v_cmp_eq_u16_sdwa s[28:29], v27, v26 src0_sel:BYTE_0 src1_sel:DWORD
	v_and_b32_e32 v33, 0xffff, v32
	v_cmp_lt_u32_e32 vcc, 7, v30
	v_mov_b32_dpp v31, v28 row_shr:8 row_mask:0xf bank_mask:0xf
	v_cndmask_b32_e32 v27, v27, v32, vcc
	v_cndmask_b32_e32 v29, v29, v33, vcc
	s_and_b64 vcc, vcc, s[28:29]
	v_cndmask_b32_e32 v30, 0, v31, vcc
	v_add_u32_e32 v28, v30, v28
	v_mov_b32_dpp v31, v29 row_bcast:15 row_mask:0xf bank_mask:0xf
	v_cmp_eq_u16_sdwa vcc, v27, v26 src0_sel:BYTE_0 src1_sel:DWORD
	v_mov_b32_dpp v30, v28 row_bcast:15 row_mask:0xf bank_mask:0xf
	v_and_b32_e32 v34, 1, v27
	v_cndmask_b32_e32 v30, 0, v30, vcc
	v_and_b32_e32 v31, 1, v31
	v_cmp_eq_u32_e32 vcc, 1, v34
	v_and_b32_e32 v33, 16, v48
	v_cndmask_b32_e64 v31, v31, 1, vcc
	v_and_b32_e32 v34, 0xffff, v31
	v_cmp_eq_u32_e32 vcc, 0, v33
	v_cndmask_b32_e32 v27, v31, v27, vcc
	v_cndmask_b32_e32 v29, v34, v29, vcc
	v_bfe_i32 v32, v48, 4, 1
	v_cmp_eq_u16_sdwa s[28:29], v27, v26 src0_sel:BYTE_0 src1_sel:DWORD
	v_mov_b32_dpp v29, v29 row_bcast:31 row_mask:0xf bank_mask:0xf
	v_and_b32_e32 v26, 1, v27
	v_and_b32_e32 v30, v32, v30
	;; [unrolled: 1-line block ×3, first 2 shown]
	v_cmp_eq_u32_e32 vcc, 1, v26
	v_add_u32_e32 v28, v30, v28
	v_cndmask_b32_e64 v26, v29, 1, vcc
	v_cmp_lt_u32_e32 vcc, 31, v48
	v_mov_b32_dpp v30, v28 row_bcast:31 row_mask:0xf bank_mask:0xf
	v_cndmask_b32_e32 v29, v27, v26, vcc
	s_and_b64 vcc, vcc, s[28:29]
	v_cndmask_b32_e32 v26, 0, v30, vcc
	v_add_u32_e32 v28, v26, v28
	v_cmp_eq_u32_e32 vcc, v53, v0
	s_and_saveexec_b64 s[28:29], vcc
	s_cbranch_execz .LBB1764_91
; %bb.90:
	v_lshlrev_b32_e32 v26, 3, v1
	ds_write_b32 v26, v28
	ds_write_b8 v26, v29 offset:4
.LBB1764_91:
	s_or_b64 exec, exec, s[28:29]
	v_cmp_gt_u32_e32 vcc, 4, v0
	s_waitcnt lgkmcnt(0)
	s_barrier
	s_and_saveexec_b64 s[28:29], vcc
	s_cbranch_execz .LBB1764_95
; %bb.92:
	v_lshlrev_b32_e32 v30, 3, v0
	ds_read_b64 v[26:27], v30
	v_and_b32_e32 v31, 3, v48
	v_cmp_ne_u32_e32 vcc, 0, v31
	s_waitcnt lgkmcnt(0)
	v_mov_b32_dpp v32, v26 row_shr:1 row_mask:0xf bank_mask:0xf
	v_mov_b32_dpp v34, v27 row_shr:1 row_mask:0xf bank_mask:0xf
	v_mov_b32_e32 v33, v27
	s_and_saveexec_b64 s[30:31], vcc
	s_cbranch_execz .LBB1764_94
; %bb.93:
	v_and_b32_e32 v33, 1, v27
	v_and_b32_e32 v34, 1, v34
	v_cmp_eq_u32_e32 vcc, 1, v33
	v_mov_b32_e32 v33, 0
	v_cndmask_b32_e64 v34, v34, 1, vcc
	v_cmp_eq_u16_sdwa vcc, v27, v33 src0_sel:BYTE_0 src1_sel:DWORD
	v_cndmask_b32_e32 v32, 0, v32, vcc
	v_add_u32_e32 v26, v32, v26
	v_and_b32_e32 v32, 0xffff, v34
	s_movk_i32 s36, 0xff00
	v_and_or_b32 v33, v27, s36, v32
	v_mov_b32_e32 v27, v34
.LBB1764_94:
	s_or_b64 exec, exec, s[30:31]
	v_mov_b32_dpp v33, v33 row_shr:2 row_mask:0xf bank_mask:0xf
	v_and_b32_e32 v34, 1, v27
	v_and_b32_e32 v33, 1, v33
	v_cmp_eq_u32_e32 vcc, 1, v34
	v_mov_b32_e32 v34, 0
	v_cndmask_b32_e64 v33, v33, 1, vcc
	v_cmp_eq_u16_sdwa s[30:31], v27, v34 src0_sel:BYTE_0 src1_sel:DWORD
	v_cmp_lt_u32_e32 vcc, 1, v31
	v_mov_b32_dpp v32, v26 row_shr:2 row_mask:0xf bank_mask:0xf
	v_cndmask_b32_e32 v27, v27, v33, vcc
	s_and_b64 vcc, vcc, s[30:31]
	v_cndmask_b32_e32 v31, 0, v32, vcc
	v_add_u32_e32 v26, v31, v26
	ds_write_b32 v30, v26
	ds_write_b8 v30, v27 offset:4
.LBB1764_95:
	s_or_b64 exec, exec, s[28:29]
	v_cmp_gt_u32_e32 vcc, 64, v0
	v_cmp_lt_u32_e64 s[28:29], 63, v0
	v_mov_b32_e32 v44, 0
	v_mov_b32_e32 v45, 0
	s_waitcnt lgkmcnt(0)
	s_barrier
	s_and_saveexec_b64 s[30:31], s[28:29]
	s_cbranch_execz .LBB1764_97
; %bb.96:
	v_lshl_add_u32 v26, v1, 3, -8
	ds_read_b32 v44, v26
	ds_read_u8 v45, v26 offset:4
	v_mov_b32_e32 v27, 0
	v_and_b32_e32 v30, 1, v29
	v_cmp_eq_u16_sdwa s[28:29], v29, v27 src0_sel:BYTE_0 src1_sel:DWORD
	s_waitcnt lgkmcnt(1)
	v_cndmask_b32_e64 v26, 0, v44, s[28:29]
	v_cmp_eq_u32_e64 s[28:29], 1, v30
	v_add_u32_e32 v28, v26, v28
	s_waitcnt lgkmcnt(0)
	v_cndmask_b32_e64 v29, v45, 1, s[28:29]
.LBB1764_97:
	s_or_b64 exec, exec, s[30:31]
	v_and_b32_e32 v26, 0xff, v29
	v_add_u32_e32 v27, -1, v48
	v_and_b32_e32 v29, 64, v48
	v_cmp_lt_i32_e64 s[28:29], v27, v29
	v_cndmask_b32_e64 v27, v27, v48, s[28:29]
	v_lshlrev_b32_e32 v27, 2, v27
	ds_bpermute_b32 v46, v27, v28
	ds_bpermute_b32 v47, v27, v26
	v_cmp_eq_u32_e64 s[28:29], 0, v48
	s_and_saveexec_b64 s[36:37], vcc
	s_cbranch_execz .LBB1764_120
; %bb.98:
	v_mov_b32_e32 v29, 0
	ds_read_b64 v[26:27], v29 offset:24
	s_waitcnt lgkmcnt(0)
	v_readfirstlane_b32 s48, v27
	s_and_saveexec_b64 s[30:31], s[28:29]
	s_cbranch_execz .LBB1764_100
; %bb.99:
	s_add_i32 s38, s47, 64
	s_mov_b32 s39, 0
	s_lshl_b64 s[40:41], s[38:39], 4
	s_add_u32 s40, s44, s40
	s_addc_u32 s41, s45, s41
	s_and_b32 s57, s48, 0xff000000
	s_mov_b32 s56, s39
	s_and_b32 s59, s48, 0xff0000
	s_mov_b32 s58, s39
	s_or_b64 s[56:57], s[58:59], s[56:57]
	s_and_b32 s59, s48, 0xff00
	s_or_b64 s[56:57], s[56:57], s[58:59]
	s_and_b32 s59, s48, 0xff
	s_or_b64 s[38:39], s[56:57], s[58:59]
	v_mov_b32_e32 v27, s39
	v_mov_b32_e32 v28, 1
	v_pk_mov_b32 v[30:31], s[40:41], s[40:41] op_sel:[0,1]
	;;#ASMSTART
	global_store_dwordx4 v[30:31], v[26:29] off	
s_waitcnt vmcnt(0)
	;;#ASMEND
.LBB1764_100:
	s_or_b64 exec, exec, s[30:31]
	v_xad_u32 v34, v48, -1, s47
	v_add_u32_e32 v28, 64, v34
	v_lshlrev_b64 v[30:31], 4, v[28:29]
	v_mov_b32_e32 v27, s45
	v_add_co_u32_e32 v36, vcc, s44, v30
	v_addc_co_u32_e32 v37, vcc, v27, v31, vcc
	;;#ASMSTART
	global_load_dwordx4 v[30:33], v[36:37] off glc	
s_waitcnt vmcnt(0)
	;;#ASMEND
	v_and_b32_e32 v27, 0xff0000, v30
	v_or_b32_sdwa v27, v30, v27 dst_sel:DWORD dst_unused:UNUSED_PAD src0_sel:WORD_0 src1_sel:DWORD
	v_and_b32_e32 v28, 0xff000000, v30
	v_and_b32_e32 v30, 0xff, v31
	v_or3_b32 v31, 0, 0, v30
	v_or3_b32 v30, v27, v28, 0
	v_cmp_eq_u16_sdwa s[38:39], v32, v29 src0_sel:BYTE_0 src1_sel:DWORD
	s_and_saveexec_b64 s[30:31], s[38:39]
	s_cbranch_execz .LBB1764_106
; %bb.101:
	s_mov_b32 s40, 1
	s_mov_b64 s[38:39], 0
	v_mov_b32_e32 v27, 0
.LBB1764_102:                           ; =>This Loop Header: Depth=1
                                        ;     Child Loop BB1764_103 Depth 2
	s_max_u32 s41, s40, 1
.LBB1764_103:                           ;   Parent Loop BB1764_102 Depth=1
                                        ; =>  This Inner Loop Header: Depth=2
	s_add_i32 s41, s41, -1
	s_cmp_eq_u32 s41, 0
	s_sleep 1
	s_cbranch_scc0 .LBB1764_103
; %bb.104:                              ;   in Loop: Header=BB1764_102 Depth=1
	s_cmp_lt_u32 s40, 32
	s_cselect_b64 s[56:57], -1, 0
	s_cmp_lg_u64 s[56:57], 0
	s_addc_u32 s40, s40, 0
	;;#ASMSTART
	global_load_dwordx4 v[30:33], v[36:37] off glc	
s_waitcnt vmcnt(0)
	;;#ASMEND
	v_cmp_ne_u16_sdwa s[56:57], v32, v27 src0_sel:BYTE_0 src1_sel:DWORD
	s_or_b64 s[38:39], s[56:57], s[38:39]
	s_andn2_b64 exec, exec, s[38:39]
	s_cbranch_execnz .LBB1764_102
; %bb.105:
	s_or_b64 exec, exec, s[38:39]
	v_and_b32_e32 v31, 0xff, v31
.LBB1764_106:
	s_or_b64 exec, exec, s[30:31]
	v_mov_b32_e32 v27, 2
	v_cmp_eq_u16_sdwa s[30:31], v32, v27 src0_sel:BYTE_0 src1_sel:DWORD
	v_lshlrev_b64 v[28:29], v48, -1
	v_and_b32_e32 v33, s31, v29
	v_or_b32_e32 v33, 0x80000000, v33
	v_and_b32_e32 v35, s30, v28
	v_ffbl_b32_e32 v33, v33
	v_and_b32_e32 v49, 63, v48
	v_add_u32_e32 v33, 32, v33
	v_ffbl_b32_e32 v35, v35
	v_cmp_ne_u32_e32 vcc, 63, v49
	v_min_u32_e32 v33, v35, v33
	v_addc_co_u32_e32 v35, vcc, 0, v48, vcc
	v_lshlrev_b32_e32 v50, 2, v35
	ds_bpermute_b32 v35, v50, v31
	ds_bpermute_b32 v36, v50, v30
	s_mov_b32 s38, 0
	v_and_b32_e32 v37, 1, v31
	s_mov_b32 s39, 1
	s_waitcnt lgkmcnt(1)
	v_and_b32_e32 v35, 1, v35
	v_cmp_eq_u32_e32 vcc, 1, v37
	v_cndmask_b32_e64 v35, v35, 1, vcc
	v_cmp_gt_u64_e32 vcc, s[38:39], v[30:31]
	v_cmp_lt_u32_e64 s[30:31], v49, v33
	s_and_b64 vcc, s[30:31], vcc
	v_and_b32_e32 v37, 0xffff, v35
	v_cndmask_b32_e64 v56, v31, v35, s[30:31]
	s_waitcnt lgkmcnt(0)
	v_cndmask_b32_e32 v35, 0, v36, vcc
	v_cmp_gt_u32_e32 vcc, 62, v49
	v_cndmask_b32_e64 v36, 0, 1, vcc
	v_lshlrev_b32_e32 v36, 1, v36
	v_cndmask_b32_e64 v31, v31, v37, s[30:31]
	v_add_lshl_u32 v51, v36, v48, 2
	ds_bpermute_b32 v36, v51, v31
	v_add_u32_e32 v30, v35, v30
	ds_bpermute_b32 v37, v51, v30
	v_and_b32_e32 v35, 1, v56
	v_cmp_eq_u32_e32 vcc, 1, v35
	s_waitcnt lgkmcnt(1)
	v_and_b32_e32 v36, 1, v36
	v_mov_b32_e32 v35, 0
	v_add_u32_e32 v55, 2, v49
	v_cndmask_b32_e64 v36, v36, 1, vcc
	v_cmp_eq_u16_sdwa vcc, v56, v35 src0_sel:BYTE_0 src1_sel:DWORD
	v_and_b32_e32 v57, 0xffff, v36
	s_waitcnt lgkmcnt(0)
	v_cndmask_b32_e32 v37, 0, v37, vcc
	v_cmp_gt_u32_e32 vcc, v55, v33
	v_cndmask_b32_e32 v36, v36, v56, vcc
	v_cndmask_b32_e64 v37, v37, 0, vcc
	v_cndmask_b32_e32 v31, v57, v31, vcc
	v_cmp_gt_u32_e32 vcc, 60, v49
	v_cndmask_b32_e64 v56, 0, 1, vcc
	v_lshlrev_b32_e32 v56, 2, v56
	v_add_lshl_u32 v56, v56, v48, 2
	ds_bpermute_b32 v58, v56, v31
	v_add_u32_e32 v30, v37, v30
	ds_bpermute_b32 v37, v56, v30
	v_and_b32_e32 v59, 1, v36
	v_cmp_eq_u32_e32 vcc, 1, v59
	s_waitcnt lgkmcnt(1)
	v_and_b32_e32 v58, 1, v58
	v_add_u32_e32 v57, 4, v49
	v_cndmask_b32_e64 v58, v58, 1, vcc
	v_cmp_eq_u16_sdwa vcc, v36, v35 src0_sel:BYTE_0 src1_sel:DWORD
	v_and_b32_e32 v59, 0xffff, v58
	s_waitcnt lgkmcnt(0)
	v_cndmask_b32_e32 v37, 0, v37, vcc
	v_cmp_gt_u32_e32 vcc, v57, v33
	v_cndmask_b32_e32 v36, v58, v36, vcc
	v_cndmask_b32_e64 v37, v37, 0, vcc
	v_cndmask_b32_e32 v31, v59, v31, vcc
	v_cmp_gt_u32_e32 vcc, 56, v49
	v_cndmask_b32_e64 v58, 0, 1, vcc
	v_lshlrev_b32_e32 v58, 3, v58
	v_add_lshl_u32 v58, v58, v48, 2
	ds_bpermute_b32 v60, v58, v31
	v_add_u32_e32 v30, v37, v30
	ds_bpermute_b32 v37, v58, v30
	v_and_b32_e32 v61, 1, v36
	v_cmp_eq_u32_e32 vcc, 1, v61
	s_waitcnt lgkmcnt(1)
	v_and_b32_e32 v60, 1, v60
	;; [unrolled: 21-line block ×4, first 2 shown]
	v_add_u32_e32 v64, 32, v49
	v_cndmask_b32_e64 v31, v31, 1, vcc
	v_cmp_eq_u16_sdwa vcc, v36, v35 src0_sel:BYTE_0 src1_sel:DWORD
	s_waitcnt lgkmcnt(0)
	v_cndmask_b32_e32 v37, 0, v37, vcc
	v_cmp_gt_u32_e32 vcc, v64, v33
	v_cndmask_b32_e64 v33, v37, 0, vcc
	v_cndmask_b32_e32 v31, v31, v36, vcc
	v_add_u32_e32 v30, v33, v30
	s_branch .LBB1764_108
.LBB1764_107:                           ;   in Loop: Header=BB1764_108 Depth=1
	s_or_b64 exec, exec, s[30:31]
	v_cmp_eq_u16_sdwa s[30:31], v32, v27 src0_sel:BYTE_0 src1_sel:DWORD
	v_and_b32_e32 v33, s31, v29
	ds_bpermute_b32 v37, v50, v31
	v_or_b32_e32 v33, 0x80000000, v33
	v_and_b32_e32 v36, s30, v28
	v_ffbl_b32_e32 v33, v33
	v_add_u32_e32 v33, 32, v33
	v_ffbl_b32_e32 v36, v36
	v_min_u32_e32 v33, v36, v33
	ds_bpermute_b32 v36, v50, v30
	v_and_b32_e32 v65, 1, v31
	s_waitcnt lgkmcnt(1)
	v_and_b32_e32 v37, 1, v37
	v_cmp_eq_u32_e32 vcc, 1, v65
	v_cndmask_b32_e64 v37, v37, 1, vcc
	v_cmp_gt_u64_e32 vcc, s[38:39], v[30:31]
	v_and_b32_e32 v65, 0xffff, v37
	v_cmp_lt_u32_e64 s[30:31], v49, v33
	v_cndmask_b32_e64 v37, v31, v37, s[30:31]
	v_cndmask_b32_e64 v31, v31, v65, s[30:31]
	s_and_b64 vcc, s[30:31], vcc
	ds_bpermute_b32 v65, v51, v31
	s_waitcnt lgkmcnt(1)
	v_cndmask_b32_e32 v36, 0, v36, vcc
	v_add_u32_e32 v30, v36, v30
	ds_bpermute_b32 v36, v51, v30
	v_and_b32_e32 v66, 1, v37
	s_waitcnt lgkmcnt(1)
	v_and_b32_e32 v65, 1, v65
	v_cmp_eq_u32_e32 vcc, 1, v66
	v_cndmask_b32_e64 v65, v65, 1, vcc
	v_cmp_eq_u16_sdwa vcc, v37, v35 src0_sel:BYTE_0 src1_sel:DWORD
	v_and_b32_e32 v66, 0xffff, v65
	s_waitcnt lgkmcnt(0)
	v_cndmask_b32_e32 v36, 0, v36, vcc
	v_cmp_gt_u32_e32 vcc, v55, v33
	v_cndmask_b32_e32 v31, v66, v31, vcc
	v_cndmask_b32_e32 v37, v65, v37, vcc
	ds_bpermute_b32 v65, v56, v31
	v_cndmask_b32_e64 v36, v36, 0, vcc
	v_add_u32_e32 v30, v36, v30
	ds_bpermute_b32 v36, v56, v30
	v_and_b32_e32 v66, 1, v37
	s_waitcnt lgkmcnt(1)
	v_and_b32_e32 v65, 1, v65
	v_cmp_eq_u32_e32 vcc, 1, v66
	v_cndmask_b32_e64 v65, v65, 1, vcc
	v_cmp_eq_u16_sdwa vcc, v37, v35 src0_sel:BYTE_0 src1_sel:DWORD
	v_and_b32_e32 v66, 0xffff, v65
	s_waitcnt lgkmcnt(0)
	v_cndmask_b32_e32 v36, 0, v36, vcc
	v_cmp_gt_u32_e32 vcc, v57, v33
	v_cndmask_b32_e32 v31, v66, v31, vcc
	v_cndmask_b32_e32 v37, v65, v37, vcc
	ds_bpermute_b32 v65, v58, v31
	v_cndmask_b32_e64 v36, v36, 0, vcc
	;; [unrolled: 16-line block ×3, first 2 shown]
	v_add_u32_e32 v30, v36, v30
	ds_bpermute_b32 v36, v60, v30
	v_and_b32_e32 v66, 1, v37
	s_waitcnt lgkmcnt(1)
	v_and_b32_e32 v65, 1, v65
	v_cmp_eq_u32_e32 vcc, 1, v66
	v_cndmask_b32_e64 v65, v65, 1, vcc
	v_cmp_eq_u16_sdwa vcc, v37, v35 src0_sel:BYTE_0 src1_sel:DWORD
	v_and_b32_e32 v66, 0xffff, v65
	s_waitcnt lgkmcnt(0)
	v_cndmask_b32_e32 v36, 0, v36, vcc
	v_cmp_gt_u32_e32 vcc, v61, v33
	v_cndmask_b32_e64 v36, v36, 0, vcc
	v_cndmask_b32_e32 v31, v66, v31, vcc
	ds_bpermute_b32 v31, v63, v31
	v_add_u32_e32 v30, v36, v30
	ds_bpermute_b32 v36, v63, v30
	v_cndmask_b32_e32 v37, v65, v37, vcc
	v_and_b32_e32 v65, 1, v37
	v_cmp_eq_u32_e32 vcc, 1, v65
	s_waitcnt lgkmcnt(1)
	v_cndmask_b32_e64 v31, v31, 1, vcc
	v_cmp_eq_u16_sdwa vcc, v37, v35 src0_sel:BYTE_0 src1_sel:DWORD
	s_waitcnt lgkmcnt(0)
	v_cndmask_b32_e32 v36, 0, v36, vcc
	v_cmp_gt_u32_e32 vcc, v64, v33
	v_cndmask_b32_e64 v33, v36, 0, vcc
	v_cndmask_b32_e32 v31, v31, v37, vcc
	v_add_u32_e32 v30, v33, v30
	v_cmp_eq_u16_sdwa vcc, v48, v35 src0_sel:BYTE_0 src1_sel:DWORD
	v_and_b32_e32 v33, 1, v48
	v_cndmask_b32_e32 v30, 0, v30, vcc
	v_and_b32_e32 v31, 1, v31
	v_cmp_eq_u32_e32 vcc, 1, v33
	v_subrev_u32_e32 v34, 64, v34
	v_add_u32_e32 v30, v30, v62
	v_cndmask_b32_e64 v31, v31, 1, vcc
.LBB1764_108:                           ; =>This Loop Header: Depth=1
                                        ;     Child Loop BB1764_111 Depth 2
                                        ;       Child Loop BB1764_112 Depth 3
	v_cmp_ne_u16_sdwa s[30:31], v32, v27 src0_sel:BYTE_0 src1_sel:DWORD
	v_mov_b32_e32 v48, v31
	v_cndmask_b32_e64 v31, 0, 1, s[30:31]
	;;#ASMSTART
	;;#ASMEND
	v_cmp_ne_u32_e32 vcc, 0, v31
	s_cmp_lg_u64 vcc, exec
	v_mov_b32_e32 v62, v30
	s_cbranch_scc1 .LBB1764_115
; %bb.109:                              ;   in Loop: Header=BB1764_108 Depth=1
	v_lshlrev_b64 v[30:31], 4, v[34:35]
	v_mov_b32_e32 v32, s45
	v_add_co_u32_e32 v36, vcc, s44, v30
	v_addc_co_u32_e32 v37, vcc, v32, v31, vcc
	;;#ASMSTART
	global_load_dwordx4 v[30:33], v[36:37] off glc	
s_waitcnt vmcnt(0)
	;;#ASMEND
	v_and_b32_e32 v33, 0xff0000, v30
	v_or_b32_sdwa v33, v30, v33 dst_sel:DWORD dst_unused:UNUSED_PAD src0_sel:WORD_0 src1_sel:DWORD
	v_and_b32_e32 v30, 0xff000000, v30
	v_and_b32_e32 v31, 0xff, v31
	v_or3_b32 v31, 0, 0, v31
	v_or3_b32 v30, v33, v30, 0
	v_cmp_eq_u16_sdwa s[40:41], v32, v35 src0_sel:BYTE_0 src1_sel:DWORD
	s_and_saveexec_b64 s[30:31], s[40:41]
	s_cbranch_execz .LBB1764_107
; %bb.110:                              ;   in Loop: Header=BB1764_108 Depth=1
	s_mov_b32 s49, 1
	s_mov_b64 s[40:41], 0
.LBB1764_111:                           ;   Parent Loop BB1764_108 Depth=1
                                        ; =>  This Loop Header: Depth=2
                                        ;       Child Loop BB1764_112 Depth 3
	s_max_u32 s55, s49, 1
.LBB1764_112:                           ;   Parent Loop BB1764_108 Depth=1
                                        ;     Parent Loop BB1764_111 Depth=2
                                        ; =>    This Inner Loop Header: Depth=3
	s_add_i32 s55, s55, -1
	s_cmp_eq_u32 s55, 0
	s_sleep 1
	s_cbranch_scc0 .LBB1764_112
; %bb.113:                              ;   in Loop: Header=BB1764_111 Depth=2
	s_cmp_lt_u32 s49, 32
	s_cselect_b64 s[56:57], -1, 0
	s_cmp_lg_u64 s[56:57], 0
	s_addc_u32 s49, s49, 0
	;;#ASMSTART
	global_load_dwordx4 v[30:33], v[36:37] off glc	
s_waitcnt vmcnt(0)
	;;#ASMEND
	v_cmp_ne_u16_sdwa s[56:57], v32, v35 src0_sel:BYTE_0 src1_sel:DWORD
	s_or_b64 s[40:41], s[56:57], s[40:41]
	s_andn2_b64 exec, exec, s[40:41]
	s_cbranch_execnz .LBB1764_111
; %bb.114:                              ;   in Loop: Header=BB1764_108 Depth=1
	s_or_b64 exec, exec, s[40:41]
	v_and_b32_e32 v31, 0xff, v31
	s_branch .LBB1764_107
.LBB1764_115:                           ;   in Loop: Header=BB1764_108 Depth=1
                                        ; implicit-def: $vgpr31
                                        ; implicit-def: $vgpr30
                                        ; implicit-def: $vgpr32
	s_cbranch_execz .LBB1764_108
; %bb.116:
	s_and_saveexec_b64 s[30:31], s[28:29]
	s_cbranch_execz .LBB1764_118
; %bb.117:
	s_and_b32 s38, s48, 0xff
	s_cmp_eq_u32 s38, 0
	s_cselect_b64 vcc, -1, 0
	s_bitcmp1_b32 s48, 0
	s_mov_b32 s39, 0
	s_cselect_b64 s[40:41], -1, 0
	s_add_i32 s38, s47, 64
	s_lshl_b64 s[38:39], s[38:39], 4
	v_cndmask_b32_e32 v27, 0, v62, vcc
	s_add_u32 s38, s44, s38
	v_add_u32_e32 v26, v27, v26
	v_and_b32_e32 v27, 1, v48
	s_addc_u32 s39, s45, s39
	v_mov_b32_e32 v29, 0
	v_cndmask_b32_e64 v27, v27, 1, s[40:41]
	v_mov_b32_e32 v28, 2
	v_pk_mov_b32 v[30:31], s[38:39], s[38:39] op_sel:[0,1]
	;;#ASMSTART
	global_store_dwordx4 v[30:31], v[26:29] off	
s_waitcnt vmcnt(0)
	;;#ASMEND
.LBB1764_118:
	s_or_b64 exec, exec, s[30:31]
	s_and_b64 exec, exec, s[0:1]
	s_cbranch_execz .LBB1764_120
; %bb.119:
	v_mov_b32_e32 v26, 0
	ds_write_b32 v26, v62 offset:24
	ds_write_b8 v26, v48 offset:28
.LBB1764_120:
	s_or_b64 exec, exec, s[36:37]
	v_mov_b32_e32 v28, 0
	s_waitcnt lgkmcnt(0)
	s_barrier
	ds_read_b32 v26, v28 offset:24
	v_cndmask_b32_e64 v27, v47, v45, s[28:29]
	v_cmp_eq_u16_sdwa vcc, v27, v28 src0_sel:BYTE_0 src1_sel:DWORD
	v_cndmask_b32_e64 v29, v46, v44, s[28:29]
	s_waitcnt lgkmcnt(0)
	v_cndmask_b32_e32 v27, 0, v26, vcc
	v_add_u32_e32 v27, v27, v29
	v_and_b32_e32 v29, 0xff, v41
	v_cndmask_b32_e64 v26, v27, v26, s[0:1]
	v_cmp_eq_u64_e32 vcc, 0, v[28:29]
	v_cndmask_b32_e32 v27, 0, v26, vcc
	v_add_u32_e32 v27, v27, v40
	v_cndmask_b32_e64 v28, 0, v27, s[4:5]
	v_add_u32_e32 v44, v28, v8
	v_cndmask_b32_e64 v28, 0, v44, s[6:7]
	v_add_u32_e32 v45, v28, v6
	v_cndmask_b32_e64 v28, 0, v45, s[8:9]
	v_add_u32_e32 v30, v28, v4
	v_cndmask_b32_e64 v28, 0, v30, s[10:11]
	v_add_u32_e32 v31, v28, v2
	v_cndmask_b32_e64 v28, 0, v31, s[12:13]
	v_add_u32_e32 v46, v28, v16
	v_cndmask_b32_e64 v28, 0, v46, s[14:15]
	v_add_u32_e32 v47, v28, v14
	v_cndmask_b32_e64 v28, 0, v47, s[16:17]
	v_add_u32_e32 v34, v28, v12
	v_cndmask_b32_e64 v28, 0, v34, s[18:19]
	v_add_u32_e32 v35, v28, v10
	v_cndmask_b32_e64 v28, 0, v35, s[20:21]
	v_add_u32_e32 v48, v28, v18
	v_cndmask_b32_e64 v28, 0, v48, s[22:23]
	v_add_u32_e32 v49, v28, v20
	v_cndmask_b32_e64 v28, 0, v49, s[24:25]
	v_add_u32_e32 v50, v28, v22
	v_cndmask_b32_e64 v28, 0, v50, s[26:27]
	v_add_u32_e32 v51, v28, v24
	s_branch .LBB1764_147
.LBB1764_121:
	s_or_b64 exec, exec, s[30:31]
                                        ; implicit-def: $vgpr14
	s_and_saveexec_b64 s[30:31], s[4:5]
	s_cbranch_execz .LBB1764_37
.LBB1764_122:
	v_add_co_u32_e32 v14, vcc, v1, v12
	v_addc_co_u32_e32 v15, vcc, 0, v48, vcc
	flat_load_dword v14, v[14:15] offset:1024
	s_or_b64 exec, exec, s[30:31]
                                        ; implicit-def: $vgpr15
	s_and_saveexec_b64 s[4:5], s[6:7]
	s_cbranch_execnz .LBB1764_38
.LBB1764_123:
	s_or_b64 exec, exec, s[4:5]
                                        ; implicit-def: $vgpr16
	s_and_saveexec_b64 s[4:5], s[8:9]
	s_cbranch_execz .LBB1764_39
.LBB1764_124:
	v_add_co_u32_e32 v16, vcc, v1, v12
	v_addc_co_u32_e32 v17, vcc, 0, v48, vcc
	flat_load_dword v16, v[16:17] offset:3072
	s_or_b64 exec, exec, s[4:5]
                                        ; implicit-def: $vgpr17
	s_and_saveexec_b64 s[4:5], s[10:11]
	s_cbranch_execnz .LBB1764_40
.LBB1764_125:
	s_or_b64 exec, exec, s[4:5]
                                        ; implicit-def: $vgpr2
	s_and_saveexec_b64 s[4:5], s[12:13]
	s_cbranch_execz .LBB1764_41
.LBB1764_126:
	v_lshlrev_b32_e32 v2, 2, v3
	v_add_co_u32_e32 v2, vcc, v1, v2
	v_addc_co_u32_e32 v3, vcc, 0, v48, vcc
	flat_load_dword v2, v[2:3]
	s_or_b64 exec, exec, s[4:5]
                                        ; implicit-def: $vgpr3
	s_and_saveexec_b64 s[4:5], s[14:15]
	s_cbranch_execnz .LBB1764_42
.LBB1764_127:
	s_or_b64 exec, exec, s[4:5]
                                        ; implicit-def: $vgpr4
	s_and_saveexec_b64 s[4:5], s[16:17]
	s_cbranch_execz .LBB1764_43
.LBB1764_128:
	v_lshlrev_b32_e32 v4, 2, v5
	v_add_co_u32_e32 v4, vcc, v1, v4
	v_addc_co_u32_e32 v5, vcc, 0, v48, vcc
	flat_load_dword v4, v[4:5]
	s_or_b64 exec, exec, s[4:5]
                                        ; implicit-def: $vgpr5
	s_and_saveexec_b64 s[4:5], s[18:19]
	s_cbranch_execnz .LBB1764_44
.LBB1764_129:
	s_or_b64 exec, exec, s[4:5]
                                        ; implicit-def: $vgpr6
	s_and_saveexec_b64 s[4:5], s[20:21]
	s_cbranch_execz .LBB1764_45
.LBB1764_130:
	v_lshlrev_b32_e32 v6, 2, v7
	v_add_co_u32_e32 v6, vcc, v1, v6
	v_addc_co_u32_e32 v7, vcc, 0, v48, vcc
	flat_load_dword v6, v[6:7]
	s_or_b64 exec, exec, s[4:5]
                                        ; implicit-def: $vgpr7
	s_and_saveexec_b64 s[4:5], s[22:23]
	s_cbranch_execnz .LBB1764_46
.LBB1764_131:
	s_or_b64 exec, exec, s[4:5]
                                        ; implicit-def: $vgpr8
	s_and_saveexec_b64 s[4:5], s[24:25]
	s_cbranch_execz .LBB1764_47
.LBB1764_132:
	v_lshlrev_b32_e32 v8, 2, v9
	v_add_co_u32_e32 v8, vcc, v1, v8
	v_addc_co_u32_e32 v9, vcc, 0, v48, vcc
	flat_load_dword v8, v[8:9]
	s_or_b64 exec, exec, s[4:5]
                                        ; implicit-def: $vgpr9
	s_and_saveexec_b64 s[4:5], s[26:27]
	s_cbranch_execz .LBB1764_49
	s_branch .LBB1764_48
.LBB1764_133:
                                        ; implicit-def: $vgpr51
                                        ; implicit-def: $vgpr49
                                        ; implicit-def: $vgpr47
                                        ; implicit-def: $vgpr45
                                        ; implicit-def: $vgpr34_vgpr35_vgpr36_vgpr37
                                        ; implicit-def: $vgpr30_vgpr31_vgpr32_vgpr33
                                        ; implicit-def: $vgpr26_vgpr27_vgpr28_vgpr29
	s_cbranch_execz .LBB1764_147
; %bb.134:
	s_cmp_lg_u64 s[52:53], 0
	s_cselect_b32 s5, s51, 0
	s_cselect_b32 s4, s50, 0
	s_mov_b32 s26, 0
	s_cmp_eq_u64 s[4:5], 0
	v_mov_b32_e32 v32, s54
	s_cbranch_scc1 .LBB1764_136
; %bb.135:
	v_mov_b32_e32 v26, 0
	global_load_dword v32, v26, s[4:5]
.LBB1764_136:
	s_mov_b32 s27, 1
	v_cmp_gt_u64_e32 vcc, s[26:27], v[8:9]
	v_cndmask_b32_e32 v27, 0, v40, vcc
	v_add_u32_e32 v27, v27, v8
	v_cmp_gt_u64_e64 s[4:5], s[26:27], v[6:7]
	v_cndmask_b32_e64 v27, 0, v27, s[4:5]
	v_add_u32_e32 v27, v27, v6
	v_cmp_gt_u64_e64 s[6:7], s[26:27], v[4:5]
	v_cndmask_b32_e64 v27, 0, v27, s[6:7]
	;; [unrolled: 3-line block ×11, first 2 shown]
	v_mov_b32_e32 v26, 0
	v_add_u32_e32 v27, v27, v24
	v_cmp_gt_u64_e64 s[26:27], s[26:27], v[42:43]
	v_or3_b32 v7, v23, v15, v7
	v_cndmask_b32_e64 v27, 0, v27, s[26:27]
	v_or3_b32 v9, v25, v17, v9
	v_and_b32_e32 v35, 1, v7
	v_mov_b32_e32 v34, v26
	v_add_u32_e32 v33, v27, v42
	v_and_b32_e32 v27, 1, v43
	v_or3_b32 v3, v19, v11, v3
	v_and_b32_e32 v31, 1, v9
	v_mov_b32_e32 v30, v26
	v_cmp_ne_u64_e64 s[28:29], 0, v[34:35]
	v_cmp_eq_u32_e64 s[26:27], 1, v27
	v_or3_b32 v5, v21, v13, v5
	v_and_b32_e32 v27, 1, v3
	v_cndmask_b32_e64 v3, 0, 1, s[28:29]
	v_cmp_ne_u64_e64 s[28:29], 0, v[30:31]
	v_and_b32_e32 v29, 1, v5
	v_mov_b32_e32 v28, v26
	v_cndmask_b32_e64 v5, 0, 1, s[28:29]
	v_lshlrev_b16_e32 v3, 2, v3
	v_lshlrev_b16_e32 v5, 3, v5
	v_cmp_ne_u64_e64 s[28:29], 0, v[28:29]
	v_or_b32_e32 v3, v5, v3
	v_cndmask_b32_e64 v5, 0, 1, s[28:29]
	v_cmp_ne_u64_e64 s[28:29], 0, v[26:27]
	v_lshlrev_b16_e32 v5, 1, v5
	v_cndmask_b32_e64 v7, 0, 1, s[28:29]
	v_or_b32_e32 v5, v7, v5
	v_and_b32_e32 v5, 3, v5
	v_or_b32_e32 v3, v5, v3
	v_and_b32_e32 v3, 15, v3
	v_cmp_ne_u16_e64 s[28:29], 0, v3
	s_or_b64 s[26:27], s[26:27], s[28:29]
	v_cndmask_b32_e64 v5, v41, 1, s[26:27]
	v_and_b32_e32 v7, 0xff, v5
	v_mov_b32_dpp v11, v33 row_shr:1 row_mask:0xf bank_mask:0xf
	v_cmp_eq_u16_e64 s[26:27], 0, v7
	v_mov_b32_dpp v13, v7 row_shr:1 row_mask:0xf bank_mask:0xf
	v_and_b32_e32 v15, 1, v5
	v_mbcnt_hi_u32_b32 v3, -1, v54
	v_cndmask_b32_e64 v11, 0, v11, s[26:27]
	v_and_b32_e32 v13, 1, v13
	v_cmp_eq_u32_e64 s[26:27], 1, v15
	v_and_b32_e32 v9, 15, v3
	v_cndmask_b32_e64 v13, v13, 1, s[26:27]
	v_and_b32_e32 v15, 0xffff, v13
	v_cmp_eq_u32_e64 s[26:27], 0, v9
	v_cndmask_b32_e64 v5, v13, v5, s[26:27]
	v_cndmask_b32_e64 v7, v15, v7, s[26:27]
	v_and_b32_e32 v17, 1, v5
	v_cndmask_b32_e64 v11, v11, 0, s[26:27]
	v_mov_b32_dpp v15, v7 row_shr:2 row_mask:0xf bank_mask:0xf
	v_and_b32_e32 v15, 1, v15
	v_cmp_eq_u32_e64 s[26:27], 1, v17
	v_cndmask_b32_e64 v15, v15, 1, s[26:27]
	v_and_b32_e32 v17, 0xffff, v15
	v_cmp_lt_u32_e64 s[26:27], 1, v9
	v_add_u32_e32 v11, v11, v33
	v_cmp_eq_u16_sdwa s[28:29], v5, v26 src0_sel:BYTE_0 src1_sel:DWORD
	v_cndmask_b32_e64 v5, v5, v15, s[26:27]
	v_cndmask_b32_e64 v7, v7, v17, s[26:27]
	v_mov_b32_dpp v13, v11 row_shr:2 row_mask:0xf bank_mask:0xf
	s_and_b64 s[26:27], s[26:27], s[28:29]
	v_mov_b32_dpp v15, v7 row_shr:4 row_mask:0xf bank_mask:0xf
	v_and_b32_e32 v17, 1, v5
	v_cndmask_b32_e64 v13, 0, v13, s[26:27]
	v_and_b32_e32 v15, 1, v15
	v_cmp_eq_u32_e64 s[26:27], 1, v17
	v_cndmask_b32_e64 v15, v15, 1, s[26:27]
	v_and_b32_e32 v17, 0xffff, v15
	v_cmp_lt_u32_e64 s[26:27], 3, v9
	v_add_u32_e32 v11, v13, v11
	v_cmp_eq_u16_sdwa s[28:29], v5, v26 src0_sel:BYTE_0 src1_sel:DWORD
	v_cndmask_b32_e64 v5, v5, v15, s[26:27]
	v_cndmask_b32_e64 v7, v7, v17, s[26:27]
	v_mov_b32_dpp v13, v11 row_shr:4 row_mask:0xf bank_mask:0xf
	s_and_b64 s[26:27], s[26:27], s[28:29]
	v_mov_b32_dpp v15, v7 row_shr:8 row_mask:0xf bank_mask:0xf
	v_and_b32_e32 v17, 1, v5
	v_cndmask_b32_e64 v13, 0, v13, s[26:27]
	v_and_b32_e32 v15, 1, v15
	v_cmp_eq_u32_e64 s[26:27], 1, v17
	v_cndmask_b32_e64 v15, v15, 1, s[26:27]
	v_add_u32_e32 v11, v13, v11
	v_cmp_eq_u16_sdwa s[28:29], v5, v26 src0_sel:BYTE_0 src1_sel:DWORD
	v_and_b32_e32 v17, 0xffff, v15
	v_cmp_lt_u32_e64 s[26:27], 7, v9
	v_mov_b32_dpp v13, v11 row_shr:8 row_mask:0xf bank_mask:0xf
	v_cndmask_b32_e64 v5, v5, v15, s[26:27]
	v_cndmask_b32_e64 v7, v7, v17, s[26:27]
	s_and_b64 s[26:27], s[26:27], s[28:29]
	v_cndmask_b32_e64 v9, 0, v13, s[26:27]
	v_add_u32_e32 v9, v9, v11
	v_mov_b32_dpp v13, v7 row_bcast:15 row_mask:0xf bank_mask:0xf
	v_cmp_eq_u16_sdwa s[26:27], v5, v26 src0_sel:BYTE_0 src1_sel:DWORD
	v_mov_b32_dpp v11, v9 row_bcast:15 row_mask:0xf bank_mask:0xf
	v_and_b32_e32 v19, 1, v5
	v_cndmask_b32_e64 v11, 0, v11, s[26:27]
	v_and_b32_e32 v13, 1, v13
	v_cmp_eq_u32_e64 s[26:27], 1, v19
	v_and_b32_e32 v17, 16, v3
	v_cndmask_b32_e64 v13, v13, 1, s[26:27]
	v_and_b32_e32 v19, 0xffff, v13
	v_cmp_eq_u32_e64 s[26:27], 0, v17
	v_cndmask_b32_e64 v5, v13, v5, s[26:27]
	v_cndmask_b32_e64 v7, v19, v7, s[26:27]
	v_bfe_i32 v15, v3, 4, 1
	v_and_b32_e32 v13, 1, v5
	v_mov_b32_dpp v7, v7 row_bcast:31 row_mask:0xf bank_mask:0xf
	v_and_b32_e32 v11, v15, v11
	v_and_b32_e32 v7, 1, v7
	v_cmp_eq_u32_e64 s[26:27], 1, v13
	v_add_u32_e32 v9, v11, v9
	v_cmp_eq_u16_sdwa s[28:29], v5, v26 src0_sel:BYTE_0 src1_sel:DWORD
	v_cndmask_b32_e64 v7, v7, 1, s[26:27]
	v_cmp_lt_u32_e64 s[26:27], 31, v3
	v_mov_b32_dpp v11, v9 row_bcast:31 row_mask:0xf bank_mask:0xf
	v_cndmask_b32_e64 v5, v5, v7, s[26:27]
	s_and_b64 s[26:27], s[26:27], s[28:29]
	v_cndmask_b32_e64 v7, 0, v11, s[26:27]
	v_add_u32_e32 v7, v7, v9
	v_cmp_eq_u32_e64 s[26:27], v53, v0
	s_and_saveexec_b64 s[28:29], s[26:27]
	s_cbranch_execz .LBB1764_138
; %bb.137:
	v_lshlrev_b32_e32 v9, 3, v1
	ds_write_b32 v9, v7
	ds_write_b8 v9, v5 offset:4
.LBB1764_138:
	s_or_b64 exec, exec, s[28:29]
	v_cmp_gt_u32_e64 s[26:27], 4, v0
	s_waitcnt lgkmcnt(0)
	s_barrier
	s_and_saveexec_b64 s[28:29], s[26:27]
	s_cbranch_execz .LBB1764_142
; %bb.139:
	v_lshlrev_b32_e32 v9, 3, v0
	ds_read_b64 v[26:27], v9
	v_and_b32_e32 v11, 3, v3
	v_cmp_ne_u32_e64 s[26:27], 0, v11
	s_waitcnt lgkmcnt(0)
	v_mov_b32_dpp v13, v26 row_shr:1 row_mask:0xf bank_mask:0xf
	v_mov_b32_dpp v17, v27 row_shr:1 row_mask:0xf bank_mask:0xf
	v_mov_b32_e32 v15, v27
	s_and_saveexec_b64 s[30:31], s[26:27]
	s_cbranch_execz .LBB1764_141
; %bb.140:
	v_and_b32_e32 v15, 1, v27
	v_and_b32_e32 v17, 1, v17
	v_cmp_eq_u32_e64 s[26:27], 1, v15
	v_mov_b32_e32 v15, 0
	v_cndmask_b32_e64 v17, v17, 1, s[26:27]
	v_cmp_eq_u16_sdwa s[26:27], v27, v15 src0_sel:BYTE_0 src1_sel:DWORD
	v_cndmask_b32_e64 v13, 0, v13, s[26:27]
	v_add_u32_e32 v26, v13, v26
	v_and_b32_e32 v13, 0xffff, v17
	s_movk_i32 s26, 0xff00
	v_and_or_b32 v15, v27, s26, v13
	v_mov_b32_e32 v27, v17
.LBB1764_141:
	s_or_b64 exec, exec, s[30:31]
	v_mov_b32_dpp v15, v15 row_shr:2 row_mask:0xf bank_mask:0xf
	v_and_b32_e32 v17, 1, v27
	v_and_b32_e32 v15, 1, v15
	v_cmp_eq_u32_e64 s[26:27], 1, v17
	v_mov_b32_e32 v17, 0
	v_cndmask_b32_e64 v15, v15, 1, s[26:27]
	v_cmp_eq_u16_sdwa s[30:31], v27, v17 src0_sel:BYTE_0 src1_sel:DWORD
	v_cmp_lt_u32_e64 s[26:27], 1, v11
	v_mov_b32_dpp v13, v26 row_shr:2 row_mask:0xf bank_mask:0xf
	v_cndmask_b32_e64 v11, v27, v15, s[26:27]
	s_and_b64 s[26:27], s[26:27], s[30:31]
	v_cndmask_b32_e64 v13, 0, v13, s[26:27]
	v_add_u32_e32 v13, v13, v26
	ds_write_b32 v9, v13
	ds_write_b8 v9, v11 offset:4
.LBB1764_142:
	s_or_b64 exec, exec, s[28:29]
	v_cmp_lt_u32_e64 s[26:27], 63, v0
	s_waitcnt vmcnt(0)
	v_mov_b32_e32 v9, v32
	s_waitcnt lgkmcnt(0)
	s_barrier
	s_and_saveexec_b64 s[28:29], s[26:27]
	s_cbranch_execz .LBB1764_144
; %bb.143:
	v_lshl_add_u32 v1, v1, 3, -8
	ds_read_u8 v9, v1 offset:4
	ds_read_b32 v1, v1
	s_waitcnt lgkmcnt(1)
	v_cmp_eq_u16_e64 s[26:27], 0, v9
	v_cndmask_b32_e64 v9, 0, v32, s[26:27]
	s_waitcnt lgkmcnt(0)
	v_add_u32_e32 v9, v9, v1
.LBB1764_144:
	s_or_b64 exec, exec, s[28:29]
	v_mov_b32_e32 v28, 0
	v_cmp_eq_u16_sdwa s[26:27], v5, v28 src0_sel:BYTE_0 src1_sel:DWORD
	v_cndmask_b32_e64 v1, 0, v9, s[26:27]
	v_add_u32_e32 v1, v1, v7
	v_add_u32_e32 v5, -1, v3
	v_and_b32_e32 v7, 64, v3
	v_cmp_lt_i32_e64 s[26:27], v5, v7
	v_cndmask_b32_e64 v5, v5, v3, s[26:27]
	v_lshlrev_b32_e32 v5, 2, v5
	ds_bpermute_b32 v1, v5, v1
	v_cmp_eq_u32_e64 s[26:27], 0, v3
	v_and_b32_e32 v29, 0xff, v41
	s_waitcnt lgkmcnt(0)
	v_cndmask_b32_e64 v26, v1, v9, s[26:27]
	v_cndmask_b32_e64 v1, v26, v32, s[0:1]
	v_cmp_eq_u64_e64 s[26:27], 0, v[28:29]
	v_cndmask_b32_e64 v1, 0, v1, s[26:27]
	v_add_u32_e32 v27, v1, v40
	v_cndmask_b32_e32 v1, 0, v27, vcc
	v_add_u32_e32 v44, v1, v8
	v_cndmask_b32_e64 v1, 0, v44, s[4:5]
	v_add_u32_e32 v45, v1, v6
	v_cndmask_b32_e64 v1, 0, v45, s[6:7]
	;; [unrolled: 2-line block ×11, first 2 shown]
	s_and_saveexec_b64 s[4:5], s[0:1]
	s_cbranch_execz .LBB1764_146
; %bb.145:
	ds_read_u8 v3, v28 offset:28
	ds_read_b32 v2, v28 offset:24
	s_add_u32 s0, s44, 0x400
	s_addc_u32 s1, s45, 0
	v_mov_b32_e32 v5, v28
	s_waitcnt lgkmcnt(1)
	v_cmp_eq_u16_e32 vcc, 0, v3
	v_cndmask_b32_e32 v4, 0, v32, vcc
	s_waitcnt lgkmcnt(0)
	v_add_u32_e32 v2, v4, v2
	v_and_b32_e32 v3, 0xffff, v3
	v_mov_b32_e32 v4, 2
	v_pk_mov_b32 v[6:7], s[0:1], s[0:1] op_sel:[0,1]
	;;#ASMSTART
	global_store_dwordx4 v[6:7], v[2:5] off	
s_waitcnt vmcnt(0)
	;;#ASMEND
	v_mov_b32_e32 v26, v32
.LBB1764_146:
	s_or_b64 exec, exec, s[4:5]
	v_add_u32_e32 v51, v1, v24
.LBB1764_147:
	s_add_u32 s0, s42, s34
	s_addc_u32 s1, s43, s35
	v_mov_b32_e32 v1, s1
	v_add_co_u32_e32 v18, vcc, s0, v38
	v_addc_co_u32_e32 v19, vcc, v1, v39, vcc
	v_mul_u32_u24_e32 v1, 14, v0
	s_and_b64 vcc, exec, s[2:3]
	v_lshlrev_b32_e32 v2, 2, v1
	s_cbranch_vccz .LBB1764_175
; %bb.148:
	s_movk_i32 s0, 0xffcc
	v_mad_i32_i24 v3, v0, s0, v2
	s_barrier
	ds_write2_b64 v2, v[26:27], v[44:45] offset1:1
	ds_write2_b64 v2, v[30:31], v[46:47] offset0:2 offset1:3
	ds_write2_b64 v2, v[34:35], v[48:49] offset0:4 offset1:5
	ds_write_b64 v2, v[50:51] offset:48
	s_waitcnt lgkmcnt(0)
	s_barrier
	ds_read2st64_b32 v[16:17], v3 offset0:4 offset1:8
	ds_read2st64_b32 v[14:15], v3 offset0:12 offset1:16
	;; [unrolled: 1-line block ×6, first 2 shown]
	ds_read_b32 v3, v3 offset:13312
	v_add_co_u32_e32 v6, vcc, v18, v52
	s_add_i32 s33, s33, s46
	v_addc_co_u32_e32 v7, vcc, 0, v19, vcc
	v_mov_b32_e32 v1, 0
	v_cmp_gt_u32_e32 vcc, s33, v0
	s_and_saveexec_b64 s[0:1], vcc
	s_cbranch_execz .LBB1764_150
; %bb.149:
	v_mul_i32_i24_e32 v20, 0xffffffcc, v0
	v_add_u32_e32 v20, v2, v20
	ds_read_b32 v20, v20
	s_waitcnt lgkmcnt(0)
	flat_store_dword v[6:7], v20
.LBB1764_150:
	s_or_b64 exec, exec, s[0:1]
	v_or_b32_e32 v20, 0x100, v0
	v_cmp_gt_u32_e32 vcc, s33, v20
	s_and_saveexec_b64 s[0:1], vcc
	s_cbranch_execz .LBB1764_152
; %bb.151:
	s_waitcnt lgkmcnt(0)
	flat_store_dword v[6:7], v16 offset:1024
.LBB1764_152:
	s_or_b64 exec, exec, s[0:1]
	s_waitcnt lgkmcnt(0)
	v_or_b32_e32 v16, 0x200, v0
	v_cmp_gt_u32_e32 vcc, s33, v16
	s_and_saveexec_b64 s[0:1], vcc
	s_cbranch_execz .LBB1764_154
; %bb.153:
	flat_store_dword v[6:7], v17 offset:2048
.LBB1764_154:
	s_or_b64 exec, exec, s[0:1]
	v_or_b32_e32 v16, 0x300, v0
	v_cmp_gt_u32_e32 vcc, s33, v16
	s_and_saveexec_b64 s[0:1], vcc
	s_cbranch_execz .LBB1764_156
; %bb.155:
	flat_store_dword v[6:7], v14 offset:3072
.LBB1764_156:
	s_or_b64 exec, exec, s[0:1]
	v_or_b32_e32 v14, 0x400, v0
	v_cmp_gt_u32_e32 vcc, s33, v14
	s_and_saveexec_b64 s[0:1], vcc
	s_cbranch_execz .LBB1764_158
; %bb.157:
	v_add_co_u32_e32 v16, vcc, 0x1000, v6
	v_addc_co_u32_e32 v17, vcc, 0, v7, vcc
	flat_store_dword v[16:17], v15
.LBB1764_158:
	s_or_b64 exec, exec, s[0:1]
	v_or_b32_e32 v14, 0x500, v0
	v_cmp_gt_u32_e32 vcc, s33, v14
	s_and_saveexec_b64 s[0:1], vcc
	s_cbranch_execz .LBB1764_160
; %bb.159:
	v_add_co_u32_e32 v14, vcc, 0x1000, v6
	v_addc_co_u32_e32 v15, vcc, 0, v7, vcc
	flat_store_dword v[14:15], v12 offset:1024
.LBB1764_160:
	s_or_b64 exec, exec, s[0:1]
	v_or_b32_e32 v12, 0x600, v0
	v_cmp_gt_u32_e32 vcc, s33, v12
	s_and_saveexec_b64 s[0:1], vcc
	s_cbranch_execz .LBB1764_162
; %bb.161:
	v_add_co_u32_e32 v14, vcc, 0x1000, v6
	v_addc_co_u32_e32 v15, vcc, 0, v7, vcc
	flat_store_dword v[14:15], v13 offset:2048
.LBB1764_162:
	;; [unrolled: 10-line block ×3, first 2 shown]
	s_or_b64 exec, exec, s[0:1]
	v_or_b32_e32 v10, 0x800, v0
	v_cmp_gt_u32_e32 vcc, s33, v10
	s_and_saveexec_b64 s[0:1], vcc
	s_cbranch_execz .LBB1764_166
; %bb.165:
	v_add_co_u32_e32 v12, vcc, 0x2000, v6
	v_addc_co_u32_e32 v13, vcc, 0, v7, vcc
	flat_store_dword v[12:13], v11
.LBB1764_166:
	s_or_b64 exec, exec, s[0:1]
	v_or_b32_e32 v10, 0x900, v0
	v_cmp_gt_u32_e32 vcc, s33, v10
	s_and_saveexec_b64 s[0:1], vcc
	s_cbranch_execz .LBB1764_168
; %bb.167:
	v_add_co_u32_e32 v10, vcc, 0x2000, v6
	v_addc_co_u32_e32 v11, vcc, 0, v7, vcc
	flat_store_dword v[10:11], v8 offset:1024
.LBB1764_168:
	s_or_b64 exec, exec, s[0:1]
	v_or_b32_e32 v8, 0xa00, v0
	v_cmp_gt_u32_e32 vcc, s33, v8
	s_and_saveexec_b64 s[0:1], vcc
	s_cbranch_execz .LBB1764_170
; %bb.169:
	v_add_co_u32_e32 v10, vcc, 0x2000, v6
	v_addc_co_u32_e32 v11, vcc, 0, v7, vcc
	flat_store_dword v[10:11], v9 offset:2048
.LBB1764_170:
	;; [unrolled: 10-line block ×3, first 2 shown]
	s_or_b64 exec, exec, s[0:1]
	v_or_b32_e32 v4, 0xc00, v0
	v_cmp_gt_u32_e32 vcc, s33, v4
	s_and_saveexec_b64 s[0:1], vcc
	s_cbranch_execz .LBB1764_174
; %bb.173:
	v_add_co_u32_e32 v6, vcc, 0x3000, v6
	v_addc_co_u32_e32 v7, vcc, 0, v7, vcc
	flat_store_dword v[6:7], v5
.LBB1764_174:
	s_or_b64 exec, exec, s[0:1]
	v_or_b32_e32 v4, 0xd00, v0
	v_cmp_gt_u32_e64 s[0:1], s33, v4
	s_branch .LBB1764_177
.LBB1764_175:
	s_mov_b64 s[0:1], 0
                                        ; implicit-def: $vgpr3
	s_cbranch_execz .LBB1764_177
; %bb.176:
	s_movk_i32 s2, 0xffcc
	s_waitcnt lgkmcnt(0)
	s_barrier
	ds_write2_b64 v2, v[26:27], v[44:45] offset1:1
	ds_write2_b64 v2, v[30:31], v[46:47] offset0:2 offset1:3
	ds_write2_b64 v2, v[34:35], v[48:49] offset0:4 offset1:5
	ds_write_b64 v2, v[50:51] offset:48
	v_mad_i32_i24 v2, v0, s2, v2
	v_add_co_u32_e32 v16, vcc, v18, v52
	s_waitcnt lgkmcnt(0)
	s_barrier
	ds_read2st64_b32 v[4:5], v2 offset1:4
	ds_read2st64_b32 v[6:7], v2 offset0:8 offset1:12
	ds_read2st64_b32 v[8:9], v2 offset0:16 offset1:20
	ds_read2st64_b32 v[10:11], v2 offset0:24 offset1:28
	ds_read2st64_b32 v[12:13], v2 offset0:32 offset1:36
	ds_read2st64_b32 v[14:15], v2 offset0:40 offset1:44
	ds_read2st64_b32 v[2:3], v2 offset0:48 offset1:52
	v_addc_co_u32_e32 v17, vcc, 0, v19, vcc
	s_movk_i32 s2, 0x1000
	s_waitcnt lgkmcnt(0)
	flat_store_dword v[16:17], v4
	flat_store_dword v[16:17], v5 offset:1024
	flat_store_dword v[16:17], v6 offset:2048
	;; [unrolled: 1-line block ×3, first 2 shown]
	v_add_co_u32_e32 v4, vcc, s2, v16
	v_addc_co_u32_e32 v5, vcc, 0, v17, vcc
	flat_store_dword v[4:5], v8
	flat_store_dword v[4:5], v9 offset:1024
	flat_store_dword v[4:5], v10 offset:2048
	;; [unrolled: 1-line block ×3, first 2 shown]
	v_add_co_u32_e32 v4, vcc, 0x2000, v16
	v_addc_co_u32_e32 v5, vcc, 0, v17, vcc
	flat_store_dword v[4:5], v12
	flat_store_dword v[4:5], v13 offset:1024
	flat_store_dword v[4:5], v14 offset:2048
	;; [unrolled: 1-line block ×3, first 2 shown]
	v_add_co_u32_e32 v4, vcc, 0x3000, v16
	v_mov_b32_e32 v1, 0
	v_addc_co_u32_e32 v5, vcc, 0, v17, vcc
	s_or_b64 s[0:1], s[0:1], exec
	flat_store_dword v[4:5], v2
.LBB1764_177:
	s_and_saveexec_b64 s[2:3], s[0:1]
	s_cbranch_execz .LBB1764_179
; %bb.178:
	v_lshlrev_b64 v[0:1], 2, v[0:1]
	v_add_co_u32_e32 v0, vcc, v18, v0
	v_addc_co_u32_e32 v1, vcc, v19, v1, vcc
	v_add_co_u32_e32 v0, vcc, 0x3000, v0
	v_addc_co_u32_e32 v1, vcc, 0, v1, vcc
	flat_store_dword v[0:1], v3 offset:1024
	s_endpgm
.LBB1764_179:
	s_endpgm
	.section	.rodata,"a",@progbits
	.p2align	6, 0x0
	.amdhsa_kernel _ZN7rocprim17ROCPRIM_400000_NS6detail17trampoline_kernelINS0_14default_configENS1_27scan_by_key_config_selectorIiiEEZZNS1_16scan_by_key_implILNS1_25lookback_scan_determinismE0ELb1ES3_N6thrust23THRUST_200600_302600_NS6detail15normal_iteratorINS9_10device_ptrIiEEEENSB_INSC_IjEEEESE_iNS9_4plusIvEENS9_8equal_toIvEEiEE10hipError_tPvRmT2_T3_T4_T5_mT6_T7_P12ihipStream_tbENKUlT_T0_E_clISt17integral_constantIbLb1EES11_EEDaSW_SX_EUlSW_E_NS1_11comp_targetILNS1_3genE4ELNS1_11target_archE910ELNS1_3gpuE8ELNS1_3repE0EEENS1_30default_config_static_selectorELNS0_4arch9wavefront6targetE1EEEvT1_
		.amdhsa_group_segment_fixed_size 16384
		.amdhsa_private_segment_fixed_size 0
		.amdhsa_kernarg_size 112
		.amdhsa_user_sgpr_count 6
		.amdhsa_user_sgpr_private_segment_buffer 1
		.amdhsa_user_sgpr_dispatch_ptr 0
		.amdhsa_user_sgpr_queue_ptr 0
		.amdhsa_user_sgpr_kernarg_segment_ptr 1
		.amdhsa_user_sgpr_dispatch_id 0
		.amdhsa_user_sgpr_flat_scratch_init 0
		.amdhsa_user_sgpr_kernarg_preload_length 0
		.amdhsa_user_sgpr_kernarg_preload_offset 0
		.amdhsa_user_sgpr_private_segment_size 0
		.amdhsa_uses_dynamic_stack 0
		.amdhsa_system_sgpr_private_segment_wavefront_offset 0
		.amdhsa_system_sgpr_workgroup_id_x 1
		.amdhsa_system_sgpr_workgroup_id_y 0
		.amdhsa_system_sgpr_workgroup_id_z 0
		.amdhsa_system_sgpr_workgroup_info 0
		.amdhsa_system_vgpr_workitem_id 0
		.amdhsa_next_free_vgpr 67
		.amdhsa_next_free_sgpr 60
		.amdhsa_accum_offset 68
		.amdhsa_reserve_vcc 1
		.amdhsa_reserve_flat_scratch 0
		.amdhsa_float_round_mode_32 0
		.amdhsa_float_round_mode_16_64 0
		.amdhsa_float_denorm_mode_32 3
		.amdhsa_float_denorm_mode_16_64 3
		.amdhsa_dx10_clamp 1
		.amdhsa_ieee_mode 1
		.amdhsa_fp16_overflow 0
		.amdhsa_tg_split 0
		.amdhsa_exception_fp_ieee_invalid_op 0
		.amdhsa_exception_fp_denorm_src 0
		.amdhsa_exception_fp_ieee_div_zero 0
		.amdhsa_exception_fp_ieee_overflow 0
		.amdhsa_exception_fp_ieee_underflow 0
		.amdhsa_exception_fp_ieee_inexact 0
		.amdhsa_exception_int_div_zero 0
	.end_amdhsa_kernel
	.section	.text._ZN7rocprim17ROCPRIM_400000_NS6detail17trampoline_kernelINS0_14default_configENS1_27scan_by_key_config_selectorIiiEEZZNS1_16scan_by_key_implILNS1_25lookback_scan_determinismE0ELb1ES3_N6thrust23THRUST_200600_302600_NS6detail15normal_iteratorINS9_10device_ptrIiEEEENSB_INSC_IjEEEESE_iNS9_4plusIvEENS9_8equal_toIvEEiEE10hipError_tPvRmT2_T3_T4_T5_mT6_T7_P12ihipStream_tbENKUlT_T0_E_clISt17integral_constantIbLb1EES11_EEDaSW_SX_EUlSW_E_NS1_11comp_targetILNS1_3genE4ELNS1_11target_archE910ELNS1_3gpuE8ELNS1_3repE0EEENS1_30default_config_static_selectorELNS0_4arch9wavefront6targetE1EEEvT1_,"axG",@progbits,_ZN7rocprim17ROCPRIM_400000_NS6detail17trampoline_kernelINS0_14default_configENS1_27scan_by_key_config_selectorIiiEEZZNS1_16scan_by_key_implILNS1_25lookback_scan_determinismE0ELb1ES3_N6thrust23THRUST_200600_302600_NS6detail15normal_iteratorINS9_10device_ptrIiEEEENSB_INSC_IjEEEESE_iNS9_4plusIvEENS9_8equal_toIvEEiEE10hipError_tPvRmT2_T3_T4_T5_mT6_T7_P12ihipStream_tbENKUlT_T0_E_clISt17integral_constantIbLb1EES11_EEDaSW_SX_EUlSW_E_NS1_11comp_targetILNS1_3genE4ELNS1_11target_archE910ELNS1_3gpuE8ELNS1_3repE0EEENS1_30default_config_static_selectorELNS0_4arch9wavefront6targetE1EEEvT1_,comdat
.Lfunc_end1764:
	.size	_ZN7rocprim17ROCPRIM_400000_NS6detail17trampoline_kernelINS0_14default_configENS1_27scan_by_key_config_selectorIiiEEZZNS1_16scan_by_key_implILNS1_25lookback_scan_determinismE0ELb1ES3_N6thrust23THRUST_200600_302600_NS6detail15normal_iteratorINS9_10device_ptrIiEEEENSB_INSC_IjEEEESE_iNS9_4plusIvEENS9_8equal_toIvEEiEE10hipError_tPvRmT2_T3_T4_T5_mT6_T7_P12ihipStream_tbENKUlT_T0_E_clISt17integral_constantIbLb1EES11_EEDaSW_SX_EUlSW_E_NS1_11comp_targetILNS1_3genE4ELNS1_11target_archE910ELNS1_3gpuE8ELNS1_3repE0EEENS1_30default_config_static_selectorELNS0_4arch9wavefront6targetE1EEEvT1_, .Lfunc_end1764-_ZN7rocprim17ROCPRIM_400000_NS6detail17trampoline_kernelINS0_14default_configENS1_27scan_by_key_config_selectorIiiEEZZNS1_16scan_by_key_implILNS1_25lookback_scan_determinismE0ELb1ES3_N6thrust23THRUST_200600_302600_NS6detail15normal_iteratorINS9_10device_ptrIiEEEENSB_INSC_IjEEEESE_iNS9_4plusIvEENS9_8equal_toIvEEiEE10hipError_tPvRmT2_T3_T4_T5_mT6_T7_P12ihipStream_tbENKUlT_T0_E_clISt17integral_constantIbLb1EES11_EEDaSW_SX_EUlSW_E_NS1_11comp_targetILNS1_3genE4ELNS1_11target_archE910ELNS1_3gpuE8ELNS1_3repE0EEENS1_30default_config_static_selectorELNS0_4arch9wavefront6targetE1EEEvT1_
                                        ; -- End function
	.section	.AMDGPU.csdata,"",@progbits
; Kernel info:
; codeLenInByte = 11288
; NumSgprs: 64
; NumVgprs: 67
; NumAgprs: 0
; TotalNumVgprs: 67
; ScratchSize: 0
; MemoryBound: 0
; FloatMode: 240
; IeeeMode: 1
; LDSByteSize: 16384 bytes/workgroup (compile time only)
; SGPRBlocks: 7
; VGPRBlocks: 8
; NumSGPRsForWavesPerEU: 64
; NumVGPRsForWavesPerEU: 67
; AccumOffset: 68
; Occupancy: 4
; WaveLimiterHint : 1
; COMPUTE_PGM_RSRC2:SCRATCH_EN: 0
; COMPUTE_PGM_RSRC2:USER_SGPR: 6
; COMPUTE_PGM_RSRC2:TRAP_HANDLER: 0
; COMPUTE_PGM_RSRC2:TGID_X_EN: 1
; COMPUTE_PGM_RSRC2:TGID_Y_EN: 0
; COMPUTE_PGM_RSRC2:TGID_Z_EN: 0
; COMPUTE_PGM_RSRC2:TIDIG_COMP_CNT: 0
; COMPUTE_PGM_RSRC3_GFX90A:ACCUM_OFFSET: 16
; COMPUTE_PGM_RSRC3_GFX90A:TG_SPLIT: 0
	.section	.text._ZN7rocprim17ROCPRIM_400000_NS6detail17trampoline_kernelINS0_14default_configENS1_27scan_by_key_config_selectorIiiEEZZNS1_16scan_by_key_implILNS1_25lookback_scan_determinismE0ELb1ES3_N6thrust23THRUST_200600_302600_NS6detail15normal_iteratorINS9_10device_ptrIiEEEENSB_INSC_IjEEEESE_iNS9_4plusIvEENS9_8equal_toIvEEiEE10hipError_tPvRmT2_T3_T4_T5_mT6_T7_P12ihipStream_tbENKUlT_T0_E_clISt17integral_constantIbLb1EES11_EEDaSW_SX_EUlSW_E_NS1_11comp_targetILNS1_3genE3ELNS1_11target_archE908ELNS1_3gpuE7ELNS1_3repE0EEENS1_30default_config_static_selectorELNS0_4arch9wavefront6targetE1EEEvT1_,"axG",@progbits,_ZN7rocprim17ROCPRIM_400000_NS6detail17trampoline_kernelINS0_14default_configENS1_27scan_by_key_config_selectorIiiEEZZNS1_16scan_by_key_implILNS1_25lookback_scan_determinismE0ELb1ES3_N6thrust23THRUST_200600_302600_NS6detail15normal_iteratorINS9_10device_ptrIiEEEENSB_INSC_IjEEEESE_iNS9_4plusIvEENS9_8equal_toIvEEiEE10hipError_tPvRmT2_T3_T4_T5_mT6_T7_P12ihipStream_tbENKUlT_T0_E_clISt17integral_constantIbLb1EES11_EEDaSW_SX_EUlSW_E_NS1_11comp_targetILNS1_3genE3ELNS1_11target_archE908ELNS1_3gpuE7ELNS1_3repE0EEENS1_30default_config_static_selectorELNS0_4arch9wavefront6targetE1EEEvT1_,comdat
	.protected	_ZN7rocprim17ROCPRIM_400000_NS6detail17trampoline_kernelINS0_14default_configENS1_27scan_by_key_config_selectorIiiEEZZNS1_16scan_by_key_implILNS1_25lookback_scan_determinismE0ELb1ES3_N6thrust23THRUST_200600_302600_NS6detail15normal_iteratorINS9_10device_ptrIiEEEENSB_INSC_IjEEEESE_iNS9_4plusIvEENS9_8equal_toIvEEiEE10hipError_tPvRmT2_T3_T4_T5_mT6_T7_P12ihipStream_tbENKUlT_T0_E_clISt17integral_constantIbLb1EES11_EEDaSW_SX_EUlSW_E_NS1_11comp_targetILNS1_3genE3ELNS1_11target_archE908ELNS1_3gpuE7ELNS1_3repE0EEENS1_30default_config_static_selectorELNS0_4arch9wavefront6targetE1EEEvT1_ ; -- Begin function _ZN7rocprim17ROCPRIM_400000_NS6detail17trampoline_kernelINS0_14default_configENS1_27scan_by_key_config_selectorIiiEEZZNS1_16scan_by_key_implILNS1_25lookback_scan_determinismE0ELb1ES3_N6thrust23THRUST_200600_302600_NS6detail15normal_iteratorINS9_10device_ptrIiEEEENSB_INSC_IjEEEESE_iNS9_4plusIvEENS9_8equal_toIvEEiEE10hipError_tPvRmT2_T3_T4_T5_mT6_T7_P12ihipStream_tbENKUlT_T0_E_clISt17integral_constantIbLb1EES11_EEDaSW_SX_EUlSW_E_NS1_11comp_targetILNS1_3genE3ELNS1_11target_archE908ELNS1_3gpuE7ELNS1_3repE0EEENS1_30default_config_static_selectorELNS0_4arch9wavefront6targetE1EEEvT1_
	.globl	_ZN7rocprim17ROCPRIM_400000_NS6detail17trampoline_kernelINS0_14default_configENS1_27scan_by_key_config_selectorIiiEEZZNS1_16scan_by_key_implILNS1_25lookback_scan_determinismE0ELb1ES3_N6thrust23THRUST_200600_302600_NS6detail15normal_iteratorINS9_10device_ptrIiEEEENSB_INSC_IjEEEESE_iNS9_4plusIvEENS9_8equal_toIvEEiEE10hipError_tPvRmT2_T3_T4_T5_mT6_T7_P12ihipStream_tbENKUlT_T0_E_clISt17integral_constantIbLb1EES11_EEDaSW_SX_EUlSW_E_NS1_11comp_targetILNS1_3genE3ELNS1_11target_archE908ELNS1_3gpuE7ELNS1_3repE0EEENS1_30default_config_static_selectorELNS0_4arch9wavefront6targetE1EEEvT1_
	.p2align	8
	.type	_ZN7rocprim17ROCPRIM_400000_NS6detail17trampoline_kernelINS0_14default_configENS1_27scan_by_key_config_selectorIiiEEZZNS1_16scan_by_key_implILNS1_25lookback_scan_determinismE0ELb1ES3_N6thrust23THRUST_200600_302600_NS6detail15normal_iteratorINS9_10device_ptrIiEEEENSB_INSC_IjEEEESE_iNS9_4plusIvEENS9_8equal_toIvEEiEE10hipError_tPvRmT2_T3_T4_T5_mT6_T7_P12ihipStream_tbENKUlT_T0_E_clISt17integral_constantIbLb1EES11_EEDaSW_SX_EUlSW_E_NS1_11comp_targetILNS1_3genE3ELNS1_11target_archE908ELNS1_3gpuE7ELNS1_3repE0EEENS1_30default_config_static_selectorELNS0_4arch9wavefront6targetE1EEEvT1_,@function
_ZN7rocprim17ROCPRIM_400000_NS6detail17trampoline_kernelINS0_14default_configENS1_27scan_by_key_config_selectorIiiEEZZNS1_16scan_by_key_implILNS1_25lookback_scan_determinismE0ELb1ES3_N6thrust23THRUST_200600_302600_NS6detail15normal_iteratorINS9_10device_ptrIiEEEENSB_INSC_IjEEEESE_iNS9_4plusIvEENS9_8equal_toIvEEiEE10hipError_tPvRmT2_T3_T4_T5_mT6_T7_P12ihipStream_tbENKUlT_T0_E_clISt17integral_constantIbLb1EES11_EEDaSW_SX_EUlSW_E_NS1_11comp_targetILNS1_3genE3ELNS1_11target_archE908ELNS1_3gpuE7ELNS1_3repE0EEENS1_30default_config_static_selectorELNS0_4arch9wavefront6targetE1EEEvT1_: ; @_ZN7rocprim17ROCPRIM_400000_NS6detail17trampoline_kernelINS0_14default_configENS1_27scan_by_key_config_selectorIiiEEZZNS1_16scan_by_key_implILNS1_25lookback_scan_determinismE0ELb1ES3_N6thrust23THRUST_200600_302600_NS6detail15normal_iteratorINS9_10device_ptrIiEEEENSB_INSC_IjEEEESE_iNS9_4plusIvEENS9_8equal_toIvEEiEE10hipError_tPvRmT2_T3_T4_T5_mT6_T7_P12ihipStream_tbENKUlT_T0_E_clISt17integral_constantIbLb1EES11_EEDaSW_SX_EUlSW_E_NS1_11comp_targetILNS1_3genE3ELNS1_11target_archE908ELNS1_3gpuE7ELNS1_3repE0EEENS1_30default_config_static_selectorELNS0_4arch9wavefront6targetE1EEEvT1_
; %bb.0:
	.section	.rodata,"a",@progbits
	.p2align	6, 0x0
	.amdhsa_kernel _ZN7rocprim17ROCPRIM_400000_NS6detail17trampoline_kernelINS0_14default_configENS1_27scan_by_key_config_selectorIiiEEZZNS1_16scan_by_key_implILNS1_25lookback_scan_determinismE0ELb1ES3_N6thrust23THRUST_200600_302600_NS6detail15normal_iteratorINS9_10device_ptrIiEEEENSB_INSC_IjEEEESE_iNS9_4plusIvEENS9_8equal_toIvEEiEE10hipError_tPvRmT2_T3_T4_T5_mT6_T7_P12ihipStream_tbENKUlT_T0_E_clISt17integral_constantIbLb1EES11_EEDaSW_SX_EUlSW_E_NS1_11comp_targetILNS1_3genE3ELNS1_11target_archE908ELNS1_3gpuE7ELNS1_3repE0EEENS1_30default_config_static_selectorELNS0_4arch9wavefront6targetE1EEEvT1_
		.amdhsa_group_segment_fixed_size 0
		.amdhsa_private_segment_fixed_size 0
		.amdhsa_kernarg_size 112
		.amdhsa_user_sgpr_count 6
		.amdhsa_user_sgpr_private_segment_buffer 1
		.amdhsa_user_sgpr_dispatch_ptr 0
		.amdhsa_user_sgpr_queue_ptr 0
		.amdhsa_user_sgpr_kernarg_segment_ptr 1
		.amdhsa_user_sgpr_dispatch_id 0
		.amdhsa_user_sgpr_flat_scratch_init 0
		.amdhsa_user_sgpr_kernarg_preload_length 0
		.amdhsa_user_sgpr_kernarg_preload_offset 0
		.amdhsa_user_sgpr_private_segment_size 0
		.amdhsa_uses_dynamic_stack 0
		.amdhsa_system_sgpr_private_segment_wavefront_offset 0
		.amdhsa_system_sgpr_workgroup_id_x 1
		.amdhsa_system_sgpr_workgroup_id_y 0
		.amdhsa_system_sgpr_workgroup_id_z 0
		.amdhsa_system_sgpr_workgroup_info 0
		.amdhsa_system_vgpr_workitem_id 0
		.amdhsa_next_free_vgpr 1
		.amdhsa_next_free_sgpr 0
		.amdhsa_accum_offset 4
		.amdhsa_reserve_vcc 0
		.amdhsa_reserve_flat_scratch 0
		.amdhsa_float_round_mode_32 0
		.amdhsa_float_round_mode_16_64 0
		.amdhsa_float_denorm_mode_32 3
		.amdhsa_float_denorm_mode_16_64 3
		.amdhsa_dx10_clamp 1
		.amdhsa_ieee_mode 1
		.amdhsa_fp16_overflow 0
		.amdhsa_tg_split 0
		.amdhsa_exception_fp_ieee_invalid_op 0
		.amdhsa_exception_fp_denorm_src 0
		.amdhsa_exception_fp_ieee_div_zero 0
		.amdhsa_exception_fp_ieee_overflow 0
		.amdhsa_exception_fp_ieee_underflow 0
		.amdhsa_exception_fp_ieee_inexact 0
		.amdhsa_exception_int_div_zero 0
	.end_amdhsa_kernel
	.section	.text._ZN7rocprim17ROCPRIM_400000_NS6detail17trampoline_kernelINS0_14default_configENS1_27scan_by_key_config_selectorIiiEEZZNS1_16scan_by_key_implILNS1_25lookback_scan_determinismE0ELb1ES3_N6thrust23THRUST_200600_302600_NS6detail15normal_iteratorINS9_10device_ptrIiEEEENSB_INSC_IjEEEESE_iNS9_4plusIvEENS9_8equal_toIvEEiEE10hipError_tPvRmT2_T3_T4_T5_mT6_T7_P12ihipStream_tbENKUlT_T0_E_clISt17integral_constantIbLb1EES11_EEDaSW_SX_EUlSW_E_NS1_11comp_targetILNS1_3genE3ELNS1_11target_archE908ELNS1_3gpuE7ELNS1_3repE0EEENS1_30default_config_static_selectorELNS0_4arch9wavefront6targetE1EEEvT1_,"axG",@progbits,_ZN7rocprim17ROCPRIM_400000_NS6detail17trampoline_kernelINS0_14default_configENS1_27scan_by_key_config_selectorIiiEEZZNS1_16scan_by_key_implILNS1_25lookback_scan_determinismE0ELb1ES3_N6thrust23THRUST_200600_302600_NS6detail15normal_iteratorINS9_10device_ptrIiEEEENSB_INSC_IjEEEESE_iNS9_4plusIvEENS9_8equal_toIvEEiEE10hipError_tPvRmT2_T3_T4_T5_mT6_T7_P12ihipStream_tbENKUlT_T0_E_clISt17integral_constantIbLb1EES11_EEDaSW_SX_EUlSW_E_NS1_11comp_targetILNS1_3genE3ELNS1_11target_archE908ELNS1_3gpuE7ELNS1_3repE0EEENS1_30default_config_static_selectorELNS0_4arch9wavefront6targetE1EEEvT1_,comdat
.Lfunc_end1765:
	.size	_ZN7rocprim17ROCPRIM_400000_NS6detail17trampoline_kernelINS0_14default_configENS1_27scan_by_key_config_selectorIiiEEZZNS1_16scan_by_key_implILNS1_25lookback_scan_determinismE0ELb1ES3_N6thrust23THRUST_200600_302600_NS6detail15normal_iteratorINS9_10device_ptrIiEEEENSB_INSC_IjEEEESE_iNS9_4plusIvEENS9_8equal_toIvEEiEE10hipError_tPvRmT2_T3_T4_T5_mT6_T7_P12ihipStream_tbENKUlT_T0_E_clISt17integral_constantIbLb1EES11_EEDaSW_SX_EUlSW_E_NS1_11comp_targetILNS1_3genE3ELNS1_11target_archE908ELNS1_3gpuE7ELNS1_3repE0EEENS1_30default_config_static_selectorELNS0_4arch9wavefront6targetE1EEEvT1_, .Lfunc_end1765-_ZN7rocprim17ROCPRIM_400000_NS6detail17trampoline_kernelINS0_14default_configENS1_27scan_by_key_config_selectorIiiEEZZNS1_16scan_by_key_implILNS1_25lookback_scan_determinismE0ELb1ES3_N6thrust23THRUST_200600_302600_NS6detail15normal_iteratorINS9_10device_ptrIiEEEENSB_INSC_IjEEEESE_iNS9_4plusIvEENS9_8equal_toIvEEiEE10hipError_tPvRmT2_T3_T4_T5_mT6_T7_P12ihipStream_tbENKUlT_T0_E_clISt17integral_constantIbLb1EES11_EEDaSW_SX_EUlSW_E_NS1_11comp_targetILNS1_3genE3ELNS1_11target_archE908ELNS1_3gpuE7ELNS1_3repE0EEENS1_30default_config_static_selectorELNS0_4arch9wavefront6targetE1EEEvT1_
                                        ; -- End function
	.section	.AMDGPU.csdata,"",@progbits
; Kernel info:
; codeLenInByte = 0
; NumSgprs: 4
; NumVgprs: 0
; NumAgprs: 0
; TotalNumVgprs: 0
; ScratchSize: 0
; MemoryBound: 0
; FloatMode: 240
; IeeeMode: 1
; LDSByteSize: 0 bytes/workgroup (compile time only)
; SGPRBlocks: 0
; VGPRBlocks: 0
; NumSGPRsForWavesPerEU: 4
; NumVGPRsForWavesPerEU: 1
; AccumOffset: 4
; Occupancy: 8
; WaveLimiterHint : 0
; COMPUTE_PGM_RSRC2:SCRATCH_EN: 0
; COMPUTE_PGM_RSRC2:USER_SGPR: 6
; COMPUTE_PGM_RSRC2:TRAP_HANDLER: 0
; COMPUTE_PGM_RSRC2:TGID_X_EN: 1
; COMPUTE_PGM_RSRC2:TGID_Y_EN: 0
; COMPUTE_PGM_RSRC2:TGID_Z_EN: 0
; COMPUTE_PGM_RSRC2:TIDIG_COMP_CNT: 0
; COMPUTE_PGM_RSRC3_GFX90A:ACCUM_OFFSET: 0
; COMPUTE_PGM_RSRC3_GFX90A:TG_SPLIT: 0
	.section	.text._ZN7rocprim17ROCPRIM_400000_NS6detail17trampoline_kernelINS0_14default_configENS1_27scan_by_key_config_selectorIiiEEZZNS1_16scan_by_key_implILNS1_25lookback_scan_determinismE0ELb1ES3_N6thrust23THRUST_200600_302600_NS6detail15normal_iteratorINS9_10device_ptrIiEEEENSB_INSC_IjEEEESE_iNS9_4plusIvEENS9_8equal_toIvEEiEE10hipError_tPvRmT2_T3_T4_T5_mT6_T7_P12ihipStream_tbENKUlT_T0_E_clISt17integral_constantIbLb1EES11_EEDaSW_SX_EUlSW_E_NS1_11comp_targetILNS1_3genE2ELNS1_11target_archE906ELNS1_3gpuE6ELNS1_3repE0EEENS1_30default_config_static_selectorELNS0_4arch9wavefront6targetE1EEEvT1_,"axG",@progbits,_ZN7rocprim17ROCPRIM_400000_NS6detail17trampoline_kernelINS0_14default_configENS1_27scan_by_key_config_selectorIiiEEZZNS1_16scan_by_key_implILNS1_25lookback_scan_determinismE0ELb1ES3_N6thrust23THRUST_200600_302600_NS6detail15normal_iteratorINS9_10device_ptrIiEEEENSB_INSC_IjEEEESE_iNS9_4plusIvEENS9_8equal_toIvEEiEE10hipError_tPvRmT2_T3_T4_T5_mT6_T7_P12ihipStream_tbENKUlT_T0_E_clISt17integral_constantIbLb1EES11_EEDaSW_SX_EUlSW_E_NS1_11comp_targetILNS1_3genE2ELNS1_11target_archE906ELNS1_3gpuE6ELNS1_3repE0EEENS1_30default_config_static_selectorELNS0_4arch9wavefront6targetE1EEEvT1_,comdat
	.protected	_ZN7rocprim17ROCPRIM_400000_NS6detail17trampoline_kernelINS0_14default_configENS1_27scan_by_key_config_selectorIiiEEZZNS1_16scan_by_key_implILNS1_25lookback_scan_determinismE0ELb1ES3_N6thrust23THRUST_200600_302600_NS6detail15normal_iteratorINS9_10device_ptrIiEEEENSB_INSC_IjEEEESE_iNS9_4plusIvEENS9_8equal_toIvEEiEE10hipError_tPvRmT2_T3_T4_T5_mT6_T7_P12ihipStream_tbENKUlT_T0_E_clISt17integral_constantIbLb1EES11_EEDaSW_SX_EUlSW_E_NS1_11comp_targetILNS1_3genE2ELNS1_11target_archE906ELNS1_3gpuE6ELNS1_3repE0EEENS1_30default_config_static_selectorELNS0_4arch9wavefront6targetE1EEEvT1_ ; -- Begin function _ZN7rocprim17ROCPRIM_400000_NS6detail17trampoline_kernelINS0_14default_configENS1_27scan_by_key_config_selectorIiiEEZZNS1_16scan_by_key_implILNS1_25lookback_scan_determinismE0ELb1ES3_N6thrust23THRUST_200600_302600_NS6detail15normal_iteratorINS9_10device_ptrIiEEEENSB_INSC_IjEEEESE_iNS9_4plusIvEENS9_8equal_toIvEEiEE10hipError_tPvRmT2_T3_T4_T5_mT6_T7_P12ihipStream_tbENKUlT_T0_E_clISt17integral_constantIbLb1EES11_EEDaSW_SX_EUlSW_E_NS1_11comp_targetILNS1_3genE2ELNS1_11target_archE906ELNS1_3gpuE6ELNS1_3repE0EEENS1_30default_config_static_selectorELNS0_4arch9wavefront6targetE1EEEvT1_
	.globl	_ZN7rocprim17ROCPRIM_400000_NS6detail17trampoline_kernelINS0_14default_configENS1_27scan_by_key_config_selectorIiiEEZZNS1_16scan_by_key_implILNS1_25lookback_scan_determinismE0ELb1ES3_N6thrust23THRUST_200600_302600_NS6detail15normal_iteratorINS9_10device_ptrIiEEEENSB_INSC_IjEEEESE_iNS9_4plusIvEENS9_8equal_toIvEEiEE10hipError_tPvRmT2_T3_T4_T5_mT6_T7_P12ihipStream_tbENKUlT_T0_E_clISt17integral_constantIbLb1EES11_EEDaSW_SX_EUlSW_E_NS1_11comp_targetILNS1_3genE2ELNS1_11target_archE906ELNS1_3gpuE6ELNS1_3repE0EEENS1_30default_config_static_selectorELNS0_4arch9wavefront6targetE1EEEvT1_
	.p2align	8
	.type	_ZN7rocprim17ROCPRIM_400000_NS6detail17trampoline_kernelINS0_14default_configENS1_27scan_by_key_config_selectorIiiEEZZNS1_16scan_by_key_implILNS1_25lookback_scan_determinismE0ELb1ES3_N6thrust23THRUST_200600_302600_NS6detail15normal_iteratorINS9_10device_ptrIiEEEENSB_INSC_IjEEEESE_iNS9_4plusIvEENS9_8equal_toIvEEiEE10hipError_tPvRmT2_T3_T4_T5_mT6_T7_P12ihipStream_tbENKUlT_T0_E_clISt17integral_constantIbLb1EES11_EEDaSW_SX_EUlSW_E_NS1_11comp_targetILNS1_3genE2ELNS1_11target_archE906ELNS1_3gpuE6ELNS1_3repE0EEENS1_30default_config_static_selectorELNS0_4arch9wavefront6targetE1EEEvT1_,@function
_ZN7rocprim17ROCPRIM_400000_NS6detail17trampoline_kernelINS0_14default_configENS1_27scan_by_key_config_selectorIiiEEZZNS1_16scan_by_key_implILNS1_25lookback_scan_determinismE0ELb1ES3_N6thrust23THRUST_200600_302600_NS6detail15normal_iteratorINS9_10device_ptrIiEEEENSB_INSC_IjEEEESE_iNS9_4plusIvEENS9_8equal_toIvEEiEE10hipError_tPvRmT2_T3_T4_T5_mT6_T7_P12ihipStream_tbENKUlT_T0_E_clISt17integral_constantIbLb1EES11_EEDaSW_SX_EUlSW_E_NS1_11comp_targetILNS1_3genE2ELNS1_11target_archE906ELNS1_3gpuE6ELNS1_3repE0EEENS1_30default_config_static_selectorELNS0_4arch9wavefront6targetE1EEEvT1_: ; @_ZN7rocprim17ROCPRIM_400000_NS6detail17trampoline_kernelINS0_14default_configENS1_27scan_by_key_config_selectorIiiEEZZNS1_16scan_by_key_implILNS1_25lookback_scan_determinismE0ELb1ES3_N6thrust23THRUST_200600_302600_NS6detail15normal_iteratorINS9_10device_ptrIiEEEENSB_INSC_IjEEEESE_iNS9_4plusIvEENS9_8equal_toIvEEiEE10hipError_tPvRmT2_T3_T4_T5_mT6_T7_P12ihipStream_tbENKUlT_T0_E_clISt17integral_constantIbLb1EES11_EEDaSW_SX_EUlSW_E_NS1_11comp_targetILNS1_3genE2ELNS1_11target_archE906ELNS1_3gpuE6ELNS1_3repE0EEENS1_30default_config_static_selectorELNS0_4arch9wavefront6targetE1EEEvT1_
; %bb.0:
	.section	.rodata,"a",@progbits
	.p2align	6, 0x0
	.amdhsa_kernel _ZN7rocprim17ROCPRIM_400000_NS6detail17trampoline_kernelINS0_14default_configENS1_27scan_by_key_config_selectorIiiEEZZNS1_16scan_by_key_implILNS1_25lookback_scan_determinismE0ELb1ES3_N6thrust23THRUST_200600_302600_NS6detail15normal_iteratorINS9_10device_ptrIiEEEENSB_INSC_IjEEEESE_iNS9_4plusIvEENS9_8equal_toIvEEiEE10hipError_tPvRmT2_T3_T4_T5_mT6_T7_P12ihipStream_tbENKUlT_T0_E_clISt17integral_constantIbLb1EES11_EEDaSW_SX_EUlSW_E_NS1_11comp_targetILNS1_3genE2ELNS1_11target_archE906ELNS1_3gpuE6ELNS1_3repE0EEENS1_30default_config_static_selectorELNS0_4arch9wavefront6targetE1EEEvT1_
		.amdhsa_group_segment_fixed_size 0
		.amdhsa_private_segment_fixed_size 0
		.amdhsa_kernarg_size 112
		.amdhsa_user_sgpr_count 6
		.amdhsa_user_sgpr_private_segment_buffer 1
		.amdhsa_user_sgpr_dispatch_ptr 0
		.amdhsa_user_sgpr_queue_ptr 0
		.amdhsa_user_sgpr_kernarg_segment_ptr 1
		.amdhsa_user_sgpr_dispatch_id 0
		.amdhsa_user_sgpr_flat_scratch_init 0
		.amdhsa_user_sgpr_kernarg_preload_length 0
		.amdhsa_user_sgpr_kernarg_preload_offset 0
		.amdhsa_user_sgpr_private_segment_size 0
		.amdhsa_uses_dynamic_stack 0
		.amdhsa_system_sgpr_private_segment_wavefront_offset 0
		.amdhsa_system_sgpr_workgroup_id_x 1
		.amdhsa_system_sgpr_workgroup_id_y 0
		.amdhsa_system_sgpr_workgroup_id_z 0
		.amdhsa_system_sgpr_workgroup_info 0
		.amdhsa_system_vgpr_workitem_id 0
		.amdhsa_next_free_vgpr 1
		.amdhsa_next_free_sgpr 0
		.amdhsa_accum_offset 4
		.amdhsa_reserve_vcc 0
		.amdhsa_reserve_flat_scratch 0
		.amdhsa_float_round_mode_32 0
		.amdhsa_float_round_mode_16_64 0
		.amdhsa_float_denorm_mode_32 3
		.amdhsa_float_denorm_mode_16_64 3
		.amdhsa_dx10_clamp 1
		.amdhsa_ieee_mode 1
		.amdhsa_fp16_overflow 0
		.amdhsa_tg_split 0
		.amdhsa_exception_fp_ieee_invalid_op 0
		.amdhsa_exception_fp_denorm_src 0
		.amdhsa_exception_fp_ieee_div_zero 0
		.amdhsa_exception_fp_ieee_overflow 0
		.amdhsa_exception_fp_ieee_underflow 0
		.amdhsa_exception_fp_ieee_inexact 0
		.amdhsa_exception_int_div_zero 0
	.end_amdhsa_kernel
	.section	.text._ZN7rocprim17ROCPRIM_400000_NS6detail17trampoline_kernelINS0_14default_configENS1_27scan_by_key_config_selectorIiiEEZZNS1_16scan_by_key_implILNS1_25lookback_scan_determinismE0ELb1ES3_N6thrust23THRUST_200600_302600_NS6detail15normal_iteratorINS9_10device_ptrIiEEEENSB_INSC_IjEEEESE_iNS9_4plusIvEENS9_8equal_toIvEEiEE10hipError_tPvRmT2_T3_T4_T5_mT6_T7_P12ihipStream_tbENKUlT_T0_E_clISt17integral_constantIbLb1EES11_EEDaSW_SX_EUlSW_E_NS1_11comp_targetILNS1_3genE2ELNS1_11target_archE906ELNS1_3gpuE6ELNS1_3repE0EEENS1_30default_config_static_selectorELNS0_4arch9wavefront6targetE1EEEvT1_,"axG",@progbits,_ZN7rocprim17ROCPRIM_400000_NS6detail17trampoline_kernelINS0_14default_configENS1_27scan_by_key_config_selectorIiiEEZZNS1_16scan_by_key_implILNS1_25lookback_scan_determinismE0ELb1ES3_N6thrust23THRUST_200600_302600_NS6detail15normal_iteratorINS9_10device_ptrIiEEEENSB_INSC_IjEEEESE_iNS9_4plusIvEENS9_8equal_toIvEEiEE10hipError_tPvRmT2_T3_T4_T5_mT6_T7_P12ihipStream_tbENKUlT_T0_E_clISt17integral_constantIbLb1EES11_EEDaSW_SX_EUlSW_E_NS1_11comp_targetILNS1_3genE2ELNS1_11target_archE906ELNS1_3gpuE6ELNS1_3repE0EEENS1_30default_config_static_selectorELNS0_4arch9wavefront6targetE1EEEvT1_,comdat
.Lfunc_end1766:
	.size	_ZN7rocprim17ROCPRIM_400000_NS6detail17trampoline_kernelINS0_14default_configENS1_27scan_by_key_config_selectorIiiEEZZNS1_16scan_by_key_implILNS1_25lookback_scan_determinismE0ELb1ES3_N6thrust23THRUST_200600_302600_NS6detail15normal_iteratorINS9_10device_ptrIiEEEENSB_INSC_IjEEEESE_iNS9_4plusIvEENS9_8equal_toIvEEiEE10hipError_tPvRmT2_T3_T4_T5_mT6_T7_P12ihipStream_tbENKUlT_T0_E_clISt17integral_constantIbLb1EES11_EEDaSW_SX_EUlSW_E_NS1_11comp_targetILNS1_3genE2ELNS1_11target_archE906ELNS1_3gpuE6ELNS1_3repE0EEENS1_30default_config_static_selectorELNS0_4arch9wavefront6targetE1EEEvT1_, .Lfunc_end1766-_ZN7rocprim17ROCPRIM_400000_NS6detail17trampoline_kernelINS0_14default_configENS1_27scan_by_key_config_selectorIiiEEZZNS1_16scan_by_key_implILNS1_25lookback_scan_determinismE0ELb1ES3_N6thrust23THRUST_200600_302600_NS6detail15normal_iteratorINS9_10device_ptrIiEEEENSB_INSC_IjEEEESE_iNS9_4plusIvEENS9_8equal_toIvEEiEE10hipError_tPvRmT2_T3_T4_T5_mT6_T7_P12ihipStream_tbENKUlT_T0_E_clISt17integral_constantIbLb1EES11_EEDaSW_SX_EUlSW_E_NS1_11comp_targetILNS1_3genE2ELNS1_11target_archE906ELNS1_3gpuE6ELNS1_3repE0EEENS1_30default_config_static_selectorELNS0_4arch9wavefront6targetE1EEEvT1_
                                        ; -- End function
	.section	.AMDGPU.csdata,"",@progbits
; Kernel info:
; codeLenInByte = 0
; NumSgprs: 4
; NumVgprs: 0
; NumAgprs: 0
; TotalNumVgprs: 0
; ScratchSize: 0
; MemoryBound: 0
; FloatMode: 240
; IeeeMode: 1
; LDSByteSize: 0 bytes/workgroup (compile time only)
; SGPRBlocks: 0
; VGPRBlocks: 0
; NumSGPRsForWavesPerEU: 4
; NumVGPRsForWavesPerEU: 1
; AccumOffset: 4
; Occupancy: 8
; WaveLimiterHint : 0
; COMPUTE_PGM_RSRC2:SCRATCH_EN: 0
; COMPUTE_PGM_RSRC2:USER_SGPR: 6
; COMPUTE_PGM_RSRC2:TRAP_HANDLER: 0
; COMPUTE_PGM_RSRC2:TGID_X_EN: 1
; COMPUTE_PGM_RSRC2:TGID_Y_EN: 0
; COMPUTE_PGM_RSRC2:TGID_Z_EN: 0
; COMPUTE_PGM_RSRC2:TIDIG_COMP_CNT: 0
; COMPUTE_PGM_RSRC3_GFX90A:ACCUM_OFFSET: 0
; COMPUTE_PGM_RSRC3_GFX90A:TG_SPLIT: 0
	.section	.text._ZN7rocprim17ROCPRIM_400000_NS6detail17trampoline_kernelINS0_14default_configENS1_27scan_by_key_config_selectorIiiEEZZNS1_16scan_by_key_implILNS1_25lookback_scan_determinismE0ELb1ES3_N6thrust23THRUST_200600_302600_NS6detail15normal_iteratorINS9_10device_ptrIiEEEENSB_INSC_IjEEEESE_iNS9_4plusIvEENS9_8equal_toIvEEiEE10hipError_tPvRmT2_T3_T4_T5_mT6_T7_P12ihipStream_tbENKUlT_T0_E_clISt17integral_constantIbLb1EES11_EEDaSW_SX_EUlSW_E_NS1_11comp_targetILNS1_3genE10ELNS1_11target_archE1200ELNS1_3gpuE4ELNS1_3repE0EEENS1_30default_config_static_selectorELNS0_4arch9wavefront6targetE1EEEvT1_,"axG",@progbits,_ZN7rocprim17ROCPRIM_400000_NS6detail17trampoline_kernelINS0_14default_configENS1_27scan_by_key_config_selectorIiiEEZZNS1_16scan_by_key_implILNS1_25lookback_scan_determinismE0ELb1ES3_N6thrust23THRUST_200600_302600_NS6detail15normal_iteratorINS9_10device_ptrIiEEEENSB_INSC_IjEEEESE_iNS9_4plusIvEENS9_8equal_toIvEEiEE10hipError_tPvRmT2_T3_T4_T5_mT6_T7_P12ihipStream_tbENKUlT_T0_E_clISt17integral_constantIbLb1EES11_EEDaSW_SX_EUlSW_E_NS1_11comp_targetILNS1_3genE10ELNS1_11target_archE1200ELNS1_3gpuE4ELNS1_3repE0EEENS1_30default_config_static_selectorELNS0_4arch9wavefront6targetE1EEEvT1_,comdat
	.protected	_ZN7rocprim17ROCPRIM_400000_NS6detail17trampoline_kernelINS0_14default_configENS1_27scan_by_key_config_selectorIiiEEZZNS1_16scan_by_key_implILNS1_25lookback_scan_determinismE0ELb1ES3_N6thrust23THRUST_200600_302600_NS6detail15normal_iteratorINS9_10device_ptrIiEEEENSB_INSC_IjEEEESE_iNS9_4plusIvEENS9_8equal_toIvEEiEE10hipError_tPvRmT2_T3_T4_T5_mT6_T7_P12ihipStream_tbENKUlT_T0_E_clISt17integral_constantIbLb1EES11_EEDaSW_SX_EUlSW_E_NS1_11comp_targetILNS1_3genE10ELNS1_11target_archE1200ELNS1_3gpuE4ELNS1_3repE0EEENS1_30default_config_static_selectorELNS0_4arch9wavefront6targetE1EEEvT1_ ; -- Begin function _ZN7rocprim17ROCPRIM_400000_NS6detail17trampoline_kernelINS0_14default_configENS1_27scan_by_key_config_selectorIiiEEZZNS1_16scan_by_key_implILNS1_25lookback_scan_determinismE0ELb1ES3_N6thrust23THRUST_200600_302600_NS6detail15normal_iteratorINS9_10device_ptrIiEEEENSB_INSC_IjEEEESE_iNS9_4plusIvEENS9_8equal_toIvEEiEE10hipError_tPvRmT2_T3_T4_T5_mT6_T7_P12ihipStream_tbENKUlT_T0_E_clISt17integral_constantIbLb1EES11_EEDaSW_SX_EUlSW_E_NS1_11comp_targetILNS1_3genE10ELNS1_11target_archE1200ELNS1_3gpuE4ELNS1_3repE0EEENS1_30default_config_static_selectorELNS0_4arch9wavefront6targetE1EEEvT1_
	.globl	_ZN7rocprim17ROCPRIM_400000_NS6detail17trampoline_kernelINS0_14default_configENS1_27scan_by_key_config_selectorIiiEEZZNS1_16scan_by_key_implILNS1_25lookback_scan_determinismE0ELb1ES3_N6thrust23THRUST_200600_302600_NS6detail15normal_iteratorINS9_10device_ptrIiEEEENSB_INSC_IjEEEESE_iNS9_4plusIvEENS9_8equal_toIvEEiEE10hipError_tPvRmT2_T3_T4_T5_mT6_T7_P12ihipStream_tbENKUlT_T0_E_clISt17integral_constantIbLb1EES11_EEDaSW_SX_EUlSW_E_NS1_11comp_targetILNS1_3genE10ELNS1_11target_archE1200ELNS1_3gpuE4ELNS1_3repE0EEENS1_30default_config_static_selectorELNS0_4arch9wavefront6targetE1EEEvT1_
	.p2align	8
	.type	_ZN7rocprim17ROCPRIM_400000_NS6detail17trampoline_kernelINS0_14default_configENS1_27scan_by_key_config_selectorIiiEEZZNS1_16scan_by_key_implILNS1_25lookback_scan_determinismE0ELb1ES3_N6thrust23THRUST_200600_302600_NS6detail15normal_iteratorINS9_10device_ptrIiEEEENSB_INSC_IjEEEESE_iNS9_4plusIvEENS9_8equal_toIvEEiEE10hipError_tPvRmT2_T3_T4_T5_mT6_T7_P12ihipStream_tbENKUlT_T0_E_clISt17integral_constantIbLb1EES11_EEDaSW_SX_EUlSW_E_NS1_11comp_targetILNS1_3genE10ELNS1_11target_archE1200ELNS1_3gpuE4ELNS1_3repE0EEENS1_30default_config_static_selectorELNS0_4arch9wavefront6targetE1EEEvT1_,@function
_ZN7rocprim17ROCPRIM_400000_NS6detail17trampoline_kernelINS0_14default_configENS1_27scan_by_key_config_selectorIiiEEZZNS1_16scan_by_key_implILNS1_25lookback_scan_determinismE0ELb1ES3_N6thrust23THRUST_200600_302600_NS6detail15normal_iteratorINS9_10device_ptrIiEEEENSB_INSC_IjEEEESE_iNS9_4plusIvEENS9_8equal_toIvEEiEE10hipError_tPvRmT2_T3_T4_T5_mT6_T7_P12ihipStream_tbENKUlT_T0_E_clISt17integral_constantIbLb1EES11_EEDaSW_SX_EUlSW_E_NS1_11comp_targetILNS1_3genE10ELNS1_11target_archE1200ELNS1_3gpuE4ELNS1_3repE0EEENS1_30default_config_static_selectorELNS0_4arch9wavefront6targetE1EEEvT1_: ; @_ZN7rocprim17ROCPRIM_400000_NS6detail17trampoline_kernelINS0_14default_configENS1_27scan_by_key_config_selectorIiiEEZZNS1_16scan_by_key_implILNS1_25lookback_scan_determinismE0ELb1ES3_N6thrust23THRUST_200600_302600_NS6detail15normal_iteratorINS9_10device_ptrIiEEEENSB_INSC_IjEEEESE_iNS9_4plusIvEENS9_8equal_toIvEEiEE10hipError_tPvRmT2_T3_T4_T5_mT6_T7_P12ihipStream_tbENKUlT_T0_E_clISt17integral_constantIbLb1EES11_EEDaSW_SX_EUlSW_E_NS1_11comp_targetILNS1_3genE10ELNS1_11target_archE1200ELNS1_3gpuE4ELNS1_3repE0EEENS1_30default_config_static_selectorELNS0_4arch9wavefront6targetE1EEEvT1_
; %bb.0:
	.section	.rodata,"a",@progbits
	.p2align	6, 0x0
	.amdhsa_kernel _ZN7rocprim17ROCPRIM_400000_NS6detail17trampoline_kernelINS0_14default_configENS1_27scan_by_key_config_selectorIiiEEZZNS1_16scan_by_key_implILNS1_25lookback_scan_determinismE0ELb1ES3_N6thrust23THRUST_200600_302600_NS6detail15normal_iteratorINS9_10device_ptrIiEEEENSB_INSC_IjEEEESE_iNS9_4plusIvEENS9_8equal_toIvEEiEE10hipError_tPvRmT2_T3_T4_T5_mT6_T7_P12ihipStream_tbENKUlT_T0_E_clISt17integral_constantIbLb1EES11_EEDaSW_SX_EUlSW_E_NS1_11comp_targetILNS1_3genE10ELNS1_11target_archE1200ELNS1_3gpuE4ELNS1_3repE0EEENS1_30default_config_static_selectorELNS0_4arch9wavefront6targetE1EEEvT1_
		.amdhsa_group_segment_fixed_size 0
		.amdhsa_private_segment_fixed_size 0
		.amdhsa_kernarg_size 112
		.amdhsa_user_sgpr_count 6
		.amdhsa_user_sgpr_private_segment_buffer 1
		.amdhsa_user_sgpr_dispatch_ptr 0
		.amdhsa_user_sgpr_queue_ptr 0
		.amdhsa_user_sgpr_kernarg_segment_ptr 1
		.amdhsa_user_sgpr_dispatch_id 0
		.amdhsa_user_sgpr_flat_scratch_init 0
		.amdhsa_user_sgpr_kernarg_preload_length 0
		.amdhsa_user_sgpr_kernarg_preload_offset 0
		.amdhsa_user_sgpr_private_segment_size 0
		.amdhsa_uses_dynamic_stack 0
		.amdhsa_system_sgpr_private_segment_wavefront_offset 0
		.amdhsa_system_sgpr_workgroup_id_x 1
		.amdhsa_system_sgpr_workgroup_id_y 0
		.amdhsa_system_sgpr_workgroup_id_z 0
		.amdhsa_system_sgpr_workgroup_info 0
		.amdhsa_system_vgpr_workitem_id 0
		.amdhsa_next_free_vgpr 1
		.amdhsa_next_free_sgpr 0
		.amdhsa_accum_offset 4
		.amdhsa_reserve_vcc 0
		.amdhsa_reserve_flat_scratch 0
		.amdhsa_float_round_mode_32 0
		.amdhsa_float_round_mode_16_64 0
		.amdhsa_float_denorm_mode_32 3
		.amdhsa_float_denorm_mode_16_64 3
		.amdhsa_dx10_clamp 1
		.amdhsa_ieee_mode 1
		.amdhsa_fp16_overflow 0
		.amdhsa_tg_split 0
		.amdhsa_exception_fp_ieee_invalid_op 0
		.amdhsa_exception_fp_denorm_src 0
		.amdhsa_exception_fp_ieee_div_zero 0
		.amdhsa_exception_fp_ieee_overflow 0
		.amdhsa_exception_fp_ieee_underflow 0
		.amdhsa_exception_fp_ieee_inexact 0
		.amdhsa_exception_int_div_zero 0
	.end_amdhsa_kernel
	.section	.text._ZN7rocprim17ROCPRIM_400000_NS6detail17trampoline_kernelINS0_14default_configENS1_27scan_by_key_config_selectorIiiEEZZNS1_16scan_by_key_implILNS1_25lookback_scan_determinismE0ELb1ES3_N6thrust23THRUST_200600_302600_NS6detail15normal_iteratorINS9_10device_ptrIiEEEENSB_INSC_IjEEEESE_iNS9_4plusIvEENS9_8equal_toIvEEiEE10hipError_tPvRmT2_T3_T4_T5_mT6_T7_P12ihipStream_tbENKUlT_T0_E_clISt17integral_constantIbLb1EES11_EEDaSW_SX_EUlSW_E_NS1_11comp_targetILNS1_3genE10ELNS1_11target_archE1200ELNS1_3gpuE4ELNS1_3repE0EEENS1_30default_config_static_selectorELNS0_4arch9wavefront6targetE1EEEvT1_,"axG",@progbits,_ZN7rocprim17ROCPRIM_400000_NS6detail17trampoline_kernelINS0_14default_configENS1_27scan_by_key_config_selectorIiiEEZZNS1_16scan_by_key_implILNS1_25lookback_scan_determinismE0ELb1ES3_N6thrust23THRUST_200600_302600_NS6detail15normal_iteratorINS9_10device_ptrIiEEEENSB_INSC_IjEEEESE_iNS9_4plusIvEENS9_8equal_toIvEEiEE10hipError_tPvRmT2_T3_T4_T5_mT6_T7_P12ihipStream_tbENKUlT_T0_E_clISt17integral_constantIbLb1EES11_EEDaSW_SX_EUlSW_E_NS1_11comp_targetILNS1_3genE10ELNS1_11target_archE1200ELNS1_3gpuE4ELNS1_3repE0EEENS1_30default_config_static_selectorELNS0_4arch9wavefront6targetE1EEEvT1_,comdat
.Lfunc_end1767:
	.size	_ZN7rocprim17ROCPRIM_400000_NS6detail17trampoline_kernelINS0_14default_configENS1_27scan_by_key_config_selectorIiiEEZZNS1_16scan_by_key_implILNS1_25lookback_scan_determinismE0ELb1ES3_N6thrust23THRUST_200600_302600_NS6detail15normal_iteratorINS9_10device_ptrIiEEEENSB_INSC_IjEEEESE_iNS9_4plusIvEENS9_8equal_toIvEEiEE10hipError_tPvRmT2_T3_T4_T5_mT6_T7_P12ihipStream_tbENKUlT_T0_E_clISt17integral_constantIbLb1EES11_EEDaSW_SX_EUlSW_E_NS1_11comp_targetILNS1_3genE10ELNS1_11target_archE1200ELNS1_3gpuE4ELNS1_3repE0EEENS1_30default_config_static_selectorELNS0_4arch9wavefront6targetE1EEEvT1_, .Lfunc_end1767-_ZN7rocprim17ROCPRIM_400000_NS6detail17trampoline_kernelINS0_14default_configENS1_27scan_by_key_config_selectorIiiEEZZNS1_16scan_by_key_implILNS1_25lookback_scan_determinismE0ELb1ES3_N6thrust23THRUST_200600_302600_NS6detail15normal_iteratorINS9_10device_ptrIiEEEENSB_INSC_IjEEEESE_iNS9_4plusIvEENS9_8equal_toIvEEiEE10hipError_tPvRmT2_T3_T4_T5_mT6_T7_P12ihipStream_tbENKUlT_T0_E_clISt17integral_constantIbLb1EES11_EEDaSW_SX_EUlSW_E_NS1_11comp_targetILNS1_3genE10ELNS1_11target_archE1200ELNS1_3gpuE4ELNS1_3repE0EEENS1_30default_config_static_selectorELNS0_4arch9wavefront6targetE1EEEvT1_
                                        ; -- End function
	.section	.AMDGPU.csdata,"",@progbits
; Kernel info:
; codeLenInByte = 0
; NumSgprs: 4
; NumVgprs: 0
; NumAgprs: 0
; TotalNumVgprs: 0
; ScratchSize: 0
; MemoryBound: 0
; FloatMode: 240
; IeeeMode: 1
; LDSByteSize: 0 bytes/workgroup (compile time only)
; SGPRBlocks: 0
; VGPRBlocks: 0
; NumSGPRsForWavesPerEU: 4
; NumVGPRsForWavesPerEU: 1
; AccumOffset: 4
; Occupancy: 8
; WaveLimiterHint : 0
; COMPUTE_PGM_RSRC2:SCRATCH_EN: 0
; COMPUTE_PGM_RSRC2:USER_SGPR: 6
; COMPUTE_PGM_RSRC2:TRAP_HANDLER: 0
; COMPUTE_PGM_RSRC2:TGID_X_EN: 1
; COMPUTE_PGM_RSRC2:TGID_Y_EN: 0
; COMPUTE_PGM_RSRC2:TGID_Z_EN: 0
; COMPUTE_PGM_RSRC2:TIDIG_COMP_CNT: 0
; COMPUTE_PGM_RSRC3_GFX90A:ACCUM_OFFSET: 0
; COMPUTE_PGM_RSRC3_GFX90A:TG_SPLIT: 0
	.section	.text._ZN7rocprim17ROCPRIM_400000_NS6detail17trampoline_kernelINS0_14default_configENS1_27scan_by_key_config_selectorIiiEEZZNS1_16scan_by_key_implILNS1_25lookback_scan_determinismE0ELb1ES3_N6thrust23THRUST_200600_302600_NS6detail15normal_iteratorINS9_10device_ptrIiEEEENSB_INSC_IjEEEESE_iNS9_4plusIvEENS9_8equal_toIvEEiEE10hipError_tPvRmT2_T3_T4_T5_mT6_T7_P12ihipStream_tbENKUlT_T0_E_clISt17integral_constantIbLb1EES11_EEDaSW_SX_EUlSW_E_NS1_11comp_targetILNS1_3genE9ELNS1_11target_archE1100ELNS1_3gpuE3ELNS1_3repE0EEENS1_30default_config_static_selectorELNS0_4arch9wavefront6targetE1EEEvT1_,"axG",@progbits,_ZN7rocprim17ROCPRIM_400000_NS6detail17trampoline_kernelINS0_14default_configENS1_27scan_by_key_config_selectorIiiEEZZNS1_16scan_by_key_implILNS1_25lookback_scan_determinismE0ELb1ES3_N6thrust23THRUST_200600_302600_NS6detail15normal_iteratorINS9_10device_ptrIiEEEENSB_INSC_IjEEEESE_iNS9_4plusIvEENS9_8equal_toIvEEiEE10hipError_tPvRmT2_T3_T4_T5_mT6_T7_P12ihipStream_tbENKUlT_T0_E_clISt17integral_constantIbLb1EES11_EEDaSW_SX_EUlSW_E_NS1_11comp_targetILNS1_3genE9ELNS1_11target_archE1100ELNS1_3gpuE3ELNS1_3repE0EEENS1_30default_config_static_selectorELNS0_4arch9wavefront6targetE1EEEvT1_,comdat
	.protected	_ZN7rocprim17ROCPRIM_400000_NS6detail17trampoline_kernelINS0_14default_configENS1_27scan_by_key_config_selectorIiiEEZZNS1_16scan_by_key_implILNS1_25lookback_scan_determinismE0ELb1ES3_N6thrust23THRUST_200600_302600_NS6detail15normal_iteratorINS9_10device_ptrIiEEEENSB_INSC_IjEEEESE_iNS9_4plusIvEENS9_8equal_toIvEEiEE10hipError_tPvRmT2_T3_T4_T5_mT6_T7_P12ihipStream_tbENKUlT_T0_E_clISt17integral_constantIbLb1EES11_EEDaSW_SX_EUlSW_E_NS1_11comp_targetILNS1_3genE9ELNS1_11target_archE1100ELNS1_3gpuE3ELNS1_3repE0EEENS1_30default_config_static_selectorELNS0_4arch9wavefront6targetE1EEEvT1_ ; -- Begin function _ZN7rocprim17ROCPRIM_400000_NS6detail17trampoline_kernelINS0_14default_configENS1_27scan_by_key_config_selectorIiiEEZZNS1_16scan_by_key_implILNS1_25lookback_scan_determinismE0ELb1ES3_N6thrust23THRUST_200600_302600_NS6detail15normal_iteratorINS9_10device_ptrIiEEEENSB_INSC_IjEEEESE_iNS9_4plusIvEENS9_8equal_toIvEEiEE10hipError_tPvRmT2_T3_T4_T5_mT6_T7_P12ihipStream_tbENKUlT_T0_E_clISt17integral_constantIbLb1EES11_EEDaSW_SX_EUlSW_E_NS1_11comp_targetILNS1_3genE9ELNS1_11target_archE1100ELNS1_3gpuE3ELNS1_3repE0EEENS1_30default_config_static_selectorELNS0_4arch9wavefront6targetE1EEEvT1_
	.globl	_ZN7rocprim17ROCPRIM_400000_NS6detail17trampoline_kernelINS0_14default_configENS1_27scan_by_key_config_selectorIiiEEZZNS1_16scan_by_key_implILNS1_25lookback_scan_determinismE0ELb1ES3_N6thrust23THRUST_200600_302600_NS6detail15normal_iteratorINS9_10device_ptrIiEEEENSB_INSC_IjEEEESE_iNS9_4plusIvEENS9_8equal_toIvEEiEE10hipError_tPvRmT2_T3_T4_T5_mT6_T7_P12ihipStream_tbENKUlT_T0_E_clISt17integral_constantIbLb1EES11_EEDaSW_SX_EUlSW_E_NS1_11comp_targetILNS1_3genE9ELNS1_11target_archE1100ELNS1_3gpuE3ELNS1_3repE0EEENS1_30default_config_static_selectorELNS0_4arch9wavefront6targetE1EEEvT1_
	.p2align	8
	.type	_ZN7rocprim17ROCPRIM_400000_NS6detail17trampoline_kernelINS0_14default_configENS1_27scan_by_key_config_selectorIiiEEZZNS1_16scan_by_key_implILNS1_25lookback_scan_determinismE0ELb1ES3_N6thrust23THRUST_200600_302600_NS6detail15normal_iteratorINS9_10device_ptrIiEEEENSB_INSC_IjEEEESE_iNS9_4plusIvEENS9_8equal_toIvEEiEE10hipError_tPvRmT2_T3_T4_T5_mT6_T7_P12ihipStream_tbENKUlT_T0_E_clISt17integral_constantIbLb1EES11_EEDaSW_SX_EUlSW_E_NS1_11comp_targetILNS1_3genE9ELNS1_11target_archE1100ELNS1_3gpuE3ELNS1_3repE0EEENS1_30default_config_static_selectorELNS0_4arch9wavefront6targetE1EEEvT1_,@function
_ZN7rocprim17ROCPRIM_400000_NS6detail17trampoline_kernelINS0_14default_configENS1_27scan_by_key_config_selectorIiiEEZZNS1_16scan_by_key_implILNS1_25lookback_scan_determinismE0ELb1ES3_N6thrust23THRUST_200600_302600_NS6detail15normal_iteratorINS9_10device_ptrIiEEEENSB_INSC_IjEEEESE_iNS9_4plusIvEENS9_8equal_toIvEEiEE10hipError_tPvRmT2_T3_T4_T5_mT6_T7_P12ihipStream_tbENKUlT_T0_E_clISt17integral_constantIbLb1EES11_EEDaSW_SX_EUlSW_E_NS1_11comp_targetILNS1_3genE9ELNS1_11target_archE1100ELNS1_3gpuE3ELNS1_3repE0EEENS1_30default_config_static_selectorELNS0_4arch9wavefront6targetE1EEEvT1_: ; @_ZN7rocprim17ROCPRIM_400000_NS6detail17trampoline_kernelINS0_14default_configENS1_27scan_by_key_config_selectorIiiEEZZNS1_16scan_by_key_implILNS1_25lookback_scan_determinismE0ELb1ES3_N6thrust23THRUST_200600_302600_NS6detail15normal_iteratorINS9_10device_ptrIiEEEENSB_INSC_IjEEEESE_iNS9_4plusIvEENS9_8equal_toIvEEiEE10hipError_tPvRmT2_T3_T4_T5_mT6_T7_P12ihipStream_tbENKUlT_T0_E_clISt17integral_constantIbLb1EES11_EEDaSW_SX_EUlSW_E_NS1_11comp_targetILNS1_3genE9ELNS1_11target_archE1100ELNS1_3gpuE3ELNS1_3repE0EEENS1_30default_config_static_selectorELNS0_4arch9wavefront6targetE1EEEvT1_
; %bb.0:
	.section	.rodata,"a",@progbits
	.p2align	6, 0x0
	.amdhsa_kernel _ZN7rocprim17ROCPRIM_400000_NS6detail17trampoline_kernelINS0_14default_configENS1_27scan_by_key_config_selectorIiiEEZZNS1_16scan_by_key_implILNS1_25lookback_scan_determinismE0ELb1ES3_N6thrust23THRUST_200600_302600_NS6detail15normal_iteratorINS9_10device_ptrIiEEEENSB_INSC_IjEEEESE_iNS9_4plusIvEENS9_8equal_toIvEEiEE10hipError_tPvRmT2_T3_T4_T5_mT6_T7_P12ihipStream_tbENKUlT_T0_E_clISt17integral_constantIbLb1EES11_EEDaSW_SX_EUlSW_E_NS1_11comp_targetILNS1_3genE9ELNS1_11target_archE1100ELNS1_3gpuE3ELNS1_3repE0EEENS1_30default_config_static_selectorELNS0_4arch9wavefront6targetE1EEEvT1_
		.amdhsa_group_segment_fixed_size 0
		.amdhsa_private_segment_fixed_size 0
		.amdhsa_kernarg_size 112
		.amdhsa_user_sgpr_count 6
		.amdhsa_user_sgpr_private_segment_buffer 1
		.amdhsa_user_sgpr_dispatch_ptr 0
		.amdhsa_user_sgpr_queue_ptr 0
		.amdhsa_user_sgpr_kernarg_segment_ptr 1
		.amdhsa_user_sgpr_dispatch_id 0
		.amdhsa_user_sgpr_flat_scratch_init 0
		.amdhsa_user_sgpr_kernarg_preload_length 0
		.amdhsa_user_sgpr_kernarg_preload_offset 0
		.amdhsa_user_sgpr_private_segment_size 0
		.amdhsa_uses_dynamic_stack 0
		.amdhsa_system_sgpr_private_segment_wavefront_offset 0
		.amdhsa_system_sgpr_workgroup_id_x 1
		.amdhsa_system_sgpr_workgroup_id_y 0
		.amdhsa_system_sgpr_workgroup_id_z 0
		.amdhsa_system_sgpr_workgroup_info 0
		.amdhsa_system_vgpr_workitem_id 0
		.amdhsa_next_free_vgpr 1
		.amdhsa_next_free_sgpr 0
		.amdhsa_accum_offset 4
		.amdhsa_reserve_vcc 0
		.amdhsa_reserve_flat_scratch 0
		.amdhsa_float_round_mode_32 0
		.amdhsa_float_round_mode_16_64 0
		.amdhsa_float_denorm_mode_32 3
		.amdhsa_float_denorm_mode_16_64 3
		.amdhsa_dx10_clamp 1
		.amdhsa_ieee_mode 1
		.amdhsa_fp16_overflow 0
		.amdhsa_tg_split 0
		.amdhsa_exception_fp_ieee_invalid_op 0
		.amdhsa_exception_fp_denorm_src 0
		.amdhsa_exception_fp_ieee_div_zero 0
		.amdhsa_exception_fp_ieee_overflow 0
		.amdhsa_exception_fp_ieee_underflow 0
		.amdhsa_exception_fp_ieee_inexact 0
		.amdhsa_exception_int_div_zero 0
	.end_amdhsa_kernel
	.section	.text._ZN7rocprim17ROCPRIM_400000_NS6detail17trampoline_kernelINS0_14default_configENS1_27scan_by_key_config_selectorIiiEEZZNS1_16scan_by_key_implILNS1_25lookback_scan_determinismE0ELb1ES3_N6thrust23THRUST_200600_302600_NS6detail15normal_iteratorINS9_10device_ptrIiEEEENSB_INSC_IjEEEESE_iNS9_4plusIvEENS9_8equal_toIvEEiEE10hipError_tPvRmT2_T3_T4_T5_mT6_T7_P12ihipStream_tbENKUlT_T0_E_clISt17integral_constantIbLb1EES11_EEDaSW_SX_EUlSW_E_NS1_11comp_targetILNS1_3genE9ELNS1_11target_archE1100ELNS1_3gpuE3ELNS1_3repE0EEENS1_30default_config_static_selectorELNS0_4arch9wavefront6targetE1EEEvT1_,"axG",@progbits,_ZN7rocprim17ROCPRIM_400000_NS6detail17trampoline_kernelINS0_14default_configENS1_27scan_by_key_config_selectorIiiEEZZNS1_16scan_by_key_implILNS1_25lookback_scan_determinismE0ELb1ES3_N6thrust23THRUST_200600_302600_NS6detail15normal_iteratorINS9_10device_ptrIiEEEENSB_INSC_IjEEEESE_iNS9_4plusIvEENS9_8equal_toIvEEiEE10hipError_tPvRmT2_T3_T4_T5_mT6_T7_P12ihipStream_tbENKUlT_T0_E_clISt17integral_constantIbLb1EES11_EEDaSW_SX_EUlSW_E_NS1_11comp_targetILNS1_3genE9ELNS1_11target_archE1100ELNS1_3gpuE3ELNS1_3repE0EEENS1_30default_config_static_selectorELNS0_4arch9wavefront6targetE1EEEvT1_,comdat
.Lfunc_end1768:
	.size	_ZN7rocprim17ROCPRIM_400000_NS6detail17trampoline_kernelINS0_14default_configENS1_27scan_by_key_config_selectorIiiEEZZNS1_16scan_by_key_implILNS1_25lookback_scan_determinismE0ELb1ES3_N6thrust23THRUST_200600_302600_NS6detail15normal_iteratorINS9_10device_ptrIiEEEENSB_INSC_IjEEEESE_iNS9_4plusIvEENS9_8equal_toIvEEiEE10hipError_tPvRmT2_T3_T4_T5_mT6_T7_P12ihipStream_tbENKUlT_T0_E_clISt17integral_constantIbLb1EES11_EEDaSW_SX_EUlSW_E_NS1_11comp_targetILNS1_3genE9ELNS1_11target_archE1100ELNS1_3gpuE3ELNS1_3repE0EEENS1_30default_config_static_selectorELNS0_4arch9wavefront6targetE1EEEvT1_, .Lfunc_end1768-_ZN7rocprim17ROCPRIM_400000_NS6detail17trampoline_kernelINS0_14default_configENS1_27scan_by_key_config_selectorIiiEEZZNS1_16scan_by_key_implILNS1_25lookback_scan_determinismE0ELb1ES3_N6thrust23THRUST_200600_302600_NS6detail15normal_iteratorINS9_10device_ptrIiEEEENSB_INSC_IjEEEESE_iNS9_4plusIvEENS9_8equal_toIvEEiEE10hipError_tPvRmT2_T3_T4_T5_mT6_T7_P12ihipStream_tbENKUlT_T0_E_clISt17integral_constantIbLb1EES11_EEDaSW_SX_EUlSW_E_NS1_11comp_targetILNS1_3genE9ELNS1_11target_archE1100ELNS1_3gpuE3ELNS1_3repE0EEENS1_30default_config_static_selectorELNS0_4arch9wavefront6targetE1EEEvT1_
                                        ; -- End function
	.section	.AMDGPU.csdata,"",@progbits
; Kernel info:
; codeLenInByte = 0
; NumSgprs: 4
; NumVgprs: 0
; NumAgprs: 0
; TotalNumVgprs: 0
; ScratchSize: 0
; MemoryBound: 0
; FloatMode: 240
; IeeeMode: 1
; LDSByteSize: 0 bytes/workgroup (compile time only)
; SGPRBlocks: 0
; VGPRBlocks: 0
; NumSGPRsForWavesPerEU: 4
; NumVGPRsForWavesPerEU: 1
; AccumOffset: 4
; Occupancy: 8
; WaveLimiterHint : 0
; COMPUTE_PGM_RSRC2:SCRATCH_EN: 0
; COMPUTE_PGM_RSRC2:USER_SGPR: 6
; COMPUTE_PGM_RSRC2:TRAP_HANDLER: 0
; COMPUTE_PGM_RSRC2:TGID_X_EN: 1
; COMPUTE_PGM_RSRC2:TGID_Y_EN: 0
; COMPUTE_PGM_RSRC2:TGID_Z_EN: 0
; COMPUTE_PGM_RSRC2:TIDIG_COMP_CNT: 0
; COMPUTE_PGM_RSRC3_GFX90A:ACCUM_OFFSET: 0
; COMPUTE_PGM_RSRC3_GFX90A:TG_SPLIT: 0
	.section	.text._ZN7rocprim17ROCPRIM_400000_NS6detail17trampoline_kernelINS0_14default_configENS1_27scan_by_key_config_selectorIiiEEZZNS1_16scan_by_key_implILNS1_25lookback_scan_determinismE0ELb1ES3_N6thrust23THRUST_200600_302600_NS6detail15normal_iteratorINS9_10device_ptrIiEEEENSB_INSC_IjEEEESE_iNS9_4plusIvEENS9_8equal_toIvEEiEE10hipError_tPvRmT2_T3_T4_T5_mT6_T7_P12ihipStream_tbENKUlT_T0_E_clISt17integral_constantIbLb1EES11_EEDaSW_SX_EUlSW_E_NS1_11comp_targetILNS1_3genE8ELNS1_11target_archE1030ELNS1_3gpuE2ELNS1_3repE0EEENS1_30default_config_static_selectorELNS0_4arch9wavefront6targetE1EEEvT1_,"axG",@progbits,_ZN7rocprim17ROCPRIM_400000_NS6detail17trampoline_kernelINS0_14default_configENS1_27scan_by_key_config_selectorIiiEEZZNS1_16scan_by_key_implILNS1_25lookback_scan_determinismE0ELb1ES3_N6thrust23THRUST_200600_302600_NS6detail15normal_iteratorINS9_10device_ptrIiEEEENSB_INSC_IjEEEESE_iNS9_4plusIvEENS9_8equal_toIvEEiEE10hipError_tPvRmT2_T3_T4_T5_mT6_T7_P12ihipStream_tbENKUlT_T0_E_clISt17integral_constantIbLb1EES11_EEDaSW_SX_EUlSW_E_NS1_11comp_targetILNS1_3genE8ELNS1_11target_archE1030ELNS1_3gpuE2ELNS1_3repE0EEENS1_30default_config_static_selectorELNS0_4arch9wavefront6targetE1EEEvT1_,comdat
	.protected	_ZN7rocprim17ROCPRIM_400000_NS6detail17trampoline_kernelINS0_14default_configENS1_27scan_by_key_config_selectorIiiEEZZNS1_16scan_by_key_implILNS1_25lookback_scan_determinismE0ELb1ES3_N6thrust23THRUST_200600_302600_NS6detail15normal_iteratorINS9_10device_ptrIiEEEENSB_INSC_IjEEEESE_iNS9_4plusIvEENS9_8equal_toIvEEiEE10hipError_tPvRmT2_T3_T4_T5_mT6_T7_P12ihipStream_tbENKUlT_T0_E_clISt17integral_constantIbLb1EES11_EEDaSW_SX_EUlSW_E_NS1_11comp_targetILNS1_3genE8ELNS1_11target_archE1030ELNS1_3gpuE2ELNS1_3repE0EEENS1_30default_config_static_selectorELNS0_4arch9wavefront6targetE1EEEvT1_ ; -- Begin function _ZN7rocprim17ROCPRIM_400000_NS6detail17trampoline_kernelINS0_14default_configENS1_27scan_by_key_config_selectorIiiEEZZNS1_16scan_by_key_implILNS1_25lookback_scan_determinismE0ELb1ES3_N6thrust23THRUST_200600_302600_NS6detail15normal_iteratorINS9_10device_ptrIiEEEENSB_INSC_IjEEEESE_iNS9_4plusIvEENS9_8equal_toIvEEiEE10hipError_tPvRmT2_T3_T4_T5_mT6_T7_P12ihipStream_tbENKUlT_T0_E_clISt17integral_constantIbLb1EES11_EEDaSW_SX_EUlSW_E_NS1_11comp_targetILNS1_3genE8ELNS1_11target_archE1030ELNS1_3gpuE2ELNS1_3repE0EEENS1_30default_config_static_selectorELNS0_4arch9wavefront6targetE1EEEvT1_
	.globl	_ZN7rocprim17ROCPRIM_400000_NS6detail17trampoline_kernelINS0_14default_configENS1_27scan_by_key_config_selectorIiiEEZZNS1_16scan_by_key_implILNS1_25lookback_scan_determinismE0ELb1ES3_N6thrust23THRUST_200600_302600_NS6detail15normal_iteratorINS9_10device_ptrIiEEEENSB_INSC_IjEEEESE_iNS9_4plusIvEENS9_8equal_toIvEEiEE10hipError_tPvRmT2_T3_T4_T5_mT6_T7_P12ihipStream_tbENKUlT_T0_E_clISt17integral_constantIbLb1EES11_EEDaSW_SX_EUlSW_E_NS1_11comp_targetILNS1_3genE8ELNS1_11target_archE1030ELNS1_3gpuE2ELNS1_3repE0EEENS1_30default_config_static_selectorELNS0_4arch9wavefront6targetE1EEEvT1_
	.p2align	8
	.type	_ZN7rocprim17ROCPRIM_400000_NS6detail17trampoline_kernelINS0_14default_configENS1_27scan_by_key_config_selectorIiiEEZZNS1_16scan_by_key_implILNS1_25lookback_scan_determinismE0ELb1ES3_N6thrust23THRUST_200600_302600_NS6detail15normal_iteratorINS9_10device_ptrIiEEEENSB_INSC_IjEEEESE_iNS9_4plusIvEENS9_8equal_toIvEEiEE10hipError_tPvRmT2_T3_T4_T5_mT6_T7_P12ihipStream_tbENKUlT_T0_E_clISt17integral_constantIbLb1EES11_EEDaSW_SX_EUlSW_E_NS1_11comp_targetILNS1_3genE8ELNS1_11target_archE1030ELNS1_3gpuE2ELNS1_3repE0EEENS1_30default_config_static_selectorELNS0_4arch9wavefront6targetE1EEEvT1_,@function
_ZN7rocprim17ROCPRIM_400000_NS6detail17trampoline_kernelINS0_14default_configENS1_27scan_by_key_config_selectorIiiEEZZNS1_16scan_by_key_implILNS1_25lookback_scan_determinismE0ELb1ES3_N6thrust23THRUST_200600_302600_NS6detail15normal_iteratorINS9_10device_ptrIiEEEENSB_INSC_IjEEEESE_iNS9_4plusIvEENS9_8equal_toIvEEiEE10hipError_tPvRmT2_T3_T4_T5_mT6_T7_P12ihipStream_tbENKUlT_T0_E_clISt17integral_constantIbLb1EES11_EEDaSW_SX_EUlSW_E_NS1_11comp_targetILNS1_3genE8ELNS1_11target_archE1030ELNS1_3gpuE2ELNS1_3repE0EEENS1_30default_config_static_selectorELNS0_4arch9wavefront6targetE1EEEvT1_: ; @_ZN7rocprim17ROCPRIM_400000_NS6detail17trampoline_kernelINS0_14default_configENS1_27scan_by_key_config_selectorIiiEEZZNS1_16scan_by_key_implILNS1_25lookback_scan_determinismE0ELb1ES3_N6thrust23THRUST_200600_302600_NS6detail15normal_iteratorINS9_10device_ptrIiEEEENSB_INSC_IjEEEESE_iNS9_4plusIvEENS9_8equal_toIvEEiEE10hipError_tPvRmT2_T3_T4_T5_mT6_T7_P12ihipStream_tbENKUlT_T0_E_clISt17integral_constantIbLb1EES11_EEDaSW_SX_EUlSW_E_NS1_11comp_targetILNS1_3genE8ELNS1_11target_archE1030ELNS1_3gpuE2ELNS1_3repE0EEENS1_30default_config_static_selectorELNS0_4arch9wavefront6targetE1EEEvT1_
; %bb.0:
	.section	.rodata,"a",@progbits
	.p2align	6, 0x0
	.amdhsa_kernel _ZN7rocprim17ROCPRIM_400000_NS6detail17trampoline_kernelINS0_14default_configENS1_27scan_by_key_config_selectorIiiEEZZNS1_16scan_by_key_implILNS1_25lookback_scan_determinismE0ELb1ES3_N6thrust23THRUST_200600_302600_NS6detail15normal_iteratorINS9_10device_ptrIiEEEENSB_INSC_IjEEEESE_iNS9_4plusIvEENS9_8equal_toIvEEiEE10hipError_tPvRmT2_T3_T4_T5_mT6_T7_P12ihipStream_tbENKUlT_T0_E_clISt17integral_constantIbLb1EES11_EEDaSW_SX_EUlSW_E_NS1_11comp_targetILNS1_3genE8ELNS1_11target_archE1030ELNS1_3gpuE2ELNS1_3repE0EEENS1_30default_config_static_selectorELNS0_4arch9wavefront6targetE1EEEvT1_
		.amdhsa_group_segment_fixed_size 0
		.amdhsa_private_segment_fixed_size 0
		.amdhsa_kernarg_size 112
		.amdhsa_user_sgpr_count 6
		.amdhsa_user_sgpr_private_segment_buffer 1
		.amdhsa_user_sgpr_dispatch_ptr 0
		.amdhsa_user_sgpr_queue_ptr 0
		.amdhsa_user_sgpr_kernarg_segment_ptr 1
		.amdhsa_user_sgpr_dispatch_id 0
		.amdhsa_user_sgpr_flat_scratch_init 0
		.amdhsa_user_sgpr_kernarg_preload_length 0
		.amdhsa_user_sgpr_kernarg_preload_offset 0
		.amdhsa_user_sgpr_private_segment_size 0
		.amdhsa_uses_dynamic_stack 0
		.amdhsa_system_sgpr_private_segment_wavefront_offset 0
		.amdhsa_system_sgpr_workgroup_id_x 1
		.amdhsa_system_sgpr_workgroup_id_y 0
		.amdhsa_system_sgpr_workgroup_id_z 0
		.amdhsa_system_sgpr_workgroup_info 0
		.amdhsa_system_vgpr_workitem_id 0
		.amdhsa_next_free_vgpr 1
		.amdhsa_next_free_sgpr 0
		.amdhsa_accum_offset 4
		.amdhsa_reserve_vcc 0
		.amdhsa_reserve_flat_scratch 0
		.amdhsa_float_round_mode_32 0
		.amdhsa_float_round_mode_16_64 0
		.amdhsa_float_denorm_mode_32 3
		.amdhsa_float_denorm_mode_16_64 3
		.amdhsa_dx10_clamp 1
		.amdhsa_ieee_mode 1
		.amdhsa_fp16_overflow 0
		.amdhsa_tg_split 0
		.amdhsa_exception_fp_ieee_invalid_op 0
		.amdhsa_exception_fp_denorm_src 0
		.amdhsa_exception_fp_ieee_div_zero 0
		.amdhsa_exception_fp_ieee_overflow 0
		.amdhsa_exception_fp_ieee_underflow 0
		.amdhsa_exception_fp_ieee_inexact 0
		.amdhsa_exception_int_div_zero 0
	.end_amdhsa_kernel
	.section	.text._ZN7rocprim17ROCPRIM_400000_NS6detail17trampoline_kernelINS0_14default_configENS1_27scan_by_key_config_selectorIiiEEZZNS1_16scan_by_key_implILNS1_25lookback_scan_determinismE0ELb1ES3_N6thrust23THRUST_200600_302600_NS6detail15normal_iteratorINS9_10device_ptrIiEEEENSB_INSC_IjEEEESE_iNS9_4plusIvEENS9_8equal_toIvEEiEE10hipError_tPvRmT2_T3_T4_T5_mT6_T7_P12ihipStream_tbENKUlT_T0_E_clISt17integral_constantIbLb1EES11_EEDaSW_SX_EUlSW_E_NS1_11comp_targetILNS1_3genE8ELNS1_11target_archE1030ELNS1_3gpuE2ELNS1_3repE0EEENS1_30default_config_static_selectorELNS0_4arch9wavefront6targetE1EEEvT1_,"axG",@progbits,_ZN7rocprim17ROCPRIM_400000_NS6detail17trampoline_kernelINS0_14default_configENS1_27scan_by_key_config_selectorIiiEEZZNS1_16scan_by_key_implILNS1_25lookback_scan_determinismE0ELb1ES3_N6thrust23THRUST_200600_302600_NS6detail15normal_iteratorINS9_10device_ptrIiEEEENSB_INSC_IjEEEESE_iNS9_4plusIvEENS9_8equal_toIvEEiEE10hipError_tPvRmT2_T3_T4_T5_mT6_T7_P12ihipStream_tbENKUlT_T0_E_clISt17integral_constantIbLb1EES11_EEDaSW_SX_EUlSW_E_NS1_11comp_targetILNS1_3genE8ELNS1_11target_archE1030ELNS1_3gpuE2ELNS1_3repE0EEENS1_30default_config_static_selectorELNS0_4arch9wavefront6targetE1EEEvT1_,comdat
.Lfunc_end1769:
	.size	_ZN7rocprim17ROCPRIM_400000_NS6detail17trampoline_kernelINS0_14default_configENS1_27scan_by_key_config_selectorIiiEEZZNS1_16scan_by_key_implILNS1_25lookback_scan_determinismE0ELb1ES3_N6thrust23THRUST_200600_302600_NS6detail15normal_iteratorINS9_10device_ptrIiEEEENSB_INSC_IjEEEESE_iNS9_4plusIvEENS9_8equal_toIvEEiEE10hipError_tPvRmT2_T3_T4_T5_mT6_T7_P12ihipStream_tbENKUlT_T0_E_clISt17integral_constantIbLb1EES11_EEDaSW_SX_EUlSW_E_NS1_11comp_targetILNS1_3genE8ELNS1_11target_archE1030ELNS1_3gpuE2ELNS1_3repE0EEENS1_30default_config_static_selectorELNS0_4arch9wavefront6targetE1EEEvT1_, .Lfunc_end1769-_ZN7rocprim17ROCPRIM_400000_NS6detail17trampoline_kernelINS0_14default_configENS1_27scan_by_key_config_selectorIiiEEZZNS1_16scan_by_key_implILNS1_25lookback_scan_determinismE0ELb1ES3_N6thrust23THRUST_200600_302600_NS6detail15normal_iteratorINS9_10device_ptrIiEEEENSB_INSC_IjEEEESE_iNS9_4plusIvEENS9_8equal_toIvEEiEE10hipError_tPvRmT2_T3_T4_T5_mT6_T7_P12ihipStream_tbENKUlT_T0_E_clISt17integral_constantIbLb1EES11_EEDaSW_SX_EUlSW_E_NS1_11comp_targetILNS1_3genE8ELNS1_11target_archE1030ELNS1_3gpuE2ELNS1_3repE0EEENS1_30default_config_static_selectorELNS0_4arch9wavefront6targetE1EEEvT1_
                                        ; -- End function
	.section	.AMDGPU.csdata,"",@progbits
; Kernel info:
; codeLenInByte = 0
; NumSgprs: 4
; NumVgprs: 0
; NumAgprs: 0
; TotalNumVgprs: 0
; ScratchSize: 0
; MemoryBound: 0
; FloatMode: 240
; IeeeMode: 1
; LDSByteSize: 0 bytes/workgroup (compile time only)
; SGPRBlocks: 0
; VGPRBlocks: 0
; NumSGPRsForWavesPerEU: 4
; NumVGPRsForWavesPerEU: 1
; AccumOffset: 4
; Occupancy: 8
; WaveLimiterHint : 0
; COMPUTE_PGM_RSRC2:SCRATCH_EN: 0
; COMPUTE_PGM_RSRC2:USER_SGPR: 6
; COMPUTE_PGM_RSRC2:TRAP_HANDLER: 0
; COMPUTE_PGM_RSRC2:TGID_X_EN: 1
; COMPUTE_PGM_RSRC2:TGID_Y_EN: 0
; COMPUTE_PGM_RSRC2:TGID_Z_EN: 0
; COMPUTE_PGM_RSRC2:TIDIG_COMP_CNT: 0
; COMPUTE_PGM_RSRC3_GFX90A:ACCUM_OFFSET: 0
; COMPUTE_PGM_RSRC3_GFX90A:TG_SPLIT: 0
	.section	.text._ZN7rocprim17ROCPRIM_400000_NS6detail17trampoline_kernelINS0_14default_configENS1_27scan_by_key_config_selectorIiiEEZZNS1_16scan_by_key_implILNS1_25lookback_scan_determinismE0ELb1ES3_N6thrust23THRUST_200600_302600_NS6detail15normal_iteratorINS9_10device_ptrIiEEEENSB_INSC_IjEEEESE_iNS9_4plusIvEENS9_8equal_toIvEEiEE10hipError_tPvRmT2_T3_T4_T5_mT6_T7_P12ihipStream_tbENKUlT_T0_E_clISt17integral_constantIbLb1EES10_IbLb0EEEEDaSW_SX_EUlSW_E_NS1_11comp_targetILNS1_3genE0ELNS1_11target_archE4294967295ELNS1_3gpuE0ELNS1_3repE0EEENS1_30default_config_static_selectorELNS0_4arch9wavefront6targetE1EEEvT1_,"axG",@progbits,_ZN7rocprim17ROCPRIM_400000_NS6detail17trampoline_kernelINS0_14default_configENS1_27scan_by_key_config_selectorIiiEEZZNS1_16scan_by_key_implILNS1_25lookback_scan_determinismE0ELb1ES3_N6thrust23THRUST_200600_302600_NS6detail15normal_iteratorINS9_10device_ptrIiEEEENSB_INSC_IjEEEESE_iNS9_4plusIvEENS9_8equal_toIvEEiEE10hipError_tPvRmT2_T3_T4_T5_mT6_T7_P12ihipStream_tbENKUlT_T0_E_clISt17integral_constantIbLb1EES10_IbLb0EEEEDaSW_SX_EUlSW_E_NS1_11comp_targetILNS1_3genE0ELNS1_11target_archE4294967295ELNS1_3gpuE0ELNS1_3repE0EEENS1_30default_config_static_selectorELNS0_4arch9wavefront6targetE1EEEvT1_,comdat
	.protected	_ZN7rocprim17ROCPRIM_400000_NS6detail17trampoline_kernelINS0_14default_configENS1_27scan_by_key_config_selectorIiiEEZZNS1_16scan_by_key_implILNS1_25lookback_scan_determinismE0ELb1ES3_N6thrust23THRUST_200600_302600_NS6detail15normal_iteratorINS9_10device_ptrIiEEEENSB_INSC_IjEEEESE_iNS9_4plusIvEENS9_8equal_toIvEEiEE10hipError_tPvRmT2_T3_T4_T5_mT6_T7_P12ihipStream_tbENKUlT_T0_E_clISt17integral_constantIbLb1EES10_IbLb0EEEEDaSW_SX_EUlSW_E_NS1_11comp_targetILNS1_3genE0ELNS1_11target_archE4294967295ELNS1_3gpuE0ELNS1_3repE0EEENS1_30default_config_static_selectorELNS0_4arch9wavefront6targetE1EEEvT1_ ; -- Begin function _ZN7rocprim17ROCPRIM_400000_NS6detail17trampoline_kernelINS0_14default_configENS1_27scan_by_key_config_selectorIiiEEZZNS1_16scan_by_key_implILNS1_25lookback_scan_determinismE0ELb1ES3_N6thrust23THRUST_200600_302600_NS6detail15normal_iteratorINS9_10device_ptrIiEEEENSB_INSC_IjEEEESE_iNS9_4plusIvEENS9_8equal_toIvEEiEE10hipError_tPvRmT2_T3_T4_T5_mT6_T7_P12ihipStream_tbENKUlT_T0_E_clISt17integral_constantIbLb1EES10_IbLb0EEEEDaSW_SX_EUlSW_E_NS1_11comp_targetILNS1_3genE0ELNS1_11target_archE4294967295ELNS1_3gpuE0ELNS1_3repE0EEENS1_30default_config_static_selectorELNS0_4arch9wavefront6targetE1EEEvT1_
	.globl	_ZN7rocprim17ROCPRIM_400000_NS6detail17trampoline_kernelINS0_14default_configENS1_27scan_by_key_config_selectorIiiEEZZNS1_16scan_by_key_implILNS1_25lookback_scan_determinismE0ELb1ES3_N6thrust23THRUST_200600_302600_NS6detail15normal_iteratorINS9_10device_ptrIiEEEENSB_INSC_IjEEEESE_iNS9_4plusIvEENS9_8equal_toIvEEiEE10hipError_tPvRmT2_T3_T4_T5_mT6_T7_P12ihipStream_tbENKUlT_T0_E_clISt17integral_constantIbLb1EES10_IbLb0EEEEDaSW_SX_EUlSW_E_NS1_11comp_targetILNS1_3genE0ELNS1_11target_archE4294967295ELNS1_3gpuE0ELNS1_3repE0EEENS1_30default_config_static_selectorELNS0_4arch9wavefront6targetE1EEEvT1_
	.p2align	8
	.type	_ZN7rocprim17ROCPRIM_400000_NS6detail17trampoline_kernelINS0_14default_configENS1_27scan_by_key_config_selectorIiiEEZZNS1_16scan_by_key_implILNS1_25lookback_scan_determinismE0ELb1ES3_N6thrust23THRUST_200600_302600_NS6detail15normal_iteratorINS9_10device_ptrIiEEEENSB_INSC_IjEEEESE_iNS9_4plusIvEENS9_8equal_toIvEEiEE10hipError_tPvRmT2_T3_T4_T5_mT6_T7_P12ihipStream_tbENKUlT_T0_E_clISt17integral_constantIbLb1EES10_IbLb0EEEEDaSW_SX_EUlSW_E_NS1_11comp_targetILNS1_3genE0ELNS1_11target_archE4294967295ELNS1_3gpuE0ELNS1_3repE0EEENS1_30default_config_static_selectorELNS0_4arch9wavefront6targetE1EEEvT1_,@function
_ZN7rocprim17ROCPRIM_400000_NS6detail17trampoline_kernelINS0_14default_configENS1_27scan_by_key_config_selectorIiiEEZZNS1_16scan_by_key_implILNS1_25lookback_scan_determinismE0ELb1ES3_N6thrust23THRUST_200600_302600_NS6detail15normal_iteratorINS9_10device_ptrIiEEEENSB_INSC_IjEEEESE_iNS9_4plusIvEENS9_8equal_toIvEEiEE10hipError_tPvRmT2_T3_T4_T5_mT6_T7_P12ihipStream_tbENKUlT_T0_E_clISt17integral_constantIbLb1EES10_IbLb0EEEEDaSW_SX_EUlSW_E_NS1_11comp_targetILNS1_3genE0ELNS1_11target_archE4294967295ELNS1_3gpuE0ELNS1_3repE0EEENS1_30default_config_static_selectorELNS0_4arch9wavefront6targetE1EEEvT1_: ; @_ZN7rocprim17ROCPRIM_400000_NS6detail17trampoline_kernelINS0_14default_configENS1_27scan_by_key_config_selectorIiiEEZZNS1_16scan_by_key_implILNS1_25lookback_scan_determinismE0ELb1ES3_N6thrust23THRUST_200600_302600_NS6detail15normal_iteratorINS9_10device_ptrIiEEEENSB_INSC_IjEEEESE_iNS9_4plusIvEENS9_8equal_toIvEEiEE10hipError_tPvRmT2_T3_T4_T5_mT6_T7_P12ihipStream_tbENKUlT_T0_E_clISt17integral_constantIbLb1EES10_IbLb0EEEEDaSW_SX_EUlSW_E_NS1_11comp_targetILNS1_3genE0ELNS1_11target_archE4294967295ELNS1_3gpuE0ELNS1_3repE0EEENS1_30default_config_static_selectorELNS0_4arch9wavefront6targetE1EEEvT1_
; %bb.0:
	.section	.rodata,"a",@progbits
	.p2align	6, 0x0
	.amdhsa_kernel _ZN7rocprim17ROCPRIM_400000_NS6detail17trampoline_kernelINS0_14default_configENS1_27scan_by_key_config_selectorIiiEEZZNS1_16scan_by_key_implILNS1_25lookback_scan_determinismE0ELb1ES3_N6thrust23THRUST_200600_302600_NS6detail15normal_iteratorINS9_10device_ptrIiEEEENSB_INSC_IjEEEESE_iNS9_4plusIvEENS9_8equal_toIvEEiEE10hipError_tPvRmT2_T3_T4_T5_mT6_T7_P12ihipStream_tbENKUlT_T0_E_clISt17integral_constantIbLb1EES10_IbLb0EEEEDaSW_SX_EUlSW_E_NS1_11comp_targetILNS1_3genE0ELNS1_11target_archE4294967295ELNS1_3gpuE0ELNS1_3repE0EEENS1_30default_config_static_selectorELNS0_4arch9wavefront6targetE1EEEvT1_
		.amdhsa_group_segment_fixed_size 0
		.amdhsa_private_segment_fixed_size 0
		.amdhsa_kernarg_size 112
		.amdhsa_user_sgpr_count 6
		.amdhsa_user_sgpr_private_segment_buffer 1
		.amdhsa_user_sgpr_dispatch_ptr 0
		.amdhsa_user_sgpr_queue_ptr 0
		.amdhsa_user_sgpr_kernarg_segment_ptr 1
		.amdhsa_user_sgpr_dispatch_id 0
		.amdhsa_user_sgpr_flat_scratch_init 0
		.amdhsa_user_sgpr_kernarg_preload_length 0
		.amdhsa_user_sgpr_kernarg_preload_offset 0
		.amdhsa_user_sgpr_private_segment_size 0
		.amdhsa_uses_dynamic_stack 0
		.amdhsa_system_sgpr_private_segment_wavefront_offset 0
		.amdhsa_system_sgpr_workgroup_id_x 1
		.amdhsa_system_sgpr_workgroup_id_y 0
		.amdhsa_system_sgpr_workgroup_id_z 0
		.amdhsa_system_sgpr_workgroup_info 0
		.amdhsa_system_vgpr_workitem_id 0
		.amdhsa_next_free_vgpr 1
		.amdhsa_next_free_sgpr 0
		.amdhsa_accum_offset 4
		.amdhsa_reserve_vcc 0
		.amdhsa_reserve_flat_scratch 0
		.amdhsa_float_round_mode_32 0
		.amdhsa_float_round_mode_16_64 0
		.amdhsa_float_denorm_mode_32 3
		.amdhsa_float_denorm_mode_16_64 3
		.amdhsa_dx10_clamp 1
		.amdhsa_ieee_mode 1
		.amdhsa_fp16_overflow 0
		.amdhsa_tg_split 0
		.amdhsa_exception_fp_ieee_invalid_op 0
		.amdhsa_exception_fp_denorm_src 0
		.amdhsa_exception_fp_ieee_div_zero 0
		.amdhsa_exception_fp_ieee_overflow 0
		.amdhsa_exception_fp_ieee_underflow 0
		.amdhsa_exception_fp_ieee_inexact 0
		.amdhsa_exception_int_div_zero 0
	.end_amdhsa_kernel
	.section	.text._ZN7rocprim17ROCPRIM_400000_NS6detail17trampoline_kernelINS0_14default_configENS1_27scan_by_key_config_selectorIiiEEZZNS1_16scan_by_key_implILNS1_25lookback_scan_determinismE0ELb1ES3_N6thrust23THRUST_200600_302600_NS6detail15normal_iteratorINS9_10device_ptrIiEEEENSB_INSC_IjEEEESE_iNS9_4plusIvEENS9_8equal_toIvEEiEE10hipError_tPvRmT2_T3_T4_T5_mT6_T7_P12ihipStream_tbENKUlT_T0_E_clISt17integral_constantIbLb1EES10_IbLb0EEEEDaSW_SX_EUlSW_E_NS1_11comp_targetILNS1_3genE0ELNS1_11target_archE4294967295ELNS1_3gpuE0ELNS1_3repE0EEENS1_30default_config_static_selectorELNS0_4arch9wavefront6targetE1EEEvT1_,"axG",@progbits,_ZN7rocprim17ROCPRIM_400000_NS6detail17trampoline_kernelINS0_14default_configENS1_27scan_by_key_config_selectorIiiEEZZNS1_16scan_by_key_implILNS1_25lookback_scan_determinismE0ELb1ES3_N6thrust23THRUST_200600_302600_NS6detail15normal_iteratorINS9_10device_ptrIiEEEENSB_INSC_IjEEEESE_iNS9_4plusIvEENS9_8equal_toIvEEiEE10hipError_tPvRmT2_T3_T4_T5_mT6_T7_P12ihipStream_tbENKUlT_T0_E_clISt17integral_constantIbLb1EES10_IbLb0EEEEDaSW_SX_EUlSW_E_NS1_11comp_targetILNS1_3genE0ELNS1_11target_archE4294967295ELNS1_3gpuE0ELNS1_3repE0EEENS1_30default_config_static_selectorELNS0_4arch9wavefront6targetE1EEEvT1_,comdat
.Lfunc_end1770:
	.size	_ZN7rocprim17ROCPRIM_400000_NS6detail17trampoline_kernelINS0_14default_configENS1_27scan_by_key_config_selectorIiiEEZZNS1_16scan_by_key_implILNS1_25lookback_scan_determinismE0ELb1ES3_N6thrust23THRUST_200600_302600_NS6detail15normal_iteratorINS9_10device_ptrIiEEEENSB_INSC_IjEEEESE_iNS9_4plusIvEENS9_8equal_toIvEEiEE10hipError_tPvRmT2_T3_T4_T5_mT6_T7_P12ihipStream_tbENKUlT_T0_E_clISt17integral_constantIbLb1EES10_IbLb0EEEEDaSW_SX_EUlSW_E_NS1_11comp_targetILNS1_3genE0ELNS1_11target_archE4294967295ELNS1_3gpuE0ELNS1_3repE0EEENS1_30default_config_static_selectorELNS0_4arch9wavefront6targetE1EEEvT1_, .Lfunc_end1770-_ZN7rocprim17ROCPRIM_400000_NS6detail17trampoline_kernelINS0_14default_configENS1_27scan_by_key_config_selectorIiiEEZZNS1_16scan_by_key_implILNS1_25lookback_scan_determinismE0ELb1ES3_N6thrust23THRUST_200600_302600_NS6detail15normal_iteratorINS9_10device_ptrIiEEEENSB_INSC_IjEEEESE_iNS9_4plusIvEENS9_8equal_toIvEEiEE10hipError_tPvRmT2_T3_T4_T5_mT6_T7_P12ihipStream_tbENKUlT_T0_E_clISt17integral_constantIbLb1EES10_IbLb0EEEEDaSW_SX_EUlSW_E_NS1_11comp_targetILNS1_3genE0ELNS1_11target_archE4294967295ELNS1_3gpuE0ELNS1_3repE0EEENS1_30default_config_static_selectorELNS0_4arch9wavefront6targetE1EEEvT1_
                                        ; -- End function
	.section	.AMDGPU.csdata,"",@progbits
; Kernel info:
; codeLenInByte = 0
; NumSgprs: 4
; NumVgprs: 0
; NumAgprs: 0
; TotalNumVgprs: 0
; ScratchSize: 0
; MemoryBound: 0
; FloatMode: 240
; IeeeMode: 1
; LDSByteSize: 0 bytes/workgroup (compile time only)
; SGPRBlocks: 0
; VGPRBlocks: 0
; NumSGPRsForWavesPerEU: 4
; NumVGPRsForWavesPerEU: 1
; AccumOffset: 4
; Occupancy: 8
; WaveLimiterHint : 0
; COMPUTE_PGM_RSRC2:SCRATCH_EN: 0
; COMPUTE_PGM_RSRC2:USER_SGPR: 6
; COMPUTE_PGM_RSRC2:TRAP_HANDLER: 0
; COMPUTE_PGM_RSRC2:TGID_X_EN: 1
; COMPUTE_PGM_RSRC2:TGID_Y_EN: 0
; COMPUTE_PGM_RSRC2:TGID_Z_EN: 0
; COMPUTE_PGM_RSRC2:TIDIG_COMP_CNT: 0
; COMPUTE_PGM_RSRC3_GFX90A:ACCUM_OFFSET: 0
; COMPUTE_PGM_RSRC3_GFX90A:TG_SPLIT: 0
	.section	.text._ZN7rocprim17ROCPRIM_400000_NS6detail17trampoline_kernelINS0_14default_configENS1_27scan_by_key_config_selectorIiiEEZZNS1_16scan_by_key_implILNS1_25lookback_scan_determinismE0ELb1ES3_N6thrust23THRUST_200600_302600_NS6detail15normal_iteratorINS9_10device_ptrIiEEEENSB_INSC_IjEEEESE_iNS9_4plusIvEENS9_8equal_toIvEEiEE10hipError_tPvRmT2_T3_T4_T5_mT6_T7_P12ihipStream_tbENKUlT_T0_E_clISt17integral_constantIbLb1EES10_IbLb0EEEEDaSW_SX_EUlSW_E_NS1_11comp_targetILNS1_3genE10ELNS1_11target_archE1201ELNS1_3gpuE5ELNS1_3repE0EEENS1_30default_config_static_selectorELNS0_4arch9wavefront6targetE1EEEvT1_,"axG",@progbits,_ZN7rocprim17ROCPRIM_400000_NS6detail17trampoline_kernelINS0_14default_configENS1_27scan_by_key_config_selectorIiiEEZZNS1_16scan_by_key_implILNS1_25lookback_scan_determinismE0ELb1ES3_N6thrust23THRUST_200600_302600_NS6detail15normal_iteratorINS9_10device_ptrIiEEEENSB_INSC_IjEEEESE_iNS9_4plusIvEENS9_8equal_toIvEEiEE10hipError_tPvRmT2_T3_T4_T5_mT6_T7_P12ihipStream_tbENKUlT_T0_E_clISt17integral_constantIbLb1EES10_IbLb0EEEEDaSW_SX_EUlSW_E_NS1_11comp_targetILNS1_3genE10ELNS1_11target_archE1201ELNS1_3gpuE5ELNS1_3repE0EEENS1_30default_config_static_selectorELNS0_4arch9wavefront6targetE1EEEvT1_,comdat
	.protected	_ZN7rocprim17ROCPRIM_400000_NS6detail17trampoline_kernelINS0_14default_configENS1_27scan_by_key_config_selectorIiiEEZZNS1_16scan_by_key_implILNS1_25lookback_scan_determinismE0ELb1ES3_N6thrust23THRUST_200600_302600_NS6detail15normal_iteratorINS9_10device_ptrIiEEEENSB_INSC_IjEEEESE_iNS9_4plusIvEENS9_8equal_toIvEEiEE10hipError_tPvRmT2_T3_T4_T5_mT6_T7_P12ihipStream_tbENKUlT_T0_E_clISt17integral_constantIbLb1EES10_IbLb0EEEEDaSW_SX_EUlSW_E_NS1_11comp_targetILNS1_3genE10ELNS1_11target_archE1201ELNS1_3gpuE5ELNS1_3repE0EEENS1_30default_config_static_selectorELNS0_4arch9wavefront6targetE1EEEvT1_ ; -- Begin function _ZN7rocprim17ROCPRIM_400000_NS6detail17trampoline_kernelINS0_14default_configENS1_27scan_by_key_config_selectorIiiEEZZNS1_16scan_by_key_implILNS1_25lookback_scan_determinismE0ELb1ES3_N6thrust23THRUST_200600_302600_NS6detail15normal_iteratorINS9_10device_ptrIiEEEENSB_INSC_IjEEEESE_iNS9_4plusIvEENS9_8equal_toIvEEiEE10hipError_tPvRmT2_T3_T4_T5_mT6_T7_P12ihipStream_tbENKUlT_T0_E_clISt17integral_constantIbLb1EES10_IbLb0EEEEDaSW_SX_EUlSW_E_NS1_11comp_targetILNS1_3genE10ELNS1_11target_archE1201ELNS1_3gpuE5ELNS1_3repE0EEENS1_30default_config_static_selectorELNS0_4arch9wavefront6targetE1EEEvT1_
	.globl	_ZN7rocprim17ROCPRIM_400000_NS6detail17trampoline_kernelINS0_14default_configENS1_27scan_by_key_config_selectorIiiEEZZNS1_16scan_by_key_implILNS1_25lookback_scan_determinismE0ELb1ES3_N6thrust23THRUST_200600_302600_NS6detail15normal_iteratorINS9_10device_ptrIiEEEENSB_INSC_IjEEEESE_iNS9_4plusIvEENS9_8equal_toIvEEiEE10hipError_tPvRmT2_T3_T4_T5_mT6_T7_P12ihipStream_tbENKUlT_T0_E_clISt17integral_constantIbLb1EES10_IbLb0EEEEDaSW_SX_EUlSW_E_NS1_11comp_targetILNS1_3genE10ELNS1_11target_archE1201ELNS1_3gpuE5ELNS1_3repE0EEENS1_30default_config_static_selectorELNS0_4arch9wavefront6targetE1EEEvT1_
	.p2align	8
	.type	_ZN7rocprim17ROCPRIM_400000_NS6detail17trampoline_kernelINS0_14default_configENS1_27scan_by_key_config_selectorIiiEEZZNS1_16scan_by_key_implILNS1_25lookback_scan_determinismE0ELb1ES3_N6thrust23THRUST_200600_302600_NS6detail15normal_iteratorINS9_10device_ptrIiEEEENSB_INSC_IjEEEESE_iNS9_4plusIvEENS9_8equal_toIvEEiEE10hipError_tPvRmT2_T3_T4_T5_mT6_T7_P12ihipStream_tbENKUlT_T0_E_clISt17integral_constantIbLb1EES10_IbLb0EEEEDaSW_SX_EUlSW_E_NS1_11comp_targetILNS1_3genE10ELNS1_11target_archE1201ELNS1_3gpuE5ELNS1_3repE0EEENS1_30default_config_static_selectorELNS0_4arch9wavefront6targetE1EEEvT1_,@function
_ZN7rocprim17ROCPRIM_400000_NS6detail17trampoline_kernelINS0_14default_configENS1_27scan_by_key_config_selectorIiiEEZZNS1_16scan_by_key_implILNS1_25lookback_scan_determinismE0ELb1ES3_N6thrust23THRUST_200600_302600_NS6detail15normal_iteratorINS9_10device_ptrIiEEEENSB_INSC_IjEEEESE_iNS9_4plusIvEENS9_8equal_toIvEEiEE10hipError_tPvRmT2_T3_T4_T5_mT6_T7_P12ihipStream_tbENKUlT_T0_E_clISt17integral_constantIbLb1EES10_IbLb0EEEEDaSW_SX_EUlSW_E_NS1_11comp_targetILNS1_3genE10ELNS1_11target_archE1201ELNS1_3gpuE5ELNS1_3repE0EEENS1_30default_config_static_selectorELNS0_4arch9wavefront6targetE1EEEvT1_: ; @_ZN7rocprim17ROCPRIM_400000_NS6detail17trampoline_kernelINS0_14default_configENS1_27scan_by_key_config_selectorIiiEEZZNS1_16scan_by_key_implILNS1_25lookback_scan_determinismE0ELb1ES3_N6thrust23THRUST_200600_302600_NS6detail15normal_iteratorINS9_10device_ptrIiEEEENSB_INSC_IjEEEESE_iNS9_4plusIvEENS9_8equal_toIvEEiEE10hipError_tPvRmT2_T3_T4_T5_mT6_T7_P12ihipStream_tbENKUlT_T0_E_clISt17integral_constantIbLb1EES10_IbLb0EEEEDaSW_SX_EUlSW_E_NS1_11comp_targetILNS1_3genE10ELNS1_11target_archE1201ELNS1_3gpuE5ELNS1_3repE0EEENS1_30default_config_static_selectorELNS0_4arch9wavefront6targetE1EEEvT1_
; %bb.0:
	.section	.rodata,"a",@progbits
	.p2align	6, 0x0
	.amdhsa_kernel _ZN7rocprim17ROCPRIM_400000_NS6detail17trampoline_kernelINS0_14default_configENS1_27scan_by_key_config_selectorIiiEEZZNS1_16scan_by_key_implILNS1_25lookback_scan_determinismE0ELb1ES3_N6thrust23THRUST_200600_302600_NS6detail15normal_iteratorINS9_10device_ptrIiEEEENSB_INSC_IjEEEESE_iNS9_4plusIvEENS9_8equal_toIvEEiEE10hipError_tPvRmT2_T3_T4_T5_mT6_T7_P12ihipStream_tbENKUlT_T0_E_clISt17integral_constantIbLb1EES10_IbLb0EEEEDaSW_SX_EUlSW_E_NS1_11comp_targetILNS1_3genE10ELNS1_11target_archE1201ELNS1_3gpuE5ELNS1_3repE0EEENS1_30default_config_static_selectorELNS0_4arch9wavefront6targetE1EEEvT1_
		.amdhsa_group_segment_fixed_size 0
		.amdhsa_private_segment_fixed_size 0
		.amdhsa_kernarg_size 112
		.amdhsa_user_sgpr_count 6
		.amdhsa_user_sgpr_private_segment_buffer 1
		.amdhsa_user_sgpr_dispatch_ptr 0
		.amdhsa_user_sgpr_queue_ptr 0
		.amdhsa_user_sgpr_kernarg_segment_ptr 1
		.amdhsa_user_sgpr_dispatch_id 0
		.amdhsa_user_sgpr_flat_scratch_init 0
		.amdhsa_user_sgpr_kernarg_preload_length 0
		.amdhsa_user_sgpr_kernarg_preload_offset 0
		.amdhsa_user_sgpr_private_segment_size 0
		.amdhsa_uses_dynamic_stack 0
		.amdhsa_system_sgpr_private_segment_wavefront_offset 0
		.amdhsa_system_sgpr_workgroup_id_x 1
		.amdhsa_system_sgpr_workgroup_id_y 0
		.amdhsa_system_sgpr_workgroup_id_z 0
		.amdhsa_system_sgpr_workgroup_info 0
		.amdhsa_system_vgpr_workitem_id 0
		.amdhsa_next_free_vgpr 1
		.amdhsa_next_free_sgpr 0
		.amdhsa_accum_offset 4
		.amdhsa_reserve_vcc 0
		.amdhsa_reserve_flat_scratch 0
		.amdhsa_float_round_mode_32 0
		.amdhsa_float_round_mode_16_64 0
		.amdhsa_float_denorm_mode_32 3
		.amdhsa_float_denorm_mode_16_64 3
		.amdhsa_dx10_clamp 1
		.amdhsa_ieee_mode 1
		.amdhsa_fp16_overflow 0
		.amdhsa_tg_split 0
		.amdhsa_exception_fp_ieee_invalid_op 0
		.amdhsa_exception_fp_denorm_src 0
		.amdhsa_exception_fp_ieee_div_zero 0
		.amdhsa_exception_fp_ieee_overflow 0
		.amdhsa_exception_fp_ieee_underflow 0
		.amdhsa_exception_fp_ieee_inexact 0
		.amdhsa_exception_int_div_zero 0
	.end_amdhsa_kernel
	.section	.text._ZN7rocprim17ROCPRIM_400000_NS6detail17trampoline_kernelINS0_14default_configENS1_27scan_by_key_config_selectorIiiEEZZNS1_16scan_by_key_implILNS1_25lookback_scan_determinismE0ELb1ES3_N6thrust23THRUST_200600_302600_NS6detail15normal_iteratorINS9_10device_ptrIiEEEENSB_INSC_IjEEEESE_iNS9_4plusIvEENS9_8equal_toIvEEiEE10hipError_tPvRmT2_T3_T4_T5_mT6_T7_P12ihipStream_tbENKUlT_T0_E_clISt17integral_constantIbLb1EES10_IbLb0EEEEDaSW_SX_EUlSW_E_NS1_11comp_targetILNS1_3genE10ELNS1_11target_archE1201ELNS1_3gpuE5ELNS1_3repE0EEENS1_30default_config_static_selectorELNS0_4arch9wavefront6targetE1EEEvT1_,"axG",@progbits,_ZN7rocprim17ROCPRIM_400000_NS6detail17trampoline_kernelINS0_14default_configENS1_27scan_by_key_config_selectorIiiEEZZNS1_16scan_by_key_implILNS1_25lookback_scan_determinismE0ELb1ES3_N6thrust23THRUST_200600_302600_NS6detail15normal_iteratorINS9_10device_ptrIiEEEENSB_INSC_IjEEEESE_iNS9_4plusIvEENS9_8equal_toIvEEiEE10hipError_tPvRmT2_T3_T4_T5_mT6_T7_P12ihipStream_tbENKUlT_T0_E_clISt17integral_constantIbLb1EES10_IbLb0EEEEDaSW_SX_EUlSW_E_NS1_11comp_targetILNS1_3genE10ELNS1_11target_archE1201ELNS1_3gpuE5ELNS1_3repE0EEENS1_30default_config_static_selectorELNS0_4arch9wavefront6targetE1EEEvT1_,comdat
.Lfunc_end1771:
	.size	_ZN7rocprim17ROCPRIM_400000_NS6detail17trampoline_kernelINS0_14default_configENS1_27scan_by_key_config_selectorIiiEEZZNS1_16scan_by_key_implILNS1_25lookback_scan_determinismE0ELb1ES3_N6thrust23THRUST_200600_302600_NS6detail15normal_iteratorINS9_10device_ptrIiEEEENSB_INSC_IjEEEESE_iNS9_4plusIvEENS9_8equal_toIvEEiEE10hipError_tPvRmT2_T3_T4_T5_mT6_T7_P12ihipStream_tbENKUlT_T0_E_clISt17integral_constantIbLb1EES10_IbLb0EEEEDaSW_SX_EUlSW_E_NS1_11comp_targetILNS1_3genE10ELNS1_11target_archE1201ELNS1_3gpuE5ELNS1_3repE0EEENS1_30default_config_static_selectorELNS0_4arch9wavefront6targetE1EEEvT1_, .Lfunc_end1771-_ZN7rocprim17ROCPRIM_400000_NS6detail17trampoline_kernelINS0_14default_configENS1_27scan_by_key_config_selectorIiiEEZZNS1_16scan_by_key_implILNS1_25lookback_scan_determinismE0ELb1ES3_N6thrust23THRUST_200600_302600_NS6detail15normal_iteratorINS9_10device_ptrIiEEEENSB_INSC_IjEEEESE_iNS9_4plusIvEENS9_8equal_toIvEEiEE10hipError_tPvRmT2_T3_T4_T5_mT6_T7_P12ihipStream_tbENKUlT_T0_E_clISt17integral_constantIbLb1EES10_IbLb0EEEEDaSW_SX_EUlSW_E_NS1_11comp_targetILNS1_3genE10ELNS1_11target_archE1201ELNS1_3gpuE5ELNS1_3repE0EEENS1_30default_config_static_selectorELNS0_4arch9wavefront6targetE1EEEvT1_
                                        ; -- End function
	.section	.AMDGPU.csdata,"",@progbits
; Kernel info:
; codeLenInByte = 0
; NumSgprs: 4
; NumVgprs: 0
; NumAgprs: 0
; TotalNumVgprs: 0
; ScratchSize: 0
; MemoryBound: 0
; FloatMode: 240
; IeeeMode: 1
; LDSByteSize: 0 bytes/workgroup (compile time only)
; SGPRBlocks: 0
; VGPRBlocks: 0
; NumSGPRsForWavesPerEU: 4
; NumVGPRsForWavesPerEU: 1
; AccumOffset: 4
; Occupancy: 8
; WaveLimiterHint : 0
; COMPUTE_PGM_RSRC2:SCRATCH_EN: 0
; COMPUTE_PGM_RSRC2:USER_SGPR: 6
; COMPUTE_PGM_RSRC2:TRAP_HANDLER: 0
; COMPUTE_PGM_RSRC2:TGID_X_EN: 1
; COMPUTE_PGM_RSRC2:TGID_Y_EN: 0
; COMPUTE_PGM_RSRC2:TGID_Z_EN: 0
; COMPUTE_PGM_RSRC2:TIDIG_COMP_CNT: 0
; COMPUTE_PGM_RSRC3_GFX90A:ACCUM_OFFSET: 0
; COMPUTE_PGM_RSRC3_GFX90A:TG_SPLIT: 0
	.section	.text._ZN7rocprim17ROCPRIM_400000_NS6detail17trampoline_kernelINS0_14default_configENS1_27scan_by_key_config_selectorIiiEEZZNS1_16scan_by_key_implILNS1_25lookback_scan_determinismE0ELb1ES3_N6thrust23THRUST_200600_302600_NS6detail15normal_iteratorINS9_10device_ptrIiEEEENSB_INSC_IjEEEESE_iNS9_4plusIvEENS9_8equal_toIvEEiEE10hipError_tPvRmT2_T3_T4_T5_mT6_T7_P12ihipStream_tbENKUlT_T0_E_clISt17integral_constantIbLb1EES10_IbLb0EEEEDaSW_SX_EUlSW_E_NS1_11comp_targetILNS1_3genE5ELNS1_11target_archE942ELNS1_3gpuE9ELNS1_3repE0EEENS1_30default_config_static_selectorELNS0_4arch9wavefront6targetE1EEEvT1_,"axG",@progbits,_ZN7rocprim17ROCPRIM_400000_NS6detail17trampoline_kernelINS0_14default_configENS1_27scan_by_key_config_selectorIiiEEZZNS1_16scan_by_key_implILNS1_25lookback_scan_determinismE0ELb1ES3_N6thrust23THRUST_200600_302600_NS6detail15normal_iteratorINS9_10device_ptrIiEEEENSB_INSC_IjEEEESE_iNS9_4plusIvEENS9_8equal_toIvEEiEE10hipError_tPvRmT2_T3_T4_T5_mT6_T7_P12ihipStream_tbENKUlT_T0_E_clISt17integral_constantIbLb1EES10_IbLb0EEEEDaSW_SX_EUlSW_E_NS1_11comp_targetILNS1_3genE5ELNS1_11target_archE942ELNS1_3gpuE9ELNS1_3repE0EEENS1_30default_config_static_selectorELNS0_4arch9wavefront6targetE1EEEvT1_,comdat
	.protected	_ZN7rocprim17ROCPRIM_400000_NS6detail17trampoline_kernelINS0_14default_configENS1_27scan_by_key_config_selectorIiiEEZZNS1_16scan_by_key_implILNS1_25lookback_scan_determinismE0ELb1ES3_N6thrust23THRUST_200600_302600_NS6detail15normal_iteratorINS9_10device_ptrIiEEEENSB_INSC_IjEEEESE_iNS9_4plusIvEENS9_8equal_toIvEEiEE10hipError_tPvRmT2_T3_T4_T5_mT6_T7_P12ihipStream_tbENKUlT_T0_E_clISt17integral_constantIbLb1EES10_IbLb0EEEEDaSW_SX_EUlSW_E_NS1_11comp_targetILNS1_3genE5ELNS1_11target_archE942ELNS1_3gpuE9ELNS1_3repE0EEENS1_30default_config_static_selectorELNS0_4arch9wavefront6targetE1EEEvT1_ ; -- Begin function _ZN7rocprim17ROCPRIM_400000_NS6detail17trampoline_kernelINS0_14default_configENS1_27scan_by_key_config_selectorIiiEEZZNS1_16scan_by_key_implILNS1_25lookback_scan_determinismE0ELb1ES3_N6thrust23THRUST_200600_302600_NS6detail15normal_iteratorINS9_10device_ptrIiEEEENSB_INSC_IjEEEESE_iNS9_4plusIvEENS9_8equal_toIvEEiEE10hipError_tPvRmT2_T3_T4_T5_mT6_T7_P12ihipStream_tbENKUlT_T0_E_clISt17integral_constantIbLb1EES10_IbLb0EEEEDaSW_SX_EUlSW_E_NS1_11comp_targetILNS1_3genE5ELNS1_11target_archE942ELNS1_3gpuE9ELNS1_3repE0EEENS1_30default_config_static_selectorELNS0_4arch9wavefront6targetE1EEEvT1_
	.globl	_ZN7rocprim17ROCPRIM_400000_NS6detail17trampoline_kernelINS0_14default_configENS1_27scan_by_key_config_selectorIiiEEZZNS1_16scan_by_key_implILNS1_25lookback_scan_determinismE0ELb1ES3_N6thrust23THRUST_200600_302600_NS6detail15normal_iteratorINS9_10device_ptrIiEEEENSB_INSC_IjEEEESE_iNS9_4plusIvEENS9_8equal_toIvEEiEE10hipError_tPvRmT2_T3_T4_T5_mT6_T7_P12ihipStream_tbENKUlT_T0_E_clISt17integral_constantIbLb1EES10_IbLb0EEEEDaSW_SX_EUlSW_E_NS1_11comp_targetILNS1_3genE5ELNS1_11target_archE942ELNS1_3gpuE9ELNS1_3repE0EEENS1_30default_config_static_selectorELNS0_4arch9wavefront6targetE1EEEvT1_
	.p2align	8
	.type	_ZN7rocprim17ROCPRIM_400000_NS6detail17trampoline_kernelINS0_14default_configENS1_27scan_by_key_config_selectorIiiEEZZNS1_16scan_by_key_implILNS1_25lookback_scan_determinismE0ELb1ES3_N6thrust23THRUST_200600_302600_NS6detail15normal_iteratorINS9_10device_ptrIiEEEENSB_INSC_IjEEEESE_iNS9_4plusIvEENS9_8equal_toIvEEiEE10hipError_tPvRmT2_T3_T4_T5_mT6_T7_P12ihipStream_tbENKUlT_T0_E_clISt17integral_constantIbLb1EES10_IbLb0EEEEDaSW_SX_EUlSW_E_NS1_11comp_targetILNS1_3genE5ELNS1_11target_archE942ELNS1_3gpuE9ELNS1_3repE0EEENS1_30default_config_static_selectorELNS0_4arch9wavefront6targetE1EEEvT1_,@function
_ZN7rocprim17ROCPRIM_400000_NS6detail17trampoline_kernelINS0_14default_configENS1_27scan_by_key_config_selectorIiiEEZZNS1_16scan_by_key_implILNS1_25lookback_scan_determinismE0ELb1ES3_N6thrust23THRUST_200600_302600_NS6detail15normal_iteratorINS9_10device_ptrIiEEEENSB_INSC_IjEEEESE_iNS9_4plusIvEENS9_8equal_toIvEEiEE10hipError_tPvRmT2_T3_T4_T5_mT6_T7_P12ihipStream_tbENKUlT_T0_E_clISt17integral_constantIbLb1EES10_IbLb0EEEEDaSW_SX_EUlSW_E_NS1_11comp_targetILNS1_3genE5ELNS1_11target_archE942ELNS1_3gpuE9ELNS1_3repE0EEENS1_30default_config_static_selectorELNS0_4arch9wavefront6targetE1EEEvT1_: ; @_ZN7rocprim17ROCPRIM_400000_NS6detail17trampoline_kernelINS0_14default_configENS1_27scan_by_key_config_selectorIiiEEZZNS1_16scan_by_key_implILNS1_25lookback_scan_determinismE0ELb1ES3_N6thrust23THRUST_200600_302600_NS6detail15normal_iteratorINS9_10device_ptrIiEEEENSB_INSC_IjEEEESE_iNS9_4plusIvEENS9_8equal_toIvEEiEE10hipError_tPvRmT2_T3_T4_T5_mT6_T7_P12ihipStream_tbENKUlT_T0_E_clISt17integral_constantIbLb1EES10_IbLb0EEEEDaSW_SX_EUlSW_E_NS1_11comp_targetILNS1_3genE5ELNS1_11target_archE942ELNS1_3gpuE9ELNS1_3repE0EEENS1_30default_config_static_selectorELNS0_4arch9wavefront6targetE1EEEvT1_
; %bb.0:
	.section	.rodata,"a",@progbits
	.p2align	6, 0x0
	.amdhsa_kernel _ZN7rocprim17ROCPRIM_400000_NS6detail17trampoline_kernelINS0_14default_configENS1_27scan_by_key_config_selectorIiiEEZZNS1_16scan_by_key_implILNS1_25lookback_scan_determinismE0ELb1ES3_N6thrust23THRUST_200600_302600_NS6detail15normal_iteratorINS9_10device_ptrIiEEEENSB_INSC_IjEEEESE_iNS9_4plusIvEENS9_8equal_toIvEEiEE10hipError_tPvRmT2_T3_T4_T5_mT6_T7_P12ihipStream_tbENKUlT_T0_E_clISt17integral_constantIbLb1EES10_IbLb0EEEEDaSW_SX_EUlSW_E_NS1_11comp_targetILNS1_3genE5ELNS1_11target_archE942ELNS1_3gpuE9ELNS1_3repE0EEENS1_30default_config_static_selectorELNS0_4arch9wavefront6targetE1EEEvT1_
		.amdhsa_group_segment_fixed_size 0
		.amdhsa_private_segment_fixed_size 0
		.amdhsa_kernarg_size 112
		.amdhsa_user_sgpr_count 6
		.amdhsa_user_sgpr_private_segment_buffer 1
		.amdhsa_user_sgpr_dispatch_ptr 0
		.amdhsa_user_sgpr_queue_ptr 0
		.amdhsa_user_sgpr_kernarg_segment_ptr 1
		.amdhsa_user_sgpr_dispatch_id 0
		.amdhsa_user_sgpr_flat_scratch_init 0
		.amdhsa_user_sgpr_kernarg_preload_length 0
		.amdhsa_user_sgpr_kernarg_preload_offset 0
		.amdhsa_user_sgpr_private_segment_size 0
		.amdhsa_uses_dynamic_stack 0
		.amdhsa_system_sgpr_private_segment_wavefront_offset 0
		.amdhsa_system_sgpr_workgroup_id_x 1
		.amdhsa_system_sgpr_workgroup_id_y 0
		.amdhsa_system_sgpr_workgroup_id_z 0
		.amdhsa_system_sgpr_workgroup_info 0
		.amdhsa_system_vgpr_workitem_id 0
		.amdhsa_next_free_vgpr 1
		.amdhsa_next_free_sgpr 0
		.amdhsa_accum_offset 4
		.amdhsa_reserve_vcc 0
		.amdhsa_reserve_flat_scratch 0
		.amdhsa_float_round_mode_32 0
		.amdhsa_float_round_mode_16_64 0
		.amdhsa_float_denorm_mode_32 3
		.amdhsa_float_denorm_mode_16_64 3
		.amdhsa_dx10_clamp 1
		.amdhsa_ieee_mode 1
		.amdhsa_fp16_overflow 0
		.amdhsa_tg_split 0
		.amdhsa_exception_fp_ieee_invalid_op 0
		.amdhsa_exception_fp_denorm_src 0
		.amdhsa_exception_fp_ieee_div_zero 0
		.amdhsa_exception_fp_ieee_overflow 0
		.amdhsa_exception_fp_ieee_underflow 0
		.amdhsa_exception_fp_ieee_inexact 0
		.amdhsa_exception_int_div_zero 0
	.end_amdhsa_kernel
	.section	.text._ZN7rocprim17ROCPRIM_400000_NS6detail17trampoline_kernelINS0_14default_configENS1_27scan_by_key_config_selectorIiiEEZZNS1_16scan_by_key_implILNS1_25lookback_scan_determinismE0ELb1ES3_N6thrust23THRUST_200600_302600_NS6detail15normal_iteratorINS9_10device_ptrIiEEEENSB_INSC_IjEEEESE_iNS9_4plusIvEENS9_8equal_toIvEEiEE10hipError_tPvRmT2_T3_T4_T5_mT6_T7_P12ihipStream_tbENKUlT_T0_E_clISt17integral_constantIbLb1EES10_IbLb0EEEEDaSW_SX_EUlSW_E_NS1_11comp_targetILNS1_3genE5ELNS1_11target_archE942ELNS1_3gpuE9ELNS1_3repE0EEENS1_30default_config_static_selectorELNS0_4arch9wavefront6targetE1EEEvT1_,"axG",@progbits,_ZN7rocprim17ROCPRIM_400000_NS6detail17trampoline_kernelINS0_14default_configENS1_27scan_by_key_config_selectorIiiEEZZNS1_16scan_by_key_implILNS1_25lookback_scan_determinismE0ELb1ES3_N6thrust23THRUST_200600_302600_NS6detail15normal_iteratorINS9_10device_ptrIiEEEENSB_INSC_IjEEEESE_iNS9_4plusIvEENS9_8equal_toIvEEiEE10hipError_tPvRmT2_T3_T4_T5_mT6_T7_P12ihipStream_tbENKUlT_T0_E_clISt17integral_constantIbLb1EES10_IbLb0EEEEDaSW_SX_EUlSW_E_NS1_11comp_targetILNS1_3genE5ELNS1_11target_archE942ELNS1_3gpuE9ELNS1_3repE0EEENS1_30default_config_static_selectorELNS0_4arch9wavefront6targetE1EEEvT1_,comdat
.Lfunc_end1772:
	.size	_ZN7rocprim17ROCPRIM_400000_NS6detail17trampoline_kernelINS0_14default_configENS1_27scan_by_key_config_selectorIiiEEZZNS1_16scan_by_key_implILNS1_25lookback_scan_determinismE0ELb1ES3_N6thrust23THRUST_200600_302600_NS6detail15normal_iteratorINS9_10device_ptrIiEEEENSB_INSC_IjEEEESE_iNS9_4plusIvEENS9_8equal_toIvEEiEE10hipError_tPvRmT2_T3_T4_T5_mT6_T7_P12ihipStream_tbENKUlT_T0_E_clISt17integral_constantIbLb1EES10_IbLb0EEEEDaSW_SX_EUlSW_E_NS1_11comp_targetILNS1_3genE5ELNS1_11target_archE942ELNS1_3gpuE9ELNS1_3repE0EEENS1_30default_config_static_selectorELNS0_4arch9wavefront6targetE1EEEvT1_, .Lfunc_end1772-_ZN7rocprim17ROCPRIM_400000_NS6detail17trampoline_kernelINS0_14default_configENS1_27scan_by_key_config_selectorIiiEEZZNS1_16scan_by_key_implILNS1_25lookback_scan_determinismE0ELb1ES3_N6thrust23THRUST_200600_302600_NS6detail15normal_iteratorINS9_10device_ptrIiEEEENSB_INSC_IjEEEESE_iNS9_4plusIvEENS9_8equal_toIvEEiEE10hipError_tPvRmT2_T3_T4_T5_mT6_T7_P12ihipStream_tbENKUlT_T0_E_clISt17integral_constantIbLb1EES10_IbLb0EEEEDaSW_SX_EUlSW_E_NS1_11comp_targetILNS1_3genE5ELNS1_11target_archE942ELNS1_3gpuE9ELNS1_3repE0EEENS1_30default_config_static_selectorELNS0_4arch9wavefront6targetE1EEEvT1_
                                        ; -- End function
	.section	.AMDGPU.csdata,"",@progbits
; Kernel info:
; codeLenInByte = 0
; NumSgprs: 4
; NumVgprs: 0
; NumAgprs: 0
; TotalNumVgprs: 0
; ScratchSize: 0
; MemoryBound: 0
; FloatMode: 240
; IeeeMode: 1
; LDSByteSize: 0 bytes/workgroup (compile time only)
; SGPRBlocks: 0
; VGPRBlocks: 0
; NumSGPRsForWavesPerEU: 4
; NumVGPRsForWavesPerEU: 1
; AccumOffset: 4
; Occupancy: 8
; WaveLimiterHint : 0
; COMPUTE_PGM_RSRC2:SCRATCH_EN: 0
; COMPUTE_PGM_RSRC2:USER_SGPR: 6
; COMPUTE_PGM_RSRC2:TRAP_HANDLER: 0
; COMPUTE_PGM_RSRC2:TGID_X_EN: 1
; COMPUTE_PGM_RSRC2:TGID_Y_EN: 0
; COMPUTE_PGM_RSRC2:TGID_Z_EN: 0
; COMPUTE_PGM_RSRC2:TIDIG_COMP_CNT: 0
; COMPUTE_PGM_RSRC3_GFX90A:ACCUM_OFFSET: 0
; COMPUTE_PGM_RSRC3_GFX90A:TG_SPLIT: 0
	.section	.text._ZN7rocprim17ROCPRIM_400000_NS6detail17trampoline_kernelINS0_14default_configENS1_27scan_by_key_config_selectorIiiEEZZNS1_16scan_by_key_implILNS1_25lookback_scan_determinismE0ELb1ES3_N6thrust23THRUST_200600_302600_NS6detail15normal_iteratorINS9_10device_ptrIiEEEENSB_INSC_IjEEEESE_iNS9_4plusIvEENS9_8equal_toIvEEiEE10hipError_tPvRmT2_T3_T4_T5_mT6_T7_P12ihipStream_tbENKUlT_T0_E_clISt17integral_constantIbLb1EES10_IbLb0EEEEDaSW_SX_EUlSW_E_NS1_11comp_targetILNS1_3genE4ELNS1_11target_archE910ELNS1_3gpuE8ELNS1_3repE0EEENS1_30default_config_static_selectorELNS0_4arch9wavefront6targetE1EEEvT1_,"axG",@progbits,_ZN7rocprim17ROCPRIM_400000_NS6detail17trampoline_kernelINS0_14default_configENS1_27scan_by_key_config_selectorIiiEEZZNS1_16scan_by_key_implILNS1_25lookback_scan_determinismE0ELb1ES3_N6thrust23THRUST_200600_302600_NS6detail15normal_iteratorINS9_10device_ptrIiEEEENSB_INSC_IjEEEESE_iNS9_4plusIvEENS9_8equal_toIvEEiEE10hipError_tPvRmT2_T3_T4_T5_mT6_T7_P12ihipStream_tbENKUlT_T0_E_clISt17integral_constantIbLb1EES10_IbLb0EEEEDaSW_SX_EUlSW_E_NS1_11comp_targetILNS1_3genE4ELNS1_11target_archE910ELNS1_3gpuE8ELNS1_3repE0EEENS1_30default_config_static_selectorELNS0_4arch9wavefront6targetE1EEEvT1_,comdat
	.protected	_ZN7rocprim17ROCPRIM_400000_NS6detail17trampoline_kernelINS0_14default_configENS1_27scan_by_key_config_selectorIiiEEZZNS1_16scan_by_key_implILNS1_25lookback_scan_determinismE0ELb1ES3_N6thrust23THRUST_200600_302600_NS6detail15normal_iteratorINS9_10device_ptrIiEEEENSB_INSC_IjEEEESE_iNS9_4plusIvEENS9_8equal_toIvEEiEE10hipError_tPvRmT2_T3_T4_T5_mT6_T7_P12ihipStream_tbENKUlT_T0_E_clISt17integral_constantIbLb1EES10_IbLb0EEEEDaSW_SX_EUlSW_E_NS1_11comp_targetILNS1_3genE4ELNS1_11target_archE910ELNS1_3gpuE8ELNS1_3repE0EEENS1_30default_config_static_selectorELNS0_4arch9wavefront6targetE1EEEvT1_ ; -- Begin function _ZN7rocprim17ROCPRIM_400000_NS6detail17trampoline_kernelINS0_14default_configENS1_27scan_by_key_config_selectorIiiEEZZNS1_16scan_by_key_implILNS1_25lookback_scan_determinismE0ELb1ES3_N6thrust23THRUST_200600_302600_NS6detail15normal_iteratorINS9_10device_ptrIiEEEENSB_INSC_IjEEEESE_iNS9_4plusIvEENS9_8equal_toIvEEiEE10hipError_tPvRmT2_T3_T4_T5_mT6_T7_P12ihipStream_tbENKUlT_T0_E_clISt17integral_constantIbLb1EES10_IbLb0EEEEDaSW_SX_EUlSW_E_NS1_11comp_targetILNS1_3genE4ELNS1_11target_archE910ELNS1_3gpuE8ELNS1_3repE0EEENS1_30default_config_static_selectorELNS0_4arch9wavefront6targetE1EEEvT1_
	.globl	_ZN7rocprim17ROCPRIM_400000_NS6detail17trampoline_kernelINS0_14default_configENS1_27scan_by_key_config_selectorIiiEEZZNS1_16scan_by_key_implILNS1_25lookback_scan_determinismE0ELb1ES3_N6thrust23THRUST_200600_302600_NS6detail15normal_iteratorINS9_10device_ptrIiEEEENSB_INSC_IjEEEESE_iNS9_4plusIvEENS9_8equal_toIvEEiEE10hipError_tPvRmT2_T3_T4_T5_mT6_T7_P12ihipStream_tbENKUlT_T0_E_clISt17integral_constantIbLb1EES10_IbLb0EEEEDaSW_SX_EUlSW_E_NS1_11comp_targetILNS1_3genE4ELNS1_11target_archE910ELNS1_3gpuE8ELNS1_3repE0EEENS1_30default_config_static_selectorELNS0_4arch9wavefront6targetE1EEEvT1_
	.p2align	8
	.type	_ZN7rocprim17ROCPRIM_400000_NS6detail17trampoline_kernelINS0_14default_configENS1_27scan_by_key_config_selectorIiiEEZZNS1_16scan_by_key_implILNS1_25lookback_scan_determinismE0ELb1ES3_N6thrust23THRUST_200600_302600_NS6detail15normal_iteratorINS9_10device_ptrIiEEEENSB_INSC_IjEEEESE_iNS9_4plusIvEENS9_8equal_toIvEEiEE10hipError_tPvRmT2_T3_T4_T5_mT6_T7_P12ihipStream_tbENKUlT_T0_E_clISt17integral_constantIbLb1EES10_IbLb0EEEEDaSW_SX_EUlSW_E_NS1_11comp_targetILNS1_3genE4ELNS1_11target_archE910ELNS1_3gpuE8ELNS1_3repE0EEENS1_30default_config_static_selectorELNS0_4arch9wavefront6targetE1EEEvT1_,@function
_ZN7rocprim17ROCPRIM_400000_NS6detail17trampoline_kernelINS0_14default_configENS1_27scan_by_key_config_selectorIiiEEZZNS1_16scan_by_key_implILNS1_25lookback_scan_determinismE0ELb1ES3_N6thrust23THRUST_200600_302600_NS6detail15normal_iteratorINS9_10device_ptrIiEEEENSB_INSC_IjEEEESE_iNS9_4plusIvEENS9_8equal_toIvEEiEE10hipError_tPvRmT2_T3_T4_T5_mT6_T7_P12ihipStream_tbENKUlT_T0_E_clISt17integral_constantIbLb1EES10_IbLb0EEEEDaSW_SX_EUlSW_E_NS1_11comp_targetILNS1_3genE4ELNS1_11target_archE910ELNS1_3gpuE8ELNS1_3repE0EEENS1_30default_config_static_selectorELNS0_4arch9wavefront6targetE1EEEvT1_: ; @_ZN7rocprim17ROCPRIM_400000_NS6detail17trampoline_kernelINS0_14default_configENS1_27scan_by_key_config_selectorIiiEEZZNS1_16scan_by_key_implILNS1_25lookback_scan_determinismE0ELb1ES3_N6thrust23THRUST_200600_302600_NS6detail15normal_iteratorINS9_10device_ptrIiEEEENSB_INSC_IjEEEESE_iNS9_4plusIvEENS9_8equal_toIvEEiEE10hipError_tPvRmT2_T3_T4_T5_mT6_T7_P12ihipStream_tbENKUlT_T0_E_clISt17integral_constantIbLb1EES10_IbLb0EEEEDaSW_SX_EUlSW_E_NS1_11comp_targetILNS1_3genE4ELNS1_11target_archE910ELNS1_3gpuE8ELNS1_3repE0EEENS1_30default_config_static_selectorELNS0_4arch9wavefront6targetE1EEEvT1_
; %bb.0:
	s_load_dwordx8 s[36:43], s[4:5], 0x0
	s_load_dword s56, s[4:5], 0x20
	s_load_dwordx4 s[44:47], s[4:5], 0x28
	s_load_dwordx2 s[52:53], s[4:5], 0x38
	s_load_dword s0, s[4:5], 0x40
	s_load_dwordx4 s[48:51], s[4:5], 0x48
	s_waitcnt lgkmcnt(0)
	s_lshl_b64 s[34:35], s[38:39], 2
	s_add_u32 s2, s36, s34
	s_addc_u32 s3, s37, s35
	s_add_u32 s4, s40, s34
	s_mul_i32 s1, s53, s0
	s_mul_hi_u32 s7, s52, s0
	s_addc_u32 s5, s41, s35
	s_add_i32 s8, s7, s1
	s_mul_i32 s9, s52, s0
	s_mul_i32 s0, s6, 0xe00
	s_mov_b32 s1, 0
	s_lshl_b64 s[36:37], s[0:1], 2
	s_add_u32 s38, s2, s36
	s_addc_u32 s39, s3, s37
	s_add_u32 s7, s4, s36
	s_addc_u32 s47, s5, s37
	s_add_u32 s0, s9, s6
	s_addc_u32 s1, s8, 0
	s_add_u32 s4, s48, -1
	s_addc_u32 s5, s49, -1
	v_pk_mov_b32 v[2:3], s[4:5], s[4:5] op_sel:[0,1]
	v_cmp_ge_u64_e64 s[0:1], s[0:1], v[2:3]
	s_mov_b64 s[2:3], -1
	s_and_b64 vcc, exec, s[0:1]
	s_mul_i32 s33, s4, 0xfffff200
	s_barrier
	s_cbranch_vccz .LBB1773_76
; %bb.1:
	v_pk_mov_b32 v[2:3], s[38:39], s[38:39] op_sel:[0,1]
	flat_load_dword v1, v[2:3]
	s_add_i32 s54, s33, s46
	v_cmp_gt_u32_e32 vcc, s54, v0
	s_waitcnt vmcnt(0) lgkmcnt(0)
	v_mov_b32_e32 v13, v1
	s_and_saveexec_b64 s[4:5], vcc
	s_cbranch_execz .LBB1773_3
; %bb.2:
	v_lshlrev_b32_e32 v2, 2, v0
	v_mov_b32_e32 v3, s39
	v_add_co_u32_e64 v2, s[2:3], s38, v2
	v_addc_co_u32_e64 v3, s[2:3], 0, v3, s[2:3]
	flat_load_dword v13, v[2:3]
.LBB1773_3:
	s_or_b64 exec, exec, s[4:5]
	v_or_b32_e32 v2, 0x100, v0
	v_cmp_gt_u32_e64 s[2:3], s54, v2
	v_mov_b32_e32 v14, v1
	s_and_saveexec_b64 s[8:9], s[2:3]
	s_cbranch_execz .LBB1773_5
; %bb.4:
	v_lshlrev_b32_e32 v2, 2, v0
	v_mov_b32_e32 v3, s39
	v_add_co_u32_e64 v2, s[4:5], s38, v2
	v_addc_co_u32_e64 v3, s[4:5], 0, v3, s[4:5]
	flat_load_dword v14, v[2:3] offset:1024
.LBB1773_5:
	s_or_b64 exec, exec, s[8:9]
	v_or_b32_e32 v2, 0x200, v0
	v_cmp_gt_u32_e64 s[4:5], s54, v2
	v_mov_b32_e32 v15, v1
	s_and_saveexec_b64 s[10:11], s[4:5]
	s_cbranch_execz .LBB1773_7
; %bb.6:
	v_lshlrev_b32_e32 v2, 2, v0
	v_mov_b32_e32 v3, s39
	v_add_co_u32_e64 v2, s[8:9], s38, v2
	v_addc_co_u32_e64 v3, s[8:9], 0, v3, s[8:9]
	flat_load_dword v15, v[2:3] offset:2048
.LBB1773_7:
	;; [unrolled: 13-line block ×3, first 2 shown]
	s_or_b64 exec, exec, s[10:11]
	v_or_b32_e32 v2, 0x400, v0
	v_cmp_gt_u32_e64 s[8:9], s54, v2
	v_mov_b32_e32 v17, v1
	s_and_saveexec_b64 s[12:13], s[8:9]
	s_cbranch_execz .LBB1773_11
; %bb.10:
	v_lshlrev_b32_e32 v3, 2, v2
	v_mov_b32_e32 v5, s39
	v_add_co_u32_e64 v4, s[10:11], s38, v3
	v_addc_co_u32_e64 v5, s[10:11], 0, v5, s[10:11]
	flat_load_dword v17, v[4:5]
.LBB1773_11:
	s_or_b64 exec, exec, s[12:13]
	v_or_b32_e32 v3, 0x500, v0
	v_cmp_gt_u32_e64 s[10:11], s54, v3
	v_mov_b32_e32 v18, v1
	s_and_saveexec_b64 s[14:15], s[10:11]
	s_cbranch_execz .LBB1773_13
; %bb.12:
	v_lshlrev_b32_e32 v4, 2, v3
	v_mov_b32_e32 v5, s39
	v_add_co_u32_e64 v4, s[12:13], s38, v4
	v_addc_co_u32_e64 v5, s[12:13], 0, v5, s[12:13]
	flat_load_dword v18, v[4:5]
.LBB1773_13:
	;; [unrolled: 13-line block ×9, first 2 shown]
	s_or_b64 exec, exec, s[30:31]
	v_or_b32_e32 v11, 0xd00, v0
	v_cmp_gt_u32_e64 s[26:27], s54, v11
	s_and_saveexec_b64 s[40:41], s[26:27]
	s_cbranch_execz .LBB1773_29
; %bb.28:
	v_lshlrev_b32_e32 v1, 2, v11
	v_mov_b32_e32 v12, s39
	v_add_co_u32_e64 v26, s[30:31], s38, v1
	v_addc_co_u32_e64 v27, s[30:31], 0, v12, s[30:31]
	flat_load_dword v1, v[26:27]
.LBB1773_29:
	s_or_b64 exec, exec, s[40:41]
	v_lshlrev_b32_e32 v12, 2, v0
	s_waitcnt vmcnt(0) lgkmcnt(0)
	ds_write2st64_b32 v12, v13, v14 offset1:4
	ds_write2st64_b32 v12, v15, v16 offset0:8 offset1:12
	ds_write2st64_b32 v12, v17, v18 offset0:16 offset1:20
	ds_write2st64_b32 v12, v19, v20 offset0:24 offset1:28
	ds_write2st64_b32 v12, v21, v22 offset0:32 offset1:36
	ds_write2st64_b32 v12, v23, v24 offset0:40 offset1:44
	ds_write2st64_b32 v12, v25, v1 offset0:48 offset1:52
	v_pk_mov_b32 v[14:15], s[38:39], s[38:39] op_sel:[0,1]
	s_waitcnt lgkmcnt(0)
	s_barrier
	flat_load_dword v1, v[14:15]
	v_mad_u32_u24 v44, v0, 52, v12
	s_movk_i32 s30, 0xffcc
	ds_read2_b64 v[34:37], v44 offset1:1
	ds_read2_b64 v[30:33], v44 offset0:2 offset1:3
	ds_read2_b64 v[26:29], v44 offset0:4 offset1:5
	ds_read_b64 v[40:41], v44 offset:48
	v_mad_i32_i24 v13, v0, s30, v44
	s_movk_i32 s30, 0xff
	v_cmp_ne_u32_e64 s[30:31], s30, v0
	s_waitcnt lgkmcnt(0)
	ds_write_b32 v13, v34 offset:15360
	s_waitcnt lgkmcnt(0)
	s_barrier
	s_and_saveexec_b64 s[40:41], s[30:31]
	s_cbranch_execz .LBB1773_31
; %bb.30:
	s_waitcnt vmcnt(0)
	ds_read_b32 v1, v12 offset:15364
.LBB1773_31:
	s_or_b64 exec, exec, s[40:41]
	s_waitcnt lgkmcnt(0)
	s_barrier
	s_waitcnt lgkmcnt(0)
                                        ; implicit-def: $vgpr13
	s_and_saveexec_b64 s[30:31], vcc
	s_cbranch_execz .LBB1773_117
; %bb.32:
	v_mov_b32_e32 v13, s47
	v_add_co_u32_e32 v14, vcc, s7, v12
	v_addc_co_u32_e32 v15, vcc, 0, v13, vcc
	flat_load_dword v13, v[14:15]
	s_or_b64 exec, exec, s[30:31]
                                        ; implicit-def: $vgpr14
	s_and_saveexec_b64 s[30:31], s[2:3]
	s_cbranch_execnz .LBB1773_118
.LBB1773_33:
	s_or_b64 exec, exec, s[30:31]
                                        ; implicit-def: $vgpr15
	s_and_saveexec_b64 s[2:3], s[4:5]
	s_cbranch_execz .LBB1773_119
.LBB1773_34:
	v_mov_b32_e32 v15, s47
	v_add_co_u32_e32 v16, vcc, s7, v12
	v_addc_co_u32_e32 v17, vcc, 0, v15, vcc
	flat_load_dword v15, v[16:17] offset:2048
	s_or_b64 exec, exec, s[2:3]
                                        ; implicit-def: $vgpr16
	s_and_saveexec_b64 s[2:3], s[28:29]
	s_cbranch_execnz .LBB1773_120
.LBB1773_35:
	s_or_b64 exec, exec, s[2:3]
                                        ; implicit-def: $vgpr17
	s_and_saveexec_b64 s[2:3], s[8:9]
	s_cbranch_execz .LBB1773_121
.LBB1773_36:
	v_lshlrev_b32_e32 v2, 2, v2
	v_mov_b32_e32 v17, s47
	v_add_co_u32_e32 v18, vcc, s7, v2
	v_addc_co_u32_e32 v19, vcc, 0, v17, vcc
	flat_load_dword v17, v[18:19]
	s_or_b64 exec, exec, s[2:3]
                                        ; implicit-def: $vgpr2
	s_and_saveexec_b64 s[2:3], s[10:11]
	s_cbranch_execnz .LBB1773_122
.LBB1773_37:
	s_or_b64 exec, exec, s[2:3]
                                        ; implicit-def: $vgpr3
	s_and_saveexec_b64 s[2:3], s[12:13]
	s_cbranch_execz .LBB1773_123
.LBB1773_38:
	v_lshlrev_b32_e32 v3, 2, v4
	v_mov_b32_e32 v4, s47
	v_add_co_u32_e32 v18, vcc, s7, v3
	v_addc_co_u32_e32 v19, vcc, 0, v4, vcc
	flat_load_dword v3, v[18:19]
	s_or_b64 exec, exec, s[2:3]
                                        ; implicit-def: $vgpr4
	s_and_saveexec_b64 s[2:3], s[14:15]
	s_cbranch_execnz .LBB1773_124
.LBB1773_39:
	s_or_b64 exec, exec, s[2:3]
                                        ; implicit-def: $vgpr5
	s_and_saveexec_b64 s[2:3], s[16:17]
	s_cbranch_execz .LBB1773_125
.LBB1773_40:
	v_lshlrev_b32_e32 v5, 2, v6
	v_mov_b32_e32 v6, s47
	v_add_co_u32_e32 v18, vcc, s7, v5
	v_addc_co_u32_e32 v19, vcc, 0, v6, vcc
	flat_load_dword v5, v[18:19]
	s_or_b64 exec, exec, s[2:3]
                                        ; implicit-def: $vgpr6
	s_and_saveexec_b64 s[2:3], s[18:19]
	s_cbranch_execnz .LBB1773_126
.LBB1773_41:
	s_or_b64 exec, exec, s[2:3]
                                        ; implicit-def: $vgpr7
	s_and_saveexec_b64 s[2:3], s[20:21]
	s_cbranch_execz .LBB1773_127
.LBB1773_42:
	v_lshlrev_b32_e32 v7, 2, v8
	v_mov_b32_e32 v8, s47
	v_add_co_u32_e32 v18, vcc, s7, v7
	v_addc_co_u32_e32 v19, vcc, 0, v8, vcc
	flat_load_dword v7, v[18:19]
	s_or_b64 exec, exec, s[2:3]
                                        ; implicit-def: $vgpr8
	s_and_saveexec_b64 s[2:3], s[22:23]
	s_cbranch_execnz .LBB1773_128
.LBB1773_43:
	s_or_b64 exec, exec, s[2:3]
                                        ; implicit-def: $vgpr9
	s_and_saveexec_b64 s[2:3], s[24:25]
	s_cbranch_execz .LBB1773_45
.LBB1773_44:
	v_lshlrev_b32_e32 v9, 2, v10
	v_mov_b32_e32 v10, s47
	v_add_co_u32_e32 v18, vcc, s7, v9
	v_addc_co_u32_e32 v19, vcc, 0, v10, vcc
	flat_load_dword v9, v[18:19]
.LBB1773_45:
	s_or_b64 exec, exec, s[2:3]
	v_mul_u32_u24_e32 v45, 14, v0
                                        ; implicit-def: $vgpr10
	s_and_saveexec_b64 s[2:3], s[26:27]
	s_cbranch_execz .LBB1773_47
; %bb.46:
	v_lshlrev_b32_e32 v10, 2, v11
	v_mov_b32_e32 v11, s47
	v_add_co_u32_e32 v10, vcc, s7, v10
	v_addc_co_u32_e32 v11, vcc, 0, v11, vcc
	flat_load_dword v10, v[10:11]
.LBB1773_47:
	s_or_b64 exec, exec, s[2:3]
	s_mov_b32 s8, 0
	s_mov_b32 s9, s8
	s_waitcnt vmcnt(0) lgkmcnt(0)
	ds_write2st64_b32 v12, v13, v14 offset1:4
	ds_write2st64_b32 v12, v15, v16 offset0:8 offset1:12
	ds_write2st64_b32 v12, v17, v2 offset0:16 offset1:20
	;; [unrolled: 1-line block ×6, first 2 shown]
	s_mov_b32 s10, s8
	s_mov_b32 s11, s8
	;; [unrolled: 1-line block ×6, first 2 shown]
	v_pk_mov_b32 v[2:3], s[8:9], s[8:9] op_sel:[0,1]
	v_pk_mov_b32 v[8:9], s[14:15], s[14:15] op_sel:[0,1]
	;; [unrolled: 1-line block ×6, first 2 shown]
	v_cmp_gt_u32_e32 vcc, s54, v45
	s_mov_b64 s[2:3], 0
	v_pk_mov_b32 v[38:39], 0, 0
	s_mov_b64 s[18:19], 0
	v_pk_mov_b32 v[14:15], v[6:7], v[6:7] op_sel:[0,1]
	v_pk_mov_b32 v[12:13], v[4:5], v[4:5] op_sel:[0,1]
	;; [unrolled: 1-line block ×6, first 2 shown]
	s_waitcnt lgkmcnt(0)
	s_barrier
	s_waitcnt lgkmcnt(0)
                                        ; implicit-def: $sgpr16_sgpr17
                                        ; implicit-def: $vgpr42
	s_and_saveexec_b64 s[4:5], vcc
	s_cbranch_execz .LBB1773_75
; %bb.48:
	ds_read_b32 v2, v44
	v_mov_b32_e32 v4, s56
	v_cmp_eq_u32_e32 vcc, v34, v35
	v_or_b32_e32 v3, 1, v45
                                        ; implicit-def: $vgpr42
	s_waitcnt lgkmcnt(0)
	v_cndmask_b32_e32 v38, v4, v2, vcc
	v_cmp_ne_u32_e32 vcc, v34, v35
	v_cndmask_b32_e64 v39, 0, 1, vcc
	v_cmp_gt_u32_e32 vcc, s54, v3
	v_pk_mov_b32 v[2:3], s[8:9], s[8:9] op_sel:[0,1]
	v_pk_mov_b32 v[8:9], s[14:15], s[14:15] op_sel:[0,1]
	;; [unrolled: 1-line block ×12, first 2 shown]
                                        ; implicit-def: $sgpr8_sgpr9
	s_and_saveexec_b64 s[16:17], vcc
	s_cbranch_execz .LBB1773_74
; %bb.49:
	ds_read2_b32 v[42:43], v44 offset0:1 offset1:2
	s_mov_b32 s8, 0
	v_mov_b32_e32 v3, s56
	v_cmp_eq_u32_e32 vcc, v35, v36
	s_mov_b32 s14, s8
	s_mov_b32 s15, s8
	v_add_u32_e32 v2, 2, v45
	s_waitcnt lgkmcnt(0)
	v_cndmask_b32_e32 v8, v3, v42, vcc
	v_cmp_ne_u32_e32 vcc, v35, v36
	s_mov_b32 s9, s8
	s_mov_b32 s10, s8
	;; [unrolled: 1-line block ×5, first 2 shown]
	v_pk_mov_b32 v[16:17], s[14:15], s[14:15] op_sel:[0,1]
	v_cndmask_b32_e64 v9, 0, 1, vcc
	v_cmp_gt_u32_e32 vcc, s54, v2
	v_mov_b32_e32 v2, 0
	v_pk_mov_b32 v[14:15], s[12:13], s[12:13] op_sel:[0,1]
	v_pk_mov_b32 v[12:13], s[10:11], s[10:11] op_sel:[0,1]
	;; [unrolled: 1-line block ×4, first 2 shown]
	v_mov_b32_e32 v3, v2
	v_mov_b32_e32 v4, v2
	;; [unrolled: 1-line block ×5, first 2 shown]
	s_mov_b64 s[20:21], 0
	v_pk_mov_b32 v[22:23], v[14:15], v[14:15] op_sel:[0,1]
	v_pk_mov_b32 v[20:21], v[12:13], v[12:13] op_sel:[0,1]
	;; [unrolled: 1-line block ×3, first 2 shown]
                                        ; implicit-def: $sgpr24_sgpr25
                                        ; implicit-def: $vgpr42
	s_and_saveexec_b64 s[18:19], vcc
	s_cbranch_execz .LBB1773_73
; %bb.50:
	v_mov_b32_e32 v4, s56
	v_cmp_eq_u32_e32 vcc, v36, v37
	v_pk_mov_b32 v[16:17], s[14:15], s[14:15] op_sel:[0,1]
	v_add_u32_e32 v3, 3, v45
	v_cndmask_b32_e32 v6, v4, v43, vcc
	v_cmp_ne_u32_e32 vcc, v36, v37
	v_pk_mov_b32 v[14:15], s[12:13], s[12:13] op_sel:[0,1]
	v_pk_mov_b32 v[12:13], s[10:11], s[10:11] op_sel:[0,1]
	;; [unrolled: 1-line block ×4, first 2 shown]
	v_cndmask_b32_e64 v7, 0, 1, vcc
	v_cmp_gt_u32_e32 vcc, s54, v3
	v_mov_b32_e32 v3, v2
	v_mov_b32_e32 v4, v2
	;; [unrolled: 1-line block ×3, first 2 shown]
	s_mov_b64 s[22:23], 0
	v_pk_mov_b32 v[22:23], v[14:15], v[14:15] op_sel:[0,1]
	v_pk_mov_b32 v[20:21], v[12:13], v[12:13] op_sel:[0,1]
	;; [unrolled: 1-line block ×3, first 2 shown]
                                        ; implicit-def: $sgpr8_sgpr9
                                        ; implicit-def: $vgpr42
	s_and_saveexec_b64 s[20:21], vcc
	s_cbranch_execz .LBB1773_72
; %bb.51:
	ds_read2_b32 v[34:35], v44 offset0:3 offset1:4
	s_mov_b32 s8, 0
	s_mov_b32 s14, s8
	;; [unrolled: 1-line block ×3, first 2 shown]
	v_mov_b32_e32 v3, s56
	v_cmp_eq_u32_e32 vcc, v37, v30
	s_mov_b32 s9, s8
	s_mov_b32 s10, s8
	;; [unrolled: 1-line block ×5, first 2 shown]
	v_pk_mov_b32 v[16:17], s[14:15], s[14:15] op_sel:[0,1]
	v_add_u32_e32 v2, 4, v45
	s_waitcnt lgkmcnt(0)
	v_cndmask_b32_e32 v4, v3, v34, vcc
	v_cmp_ne_u32_e32 vcc, v37, v30
	v_pk_mov_b32 v[14:15], s[12:13], s[12:13] op_sel:[0,1]
	v_pk_mov_b32 v[12:13], s[10:11], s[10:11] op_sel:[0,1]
	;; [unrolled: 1-line block ×4, first 2 shown]
	v_cndmask_b32_e64 v5, 0, 1, vcc
	v_cmp_gt_u32_e32 vcc, s54, v2
	v_mov_b32_e32 v2, s8
	v_mov_b32_e32 v3, s8
	s_mov_b64 s[24:25], 0
	v_pk_mov_b32 v[22:23], v[14:15], v[14:15] op_sel:[0,1]
	v_pk_mov_b32 v[20:21], v[12:13], v[12:13] op_sel:[0,1]
	;; [unrolled: 1-line block ×3, first 2 shown]
                                        ; implicit-def: $sgpr26_sgpr27
                                        ; implicit-def: $vgpr42
	s_and_saveexec_b64 s[22:23], vcc
	s_cbranch_execz .LBB1773_71
; %bb.52:
	v_mov_b32_e32 v2, s56
	v_cmp_eq_u32_e32 vcc, v30, v31
	v_add_u32_e32 v10, 5, v45
	v_cndmask_b32_e32 v2, v2, v35, vcc
	v_cmp_ne_u32_e32 vcc, v30, v31
	v_cndmask_b32_e64 v3, 0, 1, vcc
	v_cmp_gt_u32_e32 vcc, s54, v10
	v_pk_mov_b32 v[16:17], s[14:15], s[14:15] op_sel:[0,1]
	v_pk_mov_b32 v[14:15], s[12:13], s[12:13] op_sel:[0,1]
	;; [unrolled: 1-line block ×5, first 2 shown]
	s_mov_b64 s[28:29], 0
	v_pk_mov_b32 v[22:23], v[14:15], v[14:15] op_sel:[0,1]
	v_pk_mov_b32 v[20:21], v[12:13], v[12:13] op_sel:[0,1]
	;; [unrolled: 1-line block ×3, first 2 shown]
                                        ; implicit-def: $sgpr8_sgpr9
                                        ; implicit-def: $vgpr42
	s_and_saveexec_b64 s[24:25], vcc
	s_cbranch_execz .LBB1773_70
; %bb.53:
	ds_read2_b32 v[34:35], v44 offset0:5 offset1:6
	v_mov_b32_e32 v11, s56
	v_cmp_eq_u32_e32 vcc, v31, v32
	s_mov_b32 s8, 0
	v_add_u32_e32 v10, 6, v45
	s_waitcnt lgkmcnt(0)
	v_cndmask_b32_e32 v16, v11, v34, vcc
	v_cmp_ne_u32_e32 vcc, v31, v32
	s_mov_b32 s14, s8
	s_mov_b32 s15, s8
	v_cndmask_b32_e64 v17, 0, 1, vcc
	v_cmp_gt_u32_e32 vcc, s54, v10
	v_mov_b32_e32 v10, 0
	s_mov_b32 s9, s8
	s_mov_b32 s10, s8
	;; [unrolled: 1-line block ×5, first 2 shown]
	v_pk_mov_b32 v[24:25], s[14:15], s[14:15] op_sel:[0,1]
	v_mov_b32_e32 v11, v10
	v_mov_b32_e32 v12, v10
	;; [unrolled: 1-line block ×5, first 2 shown]
	v_pk_mov_b32 v[22:23], s[12:13], s[12:13] op_sel:[0,1]
	v_pk_mov_b32 v[20:21], s[10:11], s[10:11] op_sel:[0,1]
	;; [unrolled: 1-line block ×3, first 2 shown]
                                        ; implicit-def: $sgpr40_sgpr41
                                        ; implicit-def: $vgpr42
	s_and_saveexec_b64 s[26:27], vcc
	s_cbranch_execz .LBB1773_69
; %bb.54:
	v_mov_b32_e32 v12, s56
	v_cmp_eq_u32_e32 vcc, v32, v33
	v_add_u32_e32 v11, 7, v45
	v_cndmask_b32_e32 v14, v12, v35, vcc
	v_cmp_ne_u32_e32 vcc, v32, v33
	v_pk_mov_b32 v[24:25], s[14:15], s[14:15] op_sel:[0,1]
	v_cndmask_b32_e64 v15, 0, 1, vcc
	v_cmp_gt_u32_e32 vcc, s54, v11
	v_mov_b32_e32 v11, v10
	v_mov_b32_e32 v12, v10
	;; [unrolled: 1-line block ×3, first 2 shown]
	s_mov_b64 s[30:31], 0
	v_pk_mov_b32 v[22:23], s[12:13], s[12:13] op_sel:[0,1]
	v_pk_mov_b32 v[20:21], s[10:11], s[10:11] op_sel:[0,1]
	;; [unrolled: 1-line block ×3, first 2 shown]
                                        ; implicit-def: $sgpr8_sgpr9
                                        ; implicit-def: $vgpr42
	s_and_saveexec_b64 s[28:29], vcc
	s_cbranch_execz .LBB1773_68
; %bb.55:
	ds_read2_b32 v[30:31], v44 offset0:7 offset1:8
	s_mov_b32 s8, 0
	v_mov_b32_e32 v11, s56
	v_cmp_eq_u32_e32 vcc, v33, v26
	s_mov_b32 s14, s8
	s_mov_b32 s15, s8
	v_add_u32_e32 v10, 8, v45
	s_waitcnt lgkmcnt(0)
	v_cndmask_b32_e32 v12, v11, v30, vcc
	v_cmp_ne_u32_e32 vcc, v33, v26
	s_mov_b32 s9, s8
	s_mov_b32 s10, s8
	;; [unrolled: 1-line block ×5, first 2 shown]
	v_pk_mov_b32 v[24:25], s[14:15], s[14:15] op_sel:[0,1]
	v_cndmask_b32_e64 v13, 0, 1, vcc
	v_cmp_gt_u32_e32 vcc, s54, v10
	v_mov_b32_e32 v10, s8
	v_mov_b32_e32 v11, s8
	s_mov_b64 s[40:41], 0
	v_pk_mov_b32 v[22:23], s[12:13], s[12:13] op_sel:[0,1]
	v_pk_mov_b32 v[20:21], s[10:11], s[10:11] op_sel:[0,1]
	;; [unrolled: 1-line block ×3, first 2 shown]
                                        ; implicit-def: $sgpr48_sgpr49
                                        ; implicit-def: $vgpr42
	s_and_saveexec_b64 s[30:31], vcc
	s_cbranch_execz .LBB1773_67
; %bb.56:
	v_mov_b32_e32 v10, s56
	v_cmp_eq_u32_e32 vcc, v26, v27
	v_add_u32_e32 v18, 9, v45
	v_cndmask_b32_e32 v10, v10, v31, vcc
	v_cmp_ne_u32_e32 vcc, v26, v27
	v_cndmask_b32_e64 v11, 0, 1, vcc
	v_cmp_gt_u32_e32 vcc, s54, v18
	v_pk_mov_b32 v[24:25], s[14:15], s[14:15] op_sel:[0,1]
	v_pk_mov_b32 v[22:23], s[12:13], s[12:13] op_sel:[0,1]
	;; [unrolled: 1-line block ×4, first 2 shown]
                                        ; implicit-def: $sgpr10_sgpr11
                                        ; implicit-def: $vgpr42
	s_and_saveexec_b64 s[8:9], vcc
	s_cbranch_execz .LBB1773_66
; %bb.57:
	ds_read2_b32 v[30:31], v44 offset0:9 offset1:10
	v_mov_b32_e32 v18, s56
	v_cmp_eq_u32_e32 vcc, v27, v28
	v_add_u32_e32 v20, 10, v45
	v_mov_b32_e32 v22, 0
	s_waitcnt lgkmcnt(0)
	v_cndmask_b32_e32 v18, v18, v30, vcc
	v_cmp_ne_u32_e32 vcc, v27, v28
	v_cndmask_b32_e64 v19, 0, 1, vcc
	v_cmp_gt_u32_e32 vcc, s54, v20
	v_mov_b32_e32 v20, v22
	v_mov_b32_e32 v21, v22
	;; [unrolled: 1-line block ×5, first 2 shown]
	s_mov_b64 s[12:13], 0
                                        ; implicit-def: $sgpr40_sgpr41
                                        ; implicit-def: $vgpr42
	s_and_saveexec_b64 s[10:11], vcc
	s_cbranch_execz .LBB1773_65
; %bb.58:
	v_mov_b32_e32 v20, s56
	v_cmp_eq_u32_e32 vcc, v28, v29
	v_add_u32_e32 v23, 11, v45
	v_cndmask_b32_e32 v20, v20, v31, vcc
	v_cmp_ne_u32_e32 vcc, v28, v29
	v_cndmask_b32_e64 v21, 0, 1, vcc
	v_cmp_gt_u32_e32 vcc, s54, v23
	s_mov_b32 s40, 0
	v_mov_b32_e32 v23, v22
	v_mov_b32_e32 v24, v22
	;; [unrolled: 1-line block ×3, first 2 shown]
	s_mov_b64 s[14:15], 0
                                        ; implicit-def: $sgpr48_sgpr49
                                        ; implicit-def: $vgpr42
	s_and_saveexec_b64 s[12:13], vcc
	s_cbranch_execz .LBB1773_64
; %bb.59:
	ds_read2_b32 v[26:27], v44 offset0:11 offset1:12
	v_mov_b32_e32 v22, s56
	v_cmp_eq_u32_e32 vcc, v29, v40
	v_add_u32_e32 v24, 12, v45
	v_mov_b32_e32 v25, s40
	s_waitcnt lgkmcnt(0)
	v_cndmask_b32_e32 v22, v22, v26, vcc
	v_cmp_ne_u32_e32 vcc, v29, v40
	v_cndmask_b32_e64 v23, 0, 1, vcc
	v_cmp_gt_u32_e32 vcc, s54, v24
	v_mov_b32_e32 v24, s40
	s_mov_b64 s[40:41], 0
                                        ; implicit-def: $sgpr48_sgpr49
                                        ; implicit-def: $vgpr42
	s_and_saveexec_b64 s[14:15], vcc
	s_cbranch_execz .LBB1773_63
; %bb.60:
	v_mov_b32_e32 v24, s56
	v_cmp_eq_u32_e32 vcc, v40, v41
	v_add_u32_e32 v26, 13, v45
	v_cndmask_b32_e32 v24, v24, v27, vcc
	v_cmp_ne_u32_e32 vcc, v40, v41
	v_cndmask_b32_e64 v25, 0, 1, vcc
	v_cmp_gt_u32_e32 vcc, s54, v26
                                        ; implicit-def: $sgpr48_sgpr49
                                        ; implicit-def: $vgpr42
	s_and_saveexec_b64 s[54:55], vcc
	s_xor_b64 s[54:55], exec, s[54:55]
	s_cbranch_execz .LBB1773_62
; %bb.61:
	ds_read_b32 v26, v44 offset:52
	v_mov_b32_e32 v27, s56
	v_cmp_ne_u32_e32 vcc, v41, v1
	s_mov_b64 s[40:41], exec
	s_and_b64 s[48:49], vcc, exec
	s_waitcnt lgkmcnt(0)
	v_cndmask_b32_e32 v42, v26, v27, vcc
.LBB1773_62:
	s_or_b64 exec, exec, s[54:55]
	s_and_b64 s[48:49], s[48:49], exec
	s_and_b64 s[40:41], s[40:41], exec
.LBB1773_63:
	s_or_b64 exec, exec, s[14:15]
	s_and_b64 s[48:49], s[48:49], exec
	s_and_b64 s[14:15], s[40:41], exec
.LBB1773_64:
	s_or_b64 exec, exec, s[12:13]
	s_and_b64 s[40:41], s[48:49], exec
	s_and_b64 s[12:13], s[14:15], exec
.LBB1773_65:
	s_or_b64 exec, exec, s[10:11]
	s_and_b64 s[10:11], s[40:41], exec
	s_and_b64 s[40:41], s[12:13], exec
.LBB1773_66:
	s_or_b64 exec, exec, s[8:9]
	s_and_b64 s[48:49], s[10:11], exec
	s_and_b64 s[40:41], s[40:41], exec
.LBB1773_67:
	s_or_b64 exec, exec, s[30:31]
	s_and_b64 s[8:9], s[48:49], exec
	s_and_b64 s[30:31], s[40:41], exec
.LBB1773_68:
	s_or_b64 exec, exec, s[28:29]
	s_and_b64 s[40:41], s[8:9], exec
	s_and_b64 s[28:29], s[30:31], exec
.LBB1773_69:
	s_or_b64 exec, exec, s[26:27]
	s_and_b64 s[8:9], s[40:41], exec
	s_and_b64 s[28:29], s[28:29], exec
.LBB1773_70:
	s_or_b64 exec, exec, s[24:25]
	s_and_b64 s[26:27], s[8:9], exec
	s_and_b64 s[24:25], s[28:29], exec
.LBB1773_71:
	s_or_b64 exec, exec, s[22:23]
	s_and_b64 s[8:9], s[26:27], exec
	s_and_b64 s[22:23], s[24:25], exec
.LBB1773_72:
	s_or_b64 exec, exec, s[20:21]
	s_and_b64 s[24:25], s[8:9], exec
	s_and_b64 s[20:21], s[22:23], exec
.LBB1773_73:
	s_or_b64 exec, exec, s[18:19]
	s_and_b64 s[8:9], s[24:25], exec
	s_and_b64 s[18:19], s[20:21], exec
.LBB1773_74:
	s_or_b64 exec, exec, s[16:17]
	s_and_b64 s[16:17], s[8:9], exec
	s_and_b64 s[18:19], s[18:19], exec
.LBB1773_75:
	s_or_b64 exec, exec, s[4:5]
	s_and_b64 vcc, exec, s[2:3]
	v_lshlrev_b32_e32 v50, 2, v0
	s_cbranch_vccnz .LBB1773_77
	s_branch .LBB1773_82
.LBB1773_76:
	s_mov_b64 s[18:19], 0
                                        ; implicit-def: $sgpr16_sgpr17
                                        ; implicit-def: $vgpr2_vgpr3_vgpr4_vgpr5_vgpr6_vgpr7_vgpr8_vgpr9
                                        ; implicit-def: $vgpr10_vgpr11_vgpr12_vgpr13_vgpr14_vgpr15_vgpr16_vgpr17
                                        ; implicit-def: $vgpr18_vgpr19_vgpr20_vgpr21_vgpr22_vgpr23_vgpr24_vgpr25
                                        ; implicit-def: $vgpr42
                                        ; implicit-def: $vgpr38_vgpr39
	s_and_b64 vcc, exec, s[2:3]
	v_lshlrev_b32_e32 v50, 2, v0
	s_cbranch_vccz .LBB1773_82
.LBB1773_77:
	v_mov_b32_e32 v1, s39
	v_add_co_u32_e32 v2, vcc, s38, v50
	v_addc_co_u32_e32 v3, vcc, 0, v1, vcc
	v_add_co_u32_e32 v4, vcc, 0x1000, v2
	v_addc_co_u32_e32 v5, vcc, 0, v3, vcc
	flat_load_dword v1, v[2:3]
	flat_load_dword v6, v[2:3] offset:1024
	flat_load_dword v7, v[2:3] offset:2048
	;; [unrolled: 1-line block ×3, first 2 shown]
	flat_load_dword v9, v[4:5]
	flat_load_dword v10, v[4:5] offset:1024
	flat_load_dword v11, v[4:5] offset:2048
	;; [unrolled: 1-line block ×3, first 2 shown]
	v_add_co_u32_e32 v4, vcc, 0x2000, v2
	v_addc_co_u32_e32 v5, vcc, 0, v3, vcc
	v_add_co_u32_e32 v2, vcc, 0x3000, v2
	v_addc_co_u32_e32 v3, vcc, 0, v3, vcc
	flat_load_dword v13, v[4:5]
	flat_load_dword v14, v[4:5] offset:1024
	flat_load_dword v15, v[4:5] offset:2048
	;; [unrolled: 1-line block ×3, first 2 shown]
	flat_load_dword v17, v[2:3]
	flat_load_dword v18, v[2:3] offset:1024
	v_mov_b32_e32 v2, s38
	v_mov_b32_e32 v3, s39
	v_add_co_u32_e32 v2, vcc, 0x3000, v2
	v_addc_co_u32_e32 v3, vcc, 0, v3, vcc
	s_movk_i32 s4, 0xffcc
	s_movk_i32 s9, 0x1000
	s_mov_b32 s2, 0
	s_movk_i32 s8, 0x2000
	s_movk_i32 s3, 0x3000
	s_waitcnt vmcnt(0) lgkmcnt(0)
	ds_write2st64_b32 v50, v1, v6 offset1:4
	ds_write2st64_b32 v50, v7, v8 offset0:8 offset1:12
	ds_write2st64_b32 v50, v9, v10 offset0:16 offset1:20
	;; [unrolled: 1-line block ×6, first 2 shown]
	s_waitcnt lgkmcnt(0)
	s_barrier
	flat_load_dword v1, v[2:3] offset:2048
	v_mad_u32_u24 v6, v0, 52, v50
	v_mad_i32_i24 v2, v0, s4, v6
	s_movk_i32 s4, 0xff
	v_cmp_ne_u32_e32 vcc, s4, v0
	ds_read2_b32 v[26:27], v6 offset1:13
	ds_read2_b32 v[18:19], v6 offset0:7 offset1:8
	ds_read2_b32 v[20:21], v6 offset0:5 offset1:6
	;; [unrolled: 1-line block ×6, first 2 shown]
	s_waitcnt lgkmcnt(0)
	ds_write_b32 v2, v26 offset:15360
	s_waitcnt lgkmcnt(0)
	s_barrier
	s_and_saveexec_b64 s[4:5], vcc
	s_cbranch_execz .LBB1773_79
; %bb.78:
	s_waitcnt vmcnt(0)
	ds_read_b32 v1, v50 offset:15364
.LBB1773_79:
	s_or_b64 exec, exec, s[4:5]
	v_mov_b32_e32 v3, s47
	v_add_co_u32_e32 v2, vcc, s7, v50
	v_addc_co_u32_e32 v3, vcc, 0, v3, vcc
	v_add_co_u32_e32 v4, vcc, s9, v2
	v_addc_co_u32_e32 v5, vcc, 0, v3, vcc
	s_waitcnt lgkmcnt(0)
	s_barrier
	flat_load_dword v7, v[2:3]
	flat_load_dword v8, v[2:3] offset:1024
	flat_load_dword v9, v[2:3] offset:2048
	;; [unrolled: 1-line block ×3, first 2 shown]
	flat_load_dword v15, v[4:5]
	flat_load_dword v16, v[4:5] offset:1024
	flat_load_dword v17, v[4:5] offset:2048
	;; [unrolled: 1-line block ×3, first 2 shown]
	v_add_co_u32_e32 v4, vcc, s8, v2
	v_addc_co_u32_e32 v5, vcc, 0, v3, vcc
	v_add_co_u32_e32 v2, vcc, s3, v2
	v_addc_co_u32_e32 v3, vcc, 0, v3, vcc
	flat_load_dword v23, v[4:5]
	flat_load_dword v24, v[4:5] offset:1024
	flat_load_dword v25, v[4:5] offset:2048
	;; [unrolled: 1-line block ×3, first 2 shown]
	flat_load_dword v33, v[2:3]
	flat_load_dword v34, v[2:3] offset:1024
	s_mov_b32 s3, 1
	v_cmp_eq_u32_e32 vcc, v26, v12
	v_pk_mov_b32 v[38:39], s[2:3], s[2:3] op_sel:[0,1]
	s_waitcnt vmcnt(0) lgkmcnt(0)
	ds_write2st64_b32 v50, v7, v8 offset1:4
	ds_write2st64_b32 v50, v9, v14 offset0:8 offset1:12
	ds_write2st64_b32 v50, v15, v16 offset0:16 offset1:20
	;; [unrolled: 1-line block ×6, first 2 shown]
	s_waitcnt lgkmcnt(0)
	s_barrier
	ds_read2_b32 v[24:25], v6 offset0:7 offset1:8
	ds_read2_b32 v[14:15], v6 offset0:5 offset1:6
	ds_read2_b32 v[2:3], v6 offset0:3 offset1:4
	ds_read2_b32 v[4:5], v6 offset0:1 offset1:2
	ds_read_b32 v34, v6 offset:52
	ds_read2_b32 v[22:23], v6 offset0:11 offset1:12
	ds_read2_b32 v[32:33], v6 offset0:9 offset1:10
	v_mov_b32_e32 v7, s56
	s_and_saveexec_b64 s[2:3], vcc
	s_cbranch_execz .LBB1773_81
; %bb.80:
	ds_read_b32 v7, v6
	v_pk_mov_b32 v[38:39], 0, 0
.LBB1773_81:
	s_or_b64 exec, exec, s[2:3]
	v_mov_b32_e32 v26, s56
	v_cmp_eq_u32_e32 vcc, v12, v13
	s_waitcnt lgkmcnt(3)
	v_cndmask_b32_e32 v8, v26, v4, vcc
	v_cmp_eq_u32_e32 vcc, v13, v10
	v_cndmask_b32_e32 v6, v26, v5, vcc
	v_cmp_eq_u32_e32 vcc, v10, v11
	;; [unrolled: 2-line block ×3, first 2 shown]
	v_cndmask_b32_e32 v2, v26, v3, vcc
	v_cmp_ne_u32_e32 vcc, v12, v13
	v_cndmask_b32_e64 v9, 0, 1, vcc
	v_cmp_ne_u32_e32 vcc, v13, v10
	s_waitcnt lgkmcnt(0)
	v_or_b32_e32 v38, v38, v7
	v_cndmask_b32_e64 v7, 0, 1, vcc
	v_cmp_ne_u32_e32 vcc, v10, v11
	v_cndmask_b32_e64 v5, 0, 1, vcc
	v_cmp_ne_u32_e32 vcc, v11, v20
	v_cndmask_b32_e64 v3, 0, 1, vcc
	v_cmp_eq_u32_e32 vcc, v20, v21
	v_cndmask_b32_e32 v16, v26, v14, vcc
	v_cmp_eq_u32_e32 vcc, v21, v18
	v_cndmask_b32_e32 v14, v26, v15, vcc
	;; [unrolled: 2-line block ×4, first 2 shown]
	v_cmp_ne_u32_e32 vcc, v20, v21
	v_cndmask_b32_e64 v17, 0, 1, vcc
	v_cmp_ne_u32_e32 vcc, v21, v18
	v_cndmask_b32_e64 v15, 0, 1, vcc
	;; [unrolled: 2-line block ×4, first 2 shown]
	v_cmp_eq_u32_e32 vcc, v31, v27
	v_cndmask_b32_e32 v24, v26, v23, vcc
	v_cmp_eq_u32_e32 vcc, v30, v31
	v_cndmask_b32_e32 v22, v26, v22, vcc
	;; [unrolled: 2-line block ×4, first 2 shown]
	v_cmp_ne_u32_e32 vcc, v31, v27
	v_cndmask_b32_e64 v25, 0, 1, vcc
	v_cmp_ne_u32_e32 vcc, v30, v31
	v_cndmask_b32_e64 v23, 0, 1, vcc
	;; [unrolled: 2-line block ×3, first 2 shown]
	v_cmp_ne_u32_e32 vcc, v28, v29
	v_cmp_ne_u32_e64 s[16:17], v27, v1
	v_cndmask_b32_e64 v19, 0, 1, vcc
	v_cndmask_b32_e64 v42, v34, v26, s[16:17]
	s_mov_b64 s[18:19], -1
                                        ; implicit-def: $sgpr2_sgpr3
.LBB1773_82:
	v_pk_mov_b32 v[40:41], s[2:3], s[2:3] op_sel:[0,1]
	s_and_saveexec_b64 s[2:3], s[18:19]
; %bb.83:
	v_cndmask_b32_e64 v43, 0, 1, s[16:17]
	v_pk_mov_b32 v[40:41], v[42:43], v[42:43] op_sel:[0,1]
; %bb.84:
	s_or_b64 exec, exec, s[2:3]
	s_mov_b32 s26, 0
	s_cmp_lg_u32 s6, 0
	v_mbcnt_lo_u32_b32 v52, -1, 0
	v_lshrrev_b32_e32 v1, 6, v0
	v_or_b32_e32 v51, 63, v0
	s_barrier
	s_cbranch_scc0 .LBB1773_129
; %bb.85:
	s_mov_b32 s27, 1
	v_cmp_gt_u64_e64 s[2:3], s[26:27], v[8:9]
	v_cndmask_b32_e64 v27, 0, v38, s[2:3]
	v_add_u32_e32 v27, v27, v8
	v_cmp_gt_u64_e64 s[4:5], s[26:27], v[6:7]
	v_cndmask_b32_e64 v27, 0, v27, s[4:5]
	v_add_u32_e32 v27, v27, v6
	;; [unrolled: 3-line block ×12, first 2 shown]
	v_cmp_gt_u64_e32 vcc, s[26:27], v[40:41]
	v_cndmask_b32_e32 v27, 0, v27, vcc
	v_add_u32_e32 v28, v27, v40
	v_or3_b32 v27, v41, v25, v23
	v_or3_b32 v27, v27, v21, v19
	;; [unrolled: 1-line block ×6, first 2 shown]
	v_mov_b32_e32 v26, 0
	v_and_b32_e32 v27, 1, v27
	v_cmp_eq_u64_e32 vcc, 0, v[26:27]
	v_cndmask_b32_e32 v27, 1, v39, vcc
	v_and_b32_e32 v29, 0xff, v27
	v_mov_b32_dpp v31, v28 row_shr:1 row_mask:0xf bank_mask:0xf
	v_cmp_eq_u16_e32 vcc, 0, v29
	v_mov_b32_dpp v32, v29 row_shr:1 row_mask:0xf bank_mask:0xf
	v_and_b32_e32 v33, 1, v27
	v_mbcnt_hi_u32_b32 v46, -1, v52
	v_cndmask_b32_e32 v31, 0, v31, vcc
	v_and_b32_e32 v32, 1, v32
	v_cmp_eq_u32_e32 vcc, 1, v33
	v_and_b32_e32 v30, 15, v46
	v_cndmask_b32_e64 v32, v32, 1, vcc
	v_and_b32_e32 v33, 0xffff, v32
	v_cmp_eq_u32_e32 vcc, 0, v30
	v_cndmask_b32_e32 v27, v32, v27, vcc
	v_cndmask_b32_e32 v29, v33, v29, vcc
	v_and_b32_e32 v33, 1, v27
	v_cndmask_b32_e64 v31, v31, 0, vcc
	v_mov_b32_dpp v32, v29 row_shr:2 row_mask:0xf bank_mask:0xf
	v_and_b32_e32 v32, 1, v32
	v_cmp_eq_u32_e32 vcc, 1, v33
	v_cndmask_b32_e64 v32, v32, 1, vcc
	v_and_b32_e32 v33, 0xffff, v32
	v_cmp_lt_u32_e32 vcc, 1, v30
	v_add_u32_e32 v28, v31, v28
	v_cmp_eq_u16_sdwa s[26:27], v27, v26 src0_sel:BYTE_0 src1_sel:DWORD
	v_cndmask_b32_e32 v27, v27, v32, vcc
	v_cndmask_b32_e32 v29, v29, v33, vcc
	v_mov_b32_dpp v31, v28 row_shr:2 row_mask:0xf bank_mask:0xf
	s_and_b64 vcc, vcc, s[26:27]
	v_mov_b32_dpp v32, v29 row_shr:4 row_mask:0xf bank_mask:0xf
	v_and_b32_e32 v33, 1, v27
	v_cndmask_b32_e32 v31, 0, v31, vcc
	v_and_b32_e32 v32, 1, v32
	v_cmp_eq_u32_e32 vcc, 1, v33
	v_cndmask_b32_e64 v32, v32, 1, vcc
	v_and_b32_e32 v33, 0xffff, v32
	v_cmp_lt_u32_e32 vcc, 3, v30
	v_add_u32_e32 v28, v31, v28
	v_cmp_eq_u16_sdwa s[26:27], v27, v26 src0_sel:BYTE_0 src1_sel:DWORD
	v_cndmask_b32_e32 v27, v27, v32, vcc
	v_cndmask_b32_e32 v29, v29, v33, vcc
	v_mov_b32_dpp v31, v28 row_shr:4 row_mask:0xf bank_mask:0xf
	s_and_b64 vcc, vcc, s[26:27]
	v_mov_b32_dpp v32, v29 row_shr:8 row_mask:0xf bank_mask:0xf
	v_and_b32_e32 v33, 1, v27
	v_cndmask_b32_e32 v31, 0, v31, vcc
	v_and_b32_e32 v32, 1, v32
	v_cmp_eq_u32_e32 vcc, 1, v33
	v_cndmask_b32_e64 v32, v32, 1, vcc
	v_add_u32_e32 v28, v31, v28
	v_cmp_eq_u16_sdwa s[26:27], v27, v26 src0_sel:BYTE_0 src1_sel:DWORD
	v_and_b32_e32 v33, 0xffff, v32
	v_cmp_lt_u32_e32 vcc, 7, v30
	v_mov_b32_dpp v31, v28 row_shr:8 row_mask:0xf bank_mask:0xf
	v_cndmask_b32_e32 v27, v27, v32, vcc
	v_cndmask_b32_e32 v29, v29, v33, vcc
	s_and_b64 vcc, vcc, s[26:27]
	v_cndmask_b32_e32 v30, 0, v31, vcc
	v_add_u32_e32 v28, v30, v28
	v_mov_b32_dpp v31, v29 row_bcast:15 row_mask:0xf bank_mask:0xf
	v_cmp_eq_u16_sdwa vcc, v27, v26 src0_sel:BYTE_0 src1_sel:DWORD
	v_mov_b32_dpp v30, v28 row_bcast:15 row_mask:0xf bank_mask:0xf
	v_and_b32_e32 v34, 1, v27
	v_cndmask_b32_e32 v30, 0, v30, vcc
	v_and_b32_e32 v31, 1, v31
	v_cmp_eq_u32_e32 vcc, 1, v34
	v_and_b32_e32 v33, 16, v46
	v_cndmask_b32_e64 v31, v31, 1, vcc
	v_and_b32_e32 v34, 0xffff, v31
	v_cmp_eq_u32_e32 vcc, 0, v33
	v_cndmask_b32_e32 v27, v31, v27, vcc
	v_cndmask_b32_e32 v29, v34, v29, vcc
	v_bfe_i32 v32, v46, 4, 1
	v_cmp_eq_u16_sdwa s[26:27], v27, v26 src0_sel:BYTE_0 src1_sel:DWORD
	v_mov_b32_dpp v29, v29 row_bcast:31 row_mask:0xf bank_mask:0xf
	v_and_b32_e32 v26, 1, v27
	v_and_b32_e32 v30, v32, v30
	;; [unrolled: 1-line block ×3, first 2 shown]
	v_cmp_eq_u32_e32 vcc, 1, v26
	v_add_u32_e32 v28, v30, v28
	v_cndmask_b32_e64 v26, v29, 1, vcc
	v_cmp_lt_u32_e32 vcc, 31, v46
	v_mov_b32_dpp v30, v28 row_bcast:31 row_mask:0xf bank_mask:0xf
	v_cndmask_b32_e32 v29, v27, v26, vcc
	s_and_b64 vcc, vcc, s[26:27]
	v_cndmask_b32_e32 v26, 0, v30, vcc
	v_add_u32_e32 v28, v26, v28
	v_cmp_eq_u32_e32 vcc, v51, v0
	s_and_saveexec_b64 s[26:27], vcc
	s_cbranch_execz .LBB1773_87
; %bb.86:
	v_lshlrev_b32_e32 v26, 3, v1
	ds_write_b32 v26, v28
	ds_write_b8 v26, v29 offset:4
.LBB1773_87:
	s_or_b64 exec, exec, s[26:27]
	v_cmp_gt_u32_e32 vcc, 4, v0
	s_waitcnt lgkmcnt(0)
	s_barrier
	s_and_saveexec_b64 s[26:27], vcc
	s_cbranch_execz .LBB1773_91
; %bb.88:
	v_lshlrev_b32_e32 v30, 3, v0
	ds_read_b64 v[26:27], v30
	v_and_b32_e32 v31, 3, v46
	v_cmp_ne_u32_e32 vcc, 0, v31
	s_waitcnt lgkmcnt(0)
	v_mov_b32_dpp v32, v26 row_shr:1 row_mask:0xf bank_mask:0xf
	v_mov_b32_dpp v34, v27 row_shr:1 row_mask:0xf bank_mask:0xf
	v_mov_b32_e32 v33, v27
	s_and_saveexec_b64 s[30:31], vcc
	s_cbranch_execz .LBB1773_90
; %bb.89:
	v_and_b32_e32 v33, 1, v27
	v_and_b32_e32 v34, 1, v34
	v_cmp_eq_u32_e32 vcc, 1, v33
	v_mov_b32_e32 v33, 0
	v_cndmask_b32_e64 v34, v34, 1, vcc
	v_cmp_eq_u16_sdwa vcc, v27, v33 src0_sel:BYTE_0 src1_sel:DWORD
	v_cndmask_b32_e32 v32, 0, v32, vcc
	v_add_u32_e32 v26, v32, v26
	v_and_b32_e32 v32, 0xffff, v34
	s_movk_i32 s7, 0xff00
	v_and_or_b32 v33, v27, s7, v32
	v_mov_b32_e32 v27, v34
.LBB1773_90:
	s_or_b64 exec, exec, s[30:31]
	v_mov_b32_dpp v33, v33 row_shr:2 row_mask:0xf bank_mask:0xf
	v_and_b32_e32 v34, 1, v27
	v_and_b32_e32 v33, 1, v33
	v_cmp_eq_u32_e32 vcc, 1, v34
	v_mov_b32_e32 v34, 0
	v_cndmask_b32_e64 v33, v33, 1, vcc
	v_cmp_eq_u16_sdwa s[30:31], v27, v34 src0_sel:BYTE_0 src1_sel:DWORD
	v_cmp_lt_u32_e32 vcc, 1, v31
	v_mov_b32_dpp v32, v26 row_shr:2 row_mask:0xf bank_mask:0xf
	v_cndmask_b32_e32 v27, v27, v33, vcc
	s_and_b64 vcc, vcc, s[30:31]
	v_cndmask_b32_e32 v31, 0, v32, vcc
	v_add_u32_e32 v26, v31, v26
	ds_write_b32 v30, v26
	ds_write_b8 v30, v27 offset:4
.LBB1773_91:
	s_or_b64 exec, exec, s[26:27]
	v_cmp_gt_u32_e32 vcc, 64, v0
	v_cmp_lt_u32_e64 s[26:27], 63, v0
	v_mov_b32_e32 v42, 0
	v_mov_b32_e32 v43, 0
	s_waitcnt lgkmcnt(0)
	s_barrier
	s_and_saveexec_b64 s[30:31], s[26:27]
	s_cbranch_execz .LBB1773_93
; %bb.92:
	v_lshl_add_u32 v26, v1, 3, -8
	ds_read_b32 v42, v26
	ds_read_u8 v43, v26 offset:4
	v_mov_b32_e32 v27, 0
	v_and_b32_e32 v30, 1, v29
	v_cmp_eq_u16_sdwa s[26:27], v29, v27 src0_sel:BYTE_0 src1_sel:DWORD
	s_waitcnt lgkmcnt(1)
	v_cndmask_b32_e64 v26, 0, v42, s[26:27]
	v_cmp_eq_u32_e64 s[26:27], 1, v30
	v_add_u32_e32 v28, v26, v28
	s_waitcnt lgkmcnt(0)
	v_cndmask_b32_e64 v29, v43, 1, s[26:27]
.LBB1773_93:
	s_or_b64 exec, exec, s[30:31]
	v_and_b32_e32 v26, 0xff, v29
	v_add_u32_e32 v27, -1, v46
	v_and_b32_e32 v29, 64, v46
	v_cmp_lt_i32_e64 s[26:27], v27, v29
	v_cndmask_b32_e64 v27, v27, v46, s[26:27]
	v_lshlrev_b32_e32 v27, 2, v27
	ds_bpermute_b32 v44, v27, v28
	ds_bpermute_b32 v45, v27, v26
	v_cmp_eq_u32_e64 s[26:27], 0, v46
	s_and_saveexec_b64 s[38:39], vcc
	s_cbranch_execz .LBB1773_116
; %bb.94:
	v_mov_b32_e32 v29, 0
	ds_read_b64 v[26:27], v29 offset:24
	s_waitcnt lgkmcnt(0)
	v_readfirstlane_b32 s7, v27
	s_and_saveexec_b64 s[30:31], s[26:27]
	s_cbranch_execz .LBB1773_96
; %bb.95:
	s_add_i32 s40, s6, 64
	s_mov_b32 s41, 0
	s_lshl_b64 s[48:49], s[40:41], 4
	s_add_u32 s48, s44, s48
	s_addc_u32 s49, s45, s49
	s_and_b32 s55, s7, 0xff000000
	s_mov_b32 s54, s41
	s_and_b32 s59, s7, 0xff0000
	s_mov_b32 s58, s41
	s_or_b64 s[54:55], s[58:59], s[54:55]
	s_and_b32 s59, s7, 0xff00
	s_or_b64 s[54:55], s[54:55], s[58:59]
	s_and_b32 s59, s7, 0xff
	s_or_b64 s[40:41], s[54:55], s[58:59]
	v_mov_b32_e32 v27, s41
	v_mov_b32_e32 v28, 1
	v_pk_mov_b32 v[30:31], s[48:49], s[48:49] op_sel:[0,1]
	;;#ASMSTART
	global_store_dwordx4 v[30:31], v[26:29] off	
s_waitcnt vmcnt(0)
	;;#ASMEND
.LBB1773_96:
	s_or_b64 exec, exec, s[30:31]
	v_xad_u32 v34, v46, -1, s6
	v_add_u32_e32 v28, 64, v34
	v_lshlrev_b64 v[30:31], 4, v[28:29]
	v_mov_b32_e32 v27, s45
	v_add_co_u32_e32 v36, vcc, s44, v30
	v_addc_co_u32_e32 v37, vcc, v27, v31, vcc
	;;#ASMSTART
	global_load_dwordx4 v[30:33], v[36:37] off glc	
s_waitcnt vmcnt(0)
	;;#ASMEND
	v_and_b32_e32 v27, 0xff0000, v30
	v_or_b32_sdwa v27, v30, v27 dst_sel:DWORD dst_unused:UNUSED_PAD src0_sel:WORD_0 src1_sel:DWORD
	v_and_b32_e32 v28, 0xff000000, v30
	v_and_b32_e32 v30, 0xff, v31
	v_or3_b32 v31, 0, 0, v30
	v_or3_b32 v30, v27, v28, 0
	v_cmp_eq_u16_sdwa s[40:41], v32, v29 src0_sel:BYTE_0 src1_sel:DWORD
	s_and_saveexec_b64 s[30:31], s[40:41]
	s_cbranch_execz .LBB1773_102
; %bb.97:
	s_mov_b32 s47, 1
	s_mov_b64 s[40:41], 0
	v_mov_b32_e32 v27, 0
.LBB1773_98:                            ; =>This Loop Header: Depth=1
                                        ;     Child Loop BB1773_99 Depth 2
	s_max_u32 s48, s47, 1
.LBB1773_99:                            ;   Parent Loop BB1773_98 Depth=1
                                        ; =>  This Inner Loop Header: Depth=2
	s_add_i32 s48, s48, -1
	s_cmp_eq_u32 s48, 0
	s_sleep 1
	s_cbranch_scc0 .LBB1773_99
; %bb.100:                              ;   in Loop: Header=BB1773_98 Depth=1
	s_cmp_lt_u32 s47, 32
	s_cselect_b64 s[48:49], -1, 0
	s_cmp_lg_u64 s[48:49], 0
	s_addc_u32 s47, s47, 0
	;;#ASMSTART
	global_load_dwordx4 v[30:33], v[36:37] off glc	
s_waitcnt vmcnt(0)
	;;#ASMEND
	v_cmp_ne_u16_sdwa s[48:49], v32, v27 src0_sel:BYTE_0 src1_sel:DWORD
	s_or_b64 s[40:41], s[48:49], s[40:41]
	s_andn2_b64 exec, exec, s[40:41]
	s_cbranch_execnz .LBB1773_98
; %bb.101:
	s_or_b64 exec, exec, s[40:41]
	v_and_b32_e32 v31, 0xff, v31
.LBB1773_102:
	s_or_b64 exec, exec, s[30:31]
	v_mov_b32_e32 v27, 2
	v_cmp_eq_u16_sdwa s[30:31], v32, v27 src0_sel:BYTE_0 src1_sel:DWORD
	v_lshlrev_b64 v[28:29], v46, -1
	v_and_b32_e32 v33, s31, v29
	v_or_b32_e32 v33, 0x80000000, v33
	v_and_b32_e32 v35, s30, v28
	v_ffbl_b32_e32 v33, v33
	v_and_b32_e32 v47, 63, v46
	v_add_u32_e32 v33, 32, v33
	v_ffbl_b32_e32 v35, v35
	v_cmp_ne_u32_e32 vcc, 63, v47
	v_min_u32_e32 v33, v35, v33
	v_addc_co_u32_e32 v35, vcc, 0, v46, vcc
	v_lshlrev_b32_e32 v48, 2, v35
	ds_bpermute_b32 v35, v48, v31
	ds_bpermute_b32 v36, v48, v30
	s_mov_b32 s40, 0
	v_and_b32_e32 v37, 1, v31
	s_mov_b32 s41, 1
	s_waitcnt lgkmcnt(1)
	v_and_b32_e32 v35, 1, v35
	v_cmp_eq_u32_e32 vcc, 1, v37
	v_cndmask_b32_e64 v35, v35, 1, vcc
	v_cmp_gt_u64_e32 vcc, s[40:41], v[30:31]
	v_cmp_lt_u32_e64 s[30:31], v47, v33
	s_and_b64 vcc, s[30:31], vcc
	v_and_b32_e32 v37, 0xffff, v35
	v_cndmask_b32_e64 v54, v31, v35, s[30:31]
	s_waitcnt lgkmcnt(0)
	v_cndmask_b32_e32 v35, 0, v36, vcc
	v_cmp_gt_u32_e32 vcc, 62, v47
	v_cndmask_b32_e64 v36, 0, 1, vcc
	v_lshlrev_b32_e32 v36, 1, v36
	v_cndmask_b32_e64 v31, v31, v37, s[30:31]
	v_add_lshl_u32 v49, v36, v46, 2
	ds_bpermute_b32 v36, v49, v31
	v_add_u32_e32 v30, v35, v30
	ds_bpermute_b32 v37, v49, v30
	v_and_b32_e32 v35, 1, v54
	v_cmp_eq_u32_e32 vcc, 1, v35
	s_waitcnt lgkmcnt(1)
	v_and_b32_e32 v36, 1, v36
	v_mov_b32_e32 v35, 0
	v_add_u32_e32 v53, 2, v47
	v_cndmask_b32_e64 v36, v36, 1, vcc
	v_cmp_eq_u16_sdwa vcc, v54, v35 src0_sel:BYTE_0 src1_sel:DWORD
	v_and_b32_e32 v55, 0xffff, v36
	s_waitcnt lgkmcnt(0)
	v_cndmask_b32_e32 v37, 0, v37, vcc
	v_cmp_gt_u32_e32 vcc, v53, v33
	v_cndmask_b32_e32 v36, v36, v54, vcc
	v_cndmask_b32_e64 v37, v37, 0, vcc
	v_cndmask_b32_e32 v31, v55, v31, vcc
	v_cmp_gt_u32_e32 vcc, 60, v47
	v_cndmask_b32_e64 v54, 0, 1, vcc
	v_lshlrev_b32_e32 v54, 2, v54
	v_add_lshl_u32 v54, v54, v46, 2
	ds_bpermute_b32 v56, v54, v31
	v_add_u32_e32 v30, v37, v30
	ds_bpermute_b32 v37, v54, v30
	v_and_b32_e32 v57, 1, v36
	v_cmp_eq_u32_e32 vcc, 1, v57
	s_waitcnt lgkmcnt(1)
	v_and_b32_e32 v56, 1, v56
	v_add_u32_e32 v55, 4, v47
	v_cndmask_b32_e64 v56, v56, 1, vcc
	v_cmp_eq_u16_sdwa vcc, v36, v35 src0_sel:BYTE_0 src1_sel:DWORD
	v_and_b32_e32 v57, 0xffff, v56
	s_waitcnt lgkmcnt(0)
	v_cndmask_b32_e32 v37, 0, v37, vcc
	v_cmp_gt_u32_e32 vcc, v55, v33
	v_cndmask_b32_e32 v36, v56, v36, vcc
	v_cndmask_b32_e64 v37, v37, 0, vcc
	v_cndmask_b32_e32 v31, v57, v31, vcc
	v_cmp_gt_u32_e32 vcc, 56, v47
	v_cndmask_b32_e64 v56, 0, 1, vcc
	v_lshlrev_b32_e32 v56, 3, v56
	v_add_lshl_u32 v56, v56, v46, 2
	ds_bpermute_b32 v58, v56, v31
	v_add_u32_e32 v30, v37, v30
	ds_bpermute_b32 v37, v56, v30
	v_and_b32_e32 v59, 1, v36
	v_cmp_eq_u32_e32 vcc, 1, v59
	s_waitcnt lgkmcnt(1)
	v_and_b32_e32 v58, 1, v58
	;; [unrolled: 21-line block ×4, first 2 shown]
	v_add_u32_e32 v62, 32, v47
	v_cndmask_b32_e64 v31, v31, 1, vcc
	v_cmp_eq_u16_sdwa vcc, v36, v35 src0_sel:BYTE_0 src1_sel:DWORD
	s_waitcnt lgkmcnt(0)
	v_cndmask_b32_e32 v37, 0, v37, vcc
	v_cmp_gt_u32_e32 vcc, v62, v33
	v_cndmask_b32_e64 v33, v37, 0, vcc
	v_cndmask_b32_e32 v31, v31, v36, vcc
	v_add_u32_e32 v30, v33, v30
	s_branch .LBB1773_104
.LBB1773_103:                           ;   in Loop: Header=BB1773_104 Depth=1
	s_or_b64 exec, exec, s[30:31]
	v_cmp_eq_u16_sdwa s[30:31], v32, v27 src0_sel:BYTE_0 src1_sel:DWORD
	v_and_b32_e32 v33, s31, v29
	ds_bpermute_b32 v37, v48, v31
	v_or_b32_e32 v33, 0x80000000, v33
	v_and_b32_e32 v36, s30, v28
	v_ffbl_b32_e32 v33, v33
	v_add_u32_e32 v33, 32, v33
	v_ffbl_b32_e32 v36, v36
	v_min_u32_e32 v33, v36, v33
	ds_bpermute_b32 v36, v48, v30
	v_and_b32_e32 v63, 1, v31
	s_waitcnt lgkmcnt(1)
	v_and_b32_e32 v37, 1, v37
	v_cmp_eq_u32_e32 vcc, 1, v63
	v_cndmask_b32_e64 v37, v37, 1, vcc
	v_cmp_gt_u64_e32 vcc, s[40:41], v[30:31]
	v_and_b32_e32 v63, 0xffff, v37
	v_cmp_lt_u32_e64 s[30:31], v47, v33
	v_cndmask_b32_e64 v37, v31, v37, s[30:31]
	v_cndmask_b32_e64 v31, v31, v63, s[30:31]
	s_and_b64 vcc, s[30:31], vcc
	ds_bpermute_b32 v63, v49, v31
	s_waitcnt lgkmcnt(1)
	v_cndmask_b32_e32 v36, 0, v36, vcc
	v_add_u32_e32 v30, v36, v30
	ds_bpermute_b32 v36, v49, v30
	v_and_b32_e32 v64, 1, v37
	s_waitcnt lgkmcnt(1)
	v_and_b32_e32 v63, 1, v63
	v_cmp_eq_u32_e32 vcc, 1, v64
	v_cndmask_b32_e64 v63, v63, 1, vcc
	v_cmp_eq_u16_sdwa vcc, v37, v35 src0_sel:BYTE_0 src1_sel:DWORD
	v_and_b32_e32 v64, 0xffff, v63
	s_waitcnt lgkmcnt(0)
	v_cndmask_b32_e32 v36, 0, v36, vcc
	v_cmp_gt_u32_e32 vcc, v53, v33
	v_cndmask_b32_e32 v31, v64, v31, vcc
	v_cndmask_b32_e32 v37, v63, v37, vcc
	ds_bpermute_b32 v63, v54, v31
	v_cndmask_b32_e64 v36, v36, 0, vcc
	v_add_u32_e32 v30, v36, v30
	ds_bpermute_b32 v36, v54, v30
	v_and_b32_e32 v64, 1, v37
	s_waitcnt lgkmcnt(1)
	v_and_b32_e32 v63, 1, v63
	v_cmp_eq_u32_e32 vcc, 1, v64
	v_cndmask_b32_e64 v63, v63, 1, vcc
	v_cmp_eq_u16_sdwa vcc, v37, v35 src0_sel:BYTE_0 src1_sel:DWORD
	v_and_b32_e32 v64, 0xffff, v63
	s_waitcnt lgkmcnt(0)
	v_cndmask_b32_e32 v36, 0, v36, vcc
	v_cmp_gt_u32_e32 vcc, v55, v33
	v_cndmask_b32_e32 v31, v64, v31, vcc
	v_cndmask_b32_e32 v37, v63, v37, vcc
	ds_bpermute_b32 v63, v56, v31
	v_cndmask_b32_e64 v36, v36, 0, vcc
	v_add_u32_e32 v30, v36, v30
	ds_bpermute_b32 v36, v56, v30
	v_and_b32_e32 v64, 1, v37
	s_waitcnt lgkmcnt(1)
	v_and_b32_e32 v63, 1, v63
	v_cmp_eq_u32_e32 vcc, 1, v64
	v_cndmask_b32_e64 v63, v63, 1, vcc
	v_cmp_eq_u16_sdwa vcc, v37, v35 src0_sel:BYTE_0 src1_sel:DWORD
	v_and_b32_e32 v64, 0xffff, v63
	s_waitcnt lgkmcnt(0)
	v_cndmask_b32_e32 v36, 0, v36, vcc
	v_cmp_gt_u32_e32 vcc, v57, v33
	v_cndmask_b32_e32 v31, v64, v31, vcc
	v_cndmask_b32_e32 v37, v63, v37, vcc
	ds_bpermute_b32 v63, v58, v31
	v_cndmask_b32_e64 v36, v36, 0, vcc
	v_add_u32_e32 v30, v36, v30
	ds_bpermute_b32 v36, v58, v30
	v_and_b32_e32 v64, 1, v37
	s_waitcnt lgkmcnt(1)
	v_and_b32_e32 v63, 1, v63
	v_cmp_eq_u32_e32 vcc, 1, v64
	v_cndmask_b32_e64 v63, v63, 1, vcc
	v_cmp_eq_u16_sdwa vcc, v37, v35 src0_sel:BYTE_0 src1_sel:DWORD
	v_and_b32_e32 v64, 0xffff, v63
	s_waitcnt lgkmcnt(0)
	v_cndmask_b32_e32 v36, 0, v36, vcc
	v_cmp_gt_u32_e32 vcc, v59, v33
	v_cndmask_b32_e64 v36, v36, 0, vcc
	v_cndmask_b32_e32 v31, v64, v31, vcc
	ds_bpermute_b32 v31, v61, v31
	v_add_u32_e32 v30, v36, v30
	ds_bpermute_b32 v36, v61, v30
	v_cndmask_b32_e32 v37, v63, v37, vcc
	v_and_b32_e32 v63, 1, v37
	v_cmp_eq_u32_e32 vcc, 1, v63
	s_waitcnt lgkmcnt(1)
	v_cndmask_b32_e64 v31, v31, 1, vcc
	v_cmp_eq_u16_sdwa vcc, v37, v35 src0_sel:BYTE_0 src1_sel:DWORD
	s_waitcnt lgkmcnt(0)
	v_cndmask_b32_e32 v36, 0, v36, vcc
	v_cmp_gt_u32_e32 vcc, v62, v33
	v_cndmask_b32_e64 v33, v36, 0, vcc
	v_cndmask_b32_e32 v31, v31, v37, vcc
	v_add_u32_e32 v30, v33, v30
	v_cmp_eq_u16_sdwa vcc, v46, v35 src0_sel:BYTE_0 src1_sel:DWORD
	v_and_b32_e32 v33, 1, v46
	v_cndmask_b32_e32 v30, 0, v30, vcc
	v_and_b32_e32 v31, 1, v31
	v_cmp_eq_u32_e32 vcc, 1, v33
	v_subrev_u32_e32 v34, 64, v34
	v_add_u32_e32 v30, v30, v60
	v_cndmask_b32_e64 v31, v31, 1, vcc
.LBB1773_104:                           ; =>This Loop Header: Depth=1
                                        ;     Child Loop BB1773_107 Depth 2
                                        ;       Child Loop BB1773_108 Depth 3
	v_cmp_ne_u16_sdwa s[30:31], v32, v27 src0_sel:BYTE_0 src1_sel:DWORD
	v_mov_b32_e32 v46, v31
	v_cndmask_b32_e64 v31, 0, 1, s[30:31]
	;;#ASMSTART
	;;#ASMEND
	v_cmp_ne_u32_e32 vcc, 0, v31
	s_cmp_lg_u64 vcc, exec
	v_mov_b32_e32 v60, v30
	s_cbranch_scc1 .LBB1773_111
; %bb.105:                              ;   in Loop: Header=BB1773_104 Depth=1
	v_lshlrev_b64 v[30:31], 4, v[34:35]
	v_mov_b32_e32 v32, s45
	v_add_co_u32_e32 v36, vcc, s44, v30
	v_addc_co_u32_e32 v37, vcc, v32, v31, vcc
	;;#ASMSTART
	global_load_dwordx4 v[30:33], v[36:37] off glc	
s_waitcnt vmcnt(0)
	;;#ASMEND
	v_and_b32_e32 v33, 0xff0000, v30
	v_or_b32_sdwa v33, v30, v33 dst_sel:DWORD dst_unused:UNUSED_PAD src0_sel:WORD_0 src1_sel:DWORD
	v_and_b32_e32 v30, 0xff000000, v30
	v_and_b32_e32 v31, 0xff, v31
	v_or3_b32 v31, 0, 0, v31
	v_or3_b32 v30, v33, v30, 0
	v_cmp_eq_u16_sdwa s[48:49], v32, v35 src0_sel:BYTE_0 src1_sel:DWORD
	s_and_saveexec_b64 s[30:31], s[48:49]
	s_cbranch_execz .LBB1773_103
; %bb.106:                              ;   in Loop: Header=BB1773_104 Depth=1
	s_mov_b32 s47, 1
	s_mov_b64 s[48:49], 0
.LBB1773_107:                           ;   Parent Loop BB1773_104 Depth=1
                                        ; =>  This Loop Header: Depth=2
                                        ;       Child Loop BB1773_108 Depth 3
	s_max_u32 s54, s47, 1
.LBB1773_108:                           ;   Parent Loop BB1773_104 Depth=1
                                        ;     Parent Loop BB1773_107 Depth=2
                                        ; =>    This Inner Loop Header: Depth=3
	s_add_i32 s54, s54, -1
	s_cmp_eq_u32 s54, 0
	s_sleep 1
	s_cbranch_scc0 .LBB1773_108
; %bb.109:                              ;   in Loop: Header=BB1773_107 Depth=2
	s_cmp_lt_u32 s47, 32
	s_cselect_b64 s[54:55], -1, 0
	s_cmp_lg_u64 s[54:55], 0
	s_addc_u32 s47, s47, 0
	;;#ASMSTART
	global_load_dwordx4 v[30:33], v[36:37] off glc	
s_waitcnt vmcnt(0)
	;;#ASMEND
	v_cmp_ne_u16_sdwa s[54:55], v32, v35 src0_sel:BYTE_0 src1_sel:DWORD
	s_or_b64 s[48:49], s[54:55], s[48:49]
	s_andn2_b64 exec, exec, s[48:49]
	s_cbranch_execnz .LBB1773_107
; %bb.110:                              ;   in Loop: Header=BB1773_104 Depth=1
	s_or_b64 exec, exec, s[48:49]
	v_and_b32_e32 v31, 0xff, v31
	s_branch .LBB1773_103
.LBB1773_111:                           ;   in Loop: Header=BB1773_104 Depth=1
                                        ; implicit-def: $vgpr31
                                        ; implicit-def: $vgpr30
                                        ; implicit-def: $vgpr32
	s_cbranch_execz .LBB1773_104
; %bb.112:
	s_and_saveexec_b64 s[30:31], s[26:27]
	s_cbranch_execz .LBB1773_114
; %bb.113:
	s_and_b32 s40, s7, 0xff
	s_cmp_eq_u32 s40, 0
	s_cselect_b64 vcc, -1, 0
	s_bitcmp1_b32 s7, 0
	s_mov_b32 s41, 0
	s_cselect_b64 s[48:49], -1, 0
	s_add_i32 s40, s6, 64
	s_lshl_b64 s[6:7], s[40:41], 4
	v_cndmask_b32_e32 v27, 0, v60, vcc
	s_add_u32 s6, s44, s6
	v_add_u32_e32 v26, v27, v26
	v_and_b32_e32 v27, 1, v46
	s_addc_u32 s7, s45, s7
	v_mov_b32_e32 v29, 0
	v_cndmask_b32_e64 v27, v27, 1, s[48:49]
	v_mov_b32_e32 v28, 2
	v_pk_mov_b32 v[30:31], s[6:7], s[6:7] op_sel:[0,1]
	;;#ASMSTART
	global_store_dwordx4 v[30:31], v[26:29] off	
s_waitcnt vmcnt(0)
	;;#ASMEND
.LBB1773_114:
	s_or_b64 exec, exec, s[30:31]
	v_cmp_eq_u32_e32 vcc, 0, v0
	s_and_b64 exec, exec, vcc
	s_cbranch_execz .LBB1773_116
; %bb.115:
	v_mov_b32_e32 v26, 0
	ds_write_b32 v26, v60 offset:24
	ds_write_b8 v26, v46 offset:28
.LBB1773_116:
	s_or_b64 exec, exec, s[38:39]
	v_mov_b32_e32 v28, 0
	s_waitcnt lgkmcnt(0)
	s_barrier
	ds_read_b32 v26, v28 offset:24
	v_cndmask_b32_e64 v27, v45, v43, s[26:27]
	v_cmp_eq_u16_sdwa vcc, v27, v28 src0_sel:BYTE_0 src1_sel:DWORD
	v_cndmask_b32_e64 v29, v44, v42, s[26:27]
	s_waitcnt lgkmcnt(0)
	v_cndmask_b32_e32 v27, 0, v26, vcc
	v_add_u32_e32 v27, v27, v29
	v_cmp_eq_u32_e32 vcc, 0, v0
	v_and_b32_e32 v29, 0xff, v39
	v_cndmask_b32_e32 v26, v27, v26, vcc
	v_cmp_eq_u64_e32 vcc, 0, v[28:29]
	v_cndmask_b32_e32 v27, 0, v26, vcc
	v_add_u32_e32 v27, v27, v38
	v_cndmask_b32_e64 v28, 0, v27, s[2:3]
	v_add_u32_e32 v42, v28, v8
	v_cndmask_b32_e64 v28, 0, v42, s[4:5]
	v_add_u32_e32 v43, v28, v6
	v_cndmask_b32_e64 v28, 0, v43, s[28:29]
	v_add_u32_e32 v30, v28, v4
	v_cndmask_b32_e64 v28, 0, v30, s[8:9]
	v_add_u32_e32 v31, v28, v2
	v_cndmask_b32_e64 v28, 0, v31, s[10:11]
	v_add_u32_e32 v44, v28, v16
	v_cndmask_b32_e64 v28, 0, v44, s[12:13]
	v_add_u32_e32 v45, v28, v14
	v_cndmask_b32_e64 v28, 0, v45, s[14:15]
	v_add_u32_e32 v34, v28, v12
	v_cndmask_b32_e64 v28, 0, v34, s[16:17]
	v_add_u32_e32 v35, v28, v10
	v_cndmask_b32_e64 v28, 0, v35, s[18:19]
	v_add_u32_e32 v46, v28, v18
	v_cndmask_b32_e64 v28, 0, v46, s[20:21]
	v_add_u32_e32 v47, v28, v20
	v_cndmask_b32_e64 v28, 0, v47, s[22:23]
	v_add_u32_e32 v48, v28, v22
	v_cndmask_b32_e64 v28, 0, v48, s[24:25]
	v_add_u32_e32 v49, v28, v24
	s_branch .LBB1773_143
.LBB1773_117:
	s_or_b64 exec, exec, s[30:31]
                                        ; implicit-def: $vgpr14
	s_and_saveexec_b64 s[30:31], s[2:3]
	s_cbranch_execz .LBB1773_33
.LBB1773_118:
	v_mov_b32_e32 v15, s47
	v_add_co_u32_e32 v14, vcc, s7, v12
	v_addc_co_u32_e32 v15, vcc, 0, v15, vcc
	flat_load_dword v14, v[14:15] offset:1024
	s_or_b64 exec, exec, s[30:31]
                                        ; implicit-def: $vgpr15
	s_and_saveexec_b64 s[2:3], s[4:5]
	s_cbranch_execnz .LBB1773_34
.LBB1773_119:
	s_or_b64 exec, exec, s[2:3]
                                        ; implicit-def: $vgpr16
	s_and_saveexec_b64 s[2:3], s[28:29]
	s_cbranch_execz .LBB1773_35
.LBB1773_120:
	v_mov_b32_e32 v17, s47
	v_add_co_u32_e32 v16, vcc, s7, v12
	v_addc_co_u32_e32 v17, vcc, 0, v17, vcc
	flat_load_dword v16, v[16:17] offset:3072
	s_or_b64 exec, exec, s[2:3]
                                        ; implicit-def: $vgpr17
	s_and_saveexec_b64 s[2:3], s[8:9]
	s_cbranch_execnz .LBB1773_36
.LBB1773_121:
	s_or_b64 exec, exec, s[2:3]
                                        ; implicit-def: $vgpr2
	s_and_saveexec_b64 s[2:3], s[10:11]
	s_cbranch_execz .LBB1773_37
.LBB1773_122:
	v_lshlrev_b32_e32 v2, 2, v3
	v_mov_b32_e32 v3, s47
	v_add_co_u32_e32 v2, vcc, s7, v2
	v_addc_co_u32_e32 v3, vcc, 0, v3, vcc
	flat_load_dword v2, v[2:3]
	s_or_b64 exec, exec, s[2:3]
                                        ; implicit-def: $vgpr3
	s_and_saveexec_b64 s[2:3], s[12:13]
	s_cbranch_execnz .LBB1773_38
.LBB1773_123:
	s_or_b64 exec, exec, s[2:3]
                                        ; implicit-def: $vgpr4
	s_and_saveexec_b64 s[2:3], s[14:15]
	s_cbranch_execz .LBB1773_39
.LBB1773_124:
	v_lshlrev_b32_e32 v4, 2, v5
	v_mov_b32_e32 v5, s47
	v_add_co_u32_e32 v4, vcc, s7, v4
	v_addc_co_u32_e32 v5, vcc, 0, v5, vcc
	flat_load_dword v4, v[4:5]
	s_or_b64 exec, exec, s[2:3]
                                        ; implicit-def: $vgpr5
	s_and_saveexec_b64 s[2:3], s[16:17]
	s_cbranch_execnz .LBB1773_40
.LBB1773_125:
	s_or_b64 exec, exec, s[2:3]
                                        ; implicit-def: $vgpr6
	s_and_saveexec_b64 s[2:3], s[18:19]
	s_cbranch_execz .LBB1773_41
.LBB1773_126:
	v_lshlrev_b32_e32 v6, 2, v7
	v_mov_b32_e32 v7, s47
	v_add_co_u32_e32 v6, vcc, s7, v6
	v_addc_co_u32_e32 v7, vcc, 0, v7, vcc
	flat_load_dword v6, v[6:7]
	s_or_b64 exec, exec, s[2:3]
                                        ; implicit-def: $vgpr7
	s_and_saveexec_b64 s[2:3], s[20:21]
	s_cbranch_execnz .LBB1773_42
.LBB1773_127:
	s_or_b64 exec, exec, s[2:3]
                                        ; implicit-def: $vgpr8
	s_and_saveexec_b64 s[2:3], s[22:23]
	s_cbranch_execz .LBB1773_43
.LBB1773_128:
	v_lshlrev_b32_e32 v8, 2, v9
	v_mov_b32_e32 v9, s47
	v_add_co_u32_e32 v8, vcc, s7, v8
	v_addc_co_u32_e32 v9, vcc, 0, v9, vcc
	flat_load_dword v8, v[8:9]
	s_or_b64 exec, exec, s[2:3]
                                        ; implicit-def: $vgpr9
	s_and_saveexec_b64 s[2:3], s[24:25]
	s_cbranch_execz .LBB1773_45
	s_branch .LBB1773_44
.LBB1773_129:
                                        ; implicit-def: $vgpr49
                                        ; implicit-def: $vgpr47
                                        ; implicit-def: $vgpr45
                                        ; implicit-def: $vgpr43
                                        ; implicit-def: $vgpr34_vgpr35_vgpr36_vgpr37
                                        ; implicit-def: $vgpr30_vgpr31_vgpr32_vgpr33
                                        ; implicit-def: $vgpr26_vgpr27_vgpr28_vgpr29
	s_cbranch_execz .LBB1773_143
; %bb.130:
	s_cmp_lg_u64 s[52:53], 0
	s_cselect_b32 s3, s51, 0
	s_cselect_b32 s2, s50, 0
	s_mov_b32 s24, 0
	s_cmp_eq_u64 s[2:3], 0
	v_mov_b32_e32 v32, s56
	s_cbranch_scc1 .LBB1773_132
; %bb.131:
	v_mov_b32_e32 v26, 0
	global_load_dword v32, v26, s[2:3]
.LBB1773_132:
	s_mov_b32 s25, 1
	v_cmp_gt_u64_e32 vcc, s[24:25], v[8:9]
	v_cndmask_b32_e32 v27, 0, v38, vcc
	v_add_u32_e32 v27, v27, v8
	v_cmp_gt_u64_e64 s[2:3], s[24:25], v[6:7]
	v_cndmask_b32_e64 v27, 0, v27, s[2:3]
	v_add_u32_e32 v27, v27, v6
	v_cmp_gt_u64_e64 s[4:5], s[24:25], v[4:5]
	v_cndmask_b32_e64 v27, 0, v27, s[4:5]
	v_add_u32_e32 v27, v27, v4
	v_cmp_gt_u64_e64 s[6:7], s[24:25], v[2:3]
	v_cndmask_b32_e64 v27, 0, v27, s[6:7]
	v_add_u32_e32 v27, v27, v2
	v_cmp_gt_u64_e64 s[8:9], s[24:25], v[16:17]
	v_cndmask_b32_e64 v27, 0, v27, s[8:9]
	v_add_u32_e32 v27, v27, v16
	v_cmp_gt_u64_e64 s[10:11], s[24:25], v[14:15]
	v_cndmask_b32_e64 v27, 0, v27, s[10:11]
	v_add_u32_e32 v27, v27, v14
	v_cmp_gt_u64_e64 s[12:13], s[24:25], v[12:13]
	v_cndmask_b32_e64 v27, 0, v27, s[12:13]
	v_add_u32_e32 v27, v27, v12
	v_cmp_gt_u64_e64 s[14:15], s[24:25], v[10:11]
	v_cndmask_b32_e64 v27, 0, v27, s[14:15]
	v_add_u32_e32 v27, v27, v10
	v_cmp_gt_u64_e64 s[16:17], s[24:25], v[18:19]
	v_cndmask_b32_e64 v27, 0, v27, s[16:17]
	v_add_u32_e32 v27, v27, v18
	v_cmp_gt_u64_e64 s[18:19], s[24:25], v[20:21]
	v_cndmask_b32_e64 v27, 0, v27, s[18:19]
	v_add_u32_e32 v27, v27, v20
	v_cmp_gt_u64_e64 s[20:21], s[24:25], v[22:23]
	v_cndmask_b32_e64 v27, 0, v27, s[20:21]
	v_add_u32_e32 v27, v27, v22
	v_cmp_gt_u64_e64 s[22:23], s[24:25], v[24:25]
	v_cndmask_b32_e64 v27, 0, v27, s[22:23]
	v_mov_b32_e32 v26, 0
	v_add_u32_e32 v27, v27, v24
	v_cmp_gt_u64_e64 s[24:25], s[24:25], v[40:41]
	v_or3_b32 v7, v23, v15, v7
	v_cndmask_b32_e64 v27, 0, v27, s[24:25]
	v_or3_b32 v9, v25, v17, v9
	v_and_b32_e32 v35, 1, v7
	v_mov_b32_e32 v34, v26
	v_add_u32_e32 v33, v27, v40
	v_and_b32_e32 v27, 1, v41
	v_or3_b32 v3, v19, v11, v3
	v_and_b32_e32 v31, 1, v9
	v_mov_b32_e32 v30, v26
	v_cmp_ne_u64_e64 s[26:27], 0, v[34:35]
	v_cmp_eq_u32_e64 s[24:25], 1, v27
	v_or3_b32 v5, v21, v13, v5
	v_and_b32_e32 v27, 1, v3
	v_cndmask_b32_e64 v3, 0, 1, s[26:27]
	v_cmp_ne_u64_e64 s[26:27], 0, v[30:31]
	v_and_b32_e32 v29, 1, v5
	v_mov_b32_e32 v28, v26
	v_cndmask_b32_e64 v5, 0, 1, s[26:27]
	v_lshlrev_b16_e32 v3, 2, v3
	v_lshlrev_b16_e32 v5, 3, v5
	v_cmp_ne_u64_e64 s[26:27], 0, v[28:29]
	v_or_b32_e32 v3, v5, v3
	v_cndmask_b32_e64 v5, 0, 1, s[26:27]
	v_cmp_ne_u64_e64 s[26:27], 0, v[26:27]
	v_lshlrev_b16_e32 v5, 1, v5
	v_cndmask_b32_e64 v7, 0, 1, s[26:27]
	v_or_b32_e32 v5, v7, v5
	v_and_b32_e32 v5, 3, v5
	v_or_b32_e32 v3, v5, v3
	v_and_b32_e32 v3, 15, v3
	v_cmp_ne_u16_e64 s[26:27], 0, v3
	s_or_b64 s[24:25], s[24:25], s[26:27]
	v_cndmask_b32_e64 v5, v39, 1, s[24:25]
	v_and_b32_e32 v7, 0xff, v5
	v_mov_b32_dpp v11, v33 row_shr:1 row_mask:0xf bank_mask:0xf
	v_cmp_eq_u16_e64 s[24:25], 0, v7
	v_mov_b32_dpp v13, v7 row_shr:1 row_mask:0xf bank_mask:0xf
	v_and_b32_e32 v15, 1, v5
	v_mbcnt_hi_u32_b32 v3, -1, v52
	v_cndmask_b32_e64 v11, 0, v11, s[24:25]
	v_and_b32_e32 v13, 1, v13
	v_cmp_eq_u32_e64 s[24:25], 1, v15
	v_and_b32_e32 v9, 15, v3
	v_cndmask_b32_e64 v13, v13, 1, s[24:25]
	v_and_b32_e32 v15, 0xffff, v13
	v_cmp_eq_u32_e64 s[24:25], 0, v9
	v_cndmask_b32_e64 v5, v13, v5, s[24:25]
	v_cndmask_b32_e64 v7, v15, v7, s[24:25]
	v_and_b32_e32 v17, 1, v5
	v_cndmask_b32_e64 v11, v11, 0, s[24:25]
	v_mov_b32_dpp v15, v7 row_shr:2 row_mask:0xf bank_mask:0xf
	v_and_b32_e32 v15, 1, v15
	v_cmp_eq_u32_e64 s[24:25], 1, v17
	v_cndmask_b32_e64 v15, v15, 1, s[24:25]
	v_and_b32_e32 v17, 0xffff, v15
	v_cmp_lt_u32_e64 s[24:25], 1, v9
	v_add_u32_e32 v11, v11, v33
	v_cmp_eq_u16_sdwa s[26:27], v5, v26 src0_sel:BYTE_0 src1_sel:DWORD
	v_cndmask_b32_e64 v5, v5, v15, s[24:25]
	v_cndmask_b32_e64 v7, v7, v17, s[24:25]
	v_mov_b32_dpp v13, v11 row_shr:2 row_mask:0xf bank_mask:0xf
	s_and_b64 s[24:25], s[24:25], s[26:27]
	v_mov_b32_dpp v15, v7 row_shr:4 row_mask:0xf bank_mask:0xf
	v_and_b32_e32 v17, 1, v5
	v_cndmask_b32_e64 v13, 0, v13, s[24:25]
	v_and_b32_e32 v15, 1, v15
	v_cmp_eq_u32_e64 s[24:25], 1, v17
	v_cndmask_b32_e64 v15, v15, 1, s[24:25]
	v_and_b32_e32 v17, 0xffff, v15
	v_cmp_lt_u32_e64 s[24:25], 3, v9
	v_add_u32_e32 v11, v13, v11
	v_cmp_eq_u16_sdwa s[26:27], v5, v26 src0_sel:BYTE_0 src1_sel:DWORD
	v_cndmask_b32_e64 v5, v5, v15, s[24:25]
	v_cndmask_b32_e64 v7, v7, v17, s[24:25]
	v_mov_b32_dpp v13, v11 row_shr:4 row_mask:0xf bank_mask:0xf
	s_and_b64 s[24:25], s[24:25], s[26:27]
	v_mov_b32_dpp v15, v7 row_shr:8 row_mask:0xf bank_mask:0xf
	v_and_b32_e32 v17, 1, v5
	v_cndmask_b32_e64 v13, 0, v13, s[24:25]
	v_and_b32_e32 v15, 1, v15
	v_cmp_eq_u32_e64 s[24:25], 1, v17
	v_cndmask_b32_e64 v15, v15, 1, s[24:25]
	v_add_u32_e32 v11, v13, v11
	v_cmp_eq_u16_sdwa s[26:27], v5, v26 src0_sel:BYTE_0 src1_sel:DWORD
	v_and_b32_e32 v17, 0xffff, v15
	v_cmp_lt_u32_e64 s[24:25], 7, v9
	v_mov_b32_dpp v13, v11 row_shr:8 row_mask:0xf bank_mask:0xf
	v_cndmask_b32_e64 v5, v5, v15, s[24:25]
	v_cndmask_b32_e64 v7, v7, v17, s[24:25]
	s_and_b64 s[24:25], s[24:25], s[26:27]
	v_cndmask_b32_e64 v9, 0, v13, s[24:25]
	v_add_u32_e32 v9, v9, v11
	v_mov_b32_dpp v13, v7 row_bcast:15 row_mask:0xf bank_mask:0xf
	v_cmp_eq_u16_sdwa s[24:25], v5, v26 src0_sel:BYTE_0 src1_sel:DWORD
	v_mov_b32_dpp v11, v9 row_bcast:15 row_mask:0xf bank_mask:0xf
	v_and_b32_e32 v19, 1, v5
	v_cndmask_b32_e64 v11, 0, v11, s[24:25]
	v_and_b32_e32 v13, 1, v13
	v_cmp_eq_u32_e64 s[24:25], 1, v19
	v_and_b32_e32 v17, 16, v3
	v_cndmask_b32_e64 v13, v13, 1, s[24:25]
	v_and_b32_e32 v19, 0xffff, v13
	v_cmp_eq_u32_e64 s[24:25], 0, v17
	v_cndmask_b32_e64 v5, v13, v5, s[24:25]
	v_cndmask_b32_e64 v7, v19, v7, s[24:25]
	v_bfe_i32 v15, v3, 4, 1
	v_and_b32_e32 v13, 1, v5
	v_mov_b32_dpp v7, v7 row_bcast:31 row_mask:0xf bank_mask:0xf
	v_and_b32_e32 v11, v15, v11
	v_and_b32_e32 v7, 1, v7
	v_cmp_eq_u32_e64 s[24:25], 1, v13
	v_add_u32_e32 v9, v11, v9
	v_cmp_eq_u16_sdwa s[26:27], v5, v26 src0_sel:BYTE_0 src1_sel:DWORD
	v_cndmask_b32_e64 v7, v7, 1, s[24:25]
	v_cmp_lt_u32_e64 s[24:25], 31, v3
	v_mov_b32_dpp v11, v9 row_bcast:31 row_mask:0xf bank_mask:0xf
	v_cndmask_b32_e64 v5, v5, v7, s[24:25]
	s_and_b64 s[24:25], s[24:25], s[26:27]
	v_cndmask_b32_e64 v7, 0, v11, s[24:25]
	v_add_u32_e32 v7, v7, v9
	v_cmp_eq_u32_e64 s[24:25], v51, v0
	s_and_saveexec_b64 s[26:27], s[24:25]
	s_cbranch_execz .LBB1773_134
; %bb.133:
	v_lshlrev_b32_e32 v9, 3, v1
	ds_write_b32 v9, v7
	ds_write_b8 v9, v5 offset:4
.LBB1773_134:
	s_or_b64 exec, exec, s[26:27]
	v_cmp_gt_u32_e64 s[24:25], 4, v0
	s_waitcnt lgkmcnt(0)
	s_barrier
	s_and_saveexec_b64 s[26:27], s[24:25]
	s_cbranch_execz .LBB1773_138
; %bb.135:
	v_lshlrev_b32_e32 v9, 3, v0
	ds_read_b64 v[26:27], v9
	v_and_b32_e32 v11, 3, v3
	v_cmp_ne_u32_e64 s[24:25], 0, v11
	s_waitcnt lgkmcnt(0)
	v_mov_b32_dpp v13, v26 row_shr:1 row_mask:0xf bank_mask:0xf
	v_mov_b32_dpp v17, v27 row_shr:1 row_mask:0xf bank_mask:0xf
	v_mov_b32_e32 v15, v27
	s_and_saveexec_b64 s[28:29], s[24:25]
	s_cbranch_execz .LBB1773_137
; %bb.136:
	v_and_b32_e32 v15, 1, v27
	v_and_b32_e32 v17, 1, v17
	v_cmp_eq_u32_e64 s[24:25], 1, v15
	v_mov_b32_e32 v15, 0
	v_cndmask_b32_e64 v17, v17, 1, s[24:25]
	v_cmp_eq_u16_sdwa s[24:25], v27, v15 src0_sel:BYTE_0 src1_sel:DWORD
	v_cndmask_b32_e64 v13, 0, v13, s[24:25]
	v_add_u32_e32 v26, v13, v26
	v_and_b32_e32 v13, 0xffff, v17
	s_movk_i32 s24, 0xff00
	v_and_or_b32 v15, v27, s24, v13
	v_mov_b32_e32 v27, v17
.LBB1773_137:
	s_or_b64 exec, exec, s[28:29]
	v_mov_b32_dpp v15, v15 row_shr:2 row_mask:0xf bank_mask:0xf
	v_and_b32_e32 v17, 1, v27
	v_and_b32_e32 v15, 1, v15
	v_cmp_eq_u32_e64 s[24:25], 1, v17
	v_mov_b32_e32 v17, 0
	v_cndmask_b32_e64 v15, v15, 1, s[24:25]
	v_cmp_eq_u16_sdwa s[28:29], v27, v17 src0_sel:BYTE_0 src1_sel:DWORD
	v_cmp_lt_u32_e64 s[24:25], 1, v11
	v_mov_b32_dpp v13, v26 row_shr:2 row_mask:0xf bank_mask:0xf
	v_cndmask_b32_e64 v11, v27, v15, s[24:25]
	s_and_b64 s[24:25], s[24:25], s[28:29]
	v_cndmask_b32_e64 v13, 0, v13, s[24:25]
	v_add_u32_e32 v13, v13, v26
	ds_write_b32 v9, v13
	ds_write_b8 v9, v11 offset:4
.LBB1773_138:
	s_or_b64 exec, exec, s[26:27]
	v_cmp_lt_u32_e64 s[24:25], 63, v0
	s_waitcnt vmcnt(0)
	v_mov_b32_e32 v9, v32
	s_waitcnt lgkmcnt(0)
	s_barrier
	s_and_saveexec_b64 s[26:27], s[24:25]
	s_cbranch_execz .LBB1773_140
; %bb.139:
	v_lshl_add_u32 v1, v1, 3, -8
	ds_read_u8 v9, v1 offset:4
	ds_read_b32 v1, v1
	s_waitcnt lgkmcnt(1)
	v_cmp_eq_u16_e64 s[24:25], 0, v9
	v_cndmask_b32_e64 v9, 0, v32, s[24:25]
	s_waitcnt lgkmcnt(0)
	v_add_u32_e32 v9, v9, v1
.LBB1773_140:
	s_or_b64 exec, exec, s[26:27]
	v_mov_b32_e32 v28, 0
	v_cmp_eq_u16_sdwa s[24:25], v5, v28 src0_sel:BYTE_0 src1_sel:DWORD
	v_cndmask_b32_e64 v1, 0, v9, s[24:25]
	v_add_u32_e32 v1, v1, v7
	v_add_u32_e32 v5, -1, v3
	v_and_b32_e32 v7, 64, v3
	v_cmp_lt_i32_e64 s[24:25], v5, v7
	v_cndmask_b32_e64 v5, v5, v3, s[24:25]
	v_lshlrev_b32_e32 v5, 2, v5
	ds_bpermute_b32 v1, v5, v1
	v_cmp_eq_u32_e64 s[24:25], 0, v3
	v_and_b32_e32 v29, 0xff, v39
	v_cmp_eq_u64_e64 s[26:27], 0, v[28:29]
	s_waitcnt lgkmcnt(0)
	v_cndmask_b32_e64 v26, v1, v9, s[24:25]
	v_cmp_eq_u32_e64 s[24:25], 0, v0
	v_cndmask_b32_e64 v1, v26, v32, s[24:25]
	v_cndmask_b32_e64 v1, 0, v1, s[26:27]
	v_add_u32_e32 v27, v1, v38
	v_cndmask_b32_e32 v1, 0, v27, vcc
	v_add_u32_e32 v42, v1, v8
	v_cndmask_b32_e64 v1, 0, v42, s[2:3]
	v_add_u32_e32 v43, v1, v6
	v_cndmask_b32_e64 v1, 0, v43, s[4:5]
	;; [unrolled: 2-line block ×11, first 2 shown]
	s_and_saveexec_b64 s[2:3], s[24:25]
	s_cbranch_execz .LBB1773_142
; %bb.141:
	ds_read_u8 v3, v28 offset:28
	ds_read_b32 v2, v28 offset:24
	s_add_u32 s4, s44, 0x400
	s_addc_u32 s5, s45, 0
	v_mov_b32_e32 v5, v28
	s_waitcnt lgkmcnt(1)
	v_cmp_eq_u16_e32 vcc, 0, v3
	v_cndmask_b32_e32 v4, 0, v32, vcc
	s_waitcnt lgkmcnt(0)
	v_add_u32_e32 v2, v4, v2
	v_and_b32_e32 v3, 0xffff, v3
	v_mov_b32_e32 v4, 2
	v_pk_mov_b32 v[6:7], s[4:5], s[4:5] op_sel:[0,1]
	;;#ASMSTART
	global_store_dwordx4 v[6:7], v[2:5] off	
s_waitcnt vmcnt(0)
	;;#ASMEND
	v_mov_b32_e32 v26, v32
.LBB1773_142:
	s_or_b64 exec, exec, s[2:3]
	v_add_u32_e32 v49, v1, v24
.LBB1773_143:
	s_add_u32 s2, s42, s34
	s_addc_u32 s3, s43, s35
	s_add_u32 s4, s2, s36
	v_mul_u32_u24_e32 v1, 14, v0
	s_addc_u32 s5, s3, s37
	s_and_b64 vcc, exec, s[0:1]
	v_lshlrev_b32_e32 v2, 2, v1
	s_cbranch_vccz .LBB1773_171
; %bb.144:
	s_movk_i32 s0, 0xffcc
	v_mad_i32_i24 v3, v0, s0, v2
	s_barrier
	ds_write2_b64 v2, v[26:27], v[42:43] offset1:1
	ds_write2_b64 v2, v[30:31], v[44:45] offset0:2 offset1:3
	ds_write2_b64 v2, v[34:35], v[46:47] offset0:4 offset1:5
	ds_write_b64 v2, v[48:49] offset:48
	s_waitcnt lgkmcnt(0)
	s_barrier
	ds_read2st64_b32 v[16:17], v3 offset0:4 offset1:8
	ds_read2st64_b32 v[14:15], v3 offset0:12 offset1:16
	;; [unrolled: 1-line block ×6, first 2 shown]
	ds_read_b32 v3, v3 offset:13312
	v_mov_b32_e32 v7, s5
	v_add_co_u32_e32 v6, vcc, s4, v50
	s_add_i32 s33, s33, s46
	v_addc_co_u32_e32 v7, vcc, 0, v7, vcc
	v_mov_b32_e32 v1, 0
	v_cmp_gt_u32_e32 vcc, s33, v0
	s_and_saveexec_b64 s[0:1], vcc
	s_cbranch_execz .LBB1773_146
; %bb.145:
	v_mul_i32_i24_e32 v18, 0xffffffcc, v0
	v_add_u32_e32 v18, v2, v18
	ds_read_b32 v18, v18
	s_waitcnt lgkmcnt(0)
	flat_store_dword v[6:7], v18
.LBB1773_146:
	s_or_b64 exec, exec, s[0:1]
	v_or_b32_e32 v18, 0x100, v0
	v_cmp_gt_u32_e32 vcc, s33, v18
	s_and_saveexec_b64 s[0:1], vcc
	s_cbranch_execz .LBB1773_148
; %bb.147:
	s_waitcnt lgkmcnt(0)
	flat_store_dword v[6:7], v16 offset:1024
.LBB1773_148:
	s_or_b64 exec, exec, s[0:1]
	s_waitcnt lgkmcnt(0)
	v_or_b32_e32 v16, 0x200, v0
	v_cmp_gt_u32_e32 vcc, s33, v16
	s_and_saveexec_b64 s[0:1], vcc
	s_cbranch_execz .LBB1773_150
; %bb.149:
	flat_store_dword v[6:7], v17 offset:2048
.LBB1773_150:
	s_or_b64 exec, exec, s[0:1]
	v_or_b32_e32 v16, 0x300, v0
	v_cmp_gt_u32_e32 vcc, s33, v16
	s_and_saveexec_b64 s[0:1], vcc
	s_cbranch_execz .LBB1773_152
; %bb.151:
	flat_store_dword v[6:7], v14 offset:3072
.LBB1773_152:
	s_or_b64 exec, exec, s[0:1]
	v_or_b32_e32 v14, 0x400, v0
	v_cmp_gt_u32_e32 vcc, s33, v14
	s_and_saveexec_b64 s[0:1], vcc
	s_cbranch_execz .LBB1773_154
; %bb.153:
	v_add_co_u32_e32 v16, vcc, 0x1000, v6
	v_addc_co_u32_e32 v17, vcc, 0, v7, vcc
	flat_store_dword v[16:17], v15
.LBB1773_154:
	s_or_b64 exec, exec, s[0:1]
	v_or_b32_e32 v14, 0x500, v0
	v_cmp_gt_u32_e32 vcc, s33, v14
	s_and_saveexec_b64 s[0:1], vcc
	s_cbranch_execz .LBB1773_156
; %bb.155:
	v_add_co_u32_e32 v14, vcc, 0x1000, v6
	v_addc_co_u32_e32 v15, vcc, 0, v7, vcc
	flat_store_dword v[14:15], v12 offset:1024
.LBB1773_156:
	s_or_b64 exec, exec, s[0:1]
	v_or_b32_e32 v12, 0x600, v0
	v_cmp_gt_u32_e32 vcc, s33, v12
	s_and_saveexec_b64 s[0:1], vcc
	s_cbranch_execz .LBB1773_158
; %bb.157:
	v_add_co_u32_e32 v14, vcc, 0x1000, v6
	v_addc_co_u32_e32 v15, vcc, 0, v7, vcc
	flat_store_dword v[14:15], v13 offset:2048
.LBB1773_158:
	;; [unrolled: 10-line block ×3, first 2 shown]
	s_or_b64 exec, exec, s[0:1]
	v_or_b32_e32 v10, 0x800, v0
	v_cmp_gt_u32_e32 vcc, s33, v10
	s_and_saveexec_b64 s[0:1], vcc
	s_cbranch_execz .LBB1773_162
; %bb.161:
	v_add_co_u32_e32 v12, vcc, 0x2000, v6
	v_addc_co_u32_e32 v13, vcc, 0, v7, vcc
	flat_store_dword v[12:13], v11
.LBB1773_162:
	s_or_b64 exec, exec, s[0:1]
	v_or_b32_e32 v10, 0x900, v0
	v_cmp_gt_u32_e32 vcc, s33, v10
	s_and_saveexec_b64 s[0:1], vcc
	s_cbranch_execz .LBB1773_164
; %bb.163:
	v_add_co_u32_e32 v10, vcc, 0x2000, v6
	v_addc_co_u32_e32 v11, vcc, 0, v7, vcc
	flat_store_dword v[10:11], v8 offset:1024
.LBB1773_164:
	s_or_b64 exec, exec, s[0:1]
	v_or_b32_e32 v8, 0xa00, v0
	v_cmp_gt_u32_e32 vcc, s33, v8
	s_and_saveexec_b64 s[0:1], vcc
	s_cbranch_execz .LBB1773_166
; %bb.165:
	v_add_co_u32_e32 v10, vcc, 0x2000, v6
	v_addc_co_u32_e32 v11, vcc, 0, v7, vcc
	flat_store_dword v[10:11], v9 offset:2048
.LBB1773_166:
	;; [unrolled: 10-line block ×3, first 2 shown]
	s_or_b64 exec, exec, s[0:1]
	v_or_b32_e32 v4, 0xc00, v0
	v_cmp_gt_u32_e32 vcc, s33, v4
	s_and_saveexec_b64 s[0:1], vcc
	s_cbranch_execz .LBB1773_170
; %bb.169:
	v_add_co_u32_e32 v6, vcc, 0x3000, v6
	v_addc_co_u32_e32 v7, vcc, 0, v7, vcc
	flat_store_dword v[6:7], v5
.LBB1773_170:
	s_or_b64 exec, exec, s[0:1]
	v_or_b32_e32 v4, 0xd00, v0
	v_cmp_gt_u32_e64 s[0:1], s33, v4
	s_branch .LBB1773_173
.LBB1773_171:
	s_mov_b64 s[0:1], 0
                                        ; implicit-def: $vgpr3
	s_cbranch_execz .LBB1773_173
; %bb.172:
	s_movk_i32 s2, 0xffcc
	s_waitcnt lgkmcnt(0)
	s_barrier
	ds_write2_b64 v2, v[26:27], v[42:43] offset1:1
	ds_write2_b64 v2, v[30:31], v[44:45] offset0:2 offset1:3
	ds_write2_b64 v2, v[34:35], v[46:47] offset0:4 offset1:5
	ds_write_b64 v2, v[48:49] offset:48
	v_mad_i32_i24 v2, v0, s2, v2
	v_mov_b32_e32 v17, s5
	v_add_co_u32_e32 v16, vcc, s4, v50
	s_waitcnt lgkmcnt(0)
	s_barrier
	ds_read2st64_b32 v[4:5], v2 offset1:4
	ds_read2st64_b32 v[6:7], v2 offset0:8 offset1:12
	ds_read2st64_b32 v[8:9], v2 offset0:16 offset1:20
	;; [unrolled: 1-line block ×6, first 2 shown]
	v_addc_co_u32_e32 v17, vcc, 0, v17, vcc
	s_movk_i32 s2, 0x1000
	s_waitcnt lgkmcnt(0)
	flat_store_dword v[16:17], v4
	flat_store_dword v[16:17], v5 offset:1024
	flat_store_dword v[16:17], v6 offset:2048
	;; [unrolled: 1-line block ×3, first 2 shown]
	v_add_co_u32_e32 v4, vcc, s2, v16
	v_addc_co_u32_e32 v5, vcc, 0, v17, vcc
	flat_store_dword v[4:5], v8
	flat_store_dword v[4:5], v9 offset:1024
	flat_store_dword v[4:5], v10 offset:2048
	;; [unrolled: 1-line block ×3, first 2 shown]
	v_add_co_u32_e32 v4, vcc, 0x2000, v16
	v_addc_co_u32_e32 v5, vcc, 0, v17, vcc
	flat_store_dword v[4:5], v12
	flat_store_dword v[4:5], v13 offset:1024
	flat_store_dword v[4:5], v14 offset:2048
	;; [unrolled: 1-line block ×3, first 2 shown]
	v_add_co_u32_e32 v4, vcc, 0x3000, v16
	v_mov_b32_e32 v1, 0
	v_addc_co_u32_e32 v5, vcc, 0, v17, vcc
	s_or_b64 s[0:1], s[0:1], exec
	flat_store_dword v[4:5], v2
.LBB1773_173:
	s_and_saveexec_b64 s[2:3], s[0:1]
	s_cbranch_execz .LBB1773_175
; %bb.174:
	v_lshlrev_b64 v[0:1], 2, v[0:1]
	v_mov_b32_e32 v2, s5
	v_add_co_u32_e32 v0, vcc, s4, v0
	v_addc_co_u32_e32 v1, vcc, v2, v1, vcc
	v_add_co_u32_e32 v0, vcc, 0x3000, v0
	v_addc_co_u32_e32 v1, vcc, 0, v1, vcc
	flat_store_dword v[0:1], v3 offset:1024
	s_endpgm
.LBB1773_175:
	s_endpgm
	.section	.rodata,"a",@progbits
	.p2align	6, 0x0
	.amdhsa_kernel _ZN7rocprim17ROCPRIM_400000_NS6detail17trampoline_kernelINS0_14default_configENS1_27scan_by_key_config_selectorIiiEEZZNS1_16scan_by_key_implILNS1_25lookback_scan_determinismE0ELb1ES3_N6thrust23THRUST_200600_302600_NS6detail15normal_iteratorINS9_10device_ptrIiEEEENSB_INSC_IjEEEESE_iNS9_4plusIvEENS9_8equal_toIvEEiEE10hipError_tPvRmT2_T3_T4_T5_mT6_T7_P12ihipStream_tbENKUlT_T0_E_clISt17integral_constantIbLb1EES10_IbLb0EEEEDaSW_SX_EUlSW_E_NS1_11comp_targetILNS1_3genE4ELNS1_11target_archE910ELNS1_3gpuE8ELNS1_3repE0EEENS1_30default_config_static_selectorELNS0_4arch9wavefront6targetE1EEEvT1_
		.amdhsa_group_segment_fixed_size 16384
		.amdhsa_private_segment_fixed_size 0
		.amdhsa_kernarg_size 112
		.amdhsa_user_sgpr_count 6
		.amdhsa_user_sgpr_private_segment_buffer 1
		.amdhsa_user_sgpr_dispatch_ptr 0
		.amdhsa_user_sgpr_queue_ptr 0
		.amdhsa_user_sgpr_kernarg_segment_ptr 1
		.amdhsa_user_sgpr_dispatch_id 0
		.amdhsa_user_sgpr_flat_scratch_init 0
		.amdhsa_user_sgpr_kernarg_preload_length 0
		.amdhsa_user_sgpr_kernarg_preload_offset 0
		.amdhsa_user_sgpr_private_segment_size 0
		.amdhsa_uses_dynamic_stack 0
		.amdhsa_system_sgpr_private_segment_wavefront_offset 0
		.amdhsa_system_sgpr_workgroup_id_x 1
		.amdhsa_system_sgpr_workgroup_id_y 0
		.amdhsa_system_sgpr_workgroup_id_z 0
		.amdhsa_system_sgpr_workgroup_info 0
		.amdhsa_system_vgpr_workitem_id 0
		.amdhsa_next_free_vgpr 65
		.amdhsa_next_free_sgpr 60
		.amdhsa_accum_offset 68
		.amdhsa_reserve_vcc 1
		.amdhsa_reserve_flat_scratch 0
		.amdhsa_float_round_mode_32 0
		.amdhsa_float_round_mode_16_64 0
		.amdhsa_float_denorm_mode_32 3
		.amdhsa_float_denorm_mode_16_64 3
		.amdhsa_dx10_clamp 1
		.amdhsa_ieee_mode 1
		.amdhsa_fp16_overflow 0
		.amdhsa_tg_split 0
		.amdhsa_exception_fp_ieee_invalid_op 0
		.amdhsa_exception_fp_denorm_src 0
		.amdhsa_exception_fp_ieee_div_zero 0
		.amdhsa_exception_fp_ieee_overflow 0
		.amdhsa_exception_fp_ieee_underflow 0
		.amdhsa_exception_fp_ieee_inexact 0
		.amdhsa_exception_int_div_zero 0
	.end_amdhsa_kernel
	.section	.text._ZN7rocprim17ROCPRIM_400000_NS6detail17trampoline_kernelINS0_14default_configENS1_27scan_by_key_config_selectorIiiEEZZNS1_16scan_by_key_implILNS1_25lookback_scan_determinismE0ELb1ES3_N6thrust23THRUST_200600_302600_NS6detail15normal_iteratorINS9_10device_ptrIiEEEENSB_INSC_IjEEEESE_iNS9_4plusIvEENS9_8equal_toIvEEiEE10hipError_tPvRmT2_T3_T4_T5_mT6_T7_P12ihipStream_tbENKUlT_T0_E_clISt17integral_constantIbLb1EES10_IbLb0EEEEDaSW_SX_EUlSW_E_NS1_11comp_targetILNS1_3genE4ELNS1_11target_archE910ELNS1_3gpuE8ELNS1_3repE0EEENS1_30default_config_static_selectorELNS0_4arch9wavefront6targetE1EEEvT1_,"axG",@progbits,_ZN7rocprim17ROCPRIM_400000_NS6detail17trampoline_kernelINS0_14default_configENS1_27scan_by_key_config_selectorIiiEEZZNS1_16scan_by_key_implILNS1_25lookback_scan_determinismE0ELb1ES3_N6thrust23THRUST_200600_302600_NS6detail15normal_iteratorINS9_10device_ptrIiEEEENSB_INSC_IjEEEESE_iNS9_4plusIvEENS9_8equal_toIvEEiEE10hipError_tPvRmT2_T3_T4_T5_mT6_T7_P12ihipStream_tbENKUlT_T0_E_clISt17integral_constantIbLb1EES10_IbLb0EEEEDaSW_SX_EUlSW_E_NS1_11comp_targetILNS1_3genE4ELNS1_11target_archE910ELNS1_3gpuE8ELNS1_3repE0EEENS1_30default_config_static_selectorELNS0_4arch9wavefront6targetE1EEEvT1_,comdat
.Lfunc_end1773:
	.size	_ZN7rocprim17ROCPRIM_400000_NS6detail17trampoline_kernelINS0_14default_configENS1_27scan_by_key_config_selectorIiiEEZZNS1_16scan_by_key_implILNS1_25lookback_scan_determinismE0ELb1ES3_N6thrust23THRUST_200600_302600_NS6detail15normal_iteratorINS9_10device_ptrIiEEEENSB_INSC_IjEEEESE_iNS9_4plusIvEENS9_8equal_toIvEEiEE10hipError_tPvRmT2_T3_T4_T5_mT6_T7_P12ihipStream_tbENKUlT_T0_E_clISt17integral_constantIbLb1EES10_IbLb0EEEEDaSW_SX_EUlSW_E_NS1_11comp_targetILNS1_3genE4ELNS1_11target_archE910ELNS1_3gpuE8ELNS1_3repE0EEENS1_30default_config_static_selectorELNS0_4arch9wavefront6targetE1EEEvT1_, .Lfunc_end1773-_ZN7rocprim17ROCPRIM_400000_NS6detail17trampoline_kernelINS0_14default_configENS1_27scan_by_key_config_selectorIiiEEZZNS1_16scan_by_key_implILNS1_25lookback_scan_determinismE0ELb1ES3_N6thrust23THRUST_200600_302600_NS6detail15normal_iteratorINS9_10device_ptrIiEEEENSB_INSC_IjEEEESE_iNS9_4plusIvEENS9_8equal_toIvEEiEE10hipError_tPvRmT2_T3_T4_T5_mT6_T7_P12ihipStream_tbENKUlT_T0_E_clISt17integral_constantIbLb1EES10_IbLb0EEEEDaSW_SX_EUlSW_E_NS1_11comp_targetILNS1_3genE4ELNS1_11target_archE910ELNS1_3gpuE8ELNS1_3repE0EEENS1_30default_config_static_selectorELNS0_4arch9wavefront6targetE1EEEvT1_
                                        ; -- End function
	.section	.AMDGPU.csdata,"",@progbits
; Kernel info:
; codeLenInByte = 11304
; NumSgprs: 64
; NumVgprs: 65
; NumAgprs: 0
; TotalNumVgprs: 65
; ScratchSize: 0
; MemoryBound: 0
; FloatMode: 240
; IeeeMode: 1
; LDSByteSize: 16384 bytes/workgroup (compile time only)
; SGPRBlocks: 7
; VGPRBlocks: 8
; NumSGPRsForWavesPerEU: 64
; NumVGPRsForWavesPerEU: 65
; AccumOffset: 68
; Occupancy: 4
; WaveLimiterHint : 1
; COMPUTE_PGM_RSRC2:SCRATCH_EN: 0
; COMPUTE_PGM_RSRC2:USER_SGPR: 6
; COMPUTE_PGM_RSRC2:TRAP_HANDLER: 0
; COMPUTE_PGM_RSRC2:TGID_X_EN: 1
; COMPUTE_PGM_RSRC2:TGID_Y_EN: 0
; COMPUTE_PGM_RSRC2:TGID_Z_EN: 0
; COMPUTE_PGM_RSRC2:TIDIG_COMP_CNT: 0
; COMPUTE_PGM_RSRC3_GFX90A:ACCUM_OFFSET: 16
; COMPUTE_PGM_RSRC3_GFX90A:TG_SPLIT: 0
	.section	.text._ZN7rocprim17ROCPRIM_400000_NS6detail17trampoline_kernelINS0_14default_configENS1_27scan_by_key_config_selectorIiiEEZZNS1_16scan_by_key_implILNS1_25lookback_scan_determinismE0ELb1ES3_N6thrust23THRUST_200600_302600_NS6detail15normal_iteratorINS9_10device_ptrIiEEEENSB_INSC_IjEEEESE_iNS9_4plusIvEENS9_8equal_toIvEEiEE10hipError_tPvRmT2_T3_T4_T5_mT6_T7_P12ihipStream_tbENKUlT_T0_E_clISt17integral_constantIbLb1EES10_IbLb0EEEEDaSW_SX_EUlSW_E_NS1_11comp_targetILNS1_3genE3ELNS1_11target_archE908ELNS1_3gpuE7ELNS1_3repE0EEENS1_30default_config_static_selectorELNS0_4arch9wavefront6targetE1EEEvT1_,"axG",@progbits,_ZN7rocprim17ROCPRIM_400000_NS6detail17trampoline_kernelINS0_14default_configENS1_27scan_by_key_config_selectorIiiEEZZNS1_16scan_by_key_implILNS1_25lookback_scan_determinismE0ELb1ES3_N6thrust23THRUST_200600_302600_NS6detail15normal_iteratorINS9_10device_ptrIiEEEENSB_INSC_IjEEEESE_iNS9_4plusIvEENS9_8equal_toIvEEiEE10hipError_tPvRmT2_T3_T4_T5_mT6_T7_P12ihipStream_tbENKUlT_T0_E_clISt17integral_constantIbLb1EES10_IbLb0EEEEDaSW_SX_EUlSW_E_NS1_11comp_targetILNS1_3genE3ELNS1_11target_archE908ELNS1_3gpuE7ELNS1_3repE0EEENS1_30default_config_static_selectorELNS0_4arch9wavefront6targetE1EEEvT1_,comdat
	.protected	_ZN7rocprim17ROCPRIM_400000_NS6detail17trampoline_kernelINS0_14default_configENS1_27scan_by_key_config_selectorIiiEEZZNS1_16scan_by_key_implILNS1_25lookback_scan_determinismE0ELb1ES3_N6thrust23THRUST_200600_302600_NS6detail15normal_iteratorINS9_10device_ptrIiEEEENSB_INSC_IjEEEESE_iNS9_4plusIvEENS9_8equal_toIvEEiEE10hipError_tPvRmT2_T3_T4_T5_mT6_T7_P12ihipStream_tbENKUlT_T0_E_clISt17integral_constantIbLb1EES10_IbLb0EEEEDaSW_SX_EUlSW_E_NS1_11comp_targetILNS1_3genE3ELNS1_11target_archE908ELNS1_3gpuE7ELNS1_3repE0EEENS1_30default_config_static_selectorELNS0_4arch9wavefront6targetE1EEEvT1_ ; -- Begin function _ZN7rocprim17ROCPRIM_400000_NS6detail17trampoline_kernelINS0_14default_configENS1_27scan_by_key_config_selectorIiiEEZZNS1_16scan_by_key_implILNS1_25lookback_scan_determinismE0ELb1ES3_N6thrust23THRUST_200600_302600_NS6detail15normal_iteratorINS9_10device_ptrIiEEEENSB_INSC_IjEEEESE_iNS9_4plusIvEENS9_8equal_toIvEEiEE10hipError_tPvRmT2_T3_T4_T5_mT6_T7_P12ihipStream_tbENKUlT_T0_E_clISt17integral_constantIbLb1EES10_IbLb0EEEEDaSW_SX_EUlSW_E_NS1_11comp_targetILNS1_3genE3ELNS1_11target_archE908ELNS1_3gpuE7ELNS1_3repE0EEENS1_30default_config_static_selectorELNS0_4arch9wavefront6targetE1EEEvT1_
	.globl	_ZN7rocprim17ROCPRIM_400000_NS6detail17trampoline_kernelINS0_14default_configENS1_27scan_by_key_config_selectorIiiEEZZNS1_16scan_by_key_implILNS1_25lookback_scan_determinismE0ELb1ES3_N6thrust23THRUST_200600_302600_NS6detail15normal_iteratorINS9_10device_ptrIiEEEENSB_INSC_IjEEEESE_iNS9_4plusIvEENS9_8equal_toIvEEiEE10hipError_tPvRmT2_T3_T4_T5_mT6_T7_P12ihipStream_tbENKUlT_T0_E_clISt17integral_constantIbLb1EES10_IbLb0EEEEDaSW_SX_EUlSW_E_NS1_11comp_targetILNS1_3genE3ELNS1_11target_archE908ELNS1_3gpuE7ELNS1_3repE0EEENS1_30default_config_static_selectorELNS0_4arch9wavefront6targetE1EEEvT1_
	.p2align	8
	.type	_ZN7rocprim17ROCPRIM_400000_NS6detail17trampoline_kernelINS0_14default_configENS1_27scan_by_key_config_selectorIiiEEZZNS1_16scan_by_key_implILNS1_25lookback_scan_determinismE0ELb1ES3_N6thrust23THRUST_200600_302600_NS6detail15normal_iteratorINS9_10device_ptrIiEEEENSB_INSC_IjEEEESE_iNS9_4plusIvEENS9_8equal_toIvEEiEE10hipError_tPvRmT2_T3_T4_T5_mT6_T7_P12ihipStream_tbENKUlT_T0_E_clISt17integral_constantIbLb1EES10_IbLb0EEEEDaSW_SX_EUlSW_E_NS1_11comp_targetILNS1_3genE3ELNS1_11target_archE908ELNS1_3gpuE7ELNS1_3repE0EEENS1_30default_config_static_selectorELNS0_4arch9wavefront6targetE1EEEvT1_,@function
_ZN7rocprim17ROCPRIM_400000_NS6detail17trampoline_kernelINS0_14default_configENS1_27scan_by_key_config_selectorIiiEEZZNS1_16scan_by_key_implILNS1_25lookback_scan_determinismE0ELb1ES3_N6thrust23THRUST_200600_302600_NS6detail15normal_iteratorINS9_10device_ptrIiEEEENSB_INSC_IjEEEESE_iNS9_4plusIvEENS9_8equal_toIvEEiEE10hipError_tPvRmT2_T3_T4_T5_mT6_T7_P12ihipStream_tbENKUlT_T0_E_clISt17integral_constantIbLb1EES10_IbLb0EEEEDaSW_SX_EUlSW_E_NS1_11comp_targetILNS1_3genE3ELNS1_11target_archE908ELNS1_3gpuE7ELNS1_3repE0EEENS1_30default_config_static_selectorELNS0_4arch9wavefront6targetE1EEEvT1_: ; @_ZN7rocprim17ROCPRIM_400000_NS6detail17trampoline_kernelINS0_14default_configENS1_27scan_by_key_config_selectorIiiEEZZNS1_16scan_by_key_implILNS1_25lookback_scan_determinismE0ELb1ES3_N6thrust23THRUST_200600_302600_NS6detail15normal_iteratorINS9_10device_ptrIiEEEENSB_INSC_IjEEEESE_iNS9_4plusIvEENS9_8equal_toIvEEiEE10hipError_tPvRmT2_T3_T4_T5_mT6_T7_P12ihipStream_tbENKUlT_T0_E_clISt17integral_constantIbLb1EES10_IbLb0EEEEDaSW_SX_EUlSW_E_NS1_11comp_targetILNS1_3genE3ELNS1_11target_archE908ELNS1_3gpuE7ELNS1_3repE0EEENS1_30default_config_static_selectorELNS0_4arch9wavefront6targetE1EEEvT1_
; %bb.0:
	.section	.rodata,"a",@progbits
	.p2align	6, 0x0
	.amdhsa_kernel _ZN7rocprim17ROCPRIM_400000_NS6detail17trampoline_kernelINS0_14default_configENS1_27scan_by_key_config_selectorIiiEEZZNS1_16scan_by_key_implILNS1_25lookback_scan_determinismE0ELb1ES3_N6thrust23THRUST_200600_302600_NS6detail15normal_iteratorINS9_10device_ptrIiEEEENSB_INSC_IjEEEESE_iNS9_4plusIvEENS9_8equal_toIvEEiEE10hipError_tPvRmT2_T3_T4_T5_mT6_T7_P12ihipStream_tbENKUlT_T0_E_clISt17integral_constantIbLb1EES10_IbLb0EEEEDaSW_SX_EUlSW_E_NS1_11comp_targetILNS1_3genE3ELNS1_11target_archE908ELNS1_3gpuE7ELNS1_3repE0EEENS1_30default_config_static_selectorELNS0_4arch9wavefront6targetE1EEEvT1_
		.amdhsa_group_segment_fixed_size 0
		.amdhsa_private_segment_fixed_size 0
		.amdhsa_kernarg_size 112
		.amdhsa_user_sgpr_count 6
		.amdhsa_user_sgpr_private_segment_buffer 1
		.amdhsa_user_sgpr_dispatch_ptr 0
		.amdhsa_user_sgpr_queue_ptr 0
		.amdhsa_user_sgpr_kernarg_segment_ptr 1
		.amdhsa_user_sgpr_dispatch_id 0
		.amdhsa_user_sgpr_flat_scratch_init 0
		.amdhsa_user_sgpr_kernarg_preload_length 0
		.amdhsa_user_sgpr_kernarg_preload_offset 0
		.amdhsa_user_sgpr_private_segment_size 0
		.amdhsa_uses_dynamic_stack 0
		.amdhsa_system_sgpr_private_segment_wavefront_offset 0
		.amdhsa_system_sgpr_workgroup_id_x 1
		.amdhsa_system_sgpr_workgroup_id_y 0
		.amdhsa_system_sgpr_workgroup_id_z 0
		.amdhsa_system_sgpr_workgroup_info 0
		.amdhsa_system_vgpr_workitem_id 0
		.amdhsa_next_free_vgpr 1
		.amdhsa_next_free_sgpr 0
		.amdhsa_accum_offset 4
		.amdhsa_reserve_vcc 0
		.amdhsa_reserve_flat_scratch 0
		.amdhsa_float_round_mode_32 0
		.amdhsa_float_round_mode_16_64 0
		.amdhsa_float_denorm_mode_32 3
		.amdhsa_float_denorm_mode_16_64 3
		.amdhsa_dx10_clamp 1
		.amdhsa_ieee_mode 1
		.amdhsa_fp16_overflow 0
		.amdhsa_tg_split 0
		.amdhsa_exception_fp_ieee_invalid_op 0
		.amdhsa_exception_fp_denorm_src 0
		.amdhsa_exception_fp_ieee_div_zero 0
		.amdhsa_exception_fp_ieee_overflow 0
		.amdhsa_exception_fp_ieee_underflow 0
		.amdhsa_exception_fp_ieee_inexact 0
		.amdhsa_exception_int_div_zero 0
	.end_amdhsa_kernel
	.section	.text._ZN7rocprim17ROCPRIM_400000_NS6detail17trampoline_kernelINS0_14default_configENS1_27scan_by_key_config_selectorIiiEEZZNS1_16scan_by_key_implILNS1_25lookback_scan_determinismE0ELb1ES3_N6thrust23THRUST_200600_302600_NS6detail15normal_iteratorINS9_10device_ptrIiEEEENSB_INSC_IjEEEESE_iNS9_4plusIvEENS9_8equal_toIvEEiEE10hipError_tPvRmT2_T3_T4_T5_mT6_T7_P12ihipStream_tbENKUlT_T0_E_clISt17integral_constantIbLb1EES10_IbLb0EEEEDaSW_SX_EUlSW_E_NS1_11comp_targetILNS1_3genE3ELNS1_11target_archE908ELNS1_3gpuE7ELNS1_3repE0EEENS1_30default_config_static_selectorELNS0_4arch9wavefront6targetE1EEEvT1_,"axG",@progbits,_ZN7rocprim17ROCPRIM_400000_NS6detail17trampoline_kernelINS0_14default_configENS1_27scan_by_key_config_selectorIiiEEZZNS1_16scan_by_key_implILNS1_25lookback_scan_determinismE0ELb1ES3_N6thrust23THRUST_200600_302600_NS6detail15normal_iteratorINS9_10device_ptrIiEEEENSB_INSC_IjEEEESE_iNS9_4plusIvEENS9_8equal_toIvEEiEE10hipError_tPvRmT2_T3_T4_T5_mT6_T7_P12ihipStream_tbENKUlT_T0_E_clISt17integral_constantIbLb1EES10_IbLb0EEEEDaSW_SX_EUlSW_E_NS1_11comp_targetILNS1_3genE3ELNS1_11target_archE908ELNS1_3gpuE7ELNS1_3repE0EEENS1_30default_config_static_selectorELNS0_4arch9wavefront6targetE1EEEvT1_,comdat
.Lfunc_end1774:
	.size	_ZN7rocprim17ROCPRIM_400000_NS6detail17trampoline_kernelINS0_14default_configENS1_27scan_by_key_config_selectorIiiEEZZNS1_16scan_by_key_implILNS1_25lookback_scan_determinismE0ELb1ES3_N6thrust23THRUST_200600_302600_NS6detail15normal_iteratorINS9_10device_ptrIiEEEENSB_INSC_IjEEEESE_iNS9_4plusIvEENS9_8equal_toIvEEiEE10hipError_tPvRmT2_T3_T4_T5_mT6_T7_P12ihipStream_tbENKUlT_T0_E_clISt17integral_constantIbLb1EES10_IbLb0EEEEDaSW_SX_EUlSW_E_NS1_11comp_targetILNS1_3genE3ELNS1_11target_archE908ELNS1_3gpuE7ELNS1_3repE0EEENS1_30default_config_static_selectorELNS0_4arch9wavefront6targetE1EEEvT1_, .Lfunc_end1774-_ZN7rocprim17ROCPRIM_400000_NS6detail17trampoline_kernelINS0_14default_configENS1_27scan_by_key_config_selectorIiiEEZZNS1_16scan_by_key_implILNS1_25lookback_scan_determinismE0ELb1ES3_N6thrust23THRUST_200600_302600_NS6detail15normal_iteratorINS9_10device_ptrIiEEEENSB_INSC_IjEEEESE_iNS9_4plusIvEENS9_8equal_toIvEEiEE10hipError_tPvRmT2_T3_T4_T5_mT6_T7_P12ihipStream_tbENKUlT_T0_E_clISt17integral_constantIbLb1EES10_IbLb0EEEEDaSW_SX_EUlSW_E_NS1_11comp_targetILNS1_3genE3ELNS1_11target_archE908ELNS1_3gpuE7ELNS1_3repE0EEENS1_30default_config_static_selectorELNS0_4arch9wavefront6targetE1EEEvT1_
                                        ; -- End function
	.section	.AMDGPU.csdata,"",@progbits
; Kernel info:
; codeLenInByte = 0
; NumSgprs: 4
; NumVgprs: 0
; NumAgprs: 0
; TotalNumVgprs: 0
; ScratchSize: 0
; MemoryBound: 0
; FloatMode: 240
; IeeeMode: 1
; LDSByteSize: 0 bytes/workgroup (compile time only)
; SGPRBlocks: 0
; VGPRBlocks: 0
; NumSGPRsForWavesPerEU: 4
; NumVGPRsForWavesPerEU: 1
; AccumOffset: 4
; Occupancy: 8
; WaveLimiterHint : 0
; COMPUTE_PGM_RSRC2:SCRATCH_EN: 0
; COMPUTE_PGM_RSRC2:USER_SGPR: 6
; COMPUTE_PGM_RSRC2:TRAP_HANDLER: 0
; COMPUTE_PGM_RSRC2:TGID_X_EN: 1
; COMPUTE_PGM_RSRC2:TGID_Y_EN: 0
; COMPUTE_PGM_RSRC2:TGID_Z_EN: 0
; COMPUTE_PGM_RSRC2:TIDIG_COMP_CNT: 0
; COMPUTE_PGM_RSRC3_GFX90A:ACCUM_OFFSET: 0
; COMPUTE_PGM_RSRC3_GFX90A:TG_SPLIT: 0
	.section	.text._ZN7rocprim17ROCPRIM_400000_NS6detail17trampoline_kernelINS0_14default_configENS1_27scan_by_key_config_selectorIiiEEZZNS1_16scan_by_key_implILNS1_25lookback_scan_determinismE0ELb1ES3_N6thrust23THRUST_200600_302600_NS6detail15normal_iteratorINS9_10device_ptrIiEEEENSB_INSC_IjEEEESE_iNS9_4plusIvEENS9_8equal_toIvEEiEE10hipError_tPvRmT2_T3_T4_T5_mT6_T7_P12ihipStream_tbENKUlT_T0_E_clISt17integral_constantIbLb1EES10_IbLb0EEEEDaSW_SX_EUlSW_E_NS1_11comp_targetILNS1_3genE2ELNS1_11target_archE906ELNS1_3gpuE6ELNS1_3repE0EEENS1_30default_config_static_selectorELNS0_4arch9wavefront6targetE1EEEvT1_,"axG",@progbits,_ZN7rocprim17ROCPRIM_400000_NS6detail17trampoline_kernelINS0_14default_configENS1_27scan_by_key_config_selectorIiiEEZZNS1_16scan_by_key_implILNS1_25lookback_scan_determinismE0ELb1ES3_N6thrust23THRUST_200600_302600_NS6detail15normal_iteratorINS9_10device_ptrIiEEEENSB_INSC_IjEEEESE_iNS9_4plusIvEENS9_8equal_toIvEEiEE10hipError_tPvRmT2_T3_T4_T5_mT6_T7_P12ihipStream_tbENKUlT_T0_E_clISt17integral_constantIbLb1EES10_IbLb0EEEEDaSW_SX_EUlSW_E_NS1_11comp_targetILNS1_3genE2ELNS1_11target_archE906ELNS1_3gpuE6ELNS1_3repE0EEENS1_30default_config_static_selectorELNS0_4arch9wavefront6targetE1EEEvT1_,comdat
	.protected	_ZN7rocprim17ROCPRIM_400000_NS6detail17trampoline_kernelINS0_14default_configENS1_27scan_by_key_config_selectorIiiEEZZNS1_16scan_by_key_implILNS1_25lookback_scan_determinismE0ELb1ES3_N6thrust23THRUST_200600_302600_NS6detail15normal_iteratorINS9_10device_ptrIiEEEENSB_INSC_IjEEEESE_iNS9_4plusIvEENS9_8equal_toIvEEiEE10hipError_tPvRmT2_T3_T4_T5_mT6_T7_P12ihipStream_tbENKUlT_T0_E_clISt17integral_constantIbLb1EES10_IbLb0EEEEDaSW_SX_EUlSW_E_NS1_11comp_targetILNS1_3genE2ELNS1_11target_archE906ELNS1_3gpuE6ELNS1_3repE0EEENS1_30default_config_static_selectorELNS0_4arch9wavefront6targetE1EEEvT1_ ; -- Begin function _ZN7rocprim17ROCPRIM_400000_NS6detail17trampoline_kernelINS0_14default_configENS1_27scan_by_key_config_selectorIiiEEZZNS1_16scan_by_key_implILNS1_25lookback_scan_determinismE0ELb1ES3_N6thrust23THRUST_200600_302600_NS6detail15normal_iteratorINS9_10device_ptrIiEEEENSB_INSC_IjEEEESE_iNS9_4plusIvEENS9_8equal_toIvEEiEE10hipError_tPvRmT2_T3_T4_T5_mT6_T7_P12ihipStream_tbENKUlT_T0_E_clISt17integral_constantIbLb1EES10_IbLb0EEEEDaSW_SX_EUlSW_E_NS1_11comp_targetILNS1_3genE2ELNS1_11target_archE906ELNS1_3gpuE6ELNS1_3repE0EEENS1_30default_config_static_selectorELNS0_4arch9wavefront6targetE1EEEvT1_
	.globl	_ZN7rocprim17ROCPRIM_400000_NS6detail17trampoline_kernelINS0_14default_configENS1_27scan_by_key_config_selectorIiiEEZZNS1_16scan_by_key_implILNS1_25lookback_scan_determinismE0ELb1ES3_N6thrust23THRUST_200600_302600_NS6detail15normal_iteratorINS9_10device_ptrIiEEEENSB_INSC_IjEEEESE_iNS9_4plusIvEENS9_8equal_toIvEEiEE10hipError_tPvRmT2_T3_T4_T5_mT6_T7_P12ihipStream_tbENKUlT_T0_E_clISt17integral_constantIbLb1EES10_IbLb0EEEEDaSW_SX_EUlSW_E_NS1_11comp_targetILNS1_3genE2ELNS1_11target_archE906ELNS1_3gpuE6ELNS1_3repE0EEENS1_30default_config_static_selectorELNS0_4arch9wavefront6targetE1EEEvT1_
	.p2align	8
	.type	_ZN7rocprim17ROCPRIM_400000_NS6detail17trampoline_kernelINS0_14default_configENS1_27scan_by_key_config_selectorIiiEEZZNS1_16scan_by_key_implILNS1_25lookback_scan_determinismE0ELb1ES3_N6thrust23THRUST_200600_302600_NS6detail15normal_iteratorINS9_10device_ptrIiEEEENSB_INSC_IjEEEESE_iNS9_4plusIvEENS9_8equal_toIvEEiEE10hipError_tPvRmT2_T3_T4_T5_mT6_T7_P12ihipStream_tbENKUlT_T0_E_clISt17integral_constantIbLb1EES10_IbLb0EEEEDaSW_SX_EUlSW_E_NS1_11comp_targetILNS1_3genE2ELNS1_11target_archE906ELNS1_3gpuE6ELNS1_3repE0EEENS1_30default_config_static_selectorELNS0_4arch9wavefront6targetE1EEEvT1_,@function
_ZN7rocprim17ROCPRIM_400000_NS6detail17trampoline_kernelINS0_14default_configENS1_27scan_by_key_config_selectorIiiEEZZNS1_16scan_by_key_implILNS1_25lookback_scan_determinismE0ELb1ES3_N6thrust23THRUST_200600_302600_NS6detail15normal_iteratorINS9_10device_ptrIiEEEENSB_INSC_IjEEEESE_iNS9_4plusIvEENS9_8equal_toIvEEiEE10hipError_tPvRmT2_T3_T4_T5_mT6_T7_P12ihipStream_tbENKUlT_T0_E_clISt17integral_constantIbLb1EES10_IbLb0EEEEDaSW_SX_EUlSW_E_NS1_11comp_targetILNS1_3genE2ELNS1_11target_archE906ELNS1_3gpuE6ELNS1_3repE0EEENS1_30default_config_static_selectorELNS0_4arch9wavefront6targetE1EEEvT1_: ; @_ZN7rocprim17ROCPRIM_400000_NS6detail17trampoline_kernelINS0_14default_configENS1_27scan_by_key_config_selectorIiiEEZZNS1_16scan_by_key_implILNS1_25lookback_scan_determinismE0ELb1ES3_N6thrust23THRUST_200600_302600_NS6detail15normal_iteratorINS9_10device_ptrIiEEEENSB_INSC_IjEEEESE_iNS9_4plusIvEENS9_8equal_toIvEEiEE10hipError_tPvRmT2_T3_T4_T5_mT6_T7_P12ihipStream_tbENKUlT_T0_E_clISt17integral_constantIbLb1EES10_IbLb0EEEEDaSW_SX_EUlSW_E_NS1_11comp_targetILNS1_3genE2ELNS1_11target_archE906ELNS1_3gpuE6ELNS1_3repE0EEENS1_30default_config_static_selectorELNS0_4arch9wavefront6targetE1EEEvT1_
; %bb.0:
	.section	.rodata,"a",@progbits
	.p2align	6, 0x0
	.amdhsa_kernel _ZN7rocprim17ROCPRIM_400000_NS6detail17trampoline_kernelINS0_14default_configENS1_27scan_by_key_config_selectorIiiEEZZNS1_16scan_by_key_implILNS1_25lookback_scan_determinismE0ELb1ES3_N6thrust23THRUST_200600_302600_NS6detail15normal_iteratorINS9_10device_ptrIiEEEENSB_INSC_IjEEEESE_iNS9_4plusIvEENS9_8equal_toIvEEiEE10hipError_tPvRmT2_T3_T4_T5_mT6_T7_P12ihipStream_tbENKUlT_T0_E_clISt17integral_constantIbLb1EES10_IbLb0EEEEDaSW_SX_EUlSW_E_NS1_11comp_targetILNS1_3genE2ELNS1_11target_archE906ELNS1_3gpuE6ELNS1_3repE0EEENS1_30default_config_static_selectorELNS0_4arch9wavefront6targetE1EEEvT1_
		.amdhsa_group_segment_fixed_size 0
		.amdhsa_private_segment_fixed_size 0
		.amdhsa_kernarg_size 112
		.amdhsa_user_sgpr_count 6
		.amdhsa_user_sgpr_private_segment_buffer 1
		.amdhsa_user_sgpr_dispatch_ptr 0
		.amdhsa_user_sgpr_queue_ptr 0
		.amdhsa_user_sgpr_kernarg_segment_ptr 1
		.amdhsa_user_sgpr_dispatch_id 0
		.amdhsa_user_sgpr_flat_scratch_init 0
		.amdhsa_user_sgpr_kernarg_preload_length 0
		.amdhsa_user_sgpr_kernarg_preload_offset 0
		.amdhsa_user_sgpr_private_segment_size 0
		.amdhsa_uses_dynamic_stack 0
		.amdhsa_system_sgpr_private_segment_wavefront_offset 0
		.amdhsa_system_sgpr_workgroup_id_x 1
		.amdhsa_system_sgpr_workgroup_id_y 0
		.amdhsa_system_sgpr_workgroup_id_z 0
		.amdhsa_system_sgpr_workgroup_info 0
		.amdhsa_system_vgpr_workitem_id 0
		.amdhsa_next_free_vgpr 1
		.amdhsa_next_free_sgpr 0
		.amdhsa_accum_offset 4
		.amdhsa_reserve_vcc 0
		.amdhsa_reserve_flat_scratch 0
		.amdhsa_float_round_mode_32 0
		.amdhsa_float_round_mode_16_64 0
		.amdhsa_float_denorm_mode_32 3
		.amdhsa_float_denorm_mode_16_64 3
		.amdhsa_dx10_clamp 1
		.amdhsa_ieee_mode 1
		.amdhsa_fp16_overflow 0
		.amdhsa_tg_split 0
		.amdhsa_exception_fp_ieee_invalid_op 0
		.amdhsa_exception_fp_denorm_src 0
		.amdhsa_exception_fp_ieee_div_zero 0
		.amdhsa_exception_fp_ieee_overflow 0
		.amdhsa_exception_fp_ieee_underflow 0
		.amdhsa_exception_fp_ieee_inexact 0
		.amdhsa_exception_int_div_zero 0
	.end_amdhsa_kernel
	.section	.text._ZN7rocprim17ROCPRIM_400000_NS6detail17trampoline_kernelINS0_14default_configENS1_27scan_by_key_config_selectorIiiEEZZNS1_16scan_by_key_implILNS1_25lookback_scan_determinismE0ELb1ES3_N6thrust23THRUST_200600_302600_NS6detail15normal_iteratorINS9_10device_ptrIiEEEENSB_INSC_IjEEEESE_iNS9_4plusIvEENS9_8equal_toIvEEiEE10hipError_tPvRmT2_T3_T4_T5_mT6_T7_P12ihipStream_tbENKUlT_T0_E_clISt17integral_constantIbLb1EES10_IbLb0EEEEDaSW_SX_EUlSW_E_NS1_11comp_targetILNS1_3genE2ELNS1_11target_archE906ELNS1_3gpuE6ELNS1_3repE0EEENS1_30default_config_static_selectorELNS0_4arch9wavefront6targetE1EEEvT1_,"axG",@progbits,_ZN7rocprim17ROCPRIM_400000_NS6detail17trampoline_kernelINS0_14default_configENS1_27scan_by_key_config_selectorIiiEEZZNS1_16scan_by_key_implILNS1_25lookback_scan_determinismE0ELb1ES3_N6thrust23THRUST_200600_302600_NS6detail15normal_iteratorINS9_10device_ptrIiEEEENSB_INSC_IjEEEESE_iNS9_4plusIvEENS9_8equal_toIvEEiEE10hipError_tPvRmT2_T3_T4_T5_mT6_T7_P12ihipStream_tbENKUlT_T0_E_clISt17integral_constantIbLb1EES10_IbLb0EEEEDaSW_SX_EUlSW_E_NS1_11comp_targetILNS1_3genE2ELNS1_11target_archE906ELNS1_3gpuE6ELNS1_3repE0EEENS1_30default_config_static_selectorELNS0_4arch9wavefront6targetE1EEEvT1_,comdat
.Lfunc_end1775:
	.size	_ZN7rocprim17ROCPRIM_400000_NS6detail17trampoline_kernelINS0_14default_configENS1_27scan_by_key_config_selectorIiiEEZZNS1_16scan_by_key_implILNS1_25lookback_scan_determinismE0ELb1ES3_N6thrust23THRUST_200600_302600_NS6detail15normal_iteratorINS9_10device_ptrIiEEEENSB_INSC_IjEEEESE_iNS9_4plusIvEENS9_8equal_toIvEEiEE10hipError_tPvRmT2_T3_T4_T5_mT6_T7_P12ihipStream_tbENKUlT_T0_E_clISt17integral_constantIbLb1EES10_IbLb0EEEEDaSW_SX_EUlSW_E_NS1_11comp_targetILNS1_3genE2ELNS1_11target_archE906ELNS1_3gpuE6ELNS1_3repE0EEENS1_30default_config_static_selectorELNS0_4arch9wavefront6targetE1EEEvT1_, .Lfunc_end1775-_ZN7rocprim17ROCPRIM_400000_NS6detail17trampoline_kernelINS0_14default_configENS1_27scan_by_key_config_selectorIiiEEZZNS1_16scan_by_key_implILNS1_25lookback_scan_determinismE0ELb1ES3_N6thrust23THRUST_200600_302600_NS6detail15normal_iteratorINS9_10device_ptrIiEEEENSB_INSC_IjEEEESE_iNS9_4plusIvEENS9_8equal_toIvEEiEE10hipError_tPvRmT2_T3_T4_T5_mT6_T7_P12ihipStream_tbENKUlT_T0_E_clISt17integral_constantIbLb1EES10_IbLb0EEEEDaSW_SX_EUlSW_E_NS1_11comp_targetILNS1_3genE2ELNS1_11target_archE906ELNS1_3gpuE6ELNS1_3repE0EEENS1_30default_config_static_selectorELNS0_4arch9wavefront6targetE1EEEvT1_
                                        ; -- End function
	.section	.AMDGPU.csdata,"",@progbits
; Kernel info:
; codeLenInByte = 0
; NumSgprs: 4
; NumVgprs: 0
; NumAgprs: 0
; TotalNumVgprs: 0
; ScratchSize: 0
; MemoryBound: 0
; FloatMode: 240
; IeeeMode: 1
; LDSByteSize: 0 bytes/workgroup (compile time only)
; SGPRBlocks: 0
; VGPRBlocks: 0
; NumSGPRsForWavesPerEU: 4
; NumVGPRsForWavesPerEU: 1
; AccumOffset: 4
; Occupancy: 8
; WaveLimiterHint : 0
; COMPUTE_PGM_RSRC2:SCRATCH_EN: 0
; COMPUTE_PGM_RSRC2:USER_SGPR: 6
; COMPUTE_PGM_RSRC2:TRAP_HANDLER: 0
; COMPUTE_PGM_RSRC2:TGID_X_EN: 1
; COMPUTE_PGM_RSRC2:TGID_Y_EN: 0
; COMPUTE_PGM_RSRC2:TGID_Z_EN: 0
; COMPUTE_PGM_RSRC2:TIDIG_COMP_CNT: 0
; COMPUTE_PGM_RSRC3_GFX90A:ACCUM_OFFSET: 0
; COMPUTE_PGM_RSRC3_GFX90A:TG_SPLIT: 0
	.section	.text._ZN7rocprim17ROCPRIM_400000_NS6detail17trampoline_kernelINS0_14default_configENS1_27scan_by_key_config_selectorIiiEEZZNS1_16scan_by_key_implILNS1_25lookback_scan_determinismE0ELb1ES3_N6thrust23THRUST_200600_302600_NS6detail15normal_iteratorINS9_10device_ptrIiEEEENSB_INSC_IjEEEESE_iNS9_4plusIvEENS9_8equal_toIvEEiEE10hipError_tPvRmT2_T3_T4_T5_mT6_T7_P12ihipStream_tbENKUlT_T0_E_clISt17integral_constantIbLb1EES10_IbLb0EEEEDaSW_SX_EUlSW_E_NS1_11comp_targetILNS1_3genE10ELNS1_11target_archE1200ELNS1_3gpuE4ELNS1_3repE0EEENS1_30default_config_static_selectorELNS0_4arch9wavefront6targetE1EEEvT1_,"axG",@progbits,_ZN7rocprim17ROCPRIM_400000_NS6detail17trampoline_kernelINS0_14default_configENS1_27scan_by_key_config_selectorIiiEEZZNS1_16scan_by_key_implILNS1_25lookback_scan_determinismE0ELb1ES3_N6thrust23THRUST_200600_302600_NS6detail15normal_iteratorINS9_10device_ptrIiEEEENSB_INSC_IjEEEESE_iNS9_4plusIvEENS9_8equal_toIvEEiEE10hipError_tPvRmT2_T3_T4_T5_mT6_T7_P12ihipStream_tbENKUlT_T0_E_clISt17integral_constantIbLb1EES10_IbLb0EEEEDaSW_SX_EUlSW_E_NS1_11comp_targetILNS1_3genE10ELNS1_11target_archE1200ELNS1_3gpuE4ELNS1_3repE0EEENS1_30default_config_static_selectorELNS0_4arch9wavefront6targetE1EEEvT1_,comdat
	.protected	_ZN7rocprim17ROCPRIM_400000_NS6detail17trampoline_kernelINS0_14default_configENS1_27scan_by_key_config_selectorIiiEEZZNS1_16scan_by_key_implILNS1_25lookback_scan_determinismE0ELb1ES3_N6thrust23THRUST_200600_302600_NS6detail15normal_iteratorINS9_10device_ptrIiEEEENSB_INSC_IjEEEESE_iNS9_4plusIvEENS9_8equal_toIvEEiEE10hipError_tPvRmT2_T3_T4_T5_mT6_T7_P12ihipStream_tbENKUlT_T0_E_clISt17integral_constantIbLb1EES10_IbLb0EEEEDaSW_SX_EUlSW_E_NS1_11comp_targetILNS1_3genE10ELNS1_11target_archE1200ELNS1_3gpuE4ELNS1_3repE0EEENS1_30default_config_static_selectorELNS0_4arch9wavefront6targetE1EEEvT1_ ; -- Begin function _ZN7rocprim17ROCPRIM_400000_NS6detail17trampoline_kernelINS0_14default_configENS1_27scan_by_key_config_selectorIiiEEZZNS1_16scan_by_key_implILNS1_25lookback_scan_determinismE0ELb1ES3_N6thrust23THRUST_200600_302600_NS6detail15normal_iteratorINS9_10device_ptrIiEEEENSB_INSC_IjEEEESE_iNS9_4plusIvEENS9_8equal_toIvEEiEE10hipError_tPvRmT2_T3_T4_T5_mT6_T7_P12ihipStream_tbENKUlT_T0_E_clISt17integral_constantIbLb1EES10_IbLb0EEEEDaSW_SX_EUlSW_E_NS1_11comp_targetILNS1_3genE10ELNS1_11target_archE1200ELNS1_3gpuE4ELNS1_3repE0EEENS1_30default_config_static_selectorELNS0_4arch9wavefront6targetE1EEEvT1_
	.globl	_ZN7rocprim17ROCPRIM_400000_NS6detail17trampoline_kernelINS0_14default_configENS1_27scan_by_key_config_selectorIiiEEZZNS1_16scan_by_key_implILNS1_25lookback_scan_determinismE0ELb1ES3_N6thrust23THRUST_200600_302600_NS6detail15normal_iteratorINS9_10device_ptrIiEEEENSB_INSC_IjEEEESE_iNS9_4plusIvEENS9_8equal_toIvEEiEE10hipError_tPvRmT2_T3_T4_T5_mT6_T7_P12ihipStream_tbENKUlT_T0_E_clISt17integral_constantIbLb1EES10_IbLb0EEEEDaSW_SX_EUlSW_E_NS1_11comp_targetILNS1_3genE10ELNS1_11target_archE1200ELNS1_3gpuE4ELNS1_3repE0EEENS1_30default_config_static_selectorELNS0_4arch9wavefront6targetE1EEEvT1_
	.p2align	8
	.type	_ZN7rocprim17ROCPRIM_400000_NS6detail17trampoline_kernelINS0_14default_configENS1_27scan_by_key_config_selectorIiiEEZZNS1_16scan_by_key_implILNS1_25lookback_scan_determinismE0ELb1ES3_N6thrust23THRUST_200600_302600_NS6detail15normal_iteratorINS9_10device_ptrIiEEEENSB_INSC_IjEEEESE_iNS9_4plusIvEENS9_8equal_toIvEEiEE10hipError_tPvRmT2_T3_T4_T5_mT6_T7_P12ihipStream_tbENKUlT_T0_E_clISt17integral_constantIbLb1EES10_IbLb0EEEEDaSW_SX_EUlSW_E_NS1_11comp_targetILNS1_3genE10ELNS1_11target_archE1200ELNS1_3gpuE4ELNS1_3repE0EEENS1_30default_config_static_selectorELNS0_4arch9wavefront6targetE1EEEvT1_,@function
_ZN7rocprim17ROCPRIM_400000_NS6detail17trampoline_kernelINS0_14default_configENS1_27scan_by_key_config_selectorIiiEEZZNS1_16scan_by_key_implILNS1_25lookback_scan_determinismE0ELb1ES3_N6thrust23THRUST_200600_302600_NS6detail15normal_iteratorINS9_10device_ptrIiEEEENSB_INSC_IjEEEESE_iNS9_4plusIvEENS9_8equal_toIvEEiEE10hipError_tPvRmT2_T3_T4_T5_mT6_T7_P12ihipStream_tbENKUlT_T0_E_clISt17integral_constantIbLb1EES10_IbLb0EEEEDaSW_SX_EUlSW_E_NS1_11comp_targetILNS1_3genE10ELNS1_11target_archE1200ELNS1_3gpuE4ELNS1_3repE0EEENS1_30default_config_static_selectorELNS0_4arch9wavefront6targetE1EEEvT1_: ; @_ZN7rocprim17ROCPRIM_400000_NS6detail17trampoline_kernelINS0_14default_configENS1_27scan_by_key_config_selectorIiiEEZZNS1_16scan_by_key_implILNS1_25lookback_scan_determinismE0ELb1ES3_N6thrust23THRUST_200600_302600_NS6detail15normal_iteratorINS9_10device_ptrIiEEEENSB_INSC_IjEEEESE_iNS9_4plusIvEENS9_8equal_toIvEEiEE10hipError_tPvRmT2_T3_T4_T5_mT6_T7_P12ihipStream_tbENKUlT_T0_E_clISt17integral_constantIbLb1EES10_IbLb0EEEEDaSW_SX_EUlSW_E_NS1_11comp_targetILNS1_3genE10ELNS1_11target_archE1200ELNS1_3gpuE4ELNS1_3repE0EEENS1_30default_config_static_selectorELNS0_4arch9wavefront6targetE1EEEvT1_
; %bb.0:
	.section	.rodata,"a",@progbits
	.p2align	6, 0x0
	.amdhsa_kernel _ZN7rocprim17ROCPRIM_400000_NS6detail17trampoline_kernelINS0_14default_configENS1_27scan_by_key_config_selectorIiiEEZZNS1_16scan_by_key_implILNS1_25lookback_scan_determinismE0ELb1ES3_N6thrust23THRUST_200600_302600_NS6detail15normal_iteratorINS9_10device_ptrIiEEEENSB_INSC_IjEEEESE_iNS9_4plusIvEENS9_8equal_toIvEEiEE10hipError_tPvRmT2_T3_T4_T5_mT6_T7_P12ihipStream_tbENKUlT_T0_E_clISt17integral_constantIbLb1EES10_IbLb0EEEEDaSW_SX_EUlSW_E_NS1_11comp_targetILNS1_3genE10ELNS1_11target_archE1200ELNS1_3gpuE4ELNS1_3repE0EEENS1_30default_config_static_selectorELNS0_4arch9wavefront6targetE1EEEvT1_
		.amdhsa_group_segment_fixed_size 0
		.amdhsa_private_segment_fixed_size 0
		.amdhsa_kernarg_size 112
		.amdhsa_user_sgpr_count 6
		.amdhsa_user_sgpr_private_segment_buffer 1
		.amdhsa_user_sgpr_dispatch_ptr 0
		.amdhsa_user_sgpr_queue_ptr 0
		.amdhsa_user_sgpr_kernarg_segment_ptr 1
		.amdhsa_user_sgpr_dispatch_id 0
		.amdhsa_user_sgpr_flat_scratch_init 0
		.amdhsa_user_sgpr_kernarg_preload_length 0
		.amdhsa_user_sgpr_kernarg_preload_offset 0
		.amdhsa_user_sgpr_private_segment_size 0
		.amdhsa_uses_dynamic_stack 0
		.amdhsa_system_sgpr_private_segment_wavefront_offset 0
		.amdhsa_system_sgpr_workgroup_id_x 1
		.amdhsa_system_sgpr_workgroup_id_y 0
		.amdhsa_system_sgpr_workgroup_id_z 0
		.amdhsa_system_sgpr_workgroup_info 0
		.amdhsa_system_vgpr_workitem_id 0
		.amdhsa_next_free_vgpr 1
		.amdhsa_next_free_sgpr 0
		.amdhsa_accum_offset 4
		.amdhsa_reserve_vcc 0
		.amdhsa_reserve_flat_scratch 0
		.amdhsa_float_round_mode_32 0
		.amdhsa_float_round_mode_16_64 0
		.amdhsa_float_denorm_mode_32 3
		.amdhsa_float_denorm_mode_16_64 3
		.amdhsa_dx10_clamp 1
		.amdhsa_ieee_mode 1
		.amdhsa_fp16_overflow 0
		.amdhsa_tg_split 0
		.amdhsa_exception_fp_ieee_invalid_op 0
		.amdhsa_exception_fp_denorm_src 0
		.amdhsa_exception_fp_ieee_div_zero 0
		.amdhsa_exception_fp_ieee_overflow 0
		.amdhsa_exception_fp_ieee_underflow 0
		.amdhsa_exception_fp_ieee_inexact 0
		.amdhsa_exception_int_div_zero 0
	.end_amdhsa_kernel
	.section	.text._ZN7rocprim17ROCPRIM_400000_NS6detail17trampoline_kernelINS0_14default_configENS1_27scan_by_key_config_selectorIiiEEZZNS1_16scan_by_key_implILNS1_25lookback_scan_determinismE0ELb1ES3_N6thrust23THRUST_200600_302600_NS6detail15normal_iteratorINS9_10device_ptrIiEEEENSB_INSC_IjEEEESE_iNS9_4plusIvEENS9_8equal_toIvEEiEE10hipError_tPvRmT2_T3_T4_T5_mT6_T7_P12ihipStream_tbENKUlT_T0_E_clISt17integral_constantIbLb1EES10_IbLb0EEEEDaSW_SX_EUlSW_E_NS1_11comp_targetILNS1_3genE10ELNS1_11target_archE1200ELNS1_3gpuE4ELNS1_3repE0EEENS1_30default_config_static_selectorELNS0_4arch9wavefront6targetE1EEEvT1_,"axG",@progbits,_ZN7rocprim17ROCPRIM_400000_NS6detail17trampoline_kernelINS0_14default_configENS1_27scan_by_key_config_selectorIiiEEZZNS1_16scan_by_key_implILNS1_25lookback_scan_determinismE0ELb1ES3_N6thrust23THRUST_200600_302600_NS6detail15normal_iteratorINS9_10device_ptrIiEEEENSB_INSC_IjEEEESE_iNS9_4plusIvEENS9_8equal_toIvEEiEE10hipError_tPvRmT2_T3_T4_T5_mT6_T7_P12ihipStream_tbENKUlT_T0_E_clISt17integral_constantIbLb1EES10_IbLb0EEEEDaSW_SX_EUlSW_E_NS1_11comp_targetILNS1_3genE10ELNS1_11target_archE1200ELNS1_3gpuE4ELNS1_3repE0EEENS1_30default_config_static_selectorELNS0_4arch9wavefront6targetE1EEEvT1_,comdat
.Lfunc_end1776:
	.size	_ZN7rocprim17ROCPRIM_400000_NS6detail17trampoline_kernelINS0_14default_configENS1_27scan_by_key_config_selectorIiiEEZZNS1_16scan_by_key_implILNS1_25lookback_scan_determinismE0ELb1ES3_N6thrust23THRUST_200600_302600_NS6detail15normal_iteratorINS9_10device_ptrIiEEEENSB_INSC_IjEEEESE_iNS9_4plusIvEENS9_8equal_toIvEEiEE10hipError_tPvRmT2_T3_T4_T5_mT6_T7_P12ihipStream_tbENKUlT_T0_E_clISt17integral_constantIbLb1EES10_IbLb0EEEEDaSW_SX_EUlSW_E_NS1_11comp_targetILNS1_3genE10ELNS1_11target_archE1200ELNS1_3gpuE4ELNS1_3repE0EEENS1_30default_config_static_selectorELNS0_4arch9wavefront6targetE1EEEvT1_, .Lfunc_end1776-_ZN7rocprim17ROCPRIM_400000_NS6detail17trampoline_kernelINS0_14default_configENS1_27scan_by_key_config_selectorIiiEEZZNS1_16scan_by_key_implILNS1_25lookback_scan_determinismE0ELb1ES3_N6thrust23THRUST_200600_302600_NS6detail15normal_iteratorINS9_10device_ptrIiEEEENSB_INSC_IjEEEESE_iNS9_4plusIvEENS9_8equal_toIvEEiEE10hipError_tPvRmT2_T3_T4_T5_mT6_T7_P12ihipStream_tbENKUlT_T0_E_clISt17integral_constantIbLb1EES10_IbLb0EEEEDaSW_SX_EUlSW_E_NS1_11comp_targetILNS1_3genE10ELNS1_11target_archE1200ELNS1_3gpuE4ELNS1_3repE0EEENS1_30default_config_static_selectorELNS0_4arch9wavefront6targetE1EEEvT1_
                                        ; -- End function
	.section	.AMDGPU.csdata,"",@progbits
; Kernel info:
; codeLenInByte = 0
; NumSgprs: 4
; NumVgprs: 0
; NumAgprs: 0
; TotalNumVgprs: 0
; ScratchSize: 0
; MemoryBound: 0
; FloatMode: 240
; IeeeMode: 1
; LDSByteSize: 0 bytes/workgroup (compile time only)
; SGPRBlocks: 0
; VGPRBlocks: 0
; NumSGPRsForWavesPerEU: 4
; NumVGPRsForWavesPerEU: 1
; AccumOffset: 4
; Occupancy: 8
; WaveLimiterHint : 0
; COMPUTE_PGM_RSRC2:SCRATCH_EN: 0
; COMPUTE_PGM_RSRC2:USER_SGPR: 6
; COMPUTE_PGM_RSRC2:TRAP_HANDLER: 0
; COMPUTE_PGM_RSRC2:TGID_X_EN: 1
; COMPUTE_PGM_RSRC2:TGID_Y_EN: 0
; COMPUTE_PGM_RSRC2:TGID_Z_EN: 0
; COMPUTE_PGM_RSRC2:TIDIG_COMP_CNT: 0
; COMPUTE_PGM_RSRC3_GFX90A:ACCUM_OFFSET: 0
; COMPUTE_PGM_RSRC3_GFX90A:TG_SPLIT: 0
	.section	.text._ZN7rocprim17ROCPRIM_400000_NS6detail17trampoline_kernelINS0_14default_configENS1_27scan_by_key_config_selectorIiiEEZZNS1_16scan_by_key_implILNS1_25lookback_scan_determinismE0ELb1ES3_N6thrust23THRUST_200600_302600_NS6detail15normal_iteratorINS9_10device_ptrIiEEEENSB_INSC_IjEEEESE_iNS9_4plusIvEENS9_8equal_toIvEEiEE10hipError_tPvRmT2_T3_T4_T5_mT6_T7_P12ihipStream_tbENKUlT_T0_E_clISt17integral_constantIbLb1EES10_IbLb0EEEEDaSW_SX_EUlSW_E_NS1_11comp_targetILNS1_3genE9ELNS1_11target_archE1100ELNS1_3gpuE3ELNS1_3repE0EEENS1_30default_config_static_selectorELNS0_4arch9wavefront6targetE1EEEvT1_,"axG",@progbits,_ZN7rocprim17ROCPRIM_400000_NS6detail17trampoline_kernelINS0_14default_configENS1_27scan_by_key_config_selectorIiiEEZZNS1_16scan_by_key_implILNS1_25lookback_scan_determinismE0ELb1ES3_N6thrust23THRUST_200600_302600_NS6detail15normal_iteratorINS9_10device_ptrIiEEEENSB_INSC_IjEEEESE_iNS9_4plusIvEENS9_8equal_toIvEEiEE10hipError_tPvRmT2_T3_T4_T5_mT6_T7_P12ihipStream_tbENKUlT_T0_E_clISt17integral_constantIbLb1EES10_IbLb0EEEEDaSW_SX_EUlSW_E_NS1_11comp_targetILNS1_3genE9ELNS1_11target_archE1100ELNS1_3gpuE3ELNS1_3repE0EEENS1_30default_config_static_selectorELNS0_4arch9wavefront6targetE1EEEvT1_,comdat
	.protected	_ZN7rocprim17ROCPRIM_400000_NS6detail17trampoline_kernelINS0_14default_configENS1_27scan_by_key_config_selectorIiiEEZZNS1_16scan_by_key_implILNS1_25lookback_scan_determinismE0ELb1ES3_N6thrust23THRUST_200600_302600_NS6detail15normal_iteratorINS9_10device_ptrIiEEEENSB_INSC_IjEEEESE_iNS9_4plusIvEENS9_8equal_toIvEEiEE10hipError_tPvRmT2_T3_T4_T5_mT6_T7_P12ihipStream_tbENKUlT_T0_E_clISt17integral_constantIbLb1EES10_IbLb0EEEEDaSW_SX_EUlSW_E_NS1_11comp_targetILNS1_3genE9ELNS1_11target_archE1100ELNS1_3gpuE3ELNS1_3repE0EEENS1_30default_config_static_selectorELNS0_4arch9wavefront6targetE1EEEvT1_ ; -- Begin function _ZN7rocprim17ROCPRIM_400000_NS6detail17trampoline_kernelINS0_14default_configENS1_27scan_by_key_config_selectorIiiEEZZNS1_16scan_by_key_implILNS1_25lookback_scan_determinismE0ELb1ES3_N6thrust23THRUST_200600_302600_NS6detail15normal_iteratorINS9_10device_ptrIiEEEENSB_INSC_IjEEEESE_iNS9_4plusIvEENS9_8equal_toIvEEiEE10hipError_tPvRmT2_T3_T4_T5_mT6_T7_P12ihipStream_tbENKUlT_T0_E_clISt17integral_constantIbLb1EES10_IbLb0EEEEDaSW_SX_EUlSW_E_NS1_11comp_targetILNS1_3genE9ELNS1_11target_archE1100ELNS1_3gpuE3ELNS1_3repE0EEENS1_30default_config_static_selectorELNS0_4arch9wavefront6targetE1EEEvT1_
	.globl	_ZN7rocprim17ROCPRIM_400000_NS6detail17trampoline_kernelINS0_14default_configENS1_27scan_by_key_config_selectorIiiEEZZNS1_16scan_by_key_implILNS1_25lookback_scan_determinismE0ELb1ES3_N6thrust23THRUST_200600_302600_NS6detail15normal_iteratorINS9_10device_ptrIiEEEENSB_INSC_IjEEEESE_iNS9_4plusIvEENS9_8equal_toIvEEiEE10hipError_tPvRmT2_T3_T4_T5_mT6_T7_P12ihipStream_tbENKUlT_T0_E_clISt17integral_constantIbLb1EES10_IbLb0EEEEDaSW_SX_EUlSW_E_NS1_11comp_targetILNS1_3genE9ELNS1_11target_archE1100ELNS1_3gpuE3ELNS1_3repE0EEENS1_30default_config_static_selectorELNS0_4arch9wavefront6targetE1EEEvT1_
	.p2align	8
	.type	_ZN7rocprim17ROCPRIM_400000_NS6detail17trampoline_kernelINS0_14default_configENS1_27scan_by_key_config_selectorIiiEEZZNS1_16scan_by_key_implILNS1_25lookback_scan_determinismE0ELb1ES3_N6thrust23THRUST_200600_302600_NS6detail15normal_iteratorINS9_10device_ptrIiEEEENSB_INSC_IjEEEESE_iNS9_4plusIvEENS9_8equal_toIvEEiEE10hipError_tPvRmT2_T3_T4_T5_mT6_T7_P12ihipStream_tbENKUlT_T0_E_clISt17integral_constantIbLb1EES10_IbLb0EEEEDaSW_SX_EUlSW_E_NS1_11comp_targetILNS1_3genE9ELNS1_11target_archE1100ELNS1_3gpuE3ELNS1_3repE0EEENS1_30default_config_static_selectorELNS0_4arch9wavefront6targetE1EEEvT1_,@function
_ZN7rocprim17ROCPRIM_400000_NS6detail17trampoline_kernelINS0_14default_configENS1_27scan_by_key_config_selectorIiiEEZZNS1_16scan_by_key_implILNS1_25lookback_scan_determinismE0ELb1ES3_N6thrust23THRUST_200600_302600_NS6detail15normal_iteratorINS9_10device_ptrIiEEEENSB_INSC_IjEEEESE_iNS9_4plusIvEENS9_8equal_toIvEEiEE10hipError_tPvRmT2_T3_T4_T5_mT6_T7_P12ihipStream_tbENKUlT_T0_E_clISt17integral_constantIbLb1EES10_IbLb0EEEEDaSW_SX_EUlSW_E_NS1_11comp_targetILNS1_3genE9ELNS1_11target_archE1100ELNS1_3gpuE3ELNS1_3repE0EEENS1_30default_config_static_selectorELNS0_4arch9wavefront6targetE1EEEvT1_: ; @_ZN7rocprim17ROCPRIM_400000_NS6detail17trampoline_kernelINS0_14default_configENS1_27scan_by_key_config_selectorIiiEEZZNS1_16scan_by_key_implILNS1_25lookback_scan_determinismE0ELb1ES3_N6thrust23THRUST_200600_302600_NS6detail15normal_iteratorINS9_10device_ptrIiEEEENSB_INSC_IjEEEESE_iNS9_4plusIvEENS9_8equal_toIvEEiEE10hipError_tPvRmT2_T3_T4_T5_mT6_T7_P12ihipStream_tbENKUlT_T0_E_clISt17integral_constantIbLb1EES10_IbLb0EEEEDaSW_SX_EUlSW_E_NS1_11comp_targetILNS1_3genE9ELNS1_11target_archE1100ELNS1_3gpuE3ELNS1_3repE0EEENS1_30default_config_static_selectorELNS0_4arch9wavefront6targetE1EEEvT1_
; %bb.0:
	.section	.rodata,"a",@progbits
	.p2align	6, 0x0
	.amdhsa_kernel _ZN7rocprim17ROCPRIM_400000_NS6detail17trampoline_kernelINS0_14default_configENS1_27scan_by_key_config_selectorIiiEEZZNS1_16scan_by_key_implILNS1_25lookback_scan_determinismE0ELb1ES3_N6thrust23THRUST_200600_302600_NS6detail15normal_iteratorINS9_10device_ptrIiEEEENSB_INSC_IjEEEESE_iNS9_4plusIvEENS9_8equal_toIvEEiEE10hipError_tPvRmT2_T3_T4_T5_mT6_T7_P12ihipStream_tbENKUlT_T0_E_clISt17integral_constantIbLb1EES10_IbLb0EEEEDaSW_SX_EUlSW_E_NS1_11comp_targetILNS1_3genE9ELNS1_11target_archE1100ELNS1_3gpuE3ELNS1_3repE0EEENS1_30default_config_static_selectorELNS0_4arch9wavefront6targetE1EEEvT1_
		.amdhsa_group_segment_fixed_size 0
		.amdhsa_private_segment_fixed_size 0
		.amdhsa_kernarg_size 112
		.amdhsa_user_sgpr_count 6
		.amdhsa_user_sgpr_private_segment_buffer 1
		.amdhsa_user_sgpr_dispatch_ptr 0
		.amdhsa_user_sgpr_queue_ptr 0
		.amdhsa_user_sgpr_kernarg_segment_ptr 1
		.amdhsa_user_sgpr_dispatch_id 0
		.amdhsa_user_sgpr_flat_scratch_init 0
		.amdhsa_user_sgpr_kernarg_preload_length 0
		.amdhsa_user_sgpr_kernarg_preload_offset 0
		.amdhsa_user_sgpr_private_segment_size 0
		.amdhsa_uses_dynamic_stack 0
		.amdhsa_system_sgpr_private_segment_wavefront_offset 0
		.amdhsa_system_sgpr_workgroup_id_x 1
		.amdhsa_system_sgpr_workgroup_id_y 0
		.amdhsa_system_sgpr_workgroup_id_z 0
		.amdhsa_system_sgpr_workgroup_info 0
		.amdhsa_system_vgpr_workitem_id 0
		.amdhsa_next_free_vgpr 1
		.amdhsa_next_free_sgpr 0
		.amdhsa_accum_offset 4
		.amdhsa_reserve_vcc 0
		.amdhsa_reserve_flat_scratch 0
		.amdhsa_float_round_mode_32 0
		.amdhsa_float_round_mode_16_64 0
		.amdhsa_float_denorm_mode_32 3
		.amdhsa_float_denorm_mode_16_64 3
		.amdhsa_dx10_clamp 1
		.amdhsa_ieee_mode 1
		.amdhsa_fp16_overflow 0
		.amdhsa_tg_split 0
		.amdhsa_exception_fp_ieee_invalid_op 0
		.amdhsa_exception_fp_denorm_src 0
		.amdhsa_exception_fp_ieee_div_zero 0
		.amdhsa_exception_fp_ieee_overflow 0
		.amdhsa_exception_fp_ieee_underflow 0
		.amdhsa_exception_fp_ieee_inexact 0
		.amdhsa_exception_int_div_zero 0
	.end_amdhsa_kernel
	.section	.text._ZN7rocprim17ROCPRIM_400000_NS6detail17trampoline_kernelINS0_14default_configENS1_27scan_by_key_config_selectorIiiEEZZNS1_16scan_by_key_implILNS1_25lookback_scan_determinismE0ELb1ES3_N6thrust23THRUST_200600_302600_NS6detail15normal_iteratorINS9_10device_ptrIiEEEENSB_INSC_IjEEEESE_iNS9_4plusIvEENS9_8equal_toIvEEiEE10hipError_tPvRmT2_T3_T4_T5_mT6_T7_P12ihipStream_tbENKUlT_T0_E_clISt17integral_constantIbLb1EES10_IbLb0EEEEDaSW_SX_EUlSW_E_NS1_11comp_targetILNS1_3genE9ELNS1_11target_archE1100ELNS1_3gpuE3ELNS1_3repE0EEENS1_30default_config_static_selectorELNS0_4arch9wavefront6targetE1EEEvT1_,"axG",@progbits,_ZN7rocprim17ROCPRIM_400000_NS6detail17trampoline_kernelINS0_14default_configENS1_27scan_by_key_config_selectorIiiEEZZNS1_16scan_by_key_implILNS1_25lookback_scan_determinismE0ELb1ES3_N6thrust23THRUST_200600_302600_NS6detail15normal_iteratorINS9_10device_ptrIiEEEENSB_INSC_IjEEEESE_iNS9_4plusIvEENS9_8equal_toIvEEiEE10hipError_tPvRmT2_T3_T4_T5_mT6_T7_P12ihipStream_tbENKUlT_T0_E_clISt17integral_constantIbLb1EES10_IbLb0EEEEDaSW_SX_EUlSW_E_NS1_11comp_targetILNS1_3genE9ELNS1_11target_archE1100ELNS1_3gpuE3ELNS1_3repE0EEENS1_30default_config_static_selectorELNS0_4arch9wavefront6targetE1EEEvT1_,comdat
.Lfunc_end1777:
	.size	_ZN7rocprim17ROCPRIM_400000_NS6detail17trampoline_kernelINS0_14default_configENS1_27scan_by_key_config_selectorIiiEEZZNS1_16scan_by_key_implILNS1_25lookback_scan_determinismE0ELb1ES3_N6thrust23THRUST_200600_302600_NS6detail15normal_iteratorINS9_10device_ptrIiEEEENSB_INSC_IjEEEESE_iNS9_4plusIvEENS9_8equal_toIvEEiEE10hipError_tPvRmT2_T3_T4_T5_mT6_T7_P12ihipStream_tbENKUlT_T0_E_clISt17integral_constantIbLb1EES10_IbLb0EEEEDaSW_SX_EUlSW_E_NS1_11comp_targetILNS1_3genE9ELNS1_11target_archE1100ELNS1_3gpuE3ELNS1_3repE0EEENS1_30default_config_static_selectorELNS0_4arch9wavefront6targetE1EEEvT1_, .Lfunc_end1777-_ZN7rocprim17ROCPRIM_400000_NS6detail17trampoline_kernelINS0_14default_configENS1_27scan_by_key_config_selectorIiiEEZZNS1_16scan_by_key_implILNS1_25lookback_scan_determinismE0ELb1ES3_N6thrust23THRUST_200600_302600_NS6detail15normal_iteratorINS9_10device_ptrIiEEEENSB_INSC_IjEEEESE_iNS9_4plusIvEENS9_8equal_toIvEEiEE10hipError_tPvRmT2_T3_T4_T5_mT6_T7_P12ihipStream_tbENKUlT_T0_E_clISt17integral_constantIbLb1EES10_IbLb0EEEEDaSW_SX_EUlSW_E_NS1_11comp_targetILNS1_3genE9ELNS1_11target_archE1100ELNS1_3gpuE3ELNS1_3repE0EEENS1_30default_config_static_selectorELNS0_4arch9wavefront6targetE1EEEvT1_
                                        ; -- End function
	.section	.AMDGPU.csdata,"",@progbits
; Kernel info:
; codeLenInByte = 0
; NumSgprs: 4
; NumVgprs: 0
; NumAgprs: 0
; TotalNumVgprs: 0
; ScratchSize: 0
; MemoryBound: 0
; FloatMode: 240
; IeeeMode: 1
; LDSByteSize: 0 bytes/workgroup (compile time only)
; SGPRBlocks: 0
; VGPRBlocks: 0
; NumSGPRsForWavesPerEU: 4
; NumVGPRsForWavesPerEU: 1
; AccumOffset: 4
; Occupancy: 8
; WaveLimiterHint : 0
; COMPUTE_PGM_RSRC2:SCRATCH_EN: 0
; COMPUTE_PGM_RSRC2:USER_SGPR: 6
; COMPUTE_PGM_RSRC2:TRAP_HANDLER: 0
; COMPUTE_PGM_RSRC2:TGID_X_EN: 1
; COMPUTE_PGM_RSRC2:TGID_Y_EN: 0
; COMPUTE_PGM_RSRC2:TGID_Z_EN: 0
; COMPUTE_PGM_RSRC2:TIDIG_COMP_CNT: 0
; COMPUTE_PGM_RSRC3_GFX90A:ACCUM_OFFSET: 0
; COMPUTE_PGM_RSRC3_GFX90A:TG_SPLIT: 0
	.section	.text._ZN7rocprim17ROCPRIM_400000_NS6detail17trampoline_kernelINS0_14default_configENS1_27scan_by_key_config_selectorIiiEEZZNS1_16scan_by_key_implILNS1_25lookback_scan_determinismE0ELb1ES3_N6thrust23THRUST_200600_302600_NS6detail15normal_iteratorINS9_10device_ptrIiEEEENSB_INSC_IjEEEESE_iNS9_4plusIvEENS9_8equal_toIvEEiEE10hipError_tPvRmT2_T3_T4_T5_mT6_T7_P12ihipStream_tbENKUlT_T0_E_clISt17integral_constantIbLb1EES10_IbLb0EEEEDaSW_SX_EUlSW_E_NS1_11comp_targetILNS1_3genE8ELNS1_11target_archE1030ELNS1_3gpuE2ELNS1_3repE0EEENS1_30default_config_static_selectorELNS0_4arch9wavefront6targetE1EEEvT1_,"axG",@progbits,_ZN7rocprim17ROCPRIM_400000_NS6detail17trampoline_kernelINS0_14default_configENS1_27scan_by_key_config_selectorIiiEEZZNS1_16scan_by_key_implILNS1_25lookback_scan_determinismE0ELb1ES3_N6thrust23THRUST_200600_302600_NS6detail15normal_iteratorINS9_10device_ptrIiEEEENSB_INSC_IjEEEESE_iNS9_4plusIvEENS9_8equal_toIvEEiEE10hipError_tPvRmT2_T3_T4_T5_mT6_T7_P12ihipStream_tbENKUlT_T0_E_clISt17integral_constantIbLb1EES10_IbLb0EEEEDaSW_SX_EUlSW_E_NS1_11comp_targetILNS1_3genE8ELNS1_11target_archE1030ELNS1_3gpuE2ELNS1_3repE0EEENS1_30default_config_static_selectorELNS0_4arch9wavefront6targetE1EEEvT1_,comdat
	.protected	_ZN7rocprim17ROCPRIM_400000_NS6detail17trampoline_kernelINS0_14default_configENS1_27scan_by_key_config_selectorIiiEEZZNS1_16scan_by_key_implILNS1_25lookback_scan_determinismE0ELb1ES3_N6thrust23THRUST_200600_302600_NS6detail15normal_iteratorINS9_10device_ptrIiEEEENSB_INSC_IjEEEESE_iNS9_4plusIvEENS9_8equal_toIvEEiEE10hipError_tPvRmT2_T3_T4_T5_mT6_T7_P12ihipStream_tbENKUlT_T0_E_clISt17integral_constantIbLb1EES10_IbLb0EEEEDaSW_SX_EUlSW_E_NS1_11comp_targetILNS1_3genE8ELNS1_11target_archE1030ELNS1_3gpuE2ELNS1_3repE0EEENS1_30default_config_static_selectorELNS0_4arch9wavefront6targetE1EEEvT1_ ; -- Begin function _ZN7rocprim17ROCPRIM_400000_NS6detail17trampoline_kernelINS0_14default_configENS1_27scan_by_key_config_selectorIiiEEZZNS1_16scan_by_key_implILNS1_25lookback_scan_determinismE0ELb1ES3_N6thrust23THRUST_200600_302600_NS6detail15normal_iteratorINS9_10device_ptrIiEEEENSB_INSC_IjEEEESE_iNS9_4plusIvEENS9_8equal_toIvEEiEE10hipError_tPvRmT2_T3_T4_T5_mT6_T7_P12ihipStream_tbENKUlT_T0_E_clISt17integral_constantIbLb1EES10_IbLb0EEEEDaSW_SX_EUlSW_E_NS1_11comp_targetILNS1_3genE8ELNS1_11target_archE1030ELNS1_3gpuE2ELNS1_3repE0EEENS1_30default_config_static_selectorELNS0_4arch9wavefront6targetE1EEEvT1_
	.globl	_ZN7rocprim17ROCPRIM_400000_NS6detail17trampoline_kernelINS0_14default_configENS1_27scan_by_key_config_selectorIiiEEZZNS1_16scan_by_key_implILNS1_25lookback_scan_determinismE0ELb1ES3_N6thrust23THRUST_200600_302600_NS6detail15normal_iteratorINS9_10device_ptrIiEEEENSB_INSC_IjEEEESE_iNS9_4plusIvEENS9_8equal_toIvEEiEE10hipError_tPvRmT2_T3_T4_T5_mT6_T7_P12ihipStream_tbENKUlT_T0_E_clISt17integral_constantIbLb1EES10_IbLb0EEEEDaSW_SX_EUlSW_E_NS1_11comp_targetILNS1_3genE8ELNS1_11target_archE1030ELNS1_3gpuE2ELNS1_3repE0EEENS1_30default_config_static_selectorELNS0_4arch9wavefront6targetE1EEEvT1_
	.p2align	8
	.type	_ZN7rocprim17ROCPRIM_400000_NS6detail17trampoline_kernelINS0_14default_configENS1_27scan_by_key_config_selectorIiiEEZZNS1_16scan_by_key_implILNS1_25lookback_scan_determinismE0ELb1ES3_N6thrust23THRUST_200600_302600_NS6detail15normal_iteratorINS9_10device_ptrIiEEEENSB_INSC_IjEEEESE_iNS9_4plusIvEENS9_8equal_toIvEEiEE10hipError_tPvRmT2_T3_T4_T5_mT6_T7_P12ihipStream_tbENKUlT_T0_E_clISt17integral_constantIbLb1EES10_IbLb0EEEEDaSW_SX_EUlSW_E_NS1_11comp_targetILNS1_3genE8ELNS1_11target_archE1030ELNS1_3gpuE2ELNS1_3repE0EEENS1_30default_config_static_selectorELNS0_4arch9wavefront6targetE1EEEvT1_,@function
_ZN7rocprim17ROCPRIM_400000_NS6detail17trampoline_kernelINS0_14default_configENS1_27scan_by_key_config_selectorIiiEEZZNS1_16scan_by_key_implILNS1_25lookback_scan_determinismE0ELb1ES3_N6thrust23THRUST_200600_302600_NS6detail15normal_iteratorINS9_10device_ptrIiEEEENSB_INSC_IjEEEESE_iNS9_4plusIvEENS9_8equal_toIvEEiEE10hipError_tPvRmT2_T3_T4_T5_mT6_T7_P12ihipStream_tbENKUlT_T0_E_clISt17integral_constantIbLb1EES10_IbLb0EEEEDaSW_SX_EUlSW_E_NS1_11comp_targetILNS1_3genE8ELNS1_11target_archE1030ELNS1_3gpuE2ELNS1_3repE0EEENS1_30default_config_static_selectorELNS0_4arch9wavefront6targetE1EEEvT1_: ; @_ZN7rocprim17ROCPRIM_400000_NS6detail17trampoline_kernelINS0_14default_configENS1_27scan_by_key_config_selectorIiiEEZZNS1_16scan_by_key_implILNS1_25lookback_scan_determinismE0ELb1ES3_N6thrust23THRUST_200600_302600_NS6detail15normal_iteratorINS9_10device_ptrIiEEEENSB_INSC_IjEEEESE_iNS9_4plusIvEENS9_8equal_toIvEEiEE10hipError_tPvRmT2_T3_T4_T5_mT6_T7_P12ihipStream_tbENKUlT_T0_E_clISt17integral_constantIbLb1EES10_IbLb0EEEEDaSW_SX_EUlSW_E_NS1_11comp_targetILNS1_3genE8ELNS1_11target_archE1030ELNS1_3gpuE2ELNS1_3repE0EEENS1_30default_config_static_selectorELNS0_4arch9wavefront6targetE1EEEvT1_
; %bb.0:
	.section	.rodata,"a",@progbits
	.p2align	6, 0x0
	.amdhsa_kernel _ZN7rocprim17ROCPRIM_400000_NS6detail17trampoline_kernelINS0_14default_configENS1_27scan_by_key_config_selectorIiiEEZZNS1_16scan_by_key_implILNS1_25lookback_scan_determinismE0ELb1ES3_N6thrust23THRUST_200600_302600_NS6detail15normal_iteratorINS9_10device_ptrIiEEEENSB_INSC_IjEEEESE_iNS9_4plusIvEENS9_8equal_toIvEEiEE10hipError_tPvRmT2_T3_T4_T5_mT6_T7_P12ihipStream_tbENKUlT_T0_E_clISt17integral_constantIbLb1EES10_IbLb0EEEEDaSW_SX_EUlSW_E_NS1_11comp_targetILNS1_3genE8ELNS1_11target_archE1030ELNS1_3gpuE2ELNS1_3repE0EEENS1_30default_config_static_selectorELNS0_4arch9wavefront6targetE1EEEvT1_
		.amdhsa_group_segment_fixed_size 0
		.amdhsa_private_segment_fixed_size 0
		.amdhsa_kernarg_size 112
		.amdhsa_user_sgpr_count 6
		.amdhsa_user_sgpr_private_segment_buffer 1
		.amdhsa_user_sgpr_dispatch_ptr 0
		.amdhsa_user_sgpr_queue_ptr 0
		.amdhsa_user_sgpr_kernarg_segment_ptr 1
		.amdhsa_user_sgpr_dispatch_id 0
		.amdhsa_user_sgpr_flat_scratch_init 0
		.amdhsa_user_sgpr_kernarg_preload_length 0
		.amdhsa_user_sgpr_kernarg_preload_offset 0
		.amdhsa_user_sgpr_private_segment_size 0
		.amdhsa_uses_dynamic_stack 0
		.amdhsa_system_sgpr_private_segment_wavefront_offset 0
		.amdhsa_system_sgpr_workgroup_id_x 1
		.amdhsa_system_sgpr_workgroup_id_y 0
		.amdhsa_system_sgpr_workgroup_id_z 0
		.amdhsa_system_sgpr_workgroup_info 0
		.amdhsa_system_vgpr_workitem_id 0
		.amdhsa_next_free_vgpr 1
		.amdhsa_next_free_sgpr 0
		.amdhsa_accum_offset 4
		.amdhsa_reserve_vcc 0
		.amdhsa_reserve_flat_scratch 0
		.amdhsa_float_round_mode_32 0
		.amdhsa_float_round_mode_16_64 0
		.amdhsa_float_denorm_mode_32 3
		.amdhsa_float_denorm_mode_16_64 3
		.amdhsa_dx10_clamp 1
		.amdhsa_ieee_mode 1
		.amdhsa_fp16_overflow 0
		.amdhsa_tg_split 0
		.amdhsa_exception_fp_ieee_invalid_op 0
		.amdhsa_exception_fp_denorm_src 0
		.amdhsa_exception_fp_ieee_div_zero 0
		.amdhsa_exception_fp_ieee_overflow 0
		.amdhsa_exception_fp_ieee_underflow 0
		.amdhsa_exception_fp_ieee_inexact 0
		.amdhsa_exception_int_div_zero 0
	.end_amdhsa_kernel
	.section	.text._ZN7rocprim17ROCPRIM_400000_NS6detail17trampoline_kernelINS0_14default_configENS1_27scan_by_key_config_selectorIiiEEZZNS1_16scan_by_key_implILNS1_25lookback_scan_determinismE0ELb1ES3_N6thrust23THRUST_200600_302600_NS6detail15normal_iteratorINS9_10device_ptrIiEEEENSB_INSC_IjEEEESE_iNS9_4plusIvEENS9_8equal_toIvEEiEE10hipError_tPvRmT2_T3_T4_T5_mT6_T7_P12ihipStream_tbENKUlT_T0_E_clISt17integral_constantIbLb1EES10_IbLb0EEEEDaSW_SX_EUlSW_E_NS1_11comp_targetILNS1_3genE8ELNS1_11target_archE1030ELNS1_3gpuE2ELNS1_3repE0EEENS1_30default_config_static_selectorELNS0_4arch9wavefront6targetE1EEEvT1_,"axG",@progbits,_ZN7rocprim17ROCPRIM_400000_NS6detail17trampoline_kernelINS0_14default_configENS1_27scan_by_key_config_selectorIiiEEZZNS1_16scan_by_key_implILNS1_25lookback_scan_determinismE0ELb1ES3_N6thrust23THRUST_200600_302600_NS6detail15normal_iteratorINS9_10device_ptrIiEEEENSB_INSC_IjEEEESE_iNS9_4plusIvEENS9_8equal_toIvEEiEE10hipError_tPvRmT2_T3_T4_T5_mT6_T7_P12ihipStream_tbENKUlT_T0_E_clISt17integral_constantIbLb1EES10_IbLb0EEEEDaSW_SX_EUlSW_E_NS1_11comp_targetILNS1_3genE8ELNS1_11target_archE1030ELNS1_3gpuE2ELNS1_3repE0EEENS1_30default_config_static_selectorELNS0_4arch9wavefront6targetE1EEEvT1_,comdat
.Lfunc_end1778:
	.size	_ZN7rocprim17ROCPRIM_400000_NS6detail17trampoline_kernelINS0_14default_configENS1_27scan_by_key_config_selectorIiiEEZZNS1_16scan_by_key_implILNS1_25lookback_scan_determinismE0ELb1ES3_N6thrust23THRUST_200600_302600_NS6detail15normal_iteratorINS9_10device_ptrIiEEEENSB_INSC_IjEEEESE_iNS9_4plusIvEENS9_8equal_toIvEEiEE10hipError_tPvRmT2_T3_T4_T5_mT6_T7_P12ihipStream_tbENKUlT_T0_E_clISt17integral_constantIbLb1EES10_IbLb0EEEEDaSW_SX_EUlSW_E_NS1_11comp_targetILNS1_3genE8ELNS1_11target_archE1030ELNS1_3gpuE2ELNS1_3repE0EEENS1_30default_config_static_selectorELNS0_4arch9wavefront6targetE1EEEvT1_, .Lfunc_end1778-_ZN7rocprim17ROCPRIM_400000_NS6detail17trampoline_kernelINS0_14default_configENS1_27scan_by_key_config_selectorIiiEEZZNS1_16scan_by_key_implILNS1_25lookback_scan_determinismE0ELb1ES3_N6thrust23THRUST_200600_302600_NS6detail15normal_iteratorINS9_10device_ptrIiEEEENSB_INSC_IjEEEESE_iNS9_4plusIvEENS9_8equal_toIvEEiEE10hipError_tPvRmT2_T3_T4_T5_mT6_T7_P12ihipStream_tbENKUlT_T0_E_clISt17integral_constantIbLb1EES10_IbLb0EEEEDaSW_SX_EUlSW_E_NS1_11comp_targetILNS1_3genE8ELNS1_11target_archE1030ELNS1_3gpuE2ELNS1_3repE0EEENS1_30default_config_static_selectorELNS0_4arch9wavefront6targetE1EEEvT1_
                                        ; -- End function
	.section	.AMDGPU.csdata,"",@progbits
; Kernel info:
; codeLenInByte = 0
; NumSgprs: 4
; NumVgprs: 0
; NumAgprs: 0
; TotalNumVgprs: 0
; ScratchSize: 0
; MemoryBound: 0
; FloatMode: 240
; IeeeMode: 1
; LDSByteSize: 0 bytes/workgroup (compile time only)
; SGPRBlocks: 0
; VGPRBlocks: 0
; NumSGPRsForWavesPerEU: 4
; NumVGPRsForWavesPerEU: 1
; AccumOffset: 4
; Occupancy: 8
; WaveLimiterHint : 0
; COMPUTE_PGM_RSRC2:SCRATCH_EN: 0
; COMPUTE_PGM_RSRC2:USER_SGPR: 6
; COMPUTE_PGM_RSRC2:TRAP_HANDLER: 0
; COMPUTE_PGM_RSRC2:TGID_X_EN: 1
; COMPUTE_PGM_RSRC2:TGID_Y_EN: 0
; COMPUTE_PGM_RSRC2:TGID_Z_EN: 0
; COMPUTE_PGM_RSRC2:TIDIG_COMP_CNT: 0
; COMPUTE_PGM_RSRC3_GFX90A:ACCUM_OFFSET: 0
; COMPUTE_PGM_RSRC3_GFX90A:TG_SPLIT: 0
	.section	.text._ZN7rocprim17ROCPRIM_400000_NS6detail17trampoline_kernelINS0_14default_configENS1_27scan_by_key_config_selectorIiiEEZZNS1_16scan_by_key_implILNS1_25lookback_scan_determinismE0ELb1ES3_N6thrust23THRUST_200600_302600_NS6detail15normal_iteratorINS9_10device_ptrIiEEEENSB_INSC_IjEEEESE_iNS9_4plusIvEENS9_8equal_toIvEEiEE10hipError_tPvRmT2_T3_T4_T5_mT6_T7_P12ihipStream_tbENKUlT_T0_E_clISt17integral_constantIbLb0EES10_IbLb1EEEEDaSW_SX_EUlSW_E_NS1_11comp_targetILNS1_3genE0ELNS1_11target_archE4294967295ELNS1_3gpuE0ELNS1_3repE0EEENS1_30default_config_static_selectorELNS0_4arch9wavefront6targetE1EEEvT1_,"axG",@progbits,_ZN7rocprim17ROCPRIM_400000_NS6detail17trampoline_kernelINS0_14default_configENS1_27scan_by_key_config_selectorIiiEEZZNS1_16scan_by_key_implILNS1_25lookback_scan_determinismE0ELb1ES3_N6thrust23THRUST_200600_302600_NS6detail15normal_iteratorINS9_10device_ptrIiEEEENSB_INSC_IjEEEESE_iNS9_4plusIvEENS9_8equal_toIvEEiEE10hipError_tPvRmT2_T3_T4_T5_mT6_T7_P12ihipStream_tbENKUlT_T0_E_clISt17integral_constantIbLb0EES10_IbLb1EEEEDaSW_SX_EUlSW_E_NS1_11comp_targetILNS1_3genE0ELNS1_11target_archE4294967295ELNS1_3gpuE0ELNS1_3repE0EEENS1_30default_config_static_selectorELNS0_4arch9wavefront6targetE1EEEvT1_,comdat
	.protected	_ZN7rocprim17ROCPRIM_400000_NS6detail17trampoline_kernelINS0_14default_configENS1_27scan_by_key_config_selectorIiiEEZZNS1_16scan_by_key_implILNS1_25lookback_scan_determinismE0ELb1ES3_N6thrust23THRUST_200600_302600_NS6detail15normal_iteratorINS9_10device_ptrIiEEEENSB_INSC_IjEEEESE_iNS9_4plusIvEENS9_8equal_toIvEEiEE10hipError_tPvRmT2_T3_T4_T5_mT6_T7_P12ihipStream_tbENKUlT_T0_E_clISt17integral_constantIbLb0EES10_IbLb1EEEEDaSW_SX_EUlSW_E_NS1_11comp_targetILNS1_3genE0ELNS1_11target_archE4294967295ELNS1_3gpuE0ELNS1_3repE0EEENS1_30default_config_static_selectorELNS0_4arch9wavefront6targetE1EEEvT1_ ; -- Begin function _ZN7rocprim17ROCPRIM_400000_NS6detail17trampoline_kernelINS0_14default_configENS1_27scan_by_key_config_selectorIiiEEZZNS1_16scan_by_key_implILNS1_25lookback_scan_determinismE0ELb1ES3_N6thrust23THRUST_200600_302600_NS6detail15normal_iteratorINS9_10device_ptrIiEEEENSB_INSC_IjEEEESE_iNS9_4plusIvEENS9_8equal_toIvEEiEE10hipError_tPvRmT2_T3_T4_T5_mT6_T7_P12ihipStream_tbENKUlT_T0_E_clISt17integral_constantIbLb0EES10_IbLb1EEEEDaSW_SX_EUlSW_E_NS1_11comp_targetILNS1_3genE0ELNS1_11target_archE4294967295ELNS1_3gpuE0ELNS1_3repE0EEENS1_30default_config_static_selectorELNS0_4arch9wavefront6targetE1EEEvT1_
	.globl	_ZN7rocprim17ROCPRIM_400000_NS6detail17trampoline_kernelINS0_14default_configENS1_27scan_by_key_config_selectorIiiEEZZNS1_16scan_by_key_implILNS1_25lookback_scan_determinismE0ELb1ES3_N6thrust23THRUST_200600_302600_NS6detail15normal_iteratorINS9_10device_ptrIiEEEENSB_INSC_IjEEEESE_iNS9_4plusIvEENS9_8equal_toIvEEiEE10hipError_tPvRmT2_T3_T4_T5_mT6_T7_P12ihipStream_tbENKUlT_T0_E_clISt17integral_constantIbLb0EES10_IbLb1EEEEDaSW_SX_EUlSW_E_NS1_11comp_targetILNS1_3genE0ELNS1_11target_archE4294967295ELNS1_3gpuE0ELNS1_3repE0EEENS1_30default_config_static_selectorELNS0_4arch9wavefront6targetE1EEEvT1_
	.p2align	8
	.type	_ZN7rocprim17ROCPRIM_400000_NS6detail17trampoline_kernelINS0_14default_configENS1_27scan_by_key_config_selectorIiiEEZZNS1_16scan_by_key_implILNS1_25lookback_scan_determinismE0ELb1ES3_N6thrust23THRUST_200600_302600_NS6detail15normal_iteratorINS9_10device_ptrIiEEEENSB_INSC_IjEEEESE_iNS9_4plusIvEENS9_8equal_toIvEEiEE10hipError_tPvRmT2_T3_T4_T5_mT6_T7_P12ihipStream_tbENKUlT_T0_E_clISt17integral_constantIbLb0EES10_IbLb1EEEEDaSW_SX_EUlSW_E_NS1_11comp_targetILNS1_3genE0ELNS1_11target_archE4294967295ELNS1_3gpuE0ELNS1_3repE0EEENS1_30default_config_static_selectorELNS0_4arch9wavefront6targetE1EEEvT1_,@function
_ZN7rocprim17ROCPRIM_400000_NS6detail17trampoline_kernelINS0_14default_configENS1_27scan_by_key_config_selectorIiiEEZZNS1_16scan_by_key_implILNS1_25lookback_scan_determinismE0ELb1ES3_N6thrust23THRUST_200600_302600_NS6detail15normal_iteratorINS9_10device_ptrIiEEEENSB_INSC_IjEEEESE_iNS9_4plusIvEENS9_8equal_toIvEEiEE10hipError_tPvRmT2_T3_T4_T5_mT6_T7_P12ihipStream_tbENKUlT_T0_E_clISt17integral_constantIbLb0EES10_IbLb1EEEEDaSW_SX_EUlSW_E_NS1_11comp_targetILNS1_3genE0ELNS1_11target_archE4294967295ELNS1_3gpuE0ELNS1_3repE0EEENS1_30default_config_static_selectorELNS0_4arch9wavefront6targetE1EEEvT1_: ; @_ZN7rocprim17ROCPRIM_400000_NS6detail17trampoline_kernelINS0_14default_configENS1_27scan_by_key_config_selectorIiiEEZZNS1_16scan_by_key_implILNS1_25lookback_scan_determinismE0ELb1ES3_N6thrust23THRUST_200600_302600_NS6detail15normal_iteratorINS9_10device_ptrIiEEEENSB_INSC_IjEEEESE_iNS9_4plusIvEENS9_8equal_toIvEEiEE10hipError_tPvRmT2_T3_T4_T5_mT6_T7_P12ihipStream_tbENKUlT_T0_E_clISt17integral_constantIbLb0EES10_IbLb1EEEEDaSW_SX_EUlSW_E_NS1_11comp_targetILNS1_3genE0ELNS1_11target_archE4294967295ELNS1_3gpuE0ELNS1_3repE0EEENS1_30default_config_static_selectorELNS0_4arch9wavefront6targetE1EEEvT1_
; %bb.0:
	.section	.rodata,"a",@progbits
	.p2align	6, 0x0
	.amdhsa_kernel _ZN7rocprim17ROCPRIM_400000_NS6detail17trampoline_kernelINS0_14default_configENS1_27scan_by_key_config_selectorIiiEEZZNS1_16scan_by_key_implILNS1_25lookback_scan_determinismE0ELb1ES3_N6thrust23THRUST_200600_302600_NS6detail15normal_iteratorINS9_10device_ptrIiEEEENSB_INSC_IjEEEESE_iNS9_4plusIvEENS9_8equal_toIvEEiEE10hipError_tPvRmT2_T3_T4_T5_mT6_T7_P12ihipStream_tbENKUlT_T0_E_clISt17integral_constantIbLb0EES10_IbLb1EEEEDaSW_SX_EUlSW_E_NS1_11comp_targetILNS1_3genE0ELNS1_11target_archE4294967295ELNS1_3gpuE0ELNS1_3repE0EEENS1_30default_config_static_selectorELNS0_4arch9wavefront6targetE1EEEvT1_
		.amdhsa_group_segment_fixed_size 0
		.amdhsa_private_segment_fixed_size 0
		.amdhsa_kernarg_size 112
		.amdhsa_user_sgpr_count 6
		.amdhsa_user_sgpr_private_segment_buffer 1
		.amdhsa_user_sgpr_dispatch_ptr 0
		.amdhsa_user_sgpr_queue_ptr 0
		.amdhsa_user_sgpr_kernarg_segment_ptr 1
		.amdhsa_user_sgpr_dispatch_id 0
		.amdhsa_user_sgpr_flat_scratch_init 0
		.amdhsa_user_sgpr_kernarg_preload_length 0
		.amdhsa_user_sgpr_kernarg_preload_offset 0
		.amdhsa_user_sgpr_private_segment_size 0
		.amdhsa_uses_dynamic_stack 0
		.amdhsa_system_sgpr_private_segment_wavefront_offset 0
		.amdhsa_system_sgpr_workgroup_id_x 1
		.amdhsa_system_sgpr_workgroup_id_y 0
		.amdhsa_system_sgpr_workgroup_id_z 0
		.amdhsa_system_sgpr_workgroup_info 0
		.amdhsa_system_vgpr_workitem_id 0
		.amdhsa_next_free_vgpr 1
		.amdhsa_next_free_sgpr 0
		.amdhsa_accum_offset 4
		.amdhsa_reserve_vcc 0
		.amdhsa_reserve_flat_scratch 0
		.amdhsa_float_round_mode_32 0
		.amdhsa_float_round_mode_16_64 0
		.amdhsa_float_denorm_mode_32 3
		.amdhsa_float_denorm_mode_16_64 3
		.amdhsa_dx10_clamp 1
		.amdhsa_ieee_mode 1
		.amdhsa_fp16_overflow 0
		.amdhsa_tg_split 0
		.amdhsa_exception_fp_ieee_invalid_op 0
		.amdhsa_exception_fp_denorm_src 0
		.amdhsa_exception_fp_ieee_div_zero 0
		.amdhsa_exception_fp_ieee_overflow 0
		.amdhsa_exception_fp_ieee_underflow 0
		.amdhsa_exception_fp_ieee_inexact 0
		.amdhsa_exception_int_div_zero 0
	.end_amdhsa_kernel
	.section	.text._ZN7rocprim17ROCPRIM_400000_NS6detail17trampoline_kernelINS0_14default_configENS1_27scan_by_key_config_selectorIiiEEZZNS1_16scan_by_key_implILNS1_25lookback_scan_determinismE0ELb1ES3_N6thrust23THRUST_200600_302600_NS6detail15normal_iteratorINS9_10device_ptrIiEEEENSB_INSC_IjEEEESE_iNS9_4plusIvEENS9_8equal_toIvEEiEE10hipError_tPvRmT2_T3_T4_T5_mT6_T7_P12ihipStream_tbENKUlT_T0_E_clISt17integral_constantIbLb0EES10_IbLb1EEEEDaSW_SX_EUlSW_E_NS1_11comp_targetILNS1_3genE0ELNS1_11target_archE4294967295ELNS1_3gpuE0ELNS1_3repE0EEENS1_30default_config_static_selectorELNS0_4arch9wavefront6targetE1EEEvT1_,"axG",@progbits,_ZN7rocprim17ROCPRIM_400000_NS6detail17trampoline_kernelINS0_14default_configENS1_27scan_by_key_config_selectorIiiEEZZNS1_16scan_by_key_implILNS1_25lookback_scan_determinismE0ELb1ES3_N6thrust23THRUST_200600_302600_NS6detail15normal_iteratorINS9_10device_ptrIiEEEENSB_INSC_IjEEEESE_iNS9_4plusIvEENS9_8equal_toIvEEiEE10hipError_tPvRmT2_T3_T4_T5_mT6_T7_P12ihipStream_tbENKUlT_T0_E_clISt17integral_constantIbLb0EES10_IbLb1EEEEDaSW_SX_EUlSW_E_NS1_11comp_targetILNS1_3genE0ELNS1_11target_archE4294967295ELNS1_3gpuE0ELNS1_3repE0EEENS1_30default_config_static_selectorELNS0_4arch9wavefront6targetE1EEEvT1_,comdat
.Lfunc_end1779:
	.size	_ZN7rocprim17ROCPRIM_400000_NS6detail17trampoline_kernelINS0_14default_configENS1_27scan_by_key_config_selectorIiiEEZZNS1_16scan_by_key_implILNS1_25lookback_scan_determinismE0ELb1ES3_N6thrust23THRUST_200600_302600_NS6detail15normal_iteratorINS9_10device_ptrIiEEEENSB_INSC_IjEEEESE_iNS9_4plusIvEENS9_8equal_toIvEEiEE10hipError_tPvRmT2_T3_T4_T5_mT6_T7_P12ihipStream_tbENKUlT_T0_E_clISt17integral_constantIbLb0EES10_IbLb1EEEEDaSW_SX_EUlSW_E_NS1_11comp_targetILNS1_3genE0ELNS1_11target_archE4294967295ELNS1_3gpuE0ELNS1_3repE0EEENS1_30default_config_static_selectorELNS0_4arch9wavefront6targetE1EEEvT1_, .Lfunc_end1779-_ZN7rocprim17ROCPRIM_400000_NS6detail17trampoline_kernelINS0_14default_configENS1_27scan_by_key_config_selectorIiiEEZZNS1_16scan_by_key_implILNS1_25lookback_scan_determinismE0ELb1ES3_N6thrust23THRUST_200600_302600_NS6detail15normal_iteratorINS9_10device_ptrIiEEEENSB_INSC_IjEEEESE_iNS9_4plusIvEENS9_8equal_toIvEEiEE10hipError_tPvRmT2_T3_T4_T5_mT6_T7_P12ihipStream_tbENKUlT_T0_E_clISt17integral_constantIbLb0EES10_IbLb1EEEEDaSW_SX_EUlSW_E_NS1_11comp_targetILNS1_3genE0ELNS1_11target_archE4294967295ELNS1_3gpuE0ELNS1_3repE0EEENS1_30default_config_static_selectorELNS0_4arch9wavefront6targetE1EEEvT1_
                                        ; -- End function
	.section	.AMDGPU.csdata,"",@progbits
; Kernel info:
; codeLenInByte = 0
; NumSgprs: 4
; NumVgprs: 0
; NumAgprs: 0
; TotalNumVgprs: 0
; ScratchSize: 0
; MemoryBound: 0
; FloatMode: 240
; IeeeMode: 1
; LDSByteSize: 0 bytes/workgroup (compile time only)
; SGPRBlocks: 0
; VGPRBlocks: 0
; NumSGPRsForWavesPerEU: 4
; NumVGPRsForWavesPerEU: 1
; AccumOffset: 4
; Occupancy: 8
; WaveLimiterHint : 0
; COMPUTE_PGM_RSRC2:SCRATCH_EN: 0
; COMPUTE_PGM_RSRC2:USER_SGPR: 6
; COMPUTE_PGM_RSRC2:TRAP_HANDLER: 0
; COMPUTE_PGM_RSRC2:TGID_X_EN: 1
; COMPUTE_PGM_RSRC2:TGID_Y_EN: 0
; COMPUTE_PGM_RSRC2:TGID_Z_EN: 0
; COMPUTE_PGM_RSRC2:TIDIG_COMP_CNT: 0
; COMPUTE_PGM_RSRC3_GFX90A:ACCUM_OFFSET: 0
; COMPUTE_PGM_RSRC3_GFX90A:TG_SPLIT: 0
	.section	.text._ZN7rocprim17ROCPRIM_400000_NS6detail17trampoline_kernelINS0_14default_configENS1_27scan_by_key_config_selectorIiiEEZZNS1_16scan_by_key_implILNS1_25lookback_scan_determinismE0ELb1ES3_N6thrust23THRUST_200600_302600_NS6detail15normal_iteratorINS9_10device_ptrIiEEEENSB_INSC_IjEEEESE_iNS9_4plusIvEENS9_8equal_toIvEEiEE10hipError_tPvRmT2_T3_T4_T5_mT6_T7_P12ihipStream_tbENKUlT_T0_E_clISt17integral_constantIbLb0EES10_IbLb1EEEEDaSW_SX_EUlSW_E_NS1_11comp_targetILNS1_3genE10ELNS1_11target_archE1201ELNS1_3gpuE5ELNS1_3repE0EEENS1_30default_config_static_selectorELNS0_4arch9wavefront6targetE1EEEvT1_,"axG",@progbits,_ZN7rocprim17ROCPRIM_400000_NS6detail17trampoline_kernelINS0_14default_configENS1_27scan_by_key_config_selectorIiiEEZZNS1_16scan_by_key_implILNS1_25lookback_scan_determinismE0ELb1ES3_N6thrust23THRUST_200600_302600_NS6detail15normal_iteratorINS9_10device_ptrIiEEEENSB_INSC_IjEEEESE_iNS9_4plusIvEENS9_8equal_toIvEEiEE10hipError_tPvRmT2_T3_T4_T5_mT6_T7_P12ihipStream_tbENKUlT_T0_E_clISt17integral_constantIbLb0EES10_IbLb1EEEEDaSW_SX_EUlSW_E_NS1_11comp_targetILNS1_3genE10ELNS1_11target_archE1201ELNS1_3gpuE5ELNS1_3repE0EEENS1_30default_config_static_selectorELNS0_4arch9wavefront6targetE1EEEvT1_,comdat
	.protected	_ZN7rocprim17ROCPRIM_400000_NS6detail17trampoline_kernelINS0_14default_configENS1_27scan_by_key_config_selectorIiiEEZZNS1_16scan_by_key_implILNS1_25lookback_scan_determinismE0ELb1ES3_N6thrust23THRUST_200600_302600_NS6detail15normal_iteratorINS9_10device_ptrIiEEEENSB_INSC_IjEEEESE_iNS9_4plusIvEENS9_8equal_toIvEEiEE10hipError_tPvRmT2_T3_T4_T5_mT6_T7_P12ihipStream_tbENKUlT_T0_E_clISt17integral_constantIbLb0EES10_IbLb1EEEEDaSW_SX_EUlSW_E_NS1_11comp_targetILNS1_3genE10ELNS1_11target_archE1201ELNS1_3gpuE5ELNS1_3repE0EEENS1_30default_config_static_selectorELNS0_4arch9wavefront6targetE1EEEvT1_ ; -- Begin function _ZN7rocprim17ROCPRIM_400000_NS6detail17trampoline_kernelINS0_14default_configENS1_27scan_by_key_config_selectorIiiEEZZNS1_16scan_by_key_implILNS1_25lookback_scan_determinismE0ELb1ES3_N6thrust23THRUST_200600_302600_NS6detail15normal_iteratorINS9_10device_ptrIiEEEENSB_INSC_IjEEEESE_iNS9_4plusIvEENS9_8equal_toIvEEiEE10hipError_tPvRmT2_T3_T4_T5_mT6_T7_P12ihipStream_tbENKUlT_T0_E_clISt17integral_constantIbLb0EES10_IbLb1EEEEDaSW_SX_EUlSW_E_NS1_11comp_targetILNS1_3genE10ELNS1_11target_archE1201ELNS1_3gpuE5ELNS1_3repE0EEENS1_30default_config_static_selectorELNS0_4arch9wavefront6targetE1EEEvT1_
	.globl	_ZN7rocprim17ROCPRIM_400000_NS6detail17trampoline_kernelINS0_14default_configENS1_27scan_by_key_config_selectorIiiEEZZNS1_16scan_by_key_implILNS1_25lookback_scan_determinismE0ELb1ES3_N6thrust23THRUST_200600_302600_NS6detail15normal_iteratorINS9_10device_ptrIiEEEENSB_INSC_IjEEEESE_iNS9_4plusIvEENS9_8equal_toIvEEiEE10hipError_tPvRmT2_T3_T4_T5_mT6_T7_P12ihipStream_tbENKUlT_T0_E_clISt17integral_constantIbLb0EES10_IbLb1EEEEDaSW_SX_EUlSW_E_NS1_11comp_targetILNS1_3genE10ELNS1_11target_archE1201ELNS1_3gpuE5ELNS1_3repE0EEENS1_30default_config_static_selectorELNS0_4arch9wavefront6targetE1EEEvT1_
	.p2align	8
	.type	_ZN7rocprim17ROCPRIM_400000_NS6detail17trampoline_kernelINS0_14default_configENS1_27scan_by_key_config_selectorIiiEEZZNS1_16scan_by_key_implILNS1_25lookback_scan_determinismE0ELb1ES3_N6thrust23THRUST_200600_302600_NS6detail15normal_iteratorINS9_10device_ptrIiEEEENSB_INSC_IjEEEESE_iNS9_4plusIvEENS9_8equal_toIvEEiEE10hipError_tPvRmT2_T3_T4_T5_mT6_T7_P12ihipStream_tbENKUlT_T0_E_clISt17integral_constantIbLb0EES10_IbLb1EEEEDaSW_SX_EUlSW_E_NS1_11comp_targetILNS1_3genE10ELNS1_11target_archE1201ELNS1_3gpuE5ELNS1_3repE0EEENS1_30default_config_static_selectorELNS0_4arch9wavefront6targetE1EEEvT1_,@function
_ZN7rocprim17ROCPRIM_400000_NS6detail17trampoline_kernelINS0_14default_configENS1_27scan_by_key_config_selectorIiiEEZZNS1_16scan_by_key_implILNS1_25lookback_scan_determinismE0ELb1ES3_N6thrust23THRUST_200600_302600_NS6detail15normal_iteratorINS9_10device_ptrIiEEEENSB_INSC_IjEEEESE_iNS9_4plusIvEENS9_8equal_toIvEEiEE10hipError_tPvRmT2_T3_T4_T5_mT6_T7_P12ihipStream_tbENKUlT_T0_E_clISt17integral_constantIbLb0EES10_IbLb1EEEEDaSW_SX_EUlSW_E_NS1_11comp_targetILNS1_3genE10ELNS1_11target_archE1201ELNS1_3gpuE5ELNS1_3repE0EEENS1_30default_config_static_selectorELNS0_4arch9wavefront6targetE1EEEvT1_: ; @_ZN7rocprim17ROCPRIM_400000_NS6detail17trampoline_kernelINS0_14default_configENS1_27scan_by_key_config_selectorIiiEEZZNS1_16scan_by_key_implILNS1_25lookback_scan_determinismE0ELb1ES3_N6thrust23THRUST_200600_302600_NS6detail15normal_iteratorINS9_10device_ptrIiEEEENSB_INSC_IjEEEESE_iNS9_4plusIvEENS9_8equal_toIvEEiEE10hipError_tPvRmT2_T3_T4_T5_mT6_T7_P12ihipStream_tbENKUlT_T0_E_clISt17integral_constantIbLb0EES10_IbLb1EEEEDaSW_SX_EUlSW_E_NS1_11comp_targetILNS1_3genE10ELNS1_11target_archE1201ELNS1_3gpuE5ELNS1_3repE0EEENS1_30default_config_static_selectorELNS0_4arch9wavefront6targetE1EEEvT1_
; %bb.0:
	.section	.rodata,"a",@progbits
	.p2align	6, 0x0
	.amdhsa_kernel _ZN7rocprim17ROCPRIM_400000_NS6detail17trampoline_kernelINS0_14default_configENS1_27scan_by_key_config_selectorIiiEEZZNS1_16scan_by_key_implILNS1_25lookback_scan_determinismE0ELb1ES3_N6thrust23THRUST_200600_302600_NS6detail15normal_iteratorINS9_10device_ptrIiEEEENSB_INSC_IjEEEESE_iNS9_4plusIvEENS9_8equal_toIvEEiEE10hipError_tPvRmT2_T3_T4_T5_mT6_T7_P12ihipStream_tbENKUlT_T0_E_clISt17integral_constantIbLb0EES10_IbLb1EEEEDaSW_SX_EUlSW_E_NS1_11comp_targetILNS1_3genE10ELNS1_11target_archE1201ELNS1_3gpuE5ELNS1_3repE0EEENS1_30default_config_static_selectorELNS0_4arch9wavefront6targetE1EEEvT1_
		.amdhsa_group_segment_fixed_size 0
		.amdhsa_private_segment_fixed_size 0
		.amdhsa_kernarg_size 112
		.amdhsa_user_sgpr_count 6
		.amdhsa_user_sgpr_private_segment_buffer 1
		.amdhsa_user_sgpr_dispatch_ptr 0
		.amdhsa_user_sgpr_queue_ptr 0
		.amdhsa_user_sgpr_kernarg_segment_ptr 1
		.amdhsa_user_sgpr_dispatch_id 0
		.amdhsa_user_sgpr_flat_scratch_init 0
		.amdhsa_user_sgpr_kernarg_preload_length 0
		.amdhsa_user_sgpr_kernarg_preload_offset 0
		.amdhsa_user_sgpr_private_segment_size 0
		.amdhsa_uses_dynamic_stack 0
		.amdhsa_system_sgpr_private_segment_wavefront_offset 0
		.amdhsa_system_sgpr_workgroup_id_x 1
		.amdhsa_system_sgpr_workgroup_id_y 0
		.amdhsa_system_sgpr_workgroup_id_z 0
		.amdhsa_system_sgpr_workgroup_info 0
		.amdhsa_system_vgpr_workitem_id 0
		.amdhsa_next_free_vgpr 1
		.amdhsa_next_free_sgpr 0
		.amdhsa_accum_offset 4
		.amdhsa_reserve_vcc 0
		.amdhsa_reserve_flat_scratch 0
		.amdhsa_float_round_mode_32 0
		.amdhsa_float_round_mode_16_64 0
		.amdhsa_float_denorm_mode_32 3
		.amdhsa_float_denorm_mode_16_64 3
		.amdhsa_dx10_clamp 1
		.amdhsa_ieee_mode 1
		.amdhsa_fp16_overflow 0
		.amdhsa_tg_split 0
		.amdhsa_exception_fp_ieee_invalid_op 0
		.amdhsa_exception_fp_denorm_src 0
		.amdhsa_exception_fp_ieee_div_zero 0
		.amdhsa_exception_fp_ieee_overflow 0
		.amdhsa_exception_fp_ieee_underflow 0
		.amdhsa_exception_fp_ieee_inexact 0
		.amdhsa_exception_int_div_zero 0
	.end_amdhsa_kernel
	.section	.text._ZN7rocprim17ROCPRIM_400000_NS6detail17trampoline_kernelINS0_14default_configENS1_27scan_by_key_config_selectorIiiEEZZNS1_16scan_by_key_implILNS1_25lookback_scan_determinismE0ELb1ES3_N6thrust23THRUST_200600_302600_NS6detail15normal_iteratorINS9_10device_ptrIiEEEENSB_INSC_IjEEEESE_iNS9_4plusIvEENS9_8equal_toIvEEiEE10hipError_tPvRmT2_T3_T4_T5_mT6_T7_P12ihipStream_tbENKUlT_T0_E_clISt17integral_constantIbLb0EES10_IbLb1EEEEDaSW_SX_EUlSW_E_NS1_11comp_targetILNS1_3genE10ELNS1_11target_archE1201ELNS1_3gpuE5ELNS1_3repE0EEENS1_30default_config_static_selectorELNS0_4arch9wavefront6targetE1EEEvT1_,"axG",@progbits,_ZN7rocprim17ROCPRIM_400000_NS6detail17trampoline_kernelINS0_14default_configENS1_27scan_by_key_config_selectorIiiEEZZNS1_16scan_by_key_implILNS1_25lookback_scan_determinismE0ELb1ES3_N6thrust23THRUST_200600_302600_NS6detail15normal_iteratorINS9_10device_ptrIiEEEENSB_INSC_IjEEEESE_iNS9_4plusIvEENS9_8equal_toIvEEiEE10hipError_tPvRmT2_T3_T4_T5_mT6_T7_P12ihipStream_tbENKUlT_T0_E_clISt17integral_constantIbLb0EES10_IbLb1EEEEDaSW_SX_EUlSW_E_NS1_11comp_targetILNS1_3genE10ELNS1_11target_archE1201ELNS1_3gpuE5ELNS1_3repE0EEENS1_30default_config_static_selectorELNS0_4arch9wavefront6targetE1EEEvT1_,comdat
.Lfunc_end1780:
	.size	_ZN7rocprim17ROCPRIM_400000_NS6detail17trampoline_kernelINS0_14default_configENS1_27scan_by_key_config_selectorIiiEEZZNS1_16scan_by_key_implILNS1_25lookback_scan_determinismE0ELb1ES3_N6thrust23THRUST_200600_302600_NS6detail15normal_iteratorINS9_10device_ptrIiEEEENSB_INSC_IjEEEESE_iNS9_4plusIvEENS9_8equal_toIvEEiEE10hipError_tPvRmT2_T3_T4_T5_mT6_T7_P12ihipStream_tbENKUlT_T0_E_clISt17integral_constantIbLb0EES10_IbLb1EEEEDaSW_SX_EUlSW_E_NS1_11comp_targetILNS1_3genE10ELNS1_11target_archE1201ELNS1_3gpuE5ELNS1_3repE0EEENS1_30default_config_static_selectorELNS0_4arch9wavefront6targetE1EEEvT1_, .Lfunc_end1780-_ZN7rocprim17ROCPRIM_400000_NS6detail17trampoline_kernelINS0_14default_configENS1_27scan_by_key_config_selectorIiiEEZZNS1_16scan_by_key_implILNS1_25lookback_scan_determinismE0ELb1ES3_N6thrust23THRUST_200600_302600_NS6detail15normal_iteratorINS9_10device_ptrIiEEEENSB_INSC_IjEEEESE_iNS9_4plusIvEENS9_8equal_toIvEEiEE10hipError_tPvRmT2_T3_T4_T5_mT6_T7_P12ihipStream_tbENKUlT_T0_E_clISt17integral_constantIbLb0EES10_IbLb1EEEEDaSW_SX_EUlSW_E_NS1_11comp_targetILNS1_3genE10ELNS1_11target_archE1201ELNS1_3gpuE5ELNS1_3repE0EEENS1_30default_config_static_selectorELNS0_4arch9wavefront6targetE1EEEvT1_
                                        ; -- End function
	.section	.AMDGPU.csdata,"",@progbits
; Kernel info:
; codeLenInByte = 0
; NumSgprs: 4
; NumVgprs: 0
; NumAgprs: 0
; TotalNumVgprs: 0
; ScratchSize: 0
; MemoryBound: 0
; FloatMode: 240
; IeeeMode: 1
; LDSByteSize: 0 bytes/workgroup (compile time only)
; SGPRBlocks: 0
; VGPRBlocks: 0
; NumSGPRsForWavesPerEU: 4
; NumVGPRsForWavesPerEU: 1
; AccumOffset: 4
; Occupancy: 8
; WaveLimiterHint : 0
; COMPUTE_PGM_RSRC2:SCRATCH_EN: 0
; COMPUTE_PGM_RSRC2:USER_SGPR: 6
; COMPUTE_PGM_RSRC2:TRAP_HANDLER: 0
; COMPUTE_PGM_RSRC2:TGID_X_EN: 1
; COMPUTE_PGM_RSRC2:TGID_Y_EN: 0
; COMPUTE_PGM_RSRC2:TGID_Z_EN: 0
; COMPUTE_PGM_RSRC2:TIDIG_COMP_CNT: 0
; COMPUTE_PGM_RSRC3_GFX90A:ACCUM_OFFSET: 0
; COMPUTE_PGM_RSRC3_GFX90A:TG_SPLIT: 0
	.section	.text._ZN7rocprim17ROCPRIM_400000_NS6detail17trampoline_kernelINS0_14default_configENS1_27scan_by_key_config_selectorIiiEEZZNS1_16scan_by_key_implILNS1_25lookback_scan_determinismE0ELb1ES3_N6thrust23THRUST_200600_302600_NS6detail15normal_iteratorINS9_10device_ptrIiEEEENSB_INSC_IjEEEESE_iNS9_4plusIvEENS9_8equal_toIvEEiEE10hipError_tPvRmT2_T3_T4_T5_mT6_T7_P12ihipStream_tbENKUlT_T0_E_clISt17integral_constantIbLb0EES10_IbLb1EEEEDaSW_SX_EUlSW_E_NS1_11comp_targetILNS1_3genE5ELNS1_11target_archE942ELNS1_3gpuE9ELNS1_3repE0EEENS1_30default_config_static_selectorELNS0_4arch9wavefront6targetE1EEEvT1_,"axG",@progbits,_ZN7rocprim17ROCPRIM_400000_NS6detail17trampoline_kernelINS0_14default_configENS1_27scan_by_key_config_selectorIiiEEZZNS1_16scan_by_key_implILNS1_25lookback_scan_determinismE0ELb1ES3_N6thrust23THRUST_200600_302600_NS6detail15normal_iteratorINS9_10device_ptrIiEEEENSB_INSC_IjEEEESE_iNS9_4plusIvEENS9_8equal_toIvEEiEE10hipError_tPvRmT2_T3_T4_T5_mT6_T7_P12ihipStream_tbENKUlT_T0_E_clISt17integral_constantIbLb0EES10_IbLb1EEEEDaSW_SX_EUlSW_E_NS1_11comp_targetILNS1_3genE5ELNS1_11target_archE942ELNS1_3gpuE9ELNS1_3repE0EEENS1_30default_config_static_selectorELNS0_4arch9wavefront6targetE1EEEvT1_,comdat
	.protected	_ZN7rocprim17ROCPRIM_400000_NS6detail17trampoline_kernelINS0_14default_configENS1_27scan_by_key_config_selectorIiiEEZZNS1_16scan_by_key_implILNS1_25lookback_scan_determinismE0ELb1ES3_N6thrust23THRUST_200600_302600_NS6detail15normal_iteratorINS9_10device_ptrIiEEEENSB_INSC_IjEEEESE_iNS9_4plusIvEENS9_8equal_toIvEEiEE10hipError_tPvRmT2_T3_T4_T5_mT6_T7_P12ihipStream_tbENKUlT_T0_E_clISt17integral_constantIbLb0EES10_IbLb1EEEEDaSW_SX_EUlSW_E_NS1_11comp_targetILNS1_3genE5ELNS1_11target_archE942ELNS1_3gpuE9ELNS1_3repE0EEENS1_30default_config_static_selectorELNS0_4arch9wavefront6targetE1EEEvT1_ ; -- Begin function _ZN7rocprim17ROCPRIM_400000_NS6detail17trampoline_kernelINS0_14default_configENS1_27scan_by_key_config_selectorIiiEEZZNS1_16scan_by_key_implILNS1_25lookback_scan_determinismE0ELb1ES3_N6thrust23THRUST_200600_302600_NS6detail15normal_iteratorINS9_10device_ptrIiEEEENSB_INSC_IjEEEESE_iNS9_4plusIvEENS9_8equal_toIvEEiEE10hipError_tPvRmT2_T3_T4_T5_mT6_T7_P12ihipStream_tbENKUlT_T0_E_clISt17integral_constantIbLb0EES10_IbLb1EEEEDaSW_SX_EUlSW_E_NS1_11comp_targetILNS1_3genE5ELNS1_11target_archE942ELNS1_3gpuE9ELNS1_3repE0EEENS1_30default_config_static_selectorELNS0_4arch9wavefront6targetE1EEEvT1_
	.globl	_ZN7rocprim17ROCPRIM_400000_NS6detail17trampoline_kernelINS0_14default_configENS1_27scan_by_key_config_selectorIiiEEZZNS1_16scan_by_key_implILNS1_25lookback_scan_determinismE0ELb1ES3_N6thrust23THRUST_200600_302600_NS6detail15normal_iteratorINS9_10device_ptrIiEEEENSB_INSC_IjEEEESE_iNS9_4plusIvEENS9_8equal_toIvEEiEE10hipError_tPvRmT2_T3_T4_T5_mT6_T7_P12ihipStream_tbENKUlT_T0_E_clISt17integral_constantIbLb0EES10_IbLb1EEEEDaSW_SX_EUlSW_E_NS1_11comp_targetILNS1_3genE5ELNS1_11target_archE942ELNS1_3gpuE9ELNS1_3repE0EEENS1_30default_config_static_selectorELNS0_4arch9wavefront6targetE1EEEvT1_
	.p2align	8
	.type	_ZN7rocprim17ROCPRIM_400000_NS6detail17trampoline_kernelINS0_14default_configENS1_27scan_by_key_config_selectorIiiEEZZNS1_16scan_by_key_implILNS1_25lookback_scan_determinismE0ELb1ES3_N6thrust23THRUST_200600_302600_NS6detail15normal_iteratorINS9_10device_ptrIiEEEENSB_INSC_IjEEEESE_iNS9_4plusIvEENS9_8equal_toIvEEiEE10hipError_tPvRmT2_T3_T4_T5_mT6_T7_P12ihipStream_tbENKUlT_T0_E_clISt17integral_constantIbLb0EES10_IbLb1EEEEDaSW_SX_EUlSW_E_NS1_11comp_targetILNS1_3genE5ELNS1_11target_archE942ELNS1_3gpuE9ELNS1_3repE0EEENS1_30default_config_static_selectorELNS0_4arch9wavefront6targetE1EEEvT1_,@function
_ZN7rocprim17ROCPRIM_400000_NS6detail17trampoline_kernelINS0_14default_configENS1_27scan_by_key_config_selectorIiiEEZZNS1_16scan_by_key_implILNS1_25lookback_scan_determinismE0ELb1ES3_N6thrust23THRUST_200600_302600_NS6detail15normal_iteratorINS9_10device_ptrIiEEEENSB_INSC_IjEEEESE_iNS9_4plusIvEENS9_8equal_toIvEEiEE10hipError_tPvRmT2_T3_T4_T5_mT6_T7_P12ihipStream_tbENKUlT_T0_E_clISt17integral_constantIbLb0EES10_IbLb1EEEEDaSW_SX_EUlSW_E_NS1_11comp_targetILNS1_3genE5ELNS1_11target_archE942ELNS1_3gpuE9ELNS1_3repE0EEENS1_30default_config_static_selectorELNS0_4arch9wavefront6targetE1EEEvT1_: ; @_ZN7rocprim17ROCPRIM_400000_NS6detail17trampoline_kernelINS0_14default_configENS1_27scan_by_key_config_selectorIiiEEZZNS1_16scan_by_key_implILNS1_25lookback_scan_determinismE0ELb1ES3_N6thrust23THRUST_200600_302600_NS6detail15normal_iteratorINS9_10device_ptrIiEEEENSB_INSC_IjEEEESE_iNS9_4plusIvEENS9_8equal_toIvEEiEE10hipError_tPvRmT2_T3_T4_T5_mT6_T7_P12ihipStream_tbENKUlT_T0_E_clISt17integral_constantIbLb0EES10_IbLb1EEEEDaSW_SX_EUlSW_E_NS1_11comp_targetILNS1_3genE5ELNS1_11target_archE942ELNS1_3gpuE9ELNS1_3repE0EEENS1_30default_config_static_selectorELNS0_4arch9wavefront6targetE1EEEvT1_
; %bb.0:
	.section	.rodata,"a",@progbits
	.p2align	6, 0x0
	.amdhsa_kernel _ZN7rocprim17ROCPRIM_400000_NS6detail17trampoline_kernelINS0_14default_configENS1_27scan_by_key_config_selectorIiiEEZZNS1_16scan_by_key_implILNS1_25lookback_scan_determinismE0ELb1ES3_N6thrust23THRUST_200600_302600_NS6detail15normal_iteratorINS9_10device_ptrIiEEEENSB_INSC_IjEEEESE_iNS9_4plusIvEENS9_8equal_toIvEEiEE10hipError_tPvRmT2_T3_T4_T5_mT6_T7_P12ihipStream_tbENKUlT_T0_E_clISt17integral_constantIbLb0EES10_IbLb1EEEEDaSW_SX_EUlSW_E_NS1_11comp_targetILNS1_3genE5ELNS1_11target_archE942ELNS1_3gpuE9ELNS1_3repE0EEENS1_30default_config_static_selectorELNS0_4arch9wavefront6targetE1EEEvT1_
		.amdhsa_group_segment_fixed_size 0
		.amdhsa_private_segment_fixed_size 0
		.amdhsa_kernarg_size 112
		.amdhsa_user_sgpr_count 6
		.amdhsa_user_sgpr_private_segment_buffer 1
		.amdhsa_user_sgpr_dispatch_ptr 0
		.amdhsa_user_sgpr_queue_ptr 0
		.amdhsa_user_sgpr_kernarg_segment_ptr 1
		.amdhsa_user_sgpr_dispatch_id 0
		.amdhsa_user_sgpr_flat_scratch_init 0
		.amdhsa_user_sgpr_kernarg_preload_length 0
		.amdhsa_user_sgpr_kernarg_preload_offset 0
		.amdhsa_user_sgpr_private_segment_size 0
		.amdhsa_uses_dynamic_stack 0
		.amdhsa_system_sgpr_private_segment_wavefront_offset 0
		.amdhsa_system_sgpr_workgroup_id_x 1
		.amdhsa_system_sgpr_workgroup_id_y 0
		.amdhsa_system_sgpr_workgroup_id_z 0
		.amdhsa_system_sgpr_workgroup_info 0
		.amdhsa_system_vgpr_workitem_id 0
		.amdhsa_next_free_vgpr 1
		.amdhsa_next_free_sgpr 0
		.amdhsa_accum_offset 4
		.amdhsa_reserve_vcc 0
		.amdhsa_reserve_flat_scratch 0
		.amdhsa_float_round_mode_32 0
		.amdhsa_float_round_mode_16_64 0
		.amdhsa_float_denorm_mode_32 3
		.amdhsa_float_denorm_mode_16_64 3
		.amdhsa_dx10_clamp 1
		.amdhsa_ieee_mode 1
		.amdhsa_fp16_overflow 0
		.amdhsa_tg_split 0
		.amdhsa_exception_fp_ieee_invalid_op 0
		.amdhsa_exception_fp_denorm_src 0
		.amdhsa_exception_fp_ieee_div_zero 0
		.amdhsa_exception_fp_ieee_overflow 0
		.amdhsa_exception_fp_ieee_underflow 0
		.amdhsa_exception_fp_ieee_inexact 0
		.amdhsa_exception_int_div_zero 0
	.end_amdhsa_kernel
	.section	.text._ZN7rocprim17ROCPRIM_400000_NS6detail17trampoline_kernelINS0_14default_configENS1_27scan_by_key_config_selectorIiiEEZZNS1_16scan_by_key_implILNS1_25lookback_scan_determinismE0ELb1ES3_N6thrust23THRUST_200600_302600_NS6detail15normal_iteratorINS9_10device_ptrIiEEEENSB_INSC_IjEEEESE_iNS9_4plusIvEENS9_8equal_toIvEEiEE10hipError_tPvRmT2_T3_T4_T5_mT6_T7_P12ihipStream_tbENKUlT_T0_E_clISt17integral_constantIbLb0EES10_IbLb1EEEEDaSW_SX_EUlSW_E_NS1_11comp_targetILNS1_3genE5ELNS1_11target_archE942ELNS1_3gpuE9ELNS1_3repE0EEENS1_30default_config_static_selectorELNS0_4arch9wavefront6targetE1EEEvT1_,"axG",@progbits,_ZN7rocprim17ROCPRIM_400000_NS6detail17trampoline_kernelINS0_14default_configENS1_27scan_by_key_config_selectorIiiEEZZNS1_16scan_by_key_implILNS1_25lookback_scan_determinismE0ELb1ES3_N6thrust23THRUST_200600_302600_NS6detail15normal_iteratorINS9_10device_ptrIiEEEENSB_INSC_IjEEEESE_iNS9_4plusIvEENS9_8equal_toIvEEiEE10hipError_tPvRmT2_T3_T4_T5_mT6_T7_P12ihipStream_tbENKUlT_T0_E_clISt17integral_constantIbLb0EES10_IbLb1EEEEDaSW_SX_EUlSW_E_NS1_11comp_targetILNS1_3genE5ELNS1_11target_archE942ELNS1_3gpuE9ELNS1_3repE0EEENS1_30default_config_static_selectorELNS0_4arch9wavefront6targetE1EEEvT1_,comdat
.Lfunc_end1781:
	.size	_ZN7rocprim17ROCPRIM_400000_NS6detail17trampoline_kernelINS0_14default_configENS1_27scan_by_key_config_selectorIiiEEZZNS1_16scan_by_key_implILNS1_25lookback_scan_determinismE0ELb1ES3_N6thrust23THRUST_200600_302600_NS6detail15normal_iteratorINS9_10device_ptrIiEEEENSB_INSC_IjEEEESE_iNS9_4plusIvEENS9_8equal_toIvEEiEE10hipError_tPvRmT2_T3_T4_T5_mT6_T7_P12ihipStream_tbENKUlT_T0_E_clISt17integral_constantIbLb0EES10_IbLb1EEEEDaSW_SX_EUlSW_E_NS1_11comp_targetILNS1_3genE5ELNS1_11target_archE942ELNS1_3gpuE9ELNS1_3repE0EEENS1_30default_config_static_selectorELNS0_4arch9wavefront6targetE1EEEvT1_, .Lfunc_end1781-_ZN7rocprim17ROCPRIM_400000_NS6detail17trampoline_kernelINS0_14default_configENS1_27scan_by_key_config_selectorIiiEEZZNS1_16scan_by_key_implILNS1_25lookback_scan_determinismE0ELb1ES3_N6thrust23THRUST_200600_302600_NS6detail15normal_iteratorINS9_10device_ptrIiEEEENSB_INSC_IjEEEESE_iNS9_4plusIvEENS9_8equal_toIvEEiEE10hipError_tPvRmT2_T3_T4_T5_mT6_T7_P12ihipStream_tbENKUlT_T0_E_clISt17integral_constantIbLb0EES10_IbLb1EEEEDaSW_SX_EUlSW_E_NS1_11comp_targetILNS1_3genE5ELNS1_11target_archE942ELNS1_3gpuE9ELNS1_3repE0EEENS1_30default_config_static_selectorELNS0_4arch9wavefront6targetE1EEEvT1_
                                        ; -- End function
	.section	.AMDGPU.csdata,"",@progbits
; Kernel info:
; codeLenInByte = 0
; NumSgprs: 4
; NumVgprs: 0
; NumAgprs: 0
; TotalNumVgprs: 0
; ScratchSize: 0
; MemoryBound: 0
; FloatMode: 240
; IeeeMode: 1
; LDSByteSize: 0 bytes/workgroup (compile time only)
; SGPRBlocks: 0
; VGPRBlocks: 0
; NumSGPRsForWavesPerEU: 4
; NumVGPRsForWavesPerEU: 1
; AccumOffset: 4
; Occupancy: 8
; WaveLimiterHint : 0
; COMPUTE_PGM_RSRC2:SCRATCH_EN: 0
; COMPUTE_PGM_RSRC2:USER_SGPR: 6
; COMPUTE_PGM_RSRC2:TRAP_HANDLER: 0
; COMPUTE_PGM_RSRC2:TGID_X_EN: 1
; COMPUTE_PGM_RSRC2:TGID_Y_EN: 0
; COMPUTE_PGM_RSRC2:TGID_Z_EN: 0
; COMPUTE_PGM_RSRC2:TIDIG_COMP_CNT: 0
; COMPUTE_PGM_RSRC3_GFX90A:ACCUM_OFFSET: 0
; COMPUTE_PGM_RSRC3_GFX90A:TG_SPLIT: 0
	.section	.text._ZN7rocprim17ROCPRIM_400000_NS6detail17trampoline_kernelINS0_14default_configENS1_27scan_by_key_config_selectorIiiEEZZNS1_16scan_by_key_implILNS1_25lookback_scan_determinismE0ELb1ES3_N6thrust23THRUST_200600_302600_NS6detail15normal_iteratorINS9_10device_ptrIiEEEENSB_INSC_IjEEEESE_iNS9_4plusIvEENS9_8equal_toIvEEiEE10hipError_tPvRmT2_T3_T4_T5_mT6_T7_P12ihipStream_tbENKUlT_T0_E_clISt17integral_constantIbLb0EES10_IbLb1EEEEDaSW_SX_EUlSW_E_NS1_11comp_targetILNS1_3genE4ELNS1_11target_archE910ELNS1_3gpuE8ELNS1_3repE0EEENS1_30default_config_static_selectorELNS0_4arch9wavefront6targetE1EEEvT1_,"axG",@progbits,_ZN7rocprim17ROCPRIM_400000_NS6detail17trampoline_kernelINS0_14default_configENS1_27scan_by_key_config_selectorIiiEEZZNS1_16scan_by_key_implILNS1_25lookback_scan_determinismE0ELb1ES3_N6thrust23THRUST_200600_302600_NS6detail15normal_iteratorINS9_10device_ptrIiEEEENSB_INSC_IjEEEESE_iNS9_4plusIvEENS9_8equal_toIvEEiEE10hipError_tPvRmT2_T3_T4_T5_mT6_T7_P12ihipStream_tbENKUlT_T0_E_clISt17integral_constantIbLb0EES10_IbLb1EEEEDaSW_SX_EUlSW_E_NS1_11comp_targetILNS1_3genE4ELNS1_11target_archE910ELNS1_3gpuE8ELNS1_3repE0EEENS1_30default_config_static_selectorELNS0_4arch9wavefront6targetE1EEEvT1_,comdat
	.protected	_ZN7rocprim17ROCPRIM_400000_NS6detail17trampoline_kernelINS0_14default_configENS1_27scan_by_key_config_selectorIiiEEZZNS1_16scan_by_key_implILNS1_25lookback_scan_determinismE0ELb1ES3_N6thrust23THRUST_200600_302600_NS6detail15normal_iteratorINS9_10device_ptrIiEEEENSB_INSC_IjEEEESE_iNS9_4plusIvEENS9_8equal_toIvEEiEE10hipError_tPvRmT2_T3_T4_T5_mT6_T7_P12ihipStream_tbENKUlT_T0_E_clISt17integral_constantIbLb0EES10_IbLb1EEEEDaSW_SX_EUlSW_E_NS1_11comp_targetILNS1_3genE4ELNS1_11target_archE910ELNS1_3gpuE8ELNS1_3repE0EEENS1_30default_config_static_selectorELNS0_4arch9wavefront6targetE1EEEvT1_ ; -- Begin function _ZN7rocprim17ROCPRIM_400000_NS6detail17trampoline_kernelINS0_14default_configENS1_27scan_by_key_config_selectorIiiEEZZNS1_16scan_by_key_implILNS1_25lookback_scan_determinismE0ELb1ES3_N6thrust23THRUST_200600_302600_NS6detail15normal_iteratorINS9_10device_ptrIiEEEENSB_INSC_IjEEEESE_iNS9_4plusIvEENS9_8equal_toIvEEiEE10hipError_tPvRmT2_T3_T4_T5_mT6_T7_P12ihipStream_tbENKUlT_T0_E_clISt17integral_constantIbLb0EES10_IbLb1EEEEDaSW_SX_EUlSW_E_NS1_11comp_targetILNS1_3genE4ELNS1_11target_archE910ELNS1_3gpuE8ELNS1_3repE0EEENS1_30default_config_static_selectorELNS0_4arch9wavefront6targetE1EEEvT1_
	.globl	_ZN7rocprim17ROCPRIM_400000_NS6detail17trampoline_kernelINS0_14default_configENS1_27scan_by_key_config_selectorIiiEEZZNS1_16scan_by_key_implILNS1_25lookback_scan_determinismE0ELb1ES3_N6thrust23THRUST_200600_302600_NS6detail15normal_iteratorINS9_10device_ptrIiEEEENSB_INSC_IjEEEESE_iNS9_4plusIvEENS9_8equal_toIvEEiEE10hipError_tPvRmT2_T3_T4_T5_mT6_T7_P12ihipStream_tbENKUlT_T0_E_clISt17integral_constantIbLb0EES10_IbLb1EEEEDaSW_SX_EUlSW_E_NS1_11comp_targetILNS1_3genE4ELNS1_11target_archE910ELNS1_3gpuE8ELNS1_3repE0EEENS1_30default_config_static_selectorELNS0_4arch9wavefront6targetE1EEEvT1_
	.p2align	8
	.type	_ZN7rocprim17ROCPRIM_400000_NS6detail17trampoline_kernelINS0_14default_configENS1_27scan_by_key_config_selectorIiiEEZZNS1_16scan_by_key_implILNS1_25lookback_scan_determinismE0ELb1ES3_N6thrust23THRUST_200600_302600_NS6detail15normal_iteratorINS9_10device_ptrIiEEEENSB_INSC_IjEEEESE_iNS9_4plusIvEENS9_8equal_toIvEEiEE10hipError_tPvRmT2_T3_T4_T5_mT6_T7_P12ihipStream_tbENKUlT_T0_E_clISt17integral_constantIbLb0EES10_IbLb1EEEEDaSW_SX_EUlSW_E_NS1_11comp_targetILNS1_3genE4ELNS1_11target_archE910ELNS1_3gpuE8ELNS1_3repE0EEENS1_30default_config_static_selectorELNS0_4arch9wavefront6targetE1EEEvT1_,@function
_ZN7rocprim17ROCPRIM_400000_NS6detail17trampoline_kernelINS0_14default_configENS1_27scan_by_key_config_selectorIiiEEZZNS1_16scan_by_key_implILNS1_25lookback_scan_determinismE0ELb1ES3_N6thrust23THRUST_200600_302600_NS6detail15normal_iteratorINS9_10device_ptrIiEEEENSB_INSC_IjEEEESE_iNS9_4plusIvEENS9_8equal_toIvEEiEE10hipError_tPvRmT2_T3_T4_T5_mT6_T7_P12ihipStream_tbENKUlT_T0_E_clISt17integral_constantIbLb0EES10_IbLb1EEEEDaSW_SX_EUlSW_E_NS1_11comp_targetILNS1_3genE4ELNS1_11target_archE910ELNS1_3gpuE8ELNS1_3repE0EEENS1_30default_config_static_selectorELNS0_4arch9wavefront6targetE1EEEvT1_: ; @_ZN7rocprim17ROCPRIM_400000_NS6detail17trampoline_kernelINS0_14default_configENS1_27scan_by_key_config_selectorIiiEEZZNS1_16scan_by_key_implILNS1_25lookback_scan_determinismE0ELb1ES3_N6thrust23THRUST_200600_302600_NS6detail15normal_iteratorINS9_10device_ptrIiEEEENSB_INSC_IjEEEESE_iNS9_4plusIvEENS9_8equal_toIvEEiEE10hipError_tPvRmT2_T3_T4_T5_mT6_T7_P12ihipStream_tbENKUlT_T0_E_clISt17integral_constantIbLb0EES10_IbLb1EEEEDaSW_SX_EUlSW_E_NS1_11comp_targetILNS1_3genE4ELNS1_11target_archE910ELNS1_3gpuE8ELNS1_3repE0EEENS1_30default_config_static_selectorELNS0_4arch9wavefront6targetE1EEEvT1_
; %bb.0:
	s_load_dword s54, s[4:5], 0x20
	s_load_dwordx4 s[44:47], s[4:5], 0x28
	s_load_dwordx2 s[52:53], s[4:5], 0x38
	v_cmp_eq_u32_e64 s[0:1], 0, v0
	s_and_saveexec_b64 s[2:3], s[0:1]
	s_cbranch_execz .LBB1782_4
; %bb.1:
	s_mov_b64 s[8:9], exec
	v_mbcnt_lo_u32_b32 v1, s8, 0
	v_mbcnt_hi_u32_b32 v1, s9, v1
	v_cmp_eq_u32_e32 vcc, 0, v1
                                        ; implicit-def: $vgpr2
	s_and_saveexec_b64 s[6:7], vcc
	s_cbranch_execz .LBB1782_3
; %bb.2:
	s_load_dwordx2 s[10:11], s[4:5], 0x68
	s_bcnt1_i32_b64 s8, s[8:9]
	v_mov_b32_e32 v2, 0
	v_mov_b32_e32 v3, s8
	s_waitcnt lgkmcnt(0)
	global_atomic_add v2, v2, v3, s[10:11] glc
.LBB1782_3:
	s_or_b64 exec, exec, s[6:7]
	s_waitcnt vmcnt(0)
	v_readfirstlane_b32 s6, v2
	v_add_u32_e32 v1, s6, v1
	v_mov_b32_e32 v2, 0
	ds_write_b32 v2, v1
.LBB1782_4:
	s_or_b64 exec, exec, s[2:3]
	s_load_dwordx8 s[36:43], s[4:5], 0x0
	s_load_dword s2, s[4:5], 0x40
	s_load_dwordx4 s[48:51], s[4:5], 0x48
	v_mov_b32_e32 v3, 0
	s_waitcnt lgkmcnt(0)
	s_lshl_b64 s[34:35], s[38:39], 2
	s_barrier
	ds_read_b32 v4, v3
	s_add_u32 s3, s36, s34
	s_addc_u32 s4, s37, s35
	s_add_u32 s5, s40, s34
	s_mul_i32 s7, s53, s2
	s_mul_hi_u32 s8, s52, s2
	s_addc_u32 s6, s41, s35
	s_add_i32 s7, s8, s7
	s_movk_i32 s8, 0xe00
	s_waitcnt lgkmcnt(0)
	v_mul_lo_u32 v2, v4, s8
	v_lshlrev_b64 v[38:39], 2, v[2:3]
	v_mov_b32_e32 v1, s4
	v_add_co_u32_e32 v42, vcc, s3, v38
	v_addc_co_u32_e32 v43, vcc, v1, v39, vcc
	v_mov_b32_e32 v2, s6
	v_add_co_u32_e32 v1, vcc, s5, v38
	s_mul_i32 s2, s52, s2
	v_addc_co_u32_e32 v48, vcc, v2, v39, vcc
	v_mov_b32_e32 v3, s7
	v_add_co_u32_e32 v2, vcc, s2, v4
	s_add_u32 s4, s48, -1
	v_addc_co_u32_e32 v3, vcc, 0, v3, vcc
	s_addc_u32 s5, s49, -1
	v_cmp_le_u64_e64 s[2:3], s[4:5], v[2:3]
	v_readfirstlane_b32 s47, v4
	s_mov_b64 s[12:13], -1
	s_and_b64 vcc, exec, s[2:3]
	s_mul_i32 s33, s4, 0xfffff200
	s_barrier
	s_barrier
	s_cbranch_vccz .LBB1782_80
; %bb.5:
	flat_load_dword v13, v[42:43]
	s_add_i32 s40, s33, s46
	v_cmp_gt_u32_e32 vcc, s40, v0
	s_waitcnt vmcnt(0) lgkmcnt(0)
	v_mov_b32_e32 v14, v13
	s_and_saveexec_b64 s[6:7], vcc
	s_cbranch_execz .LBB1782_7
; %bb.6:
	v_lshlrev_b32_e32 v2, 2, v0
	v_add_co_u32_e64 v2, s[4:5], v42, v2
	v_addc_co_u32_e64 v3, s[4:5], 0, v43, s[4:5]
	flat_load_dword v14, v[2:3]
.LBB1782_7:
	s_or_b64 exec, exec, s[6:7]
	v_or_b32_e32 v2, 0x100, v0
	v_cmp_gt_u32_e64 s[4:5], s40, v2
	v_mov_b32_e32 v15, v13
	s_and_saveexec_b64 s[8:9], s[4:5]
	s_cbranch_execz .LBB1782_9
; %bb.8:
	v_lshlrev_b32_e32 v2, 2, v0
	v_add_co_u32_e64 v2, s[6:7], v42, v2
	v_addc_co_u32_e64 v3, s[6:7], 0, v43, s[6:7]
	flat_load_dword v15, v[2:3] offset:1024
.LBB1782_9:
	s_or_b64 exec, exec, s[8:9]
	v_or_b32_e32 v2, 0x200, v0
	v_cmp_gt_u32_e64 s[6:7], s40, v2
	v_mov_b32_e32 v16, v13
	s_and_saveexec_b64 s[10:11], s[6:7]
	s_cbranch_execz .LBB1782_11
; %bb.10:
	v_lshlrev_b32_e32 v2, 2, v0
	v_add_co_u32_e64 v2, s[8:9], v42, v2
	v_addc_co_u32_e64 v3, s[8:9], 0, v43, s[8:9]
	flat_load_dword v16, v[2:3] offset:2048
.LBB1782_11:
	s_or_b64 exec, exec, s[10:11]
	v_or_b32_e32 v2, 0x300, v0
	v_cmp_gt_u32_e64 s[8:9], s40, v2
	v_mov_b32_e32 v17, v13
	s_and_saveexec_b64 s[12:13], s[8:9]
	s_cbranch_execz .LBB1782_13
; %bb.12:
	v_lshlrev_b32_e32 v2, 2, v0
	v_add_co_u32_e64 v2, s[10:11], v42, v2
	v_addc_co_u32_e64 v3, s[10:11], 0, v43, s[10:11]
	flat_load_dword v17, v[2:3] offset:3072
.LBB1782_13:
	s_or_b64 exec, exec, s[12:13]
	v_or_b32_e32 v2, 0x400, v0
	v_cmp_gt_u32_e64 s[10:11], s40, v2
	v_lshlrev_b32_e32 v2, 2, v2
	v_mov_b32_e32 v18, v13
	s_and_saveexec_b64 s[14:15], s[10:11]
	s_cbranch_execz .LBB1782_15
; %bb.14:
	v_add_co_u32_e64 v4, s[12:13], v42, v2
	v_addc_co_u32_e64 v5, s[12:13], 0, v43, s[12:13]
	flat_load_dword v18, v[4:5]
.LBB1782_15:
	s_or_b64 exec, exec, s[14:15]
	v_or_b32_e32 v3, 0x500, v0
	v_cmp_gt_u32_e64 s[12:13], s40, v3
	v_lshlrev_b32_e32 v3, 2, v3
	v_mov_b32_e32 v19, v13
	s_and_saveexec_b64 s[16:17], s[12:13]
	s_cbranch_execz .LBB1782_17
; %bb.16:
	v_add_co_u32_e64 v4, s[14:15], v42, v3
	v_addc_co_u32_e64 v5, s[14:15], 0, v43, s[14:15]
	flat_load_dword v19, v[4:5]
.LBB1782_17:
	;; [unrolled: 12-line block ×9, first 2 shown]
	s_or_b64 exec, exec, s[30:31]
	v_or_b32_e32 v11, 0xd00, v0
	v_cmp_gt_u32_e64 s[28:29], s40, v11
	v_lshlrev_b32_e32 v11, 2, v11
	s_and_saveexec_b64 s[36:37], s[28:29]
	s_cbranch_execz .LBB1782_33
; %bb.32:
	v_add_co_u32_e64 v12, s[30:31], v42, v11
	v_addc_co_u32_e64 v13, s[30:31], 0, v43, s[30:31]
	flat_load_dword v13, v[12:13]
.LBB1782_33:
	s_or_b64 exec, exec, s[36:37]
	v_lshlrev_b32_e32 v12, 2, v0
	s_waitcnt vmcnt(0) lgkmcnt(0)
	ds_write2st64_b32 v12, v14, v15 offset1:4
	ds_write2st64_b32 v12, v16, v17 offset0:8 offset1:12
	ds_write2st64_b32 v12, v18, v19 offset0:16 offset1:20
	;; [unrolled: 1-line block ×6, first 2 shown]
	s_waitcnt lgkmcnt(0)
	s_barrier
	flat_load_dword v49, v[42:43]
	v_mad_u32_u24 v50, v0, 52, v12
	s_movk_i32 s30, 0xffcc
	ds_read2_b64 v[34:37], v50 offset1:1
	ds_read2_b64 v[30:33], v50 offset0:2 offset1:3
	ds_read2_b64 v[26:29], v50 offset0:4 offset1:5
	ds_read_b64 v[44:45], v50 offset:48
	v_mad_i32_i24 v13, v0, s30, v50
	s_movk_i32 s30, 0xff
	v_cmp_ne_u32_e64 s[30:31], s30, v0
	s_waitcnt lgkmcnt(0)
	ds_write_b32 v13, v34 offset:15360
	s_waitcnt lgkmcnt(0)
	s_barrier
	s_and_saveexec_b64 s[36:37], s[30:31]
	s_cbranch_execz .LBB1782_35
; %bb.34:
	s_waitcnt vmcnt(0)
	ds_read_b32 v49, v12 offset:15364
.LBB1782_35:
	s_or_b64 exec, exec, s[36:37]
	s_waitcnt lgkmcnt(0)
	s_barrier
	s_waitcnt lgkmcnt(0)
                                        ; implicit-def: $vgpr13
	s_and_saveexec_b64 s[30:31], vcc
	s_cbranch_execz .LBB1782_117
; %bb.36:
	v_add_co_u32_e32 v14, vcc, v1, v12
	v_addc_co_u32_e32 v15, vcc, 0, v48, vcc
	flat_load_dword v13, v[14:15]
	s_or_b64 exec, exec, s[30:31]
                                        ; implicit-def: $vgpr14
	s_and_saveexec_b64 s[30:31], s[4:5]
	s_cbranch_execnz .LBB1782_118
.LBB1782_37:
	s_or_b64 exec, exec, s[30:31]
                                        ; implicit-def: $vgpr15
	s_and_saveexec_b64 s[4:5], s[6:7]
	s_cbranch_execz .LBB1782_119
.LBB1782_38:
	v_add_co_u32_e32 v16, vcc, v1, v12
	v_addc_co_u32_e32 v17, vcc, 0, v48, vcc
	flat_load_dword v15, v[16:17] offset:2048
	s_or_b64 exec, exec, s[4:5]
                                        ; implicit-def: $vgpr16
	s_and_saveexec_b64 s[4:5], s[8:9]
	s_cbranch_execnz .LBB1782_120
.LBB1782_39:
	s_or_b64 exec, exec, s[4:5]
                                        ; implicit-def: $vgpr17
	s_and_saveexec_b64 s[4:5], s[10:11]
	s_cbranch_execz .LBB1782_121
.LBB1782_40:
	v_add_co_u32_e32 v18, vcc, v1, v2
	v_addc_co_u32_e32 v19, vcc, 0, v48, vcc
	flat_load_dword v17, v[18:19]
	s_or_b64 exec, exec, s[4:5]
                                        ; implicit-def: $vgpr2
	s_and_saveexec_b64 s[4:5], s[12:13]
	s_cbranch_execnz .LBB1782_122
.LBB1782_41:
	s_or_b64 exec, exec, s[4:5]
                                        ; implicit-def: $vgpr3
	s_and_saveexec_b64 s[4:5], s[14:15]
	s_cbranch_execz .LBB1782_123
.LBB1782_42:
	v_add_co_u32_e32 v18, vcc, v1, v4
	v_addc_co_u32_e32 v19, vcc, 0, v48, vcc
	flat_load_dword v3, v[18:19]
	s_or_b64 exec, exec, s[4:5]
                                        ; implicit-def: $vgpr4
	s_and_saveexec_b64 s[4:5], s[16:17]
	s_cbranch_execnz .LBB1782_124
.LBB1782_43:
	s_or_b64 exec, exec, s[4:5]
                                        ; implicit-def: $vgpr5
	s_and_saveexec_b64 s[4:5], s[18:19]
	s_cbranch_execz .LBB1782_125
.LBB1782_44:
	v_add_co_u32_e32 v18, vcc, v1, v6
	v_addc_co_u32_e32 v19, vcc, 0, v48, vcc
	flat_load_dword v5, v[18:19]
	s_or_b64 exec, exec, s[4:5]
                                        ; implicit-def: $vgpr6
	s_and_saveexec_b64 s[4:5], s[20:21]
	s_cbranch_execnz .LBB1782_126
.LBB1782_45:
	s_or_b64 exec, exec, s[4:5]
                                        ; implicit-def: $vgpr7
	s_and_saveexec_b64 s[4:5], s[22:23]
	s_cbranch_execz .LBB1782_127
.LBB1782_46:
	v_add_co_u32_e32 v18, vcc, v1, v8
	v_addc_co_u32_e32 v19, vcc, 0, v48, vcc
	flat_load_dword v7, v[18:19]
	s_or_b64 exec, exec, s[4:5]
                                        ; implicit-def: $vgpr8
	s_and_saveexec_b64 s[4:5], s[24:25]
	s_cbranch_execnz .LBB1782_128
.LBB1782_47:
	s_or_b64 exec, exec, s[4:5]
                                        ; implicit-def: $vgpr9
	s_and_saveexec_b64 s[4:5], s[26:27]
	s_cbranch_execz .LBB1782_49
.LBB1782_48:
	v_add_co_u32_e32 v18, vcc, v1, v10
	v_addc_co_u32_e32 v19, vcc, 0, v48, vcc
	flat_load_dword v9, v[18:19]
.LBB1782_49:
	s_or_b64 exec, exec, s[4:5]
	v_mul_u32_u24_e32 v51, 14, v0
                                        ; implicit-def: $vgpr10
	s_and_saveexec_b64 s[4:5], s[28:29]
	s_cbranch_execz .LBB1782_51
; %bb.50:
	v_add_co_u32_e32 v10, vcc, v1, v11
	v_addc_co_u32_e32 v11, vcc, 0, v48, vcc
	flat_load_dword v10, v[10:11]
.LBB1782_51:
	s_or_b64 exec, exec, s[4:5]
	s_mov_b32 s4, 0
	s_mov_b32 s5, s4
	s_waitcnt vmcnt(0) lgkmcnt(0)
	ds_write2st64_b32 v12, v13, v14 offset1:4
	ds_write2st64_b32 v12, v15, v16 offset0:8 offset1:12
	ds_write2st64_b32 v12, v17, v2 offset0:16 offset1:20
	;; [unrolled: 1-line block ×6, first 2 shown]
	s_mov_b32 s6, s4
	s_mov_b32 s7, s4
	;; [unrolled: 1-line block ×6, first 2 shown]
	v_pk_mov_b32 v[2:3], s[4:5], s[4:5] op_sel:[0,1]
	v_pk_mov_b32 v[8:9], s[10:11], s[10:11] op_sel:[0,1]
	;; [unrolled: 1-line block ×6, first 2 shown]
	v_cmp_gt_u32_e32 vcc, s40, v51
	s_mov_b64 s[12:13], 0
	v_pk_mov_b32 v[40:41], 0, 0
	s_mov_b64 s[18:19], 0
	v_pk_mov_b32 v[14:15], v[6:7], v[6:7] op_sel:[0,1]
	v_pk_mov_b32 v[12:13], v[4:5], v[4:5] op_sel:[0,1]
	;; [unrolled: 1-line block ×6, first 2 shown]
	s_waitcnt lgkmcnt(0)
	s_barrier
	s_waitcnt lgkmcnt(0)
                                        ; implicit-def: $sgpr16_sgpr17
                                        ; implicit-def: $vgpr46
	s_and_saveexec_b64 s[14:15], vcc
	s_cbranch_execz .LBB1782_79
; %bb.52:
	ds_read_b32 v2, v50
	v_mov_b32_e32 v4, s54
	v_cmp_eq_u32_e32 vcc, v34, v35
	v_or_b32_e32 v3, 1, v51
                                        ; implicit-def: $vgpr46
	s_waitcnt lgkmcnt(0)
	v_cndmask_b32_e32 v40, v4, v2, vcc
	v_cmp_ne_u32_e32 vcc, v34, v35
	v_cndmask_b32_e64 v41, 0, 1, vcc
	v_cmp_gt_u32_e32 vcc, s40, v3
	v_pk_mov_b32 v[2:3], s[4:5], s[4:5] op_sel:[0,1]
	v_pk_mov_b32 v[8:9], s[10:11], s[10:11] op_sel:[0,1]
	;; [unrolled: 1-line block ×12, first 2 shown]
                                        ; implicit-def: $sgpr4_sgpr5
	s_and_saveexec_b64 s[16:17], vcc
	s_cbranch_execz .LBB1782_78
; %bb.53:
	ds_read2_b32 v[46:47], v50 offset0:1 offset1:2
	s_mov_b32 s4, 0
	v_mov_b32_e32 v3, s54
	v_cmp_eq_u32_e32 vcc, v35, v36
	s_mov_b32 s10, s4
	s_mov_b32 s11, s4
	v_add_u32_e32 v2, 2, v51
	s_waitcnt lgkmcnt(0)
	v_cndmask_b32_e32 v8, v3, v46, vcc
	v_cmp_ne_u32_e32 vcc, v35, v36
	s_mov_b32 s5, s4
	s_mov_b32 s6, s4
	;; [unrolled: 1-line block ×5, first 2 shown]
	v_pk_mov_b32 v[16:17], s[10:11], s[10:11] op_sel:[0,1]
	v_cndmask_b32_e64 v9, 0, 1, vcc
	v_cmp_gt_u32_e32 vcc, s40, v2
	v_mov_b32_e32 v2, 0
	v_pk_mov_b32 v[14:15], s[8:9], s[8:9] op_sel:[0,1]
	v_pk_mov_b32 v[12:13], s[6:7], s[6:7] op_sel:[0,1]
	;; [unrolled: 1-line block ×4, first 2 shown]
	v_mov_b32_e32 v3, v2
	v_mov_b32_e32 v4, v2
	;; [unrolled: 1-line block ×5, first 2 shown]
	s_mov_b64 s[20:21], 0
	v_pk_mov_b32 v[22:23], v[14:15], v[14:15] op_sel:[0,1]
	v_pk_mov_b32 v[20:21], v[12:13], v[12:13] op_sel:[0,1]
	;; [unrolled: 1-line block ×3, first 2 shown]
                                        ; implicit-def: $sgpr24_sgpr25
                                        ; implicit-def: $vgpr46
	s_and_saveexec_b64 s[18:19], vcc
	s_cbranch_execz .LBB1782_77
; %bb.54:
	v_mov_b32_e32 v4, s54
	v_cmp_eq_u32_e32 vcc, v36, v37
	v_pk_mov_b32 v[16:17], s[10:11], s[10:11] op_sel:[0,1]
	v_add_u32_e32 v3, 3, v51
	v_cndmask_b32_e32 v6, v4, v47, vcc
	v_cmp_ne_u32_e32 vcc, v36, v37
	v_pk_mov_b32 v[14:15], s[8:9], s[8:9] op_sel:[0,1]
	v_pk_mov_b32 v[12:13], s[6:7], s[6:7] op_sel:[0,1]
	;; [unrolled: 1-line block ×4, first 2 shown]
	v_cndmask_b32_e64 v7, 0, 1, vcc
	v_cmp_gt_u32_e32 vcc, s40, v3
	v_mov_b32_e32 v3, v2
	v_mov_b32_e32 v4, v2
	;; [unrolled: 1-line block ×3, first 2 shown]
	s_mov_b64 s[22:23], 0
	v_pk_mov_b32 v[22:23], v[14:15], v[14:15] op_sel:[0,1]
	v_pk_mov_b32 v[20:21], v[12:13], v[12:13] op_sel:[0,1]
	;; [unrolled: 1-line block ×3, first 2 shown]
                                        ; implicit-def: $sgpr4_sgpr5
                                        ; implicit-def: $vgpr46
	s_and_saveexec_b64 s[20:21], vcc
	s_cbranch_execz .LBB1782_76
; %bb.55:
	ds_read2_b32 v[34:35], v50 offset0:3 offset1:4
	s_mov_b32 s4, 0
	s_mov_b32 s10, s4
	;; [unrolled: 1-line block ×3, first 2 shown]
	v_mov_b32_e32 v3, s54
	v_cmp_eq_u32_e32 vcc, v37, v30
	s_mov_b32 s5, s4
	s_mov_b32 s6, s4
	;; [unrolled: 1-line block ×5, first 2 shown]
	v_pk_mov_b32 v[16:17], s[10:11], s[10:11] op_sel:[0,1]
	v_add_u32_e32 v2, 4, v51
	s_waitcnt lgkmcnt(0)
	v_cndmask_b32_e32 v4, v3, v34, vcc
	v_cmp_ne_u32_e32 vcc, v37, v30
	v_pk_mov_b32 v[14:15], s[8:9], s[8:9] op_sel:[0,1]
	v_pk_mov_b32 v[12:13], s[6:7], s[6:7] op_sel:[0,1]
	;; [unrolled: 1-line block ×4, first 2 shown]
	v_cndmask_b32_e64 v5, 0, 1, vcc
	v_cmp_gt_u32_e32 vcc, s40, v2
	v_mov_b32_e32 v2, s4
	v_mov_b32_e32 v3, s4
	s_mov_b64 s[24:25], 0
	v_pk_mov_b32 v[22:23], v[14:15], v[14:15] op_sel:[0,1]
	v_pk_mov_b32 v[20:21], v[12:13], v[12:13] op_sel:[0,1]
	;; [unrolled: 1-line block ×3, first 2 shown]
                                        ; implicit-def: $sgpr26_sgpr27
                                        ; implicit-def: $vgpr46
	s_and_saveexec_b64 s[22:23], vcc
	s_cbranch_execz .LBB1782_75
; %bb.56:
	v_mov_b32_e32 v2, s54
	v_cmp_eq_u32_e32 vcc, v30, v31
	v_add_u32_e32 v10, 5, v51
	v_cndmask_b32_e32 v2, v2, v35, vcc
	v_cmp_ne_u32_e32 vcc, v30, v31
	v_cndmask_b32_e64 v3, 0, 1, vcc
	v_cmp_gt_u32_e32 vcc, s40, v10
	v_pk_mov_b32 v[16:17], s[10:11], s[10:11] op_sel:[0,1]
	v_pk_mov_b32 v[14:15], s[8:9], s[8:9] op_sel:[0,1]
	;; [unrolled: 1-line block ×5, first 2 shown]
	s_mov_b64 s[28:29], 0
	v_pk_mov_b32 v[22:23], v[14:15], v[14:15] op_sel:[0,1]
	v_pk_mov_b32 v[20:21], v[12:13], v[12:13] op_sel:[0,1]
	;; [unrolled: 1-line block ×3, first 2 shown]
                                        ; implicit-def: $sgpr4_sgpr5
                                        ; implicit-def: $vgpr46
	s_and_saveexec_b64 s[24:25], vcc
	s_cbranch_execz .LBB1782_74
; %bb.57:
	ds_read2_b32 v[34:35], v50 offset0:5 offset1:6
	v_mov_b32_e32 v11, s54
	v_cmp_eq_u32_e32 vcc, v31, v32
	s_mov_b32 s4, 0
	v_add_u32_e32 v10, 6, v51
	s_waitcnt lgkmcnt(0)
	v_cndmask_b32_e32 v16, v11, v34, vcc
	v_cmp_ne_u32_e32 vcc, v31, v32
	s_mov_b32 s10, s4
	s_mov_b32 s11, s4
	v_cndmask_b32_e64 v17, 0, 1, vcc
	v_cmp_gt_u32_e32 vcc, s40, v10
	v_mov_b32_e32 v10, 0
	s_mov_b32 s5, s4
	s_mov_b32 s6, s4
	;; [unrolled: 1-line block ×5, first 2 shown]
	v_pk_mov_b32 v[24:25], s[10:11], s[10:11] op_sel:[0,1]
	v_mov_b32_e32 v11, v10
	v_mov_b32_e32 v12, v10
	;; [unrolled: 1-line block ×5, first 2 shown]
	v_pk_mov_b32 v[22:23], s[8:9], s[8:9] op_sel:[0,1]
	v_pk_mov_b32 v[20:21], s[6:7], s[6:7] op_sel:[0,1]
	;; [unrolled: 1-line block ×3, first 2 shown]
                                        ; implicit-def: $sgpr36_sgpr37
                                        ; implicit-def: $vgpr46
	s_and_saveexec_b64 s[26:27], vcc
	s_cbranch_execz .LBB1782_73
; %bb.58:
	v_mov_b32_e32 v12, s54
	v_cmp_eq_u32_e32 vcc, v32, v33
	v_add_u32_e32 v11, 7, v51
	v_cndmask_b32_e32 v14, v12, v35, vcc
	v_cmp_ne_u32_e32 vcc, v32, v33
	v_pk_mov_b32 v[24:25], s[10:11], s[10:11] op_sel:[0,1]
	v_cndmask_b32_e64 v15, 0, 1, vcc
	v_cmp_gt_u32_e32 vcc, s40, v11
	v_mov_b32_e32 v11, v10
	v_mov_b32_e32 v12, v10
	;; [unrolled: 1-line block ×3, first 2 shown]
	s_mov_b64 s[30:31], 0
	v_pk_mov_b32 v[22:23], s[8:9], s[8:9] op_sel:[0,1]
	v_pk_mov_b32 v[20:21], s[6:7], s[6:7] op_sel:[0,1]
	;; [unrolled: 1-line block ×3, first 2 shown]
                                        ; implicit-def: $sgpr4_sgpr5
                                        ; implicit-def: $vgpr46
	s_and_saveexec_b64 s[28:29], vcc
	s_cbranch_execz .LBB1782_72
; %bb.59:
	ds_read2_b32 v[30:31], v50 offset0:7 offset1:8
	s_mov_b32 s4, 0
	v_mov_b32_e32 v11, s54
	v_cmp_eq_u32_e32 vcc, v33, v26
	s_mov_b32 s10, s4
	s_mov_b32 s11, s4
	v_add_u32_e32 v10, 8, v51
	s_waitcnt lgkmcnt(0)
	v_cndmask_b32_e32 v12, v11, v30, vcc
	v_cmp_ne_u32_e32 vcc, v33, v26
	s_mov_b32 s5, s4
	s_mov_b32 s6, s4
	;; [unrolled: 1-line block ×5, first 2 shown]
	v_pk_mov_b32 v[24:25], s[10:11], s[10:11] op_sel:[0,1]
	v_cndmask_b32_e64 v13, 0, 1, vcc
	v_cmp_gt_u32_e32 vcc, s40, v10
	v_mov_b32_e32 v10, s4
	v_mov_b32_e32 v11, s4
	s_mov_b64 s[36:37], 0
	v_pk_mov_b32 v[22:23], s[8:9], s[8:9] op_sel:[0,1]
	v_pk_mov_b32 v[20:21], s[6:7], s[6:7] op_sel:[0,1]
	v_pk_mov_b32 v[18:19], s[4:5], s[4:5] op_sel:[0,1]
                                        ; implicit-def: $sgpr38_sgpr39
                                        ; implicit-def: $vgpr46
	s_and_saveexec_b64 s[30:31], vcc
	s_cbranch_execz .LBB1782_71
; %bb.60:
	v_mov_b32_e32 v10, s54
	v_cmp_eq_u32_e32 vcc, v26, v27
	v_add_u32_e32 v18, 9, v51
	v_cndmask_b32_e32 v10, v10, v31, vcc
	v_cmp_ne_u32_e32 vcc, v26, v27
	v_cndmask_b32_e64 v11, 0, 1, vcc
	v_cmp_gt_u32_e32 vcc, s40, v18
	v_pk_mov_b32 v[24:25], s[10:11], s[10:11] op_sel:[0,1]
	v_pk_mov_b32 v[22:23], s[8:9], s[8:9] op_sel:[0,1]
	;; [unrolled: 1-line block ×4, first 2 shown]
                                        ; implicit-def: $sgpr6_sgpr7
                                        ; implicit-def: $vgpr46
	s_and_saveexec_b64 s[4:5], vcc
	s_cbranch_execz .LBB1782_70
; %bb.61:
	ds_read2_b32 v[30:31], v50 offset0:9 offset1:10
	v_mov_b32_e32 v18, s54
	v_cmp_eq_u32_e32 vcc, v27, v28
	v_add_u32_e32 v20, 10, v51
	v_mov_b32_e32 v22, 0
	s_waitcnt lgkmcnt(0)
	v_cndmask_b32_e32 v18, v18, v30, vcc
	v_cmp_ne_u32_e32 vcc, v27, v28
	v_cndmask_b32_e64 v19, 0, 1, vcc
	v_cmp_gt_u32_e32 vcc, s40, v20
	v_mov_b32_e32 v20, v22
	v_mov_b32_e32 v21, v22
	;; [unrolled: 1-line block ×5, first 2 shown]
	s_mov_b64 s[8:9], 0
                                        ; implicit-def: $sgpr36_sgpr37
                                        ; implicit-def: $vgpr46
	s_and_saveexec_b64 s[6:7], vcc
	s_cbranch_execz .LBB1782_69
; %bb.62:
	v_mov_b32_e32 v20, s54
	v_cmp_eq_u32_e32 vcc, v28, v29
	v_add_u32_e32 v23, 11, v51
	v_cndmask_b32_e32 v20, v20, v31, vcc
	v_cmp_ne_u32_e32 vcc, v28, v29
	v_cndmask_b32_e64 v21, 0, 1, vcc
	v_cmp_gt_u32_e32 vcc, s40, v23
	s_mov_b32 s36, 0
	v_mov_b32_e32 v23, v22
	v_mov_b32_e32 v24, v22
	;; [unrolled: 1-line block ×3, first 2 shown]
	s_mov_b64 s[10:11], 0
                                        ; implicit-def: $sgpr38_sgpr39
                                        ; implicit-def: $vgpr46
	s_and_saveexec_b64 s[8:9], vcc
	s_cbranch_execz .LBB1782_68
; %bb.63:
	ds_read2_b32 v[26:27], v50 offset0:11 offset1:12
	v_mov_b32_e32 v22, s54
	v_cmp_eq_u32_e32 vcc, v29, v44
	v_add_u32_e32 v24, 12, v51
	v_mov_b32_e32 v25, s36
	s_waitcnt lgkmcnt(0)
	v_cndmask_b32_e32 v22, v22, v26, vcc
	v_cmp_ne_u32_e32 vcc, v29, v44
	v_cndmask_b32_e64 v23, 0, 1, vcc
	v_cmp_gt_u32_e32 vcc, s40, v24
	v_mov_b32_e32 v24, s36
	s_mov_b64 s[36:37], 0
                                        ; implicit-def: $sgpr38_sgpr39
                                        ; implicit-def: $vgpr46
	s_and_saveexec_b64 s[10:11], vcc
	s_cbranch_execz .LBB1782_67
; %bb.64:
	v_mov_b32_e32 v24, s54
	v_cmp_eq_u32_e32 vcc, v44, v45
	v_add_u32_e32 v26, 13, v51
	v_cndmask_b32_e32 v24, v24, v27, vcc
	v_cmp_ne_u32_e32 vcc, v44, v45
	v_cndmask_b32_e64 v25, 0, 1, vcc
	v_cmp_gt_u32_e32 vcc, s40, v26
                                        ; implicit-def: $sgpr38_sgpr39
                                        ; implicit-def: $vgpr46
	s_and_saveexec_b64 s[40:41], vcc
	s_xor_b64 s[40:41], exec, s[40:41]
	s_cbranch_execz .LBB1782_66
; %bb.65:
	ds_read_b32 v26, v50 offset:52
	v_mov_b32_e32 v27, s54
	v_cmp_ne_u32_e32 vcc, v45, v49
	s_mov_b64 s[36:37], exec
	s_and_b64 s[38:39], vcc, exec
	s_waitcnt lgkmcnt(0)
	v_cndmask_b32_e32 v46, v26, v27, vcc
.LBB1782_66:
	s_or_b64 exec, exec, s[40:41]
	s_and_b64 s[38:39], s[38:39], exec
	s_and_b64 s[36:37], s[36:37], exec
.LBB1782_67:
	s_or_b64 exec, exec, s[10:11]
	s_and_b64 s[38:39], s[38:39], exec
	s_and_b64 s[10:11], s[36:37], exec
.LBB1782_68:
	s_or_b64 exec, exec, s[8:9]
	s_and_b64 s[36:37], s[38:39], exec
	s_and_b64 s[8:9], s[10:11], exec
.LBB1782_69:
	s_or_b64 exec, exec, s[6:7]
	s_and_b64 s[6:7], s[36:37], exec
	s_and_b64 s[36:37], s[8:9], exec
.LBB1782_70:
	s_or_b64 exec, exec, s[4:5]
	s_and_b64 s[38:39], s[6:7], exec
	s_and_b64 s[36:37], s[36:37], exec
.LBB1782_71:
	s_or_b64 exec, exec, s[30:31]
	s_and_b64 s[4:5], s[38:39], exec
	s_and_b64 s[30:31], s[36:37], exec
.LBB1782_72:
	s_or_b64 exec, exec, s[28:29]
	s_and_b64 s[36:37], s[4:5], exec
	s_and_b64 s[28:29], s[30:31], exec
.LBB1782_73:
	s_or_b64 exec, exec, s[26:27]
	s_and_b64 s[4:5], s[36:37], exec
	s_and_b64 s[28:29], s[28:29], exec
.LBB1782_74:
	s_or_b64 exec, exec, s[24:25]
	s_and_b64 s[26:27], s[4:5], exec
	s_and_b64 s[24:25], s[28:29], exec
.LBB1782_75:
	s_or_b64 exec, exec, s[22:23]
	s_and_b64 s[4:5], s[26:27], exec
	s_and_b64 s[22:23], s[24:25], exec
.LBB1782_76:
	s_or_b64 exec, exec, s[20:21]
	s_and_b64 s[24:25], s[4:5], exec
	s_and_b64 s[20:21], s[22:23], exec
.LBB1782_77:
	s_or_b64 exec, exec, s[18:19]
	s_and_b64 s[4:5], s[24:25], exec
	s_and_b64 s[18:19], s[20:21], exec
.LBB1782_78:
	s_or_b64 exec, exec, s[16:17]
	s_and_b64 s[16:17], s[4:5], exec
	s_and_b64 s[18:19], s[18:19], exec
.LBB1782_79:
	s_or_b64 exec, exec, s[14:15]
	s_and_b64 vcc, exec, s[12:13]
	v_lshlrev_b32_e32 v52, 2, v0
	s_cbranch_vccnz .LBB1782_81
	s_branch .LBB1782_86
.LBB1782_80:
	s_mov_b64 s[18:19], 0
                                        ; implicit-def: $sgpr16_sgpr17
                                        ; implicit-def: $vgpr2_vgpr3_vgpr4_vgpr5_vgpr6_vgpr7_vgpr8_vgpr9
                                        ; implicit-def: $vgpr10_vgpr11_vgpr12_vgpr13_vgpr14_vgpr15_vgpr16_vgpr17
                                        ; implicit-def: $vgpr18_vgpr19_vgpr20_vgpr21_vgpr22_vgpr23_vgpr24_vgpr25
                                        ; implicit-def: $vgpr46
                                        ; implicit-def: $vgpr40_vgpr41
	s_and_b64 vcc, exec, s[12:13]
	v_lshlrev_b32_e32 v52, 2, v0
	s_cbranch_vccz .LBB1782_86
.LBB1782_81:
	v_add_co_u32_e32 v2, vcc, v42, v52
	v_addc_co_u32_e32 v3, vcc, 0, v43, vcc
	v_add_co_u32_e32 v4, vcc, 0x1000, v2
	v_addc_co_u32_e32 v5, vcc, 0, v3, vcc
	flat_load_dword v6, v[2:3]
	flat_load_dword v7, v[2:3] offset:1024
	flat_load_dword v8, v[2:3] offset:2048
	;; [unrolled: 1-line block ×3, first 2 shown]
	flat_load_dword v10, v[4:5]
	flat_load_dword v11, v[4:5] offset:1024
	flat_load_dword v12, v[4:5] offset:2048
	;; [unrolled: 1-line block ×3, first 2 shown]
	v_add_co_u32_e32 v4, vcc, 0x2000, v2
	v_addc_co_u32_e32 v5, vcc, 0, v3, vcc
	v_add_co_u32_e32 v2, vcc, 0x3000, v2
	v_addc_co_u32_e32 v3, vcc, 0, v3, vcc
	flat_load_dword v14, v[4:5]
	flat_load_dword v15, v[4:5] offset:1024
	flat_load_dword v16, v[4:5] offset:2048
	flat_load_dword v17, v[4:5] offset:3072
	flat_load_dword v18, v[2:3]
	flat_load_dword v19, v[2:3] offset:1024
	v_add_co_u32_e32 v2, vcc, 0x3000, v42
	v_addc_co_u32_e32 v3, vcc, 0, v43, vcc
	s_movk_i32 s6, 0xffcc
	s_movk_i32 s9, 0x1000
	s_mov_b32 s4, 0
	s_movk_i32 s8, 0x2000
	s_movk_i32 s5, 0x3000
	s_waitcnt vmcnt(0) lgkmcnt(0)
	ds_write2st64_b32 v52, v6, v7 offset1:4
	ds_write2st64_b32 v52, v8, v9 offset0:8 offset1:12
	ds_write2st64_b32 v52, v10, v11 offset0:16 offset1:20
	;; [unrolled: 1-line block ×6, first 2 shown]
	s_waitcnt lgkmcnt(0)
	s_barrier
	flat_load_dword v34, v[2:3] offset:2048
	v_mad_u32_u24 v6, v0, 52, v52
	v_mad_i32_i24 v2, v0, s6, v6
	s_movk_i32 s6, 0xff
	v_cmp_ne_u32_e32 vcc, s6, v0
	ds_read2_b32 v[26:27], v6 offset1:13
	ds_read2_b32 v[18:19], v6 offset0:7 offset1:8
	ds_read2_b32 v[20:21], v6 offset0:5 offset1:6
	;; [unrolled: 1-line block ×6, first 2 shown]
	s_waitcnt lgkmcnt(0)
	ds_write_b32 v2, v26 offset:15360
	s_waitcnt lgkmcnt(0)
	s_barrier
	s_and_saveexec_b64 s[6:7], vcc
	s_cbranch_execz .LBB1782_83
; %bb.82:
	s_waitcnt vmcnt(0)
	ds_read_b32 v34, v52 offset:15364
.LBB1782_83:
	s_or_b64 exec, exec, s[6:7]
	v_add_co_u32_e32 v2, vcc, v1, v52
	v_addc_co_u32_e32 v3, vcc, 0, v48, vcc
	v_add_co_u32_e32 v4, vcc, s9, v2
	v_addc_co_u32_e32 v5, vcc, 0, v3, vcc
	s_waitcnt lgkmcnt(0)
	s_barrier
	flat_load_dword v1, v[2:3]
	flat_load_dword v7, v[2:3] offset:1024
	flat_load_dword v8, v[2:3] offset:2048
	;; [unrolled: 1-line block ×3, first 2 shown]
	flat_load_dword v14, v[4:5]
	flat_load_dword v15, v[4:5] offset:1024
	flat_load_dword v16, v[4:5] offset:2048
	;; [unrolled: 1-line block ×3, first 2 shown]
	v_add_co_u32_e32 v4, vcc, s8, v2
	v_addc_co_u32_e32 v5, vcc, 0, v3, vcc
	v_add_co_u32_e32 v2, vcc, s5, v2
	v_addc_co_u32_e32 v3, vcc, 0, v3, vcc
	flat_load_dword v22, v[4:5]
	flat_load_dword v23, v[4:5] offset:1024
	flat_load_dword v24, v[4:5] offset:2048
	;; [unrolled: 1-line block ×3, first 2 shown]
	flat_load_dword v32, v[2:3]
	flat_load_dword v33, v[2:3] offset:1024
	s_mov_b32 s5, 1
	v_cmp_eq_u32_e32 vcc, v26, v12
	v_pk_mov_b32 v[40:41], s[4:5], s[4:5] op_sel:[0,1]
	s_waitcnt vmcnt(0) lgkmcnt(0)
	ds_write2st64_b32 v52, v1, v7 offset1:4
	ds_write2st64_b32 v52, v8, v9 offset0:8 offset1:12
	ds_write2st64_b32 v52, v14, v15 offset0:16 offset1:20
	;; [unrolled: 1-line block ×6, first 2 shown]
	s_waitcnt lgkmcnt(0)
	s_barrier
	ds_read2_b32 v[24:25], v6 offset0:7 offset1:8
	ds_read2_b32 v[14:15], v6 offset0:5 offset1:6
	;; [unrolled: 1-line block ×4, first 2 shown]
	ds_read_b32 v1, v6 offset:52
	ds_read2_b32 v[22:23], v6 offset0:11 offset1:12
	ds_read2_b32 v[32:33], v6 offset0:9 offset1:10
	v_mov_b32_e32 v7, s54
	s_and_saveexec_b64 s[4:5], vcc
	s_cbranch_execz .LBB1782_85
; %bb.84:
	ds_read_b32 v7, v6
	v_pk_mov_b32 v[40:41], 0, 0
.LBB1782_85:
	s_or_b64 exec, exec, s[4:5]
	v_mov_b32_e32 v26, s54
	v_cmp_eq_u32_e32 vcc, v12, v13
	s_waitcnt lgkmcnt(3)
	v_cndmask_b32_e32 v8, v26, v4, vcc
	v_cmp_eq_u32_e32 vcc, v13, v10
	v_cndmask_b32_e32 v6, v26, v5, vcc
	v_cmp_eq_u32_e32 vcc, v10, v11
	;; [unrolled: 2-line block ×3, first 2 shown]
	v_cndmask_b32_e32 v2, v26, v3, vcc
	v_cmp_ne_u32_e32 vcc, v12, v13
	v_cndmask_b32_e64 v9, 0, 1, vcc
	v_cmp_ne_u32_e32 vcc, v13, v10
	s_waitcnt lgkmcnt(0)
	v_or_b32_e32 v40, v40, v7
	v_cndmask_b32_e64 v7, 0, 1, vcc
	v_cmp_ne_u32_e32 vcc, v10, v11
	v_cndmask_b32_e64 v5, 0, 1, vcc
	v_cmp_ne_u32_e32 vcc, v11, v20
	v_cndmask_b32_e64 v3, 0, 1, vcc
	v_cmp_eq_u32_e32 vcc, v20, v21
	v_cndmask_b32_e32 v16, v26, v14, vcc
	v_cmp_eq_u32_e32 vcc, v21, v18
	v_cndmask_b32_e32 v14, v26, v15, vcc
	;; [unrolled: 2-line block ×4, first 2 shown]
	v_cmp_ne_u32_e32 vcc, v20, v21
	v_cndmask_b32_e64 v17, 0, 1, vcc
	v_cmp_ne_u32_e32 vcc, v21, v18
	v_cndmask_b32_e64 v15, 0, 1, vcc
	;; [unrolled: 2-line block ×4, first 2 shown]
	v_cmp_eq_u32_e32 vcc, v31, v27
	v_cndmask_b32_e32 v24, v26, v23, vcc
	v_cmp_eq_u32_e32 vcc, v30, v31
	v_cndmask_b32_e32 v22, v26, v22, vcc
	;; [unrolled: 2-line block ×4, first 2 shown]
	v_cmp_ne_u32_e32 vcc, v31, v27
	v_cndmask_b32_e64 v25, 0, 1, vcc
	v_cmp_ne_u32_e32 vcc, v30, v31
	v_cndmask_b32_e64 v23, 0, 1, vcc
	;; [unrolled: 2-line block ×3, first 2 shown]
	v_cmp_ne_u32_e32 vcc, v28, v29
	v_cmp_ne_u32_e64 s[16:17], v27, v34
	v_cndmask_b32_e64 v19, 0, 1, vcc
	v_cndmask_b32_e64 v46, v1, v26, s[16:17]
	s_mov_b64 s[18:19], -1
                                        ; implicit-def: $sgpr12_sgpr13
.LBB1782_86:
	v_pk_mov_b32 v[42:43], s[12:13], s[12:13] op_sel:[0,1]
	s_and_saveexec_b64 s[4:5], s[18:19]
; %bb.87:
	v_cndmask_b32_e64 v47, 0, 1, s[16:17]
	v_pk_mov_b32 v[42:43], v[46:47], v[46:47] op_sel:[0,1]
; %bb.88:
	s_or_b64 exec, exec, s[4:5]
	s_mov_b32 s28, 0
	s_cmp_lg_u32 s47, 0
	v_mbcnt_lo_u32_b32 v54, -1, 0
	v_lshrrev_b32_e32 v1, 6, v0
	v_or_b32_e32 v53, 63, v0
	s_barrier
	s_cbranch_scc0 .LBB1782_129
; %bb.89:
	s_mov_b32 s29, 1
	v_cmp_gt_u64_e64 s[4:5], s[28:29], v[8:9]
	v_cndmask_b32_e64 v27, 0, v40, s[4:5]
	v_add_u32_e32 v27, v27, v8
	v_cmp_gt_u64_e64 s[6:7], s[28:29], v[6:7]
	v_cndmask_b32_e64 v27, 0, v27, s[6:7]
	v_add_u32_e32 v27, v27, v6
	;; [unrolled: 3-line block ×12, first 2 shown]
	v_cmp_gt_u64_e32 vcc, s[28:29], v[42:43]
	v_cndmask_b32_e32 v27, 0, v27, vcc
	v_add_u32_e32 v28, v27, v42
	v_or3_b32 v27, v43, v25, v23
	v_or3_b32 v27, v27, v21, v19
	;; [unrolled: 1-line block ×6, first 2 shown]
	v_mov_b32_e32 v26, 0
	v_and_b32_e32 v27, 1, v27
	v_cmp_eq_u64_e32 vcc, 0, v[26:27]
	v_cndmask_b32_e32 v27, 1, v41, vcc
	v_and_b32_e32 v29, 0xff, v27
	v_mov_b32_dpp v31, v28 row_shr:1 row_mask:0xf bank_mask:0xf
	v_cmp_eq_u16_e32 vcc, 0, v29
	v_mov_b32_dpp v32, v29 row_shr:1 row_mask:0xf bank_mask:0xf
	v_and_b32_e32 v33, 1, v27
	v_mbcnt_hi_u32_b32 v48, -1, v54
	v_cndmask_b32_e32 v31, 0, v31, vcc
	v_and_b32_e32 v32, 1, v32
	v_cmp_eq_u32_e32 vcc, 1, v33
	v_and_b32_e32 v30, 15, v48
	v_cndmask_b32_e64 v32, v32, 1, vcc
	v_and_b32_e32 v33, 0xffff, v32
	v_cmp_eq_u32_e32 vcc, 0, v30
	v_cndmask_b32_e32 v27, v32, v27, vcc
	v_cndmask_b32_e32 v29, v33, v29, vcc
	v_and_b32_e32 v33, 1, v27
	v_cndmask_b32_e64 v31, v31, 0, vcc
	v_mov_b32_dpp v32, v29 row_shr:2 row_mask:0xf bank_mask:0xf
	v_and_b32_e32 v32, 1, v32
	v_cmp_eq_u32_e32 vcc, 1, v33
	v_cndmask_b32_e64 v32, v32, 1, vcc
	v_and_b32_e32 v33, 0xffff, v32
	v_cmp_lt_u32_e32 vcc, 1, v30
	v_add_u32_e32 v28, v31, v28
	v_cmp_eq_u16_sdwa s[28:29], v27, v26 src0_sel:BYTE_0 src1_sel:DWORD
	v_cndmask_b32_e32 v27, v27, v32, vcc
	v_cndmask_b32_e32 v29, v29, v33, vcc
	v_mov_b32_dpp v31, v28 row_shr:2 row_mask:0xf bank_mask:0xf
	s_and_b64 vcc, vcc, s[28:29]
	v_mov_b32_dpp v32, v29 row_shr:4 row_mask:0xf bank_mask:0xf
	v_and_b32_e32 v33, 1, v27
	v_cndmask_b32_e32 v31, 0, v31, vcc
	v_and_b32_e32 v32, 1, v32
	v_cmp_eq_u32_e32 vcc, 1, v33
	v_cndmask_b32_e64 v32, v32, 1, vcc
	v_and_b32_e32 v33, 0xffff, v32
	v_cmp_lt_u32_e32 vcc, 3, v30
	v_add_u32_e32 v28, v31, v28
	v_cmp_eq_u16_sdwa s[28:29], v27, v26 src0_sel:BYTE_0 src1_sel:DWORD
	v_cndmask_b32_e32 v27, v27, v32, vcc
	v_cndmask_b32_e32 v29, v29, v33, vcc
	v_mov_b32_dpp v31, v28 row_shr:4 row_mask:0xf bank_mask:0xf
	s_and_b64 vcc, vcc, s[28:29]
	v_mov_b32_dpp v32, v29 row_shr:8 row_mask:0xf bank_mask:0xf
	v_and_b32_e32 v33, 1, v27
	v_cndmask_b32_e32 v31, 0, v31, vcc
	v_and_b32_e32 v32, 1, v32
	v_cmp_eq_u32_e32 vcc, 1, v33
	v_cndmask_b32_e64 v32, v32, 1, vcc
	v_add_u32_e32 v28, v31, v28
	v_cmp_eq_u16_sdwa s[28:29], v27, v26 src0_sel:BYTE_0 src1_sel:DWORD
	v_and_b32_e32 v33, 0xffff, v32
	v_cmp_lt_u32_e32 vcc, 7, v30
	v_mov_b32_dpp v31, v28 row_shr:8 row_mask:0xf bank_mask:0xf
	v_cndmask_b32_e32 v27, v27, v32, vcc
	v_cndmask_b32_e32 v29, v29, v33, vcc
	s_and_b64 vcc, vcc, s[28:29]
	v_cndmask_b32_e32 v30, 0, v31, vcc
	v_add_u32_e32 v28, v30, v28
	v_mov_b32_dpp v31, v29 row_bcast:15 row_mask:0xf bank_mask:0xf
	v_cmp_eq_u16_sdwa vcc, v27, v26 src0_sel:BYTE_0 src1_sel:DWORD
	v_mov_b32_dpp v30, v28 row_bcast:15 row_mask:0xf bank_mask:0xf
	v_and_b32_e32 v34, 1, v27
	v_cndmask_b32_e32 v30, 0, v30, vcc
	v_and_b32_e32 v31, 1, v31
	v_cmp_eq_u32_e32 vcc, 1, v34
	v_and_b32_e32 v33, 16, v48
	v_cndmask_b32_e64 v31, v31, 1, vcc
	v_and_b32_e32 v34, 0xffff, v31
	v_cmp_eq_u32_e32 vcc, 0, v33
	v_cndmask_b32_e32 v27, v31, v27, vcc
	v_cndmask_b32_e32 v29, v34, v29, vcc
	v_bfe_i32 v32, v48, 4, 1
	v_cmp_eq_u16_sdwa s[28:29], v27, v26 src0_sel:BYTE_0 src1_sel:DWORD
	v_mov_b32_dpp v29, v29 row_bcast:31 row_mask:0xf bank_mask:0xf
	v_and_b32_e32 v26, 1, v27
	v_and_b32_e32 v30, v32, v30
	;; [unrolled: 1-line block ×3, first 2 shown]
	v_cmp_eq_u32_e32 vcc, 1, v26
	v_add_u32_e32 v28, v30, v28
	v_cndmask_b32_e64 v26, v29, 1, vcc
	v_cmp_lt_u32_e32 vcc, 31, v48
	v_mov_b32_dpp v30, v28 row_bcast:31 row_mask:0xf bank_mask:0xf
	v_cndmask_b32_e32 v29, v27, v26, vcc
	s_and_b64 vcc, vcc, s[28:29]
	v_cndmask_b32_e32 v26, 0, v30, vcc
	v_add_u32_e32 v28, v26, v28
	v_cmp_eq_u32_e32 vcc, v53, v0
	s_and_saveexec_b64 s[28:29], vcc
	s_cbranch_execz .LBB1782_91
; %bb.90:
	v_lshlrev_b32_e32 v26, 3, v1
	ds_write_b32 v26, v28
	ds_write_b8 v26, v29 offset:4
.LBB1782_91:
	s_or_b64 exec, exec, s[28:29]
	v_cmp_gt_u32_e32 vcc, 4, v0
	s_waitcnt lgkmcnt(0)
	s_barrier
	s_and_saveexec_b64 s[28:29], vcc
	s_cbranch_execz .LBB1782_95
; %bb.92:
	v_lshlrev_b32_e32 v30, 3, v0
	ds_read_b64 v[26:27], v30
	v_and_b32_e32 v31, 3, v48
	v_cmp_ne_u32_e32 vcc, 0, v31
	s_waitcnt lgkmcnt(0)
	v_mov_b32_dpp v32, v26 row_shr:1 row_mask:0xf bank_mask:0xf
	v_mov_b32_dpp v34, v27 row_shr:1 row_mask:0xf bank_mask:0xf
	v_mov_b32_e32 v33, v27
	s_and_saveexec_b64 s[30:31], vcc
	s_cbranch_execz .LBB1782_94
; %bb.93:
	v_and_b32_e32 v33, 1, v27
	v_and_b32_e32 v34, 1, v34
	v_cmp_eq_u32_e32 vcc, 1, v33
	v_mov_b32_e32 v33, 0
	v_cndmask_b32_e64 v34, v34, 1, vcc
	v_cmp_eq_u16_sdwa vcc, v27, v33 src0_sel:BYTE_0 src1_sel:DWORD
	v_cndmask_b32_e32 v32, 0, v32, vcc
	v_add_u32_e32 v26, v32, v26
	v_and_b32_e32 v32, 0xffff, v34
	s_movk_i32 s36, 0xff00
	v_and_or_b32 v33, v27, s36, v32
	v_mov_b32_e32 v27, v34
.LBB1782_94:
	s_or_b64 exec, exec, s[30:31]
	v_mov_b32_dpp v33, v33 row_shr:2 row_mask:0xf bank_mask:0xf
	v_and_b32_e32 v34, 1, v27
	v_and_b32_e32 v33, 1, v33
	v_cmp_eq_u32_e32 vcc, 1, v34
	v_mov_b32_e32 v34, 0
	v_cndmask_b32_e64 v33, v33, 1, vcc
	v_cmp_eq_u16_sdwa s[30:31], v27, v34 src0_sel:BYTE_0 src1_sel:DWORD
	v_cmp_lt_u32_e32 vcc, 1, v31
	v_mov_b32_dpp v32, v26 row_shr:2 row_mask:0xf bank_mask:0xf
	v_cndmask_b32_e32 v27, v27, v33, vcc
	s_and_b64 vcc, vcc, s[30:31]
	v_cndmask_b32_e32 v31, 0, v32, vcc
	v_add_u32_e32 v26, v31, v26
	ds_write_b32 v30, v26
	ds_write_b8 v30, v27 offset:4
.LBB1782_95:
	s_or_b64 exec, exec, s[28:29]
	v_cmp_gt_u32_e32 vcc, 64, v0
	v_cmp_lt_u32_e64 s[28:29], 63, v0
	v_mov_b32_e32 v44, 0
	v_mov_b32_e32 v45, 0
	s_waitcnt lgkmcnt(0)
	s_barrier
	s_and_saveexec_b64 s[30:31], s[28:29]
	s_cbranch_execz .LBB1782_97
; %bb.96:
	v_lshl_add_u32 v26, v1, 3, -8
	ds_read_b32 v44, v26
	ds_read_u8 v45, v26 offset:4
	v_mov_b32_e32 v27, 0
	v_and_b32_e32 v30, 1, v29
	v_cmp_eq_u16_sdwa s[28:29], v29, v27 src0_sel:BYTE_0 src1_sel:DWORD
	s_waitcnt lgkmcnt(1)
	v_cndmask_b32_e64 v26, 0, v44, s[28:29]
	v_cmp_eq_u32_e64 s[28:29], 1, v30
	v_add_u32_e32 v28, v26, v28
	s_waitcnt lgkmcnt(0)
	v_cndmask_b32_e64 v29, v45, 1, s[28:29]
.LBB1782_97:
	s_or_b64 exec, exec, s[30:31]
	v_and_b32_e32 v26, 0xff, v29
	v_add_u32_e32 v27, -1, v48
	v_and_b32_e32 v29, 64, v48
	v_cmp_lt_i32_e64 s[28:29], v27, v29
	v_cndmask_b32_e64 v27, v27, v48, s[28:29]
	v_lshlrev_b32_e32 v27, 2, v27
	ds_bpermute_b32 v46, v27, v28
	ds_bpermute_b32 v47, v27, v26
	v_cmp_eq_u32_e64 s[28:29], 0, v48
	s_and_saveexec_b64 s[36:37], vcc
	s_cbranch_execz .LBB1782_116
; %bb.98:
	v_mov_b32_e32 v29, 0
	ds_read_b64 v[26:27], v29 offset:24
	s_waitcnt lgkmcnt(0)
	v_readfirstlane_b32 s48, v27
	s_and_saveexec_b64 s[30:31], s[28:29]
	s_cbranch_execz .LBB1782_100
; %bb.99:
	s_add_i32 s38, s47, 64
	s_mov_b32 s39, 0
	s_lshl_b64 s[40:41], s[38:39], 4
	s_add_u32 s40, s44, s40
	s_addc_u32 s41, s45, s41
	s_and_b32 s57, s48, 0xff000000
	s_mov_b32 s56, s39
	s_and_b32 s59, s48, 0xff0000
	s_mov_b32 s58, s39
	s_or_b64 s[56:57], s[58:59], s[56:57]
	s_and_b32 s59, s48, 0xff00
	s_or_b64 s[56:57], s[56:57], s[58:59]
	s_and_b32 s59, s48, 0xff
	s_or_b64 s[38:39], s[56:57], s[58:59]
	v_mov_b32_e32 v27, s39
	v_mov_b32_e32 v28, 1
	v_pk_mov_b32 v[30:31], s[40:41], s[40:41] op_sel:[0,1]
	;;#ASMSTART
	global_store_dwordx4 v[30:31], v[26:29] off	
s_waitcnt vmcnt(0)
	;;#ASMEND
.LBB1782_100:
	s_or_b64 exec, exec, s[30:31]
	v_xad_u32 v34, v48, -1, s47
	v_add_u32_e32 v28, 64, v34
	v_lshlrev_b64 v[30:31], 4, v[28:29]
	v_mov_b32_e32 v27, s45
	v_add_co_u32_e32 v36, vcc, s44, v30
	v_addc_co_u32_e32 v37, vcc, v27, v31, vcc
	;;#ASMSTART
	global_load_dwordx4 v[30:33], v[36:37] off glc	
s_waitcnt vmcnt(0)
	;;#ASMEND
	v_and_b32_e32 v27, 0xff0000, v30
	v_or_b32_sdwa v27, v30, v27 dst_sel:DWORD dst_unused:UNUSED_PAD src0_sel:WORD_0 src1_sel:DWORD
	v_and_b32_e32 v28, 0xff000000, v30
	v_and_b32_e32 v30, 0xff, v31
	v_or3_b32 v31, 0, 0, v30
	v_or3_b32 v30, v27, v28, 0
	v_cmp_eq_u16_sdwa s[38:39], v32, v29 src0_sel:BYTE_0 src1_sel:DWORD
	s_and_saveexec_b64 s[30:31], s[38:39]
	s_cbranch_execz .LBB1782_104
; %bb.101:
	s_mov_b64 s[38:39], 0
	v_mov_b32_e32 v27, 0
.LBB1782_102:                           ; =>This Inner Loop Header: Depth=1
	;;#ASMSTART
	global_load_dwordx4 v[30:33], v[36:37] off glc	
s_waitcnt vmcnt(0)
	;;#ASMEND
	v_cmp_ne_u16_sdwa s[40:41], v32, v27 src0_sel:BYTE_0 src1_sel:DWORD
	s_or_b64 s[38:39], s[40:41], s[38:39]
	s_andn2_b64 exec, exec, s[38:39]
	s_cbranch_execnz .LBB1782_102
; %bb.103:
	s_or_b64 exec, exec, s[38:39]
	v_and_b32_e32 v31, 0xff, v31
.LBB1782_104:
	s_or_b64 exec, exec, s[30:31]
	v_mov_b32_e32 v27, 2
	v_cmp_eq_u16_sdwa s[30:31], v32, v27 src0_sel:BYTE_0 src1_sel:DWORD
	v_lshlrev_b64 v[28:29], v48, -1
	v_and_b32_e32 v33, s31, v29
	v_or_b32_e32 v33, 0x80000000, v33
	v_and_b32_e32 v35, s30, v28
	v_ffbl_b32_e32 v33, v33
	v_and_b32_e32 v49, 63, v48
	v_add_u32_e32 v33, 32, v33
	v_ffbl_b32_e32 v35, v35
	v_cmp_ne_u32_e32 vcc, 63, v49
	v_min_u32_e32 v33, v35, v33
	v_addc_co_u32_e32 v35, vcc, 0, v48, vcc
	v_lshlrev_b32_e32 v50, 2, v35
	ds_bpermute_b32 v35, v50, v31
	ds_bpermute_b32 v36, v50, v30
	s_mov_b32 s38, 0
	v_and_b32_e32 v37, 1, v31
	s_mov_b32 s39, 1
	s_waitcnt lgkmcnt(1)
	v_and_b32_e32 v35, 1, v35
	v_cmp_eq_u32_e32 vcc, 1, v37
	v_cndmask_b32_e64 v35, v35, 1, vcc
	v_cmp_gt_u64_e32 vcc, s[38:39], v[30:31]
	v_cmp_lt_u32_e64 s[30:31], v49, v33
	s_and_b64 vcc, s[30:31], vcc
	v_and_b32_e32 v37, 0xffff, v35
	v_cndmask_b32_e64 v56, v31, v35, s[30:31]
	s_waitcnt lgkmcnt(0)
	v_cndmask_b32_e32 v35, 0, v36, vcc
	v_cmp_gt_u32_e32 vcc, 62, v49
	v_cndmask_b32_e64 v36, 0, 1, vcc
	v_lshlrev_b32_e32 v36, 1, v36
	v_cndmask_b32_e64 v31, v31, v37, s[30:31]
	v_add_lshl_u32 v51, v36, v48, 2
	ds_bpermute_b32 v36, v51, v31
	v_add_u32_e32 v30, v35, v30
	ds_bpermute_b32 v37, v51, v30
	v_and_b32_e32 v35, 1, v56
	v_cmp_eq_u32_e32 vcc, 1, v35
	s_waitcnt lgkmcnt(1)
	v_and_b32_e32 v36, 1, v36
	v_mov_b32_e32 v35, 0
	v_add_u32_e32 v55, 2, v49
	v_cndmask_b32_e64 v36, v36, 1, vcc
	v_cmp_eq_u16_sdwa vcc, v56, v35 src0_sel:BYTE_0 src1_sel:DWORD
	v_and_b32_e32 v57, 0xffff, v36
	s_waitcnt lgkmcnt(0)
	v_cndmask_b32_e32 v37, 0, v37, vcc
	v_cmp_gt_u32_e32 vcc, v55, v33
	v_cndmask_b32_e32 v36, v36, v56, vcc
	v_cndmask_b32_e64 v37, v37, 0, vcc
	v_cndmask_b32_e32 v31, v57, v31, vcc
	v_cmp_gt_u32_e32 vcc, 60, v49
	v_cndmask_b32_e64 v56, 0, 1, vcc
	v_lshlrev_b32_e32 v56, 2, v56
	v_add_lshl_u32 v56, v56, v48, 2
	ds_bpermute_b32 v58, v56, v31
	v_add_u32_e32 v30, v37, v30
	ds_bpermute_b32 v37, v56, v30
	v_and_b32_e32 v59, 1, v36
	v_cmp_eq_u32_e32 vcc, 1, v59
	s_waitcnt lgkmcnt(1)
	v_and_b32_e32 v58, 1, v58
	v_add_u32_e32 v57, 4, v49
	v_cndmask_b32_e64 v58, v58, 1, vcc
	v_cmp_eq_u16_sdwa vcc, v36, v35 src0_sel:BYTE_0 src1_sel:DWORD
	v_and_b32_e32 v59, 0xffff, v58
	s_waitcnt lgkmcnt(0)
	v_cndmask_b32_e32 v37, 0, v37, vcc
	v_cmp_gt_u32_e32 vcc, v57, v33
	v_cndmask_b32_e32 v36, v58, v36, vcc
	v_cndmask_b32_e64 v37, v37, 0, vcc
	v_cndmask_b32_e32 v31, v59, v31, vcc
	v_cmp_gt_u32_e32 vcc, 56, v49
	v_cndmask_b32_e64 v58, 0, 1, vcc
	v_lshlrev_b32_e32 v58, 3, v58
	v_add_lshl_u32 v58, v58, v48, 2
	ds_bpermute_b32 v60, v58, v31
	v_add_u32_e32 v30, v37, v30
	ds_bpermute_b32 v37, v58, v30
	v_and_b32_e32 v61, 1, v36
	v_cmp_eq_u32_e32 vcc, 1, v61
	s_waitcnt lgkmcnt(1)
	v_and_b32_e32 v60, 1, v60
	;; [unrolled: 21-line block ×4, first 2 shown]
	v_add_u32_e32 v64, 32, v49
	v_cndmask_b32_e64 v31, v31, 1, vcc
	v_cmp_eq_u16_sdwa vcc, v36, v35 src0_sel:BYTE_0 src1_sel:DWORD
	s_waitcnt lgkmcnt(0)
	v_cndmask_b32_e32 v37, 0, v37, vcc
	v_cmp_gt_u32_e32 vcc, v64, v33
	v_cndmask_b32_e64 v33, v37, 0, vcc
	v_cndmask_b32_e32 v31, v31, v36, vcc
	v_add_u32_e32 v30, v33, v30
	s_branch .LBB1782_106
.LBB1782_105:                           ;   in Loop: Header=BB1782_106 Depth=1
	s_or_b64 exec, exec, s[30:31]
	v_cmp_eq_u16_sdwa s[30:31], v32, v27 src0_sel:BYTE_0 src1_sel:DWORD
	v_and_b32_e32 v33, s31, v29
	ds_bpermute_b32 v37, v50, v31
	v_or_b32_e32 v33, 0x80000000, v33
	v_and_b32_e32 v36, s30, v28
	v_ffbl_b32_e32 v33, v33
	v_add_u32_e32 v33, 32, v33
	v_ffbl_b32_e32 v36, v36
	v_min_u32_e32 v33, v36, v33
	ds_bpermute_b32 v36, v50, v30
	v_and_b32_e32 v65, 1, v31
	s_waitcnt lgkmcnt(1)
	v_and_b32_e32 v37, 1, v37
	v_cmp_eq_u32_e32 vcc, 1, v65
	v_cndmask_b32_e64 v37, v37, 1, vcc
	v_cmp_gt_u64_e32 vcc, s[38:39], v[30:31]
	v_and_b32_e32 v65, 0xffff, v37
	v_cmp_lt_u32_e64 s[30:31], v49, v33
	v_cndmask_b32_e64 v37, v31, v37, s[30:31]
	v_cndmask_b32_e64 v31, v31, v65, s[30:31]
	s_and_b64 vcc, s[30:31], vcc
	ds_bpermute_b32 v65, v51, v31
	s_waitcnt lgkmcnt(1)
	v_cndmask_b32_e32 v36, 0, v36, vcc
	v_add_u32_e32 v30, v36, v30
	ds_bpermute_b32 v36, v51, v30
	v_and_b32_e32 v66, 1, v37
	s_waitcnt lgkmcnt(1)
	v_and_b32_e32 v65, 1, v65
	v_cmp_eq_u32_e32 vcc, 1, v66
	v_cndmask_b32_e64 v65, v65, 1, vcc
	v_cmp_eq_u16_sdwa vcc, v37, v35 src0_sel:BYTE_0 src1_sel:DWORD
	v_and_b32_e32 v66, 0xffff, v65
	s_waitcnt lgkmcnt(0)
	v_cndmask_b32_e32 v36, 0, v36, vcc
	v_cmp_gt_u32_e32 vcc, v55, v33
	v_cndmask_b32_e32 v31, v66, v31, vcc
	v_cndmask_b32_e32 v37, v65, v37, vcc
	ds_bpermute_b32 v65, v56, v31
	v_cndmask_b32_e64 v36, v36, 0, vcc
	v_add_u32_e32 v30, v36, v30
	ds_bpermute_b32 v36, v56, v30
	v_and_b32_e32 v66, 1, v37
	s_waitcnt lgkmcnt(1)
	v_and_b32_e32 v65, 1, v65
	v_cmp_eq_u32_e32 vcc, 1, v66
	v_cndmask_b32_e64 v65, v65, 1, vcc
	v_cmp_eq_u16_sdwa vcc, v37, v35 src0_sel:BYTE_0 src1_sel:DWORD
	v_and_b32_e32 v66, 0xffff, v65
	s_waitcnt lgkmcnt(0)
	v_cndmask_b32_e32 v36, 0, v36, vcc
	v_cmp_gt_u32_e32 vcc, v57, v33
	v_cndmask_b32_e32 v31, v66, v31, vcc
	v_cndmask_b32_e32 v37, v65, v37, vcc
	ds_bpermute_b32 v65, v58, v31
	v_cndmask_b32_e64 v36, v36, 0, vcc
	;; [unrolled: 16-line block ×3, first 2 shown]
	v_add_u32_e32 v30, v36, v30
	ds_bpermute_b32 v36, v60, v30
	v_and_b32_e32 v66, 1, v37
	s_waitcnt lgkmcnt(1)
	v_and_b32_e32 v65, 1, v65
	v_cmp_eq_u32_e32 vcc, 1, v66
	v_cndmask_b32_e64 v65, v65, 1, vcc
	v_cmp_eq_u16_sdwa vcc, v37, v35 src0_sel:BYTE_0 src1_sel:DWORD
	v_and_b32_e32 v66, 0xffff, v65
	s_waitcnt lgkmcnt(0)
	v_cndmask_b32_e32 v36, 0, v36, vcc
	v_cmp_gt_u32_e32 vcc, v61, v33
	v_cndmask_b32_e64 v36, v36, 0, vcc
	v_cndmask_b32_e32 v31, v66, v31, vcc
	ds_bpermute_b32 v31, v63, v31
	v_add_u32_e32 v30, v36, v30
	ds_bpermute_b32 v36, v63, v30
	v_cndmask_b32_e32 v37, v65, v37, vcc
	v_and_b32_e32 v65, 1, v37
	v_cmp_eq_u32_e32 vcc, 1, v65
	s_waitcnt lgkmcnt(1)
	v_cndmask_b32_e64 v31, v31, 1, vcc
	v_cmp_eq_u16_sdwa vcc, v37, v35 src0_sel:BYTE_0 src1_sel:DWORD
	s_waitcnt lgkmcnt(0)
	v_cndmask_b32_e32 v36, 0, v36, vcc
	v_cmp_gt_u32_e32 vcc, v64, v33
	v_cndmask_b32_e64 v33, v36, 0, vcc
	v_cndmask_b32_e32 v31, v31, v37, vcc
	v_add_u32_e32 v30, v33, v30
	v_cmp_eq_u16_sdwa vcc, v48, v35 src0_sel:BYTE_0 src1_sel:DWORD
	v_and_b32_e32 v33, 1, v48
	v_cndmask_b32_e32 v30, 0, v30, vcc
	v_and_b32_e32 v31, 1, v31
	v_cmp_eq_u32_e32 vcc, 1, v33
	v_subrev_u32_e32 v34, 64, v34
	v_add_u32_e32 v30, v30, v62
	v_cndmask_b32_e64 v31, v31, 1, vcc
.LBB1782_106:                           ; =>This Loop Header: Depth=1
                                        ;     Child Loop BB1782_109 Depth 2
	v_cmp_ne_u16_sdwa s[30:31], v32, v27 src0_sel:BYTE_0 src1_sel:DWORD
	v_mov_b32_e32 v48, v31
	v_cndmask_b32_e64 v31, 0, 1, s[30:31]
	;;#ASMSTART
	;;#ASMEND
	v_cmp_ne_u32_e32 vcc, 0, v31
	s_cmp_lg_u64 vcc, exec
	v_mov_b32_e32 v62, v30
	s_cbranch_scc1 .LBB1782_111
; %bb.107:                              ;   in Loop: Header=BB1782_106 Depth=1
	v_lshlrev_b64 v[30:31], 4, v[34:35]
	v_mov_b32_e32 v32, s45
	v_add_co_u32_e32 v36, vcc, s44, v30
	v_addc_co_u32_e32 v37, vcc, v32, v31, vcc
	;;#ASMSTART
	global_load_dwordx4 v[30:33], v[36:37] off glc	
s_waitcnt vmcnt(0)
	;;#ASMEND
	v_and_b32_e32 v33, 0xff0000, v30
	v_or_b32_sdwa v33, v30, v33 dst_sel:DWORD dst_unused:UNUSED_PAD src0_sel:WORD_0 src1_sel:DWORD
	v_and_b32_e32 v30, 0xff000000, v30
	v_and_b32_e32 v31, 0xff, v31
	v_or3_b32 v31, 0, 0, v31
	v_or3_b32 v30, v33, v30, 0
	v_cmp_eq_u16_sdwa s[40:41], v32, v35 src0_sel:BYTE_0 src1_sel:DWORD
	s_and_saveexec_b64 s[30:31], s[40:41]
	s_cbranch_execz .LBB1782_105
; %bb.108:                              ;   in Loop: Header=BB1782_106 Depth=1
	s_mov_b64 s[40:41], 0
.LBB1782_109:                           ;   Parent Loop BB1782_106 Depth=1
                                        ; =>  This Inner Loop Header: Depth=2
	;;#ASMSTART
	global_load_dwordx4 v[30:33], v[36:37] off glc	
s_waitcnt vmcnt(0)
	;;#ASMEND
	v_cmp_ne_u16_sdwa s[56:57], v32, v35 src0_sel:BYTE_0 src1_sel:DWORD
	s_or_b64 s[40:41], s[56:57], s[40:41]
	s_andn2_b64 exec, exec, s[40:41]
	s_cbranch_execnz .LBB1782_109
; %bb.110:                              ;   in Loop: Header=BB1782_106 Depth=1
	s_or_b64 exec, exec, s[40:41]
	v_and_b32_e32 v31, 0xff, v31
	s_branch .LBB1782_105
.LBB1782_111:                           ;   in Loop: Header=BB1782_106 Depth=1
                                        ; implicit-def: $vgpr31
                                        ; implicit-def: $vgpr30
                                        ; implicit-def: $vgpr32
	s_cbranch_execz .LBB1782_106
; %bb.112:
	s_and_saveexec_b64 s[30:31], s[28:29]
	s_cbranch_execz .LBB1782_114
; %bb.113:
	s_and_b32 s38, s48, 0xff
	s_cmp_eq_u32 s38, 0
	s_cselect_b64 vcc, -1, 0
	s_bitcmp1_b32 s48, 0
	s_mov_b32 s39, 0
	s_cselect_b64 s[40:41], -1, 0
	s_add_i32 s38, s47, 64
	s_lshl_b64 s[38:39], s[38:39], 4
	v_cndmask_b32_e32 v27, 0, v62, vcc
	s_add_u32 s38, s44, s38
	v_add_u32_e32 v26, v27, v26
	v_and_b32_e32 v27, 1, v48
	s_addc_u32 s39, s45, s39
	v_mov_b32_e32 v29, 0
	v_cndmask_b32_e64 v27, v27, 1, s[40:41]
	v_mov_b32_e32 v28, 2
	v_pk_mov_b32 v[30:31], s[38:39], s[38:39] op_sel:[0,1]
	;;#ASMSTART
	global_store_dwordx4 v[30:31], v[26:29] off	
s_waitcnt vmcnt(0)
	;;#ASMEND
.LBB1782_114:
	s_or_b64 exec, exec, s[30:31]
	s_and_b64 exec, exec, s[0:1]
	s_cbranch_execz .LBB1782_116
; %bb.115:
	v_mov_b32_e32 v26, 0
	ds_write_b32 v26, v62 offset:24
	ds_write_b8 v26, v48 offset:28
.LBB1782_116:
	s_or_b64 exec, exec, s[36:37]
	v_mov_b32_e32 v28, 0
	s_waitcnt lgkmcnt(0)
	s_barrier
	ds_read_b32 v26, v28 offset:24
	v_cndmask_b32_e64 v27, v47, v45, s[28:29]
	v_cmp_eq_u16_sdwa vcc, v27, v28 src0_sel:BYTE_0 src1_sel:DWORD
	v_cndmask_b32_e64 v29, v46, v44, s[28:29]
	s_waitcnt lgkmcnt(0)
	v_cndmask_b32_e32 v27, 0, v26, vcc
	v_add_u32_e32 v27, v27, v29
	v_and_b32_e32 v29, 0xff, v41
	v_cndmask_b32_e64 v26, v27, v26, s[0:1]
	v_cmp_eq_u64_e32 vcc, 0, v[28:29]
	v_cndmask_b32_e32 v27, 0, v26, vcc
	v_add_u32_e32 v27, v27, v40
	v_cndmask_b32_e64 v28, 0, v27, s[4:5]
	v_add_u32_e32 v44, v28, v8
	v_cndmask_b32_e64 v28, 0, v44, s[6:7]
	v_add_u32_e32 v45, v28, v6
	v_cndmask_b32_e64 v28, 0, v45, s[8:9]
	v_add_u32_e32 v30, v28, v4
	v_cndmask_b32_e64 v28, 0, v30, s[10:11]
	v_add_u32_e32 v31, v28, v2
	v_cndmask_b32_e64 v28, 0, v31, s[12:13]
	v_add_u32_e32 v46, v28, v16
	v_cndmask_b32_e64 v28, 0, v46, s[14:15]
	v_add_u32_e32 v47, v28, v14
	v_cndmask_b32_e64 v28, 0, v47, s[16:17]
	v_add_u32_e32 v34, v28, v12
	v_cndmask_b32_e64 v28, 0, v34, s[18:19]
	v_add_u32_e32 v35, v28, v10
	v_cndmask_b32_e64 v28, 0, v35, s[20:21]
	v_add_u32_e32 v48, v28, v18
	v_cndmask_b32_e64 v28, 0, v48, s[22:23]
	v_add_u32_e32 v49, v28, v20
	v_cndmask_b32_e64 v28, 0, v49, s[24:25]
	v_add_u32_e32 v50, v28, v22
	v_cndmask_b32_e64 v28, 0, v50, s[26:27]
	v_add_u32_e32 v51, v28, v24
	s_branch .LBB1782_143
.LBB1782_117:
	s_or_b64 exec, exec, s[30:31]
                                        ; implicit-def: $vgpr14
	s_and_saveexec_b64 s[30:31], s[4:5]
	s_cbranch_execz .LBB1782_37
.LBB1782_118:
	v_add_co_u32_e32 v14, vcc, v1, v12
	v_addc_co_u32_e32 v15, vcc, 0, v48, vcc
	flat_load_dword v14, v[14:15] offset:1024
	s_or_b64 exec, exec, s[30:31]
                                        ; implicit-def: $vgpr15
	s_and_saveexec_b64 s[4:5], s[6:7]
	s_cbranch_execnz .LBB1782_38
.LBB1782_119:
	s_or_b64 exec, exec, s[4:5]
                                        ; implicit-def: $vgpr16
	s_and_saveexec_b64 s[4:5], s[8:9]
	s_cbranch_execz .LBB1782_39
.LBB1782_120:
	v_add_co_u32_e32 v16, vcc, v1, v12
	v_addc_co_u32_e32 v17, vcc, 0, v48, vcc
	flat_load_dword v16, v[16:17] offset:3072
	s_or_b64 exec, exec, s[4:5]
                                        ; implicit-def: $vgpr17
	s_and_saveexec_b64 s[4:5], s[10:11]
	s_cbranch_execnz .LBB1782_40
.LBB1782_121:
	s_or_b64 exec, exec, s[4:5]
                                        ; implicit-def: $vgpr2
	s_and_saveexec_b64 s[4:5], s[12:13]
	s_cbranch_execz .LBB1782_41
.LBB1782_122:
	v_add_co_u32_e32 v2, vcc, v1, v3
	v_addc_co_u32_e32 v3, vcc, 0, v48, vcc
	flat_load_dword v2, v[2:3]
	s_or_b64 exec, exec, s[4:5]
                                        ; implicit-def: $vgpr3
	s_and_saveexec_b64 s[4:5], s[14:15]
	s_cbranch_execnz .LBB1782_42
.LBB1782_123:
	s_or_b64 exec, exec, s[4:5]
                                        ; implicit-def: $vgpr4
	s_and_saveexec_b64 s[4:5], s[16:17]
	s_cbranch_execz .LBB1782_43
.LBB1782_124:
	v_add_co_u32_e32 v4, vcc, v1, v5
	v_addc_co_u32_e32 v5, vcc, 0, v48, vcc
	flat_load_dword v4, v[4:5]
	s_or_b64 exec, exec, s[4:5]
                                        ; implicit-def: $vgpr5
	s_and_saveexec_b64 s[4:5], s[18:19]
	s_cbranch_execnz .LBB1782_44
.LBB1782_125:
	s_or_b64 exec, exec, s[4:5]
                                        ; implicit-def: $vgpr6
	s_and_saveexec_b64 s[4:5], s[20:21]
	s_cbranch_execz .LBB1782_45
.LBB1782_126:
	v_add_co_u32_e32 v6, vcc, v1, v7
	v_addc_co_u32_e32 v7, vcc, 0, v48, vcc
	flat_load_dword v6, v[6:7]
	s_or_b64 exec, exec, s[4:5]
                                        ; implicit-def: $vgpr7
	s_and_saveexec_b64 s[4:5], s[22:23]
	s_cbranch_execnz .LBB1782_46
.LBB1782_127:
	s_or_b64 exec, exec, s[4:5]
                                        ; implicit-def: $vgpr8
	s_and_saveexec_b64 s[4:5], s[24:25]
	s_cbranch_execz .LBB1782_47
.LBB1782_128:
	v_add_co_u32_e32 v8, vcc, v1, v9
	v_addc_co_u32_e32 v9, vcc, 0, v48, vcc
	flat_load_dword v8, v[8:9]
	s_or_b64 exec, exec, s[4:5]
                                        ; implicit-def: $vgpr9
	s_and_saveexec_b64 s[4:5], s[26:27]
	s_cbranch_execz .LBB1782_49
	s_branch .LBB1782_48
.LBB1782_129:
                                        ; implicit-def: $vgpr51
                                        ; implicit-def: $vgpr49
                                        ; implicit-def: $vgpr47
                                        ; implicit-def: $vgpr45
                                        ; implicit-def: $vgpr34_vgpr35_vgpr36_vgpr37
                                        ; implicit-def: $vgpr30_vgpr31_vgpr32_vgpr33
                                        ; implicit-def: $vgpr26_vgpr27_vgpr28_vgpr29
	s_cbranch_execz .LBB1782_143
; %bb.130:
	s_cmp_lg_u64 s[52:53], 0
	s_cselect_b32 s5, s51, 0
	s_cselect_b32 s4, s50, 0
	s_mov_b32 s26, 0
	s_cmp_eq_u64 s[4:5], 0
	v_mov_b32_e32 v32, s54
	s_cbranch_scc1 .LBB1782_132
; %bb.131:
	v_mov_b32_e32 v26, 0
	global_load_dword v32, v26, s[4:5]
.LBB1782_132:
	s_mov_b32 s27, 1
	v_cmp_gt_u64_e32 vcc, s[26:27], v[8:9]
	v_cndmask_b32_e32 v27, 0, v40, vcc
	v_add_u32_e32 v27, v27, v8
	v_cmp_gt_u64_e64 s[4:5], s[26:27], v[6:7]
	v_cndmask_b32_e64 v27, 0, v27, s[4:5]
	v_add_u32_e32 v27, v27, v6
	v_cmp_gt_u64_e64 s[6:7], s[26:27], v[4:5]
	v_cndmask_b32_e64 v27, 0, v27, s[6:7]
	;; [unrolled: 3-line block ×11, first 2 shown]
	v_mov_b32_e32 v26, 0
	v_add_u32_e32 v27, v27, v24
	v_cmp_gt_u64_e64 s[26:27], s[26:27], v[42:43]
	v_or3_b32 v7, v23, v15, v7
	v_cndmask_b32_e64 v27, 0, v27, s[26:27]
	v_or3_b32 v9, v25, v17, v9
	v_and_b32_e32 v35, 1, v7
	v_mov_b32_e32 v34, v26
	v_add_u32_e32 v33, v27, v42
	v_and_b32_e32 v27, 1, v43
	v_or3_b32 v3, v19, v11, v3
	v_and_b32_e32 v31, 1, v9
	v_mov_b32_e32 v30, v26
	v_cmp_ne_u64_e64 s[28:29], 0, v[34:35]
	v_cmp_eq_u32_e64 s[26:27], 1, v27
	v_or3_b32 v5, v21, v13, v5
	v_and_b32_e32 v27, 1, v3
	v_cndmask_b32_e64 v3, 0, 1, s[28:29]
	v_cmp_ne_u64_e64 s[28:29], 0, v[30:31]
	v_and_b32_e32 v29, 1, v5
	v_mov_b32_e32 v28, v26
	v_cndmask_b32_e64 v5, 0, 1, s[28:29]
	v_lshlrev_b16_e32 v3, 2, v3
	v_lshlrev_b16_e32 v5, 3, v5
	v_cmp_ne_u64_e64 s[28:29], 0, v[28:29]
	v_or_b32_e32 v3, v5, v3
	v_cndmask_b32_e64 v5, 0, 1, s[28:29]
	v_cmp_ne_u64_e64 s[28:29], 0, v[26:27]
	v_lshlrev_b16_e32 v5, 1, v5
	v_cndmask_b32_e64 v7, 0, 1, s[28:29]
	v_or_b32_e32 v5, v7, v5
	v_and_b32_e32 v5, 3, v5
	v_or_b32_e32 v3, v5, v3
	v_and_b32_e32 v3, 15, v3
	v_cmp_ne_u16_e64 s[28:29], 0, v3
	s_or_b64 s[26:27], s[26:27], s[28:29]
	v_cndmask_b32_e64 v5, v41, 1, s[26:27]
	v_and_b32_e32 v7, 0xff, v5
	v_mov_b32_dpp v11, v33 row_shr:1 row_mask:0xf bank_mask:0xf
	v_cmp_eq_u16_e64 s[26:27], 0, v7
	v_mov_b32_dpp v13, v7 row_shr:1 row_mask:0xf bank_mask:0xf
	v_and_b32_e32 v15, 1, v5
	v_mbcnt_hi_u32_b32 v3, -1, v54
	v_cndmask_b32_e64 v11, 0, v11, s[26:27]
	v_and_b32_e32 v13, 1, v13
	v_cmp_eq_u32_e64 s[26:27], 1, v15
	v_and_b32_e32 v9, 15, v3
	v_cndmask_b32_e64 v13, v13, 1, s[26:27]
	v_and_b32_e32 v15, 0xffff, v13
	v_cmp_eq_u32_e64 s[26:27], 0, v9
	v_cndmask_b32_e64 v5, v13, v5, s[26:27]
	v_cndmask_b32_e64 v7, v15, v7, s[26:27]
	v_and_b32_e32 v17, 1, v5
	v_cndmask_b32_e64 v11, v11, 0, s[26:27]
	v_mov_b32_dpp v15, v7 row_shr:2 row_mask:0xf bank_mask:0xf
	v_and_b32_e32 v15, 1, v15
	v_cmp_eq_u32_e64 s[26:27], 1, v17
	v_cndmask_b32_e64 v15, v15, 1, s[26:27]
	v_and_b32_e32 v17, 0xffff, v15
	v_cmp_lt_u32_e64 s[26:27], 1, v9
	v_add_u32_e32 v11, v11, v33
	v_cmp_eq_u16_sdwa s[28:29], v5, v26 src0_sel:BYTE_0 src1_sel:DWORD
	v_cndmask_b32_e64 v5, v5, v15, s[26:27]
	v_cndmask_b32_e64 v7, v7, v17, s[26:27]
	v_mov_b32_dpp v13, v11 row_shr:2 row_mask:0xf bank_mask:0xf
	s_and_b64 s[26:27], s[26:27], s[28:29]
	v_mov_b32_dpp v15, v7 row_shr:4 row_mask:0xf bank_mask:0xf
	v_and_b32_e32 v17, 1, v5
	v_cndmask_b32_e64 v13, 0, v13, s[26:27]
	v_and_b32_e32 v15, 1, v15
	v_cmp_eq_u32_e64 s[26:27], 1, v17
	v_cndmask_b32_e64 v15, v15, 1, s[26:27]
	v_and_b32_e32 v17, 0xffff, v15
	v_cmp_lt_u32_e64 s[26:27], 3, v9
	v_add_u32_e32 v11, v13, v11
	v_cmp_eq_u16_sdwa s[28:29], v5, v26 src0_sel:BYTE_0 src1_sel:DWORD
	v_cndmask_b32_e64 v5, v5, v15, s[26:27]
	v_cndmask_b32_e64 v7, v7, v17, s[26:27]
	v_mov_b32_dpp v13, v11 row_shr:4 row_mask:0xf bank_mask:0xf
	s_and_b64 s[26:27], s[26:27], s[28:29]
	v_mov_b32_dpp v15, v7 row_shr:8 row_mask:0xf bank_mask:0xf
	v_and_b32_e32 v17, 1, v5
	v_cndmask_b32_e64 v13, 0, v13, s[26:27]
	v_and_b32_e32 v15, 1, v15
	v_cmp_eq_u32_e64 s[26:27], 1, v17
	v_cndmask_b32_e64 v15, v15, 1, s[26:27]
	v_add_u32_e32 v11, v13, v11
	v_cmp_eq_u16_sdwa s[28:29], v5, v26 src0_sel:BYTE_0 src1_sel:DWORD
	v_and_b32_e32 v17, 0xffff, v15
	v_cmp_lt_u32_e64 s[26:27], 7, v9
	v_mov_b32_dpp v13, v11 row_shr:8 row_mask:0xf bank_mask:0xf
	v_cndmask_b32_e64 v5, v5, v15, s[26:27]
	v_cndmask_b32_e64 v7, v7, v17, s[26:27]
	s_and_b64 s[26:27], s[26:27], s[28:29]
	v_cndmask_b32_e64 v9, 0, v13, s[26:27]
	v_add_u32_e32 v9, v9, v11
	v_mov_b32_dpp v13, v7 row_bcast:15 row_mask:0xf bank_mask:0xf
	v_cmp_eq_u16_sdwa s[26:27], v5, v26 src0_sel:BYTE_0 src1_sel:DWORD
	v_mov_b32_dpp v11, v9 row_bcast:15 row_mask:0xf bank_mask:0xf
	v_and_b32_e32 v19, 1, v5
	v_cndmask_b32_e64 v11, 0, v11, s[26:27]
	v_and_b32_e32 v13, 1, v13
	v_cmp_eq_u32_e64 s[26:27], 1, v19
	v_and_b32_e32 v17, 16, v3
	v_cndmask_b32_e64 v13, v13, 1, s[26:27]
	v_and_b32_e32 v19, 0xffff, v13
	v_cmp_eq_u32_e64 s[26:27], 0, v17
	v_cndmask_b32_e64 v5, v13, v5, s[26:27]
	v_cndmask_b32_e64 v7, v19, v7, s[26:27]
	v_bfe_i32 v15, v3, 4, 1
	v_and_b32_e32 v13, 1, v5
	v_mov_b32_dpp v7, v7 row_bcast:31 row_mask:0xf bank_mask:0xf
	v_and_b32_e32 v11, v15, v11
	v_and_b32_e32 v7, 1, v7
	v_cmp_eq_u32_e64 s[26:27], 1, v13
	v_add_u32_e32 v9, v11, v9
	v_cmp_eq_u16_sdwa s[28:29], v5, v26 src0_sel:BYTE_0 src1_sel:DWORD
	v_cndmask_b32_e64 v7, v7, 1, s[26:27]
	v_cmp_lt_u32_e64 s[26:27], 31, v3
	v_mov_b32_dpp v11, v9 row_bcast:31 row_mask:0xf bank_mask:0xf
	v_cndmask_b32_e64 v5, v5, v7, s[26:27]
	s_and_b64 s[26:27], s[26:27], s[28:29]
	v_cndmask_b32_e64 v7, 0, v11, s[26:27]
	v_add_u32_e32 v7, v7, v9
	v_cmp_eq_u32_e64 s[26:27], v53, v0
	s_and_saveexec_b64 s[28:29], s[26:27]
	s_cbranch_execz .LBB1782_134
; %bb.133:
	v_lshlrev_b32_e32 v9, 3, v1
	ds_write_b32 v9, v7
	ds_write_b8 v9, v5 offset:4
.LBB1782_134:
	s_or_b64 exec, exec, s[28:29]
	v_cmp_gt_u32_e64 s[26:27], 4, v0
	s_waitcnt lgkmcnt(0)
	s_barrier
	s_and_saveexec_b64 s[28:29], s[26:27]
	s_cbranch_execz .LBB1782_138
; %bb.135:
	v_lshlrev_b32_e32 v9, 3, v0
	ds_read_b64 v[26:27], v9
	v_and_b32_e32 v11, 3, v3
	v_cmp_ne_u32_e64 s[26:27], 0, v11
	s_waitcnt lgkmcnt(0)
	v_mov_b32_dpp v13, v26 row_shr:1 row_mask:0xf bank_mask:0xf
	v_mov_b32_dpp v17, v27 row_shr:1 row_mask:0xf bank_mask:0xf
	v_mov_b32_e32 v15, v27
	s_and_saveexec_b64 s[30:31], s[26:27]
	s_cbranch_execz .LBB1782_137
; %bb.136:
	v_and_b32_e32 v15, 1, v27
	v_and_b32_e32 v17, 1, v17
	v_cmp_eq_u32_e64 s[26:27], 1, v15
	v_mov_b32_e32 v15, 0
	v_cndmask_b32_e64 v17, v17, 1, s[26:27]
	v_cmp_eq_u16_sdwa s[26:27], v27, v15 src0_sel:BYTE_0 src1_sel:DWORD
	v_cndmask_b32_e64 v13, 0, v13, s[26:27]
	v_add_u32_e32 v26, v13, v26
	v_and_b32_e32 v13, 0xffff, v17
	s_movk_i32 s26, 0xff00
	v_and_or_b32 v15, v27, s26, v13
	v_mov_b32_e32 v27, v17
.LBB1782_137:
	s_or_b64 exec, exec, s[30:31]
	v_mov_b32_dpp v15, v15 row_shr:2 row_mask:0xf bank_mask:0xf
	v_and_b32_e32 v17, 1, v27
	v_and_b32_e32 v15, 1, v15
	v_cmp_eq_u32_e64 s[26:27], 1, v17
	v_mov_b32_e32 v17, 0
	v_cndmask_b32_e64 v15, v15, 1, s[26:27]
	v_cmp_eq_u16_sdwa s[30:31], v27, v17 src0_sel:BYTE_0 src1_sel:DWORD
	v_cmp_lt_u32_e64 s[26:27], 1, v11
	v_mov_b32_dpp v13, v26 row_shr:2 row_mask:0xf bank_mask:0xf
	v_cndmask_b32_e64 v11, v27, v15, s[26:27]
	s_and_b64 s[26:27], s[26:27], s[30:31]
	v_cndmask_b32_e64 v13, 0, v13, s[26:27]
	v_add_u32_e32 v13, v13, v26
	ds_write_b32 v9, v13
	ds_write_b8 v9, v11 offset:4
.LBB1782_138:
	s_or_b64 exec, exec, s[28:29]
	v_cmp_lt_u32_e64 s[26:27], 63, v0
	s_waitcnt vmcnt(0)
	v_mov_b32_e32 v9, v32
	s_waitcnt lgkmcnt(0)
	s_barrier
	s_and_saveexec_b64 s[28:29], s[26:27]
	s_cbranch_execz .LBB1782_140
; %bb.139:
	v_lshl_add_u32 v1, v1, 3, -8
	ds_read_u8 v9, v1 offset:4
	ds_read_b32 v1, v1
	s_waitcnt lgkmcnt(1)
	v_cmp_eq_u16_e64 s[26:27], 0, v9
	v_cndmask_b32_e64 v9, 0, v32, s[26:27]
	s_waitcnt lgkmcnt(0)
	v_add_u32_e32 v9, v9, v1
.LBB1782_140:
	s_or_b64 exec, exec, s[28:29]
	v_mov_b32_e32 v28, 0
	v_cmp_eq_u16_sdwa s[26:27], v5, v28 src0_sel:BYTE_0 src1_sel:DWORD
	v_cndmask_b32_e64 v1, 0, v9, s[26:27]
	v_add_u32_e32 v1, v1, v7
	v_add_u32_e32 v5, -1, v3
	v_and_b32_e32 v7, 64, v3
	v_cmp_lt_i32_e64 s[26:27], v5, v7
	v_cndmask_b32_e64 v5, v5, v3, s[26:27]
	v_lshlrev_b32_e32 v5, 2, v5
	ds_bpermute_b32 v1, v5, v1
	v_cmp_eq_u32_e64 s[26:27], 0, v3
	v_and_b32_e32 v29, 0xff, v41
	s_waitcnt lgkmcnt(0)
	v_cndmask_b32_e64 v26, v1, v9, s[26:27]
	v_cndmask_b32_e64 v1, v26, v32, s[0:1]
	v_cmp_eq_u64_e64 s[26:27], 0, v[28:29]
	v_cndmask_b32_e64 v1, 0, v1, s[26:27]
	v_add_u32_e32 v27, v1, v40
	v_cndmask_b32_e32 v1, 0, v27, vcc
	v_add_u32_e32 v44, v1, v8
	v_cndmask_b32_e64 v1, 0, v44, s[4:5]
	v_add_u32_e32 v45, v1, v6
	v_cndmask_b32_e64 v1, 0, v45, s[6:7]
	;; [unrolled: 2-line block ×11, first 2 shown]
	s_and_saveexec_b64 s[4:5], s[0:1]
	s_cbranch_execz .LBB1782_142
; %bb.141:
	ds_read_u8 v3, v28 offset:28
	ds_read_b32 v2, v28 offset:24
	s_add_u32 s0, s44, 0x400
	s_addc_u32 s1, s45, 0
	v_mov_b32_e32 v5, v28
	s_waitcnt lgkmcnt(1)
	v_cmp_eq_u16_e32 vcc, 0, v3
	v_cndmask_b32_e32 v4, 0, v32, vcc
	s_waitcnt lgkmcnt(0)
	v_add_u32_e32 v2, v4, v2
	v_and_b32_e32 v3, 0xffff, v3
	v_mov_b32_e32 v4, 2
	v_pk_mov_b32 v[6:7], s[0:1], s[0:1] op_sel:[0,1]
	;;#ASMSTART
	global_store_dwordx4 v[6:7], v[2:5] off	
s_waitcnt vmcnt(0)
	;;#ASMEND
	v_mov_b32_e32 v26, v32
.LBB1782_142:
	s_or_b64 exec, exec, s[4:5]
	v_add_u32_e32 v51, v1, v24
.LBB1782_143:
	s_add_u32 s0, s42, s34
	s_addc_u32 s1, s43, s35
	v_mov_b32_e32 v1, s1
	v_add_co_u32_e32 v18, vcc, s0, v38
	v_addc_co_u32_e32 v19, vcc, v1, v39, vcc
	v_mul_u32_u24_e32 v1, 14, v0
	s_and_b64 vcc, exec, s[2:3]
	v_lshlrev_b32_e32 v2, 2, v1
	s_cbranch_vccz .LBB1782_171
; %bb.144:
	s_movk_i32 s0, 0xffcc
	v_mad_i32_i24 v3, v0, s0, v2
	s_barrier
	ds_write2_b64 v2, v[26:27], v[44:45] offset1:1
	ds_write2_b64 v2, v[30:31], v[46:47] offset0:2 offset1:3
	ds_write2_b64 v2, v[34:35], v[48:49] offset0:4 offset1:5
	ds_write_b64 v2, v[50:51] offset:48
	s_waitcnt lgkmcnt(0)
	s_barrier
	ds_read2st64_b32 v[16:17], v3 offset0:4 offset1:8
	ds_read2st64_b32 v[14:15], v3 offset0:12 offset1:16
	;; [unrolled: 1-line block ×6, first 2 shown]
	ds_read_b32 v3, v3 offset:13312
	v_add_co_u32_e32 v6, vcc, v18, v52
	s_add_i32 s33, s33, s46
	v_addc_co_u32_e32 v7, vcc, 0, v19, vcc
	v_mov_b32_e32 v1, 0
	v_cmp_gt_u32_e32 vcc, s33, v0
	s_and_saveexec_b64 s[0:1], vcc
	s_cbranch_execz .LBB1782_146
; %bb.145:
	v_mul_i32_i24_e32 v20, 0xffffffcc, v0
	v_add_u32_e32 v20, v2, v20
	ds_read_b32 v20, v20
	s_waitcnt lgkmcnt(0)
	flat_store_dword v[6:7], v20
.LBB1782_146:
	s_or_b64 exec, exec, s[0:1]
	v_or_b32_e32 v20, 0x100, v0
	v_cmp_gt_u32_e32 vcc, s33, v20
	s_and_saveexec_b64 s[0:1], vcc
	s_cbranch_execz .LBB1782_148
; %bb.147:
	s_waitcnt lgkmcnt(0)
	flat_store_dword v[6:7], v16 offset:1024
.LBB1782_148:
	s_or_b64 exec, exec, s[0:1]
	s_waitcnt lgkmcnt(0)
	v_or_b32_e32 v16, 0x200, v0
	v_cmp_gt_u32_e32 vcc, s33, v16
	s_and_saveexec_b64 s[0:1], vcc
	s_cbranch_execz .LBB1782_150
; %bb.149:
	flat_store_dword v[6:7], v17 offset:2048
.LBB1782_150:
	s_or_b64 exec, exec, s[0:1]
	v_or_b32_e32 v16, 0x300, v0
	v_cmp_gt_u32_e32 vcc, s33, v16
	s_and_saveexec_b64 s[0:1], vcc
	s_cbranch_execz .LBB1782_152
; %bb.151:
	flat_store_dword v[6:7], v14 offset:3072
.LBB1782_152:
	s_or_b64 exec, exec, s[0:1]
	v_or_b32_e32 v14, 0x400, v0
	v_cmp_gt_u32_e32 vcc, s33, v14
	s_and_saveexec_b64 s[0:1], vcc
	s_cbranch_execz .LBB1782_154
; %bb.153:
	v_add_co_u32_e32 v16, vcc, 0x1000, v6
	v_addc_co_u32_e32 v17, vcc, 0, v7, vcc
	flat_store_dword v[16:17], v15
.LBB1782_154:
	s_or_b64 exec, exec, s[0:1]
	v_or_b32_e32 v14, 0x500, v0
	v_cmp_gt_u32_e32 vcc, s33, v14
	s_and_saveexec_b64 s[0:1], vcc
	s_cbranch_execz .LBB1782_156
; %bb.155:
	v_add_co_u32_e32 v14, vcc, 0x1000, v6
	v_addc_co_u32_e32 v15, vcc, 0, v7, vcc
	flat_store_dword v[14:15], v12 offset:1024
.LBB1782_156:
	s_or_b64 exec, exec, s[0:1]
	v_or_b32_e32 v12, 0x600, v0
	v_cmp_gt_u32_e32 vcc, s33, v12
	s_and_saveexec_b64 s[0:1], vcc
	s_cbranch_execz .LBB1782_158
; %bb.157:
	v_add_co_u32_e32 v14, vcc, 0x1000, v6
	v_addc_co_u32_e32 v15, vcc, 0, v7, vcc
	flat_store_dword v[14:15], v13 offset:2048
.LBB1782_158:
	;; [unrolled: 10-line block ×3, first 2 shown]
	s_or_b64 exec, exec, s[0:1]
	v_or_b32_e32 v10, 0x800, v0
	v_cmp_gt_u32_e32 vcc, s33, v10
	s_and_saveexec_b64 s[0:1], vcc
	s_cbranch_execz .LBB1782_162
; %bb.161:
	v_add_co_u32_e32 v12, vcc, 0x2000, v6
	v_addc_co_u32_e32 v13, vcc, 0, v7, vcc
	flat_store_dword v[12:13], v11
.LBB1782_162:
	s_or_b64 exec, exec, s[0:1]
	v_or_b32_e32 v10, 0x900, v0
	v_cmp_gt_u32_e32 vcc, s33, v10
	s_and_saveexec_b64 s[0:1], vcc
	s_cbranch_execz .LBB1782_164
; %bb.163:
	v_add_co_u32_e32 v10, vcc, 0x2000, v6
	v_addc_co_u32_e32 v11, vcc, 0, v7, vcc
	flat_store_dword v[10:11], v8 offset:1024
.LBB1782_164:
	s_or_b64 exec, exec, s[0:1]
	v_or_b32_e32 v8, 0xa00, v0
	v_cmp_gt_u32_e32 vcc, s33, v8
	s_and_saveexec_b64 s[0:1], vcc
	s_cbranch_execz .LBB1782_166
; %bb.165:
	v_add_co_u32_e32 v10, vcc, 0x2000, v6
	v_addc_co_u32_e32 v11, vcc, 0, v7, vcc
	flat_store_dword v[10:11], v9 offset:2048
.LBB1782_166:
	;; [unrolled: 10-line block ×3, first 2 shown]
	s_or_b64 exec, exec, s[0:1]
	v_or_b32_e32 v4, 0xc00, v0
	v_cmp_gt_u32_e32 vcc, s33, v4
	s_and_saveexec_b64 s[0:1], vcc
	s_cbranch_execz .LBB1782_170
; %bb.169:
	v_add_co_u32_e32 v6, vcc, 0x3000, v6
	v_addc_co_u32_e32 v7, vcc, 0, v7, vcc
	flat_store_dword v[6:7], v5
.LBB1782_170:
	s_or_b64 exec, exec, s[0:1]
	v_or_b32_e32 v4, 0xd00, v0
	v_cmp_gt_u32_e64 s[0:1], s33, v4
	s_branch .LBB1782_173
.LBB1782_171:
	s_mov_b64 s[0:1], 0
                                        ; implicit-def: $vgpr3
	s_cbranch_execz .LBB1782_173
; %bb.172:
	s_movk_i32 s2, 0xffcc
	s_waitcnt lgkmcnt(0)
	s_barrier
	ds_write2_b64 v2, v[26:27], v[44:45] offset1:1
	ds_write2_b64 v2, v[30:31], v[46:47] offset0:2 offset1:3
	ds_write2_b64 v2, v[34:35], v[48:49] offset0:4 offset1:5
	ds_write_b64 v2, v[50:51] offset:48
	v_mad_i32_i24 v2, v0, s2, v2
	v_add_co_u32_e32 v16, vcc, v18, v52
	s_waitcnt lgkmcnt(0)
	s_barrier
	ds_read2st64_b32 v[4:5], v2 offset1:4
	ds_read2st64_b32 v[6:7], v2 offset0:8 offset1:12
	ds_read2st64_b32 v[8:9], v2 offset0:16 offset1:20
	;; [unrolled: 1-line block ×6, first 2 shown]
	v_addc_co_u32_e32 v17, vcc, 0, v19, vcc
	s_movk_i32 s2, 0x1000
	s_waitcnt lgkmcnt(0)
	flat_store_dword v[16:17], v4
	flat_store_dword v[16:17], v5 offset:1024
	flat_store_dword v[16:17], v6 offset:2048
	;; [unrolled: 1-line block ×3, first 2 shown]
	v_add_co_u32_e32 v4, vcc, s2, v16
	v_addc_co_u32_e32 v5, vcc, 0, v17, vcc
	flat_store_dword v[4:5], v8
	flat_store_dword v[4:5], v9 offset:1024
	flat_store_dword v[4:5], v10 offset:2048
	;; [unrolled: 1-line block ×3, first 2 shown]
	v_add_co_u32_e32 v4, vcc, 0x2000, v16
	v_addc_co_u32_e32 v5, vcc, 0, v17, vcc
	flat_store_dword v[4:5], v12
	flat_store_dword v[4:5], v13 offset:1024
	flat_store_dword v[4:5], v14 offset:2048
	;; [unrolled: 1-line block ×3, first 2 shown]
	v_add_co_u32_e32 v4, vcc, 0x3000, v16
	v_mov_b32_e32 v1, 0
	v_addc_co_u32_e32 v5, vcc, 0, v17, vcc
	s_or_b64 s[0:1], s[0:1], exec
	flat_store_dword v[4:5], v2
.LBB1782_173:
	s_and_saveexec_b64 s[2:3], s[0:1]
	s_cbranch_execz .LBB1782_175
; %bb.174:
	v_lshlrev_b64 v[0:1], 2, v[0:1]
	v_add_co_u32_e32 v0, vcc, v18, v0
	v_addc_co_u32_e32 v1, vcc, v19, v1, vcc
	v_add_co_u32_e32 v0, vcc, 0x3000, v0
	v_addc_co_u32_e32 v1, vcc, 0, v1, vcc
	flat_store_dword v[0:1], v3 offset:1024
	s_endpgm
.LBB1782_175:
	s_endpgm
	.section	.rodata,"a",@progbits
	.p2align	6, 0x0
	.amdhsa_kernel _ZN7rocprim17ROCPRIM_400000_NS6detail17trampoline_kernelINS0_14default_configENS1_27scan_by_key_config_selectorIiiEEZZNS1_16scan_by_key_implILNS1_25lookback_scan_determinismE0ELb1ES3_N6thrust23THRUST_200600_302600_NS6detail15normal_iteratorINS9_10device_ptrIiEEEENSB_INSC_IjEEEESE_iNS9_4plusIvEENS9_8equal_toIvEEiEE10hipError_tPvRmT2_T3_T4_T5_mT6_T7_P12ihipStream_tbENKUlT_T0_E_clISt17integral_constantIbLb0EES10_IbLb1EEEEDaSW_SX_EUlSW_E_NS1_11comp_targetILNS1_3genE4ELNS1_11target_archE910ELNS1_3gpuE8ELNS1_3repE0EEENS1_30default_config_static_selectorELNS0_4arch9wavefront6targetE1EEEvT1_
		.amdhsa_group_segment_fixed_size 16384
		.amdhsa_private_segment_fixed_size 0
		.amdhsa_kernarg_size 112
		.amdhsa_user_sgpr_count 6
		.amdhsa_user_sgpr_private_segment_buffer 1
		.amdhsa_user_sgpr_dispatch_ptr 0
		.amdhsa_user_sgpr_queue_ptr 0
		.amdhsa_user_sgpr_kernarg_segment_ptr 1
		.amdhsa_user_sgpr_dispatch_id 0
		.amdhsa_user_sgpr_flat_scratch_init 0
		.amdhsa_user_sgpr_kernarg_preload_length 0
		.amdhsa_user_sgpr_kernarg_preload_offset 0
		.amdhsa_user_sgpr_private_segment_size 0
		.amdhsa_uses_dynamic_stack 0
		.amdhsa_system_sgpr_private_segment_wavefront_offset 0
		.amdhsa_system_sgpr_workgroup_id_x 1
		.amdhsa_system_sgpr_workgroup_id_y 0
		.amdhsa_system_sgpr_workgroup_id_z 0
		.amdhsa_system_sgpr_workgroup_info 0
		.amdhsa_system_vgpr_workitem_id 0
		.amdhsa_next_free_vgpr 67
		.amdhsa_next_free_sgpr 60
		.amdhsa_accum_offset 68
		.amdhsa_reserve_vcc 1
		.amdhsa_reserve_flat_scratch 0
		.amdhsa_float_round_mode_32 0
		.amdhsa_float_round_mode_16_64 0
		.amdhsa_float_denorm_mode_32 3
		.amdhsa_float_denorm_mode_16_64 3
		.amdhsa_dx10_clamp 1
		.amdhsa_ieee_mode 1
		.amdhsa_fp16_overflow 0
		.amdhsa_tg_split 0
		.amdhsa_exception_fp_ieee_invalid_op 0
		.amdhsa_exception_fp_denorm_src 0
		.amdhsa_exception_fp_ieee_div_zero 0
		.amdhsa_exception_fp_ieee_overflow 0
		.amdhsa_exception_fp_ieee_underflow 0
		.amdhsa_exception_fp_ieee_inexact 0
		.amdhsa_exception_int_div_zero 0
	.end_amdhsa_kernel
	.section	.text._ZN7rocprim17ROCPRIM_400000_NS6detail17trampoline_kernelINS0_14default_configENS1_27scan_by_key_config_selectorIiiEEZZNS1_16scan_by_key_implILNS1_25lookback_scan_determinismE0ELb1ES3_N6thrust23THRUST_200600_302600_NS6detail15normal_iteratorINS9_10device_ptrIiEEEENSB_INSC_IjEEEESE_iNS9_4plusIvEENS9_8equal_toIvEEiEE10hipError_tPvRmT2_T3_T4_T5_mT6_T7_P12ihipStream_tbENKUlT_T0_E_clISt17integral_constantIbLb0EES10_IbLb1EEEEDaSW_SX_EUlSW_E_NS1_11comp_targetILNS1_3genE4ELNS1_11target_archE910ELNS1_3gpuE8ELNS1_3repE0EEENS1_30default_config_static_selectorELNS0_4arch9wavefront6targetE1EEEvT1_,"axG",@progbits,_ZN7rocprim17ROCPRIM_400000_NS6detail17trampoline_kernelINS0_14default_configENS1_27scan_by_key_config_selectorIiiEEZZNS1_16scan_by_key_implILNS1_25lookback_scan_determinismE0ELb1ES3_N6thrust23THRUST_200600_302600_NS6detail15normal_iteratorINS9_10device_ptrIiEEEENSB_INSC_IjEEEESE_iNS9_4plusIvEENS9_8equal_toIvEEiEE10hipError_tPvRmT2_T3_T4_T5_mT6_T7_P12ihipStream_tbENKUlT_T0_E_clISt17integral_constantIbLb0EES10_IbLb1EEEEDaSW_SX_EUlSW_E_NS1_11comp_targetILNS1_3genE4ELNS1_11target_archE910ELNS1_3gpuE8ELNS1_3repE0EEENS1_30default_config_static_selectorELNS0_4arch9wavefront6targetE1EEEvT1_,comdat
.Lfunc_end1782:
	.size	_ZN7rocprim17ROCPRIM_400000_NS6detail17trampoline_kernelINS0_14default_configENS1_27scan_by_key_config_selectorIiiEEZZNS1_16scan_by_key_implILNS1_25lookback_scan_determinismE0ELb1ES3_N6thrust23THRUST_200600_302600_NS6detail15normal_iteratorINS9_10device_ptrIiEEEENSB_INSC_IjEEEESE_iNS9_4plusIvEENS9_8equal_toIvEEiEE10hipError_tPvRmT2_T3_T4_T5_mT6_T7_P12ihipStream_tbENKUlT_T0_E_clISt17integral_constantIbLb0EES10_IbLb1EEEEDaSW_SX_EUlSW_E_NS1_11comp_targetILNS1_3genE4ELNS1_11target_archE910ELNS1_3gpuE8ELNS1_3repE0EEENS1_30default_config_static_selectorELNS0_4arch9wavefront6targetE1EEEvT1_, .Lfunc_end1782-_ZN7rocprim17ROCPRIM_400000_NS6detail17trampoline_kernelINS0_14default_configENS1_27scan_by_key_config_selectorIiiEEZZNS1_16scan_by_key_implILNS1_25lookback_scan_determinismE0ELb1ES3_N6thrust23THRUST_200600_302600_NS6detail15normal_iteratorINS9_10device_ptrIiEEEENSB_INSC_IjEEEESE_iNS9_4plusIvEENS9_8equal_toIvEEiEE10hipError_tPvRmT2_T3_T4_T5_mT6_T7_P12ihipStream_tbENKUlT_T0_E_clISt17integral_constantIbLb0EES10_IbLb1EEEEDaSW_SX_EUlSW_E_NS1_11comp_targetILNS1_3genE4ELNS1_11target_archE910ELNS1_3gpuE8ELNS1_3repE0EEENS1_30default_config_static_selectorELNS0_4arch9wavefront6targetE1EEEvT1_
                                        ; -- End function
	.section	.AMDGPU.csdata,"",@progbits
; Kernel info:
; codeLenInByte = 11168
; NumSgprs: 64
; NumVgprs: 67
; NumAgprs: 0
; TotalNumVgprs: 67
; ScratchSize: 0
; MemoryBound: 0
; FloatMode: 240
; IeeeMode: 1
; LDSByteSize: 16384 bytes/workgroup (compile time only)
; SGPRBlocks: 7
; VGPRBlocks: 8
; NumSGPRsForWavesPerEU: 64
; NumVGPRsForWavesPerEU: 67
; AccumOffset: 68
; Occupancy: 4
; WaveLimiterHint : 1
; COMPUTE_PGM_RSRC2:SCRATCH_EN: 0
; COMPUTE_PGM_RSRC2:USER_SGPR: 6
; COMPUTE_PGM_RSRC2:TRAP_HANDLER: 0
; COMPUTE_PGM_RSRC2:TGID_X_EN: 1
; COMPUTE_PGM_RSRC2:TGID_Y_EN: 0
; COMPUTE_PGM_RSRC2:TGID_Z_EN: 0
; COMPUTE_PGM_RSRC2:TIDIG_COMP_CNT: 0
; COMPUTE_PGM_RSRC3_GFX90A:ACCUM_OFFSET: 16
; COMPUTE_PGM_RSRC3_GFX90A:TG_SPLIT: 0
	.section	.text._ZN7rocprim17ROCPRIM_400000_NS6detail17trampoline_kernelINS0_14default_configENS1_27scan_by_key_config_selectorIiiEEZZNS1_16scan_by_key_implILNS1_25lookback_scan_determinismE0ELb1ES3_N6thrust23THRUST_200600_302600_NS6detail15normal_iteratorINS9_10device_ptrIiEEEENSB_INSC_IjEEEESE_iNS9_4plusIvEENS9_8equal_toIvEEiEE10hipError_tPvRmT2_T3_T4_T5_mT6_T7_P12ihipStream_tbENKUlT_T0_E_clISt17integral_constantIbLb0EES10_IbLb1EEEEDaSW_SX_EUlSW_E_NS1_11comp_targetILNS1_3genE3ELNS1_11target_archE908ELNS1_3gpuE7ELNS1_3repE0EEENS1_30default_config_static_selectorELNS0_4arch9wavefront6targetE1EEEvT1_,"axG",@progbits,_ZN7rocprim17ROCPRIM_400000_NS6detail17trampoline_kernelINS0_14default_configENS1_27scan_by_key_config_selectorIiiEEZZNS1_16scan_by_key_implILNS1_25lookback_scan_determinismE0ELb1ES3_N6thrust23THRUST_200600_302600_NS6detail15normal_iteratorINS9_10device_ptrIiEEEENSB_INSC_IjEEEESE_iNS9_4plusIvEENS9_8equal_toIvEEiEE10hipError_tPvRmT2_T3_T4_T5_mT6_T7_P12ihipStream_tbENKUlT_T0_E_clISt17integral_constantIbLb0EES10_IbLb1EEEEDaSW_SX_EUlSW_E_NS1_11comp_targetILNS1_3genE3ELNS1_11target_archE908ELNS1_3gpuE7ELNS1_3repE0EEENS1_30default_config_static_selectorELNS0_4arch9wavefront6targetE1EEEvT1_,comdat
	.protected	_ZN7rocprim17ROCPRIM_400000_NS6detail17trampoline_kernelINS0_14default_configENS1_27scan_by_key_config_selectorIiiEEZZNS1_16scan_by_key_implILNS1_25lookback_scan_determinismE0ELb1ES3_N6thrust23THRUST_200600_302600_NS6detail15normal_iteratorINS9_10device_ptrIiEEEENSB_INSC_IjEEEESE_iNS9_4plusIvEENS9_8equal_toIvEEiEE10hipError_tPvRmT2_T3_T4_T5_mT6_T7_P12ihipStream_tbENKUlT_T0_E_clISt17integral_constantIbLb0EES10_IbLb1EEEEDaSW_SX_EUlSW_E_NS1_11comp_targetILNS1_3genE3ELNS1_11target_archE908ELNS1_3gpuE7ELNS1_3repE0EEENS1_30default_config_static_selectorELNS0_4arch9wavefront6targetE1EEEvT1_ ; -- Begin function _ZN7rocprim17ROCPRIM_400000_NS6detail17trampoline_kernelINS0_14default_configENS1_27scan_by_key_config_selectorIiiEEZZNS1_16scan_by_key_implILNS1_25lookback_scan_determinismE0ELb1ES3_N6thrust23THRUST_200600_302600_NS6detail15normal_iteratorINS9_10device_ptrIiEEEENSB_INSC_IjEEEESE_iNS9_4plusIvEENS9_8equal_toIvEEiEE10hipError_tPvRmT2_T3_T4_T5_mT6_T7_P12ihipStream_tbENKUlT_T0_E_clISt17integral_constantIbLb0EES10_IbLb1EEEEDaSW_SX_EUlSW_E_NS1_11comp_targetILNS1_3genE3ELNS1_11target_archE908ELNS1_3gpuE7ELNS1_3repE0EEENS1_30default_config_static_selectorELNS0_4arch9wavefront6targetE1EEEvT1_
	.globl	_ZN7rocprim17ROCPRIM_400000_NS6detail17trampoline_kernelINS0_14default_configENS1_27scan_by_key_config_selectorIiiEEZZNS1_16scan_by_key_implILNS1_25lookback_scan_determinismE0ELb1ES3_N6thrust23THRUST_200600_302600_NS6detail15normal_iteratorINS9_10device_ptrIiEEEENSB_INSC_IjEEEESE_iNS9_4plusIvEENS9_8equal_toIvEEiEE10hipError_tPvRmT2_T3_T4_T5_mT6_T7_P12ihipStream_tbENKUlT_T0_E_clISt17integral_constantIbLb0EES10_IbLb1EEEEDaSW_SX_EUlSW_E_NS1_11comp_targetILNS1_3genE3ELNS1_11target_archE908ELNS1_3gpuE7ELNS1_3repE0EEENS1_30default_config_static_selectorELNS0_4arch9wavefront6targetE1EEEvT1_
	.p2align	8
	.type	_ZN7rocprim17ROCPRIM_400000_NS6detail17trampoline_kernelINS0_14default_configENS1_27scan_by_key_config_selectorIiiEEZZNS1_16scan_by_key_implILNS1_25lookback_scan_determinismE0ELb1ES3_N6thrust23THRUST_200600_302600_NS6detail15normal_iteratorINS9_10device_ptrIiEEEENSB_INSC_IjEEEESE_iNS9_4plusIvEENS9_8equal_toIvEEiEE10hipError_tPvRmT2_T3_T4_T5_mT6_T7_P12ihipStream_tbENKUlT_T0_E_clISt17integral_constantIbLb0EES10_IbLb1EEEEDaSW_SX_EUlSW_E_NS1_11comp_targetILNS1_3genE3ELNS1_11target_archE908ELNS1_3gpuE7ELNS1_3repE0EEENS1_30default_config_static_selectorELNS0_4arch9wavefront6targetE1EEEvT1_,@function
_ZN7rocprim17ROCPRIM_400000_NS6detail17trampoline_kernelINS0_14default_configENS1_27scan_by_key_config_selectorIiiEEZZNS1_16scan_by_key_implILNS1_25lookback_scan_determinismE0ELb1ES3_N6thrust23THRUST_200600_302600_NS6detail15normal_iteratorINS9_10device_ptrIiEEEENSB_INSC_IjEEEESE_iNS9_4plusIvEENS9_8equal_toIvEEiEE10hipError_tPvRmT2_T3_T4_T5_mT6_T7_P12ihipStream_tbENKUlT_T0_E_clISt17integral_constantIbLb0EES10_IbLb1EEEEDaSW_SX_EUlSW_E_NS1_11comp_targetILNS1_3genE3ELNS1_11target_archE908ELNS1_3gpuE7ELNS1_3repE0EEENS1_30default_config_static_selectorELNS0_4arch9wavefront6targetE1EEEvT1_: ; @_ZN7rocprim17ROCPRIM_400000_NS6detail17trampoline_kernelINS0_14default_configENS1_27scan_by_key_config_selectorIiiEEZZNS1_16scan_by_key_implILNS1_25lookback_scan_determinismE0ELb1ES3_N6thrust23THRUST_200600_302600_NS6detail15normal_iteratorINS9_10device_ptrIiEEEENSB_INSC_IjEEEESE_iNS9_4plusIvEENS9_8equal_toIvEEiEE10hipError_tPvRmT2_T3_T4_T5_mT6_T7_P12ihipStream_tbENKUlT_T0_E_clISt17integral_constantIbLb0EES10_IbLb1EEEEDaSW_SX_EUlSW_E_NS1_11comp_targetILNS1_3genE3ELNS1_11target_archE908ELNS1_3gpuE7ELNS1_3repE0EEENS1_30default_config_static_selectorELNS0_4arch9wavefront6targetE1EEEvT1_
; %bb.0:
	.section	.rodata,"a",@progbits
	.p2align	6, 0x0
	.amdhsa_kernel _ZN7rocprim17ROCPRIM_400000_NS6detail17trampoline_kernelINS0_14default_configENS1_27scan_by_key_config_selectorIiiEEZZNS1_16scan_by_key_implILNS1_25lookback_scan_determinismE0ELb1ES3_N6thrust23THRUST_200600_302600_NS6detail15normal_iteratorINS9_10device_ptrIiEEEENSB_INSC_IjEEEESE_iNS9_4plusIvEENS9_8equal_toIvEEiEE10hipError_tPvRmT2_T3_T4_T5_mT6_T7_P12ihipStream_tbENKUlT_T0_E_clISt17integral_constantIbLb0EES10_IbLb1EEEEDaSW_SX_EUlSW_E_NS1_11comp_targetILNS1_3genE3ELNS1_11target_archE908ELNS1_3gpuE7ELNS1_3repE0EEENS1_30default_config_static_selectorELNS0_4arch9wavefront6targetE1EEEvT1_
		.amdhsa_group_segment_fixed_size 0
		.amdhsa_private_segment_fixed_size 0
		.amdhsa_kernarg_size 112
		.amdhsa_user_sgpr_count 6
		.amdhsa_user_sgpr_private_segment_buffer 1
		.amdhsa_user_sgpr_dispatch_ptr 0
		.amdhsa_user_sgpr_queue_ptr 0
		.amdhsa_user_sgpr_kernarg_segment_ptr 1
		.amdhsa_user_sgpr_dispatch_id 0
		.amdhsa_user_sgpr_flat_scratch_init 0
		.amdhsa_user_sgpr_kernarg_preload_length 0
		.amdhsa_user_sgpr_kernarg_preload_offset 0
		.amdhsa_user_sgpr_private_segment_size 0
		.amdhsa_uses_dynamic_stack 0
		.amdhsa_system_sgpr_private_segment_wavefront_offset 0
		.amdhsa_system_sgpr_workgroup_id_x 1
		.amdhsa_system_sgpr_workgroup_id_y 0
		.amdhsa_system_sgpr_workgroup_id_z 0
		.amdhsa_system_sgpr_workgroup_info 0
		.amdhsa_system_vgpr_workitem_id 0
		.amdhsa_next_free_vgpr 1
		.amdhsa_next_free_sgpr 0
		.amdhsa_accum_offset 4
		.amdhsa_reserve_vcc 0
		.amdhsa_reserve_flat_scratch 0
		.amdhsa_float_round_mode_32 0
		.amdhsa_float_round_mode_16_64 0
		.amdhsa_float_denorm_mode_32 3
		.amdhsa_float_denorm_mode_16_64 3
		.amdhsa_dx10_clamp 1
		.amdhsa_ieee_mode 1
		.amdhsa_fp16_overflow 0
		.amdhsa_tg_split 0
		.amdhsa_exception_fp_ieee_invalid_op 0
		.amdhsa_exception_fp_denorm_src 0
		.amdhsa_exception_fp_ieee_div_zero 0
		.amdhsa_exception_fp_ieee_overflow 0
		.amdhsa_exception_fp_ieee_underflow 0
		.amdhsa_exception_fp_ieee_inexact 0
		.amdhsa_exception_int_div_zero 0
	.end_amdhsa_kernel
	.section	.text._ZN7rocprim17ROCPRIM_400000_NS6detail17trampoline_kernelINS0_14default_configENS1_27scan_by_key_config_selectorIiiEEZZNS1_16scan_by_key_implILNS1_25lookback_scan_determinismE0ELb1ES3_N6thrust23THRUST_200600_302600_NS6detail15normal_iteratorINS9_10device_ptrIiEEEENSB_INSC_IjEEEESE_iNS9_4plusIvEENS9_8equal_toIvEEiEE10hipError_tPvRmT2_T3_T4_T5_mT6_T7_P12ihipStream_tbENKUlT_T0_E_clISt17integral_constantIbLb0EES10_IbLb1EEEEDaSW_SX_EUlSW_E_NS1_11comp_targetILNS1_3genE3ELNS1_11target_archE908ELNS1_3gpuE7ELNS1_3repE0EEENS1_30default_config_static_selectorELNS0_4arch9wavefront6targetE1EEEvT1_,"axG",@progbits,_ZN7rocprim17ROCPRIM_400000_NS6detail17trampoline_kernelINS0_14default_configENS1_27scan_by_key_config_selectorIiiEEZZNS1_16scan_by_key_implILNS1_25lookback_scan_determinismE0ELb1ES3_N6thrust23THRUST_200600_302600_NS6detail15normal_iteratorINS9_10device_ptrIiEEEENSB_INSC_IjEEEESE_iNS9_4plusIvEENS9_8equal_toIvEEiEE10hipError_tPvRmT2_T3_T4_T5_mT6_T7_P12ihipStream_tbENKUlT_T0_E_clISt17integral_constantIbLb0EES10_IbLb1EEEEDaSW_SX_EUlSW_E_NS1_11comp_targetILNS1_3genE3ELNS1_11target_archE908ELNS1_3gpuE7ELNS1_3repE0EEENS1_30default_config_static_selectorELNS0_4arch9wavefront6targetE1EEEvT1_,comdat
.Lfunc_end1783:
	.size	_ZN7rocprim17ROCPRIM_400000_NS6detail17trampoline_kernelINS0_14default_configENS1_27scan_by_key_config_selectorIiiEEZZNS1_16scan_by_key_implILNS1_25lookback_scan_determinismE0ELb1ES3_N6thrust23THRUST_200600_302600_NS6detail15normal_iteratorINS9_10device_ptrIiEEEENSB_INSC_IjEEEESE_iNS9_4plusIvEENS9_8equal_toIvEEiEE10hipError_tPvRmT2_T3_T4_T5_mT6_T7_P12ihipStream_tbENKUlT_T0_E_clISt17integral_constantIbLb0EES10_IbLb1EEEEDaSW_SX_EUlSW_E_NS1_11comp_targetILNS1_3genE3ELNS1_11target_archE908ELNS1_3gpuE7ELNS1_3repE0EEENS1_30default_config_static_selectorELNS0_4arch9wavefront6targetE1EEEvT1_, .Lfunc_end1783-_ZN7rocprim17ROCPRIM_400000_NS6detail17trampoline_kernelINS0_14default_configENS1_27scan_by_key_config_selectorIiiEEZZNS1_16scan_by_key_implILNS1_25lookback_scan_determinismE0ELb1ES3_N6thrust23THRUST_200600_302600_NS6detail15normal_iteratorINS9_10device_ptrIiEEEENSB_INSC_IjEEEESE_iNS9_4plusIvEENS9_8equal_toIvEEiEE10hipError_tPvRmT2_T3_T4_T5_mT6_T7_P12ihipStream_tbENKUlT_T0_E_clISt17integral_constantIbLb0EES10_IbLb1EEEEDaSW_SX_EUlSW_E_NS1_11comp_targetILNS1_3genE3ELNS1_11target_archE908ELNS1_3gpuE7ELNS1_3repE0EEENS1_30default_config_static_selectorELNS0_4arch9wavefront6targetE1EEEvT1_
                                        ; -- End function
	.section	.AMDGPU.csdata,"",@progbits
; Kernel info:
; codeLenInByte = 0
; NumSgprs: 4
; NumVgprs: 0
; NumAgprs: 0
; TotalNumVgprs: 0
; ScratchSize: 0
; MemoryBound: 0
; FloatMode: 240
; IeeeMode: 1
; LDSByteSize: 0 bytes/workgroup (compile time only)
; SGPRBlocks: 0
; VGPRBlocks: 0
; NumSGPRsForWavesPerEU: 4
; NumVGPRsForWavesPerEU: 1
; AccumOffset: 4
; Occupancy: 8
; WaveLimiterHint : 0
; COMPUTE_PGM_RSRC2:SCRATCH_EN: 0
; COMPUTE_PGM_RSRC2:USER_SGPR: 6
; COMPUTE_PGM_RSRC2:TRAP_HANDLER: 0
; COMPUTE_PGM_RSRC2:TGID_X_EN: 1
; COMPUTE_PGM_RSRC2:TGID_Y_EN: 0
; COMPUTE_PGM_RSRC2:TGID_Z_EN: 0
; COMPUTE_PGM_RSRC2:TIDIG_COMP_CNT: 0
; COMPUTE_PGM_RSRC3_GFX90A:ACCUM_OFFSET: 0
; COMPUTE_PGM_RSRC3_GFX90A:TG_SPLIT: 0
	.section	.text._ZN7rocprim17ROCPRIM_400000_NS6detail17trampoline_kernelINS0_14default_configENS1_27scan_by_key_config_selectorIiiEEZZNS1_16scan_by_key_implILNS1_25lookback_scan_determinismE0ELb1ES3_N6thrust23THRUST_200600_302600_NS6detail15normal_iteratorINS9_10device_ptrIiEEEENSB_INSC_IjEEEESE_iNS9_4plusIvEENS9_8equal_toIvEEiEE10hipError_tPvRmT2_T3_T4_T5_mT6_T7_P12ihipStream_tbENKUlT_T0_E_clISt17integral_constantIbLb0EES10_IbLb1EEEEDaSW_SX_EUlSW_E_NS1_11comp_targetILNS1_3genE2ELNS1_11target_archE906ELNS1_3gpuE6ELNS1_3repE0EEENS1_30default_config_static_selectorELNS0_4arch9wavefront6targetE1EEEvT1_,"axG",@progbits,_ZN7rocprim17ROCPRIM_400000_NS6detail17trampoline_kernelINS0_14default_configENS1_27scan_by_key_config_selectorIiiEEZZNS1_16scan_by_key_implILNS1_25lookback_scan_determinismE0ELb1ES3_N6thrust23THRUST_200600_302600_NS6detail15normal_iteratorINS9_10device_ptrIiEEEENSB_INSC_IjEEEESE_iNS9_4plusIvEENS9_8equal_toIvEEiEE10hipError_tPvRmT2_T3_T4_T5_mT6_T7_P12ihipStream_tbENKUlT_T0_E_clISt17integral_constantIbLb0EES10_IbLb1EEEEDaSW_SX_EUlSW_E_NS1_11comp_targetILNS1_3genE2ELNS1_11target_archE906ELNS1_3gpuE6ELNS1_3repE0EEENS1_30default_config_static_selectorELNS0_4arch9wavefront6targetE1EEEvT1_,comdat
	.protected	_ZN7rocprim17ROCPRIM_400000_NS6detail17trampoline_kernelINS0_14default_configENS1_27scan_by_key_config_selectorIiiEEZZNS1_16scan_by_key_implILNS1_25lookback_scan_determinismE0ELb1ES3_N6thrust23THRUST_200600_302600_NS6detail15normal_iteratorINS9_10device_ptrIiEEEENSB_INSC_IjEEEESE_iNS9_4plusIvEENS9_8equal_toIvEEiEE10hipError_tPvRmT2_T3_T4_T5_mT6_T7_P12ihipStream_tbENKUlT_T0_E_clISt17integral_constantIbLb0EES10_IbLb1EEEEDaSW_SX_EUlSW_E_NS1_11comp_targetILNS1_3genE2ELNS1_11target_archE906ELNS1_3gpuE6ELNS1_3repE0EEENS1_30default_config_static_selectorELNS0_4arch9wavefront6targetE1EEEvT1_ ; -- Begin function _ZN7rocprim17ROCPRIM_400000_NS6detail17trampoline_kernelINS0_14default_configENS1_27scan_by_key_config_selectorIiiEEZZNS1_16scan_by_key_implILNS1_25lookback_scan_determinismE0ELb1ES3_N6thrust23THRUST_200600_302600_NS6detail15normal_iteratorINS9_10device_ptrIiEEEENSB_INSC_IjEEEESE_iNS9_4plusIvEENS9_8equal_toIvEEiEE10hipError_tPvRmT2_T3_T4_T5_mT6_T7_P12ihipStream_tbENKUlT_T0_E_clISt17integral_constantIbLb0EES10_IbLb1EEEEDaSW_SX_EUlSW_E_NS1_11comp_targetILNS1_3genE2ELNS1_11target_archE906ELNS1_3gpuE6ELNS1_3repE0EEENS1_30default_config_static_selectorELNS0_4arch9wavefront6targetE1EEEvT1_
	.globl	_ZN7rocprim17ROCPRIM_400000_NS6detail17trampoline_kernelINS0_14default_configENS1_27scan_by_key_config_selectorIiiEEZZNS1_16scan_by_key_implILNS1_25lookback_scan_determinismE0ELb1ES3_N6thrust23THRUST_200600_302600_NS6detail15normal_iteratorINS9_10device_ptrIiEEEENSB_INSC_IjEEEESE_iNS9_4plusIvEENS9_8equal_toIvEEiEE10hipError_tPvRmT2_T3_T4_T5_mT6_T7_P12ihipStream_tbENKUlT_T0_E_clISt17integral_constantIbLb0EES10_IbLb1EEEEDaSW_SX_EUlSW_E_NS1_11comp_targetILNS1_3genE2ELNS1_11target_archE906ELNS1_3gpuE6ELNS1_3repE0EEENS1_30default_config_static_selectorELNS0_4arch9wavefront6targetE1EEEvT1_
	.p2align	8
	.type	_ZN7rocprim17ROCPRIM_400000_NS6detail17trampoline_kernelINS0_14default_configENS1_27scan_by_key_config_selectorIiiEEZZNS1_16scan_by_key_implILNS1_25lookback_scan_determinismE0ELb1ES3_N6thrust23THRUST_200600_302600_NS6detail15normal_iteratorINS9_10device_ptrIiEEEENSB_INSC_IjEEEESE_iNS9_4plusIvEENS9_8equal_toIvEEiEE10hipError_tPvRmT2_T3_T4_T5_mT6_T7_P12ihipStream_tbENKUlT_T0_E_clISt17integral_constantIbLb0EES10_IbLb1EEEEDaSW_SX_EUlSW_E_NS1_11comp_targetILNS1_3genE2ELNS1_11target_archE906ELNS1_3gpuE6ELNS1_3repE0EEENS1_30default_config_static_selectorELNS0_4arch9wavefront6targetE1EEEvT1_,@function
_ZN7rocprim17ROCPRIM_400000_NS6detail17trampoline_kernelINS0_14default_configENS1_27scan_by_key_config_selectorIiiEEZZNS1_16scan_by_key_implILNS1_25lookback_scan_determinismE0ELb1ES3_N6thrust23THRUST_200600_302600_NS6detail15normal_iteratorINS9_10device_ptrIiEEEENSB_INSC_IjEEEESE_iNS9_4plusIvEENS9_8equal_toIvEEiEE10hipError_tPvRmT2_T3_T4_T5_mT6_T7_P12ihipStream_tbENKUlT_T0_E_clISt17integral_constantIbLb0EES10_IbLb1EEEEDaSW_SX_EUlSW_E_NS1_11comp_targetILNS1_3genE2ELNS1_11target_archE906ELNS1_3gpuE6ELNS1_3repE0EEENS1_30default_config_static_selectorELNS0_4arch9wavefront6targetE1EEEvT1_: ; @_ZN7rocprim17ROCPRIM_400000_NS6detail17trampoline_kernelINS0_14default_configENS1_27scan_by_key_config_selectorIiiEEZZNS1_16scan_by_key_implILNS1_25lookback_scan_determinismE0ELb1ES3_N6thrust23THRUST_200600_302600_NS6detail15normal_iteratorINS9_10device_ptrIiEEEENSB_INSC_IjEEEESE_iNS9_4plusIvEENS9_8equal_toIvEEiEE10hipError_tPvRmT2_T3_T4_T5_mT6_T7_P12ihipStream_tbENKUlT_T0_E_clISt17integral_constantIbLb0EES10_IbLb1EEEEDaSW_SX_EUlSW_E_NS1_11comp_targetILNS1_3genE2ELNS1_11target_archE906ELNS1_3gpuE6ELNS1_3repE0EEENS1_30default_config_static_selectorELNS0_4arch9wavefront6targetE1EEEvT1_
; %bb.0:
	.section	.rodata,"a",@progbits
	.p2align	6, 0x0
	.amdhsa_kernel _ZN7rocprim17ROCPRIM_400000_NS6detail17trampoline_kernelINS0_14default_configENS1_27scan_by_key_config_selectorIiiEEZZNS1_16scan_by_key_implILNS1_25lookback_scan_determinismE0ELb1ES3_N6thrust23THRUST_200600_302600_NS6detail15normal_iteratorINS9_10device_ptrIiEEEENSB_INSC_IjEEEESE_iNS9_4plusIvEENS9_8equal_toIvEEiEE10hipError_tPvRmT2_T3_T4_T5_mT6_T7_P12ihipStream_tbENKUlT_T0_E_clISt17integral_constantIbLb0EES10_IbLb1EEEEDaSW_SX_EUlSW_E_NS1_11comp_targetILNS1_3genE2ELNS1_11target_archE906ELNS1_3gpuE6ELNS1_3repE0EEENS1_30default_config_static_selectorELNS0_4arch9wavefront6targetE1EEEvT1_
		.amdhsa_group_segment_fixed_size 0
		.amdhsa_private_segment_fixed_size 0
		.amdhsa_kernarg_size 112
		.amdhsa_user_sgpr_count 6
		.amdhsa_user_sgpr_private_segment_buffer 1
		.amdhsa_user_sgpr_dispatch_ptr 0
		.amdhsa_user_sgpr_queue_ptr 0
		.amdhsa_user_sgpr_kernarg_segment_ptr 1
		.amdhsa_user_sgpr_dispatch_id 0
		.amdhsa_user_sgpr_flat_scratch_init 0
		.amdhsa_user_sgpr_kernarg_preload_length 0
		.amdhsa_user_sgpr_kernarg_preload_offset 0
		.amdhsa_user_sgpr_private_segment_size 0
		.amdhsa_uses_dynamic_stack 0
		.amdhsa_system_sgpr_private_segment_wavefront_offset 0
		.amdhsa_system_sgpr_workgroup_id_x 1
		.amdhsa_system_sgpr_workgroup_id_y 0
		.amdhsa_system_sgpr_workgroup_id_z 0
		.amdhsa_system_sgpr_workgroup_info 0
		.amdhsa_system_vgpr_workitem_id 0
		.amdhsa_next_free_vgpr 1
		.amdhsa_next_free_sgpr 0
		.amdhsa_accum_offset 4
		.amdhsa_reserve_vcc 0
		.amdhsa_reserve_flat_scratch 0
		.amdhsa_float_round_mode_32 0
		.amdhsa_float_round_mode_16_64 0
		.amdhsa_float_denorm_mode_32 3
		.amdhsa_float_denorm_mode_16_64 3
		.amdhsa_dx10_clamp 1
		.amdhsa_ieee_mode 1
		.amdhsa_fp16_overflow 0
		.amdhsa_tg_split 0
		.amdhsa_exception_fp_ieee_invalid_op 0
		.amdhsa_exception_fp_denorm_src 0
		.amdhsa_exception_fp_ieee_div_zero 0
		.amdhsa_exception_fp_ieee_overflow 0
		.amdhsa_exception_fp_ieee_underflow 0
		.amdhsa_exception_fp_ieee_inexact 0
		.amdhsa_exception_int_div_zero 0
	.end_amdhsa_kernel
	.section	.text._ZN7rocprim17ROCPRIM_400000_NS6detail17trampoline_kernelINS0_14default_configENS1_27scan_by_key_config_selectorIiiEEZZNS1_16scan_by_key_implILNS1_25lookback_scan_determinismE0ELb1ES3_N6thrust23THRUST_200600_302600_NS6detail15normal_iteratorINS9_10device_ptrIiEEEENSB_INSC_IjEEEESE_iNS9_4plusIvEENS9_8equal_toIvEEiEE10hipError_tPvRmT2_T3_T4_T5_mT6_T7_P12ihipStream_tbENKUlT_T0_E_clISt17integral_constantIbLb0EES10_IbLb1EEEEDaSW_SX_EUlSW_E_NS1_11comp_targetILNS1_3genE2ELNS1_11target_archE906ELNS1_3gpuE6ELNS1_3repE0EEENS1_30default_config_static_selectorELNS0_4arch9wavefront6targetE1EEEvT1_,"axG",@progbits,_ZN7rocprim17ROCPRIM_400000_NS6detail17trampoline_kernelINS0_14default_configENS1_27scan_by_key_config_selectorIiiEEZZNS1_16scan_by_key_implILNS1_25lookback_scan_determinismE0ELb1ES3_N6thrust23THRUST_200600_302600_NS6detail15normal_iteratorINS9_10device_ptrIiEEEENSB_INSC_IjEEEESE_iNS9_4plusIvEENS9_8equal_toIvEEiEE10hipError_tPvRmT2_T3_T4_T5_mT6_T7_P12ihipStream_tbENKUlT_T0_E_clISt17integral_constantIbLb0EES10_IbLb1EEEEDaSW_SX_EUlSW_E_NS1_11comp_targetILNS1_3genE2ELNS1_11target_archE906ELNS1_3gpuE6ELNS1_3repE0EEENS1_30default_config_static_selectorELNS0_4arch9wavefront6targetE1EEEvT1_,comdat
.Lfunc_end1784:
	.size	_ZN7rocprim17ROCPRIM_400000_NS6detail17trampoline_kernelINS0_14default_configENS1_27scan_by_key_config_selectorIiiEEZZNS1_16scan_by_key_implILNS1_25lookback_scan_determinismE0ELb1ES3_N6thrust23THRUST_200600_302600_NS6detail15normal_iteratorINS9_10device_ptrIiEEEENSB_INSC_IjEEEESE_iNS9_4plusIvEENS9_8equal_toIvEEiEE10hipError_tPvRmT2_T3_T4_T5_mT6_T7_P12ihipStream_tbENKUlT_T0_E_clISt17integral_constantIbLb0EES10_IbLb1EEEEDaSW_SX_EUlSW_E_NS1_11comp_targetILNS1_3genE2ELNS1_11target_archE906ELNS1_3gpuE6ELNS1_3repE0EEENS1_30default_config_static_selectorELNS0_4arch9wavefront6targetE1EEEvT1_, .Lfunc_end1784-_ZN7rocprim17ROCPRIM_400000_NS6detail17trampoline_kernelINS0_14default_configENS1_27scan_by_key_config_selectorIiiEEZZNS1_16scan_by_key_implILNS1_25lookback_scan_determinismE0ELb1ES3_N6thrust23THRUST_200600_302600_NS6detail15normal_iteratorINS9_10device_ptrIiEEEENSB_INSC_IjEEEESE_iNS9_4plusIvEENS9_8equal_toIvEEiEE10hipError_tPvRmT2_T3_T4_T5_mT6_T7_P12ihipStream_tbENKUlT_T0_E_clISt17integral_constantIbLb0EES10_IbLb1EEEEDaSW_SX_EUlSW_E_NS1_11comp_targetILNS1_3genE2ELNS1_11target_archE906ELNS1_3gpuE6ELNS1_3repE0EEENS1_30default_config_static_selectorELNS0_4arch9wavefront6targetE1EEEvT1_
                                        ; -- End function
	.section	.AMDGPU.csdata,"",@progbits
; Kernel info:
; codeLenInByte = 0
; NumSgprs: 4
; NumVgprs: 0
; NumAgprs: 0
; TotalNumVgprs: 0
; ScratchSize: 0
; MemoryBound: 0
; FloatMode: 240
; IeeeMode: 1
; LDSByteSize: 0 bytes/workgroup (compile time only)
; SGPRBlocks: 0
; VGPRBlocks: 0
; NumSGPRsForWavesPerEU: 4
; NumVGPRsForWavesPerEU: 1
; AccumOffset: 4
; Occupancy: 8
; WaveLimiterHint : 0
; COMPUTE_PGM_RSRC2:SCRATCH_EN: 0
; COMPUTE_PGM_RSRC2:USER_SGPR: 6
; COMPUTE_PGM_RSRC2:TRAP_HANDLER: 0
; COMPUTE_PGM_RSRC2:TGID_X_EN: 1
; COMPUTE_PGM_RSRC2:TGID_Y_EN: 0
; COMPUTE_PGM_RSRC2:TGID_Z_EN: 0
; COMPUTE_PGM_RSRC2:TIDIG_COMP_CNT: 0
; COMPUTE_PGM_RSRC3_GFX90A:ACCUM_OFFSET: 0
; COMPUTE_PGM_RSRC3_GFX90A:TG_SPLIT: 0
	.section	.text._ZN7rocprim17ROCPRIM_400000_NS6detail17trampoline_kernelINS0_14default_configENS1_27scan_by_key_config_selectorIiiEEZZNS1_16scan_by_key_implILNS1_25lookback_scan_determinismE0ELb1ES3_N6thrust23THRUST_200600_302600_NS6detail15normal_iteratorINS9_10device_ptrIiEEEENSB_INSC_IjEEEESE_iNS9_4plusIvEENS9_8equal_toIvEEiEE10hipError_tPvRmT2_T3_T4_T5_mT6_T7_P12ihipStream_tbENKUlT_T0_E_clISt17integral_constantIbLb0EES10_IbLb1EEEEDaSW_SX_EUlSW_E_NS1_11comp_targetILNS1_3genE10ELNS1_11target_archE1200ELNS1_3gpuE4ELNS1_3repE0EEENS1_30default_config_static_selectorELNS0_4arch9wavefront6targetE1EEEvT1_,"axG",@progbits,_ZN7rocprim17ROCPRIM_400000_NS6detail17trampoline_kernelINS0_14default_configENS1_27scan_by_key_config_selectorIiiEEZZNS1_16scan_by_key_implILNS1_25lookback_scan_determinismE0ELb1ES3_N6thrust23THRUST_200600_302600_NS6detail15normal_iteratorINS9_10device_ptrIiEEEENSB_INSC_IjEEEESE_iNS9_4plusIvEENS9_8equal_toIvEEiEE10hipError_tPvRmT2_T3_T4_T5_mT6_T7_P12ihipStream_tbENKUlT_T0_E_clISt17integral_constantIbLb0EES10_IbLb1EEEEDaSW_SX_EUlSW_E_NS1_11comp_targetILNS1_3genE10ELNS1_11target_archE1200ELNS1_3gpuE4ELNS1_3repE0EEENS1_30default_config_static_selectorELNS0_4arch9wavefront6targetE1EEEvT1_,comdat
	.protected	_ZN7rocprim17ROCPRIM_400000_NS6detail17trampoline_kernelINS0_14default_configENS1_27scan_by_key_config_selectorIiiEEZZNS1_16scan_by_key_implILNS1_25lookback_scan_determinismE0ELb1ES3_N6thrust23THRUST_200600_302600_NS6detail15normal_iteratorINS9_10device_ptrIiEEEENSB_INSC_IjEEEESE_iNS9_4plusIvEENS9_8equal_toIvEEiEE10hipError_tPvRmT2_T3_T4_T5_mT6_T7_P12ihipStream_tbENKUlT_T0_E_clISt17integral_constantIbLb0EES10_IbLb1EEEEDaSW_SX_EUlSW_E_NS1_11comp_targetILNS1_3genE10ELNS1_11target_archE1200ELNS1_3gpuE4ELNS1_3repE0EEENS1_30default_config_static_selectorELNS0_4arch9wavefront6targetE1EEEvT1_ ; -- Begin function _ZN7rocprim17ROCPRIM_400000_NS6detail17trampoline_kernelINS0_14default_configENS1_27scan_by_key_config_selectorIiiEEZZNS1_16scan_by_key_implILNS1_25lookback_scan_determinismE0ELb1ES3_N6thrust23THRUST_200600_302600_NS6detail15normal_iteratorINS9_10device_ptrIiEEEENSB_INSC_IjEEEESE_iNS9_4plusIvEENS9_8equal_toIvEEiEE10hipError_tPvRmT2_T3_T4_T5_mT6_T7_P12ihipStream_tbENKUlT_T0_E_clISt17integral_constantIbLb0EES10_IbLb1EEEEDaSW_SX_EUlSW_E_NS1_11comp_targetILNS1_3genE10ELNS1_11target_archE1200ELNS1_3gpuE4ELNS1_3repE0EEENS1_30default_config_static_selectorELNS0_4arch9wavefront6targetE1EEEvT1_
	.globl	_ZN7rocprim17ROCPRIM_400000_NS6detail17trampoline_kernelINS0_14default_configENS1_27scan_by_key_config_selectorIiiEEZZNS1_16scan_by_key_implILNS1_25lookback_scan_determinismE0ELb1ES3_N6thrust23THRUST_200600_302600_NS6detail15normal_iteratorINS9_10device_ptrIiEEEENSB_INSC_IjEEEESE_iNS9_4plusIvEENS9_8equal_toIvEEiEE10hipError_tPvRmT2_T3_T4_T5_mT6_T7_P12ihipStream_tbENKUlT_T0_E_clISt17integral_constantIbLb0EES10_IbLb1EEEEDaSW_SX_EUlSW_E_NS1_11comp_targetILNS1_3genE10ELNS1_11target_archE1200ELNS1_3gpuE4ELNS1_3repE0EEENS1_30default_config_static_selectorELNS0_4arch9wavefront6targetE1EEEvT1_
	.p2align	8
	.type	_ZN7rocprim17ROCPRIM_400000_NS6detail17trampoline_kernelINS0_14default_configENS1_27scan_by_key_config_selectorIiiEEZZNS1_16scan_by_key_implILNS1_25lookback_scan_determinismE0ELb1ES3_N6thrust23THRUST_200600_302600_NS6detail15normal_iteratorINS9_10device_ptrIiEEEENSB_INSC_IjEEEESE_iNS9_4plusIvEENS9_8equal_toIvEEiEE10hipError_tPvRmT2_T3_T4_T5_mT6_T7_P12ihipStream_tbENKUlT_T0_E_clISt17integral_constantIbLb0EES10_IbLb1EEEEDaSW_SX_EUlSW_E_NS1_11comp_targetILNS1_3genE10ELNS1_11target_archE1200ELNS1_3gpuE4ELNS1_3repE0EEENS1_30default_config_static_selectorELNS0_4arch9wavefront6targetE1EEEvT1_,@function
_ZN7rocprim17ROCPRIM_400000_NS6detail17trampoline_kernelINS0_14default_configENS1_27scan_by_key_config_selectorIiiEEZZNS1_16scan_by_key_implILNS1_25lookback_scan_determinismE0ELb1ES3_N6thrust23THRUST_200600_302600_NS6detail15normal_iteratorINS9_10device_ptrIiEEEENSB_INSC_IjEEEESE_iNS9_4plusIvEENS9_8equal_toIvEEiEE10hipError_tPvRmT2_T3_T4_T5_mT6_T7_P12ihipStream_tbENKUlT_T0_E_clISt17integral_constantIbLb0EES10_IbLb1EEEEDaSW_SX_EUlSW_E_NS1_11comp_targetILNS1_3genE10ELNS1_11target_archE1200ELNS1_3gpuE4ELNS1_3repE0EEENS1_30default_config_static_selectorELNS0_4arch9wavefront6targetE1EEEvT1_: ; @_ZN7rocprim17ROCPRIM_400000_NS6detail17trampoline_kernelINS0_14default_configENS1_27scan_by_key_config_selectorIiiEEZZNS1_16scan_by_key_implILNS1_25lookback_scan_determinismE0ELb1ES3_N6thrust23THRUST_200600_302600_NS6detail15normal_iteratorINS9_10device_ptrIiEEEENSB_INSC_IjEEEESE_iNS9_4plusIvEENS9_8equal_toIvEEiEE10hipError_tPvRmT2_T3_T4_T5_mT6_T7_P12ihipStream_tbENKUlT_T0_E_clISt17integral_constantIbLb0EES10_IbLb1EEEEDaSW_SX_EUlSW_E_NS1_11comp_targetILNS1_3genE10ELNS1_11target_archE1200ELNS1_3gpuE4ELNS1_3repE0EEENS1_30default_config_static_selectorELNS0_4arch9wavefront6targetE1EEEvT1_
; %bb.0:
	.section	.rodata,"a",@progbits
	.p2align	6, 0x0
	.amdhsa_kernel _ZN7rocprim17ROCPRIM_400000_NS6detail17trampoline_kernelINS0_14default_configENS1_27scan_by_key_config_selectorIiiEEZZNS1_16scan_by_key_implILNS1_25lookback_scan_determinismE0ELb1ES3_N6thrust23THRUST_200600_302600_NS6detail15normal_iteratorINS9_10device_ptrIiEEEENSB_INSC_IjEEEESE_iNS9_4plusIvEENS9_8equal_toIvEEiEE10hipError_tPvRmT2_T3_T4_T5_mT6_T7_P12ihipStream_tbENKUlT_T0_E_clISt17integral_constantIbLb0EES10_IbLb1EEEEDaSW_SX_EUlSW_E_NS1_11comp_targetILNS1_3genE10ELNS1_11target_archE1200ELNS1_3gpuE4ELNS1_3repE0EEENS1_30default_config_static_selectorELNS0_4arch9wavefront6targetE1EEEvT1_
		.amdhsa_group_segment_fixed_size 0
		.amdhsa_private_segment_fixed_size 0
		.amdhsa_kernarg_size 112
		.amdhsa_user_sgpr_count 6
		.amdhsa_user_sgpr_private_segment_buffer 1
		.amdhsa_user_sgpr_dispatch_ptr 0
		.amdhsa_user_sgpr_queue_ptr 0
		.amdhsa_user_sgpr_kernarg_segment_ptr 1
		.amdhsa_user_sgpr_dispatch_id 0
		.amdhsa_user_sgpr_flat_scratch_init 0
		.amdhsa_user_sgpr_kernarg_preload_length 0
		.amdhsa_user_sgpr_kernarg_preload_offset 0
		.amdhsa_user_sgpr_private_segment_size 0
		.amdhsa_uses_dynamic_stack 0
		.amdhsa_system_sgpr_private_segment_wavefront_offset 0
		.amdhsa_system_sgpr_workgroup_id_x 1
		.amdhsa_system_sgpr_workgroup_id_y 0
		.amdhsa_system_sgpr_workgroup_id_z 0
		.amdhsa_system_sgpr_workgroup_info 0
		.amdhsa_system_vgpr_workitem_id 0
		.amdhsa_next_free_vgpr 1
		.amdhsa_next_free_sgpr 0
		.amdhsa_accum_offset 4
		.amdhsa_reserve_vcc 0
		.amdhsa_reserve_flat_scratch 0
		.amdhsa_float_round_mode_32 0
		.amdhsa_float_round_mode_16_64 0
		.amdhsa_float_denorm_mode_32 3
		.amdhsa_float_denorm_mode_16_64 3
		.amdhsa_dx10_clamp 1
		.amdhsa_ieee_mode 1
		.amdhsa_fp16_overflow 0
		.amdhsa_tg_split 0
		.amdhsa_exception_fp_ieee_invalid_op 0
		.amdhsa_exception_fp_denorm_src 0
		.amdhsa_exception_fp_ieee_div_zero 0
		.amdhsa_exception_fp_ieee_overflow 0
		.amdhsa_exception_fp_ieee_underflow 0
		.amdhsa_exception_fp_ieee_inexact 0
		.amdhsa_exception_int_div_zero 0
	.end_amdhsa_kernel
	.section	.text._ZN7rocprim17ROCPRIM_400000_NS6detail17trampoline_kernelINS0_14default_configENS1_27scan_by_key_config_selectorIiiEEZZNS1_16scan_by_key_implILNS1_25lookback_scan_determinismE0ELb1ES3_N6thrust23THRUST_200600_302600_NS6detail15normal_iteratorINS9_10device_ptrIiEEEENSB_INSC_IjEEEESE_iNS9_4plusIvEENS9_8equal_toIvEEiEE10hipError_tPvRmT2_T3_T4_T5_mT6_T7_P12ihipStream_tbENKUlT_T0_E_clISt17integral_constantIbLb0EES10_IbLb1EEEEDaSW_SX_EUlSW_E_NS1_11comp_targetILNS1_3genE10ELNS1_11target_archE1200ELNS1_3gpuE4ELNS1_3repE0EEENS1_30default_config_static_selectorELNS0_4arch9wavefront6targetE1EEEvT1_,"axG",@progbits,_ZN7rocprim17ROCPRIM_400000_NS6detail17trampoline_kernelINS0_14default_configENS1_27scan_by_key_config_selectorIiiEEZZNS1_16scan_by_key_implILNS1_25lookback_scan_determinismE0ELb1ES3_N6thrust23THRUST_200600_302600_NS6detail15normal_iteratorINS9_10device_ptrIiEEEENSB_INSC_IjEEEESE_iNS9_4plusIvEENS9_8equal_toIvEEiEE10hipError_tPvRmT2_T3_T4_T5_mT6_T7_P12ihipStream_tbENKUlT_T0_E_clISt17integral_constantIbLb0EES10_IbLb1EEEEDaSW_SX_EUlSW_E_NS1_11comp_targetILNS1_3genE10ELNS1_11target_archE1200ELNS1_3gpuE4ELNS1_3repE0EEENS1_30default_config_static_selectorELNS0_4arch9wavefront6targetE1EEEvT1_,comdat
.Lfunc_end1785:
	.size	_ZN7rocprim17ROCPRIM_400000_NS6detail17trampoline_kernelINS0_14default_configENS1_27scan_by_key_config_selectorIiiEEZZNS1_16scan_by_key_implILNS1_25lookback_scan_determinismE0ELb1ES3_N6thrust23THRUST_200600_302600_NS6detail15normal_iteratorINS9_10device_ptrIiEEEENSB_INSC_IjEEEESE_iNS9_4plusIvEENS9_8equal_toIvEEiEE10hipError_tPvRmT2_T3_T4_T5_mT6_T7_P12ihipStream_tbENKUlT_T0_E_clISt17integral_constantIbLb0EES10_IbLb1EEEEDaSW_SX_EUlSW_E_NS1_11comp_targetILNS1_3genE10ELNS1_11target_archE1200ELNS1_3gpuE4ELNS1_3repE0EEENS1_30default_config_static_selectorELNS0_4arch9wavefront6targetE1EEEvT1_, .Lfunc_end1785-_ZN7rocprim17ROCPRIM_400000_NS6detail17trampoline_kernelINS0_14default_configENS1_27scan_by_key_config_selectorIiiEEZZNS1_16scan_by_key_implILNS1_25lookback_scan_determinismE0ELb1ES3_N6thrust23THRUST_200600_302600_NS6detail15normal_iteratorINS9_10device_ptrIiEEEENSB_INSC_IjEEEESE_iNS9_4plusIvEENS9_8equal_toIvEEiEE10hipError_tPvRmT2_T3_T4_T5_mT6_T7_P12ihipStream_tbENKUlT_T0_E_clISt17integral_constantIbLb0EES10_IbLb1EEEEDaSW_SX_EUlSW_E_NS1_11comp_targetILNS1_3genE10ELNS1_11target_archE1200ELNS1_3gpuE4ELNS1_3repE0EEENS1_30default_config_static_selectorELNS0_4arch9wavefront6targetE1EEEvT1_
                                        ; -- End function
	.section	.AMDGPU.csdata,"",@progbits
; Kernel info:
; codeLenInByte = 0
; NumSgprs: 4
; NumVgprs: 0
; NumAgprs: 0
; TotalNumVgprs: 0
; ScratchSize: 0
; MemoryBound: 0
; FloatMode: 240
; IeeeMode: 1
; LDSByteSize: 0 bytes/workgroup (compile time only)
; SGPRBlocks: 0
; VGPRBlocks: 0
; NumSGPRsForWavesPerEU: 4
; NumVGPRsForWavesPerEU: 1
; AccumOffset: 4
; Occupancy: 8
; WaveLimiterHint : 0
; COMPUTE_PGM_RSRC2:SCRATCH_EN: 0
; COMPUTE_PGM_RSRC2:USER_SGPR: 6
; COMPUTE_PGM_RSRC2:TRAP_HANDLER: 0
; COMPUTE_PGM_RSRC2:TGID_X_EN: 1
; COMPUTE_PGM_RSRC2:TGID_Y_EN: 0
; COMPUTE_PGM_RSRC2:TGID_Z_EN: 0
; COMPUTE_PGM_RSRC2:TIDIG_COMP_CNT: 0
; COMPUTE_PGM_RSRC3_GFX90A:ACCUM_OFFSET: 0
; COMPUTE_PGM_RSRC3_GFX90A:TG_SPLIT: 0
	.section	.text._ZN7rocprim17ROCPRIM_400000_NS6detail17trampoline_kernelINS0_14default_configENS1_27scan_by_key_config_selectorIiiEEZZNS1_16scan_by_key_implILNS1_25lookback_scan_determinismE0ELb1ES3_N6thrust23THRUST_200600_302600_NS6detail15normal_iteratorINS9_10device_ptrIiEEEENSB_INSC_IjEEEESE_iNS9_4plusIvEENS9_8equal_toIvEEiEE10hipError_tPvRmT2_T3_T4_T5_mT6_T7_P12ihipStream_tbENKUlT_T0_E_clISt17integral_constantIbLb0EES10_IbLb1EEEEDaSW_SX_EUlSW_E_NS1_11comp_targetILNS1_3genE9ELNS1_11target_archE1100ELNS1_3gpuE3ELNS1_3repE0EEENS1_30default_config_static_selectorELNS0_4arch9wavefront6targetE1EEEvT1_,"axG",@progbits,_ZN7rocprim17ROCPRIM_400000_NS6detail17trampoline_kernelINS0_14default_configENS1_27scan_by_key_config_selectorIiiEEZZNS1_16scan_by_key_implILNS1_25lookback_scan_determinismE0ELb1ES3_N6thrust23THRUST_200600_302600_NS6detail15normal_iteratorINS9_10device_ptrIiEEEENSB_INSC_IjEEEESE_iNS9_4plusIvEENS9_8equal_toIvEEiEE10hipError_tPvRmT2_T3_T4_T5_mT6_T7_P12ihipStream_tbENKUlT_T0_E_clISt17integral_constantIbLb0EES10_IbLb1EEEEDaSW_SX_EUlSW_E_NS1_11comp_targetILNS1_3genE9ELNS1_11target_archE1100ELNS1_3gpuE3ELNS1_3repE0EEENS1_30default_config_static_selectorELNS0_4arch9wavefront6targetE1EEEvT1_,comdat
	.protected	_ZN7rocprim17ROCPRIM_400000_NS6detail17trampoline_kernelINS0_14default_configENS1_27scan_by_key_config_selectorIiiEEZZNS1_16scan_by_key_implILNS1_25lookback_scan_determinismE0ELb1ES3_N6thrust23THRUST_200600_302600_NS6detail15normal_iteratorINS9_10device_ptrIiEEEENSB_INSC_IjEEEESE_iNS9_4plusIvEENS9_8equal_toIvEEiEE10hipError_tPvRmT2_T3_T4_T5_mT6_T7_P12ihipStream_tbENKUlT_T0_E_clISt17integral_constantIbLb0EES10_IbLb1EEEEDaSW_SX_EUlSW_E_NS1_11comp_targetILNS1_3genE9ELNS1_11target_archE1100ELNS1_3gpuE3ELNS1_3repE0EEENS1_30default_config_static_selectorELNS0_4arch9wavefront6targetE1EEEvT1_ ; -- Begin function _ZN7rocprim17ROCPRIM_400000_NS6detail17trampoline_kernelINS0_14default_configENS1_27scan_by_key_config_selectorIiiEEZZNS1_16scan_by_key_implILNS1_25lookback_scan_determinismE0ELb1ES3_N6thrust23THRUST_200600_302600_NS6detail15normal_iteratorINS9_10device_ptrIiEEEENSB_INSC_IjEEEESE_iNS9_4plusIvEENS9_8equal_toIvEEiEE10hipError_tPvRmT2_T3_T4_T5_mT6_T7_P12ihipStream_tbENKUlT_T0_E_clISt17integral_constantIbLb0EES10_IbLb1EEEEDaSW_SX_EUlSW_E_NS1_11comp_targetILNS1_3genE9ELNS1_11target_archE1100ELNS1_3gpuE3ELNS1_3repE0EEENS1_30default_config_static_selectorELNS0_4arch9wavefront6targetE1EEEvT1_
	.globl	_ZN7rocprim17ROCPRIM_400000_NS6detail17trampoline_kernelINS0_14default_configENS1_27scan_by_key_config_selectorIiiEEZZNS1_16scan_by_key_implILNS1_25lookback_scan_determinismE0ELb1ES3_N6thrust23THRUST_200600_302600_NS6detail15normal_iteratorINS9_10device_ptrIiEEEENSB_INSC_IjEEEESE_iNS9_4plusIvEENS9_8equal_toIvEEiEE10hipError_tPvRmT2_T3_T4_T5_mT6_T7_P12ihipStream_tbENKUlT_T0_E_clISt17integral_constantIbLb0EES10_IbLb1EEEEDaSW_SX_EUlSW_E_NS1_11comp_targetILNS1_3genE9ELNS1_11target_archE1100ELNS1_3gpuE3ELNS1_3repE0EEENS1_30default_config_static_selectorELNS0_4arch9wavefront6targetE1EEEvT1_
	.p2align	8
	.type	_ZN7rocprim17ROCPRIM_400000_NS6detail17trampoline_kernelINS0_14default_configENS1_27scan_by_key_config_selectorIiiEEZZNS1_16scan_by_key_implILNS1_25lookback_scan_determinismE0ELb1ES3_N6thrust23THRUST_200600_302600_NS6detail15normal_iteratorINS9_10device_ptrIiEEEENSB_INSC_IjEEEESE_iNS9_4plusIvEENS9_8equal_toIvEEiEE10hipError_tPvRmT2_T3_T4_T5_mT6_T7_P12ihipStream_tbENKUlT_T0_E_clISt17integral_constantIbLb0EES10_IbLb1EEEEDaSW_SX_EUlSW_E_NS1_11comp_targetILNS1_3genE9ELNS1_11target_archE1100ELNS1_3gpuE3ELNS1_3repE0EEENS1_30default_config_static_selectorELNS0_4arch9wavefront6targetE1EEEvT1_,@function
_ZN7rocprim17ROCPRIM_400000_NS6detail17trampoline_kernelINS0_14default_configENS1_27scan_by_key_config_selectorIiiEEZZNS1_16scan_by_key_implILNS1_25lookback_scan_determinismE0ELb1ES3_N6thrust23THRUST_200600_302600_NS6detail15normal_iteratorINS9_10device_ptrIiEEEENSB_INSC_IjEEEESE_iNS9_4plusIvEENS9_8equal_toIvEEiEE10hipError_tPvRmT2_T3_T4_T5_mT6_T7_P12ihipStream_tbENKUlT_T0_E_clISt17integral_constantIbLb0EES10_IbLb1EEEEDaSW_SX_EUlSW_E_NS1_11comp_targetILNS1_3genE9ELNS1_11target_archE1100ELNS1_3gpuE3ELNS1_3repE0EEENS1_30default_config_static_selectorELNS0_4arch9wavefront6targetE1EEEvT1_: ; @_ZN7rocprim17ROCPRIM_400000_NS6detail17trampoline_kernelINS0_14default_configENS1_27scan_by_key_config_selectorIiiEEZZNS1_16scan_by_key_implILNS1_25lookback_scan_determinismE0ELb1ES3_N6thrust23THRUST_200600_302600_NS6detail15normal_iteratorINS9_10device_ptrIiEEEENSB_INSC_IjEEEESE_iNS9_4plusIvEENS9_8equal_toIvEEiEE10hipError_tPvRmT2_T3_T4_T5_mT6_T7_P12ihipStream_tbENKUlT_T0_E_clISt17integral_constantIbLb0EES10_IbLb1EEEEDaSW_SX_EUlSW_E_NS1_11comp_targetILNS1_3genE9ELNS1_11target_archE1100ELNS1_3gpuE3ELNS1_3repE0EEENS1_30default_config_static_selectorELNS0_4arch9wavefront6targetE1EEEvT1_
; %bb.0:
	.section	.rodata,"a",@progbits
	.p2align	6, 0x0
	.amdhsa_kernel _ZN7rocprim17ROCPRIM_400000_NS6detail17trampoline_kernelINS0_14default_configENS1_27scan_by_key_config_selectorIiiEEZZNS1_16scan_by_key_implILNS1_25lookback_scan_determinismE0ELb1ES3_N6thrust23THRUST_200600_302600_NS6detail15normal_iteratorINS9_10device_ptrIiEEEENSB_INSC_IjEEEESE_iNS9_4plusIvEENS9_8equal_toIvEEiEE10hipError_tPvRmT2_T3_T4_T5_mT6_T7_P12ihipStream_tbENKUlT_T0_E_clISt17integral_constantIbLb0EES10_IbLb1EEEEDaSW_SX_EUlSW_E_NS1_11comp_targetILNS1_3genE9ELNS1_11target_archE1100ELNS1_3gpuE3ELNS1_3repE0EEENS1_30default_config_static_selectorELNS0_4arch9wavefront6targetE1EEEvT1_
		.amdhsa_group_segment_fixed_size 0
		.amdhsa_private_segment_fixed_size 0
		.amdhsa_kernarg_size 112
		.amdhsa_user_sgpr_count 6
		.amdhsa_user_sgpr_private_segment_buffer 1
		.amdhsa_user_sgpr_dispatch_ptr 0
		.amdhsa_user_sgpr_queue_ptr 0
		.amdhsa_user_sgpr_kernarg_segment_ptr 1
		.amdhsa_user_sgpr_dispatch_id 0
		.amdhsa_user_sgpr_flat_scratch_init 0
		.amdhsa_user_sgpr_kernarg_preload_length 0
		.amdhsa_user_sgpr_kernarg_preload_offset 0
		.amdhsa_user_sgpr_private_segment_size 0
		.amdhsa_uses_dynamic_stack 0
		.amdhsa_system_sgpr_private_segment_wavefront_offset 0
		.amdhsa_system_sgpr_workgroup_id_x 1
		.amdhsa_system_sgpr_workgroup_id_y 0
		.amdhsa_system_sgpr_workgroup_id_z 0
		.amdhsa_system_sgpr_workgroup_info 0
		.amdhsa_system_vgpr_workitem_id 0
		.amdhsa_next_free_vgpr 1
		.amdhsa_next_free_sgpr 0
		.amdhsa_accum_offset 4
		.amdhsa_reserve_vcc 0
		.amdhsa_reserve_flat_scratch 0
		.amdhsa_float_round_mode_32 0
		.amdhsa_float_round_mode_16_64 0
		.amdhsa_float_denorm_mode_32 3
		.amdhsa_float_denorm_mode_16_64 3
		.amdhsa_dx10_clamp 1
		.amdhsa_ieee_mode 1
		.amdhsa_fp16_overflow 0
		.amdhsa_tg_split 0
		.amdhsa_exception_fp_ieee_invalid_op 0
		.amdhsa_exception_fp_denorm_src 0
		.amdhsa_exception_fp_ieee_div_zero 0
		.amdhsa_exception_fp_ieee_overflow 0
		.amdhsa_exception_fp_ieee_underflow 0
		.amdhsa_exception_fp_ieee_inexact 0
		.amdhsa_exception_int_div_zero 0
	.end_amdhsa_kernel
	.section	.text._ZN7rocprim17ROCPRIM_400000_NS6detail17trampoline_kernelINS0_14default_configENS1_27scan_by_key_config_selectorIiiEEZZNS1_16scan_by_key_implILNS1_25lookback_scan_determinismE0ELb1ES3_N6thrust23THRUST_200600_302600_NS6detail15normal_iteratorINS9_10device_ptrIiEEEENSB_INSC_IjEEEESE_iNS9_4plusIvEENS9_8equal_toIvEEiEE10hipError_tPvRmT2_T3_T4_T5_mT6_T7_P12ihipStream_tbENKUlT_T0_E_clISt17integral_constantIbLb0EES10_IbLb1EEEEDaSW_SX_EUlSW_E_NS1_11comp_targetILNS1_3genE9ELNS1_11target_archE1100ELNS1_3gpuE3ELNS1_3repE0EEENS1_30default_config_static_selectorELNS0_4arch9wavefront6targetE1EEEvT1_,"axG",@progbits,_ZN7rocprim17ROCPRIM_400000_NS6detail17trampoline_kernelINS0_14default_configENS1_27scan_by_key_config_selectorIiiEEZZNS1_16scan_by_key_implILNS1_25lookback_scan_determinismE0ELb1ES3_N6thrust23THRUST_200600_302600_NS6detail15normal_iteratorINS9_10device_ptrIiEEEENSB_INSC_IjEEEESE_iNS9_4plusIvEENS9_8equal_toIvEEiEE10hipError_tPvRmT2_T3_T4_T5_mT6_T7_P12ihipStream_tbENKUlT_T0_E_clISt17integral_constantIbLb0EES10_IbLb1EEEEDaSW_SX_EUlSW_E_NS1_11comp_targetILNS1_3genE9ELNS1_11target_archE1100ELNS1_3gpuE3ELNS1_3repE0EEENS1_30default_config_static_selectorELNS0_4arch9wavefront6targetE1EEEvT1_,comdat
.Lfunc_end1786:
	.size	_ZN7rocprim17ROCPRIM_400000_NS6detail17trampoline_kernelINS0_14default_configENS1_27scan_by_key_config_selectorIiiEEZZNS1_16scan_by_key_implILNS1_25lookback_scan_determinismE0ELb1ES3_N6thrust23THRUST_200600_302600_NS6detail15normal_iteratorINS9_10device_ptrIiEEEENSB_INSC_IjEEEESE_iNS9_4plusIvEENS9_8equal_toIvEEiEE10hipError_tPvRmT2_T3_T4_T5_mT6_T7_P12ihipStream_tbENKUlT_T0_E_clISt17integral_constantIbLb0EES10_IbLb1EEEEDaSW_SX_EUlSW_E_NS1_11comp_targetILNS1_3genE9ELNS1_11target_archE1100ELNS1_3gpuE3ELNS1_3repE0EEENS1_30default_config_static_selectorELNS0_4arch9wavefront6targetE1EEEvT1_, .Lfunc_end1786-_ZN7rocprim17ROCPRIM_400000_NS6detail17trampoline_kernelINS0_14default_configENS1_27scan_by_key_config_selectorIiiEEZZNS1_16scan_by_key_implILNS1_25lookback_scan_determinismE0ELb1ES3_N6thrust23THRUST_200600_302600_NS6detail15normal_iteratorINS9_10device_ptrIiEEEENSB_INSC_IjEEEESE_iNS9_4plusIvEENS9_8equal_toIvEEiEE10hipError_tPvRmT2_T3_T4_T5_mT6_T7_P12ihipStream_tbENKUlT_T0_E_clISt17integral_constantIbLb0EES10_IbLb1EEEEDaSW_SX_EUlSW_E_NS1_11comp_targetILNS1_3genE9ELNS1_11target_archE1100ELNS1_3gpuE3ELNS1_3repE0EEENS1_30default_config_static_selectorELNS0_4arch9wavefront6targetE1EEEvT1_
                                        ; -- End function
	.section	.AMDGPU.csdata,"",@progbits
; Kernel info:
; codeLenInByte = 0
; NumSgprs: 4
; NumVgprs: 0
; NumAgprs: 0
; TotalNumVgprs: 0
; ScratchSize: 0
; MemoryBound: 0
; FloatMode: 240
; IeeeMode: 1
; LDSByteSize: 0 bytes/workgroup (compile time only)
; SGPRBlocks: 0
; VGPRBlocks: 0
; NumSGPRsForWavesPerEU: 4
; NumVGPRsForWavesPerEU: 1
; AccumOffset: 4
; Occupancy: 8
; WaveLimiterHint : 0
; COMPUTE_PGM_RSRC2:SCRATCH_EN: 0
; COMPUTE_PGM_RSRC2:USER_SGPR: 6
; COMPUTE_PGM_RSRC2:TRAP_HANDLER: 0
; COMPUTE_PGM_RSRC2:TGID_X_EN: 1
; COMPUTE_PGM_RSRC2:TGID_Y_EN: 0
; COMPUTE_PGM_RSRC2:TGID_Z_EN: 0
; COMPUTE_PGM_RSRC2:TIDIG_COMP_CNT: 0
; COMPUTE_PGM_RSRC3_GFX90A:ACCUM_OFFSET: 0
; COMPUTE_PGM_RSRC3_GFX90A:TG_SPLIT: 0
	.section	.text._ZN7rocprim17ROCPRIM_400000_NS6detail17trampoline_kernelINS0_14default_configENS1_27scan_by_key_config_selectorIiiEEZZNS1_16scan_by_key_implILNS1_25lookback_scan_determinismE0ELb1ES3_N6thrust23THRUST_200600_302600_NS6detail15normal_iteratorINS9_10device_ptrIiEEEENSB_INSC_IjEEEESE_iNS9_4plusIvEENS9_8equal_toIvEEiEE10hipError_tPvRmT2_T3_T4_T5_mT6_T7_P12ihipStream_tbENKUlT_T0_E_clISt17integral_constantIbLb0EES10_IbLb1EEEEDaSW_SX_EUlSW_E_NS1_11comp_targetILNS1_3genE8ELNS1_11target_archE1030ELNS1_3gpuE2ELNS1_3repE0EEENS1_30default_config_static_selectorELNS0_4arch9wavefront6targetE1EEEvT1_,"axG",@progbits,_ZN7rocprim17ROCPRIM_400000_NS6detail17trampoline_kernelINS0_14default_configENS1_27scan_by_key_config_selectorIiiEEZZNS1_16scan_by_key_implILNS1_25lookback_scan_determinismE0ELb1ES3_N6thrust23THRUST_200600_302600_NS6detail15normal_iteratorINS9_10device_ptrIiEEEENSB_INSC_IjEEEESE_iNS9_4plusIvEENS9_8equal_toIvEEiEE10hipError_tPvRmT2_T3_T4_T5_mT6_T7_P12ihipStream_tbENKUlT_T0_E_clISt17integral_constantIbLb0EES10_IbLb1EEEEDaSW_SX_EUlSW_E_NS1_11comp_targetILNS1_3genE8ELNS1_11target_archE1030ELNS1_3gpuE2ELNS1_3repE0EEENS1_30default_config_static_selectorELNS0_4arch9wavefront6targetE1EEEvT1_,comdat
	.protected	_ZN7rocprim17ROCPRIM_400000_NS6detail17trampoline_kernelINS0_14default_configENS1_27scan_by_key_config_selectorIiiEEZZNS1_16scan_by_key_implILNS1_25lookback_scan_determinismE0ELb1ES3_N6thrust23THRUST_200600_302600_NS6detail15normal_iteratorINS9_10device_ptrIiEEEENSB_INSC_IjEEEESE_iNS9_4plusIvEENS9_8equal_toIvEEiEE10hipError_tPvRmT2_T3_T4_T5_mT6_T7_P12ihipStream_tbENKUlT_T0_E_clISt17integral_constantIbLb0EES10_IbLb1EEEEDaSW_SX_EUlSW_E_NS1_11comp_targetILNS1_3genE8ELNS1_11target_archE1030ELNS1_3gpuE2ELNS1_3repE0EEENS1_30default_config_static_selectorELNS0_4arch9wavefront6targetE1EEEvT1_ ; -- Begin function _ZN7rocprim17ROCPRIM_400000_NS6detail17trampoline_kernelINS0_14default_configENS1_27scan_by_key_config_selectorIiiEEZZNS1_16scan_by_key_implILNS1_25lookback_scan_determinismE0ELb1ES3_N6thrust23THRUST_200600_302600_NS6detail15normal_iteratorINS9_10device_ptrIiEEEENSB_INSC_IjEEEESE_iNS9_4plusIvEENS9_8equal_toIvEEiEE10hipError_tPvRmT2_T3_T4_T5_mT6_T7_P12ihipStream_tbENKUlT_T0_E_clISt17integral_constantIbLb0EES10_IbLb1EEEEDaSW_SX_EUlSW_E_NS1_11comp_targetILNS1_3genE8ELNS1_11target_archE1030ELNS1_3gpuE2ELNS1_3repE0EEENS1_30default_config_static_selectorELNS0_4arch9wavefront6targetE1EEEvT1_
	.globl	_ZN7rocprim17ROCPRIM_400000_NS6detail17trampoline_kernelINS0_14default_configENS1_27scan_by_key_config_selectorIiiEEZZNS1_16scan_by_key_implILNS1_25lookback_scan_determinismE0ELb1ES3_N6thrust23THRUST_200600_302600_NS6detail15normal_iteratorINS9_10device_ptrIiEEEENSB_INSC_IjEEEESE_iNS9_4plusIvEENS9_8equal_toIvEEiEE10hipError_tPvRmT2_T3_T4_T5_mT6_T7_P12ihipStream_tbENKUlT_T0_E_clISt17integral_constantIbLb0EES10_IbLb1EEEEDaSW_SX_EUlSW_E_NS1_11comp_targetILNS1_3genE8ELNS1_11target_archE1030ELNS1_3gpuE2ELNS1_3repE0EEENS1_30default_config_static_selectorELNS0_4arch9wavefront6targetE1EEEvT1_
	.p2align	8
	.type	_ZN7rocprim17ROCPRIM_400000_NS6detail17trampoline_kernelINS0_14default_configENS1_27scan_by_key_config_selectorIiiEEZZNS1_16scan_by_key_implILNS1_25lookback_scan_determinismE0ELb1ES3_N6thrust23THRUST_200600_302600_NS6detail15normal_iteratorINS9_10device_ptrIiEEEENSB_INSC_IjEEEESE_iNS9_4plusIvEENS9_8equal_toIvEEiEE10hipError_tPvRmT2_T3_T4_T5_mT6_T7_P12ihipStream_tbENKUlT_T0_E_clISt17integral_constantIbLb0EES10_IbLb1EEEEDaSW_SX_EUlSW_E_NS1_11comp_targetILNS1_3genE8ELNS1_11target_archE1030ELNS1_3gpuE2ELNS1_3repE0EEENS1_30default_config_static_selectorELNS0_4arch9wavefront6targetE1EEEvT1_,@function
_ZN7rocprim17ROCPRIM_400000_NS6detail17trampoline_kernelINS0_14default_configENS1_27scan_by_key_config_selectorIiiEEZZNS1_16scan_by_key_implILNS1_25lookback_scan_determinismE0ELb1ES3_N6thrust23THRUST_200600_302600_NS6detail15normal_iteratorINS9_10device_ptrIiEEEENSB_INSC_IjEEEESE_iNS9_4plusIvEENS9_8equal_toIvEEiEE10hipError_tPvRmT2_T3_T4_T5_mT6_T7_P12ihipStream_tbENKUlT_T0_E_clISt17integral_constantIbLb0EES10_IbLb1EEEEDaSW_SX_EUlSW_E_NS1_11comp_targetILNS1_3genE8ELNS1_11target_archE1030ELNS1_3gpuE2ELNS1_3repE0EEENS1_30default_config_static_selectorELNS0_4arch9wavefront6targetE1EEEvT1_: ; @_ZN7rocprim17ROCPRIM_400000_NS6detail17trampoline_kernelINS0_14default_configENS1_27scan_by_key_config_selectorIiiEEZZNS1_16scan_by_key_implILNS1_25lookback_scan_determinismE0ELb1ES3_N6thrust23THRUST_200600_302600_NS6detail15normal_iteratorINS9_10device_ptrIiEEEENSB_INSC_IjEEEESE_iNS9_4plusIvEENS9_8equal_toIvEEiEE10hipError_tPvRmT2_T3_T4_T5_mT6_T7_P12ihipStream_tbENKUlT_T0_E_clISt17integral_constantIbLb0EES10_IbLb1EEEEDaSW_SX_EUlSW_E_NS1_11comp_targetILNS1_3genE8ELNS1_11target_archE1030ELNS1_3gpuE2ELNS1_3repE0EEENS1_30default_config_static_selectorELNS0_4arch9wavefront6targetE1EEEvT1_
; %bb.0:
	.section	.rodata,"a",@progbits
	.p2align	6, 0x0
	.amdhsa_kernel _ZN7rocprim17ROCPRIM_400000_NS6detail17trampoline_kernelINS0_14default_configENS1_27scan_by_key_config_selectorIiiEEZZNS1_16scan_by_key_implILNS1_25lookback_scan_determinismE0ELb1ES3_N6thrust23THRUST_200600_302600_NS6detail15normal_iteratorINS9_10device_ptrIiEEEENSB_INSC_IjEEEESE_iNS9_4plusIvEENS9_8equal_toIvEEiEE10hipError_tPvRmT2_T3_T4_T5_mT6_T7_P12ihipStream_tbENKUlT_T0_E_clISt17integral_constantIbLb0EES10_IbLb1EEEEDaSW_SX_EUlSW_E_NS1_11comp_targetILNS1_3genE8ELNS1_11target_archE1030ELNS1_3gpuE2ELNS1_3repE0EEENS1_30default_config_static_selectorELNS0_4arch9wavefront6targetE1EEEvT1_
		.amdhsa_group_segment_fixed_size 0
		.amdhsa_private_segment_fixed_size 0
		.amdhsa_kernarg_size 112
		.amdhsa_user_sgpr_count 6
		.amdhsa_user_sgpr_private_segment_buffer 1
		.amdhsa_user_sgpr_dispatch_ptr 0
		.amdhsa_user_sgpr_queue_ptr 0
		.amdhsa_user_sgpr_kernarg_segment_ptr 1
		.amdhsa_user_sgpr_dispatch_id 0
		.amdhsa_user_sgpr_flat_scratch_init 0
		.amdhsa_user_sgpr_kernarg_preload_length 0
		.amdhsa_user_sgpr_kernarg_preload_offset 0
		.amdhsa_user_sgpr_private_segment_size 0
		.amdhsa_uses_dynamic_stack 0
		.amdhsa_system_sgpr_private_segment_wavefront_offset 0
		.amdhsa_system_sgpr_workgroup_id_x 1
		.amdhsa_system_sgpr_workgroup_id_y 0
		.amdhsa_system_sgpr_workgroup_id_z 0
		.amdhsa_system_sgpr_workgroup_info 0
		.amdhsa_system_vgpr_workitem_id 0
		.amdhsa_next_free_vgpr 1
		.amdhsa_next_free_sgpr 0
		.amdhsa_accum_offset 4
		.amdhsa_reserve_vcc 0
		.amdhsa_reserve_flat_scratch 0
		.amdhsa_float_round_mode_32 0
		.amdhsa_float_round_mode_16_64 0
		.amdhsa_float_denorm_mode_32 3
		.amdhsa_float_denorm_mode_16_64 3
		.amdhsa_dx10_clamp 1
		.amdhsa_ieee_mode 1
		.amdhsa_fp16_overflow 0
		.amdhsa_tg_split 0
		.amdhsa_exception_fp_ieee_invalid_op 0
		.amdhsa_exception_fp_denorm_src 0
		.amdhsa_exception_fp_ieee_div_zero 0
		.amdhsa_exception_fp_ieee_overflow 0
		.amdhsa_exception_fp_ieee_underflow 0
		.amdhsa_exception_fp_ieee_inexact 0
		.amdhsa_exception_int_div_zero 0
	.end_amdhsa_kernel
	.section	.text._ZN7rocprim17ROCPRIM_400000_NS6detail17trampoline_kernelINS0_14default_configENS1_27scan_by_key_config_selectorIiiEEZZNS1_16scan_by_key_implILNS1_25lookback_scan_determinismE0ELb1ES3_N6thrust23THRUST_200600_302600_NS6detail15normal_iteratorINS9_10device_ptrIiEEEENSB_INSC_IjEEEESE_iNS9_4plusIvEENS9_8equal_toIvEEiEE10hipError_tPvRmT2_T3_T4_T5_mT6_T7_P12ihipStream_tbENKUlT_T0_E_clISt17integral_constantIbLb0EES10_IbLb1EEEEDaSW_SX_EUlSW_E_NS1_11comp_targetILNS1_3genE8ELNS1_11target_archE1030ELNS1_3gpuE2ELNS1_3repE0EEENS1_30default_config_static_selectorELNS0_4arch9wavefront6targetE1EEEvT1_,"axG",@progbits,_ZN7rocprim17ROCPRIM_400000_NS6detail17trampoline_kernelINS0_14default_configENS1_27scan_by_key_config_selectorIiiEEZZNS1_16scan_by_key_implILNS1_25lookback_scan_determinismE0ELb1ES3_N6thrust23THRUST_200600_302600_NS6detail15normal_iteratorINS9_10device_ptrIiEEEENSB_INSC_IjEEEESE_iNS9_4plusIvEENS9_8equal_toIvEEiEE10hipError_tPvRmT2_T3_T4_T5_mT6_T7_P12ihipStream_tbENKUlT_T0_E_clISt17integral_constantIbLb0EES10_IbLb1EEEEDaSW_SX_EUlSW_E_NS1_11comp_targetILNS1_3genE8ELNS1_11target_archE1030ELNS1_3gpuE2ELNS1_3repE0EEENS1_30default_config_static_selectorELNS0_4arch9wavefront6targetE1EEEvT1_,comdat
.Lfunc_end1787:
	.size	_ZN7rocprim17ROCPRIM_400000_NS6detail17trampoline_kernelINS0_14default_configENS1_27scan_by_key_config_selectorIiiEEZZNS1_16scan_by_key_implILNS1_25lookback_scan_determinismE0ELb1ES3_N6thrust23THRUST_200600_302600_NS6detail15normal_iteratorINS9_10device_ptrIiEEEENSB_INSC_IjEEEESE_iNS9_4plusIvEENS9_8equal_toIvEEiEE10hipError_tPvRmT2_T3_T4_T5_mT6_T7_P12ihipStream_tbENKUlT_T0_E_clISt17integral_constantIbLb0EES10_IbLb1EEEEDaSW_SX_EUlSW_E_NS1_11comp_targetILNS1_3genE8ELNS1_11target_archE1030ELNS1_3gpuE2ELNS1_3repE0EEENS1_30default_config_static_selectorELNS0_4arch9wavefront6targetE1EEEvT1_, .Lfunc_end1787-_ZN7rocprim17ROCPRIM_400000_NS6detail17trampoline_kernelINS0_14default_configENS1_27scan_by_key_config_selectorIiiEEZZNS1_16scan_by_key_implILNS1_25lookback_scan_determinismE0ELb1ES3_N6thrust23THRUST_200600_302600_NS6detail15normal_iteratorINS9_10device_ptrIiEEEENSB_INSC_IjEEEESE_iNS9_4plusIvEENS9_8equal_toIvEEiEE10hipError_tPvRmT2_T3_T4_T5_mT6_T7_P12ihipStream_tbENKUlT_T0_E_clISt17integral_constantIbLb0EES10_IbLb1EEEEDaSW_SX_EUlSW_E_NS1_11comp_targetILNS1_3genE8ELNS1_11target_archE1030ELNS1_3gpuE2ELNS1_3repE0EEENS1_30default_config_static_selectorELNS0_4arch9wavefront6targetE1EEEvT1_
                                        ; -- End function
	.section	.AMDGPU.csdata,"",@progbits
; Kernel info:
; codeLenInByte = 0
; NumSgprs: 4
; NumVgprs: 0
; NumAgprs: 0
; TotalNumVgprs: 0
; ScratchSize: 0
; MemoryBound: 0
; FloatMode: 240
; IeeeMode: 1
; LDSByteSize: 0 bytes/workgroup (compile time only)
; SGPRBlocks: 0
; VGPRBlocks: 0
; NumSGPRsForWavesPerEU: 4
; NumVGPRsForWavesPerEU: 1
; AccumOffset: 4
; Occupancy: 8
; WaveLimiterHint : 0
; COMPUTE_PGM_RSRC2:SCRATCH_EN: 0
; COMPUTE_PGM_RSRC2:USER_SGPR: 6
; COMPUTE_PGM_RSRC2:TRAP_HANDLER: 0
; COMPUTE_PGM_RSRC2:TGID_X_EN: 1
; COMPUTE_PGM_RSRC2:TGID_Y_EN: 0
; COMPUTE_PGM_RSRC2:TGID_Z_EN: 0
; COMPUTE_PGM_RSRC2:TIDIG_COMP_CNT: 0
; COMPUTE_PGM_RSRC3_GFX90A:ACCUM_OFFSET: 0
; COMPUTE_PGM_RSRC3_GFX90A:TG_SPLIT: 0
	.section	.text._ZN7rocprim17ROCPRIM_400000_NS6detail17trampoline_kernelINS0_14default_configENS1_27scan_by_key_config_selectorIifEEZZNS1_16scan_by_key_implILNS1_25lookback_scan_determinismE0ELb1ES3_N6thrust23THRUST_200600_302600_NS6detail15normal_iteratorINS9_10device_ptrIiEEEENSB_INSC_IjEEEESE_fNS9_4plusIvEENS9_8equal_toIvEEfEE10hipError_tPvRmT2_T3_T4_T5_mT6_T7_P12ihipStream_tbENKUlT_T0_E_clISt17integral_constantIbLb0EES11_EEDaSW_SX_EUlSW_E_NS1_11comp_targetILNS1_3genE0ELNS1_11target_archE4294967295ELNS1_3gpuE0ELNS1_3repE0EEENS1_30default_config_static_selectorELNS0_4arch9wavefront6targetE1EEEvT1_,"axG",@progbits,_ZN7rocprim17ROCPRIM_400000_NS6detail17trampoline_kernelINS0_14default_configENS1_27scan_by_key_config_selectorIifEEZZNS1_16scan_by_key_implILNS1_25lookback_scan_determinismE0ELb1ES3_N6thrust23THRUST_200600_302600_NS6detail15normal_iteratorINS9_10device_ptrIiEEEENSB_INSC_IjEEEESE_fNS9_4plusIvEENS9_8equal_toIvEEfEE10hipError_tPvRmT2_T3_T4_T5_mT6_T7_P12ihipStream_tbENKUlT_T0_E_clISt17integral_constantIbLb0EES11_EEDaSW_SX_EUlSW_E_NS1_11comp_targetILNS1_3genE0ELNS1_11target_archE4294967295ELNS1_3gpuE0ELNS1_3repE0EEENS1_30default_config_static_selectorELNS0_4arch9wavefront6targetE1EEEvT1_,comdat
	.protected	_ZN7rocprim17ROCPRIM_400000_NS6detail17trampoline_kernelINS0_14default_configENS1_27scan_by_key_config_selectorIifEEZZNS1_16scan_by_key_implILNS1_25lookback_scan_determinismE0ELb1ES3_N6thrust23THRUST_200600_302600_NS6detail15normal_iteratorINS9_10device_ptrIiEEEENSB_INSC_IjEEEESE_fNS9_4plusIvEENS9_8equal_toIvEEfEE10hipError_tPvRmT2_T3_T4_T5_mT6_T7_P12ihipStream_tbENKUlT_T0_E_clISt17integral_constantIbLb0EES11_EEDaSW_SX_EUlSW_E_NS1_11comp_targetILNS1_3genE0ELNS1_11target_archE4294967295ELNS1_3gpuE0ELNS1_3repE0EEENS1_30default_config_static_selectorELNS0_4arch9wavefront6targetE1EEEvT1_ ; -- Begin function _ZN7rocprim17ROCPRIM_400000_NS6detail17trampoline_kernelINS0_14default_configENS1_27scan_by_key_config_selectorIifEEZZNS1_16scan_by_key_implILNS1_25lookback_scan_determinismE0ELb1ES3_N6thrust23THRUST_200600_302600_NS6detail15normal_iteratorINS9_10device_ptrIiEEEENSB_INSC_IjEEEESE_fNS9_4plusIvEENS9_8equal_toIvEEfEE10hipError_tPvRmT2_T3_T4_T5_mT6_T7_P12ihipStream_tbENKUlT_T0_E_clISt17integral_constantIbLb0EES11_EEDaSW_SX_EUlSW_E_NS1_11comp_targetILNS1_3genE0ELNS1_11target_archE4294967295ELNS1_3gpuE0ELNS1_3repE0EEENS1_30default_config_static_selectorELNS0_4arch9wavefront6targetE1EEEvT1_
	.globl	_ZN7rocprim17ROCPRIM_400000_NS6detail17trampoline_kernelINS0_14default_configENS1_27scan_by_key_config_selectorIifEEZZNS1_16scan_by_key_implILNS1_25lookback_scan_determinismE0ELb1ES3_N6thrust23THRUST_200600_302600_NS6detail15normal_iteratorINS9_10device_ptrIiEEEENSB_INSC_IjEEEESE_fNS9_4plusIvEENS9_8equal_toIvEEfEE10hipError_tPvRmT2_T3_T4_T5_mT6_T7_P12ihipStream_tbENKUlT_T0_E_clISt17integral_constantIbLb0EES11_EEDaSW_SX_EUlSW_E_NS1_11comp_targetILNS1_3genE0ELNS1_11target_archE4294967295ELNS1_3gpuE0ELNS1_3repE0EEENS1_30default_config_static_selectorELNS0_4arch9wavefront6targetE1EEEvT1_
	.p2align	8
	.type	_ZN7rocprim17ROCPRIM_400000_NS6detail17trampoline_kernelINS0_14default_configENS1_27scan_by_key_config_selectorIifEEZZNS1_16scan_by_key_implILNS1_25lookback_scan_determinismE0ELb1ES3_N6thrust23THRUST_200600_302600_NS6detail15normal_iteratorINS9_10device_ptrIiEEEENSB_INSC_IjEEEESE_fNS9_4plusIvEENS9_8equal_toIvEEfEE10hipError_tPvRmT2_T3_T4_T5_mT6_T7_P12ihipStream_tbENKUlT_T0_E_clISt17integral_constantIbLb0EES11_EEDaSW_SX_EUlSW_E_NS1_11comp_targetILNS1_3genE0ELNS1_11target_archE4294967295ELNS1_3gpuE0ELNS1_3repE0EEENS1_30default_config_static_selectorELNS0_4arch9wavefront6targetE1EEEvT1_,@function
_ZN7rocprim17ROCPRIM_400000_NS6detail17trampoline_kernelINS0_14default_configENS1_27scan_by_key_config_selectorIifEEZZNS1_16scan_by_key_implILNS1_25lookback_scan_determinismE0ELb1ES3_N6thrust23THRUST_200600_302600_NS6detail15normal_iteratorINS9_10device_ptrIiEEEENSB_INSC_IjEEEESE_fNS9_4plusIvEENS9_8equal_toIvEEfEE10hipError_tPvRmT2_T3_T4_T5_mT6_T7_P12ihipStream_tbENKUlT_T0_E_clISt17integral_constantIbLb0EES11_EEDaSW_SX_EUlSW_E_NS1_11comp_targetILNS1_3genE0ELNS1_11target_archE4294967295ELNS1_3gpuE0ELNS1_3repE0EEENS1_30default_config_static_selectorELNS0_4arch9wavefront6targetE1EEEvT1_: ; @_ZN7rocprim17ROCPRIM_400000_NS6detail17trampoline_kernelINS0_14default_configENS1_27scan_by_key_config_selectorIifEEZZNS1_16scan_by_key_implILNS1_25lookback_scan_determinismE0ELb1ES3_N6thrust23THRUST_200600_302600_NS6detail15normal_iteratorINS9_10device_ptrIiEEEENSB_INSC_IjEEEESE_fNS9_4plusIvEENS9_8equal_toIvEEfEE10hipError_tPvRmT2_T3_T4_T5_mT6_T7_P12ihipStream_tbENKUlT_T0_E_clISt17integral_constantIbLb0EES11_EEDaSW_SX_EUlSW_E_NS1_11comp_targetILNS1_3genE0ELNS1_11target_archE4294967295ELNS1_3gpuE0ELNS1_3repE0EEENS1_30default_config_static_selectorELNS0_4arch9wavefront6targetE1EEEvT1_
; %bb.0:
	.section	.rodata,"a",@progbits
	.p2align	6, 0x0
	.amdhsa_kernel _ZN7rocprim17ROCPRIM_400000_NS6detail17trampoline_kernelINS0_14default_configENS1_27scan_by_key_config_selectorIifEEZZNS1_16scan_by_key_implILNS1_25lookback_scan_determinismE0ELb1ES3_N6thrust23THRUST_200600_302600_NS6detail15normal_iteratorINS9_10device_ptrIiEEEENSB_INSC_IjEEEESE_fNS9_4plusIvEENS9_8equal_toIvEEfEE10hipError_tPvRmT2_T3_T4_T5_mT6_T7_P12ihipStream_tbENKUlT_T0_E_clISt17integral_constantIbLb0EES11_EEDaSW_SX_EUlSW_E_NS1_11comp_targetILNS1_3genE0ELNS1_11target_archE4294967295ELNS1_3gpuE0ELNS1_3repE0EEENS1_30default_config_static_selectorELNS0_4arch9wavefront6targetE1EEEvT1_
		.amdhsa_group_segment_fixed_size 0
		.amdhsa_private_segment_fixed_size 0
		.amdhsa_kernarg_size 112
		.amdhsa_user_sgpr_count 6
		.amdhsa_user_sgpr_private_segment_buffer 1
		.amdhsa_user_sgpr_dispatch_ptr 0
		.amdhsa_user_sgpr_queue_ptr 0
		.amdhsa_user_sgpr_kernarg_segment_ptr 1
		.amdhsa_user_sgpr_dispatch_id 0
		.amdhsa_user_sgpr_flat_scratch_init 0
		.amdhsa_user_sgpr_kernarg_preload_length 0
		.amdhsa_user_sgpr_kernarg_preload_offset 0
		.amdhsa_user_sgpr_private_segment_size 0
		.amdhsa_uses_dynamic_stack 0
		.amdhsa_system_sgpr_private_segment_wavefront_offset 0
		.amdhsa_system_sgpr_workgroup_id_x 1
		.amdhsa_system_sgpr_workgroup_id_y 0
		.amdhsa_system_sgpr_workgroup_id_z 0
		.amdhsa_system_sgpr_workgroup_info 0
		.amdhsa_system_vgpr_workitem_id 0
		.amdhsa_next_free_vgpr 1
		.amdhsa_next_free_sgpr 0
		.amdhsa_accum_offset 4
		.amdhsa_reserve_vcc 0
		.amdhsa_reserve_flat_scratch 0
		.amdhsa_float_round_mode_32 0
		.amdhsa_float_round_mode_16_64 0
		.amdhsa_float_denorm_mode_32 3
		.amdhsa_float_denorm_mode_16_64 3
		.amdhsa_dx10_clamp 1
		.amdhsa_ieee_mode 1
		.amdhsa_fp16_overflow 0
		.amdhsa_tg_split 0
		.amdhsa_exception_fp_ieee_invalid_op 0
		.amdhsa_exception_fp_denorm_src 0
		.amdhsa_exception_fp_ieee_div_zero 0
		.amdhsa_exception_fp_ieee_overflow 0
		.amdhsa_exception_fp_ieee_underflow 0
		.amdhsa_exception_fp_ieee_inexact 0
		.amdhsa_exception_int_div_zero 0
	.end_amdhsa_kernel
	.section	.text._ZN7rocprim17ROCPRIM_400000_NS6detail17trampoline_kernelINS0_14default_configENS1_27scan_by_key_config_selectorIifEEZZNS1_16scan_by_key_implILNS1_25lookback_scan_determinismE0ELb1ES3_N6thrust23THRUST_200600_302600_NS6detail15normal_iteratorINS9_10device_ptrIiEEEENSB_INSC_IjEEEESE_fNS9_4plusIvEENS9_8equal_toIvEEfEE10hipError_tPvRmT2_T3_T4_T5_mT6_T7_P12ihipStream_tbENKUlT_T0_E_clISt17integral_constantIbLb0EES11_EEDaSW_SX_EUlSW_E_NS1_11comp_targetILNS1_3genE0ELNS1_11target_archE4294967295ELNS1_3gpuE0ELNS1_3repE0EEENS1_30default_config_static_selectorELNS0_4arch9wavefront6targetE1EEEvT1_,"axG",@progbits,_ZN7rocprim17ROCPRIM_400000_NS6detail17trampoline_kernelINS0_14default_configENS1_27scan_by_key_config_selectorIifEEZZNS1_16scan_by_key_implILNS1_25lookback_scan_determinismE0ELb1ES3_N6thrust23THRUST_200600_302600_NS6detail15normal_iteratorINS9_10device_ptrIiEEEENSB_INSC_IjEEEESE_fNS9_4plusIvEENS9_8equal_toIvEEfEE10hipError_tPvRmT2_T3_T4_T5_mT6_T7_P12ihipStream_tbENKUlT_T0_E_clISt17integral_constantIbLb0EES11_EEDaSW_SX_EUlSW_E_NS1_11comp_targetILNS1_3genE0ELNS1_11target_archE4294967295ELNS1_3gpuE0ELNS1_3repE0EEENS1_30default_config_static_selectorELNS0_4arch9wavefront6targetE1EEEvT1_,comdat
.Lfunc_end1788:
	.size	_ZN7rocprim17ROCPRIM_400000_NS6detail17trampoline_kernelINS0_14default_configENS1_27scan_by_key_config_selectorIifEEZZNS1_16scan_by_key_implILNS1_25lookback_scan_determinismE0ELb1ES3_N6thrust23THRUST_200600_302600_NS6detail15normal_iteratorINS9_10device_ptrIiEEEENSB_INSC_IjEEEESE_fNS9_4plusIvEENS9_8equal_toIvEEfEE10hipError_tPvRmT2_T3_T4_T5_mT6_T7_P12ihipStream_tbENKUlT_T0_E_clISt17integral_constantIbLb0EES11_EEDaSW_SX_EUlSW_E_NS1_11comp_targetILNS1_3genE0ELNS1_11target_archE4294967295ELNS1_3gpuE0ELNS1_3repE0EEENS1_30default_config_static_selectorELNS0_4arch9wavefront6targetE1EEEvT1_, .Lfunc_end1788-_ZN7rocprim17ROCPRIM_400000_NS6detail17trampoline_kernelINS0_14default_configENS1_27scan_by_key_config_selectorIifEEZZNS1_16scan_by_key_implILNS1_25lookback_scan_determinismE0ELb1ES3_N6thrust23THRUST_200600_302600_NS6detail15normal_iteratorINS9_10device_ptrIiEEEENSB_INSC_IjEEEESE_fNS9_4plusIvEENS9_8equal_toIvEEfEE10hipError_tPvRmT2_T3_T4_T5_mT6_T7_P12ihipStream_tbENKUlT_T0_E_clISt17integral_constantIbLb0EES11_EEDaSW_SX_EUlSW_E_NS1_11comp_targetILNS1_3genE0ELNS1_11target_archE4294967295ELNS1_3gpuE0ELNS1_3repE0EEENS1_30default_config_static_selectorELNS0_4arch9wavefront6targetE1EEEvT1_
                                        ; -- End function
	.section	.AMDGPU.csdata,"",@progbits
; Kernel info:
; codeLenInByte = 0
; NumSgprs: 4
; NumVgprs: 0
; NumAgprs: 0
; TotalNumVgprs: 0
; ScratchSize: 0
; MemoryBound: 0
; FloatMode: 240
; IeeeMode: 1
; LDSByteSize: 0 bytes/workgroup (compile time only)
; SGPRBlocks: 0
; VGPRBlocks: 0
; NumSGPRsForWavesPerEU: 4
; NumVGPRsForWavesPerEU: 1
; AccumOffset: 4
; Occupancy: 8
; WaveLimiterHint : 0
; COMPUTE_PGM_RSRC2:SCRATCH_EN: 0
; COMPUTE_PGM_RSRC2:USER_SGPR: 6
; COMPUTE_PGM_RSRC2:TRAP_HANDLER: 0
; COMPUTE_PGM_RSRC2:TGID_X_EN: 1
; COMPUTE_PGM_RSRC2:TGID_Y_EN: 0
; COMPUTE_PGM_RSRC2:TGID_Z_EN: 0
; COMPUTE_PGM_RSRC2:TIDIG_COMP_CNT: 0
; COMPUTE_PGM_RSRC3_GFX90A:ACCUM_OFFSET: 0
; COMPUTE_PGM_RSRC3_GFX90A:TG_SPLIT: 0
	.section	.text._ZN7rocprim17ROCPRIM_400000_NS6detail17trampoline_kernelINS0_14default_configENS1_27scan_by_key_config_selectorIifEEZZNS1_16scan_by_key_implILNS1_25lookback_scan_determinismE0ELb1ES3_N6thrust23THRUST_200600_302600_NS6detail15normal_iteratorINS9_10device_ptrIiEEEENSB_INSC_IjEEEESE_fNS9_4plusIvEENS9_8equal_toIvEEfEE10hipError_tPvRmT2_T3_T4_T5_mT6_T7_P12ihipStream_tbENKUlT_T0_E_clISt17integral_constantIbLb0EES11_EEDaSW_SX_EUlSW_E_NS1_11comp_targetILNS1_3genE10ELNS1_11target_archE1201ELNS1_3gpuE5ELNS1_3repE0EEENS1_30default_config_static_selectorELNS0_4arch9wavefront6targetE1EEEvT1_,"axG",@progbits,_ZN7rocprim17ROCPRIM_400000_NS6detail17trampoline_kernelINS0_14default_configENS1_27scan_by_key_config_selectorIifEEZZNS1_16scan_by_key_implILNS1_25lookback_scan_determinismE0ELb1ES3_N6thrust23THRUST_200600_302600_NS6detail15normal_iteratorINS9_10device_ptrIiEEEENSB_INSC_IjEEEESE_fNS9_4plusIvEENS9_8equal_toIvEEfEE10hipError_tPvRmT2_T3_T4_T5_mT6_T7_P12ihipStream_tbENKUlT_T0_E_clISt17integral_constantIbLb0EES11_EEDaSW_SX_EUlSW_E_NS1_11comp_targetILNS1_3genE10ELNS1_11target_archE1201ELNS1_3gpuE5ELNS1_3repE0EEENS1_30default_config_static_selectorELNS0_4arch9wavefront6targetE1EEEvT1_,comdat
	.protected	_ZN7rocprim17ROCPRIM_400000_NS6detail17trampoline_kernelINS0_14default_configENS1_27scan_by_key_config_selectorIifEEZZNS1_16scan_by_key_implILNS1_25lookback_scan_determinismE0ELb1ES3_N6thrust23THRUST_200600_302600_NS6detail15normal_iteratorINS9_10device_ptrIiEEEENSB_INSC_IjEEEESE_fNS9_4plusIvEENS9_8equal_toIvEEfEE10hipError_tPvRmT2_T3_T4_T5_mT6_T7_P12ihipStream_tbENKUlT_T0_E_clISt17integral_constantIbLb0EES11_EEDaSW_SX_EUlSW_E_NS1_11comp_targetILNS1_3genE10ELNS1_11target_archE1201ELNS1_3gpuE5ELNS1_3repE0EEENS1_30default_config_static_selectorELNS0_4arch9wavefront6targetE1EEEvT1_ ; -- Begin function _ZN7rocprim17ROCPRIM_400000_NS6detail17trampoline_kernelINS0_14default_configENS1_27scan_by_key_config_selectorIifEEZZNS1_16scan_by_key_implILNS1_25lookback_scan_determinismE0ELb1ES3_N6thrust23THRUST_200600_302600_NS6detail15normal_iteratorINS9_10device_ptrIiEEEENSB_INSC_IjEEEESE_fNS9_4plusIvEENS9_8equal_toIvEEfEE10hipError_tPvRmT2_T3_T4_T5_mT6_T7_P12ihipStream_tbENKUlT_T0_E_clISt17integral_constantIbLb0EES11_EEDaSW_SX_EUlSW_E_NS1_11comp_targetILNS1_3genE10ELNS1_11target_archE1201ELNS1_3gpuE5ELNS1_3repE0EEENS1_30default_config_static_selectorELNS0_4arch9wavefront6targetE1EEEvT1_
	.globl	_ZN7rocprim17ROCPRIM_400000_NS6detail17trampoline_kernelINS0_14default_configENS1_27scan_by_key_config_selectorIifEEZZNS1_16scan_by_key_implILNS1_25lookback_scan_determinismE0ELb1ES3_N6thrust23THRUST_200600_302600_NS6detail15normal_iteratorINS9_10device_ptrIiEEEENSB_INSC_IjEEEESE_fNS9_4plusIvEENS9_8equal_toIvEEfEE10hipError_tPvRmT2_T3_T4_T5_mT6_T7_P12ihipStream_tbENKUlT_T0_E_clISt17integral_constantIbLb0EES11_EEDaSW_SX_EUlSW_E_NS1_11comp_targetILNS1_3genE10ELNS1_11target_archE1201ELNS1_3gpuE5ELNS1_3repE0EEENS1_30default_config_static_selectorELNS0_4arch9wavefront6targetE1EEEvT1_
	.p2align	8
	.type	_ZN7rocprim17ROCPRIM_400000_NS6detail17trampoline_kernelINS0_14default_configENS1_27scan_by_key_config_selectorIifEEZZNS1_16scan_by_key_implILNS1_25lookback_scan_determinismE0ELb1ES3_N6thrust23THRUST_200600_302600_NS6detail15normal_iteratorINS9_10device_ptrIiEEEENSB_INSC_IjEEEESE_fNS9_4plusIvEENS9_8equal_toIvEEfEE10hipError_tPvRmT2_T3_T4_T5_mT6_T7_P12ihipStream_tbENKUlT_T0_E_clISt17integral_constantIbLb0EES11_EEDaSW_SX_EUlSW_E_NS1_11comp_targetILNS1_3genE10ELNS1_11target_archE1201ELNS1_3gpuE5ELNS1_3repE0EEENS1_30default_config_static_selectorELNS0_4arch9wavefront6targetE1EEEvT1_,@function
_ZN7rocprim17ROCPRIM_400000_NS6detail17trampoline_kernelINS0_14default_configENS1_27scan_by_key_config_selectorIifEEZZNS1_16scan_by_key_implILNS1_25lookback_scan_determinismE0ELb1ES3_N6thrust23THRUST_200600_302600_NS6detail15normal_iteratorINS9_10device_ptrIiEEEENSB_INSC_IjEEEESE_fNS9_4plusIvEENS9_8equal_toIvEEfEE10hipError_tPvRmT2_T3_T4_T5_mT6_T7_P12ihipStream_tbENKUlT_T0_E_clISt17integral_constantIbLb0EES11_EEDaSW_SX_EUlSW_E_NS1_11comp_targetILNS1_3genE10ELNS1_11target_archE1201ELNS1_3gpuE5ELNS1_3repE0EEENS1_30default_config_static_selectorELNS0_4arch9wavefront6targetE1EEEvT1_: ; @_ZN7rocprim17ROCPRIM_400000_NS6detail17trampoline_kernelINS0_14default_configENS1_27scan_by_key_config_selectorIifEEZZNS1_16scan_by_key_implILNS1_25lookback_scan_determinismE0ELb1ES3_N6thrust23THRUST_200600_302600_NS6detail15normal_iteratorINS9_10device_ptrIiEEEENSB_INSC_IjEEEESE_fNS9_4plusIvEENS9_8equal_toIvEEfEE10hipError_tPvRmT2_T3_T4_T5_mT6_T7_P12ihipStream_tbENKUlT_T0_E_clISt17integral_constantIbLb0EES11_EEDaSW_SX_EUlSW_E_NS1_11comp_targetILNS1_3genE10ELNS1_11target_archE1201ELNS1_3gpuE5ELNS1_3repE0EEENS1_30default_config_static_selectorELNS0_4arch9wavefront6targetE1EEEvT1_
; %bb.0:
	.section	.rodata,"a",@progbits
	.p2align	6, 0x0
	.amdhsa_kernel _ZN7rocprim17ROCPRIM_400000_NS6detail17trampoline_kernelINS0_14default_configENS1_27scan_by_key_config_selectorIifEEZZNS1_16scan_by_key_implILNS1_25lookback_scan_determinismE0ELb1ES3_N6thrust23THRUST_200600_302600_NS6detail15normal_iteratorINS9_10device_ptrIiEEEENSB_INSC_IjEEEESE_fNS9_4plusIvEENS9_8equal_toIvEEfEE10hipError_tPvRmT2_T3_T4_T5_mT6_T7_P12ihipStream_tbENKUlT_T0_E_clISt17integral_constantIbLb0EES11_EEDaSW_SX_EUlSW_E_NS1_11comp_targetILNS1_3genE10ELNS1_11target_archE1201ELNS1_3gpuE5ELNS1_3repE0EEENS1_30default_config_static_selectorELNS0_4arch9wavefront6targetE1EEEvT1_
		.amdhsa_group_segment_fixed_size 0
		.amdhsa_private_segment_fixed_size 0
		.amdhsa_kernarg_size 112
		.amdhsa_user_sgpr_count 6
		.amdhsa_user_sgpr_private_segment_buffer 1
		.amdhsa_user_sgpr_dispatch_ptr 0
		.amdhsa_user_sgpr_queue_ptr 0
		.amdhsa_user_sgpr_kernarg_segment_ptr 1
		.amdhsa_user_sgpr_dispatch_id 0
		.amdhsa_user_sgpr_flat_scratch_init 0
		.amdhsa_user_sgpr_kernarg_preload_length 0
		.amdhsa_user_sgpr_kernarg_preload_offset 0
		.amdhsa_user_sgpr_private_segment_size 0
		.amdhsa_uses_dynamic_stack 0
		.amdhsa_system_sgpr_private_segment_wavefront_offset 0
		.amdhsa_system_sgpr_workgroup_id_x 1
		.amdhsa_system_sgpr_workgroup_id_y 0
		.amdhsa_system_sgpr_workgroup_id_z 0
		.amdhsa_system_sgpr_workgroup_info 0
		.amdhsa_system_vgpr_workitem_id 0
		.amdhsa_next_free_vgpr 1
		.amdhsa_next_free_sgpr 0
		.amdhsa_accum_offset 4
		.amdhsa_reserve_vcc 0
		.amdhsa_reserve_flat_scratch 0
		.amdhsa_float_round_mode_32 0
		.amdhsa_float_round_mode_16_64 0
		.amdhsa_float_denorm_mode_32 3
		.amdhsa_float_denorm_mode_16_64 3
		.amdhsa_dx10_clamp 1
		.amdhsa_ieee_mode 1
		.amdhsa_fp16_overflow 0
		.amdhsa_tg_split 0
		.amdhsa_exception_fp_ieee_invalid_op 0
		.amdhsa_exception_fp_denorm_src 0
		.amdhsa_exception_fp_ieee_div_zero 0
		.amdhsa_exception_fp_ieee_overflow 0
		.amdhsa_exception_fp_ieee_underflow 0
		.amdhsa_exception_fp_ieee_inexact 0
		.amdhsa_exception_int_div_zero 0
	.end_amdhsa_kernel
	.section	.text._ZN7rocprim17ROCPRIM_400000_NS6detail17trampoline_kernelINS0_14default_configENS1_27scan_by_key_config_selectorIifEEZZNS1_16scan_by_key_implILNS1_25lookback_scan_determinismE0ELb1ES3_N6thrust23THRUST_200600_302600_NS6detail15normal_iteratorINS9_10device_ptrIiEEEENSB_INSC_IjEEEESE_fNS9_4plusIvEENS9_8equal_toIvEEfEE10hipError_tPvRmT2_T3_T4_T5_mT6_T7_P12ihipStream_tbENKUlT_T0_E_clISt17integral_constantIbLb0EES11_EEDaSW_SX_EUlSW_E_NS1_11comp_targetILNS1_3genE10ELNS1_11target_archE1201ELNS1_3gpuE5ELNS1_3repE0EEENS1_30default_config_static_selectorELNS0_4arch9wavefront6targetE1EEEvT1_,"axG",@progbits,_ZN7rocprim17ROCPRIM_400000_NS6detail17trampoline_kernelINS0_14default_configENS1_27scan_by_key_config_selectorIifEEZZNS1_16scan_by_key_implILNS1_25lookback_scan_determinismE0ELb1ES3_N6thrust23THRUST_200600_302600_NS6detail15normal_iteratorINS9_10device_ptrIiEEEENSB_INSC_IjEEEESE_fNS9_4plusIvEENS9_8equal_toIvEEfEE10hipError_tPvRmT2_T3_T4_T5_mT6_T7_P12ihipStream_tbENKUlT_T0_E_clISt17integral_constantIbLb0EES11_EEDaSW_SX_EUlSW_E_NS1_11comp_targetILNS1_3genE10ELNS1_11target_archE1201ELNS1_3gpuE5ELNS1_3repE0EEENS1_30default_config_static_selectorELNS0_4arch9wavefront6targetE1EEEvT1_,comdat
.Lfunc_end1789:
	.size	_ZN7rocprim17ROCPRIM_400000_NS6detail17trampoline_kernelINS0_14default_configENS1_27scan_by_key_config_selectorIifEEZZNS1_16scan_by_key_implILNS1_25lookback_scan_determinismE0ELb1ES3_N6thrust23THRUST_200600_302600_NS6detail15normal_iteratorINS9_10device_ptrIiEEEENSB_INSC_IjEEEESE_fNS9_4plusIvEENS9_8equal_toIvEEfEE10hipError_tPvRmT2_T3_T4_T5_mT6_T7_P12ihipStream_tbENKUlT_T0_E_clISt17integral_constantIbLb0EES11_EEDaSW_SX_EUlSW_E_NS1_11comp_targetILNS1_3genE10ELNS1_11target_archE1201ELNS1_3gpuE5ELNS1_3repE0EEENS1_30default_config_static_selectorELNS0_4arch9wavefront6targetE1EEEvT1_, .Lfunc_end1789-_ZN7rocprim17ROCPRIM_400000_NS6detail17trampoline_kernelINS0_14default_configENS1_27scan_by_key_config_selectorIifEEZZNS1_16scan_by_key_implILNS1_25lookback_scan_determinismE0ELb1ES3_N6thrust23THRUST_200600_302600_NS6detail15normal_iteratorINS9_10device_ptrIiEEEENSB_INSC_IjEEEESE_fNS9_4plusIvEENS9_8equal_toIvEEfEE10hipError_tPvRmT2_T3_T4_T5_mT6_T7_P12ihipStream_tbENKUlT_T0_E_clISt17integral_constantIbLb0EES11_EEDaSW_SX_EUlSW_E_NS1_11comp_targetILNS1_3genE10ELNS1_11target_archE1201ELNS1_3gpuE5ELNS1_3repE0EEENS1_30default_config_static_selectorELNS0_4arch9wavefront6targetE1EEEvT1_
                                        ; -- End function
	.section	.AMDGPU.csdata,"",@progbits
; Kernel info:
; codeLenInByte = 0
; NumSgprs: 4
; NumVgprs: 0
; NumAgprs: 0
; TotalNumVgprs: 0
; ScratchSize: 0
; MemoryBound: 0
; FloatMode: 240
; IeeeMode: 1
; LDSByteSize: 0 bytes/workgroup (compile time only)
; SGPRBlocks: 0
; VGPRBlocks: 0
; NumSGPRsForWavesPerEU: 4
; NumVGPRsForWavesPerEU: 1
; AccumOffset: 4
; Occupancy: 8
; WaveLimiterHint : 0
; COMPUTE_PGM_RSRC2:SCRATCH_EN: 0
; COMPUTE_PGM_RSRC2:USER_SGPR: 6
; COMPUTE_PGM_RSRC2:TRAP_HANDLER: 0
; COMPUTE_PGM_RSRC2:TGID_X_EN: 1
; COMPUTE_PGM_RSRC2:TGID_Y_EN: 0
; COMPUTE_PGM_RSRC2:TGID_Z_EN: 0
; COMPUTE_PGM_RSRC2:TIDIG_COMP_CNT: 0
; COMPUTE_PGM_RSRC3_GFX90A:ACCUM_OFFSET: 0
; COMPUTE_PGM_RSRC3_GFX90A:TG_SPLIT: 0
	.section	.text._ZN7rocprim17ROCPRIM_400000_NS6detail17trampoline_kernelINS0_14default_configENS1_27scan_by_key_config_selectorIifEEZZNS1_16scan_by_key_implILNS1_25lookback_scan_determinismE0ELb1ES3_N6thrust23THRUST_200600_302600_NS6detail15normal_iteratorINS9_10device_ptrIiEEEENSB_INSC_IjEEEESE_fNS9_4plusIvEENS9_8equal_toIvEEfEE10hipError_tPvRmT2_T3_T4_T5_mT6_T7_P12ihipStream_tbENKUlT_T0_E_clISt17integral_constantIbLb0EES11_EEDaSW_SX_EUlSW_E_NS1_11comp_targetILNS1_3genE5ELNS1_11target_archE942ELNS1_3gpuE9ELNS1_3repE0EEENS1_30default_config_static_selectorELNS0_4arch9wavefront6targetE1EEEvT1_,"axG",@progbits,_ZN7rocprim17ROCPRIM_400000_NS6detail17trampoline_kernelINS0_14default_configENS1_27scan_by_key_config_selectorIifEEZZNS1_16scan_by_key_implILNS1_25lookback_scan_determinismE0ELb1ES3_N6thrust23THRUST_200600_302600_NS6detail15normal_iteratorINS9_10device_ptrIiEEEENSB_INSC_IjEEEESE_fNS9_4plusIvEENS9_8equal_toIvEEfEE10hipError_tPvRmT2_T3_T4_T5_mT6_T7_P12ihipStream_tbENKUlT_T0_E_clISt17integral_constantIbLb0EES11_EEDaSW_SX_EUlSW_E_NS1_11comp_targetILNS1_3genE5ELNS1_11target_archE942ELNS1_3gpuE9ELNS1_3repE0EEENS1_30default_config_static_selectorELNS0_4arch9wavefront6targetE1EEEvT1_,comdat
	.protected	_ZN7rocprim17ROCPRIM_400000_NS6detail17trampoline_kernelINS0_14default_configENS1_27scan_by_key_config_selectorIifEEZZNS1_16scan_by_key_implILNS1_25lookback_scan_determinismE0ELb1ES3_N6thrust23THRUST_200600_302600_NS6detail15normal_iteratorINS9_10device_ptrIiEEEENSB_INSC_IjEEEESE_fNS9_4plusIvEENS9_8equal_toIvEEfEE10hipError_tPvRmT2_T3_T4_T5_mT6_T7_P12ihipStream_tbENKUlT_T0_E_clISt17integral_constantIbLb0EES11_EEDaSW_SX_EUlSW_E_NS1_11comp_targetILNS1_3genE5ELNS1_11target_archE942ELNS1_3gpuE9ELNS1_3repE0EEENS1_30default_config_static_selectorELNS0_4arch9wavefront6targetE1EEEvT1_ ; -- Begin function _ZN7rocprim17ROCPRIM_400000_NS6detail17trampoline_kernelINS0_14default_configENS1_27scan_by_key_config_selectorIifEEZZNS1_16scan_by_key_implILNS1_25lookback_scan_determinismE0ELb1ES3_N6thrust23THRUST_200600_302600_NS6detail15normal_iteratorINS9_10device_ptrIiEEEENSB_INSC_IjEEEESE_fNS9_4plusIvEENS9_8equal_toIvEEfEE10hipError_tPvRmT2_T3_T4_T5_mT6_T7_P12ihipStream_tbENKUlT_T0_E_clISt17integral_constantIbLb0EES11_EEDaSW_SX_EUlSW_E_NS1_11comp_targetILNS1_3genE5ELNS1_11target_archE942ELNS1_3gpuE9ELNS1_3repE0EEENS1_30default_config_static_selectorELNS0_4arch9wavefront6targetE1EEEvT1_
	.globl	_ZN7rocprim17ROCPRIM_400000_NS6detail17trampoline_kernelINS0_14default_configENS1_27scan_by_key_config_selectorIifEEZZNS1_16scan_by_key_implILNS1_25lookback_scan_determinismE0ELb1ES3_N6thrust23THRUST_200600_302600_NS6detail15normal_iteratorINS9_10device_ptrIiEEEENSB_INSC_IjEEEESE_fNS9_4plusIvEENS9_8equal_toIvEEfEE10hipError_tPvRmT2_T3_T4_T5_mT6_T7_P12ihipStream_tbENKUlT_T0_E_clISt17integral_constantIbLb0EES11_EEDaSW_SX_EUlSW_E_NS1_11comp_targetILNS1_3genE5ELNS1_11target_archE942ELNS1_3gpuE9ELNS1_3repE0EEENS1_30default_config_static_selectorELNS0_4arch9wavefront6targetE1EEEvT1_
	.p2align	8
	.type	_ZN7rocprim17ROCPRIM_400000_NS6detail17trampoline_kernelINS0_14default_configENS1_27scan_by_key_config_selectorIifEEZZNS1_16scan_by_key_implILNS1_25lookback_scan_determinismE0ELb1ES3_N6thrust23THRUST_200600_302600_NS6detail15normal_iteratorINS9_10device_ptrIiEEEENSB_INSC_IjEEEESE_fNS9_4plusIvEENS9_8equal_toIvEEfEE10hipError_tPvRmT2_T3_T4_T5_mT6_T7_P12ihipStream_tbENKUlT_T0_E_clISt17integral_constantIbLb0EES11_EEDaSW_SX_EUlSW_E_NS1_11comp_targetILNS1_3genE5ELNS1_11target_archE942ELNS1_3gpuE9ELNS1_3repE0EEENS1_30default_config_static_selectorELNS0_4arch9wavefront6targetE1EEEvT1_,@function
_ZN7rocprim17ROCPRIM_400000_NS6detail17trampoline_kernelINS0_14default_configENS1_27scan_by_key_config_selectorIifEEZZNS1_16scan_by_key_implILNS1_25lookback_scan_determinismE0ELb1ES3_N6thrust23THRUST_200600_302600_NS6detail15normal_iteratorINS9_10device_ptrIiEEEENSB_INSC_IjEEEESE_fNS9_4plusIvEENS9_8equal_toIvEEfEE10hipError_tPvRmT2_T3_T4_T5_mT6_T7_P12ihipStream_tbENKUlT_T0_E_clISt17integral_constantIbLb0EES11_EEDaSW_SX_EUlSW_E_NS1_11comp_targetILNS1_3genE5ELNS1_11target_archE942ELNS1_3gpuE9ELNS1_3repE0EEENS1_30default_config_static_selectorELNS0_4arch9wavefront6targetE1EEEvT1_: ; @_ZN7rocprim17ROCPRIM_400000_NS6detail17trampoline_kernelINS0_14default_configENS1_27scan_by_key_config_selectorIifEEZZNS1_16scan_by_key_implILNS1_25lookback_scan_determinismE0ELb1ES3_N6thrust23THRUST_200600_302600_NS6detail15normal_iteratorINS9_10device_ptrIiEEEENSB_INSC_IjEEEESE_fNS9_4plusIvEENS9_8equal_toIvEEfEE10hipError_tPvRmT2_T3_T4_T5_mT6_T7_P12ihipStream_tbENKUlT_T0_E_clISt17integral_constantIbLb0EES11_EEDaSW_SX_EUlSW_E_NS1_11comp_targetILNS1_3genE5ELNS1_11target_archE942ELNS1_3gpuE9ELNS1_3repE0EEENS1_30default_config_static_selectorELNS0_4arch9wavefront6targetE1EEEvT1_
; %bb.0:
	.section	.rodata,"a",@progbits
	.p2align	6, 0x0
	.amdhsa_kernel _ZN7rocprim17ROCPRIM_400000_NS6detail17trampoline_kernelINS0_14default_configENS1_27scan_by_key_config_selectorIifEEZZNS1_16scan_by_key_implILNS1_25lookback_scan_determinismE0ELb1ES3_N6thrust23THRUST_200600_302600_NS6detail15normal_iteratorINS9_10device_ptrIiEEEENSB_INSC_IjEEEESE_fNS9_4plusIvEENS9_8equal_toIvEEfEE10hipError_tPvRmT2_T3_T4_T5_mT6_T7_P12ihipStream_tbENKUlT_T0_E_clISt17integral_constantIbLb0EES11_EEDaSW_SX_EUlSW_E_NS1_11comp_targetILNS1_3genE5ELNS1_11target_archE942ELNS1_3gpuE9ELNS1_3repE0EEENS1_30default_config_static_selectorELNS0_4arch9wavefront6targetE1EEEvT1_
		.amdhsa_group_segment_fixed_size 0
		.amdhsa_private_segment_fixed_size 0
		.amdhsa_kernarg_size 112
		.amdhsa_user_sgpr_count 6
		.amdhsa_user_sgpr_private_segment_buffer 1
		.amdhsa_user_sgpr_dispatch_ptr 0
		.amdhsa_user_sgpr_queue_ptr 0
		.amdhsa_user_sgpr_kernarg_segment_ptr 1
		.amdhsa_user_sgpr_dispatch_id 0
		.amdhsa_user_sgpr_flat_scratch_init 0
		.amdhsa_user_sgpr_kernarg_preload_length 0
		.amdhsa_user_sgpr_kernarg_preload_offset 0
		.amdhsa_user_sgpr_private_segment_size 0
		.amdhsa_uses_dynamic_stack 0
		.amdhsa_system_sgpr_private_segment_wavefront_offset 0
		.amdhsa_system_sgpr_workgroup_id_x 1
		.amdhsa_system_sgpr_workgroup_id_y 0
		.amdhsa_system_sgpr_workgroup_id_z 0
		.amdhsa_system_sgpr_workgroup_info 0
		.amdhsa_system_vgpr_workitem_id 0
		.amdhsa_next_free_vgpr 1
		.amdhsa_next_free_sgpr 0
		.amdhsa_accum_offset 4
		.amdhsa_reserve_vcc 0
		.amdhsa_reserve_flat_scratch 0
		.amdhsa_float_round_mode_32 0
		.amdhsa_float_round_mode_16_64 0
		.amdhsa_float_denorm_mode_32 3
		.amdhsa_float_denorm_mode_16_64 3
		.amdhsa_dx10_clamp 1
		.amdhsa_ieee_mode 1
		.amdhsa_fp16_overflow 0
		.amdhsa_tg_split 0
		.amdhsa_exception_fp_ieee_invalid_op 0
		.amdhsa_exception_fp_denorm_src 0
		.amdhsa_exception_fp_ieee_div_zero 0
		.amdhsa_exception_fp_ieee_overflow 0
		.amdhsa_exception_fp_ieee_underflow 0
		.amdhsa_exception_fp_ieee_inexact 0
		.amdhsa_exception_int_div_zero 0
	.end_amdhsa_kernel
	.section	.text._ZN7rocprim17ROCPRIM_400000_NS6detail17trampoline_kernelINS0_14default_configENS1_27scan_by_key_config_selectorIifEEZZNS1_16scan_by_key_implILNS1_25lookback_scan_determinismE0ELb1ES3_N6thrust23THRUST_200600_302600_NS6detail15normal_iteratorINS9_10device_ptrIiEEEENSB_INSC_IjEEEESE_fNS9_4plusIvEENS9_8equal_toIvEEfEE10hipError_tPvRmT2_T3_T4_T5_mT6_T7_P12ihipStream_tbENKUlT_T0_E_clISt17integral_constantIbLb0EES11_EEDaSW_SX_EUlSW_E_NS1_11comp_targetILNS1_3genE5ELNS1_11target_archE942ELNS1_3gpuE9ELNS1_3repE0EEENS1_30default_config_static_selectorELNS0_4arch9wavefront6targetE1EEEvT1_,"axG",@progbits,_ZN7rocprim17ROCPRIM_400000_NS6detail17trampoline_kernelINS0_14default_configENS1_27scan_by_key_config_selectorIifEEZZNS1_16scan_by_key_implILNS1_25lookback_scan_determinismE0ELb1ES3_N6thrust23THRUST_200600_302600_NS6detail15normal_iteratorINS9_10device_ptrIiEEEENSB_INSC_IjEEEESE_fNS9_4plusIvEENS9_8equal_toIvEEfEE10hipError_tPvRmT2_T3_T4_T5_mT6_T7_P12ihipStream_tbENKUlT_T0_E_clISt17integral_constantIbLb0EES11_EEDaSW_SX_EUlSW_E_NS1_11comp_targetILNS1_3genE5ELNS1_11target_archE942ELNS1_3gpuE9ELNS1_3repE0EEENS1_30default_config_static_selectorELNS0_4arch9wavefront6targetE1EEEvT1_,comdat
.Lfunc_end1790:
	.size	_ZN7rocprim17ROCPRIM_400000_NS6detail17trampoline_kernelINS0_14default_configENS1_27scan_by_key_config_selectorIifEEZZNS1_16scan_by_key_implILNS1_25lookback_scan_determinismE0ELb1ES3_N6thrust23THRUST_200600_302600_NS6detail15normal_iteratorINS9_10device_ptrIiEEEENSB_INSC_IjEEEESE_fNS9_4plusIvEENS9_8equal_toIvEEfEE10hipError_tPvRmT2_T3_T4_T5_mT6_T7_P12ihipStream_tbENKUlT_T0_E_clISt17integral_constantIbLb0EES11_EEDaSW_SX_EUlSW_E_NS1_11comp_targetILNS1_3genE5ELNS1_11target_archE942ELNS1_3gpuE9ELNS1_3repE0EEENS1_30default_config_static_selectorELNS0_4arch9wavefront6targetE1EEEvT1_, .Lfunc_end1790-_ZN7rocprim17ROCPRIM_400000_NS6detail17trampoline_kernelINS0_14default_configENS1_27scan_by_key_config_selectorIifEEZZNS1_16scan_by_key_implILNS1_25lookback_scan_determinismE0ELb1ES3_N6thrust23THRUST_200600_302600_NS6detail15normal_iteratorINS9_10device_ptrIiEEEENSB_INSC_IjEEEESE_fNS9_4plusIvEENS9_8equal_toIvEEfEE10hipError_tPvRmT2_T3_T4_T5_mT6_T7_P12ihipStream_tbENKUlT_T0_E_clISt17integral_constantIbLb0EES11_EEDaSW_SX_EUlSW_E_NS1_11comp_targetILNS1_3genE5ELNS1_11target_archE942ELNS1_3gpuE9ELNS1_3repE0EEENS1_30default_config_static_selectorELNS0_4arch9wavefront6targetE1EEEvT1_
                                        ; -- End function
	.section	.AMDGPU.csdata,"",@progbits
; Kernel info:
; codeLenInByte = 0
; NumSgprs: 4
; NumVgprs: 0
; NumAgprs: 0
; TotalNumVgprs: 0
; ScratchSize: 0
; MemoryBound: 0
; FloatMode: 240
; IeeeMode: 1
; LDSByteSize: 0 bytes/workgroup (compile time only)
; SGPRBlocks: 0
; VGPRBlocks: 0
; NumSGPRsForWavesPerEU: 4
; NumVGPRsForWavesPerEU: 1
; AccumOffset: 4
; Occupancy: 8
; WaveLimiterHint : 0
; COMPUTE_PGM_RSRC2:SCRATCH_EN: 0
; COMPUTE_PGM_RSRC2:USER_SGPR: 6
; COMPUTE_PGM_RSRC2:TRAP_HANDLER: 0
; COMPUTE_PGM_RSRC2:TGID_X_EN: 1
; COMPUTE_PGM_RSRC2:TGID_Y_EN: 0
; COMPUTE_PGM_RSRC2:TGID_Z_EN: 0
; COMPUTE_PGM_RSRC2:TIDIG_COMP_CNT: 0
; COMPUTE_PGM_RSRC3_GFX90A:ACCUM_OFFSET: 0
; COMPUTE_PGM_RSRC3_GFX90A:TG_SPLIT: 0
	.section	.text._ZN7rocprim17ROCPRIM_400000_NS6detail17trampoline_kernelINS0_14default_configENS1_27scan_by_key_config_selectorIifEEZZNS1_16scan_by_key_implILNS1_25lookback_scan_determinismE0ELb1ES3_N6thrust23THRUST_200600_302600_NS6detail15normal_iteratorINS9_10device_ptrIiEEEENSB_INSC_IjEEEESE_fNS9_4plusIvEENS9_8equal_toIvEEfEE10hipError_tPvRmT2_T3_T4_T5_mT6_T7_P12ihipStream_tbENKUlT_T0_E_clISt17integral_constantIbLb0EES11_EEDaSW_SX_EUlSW_E_NS1_11comp_targetILNS1_3genE4ELNS1_11target_archE910ELNS1_3gpuE8ELNS1_3repE0EEENS1_30default_config_static_selectorELNS0_4arch9wavefront6targetE1EEEvT1_,"axG",@progbits,_ZN7rocprim17ROCPRIM_400000_NS6detail17trampoline_kernelINS0_14default_configENS1_27scan_by_key_config_selectorIifEEZZNS1_16scan_by_key_implILNS1_25lookback_scan_determinismE0ELb1ES3_N6thrust23THRUST_200600_302600_NS6detail15normal_iteratorINS9_10device_ptrIiEEEENSB_INSC_IjEEEESE_fNS9_4plusIvEENS9_8equal_toIvEEfEE10hipError_tPvRmT2_T3_T4_T5_mT6_T7_P12ihipStream_tbENKUlT_T0_E_clISt17integral_constantIbLb0EES11_EEDaSW_SX_EUlSW_E_NS1_11comp_targetILNS1_3genE4ELNS1_11target_archE910ELNS1_3gpuE8ELNS1_3repE0EEENS1_30default_config_static_selectorELNS0_4arch9wavefront6targetE1EEEvT1_,comdat
	.protected	_ZN7rocprim17ROCPRIM_400000_NS6detail17trampoline_kernelINS0_14default_configENS1_27scan_by_key_config_selectorIifEEZZNS1_16scan_by_key_implILNS1_25lookback_scan_determinismE0ELb1ES3_N6thrust23THRUST_200600_302600_NS6detail15normal_iteratorINS9_10device_ptrIiEEEENSB_INSC_IjEEEESE_fNS9_4plusIvEENS9_8equal_toIvEEfEE10hipError_tPvRmT2_T3_T4_T5_mT6_T7_P12ihipStream_tbENKUlT_T0_E_clISt17integral_constantIbLb0EES11_EEDaSW_SX_EUlSW_E_NS1_11comp_targetILNS1_3genE4ELNS1_11target_archE910ELNS1_3gpuE8ELNS1_3repE0EEENS1_30default_config_static_selectorELNS0_4arch9wavefront6targetE1EEEvT1_ ; -- Begin function _ZN7rocprim17ROCPRIM_400000_NS6detail17trampoline_kernelINS0_14default_configENS1_27scan_by_key_config_selectorIifEEZZNS1_16scan_by_key_implILNS1_25lookback_scan_determinismE0ELb1ES3_N6thrust23THRUST_200600_302600_NS6detail15normal_iteratorINS9_10device_ptrIiEEEENSB_INSC_IjEEEESE_fNS9_4plusIvEENS9_8equal_toIvEEfEE10hipError_tPvRmT2_T3_T4_T5_mT6_T7_P12ihipStream_tbENKUlT_T0_E_clISt17integral_constantIbLb0EES11_EEDaSW_SX_EUlSW_E_NS1_11comp_targetILNS1_3genE4ELNS1_11target_archE910ELNS1_3gpuE8ELNS1_3repE0EEENS1_30default_config_static_selectorELNS0_4arch9wavefront6targetE1EEEvT1_
	.globl	_ZN7rocprim17ROCPRIM_400000_NS6detail17trampoline_kernelINS0_14default_configENS1_27scan_by_key_config_selectorIifEEZZNS1_16scan_by_key_implILNS1_25lookback_scan_determinismE0ELb1ES3_N6thrust23THRUST_200600_302600_NS6detail15normal_iteratorINS9_10device_ptrIiEEEENSB_INSC_IjEEEESE_fNS9_4plusIvEENS9_8equal_toIvEEfEE10hipError_tPvRmT2_T3_T4_T5_mT6_T7_P12ihipStream_tbENKUlT_T0_E_clISt17integral_constantIbLb0EES11_EEDaSW_SX_EUlSW_E_NS1_11comp_targetILNS1_3genE4ELNS1_11target_archE910ELNS1_3gpuE8ELNS1_3repE0EEENS1_30default_config_static_selectorELNS0_4arch9wavefront6targetE1EEEvT1_
	.p2align	8
	.type	_ZN7rocprim17ROCPRIM_400000_NS6detail17trampoline_kernelINS0_14default_configENS1_27scan_by_key_config_selectorIifEEZZNS1_16scan_by_key_implILNS1_25lookback_scan_determinismE0ELb1ES3_N6thrust23THRUST_200600_302600_NS6detail15normal_iteratorINS9_10device_ptrIiEEEENSB_INSC_IjEEEESE_fNS9_4plusIvEENS9_8equal_toIvEEfEE10hipError_tPvRmT2_T3_T4_T5_mT6_T7_P12ihipStream_tbENKUlT_T0_E_clISt17integral_constantIbLb0EES11_EEDaSW_SX_EUlSW_E_NS1_11comp_targetILNS1_3genE4ELNS1_11target_archE910ELNS1_3gpuE8ELNS1_3repE0EEENS1_30default_config_static_selectorELNS0_4arch9wavefront6targetE1EEEvT1_,@function
_ZN7rocprim17ROCPRIM_400000_NS6detail17trampoline_kernelINS0_14default_configENS1_27scan_by_key_config_selectorIifEEZZNS1_16scan_by_key_implILNS1_25lookback_scan_determinismE0ELb1ES3_N6thrust23THRUST_200600_302600_NS6detail15normal_iteratorINS9_10device_ptrIiEEEENSB_INSC_IjEEEESE_fNS9_4plusIvEENS9_8equal_toIvEEfEE10hipError_tPvRmT2_T3_T4_T5_mT6_T7_P12ihipStream_tbENKUlT_T0_E_clISt17integral_constantIbLb0EES11_EEDaSW_SX_EUlSW_E_NS1_11comp_targetILNS1_3genE4ELNS1_11target_archE910ELNS1_3gpuE8ELNS1_3repE0EEENS1_30default_config_static_selectorELNS0_4arch9wavefront6targetE1EEEvT1_: ; @_ZN7rocprim17ROCPRIM_400000_NS6detail17trampoline_kernelINS0_14default_configENS1_27scan_by_key_config_selectorIifEEZZNS1_16scan_by_key_implILNS1_25lookback_scan_determinismE0ELb1ES3_N6thrust23THRUST_200600_302600_NS6detail15normal_iteratorINS9_10device_ptrIiEEEENSB_INSC_IjEEEESE_fNS9_4plusIvEENS9_8equal_toIvEEfEE10hipError_tPvRmT2_T3_T4_T5_mT6_T7_P12ihipStream_tbENKUlT_T0_E_clISt17integral_constantIbLb0EES11_EEDaSW_SX_EUlSW_E_NS1_11comp_targetILNS1_3genE4ELNS1_11target_archE910ELNS1_3gpuE8ELNS1_3repE0EEENS1_30default_config_static_selectorELNS0_4arch9wavefront6targetE1EEEvT1_
; %bb.0:
	s_load_dwordx8 s[36:43], s[4:5], 0x0
	s_load_dword s7, s[4:5], 0x20
	s_load_dwordx4 s[44:47], s[4:5], 0x28
	s_load_dwordx2 s[52:53], s[4:5], 0x38
	s_load_dword s0, s[4:5], 0x40
	s_load_dwordx4 s[48:51], s[4:5], 0x48
	s_waitcnt lgkmcnt(0)
	s_lshl_b64 s[34:35], s[38:39], 2
	s_add_u32 s2, s36, s34
	s_addc_u32 s3, s37, s35
	s_add_u32 s4, s40, s34
	s_mul_i32 s1, s53, s0
	s_mul_hi_u32 s8, s52, s0
	s_addc_u32 s5, s41, s35
	s_add_i32 s8, s8, s1
	s_mul_i32 s9, s52, s0
	s_mul_i32 s0, s6, 0xe00
	s_mov_b32 s1, 0
	s_lshl_b64 s[36:37], s[0:1], 2
	s_add_u32 s38, s2, s36
	s_addc_u32 s39, s3, s37
	s_add_u32 s47, s4, s36
	s_addc_u32 s56, s5, s37
	;; [unrolled: 2-line block ×3, first 2 shown]
	s_add_u32 s4, s48, -1
	s_addc_u32 s5, s49, -1
	v_pk_mov_b32 v[2:3], s[4:5], s[4:5] op_sel:[0,1]
	v_cmp_ge_u64_e64 s[0:1], s[0:1], v[2:3]
	s_mov_b64 s[2:3], -1
	s_and_b64 vcc, exec, s[0:1]
	s_mul_i32 s33, s4, 0xfffff200
	s_barrier
	s_cbranch_vccz .LBB1791_76
; %bb.1:
	v_pk_mov_b32 v[2:3], s[38:39], s[38:39] op_sel:[0,1]
	flat_load_dword v2, v[2:3]
	s_add_i32 s58, s33, s46
	v_cmp_gt_u32_e32 vcc, s58, v0
	s_waitcnt vmcnt(0) lgkmcnt(0)
	v_mov_b32_e32 v3, v2
	s_and_saveexec_b64 s[4:5], vcc
	s_cbranch_execz .LBB1791_3
; %bb.2:
	v_lshlrev_b32_e32 v1, 2, v0
	v_mov_b32_e32 v3, s39
	v_add_co_u32_e64 v4, s[2:3], s38, v1
	v_addc_co_u32_e64 v5, s[2:3], 0, v3, s[2:3]
	flat_load_dword v3, v[4:5]
.LBB1791_3:
	s_or_b64 exec, exec, s[4:5]
	v_or_b32_e32 v1, 0x100, v0
	v_cmp_gt_u32_e64 s[2:3], s58, v1
	v_mov_b32_e32 v4, v2
	s_and_saveexec_b64 s[8:9], s[2:3]
	s_cbranch_execz .LBB1791_5
; %bb.4:
	v_lshlrev_b32_e32 v1, 2, v0
	v_mov_b32_e32 v5, s39
	v_add_co_u32_e64 v4, s[4:5], s38, v1
	v_addc_co_u32_e64 v5, s[4:5], 0, v5, s[4:5]
	flat_load_dword v4, v[4:5] offset:1024
.LBB1791_5:
	s_or_b64 exec, exec, s[8:9]
	v_or_b32_e32 v1, 0x200, v0
	v_cmp_gt_u32_e64 s[4:5], s58, v1
	v_mov_b32_e32 v5, v2
	s_and_saveexec_b64 s[10:11], s[4:5]
	s_cbranch_execz .LBB1791_7
; %bb.6:
	v_lshlrev_b32_e32 v1, 2, v0
	v_mov_b32_e32 v5, s39
	v_add_co_u32_e64 v6, s[8:9], s38, v1
	v_addc_co_u32_e64 v7, s[8:9], 0, v5, s[8:9]
	flat_load_dword v5, v[6:7] offset:2048
.LBB1791_7:
	;; [unrolled: 13-line block ×3, first 2 shown]
	s_or_b64 exec, exec, s[10:11]
	v_or_b32_e32 v1, 0x400, v0
	v_cmp_gt_u32_e64 s[8:9], s58, v1
	v_lshlrev_b32_e32 v1, 2, v1
	v_mov_b32_e32 v7, v2
	s_and_saveexec_b64 s[12:13], s[8:9]
	s_cbranch_execz .LBB1791_11
; %bb.10:
	v_mov_b32_e32 v7, s39
	v_add_co_u32_e64 v8, s[10:11], s38, v1
	v_addc_co_u32_e64 v9, s[10:11], 0, v7, s[10:11]
	flat_load_dword v7, v[8:9]
.LBB1791_11:
	s_or_b64 exec, exec, s[12:13]
	v_or_b32_e32 v8, 0x500, v0
	v_cmp_gt_u32_e64 s[10:11], s58, v8
	v_lshlrev_b32_e32 v16, 2, v8
	v_mov_b32_e32 v8, v2
	s_and_saveexec_b64 s[14:15], s[10:11]
	s_cbranch_execz .LBB1791_13
; %bb.12:
	v_mov_b32_e32 v9, s39
	v_add_co_u32_e64 v8, s[12:13], s38, v16
	v_addc_co_u32_e64 v9, s[12:13], 0, v9, s[12:13]
	flat_load_dword v8, v[8:9]
.LBB1791_13:
	;; [unrolled: 13-line block ×9, first 2 shown]
	s_or_b64 exec, exec, s[30:31]
	v_or_b32_e32 v18, 0xd00, v0
	v_cmp_gt_u32_e64 s[26:27], s58, v18
	v_lshlrev_b32_e32 v26, 2, v18
	s_and_saveexec_b64 s[40:41], s[26:27]
	s_cbranch_execz .LBB1791_29
; %bb.28:
	v_mov_b32_e32 v2, s39
	v_add_co_u32_e64 v18, s[30:31], s38, v26
	v_addc_co_u32_e64 v19, s[30:31], 0, v2, s[30:31]
	flat_load_dword v2, v[18:19]
.LBB1791_29:
	s_or_b64 exec, exec, s[40:41]
	v_lshlrev_b32_e32 v27, 2, v0
	s_waitcnt vmcnt(0) lgkmcnt(0)
	ds_write2st64_b32 v27, v3, v4 offset1:4
	ds_write2st64_b32 v27, v5, v6 offset0:8 offset1:12
	ds_write2st64_b32 v27, v7, v8 offset0:16 offset1:20
	;; [unrolled: 1-line block ×6, first 2 shown]
	v_pk_mov_b32 v[2:3], s[38:39], s[38:39] op_sel:[0,1]
	s_waitcnt lgkmcnt(0)
	s_barrier
	flat_load_dword v18, v[2:3]
	v_mad_u32_u24 v19, v0, 52, v27
	s_movk_i32 s30, 0xffcc
	ds_read2_b64 v[10:13], v19 offset1:1
	ds_read2_b64 v[6:9], v19 offset0:2 offset1:3
	ds_read2_b64 v[2:5], v19 offset0:4 offset1:5
	ds_read_b64 v[14:15], v19 offset:48
	v_mad_i32_i24 v28, v0, s30, v19
	s_movk_i32 s30, 0xff
	v_cmp_ne_u32_e64 s[30:31], s30, v0
	s_waitcnt lgkmcnt(0)
	ds_write_b32 v28, v10 offset:15360
	s_waitcnt lgkmcnt(0)
	s_barrier
	s_and_saveexec_b64 s[40:41], s[30:31]
	s_cbranch_execz .LBB1791_31
; %bb.30:
	s_waitcnt vmcnt(0)
	ds_read_b32 v18, v27 offset:15364
.LBB1791_31:
	s_or_b64 exec, exec, s[40:41]
	s_waitcnt lgkmcnt(0)
	s_barrier
	s_waitcnt lgkmcnt(0)
                                        ; implicit-def: $vgpr28
	s_and_saveexec_b64 s[30:31], vcc
	s_cbranch_execz .LBB1791_147
; %bb.32:
	v_mov_b32_e32 v29, s56
	v_add_co_u32_e32 v28, vcc, s47, v27
	v_addc_co_u32_e32 v29, vcc, 0, v29, vcc
	flat_load_dword v28, v[28:29]
	s_waitcnt vmcnt(0) lgkmcnt(0)
	v_cvt_f32_u32_e32 v28, v28
	s_or_b64 exec, exec, s[30:31]
                                        ; implicit-def: $vgpr29
	s_and_saveexec_b64 s[30:31], s[2:3]
	s_cbranch_execnz .LBB1791_148
.LBB1791_33:
	s_or_b64 exec, exec, s[30:31]
                                        ; implicit-def: $vgpr30
	s_and_saveexec_b64 s[2:3], s[4:5]
	s_cbranch_execz .LBB1791_149
.LBB1791_34:
	v_mov_b32_e32 v31, s56
	v_add_co_u32_e32 v30, vcc, s47, v27
	v_addc_co_u32_e32 v31, vcc, 0, v31, vcc
	flat_load_dword v30, v[30:31] offset:2048
	s_waitcnt vmcnt(0) lgkmcnt(0)
	v_cvt_f32_u32_e32 v30, v30
	s_or_b64 exec, exec, s[2:3]
                                        ; implicit-def: $vgpr31
	s_and_saveexec_b64 s[2:3], s[28:29]
	s_cbranch_execnz .LBB1791_150
.LBB1791_35:
	s_or_b64 exec, exec, s[2:3]
                                        ; implicit-def: $vgpr32
	s_and_saveexec_b64 s[2:3], s[8:9]
	s_cbranch_execz .LBB1791_151
.LBB1791_36:
	v_mov_b32_e32 v33, s56
	v_add_co_u32_e32 v32, vcc, s47, v1
	v_addc_co_u32_e32 v33, vcc, 0, v33, vcc
	flat_load_dword v1, v[32:33]
	s_waitcnt vmcnt(0) lgkmcnt(0)
	v_cvt_f32_u32_e32 v32, v1
	s_or_b64 exec, exec, s[2:3]
                                        ; implicit-def: $vgpr1
	s_and_saveexec_b64 s[2:3], s[10:11]
	s_cbranch_execnz .LBB1791_152
.LBB1791_37:
	s_or_b64 exec, exec, s[2:3]
                                        ; implicit-def: $vgpr16
	s_and_saveexec_b64 s[2:3], s[12:13]
	s_cbranch_execz .LBB1791_153
.LBB1791_38:
	v_mov_b32_e32 v33, s56
	v_add_co_u32_e32 v16, vcc, s47, v17
	v_addc_co_u32_e32 v17, vcc, 0, v33, vcc
	flat_load_dword v16, v[16:17]
	s_waitcnt vmcnt(0) lgkmcnt(0)
	v_cvt_f32_u32_e32 v16, v16
	s_or_b64 exec, exec, s[2:3]
                                        ; implicit-def: $vgpr17
	s_and_saveexec_b64 s[2:3], s[14:15]
	s_cbranch_execnz .LBB1791_154
.LBB1791_39:
	s_or_b64 exec, exec, s[2:3]
                                        ; implicit-def: $vgpr33
	s_and_saveexec_b64 s[2:3], s[16:17]
	s_cbranch_execz .LBB1791_155
.LBB1791_40:
	v_mov_b32_e32 v33, s56
	v_add_co_u32_e32 v20, vcc, s47, v21
	v_addc_co_u32_e32 v21, vcc, 0, v33, vcc
	flat_load_dword v20, v[20:21]
	s_waitcnt vmcnt(0) lgkmcnt(0)
	v_cvt_f32_u32_e32 v33, v20
	s_or_b64 exec, exec, s[2:3]
                                        ; implicit-def: $vgpr21
	s_and_saveexec_b64 s[2:3], s[18:19]
	s_cbranch_execnz .LBB1791_156
.LBB1791_41:
	s_or_b64 exec, exec, s[2:3]
                                        ; implicit-def: $vgpr22
	s_and_saveexec_b64 s[2:3], s[20:21]
	s_cbranch_execz .LBB1791_157
.LBB1791_42:
	v_mov_b32_e32 v20, s56
	v_add_co_u32_e32 v22, vcc, s47, v23
	v_addc_co_u32_e32 v23, vcc, 0, v20, vcc
	flat_load_dword v20, v[22:23]
	s_waitcnt vmcnt(0) lgkmcnt(0)
	v_cvt_f32_u32_e32 v22, v20
	s_or_b64 exec, exec, s[2:3]
                                        ; implicit-def: $vgpr23
	s_and_saveexec_b64 s[2:3], s[22:23]
	s_cbranch_execnz .LBB1791_158
.LBB1791_43:
	s_or_b64 exec, exec, s[2:3]
                                        ; implicit-def: $vgpr24
	s_and_saveexec_b64 s[2:3], s[24:25]
	s_cbranch_execz .LBB1791_45
.LBB1791_44:
	v_mov_b32_e32 v20, s56
	v_add_co_u32_e32 v24, vcc, s47, v25
	v_addc_co_u32_e32 v25, vcc, 0, v20, vcc
	flat_load_dword v20, v[24:25]
	s_waitcnt vmcnt(0) lgkmcnt(0)
	v_cvt_f32_u32_e32 v24, v20
.LBB1791_45:
	s_or_b64 exec, exec, s[2:3]
	v_mul_u32_u24_e32 v20, 14, v0
                                        ; implicit-def: $vgpr25
	s_and_saveexec_b64 s[2:3], s[26:27]
	s_cbranch_execz .LBB1791_47
; %bb.46:
	v_mov_b32_e32 v25, s56
	v_add_co_u32_e32 v34, vcc, s47, v26
	v_addc_co_u32_e32 v35, vcc, 0, v25, vcc
	flat_load_dword v25, v[34:35]
	s_waitcnt vmcnt(0) lgkmcnt(0)
	v_cvt_f32_u32_e32 v25, v25
.LBB1791_47:
	s_or_b64 exec, exec, s[2:3]
	ds_write2st64_b32 v27, v28, v29 offset1:4
	ds_write2st64_b32 v27, v30, v31 offset0:8 offset1:12
	ds_write2st64_b32 v27, v32, v1 offset0:16 offset1:20
	;; [unrolled: 1-line block ×6, first 2 shown]
	v_cmp_gt_u32_e32 vcc, s58, v20
	s_mov_b64 s[2:3], 0
	s_mov_b32 s57, 0
	v_mov_b32_e32 v1, 0
	v_mov_b32_e32 v24, 0
	s_mov_b64 s[10:11], 0
	v_mov_b32_e32 v39, 0
	v_mov_b32_e32 v28, 0
	;; [unrolled: 1-line block ×24, first 2 shown]
	s_waitcnt lgkmcnt(0)
	s_barrier
	s_waitcnt lgkmcnt(0)
                                        ; implicit-def: $sgpr8_sgpr9
                                        ; implicit-def: $vgpr16
	s_and_saveexec_b64 s[4:5], vcc
	s_cbranch_execz .LBB1791_75
; %bb.48:
	ds_read_b32 v16, v19
	v_or_b32_e32 v17, 1, v20
	v_cmp_ne_u32_e32 vcc, v10, v11
	v_mov_b32_e32 v10, s7
	v_cndmask_b32_e64 v1, 0, 1, vcc
	s_waitcnt lgkmcnt(0)
	v_cndmask_b32_e32 v28, v16, v10, vcc
	v_cmp_gt_u32_e32 vcc, s58, v17
	v_mov_b32_e32 v24, 0
	v_mov_b32_e32 v39, 0
	v_mov_b32_e32 v38, 0
	v_mov_b32_e32 v48, 0
	v_mov_b32_e32 v32, 0
	v_mov_b32_e32 v37, 0
	v_mov_b32_e32 v47, 0
	v_mov_b32_e32 v26, 0
	v_mov_b32_e32 v36, 0
	v_mov_b32_e32 v46, 0
	v_mov_b32_e32 v35, 0
	v_mov_b32_e32 v34, 0
	v_mov_b32_e32 v45, 0
	v_mov_b32_e32 v27, 0
	v_mov_b32_e32 v33, 0
	v_mov_b32_e32 v44, 0
	v_mov_b32_e32 v40, 0
	v_mov_b32_e32 v31, 0
	v_mov_b32_e32 v43, 0
	v_mov_b32_e32 v29, 0
	v_mov_b32_e32 v30, 0
	v_mov_b32_e32 v42, 0
	v_mov_b32_e32 v41, 0
	v_mov_b32_e32 v25, 0
                                        ; implicit-def: $sgpr12_sgpr13
                                        ; implicit-def: $vgpr16
	s_and_saveexec_b64 s[8:9], vcc
	s_cbranch_execz .LBB1791_74
; %bb.49:
	ds_read2_b32 v[16:17], v19 offset0:1 offset1:2
	v_add_u32_e32 v10, 2, v20
	v_cmp_ne_u32_e32 vcc, v11, v12
	v_mov_b32_e32 v11, s7
	v_cndmask_b32_e64 v32, 0, 1, vcc
	s_waitcnt lgkmcnt(0)
	v_cndmask_b32_e32 v26, v16, v11, vcc
	v_cmp_gt_u32_e32 vcc, s58, v10
	s_mov_b64 s[14:15], 0
	v_mov_b32_e32 v24, 0
	v_mov_b32_e32 v39, 0
	;; [unrolled: 1-line block ×22, first 2 shown]
                                        ; implicit-def: $sgpr12_sgpr13
                                        ; implicit-def: $vgpr16
	s_and_saveexec_b64 s[10:11], vcc
	s_cbranch_execz .LBB1791_73
; %bb.50:
	v_add_u32_e32 v10, 3, v20
	v_cmp_ne_u32_e32 vcc, v12, v13
	v_mov_b32_e32 v11, s7
	v_cndmask_b32_e64 v35, 0, 1, vcc
	v_cndmask_b32_e32 v27, v17, v11, vcc
	v_cmp_gt_u32_e32 vcc, s58, v10
	v_mov_b32_e32 v24, 0
	v_mov_b32_e32 v39, 0
	;; [unrolled: 1-line block ×20, first 2 shown]
                                        ; implicit-def: $sgpr16_sgpr17
                                        ; implicit-def: $vgpr16
	s_and_saveexec_b64 s[12:13], vcc
	s_cbranch_execz .LBB1791_72
; %bb.51:
	ds_read2_b32 v[10:11], v19 offset0:3 offset1:4
	v_add_u32_e32 v12, 4, v20
	v_cmp_ne_u32_e32 vcc, v13, v6
	v_mov_b32_e32 v13, s7
	v_cndmask_b32_e64 v40, 0, 1, vcc
	s_waitcnt lgkmcnt(0)
	v_cndmask_b32_e32 v29, v10, v13, vcc
	v_cmp_gt_u32_e32 vcc, s58, v12
	s_mov_b64 s[18:19], 0
	v_mov_b32_e32 v24, 0
	v_mov_b32_e32 v39, 0
	;; [unrolled: 1-line block ×18, first 2 shown]
                                        ; implicit-def: $sgpr16_sgpr17
                                        ; implicit-def: $vgpr16
	s_and_saveexec_b64 s[14:15], vcc
	s_cbranch_execz .LBB1791_71
; %bb.52:
	v_add_u32_e32 v10, 5, v20
	v_cmp_ne_u32_e32 vcc, v6, v7
	v_mov_b32_e32 v6, s7
	v_cndmask_b32_e64 v41, 0, 1, vcc
	v_cndmask_b32_e32 v25, v11, v6, vcc
	v_cmp_gt_u32_e32 vcc, s58, v10
	v_mov_b32_e32 v24, 0
	v_mov_b32_e32 v39, 0
	;; [unrolled: 1-line block ×16, first 2 shown]
                                        ; implicit-def: $sgpr20_sgpr21
                                        ; implicit-def: $vgpr16
	s_and_saveexec_b64 s[16:17], vcc
	s_cbranch_execz .LBB1791_70
; %bb.53:
	ds_read2_b32 v[10:11], v19 offset0:5 offset1:6
	v_add_u32_e32 v6, 6, v20
	v_cmp_ne_u32_e32 vcc, v7, v8
	v_mov_b32_e32 v7, s7
	v_cndmask_b32_e64 v42, 0, 1, vcc
	s_waitcnt lgkmcnt(0)
	v_cndmask_b32_e32 v30, v10, v7, vcc
	v_cmp_gt_u32_e32 vcc, s58, v6
	s_mov_b64 s[22:23], 0
	v_mov_b32_e32 v24, 0
	v_mov_b32_e32 v39, 0
	v_mov_b32_e32 v38, 0
	v_mov_b32_e32 v48, 0
	v_mov_b32_e32 v37, 0
	v_mov_b32_e32 v47, 0
	v_mov_b32_e32 v36, 0
	v_mov_b32_e32 v46, 0
	v_mov_b32_e32 v34, 0
	v_mov_b32_e32 v45, 0
	v_mov_b32_e32 v33, 0
	v_mov_b32_e32 v44, 0
	v_mov_b32_e32 v31, 0
	v_mov_b32_e32 v43, 0
                                        ; implicit-def: $sgpr20_sgpr21
                                        ; implicit-def: $vgpr16
	s_and_saveexec_b64 s[18:19], vcc
	s_cbranch_execz .LBB1791_69
; %bb.54:
	v_add_u32_e32 v6, 7, v20
	v_cmp_ne_u32_e32 vcc, v8, v9
	v_mov_b32_e32 v7, s7
	v_cndmask_b32_e64 v43, 0, 1, vcc
	v_cndmask_b32_e32 v31, v11, v7, vcc
	v_cmp_gt_u32_e32 vcc, s58, v6
	v_mov_b32_e32 v24, 0
	v_mov_b32_e32 v39, 0
	;; [unrolled: 1-line block ×12, first 2 shown]
                                        ; implicit-def: $sgpr24_sgpr25
                                        ; implicit-def: $vgpr16
	s_and_saveexec_b64 s[20:21], vcc
	s_cbranch_execz .LBB1791_68
; %bb.55:
	ds_read2_b32 v[6:7], v19 offset0:7 offset1:8
	v_add_u32_e32 v8, 8, v20
	v_cmp_ne_u32_e32 vcc, v9, v2
	v_mov_b32_e32 v9, s7
	v_cndmask_b32_e64 v44, 0, 1, vcc
	s_waitcnt lgkmcnt(0)
	v_cndmask_b32_e32 v33, v6, v9, vcc
	v_cmp_gt_u32_e32 vcc, s58, v8
	s_mov_b64 s[26:27], 0
	v_mov_b32_e32 v24, 0
	v_mov_b32_e32 v39, 0
	;; [unrolled: 1-line block ×10, first 2 shown]
                                        ; implicit-def: $sgpr24_sgpr25
                                        ; implicit-def: $vgpr16
	s_and_saveexec_b64 s[22:23], vcc
	s_cbranch_execz .LBB1791_67
; %bb.56:
	v_add_u32_e32 v6, 9, v20
	v_cmp_ne_u32_e32 vcc, v2, v3
	v_mov_b32_e32 v2, s7
	v_cndmask_b32_e64 v45, 0, 1, vcc
	v_cndmask_b32_e32 v34, v7, v2, vcc
	v_cmp_gt_u32_e32 vcc, s58, v6
	v_mov_b32_e32 v24, 0
	v_mov_b32_e32 v39, 0
	;; [unrolled: 1-line block ×8, first 2 shown]
                                        ; implicit-def: $sgpr28_sgpr29
                                        ; implicit-def: $vgpr16
	s_and_saveexec_b64 s[24:25], vcc
	s_cbranch_execz .LBB1791_66
; %bb.57:
	ds_read2_b32 v[6:7], v19 offset0:9 offset1:10
	v_add_u32_e32 v2, 10, v20
	v_cmp_ne_u32_e32 vcc, v3, v4
	v_mov_b32_e32 v3, s7
	v_cndmask_b32_e64 v46, 0, 1, vcc
	s_waitcnt lgkmcnt(0)
	v_cndmask_b32_e32 v36, v6, v3, vcc
	v_cmp_gt_u32_e32 vcc, s58, v2
	s_mov_b64 s[30:31], 0
	v_mov_b32_e32 v24, 0
	v_mov_b32_e32 v39, 0
	;; [unrolled: 1-line block ×6, first 2 shown]
                                        ; implicit-def: $sgpr28_sgpr29
                                        ; implicit-def: $vgpr16
	s_and_saveexec_b64 s[26:27], vcc
	s_cbranch_execz .LBB1791_65
; %bb.58:
	v_add_u32_e32 v2, 11, v20
	v_cmp_ne_u32_e32 vcc, v4, v5
	v_mov_b32_e32 v3, s7
	v_cndmask_b32_e64 v47, 0, 1, vcc
	v_cndmask_b32_e32 v37, v7, v3, vcc
	v_cmp_gt_u32_e32 vcc, s58, v2
	v_mov_b32_e32 v24, 0
	v_mov_b32_e32 v39, 0
	;; [unrolled: 1-line block ×4, first 2 shown]
                                        ; implicit-def: $sgpr40_sgpr41
                                        ; implicit-def: $vgpr16
	s_and_saveexec_b64 s[28:29], vcc
	s_cbranch_execz .LBB1791_64
; %bb.59:
	ds_read2_b32 v[2:3], v19 offset0:11 offset1:12
	v_add_u32_e32 v4, 12, v20
	v_cmp_ne_u32_e32 vcc, v5, v14
	v_mov_b32_e32 v5, s7
	v_cndmask_b32_e64 v48, 0, 1, vcc
	s_waitcnt lgkmcnt(0)
	v_cndmask_b32_e32 v38, v2, v5, vcc
	v_cmp_gt_u32_e32 vcc, s58, v4
	s_mov_b64 s[48:49], 0
	v_mov_b32_e32 v24, 0
	v_mov_b32_e32 v39, 0
                                        ; implicit-def: $sgpr54_sgpr55
                                        ; implicit-def: $vgpr16
	s_and_saveexec_b64 s[30:31], vcc
	s_cbranch_execz .LBB1791_63
; %bb.60:
	v_add_u32_e32 v2, 13, v20
	v_cmp_ne_u32_e32 vcc, v14, v15
	v_mov_b32_e32 v4, s7
	v_cndmask_b32_e64 v39, 0, 1, vcc
	v_cndmask_b32_e32 v24, v3, v4, vcc
	v_cmp_gt_u32_e32 vcc, s58, v2
	s_mov_b64 s[40:41], 0
                                        ; implicit-def: $sgpr48_sgpr49
                                        ; implicit-def: $vgpr16
	s_and_saveexec_b64 s[54:55], vcc
	s_xor_b64 s[54:55], exec, s[54:55]
	s_cbranch_execz .LBB1791_62
; %bb.61:
	ds_read_b32 v2, v19 offset:52
	v_mov_b32_e32 v3, s7
	s_waitcnt vmcnt(0)
	v_cmp_ne_u32_e32 vcc, v15, v18
	s_mov_b64 s[40:41], exec
	s_and_b64 s[48:49], vcc, exec
	s_waitcnt lgkmcnt(0)
	v_cndmask_b32_e32 v16, v2, v3, vcc
.LBB1791_62:
	s_or_b64 exec, exec, s[54:55]
	s_and_b64 s[54:55], s[48:49], exec
	s_and_b64 s[48:49], s[40:41], exec
.LBB1791_63:
	s_or_b64 exec, exec, s[30:31]
	s_and_b64 s[40:41], s[54:55], exec
	s_and_b64 s[30:31], s[48:49], exec
.LBB1791_64:
	s_or_b64 exec, exec, s[28:29]
	s_and_b64 s[28:29], s[40:41], exec
	s_and_b64 s[30:31], s[30:31], exec
.LBB1791_65:
	s_or_b64 exec, exec, s[26:27]
	s_and_b64 s[28:29], s[28:29], exec
	s_and_b64 s[26:27], s[30:31], exec
.LBB1791_66:
	s_or_b64 exec, exec, s[24:25]
	s_and_b64 s[24:25], s[28:29], exec
	s_and_b64 s[26:27], s[26:27], exec
.LBB1791_67:
	s_or_b64 exec, exec, s[22:23]
	s_and_b64 s[24:25], s[24:25], exec
	s_and_b64 s[22:23], s[26:27], exec
.LBB1791_68:
	s_or_b64 exec, exec, s[20:21]
	s_and_b64 s[20:21], s[24:25], exec
	s_and_b64 s[22:23], s[22:23], exec
.LBB1791_69:
	s_or_b64 exec, exec, s[18:19]
	s_and_b64 s[20:21], s[20:21], exec
	s_and_b64 s[18:19], s[22:23], exec
.LBB1791_70:
	s_or_b64 exec, exec, s[16:17]
	s_and_b64 s[16:17], s[20:21], exec
	s_and_b64 s[18:19], s[18:19], exec
.LBB1791_71:
	s_or_b64 exec, exec, s[14:15]
	s_and_b64 s[16:17], s[16:17], exec
	s_and_b64 s[14:15], s[18:19], exec
.LBB1791_72:
	s_or_b64 exec, exec, s[12:13]
	s_and_b64 s[12:13], s[16:17], exec
	s_and_b64 s[14:15], s[14:15], exec
.LBB1791_73:
	s_or_b64 exec, exec, s[10:11]
	s_and_b64 s[12:13], s[12:13], exec
	s_and_b64 s[10:11], s[14:15], exec
.LBB1791_74:
	s_or_b64 exec, exec, s[8:9]
	s_and_b64 s[8:9], s[12:13], exec
	s_and_b64 s[10:11], s[10:11], exec
.LBB1791_75:
	s_or_b64 exec, exec, s[4:5]
	s_mov_b32 s4, 0
	s_and_b64 vcc, exec, s[2:3]
	v_lshlrev_b32_e32 v49, 2, v0
	s_cbranch_vccnz .LBB1791_77
	s_branch .LBB1791_82
.LBB1791_76:
	s_mov_b64 s[10:11], 0
                                        ; implicit-def: $sgpr8_sgpr9
                                        ; implicit-def: $vgpr16
                                        ; implicit-def: $vgpr1
                                        ; implicit-def: $vgpr24
                                        ; implicit-def: $vgpr39
                                        ; implicit-def: $vgpr28
                                        ; implicit-def: $vgpr38
                                        ; implicit-def: $vgpr48
                                        ; implicit-def: $vgpr32
                                        ; implicit-def: $vgpr37
                                        ; implicit-def: $vgpr47
                                        ; implicit-def: $vgpr26
                                        ; implicit-def: $vgpr36
                                        ; implicit-def: $vgpr46
                                        ; implicit-def: $vgpr35
                                        ; implicit-def: $vgpr34
                                        ; implicit-def: $vgpr45
                                        ; implicit-def: $vgpr27
                                        ; implicit-def: $vgpr33
                                        ; implicit-def: $vgpr44
                                        ; implicit-def: $vgpr40
                                        ; implicit-def: $vgpr31
                                        ; implicit-def: $vgpr43
                                        ; implicit-def: $vgpr29
                                        ; implicit-def: $vgpr30
                                        ; implicit-def: $vgpr42
                                        ; implicit-def: $vgpr41
                                        ; implicit-def: $vgpr25
                                        ; implicit-def: $sgpr4
                                        ; implicit-def: $sgpr57
	s_and_b64 vcc, exec, s[2:3]
	v_lshlrev_b32_e32 v49, 2, v0
	s_cbranch_vccz .LBB1791_82
.LBB1791_77:
	v_mov_b32_e32 v1, s39
	v_add_co_u32_e32 v2, vcc, s38, v49
	v_addc_co_u32_e32 v3, vcc, 0, v1, vcc
	v_add_co_u32_e32 v4, vcc, 0x1000, v2
	v_addc_co_u32_e32 v5, vcc, 0, v3, vcc
	flat_load_dword v1, v[2:3]
	flat_load_dword v6, v[2:3] offset:1024
	flat_load_dword v7, v[2:3] offset:2048
	;; [unrolled: 1-line block ×3, first 2 shown]
	flat_load_dword v9, v[4:5]
	flat_load_dword v10, v[4:5] offset:1024
	flat_load_dword v11, v[4:5] offset:2048
	;; [unrolled: 1-line block ×3, first 2 shown]
	v_add_co_u32_e32 v4, vcc, 0x2000, v2
	v_addc_co_u32_e32 v5, vcc, 0, v3, vcc
	v_add_co_u32_e32 v2, vcc, 0x3000, v2
	v_addc_co_u32_e32 v3, vcc, 0, v3, vcc
	flat_load_dword v13, v[4:5]
	flat_load_dword v14, v[4:5] offset:1024
	flat_load_dword v15, v[4:5] offset:2048
	;; [unrolled: 1-line block ×3, first 2 shown]
	flat_load_dword v17, v[2:3]
	s_waitcnt vmcnt(0)
	flat_load_dword v18, v[2:3] offset:1024
	v_mov_b32_e32 v2, s38
	v_mov_b32_e32 v3, s39
	v_add_co_u32_e32 v2, vcc, 0x3000, v2
	v_addc_co_u32_e32 v3, vcc, 0, v3, vcc
	s_movk_i32 s2, 0xffcc
	s_movk_i32 s8, 0x1000
	;; [unrolled: 1-line block ×4, first 2 shown]
	s_waitcnt lgkmcnt(0)
	ds_write2st64_b32 v49, v1, v6 offset1:4
	ds_write2st64_b32 v49, v7, v8 offset0:8 offset1:12
	ds_write2st64_b32 v49, v9, v10 offset0:16 offset1:20
	ds_write2st64_b32 v49, v11, v12 offset0:24 offset1:28
	ds_write2st64_b32 v49, v13, v14 offset0:32 offset1:36
	ds_write2st64_b32 v49, v15, v16 offset0:40 offset1:44
	s_waitcnt vmcnt(0)
	ds_write2st64_b32 v49, v17, v18 offset0:48 offset1:52
	s_waitcnt lgkmcnt(0)
	s_barrier
	flat_load_dword v50, v[2:3] offset:2048
	v_mad_u32_u24 v1, v0, 52, v49
	ds_read2_b64 v[10:13], v1 offset1:1
	ds_read2_b64 v[6:9], v1 offset0:2 offset1:3
	ds_read2_b64 v[2:5], v1 offset0:4 offset1:5
	ds_read_b64 v[14:15], v1 offset:48
	v_mad_i32_i24 v16, v0, s2, v1
	s_movk_i32 s2, 0xff
	v_cmp_ne_u32_e32 vcc, s2, v0
	s_waitcnt lgkmcnt(0)
	ds_write_b32 v16, v10 offset:15360
	s_waitcnt lgkmcnt(0)
	s_barrier
	s_and_saveexec_b64 s[2:3], vcc
	s_cbranch_execz .LBB1791_79
; %bb.78:
	s_waitcnt vmcnt(0)
	ds_read_b32 v50, v49 offset:15364
.LBB1791_79:
	s_or_b64 exec, exec, s[2:3]
	v_mov_b32_e32 v17, s56
	v_add_co_u32_e32 v16, vcc, s47, v49
	v_addc_co_u32_e32 v17, vcc, 0, v17, vcc
	v_add_co_u32_e32 v18, vcc, s8, v16
	v_addc_co_u32_e32 v19, vcc, 0, v17, vcc
	s_waitcnt lgkmcnt(0)
	s_barrier
	flat_load_dword v20, v[16:17]
	flat_load_dword v21, v[16:17] offset:1024
	flat_load_dword v22, v[16:17] offset:2048
	;; [unrolled: 1-line block ×3, first 2 shown]
	flat_load_dword v24, v[18:19]
	flat_load_dword v25, v[18:19] offset:1024
	flat_load_dword v26, v[18:19] offset:2048
	;; [unrolled: 1-line block ×3, first 2 shown]
	v_add_co_u32_e32 v18, vcc, s5, v16
	v_addc_co_u32_e32 v19, vcc, 0, v17, vcc
	v_add_co_u32_e32 v16, vcc, s4, v16
	v_addc_co_u32_e32 v17, vcc, 0, v17, vcc
	flat_load_dword v28, v[18:19]
	flat_load_dword v29, v[18:19] offset:1024
	flat_load_dword v30, v[18:19] offset:2048
	;; [unrolled: 1-line block ×3, first 2 shown]
	flat_load_dword v32, v[16:17]
	flat_load_dword v33, v[16:17] offset:1024
	v_cmp_ne_u32_e32 vcc, v10, v11
	v_cmp_eq_u32_e64 s[2:3], v10, v11
	s_waitcnt vmcnt(0) lgkmcnt(0)
	v_cvt_f32_u32_e32 v16, v20
	v_cvt_f32_u32_e32 v17, v21
	;; [unrolled: 1-line block ×14, first 2 shown]
	ds_write2st64_b32 v49, v16, v17 offset1:4
	ds_write2st64_b32 v49, v18, v19 offset0:8 offset1:12
	ds_write2st64_b32 v49, v20, v21 offset0:16 offset1:20
	;; [unrolled: 1-line block ×6, first 2 shown]
	s_waitcnt lgkmcnt(0)
	s_barrier
	ds_read2_b32 v[26:27], v1 offset0:1 offset1:2
	ds_read2_b32 v[24:25], v1 offset0:3 offset1:4
	ds_read2_b32 v[22:23], v1 offset0:5 offset1:6
	ds_read2_b32 v[20:21], v1 offset0:7 offset1:8
	ds_read2_b32 v[18:19], v1 offset0:9 offset1:10
	ds_read2_b32 v[16:17], v1 offset0:11 offset1:12
	ds_read_b32 v51, v1 offset:52
	v_mov_b32_e32 v28, s7
	s_and_saveexec_b64 s[4:5], s[2:3]
	s_cbranch_execz .LBB1791_81
; %bb.80:
	ds_read_b32 v28, v1
.LBB1791_81:
	s_or_b64 exec, exec, s[4:5]
	v_cmp_ne_u32_e64 s[8:9], v6, v7
	v_cmp_ne_u32_e64 s[14:15], v9, v2
	;; [unrolled: 1-line block ×3, first 2 shown]
	v_mov_b32_e32 v2, s7
	v_cndmask_b32_e64 v1, 0, 1, vcc
	v_cmp_ne_u32_e32 vcc, v11, v12
	v_cmp_ne_u32_e64 s[2:3], v12, v13
	v_cmp_ne_u32_e64 s[4:5], v13, v6
	v_cndmask_b32_e64 v41, 0, 1, s[8:9]
	v_cmp_ne_u32_e64 s[10:11], v7, v8
	v_cmp_ne_u32_e64 s[12:13], v8, v9
	;; [unrolled: 1-line block ×6, first 2 shown]
	s_waitcnt lgkmcnt(5)
	v_cndmask_b32_e64 v25, v25, v2, s[8:9]
	v_cmp_ne_u32_e64 s[8:9], v15, v50
	v_cndmask_b32_e64 v32, 0, 1, vcc
	v_cndmask_b32_e64 v35, 0, 1, s[2:3]
	v_cndmask_b32_e64 v40, 0, 1, s[4:5]
	;; [unrolled: 1-line block ×10, first 2 shown]
	v_cndmask_b32_e32 v26, v26, v2, vcc
	v_cndmask_b32_e64 v27, v27, v2, s[2:3]
	v_cndmask_b32_e64 v29, v24, v2, s[4:5]
	s_waitcnt lgkmcnt(4)
	v_cndmask_b32_e64 v30, v22, v2, s[10:11]
	v_cndmask_b32_e64 v31, v23, v2, s[12:13]
	s_waitcnt lgkmcnt(3)
	;; [unrolled: 3-line block ×5, first 2 shown]
	v_cndmask_b32_e64 v16, v51, v2, s[8:9]
	s_mov_b64 s[10:11], -1
                                        ; implicit-def: $sgpr4
                                        ; implicit-def: $sgpr57
.LBB1791_82:
	v_mov_b32_e32 v14, s57
	v_mov_b32_e32 v15, s4
	s_and_saveexec_b64 s[2:3], s[10:11]
; %bb.83:
	v_cndmask_b32_e64 v14, 0, 1, s[8:9]
	v_mov_b32_e32 v15, v16
; %bb.84:
	s_or_b64 exec, exec, s[2:3]
	v_or_b32_e32 v2, v14, v39
	s_cmp_lg_u32 s6, 0
	v_add_f32_e32 v52, v26, v28
	v_or_b32_e32 v51, v2, v48
	v_mbcnt_lo_u32_b32 v50, -1, 0
	s_barrier
	s_cbranch_scc0 .LBB1791_159
; %bb.85:
	v_mov_b32_e32 v2, 0
	v_cmp_eq_u16_sdwa s[2:3], v32, v2 src0_sel:BYTE_0 src1_sel:DWORD
	v_cndmask_b32_e64 v3, v26, v52, s[2:3]
	v_add_f32_e32 v3, v27, v3
	v_cmp_eq_u16_sdwa s[4:5], v35, v2 src0_sel:BYTE_0 src1_sel:DWORD
	v_cndmask_b32_e64 v3, v27, v3, s[4:5]
	v_add_f32_e32 v3, v29, v3
	;; [unrolled: 3-line block ×7, first 2 shown]
	v_cmp_eq_u16_sdwa s[16:17], v45, v2 src0_sel:BYTE_0 src1_sel:DWORD
	v_cmp_eq_u16_sdwa s[18:19], v46, v2 src0_sel:BYTE_0 src1_sel:DWORD
	;; [unrolled: 1-line block ×5, first 2 shown]
	v_cmp_eq_u16_sdwa vcc, v14, v2 src0_sel:BYTE_0 src1_sel:DWORD
	v_or_b32_e32 v2, v51, v47
	v_cndmask_b32_e64 v3, v34, v3, s[16:17]
	v_or_b32_e32 v2, v2, v46
	v_add_f32_e32 v3, v36, v3
	v_or_b32_e32 v2, v2, v45
	v_cndmask_b32_e64 v3, v36, v3, s[18:19]
	v_or_b32_e32 v2, v2, v44
	v_add_f32_e32 v3, v37, v3
	v_or_b32_e32 v2, v2, v43
	v_cndmask_b32_e64 v3, v37, v3, s[20:21]
	v_or_b32_e32 v2, v2, v42
	v_add_f32_e32 v3, v38, v3
	v_or_b32_e32 v2, v2, v41
	v_cndmask_b32_e64 v3, v38, v3, s[22:23]
	v_or_b32_e32 v2, v2, v40
	v_add_f32_e32 v3, v24, v3
	v_or_b32_e32 v2, v2, v35
	v_cndmask_b32_e64 v3, v24, v3, s[24:25]
	v_or_b32_e32 v2, v2, v32
	v_add_f32_e32 v3, v15, v3
	v_and_b32_e32 v2, 1, v2
	v_and_b32_e32 v5, 0xff, v1
	v_cndmask_b32_e32 v4, v15, v3, vcc
	v_cmp_eq_u32_e32 vcc, 1, v2
	v_mbcnt_hi_u32_b32 v11, -1, v50
	v_cndmask_b32_e64 v5, v5, 1, vcc
	v_and_b32_e32 v2, 15, v11
	v_mov_b32_dpp v6, v4 row_shr:1 row_mask:0xf bank_mask:0xf
	v_mov_b32_dpp v3, v5 row_shr:1 row_mask:0xf bank_mask:0xf
	v_cmp_ne_u32_e32 vcc, 0, v2
	s_and_saveexec_b64 s[26:27], vcc
; %bb.86:
	v_add_f32_e32 v6, v4, v6
	v_cmp_eq_u32_e32 vcc, 0, v5
	v_and_b32_e32 v5, 1, v5
	v_cndmask_b32_e32 v4, v4, v6, vcc
	v_and_b32_e32 v3, 1, v3
	v_cmp_eq_u32_e32 vcc, 1, v5
	v_cndmask_b32_e64 v5, v3, 1, vcc
; %bb.87:
	s_or_b64 exec, exec, s[26:27]
	v_mov_b32_dpp v6, v4 row_shr:2 row_mask:0xf bank_mask:0xf
	v_mov_b32_dpp v3, v5 row_shr:2 row_mask:0xf bank_mask:0xf
	v_cmp_lt_u32_e32 vcc, 1, v2
	s_and_saveexec_b64 s[26:27], vcc
; %bb.88:
	v_add_f32_e32 v6, v4, v6
	v_cmp_eq_u32_e32 vcc, 0, v5
	v_and_b32_e32 v5, 1, v5
	v_cndmask_b32_e32 v4, v4, v6, vcc
	v_and_b32_e32 v3, 1, v3
	v_cmp_eq_u32_e32 vcc, 1, v5
	v_cndmask_b32_e64 v5, v3, 1, vcc
; %bb.89:
	s_or_b64 exec, exec, s[26:27]
	v_mov_b32_dpp v6, v4 row_shr:4 row_mask:0xf bank_mask:0xf
	v_mov_b32_dpp v3, v5 row_shr:4 row_mask:0xf bank_mask:0xf
	v_cmp_lt_u32_e32 vcc, 3, v2
	s_and_saveexec_b64 s[26:27], vcc
; %bb.90:
	v_add_f32_e32 v6, v4, v6
	v_cmp_eq_u32_e32 vcc, 0, v5
	v_and_b32_e32 v5, 1, v5
	v_cndmask_b32_e32 v4, v4, v6, vcc
	v_and_b32_e32 v3, 1, v3
	v_cmp_eq_u32_e32 vcc, 1, v5
	v_cndmask_b32_e64 v5, v3, 1, vcc
; %bb.91:
	s_or_b64 exec, exec, s[26:27]
	v_mov_b32_dpp v6, v4 row_shr:8 row_mask:0xf bank_mask:0xf
	v_mov_b32_dpp v3, v5 row_shr:8 row_mask:0xf bank_mask:0xf
	v_cmp_lt_u32_e32 vcc, 7, v2
	s_and_saveexec_b64 s[26:27], vcc
; %bb.92:
	v_add_f32_e32 v2, v4, v6
	v_cmp_eq_u32_e32 vcc, 0, v5
	v_cndmask_b32_e32 v4, v4, v2, vcc
	v_and_b32_e32 v2, 1, v5
	v_and_b32_e32 v3, 1, v3
	v_cmp_eq_u32_e32 vcc, 1, v2
	v_cndmask_b32_e64 v5, v3, 1, vcc
; %bb.93:
	s_or_b64 exec, exec, s[26:27]
	v_and_b32_e32 v6, 16, v11
	v_mov_b32_dpp v3, v4 row_bcast:15 row_mask:0xf bank_mask:0xf
	v_mov_b32_dpp v2, v5 row_bcast:15 row_mask:0xf bank_mask:0xf
	v_cmp_ne_u32_e32 vcc, 0, v6
	s_and_saveexec_b64 s[26:27], vcc
; %bb.94:
	v_add_f32_e32 v3, v4, v3
	v_cmp_eq_u32_e32 vcc, 0, v5
	v_cndmask_b32_e32 v4, v4, v3, vcc
	v_and_b32_e32 v3, 1, v5
	v_and_b32_e32 v2, 1, v2
	v_cmp_eq_u32_e32 vcc, 1, v3
	v_cndmask_b32_e64 v5, v2, 1, vcc
; %bb.95:
	s_or_b64 exec, exec, s[26:27]
	v_mov_b32_dpp v3, v4 row_bcast:31 row_mask:0xf bank_mask:0xf
	v_mov_b32_dpp v2, v5 row_bcast:31 row_mask:0xf bank_mask:0xf
	v_cmp_lt_u32_e32 vcc, 31, v11
	s_and_saveexec_b64 s[26:27], vcc
; %bb.96:
	v_add_f32_e32 v3, v4, v3
	v_cmp_eq_u32_e32 vcc, 0, v5
	v_cndmask_b32_e32 v4, v4, v3, vcc
	v_and_b32_e32 v3, 1, v5
	v_and_b32_e32 v2, 1, v2
	v_cmp_eq_u32_e32 vcc, 1, v3
	v_cndmask_b32_e64 v5, v2, 1, vcc
; %bb.97:
	s_or_b64 exec, exec, s[26:27]
	v_or_b32_e32 v2, 63, v0
	v_lshrrev_b32_e32 v6, 6, v0
	v_cmp_eq_u32_e32 vcc, v2, v0
	s_and_saveexec_b64 s[26:27], vcc
	s_cbranch_execz .LBB1791_99
; %bb.98:
	v_lshlrev_b32_e32 v2, 3, v6
	ds_write_b32 v2, v4
	ds_write_b8 v2, v5 offset:4
.LBB1791_99:
	s_or_b64 exec, exec, s[26:27]
	v_cmp_gt_u32_e32 vcc, 4, v0
	s_waitcnt lgkmcnt(0)
	s_barrier
	s_and_saveexec_b64 s[26:27], vcc
	s_cbranch_execz .LBB1791_103
; %bb.100:
	v_lshlrev_b32_e32 v7, 3, v0
	ds_read_b64 v[2:3], v7
	v_and_b32_e32 v8, 3, v11
	v_cmp_ne_u32_e32 vcc, 0, v8
	s_waitcnt lgkmcnt(0)
	v_mov_b32_dpp v12, v2 row_shr:1 row_mask:0xf bank_mask:0xf
	v_mov_b32_dpp v10, v3 row_shr:1 row_mask:0xf bank_mask:0xf
	v_mov_b32_e32 v9, v3
	s_and_saveexec_b64 s[30:31], vcc
; %bb.101:
	v_mov_b32_e32 v9, 0
	v_add_f32_e32 v12, v2, v12
	v_cmp_eq_u16_sdwa vcc, v3, v9 src0_sel:BYTE_0 src1_sel:DWORD
	v_and_b32_e32 v9, 1, v3
	v_cndmask_b32_e32 v2, v2, v12, vcc
	v_and_b32_e32 v10, 1, v10
	v_cmp_eq_u32_e32 vcc, 1, v9
	v_cndmask_b32_e64 v9, v10, 1, vcc
	s_movk_i32 s38, 0xff00
	v_and_or_b32 v3, v3, s38, v9
; %bb.102:
	s_or_b64 exec, exec, s[30:31]
	v_mov_b32_e32 v13, 0
	v_mov_b32_dpp v12, v3 row_shr:2 row_mask:0xf bank_mask:0xf
	v_cmp_eq_u16_sdwa s[30:31], v9, v13 src0_sel:BYTE_0 src1_sel:DWORD
	v_and_b32_e32 v9, 1, v9
	v_and_b32_e32 v12, 1, v12
	v_cmp_eq_u32_e32 vcc, 1, v9
	v_mov_b32_dpp v10, v2 row_shr:2 row_mask:0xf bank_mask:0xf
	v_cndmask_b32_e64 v9, v12, 1, vcc
	v_cmp_lt_u32_e32 vcc, 1, v8
	v_add_f32_e32 v10, v2, v10
	v_cndmask_b32_e32 v3, v3, v9, vcc
	s_and_b64 vcc, vcc, s[30:31]
	v_cndmask_b32_e32 v2, v2, v10, vcc
	ds_write_b32 v7, v2
	ds_write_b8 v7, v3 offset:4
.LBB1791_103:
	s_or_b64 exec, exec, s[26:27]
	v_cmp_gt_u32_e32 vcc, 64, v0
	v_cmp_lt_u32_e64 s[26:27], 63, v0
	v_mov_b32_e32 v16, 0
	v_mov_b32_e32 v17, 0
	s_waitcnt lgkmcnt(0)
	s_barrier
	s_and_saveexec_b64 s[30:31], s[26:27]
	s_cbranch_execz .LBB1791_105
; %bb.104:
	v_lshl_add_u32 v2, v6, 3, -8
	ds_read_b32 v16, v2
	ds_read_u8 v17, v2 offset:4
	v_and_b32_e32 v2, 1, v5
	v_cmp_eq_u32_e64 s[26:27], 0, v5
	s_waitcnt lgkmcnt(0)
	v_add_f32_e32 v3, v4, v16
	v_and_b32_e32 v6, 1, v17
	v_cndmask_b32_e64 v4, v4, v3, s[26:27]
	v_cmp_eq_u32_e64 s[26:27], 1, v2
	v_cndmask_b32_e64 v5, v6, 1, s[26:27]
.LBB1791_105:
	s_or_b64 exec, exec, s[30:31]
	v_add_u32_e32 v2, -1, v11
	v_and_b32_e32 v3, 64, v11
	v_cmp_lt_i32_e64 s[26:27], v2, v3
	v_cndmask_b32_e64 v2, v2, v11, s[26:27]
	v_lshlrev_b32_e32 v2, 2, v2
	s_waitcnt vmcnt(0)
	ds_bpermute_b32 v18, v2, v4
	ds_bpermute_b32 v19, v2, v5
	v_cmp_eq_u32_e64 s[26:27], 0, v11
	s_and_saveexec_b64 s[30:31], vcc
	s_cbranch_execz .LBB1791_146
; %bb.106:
	v_mov_b32_e32 v5, 0
	ds_read_b64 v[2:3], v5 offset:24
	s_waitcnt lgkmcnt(0)
	v_readfirstlane_b32 s47, v3
	s_and_saveexec_b64 s[38:39], s[26:27]
	s_cbranch_execz .LBB1791_108
; %bb.107:
	s_add_i32 s40, s6, 64
	s_mov_b32 s41, 0
	s_lshl_b64 s[48:49], s[40:41], 4
	s_add_u32 s48, s44, s48
	s_addc_u32 s49, s45, s49
	s_and_b32 s55, s47, 0xff000000
	s_mov_b32 s54, s41
	s_and_b32 s57, s47, 0xff0000
	s_mov_b32 s56, s41
	s_or_b64 s[54:55], s[56:57], s[54:55]
	s_and_b32 s57, s47, 0xff00
	s_or_b64 s[54:55], s[54:55], s[56:57]
	s_and_b32 s57, s47, 0xff
	s_or_b64 s[40:41], s[54:55], s[56:57]
	v_mov_b32_e32 v3, s41
	v_mov_b32_e32 v4, 1
	v_pk_mov_b32 v[6:7], s[48:49], s[48:49] op_sel:[0,1]
	;;#ASMSTART
	global_store_dwordx4 v[6:7], v[2:5] off	
s_waitcnt vmcnt(0)
	;;#ASMEND
.LBB1791_108:
	s_or_b64 exec, exec, s[38:39]
	v_xad_u32 v10, v11, -1, s6
	v_add_u32_e32 v4, 64, v10
	v_lshlrev_b64 v[6:7], 4, v[4:5]
	v_mov_b32_e32 v3, s45
	v_add_co_u32_e32 v12, vcc, s44, v6
	v_addc_co_u32_e32 v13, vcc, v3, v7, vcc
	;;#ASMSTART
	global_load_dwordx4 v[6:9], v[12:13] off glc	
s_waitcnt vmcnt(0)
	;;#ASMEND
	v_cmp_eq_u16_sdwa s[40:41], v8, v5 src0_sel:BYTE_0 src1_sel:DWORD
	s_and_saveexec_b64 s[38:39], s[40:41]
	s_cbranch_execz .LBB1791_112
; %bb.109:
	s_mov_b64 s[40:41], 0
	v_mov_b32_e32 v3, 0
.LBB1791_110:                           ; =>This Inner Loop Header: Depth=1
	;;#ASMSTART
	global_load_dwordx4 v[6:9], v[12:13] off glc	
s_waitcnt vmcnt(0)
	;;#ASMEND
	v_cmp_ne_u16_sdwa s[48:49], v8, v3 src0_sel:BYTE_0 src1_sel:DWORD
	s_or_b64 s[40:41], s[48:49], s[40:41]
	s_andn2_b64 exec, exec, s[40:41]
	s_cbranch_execnz .LBB1791_110
; %bb.111:
	s_or_b64 exec, exec, s[40:41]
.LBB1791_112:
	s_or_b64 exec, exec, s[38:39]
	v_mov_b32_e32 v3, 2
	v_cmp_eq_u16_sdwa s[38:39], v8, v3 src0_sel:BYTE_0 src1_sel:DWORD
	v_lshlrev_b64 v[4:5], v11, -1
	v_and_b32_e32 v3, s39, v5
	v_or_b32_e32 v3, 0x80000000, v3
	v_ffbl_b32_e32 v22, v3
	v_and_b32_e32 v3, 63, v11
	v_cmp_ne_u32_e32 vcc, 63, v3
	v_addc_co_u32_e32 v13, vcc, 0, v11, vcc
	v_and_b32_e32 v12, 0xff, v7
	v_lshlrev_b32_e32 v20, 2, v13
	ds_bpermute_b32 v21, v20, v6
	ds_bpermute_b32 v13, v20, v12
	v_and_b32_e32 v9, s38, v4
	v_add_u32_e32 v22, 32, v22
	v_ffbl_b32_e32 v9, v9
	v_min_u32_e32 v9, v9, v22
	v_cmp_lt_u32_e32 vcc, v3, v9
	s_and_saveexec_b64 s[38:39], vcc
	s_cbranch_execz .LBB1791_114
; %bb.113:
	v_mov_b32_e32 v12, 0
	s_waitcnt lgkmcnt(1)
	v_add_f32_e32 v21, v6, v21
	v_cmp_eq_u16_sdwa vcc, v7, v12 src0_sel:BYTE_0 src1_sel:DWORD
	v_and_b32_e32 v7, 1, v7
	v_cndmask_b32_e32 v6, v6, v21, vcc
	s_waitcnt lgkmcnt(0)
	v_and_b32_e32 v12, 1, v13
	v_cmp_eq_u32_e32 vcc, 1, v7
	v_cndmask_b32_e64 v7, v12, 1, vcc
	v_and_b32_e32 v12, 0xffff, v7
.LBB1791_114:
	s_or_b64 exec, exec, s[38:39]
	v_cmp_gt_u32_e32 vcc, 62, v3
	s_waitcnt lgkmcnt(0)
	v_cndmask_b32_e64 v13, 0, 1, vcc
	v_lshlrev_b32_e32 v13, 1, v13
	v_add_lshl_u32 v21, v13, v11, 2
	ds_bpermute_b32 v23, v21, v6
	ds_bpermute_b32 v13, v21, v12
	v_add_u32_e32 v22, 2, v3
	v_cmp_le_u32_e32 vcc, v22, v9
	s_and_saveexec_b64 s[38:39], vcc
	s_cbranch_execz .LBB1791_116
; %bb.115:
	v_mov_b32_e32 v12, 0
	s_waitcnt lgkmcnt(1)
	v_add_f32_e32 v23, v6, v23
	v_cmp_eq_u16_sdwa vcc, v7, v12 src0_sel:BYTE_0 src1_sel:DWORD
	v_and_b32_e32 v7, 1, v7
	v_cndmask_b32_e32 v6, v6, v23, vcc
	s_waitcnt lgkmcnt(0)
	v_and_b32_e32 v12, 1, v13
	v_cmp_eq_u32_e32 vcc, 1, v7
	v_cndmask_b32_e64 v7, v12, 1, vcc
	v_and_b32_e32 v12, 0xffff, v7
.LBB1791_116:
	s_or_b64 exec, exec, s[38:39]
	v_cmp_gt_u32_e32 vcc, 60, v3
	s_waitcnt lgkmcnt(0)
	v_cndmask_b32_e64 v13, 0, 1, vcc
	v_lshlrev_b32_e32 v13, 2, v13
	v_add_lshl_u32 v23, v13, v11, 2
	ds_bpermute_b32 v54, v23, v6
	ds_bpermute_b32 v13, v23, v12
	v_add_u32_e32 v53, 4, v3
	v_cmp_le_u32_e32 vcc, v53, v9
	;; [unrolled: 25-line block ×5, first 2 shown]
	s_and_saveexec_b64 s[38:39], vcc
	s_cbranch_execz .LBB1791_124
; %bb.123:
	v_mov_b32_e32 v9, 0
	s_waitcnt lgkmcnt(1)
	v_add_f32_e32 v12, v6, v13
	v_cmp_eq_u16_sdwa vcc, v7, v9 src0_sel:BYTE_0 src1_sel:DWORD
	v_and_b32_e32 v7, 1, v7
	v_cndmask_b32_e32 v6, v6, v12, vcc
	s_waitcnt lgkmcnt(0)
	v_and_b32_e32 v9, 1, v11
	v_cmp_eq_u32_e32 vcc, 1, v7
	v_cndmask_b32_e64 v7, v9, 1, vcc
.LBB1791_124:
	s_or_b64 exec, exec, s[38:39]
	s_waitcnt lgkmcnt(0)
	v_mov_b32_e32 v11, 0
	v_mov_b32_e32 v62, 2
	s_branch .LBB1791_126
.LBB1791_125:                           ;   in Loop: Header=BB1791_126 Depth=1
	s_or_b64 exec, exec, s[38:39]
	s_waitcnt lgkmcnt(0)
	ds_bpermute_b32 v13, v59, v6
	ds_bpermute_b32 v12, v59, v12
	v_and_b32_e32 v63, 1, v7
	v_cmp_eq_u16_sdwa vcc, v7, v11 src0_sel:BYTE_0 src1_sel:DWORD
	v_subrev_u32_e32 v10, 64, v10
	s_waitcnt lgkmcnt(1)
	v_add_f32_e32 v13, v6, v13
	v_cndmask_b32_e32 v13, v6, v13, vcc
	v_cmp_eq_u32_e32 vcc, 1, v63
	s_waitcnt lgkmcnt(0)
	v_cndmask_b32_e64 v12, v12, 1, vcc
	v_cmp_gt_u32_e32 vcc, v61, v9
	v_cndmask_b32_e32 v6, v13, v6, vcc
	v_cndmask_b32_e32 v7, v12, v7, vcc
	v_add_f32_e32 v6, v60, v6
	v_cmp_eq_u16_sdwa vcc, v58, v11 src0_sel:BYTE_0 src1_sel:DWORD
	v_and_b32_e32 v9, 1, v58
	v_cndmask_b32_e32 v6, v60, v6, vcc
	v_and_b32_e32 v7, 1, v7
	v_cmp_eq_u32_e32 vcc, 1, v9
	v_cndmask_b32_e64 v7, v7, 1, vcc
.LBB1791_126:                           ; =>This Loop Header: Depth=1
                                        ;     Child Loop BB1791_129 Depth 2
	v_cmp_ne_u16_sdwa s[38:39], v8, v62 src0_sel:BYTE_0 src1_sel:DWORD
	v_mov_b32_e32 v58, v7
	v_cndmask_b32_e64 v7, 0, 1, s[38:39]
	;;#ASMSTART
	;;#ASMEND
	v_cmp_ne_u32_e32 vcc, 0, v7
	s_cmp_lg_u64 vcc, exec
	v_mov_b32_e32 v60, v6
	s_cbranch_scc1 .LBB1791_141
; %bb.127:                              ;   in Loop: Header=BB1791_126 Depth=1
	v_lshlrev_b64 v[6:7], 4, v[10:11]
	v_mov_b32_e32 v8, s45
	v_add_co_u32_e32 v12, vcc, s44, v6
	v_addc_co_u32_e32 v13, vcc, v8, v7, vcc
	;;#ASMSTART
	global_load_dwordx4 v[6:9], v[12:13] off glc	
s_waitcnt vmcnt(0)
	;;#ASMEND
	v_cmp_eq_u16_sdwa s[40:41], v8, v11 src0_sel:BYTE_0 src1_sel:DWORD
	s_and_saveexec_b64 s[38:39], s[40:41]
	s_cbranch_execz .LBB1791_131
; %bb.128:                              ;   in Loop: Header=BB1791_126 Depth=1
	s_mov_b64 s[40:41], 0
.LBB1791_129:                           ;   Parent Loop BB1791_126 Depth=1
                                        ; =>  This Inner Loop Header: Depth=2
	;;#ASMSTART
	global_load_dwordx4 v[6:9], v[12:13] off glc	
s_waitcnt vmcnt(0)
	;;#ASMEND
	v_cmp_ne_u16_sdwa s[48:49], v8, v11 src0_sel:BYTE_0 src1_sel:DWORD
	s_or_b64 s[40:41], s[48:49], s[40:41]
	s_andn2_b64 exec, exec, s[40:41]
	s_cbranch_execnz .LBB1791_129
; %bb.130:                              ;   in Loop: Header=BB1791_126 Depth=1
	s_or_b64 exec, exec, s[40:41]
.LBB1791_131:                           ;   in Loop: Header=BB1791_126 Depth=1
	s_or_b64 exec, exec, s[38:39]
	v_cmp_eq_u16_sdwa s[38:39], v8, v62 src0_sel:BYTE_0 src1_sel:DWORD
	v_and_b32_e32 v9, s39, v5
	v_and_b32_e32 v12, 0xff, v7
	v_or_b32_e32 v9, 0x80000000, v9
	ds_bpermute_b32 v63, v20, v6
	ds_bpermute_b32 v13, v20, v12
	v_and_b32_e32 v64, s38, v4
	v_ffbl_b32_e32 v9, v9
	v_add_u32_e32 v9, 32, v9
	v_ffbl_b32_e32 v64, v64
	v_min_u32_e32 v9, v64, v9
	v_cmp_lt_u32_e32 vcc, v3, v9
	s_and_saveexec_b64 s[38:39], vcc
	s_cbranch_execz .LBB1791_133
; %bb.132:                              ;   in Loop: Header=BB1791_126 Depth=1
	s_waitcnt lgkmcnt(1)
	v_add_f32_e32 v12, v6, v63
	v_cmp_eq_u16_sdwa vcc, v7, v11 src0_sel:BYTE_0 src1_sel:DWORD
	v_and_b32_e32 v7, 1, v7
	v_cndmask_b32_e32 v6, v6, v12, vcc
	s_waitcnt lgkmcnt(0)
	v_and_b32_e32 v12, 1, v13
	v_cmp_eq_u32_e32 vcc, 1, v7
	v_cndmask_b32_e64 v7, v12, 1, vcc
	v_and_b32_e32 v12, 0xffff, v7
.LBB1791_133:                           ;   in Loop: Header=BB1791_126 Depth=1
	s_or_b64 exec, exec, s[38:39]
	s_waitcnt lgkmcnt(1)
	ds_bpermute_b32 v63, v21, v6
	s_waitcnt lgkmcnt(1)
	ds_bpermute_b32 v13, v21, v12
	v_cmp_le_u32_e32 vcc, v22, v9
	s_and_saveexec_b64 s[38:39], vcc
	s_cbranch_execz .LBB1791_135
; %bb.134:                              ;   in Loop: Header=BB1791_126 Depth=1
	s_waitcnt lgkmcnt(1)
	v_add_f32_e32 v12, v6, v63
	v_cmp_eq_u16_sdwa vcc, v7, v11 src0_sel:BYTE_0 src1_sel:DWORD
	v_and_b32_e32 v7, 1, v7
	v_cndmask_b32_e32 v6, v6, v12, vcc
	s_waitcnt lgkmcnt(0)
	v_and_b32_e32 v12, 1, v13
	v_cmp_eq_u32_e32 vcc, 1, v7
	v_cndmask_b32_e64 v7, v12, 1, vcc
	v_and_b32_e32 v12, 0xffff, v7
.LBB1791_135:                           ;   in Loop: Header=BB1791_126 Depth=1
	s_or_b64 exec, exec, s[38:39]
	s_waitcnt lgkmcnt(1)
	ds_bpermute_b32 v63, v23, v6
	s_waitcnt lgkmcnt(1)
	ds_bpermute_b32 v13, v23, v12
	v_cmp_le_u32_e32 vcc, v53, v9
	s_and_saveexec_b64 s[38:39], vcc
	s_cbranch_execz .LBB1791_137
; %bb.136:                              ;   in Loop: Header=BB1791_126 Depth=1
	s_waitcnt lgkmcnt(1)
	v_add_f32_e32 v12, v6, v63
	v_cmp_eq_u16_sdwa vcc, v7, v11 src0_sel:BYTE_0 src1_sel:DWORD
	v_and_b32_e32 v7, 1, v7
	v_cndmask_b32_e32 v6, v6, v12, vcc
	s_waitcnt lgkmcnt(0)
	v_and_b32_e32 v12, 1, v13
	v_cmp_eq_u32_e32 vcc, 1, v7
	v_cndmask_b32_e64 v7, v12, 1, vcc
	v_and_b32_e32 v12, 0xffff, v7
.LBB1791_137:                           ;   in Loop: Header=BB1791_126 Depth=1
	s_or_b64 exec, exec, s[38:39]
	s_waitcnt lgkmcnt(1)
	ds_bpermute_b32 v63, v54, v6
	s_waitcnt lgkmcnt(1)
	ds_bpermute_b32 v13, v54, v12
	v_cmp_le_u32_e32 vcc, v55, v9
	s_and_saveexec_b64 s[38:39], vcc
	s_cbranch_execz .LBB1791_139
; %bb.138:                              ;   in Loop: Header=BB1791_126 Depth=1
	s_waitcnt lgkmcnt(1)
	v_add_f32_e32 v12, v6, v63
	v_cmp_eq_u16_sdwa vcc, v7, v11 src0_sel:BYTE_0 src1_sel:DWORD
	v_and_b32_e32 v7, 1, v7
	v_cndmask_b32_e32 v6, v6, v12, vcc
	s_waitcnt lgkmcnt(0)
	v_and_b32_e32 v12, 1, v13
	v_cmp_eq_u32_e32 vcc, 1, v7
	v_cndmask_b32_e64 v7, v12, 1, vcc
	v_and_b32_e32 v12, 0xffff, v7
.LBB1791_139:                           ;   in Loop: Header=BB1791_126 Depth=1
	s_or_b64 exec, exec, s[38:39]
	s_waitcnt lgkmcnt(1)
	ds_bpermute_b32 v63, v56, v6
	s_waitcnt lgkmcnt(1)
	ds_bpermute_b32 v13, v56, v12
	v_cmp_le_u32_e32 vcc, v57, v9
	s_and_saveexec_b64 s[38:39], vcc
	s_cbranch_execz .LBB1791_125
; %bb.140:                              ;   in Loop: Header=BB1791_126 Depth=1
	s_waitcnt lgkmcnt(1)
	v_add_f32_e32 v12, v6, v63
	v_cmp_eq_u16_sdwa vcc, v7, v11 src0_sel:BYTE_0 src1_sel:DWORD
	v_and_b32_e32 v7, 1, v7
	v_cndmask_b32_e32 v6, v6, v12, vcc
	s_waitcnt lgkmcnt(0)
	v_and_b32_e32 v12, 1, v13
	v_cmp_eq_u32_e32 vcc, 1, v7
	v_cndmask_b32_e64 v7, v12, 1, vcc
	v_and_b32_e32 v12, 0xffff, v7
	s_branch .LBB1791_125
.LBB1791_141:                           ;   in Loop: Header=BB1791_126 Depth=1
                                        ; implicit-def: $vgpr7
	s_cbranch_execz .LBB1791_126
; %bb.142:
	s_and_saveexec_b64 s[38:39], s[26:27]
	s_cbranch_execz .LBB1791_144
; %bb.143:
	s_and_b32 s40, s47, 0xff
	s_cmp_eq_u32 s40, 0
	s_cselect_b64 vcc, -1, 0
	s_bitcmp1_b32 s47, 0
	s_mov_b32 s41, 0
	s_cselect_b64 s[48:49], -1, 0
	s_add_i32 s40, s6, 64
	s_lshl_b64 s[40:41], s[40:41], 4
	v_add_f32_e32 v3, v60, v2
	s_add_u32 s40, s44, s40
	v_cndmask_b32_e32 v2, v2, v3, vcc
	v_and_b32_e32 v3, 1, v58
	s_addc_u32 s41, s45, s41
	v_cndmask_b32_e64 v3, v3, 1, s[48:49]
	v_mov_b32_e32 v4, 2
	v_mov_b32_e32 v5, 0
	v_pk_mov_b32 v[6:7], s[40:41], s[40:41] op_sel:[0,1]
	;;#ASMSTART
	global_store_dwordx4 v[6:7], v[2:5] off	
s_waitcnt vmcnt(0)
	;;#ASMEND
.LBB1791_144:
	s_or_b64 exec, exec, s[38:39]
	v_cmp_eq_u32_e32 vcc, 0, v0
	s_and_b64 exec, exec, vcc
	s_cbranch_execz .LBB1791_146
; %bb.145:
	v_mov_b32_e32 v2, 0
	ds_write_b32 v2, v60 offset:24
	ds_write_b8 v2, v58 offset:28
.LBB1791_146:
	s_or_b64 exec, exec, s[30:31]
	v_mov_b32_e32 v3, 0
	s_waitcnt lgkmcnt(0)
	s_barrier
	ds_read_b32 v2, v3 offset:24
	v_cndmask_b32_e64 v4, v19, v17, s[26:27]
	v_cndmask_b32_e64 v5, v18, v16, s[26:27]
	v_cmp_eq_u32_sdwa vcc, v4, v3 src0_sel:BYTE_0 src1_sel:DWORD
	s_waitcnt lgkmcnt(0)
	v_add_f32_e32 v6, v5, v2
	v_cndmask_b32_e32 v4, v5, v6, vcc
	v_cmp_eq_u32_e32 vcc, 0, v0
	v_cndmask_b32_e32 v2, v4, v2, vcc
	v_add_f32_e32 v4, v28, v2
	v_cmp_eq_u16_sdwa vcc, v1, v3 src0_sel:BYTE_0 src1_sel:DWORD
	v_cndmask_b32_e32 v3, v28, v4, vcc
	v_add_f32_e32 v4, v26, v3
	v_cndmask_b32_e64 v16, v26, v4, s[2:3]
	v_add_f32_e32 v4, v27, v16
	v_cndmask_b32_e64 v17, v27, v4, s[4:5]
	;; [unrolled: 2-line block ×12, first 2 shown]
	s_branch .LBB1791_185
.LBB1791_147:
	s_or_b64 exec, exec, s[30:31]
                                        ; implicit-def: $vgpr29
	s_and_saveexec_b64 s[30:31], s[2:3]
	s_cbranch_execz .LBB1791_33
.LBB1791_148:
	v_mov_b32_e32 v29, s56
	v_add_co_u32_e32 v30, vcc, s47, v27
	v_addc_co_u32_e32 v31, vcc, 0, v29, vcc
	flat_load_dword v29, v[30:31] offset:1024
	s_waitcnt vmcnt(0) lgkmcnt(0)
	v_cvt_f32_u32_e32 v29, v29
	s_or_b64 exec, exec, s[30:31]
                                        ; implicit-def: $vgpr30
	s_and_saveexec_b64 s[2:3], s[4:5]
	s_cbranch_execnz .LBB1791_34
.LBB1791_149:
	s_or_b64 exec, exec, s[2:3]
                                        ; implicit-def: $vgpr31
	s_and_saveexec_b64 s[2:3], s[28:29]
	s_cbranch_execz .LBB1791_35
.LBB1791_150:
	v_mov_b32_e32 v31, s56
	v_add_co_u32_e32 v32, vcc, s47, v27
	v_addc_co_u32_e32 v33, vcc, 0, v31, vcc
	flat_load_dword v31, v[32:33] offset:3072
	s_waitcnt vmcnt(0) lgkmcnt(0)
	v_cvt_f32_u32_e32 v31, v31
	s_or_b64 exec, exec, s[2:3]
                                        ; implicit-def: $vgpr32
	s_and_saveexec_b64 s[2:3], s[8:9]
	s_cbranch_execnz .LBB1791_36
.LBB1791_151:
	s_or_b64 exec, exec, s[2:3]
                                        ; implicit-def: $vgpr1
	s_and_saveexec_b64 s[2:3], s[10:11]
	s_cbranch_execz .LBB1791_37
.LBB1791_152:
	v_mov_b32_e32 v1, s56
	v_add_co_u32_e32 v34, vcc, s47, v16
	v_addc_co_u32_e32 v35, vcc, 0, v1, vcc
	flat_load_dword v1, v[34:35]
	s_waitcnt vmcnt(0) lgkmcnt(0)
	v_cvt_f32_u32_e32 v1, v1
	s_or_b64 exec, exec, s[2:3]
                                        ; implicit-def: $vgpr16
	s_and_saveexec_b64 s[2:3], s[12:13]
	s_cbranch_execnz .LBB1791_38
.LBB1791_153:
	s_or_b64 exec, exec, s[2:3]
                                        ; implicit-def: $vgpr17
	s_and_saveexec_b64 s[2:3], s[14:15]
	s_cbranch_execz .LBB1791_39
.LBB1791_154:
	v_mov_b32_e32 v17, s56
	v_add_co_u32_e32 v34, vcc, s47, v20
	v_addc_co_u32_e32 v35, vcc, 0, v17, vcc
	flat_load_dword v17, v[34:35]
	s_waitcnt vmcnt(0) lgkmcnt(0)
	v_cvt_f32_u32_e32 v17, v17
	s_or_b64 exec, exec, s[2:3]
                                        ; implicit-def: $vgpr33
	s_and_saveexec_b64 s[2:3], s[16:17]
	s_cbranch_execnz .LBB1791_40
.LBB1791_155:
	s_or_b64 exec, exec, s[2:3]
                                        ; implicit-def: $vgpr21
	s_and_saveexec_b64 s[2:3], s[18:19]
	s_cbranch_execz .LBB1791_41
.LBB1791_156:
	v_mov_b32_e32 v21, s56
	v_add_co_u32_e32 v20, vcc, s47, v22
	v_addc_co_u32_e32 v21, vcc, 0, v21, vcc
	flat_load_dword v20, v[20:21]
	s_waitcnt vmcnt(0) lgkmcnt(0)
	v_cvt_f32_u32_e32 v21, v20
	s_or_b64 exec, exec, s[2:3]
                                        ; implicit-def: $vgpr22
	s_and_saveexec_b64 s[2:3], s[20:21]
	s_cbranch_execnz .LBB1791_42
.LBB1791_157:
	s_or_b64 exec, exec, s[2:3]
                                        ; implicit-def: $vgpr23
	s_and_saveexec_b64 s[2:3], s[22:23]
	s_cbranch_execz .LBB1791_43
.LBB1791_158:
	v_mov_b32_e32 v20, s56
	v_add_co_u32_e32 v34, vcc, s47, v24
	v_addc_co_u32_e32 v35, vcc, 0, v20, vcc
	flat_load_dword v20, v[34:35]
	s_waitcnt vmcnt(0) lgkmcnt(0)
	v_cvt_f32_u32_e32 v23, v20
	s_or_b64 exec, exec, s[2:3]
                                        ; implicit-def: $vgpr24
	s_and_saveexec_b64 s[2:3], s[24:25]
	s_cbranch_execz .LBB1791_45
	s_branch .LBB1791_44
.LBB1791_159:
                                        ; implicit-def: $vgpr23
                                        ; implicit-def: $vgpr21
                                        ; implicit-def: $vgpr19
                                        ; implicit-def: $vgpr17
                                        ; implicit-def: $vgpr10_vgpr11_vgpr12_vgpr13
                                        ; implicit-def: $vgpr6_vgpr7_vgpr8_vgpr9
                                        ; implicit-def: $vgpr2_vgpr3_vgpr4_vgpr5
	s_cbranch_execz .LBB1791_185
; %bb.160:
	s_cmp_lg_u64 s[52:53], 0
	s_cselect_b32 s3, s51, 0
	s_cselect_b32 s2, s50, 0
	s_cmp_eq_u64 s[2:3], 0
	v_mov_b32_e32 v4, s7
	s_cbranch_scc1 .LBB1791_162
; %bb.161:
	v_mov_b32_e32 v2, 0
	global_load_dword v4, v2, s[2:3]
.LBB1791_162:
	v_mov_b32_e32 v2, 0
	v_cmp_eq_u16_sdwa s[2:3], v32, v2 src0_sel:BYTE_0 src1_sel:DWORD
	v_cndmask_b32_e64 v3, v26, v52, s[2:3]
	v_add_f32_e32 v3, v27, v3
	v_cmp_eq_u16_sdwa s[4:5], v35, v2 src0_sel:BYTE_0 src1_sel:DWORD
	v_cndmask_b32_e64 v3, v27, v3, s[4:5]
	v_add_f32_e32 v3, v29, v3
	;; [unrolled: 3-line block ×7, first 2 shown]
	v_cmp_eq_u16_sdwa s[16:17], v45, v2 src0_sel:BYTE_0 src1_sel:DWORD
	v_cmp_eq_u16_sdwa s[18:19], v46, v2 src0_sel:BYTE_0 src1_sel:DWORD
	;; [unrolled: 1-line block ×4, first 2 shown]
	v_cmp_eq_u16_sdwa vcc, v39, v2 src0_sel:BYTE_0 src1_sel:DWORD
	v_cmp_eq_u16_sdwa s[24:25], v14, v2 src0_sel:BYTE_0 src1_sel:DWORD
	v_or_b32_e32 v2, v51, v47
	v_cndmask_b32_e64 v3, v34, v3, s[16:17]
	v_or_b32_e32 v2, v2, v46
	v_add_f32_e32 v3, v36, v3
	v_or_b32_e32 v2, v2, v45
	v_cndmask_b32_e64 v3, v36, v3, s[18:19]
	v_or_b32_e32 v2, v2, v44
	v_add_f32_e32 v3, v37, v3
	;; [unrolled: 4-line block ×4, first 2 shown]
	v_or_b32_e32 v2, v2, v35
	v_cndmask_b32_e32 v3, v24, v3, vcc
	v_or_b32_e32 v2, v2, v32
	v_add_f32_e32 v3, v15, v3
	v_and_b32_e32 v2, 1, v2
	v_and_b32_e32 v6, 0xff, v1
	v_cndmask_b32_e64 v5, v15, v3, s[24:25]
	v_cmp_eq_u32_e64 s[24:25], 1, v2
	v_cndmask_b32_e64 v7, v6, 1, s[24:25]
	v_mbcnt_hi_u32_b32 v6, -1, v50
	v_and_b32_e32 v2, 15, v6
	v_mov_b32_dpp v8, v5 row_shr:1 row_mask:0xf bank_mask:0xf
	v_mov_b32_dpp v3, v7 row_shr:1 row_mask:0xf bank_mask:0xf
	v_cmp_ne_u32_e64 s[24:25], 0, v2
	s_and_saveexec_b64 s[26:27], s[24:25]
; %bb.163:
	v_add_f32_e32 v8, v5, v8
	v_cmp_eq_u32_e64 s[24:25], 0, v7
	v_and_b32_e32 v7, 1, v7
	v_cndmask_b32_e64 v5, v5, v8, s[24:25]
	v_and_b32_e32 v3, 1, v3
	v_cmp_eq_u32_e64 s[24:25], 1, v7
	v_cndmask_b32_e64 v7, v3, 1, s[24:25]
; %bb.164:
	s_or_b64 exec, exec, s[26:27]
	v_mov_b32_dpp v8, v5 row_shr:2 row_mask:0xf bank_mask:0xf
	v_mov_b32_dpp v3, v7 row_shr:2 row_mask:0xf bank_mask:0xf
	v_cmp_lt_u32_e64 s[24:25], 1, v2
	s_and_saveexec_b64 s[26:27], s[24:25]
; %bb.165:
	v_add_f32_e32 v8, v5, v8
	v_cmp_eq_u32_e64 s[24:25], 0, v7
	v_and_b32_e32 v7, 1, v7
	v_cndmask_b32_e64 v5, v5, v8, s[24:25]
	v_and_b32_e32 v3, 1, v3
	v_cmp_eq_u32_e64 s[24:25], 1, v7
	v_cndmask_b32_e64 v7, v3, 1, s[24:25]
; %bb.166:
	s_or_b64 exec, exec, s[26:27]
	v_mov_b32_dpp v8, v5 row_shr:4 row_mask:0xf bank_mask:0xf
	v_mov_b32_dpp v3, v7 row_shr:4 row_mask:0xf bank_mask:0xf
	v_cmp_lt_u32_e64 s[24:25], 3, v2
	;; [unrolled: 14-line block ×3, first 2 shown]
	s_and_saveexec_b64 s[26:27], s[24:25]
; %bb.169:
	v_add_f32_e32 v2, v5, v8
	v_cmp_eq_u32_e64 s[24:25], 0, v7
	v_cndmask_b32_e64 v5, v5, v2, s[24:25]
	v_and_b32_e32 v2, 1, v7
	v_and_b32_e32 v3, 1, v3
	v_cmp_eq_u32_e64 s[24:25], 1, v2
	v_cndmask_b32_e64 v7, v3, 1, s[24:25]
; %bb.170:
	s_or_b64 exec, exec, s[26:27]
	v_and_b32_e32 v8, 16, v6
	v_mov_b32_dpp v3, v5 row_bcast:15 row_mask:0xf bank_mask:0xf
	v_mov_b32_dpp v2, v7 row_bcast:15 row_mask:0xf bank_mask:0xf
	v_cmp_ne_u32_e64 s[24:25], 0, v8
	s_and_saveexec_b64 s[26:27], s[24:25]
; %bb.171:
	v_add_f32_e32 v3, v5, v3
	v_cmp_eq_u32_e64 s[24:25], 0, v7
	v_cndmask_b32_e64 v5, v5, v3, s[24:25]
	v_and_b32_e32 v3, 1, v7
	v_and_b32_e32 v2, 1, v2
	v_cmp_eq_u32_e64 s[24:25], 1, v3
	v_cndmask_b32_e64 v7, v2, 1, s[24:25]
; %bb.172:
	s_or_b64 exec, exec, s[26:27]
	v_mov_b32_dpp v3, v5 row_bcast:31 row_mask:0xf bank_mask:0xf
	v_mov_b32_dpp v2, v7 row_bcast:31 row_mask:0xf bank_mask:0xf
	v_cmp_lt_u32_e64 s[24:25], 31, v6
	s_and_saveexec_b64 s[26:27], s[24:25]
; %bb.173:
	v_add_f32_e32 v3, v5, v3
	v_cmp_eq_u32_e64 s[24:25], 0, v7
	v_cndmask_b32_e64 v5, v5, v3, s[24:25]
	v_and_b32_e32 v3, 1, v7
	v_and_b32_e32 v2, 1, v2
	v_cmp_eq_u32_e64 s[24:25], 1, v3
	v_cndmask_b32_e64 v7, v2, 1, s[24:25]
; %bb.174:
	s_or_b64 exec, exec, s[26:27]
	v_or_b32_e32 v2, 63, v0
	v_lshrrev_b32_e32 v8, 6, v0
	v_cmp_eq_u32_e64 s[24:25], v2, v0
	s_and_saveexec_b64 s[26:27], s[24:25]
	s_cbranch_execz .LBB1791_176
; %bb.175:
	v_lshlrev_b32_e32 v2, 3, v8
	ds_write_b32 v2, v5
	ds_write_b8 v2, v7 offset:4
.LBB1791_176:
	s_or_b64 exec, exec, s[26:27]
	v_cmp_gt_u32_e64 s[24:25], 4, v0
	s_waitcnt lgkmcnt(0)
	s_barrier
	s_and_saveexec_b64 s[26:27], s[24:25]
	s_cbranch_execz .LBB1791_180
; %bb.177:
	v_lshlrev_b32_e32 v9, 3, v0
	ds_read_b64 v[2:3], v9
	v_and_b32_e32 v10, 3, v6
	v_cmp_ne_u32_e64 s[24:25], 0, v10
	s_waitcnt lgkmcnt(0)
	v_mov_b32_dpp v13, v2 row_shr:1 row_mask:0xf bank_mask:0xf
	v_mov_b32_dpp v12, v3 row_shr:1 row_mask:0xf bank_mask:0xf
	v_mov_b32_e32 v11, v3
	s_and_saveexec_b64 s[28:29], s[24:25]
; %bb.178:
	v_mov_b32_e32 v11, 0
	v_add_f32_e32 v13, v2, v13
	v_cmp_eq_u16_sdwa s[24:25], v3, v11 src0_sel:BYTE_0 src1_sel:DWORD
	v_and_b32_e32 v11, 1, v3
	v_cndmask_b32_e64 v2, v2, v13, s[24:25]
	v_and_b32_e32 v12, 1, v12
	v_cmp_eq_u32_e64 s[24:25], 1, v11
	v_cndmask_b32_e64 v11, v12, 1, s[24:25]
	s_movk_i32 s24, 0xff00
	v_and_or_b32 v3, v3, s24, v11
; %bb.179:
	s_or_b64 exec, exec, s[28:29]
	v_mov_b32_e32 v14, 0
	v_mov_b32_dpp v13, v3 row_shr:2 row_mask:0xf bank_mask:0xf
	v_cmp_eq_u16_sdwa s[28:29], v11, v14 src0_sel:BYTE_0 src1_sel:DWORD
	v_and_b32_e32 v11, 1, v11
	v_and_b32_e32 v13, 1, v13
	v_cmp_eq_u32_e64 s[24:25], 1, v11
	v_mov_b32_dpp v12, v2 row_shr:2 row_mask:0xf bank_mask:0xf
	v_cndmask_b32_e64 v11, v13, 1, s[24:25]
	v_cmp_lt_u32_e64 s[24:25], 1, v10
	v_add_f32_e32 v12, v2, v12
	v_cndmask_b32_e64 v3, v3, v11, s[24:25]
	s_and_b64 s[24:25], s[24:25], s[28:29]
	v_cndmask_b32_e64 v2, v2, v12, s[24:25]
	ds_write_b32 v9, v2
	ds_write_b8 v9, v3 offset:4
.LBB1791_180:
	s_or_b64 exec, exec, s[26:27]
	v_cmp_lt_u32_e64 s[24:25], 63, v0
	s_waitcnt vmcnt(0)
	v_mov_b32_e32 v2, v4
	s_waitcnt lgkmcnt(0)
	s_barrier
	s_and_saveexec_b64 s[26:27], s[24:25]
	s_cbranch_execz .LBB1791_182
; %bb.181:
	v_lshl_add_u32 v2, v8, 3, -8
	ds_read_b32 v3, v2
	ds_read_u8 v2, v2 offset:4
	s_waitcnt lgkmcnt(1)
	v_add_f32_e32 v8, v4, v3
	s_waitcnt lgkmcnt(0)
	v_cmp_eq_u16_e64 s[24:25], 0, v2
	v_cndmask_b32_e64 v2, v3, v8, s[24:25]
.LBB1791_182:
	s_or_b64 exec, exec, s[26:27]
	v_add_f32_e32 v3, v5, v2
	v_cmp_eq_u32_e64 s[24:25], 0, v7
	v_cndmask_b32_e64 v3, v5, v3, s[24:25]
	v_add_u32_e32 v5, -1, v6
	v_and_b32_e32 v7, 64, v6
	v_cmp_lt_i32_e64 s[24:25], v5, v7
	v_cndmask_b32_e64 v5, v5, v6, s[24:25]
	v_lshlrev_b32_e32 v5, 2, v5
	ds_bpermute_b32 v3, v5, v3
	v_cmp_eq_u32_e64 s[24:25], 0, v6
	v_mov_b32_e32 v15, 0
	v_cmp_eq_u16_sdwa s[26:27], v1, v15 src0_sel:BYTE_0 src1_sel:DWORD
	s_waitcnt lgkmcnt(0)
	v_cndmask_b32_e64 v2, v3, v2, s[24:25]
	v_cmp_eq_u32_e64 s[24:25], 0, v0
	v_cndmask_b32_e64 v3, v2, v4, s[24:25]
	v_add_f32_e32 v3, v28, v3
	v_cndmask_b32_e64 v3, v28, v3, s[26:27]
	v_add_f32_e32 v1, v26, v3
	;; [unrolled: 2-line block ×13, first 2 shown]
	s_and_saveexec_b64 s[4:5], s[24:25]
	s_cbranch_execz .LBB1791_184
; %bb.183:
	ds_read_b32 v2, v15 offset:24
	ds_read_u8 v5, v15 offset:28
	s_add_u32 s6, s44, 0x400
	s_addc_u32 s7, s45, 0
	v_mov_b32_e32 v14, 2
	s_waitcnt lgkmcnt(1)
	v_add_f32_e32 v8, v4, v2
	s_waitcnt lgkmcnt(0)
	v_cmp_eq_u16_e64 s[2:3], 0, v5
	v_cndmask_b32_e64 v12, v2, v8, s[2:3]
	v_and_b32_e32 v13, 0xffff, v5
	v_pk_mov_b32 v[8:9], s[6:7], s[6:7] op_sel:[0,1]
	;;#ASMSTART
	global_store_dwordx4 v[8:9], v[12:15] off	
s_waitcnt vmcnt(0)
	;;#ASMEND
	v_mov_b32_e32 v2, v4
.LBB1791_184:
	s_or_b64 exec, exec, s[4:5]
	v_cndmask_b32_e32 v23, v24, v1, vcc
.LBB1791_185:
	s_add_u32 s2, s42, s34
	s_addc_u32 s3, s43, s35
	s_add_u32 s4, s2, s36
	v_mul_u32_u24_e32 v1, 14, v0
	s_addc_u32 s5, s3, s37
	s_and_b64 vcc, exec, s[0:1]
	v_lshlrev_b32_e32 v4, 2, v1
	s_cbranch_vccz .LBB1791_213
; %bb.186:
	s_movk_i32 s0, 0xffcc
	v_mad_i32_i24 v5, v0, s0, v4
	s_barrier
	ds_write2_b64 v4, v[2:3], v[16:17] offset1:1
	s_waitcnt vmcnt(0)
	ds_write2_b64 v4, v[6:7], v[18:19] offset0:2 offset1:3
	ds_write2_b64 v4, v[10:11], v[20:21] offset0:4 offset1:5
	ds_write_b64 v4, v[22:23] offset:48
	s_waitcnt lgkmcnt(0)
	s_barrier
	ds_read2st64_b32 v[30:31], v5 offset0:4 offset1:8
	ds_read2st64_b32 v[28:29], v5 offset0:12 offset1:16
	;; [unrolled: 1-line block ×6, first 2 shown]
	ds_read_b32 v5, v5 offset:13312
	v_mov_b32_e32 v9, s5
	v_add_co_u32_e32 v8, vcc, s4, v49
	s_add_i32 s33, s33, s46
	v_addc_co_u32_e32 v9, vcc, 0, v9, vcc
	v_mov_b32_e32 v1, 0
	v_cmp_gt_u32_e32 vcc, s33, v0
	s_and_saveexec_b64 s[0:1], vcc
	s_cbranch_execz .LBB1791_188
; %bb.187:
	v_mul_i32_i24_e32 v32, 0xffffffcc, v0
	v_add_u32_e32 v32, v4, v32
	ds_read_b32 v32, v32
	s_waitcnt lgkmcnt(0)
	v_cvt_i32_f32_e32 v32, v32
	flat_store_dword v[8:9], v32
.LBB1791_188:
	s_or_b64 exec, exec, s[0:1]
	v_or_b32_e32 v32, 0x100, v0
	v_cmp_gt_u32_e32 vcc, s33, v32
	s_and_saveexec_b64 s[0:1], vcc
	s_cbranch_execz .LBB1791_190
; %bb.189:
	s_waitcnt lgkmcnt(0)
	v_cvt_i32_f32_e32 v30, v30
	flat_store_dword v[8:9], v30 offset:1024
.LBB1791_190:
	s_or_b64 exec, exec, s[0:1]
	s_waitcnt lgkmcnt(0)
	v_or_b32_e32 v30, 0x200, v0
	v_cmp_gt_u32_e32 vcc, s33, v30
	s_and_saveexec_b64 s[0:1], vcc
	s_cbranch_execz .LBB1791_192
; %bb.191:
	v_cvt_i32_f32_e32 v30, v31
	flat_store_dword v[8:9], v30 offset:2048
.LBB1791_192:
	s_or_b64 exec, exec, s[0:1]
	v_or_b32_e32 v30, 0x300, v0
	v_cmp_gt_u32_e32 vcc, s33, v30
	s_and_saveexec_b64 s[0:1], vcc
	s_cbranch_execz .LBB1791_194
; %bb.193:
	v_cvt_i32_f32_e32 v28, v28
	flat_store_dword v[8:9], v28 offset:3072
.LBB1791_194:
	s_or_b64 exec, exec, s[0:1]
	v_or_b32_e32 v28, 0x400, v0
	v_cmp_gt_u32_e32 vcc, s33, v28
	s_and_saveexec_b64 s[0:1], vcc
	s_cbranch_execz .LBB1791_196
; %bb.195:
	v_cvt_i32_f32_e32 v30, v29
	v_add_co_u32_e32 v28, vcc, 0x1000, v8
	v_addc_co_u32_e32 v29, vcc, 0, v9, vcc
	flat_store_dword v[28:29], v30
.LBB1791_196:
	s_or_b64 exec, exec, s[0:1]
	v_or_b32_e32 v28, 0x500, v0
	v_cmp_gt_u32_e32 vcc, s33, v28
	s_and_saveexec_b64 s[0:1], vcc
	s_cbranch_execz .LBB1791_198
; %bb.197:
	v_cvt_i32_f32_e32 v26, v26
	v_add_co_u32_e32 v28, vcc, 0x1000, v8
	v_addc_co_u32_e32 v29, vcc, 0, v9, vcc
	flat_store_dword v[28:29], v26 offset:1024
.LBB1791_198:
	s_or_b64 exec, exec, s[0:1]
	v_or_b32_e32 v26, 0x600, v0
	v_cmp_gt_u32_e32 vcc, s33, v26
	s_and_saveexec_b64 s[0:1], vcc
	s_cbranch_execz .LBB1791_200
; %bb.199:
	v_cvt_i32_f32_e32 v28, v27
	v_add_co_u32_e32 v26, vcc, 0x1000, v8
	v_addc_co_u32_e32 v27, vcc, 0, v9, vcc
	flat_store_dword v[26:27], v28 offset:2048
.LBB1791_200:
	;; [unrolled: 11-line block ×3, first 2 shown]
	s_or_b64 exec, exec, s[0:1]
	v_or_b32_e32 v24, 0x800, v0
	v_cmp_gt_u32_e32 vcc, s33, v24
	s_and_saveexec_b64 s[0:1], vcc
	s_cbranch_execz .LBB1791_204
; %bb.203:
	v_cvt_i32_f32_e32 v26, v25
	v_add_co_u32_e32 v24, vcc, 0x2000, v8
	v_addc_co_u32_e32 v25, vcc, 0, v9, vcc
	flat_store_dword v[24:25], v26
.LBB1791_204:
	s_or_b64 exec, exec, s[0:1]
	v_or_b32_e32 v24, 0x900, v0
	v_cmp_gt_u32_e32 vcc, s33, v24
	s_and_saveexec_b64 s[0:1], vcc
	s_cbranch_execz .LBB1791_206
; %bb.205:
	v_cvt_i32_f32_e32 v14, v14
	v_add_co_u32_e32 v24, vcc, 0x2000, v8
	v_addc_co_u32_e32 v25, vcc, 0, v9, vcc
	flat_store_dword v[24:25], v14 offset:1024
.LBB1791_206:
	s_or_b64 exec, exec, s[0:1]
	v_or_b32_e32 v14, 0xa00, v0
	v_cmp_gt_u32_e32 vcc, s33, v14
	s_and_saveexec_b64 s[0:1], vcc
	s_cbranch_execz .LBB1791_208
; %bb.207:
	v_cvt_i32_f32_e32 v24, v15
	v_add_co_u32_e32 v14, vcc, 0x2000, v8
	v_addc_co_u32_e32 v15, vcc, 0, v9, vcc
	flat_store_dword v[14:15], v24 offset:2048
.LBB1791_208:
	;; [unrolled: 11-line block ×3, first 2 shown]
	s_or_b64 exec, exec, s[0:1]
	v_or_b32_e32 v12, 0xc00, v0
	v_cmp_gt_u32_e32 vcc, s33, v12
	s_and_saveexec_b64 s[0:1], vcc
	s_cbranch_execz .LBB1791_212
; %bb.211:
	v_cvt_i32_f32_e32 v12, v13
	v_add_co_u32_e32 v8, vcc, 0x3000, v8
	v_addc_co_u32_e32 v9, vcc, 0, v9, vcc
	flat_store_dword v[8:9], v12
.LBB1791_212:
	s_or_b64 exec, exec, s[0:1]
	v_or_b32_e32 v8, 0xd00, v0
	v_cmp_gt_u32_e64 s[0:1], s33, v8
	s_branch .LBB1791_215
.LBB1791_213:
	s_mov_b64 s[0:1], 0
                                        ; implicit-def: $vgpr5
	s_cbranch_execz .LBB1791_215
; %bb.214:
	s_movk_i32 s2, 0xffcc
	s_waitcnt lgkmcnt(0)
	s_barrier
	ds_write2_b64 v4, v[2:3], v[16:17] offset1:1
	s_waitcnt vmcnt(0)
	ds_write2_b64 v4, v[6:7], v[18:19] offset0:2 offset1:3
	ds_write2_b64 v4, v[10:11], v[20:21] offset0:4 offset1:5
	ds_write_b64 v4, v[22:23] offset:48
	v_mad_i32_i24 v4, v0, s2, v4
	s_waitcnt lgkmcnt(0)
	s_barrier
	ds_read2st64_b32 v[2:3], v4 offset1:4
	ds_read2st64_b32 v[6:7], v4 offset0:8 offset1:12
	ds_read2st64_b32 v[8:9], v4 offset0:16 offset1:20
	;; [unrolled: 1-line block ×6, first 2 shown]
	s_waitcnt lgkmcnt(6)
	v_cvt_i32_f32_e32 v2, v2
	v_cvt_i32_f32_e32 v3, v3
	v_mov_b32_e32 v17, s5
	v_add_co_u32_e32 v16, vcc, s4, v49
	s_waitcnt lgkmcnt(5)
	v_cvt_i32_f32_e32 v6, v6
	v_addc_co_u32_e32 v17, vcc, 0, v17, vcc
	v_cvt_i32_f32_e32 v7, v7
	flat_store_dword v[16:17], v2
	flat_store_dword v[16:17], v3 offset:1024
	flat_store_dword v[16:17], v6 offset:2048
	;; [unrolled: 1-line block ×3, first 2 shown]
	s_waitcnt lgkmcnt(0)
	v_cvt_i32_f32_e32 v6, v8
	s_movk_i32 s2, 0x1000
	v_cvt_i32_f32_e32 v7, v9
	v_add_co_u32_e32 v2, vcc, s2, v16
	v_cvt_i32_f32_e32 v8, v10
	v_addc_co_u32_e32 v3, vcc, 0, v17, vcc
	v_cvt_i32_f32_e32 v9, v11
	flat_store_dword v[2:3], v6
	flat_store_dword v[2:3], v7 offset:1024
	flat_store_dword v[2:3], v8 offset:2048
	;; [unrolled: 1-line block ×3, first 2 shown]
	v_cvt_i32_f32_e32 v6, v12
	s_movk_i32 s2, 0x2000
	v_cvt_i32_f32_e32 v7, v13
	v_add_co_u32_e32 v2, vcc, s2, v16
	v_cvt_i32_f32_e32 v8, v14
	v_cvt_i32_f32_e32 v4, v4
	v_addc_co_u32_e32 v3, vcc, 0, v17, vcc
	v_cvt_i32_f32_e32 v9, v15
	flat_store_dword v[2:3], v6
	flat_store_dword v[2:3], v7 offset:1024
	flat_store_dword v[2:3], v8 offset:2048
	;; [unrolled: 1-line block ×3, first 2 shown]
	v_add_co_u32_e32 v2, vcc, 0x3000, v16
	v_mov_b32_e32 v1, 0
	v_addc_co_u32_e32 v3, vcc, 0, v17, vcc
	s_or_b64 s[0:1], s[0:1], exec
	flat_store_dword v[2:3], v4
.LBB1791_215:
	s_and_saveexec_b64 s[2:3], s[0:1]
	s_cbranch_execz .LBB1791_217
; %bb.216:
	v_lshlrev_b64 v[0:1], 2, v[0:1]
	v_mov_b32_e32 v2, s5
	v_add_co_u32_e32 v0, vcc, s4, v0
	v_addc_co_u32_e32 v1, vcc, v2, v1, vcc
	v_cvt_i32_f32_e32 v2, v5
	v_add_co_u32_e32 v0, vcc, 0x3000, v0
	v_addc_co_u32_e32 v1, vcc, 0, v1, vcc
	flat_store_dword v[0:1], v2 offset:1024
	s_endpgm
.LBB1791_217:
	s_endpgm
	.section	.rodata,"a",@progbits
	.p2align	6, 0x0
	.amdhsa_kernel _ZN7rocprim17ROCPRIM_400000_NS6detail17trampoline_kernelINS0_14default_configENS1_27scan_by_key_config_selectorIifEEZZNS1_16scan_by_key_implILNS1_25lookback_scan_determinismE0ELb1ES3_N6thrust23THRUST_200600_302600_NS6detail15normal_iteratorINS9_10device_ptrIiEEEENSB_INSC_IjEEEESE_fNS9_4plusIvEENS9_8equal_toIvEEfEE10hipError_tPvRmT2_T3_T4_T5_mT6_T7_P12ihipStream_tbENKUlT_T0_E_clISt17integral_constantIbLb0EES11_EEDaSW_SX_EUlSW_E_NS1_11comp_targetILNS1_3genE4ELNS1_11target_archE910ELNS1_3gpuE8ELNS1_3repE0EEENS1_30default_config_static_selectorELNS0_4arch9wavefront6targetE1EEEvT1_
		.amdhsa_group_segment_fixed_size 16384
		.amdhsa_private_segment_fixed_size 0
		.amdhsa_kernarg_size 112
		.amdhsa_user_sgpr_count 6
		.amdhsa_user_sgpr_private_segment_buffer 1
		.amdhsa_user_sgpr_dispatch_ptr 0
		.amdhsa_user_sgpr_queue_ptr 0
		.amdhsa_user_sgpr_kernarg_segment_ptr 1
		.amdhsa_user_sgpr_dispatch_id 0
		.amdhsa_user_sgpr_flat_scratch_init 0
		.amdhsa_user_sgpr_kernarg_preload_length 0
		.amdhsa_user_sgpr_kernarg_preload_offset 0
		.amdhsa_user_sgpr_private_segment_size 0
		.amdhsa_uses_dynamic_stack 0
		.amdhsa_system_sgpr_private_segment_wavefront_offset 0
		.amdhsa_system_sgpr_workgroup_id_x 1
		.amdhsa_system_sgpr_workgroup_id_y 0
		.amdhsa_system_sgpr_workgroup_id_z 0
		.amdhsa_system_sgpr_workgroup_info 0
		.amdhsa_system_vgpr_workitem_id 0
		.amdhsa_next_free_vgpr 65
		.amdhsa_next_free_sgpr 59
		.amdhsa_accum_offset 68
		.amdhsa_reserve_vcc 1
		.amdhsa_reserve_flat_scratch 0
		.amdhsa_float_round_mode_32 0
		.amdhsa_float_round_mode_16_64 0
		.amdhsa_float_denorm_mode_32 3
		.amdhsa_float_denorm_mode_16_64 3
		.amdhsa_dx10_clamp 1
		.amdhsa_ieee_mode 1
		.amdhsa_fp16_overflow 0
		.amdhsa_tg_split 0
		.amdhsa_exception_fp_ieee_invalid_op 0
		.amdhsa_exception_fp_denorm_src 0
		.amdhsa_exception_fp_ieee_div_zero 0
		.amdhsa_exception_fp_ieee_overflow 0
		.amdhsa_exception_fp_ieee_underflow 0
		.amdhsa_exception_fp_ieee_inexact 0
		.amdhsa_exception_int_div_zero 0
	.end_amdhsa_kernel
	.section	.text._ZN7rocprim17ROCPRIM_400000_NS6detail17trampoline_kernelINS0_14default_configENS1_27scan_by_key_config_selectorIifEEZZNS1_16scan_by_key_implILNS1_25lookback_scan_determinismE0ELb1ES3_N6thrust23THRUST_200600_302600_NS6detail15normal_iteratorINS9_10device_ptrIiEEEENSB_INSC_IjEEEESE_fNS9_4plusIvEENS9_8equal_toIvEEfEE10hipError_tPvRmT2_T3_T4_T5_mT6_T7_P12ihipStream_tbENKUlT_T0_E_clISt17integral_constantIbLb0EES11_EEDaSW_SX_EUlSW_E_NS1_11comp_targetILNS1_3genE4ELNS1_11target_archE910ELNS1_3gpuE8ELNS1_3repE0EEENS1_30default_config_static_selectorELNS0_4arch9wavefront6targetE1EEEvT1_,"axG",@progbits,_ZN7rocprim17ROCPRIM_400000_NS6detail17trampoline_kernelINS0_14default_configENS1_27scan_by_key_config_selectorIifEEZZNS1_16scan_by_key_implILNS1_25lookback_scan_determinismE0ELb1ES3_N6thrust23THRUST_200600_302600_NS6detail15normal_iteratorINS9_10device_ptrIiEEEENSB_INSC_IjEEEESE_fNS9_4plusIvEENS9_8equal_toIvEEfEE10hipError_tPvRmT2_T3_T4_T5_mT6_T7_P12ihipStream_tbENKUlT_T0_E_clISt17integral_constantIbLb0EES11_EEDaSW_SX_EUlSW_E_NS1_11comp_targetILNS1_3genE4ELNS1_11target_archE910ELNS1_3gpuE8ELNS1_3repE0EEENS1_30default_config_static_selectorELNS0_4arch9wavefront6targetE1EEEvT1_,comdat
.Lfunc_end1791:
	.size	_ZN7rocprim17ROCPRIM_400000_NS6detail17trampoline_kernelINS0_14default_configENS1_27scan_by_key_config_selectorIifEEZZNS1_16scan_by_key_implILNS1_25lookback_scan_determinismE0ELb1ES3_N6thrust23THRUST_200600_302600_NS6detail15normal_iteratorINS9_10device_ptrIiEEEENSB_INSC_IjEEEESE_fNS9_4plusIvEENS9_8equal_toIvEEfEE10hipError_tPvRmT2_T3_T4_T5_mT6_T7_P12ihipStream_tbENKUlT_T0_E_clISt17integral_constantIbLb0EES11_EEDaSW_SX_EUlSW_E_NS1_11comp_targetILNS1_3genE4ELNS1_11target_archE910ELNS1_3gpuE8ELNS1_3repE0EEENS1_30default_config_static_selectorELNS0_4arch9wavefront6targetE1EEEvT1_, .Lfunc_end1791-_ZN7rocprim17ROCPRIM_400000_NS6detail17trampoline_kernelINS0_14default_configENS1_27scan_by_key_config_selectorIifEEZZNS1_16scan_by_key_implILNS1_25lookback_scan_determinismE0ELb1ES3_N6thrust23THRUST_200600_302600_NS6detail15normal_iteratorINS9_10device_ptrIiEEEENSB_INSC_IjEEEESE_fNS9_4plusIvEENS9_8equal_toIvEEfEE10hipError_tPvRmT2_T3_T4_T5_mT6_T7_P12ihipStream_tbENKUlT_T0_E_clISt17integral_constantIbLb0EES11_EEDaSW_SX_EUlSW_E_NS1_11comp_targetILNS1_3genE4ELNS1_11target_archE910ELNS1_3gpuE8ELNS1_3repE0EEENS1_30default_config_static_selectorELNS0_4arch9wavefront6targetE1EEEvT1_
                                        ; -- End function
	.section	.AMDGPU.csdata,"",@progbits
; Kernel info:
; codeLenInByte = 10844
; NumSgprs: 63
; NumVgprs: 65
; NumAgprs: 0
; TotalNumVgprs: 65
; ScratchSize: 0
; MemoryBound: 0
; FloatMode: 240
; IeeeMode: 1
; LDSByteSize: 16384 bytes/workgroup (compile time only)
; SGPRBlocks: 7
; VGPRBlocks: 8
; NumSGPRsForWavesPerEU: 63
; NumVGPRsForWavesPerEU: 65
; AccumOffset: 68
; Occupancy: 4
; WaveLimiterHint : 1
; COMPUTE_PGM_RSRC2:SCRATCH_EN: 0
; COMPUTE_PGM_RSRC2:USER_SGPR: 6
; COMPUTE_PGM_RSRC2:TRAP_HANDLER: 0
; COMPUTE_PGM_RSRC2:TGID_X_EN: 1
; COMPUTE_PGM_RSRC2:TGID_Y_EN: 0
; COMPUTE_PGM_RSRC2:TGID_Z_EN: 0
; COMPUTE_PGM_RSRC2:TIDIG_COMP_CNT: 0
; COMPUTE_PGM_RSRC3_GFX90A:ACCUM_OFFSET: 16
; COMPUTE_PGM_RSRC3_GFX90A:TG_SPLIT: 0
	.section	.text._ZN7rocprim17ROCPRIM_400000_NS6detail17trampoline_kernelINS0_14default_configENS1_27scan_by_key_config_selectorIifEEZZNS1_16scan_by_key_implILNS1_25lookback_scan_determinismE0ELb1ES3_N6thrust23THRUST_200600_302600_NS6detail15normal_iteratorINS9_10device_ptrIiEEEENSB_INSC_IjEEEESE_fNS9_4plusIvEENS9_8equal_toIvEEfEE10hipError_tPvRmT2_T3_T4_T5_mT6_T7_P12ihipStream_tbENKUlT_T0_E_clISt17integral_constantIbLb0EES11_EEDaSW_SX_EUlSW_E_NS1_11comp_targetILNS1_3genE3ELNS1_11target_archE908ELNS1_3gpuE7ELNS1_3repE0EEENS1_30default_config_static_selectorELNS0_4arch9wavefront6targetE1EEEvT1_,"axG",@progbits,_ZN7rocprim17ROCPRIM_400000_NS6detail17trampoline_kernelINS0_14default_configENS1_27scan_by_key_config_selectorIifEEZZNS1_16scan_by_key_implILNS1_25lookback_scan_determinismE0ELb1ES3_N6thrust23THRUST_200600_302600_NS6detail15normal_iteratorINS9_10device_ptrIiEEEENSB_INSC_IjEEEESE_fNS9_4plusIvEENS9_8equal_toIvEEfEE10hipError_tPvRmT2_T3_T4_T5_mT6_T7_P12ihipStream_tbENKUlT_T0_E_clISt17integral_constantIbLb0EES11_EEDaSW_SX_EUlSW_E_NS1_11comp_targetILNS1_3genE3ELNS1_11target_archE908ELNS1_3gpuE7ELNS1_3repE0EEENS1_30default_config_static_selectorELNS0_4arch9wavefront6targetE1EEEvT1_,comdat
	.protected	_ZN7rocprim17ROCPRIM_400000_NS6detail17trampoline_kernelINS0_14default_configENS1_27scan_by_key_config_selectorIifEEZZNS1_16scan_by_key_implILNS1_25lookback_scan_determinismE0ELb1ES3_N6thrust23THRUST_200600_302600_NS6detail15normal_iteratorINS9_10device_ptrIiEEEENSB_INSC_IjEEEESE_fNS9_4plusIvEENS9_8equal_toIvEEfEE10hipError_tPvRmT2_T3_T4_T5_mT6_T7_P12ihipStream_tbENKUlT_T0_E_clISt17integral_constantIbLb0EES11_EEDaSW_SX_EUlSW_E_NS1_11comp_targetILNS1_3genE3ELNS1_11target_archE908ELNS1_3gpuE7ELNS1_3repE0EEENS1_30default_config_static_selectorELNS0_4arch9wavefront6targetE1EEEvT1_ ; -- Begin function _ZN7rocprim17ROCPRIM_400000_NS6detail17trampoline_kernelINS0_14default_configENS1_27scan_by_key_config_selectorIifEEZZNS1_16scan_by_key_implILNS1_25lookback_scan_determinismE0ELb1ES3_N6thrust23THRUST_200600_302600_NS6detail15normal_iteratorINS9_10device_ptrIiEEEENSB_INSC_IjEEEESE_fNS9_4plusIvEENS9_8equal_toIvEEfEE10hipError_tPvRmT2_T3_T4_T5_mT6_T7_P12ihipStream_tbENKUlT_T0_E_clISt17integral_constantIbLb0EES11_EEDaSW_SX_EUlSW_E_NS1_11comp_targetILNS1_3genE3ELNS1_11target_archE908ELNS1_3gpuE7ELNS1_3repE0EEENS1_30default_config_static_selectorELNS0_4arch9wavefront6targetE1EEEvT1_
	.globl	_ZN7rocprim17ROCPRIM_400000_NS6detail17trampoline_kernelINS0_14default_configENS1_27scan_by_key_config_selectorIifEEZZNS1_16scan_by_key_implILNS1_25lookback_scan_determinismE0ELb1ES3_N6thrust23THRUST_200600_302600_NS6detail15normal_iteratorINS9_10device_ptrIiEEEENSB_INSC_IjEEEESE_fNS9_4plusIvEENS9_8equal_toIvEEfEE10hipError_tPvRmT2_T3_T4_T5_mT6_T7_P12ihipStream_tbENKUlT_T0_E_clISt17integral_constantIbLb0EES11_EEDaSW_SX_EUlSW_E_NS1_11comp_targetILNS1_3genE3ELNS1_11target_archE908ELNS1_3gpuE7ELNS1_3repE0EEENS1_30default_config_static_selectorELNS0_4arch9wavefront6targetE1EEEvT1_
	.p2align	8
	.type	_ZN7rocprim17ROCPRIM_400000_NS6detail17trampoline_kernelINS0_14default_configENS1_27scan_by_key_config_selectorIifEEZZNS1_16scan_by_key_implILNS1_25lookback_scan_determinismE0ELb1ES3_N6thrust23THRUST_200600_302600_NS6detail15normal_iteratorINS9_10device_ptrIiEEEENSB_INSC_IjEEEESE_fNS9_4plusIvEENS9_8equal_toIvEEfEE10hipError_tPvRmT2_T3_T4_T5_mT6_T7_P12ihipStream_tbENKUlT_T0_E_clISt17integral_constantIbLb0EES11_EEDaSW_SX_EUlSW_E_NS1_11comp_targetILNS1_3genE3ELNS1_11target_archE908ELNS1_3gpuE7ELNS1_3repE0EEENS1_30default_config_static_selectorELNS0_4arch9wavefront6targetE1EEEvT1_,@function
_ZN7rocprim17ROCPRIM_400000_NS6detail17trampoline_kernelINS0_14default_configENS1_27scan_by_key_config_selectorIifEEZZNS1_16scan_by_key_implILNS1_25lookback_scan_determinismE0ELb1ES3_N6thrust23THRUST_200600_302600_NS6detail15normal_iteratorINS9_10device_ptrIiEEEENSB_INSC_IjEEEESE_fNS9_4plusIvEENS9_8equal_toIvEEfEE10hipError_tPvRmT2_T3_T4_T5_mT6_T7_P12ihipStream_tbENKUlT_T0_E_clISt17integral_constantIbLb0EES11_EEDaSW_SX_EUlSW_E_NS1_11comp_targetILNS1_3genE3ELNS1_11target_archE908ELNS1_3gpuE7ELNS1_3repE0EEENS1_30default_config_static_selectorELNS0_4arch9wavefront6targetE1EEEvT1_: ; @_ZN7rocprim17ROCPRIM_400000_NS6detail17trampoline_kernelINS0_14default_configENS1_27scan_by_key_config_selectorIifEEZZNS1_16scan_by_key_implILNS1_25lookback_scan_determinismE0ELb1ES3_N6thrust23THRUST_200600_302600_NS6detail15normal_iteratorINS9_10device_ptrIiEEEENSB_INSC_IjEEEESE_fNS9_4plusIvEENS9_8equal_toIvEEfEE10hipError_tPvRmT2_T3_T4_T5_mT6_T7_P12ihipStream_tbENKUlT_T0_E_clISt17integral_constantIbLb0EES11_EEDaSW_SX_EUlSW_E_NS1_11comp_targetILNS1_3genE3ELNS1_11target_archE908ELNS1_3gpuE7ELNS1_3repE0EEENS1_30default_config_static_selectorELNS0_4arch9wavefront6targetE1EEEvT1_
; %bb.0:
	.section	.rodata,"a",@progbits
	.p2align	6, 0x0
	.amdhsa_kernel _ZN7rocprim17ROCPRIM_400000_NS6detail17trampoline_kernelINS0_14default_configENS1_27scan_by_key_config_selectorIifEEZZNS1_16scan_by_key_implILNS1_25lookback_scan_determinismE0ELb1ES3_N6thrust23THRUST_200600_302600_NS6detail15normal_iteratorINS9_10device_ptrIiEEEENSB_INSC_IjEEEESE_fNS9_4plusIvEENS9_8equal_toIvEEfEE10hipError_tPvRmT2_T3_T4_T5_mT6_T7_P12ihipStream_tbENKUlT_T0_E_clISt17integral_constantIbLb0EES11_EEDaSW_SX_EUlSW_E_NS1_11comp_targetILNS1_3genE3ELNS1_11target_archE908ELNS1_3gpuE7ELNS1_3repE0EEENS1_30default_config_static_selectorELNS0_4arch9wavefront6targetE1EEEvT1_
		.amdhsa_group_segment_fixed_size 0
		.amdhsa_private_segment_fixed_size 0
		.amdhsa_kernarg_size 112
		.amdhsa_user_sgpr_count 6
		.amdhsa_user_sgpr_private_segment_buffer 1
		.amdhsa_user_sgpr_dispatch_ptr 0
		.amdhsa_user_sgpr_queue_ptr 0
		.amdhsa_user_sgpr_kernarg_segment_ptr 1
		.amdhsa_user_sgpr_dispatch_id 0
		.amdhsa_user_sgpr_flat_scratch_init 0
		.amdhsa_user_sgpr_kernarg_preload_length 0
		.amdhsa_user_sgpr_kernarg_preload_offset 0
		.amdhsa_user_sgpr_private_segment_size 0
		.amdhsa_uses_dynamic_stack 0
		.amdhsa_system_sgpr_private_segment_wavefront_offset 0
		.amdhsa_system_sgpr_workgroup_id_x 1
		.amdhsa_system_sgpr_workgroup_id_y 0
		.amdhsa_system_sgpr_workgroup_id_z 0
		.amdhsa_system_sgpr_workgroup_info 0
		.amdhsa_system_vgpr_workitem_id 0
		.amdhsa_next_free_vgpr 1
		.amdhsa_next_free_sgpr 0
		.amdhsa_accum_offset 4
		.amdhsa_reserve_vcc 0
		.amdhsa_reserve_flat_scratch 0
		.amdhsa_float_round_mode_32 0
		.amdhsa_float_round_mode_16_64 0
		.amdhsa_float_denorm_mode_32 3
		.amdhsa_float_denorm_mode_16_64 3
		.amdhsa_dx10_clamp 1
		.amdhsa_ieee_mode 1
		.amdhsa_fp16_overflow 0
		.amdhsa_tg_split 0
		.amdhsa_exception_fp_ieee_invalid_op 0
		.amdhsa_exception_fp_denorm_src 0
		.amdhsa_exception_fp_ieee_div_zero 0
		.amdhsa_exception_fp_ieee_overflow 0
		.amdhsa_exception_fp_ieee_underflow 0
		.amdhsa_exception_fp_ieee_inexact 0
		.amdhsa_exception_int_div_zero 0
	.end_amdhsa_kernel
	.section	.text._ZN7rocprim17ROCPRIM_400000_NS6detail17trampoline_kernelINS0_14default_configENS1_27scan_by_key_config_selectorIifEEZZNS1_16scan_by_key_implILNS1_25lookback_scan_determinismE0ELb1ES3_N6thrust23THRUST_200600_302600_NS6detail15normal_iteratorINS9_10device_ptrIiEEEENSB_INSC_IjEEEESE_fNS9_4plusIvEENS9_8equal_toIvEEfEE10hipError_tPvRmT2_T3_T4_T5_mT6_T7_P12ihipStream_tbENKUlT_T0_E_clISt17integral_constantIbLb0EES11_EEDaSW_SX_EUlSW_E_NS1_11comp_targetILNS1_3genE3ELNS1_11target_archE908ELNS1_3gpuE7ELNS1_3repE0EEENS1_30default_config_static_selectorELNS0_4arch9wavefront6targetE1EEEvT1_,"axG",@progbits,_ZN7rocprim17ROCPRIM_400000_NS6detail17trampoline_kernelINS0_14default_configENS1_27scan_by_key_config_selectorIifEEZZNS1_16scan_by_key_implILNS1_25lookback_scan_determinismE0ELb1ES3_N6thrust23THRUST_200600_302600_NS6detail15normal_iteratorINS9_10device_ptrIiEEEENSB_INSC_IjEEEESE_fNS9_4plusIvEENS9_8equal_toIvEEfEE10hipError_tPvRmT2_T3_T4_T5_mT6_T7_P12ihipStream_tbENKUlT_T0_E_clISt17integral_constantIbLb0EES11_EEDaSW_SX_EUlSW_E_NS1_11comp_targetILNS1_3genE3ELNS1_11target_archE908ELNS1_3gpuE7ELNS1_3repE0EEENS1_30default_config_static_selectorELNS0_4arch9wavefront6targetE1EEEvT1_,comdat
.Lfunc_end1792:
	.size	_ZN7rocprim17ROCPRIM_400000_NS6detail17trampoline_kernelINS0_14default_configENS1_27scan_by_key_config_selectorIifEEZZNS1_16scan_by_key_implILNS1_25lookback_scan_determinismE0ELb1ES3_N6thrust23THRUST_200600_302600_NS6detail15normal_iteratorINS9_10device_ptrIiEEEENSB_INSC_IjEEEESE_fNS9_4plusIvEENS9_8equal_toIvEEfEE10hipError_tPvRmT2_T3_T4_T5_mT6_T7_P12ihipStream_tbENKUlT_T0_E_clISt17integral_constantIbLb0EES11_EEDaSW_SX_EUlSW_E_NS1_11comp_targetILNS1_3genE3ELNS1_11target_archE908ELNS1_3gpuE7ELNS1_3repE0EEENS1_30default_config_static_selectorELNS0_4arch9wavefront6targetE1EEEvT1_, .Lfunc_end1792-_ZN7rocprim17ROCPRIM_400000_NS6detail17trampoline_kernelINS0_14default_configENS1_27scan_by_key_config_selectorIifEEZZNS1_16scan_by_key_implILNS1_25lookback_scan_determinismE0ELb1ES3_N6thrust23THRUST_200600_302600_NS6detail15normal_iteratorINS9_10device_ptrIiEEEENSB_INSC_IjEEEESE_fNS9_4plusIvEENS9_8equal_toIvEEfEE10hipError_tPvRmT2_T3_T4_T5_mT6_T7_P12ihipStream_tbENKUlT_T0_E_clISt17integral_constantIbLb0EES11_EEDaSW_SX_EUlSW_E_NS1_11comp_targetILNS1_3genE3ELNS1_11target_archE908ELNS1_3gpuE7ELNS1_3repE0EEENS1_30default_config_static_selectorELNS0_4arch9wavefront6targetE1EEEvT1_
                                        ; -- End function
	.section	.AMDGPU.csdata,"",@progbits
; Kernel info:
; codeLenInByte = 0
; NumSgprs: 4
; NumVgprs: 0
; NumAgprs: 0
; TotalNumVgprs: 0
; ScratchSize: 0
; MemoryBound: 0
; FloatMode: 240
; IeeeMode: 1
; LDSByteSize: 0 bytes/workgroup (compile time only)
; SGPRBlocks: 0
; VGPRBlocks: 0
; NumSGPRsForWavesPerEU: 4
; NumVGPRsForWavesPerEU: 1
; AccumOffset: 4
; Occupancy: 8
; WaveLimiterHint : 0
; COMPUTE_PGM_RSRC2:SCRATCH_EN: 0
; COMPUTE_PGM_RSRC2:USER_SGPR: 6
; COMPUTE_PGM_RSRC2:TRAP_HANDLER: 0
; COMPUTE_PGM_RSRC2:TGID_X_EN: 1
; COMPUTE_PGM_RSRC2:TGID_Y_EN: 0
; COMPUTE_PGM_RSRC2:TGID_Z_EN: 0
; COMPUTE_PGM_RSRC2:TIDIG_COMP_CNT: 0
; COMPUTE_PGM_RSRC3_GFX90A:ACCUM_OFFSET: 0
; COMPUTE_PGM_RSRC3_GFX90A:TG_SPLIT: 0
	.section	.text._ZN7rocprim17ROCPRIM_400000_NS6detail17trampoline_kernelINS0_14default_configENS1_27scan_by_key_config_selectorIifEEZZNS1_16scan_by_key_implILNS1_25lookback_scan_determinismE0ELb1ES3_N6thrust23THRUST_200600_302600_NS6detail15normal_iteratorINS9_10device_ptrIiEEEENSB_INSC_IjEEEESE_fNS9_4plusIvEENS9_8equal_toIvEEfEE10hipError_tPvRmT2_T3_T4_T5_mT6_T7_P12ihipStream_tbENKUlT_T0_E_clISt17integral_constantIbLb0EES11_EEDaSW_SX_EUlSW_E_NS1_11comp_targetILNS1_3genE2ELNS1_11target_archE906ELNS1_3gpuE6ELNS1_3repE0EEENS1_30default_config_static_selectorELNS0_4arch9wavefront6targetE1EEEvT1_,"axG",@progbits,_ZN7rocprim17ROCPRIM_400000_NS6detail17trampoline_kernelINS0_14default_configENS1_27scan_by_key_config_selectorIifEEZZNS1_16scan_by_key_implILNS1_25lookback_scan_determinismE0ELb1ES3_N6thrust23THRUST_200600_302600_NS6detail15normal_iteratorINS9_10device_ptrIiEEEENSB_INSC_IjEEEESE_fNS9_4plusIvEENS9_8equal_toIvEEfEE10hipError_tPvRmT2_T3_T4_T5_mT6_T7_P12ihipStream_tbENKUlT_T0_E_clISt17integral_constantIbLb0EES11_EEDaSW_SX_EUlSW_E_NS1_11comp_targetILNS1_3genE2ELNS1_11target_archE906ELNS1_3gpuE6ELNS1_3repE0EEENS1_30default_config_static_selectorELNS0_4arch9wavefront6targetE1EEEvT1_,comdat
	.protected	_ZN7rocprim17ROCPRIM_400000_NS6detail17trampoline_kernelINS0_14default_configENS1_27scan_by_key_config_selectorIifEEZZNS1_16scan_by_key_implILNS1_25lookback_scan_determinismE0ELb1ES3_N6thrust23THRUST_200600_302600_NS6detail15normal_iteratorINS9_10device_ptrIiEEEENSB_INSC_IjEEEESE_fNS9_4plusIvEENS9_8equal_toIvEEfEE10hipError_tPvRmT2_T3_T4_T5_mT6_T7_P12ihipStream_tbENKUlT_T0_E_clISt17integral_constantIbLb0EES11_EEDaSW_SX_EUlSW_E_NS1_11comp_targetILNS1_3genE2ELNS1_11target_archE906ELNS1_3gpuE6ELNS1_3repE0EEENS1_30default_config_static_selectorELNS0_4arch9wavefront6targetE1EEEvT1_ ; -- Begin function _ZN7rocprim17ROCPRIM_400000_NS6detail17trampoline_kernelINS0_14default_configENS1_27scan_by_key_config_selectorIifEEZZNS1_16scan_by_key_implILNS1_25lookback_scan_determinismE0ELb1ES3_N6thrust23THRUST_200600_302600_NS6detail15normal_iteratorINS9_10device_ptrIiEEEENSB_INSC_IjEEEESE_fNS9_4plusIvEENS9_8equal_toIvEEfEE10hipError_tPvRmT2_T3_T4_T5_mT6_T7_P12ihipStream_tbENKUlT_T0_E_clISt17integral_constantIbLb0EES11_EEDaSW_SX_EUlSW_E_NS1_11comp_targetILNS1_3genE2ELNS1_11target_archE906ELNS1_3gpuE6ELNS1_3repE0EEENS1_30default_config_static_selectorELNS0_4arch9wavefront6targetE1EEEvT1_
	.globl	_ZN7rocprim17ROCPRIM_400000_NS6detail17trampoline_kernelINS0_14default_configENS1_27scan_by_key_config_selectorIifEEZZNS1_16scan_by_key_implILNS1_25lookback_scan_determinismE0ELb1ES3_N6thrust23THRUST_200600_302600_NS6detail15normal_iteratorINS9_10device_ptrIiEEEENSB_INSC_IjEEEESE_fNS9_4plusIvEENS9_8equal_toIvEEfEE10hipError_tPvRmT2_T3_T4_T5_mT6_T7_P12ihipStream_tbENKUlT_T0_E_clISt17integral_constantIbLb0EES11_EEDaSW_SX_EUlSW_E_NS1_11comp_targetILNS1_3genE2ELNS1_11target_archE906ELNS1_3gpuE6ELNS1_3repE0EEENS1_30default_config_static_selectorELNS0_4arch9wavefront6targetE1EEEvT1_
	.p2align	8
	.type	_ZN7rocprim17ROCPRIM_400000_NS6detail17trampoline_kernelINS0_14default_configENS1_27scan_by_key_config_selectorIifEEZZNS1_16scan_by_key_implILNS1_25lookback_scan_determinismE0ELb1ES3_N6thrust23THRUST_200600_302600_NS6detail15normal_iteratorINS9_10device_ptrIiEEEENSB_INSC_IjEEEESE_fNS9_4plusIvEENS9_8equal_toIvEEfEE10hipError_tPvRmT2_T3_T4_T5_mT6_T7_P12ihipStream_tbENKUlT_T0_E_clISt17integral_constantIbLb0EES11_EEDaSW_SX_EUlSW_E_NS1_11comp_targetILNS1_3genE2ELNS1_11target_archE906ELNS1_3gpuE6ELNS1_3repE0EEENS1_30default_config_static_selectorELNS0_4arch9wavefront6targetE1EEEvT1_,@function
_ZN7rocprim17ROCPRIM_400000_NS6detail17trampoline_kernelINS0_14default_configENS1_27scan_by_key_config_selectorIifEEZZNS1_16scan_by_key_implILNS1_25lookback_scan_determinismE0ELb1ES3_N6thrust23THRUST_200600_302600_NS6detail15normal_iteratorINS9_10device_ptrIiEEEENSB_INSC_IjEEEESE_fNS9_4plusIvEENS9_8equal_toIvEEfEE10hipError_tPvRmT2_T3_T4_T5_mT6_T7_P12ihipStream_tbENKUlT_T0_E_clISt17integral_constantIbLb0EES11_EEDaSW_SX_EUlSW_E_NS1_11comp_targetILNS1_3genE2ELNS1_11target_archE906ELNS1_3gpuE6ELNS1_3repE0EEENS1_30default_config_static_selectorELNS0_4arch9wavefront6targetE1EEEvT1_: ; @_ZN7rocprim17ROCPRIM_400000_NS6detail17trampoline_kernelINS0_14default_configENS1_27scan_by_key_config_selectorIifEEZZNS1_16scan_by_key_implILNS1_25lookback_scan_determinismE0ELb1ES3_N6thrust23THRUST_200600_302600_NS6detail15normal_iteratorINS9_10device_ptrIiEEEENSB_INSC_IjEEEESE_fNS9_4plusIvEENS9_8equal_toIvEEfEE10hipError_tPvRmT2_T3_T4_T5_mT6_T7_P12ihipStream_tbENKUlT_T0_E_clISt17integral_constantIbLb0EES11_EEDaSW_SX_EUlSW_E_NS1_11comp_targetILNS1_3genE2ELNS1_11target_archE906ELNS1_3gpuE6ELNS1_3repE0EEENS1_30default_config_static_selectorELNS0_4arch9wavefront6targetE1EEEvT1_
; %bb.0:
	.section	.rodata,"a",@progbits
	.p2align	6, 0x0
	.amdhsa_kernel _ZN7rocprim17ROCPRIM_400000_NS6detail17trampoline_kernelINS0_14default_configENS1_27scan_by_key_config_selectorIifEEZZNS1_16scan_by_key_implILNS1_25lookback_scan_determinismE0ELb1ES3_N6thrust23THRUST_200600_302600_NS6detail15normal_iteratorINS9_10device_ptrIiEEEENSB_INSC_IjEEEESE_fNS9_4plusIvEENS9_8equal_toIvEEfEE10hipError_tPvRmT2_T3_T4_T5_mT6_T7_P12ihipStream_tbENKUlT_T0_E_clISt17integral_constantIbLb0EES11_EEDaSW_SX_EUlSW_E_NS1_11comp_targetILNS1_3genE2ELNS1_11target_archE906ELNS1_3gpuE6ELNS1_3repE0EEENS1_30default_config_static_selectorELNS0_4arch9wavefront6targetE1EEEvT1_
		.amdhsa_group_segment_fixed_size 0
		.amdhsa_private_segment_fixed_size 0
		.amdhsa_kernarg_size 112
		.amdhsa_user_sgpr_count 6
		.amdhsa_user_sgpr_private_segment_buffer 1
		.amdhsa_user_sgpr_dispatch_ptr 0
		.amdhsa_user_sgpr_queue_ptr 0
		.amdhsa_user_sgpr_kernarg_segment_ptr 1
		.amdhsa_user_sgpr_dispatch_id 0
		.amdhsa_user_sgpr_flat_scratch_init 0
		.amdhsa_user_sgpr_kernarg_preload_length 0
		.amdhsa_user_sgpr_kernarg_preload_offset 0
		.amdhsa_user_sgpr_private_segment_size 0
		.amdhsa_uses_dynamic_stack 0
		.amdhsa_system_sgpr_private_segment_wavefront_offset 0
		.amdhsa_system_sgpr_workgroup_id_x 1
		.amdhsa_system_sgpr_workgroup_id_y 0
		.amdhsa_system_sgpr_workgroup_id_z 0
		.amdhsa_system_sgpr_workgroup_info 0
		.amdhsa_system_vgpr_workitem_id 0
		.amdhsa_next_free_vgpr 1
		.amdhsa_next_free_sgpr 0
		.amdhsa_accum_offset 4
		.amdhsa_reserve_vcc 0
		.amdhsa_reserve_flat_scratch 0
		.amdhsa_float_round_mode_32 0
		.amdhsa_float_round_mode_16_64 0
		.amdhsa_float_denorm_mode_32 3
		.amdhsa_float_denorm_mode_16_64 3
		.amdhsa_dx10_clamp 1
		.amdhsa_ieee_mode 1
		.amdhsa_fp16_overflow 0
		.amdhsa_tg_split 0
		.amdhsa_exception_fp_ieee_invalid_op 0
		.amdhsa_exception_fp_denorm_src 0
		.amdhsa_exception_fp_ieee_div_zero 0
		.amdhsa_exception_fp_ieee_overflow 0
		.amdhsa_exception_fp_ieee_underflow 0
		.amdhsa_exception_fp_ieee_inexact 0
		.amdhsa_exception_int_div_zero 0
	.end_amdhsa_kernel
	.section	.text._ZN7rocprim17ROCPRIM_400000_NS6detail17trampoline_kernelINS0_14default_configENS1_27scan_by_key_config_selectorIifEEZZNS1_16scan_by_key_implILNS1_25lookback_scan_determinismE0ELb1ES3_N6thrust23THRUST_200600_302600_NS6detail15normal_iteratorINS9_10device_ptrIiEEEENSB_INSC_IjEEEESE_fNS9_4plusIvEENS9_8equal_toIvEEfEE10hipError_tPvRmT2_T3_T4_T5_mT6_T7_P12ihipStream_tbENKUlT_T0_E_clISt17integral_constantIbLb0EES11_EEDaSW_SX_EUlSW_E_NS1_11comp_targetILNS1_3genE2ELNS1_11target_archE906ELNS1_3gpuE6ELNS1_3repE0EEENS1_30default_config_static_selectorELNS0_4arch9wavefront6targetE1EEEvT1_,"axG",@progbits,_ZN7rocprim17ROCPRIM_400000_NS6detail17trampoline_kernelINS0_14default_configENS1_27scan_by_key_config_selectorIifEEZZNS1_16scan_by_key_implILNS1_25lookback_scan_determinismE0ELb1ES3_N6thrust23THRUST_200600_302600_NS6detail15normal_iteratorINS9_10device_ptrIiEEEENSB_INSC_IjEEEESE_fNS9_4plusIvEENS9_8equal_toIvEEfEE10hipError_tPvRmT2_T3_T4_T5_mT6_T7_P12ihipStream_tbENKUlT_T0_E_clISt17integral_constantIbLb0EES11_EEDaSW_SX_EUlSW_E_NS1_11comp_targetILNS1_3genE2ELNS1_11target_archE906ELNS1_3gpuE6ELNS1_3repE0EEENS1_30default_config_static_selectorELNS0_4arch9wavefront6targetE1EEEvT1_,comdat
.Lfunc_end1793:
	.size	_ZN7rocprim17ROCPRIM_400000_NS6detail17trampoline_kernelINS0_14default_configENS1_27scan_by_key_config_selectorIifEEZZNS1_16scan_by_key_implILNS1_25lookback_scan_determinismE0ELb1ES3_N6thrust23THRUST_200600_302600_NS6detail15normal_iteratorINS9_10device_ptrIiEEEENSB_INSC_IjEEEESE_fNS9_4plusIvEENS9_8equal_toIvEEfEE10hipError_tPvRmT2_T3_T4_T5_mT6_T7_P12ihipStream_tbENKUlT_T0_E_clISt17integral_constantIbLb0EES11_EEDaSW_SX_EUlSW_E_NS1_11comp_targetILNS1_3genE2ELNS1_11target_archE906ELNS1_3gpuE6ELNS1_3repE0EEENS1_30default_config_static_selectorELNS0_4arch9wavefront6targetE1EEEvT1_, .Lfunc_end1793-_ZN7rocprim17ROCPRIM_400000_NS6detail17trampoline_kernelINS0_14default_configENS1_27scan_by_key_config_selectorIifEEZZNS1_16scan_by_key_implILNS1_25lookback_scan_determinismE0ELb1ES3_N6thrust23THRUST_200600_302600_NS6detail15normal_iteratorINS9_10device_ptrIiEEEENSB_INSC_IjEEEESE_fNS9_4plusIvEENS9_8equal_toIvEEfEE10hipError_tPvRmT2_T3_T4_T5_mT6_T7_P12ihipStream_tbENKUlT_T0_E_clISt17integral_constantIbLb0EES11_EEDaSW_SX_EUlSW_E_NS1_11comp_targetILNS1_3genE2ELNS1_11target_archE906ELNS1_3gpuE6ELNS1_3repE0EEENS1_30default_config_static_selectorELNS0_4arch9wavefront6targetE1EEEvT1_
                                        ; -- End function
	.section	.AMDGPU.csdata,"",@progbits
; Kernel info:
; codeLenInByte = 0
; NumSgprs: 4
; NumVgprs: 0
; NumAgprs: 0
; TotalNumVgprs: 0
; ScratchSize: 0
; MemoryBound: 0
; FloatMode: 240
; IeeeMode: 1
; LDSByteSize: 0 bytes/workgroup (compile time only)
; SGPRBlocks: 0
; VGPRBlocks: 0
; NumSGPRsForWavesPerEU: 4
; NumVGPRsForWavesPerEU: 1
; AccumOffset: 4
; Occupancy: 8
; WaveLimiterHint : 0
; COMPUTE_PGM_RSRC2:SCRATCH_EN: 0
; COMPUTE_PGM_RSRC2:USER_SGPR: 6
; COMPUTE_PGM_RSRC2:TRAP_HANDLER: 0
; COMPUTE_PGM_RSRC2:TGID_X_EN: 1
; COMPUTE_PGM_RSRC2:TGID_Y_EN: 0
; COMPUTE_PGM_RSRC2:TGID_Z_EN: 0
; COMPUTE_PGM_RSRC2:TIDIG_COMP_CNT: 0
; COMPUTE_PGM_RSRC3_GFX90A:ACCUM_OFFSET: 0
; COMPUTE_PGM_RSRC3_GFX90A:TG_SPLIT: 0
	.section	.text._ZN7rocprim17ROCPRIM_400000_NS6detail17trampoline_kernelINS0_14default_configENS1_27scan_by_key_config_selectorIifEEZZNS1_16scan_by_key_implILNS1_25lookback_scan_determinismE0ELb1ES3_N6thrust23THRUST_200600_302600_NS6detail15normal_iteratorINS9_10device_ptrIiEEEENSB_INSC_IjEEEESE_fNS9_4plusIvEENS9_8equal_toIvEEfEE10hipError_tPvRmT2_T3_T4_T5_mT6_T7_P12ihipStream_tbENKUlT_T0_E_clISt17integral_constantIbLb0EES11_EEDaSW_SX_EUlSW_E_NS1_11comp_targetILNS1_3genE10ELNS1_11target_archE1200ELNS1_3gpuE4ELNS1_3repE0EEENS1_30default_config_static_selectorELNS0_4arch9wavefront6targetE1EEEvT1_,"axG",@progbits,_ZN7rocprim17ROCPRIM_400000_NS6detail17trampoline_kernelINS0_14default_configENS1_27scan_by_key_config_selectorIifEEZZNS1_16scan_by_key_implILNS1_25lookback_scan_determinismE0ELb1ES3_N6thrust23THRUST_200600_302600_NS6detail15normal_iteratorINS9_10device_ptrIiEEEENSB_INSC_IjEEEESE_fNS9_4plusIvEENS9_8equal_toIvEEfEE10hipError_tPvRmT2_T3_T4_T5_mT6_T7_P12ihipStream_tbENKUlT_T0_E_clISt17integral_constantIbLb0EES11_EEDaSW_SX_EUlSW_E_NS1_11comp_targetILNS1_3genE10ELNS1_11target_archE1200ELNS1_3gpuE4ELNS1_3repE0EEENS1_30default_config_static_selectorELNS0_4arch9wavefront6targetE1EEEvT1_,comdat
	.protected	_ZN7rocprim17ROCPRIM_400000_NS6detail17trampoline_kernelINS0_14default_configENS1_27scan_by_key_config_selectorIifEEZZNS1_16scan_by_key_implILNS1_25lookback_scan_determinismE0ELb1ES3_N6thrust23THRUST_200600_302600_NS6detail15normal_iteratorINS9_10device_ptrIiEEEENSB_INSC_IjEEEESE_fNS9_4plusIvEENS9_8equal_toIvEEfEE10hipError_tPvRmT2_T3_T4_T5_mT6_T7_P12ihipStream_tbENKUlT_T0_E_clISt17integral_constantIbLb0EES11_EEDaSW_SX_EUlSW_E_NS1_11comp_targetILNS1_3genE10ELNS1_11target_archE1200ELNS1_3gpuE4ELNS1_3repE0EEENS1_30default_config_static_selectorELNS0_4arch9wavefront6targetE1EEEvT1_ ; -- Begin function _ZN7rocprim17ROCPRIM_400000_NS6detail17trampoline_kernelINS0_14default_configENS1_27scan_by_key_config_selectorIifEEZZNS1_16scan_by_key_implILNS1_25lookback_scan_determinismE0ELb1ES3_N6thrust23THRUST_200600_302600_NS6detail15normal_iteratorINS9_10device_ptrIiEEEENSB_INSC_IjEEEESE_fNS9_4plusIvEENS9_8equal_toIvEEfEE10hipError_tPvRmT2_T3_T4_T5_mT6_T7_P12ihipStream_tbENKUlT_T0_E_clISt17integral_constantIbLb0EES11_EEDaSW_SX_EUlSW_E_NS1_11comp_targetILNS1_3genE10ELNS1_11target_archE1200ELNS1_3gpuE4ELNS1_3repE0EEENS1_30default_config_static_selectorELNS0_4arch9wavefront6targetE1EEEvT1_
	.globl	_ZN7rocprim17ROCPRIM_400000_NS6detail17trampoline_kernelINS0_14default_configENS1_27scan_by_key_config_selectorIifEEZZNS1_16scan_by_key_implILNS1_25lookback_scan_determinismE0ELb1ES3_N6thrust23THRUST_200600_302600_NS6detail15normal_iteratorINS9_10device_ptrIiEEEENSB_INSC_IjEEEESE_fNS9_4plusIvEENS9_8equal_toIvEEfEE10hipError_tPvRmT2_T3_T4_T5_mT6_T7_P12ihipStream_tbENKUlT_T0_E_clISt17integral_constantIbLb0EES11_EEDaSW_SX_EUlSW_E_NS1_11comp_targetILNS1_3genE10ELNS1_11target_archE1200ELNS1_3gpuE4ELNS1_3repE0EEENS1_30default_config_static_selectorELNS0_4arch9wavefront6targetE1EEEvT1_
	.p2align	8
	.type	_ZN7rocprim17ROCPRIM_400000_NS6detail17trampoline_kernelINS0_14default_configENS1_27scan_by_key_config_selectorIifEEZZNS1_16scan_by_key_implILNS1_25lookback_scan_determinismE0ELb1ES3_N6thrust23THRUST_200600_302600_NS6detail15normal_iteratorINS9_10device_ptrIiEEEENSB_INSC_IjEEEESE_fNS9_4plusIvEENS9_8equal_toIvEEfEE10hipError_tPvRmT2_T3_T4_T5_mT6_T7_P12ihipStream_tbENKUlT_T0_E_clISt17integral_constantIbLb0EES11_EEDaSW_SX_EUlSW_E_NS1_11comp_targetILNS1_3genE10ELNS1_11target_archE1200ELNS1_3gpuE4ELNS1_3repE0EEENS1_30default_config_static_selectorELNS0_4arch9wavefront6targetE1EEEvT1_,@function
_ZN7rocprim17ROCPRIM_400000_NS6detail17trampoline_kernelINS0_14default_configENS1_27scan_by_key_config_selectorIifEEZZNS1_16scan_by_key_implILNS1_25lookback_scan_determinismE0ELb1ES3_N6thrust23THRUST_200600_302600_NS6detail15normal_iteratorINS9_10device_ptrIiEEEENSB_INSC_IjEEEESE_fNS9_4plusIvEENS9_8equal_toIvEEfEE10hipError_tPvRmT2_T3_T4_T5_mT6_T7_P12ihipStream_tbENKUlT_T0_E_clISt17integral_constantIbLb0EES11_EEDaSW_SX_EUlSW_E_NS1_11comp_targetILNS1_3genE10ELNS1_11target_archE1200ELNS1_3gpuE4ELNS1_3repE0EEENS1_30default_config_static_selectorELNS0_4arch9wavefront6targetE1EEEvT1_: ; @_ZN7rocprim17ROCPRIM_400000_NS6detail17trampoline_kernelINS0_14default_configENS1_27scan_by_key_config_selectorIifEEZZNS1_16scan_by_key_implILNS1_25lookback_scan_determinismE0ELb1ES3_N6thrust23THRUST_200600_302600_NS6detail15normal_iteratorINS9_10device_ptrIiEEEENSB_INSC_IjEEEESE_fNS9_4plusIvEENS9_8equal_toIvEEfEE10hipError_tPvRmT2_T3_T4_T5_mT6_T7_P12ihipStream_tbENKUlT_T0_E_clISt17integral_constantIbLb0EES11_EEDaSW_SX_EUlSW_E_NS1_11comp_targetILNS1_3genE10ELNS1_11target_archE1200ELNS1_3gpuE4ELNS1_3repE0EEENS1_30default_config_static_selectorELNS0_4arch9wavefront6targetE1EEEvT1_
; %bb.0:
	.section	.rodata,"a",@progbits
	.p2align	6, 0x0
	.amdhsa_kernel _ZN7rocprim17ROCPRIM_400000_NS6detail17trampoline_kernelINS0_14default_configENS1_27scan_by_key_config_selectorIifEEZZNS1_16scan_by_key_implILNS1_25lookback_scan_determinismE0ELb1ES3_N6thrust23THRUST_200600_302600_NS6detail15normal_iteratorINS9_10device_ptrIiEEEENSB_INSC_IjEEEESE_fNS9_4plusIvEENS9_8equal_toIvEEfEE10hipError_tPvRmT2_T3_T4_T5_mT6_T7_P12ihipStream_tbENKUlT_T0_E_clISt17integral_constantIbLb0EES11_EEDaSW_SX_EUlSW_E_NS1_11comp_targetILNS1_3genE10ELNS1_11target_archE1200ELNS1_3gpuE4ELNS1_3repE0EEENS1_30default_config_static_selectorELNS0_4arch9wavefront6targetE1EEEvT1_
		.amdhsa_group_segment_fixed_size 0
		.amdhsa_private_segment_fixed_size 0
		.amdhsa_kernarg_size 112
		.amdhsa_user_sgpr_count 6
		.amdhsa_user_sgpr_private_segment_buffer 1
		.amdhsa_user_sgpr_dispatch_ptr 0
		.amdhsa_user_sgpr_queue_ptr 0
		.amdhsa_user_sgpr_kernarg_segment_ptr 1
		.amdhsa_user_sgpr_dispatch_id 0
		.amdhsa_user_sgpr_flat_scratch_init 0
		.amdhsa_user_sgpr_kernarg_preload_length 0
		.amdhsa_user_sgpr_kernarg_preload_offset 0
		.amdhsa_user_sgpr_private_segment_size 0
		.amdhsa_uses_dynamic_stack 0
		.amdhsa_system_sgpr_private_segment_wavefront_offset 0
		.amdhsa_system_sgpr_workgroup_id_x 1
		.amdhsa_system_sgpr_workgroup_id_y 0
		.amdhsa_system_sgpr_workgroup_id_z 0
		.amdhsa_system_sgpr_workgroup_info 0
		.amdhsa_system_vgpr_workitem_id 0
		.amdhsa_next_free_vgpr 1
		.amdhsa_next_free_sgpr 0
		.amdhsa_accum_offset 4
		.amdhsa_reserve_vcc 0
		.amdhsa_reserve_flat_scratch 0
		.amdhsa_float_round_mode_32 0
		.amdhsa_float_round_mode_16_64 0
		.amdhsa_float_denorm_mode_32 3
		.amdhsa_float_denorm_mode_16_64 3
		.amdhsa_dx10_clamp 1
		.amdhsa_ieee_mode 1
		.amdhsa_fp16_overflow 0
		.amdhsa_tg_split 0
		.amdhsa_exception_fp_ieee_invalid_op 0
		.amdhsa_exception_fp_denorm_src 0
		.amdhsa_exception_fp_ieee_div_zero 0
		.amdhsa_exception_fp_ieee_overflow 0
		.amdhsa_exception_fp_ieee_underflow 0
		.amdhsa_exception_fp_ieee_inexact 0
		.amdhsa_exception_int_div_zero 0
	.end_amdhsa_kernel
	.section	.text._ZN7rocprim17ROCPRIM_400000_NS6detail17trampoline_kernelINS0_14default_configENS1_27scan_by_key_config_selectorIifEEZZNS1_16scan_by_key_implILNS1_25lookback_scan_determinismE0ELb1ES3_N6thrust23THRUST_200600_302600_NS6detail15normal_iteratorINS9_10device_ptrIiEEEENSB_INSC_IjEEEESE_fNS9_4plusIvEENS9_8equal_toIvEEfEE10hipError_tPvRmT2_T3_T4_T5_mT6_T7_P12ihipStream_tbENKUlT_T0_E_clISt17integral_constantIbLb0EES11_EEDaSW_SX_EUlSW_E_NS1_11comp_targetILNS1_3genE10ELNS1_11target_archE1200ELNS1_3gpuE4ELNS1_3repE0EEENS1_30default_config_static_selectorELNS0_4arch9wavefront6targetE1EEEvT1_,"axG",@progbits,_ZN7rocprim17ROCPRIM_400000_NS6detail17trampoline_kernelINS0_14default_configENS1_27scan_by_key_config_selectorIifEEZZNS1_16scan_by_key_implILNS1_25lookback_scan_determinismE0ELb1ES3_N6thrust23THRUST_200600_302600_NS6detail15normal_iteratorINS9_10device_ptrIiEEEENSB_INSC_IjEEEESE_fNS9_4plusIvEENS9_8equal_toIvEEfEE10hipError_tPvRmT2_T3_T4_T5_mT6_T7_P12ihipStream_tbENKUlT_T0_E_clISt17integral_constantIbLb0EES11_EEDaSW_SX_EUlSW_E_NS1_11comp_targetILNS1_3genE10ELNS1_11target_archE1200ELNS1_3gpuE4ELNS1_3repE0EEENS1_30default_config_static_selectorELNS0_4arch9wavefront6targetE1EEEvT1_,comdat
.Lfunc_end1794:
	.size	_ZN7rocprim17ROCPRIM_400000_NS6detail17trampoline_kernelINS0_14default_configENS1_27scan_by_key_config_selectorIifEEZZNS1_16scan_by_key_implILNS1_25lookback_scan_determinismE0ELb1ES3_N6thrust23THRUST_200600_302600_NS6detail15normal_iteratorINS9_10device_ptrIiEEEENSB_INSC_IjEEEESE_fNS9_4plusIvEENS9_8equal_toIvEEfEE10hipError_tPvRmT2_T3_T4_T5_mT6_T7_P12ihipStream_tbENKUlT_T0_E_clISt17integral_constantIbLb0EES11_EEDaSW_SX_EUlSW_E_NS1_11comp_targetILNS1_3genE10ELNS1_11target_archE1200ELNS1_3gpuE4ELNS1_3repE0EEENS1_30default_config_static_selectorELNS0_4arch9wavefront6targetE1EEEvT1_, .Lfunc_end1794-_ZN7rocprim17ROCPRIM_400000_NS6detail17trampoline_kernelINS0_14default_configENS1_27scan_by_key_config_selectorIifEEZZNS1_16scan_by_key_implILNS1_25lookback_scan_determinismE0ELb1ES3_N6thrust23THRUST_200600_302600_NS6detail15normal_iteratorINS9_10device_ptrIiEEEENSB_INSC_IjEEEESE_fNS9_4plusIvEENS9_8equal_toIvEEfEE10hipError_tPvRmT2_T3_T4_T5_mT6_T7_P12ihipStream_tbENKUlT_T0_E_clISt17integral_constantIbLb0EES11_EEDaSW_SX_EUlSW_E_NS1_11comp_targetILNS1_3genE10ELNS1_11target_archE1200ELNS1_3gpuE4ELNS1_3repE0EEENS1_30default_config_static_selectorELNS0_4arch9wavefront6targetE1EEEvT1_
                                        ; -- End function
	.section	.AMDGPU.csdata,"",@progbits
; Kernel info:
; codeLenInByte = 0
; NumSgprs: 4
; NumVgprs: 0
; NumAgprs: 0
; TotalNumVgprs: 0
; ScratchSize: 0
; MemoryBound: 0
; FloatMode: 240
; IeeeMode: 1
; LDSByteSize: 0 bytes/workgroup (compile time only)
; SGPRBlocks: 0
; VGPRBlocks: 0
; NumSGPRsForWavesPerEU: 4
; NumVGPRsForWavesPerEU: 1
; AccumOffset: 4
; Occupancy: 8
; WaveLimiterHint : 0
; COMPUTE_PGM_RSRC2:SCRATCH_EN: 0
; COMPUTE_PGM_RSRC2:USER_SGPR: 6
; COMPUTE_PGM_RSRC2:TRAP_HANDLER: 0
; COMPUTE_PGM_RSRC2:TGID_X_EN: 1
; COMPUTE_PGM_RSRC2:TGID_Y_EN: 0
; COMPUTE_PGM_RSRC2:TGID_Z_EN: 0
; COMPUTE_PGM_RSRC2:TIDIG_COMP_CNT: 0
; COMPUTE_PGM_RSRC3_GFX90A:ACCUM_OFFSET: 0
; COMPUTE_PGM_RSRC3_GFX90A:TG_SPLIT: 0
	.section	.text._ZN7rocprim17ROCPRIM_400000_NS6detail17trampoline_kernelINS0_14default_configENS1_27scan_by_key_config_selectorIifEEZZNS1_16scan_by_key_implILNS1_25lookback_scan_determinismE0ELb1ES3_N6thrust23THRUST_200600_302600_NS6detail15normal_iteratorINS9_10device_ptrIiEEEENSB_INSC_IjEEEESE_fNS9_4plusIvEENS9_8equal_toIvEEfEE10hipError_tPvRmT2_T3_T4_T5_mT6_T7_P12ihipStream_tbENKUlT_T0_E_clISt17integral_constantIbLb0EES11_EEDaSW_SX_EUlSW_E_NS1_11comp_targetILNS1_3genE9ELNS1_11target_archE1100ELNS1_3gpuE3ELNS1_3repE0EEENS1_30default_config_static_selectorELNS0_4arch9wavefront6targetE1EEEvT1_,"axG",@progbits,_ZN7rocprim17ROCPRIM_400000_NS6detail17trampoline_kernelINS0_14default_configENS1_27scan_by_key_config_selectorIifEEZZNS1_16scan_by_key_implILNS1_25lookback_scan_determinismE0ELb1ES3_N6thrust23THRUST_200600_302600_NS6detail15normal_iteratorINS9_10device_ptrIiEEEENSB_INSC_IjEEEESE_fNS9_4plusIvEENS9_8equal_toIvEEfEE10hipError_tPvRmT2_T3_T4_T5_mT6_T7_P12ihipStream_tbENKUlT_T0_E_clISt17integral_constantIbLb0EES11_EEDaSW_SX_EUlSW_E_NS1_11comp_targetILNS1_3genE9ELNS1_11target_archE1100ELNS1_3gpuE3ELNS1_3repE0EEENS1_30default_config_static_selectorELNS0_4arch9wavefront6targetE1EEEvT1_,comdat
	.protected	_ZN7rocprim17ROCPRIM_400000_NS6detail17trampoline_kernelINS0_14default_configENS1_27scan_by_key_config_selectorIifEEZZNS1_16scan_by_key_implILNS1_25lookback_scan_determinismE0ELb1ES3_N6thrust23THRUST_200600_302600_NS6detail15normal_iteratorINS9_10device_ptrIiEEEENSB_INSC_IjEEEESE_fNS9_4plusIvEENS9_8equal_toIvEEfEE10hipError_tPvRmT2_T3_T4_T5_mT6_T7_P12ihipStream_tbENKUlT_T0_E_clISt17integral_constantIbLb0EES11_EEDaSW_SX_EUlSW_E_NS1_11comp_targetILNS1_3genE9ELNS1_11target_archE1100ELNS1_3gpuE3ELNS1_3repE0EEENS1_30default_config_static_selectorELNS0_4arch9wavefront6targetE1EEEvT1_ ; -- Begin function _ZN7rocprim17ROCPRIM_400000_NS6detail17trampoline_kernelINS0_14default_configENS1_27scan_by_key_config_selectorIifEEZZNS1_16scan_by_key_implILNS1_25lookback_scan_determinismE0ELb1ES3_N6thrust23THRUST_200600_302600_NS6detail15normal_iteratorINS9_10device_ptrIiEEEENSB_INSC_IjEEEESE_fNS9_4plusIvEENS9_8equal_toIvEEfEE10hipError_tPvRmT2_T3_T4_T5_mT6_T7_P12ihipStream_tbENKUlT_T0_E_clISt17integral_constantIbLb0EES11_EEDaSW_SX_EUlSW_E_NS1_11comp_targetILNS1_3genE9ELNS1_11target_archE1100ELNS1_3gpuE3ELNS1_3repE0EEENS1_30default_config_static_selectorELNS0_4arch9wavefront6targetE1EEEvT1_
	.globl	_ZN7rocprim17ROCPRIM_400000_NS6detail17trampoline_kernelINS0_14default_configENS1_27scan_by_key_config_selectorIifEEZZNS1_16scan_by_key_implILNS1_25lookback_scan_determinismE0ELb1ES3_N6thrust23THRUST_200600_302600_NS6detail15normal_iteratorINS9_10device_ptrIiEEEENSB_INSC_IjEEEESE_fNS9_4plusIvEENS9_8equal_toIvEEfEE10hipError_tPvRmT2_T3_T4_T5_mT6_T7_P12ihipStream_tbENKUlT_T0_E_clISt17integral_constantIbLb0EES11_EEDaSW_SX_EUlSW_E_NS1_11comp_targetILNS1_3genE9ELNS1_11target_archE1100ELNS1_3gpuE3ELNS1_3repE0EEENS1_30default_config_static_selectorELNS0_4arch9wavefront6targetE1EEEvT1_
	.p2align	8
	.type	_ZN7rocprim17ROCPRIM_400000_NS6detail17trampoline_kernelINS0_14default_configENS1_27scan_by_key_config_selectorIifEEZZNS1_16scan_by_key_implILNS1_25lookback_scan_determinismE0ELb1ES3_N6thrust23THRUST_200600_302600_NS6detail15normal_iteratorINS9_10device_ptrIiEEEENSB_INSC_IjEEEESE_fNS9_4plusIvEENS9_8equal_toIvEEfEE10hipError_tPvRmT2_T3_T4_T5_mT6_T7_P12ihipStream_tbENKUlT_T0_E_clISt17integral_constantIbLb0EES11_EEDaSW_SX_EUlSW_E_NS1_11comp_targetILNS1_3genE9ELNS1_11target_archE1100ELNS1_3gpuE3ELNS1_3repE0EEENS1_30default_config_static_selectorELNS0_4arch9wavefront6targetE1EEEvT1_,@function
_ZN7rocprim17ROCPRIM_400000_NS6detail17trampoline_kernelINS0_14default_configENS1_27scan_by_key_config_selectorIifEEZZNS1_16scan_by_key_implILNS1_25lookback_scan_determinismE0ELb1ES3_N6thrust23THRUST_200600_302600_NS6detail15normal_iteratorINS9_10device_ptrIiEEEENSB_INSC_IjEEEESE_fNS9_4plusIvEENS9_8equal_toIvEEfEE10hipError_tPvRmT2_T3_T4_T5_mT6_T7_P12ihipStream_tbENKUlT_T0_E_clISt17integral_constantIbLb0EES11_EEDaSW_SX_EUlSW_E_NS1_11comp_targetILNS1_3genE9ELNS1_11target_archE1100ELNS1_3gpuE3ELNS1_3repE0EEENS1_30default_config_static_selectorELNS0_4arch9wavefront6targetE1EEEvT1_: ; @_ZN7rocprim17ROCPRIM_400000_NS6detail17trampoline_kernelINS0_14default_configENS1_27scan_by_key_config_selectorIifEEZZNS1_16scan_by_key_implILNS1_25lookback_scan_determinismE0ELb1ES3_N6thrust23THRUST_200600_302600_NS6detail15normal_iteratorINS9_10device_ptrIiEEEENSB_INSC_IjEEEESE_fNS9_4plusIvEENS9_8equal_toIvEEfEE10hipError_tPvRmT2_T3_T4_T5_mT6_T7_P12ihipStream_tbENKUlT_T0_E_clISt17integral_constantIbLb0EES11_EEDaSW_SX_EUlSW_E_NS1_11comp_targetILNS1_3genE9ELNS1_11target_archE1100ELNS1_3gpuE3ELNS1_3repE0EEENS1_30default_config_static_selectorELNS0_4arch9wavefront6targetE1EEEvT1_
; %bb.0:
	.section	.rodata,"a",@progbits
	.p2align	6, 0x0
	.amdhsa_kernel _ZN7rocprim17ROCPRIM_400000_NS6detail17trampoline_kernelINS0_14default_configENS1_27scan_by_key_config_selectorIifEEZZNS1_16scan_by_key_implILNS1_25lookback_scan_determinismE0ELb1ES3_N6thrust23THRUST_200600_302600_NS6detail15normal_iteratorINS9_10device_ptrIiEEEENSB_INSC_IjEEEESE_fNS9_4plusIvEENS9_8equal_toIvEEfEE10hipError_tPvRmT2_T3_T4_T5_mT6_T7_P12ihipStream_tbENKUlT_T0_E_clISt17integral_constantIbLb0EES11_EEDaSW_SX_EUlSW_E_NS1_11comp_targetILNS1_3genE9ELNS1_11target_archE1100ELNS1_3gpuE3ELNS1_3repE0EEENS1_30default_config_static_selectorELNS0_4arch9wavefront6targetE1EEEvT1_
		.amdhsa_group_segment_fixed_size 0
		.amdhsa_private_segment_fixed_size 0
		.amdhsa_kernarg_size 112
		.amdhsa_user_sgpr_count 6
		.amdhsa_user_sgpr_private_segment_buffer 1
		.amdhsa_user_sgpr_dispatch_ptr 0
		.amdhsa_user_sgpr_queue_ptr 0
		.amdhsa_user_sgpr_kernarg_segment_ptr 1
		.amdhsa_user_sgpr_dispatch_id 0
		.amdhsa_user_sgpr_flat_scratch_init 0
		.amdhsa_user_sgpr_kernarg_preload_length 0
		.amdhsa_user_sgpr_kernarg_preload_offset 0
		.amdhsa_user_sgpr_private_segment_size 0
		.amdhsa_uses_dynamic_stack 0
		.amdhsa_system_sgpr_private_segment_wavefront_offset 0
		.amdhsa_system_sgpr_workgroup_id_x 1
		.amdhsa_system_sgpr_workgroup_id_y 0
		.amdhsa_system_sgpr_workgroup_id_z 0
		.amdhsa_system_sgpr_workgroup_info 0
		.amdhsa_system_vgpr_workitem_id 0
		.amdhsa_next_free_vgpr 1
		.amdhsa_next_free_sgpr 0
		.amdhsa_accum_offset 4
		.amdhsa_reserve_vcc 0
		.amdhsa_reserve_flat_scratch 0
		.amdhsa_float_round_mode_32 0
		.amdhsa_float_round_mode_16_64 0
		.amdhsa_float_denorm_mode_32 3
		.amdhsa_float_denorm_mode_16_64 3
		.amdhsa_dx10_clamp 1
		.amdhsa_ieee_mode 1
		.amdhsa_fp16_overflow 0
		.amdhsa_tg_split 0
		.amdhsa_exception_fp_ieee_invalid_op 0
		.amdhsa_exception_fp_denorm_src 0
		.amdhsa_exception_fp_ieee_div_zero 0
		.amdhsa_exception_fp_ieee_overflow 0
		.amdhsa_exception_fp_ieee_underflow 0
		.amdhsa_exception_fp_ieee_inexact 0
		.amdhsa_exception_int_div_zero 0
	.end_amdhsa_kernel
	.section	.text._ZN7rocprim17ROCPRIM_400000_NS6detail17trampoline_kernelINS0_14default_configENS1_27scan_by_key_config_selectorIifEEZZNS1_16scan_by_key_implILNS1_25lookback_scan_determinismE0ELb1ES3_N6thrust23THRUST_200600_302600_NS6detail15normal_iteratorINS9_10device_ptrIiEEEENSB_INSC_IjEEEESE_fNS9_4plusIvEENS9_8equal_toIvEEfEE10hipError_tPvRmT2_T3_T4_T5_mT6_T7_P12ihipStream_tbENKUlT_T0_E_clISt17integral_constantIbLb0EES11_EEDaSW_SX_EUlSW_E_NS1_11comp_targetILNS1_3genE9ELNS1_11target_archE1100ELNS1_3gpuE3ELNS1_3repE0EEENS1_30default_config_static_selectorELNS0_4arch9wavefront6targetE1EEEvT1_,"axG",@progbits,_ZN7rocprim17ROCPRIM_400000_NS6detail17trampoline_kernelINS0_14default_configENS1_27scan_by_key_config_selectorIifEEZZNS1_16scan_by_key_implILNS1_25lookback_scan_determinismE0ELb1ES3_N6thrust23THRUST_200600_302600_NS6detail15normal_iteratorINS9_10device_ptrIiEEEENSB_INSC_IjEEEESE_fNS9_4plusIvEENS9_8equal_toIvEEfEE10hipError_tPvRmT2_T3_T4_T5_mT6_T7_P12ihipStream_tbENKUlT_T0_E_clISt17integral_constantIbLb0EES11_EEDaSW_SX_EUlSW_E_NS1_11comp_targetILNS1_3genE9ELNS1_11target_archE1100ELNS1_3gpuE3ELNS1_3repE0EEENS1_30default_config_static_selectorELNS0_4arch9wavefront6targetE1EEEvT1_,comdat
.Lfunc_end1795:
	.size	_ZN7rocprim17ROCPRIM_400000_NS6detail17trampoline_kernelINS0_14default_configENS1_27scan_by_key_config_selectorIifEEZZNS1_16scan_by_key_implILNS1_25lookback_scan_determinismE0ELb1ES3_N6thrust23THRUST_200600_302600_NS6detail15normal_iteratorINS9_10device_ptrIiEEEENSB_INSC_IjEEEESE_fNS9_4plusIvEENS9_8equal_toIvEEfEE10hipError_tPvRmT2_T3_T4_T5_mT6_T7_P12ihipStream_tbENKUlT_T0_E_clISt17integral_constantIbLb0EES11_EEDaSW_SX_EUlSW_E_NS1_11comp_targetILNS1_3genE9ELNS1_11target_archE1100ELNS1_3gpuE3ELNS1_3repE0EEENS1_30default_config_static_selectorELNS0_4arch9wavefront6targetE1EEEvT1_, .Lfunc_end1795-_ZN7rocprim17ROCPRIM_400000_NS6detail17trampoline_kernelINS0_14default_configENS1_27scan_by_key_config_selectorIifEEZZNS1_16scan_by_key_implILNS1_25lookback_scan_determinismE0ELb1ES3_N6thrust23THRUST_200600_302600_NS6detail15normal_iteratorINS9_10device_ptrIiEEEENSB_INSC_IjEEEESE_fNS9_4plusIvEENS9_8equal_toIvEEfEE10hipError_tPvRmT2_T3_T4_T5_mT6_T7_P12ihipStream_tbENKUlT_T0_E_clISt17integral_constantIbLb0EES11_EEDaSW_SX_EUlSW_E_NS1_11comp_targetILNS1_3genE9ELNS1_11target_archE1100ELNS1_3gpuE3ELNS1_3repE0EEENS1_30default_config_static_selectorELNS0_4arch9wavefront6targetE1EEEvT1_
                                        ; -- End function
	.section	.AMDGPU.csdata,"",@progbits
; Kernel info:
; codeLenInByte = 0
; NumSgprs: 4
; NumVgprs: 0
; NumAgprs: 0
; TotalNumVgprs: 0
; ScratchSize: 0
; MemoryBound: 0
; FloatMode: 240
; IeeeMode: 1
; LDSByteSize: 0 bytes/workgroup (compile time only)
; SGPRBlocks: 0
; VGPRBlocks: 0
; NumSGPRsForWavesPerEU: 4
; NumVGPRsForWavesPerEU: 1
; AccumOffset: 4
; Occupancy: 8
; WaveLimiterHint : 0
; COMPUTE_PGM_RSRC2:SCRATCH_EN: 0
; COMPUTE_PGM_RSRC2:USER_SGPR: 6
; COMPUTE_PGM_RSRC2:TRAP_HANDLER: 0
; COMPUTE_PGM_RSRC2:TGID_X_EN: 1
; COMPUTE_PGM_RSRC2:TGID_Y_EN: 0
; COMPUTE_PGM_RSRC2:TGID_Z_EN: 0
; COMPUTE_PGM_RSRC2:TIDIG_COMP_CNT: 0
; COMPUTE_PGM_RSRC3_GFX90A:ACCUM_OFFSET: 0
; COMPUTE_PGM_RSRC3_GFX90A:TG_SPLIT: 0
	.section	.text._ZN7rocprim17ROCPRIM_400000_NS6detail17trampoline_kernelINS0_14default_configENS1_27scan_by_key_config_selectorIifEEZZNS1_16scan_by_key_implILNS1_25lookback_scan_determinismE0ELb1ES3_N6thrust23THRUST_200600_302600_NS6detail15normal_iteratorINS9_10device_ptrIiEEEENSB_INSC_IjEEEESE_fNS9_4plusIvEENS9_8equal_toIvEEfEE10hipError_tPvRmT2_T3_T4_T5_mT6_T7_P12ihipStream_tbENKUlT_T0_E_clISt17integral_constantIbLb0EES11_EEDaSW_SX_EUlSW_E_NS1_11comp_targetILNS1_3genE8ELNS1_11target_archE1030ELNS1_3gpuE2ELNS1_3repE0EEENS1_30default_config_static_selectorELNS0_4arch9wavefront6targetE1EEEvT1_,"axG",@progbits,_ZN7rocprim17ROCPRIM_400000_NS6detail17trampoline_kernelINS0_14default_configENS1_27scan_by_key_config_selectorIifEEZZNS1_16scan_by_key_implILNS1_25lookback_scan_determinismE0ELb1ES3_N6thrust23THRUST_200600_302600_NS6detail15normal_iteratorINS9_10device_ptrIiEEEENSB_INSC_IjEEEESE_fNS9_4plusIvEENS9_8equal_toIvEEfEE10hipError_tPvRmT2_T3_T4_T5_mT6_T7_P12ihipStream_tbENKUlT_T0_E_clISt17integral_constantIbLb0EES11_EEDaSW_SX_EUlSW_E_NS1_11comp_targetILNS1_3genE8ELNS1_11target_archE1030ELNS1_3gpuE2ELNS1_3repE0EEENS1_30default_config_static_selectorELNS0_4arch9wavefront6targetE1EEEvT1_,comdat
	.protected	_ZN7rocprim17ROCPRIM_400000_NS6detail17trampoline_kernelINS0_14default_configENS1_27scan_by_key_config_selectorIifEEZZNS1_16scan_by_key_implILNS1_25lookback_scan_determinismE0ELb1ES3_N6thrust23THRUST_200600_302600_NS6detail15normal_iteratorINS9_10device_ptrIiEEEENSB_INSC_IjEEEESE_fNS9_4plusIvEENS9_8equal_toIvEEfEE10hipError_tPvRmT2_T3_T4_T5_mT6_T7_P12ihipStream_tbENKUlT_T0_E_clISt17integral_constantIbLb0EES11_EEDaSW_SX_EUlSW_E_NS1_11comp_targetILNS1_3genE8ELNS1_11target_archE1030ELNS1_3gpuE2ELNS1_3repE0EEENS1_30default_config_static_selectorELNS0_4arch9wavefront6targetE1EEEvT1_ ; -- Begin function _ZN7rocprim17ROCPRIM_400000_NS6detail17trampoline_kernelINS0_14default_configENS1_27scan_by_key_config_selectorIifEEZZNS1_16scan_by_key_implILNS1_25lookback_scan_determinismE0ELb1ES3_N6thrust23THRUST_200600_302600_NS6detail15normal_iteratorINS9_10device_ptrIiEEEENSB_INSC_IjEEEESE_fNS9_4plusIvEENS9_8equal_toIvEEfEE10hipError_tPvRmT2_T3_T4_T5_mT6_T7_P12ihipStream_tbENKUlT_T0_E_clISt17integral_constantIbLb0EES11_EEDaSW_SX_EUlSW_E_NS1_11comp_targetILNS1_3genE8ELNS1_11target_archE1030ELNS1_3gpuE2ELNS1_3repE0EEENS1_30default_config_static_selectorELNS0_4arch9wavefront6targetE1EEEvT1_
	.globl	_ZN7rocprim17ROCPRIM_400000_NS6detail17trampoline_kernelINS0_14default_configENS1_27scan_by_key_config_selectorIifEEZZNS1_16scan_by_key_implILNS1_25lookback_scan_determinismE0ELb1ES3_N6thrust23THRUST_200600_302600_NS6detail15normal_iteratorINS9_10device_ptrIiEEEENSB_INSC_IjEEEESE_fNS9_4plusIvEENS9_8equal_toIvEEfEE10hipError_tPvRmT2_T3_T4_T5_mT6_T7_P12ihipStream_tbENKUlT_T0_E_clISt17integral_constantIbLb0EES11_EEDaSW_SX_EUlSW_E_NS1_11comp_targetILNS1_3genE8ELNS1_11target_archE1030ELNS1_3gpuE2ELNS1_3repE0EEENS1_30default_config_static_selectorELNS0_4arch9wavefront6targetE1EEEvT1_
	.p2align	8
	.type	_ZN7rocprim17ROCPRIM_400000_NS6detail17trampoline_kernelINS0_14default_configENS1_27scan_by_key_config_selectorIifEEZZNS1_16scan_by_key_implILNS1_25lookback_scan_determinismE0ELb1ES3_N6thrust23THRUST_200600_302600_NS6detail15normal_iteratorINS9_10device_ptrIiEEEENSB_INSC_IjEEEESE_fNS9_4plusIvEENS9_8equal_toIvEEfEE10hipError_tPvRmT2_T3_T4_T5_mT6_T7_P12ihipStream_tbENKUlT_T0_E_clISt17integral_constantIbLb0EES11_EEDaSW_SX_EUlSW_E_NS1_11comp_targetILNS1_3genE8ELNS1_11target_archE1030ELNS1_3gpuE2ELNS1_3repE0EEENS1_30default_config_static_selectorELNS0_4arch9wavefront6targetE1EEEvT1_,@function
_ZN7rocprim17ROCPRIM_400000_NS6detail17trampoline_kernelINS0_14default_configENS1_27scan_by_key_config_selectorIifEEZZNS1_16scan_by_key_implILNS1_25lookback_scan_determinismE0ELb1ES3_N6thrust23THRUST_200600_302600_NS6detail15normal_iteratorINS9_10device_ptrIiEEEENSB_INSC_IjEEEESE_fNS9_4plusIvEENS9_8equal_toIvEEfEE10hipError_tPvRmT2_T3_T4_T5_mT6_T7_P12ihipStream_tbENKUlT_T0_E_clISt17integral_constantIbLb0EES11_EEDaSW_SX_EUlSW_E_NS1_11comp_targetILNS1_3genE8ELNS1_11target_archE1030ELNS1_3gpuE2ELNS1_3repE0EEENS1_30default_config_static_selectorELNS0_4arch9wavefront6targetE1EEEvT1_: ; @_ZN7rocprim17ROCPRIM_400000_NS6detail17trampoline_kernelINS0_14default_configENS1_27scan_by_key_config_selectorIifEEZZNS1_16scan_by_key_implILNS1_25lookback_scan_determinismE0ELb1ES3_N6thrust23THRUST_200600_302600_NS6detail15normal_iteratorINS9_10device_ptrIiEEEENSB_INSC_IjEEEESE_fNS9_4plusIvEENS9_8equal_toIvEEfEE10hipError_tPvRmT2_T3_T4_T5_mT6_T7_P12ihipStream_tbENKUlT_T0_E_clISt17integral_constantIbLb0EES11_EEDaSW_SX_EUlSW_E_NS1_11comp_targetILNS1_3genE8ELNS1_11target_archE1030ELNS1_3gpuE2ELNS1_3repE0EEENS1_30default_config_static_selectorELNS0_4arch9wavefront6targetE1EEEvT1_
; %bb.0:
	.section	.rodata,"a",@progbits
	.p2align	6, 0x0
	.amdhsa_kernel _ZN7rocprim17ROCPRIM_400000_NS6detail17trampoline_kernelINS0_14default_configENS1_27scan_by_key_config_selectorIifEEZZNS1_16scan_by_key_implILNS1_25lookback_scan_determinismE0ELb1ES3_N6thrust23THRUST_200600_302600_NS6detail15normal_iteratorINS9_10device_ptrIiEEEENSB_INSC_IjEEEESE_fNS9_4plusIvEENS9_8equal_toIvEEfEE10hipError_tPvRmT2_T3_T4_T5_mT6_T7_P12ihipStream_tbENKUlT_T0_E_clISt17integral_constantIbLb0EES11_EEDaSW_SX_EUlSW_E_NS1_11comp_targetILNS1_3genE8ELNS1_11target_archE1030ELNS1_3gpuE2ELNS1_3repE0EEENS1_30default_config_static_selectorELNS0_4arch9wavefront6targetE1EEEvT1_
		.amdhsa_group_segment_fixed_size 0
		.amdhsa_private_segment_fixed_size 0
		.amdhsa_kernarg_size 112
		.amdhsa_user_sgpr_count 6
		.amdhsa_user_sgpr_private_segment_buffer 1
		.amdhsa_user_sgpr_dispatch_ptr 0
		.amdhsa_user_sgpr_queue_ptr 0
		.amdhsa_user_sgpr_kernarg_segment_ptr 1
		.amdhsa_user_sgpr_dispatch_id 0
		.amdhsa_user_sgpr_flat_scratch_init 0
		.amdhsa_user_sgpr_kernarg_preload_length 0
		.amdhsa_user_sgpr_kernarg_preload_offset 0
		.amdhsa_user_sgpr_private_segment_size 0
		.amdhsa_uses_dynamic_stack 0
		.amdhsa_system_sgpr_private_segment_wavefront_offset 0
		.amdhsa_system_sgpr_workgroup_id_x 1
		.amdhsa_system_sgpr_workgroup_id_y 0
		.amdhsa_system_sgpr_workgroup_id_z 0
		.amdhsa_system_sgpr_workgroup_info 0
		.amdhsa_system_vgpr_workitem_id 0
		.amdhsa_next_free_vgpr 1
		.amdhsa_next_free_sgpr 0
		.amdhsa_accum_offset 4
		.amdhsa_reserve_vcc 0
		.amdhsa_reserve_flat_scratch 0
		.amdhsa_float_round_mode_32 0
		.amdhsa_float_round_mode_16_64 0
		.amdhsa_float_denorm_mode_32 3
		.amdhsa_float_denorm_mode_16_64 3
		.amdhsa_dx10_clamp 1
		.amdhsa_ieee_mode 1
		.amdhsa_fp16_overflow 0
		.amdhsa_tg_split 0
		.amdhsa_exception_fp_ieee_invalid_op 0
		.amdhsa_exception_fp_denorm_src 0
		.amdhsa_exception_fp_ieee_div_zero 0
		.amdhsa_exception_fp_ieee_overflow 0
		.amdhsa_exception_fp_ieee_underflow 0
		.amdhsa_exception_fp_ieee_inexact 0
		.amdhsa_exception_int_div_zero 0
	.end_amdhsa_kernel
	.section	.text._ZN7rocprim17ROCPRIM_400000_NS6detail17trampoline_kernelINS0_14default_configENS1_27scan_by_key_config_selectorIifEEZZNS1_16scan_by_key_implILNS1_25lookback_scan_determinismE0ELb1ES3_N6thrust23THRUST_200600_302600_NS6detail15normal_iteratorINS9_10device_ptrIiEEEENSB_INSC_IjEEEESE_fNS9_4plusIvEENS9_8equal_toIvEEfEE10hipError_tPvRmT2_T3_T4_T5_mT6_T7_P12ihipStream_tbENKUlT_T0_E_clISt17integral_constantIbLb0EES11_EEDaSW_SX_EUlSW_E_NS1_11comp_targetILNS1_3genE8ELNS1_11target_archE1030ELNS1_3gpuE2ELNS1_3repE0EEENS1_30default_config_static_selectorELNS0_4arch9wavefront6targetE1EEEvT1_,"axG",@progbits,_ZN7rocprim17ROCPRIM_400000_NS6detail17trampoline_kernelINS0_14default_configENS1_27scan_by_key_config_selectorIifEEZZNS1_16scan_by_key_implILNS1_25lookback_scan_determinismE0ELb1ES3_N6thrust23THRUST_200600_302600_NS6detail15normal_iteratorINS9_10device_ptrIiEEEENSB_INSC_IjEEEESE_fNS9_4plusIvEENS9_8equal_toIvEEfEE10hipError_tPvRmT2_T3_T4_T5_mT6_T7_P12ihipStream_tbENKUlT_T0_E_clISt17integral_constantIbLb0EES11_EEDaSW_SX_EUlSW_E_NS1_11comp_targetILNS1_3genE8ELNS1_11target_archE1030ELNS1_3gpuE2ELNS1_3repE0EEENS1_30default_config_static_selectorELNS0_4arch9wavefront6targetE1EEEvT1_,comdat
.Lfunc_end1796:
	.size	_ZN7rocprim17ROCPRIM_400000_NS6detail17trampoline_kernelINS0_14default_configENS1_27scan_by_key_config_selectorIifEEZZNS1_16scan_by_key_implILNS1_25lookback_scan_determinismE0ELb1ES3_N6thrust23THRUST_200600_302600_NS6detail15normal_iteratorINS9_10device_ptrIiEEEENSB_INSC_IjEEEESE_fNS9_4plusIvEENS9_8equal_toIvEEfEE10hipError_tPvRmT2_T3_T4_T5_mT6_T7_P12ihipStream_tbENKUlT_T0_E_clISt17integral_constantIbLb0EES11_EEDaSW_SX_EUlSW_E_NS1_11comp_targetILNS1_3genE8ELNS1_11target_archE1030ELNS1_3gpuE2ELNS1_3repE0EEENS1_30default_config_static_selectorELNS0_4arch9wavefront6targetE1EEEvT1_, .Lfunc_end1796-_ZN7rocprim17ROCPRIM_400000_NS6detail17trampoline_kernelINS0_14default_configENS1_27scan_by_key_config_selectorIifEEZZNS1_16scan_by_key_implILNS1_25lookback_scan_determinismE0ELb1ES3_N6thrust23THRUST_200600_302600_NS6detail15normal_iteratorINS9_10device_ptrIiEEEENSB_INSC_IjEEEESE_fNS9_4plusIvEENS9_8equal_toIvEEfEE10hipError_tPvRmT2_T3_T4_T5_mT6_T7_P12ihipStream_tbENKUlT_T0_E_clISt17integral_constantIbLb0EES11_EEDaSW_SX_EUlSW_E_NS1_11comp_targetILNS1_3genE8ELNS1_11target_archE1030ELNS1_3gpuE2ELNS1_3repE0EEENS1_30default_config_static_selectorELNS0_4arch9wavefront6targetE1EEEvT1_
                                        ; -- End function
	.section	.AMDGPU.csdata,"",@progbits
; Kernel info:
; codeLenInByte = 0
; NumSgprs: 4
; NumVgprs: 0
; NumAgprs: 0
; TotalNumVgprs: 0
; ScratchSize: 0
; MemoryBound: 0
; FloatMode: 240
; IeeeMode: 1
; LDSByteSize: 0 bytes/workgroup (compile time only)
; SGPRBlocks: 0
; VGPRBlocks: 0
; NumSGPRsForWavesPerEU: 4
; NumVGPRsForWavesPerEU: 1
; AccumOffset: 4
; Occupancy: 8
; WaveLimiterHint : 0
; COMPUTE_PGM_RSRC2:SCRATCH_EN: 0
; COMPUTE_PGM_RSRC2:USER_SGPR: 6
; COMPUTE_PGM_RSRC2:TRAP_HANDLER: 0
; COMPUTE_PGM_RSRC2:TGID_X_EN: 1
; COMPUTE_PGM_RSRC2:TGID_Y_EN: 0
; COMPUTE_PGM_RSRC2:TGID_Z_EN: 0
; COMPUTE_PGM_RSRC2:TIDIG_COMP_CNT: 0
; COMPUTE_PGM_RSRC3_GFX90A:ACCUM_OFFSET: 0
; COMPUTE_PGM_RSRC3_GFX90A:TG_SPLIT: 0
	.section	.text._ZN7rocprim17ROCPRIM_400000_NS6detail17trampoline_kernelINS0_14default_configENS1_27scan_by_key_config_selectorIifEEZZNS1_16scan_by_key_implILNS1_25lookback_scan_determinismE0ELb1ES3_N6thrust23THRUST_200600_302600_NS6detail15normal_iteratorINS9_10device_ptrIiEEEENSB_INSC_IjEEEESE_fNS9_4plusIvEENS9_8equal_toIvEEfEE10hipError_tPvRmT2_T3_T4_T5_mT6_T7_P12ihipStream_tbENKUlT_T0_E_clISt17integral_constantIbLb1EES11_EEDaSW_SX_EUlSW_E_NS1_11comp_targetILNS1_3genE0ELNS1_11target_archE4294967295ELNS1_3gpuE0ELNS1_3repE0EEENS1_30default_config_static_selectorELNS0_4arch9wavefront6targetE1EEEvT1_,"axG",@progbits,_ZN7rocprim17ROCPRIM_400000_NS6detail17trampoline_kernelINS0_14default_configENS1_27scan_by_key_config_selectorIifEEZZNS1_16scan_by_key_implILNS1_25lookback_scan_determinismE0ELb1ES3_N6thrust23THRUST_200600_302600_NS6detail15normal_iteratorINS9_10device_ptrIiEEEENSB_INSC_IjEEEESE_fNS9_4plusIvEENS9_8equal_toIvEEfEE10hipError_tPvRmT2_T3_T4_T5_mT6_T7_P12ihipStream_tbENKUlT_T0_E_clISt17integral_constantIbLb1EES11_EEDaSW_SX_EUlSW_E_NS1_11comp_targetILNS1_3genE0ELNS1_11target_archE4294967295ELNS1_3gpuE0ELNS1_3repE0EEENS1_30default_config_static_selectorELNS0_4arch9wavefront6targetE1EEEvT1_,comdat
	.protected	_ZN7rocprim17ROCPRIM_400000_NS6detail17trampoline_kernelINS0_14default_configENS1_27scan_by_key_config_selectorIifEEZZNS1_16scan_by_key_implILNS1_25lookback_scan_determinismE0ELb1ES3_N6thrust23THRUST_200600_302600_NS6detail15normal_iteratorINS9_10device_ptrIiEEEENSB_INSC_IjEEEESE_fNS9_4plusIvEENS9_8equal_toIvEEfEE10hipError_tPvRmT2_T3_T4_T5_mT6_T7_P12ihipStream_tbENKUlT_T0_E_clISt17integral_constantIbLb1EES11_EEDaSW_SX_EUlSW_E_NS1_11comp_targetILNS1_3genE0ELNS1_11target_archE4294967295ELNS1_3gpuE0ELNS1_3repE0EEENS1_30default_config_static_selectorELNS0_4arch9wavefront6targetE1EEEvT1_ ; -- Begin function _ZN7rocprim17ROCPRIM_400000_NS6detail17trampoline_kernelINS0_14default_configENS1_27scan_by_key_config_selectorIifEEZZNS1_16scan_by_key_implILNS1_25lookback_scan_determinismE0ELb1ES3_N6thrust23THRUST_200600_302600_NS6detail15normal_iteratorINS9_10device_ptrIiEEEENSB_INSC_IjEEEESE_fNS9_4plusIvEENS9_8equal_toIvEEfEE10hipError_tPvRmT2_T3_T4_T5_mT6_T7_P12ihipStream_tbENKUlT_T0_E_clISt17integral_constantIbLb1EES11_EEDaSW_SX_EUlSW_E_NS1_11comp_targetILNS1_3genE0ELNS1_11target_archE4294967295ELNS1_3gpuE0ELNS1_3repE0EEENS1_30default_config_static_selectorELNS0_4arch9wavefront6targetE1EEEvT1_
	.globl	_ZN7rocprim17ROCPRIM_400000_NS6detail17trampoline_kernelINS0_14default_configENS1_27scan_by_key_config_selectorIifEEZZNS1_16scan_by_key_implILNS1_25lookback_scan_determinismE0ELb1ES3_N6thrust23THRUST_200600_302600_NS6detail15normal_iteratorINS9_10device_ptrIiEEEENSB_INSC_IjEEEESE_fNS9_4plusIvEENS9_8equal_toIvEEfEE10hipError_tPvRmT2_T3_T4_T5_mT6_T7_P12ihipStream_tbENKUlT_T0_E_clISt17integral_constantIbLb1EES11_EEDaSW_SX_EUlSW_E_NS1_11comp_targetILNS1_3genE0ELNS1_11target_archE4294967295ELNS1_3gpuE0ELNS1_3repE0EEENS1_30default_config_static_selectorELNS0_4arch9wavefront6targetE1EEEvT1_
	.p2align	8
	.type	_ZN7rocprim17ROCPRIM_400000_NS6detail17trampoline_kernelINS0_14default_configENS1_27scan_by_key_config_selectorIifEEZZNS1_16scan_by_key_implILNS1_25lookback_scan_determinismE0ELb1ES3_N6thrust23THRUST_200600_302600_NS6detail15normal_iteratorINS9_10device_ptrIiEEEENSB_INSC_IjEEEESE_fNS9_4plusIvEENS9_8equal_toIvEEfEE10hipError_tPvRmT2_T3_T4_T5_mT6_T7_P12ihipStream_tbENKUlT_T0_E_clISt17integral_constantIbLb1EES11_EEDaSW_SX_EUlSW_E_NS1_11comp_targetILNS1_3genE0ELNS1_11target_archE4294967295ELNS1_3gpuE0ELNS1_3repE0EEENS1_30default_config_static_selectorELNS0_4arch9wavefront6targetE1EEEvT1_,@function
_ZN7rocprim17ROCPRIM_400000_NS6detail17trampoline_kernelINS0_14default_configENS1_27scan_by_key_config_selectorIifEEZZNS1_16scan_by_key_implILNS1_25lookback_scan_determinismE0ELb1ES3_N6thrust23THRUST_200600_302600_NS6detail15normal_iteratorINS9_10device_ptrIiEEEENSB_INSC_IjEEEESE_fNS9_4plusIvEENS9_8equal_toIvEEfEE10hipError_tPvRmT2_T3_T4_T5_mT6_T7_P12ihipStream_tbENKUlT_T0_E_clISt17integral_constantIbLb1EES11_EEDaSW_SX_EUlSW_E_NS1_11comp_targetILNS1_3genE0ELNS1_11target_archE4294967295ELNS1_3gpuE0ELNS1_3repE0EEENS1_30default_config_static_selectorELNS0_4arch9wavefront6targetE1EEEvT1_: ; @_ZN7rocprim17ROCPRIM_400000_NS6detail17trampoline_kernelINS0_14default_configENS1_27scan_by_key_config_selectorIifEEZZNS1_16scan_by_key_implILNS1_25lookback_scan_determinismE0ELb1ES3_N6thrust23THRUST_200600_302600_NS6detail15normal_iteratorINS9_10device_ptrIiEEEENSB_INSC_IjEEEESE_fNS9_4plusIvEENS9_8equal_toIvEEfEE10hipError_tPvRmT2_T3_T4_T5_mT6_T7_P12ihipStream_tbENKUlT_T0_E_clISt17integral_constantIbLb1EES11_EEDaSW_SX_EUlSW_E_NS1_11comp_targetILNS1_3genE0ELNS1_11target_archE4294967295ELNS1_3gpuE0ELNS1_3repE0EEENS1_30default_config_static_selectorELNS0_4arch9wavefront6targetE1EEEvT1_
; %bb.0:
	.section	.rodata,"a",@progbits
	.p2align	6, 0x0
	.amdhsa_kernel _ZN7rocprim17ROCPRIM_400000_NS6detail17trampoline_kernelINS0_14default_configENS1_27scan_by_key_config_selectorIifEEZZNS1_16scan_by_key_implILNS1_25lookback_scan_determinismE0ELb1ES3_N6thrust23THRUST_200600_302600_NS6detail15normal_iteratorINS9_10device_ptrIiEEEENSB_INSC_IjEEEESE_fNS9_4plusIvEENS9_8equal_toIvEEfEE10hipError_tPvRmT2_T3_T4_T5_mT6_T7_P12ihipStream_tbENKUlT_T0_E_clISt17integral_constantIbLb1EES11_EEDaSW_SX_EUlSW_E_NS1_11comp_targetILNS1_3genE0ELNS1_11target_archE4294967295ELNS1_3gpuE0ELNS1_3repE0EEENS1_30default_config_static_selectorELNS0_4arch9wavefront6targetE1EEEvT1_
		.amdhsa_group_segment_fixed_size 0
		.amdhsa_private_segment_fixed_size 0
		.amdhsa_kernarg_size 112
		.amdhsa_user_sgpr_count 6
		.amdhsa_user_sgpr_private_segment_buffer 1
		.amdhsa_user_sgpr_dispatch_ptr 0
		.amdhsa_user_sgpr_queue_ptr 0
		.amdhsa_user_sgpr_kernarg_segment_ptr 1
		.amdhsa_user_sgpr_dispatch_id 0
		.amdhsa_user_sgpr_flat_scratch_init 0
		.amdhsa_user_sgpr_kernarg_preload_length 0
		.amdhsa_user_sgpr_kernarg_preload_offset 0
		.amdhsa_user_sgpr_private_segment_size 0
		.amdhsa_uses_dynamic_stack 0
		.amdhsa_system_sgpr_private_segment_wavefront_offset 0
		.amdhsa_system_sgpr_workgroup_id_x 1
		.amdhsa_system_sgpr_workgroup_id_y 0
		.amdhsa_system_sgpr_workgroup_id_z 0
		.amdhsa_system_sgpr_workgroup_info 0
		.amdhsa_system_vgpr_workitem_id 0
		.amdhsa_next_free_vgpr 1
		.amdhsa_next_free_sgpr 0
		.amdhsa_accum_offset 4
		.amdhsa_reserve_vcc 0
		.amdhsa_reserve_flat_scratch 0
		.amdhsa_float_round_mode_32 0
		.amdhsa_float_round_mode_16_64 0
		.amdhsa_float_denorm_mode_32 3
		.amdhsa_float_denorm_mode_16_64 3
		.amdhsa_dx10_clamp 1
		.amdhsa_ieee_mode 1
		.amdhsa_fp16_overflow 0
		.amdhsa_tg_split 0
		.amdhsa_exception_fp_ieee_invalid_op 0
		.amdhsa_exception_fp_denorm_src 0
		.amdhsa_exception_fp_ieee_div_zero 0
		.amdhsa_exception_fp_ieee_overflow 0
		.amdhsa_exception_fp_ieee_underflow 0
		.amdhsa_exception_fp_ieee_inexact 0
		.amdhsa_exception_int_div_zero 0
	.end_amdhsa_kernel
	.section	.text._ZN7rocprim17ROCPRIM_400000_NS6detail17trampoline_kernelINS0_14default_configENS1_27scan_by_key_config_selectorIifEEZZNS1_16scan_by_key_implILNS1_25lookback_scan_determinismE0ELb1ES3_N6thrust23THRUST_200600_302600_NS6detail15normal_iteratorINS9_10device_ptrIiEEEENSB_INSC_IjEEEESE_fNS9_4plusIvEENS9_8equal_toIvEEfEE10hipError_tPvRmT2_T3_T4_T5_mT6_T7_P12ihipStream_tbENKUlT_T0_E_clISt17integral_constantIbLb1EES11_EEDaSW_SX_EUlSW_E_NS1_11comp_targetILNS1_3genE0ELNS1_11target_archE4294967295ELNS1_3gpuE0ELNS1_3repE0EEENS1_30default_config_static_selectorELNS0_4arch9wavefront6targetE1EEEvT1_,"axG",@progbits,_ZN7rocprim17ROCPRIM_400000_NS6detail17trampoline_kernelINS0_14default_configENS1_27scan_by_key_config_selectorIifEEZZNS1_16scan_by_key_implILNS1_25lookback_scan_determinismE0ELb1ES3_N6thrust23THRUST_200600_302600_NS6detail15normal_iteratorINS9_10device_ptrIiEEEENSB_INSC_IjEEEESE_fNS9_4plusIvEENS9_8equal_toIvEEfEE10hipError_tPvRmT2_T3_T4_T5_mT6_T7_P12ihipStream_tbENKUlT_T0_E_clISt17integral_constantIbLb1EES11_EEDaSW_SX_EUlSW_E_NS1_11comp_targetILNS1_3genE0ELNS1_11target_archE4294967295ELNS1_3gpuE0ELNS1_3repE0EEENS1_30default_config_static_selectorELNS0_4arch9wavefront6targetE1EEEvT1_,comdat
.Lfunc_end1797:
	.size	_ZN7rocprim17ROCPRIM_400000_NS6detail17trampoline_kernelINS0_14default_configENS1_27scan_by_key_config_selectorIifEEZZNS1_16scan_by_key_implILNS1_25lookback_scan_determinismE0ELb1ES3_N6thrust23THRUST_200600_302600_NS6detail15normal_iteratorINS9_10device_ptrIiEEEENSB_INSC_IjEEEESE_fNS9_4plusIvEENS9_8equal_toIvEEfEE10hipError_tPvRmT2_T3_T4_T5_mT6_T7_P12ihipStream_tbENKUlT_T0_E_clISt17integral_constantIbLb1EES11_EEDaSW_SX_EUlSW_E_NS1_11comp_targetILNS1_3genE0ELNS1_11target_archE4294967295ELNS1_3gpuE0ELNS1_3repE0EEENS1_30default_config_static_selectorELNS0_4arch9wavefront6targetE1EEEvT1_, .Lfunc_end1797-_ZN7rocprim17ROCPRIM_400000_NS6detail17trampoline_kernelINS0_14default_configENS1_27scan_by_key_config_selectorIifEEZZNS1_16scan_by_key_implILNS1_25lookback_scan_determinismE0ELb1ES3_N6thrust23THRUST_200600_302600_NS6detail15normal_iteratorINS9_10device_ptrIiEEEENSB_INSC_IjEEEESE_fNS9_4plusIvEENS9_8equal_toIvEEfEE10hipError_tPvRmT2_T3_T4_T5_mT6_T7_P12ihipStream_tbENKUlT_T0_E_clISt17integral_constantIbLb1EES11_EEDaSW_SX_EUlSW_E_NS1_11comp_targetILNS1_3genE0ELNS1_11target_archE4294967295ELNS1_3gpuE0ELNS1_3repE0EEENS1_30default_config_static_selectorELNS0_4arch9wavefront6targetE1EEEvT1_
                                        ; -- End function
	.section	.AMDGPU.csdata,"",@progbits
; Kernel info:
; codeLenInByte = 0
; NumSgprs: 4
; NumVgprs: 0
; NumAgprs: 0
; TotalNumVgprs: 0
; ScratchSize: 0
; MemoryBound: 0
; FloatMode: 240
; IeeeMode: 1
; LDSByteSize: 0 bytes/workgroup (compile time only)
; SGPRBlocks: 0
; VGPRBlocks: 0
; NumSGPRsForWavesPerEU: 4
; NumVGPRsForWavesPerEU: 1
; AccumOffset: 4
; Occupancy: 8
; WaveLimiterHint : 0
; COMPUTE_PGM_RSRC2:SCRATCH_EN: 0
; COMPUTE_PGM_RSRC2:USER_SGPR: 6
; COMPUTE_PGM_RSRC2:TRAP_HANDLER: 0
; COMPUTE_PGM_RSRC2:TGID_X_EN: 1
; COMPUTE_PGM_RSRC2:TGID_Y_EN: 0
; COMPUTE_PGM_RSRC2:TGID_Z_EN: 0
; COMPUTE_PGM_RSRC2:TIDIG_COMP_CNT: 0
; COMPUTE_PGM_RSRC3_GFX90A:ACCUM_OFFSET: 0
; COMPUTE_PGM_RSRC3_GFX90A:TG_SPLIT: 0
	.section	.text._ZN7rocprim17ROCPRIM_400000_NS6detail17trampoline_kernelINS0_14default_configENS1_27scan_by_key_config_selectorIifEEZZNS1_16scan_by_key_implILNS1_25lookback_scan_determinismE0ELb1ES3_N6thrust23THRUST_200600_302600_NS6detail15normal_iteratorINS9_10device_ptrIiEEEENSB_INSC_IjEEEESE_fNS9_4plusIvEENS9_8equal_toIvEEfEE10hipError_tPvRmT2_T3_T4_T5_mT6_T7_P12ihipStream_tbENKUlT_T0_E_clISt17integral_constantIbLb1EES11_EEDaSW_SX_EUlSW_E_NS1_11comp_targetILNS1_3genE10ELNS1_11target_archE1201ELNS1_3gpuE5ELNS1_3repE0EEENS1_30default_config_static_selectorELNS0_4arch9wavefront6targetE1EEEvT1_,"axG",@progbits,_ZN7rocprim17ROCPRIM_400000_NS6detail17trampoline_kernelINS0_14default_configENS1_27scan_by_key_config_selectorIifEEZZNS1_16scan_by_key_implILNS1_25lookback_scan_determinismE0ELb1ES3_N6thrust23THRUST_200600_302600_NS6detail15normal_iteratorINS9_10device_ptrIiEEEENSB_INSC_IjEEEESE_fNS9_4plusIvEENS9_8equal_toIvEEfEE10hipError_tPvRmT2_T3_T4_T5_mT6_T7_P12ihipStream_tbENKUlT_T0_E_clISt17integral_constantIbLb1EES11_EEDaSW_SX_EUlSW_E_NS1_11comp_targetILNS1_3genE10ELNS1_11target_archE1201ELNS1_3gpuE5ELNS1_3repE0EEENS1_30default_config_static_selectorELNS0_4arch9wavefront6targetE1EEEvT1_,comdat
	.protected	_ZN7rocprim17ROCPRIM_400000_NS6detail17trampoline_kernelINS0_14default_configENS1_27scan_by_key_config_selectorIifEEZZNS1_16scan_by_key_implILNS1_25lookback_scan_determinismE0ELb1ES3_N6thrust23THRUST_200600_302600_NS6detail15normal_iteratorINS9_10device_ptrIiEEEENSB_INSC_IjEEEESE_fNS9_4plusIvEENS9_8equal_toIvEEfEE10hipError_tPvRmT2_T3_T4_T5_mT6_T7_P12ihipStream_tbENKUlT_T0_E_clISt17integral_constantIbLb1EES11_EEDaSW_SX_EUlSW_E_NS1_11comp_targetILNS1_3genE10ELNS1_11target_archE1201ELNS1_3gpuE5ELNS1_3repE0EEENS1_30default_config_static_selectorELNS0_4arch9wavefront6targetE1EEEvT1_ ; -- Begin function _ZN7rocprim17ROCPRIM_400000_NS6detail17trampoline_kernelINS0_14default_configENS1_27scan_by_key_config_selectorIifEEZZNS1_16scan_by_key_implILNS1_25lookback_scan_determinismE0ELb1ES3_N6thrust23THRUST_200600_302600_NS6detail15normal_iteratorINS9_10device_ptrIiEEEENSB_INSC_IjEEEESE_fNS9_4plusIvEENS9_8equal_toIvEEfEE10hipError_tPvRmT2_T3_T4_T5_mT6_T7_P12ihipStream_tbENKUlT_T0_E_clISt17integral_constantIbLb1EES11_EEDaSW_SX_EUlSW_E_NS1_11comp_targetILNS1_3genE10ELNS1_11target_archE1201ELNS1_3gpuE5ELNS1_3repE0EEENS1_30default_config_static_selectorELNS0_4arch9wavefront6targetE1EEEvT1_
	.globl	_ZN7rocprim17ROCPRIM_400000_NS6detail17trampoline_kernelINS0_14default_configENS1_27scan_by_key_config_selectorIifEEZZNS1_16scan_by_key_implILNS1_25lookback_scan_determinismE0ELb1ES3_N6thrust23THRUST_200600_302600_NS6detail15normal_iteratorINS9_10device_ptrIiEEEENSB_INSC_IjEEEESE_fNS9_4plusIvEENS9_8equal_toIvEEfEE10hipError_tPvRmT2_T3_T4_T5_mT6_T7_P12ihipStream_tbENKUlT_T0_E_clISt17integral_constantIbLb1EES11_EEDaSW_SX_EUlSW_E_NS1_11comp_targetILNS1_3genE10ELNS1_11target_archE1201ELNS1_3gpuE5ELNS1_3repE0EEENS1_30default_config_static_selectorELNS0_4arch9wavefront6targetE1EEEvT1_
	.p2align	8
	.type	_ZN7rocprim17ROCPRIM_400000_NS6detail17trampoline_kernelINS0_14default_configENS1_27scan_by_key_config_selectorIifEEZZNS1_16scan_by_key_implILNS1_25lookback_scan_determinismE0ELb1ES3_N6thrust23THRUST_200600_302600_NS6detail15normal_iteratorINS9_10device_ptrIiEEEENSB_INSC_IjEEEESE_fNS9_4plusIvEENS9_8equal_toIvEEfEE10hipError_tPvRmT2_T3_T4_T5_mT6_T7_P12ihipStream_tbENKUlT_T0_E_clISt17integral_constantIbLb1EES11_EEDaSW_SX_EUlSW_E_NS1_11comp_targetILNS1_3genE10ELNS1_11target_archE1201ELNS1_3gpuE5ELNS1_3repE0EEENS1_30default_config_static_selectorELNS0_4arch9wavefront6targetE1EEEvT1_,@function
_ZN7rocprim17ROCPRIM_400000_NS6detail17trampoline_kernelINS0_14default_configENS1_27scan_by_key_config_selectorIifEEZZNS1_16scan_by_key_implILNS1_25lookback_scan_determinismE0ELb1ES3_N6thrust23THRUST_200600_302600_NS6detail15normal_iteratorINS9_10device_ptrIiEEEENSB_INSC_IjEEEESE_fNS9_4plusIvEENS9_8equal_toIvEEfEE10hipError_tPvRmT2_T3_T4_T5_mT6_T7_P12ihipStream_tbENKUlT_T0_E_clISt17integral_constantIbLb1EES11_EEDaSW_SX_EUlSW_E_NS1_11comp_targetILNS1_3genE10ELNS1_11target_archE1201ELNS1_3gpuE5ELNS1_3repE0EEENS1_30default_config_static_selectorELNS0_4arch9wavefront6targetE1EEEvT1_: ; @_ZN7rocprim17ROCPRIM_400000_NS6detail17trampoline_kernelINS0_14default_configENS1_27scan_by_key_config_selectorIifEEZZNS1_16scan_by_key_implILNS1_25lookback_scan_determinismE0ELb1ES3_N6thrust23THRUST_200600_302600_NS6detail15normal_iteratorINS9_10device_ptrIiEEEENSB_INSC_IjEEEESE_fNS9_4plusIvEENS9_8equal_toIvEEfEE10hipError_tPvRmT2_T3_T4_T5_mT6_T7_P12ihipStream_tbENKUlT_T0_E_clISt17integral_constantIbLb1EES11_EEDaSW_SX_EUlSW_E_NS1_11comp_targetILNS1_3genE10ELNS1_11target_archE1201ELNS1_3gpuE5ELNS1_3repE0EEENS1_30default_config_static_selectorELNS0_4arch9wavefront6targetE1EEEvT1_
; %bb.0:
	.section	.rodata,"a",@progbits
	.p2align	6, 0x0
	.amdhsa_kernel _ZN7rocprim17ROCPRIM_400000_NS6detail17trampoline_kernelINS0_14default_configENS1_27scan_by_key_config_selectorIifEEZZNS1_16scan_by_key_implILNS1_25lookback_scan_determinismE0ELb1ES3_N6thrust23THRUST_200600_302600_NS6detail15normal_iteratorINS9_10device_ptrIiEEEENSB_INSC_IjEEEESE_fNS9_4plusIvEENS9_8equal_toIvEEfEE10hipError_tPvRmT2_T3_T4_T5_mT6_T7_P12ihipStream_tbENKUlT_T0_E_clISt17integral_constantIbLb1EES11_EEDaSW_SX_EUlSW_E_NS1_11comp_targetILNS1_3genE10ELNS1_11target_archE1201ELNS1_3gpuE5ELNS1_3repE0EEENS1_30default_config_static_selectorELNS0_4arch9wavefront6targetE1EEEvT1_
		.amdhsa_group_segment_fixed_size 0
		.amdhsa_private_segment_fixed_size 0
		.amdhsa_kernarg_size 112
		.amdhsa_user_sgpr_count 6
		.amdhsa_user_sgpr_private_segment_buffer 1
		.amdhsa_user_sgpr_dispatch_ptr 0
		.amdhsa_user_sgpr_queue_ptr 0
		.amdhsa_user_sgpr_kernarg_segment_ptr 1
		.amdhsa_user_sgpr_dispatch_id 0
		.amdhsa_user_sgpr_flat_scratch_init 0
		.amdhsa_user_sgpr_kernarg_preload_length 0
		.amdhsa_user_sgpr_kernarg_preload_offset 0
		.amdhsa_user_sgpr_private_segment_size 0
		.amdhsa_uses_dynamic_stack 0
		.amdhsa_system_sgpr_private_segment_wavefront_offset 0
		.amdhsa_system_sgpr_workgroup_id_x 1
		.amdhsa_system_sgpr_workgroup_id_y 0
		.amdhsa_system_sgpr_workgroup_id_z 0
		.amdhsa_system_sgpr_workgroup_info 0
		.amdhsa_system_vgpr_workitem_id 0
		.amdhsa_next_free_vgpr 1
		.amdhsa_next_free_sgpr 0
		.amdhsa_accum_offset 4
		.amdhsa_reserve_vcc 0
		.amdhsa_reserve_flat_scratch 0
		.amdhsa_float_round_mode_32 0
		.amdhsa_float_round_mode_16_64 0
		.amdhsa_float_denorm_mode_32 3
		.amdhsa_float_denorm_mode_16_64 3
		.amdhsa_dx10_clamp 1
		.amdhsa_ieee_mode 1
		.amdhsa_fp16_overflow 0
		.amdhsa_tg_split 0
		.amdhsa_exception_fp_ieee_invalid_op 0
		.amdhsa_exception_fp_denorm_src 0
		.amdhsa_exception_fp_ieee_div_zero 0
		.amdhsa_exception_fp_ieee_overflow 0
		.amdhsa_exception_fp_ieee_underflow 0
		.amdhsa_exception_fp_ieee_inexact 0
		.amdhsa_exception_int_div_zero 0
	.end_amdhsa_kernel
	.section	.text._ZN7rocprim17ROCPRIM_400000_NS6detail17trampoline_kernelINS0_14default_configENS1_27scan_by_key_config_selectorIifEEZZNS1_16scan_by_key_implILNS1_25lookback_scan_determinismE0ELb1ES3_N6thrust23THRUST_200600_302600_NS6detail15normal_iteratorINS9_10device_ptrIiEEEENSB_INSC_IjEEEESE_fNS9_4plusIvEENS9_8equal_toIvEEfEE10hipError_tPvRmT2_T3_T4_T5_mT6_T7_P12ihipStream_tbENKUlT_T0_E_clISt17integral_constantIbLb1EES11_EEDaSW_SX_EUlSW_E_NS1_11comp_targetILNS1_3genE10ELNS1_11target_archE1201ELNS1_3gpuE5ELNS1_3repE0EEENS1_30default_config_static_selectorELNS0_4arch9wavefront6targetE1EEEvT1_,"axG",@progbits,_ZN7rocprim17ROCPRIM_400000_NS6detail17trampoline_kernelINS0_14default_configENS1_27scan_by_key_config_selectorIifEEZZNS1_16scan_by_key_implILNS1_25lookback_scan_determinismE0ELb1ES3_N6thrust23THRUST_200600_302600_NS6detail15normal_iteratorINS9_10device_ptrIiEEEENSB_INSC_IjEEEESE_fNS9_4plusIvEENS9_8equal_toIvEEfEE10hipError_tPvRmT2_T3_T4_T5_mT6_T7_P12ihipStream_tbENKUlT_T0_E_clISt17integral_constantIbLb1EES11_EEDaSW_SX_EUlSW_E_NS1_11comp_targetILNS1_3genE10ELNS1_11target_archE1201ELNS1_3gpuE5ELNS1_3repE0EEENS1_30default_config_static_selectorELNS0_4arch9wavefront6targetE1EEEvT1_,comdat
.Lfunc_end1798:
	.size	_ZN7rocprim17ROCPRIM_400000_NS6detail17trampoline_kernelINS0_14default_configENS1_27scan_by_key_config_selectorIifEEZZNS1_16scan_by_key_implILNS1_25lookback_scan_determinismE0ELb1ES3_N6thrust23THRUST_200600_302600_NS6detail15normal_iteratorINS9_10device_ptrIiEEEENSB_INSC_IjEEEESE_fNS9_4plusIvEENS9_8equal_toIvEEfEE10hipError_tPvRmT2_T3_T4_T5_mT6_T7_P12ihipStream_tbENKUlT_T0_E_clISt17integral_constantIbLb1EES11_EEDaSW_SX_EUlSW_E_NS1_11comp_targetILNS1_3genE10ELNS1_11target_archE1201ELNS1_3gpuE5ELNS1_3repE0EEENS1_30default_config_static_selectorELNS0_4arch9wavefront6targetE1EEEvT1_, .Lfunc_end1798-_ZN7rocprim17ROCPRIM_400000_NS6detail17trampoline_kernelINS0_14default_configENS1_27scan_by_key_config_selectorIifEEZZNS1_16scan_by_key_implILNS1_25lookback_scan_determinismE0ELb1ES3_N6thrust23THRUST_200600_302600_NS6detail15normal_iteratorINS9_10device_ptrIiEEEENSB_INSC_IjEEEESE_fNS9_4plusIvEENS9_8equal_toIvEEfEE10hipError_tPvRmT2_T3_T4_T5_mT6_T7_P12ihipStream_tbENKUlT_T0_E_clISt17integral_constantIbLb1EES11_EEDaSW_SX_EUlSW_E_NS1_11comp_targetILNS1_3genE10ELNS1_11target_archE1201ELNS1_3gpuE5ELNS1_3repE0EEENS1_30default_config_static_selectorELNS0_4arch9wavefront6targetE1EEEvT1_
                                        ; -- End function
	.section	.AMDGPU.csdata,"",@progbits
; Kernel info:
; codeLenInByte = 0
; NumSgprs: 4
; NumVgprs: 0
; NumAgprs: 0
; TotalNumVgprs: 0
; ScratchSize: 0
; MemoryBound: 0
; FloatMode: 240
; IeeeMode: 1
; LDSByteSize: 0 bytes/workgroup (compile time only)
; SGPRBlocks: 0
; VGPRBlocks: 0
; NumSGPRsForWavesPerEU: 4
; NumVGPRsForWavesPerEU: 1
; AccumOffset: 4
; Occupancy: 8
; WaveLimiterHint : 0
; COMPUTE_PGM_RSRC2:SCRATCH_EN: 0
; COMPUTE_PGM_RSRC2:USER_SGPR: 6
; COMPUTE_PGM_RSRC2:TRAP_HANDLER: 0
; COMPUTE_PGM_RSRC2:TGID_X_EN: 1
; COMPUTE_PGM_RSRC2:TGID_Y_EN: 0
; COMPUTE_PGM_RSRC2:TGID_Z_EN: 0
; COMPUTE_PGM_RSRC2:TIDIG_COMP_CNT: 0
; COMPUTE_PGM_RSRC3_GFX90A:ACCUM_OFFSET: 0
; COMPUTE_PGM_RSRC3_GFX90A:TG_SPLIT: 0
	.section	.text._ZN7rocprim17ROCPRIM_400000_NS6detail17trampoline_kernelINS0_14default_configENS1_27scan_by_key_config_selectorIifEEZZNS1_16scan_by_key_implILNS1_25lookback_scan_determinismE0ELb1ES3_N6thrust23THRUST_200600_302600_NS6detail15normal_iteratorINS9_10device_ptrIiEEEENSB_INSC_IjEEEESE_fNS9_4plusIvEENS9_8equal_toIvEEfEE10hipError_tPvRmT2_T3_T4_T5_mT6_T7_P12ihipStream_tbENKUlT_T0_E_clISt17integral_constantIbLb1EES11_EEDaSW_SX_EUlSW_E_NS1_11comp_targetILNS1_3genE5ELNS1_11target_archE942ELNS1_3gpuE9ELNS1_3repE0EEENS1_30default_config_static_selectorELNS0_4arch9wavefront6targetE1EEEvT1_,"axG",@progbits,_ZN7rocprim17ROCPRIM_400000_NS6detail17trampoline_kernelINS0_14default_configENS1_27scan_by_key_config_selectorIifEEZZNS1_16scan_by_key_implILNS1_25lookback_scan_determinismE0ELb1ES3_N6thrust23THRUST_200600_302600_NS6detail15normal_iteratorINS9_10device_ptrIiEEEENSB_INSC_IjEEEESE_fNS9_4plusIvEENS9_8equal_toIvEEfEE10hipError_tPvRmT2_T3_T4_T5_mT6_T7_P12ihipStream_tbENKUlT_T0_E_clISt17integral_constantIbLb1EES11_EEDaSW_SX_EUlSW_E_NS1_11comp_targetILNS1_3genE5ELNS1_11target_archE942ELNS1_3gpuE9ELNS1_3repE0EEENS1_30default_config_static_selectorELNS0_4arch9wavefront6targetE1EEEvT1_,comdat
	.protected	_ZN7rocprim17ROCPRIM_400000_NS6detail17trampoline_kernelINS0_14default_configENS1_27scan_by_key_config_selectorIifEEZZNS1_16scan_by_key_implILNS1_25lookback_scan_determinismE0ELb1ES3_N6thrust23THRUST_200600_302600_NS6detail15normal_iteratorINS9_10device_ptrIiEEEENSB_INSC_IjEEEESE_fNS9_4plusIvEENS9_8equal_toIvEEfEE10hipError_tPvRmT2_T3_T4_T5_mT6_T7_P12ihipStream_tbENKUlT_T0_E_clISt17integral_constantIbLb1EES11_EEDaSW_SX_EUlSW_E_NS1_11comp_targetILNS1_3genE5ELNS1_11target_archE942ELNS1_3gpuE9ELNS1_3repE0EEENS1_30default_config_static_selectorELNS0_4arch9wavefront6targetE1EEEvT1_ ; -- Begin function _ZN7rocprim17ROCPRIM_400000_NS6detail17trampoline_kernelINS0_14default_configENS1_27scan_by_key_config_selectorIifEEZZNS1_16scan_by_key_implILNS1_25lookback_scan_determinismE0ELb1ES3_N6thrust23THRUST_200600_302600_NS6detail15normal_iteratorINS9_10device_ptrIiEEEENSB_INSC_IjEEEESE_fNS9_4plusIvEENS9_8equal_toIvEEfEE10hipError_tPvRmT2_T3_T4_T5_mT6_T7_P12ihipStream_tbENKUlT_T0_E_clISt17integral_constantIbLb1EES11_EEDaSW_SX_EUlSW_E_NS1_11comp_targetILNS1_3genE5ELNS1_11target_archE942ELNS1_3gpuE9ELNS1_3repE0EEENS1_30default_config_static_selectorELNS0_4arch9wavefront6targetE1EEEvT1_
	.globl	_ZN7rocprim17ROCPRIM_400000_NS6detail17trampoline_kernelINS0_14default_configENS1_27scan_by_key_config_selectorIifEEZZNS1_16scan_by_key_implILNS1_25lookback_scan_determinismE0ELb1ES3_N6thrust23THRUST_200600_302600_NS6detail15normal_iteratorINS9_10device_ptrIiEEEENSB_INSC_IjEEEESE_fNS9_4plusIvEENS9_8equal_toIvEEfEE10hipError_tPvRmT2_T3_T4_T5_mT6_T7_P12ihipStream_tbENKUlT_T0_E_clISt17integral_constantIbLb1EES11_EEDaSW_SX_EUlSW_E_NS1_11comp_targetILNS1_3genE5ELNS1_11target_archE942ELNS1_3gpuE9ELNS1_3repE0EEENS1_30default_config_static_selectorELNS0_4arch9wavefront6targetE1EEEvT1_
	.p2align	8
	.type	_ZN7rocprim17ROCPRIM_400000_NS6detail17trampoline_kernelINS0_14default_configENS1_27scan_by_key_config_selectorIifEEZZNS1_16scan_by_key_implILNS1_25lookback_scan_determinismE0ELb1ES3_N6thrust23THRUST_200600_302600_NS6detail15normal_iteratorINS9_10device_ptrIiEEEENSB_INSC_IjEEEESE_fNS9_4plusIvEENS9_8equal_toIvEEfEE10hipError_tPvRmT2_T3_T4_T5_mT6_T7_P12ihipStream_tbENKUlT_T0_E_clISt17integral_constantIbLb1EES11_EEDaSW_SX_EUlSW_E_NS1_11comp_targetILNS1_3genE5ELNS1_11target_archE942ELNS1_3gpuE9ELNS1_3repE0EEENS1_30default_config_static_selectorELNS0_4arch9wavefront6targetE1EEEvT1_,@function
_ZN7rocprim17ROCPRIM_400000_NS6detail17trampoline_kernelINS0_14default_configENS1_27scan_by_key_config_selectorIifEEZZNS1_16scan_by_key_implILNS1_25lookback_scan_determinismE0ELb1ES3_N6thrust23THRUST_200600_302600_NS6detail15normal_iteratorINS9_10device_ptrIiEEEENSB_INSC_IjEEEESE_fNS9_4plusIvEENS9_8equal_toIvEEfEE10hipError_tPvRmT2_T3_T4_T5_mT6_T7_P12ihipStream_tbENKUlT_T0_E_clISt17integral_constantIbLb1EES11_EEDaSW_SX_EUlSW_E_NS1_11comp_targetILNS1_3genE5ELNS1_11target_archE942ELNS1_3gpuE9ELNS1_3repE0EEENS1_30default_config_static_selectorELNS0_4arch9wavefront6targetE1EEEvT1_: ; @_ZN7rocprim17ROCPRIM_400000_NS6detail17trampoline_kernelINS0_14default_configENS1_27scan_by_key_config_selectorIifEEZZNS1_16scan_by_key_implILNS1_25lookback_scan_determinismE0ELb1ES3_N6thrust23THRUST_200600_302600_NS6detail15normal_iteratorINS9_10device_ptrIiEEEENSB_INSC_IjEEEESE_fNS9_4plusIvEENS9_8equal_toIvEEfEE10hipError_tPvRmT2_T3_T4_T5_mT6_T7_P12ihipStream_tbENKUlT_T0_E_clISt17integral_constantIbLb1EES11_EEDaSW_SX_EUlSW_E_NS1_11comp_targetILNS1_3genE5ELNS1_11target_archE942ELNS1_3gpuE9ELNS1_3repE0EEENS1_30default_config_static_selectorELNS0_4arch9wavefront6targetE1EEEvT1_
; %bb.0:
	.section	.rodata,"a",@progbits
	.p2align	6, 0x0
	.amdhsa_kernel _ZN7rocprim17ROCPRIM_400000_NS6detail17trampoline_kernelINS0_14default_configENS1_27scan_by_key_config_selectorIifEEZZNS1_16scan_by_key_implILNS1_25lookback_scan_determinismE0ELb1ES3_N6thrust23THRUST_200600_302600_NS6detail15normal_iteratorINS9_10device_ptrIiEEEENSB_INSC_IjEEEESE_fNS9_4plusIvEENS9_8equal_toIvEEfEE10hipError_tPvRmT2_T3_T4_T5_mT6_T7_P12ihipStream_tbENKUlT_T0_E_clISt17integral_constantIbLb1EES11_EEDaSW_SX_EUlSW_E_NS1_11comp_targetILNS1_3genE5ELNS1_11target_archE942ELNS1_3gpuE9ELNS1_3repE0EEENS1_30default_config_static_selectorELNS0_4arch9wavefront6targetE1EEEvT1_
		.amdhsa_group_segment_fixed_size 0
		.amdhsa_private_segment_fixed_size 0
		.amdhsa_kernarg_size 112
		.amdhsa_user_sgpr_count 6
		.amdhsa_user_sgpr_private_segment_buffer 1
		.amdhsa_user_sgpr_dispatch_ptr 0
		.amdhsa_user_sgpr_queue_ptr 0
		.amdhsa_user_sgpr_kernarg_segment_ptr 1
		.amdhsa_user_sgpr_dispatch_id 0
		.amdhsa_user_sgpr_flat_scratch_init 0
		.amdhsa_user_sgpr_kernarg_preload_length 0
		.amdhsa_user_sgpr_kernarg_preload_offset 0
		.amdhsa_user_sgpr_private_segment_size 0
		.amdhsa_uses_dynamic_stack 0
		.amdhsa_system_sgpr_private_segment_wavefront_offset 0
		.amdhsa_system_sgpr_workgroup_id_x 1
		.amdhsa_system_sgpr_workgroup_id_y 0
		.amdhsa_system_sgpr_workgroup_id_z 0
		.amdhsa_system_sgpr_workgroup_info 0
		.amdhsa_system_vgpr_workitem_id 0
		.amdhsa_next_free_vgpr 1
		.amdhsa_next_free_sgpr 0
		.amdhsa_accum_offset 4
		.amdhsa_reserve_vcc 0
		.amdhsa_reserve_flat_scratch 0
		.amdhsa_float_round_mode_32 0
		.amdhsa_float_round_mode_16_64 0
		.amdhsa_float_denorm_mode_32 3
		.amdhsa_float_denorm_mode_16_64 3
		.amdhsa_dx10_clamp 1
		.amdhsa_ieee_mode 1
		.amdhsa_fp16_overflow 0
		.amdhsa_tg_split 0
		.amdhsa_exception_fp_ieee_invalid_op 0
		.amdhsa_exception_fp_denorm_src 0
		.amdhsa_exception_fp_ieee_div_zero 0
		.amdhsa_exception_fp_ieee_overflow 0
		.amdhsa_exception_fp_ieee_underflow 0
		.amdhsa_exception_fp_ieee_inexact 0
		.amdhsa_exception_int_div_zero 0
	.end_amdhsa_kernel
	.section	.text._ZN7rocprim17ROCPRIM_400000_NS6detail17trampoline_kernelINS0_14default_configENS1_27scan_by_key_config_selectorIifEEZZNS1_16scan_by_key_implILNS1_25lookback_scan_determinismE0ELb1ES3_N6thrust23THRUST_200600_302600_NS6detail15normal_iteratorINS9_10device_ptrIiEEEENSB_INSC_IjEEEESE_fNS9_4plusIvEENS9_8equal_toIvEEfEE10hipError_tPvRmT2_T3_T4_T5_mT6_T7_P12ihipStream_tbENKUlT_T0_E_clISt17integral_constantIbLb1EES11_EEDaSW_SX_EUlSW_E_NS1_11comp_targetILNS1_3genE5ELNS1_11target_archE942ELNS1_3gpuE9ELNS1_3repE0EEENS1_30default_config_static_selectorELNS0_4arch9wavefront6targetE1EEEvT1_,"axG",@progbits,_ZN7rocprim17ROCPRIM_400000_NS6detail17trampoline_kernelINS0_14default_configENS1_27scan_by_key_config_selectorIifEEZZNS1_16scan_by_key_implILNS1_25lookback_scan_determinismE0ELb1ES3_N6thrust23THRUST_200600_302600_NS6detail15normal_iteratorINS9_10device_ptrIiEEEENSB_INSC_IjEEEESE_fNS9_4plusIvEENS9_8equal_toIvEEfEE10hipError_tPvRmT2_T3_T4_T5_mT6_T7_P12ihipStream_tbENKUlT_T0_E_clISt17integral_constantIbLb1EES11_EEDaSW_SX_EUlSW_E_NS1_11comp_targetILNS1_3genE5ELNS1_11target_archE942ELNS1_3gpuE9ELNS1_3repE0EEENS1_30default_config_static_selectorELNS0_4arch9wavefront6targetE1EEEvT1_,comdat
.Lfunc_end1799:
	.size	_ZN7rocprim17ROCPRIM_400000_NS6detail17trampoline_kernelINS0_14default_configENS1_27scan_by_key_config_selectorIifEEZZNS1_16scan_by_key_implILNS1_25lookback_scan_determinismE0ELb1ES3_N6thrust23THRUST_200600_302600_NS6detail15normal_iteratorINS9_10device_ptrIiEEEENSB_INSC_IjEEEESE_fNS9_4plusIvEENS9_8equal_toIvEEfEE10hipError_tPvRmT2_T3_T4_T5_mT6_T7_P12ihipStream_tbENKUlT_T0_E_clISt17integral_constantIbLb1EES11_EEDaSW_SX_EUlSW_E_NS1_11comp_targetILNS1_3genE5ELNS1_11target_archE942ELNS1_3gpuE9ELNS1_3repE0EEENS1_30default_config_static_selectorELNS0_4arch9wavefront6targetE1EEEvT1_, .Lfunc_end1799-_ZN7rocprim17ROCPRIM_400000_NS6detail17trampoline_kernelINS0_14default_configENS1_27scan_by_key_config_selectorIifEEZZNS1_16scan_by_key_implILNS1_25lookback_scan_determinismE0ELb1ES3_N6thrust23THRUST_200600_302600_NS6detail15normal_iteratorINS9_10device_ptrIiEEEENSB_INSC_IjEEEESE_fNS9_4plusIvEENS9_8equal_toIvEEfEE10hipError_tPvRmT2_T3_T4_T5_mT6_T7_P12ihipStream_tbENKUlT_T0_E_clISt17integral_constantIbLb1EES11_EEDaSW_SX_EUlSW_E_NS1_11comp_targetILNS1_3genE5ELNS1_11target_archE942ELNS1_3gpuE9ELNS1_3repE0EEENS1_30default_config_static_selectorELNS0_4arch9wavefront6targetE1EEEvT1_
                                        ; -- End function
	.section	.AMDGPU.csdata,"",@progbits
; Kernel info:
; codeLenInByte = 0
; NumSgprs: 4
; NumVgprs: 0
; NumAgprs: 0
; TotalNumVgprs: 0
; ScratchSize: 0
; MemoryBound: 0
; FloatMode: 240
; IeeeMode: 1
; LDSByteSize: 0 bytes/workgroup (compile time only)
; SGPRBlocks: 0
; VGPRBlocks: 0
; NumSGPRsForWavesPerEU: 4
; NumVGPRsForWavesPerEU: 1
; AccumOffset: 4
; Occupancy: 8
; WaveLimiterHint : 0
; COMPUTE_PGM_RSRC2:SCRATCH_EN: 0
; COMPUTE_PGM_RSRC2:USER_SGPR: 6
; COMPUTE_PGM_RSRC2:TRAP_HANDLER: 0
; COMPUTE_PGM_RSRC2:TGID_X_EN: 1
; COMPUTE_PGM_RSRC2:TGID_Y_EN: 0
; COMPUTE_PGM_RSRC2:TGID_Z_EN: 0
; COMPUTE_PGM_RSRC2:TIDIG_COMP_CNT: 0
; COMPUTE_PGM_RSRC3_GFX90A:ACCUM_OFFSET: 0
; COMPUTE_PGM_RSRC3_GFX90A:TG_SPLIT: 0
	.section	.text._ZN7rocprim17ROCPRIM_400000_NS6detail17trampoline_kernelINS0_14default_configENS1_27scan_by_key_config_selectorIifEEZZNS1_16scan_by_key_implILNS1_25lookback_scan_determinismE0ELb1ES3_N6thrust23THRUST_200600_302600_NS6detail15normal_iteratorINS9_10device_ptrIiEEEENSB_INSC_IjEEEESE_fNS9_4plusIvEENS9_8equal_toIvEEfEE10hipError_tPvRmT2_T3_T4_T5_mT6_T7_P12ihipStream_tbENKUlT_T0_E_clISt17integral_constantIbLb1EES11_EEDaSW_SX_EUlSW_E_NS1_11comp_targetILNS1_3genE4ELNS1_11target_archE910ELNS1_3gpuE8ELNS1_3repE0EEENS1_30default_config_static_selectorELNS0_4arch9wavefront6targetE1EEEvT1_,"axG",@progbits,_ZN7rocprim17ROCPRIM_400000_NS6detail17trampoline_kernelINS0_14default_configENS1_27scan_by_key_config_selectorIifEEZZNS1_16scan_by_key_implILNS1_25lookback_scan_determinismE0ELb1ES3_N6thrust23THRUST_200600_302600_NS6detail15normal_iteratorINS9_10device_ptrIiEEEENSB_INSC_IjEEEESE_fNS9_4plusIvEENS9_8equal_toIvEEfEE10hipError_tPvRmT2_T3_T4_T5_mT6_T7_P12ihipStream_tbENKUlT_T0_E_clISt17integral_constantIbLb1EES11_EEDaSW_SX_EUlSW_E_NS1_11comp_targetILNS1_3genE4ELNS1_11target_archE910ELNS1_3gpuE8ELNS1_3repE0EEENS1_30default_config_static_selectorELNS0_4arch9wavefront6targetE1EEEvT1_,comdat
	.protected	_ZN7rocprim17ROCPRIM_400000_NS6detail17trampoline_kernelINS0_14default_configENS1_27scan_by_key_config_selectorIifEEZZNS1_16scan_by_key_implILNS1_25lookback_scan_determinismE0ELb1ES3_N6thrust23THRUST_200600_302600_NS6detail15normal_iteratorINS9_10device_ptrIiEEEENSB_INSC_IjEEEESE_fNS9_4plusIvEENS9_8equal_toIvEEfEE10hipError_tPvRmT2_T3_T4_T5_mT6_T7_P12ihipStream_tbENKUlT_T0_E_clISt17integral_constantIbLb1EES11_EEDaSW_SX_EUlSW_E_NS1_11comp_targetILNS1_3genE4ELNS1_11target_archE910ELNS1_3gpuE8ELNS1_3repE0EEENS1_30default_config_static_selectorELNS0_4arch9wavefront6targetE1EEEvT1_ ; -- Begin function _ZN7rocprim17ROCPRIM_400000_NS6detail17trampoline_kernelINS0_14default_configENS1_27scan_by_key_config_selectorIifEEZZNS1_16scan_by_key_implILNS1_25lookback_scan_determinismE0ELb1ES3_N6thrust23THRUST_200600_302600_NS6detail15normal_iteratorINS9_10device_ptrIiEEEENSB_INSC_IjEEEESE_fNS9_4plusIvEENS9_8equal_toIvEEfEE10hipError_tPvRmT2_T3_T4_T5_mT6_T7_P12ihipStream_tbENKUlT_T0_E_clISt17integral_constantIbLb1EES11_EEDaSW_SX_EUlSW_E_NS1_11comp_targetILNS1_3genE4ELNS1_11target_archE910ELNS1_3gpuE8ELNS1_3repE0EEENS1_30default_config_static_selectorELNS0_4arch9wavefront6targetE1EEEvT1_
	.globl	_ZN7rocprim17ROCPRIM_400000_NS6detail17trampoline_kernelINS0_14default_configENS1_27scan_by_key_config_selectorIifEEZZNS1_16scan_by_key_implILNS1_25lookback_scan_determinismE0ELb1ES3_N6thrust23THRUST_200600_302600_NS6detail15normal_iteratorINS9_10device_ptrIiEEEENSB_INSC_IjEEEESE_fNS9_4plusIvEENS9_8equal_toIvEEfEE10hipError_tPvRmT2_T3_T4_T5_mT6_T7_P12ihipStream_tbENKUlT_T0_E_clISt17integral_constantIbLb1EES11_EEDaSW_SX_EUlSW_E_NS1_11comp_targetILNS1_3genE4ELNS1_11target_archE910ELNS1_3gpuE8ELNS1_3repE0EEENS1_30default_config_static_selectorELNS0_4arch9wavefront6targetE1EEEvT1_
	.p2align	8
	.type	_ZN7rocprim17ROCPRIM_400000_NS6detail17trampoline_kernelINS0_14default_configENS1_27scan_by_key_config_selectorIifEEZZNS1_16scan_by_key_implILNS1_25lookback_scan_determinismE0ELb1ES3_N6thrust23THRUST_200600_302600_NS6detail15normal_iteratorINS9_10device_ptrIiEEEENSB_INSC_IjEEEESE_fNS9_4plusIvEENS9_8equal_toIvEEfEE10hipError_tPvRmT2_T3_T4_T5_mT6_T7_P12ihipStream_tbENKUlT_T0_E_clISt17integral_constantIbLb1EES11_EEDaSW_SX_EUlSW_E_NS1_11comp_targetILNS1_3genE4ELNS1_11target_archE910ELNS1_3gpuE8ELNS1_3repE0EEENS1_30default_config_static_selectorELNS0_4arch9wavefront6targetE1EEEvT1_,@function
_ZN7rocprim17ROCPRIM_400000_NS6detail17trampoline_kernelINS0_14default_configENS1_27scan_by_key_config_selectorIifEEZZNS1_16scan_by_key_implILNS1_25lookback_scan_determinismE0ELb1ES3_N6thrust23THRUST_200600_302600_NS6detail15normal_iteratorINS9_10device_ptrIiEEEENSB_INSC_IjEEEESE_fNS9_4plusIvEENS9_8equal_toIvEEfEE10hipError_tPvRmT2_T3_T4_T5_mT6_T7_P12ihipStream_tbENKUlT_T0_E_clISt17integral_constantIbLb1EES11_EEDaSW_SX_EUlSW_E_NS1_11comp_targetILNS1_3genE4ELNS1_11target_archE910ELNS1_3gpuE8ELNS1_3repE0EEENS1_30default_config_static_selectorELNS0_4arch9wavefront6targetE1EEEvT1_: ; @_ZN7rocprim17ROCPRIM_400000_NS6detail17trampoline_kernelINS0_14default_configENS1_27scan_by_key_config_selectorIifEEZZNS1_16scan_by_key_implILNS1_25lookback_scan_determinismE0ELb1ES3_N6thrust23THRUST_200600_302600_NS6detail15normal_iteratorINS9_10device_ptrIiEEEENSB_INSC_IjEEEESE_fNS9_4plusIvEENS9_8equal_toIvEEfEE10hipError_tPvRmT2_T3_T4_T5_mT6_T7_P12ihipStream_tbENKUlT_T0_E_clISt17integral_constantIbLb1EES11_EEDaSW_SX_EUlSW_E_NS1_11comp_targetILNS1_3genE4ELNS1_11target_archE910ELNS1_3gpuE8ELNS1_3repE0EEENS1_30default_config_static_selectorELNS0_4arch9wavefront6targetE1EEEvT1_
; %bb.0:
	s_load_dword s54, s[4:5], 0x20
	s_load_dwordx4 s[44:47], s[4:5], 0x28
	s_load_dwordx2 s[52:53], s[4:5], 0x38
	v_cmp_eq_u32_e64 s[0:1], 0, v0
	s_and_saveexec_b64 s[2:3], s[0:1]
	s_cbranch_execz .LBB1800_4
; %bb.1:
	s_mov_b64 s[8:9], exec
	v_mbcnt_lo_u32_b32 v1, s8, 0
	v_mbcnt_hi_u32_b32 v1, s9, v1
	v_cmp_eq_u32_e32 vcc, 0, v1
                                        ; implicit-def: $vgpr2
	s_and_saveexec_b64 s[6:7], vcc
	s_cbranch_execz .LBB1800_3
; %bb.2:
	s_load_dwordx2 s[10:11], s[4:5], 0x68
	s_bcnt1_i32_b64 s8, s[8:9]
	v_mov_b32_e32 v2, 0
	v_mov_b32_e32 v3, s8
	s_waitcnt lgkmcnt(0)
	global_atomic_add v2, v2, v3, s[10:11] glc
.LBB1800_3:
	s_or_b64 exec, exec, s[6:7]
	s_waitcnt vmcnt(0)
	v_readfirstlane_b32 s6, v2
	v_add_u32_e32 v1, s6, v1
	v_mov_b32_e32 v2, 0
	ds_write_b32 v2, v1
.LBB1800_4:
	s_or_b64 exec, exec, s[2:3]
	s_load_dwordx8 s[36:43], s[4:5], 0x0
	s_load_dword s2, s[4:5], 0x40
	s_load_dwordx4 s[48:51], s[4:5], 0x48
	v_mov_b32_e32 v3, 0
	s_waitcnt lgkmcnt(0)
	s_lshl_b64 s[34:35], s[38:39], 2
	s_barrier
	ds_read_b32 v1, v3
	s_add_u32 s3, s36, s34
	s_addc_u32 s4, s37, s35
	s_add_u32 s5, s40, s34
	s_mul_i32 s7, s53, s2
	s_mul_hi_u32 s8, s52, s2
	s_addc_u32 s6, s41, s35
	s_add_i32 s7, s8, s7
	s_movk_i32 s8, 0xe00
	s_waitcnt lgkmcnt(0)
	v_mul_lo_u32 v2, v1, s8
	v_lshlrev_b64 v[16:17], 2, v[2:3]
	v_mov_b32_e32 v2, s4
	v_add_co_u32_e32 v14, vcc, s3, v16
	v_addc_co_u32_e32 v15, vcc, v2, v17, vcc
	v_mov_b32_e32 v2, s6
	v_add_co_u32_e32 v22, vcc, s5, v16
	s_mul_i32 s2, s52, s2
	v_addc_co_u32_e32 v23, vcc, v2, v17, vcc
	v_mov_b32_e32 v3, s7
	v_add_co_u32_e32 v2, vcc, s2, v1
	s_add_u32 s6, s48, -1
	v_addc_co_u32_e32 v3, vcc, 0, v3, vcc
	s_addc_u32 s7, s49, -1
	v_cmp_le_u64_e64 s[2:3], s[6:7], v[2:3]
	v_readfirstlane_b32 s47, v1
	s_mov_b64 s[4:5], -1
	s_and_b64 vcc, exec, s[2:3]
	s_mul_i32 s33, s6, 0xfffff200
	s_barrier
	s_barrier
	s_cbranch_vccz .LBB1800_80
; %bb.5:
	flat_load_dword v2, v[14:15]
	s_add_i32 s49, s33, s46
	v_cmp_gt_u32_e32 vcc, s49, v0
	s_waitcnt vmcnt(0) lgkmcnt(0)
	v_mov_b32_e32 v3, v2
	s_and_saveexec_b64 s[6:7], vcc
	s_cbranch_execz .LBB1800_7
; %bb.6:
	v_lshlrev_b32_e32 v1, 2, v0
	v_add_co_u32_e64 v4, s[4:5], v14, v1
	v_addc_co_u32_e64 v5, s[4:5], 0, v15, s[4:5]
	flat_load_dword v3, v[4:5]
.LBB1800_7:
	s_or_b64 exec, exec, s[6:7]
	v_or_b32_e32 v1, 0x100, v0
	v_cmp_gt_u32_e64 s[4:5], s49, v1
	v_mov_b32_e32 v4, v2
	s_and_saveexec_b64 s[8:9], s[4:5]
	s_cbranch_execz .LBB1800_9
; %bb.8:
	v_lshlrev_b32_e32 v1, 2, v0
	v_add_co_u32_e64 v4, s[6:7], v14, v1
	v_addc_co_u32_e64 v5, s[6:7], 0, v15, s[6:7]
	flat_load_dword v4, v[4:5] offset:1024
.LBB1800_9:
	s_or_b64 exec, exec, s[8:9]
	v_or_b32_e32 v1, 0x200, v0
	v_cmp_gt_u32_e64 s[6:7], s49, v1
	v_mov_b32_e32 v5, v2
	s_and_saveexec_b64 s[10:11], s[6:7]
	s_cbranch_execz .LBB1800_11
; %bb.10:
	v_lshlrev_b32_e32 v1, 2, v0
	v_add_co_u32_e64 v6, s[8:9], v14, v1
	v_addc_co_u32_e64 v7, s[8:9], 0, v15, s[8:9]
	flat_load_dword v5, v[6:7] offset:2048
.LBB1800_11:
	;; [unrolled: 12-line block ×3, first 2 shown]
	s_or_b64 exec, exec, s[12:13]
	v_or_b32_e32 v1, 0x400, v0
	v_cmp_gt_u32_e64 s[10:11], s49, v1
	v_mov_b32_e32 v7, v2
	s_and_saveexec_b64 s[14:15], s[10:11]
	s_cbranch_execz .LBB1800_15
; %bb.14:
	v_lshlrev_b32_e32 v7, 2, v1
	v_add_co_u32_e64 v8, s[12:13], v14, v7
	v_addc_co_u32_e64 v9, s[12:13], 0, v15, s[12:13]
	flat_load_dword v7, v[8:9]
.LBB1800_15:
	s_or_b64 exec, exec, s[14:15]
	v_or_b32_e32 v20, 0x500, v0
	v_cmp_gt_u32_e64 s[12:13], s49, v20
	v_mov_b32_e32 v8, v2
	s_and_saveexec_b64 s[16:17], s[12:13]
	s_cbranch_execz .LBB1800_17
; %bb.16:
	v_lshlrev_b32_e32 v8, 2, v20
	v_add_co_u32_e64 v8, s[14:15], v14, v8
	v_addc_co_u32_e64 v9, s[14:15], 0, v15, s[14:15]
	flat_load_dword v8, v[8:9]
.LBB1800_17:
	;; [unrolled: 12-line block ×9, first 2 shown]
	s_or_b64 exec, exec, s[30:31]
	v_or_b32_e32 v32, 0xd00, v0
	v_cmp_gt_u32_e64 s[28:29], s49, v32
	s_and_saveexec_b64 s[36:37], s[28:29]
	s_cbranch_execz .LBB1800_33
; %bb.32:
	v_lshlrev_b32_e32 v2, 2, v32
	v_add_co_u32_e64 v24, s[30:31], v14, v2
	v_addc_co_u32_e64 v25, s[30:31], 0, v15, s[30:31]
	flat_load_dword v2, v[24:25]
.LBB1800_33:
	s_or_b64 exec, exec, s[36:37]
	v_lshlrev_b32_e32 v33, 2, v0
	s_waitcnt vmcnt(0) lgkmcnt(0)
	ds_write2st64_b32 v33, v3, v4 offset1:4
	ds_write2st64_b32 v33, v5, v6 offset0:8 offset1:12
	ds_write2st64_b32 v33, v7, v8 offset0:16 offset1:20
	;; [unrolled: 1-line block ×6, first 2 shown]
	s_waitcnt lgkmcnt(0)
	s_barrier
	flat_load_dword v24, v[14:15]
	v_mad_u32_u24 v25, v0, 52, v33
	s_movk_i32 s30, 0xffcc
	ds_read2_b64 v[10:13], v25 offset1:1
	ds_read2_b64 v[6:9], v25 offset0:2 offset1:3
	ds_read2_b64 v[2:5], v25 offset0:4 offset1:5
	ds_read_b64 v[18:19], v25 offset:48
	v_mad_i32_i24 v34, v0, s30, v25
	s_movk_i32 s30, 0xff
	v_cmp_ne_u32_e64 s[30:31], s30, v0
	s_waitcnt lgkmcnt(0)
	ds_write_b32 v34, v10 offset:15360
	s_waitcnt lgkmcnt(0)
	s_barrier
	s_and_saveexec_b64 s[36:37], s[30:31]
	s_cbranch_execz .LBB1800_35
; %bb.34:
	s_waitcnt vmcnt(0)
	ds_read_b32 v24, v33 offset:15364
.LBB1800_35:
	s_or_b64 exec, exec, s[36:37]
	s_waitcnt lgkmcnt(0)
	s_barrier
	s_waitcnt lgkmcnt(0)
                                        ; implicit-def: $vgpr34
	s_and_saveexec_b64 s[30:31], vcc
	s_cbranch_execz .LBB1800_155
; %bb.36:
	v_add_co_u32_e32 v34, vcc, v22, v33
	v_addc_co_u32_e32 v35, vcc, 0, v23, vcc
	flat_load_dword v34, v[34:35]
	s_waitcnt vmcnt(0) lgkmcnt(0)
	v_cvt_f32_u32_e32 v34, v34
	s_or_b64 exec, exec, s[30:31]
                                        ; implicit-def: $vgpr35
	s_and_saveexec_b64 s[30:31], s[4:5]
	s_cbranch_execnz .LBB1800_156
.LBB1800_37:
	s_or_b64 exec, exec, s[30:31]
                                        ; implicit-def: $vgpr36
	s_and_saveexec_b64 s[4:5], s[6:7]
	s_cbranch_execz .LBB1800_157
.LBB1800_38:
	v_add_co_u32_e32 v36, vcc, v22, v33
	v_addc_co_u32_e32 v37, vcc, 0, v23, vcc
	flat_load_dword v36, v[36:37] offset:2048
	s_waitcnt vmcnt(0) lgkmcnt(0)
	v_cvt_f32_u32_e32 v36, v36
	s_or_b64 exec, exec, s[4:5]
                                        ; implicit-def: $vgpr37
	s_and_saveexec_b64 s[4:5], s[8:9]
	s_cbranch_execnz .LBB1800_158
.LBB1800_39:
	s_or_b64 exec, exec, s[4:5]
                                        ; implicit-def: $vgpr38
	s_and_saveexec_b64 s[4:5], s[10:11]
	s_cbranch_execz .LBB1800_159
.LBB1800_40:
	v_lshlrev_b32_e32 v1, 2, v1
	v_add_co_u32_e32 v38, vcc, v22, v1
	v_addc_co_u32_e32 v39, vcc, 0, v23, vcc
	flat_load_dword v1, v[38:39]
	s_waitcnt vmcnt(0) lgkmcnt(0)
	v_cvt_f32_u32_e32 v38, v1
	s_or_b64 exec, exec, s[4:5]
                                        ; implicit-def: $vgpr1
	s_and_saveexec_b64 s[4:5], s[12:13]
	s_cbranch_execnz .LBB1800_160
.LBB1800_41:
	s_or_b64 exec, exec, s[4:5]
                                        ; implicit-def: $vgpr20
	s_and_saveexec_b64 s[4:5], s[14:15]
	s_cbranch_execz .LBB1800_161
.LBB1800_42:
	v_lshlrev_b32_e32 v20, 2, v21
	v_add_co_u32_e32 v20, vcc, v22, v20
	v_addc_co_u32_e32 v21, vcc, 0, v23, vcc
	flat_load_dword v20, v[20:21]
	s_waitcnt vmcnt(0) lgkmcnt(0)
	v_cvt_f32_u32_e32 v20, v20
	s_or_b64 exec, exec, s[4:5]
                                        ; implicit-def: $vgpr21
	s_and_saveexec_b64 s[4:5], s[16:17]
	s_cbranch_execnz .LBB1800_162
.LBB1800_43:
	s_or_b64 exec, exec, s[4:5]
                                        ; implicit-def: $vgpr26
	s_and_saveexec_b64 s[4:5], s[18:19]
	s_cbranch_execz .LBB1800_163
.LBB1800_44:
	v_lshlrev_b32_e32 v26, 2, v27
	v_add_co_u32_e32 v26, vcc, v22, v26
	v_addc_co_u32_e32 v27, vcc, 0, v23, vcc
	flat_load_dword v26, v[26:27]
	s_waitcnt vmcnt(0) lgkmcnt(0)
	v_cvt_f32_u32_e32 v26, v26
	s_or_b64 exec, exec, s[4:5]
                                        ; implicit-def: $vgpr27
	s_and_saveexec_b64 s[4:5], s[20:21]
	s_cbranch_execnz .LBB1800_164
.LBB1800_45:
	s_or_b64 exec, exec, s[4:5]
                                        ; implicit-def: $vgpr28
	s_and_saveexec_b64 s[4:5], s[22:23]
	s_cbranch_execz .LBB1800_165
.LBB1800_46:
	v_lshlrev_b32_e32 v28, 2, v29
	v_add_co_u32_e32 v28, vcc, v22, v28
	v_addc_co_u32_e32 v29, vcc, 0, v23, vcc
	flat_load_dword v28, v[28:29]
	s_waitcnt vmcnt(0) lgkmcnt(0)
	v_cvt_f32_u32_e32 v28, v28
	s_or_b64 exec, exec, s[4:5]
                                        ; implicit-def: $vgpr29
	s_and_saveexec_b64 s[4:5], s[24:25]
	s_cbranch_execnz .LBB1800_166
.LBB1800_47:
	s_or_b64 exec, exec, s[4:5]
                                        ; implicit-def: $vgpr30
	s_and_saveexec_b64 s[4:5], s[26:27]
	s_cbranch_execz .LBB1800_49
.LBB1800_48:
	v_lshlrev_b32_e32 v30, 2, v31
	v_add_co_u32_e32 v30, vcc, v22, v30
	v_addc_co_u32_e32 v31, vcc, 0, v23, vcc
	flat_load_dword v30, v[30:31]
	s_waitcnt vmcnt(0) lgkmcnt(0)
	v_cvt_f32_u32_e32 v30, v30
.LBB1800_49:
	s_or_b64 exec, exec, s[4:5]
	v_mul_u32_u24_e32 v51, 14, v0
                                        ; implicit-def: $vgpr31
	s_and_saveexec_b64 s[4:5], s[28:29]
	s_cbranch_execz .LBB1800_51
; %bb.50:
	v_lshlrev_b32_e32 v31, 2, v32
	v_add_co_u32_e32 v40, vcc, v22, v31
	v_addc_co_u32_e32 v41, vcc, 0, v23, vcc
	flat_load_dword v31, v[40:41]
	s_waitcnt vmcnt(0) lgkmcnt(0)
	v_cvt_f32_u32_e32 v31, v31
.LBB1800_51:
	s_or_b64 exec, exec, s[4:5]
	ds_write2st64_b32 v33, v34, v35 offset1:4
	ds_write2st64_b32 v33, v36, v37 offset0:8 offset1:12
	ds_write2st64_b32 v33, v38, v1 offset0:16 offset1:20
	;; [unrolled: 1-line block ×6, first 2 shown]
	v_cmp_gt_u32_e32 vcc, s49, v51
	s_mov_b64 s[4:5], 0
	s_mov_b32 s48, 0
	v_mov_b32_e32 v1, 0
	v_mov_b32_e32 v26, 0
	s_mov_b64 s[10:11], 0
	v_mov_b32_e32 v40, 0
	v_mov_b32_e32 v30, 0
	;; [unrolled: 1-line block ×24, first 2 shown]
	s_waitcnt lgkmcnt(0)
	s_barrier
	s_waitcnt lgkmcnt(0)
                                        ; implicit-def: $sgpr8_sgpr9
                                        ; implicit-def: $vgpr20
	s_and_saveexec_b64 s[6:7], vcc
	s_cbranch_execz .LBB1800_79
; %bb.52:
	ds_read_b32 v20, v25
	v_or_b32_e32 v21, 1, v51
	v_cmp_ne_u32_e32 vcc, v10, v11
	v_mov_b32_e32 v10, s54
	v_cndmask_b32_e64 v1, 0, 1, vcc
	s_waitcnt lgkmcnt(0)
	v_cndmask_b32_e32 v30, v20, v10, vcc
	v_cmp_gt_u32_e32 vcc, s49, v21
	v_mov_b32_e32 v26, 0
	v_mov_b32_e32 v40, 0
	;; [unrolled: 1-line block ×24, first 2 shown]
                                        ; implicit-def: $sgpr12_sgpr13
                                        ; implicit-def: $vgpr20
	s_and_saveexec_b64 s[8:9], vcc
	s_cbranch_execz .LBB1800_78
; %bb.53:
	ds_read2_b32 v[20:21], v25 offset0:1 offset1:2
	v_add_u32_e32 v10, 2, v51
	v_cmp_ne_u32_e32 vcc, v11, v12
	v_mov_b32_e32 v11, s54
	v_cndmask_b32_e64 v34, 0, 1, vcc
	s_waitcnt lgkmcnt(0)
	v_cndmask_b32_e32 v28, v20, v11, vcc
	v_cmp_gt_u32_e32 vcc, s49, v10
	s_mov_b64 s[14:15], 0
	v_mov_b32_e32 v26, 0
	v_mov_b32_e32 v40, 0
	;; [unrolled: 1-line block ×22, first 2 shown]
                                        ; implicit-def: $sgpr12_sgpr13
                                        ; implicit-def: $vgpr20
	s_and_saveexec_b64 s[10:11], vcc
	s_cbranch_execz .LBB1800_77
; %bb.54:
	v_add_u32_e32 v10, 3, v51
	v_cmp_ne_u32_e32 vcc, v12, v13
	v_mov_b32_e32 v11, s54
	v_cndmask_b32_e64 v37, 0, 1, vcc
	v_cndmask_b32_e32 v29, v21, v11, vcc
	v_cmp_gt_u32_e32 vcc, s49, v10
	v_mov_b32_e32 v26, 0
	v_mov_b32_e32 v40, 0
	;; [unrolled: 1-line block ×20, first 2 shown]
                                        ; implicit-def: $sgpr16_sgpr17
                                        ; implicit-def: $vgpr20
	s_and_saveexec_b64 s[12:13], vcc
	s_cbranch_execz .LBB1800_76
; %bb.55:
	ds_read2_b32 v[10:11], v25 offset0:3 offset1:4
	v_add_u32_e32 v12, 4, v51
	v_cmp_ne_u32_e32 vcc, v13, v6
	v_mov_b32_e32 v13, s54
	v_cndmask_b32_e64 v42, 0, 1, vcc
	s_waitcnt lgkmcnt(0)
	v_cndmask_b32_e32 v31, v10, v13, vcc
	v_cmp_gt_u32_e32 vcc, s49, v12
	s_mov_b64 s[18:19], 0
	v_mov_b32_e32 v26, 0
	v_mov_b32_e32 v40, 0
	;; [unrolled: 1-line block ×18, first 2 shown]
                                        ; implicit-def: $sgpr16_sgpr17
                                        ; implicit-def: $vgpr20
	s_and_saveexec_b64 s[14:15], vcc
	s_cbranch_execz .LBB1800_75
; %bb.56:
	v_add_u32_e32 v10, 5, v51
	v_cmp_ne_u32_e32 vcc, v6, v7
	v_mov_b32_e32 v6, s54
	v_cndmask_b32_e64 v43, 0, 1, vcc
	v_cndmask_b32_e32 v27, v11, v6, vcc
	v_cmp_gt_u32_e32 vcc, s49, v10
	v_mov_b32_e32 v26, 0
	v_mov_b32_e32 v40, 0
	;; [unrolled: 1-line block ×16, first 2 shown]
                                        ; implicit-def: $sgpr20_sgpr21
                                        ; implicit-def: $vgpr20
	s_and_saveexec_b64 s[16:17], vcc
	s_cbranch_execz .LBB1800_74
; %bb.57:
	ds_read2_b32 v[10:11], v25 offset0:5 offset1:6
	v_add_u32_e32 v6, 6, v51
	v_cmp_ne_u32_e32 vcc, v7, v8
	v_mov_b32_e32 v7, s54
	v_cndmask_b32_e64 v44, 0, 1, vcc
	s_waitcnt lgkmcnt(0)
	v_cndmask_b32_e32 v32, v10, v7, vcc
	v_cmp_gt_u32_e32 vcc, s49, v6
	s_mov_b64 s[22:23], 0
	v_mov_b32_e32 v26, 0
	v_mov_b32_e32 v40, 0
	;; [unrolled: 1-line block ×14, first 2 shown]
                                        ; implicit-def: $sgpr20_sgpr21
                                        ; implicit-def: $vgpr20
	s_and_saveexec_b64 s[18:19], vcc
	s_cbranch_execz .LBB1800_73
; %bb.58:
	v_add_u32_e32 v6, 7, v51
	v_cmp_ne_u32_e32 vcc, v8, v9
	v_mov_b32_e32 v7, s54
	v_cndmask_b32_e64 v45, 0, 1, vcc
	v_cndmask_b32_e32 v33, v11, v7, vcc
	v_cmp_gt_u32_e32 vcc, s49, v6
	v_mov_b32_e32 v26, 0
	v_mov_b32_e32 v40, 0
	;; [unrolled: 1-line block ×12, first 2 shown]
                                        ; implicit-def: $sgpr24_sgpr25
                                        ; implicit-def: $vgpr20
	s_and_saveexec_b64 s[20:21], vcc
	s_cbranch_execz .LBB1800_72
; %bb.59:
	ds_read2_b32 v[6:7], v25 offset0:7 offset1:8
	v_add_u32_e32 v8, 8, v51
	v_cmp_ne_u32_e32 vcc, v9, v2
	v_mov_b32_e32 v9, s54
	v_cndmask_b32_e64 v46, 0, 1, vcc
	s_waitcnt lgkmcnt(0)
	v_cndmask_b32_e32 v35, v6, v9, vcc
	v_cmp_gt_u32_e32 vcc, s49, v8
	s_mov_b64 s[26:27], 0
	v_mov_b32_e32 v26, 0
	v_mov_b32_e32 v40, 0
	;; [unrolled: 1-line block ×10, first 2 shown]
                                        ; implicit-def: $sgpr24_sgpr25
                                        ; implicit-def: $vgpr20
	s_and_saveexec_b64 s[22:23], vcc
	s_cbranch_execz .LBB1800_71
; %bb.60:
	v_add_u32_e32 v6, 9, v51
	v_cmp_ne_u32_e32 vcc, v2, v3
	v_mov_b32_e32 v2, s54
	v_cndmask_b32_e64 v47, 0, 1, vcc
	v_cndmask_b32_e32 v36, v7, v2, vcc
	v_cmp_gt_u32_e32 vcc, s49, v6
	v_mov_b32_e32 v26, 0
	v_mov_b32_e32 v40, 0
	;; [unrolled: 1-line block ×8, first 2 shown]
                                        ; implicit-def: $sgpr28_sgpr29
                                        ; implicit-def: $vgpr20
	s_and_saveexec_b64 s[24:25], vcc
	s_cbranch_execz .LBB1800_70
; %bb.61:
	ds_read2_b32 v[6:7], v25 offset0:9 offset1:10
	v_add_u32_e32 v2, 10, v51
	v_cmp_ne_u32_e32 vcc, v3, v4
	v_mov_b32_e32 v3, s54
	v_cndmask_b32_e64 v48, 0, 1, vcc
	s_waitcnt lgkmcnt(0)
	v_cndmask_b32_e32 v38, v6, v3, vcc
	v_cmp_gt_u32_e32 vcc, s49, v2
	s_mov_b64 s[30:31], 0
	v_mov_b32_e32 v26, 0
	v_mov_b32_e32 v40, 0
	v_mov_b32_e32 v41, 0
	v_mov_b32_e32 v50, 0
	v_mov_b32_e32 v39, 0
	v_mov_b32_e32 v49, 0
                                        ; implicit-def: $sgpr28_sgpr29
                                        ; implicit-def: $vgpr20
	s_and_saveexec_b64 s[26:27], vcc
	s_cbranch_execz .LBB1800_69
; %bb.62:
	v_add_u32_e32 v2, 11, v51
	v_cmp_ne_u32_e32 vcc, v4, v5
	v_mov_b32_e32 v3, s54
	v_cndmask_b32_e64 v49, 0, 1, vcc
	v_cndmask_b32_e32 v39, v7, v3, vcc
	v_cmp_gt_u32_e32 vcc, s49, v2
	v_mov_b32_e32 v26, 0
	v_mov_b32_e32 v40, 0
	v_mov_b32_e32 v41, 0
	v_mov_b32_e32 v50, 0
                                        ; implicit-def: $sgpr36_sgpr37
                                        ; implicit-def: $vgpr20
	s_and_saveexec_b64 s[28:29], vcc
	s_cbranch_execz .LBB1800_68
; %bb.63:
	ds_read2_b32 v[2:3], v25 offset0:11 offset1:12
	v_add_u32_e32 v4, 12, v51
	v_cmp_ne_u32_e32 vcc, v5, v18
	v_mov_b32_e32 v5, s54
	v_cndmask_b32_e64 v50, 0, 1, vcc
	s_waitcnt lgkmcnt(0)
	v_cndmask_b32_e32 v41, v2, v5, vcc
	v_cmp_gt_u32_e32 vcc, s49, v4
	s_mov_b64 s[38:39], 0
	v_mov_b32_e32 v26, 0
	v_mov_b32_e32 v40, 0
                                        ; implicit-def: $sgpr40_sgpr41
                                        ; implicit-def: $vgpr20
	s_and_saveexec_b64 s[30:31], vcc
	s_cbranch_execz .LBB1800_67
; %bb.64:
	v_add_u32_e32 v2, 13, v51
	v_cmp_ne_u32_e32 vcc, v18, v19
	v_mov_b32_e32 v4, s54
	v_cndmask_b32_e64 v40, 0, 1, vcc
	v_cndmask_b32_e32 v26, v3, v4, vcc
	v_cmp_gt_u32_e32 vcc, s49, v2
	s_mov_b64 s[36:37], 0
                                        ; implicit-def: $sgpr38_sgpr39
                                        ; implicit-def: $vgpr20
	s_and_saveexec_b64 s[40:41], vcc
	s_xor_b64 s[40:41], exec, s[40:41]
	s_cbranch_execz .LBB1800_66
; %bb.65:
	ds_read_b32 v2, v25 offset:52
	v_mov_b32_e32 v3, s54
	s_waitcnt vmcnt(0)
	v_cmp_ne_u32_e32 vcc, v19, v24
	s_mov_b64 s[36:37], exec
	s_and_b64 s[38:39], vcc, exec
	s_waitcnt lgkmcnt(0)
	v_cndmask_b32_e32 v20, v2, v3, vcc
.LBB1800_66:
	s_or_b64 exec, exec, s[40:41]
	s_and_b64 s[40:41], s[38:39], exec
	s_and_b64 s[38:39], s[36:37], exec
.LBB1800_67:
	s_or_b64 exec, exec, s[30:31]
	s_and_b64 s[36:37], s[40:41], exec
	s_and_b64 s[30:31], s[38:39], exec
.LBB1800_68:
	s_or_b64 exec, exec, s[28:29]
	s_and_b64 s[28:29], s[36:37], exec
	s_and_b64 s[30:31], s[30:31], exec
.LBB1800_69:
	s_or_b64 exec, exec, s[26:27]
	s_and_b64 s[28:29], s[28:29], exec
	s_and_b64 s[26:27], s[30:31], exec
.LBB1800_70:
	s_or_b64 exec, exec, s[24:25]
	s_and_b64 s[24:25], s[28:29], exec
	s_and_b64 s[26:27], s[26:27], exec
.LBB1800_71:
	s_or_b64 exec, exec, s[22:23]
	s_and_b64 s[24:25], s[24:25], exec
	s_and_b64 s[22:23], s[26:27], exec
.LBB1800_72:
	s_or_b64 exec, exec, s[20:21]
	s_and_b64 s[20:21], s[24:25], exec
	s_and_b64 s[22:23], s[22:23], exec
.LBB1800_73:
	s_or_b64 exec, exec, s[18:19]
	s_and_b64 s[20:21], s[20:21], exec
	s_and_b64 s[18:19], s[22:23], exec
.LBB1800_74:
	s_or_b64 exec, exec, s[16:17]
	s_and_b64 s[16:17], s[20:21], exec
	s_and_b64 s[18:19], s[18:19], exec
.LBB1800_75:
	s_or_b64 exec, exec, s[14:15]
	s_and_b64 s[16:17], s[16:17], exec
	s_and_b64 s[14:15], s[18:19], exec
.LBB1800_76:
	s_or_b64 exec, exec, s[12:13]
	s_and_b64 s[12:13], s[16:17], exec
	s_and_b64 s[14:15], s[14:15], exec
.LBB1800_77:
	s_or_b64 exec, exec, s[10:11]
	s_and_b64 s[12:13], s[12:13], exec
	s_and_b64 s[10:11], s[14:15], exec
.LBB1800_78:
	s_or_b64 exec, exec, s[8:9]
	s_and_b64 s[8:9], s[12:13], exec
	s_and_b64 s[10:11], s[10:11], exec
.LBB1800_79:
	s_or_b64 exec, exec, s[6:7]
	s_mov_b32 s6, 0
	s_and_b64 vcc, exec, s[4:5]
	v_lshlrev_b32_e32 v51, 2, v0
	s_cbranch_vccnz .LBB1800_81
	s_branch .LBB1800_86
.LBB1800_80:
	s_mov_b64 s[10:11], 0
                                        ; implicit-def: $sgpr8_sgpr9
                                        ; implicit-def: $vgpr20
                                        ; implicit-def: $vgpr1
                                        ; implicit-def: $vgpr26
                                        ; implicit-def: $vgpr40
                                        ; implicit-def: $vgpr30
                                        ; implicit-def: $vgpr41
                                        ; implicit-def: $vgpr50
                                        ; implicit-def: $vgpr34
                                        ; implicit-def: $vgpr39
                                        ; implicit-def: $vgpr49
                                        ; implicit-def: $vgpr28
                                        ; implicit-def: $vgpr38
                                        ; implicit-def: $vgpr48
                                        ; implicit-def: $vgpr37
                                        ; implicit-def: $vgpr36
                                        ; implicit-def: $vgpr47
                                        ; implicit-def: $vgpr29
                                        ; implicit-def: $vgpr35
                                        ; implicit-def: $vgpr46
                                        ; implicit-def: $vgpr42
                                        ; implicit-def: $vgpr33
                                        ; implicit-def: $vgpr45
                                        ; implicit-def: $vgpr31
                                        ; implicit-def: $vgpr32
                                        ; implicit-def: $vgpr44
                                        ; implicit-def: $vgpr43
                                        ; implicit-def: $vgpr27
                                        ; implicit-def: $sgpr6
                                        ; implicit-def: $sgpr48
	s_and_b64 vcc, exec, s[4:5]
	v_lshlrev_b32_e32 v51, 2, v0
	s_cbranch_vccz .LBB1800_86
.LBB1800_81:
	v_add_co_u32_e32 v2, vcc, v14, v51
	v_addc_co_u32_e32 v3, vcc, 0, v15, vcc
	v_add_co_u32_e32 v4, vcc, 0x1000, v2
	v_addc_co_u32_e32 v5, vcc, 0, v3, vcc
	flat_load_dword v1, v[2:3]
	flat_load_dword v6, v[2:3] offset:1024
	flat_load_dword v7, v[2:3] offset:2048
	;; [unrolled: 1-line block ×3, first 2 shown]
	flat_load_dword v9, v[4:5]
	flat_load_dword v10, v[4:5] offset:1024
	flat_load_dword v11, v[4:5] offset:2048
	;; [unrolled: 1-line block ×3, first 2 shown]
	v_add_co_u32_e32 v4, vcc, 0x2000, v2
	v_addc_co_u32_e32 v5, vcc, 0, v3, vcc
	v_add_co_u32_e32 v2, vcc, 0x3000, v2
	v_addc_co_u32_e32 v3, vcc, 0, v3, vcc
	flat_load_dword v13, v[4:5]
	flat_load_dword v18, v[4:5] offset:1024
	flat_load_dword v19, v[4:5] offset:2048
	;; [unrolled: 1-line block ×3, first 2 shown]
	flat_load_dword v21, v[2:3]
	s_waitcnt vmcnt(0)
	flat_load_dword v24, v[2:3] offset:1024
	v_add_co_u32_e32 v2, vcc, 0x3000, v14
	v_addc_co_u32_e32 v3, vcc, 0, v15, vcc
	s_movk_i32 s4, 0xffcc
	s_movk_i32 s8, 0x1000
	;; [unrolled: 1-line block ×4, first 2 shown]
	s_waitcnt lgkmcnt(0)
	ds_write2st64_b32 v51, v1, v6 offset1:4
	ds_write2st64_b32 v51, v7, v8 offset0:8 offset1:12
	ds_write2st64_b32 v51, v9, v10 offset0:16 offset1:20
	;; [unrolled: 1-line block ×5, first 2 shown]
	s_waitcnt vmcnt(0)
	ds_write2st64_b32 v51, v21, v24 offset0:48 offset1:52
	s_waitcnt lgkmcnt(0)
	s_barrier
	flat_load_dword v52, v[2:3] offset:2048
	v_mad_u32_u24 v1, v0, 52, v51
	ds_read2_b64 v[10:13], v1 offset1:1
	ds_read2_b64 v[6:9], v1 offset0:2 offset1:3
	ds_read2_b64 v[2:5], v1 offset0:4 offset1:5
	ds_read_b64 v[14:15], v1 offset:48
	v_mad_i32_i24 v18, v0, s4, v1
	s_movk_i32 s4, 0xff
	v_cmp_ne_u32_e32 vcc, s4, v0
	s_waitcnt lgkmcnt(0)
	ds_write_b32 v18, v10 offset:15360
	s_waitcnt lgkmcnt(0)
	s_barrier
	s_and_saveexec_b64 s[4:5], vcc
	s_cbranch_execz .LBB1800_83
; %bb.82:
	s_waitcnt vmcnt(0)
	ds_read_b32 v52, v51 offset:15364
.LBB1800_83:
	s_or_b64 exec, exec, s[4:5]
	v_add_co_u32_e32 v18, vcc, v22, v51
	v_addc_co_u32_e32 v19, vcc, 0, v23, vcc
	v_add_co_u32_e32 v20, vcc, s8, v18
	v_addc_co_u32_e32 v21, vcc, 0, v19, vcc
	s_waitcnt lgkmcnt(0)
	s_barrier
	flat_load_dword v22, v[18:19]
	flat_load_dword v23, v[18:19] offset:1024
	flat_load_dword v24, v[18:19] offset:2048
	flat_load_dword v25, v[18:19] offset:3072
	flat_load_dword v26, v[20:21]
	flat_load_dword v27, v[20:21] offset:1024
	flat_load_dword v28, v[20:21] offset:2048
	flat_load_dword v29, v[20:21] offset:3072
	v_add_co_u32_e32 v20, vcc, s7, v18
	v_addc_co_u32_e32 v21, vcc, 0, v19, vcc
	v_add_co_u32_e32 v18, vcc, s6, v18
	v_addc_co_u32_e32 v19, vcc, 0, v19, vcc
	flat_load_dword v30, v[20:21]
	flat_load_dword v31, v[20:21] offset:1024
	flat_load_dword v32, v[20:21] offset:2048
	;; [unrolled: 1-line block ×3, first 2 shown]
	flat_load_dword v34, v[18:19]
	flat_load_dword v35, v[18:19] offset:1024
	v_cmp_ne_u32_e32 vcc, v10, v11
	v_cmp_eq_u32_e64 s[4:5], v10, v11
	s_waitcnt vmcnt(0) lgkmcnt(0)
	v_cvt_f32_u32_e32 v18, v22
	v_cvt_f32_u32_e32 v19, v23
	v_cvt_f32_u32_e32 v20, v24
	v_cvt_f32_u32_e32 v21, v25
	v_cvt_f32_u32_e32 v22, v26
	v_cvt_f32_u32_e32 v23, v27
	v_cvt_f32_u32_e32 v24, v28
	v_cvt_f32_u32_e32 v25, v29
	v_cvt_f32_u32_e32 v26, v30
	v_cvt_f32_u32_e32 v27, v31
	v_cvt_f32_u32_e32 v28, v32
	v_cvt_f32_u32_e32 v29, v33
	v_cvt_f32_u32_e32 v30, v34
	v_cvt_f32_u32_e32 v31, v35
	ds_write2st64_b32 v51, v18, v19 offset1:4
	ds_write2st64_b32 v51, v20, v21 offset0:8 offset1:12
	ds_write2st64_b32 v51, v22, v23 offset0:16 offset1:20
	ds_write2st64_b32 v51, v24, v25 offset0:24 offset1:28
	ds_write2st64_b32 v51, v26, v27 offset0:32 offset1:36
	ds_write2st64_b32 v51, v28, v29 offset0:40 offset1:44
	ds_write2st64_b32 v51, v30, v31 offset0:48 offset1:52
	s_waitcnt lgkmcnt(0)
	s_barrier
	ds_read2_b32 v[28:29], v1 offset0:1 offset1:2
	ds_read2_b32 v[26:27], v1 offset0:3 offset1:4
	;; [unrolled: 1-line block ×6, first 2 shown]
	ds_read_b32 v53, v1 offset:52
	v_mov_b32_e32 v30, s54
	s_and_saveexec_b64 s[6:7], s[4:5]
	s_cbranch_execz .LBB1800_85
; %bb.84:
	ds_read_b32 v30, v1
.LBB1800_85:
	s_or_b64 exec, exec, s[6:7]
	v_cmp_ne_u32_e64 s[8:9], v6, v7
	v_cmp_ne_u32_e64 s[14:15], v9, v2
	;; [unrolled: 1-line block ×3, first 2 shown]
	v_mov_b32_e32 v2, s54
	v_cndmask_b32_e64 v1, 0, 1, vcc
	v_cmp_ne_u32_e32 vcc, v11, v12
	v_cmp_ne_u32_e64 s[4:5], v12, v13
	v_cmp_ne_u32_e64 s[6:7], v13, v6
	v_cndmask_b32_e64 v43, 0, 1, s[8:9]
	v_cmp_ne_u32_e64 s[10:11], v7, v8
	v_cmp_ne_u32_e64 s[12:13], v8, v9
	;; [unrolled: 1-line block ×6, first 2 shown]
	s_waitcnt lgkmcnt(5)
	v_cndmask_b32_e64 v27, v27, v2, s[8:9]
	v_cmp_ne_u32_e64 s[8:9], v15, v52
	v_cndmask_b32_e64 v34, 0, 1, vcc
	v_cndmask_b32_e64 v37, 0, 1, s[4:5]
	v_cndmask_b32_e64 v42, 0, 1, s[6:7]
	;; [unrolled: 1-line block ×10, first 2 shown]
	v_cndmask_b32_e32 v28, v28, v2, vcc
	v_cndmask_b32_e64 v29, v29, v2, s[4:5]
	v_cndmask_b32_e64 v31, v26, v2, s[6:7]
	s_waitcnt lgkmcnt(4)
	v_cndmask_b32_e64 v32, v24, v2, s[10:11]
	v_cndmask_b32_e64 v33, v25, v2, s[12:13]
	s_waitcnt lgkmcnt(3)
	;; [unrolled: 3-line block ×5, first 2 shown]
	v_cndmask_b32_e64 v20, v53, v2, s[8:9]
	s_mov_b64 s[10:11], -1
                                        ; implicit-def: $sgpr6
                                        ; implicit-def: $sgpr48
.LBB1800_86:
	v_mov_b32_e32 v14, s48
	v_mov_b32_e32 v15, s6
	s_and_saveexec_b64 s[4:5], s[10:11]
; %bb.87:
	v_cndmask_b32_e64 v14, 0, 1, s[8:9]
	v_mov_b32_e32 v15, v20
; %bb.88:
	s_or_b64 exec, exec, s[4:5]
	v_or_b32_e32 v2, v14, v40
	s_cmp_lg_u32 s47, 0
	v_add_f32_e32 v54, v28, v30
	v_or_b32_e32 v53, v2, v50
	v_mbcnt_lo_u32_b32 v52, -1, 0
	s_barrier
	s_cbranch_scc0 .LBB1800_167
; %bb.89:
	v_mov_b32_e32 v2, 0
	v_cmp_eq_u16_sdwa s[4:5], v34, v2 src0_sel:BYTE_0 src1_sel:DWORD
	v_cndmask_b32_e64 v3, v28, v54, s[4:5]
	v_add_f32_e32 v3, v29, v3
	v_cmp_eq_u16_sdwa s[6:7], v37, v2 src0_sel:BYTE_0 src1_sel:DWORD
	v_cndmask_b32_e64 v3, v29, v3, s[6:7]
	v_add_f32_e32 v3, v31, v3
	;; [unrolled: 3-line block ×7, first 2 shown]
	v_cmp_eq_u16_sdwa s[18:19], v47, v2 src0_sel:BYTE_0 src1_sel:DWORD
	v_cmp_eq_u16_sdwa s[20:21], v48, v2 src0_sel:BYTE_0 src1_sel:DWORD
	;; [unrolled: 1-line block ×5, first 2 shown]
	v_cmp_eq_u16_sdwa vcc, v14, v2 src0_sel:BYTE_0 src1_sel:DWORD
	v_or_b32_e32 v2, v53, v49
	v_cndmask_b32_e64 v3, v36, v3, s[18:19]
	v_or_b32_e32 v2, v2, v48
	v_add_f32_e32 v3, v38, v3
	v_or_b32_e32 v2, v2, v47
	v_cndmask_b32_e64 v3, v38, v3, s[20:21]
	v_or_b32_e32 v2, v2, v46
	v_add_f32_e32 v3, v39, v3
	;; [unrolled: 4-line block ×5, first 2 shown]
	v_and_b32_e32 v2, 1, v2
	v_and_b32_e32 v5, 0xff, v1
	v_cndmask_b32_e32 v4, v15, v3, vcc
	v_cmp_eq_u32_e32 vcc, 1, v2
	v_mbcnt_hi_u32_b32 v11, -1, v52
	v_cndmask_b32_e64 v5, v5, 1, vcc
	v_and_b32_e32 v2, 15, v11
	v_mov_b32_dpp v6, v4 row_shr:1 row_mask:0xf bank_mask:0xf
	v_mov_b32_dpp v3, v5 row_shr:1 row_mask:0xf bank_mask:0xf
	v_cmp_ne_u32_e32 vcc, 0, v2
	s_and_saveexec_b64 s[28:29], vcc
; %bb.90:
	v_add_f32_e32 v6, v4, v6
	v_cmp_eq_u32_e32 vcc, 0, v5
	v_and_b32_e32 v5, 1, v5
	v_cndmask_b32_e32 v4, v4, v6, vcc
	v_and_b32_e32 v3, 1, v3
	v_cmp_eq_u32_e32 vcc, 1, v5
	v_cndmask_b32_e64 v5, v3, 1, vcc
; %bb.91:
	s_or_b64 exec, exec, s[28:29]
	v_mov_b32_dpp v6, v4 row_shr:2 row_mask:0xf bank_mask:0xf
	v_mov_b32_dpp v3, v5 row_shr:2 row_mask:0xf bank_mask:0xf
	v_cmp_lt_u32_e32 vcc, 1, v2
	s_and_saveexec_b64 s[28:29], vcc
; %bb.92:
	v_add_f32_e32 v6, v4, v6
	v_cmp_eq_u32_e32 vcc, 0, v5
	v_and_b32_e32 v5, 1, v5
	v_cndmask_b32_e32 v4, v4, v6, vcc
	v_and_b32_e32 v3, 1, v3
	v_cmp_eq_u32_e32 vcc, 1, v5
	v_cndmask_b32_e64 v5, v3, 1, vcc
; %bb.93:
	s_or_b64 exec, exec, s[28:29]
	v_mov_b32_dpp v6, v4 row_shr:4 row_mask:0xf bank_mask:0xf
	v_mov_b32_dpp v3, v5 row_shr:4 row_mask:0xf bank_mask:0xf
	v_cmp_lt_u32_e32 vcc, 3, v2
	;; [unrolled: 14-line block ×3, first 2 shown]
	s_and_saveexec_b64 s[28:29], vcc
; %bb.96:
	v_add_f32_e32 v2, v4, v6
	v_cmp_eq_u32_e32 vcc, 0, v5
	v_cndmask_b32_e32 v4, v4, v2, vcc
	v_and_b32_e32 v2, 1, v5
	v_and_b32_e32 v3, 1, v3
	v_cmp_eq_u32_e32 vcc, 1, v2
	v_cndmask_b32_e64 v5, v3, 1, vcc
; %bb.97:
	s_or_b64 exec, exec, s[28:29]
	v_and_b32_e32 v6, 16, v11
	v_mov_b32_dpp v3, v4 row_bcast:15 row_mask:0xf bank_mask:0xf
	v_mov_b32_dpp v2, v5 row_bcast:15 row_mask:0xf bank_mask:0xf
	v_cmp_ne_u32_e32 vcc, 0, v6
	s_and_saveexec_b64 s[28:29], vcc
; %bb.98:
	v_add_f32_e32 v3, v4, v3
	v_cmp_eq_u32_e32 vcc, 0, v5
	v_cndmask_b32_e32 v4, v4, v3, vcc
	v_and_b32_e32 v3, 1, v5
	v_and_b32_e32 v2, 1, v2
	v_cmp_eq_u32_e32 vcc, 1, v3
	v_cndmask_b32_e64 v5, v2, 1, vcc
; %bb.99:
	s_or_b64 exec, exec, s[28:29]
	v_mov_b32_dpp v3, v4 row_bcast:31 row_mask:0xf bank_mask:0xf
	v_mov_b32_dpp v2, v5 row_bcast:31 row_mask:0xf bank_mask:0xf
	v_cmp_lt_u32_e32 vcc, 31, v11
	s_and_saveexec_b64 s[28:29], vcc
; %bb.100:
	v_add_f32_e32 v3, v4, v3
	v_cmp_eq_u32_e32 vcc, 0, v5
	v_cndmask_b32_e32 v4, v4, v3, vcc
	v_and_b32_e32 v3, 1, v5
	v_and_b32_e32 v2, 1, v2
	v_cmp_eq_u32_e32 vcc, 1, v3
	v_cndmask_b32_e64 v5, v2, 1, vcc
; %bb.101:
	s_or_b64 exec, exec, s[28:29]
	v_or_b32_e32 v2, 63, v0
	v_lshrrev_b32_e32 v6, 6, v0
	v_cmp_eq_u32_e32 vcc, v2, v0
	s_and_saveexec_b64 s[28:29], vcc
	s_cbranch_execz .LBB1800_103
; %bb.102:
	v_lshlrev_b32_e32 v2, 3, v6
	ds_write_b32 v2, v4
	ds_write_b8 v2, v5 offset:4
.LBB1800_103:
	s_or_b64 exec, exec, s[28:29]
	v_cmp_gt_u32_e32 vcc, 4, v0
	s_waitcnt lgkmcnt(0)
	s_barrier
	s_and_saveexec_b64 s[28:29], vcc
	s_cbranch_execz .LBB1800_107
; %bb.104:
	v_lshlrev_b32_e32 v7, 3, v0
	ds_read_b64 v[2:3], v7
	v_and_b32_e32 v8, 3, v11
	v_cmp_ne_u32_e32 vcc, 0, v8
	s_waitcnt lgkmcnt(0)
	v_mov_b32_dpp v12, v2 row_shr:1 row_mask:0xf bank_mask:0xf
	v_mov_b32_dpp v10, v3 row_shr:1 row_mask:0xf bank_mask:0xf
	v_mov_b32_e32 v9, v3
	s_and_saveexec_b64 s[30:31], vcc
; %bb.105:
	v_mov_b32_e32 v9, 0
	v_add_f32_e32 v12, v2, v12
	v_cmp_eq_u16_sdwa vcc, v3, v9 src0_sel:BYTE_0 src1_sel:DWORD
	v_and_b32_e32 v9, 1, v3
	v_cndmask_b32_e32 v2, v2, v12, vcc
	v_and_b32_e32 v10, 1, v10
	v_cmp_eq_u32_e32 vcc, 1, v9
	v_cndmask_b32_e64 v9, v10, 1, vcc
	s_movk_i32 s36, 0xff00
	v_and_or_b32 v3, v3, s36, v9
; %bb.106:
	s_or_b64 exec, exec, s[30:31]
	v_mov_b32_e32 v13, 0
	v_mov_b32_dpp v12, v3 row_shr:2 row_mask:0xf bank_mask:0xf
	v_cmp_eq_u16_sdwa s[30:31], v9, v13 src0_sel:BYTE_0 src1_sel:DWORD
	v_and_b32_e32 v9, 1, v9
	v_and_b32_e32 v12, 1, v12
	v_cmp_eq_u32_e32 vcc, 1, v9
	v_mov_b32_dpp v10, v2 row_shr:2 row_mask:0xf bank_mask:0xf
	v_cndmask_b32_e64 v9, v12, 1, vcc
	v_cmp_lt_u32_e32 vcc, 1, v8
	v_add_f32_e32 v10, v2, v10
	v_cndmask_b32_e32 v3, v3, v9, vcc
	s_and_b64 vcc, vcc, s[30:31]
	v_cndmask_b32_e32 v2, v2, v10, vcc
	ds_write_b32 v7, v2
	ds_write_b8 v7, v3 offset:4
.LBB1800_107:
	s_or_b64 exec, exec, s[28:29]
	v_cmp_gt_u32_e32 vcc, 64, v0
	v_cmp_lt_u32_e64 s[28:29], 63, v0
	v_mov_b32_e32 v18, 0
	v_mov_b32_e32 v19, 0
	s_waitcnt lgkmcnt(0)
	s_barrier
	s_and_saveexec_b64 s[30:31], s[28:29]
	s_cbranch_execz .LBB1800_109
; %bb.108:
	v_lshl_add_u32 v2, v6, 3, -8
	ds_read_b32 v18, v2
	ds_read_u8 v19, v2 offset:4
	v_and_b32_e32 v2, 1, v5
	v_cmp_eq_u32_e64 s[28:29], 0, v5
	s_waitcnt lgkmcnt(0)
	v_add_f32_e32 v3, v4, v18
	v_and_b32_e32 v6, 1, v19
	v_cndmask_b32_e64 v4, v4, v3, s[28:29]
	v_cmp_eq_u32_e64 s[28:29], 1, v2
	v_cndmask_b32_e64 v5, v6, 1, s[28:29]
.LBB1800_109:
	s_or_b64 exec, exec, s[30:31]
	v_add_u32_e32 v2, -1, v11
	v_and_b32_e32 v3, 64, v11
	v_cmp_lt_i32_e64 s[28:29], v2, v3
	v_cndmask_b32_e64 v2, v2, v11, s[28:29]
	v_lshlrev_b32_e32 v2, 2, v2
	ds_bpermute_b32 v20, v2, v4
	ds_bpermute_b32 v21, v2, v5
	v_cmp_eq_u32_e64 s[28:29], 0, v11
	s_and_saveexec_b64 s[30:31], vcc
	s_cbranch_execz .LBB1800_154
; %bb.110:
	v_mov_b32_e32 v5, 0
	ds_read_b64 v[2:3], v5 offset:24
	s_waitcnt lgkmcnt(0)
	v_readfirstlane_b32 s40, v3
	s_and_saveexec_b64 s[36:37], s[28:29]
	s_cbranch_execz .LBB1800_112
; %bb.111:
	s_add_i32 s38, s47, 64
	s_mov_b32 s39, 0
	s_lshl_b64 s[48:49], s[38:39], 4
	s_add_u32 s48, s44, s48
	s_addc_u32 s49, s45, s49
	s_and_b32 s57, s40, 0xff000000
	s_mov_b32 s56, s39
	s_and_b32 s59, s40, 0xff0000
	s_mov_b32 s58, s39
	s_or_b64 s[56:57], s[58:59], s[56:57]
	s_and_b32 s59, s40, 0xff00
	s_or_b64 s[56:57], s[56:57], s[58:59]
	s_and_b32 s59, s40, 0xff
	s_or_b64 s[38:39], s[56:57], s[58:59]
	v_mov_b32_e32 v3, s39
	v_mov_b32_e32 v4, 1
	v_pk_mov_b32 v[6:7], s[48:49], s[48:49] op_sel:[0,1]
	;;#ASMSTART
	global_store_dwordx4 v[6:7], v[2:5] off	
s_waitcnt vmcnt(0)
	;;#ASMEND
.LBB1800_112:
	s_or_b64 exec, exec, s[36:37]
	v_xad_u32 v10, v11, -1, s47
	v_add_u32_e32 v4, 64, v10
	v_lshlrev_b64 v[6:7], 4, v[4:5]
	v_mov_b32_e32 v3, s45
	v_add_co_u32_e32 v12, vcc, s44, v6
	v_addc_co_u32_e32 v13, vcc, v3, v7, vcc
	;;#ASMSTART
	global_load_dwordx4 v[6:9], v[12:13] off glc	
s_waitcnt vmcnt(0)
	;;#ASMEND
	v_cmp_eq_u16_sdwa s[38:39], v8, v5 src0_sel:BYTE_0 src1_sel:DWORD
	s_and_saveexec_b64 s[36:37], s[38:39]
	s_cbranch_execz .LBB1800_118
; %bb.113:
	s_mov_b32 s41, 1
	s_mov_b64 s[38:39], 0
	v_mov_b32_e32 v3, 0
.LBB1800_114:                           ; =>This Loop Header: Depth=1
                                        ;     Child Loop BB1800_115 Depth 2
	s_max_u32 s48, s41, 1
.LBB1800_115:                           ;   Parent Loop BB1800_114 Depth=1
                                        ; =>  This Inner Loop Header: Depth=2
	s_add_i32 s48, s48, -1
	s_cmp_eq_u32 s48, 0
	s_sleep 1
	s_cbranch_scc0 .LBB1800_115
; %bb.116:                              ;   in Loop: Header=BB1800_114 Depth=1
	s_cmp_lt_u32 s41, 32
	s_cselect_b64 s[48:49], -1, 0
	s_cmp_lg_u64 s[48:49], 0
	s_addc_u32 s41, s41, 0
	;;#ASMSTART
	global_load_dwordx4 v[6:9], v[12:13] off glc	
s_waitcnt vmcnt(0)
	;;#ASMEND
	v_cmp_ne_u16_sdwa s[48:49], v8, v3 src0_sel:BYTE_0 src1_sel:DWORD
	s_or_b64 s[38:39], s[48:49], s[38:39]
	s_andn2_b64 exec, exec, s[38:39]
	s_cbranch_execnz .LBB1800_114
; %bb.117:
	s_or_b64 exec, exec, s[38:39]
.LBB1800_118:
	s_or_b64 exec, exec, s[36:37]
	v_mov_b32_e32 v3, 2
	v_cmp_eq_u16_sdwa s[36:37], v8, v3 src0_sel:BYTE_0 src1_sel:DWORD
	v_lshlrev_b64 v[4:5], v11, -1
	v_and_b32_e32 v3, s37, v5
	v_or_b32_e32 v3, 0x80000000, v3
	s_waitcnt vmcnt(0)
	v_ffbl_b32_e32 v24, v3
	v_and_b32_e32 v3, 63, v11
	v_cmp_ne_u32_e32 vcc, 63, v3
	v_addc_co_u32_e32 v13, vcc, 0, v11, vcc
	v_and_b32_e32 v12, 0xff, v7
	v_lshlrev_b32_e32 v22, 2, v13
	ds_bpermute_b32 v23, v22, v6
	ds_bpermute_b32 v13, v22, v12
	v_and_b32_e32 v9, s36, v4
	v_add_u32_e32 v24, 32, v24
	v_ffbl_b32_e32 v9, v9
	v_min_u32_e32 v9, v9, v24
	v_cmp_lt_u32_e32 vcc, v3, v9
	s_and_saveexec_b64 s[36:37], vcc
	s_cbranch_execz .LBB1800_120
; %bb.119:
	v_mov_b32_e32 v12, 0
	s_waitcnt lgkmcnt(1)
	v_add_f32_e32 v23, v6, v23
	v_cmp_eq_u16_sdwa vcc, v7, v12 src0_sel:BYTE_0 src1_sel:DWORD
	v_and_b32_e32 v7, 1, v7
	v_cndmask_b32_e32 v6, v6, v23, vcc
	s_waitcnt lgkmcnt(0)
	v_and_b32_e32 v12, 1, v13
	v_cmp_eq_u32_e32 vcc, 1, v7
	v_cndmask_b32_e64 v7, v12, 1, vcc
	v_and_b32_e32 v12, 0xffff, v7
.LBB1800_120:
	s_or_b64 exec, exec, s[36:37]
	v_cmp_gt_u32_e32 vcc, 62, v3
	s_waitcnt lgkmcnt(0)
	v_cndmask_b32_e64 v13, 0, 1, vcc
	v_lshlrev_b32_e32 v13, 1, v13
	v_add_lshl_u32 v23, v13, v11, 2
	ds_bpermute_b32 v25, v23, v6
	ds_bpermute_b32 v13, v23, v12
	v_add_u32_e32 v24, 2, v3
	v_cmp_le_u32_e32 vcc, v24, v9
	s_and_saveexec_b64 s[36:37], vcc
	s_cbranch_execz .LBB1800_122
; %bb.121:
	v_mov_b32_e32 v12, 0
	s_waitcnt lgkmcnt(1)
	v_add_f32_e32 v25, v6, v25
	v_cmp_eq_u16_sdwa vcc, v7, v12 src0_sel:BYTE_0 src1_sel:DWORD
	v_and_b32_e32 v7, 1, v7
	v_cndmask_b32_e32 v6, v6, v25, vcc
	s_waitcnt lgkmcnt(0)
	v_and_b32_e32 v12, 1, v13
	v_cmp_eq_u32_e32 vcc, 1, v7
	v_cndmask_b32_e64 v7, v12, 1, vcc
	v_and_b32_e32 v12, 0xffff, v7
.LBB1800_122:
	s_or_b64 exec, exec, s[36:37]
	v_cmp_gt_u32_e32 vcc, 60, v3
	s_waitcnt lgkmcnt(0)
	v_cndmask_b32_e64 v13, 0, 1, vcc
	v_lshlrev_b32_e32 v13, 2, v13
	v_add_lshl_u32 v25, v13, v11, 2
	ds_bpermute_b32 v56, v25, v6
	ds_bpermute_b32 v13, v25, v12
	v_add_u32_e32 v55, 4, v3
	v_cmp_le_u32_e32 vcc, v55, v9
	;; [unrolled: 25-line block ×5, first 2 shown]
	s_and_saveexec_b64 s[36:37], vcc
	s_cbranch_execz .LBB1800_130
; %bb.129:
	v_mov_b32_e32 v9, 0
	s_waitcnt lgkmcnt(1)
	v_add_f32_e32 v12, v6, v13
	v_cmp_eq_u16_sdwa vcc, v7, v9 src0_sel:BYTE_0 src1_sel:DWORD
	v_and_b32_e32 v7, 1, v7
	v_cndmask_b32_e32 v6, v6, v12, vcc
	s_waitcnt lgkmcnt(0)
	v_and_b32_e32 v9, 1, v11
	v_cmp_eq_u32_e32 vcc, 1, v7
	v_cndmask_b32_e64 v7, v9, 1, vcc
.LBB1800_130:
	s_or_b64 exec, exec, s[36:37]
	s_waitcnt lgkmcnt(0)
	v_mov_b32_e32 v11, 0
	v_mov_b32_e32 v64, 2
	s_branch .LBB1800_132
.LBB1800_131:                           ;   in Loop: Header=BB1800_132 Depth=1
	s_or_b64 exec, exec, s[36:37]
	s_waitcnt lgkmcnt(0)
	ds_bpermute_b32 v13, v61, v6
	ds_bpermute_b32 v12, v61, v12
	v_and_b32_e32 v65, 1, v7
	v_cmp_eq_u16_sdwa vcc, v7, v11 src0_sel:BYTE_0 src1_sel:DWORD
	v_subrev_u32_e32 v10, 64, v10
	s_waitcnt lgkmcnt(1)
	v_add_f32_e32 v13, v6, v13
	v_cndmask_b32_e32 v13, v6, v13, vcc
	v_cmp_eq_u32_e32 vcc, 1, v65
	s_waitcnt lgkmcnt(0)
	v_cndmask_b32_e64 v12, v12, 1, vcc
	v_cmp_gt_u32_e32 vcc, v63, v9
	v_cndmask_b32_e32 v6, v13, v6, vcc
	v_cndmask_b32_e32 v7, v12, v7, vcc
	v_add_f32_e32 v6, v62, v6
	v_cmp_eq_u16_sdwa vcc, v60, v11 src0_sel:BYTE_0 src1_sel:DWORD
	v_and_b32_e32 v9, 1, v60
	v_cndmask_b32_e32 v6, v62, v6, vcc
	v_and_b32_e32 v7, 1, v7
	v_cmp_eq_u32_e32 vcc, 1, v9
	v_cndmask_b32_e64 v7, v7, 1, vcc
.LBB1800_132:                           ; =>This Loop Header: Depth=1
                                        ;     Child Loop BB1800_135 Depth 2
                                        ;       Child Loop BB1800_136 Depth 3
	v_cmp_ne_u16_sdwa s[36:37], v8, v64 src0_sel:BYTE_0 src1_sel:DWORD
	v_mov_b32_e32 v60, v7
	v_cndmask_b32_e64 v7, 0, 1, s[36:37]
	;;#ASMSTART
	;;#ASMEND
	v_cmp_ne_u32_e32 vcc, 0, v7
	s_cmp_lg_u64 vcc, exec
	v_mov_b32_e32 v62, v6
	s_cbranch_scc1 .LBB1800_149
; %bb.133:                              ;   in Loop: Header=BB1800_132 Depth=1
	v_lshlrev_b64 v[6:7], 4, v[10:11]
	v_mov_b32_e32 v8, s45
	v_add_co_u32_e32 v12, vcc, s44, v6
	v_addc_co_u32_e32 v13, vcc, v8, v7, vcc
	;;#ASMSTART
	global_load_dwordx4 v[6:9], v[12:13] off glc	
s_waitcnt vmcnt(0)
	;;#ASMEND
	v_cmp_eq_u16_sdwa s[38:39], v8, v11 src0_sel:BYTE_0 src1_sel:DWORD
	s_and_saveexec_b64 s[36:37], s[38:39]
	s_cbranch_execz .LBB1800_139
; %bb.134:                              ;   in Loop: Header=BB1800_132 Depth=1
	s_mov_b32 s41, 1
	s_mov_b64 s[38:39], 0
.LBB1800_135:                           ;   Parent Loop BB1800_132 Depth=1
                                        ; =>  This Loop Header: Depth=2
                                        ;       Child Loop BB1800_136 Depth 3
	s_max_u32 s48, s41, 1
.LBB1800_136:                           ;   Parent Loop BB1800_132 Depth=1
                                        ;     Parent Loop BB1800_135 Depth=2
                                        ; =>    This Inner Loop Header: Depth=3
	s_add_i32 s48, s48, -1
	s_cmp_eq_u32 s48, 0
	s_sleep 1
	s_cbranch_scc0 .LBB1800_136
; %bb.137:                              ;   in Loop: Header=BB1800_135 Depth=2
	s_cmp_lt_u32 s41, 32
	s_cselect_b64 s[48:49], -1, 0
	s_cmp_lg_u64 s[48:49], 0
	s_addc_u32 s41, s41, 0
	;;#ASMSTART
	global_load_dwordx4 v[6:9], v[12:13] off glc	
s_waitcnt vmcnt(0)
	;;#ASMEND
	v_cmp_ne_u16_sdwa s[48:49], v8, v11 src0_sel:BYTE_0 src1_sel:DWORD
	s_or_b64 s[38:39], s[48:49], s[38:39]
	s_andn2_b64 exec, exec, s[38:39]
	s_cbranch_execnz .LBB1800_135
; %bb.138:                              ;   in Loop: Header=BB1800_132 Depth=1
	s_or_b64 exec, exec, s[38:39]
.LBB1800_139:                           ;   in Loop: Header=BB1800_132 Depth=1
	s_or_b64 exec, exec, s[36:37]
	v_cmp_eq_u16_sdwa s[36:37], v8, v64 src0_sel:BYTE_0 src1_sel:DWORD
	v_and_b32_e32 v9, s37, v5
	v_and_b32_e32 v12, 0xff, v7
	v_or_b32_e32 v9, 0x80000000, v9
	ds_bpermute_b32 v65, v22, v6
	ds_bpermute_b32 v13, v22, v12
	v_and_b32_e32 v66, s36, v4
	v_ffbl_b32_e32 v9, v9
	v_add_u32_e32 v9, 32, v9
	v_ffbl_b32_e32 v66, v66
	v_min_u32_e32 v9, v66, v9
	v_cmp_lt_u32_e32 vcc, v3, v9
	s_and_saveexec_b64 s[36:37], vcc
	s_cbranch_execz .LBB1800_141
; %bb.140:                              ;   in Loop: Header=BB1800_132 Depth=1
	s_waitcnt lgkmcnt(1)
	v_add_f32_e32 v12, v6, v65
	v_cmp_eq_u16_sdwa vcc, v7, v11 src0_sel:BYTE_0 src1_sel:DWORD
	v_and_b32_e32 v7, 1, v7
	v_cndmask_b32_e32 v6, v6, v12, vcc
	s_waitcnt lgkmcnt(0)
	v_and_b32_e32 v12, 1, v13
	v_cmp_eq_u32_e32 vcc, 1, v7
	v_cndmask_b32_e64 v7, v12, 1, vcc
	v_and_b32_e32 v12, 0xffff, v7
.LBB1800_141:                           ;   in Loop: Header=BB1800_132 Depth=1
	s_or_b64 exec, exec, s[36:37]
	s_waitcnt lgkmcnt(1)
	ds_bpermute_b32 v65, v23, v6
	s_waitcnt lgkmcnt(1)
	ds_bpermute_b32 v13, v23, v12
	v_cmp_le_u32_e32 vcc, v24, v9
	s_and_saveexec_b64 s[36:37], vcc
	s_cbranch_execz .LBB1800_143
; %bb.142:                              ;   in Loop: Header=BB1800_132 Depth=1
	s_waitcnt lgkmcnt(1)
	v_add_f32_e32 v12, v6, v65
	v_cmp_eq_u16_sdwa vcc, v7, v11 src0_sel:BYTE_0 src1_sel:DWORD
	v_and_b32_e32 v7, 1, v7
	v_cndmask_b32_e32 v6, v6, v12, vcc
	s_waitcnt lgkmcnt(0)
	v_and_b32_e32 v12, 1, v13
	v_cmp_eq_u32_e32 vcc, 1, v7
	v_cndmask_b32_e64 v7, v12, 1, vcc
	v_and_b32_e32 v12, 0xffff, v7
.LBB1800_143:                           ;   in Loop: Header=BB1800_132 Depth=1
	s_or_b64 exec, exec, s[36:37]
	s_waitcnt lgkmcnt(1)
	ds_bpermute_b32 v65, v25, v6
	s_waitcnt lgkmcnt(1)
	ds_bpermute_b32 v13, v25, v12
	v_cmp_le_u32_e32 vcc, v55, v9
	;; [unrolled: 20-line block ×4, first 2 shown]
	s_and_saveexec_b64 s[36:37], vcc
	s_cbranch_execz .LBB1800_131
; %bb.148:                              ;   in Loop: Header=BB1800_132 Depth=1
	s_waitcnt lgkmcnt(1)
	v_add_f32_e32 v12, v6, v65
	v_cmp_eq_u16_sdwa vcc, v7, v11 src0_sel:BYTE_0 src1_sel:DWORD
	v_and_b32_e32 v7, 1, v7
	v_cndmask_b32_e32 v6, v6, v12, vcc
	s_waitcnt lgkmcnt(0)
	v_and_b32_e32 v12, 1, v13
	v_cmp_eq_u32_e32 vcc, 1, v7
	v_cndmask_b32_e64 v7, v12, 1, vcc
	v_and_b32_e32 v12, 0xffff, v7
	s_branch .LBB1800_131
.LBB1800_149:                           ;   in Loop: Header=BB1800_132 Depth=1
                                        ; implicit-def: $vgpr7
	s_cbranch_execz .LBB1800_132
; %bb.150:
	s_and_saveexec_b64 s[36:37], s[28:29]
	s_cbranch_execz .LBB1800_152
; %bb.151:
	s_and_b32 s38, s40, 0xff
	s_cmp_eq_u32 s38, 0
	s_cselect_b64 vcc, -1, 0
	s_bitcmp1_b32 s40, 0
	s_mov_b32 s39, 0
	s_cselect_b64 s[40:41], -1, 0
	s_add_i32 s38, s47, 64
	s_lshl_b64 s[38:39], s[38:39], 4
	v_add_f32_e32 v3, v62, v2
	s_add_u32 s38, s44, s38
	v_cndmask_b32_e32 v2, v2, v3, vcc
	v_and_b32_e32 v3, 1, v60
	s_addc_u32 s39, s45, s39
	v_cndmask_b32_e64 v3, v3, 1, s[40:41]
	v_mov_b32_e32 v4, 2
	v_mov_b32_e32 v5, 0
	v_pk_mov_b32 v[6:7], s[38:39], s[38:39] op_sel:[0,1]
	;;#ASMSTART
	global_store_dwordx4 v[6:7], v[2:5] off	
s_waitcnt vmcnt(0)
	;;#ASMEND
.LBB1800_152:
	s_or_b64 exec, exec, s[36:37]
	s_and_b64 exec, exec, s[0:1]
	s_cbranch_execz .LBB1800_154
; %bb.153:
	v_mov_b32_e32 v2, 0
	ds_write_b32 v2, v62 offset:24
	ds_write_b8 v2, v60 offset:28
.LBB1800_154:
	s_or_b64 exec, exec, s[30:31]
	v_mov_b32_e32 v3, 0
	s_waitcnt lgkmcnt(0)
	s_barrier
	ds_read_b32 v2, v3 offset:24
	v_cndmask_b32_e64 v4, v21, v19, s[28:29]
	v_cndmask_b32_e64 v5, v20, v18, s[28:29]
	v_cmp_eq_u32_sdwa vcc, v4, v3 src0_sel:BYTE_0 src1_sel:DWORD
	s_waitcnt lgkmcnt(0)
	v_add_f32_e32 v6, v5, v2
	v_cndmask_b32_e32 v4, v5, v6, vcc
	v_cndmask_b32_e64 v2, v4, v2, s[0:1]
	v_add_f32_e32 v4, v30, v2
	v_cmp_eq_u16_sdwa vcc, v1, v3 src0_sel:BYTE_0 src1_sel:DWORD
	v_cndmask_b32_e32 v3, v30, v4, vcc
	v_add_f32_e32 v4, v28, v3
	v_cndmask_b32_e64 v18, v28, v4, s[4:5]
	v_add_f32_e32 v4, v29, v18
	v_cndmask_b32_e64 v19, v29, v4, s[6:7]
	;; [unrolled: 2-line block ×10, first 2 shown]
	v_add_f32_e32 v4, v41, v23
	s_waitcnt vmcnt(0)
	v_cndmask_b32_e64 v24, v41, v4, s[24:25]
	v_add_f32_e32 v4, v26, v24
	v_cndmask_b32_e64 v25, v26, v4, s[26:27]
	s_branch .LBB1800_193
.LBB1800_155:
	s_or_b64 exec, exec, s[30:31]
                                        ; implicit-def: $vgpr35
	s_and_saveexec_b64 s[30:31], s[4:5]
	s_cbranch_execz .LBB1800_37
.LBB1800_156:
	v_add_co_u32_e32 v36, vcc, v22, v33
	v_addc_co_u32_e32 v37, vcc, 0, v23, vcc
	flat_load_dword v35, v[36:37] offset:1024
	s_waitcnt vmcnt(0) lgkmcnt(0)
	v_cvt_f32_u32_e32 v35, v35
	s_or_b64 exec, exec, s[30:31]
                                        ; implicit-def: $vgpr36
	s_and_saveexec_b64 s[4:5], s[6:7]
	s_cbranch_execnz .LBB1800_38
.LBB1800_157:
	s_or_b64 exec, exec, s[4:5]
                                        ; implicit-def: $vgpr37
	s_and_saveexec_b64 s[4:5], s[8:9]
	s_cbranch_execz .LBB1800_39
.LBB1800_158:
	v_add_co_u32_e32 v38, vcc, v22, v33
	v_addc_co_u32_e32 v39, vcc, 0, v23, vcc
	flat_load_dword v37, v[38:39] offset:3072
	s_waitcnt vmcnt(0) lgkmcnt(0)
	v_cvt_f32_u32_e32 v37, v37
	s_or_b64 exec, exec, s[4:5]
                                        ; implicit-def: $vgpr38
	s_and_saveexec_b64 s[4:5], s[10:11]
	s_cbranch_execnz .LBB1800_40
.LBB1800_159:
	s_or_b64 exec, exec, s[4:5]
                                        ; implicit-def: $vgpr1
	s_and_saveexec_b64 s[4:5], s[12:13]
	s_cbranch_execz .LBB1800_41
.LBB1800_160:
	v_lshlrev_b32_e32 v1, 2, v20
	v_add_co_u32_e32 v40, vcc, v22, v1
	v_addc_co_u32_e32 v41, vcc, 0, v23, vcc
	flat_load_dword v1, v[40:41]
	s_waitcnt vmcnt(0) lgkmcnt(0)
	v_cvt_f32_u32_e32 v1, v1
	s_or_b64 exec, exec, s[4:5]
                                        ; implicit-def: $vgpr20
	s_and_saveexec_b64 s[4:5], s[14:15]
	s_cbranch_execnz .LBB1800_42
.LBB1800_161:
	s_or_b64 exec, exec, s[4:5]
                                        ; implicit-def: $vgpr21
	s_and_saveexec_b64 s[4:5], s[16:17]
	s_cbranch_execz .LBB1800_43
.LBB1800_162:
	v_lshlrev_b32_e32 v21, 2, v26
	v_add_co_u32_e32 v40, vcc, v22, v21
	v_addc_co_u32_e32 v41, vcc, 0, v23, vcc
	flat_load_dword v21, v[40:41]
	s_waitcnt vmcnt(0) lgkmcnt(0)
	v_cvt_f32_u32_e32 v21, v21
	s_or_b64 exec, exec, s[4:5]
                                        ; implicit-def: $vgpr26
	s_and_saveexec_b64 s[4:5], s[18:19]
	s_cbranch_execnz .LBB1800_44
.LBB1800_163:
	s_or_b64 exec, exec, s[4:5]
                                        ; implicit-def: $vgpr27
	s_and_saveexec_b64 s[4:5], s[20:21]
	s_cbranch_execz .LBB1800_45
.LBB1800_164:
	v_lshlrev_b32_e32 v27, 2, v28
	v_add_co_u32_e32 v40, vcc, v22, v27
	v_addc_co_u32_e32 v41, vcc, 0, v23, vcc
	flat_load_dword v27, v[40:41]
	s_waitcnt vmcnt(0) lgkmcnt(0)
	v_cvt_f32_u32_e32 v27, v27
	s_or_b64 exec, exec, s[4:5]
                                        ; implicit-def: $vgpr28
	s_and_saveexec_b64 s[4:5], s[22:23]
	s_cbranch_execnz .LBB1800_46
.LBB1800_165:
	s_or_b64 exec, exec, s[4:5]
                                        ; implicit-def: $vgpr29
	s_and_saveexec_b64 s[4:5], s[24:25]
	s_cbranch_execz .LBB1800_47
.LBB1800_166:
	v_lshlrev_b32_e32 v29, 2, v30
	v_add_co_u32_e32 v40, vcc, v22, v29
	v_addc_co_u32_e32 v41, vcc, 0, v23, vcc
	flat_load_dword v29, v[40:41]
	s_waitcnt vmcnt(0) lgkmcnt(0)
	v_cvt_f32_u32_e32 v29, v29
	s_or_b64 exec, exec, s[4:5]
                                        ; implicit-def: $vgpr30
	s_and_saveexec_b64 s[4:5], s[26:27]
	s_cbranch_execz .LBB1800_49
	s_branch .LBB1800_48
.LBB1800_167:
                                        ; implicit-def: $vgpr25
                                        ; implicit-def: $vgpr23
                                        ; implicit-def: $vgpr21
                                        ; implicit-def: $vgpr19
                                        ; implicit-def: $vgpr10_vgpr11_vgpr12_vgpr13
                                        ; implicit-def: $vgpr6_vgpr7_vgpr8_vgpr9
                                        ; implicit-def: $vgpr2_vgpr3_vgpr4_vgpr5
	s_cbranch_execz .LBB1800_193
; %bb.168:
	s_cmp_lg_u64 s[52:53], 0
	s_cselect_b32 s5, s51, 0
	s_cselect_b32 s4, s50, 0
	s_cmp_eq_u64 s[4:5], 0
	v_mov_b32_e32 v4, s54
	s_cbranch_scc1 .LBB1800_170
; %bb.169:
	v_mov_b32_e32 v2, 0
	global_load_dword v4, v2, s[4:5]
.LBB1800_170:
	v_mov_b32_e32 v2, 0
	v_cmp_eq_u16_sdwa s[4:5], v34, v2 src0_sel:BYTE_0 src1_sel:DWORD
	v_cndmask_b32_e64 v3, v28, v54, s[4:5]
	v_add_f32_e32 v3, v29, v3
	v_cmp_eq_u16_sdwa s[6:7], v37, v2 src0_sel:BYTE_0 src1_sel:DWORD
	v_cndmask_b32_e64 v3, v29, v3, s[6:7]
	v_add_f32_e32 v3, v31, v3
	;; [unrolled: 3-line block ×7, first 2 shown]
	v_cmp_eq_u16_sdwa s[18:19], v47, v2 src0_sel:BYTE_0 src1_sel:DWORD
	v_cmp_eq_u16_sdwa s[20:21], v48, v2 src0_sel:BYTE_0 src1_sel:DWORD
	;; [unrolled: 1-line block ×4, first 2 shown]
	v_cmp_eq_u16_sdwa vcc, v40, v2 src0_sel:BYTE_0 src1_sel:DWORD
	v_cmp_eq_u16_sdwa s[26:27], v14, v2 src0_sel:BYTE_0 src1_sel:DWORD
	v_or_b32_e32 v2, v53, v49
	v_cndmask_b32_e64 v3, v36, v3, s[18:19]
	v_or_b32_e32 v2, v2, v48
	v_add_f32_e32 v3, v38, v3
	v_or_b32_e32 v2, v2, v47
	v_cndmask_b32_e64 v3, v38, v3, s[20:21]
	v_or_b32_e32 v2, v2, v46
	v_add_f32_e32 v3, v39, v3
	;; [unrolled: 4-line block ×4, first 2 shown]
	v_or_b32_e32 v2, v2, v37
	v_cndmask_b32_e32 v3, v26, v3, vcc
	v_or_b32_e32 v2, v2, v34
	v_add_f32_e32 v3, v15, v3
	v_and_b32_e32 v2, 1, v2
	v_and_b32_e32 v6, 0xff, v1
	v_cndmask_b32_e64 v5, v15, v3, s[26:27]
	v_cmp_eq_u32_e64 s[26:27], 1, v2
	v_cndmask_b32_e64 v7, v6, 1, s[26:27]
	v_mbcnt_hi_u32_b32 v6, -1, v52
	v_and_b32_e32 v2, 15, v6
	v_mov_b32_dpp v8, v5 row_shr:1 row_mask:0xf bank_mask:0xf
	v_mov_b32_dpp v3, v7 row_shr:1 row_mask:0xf bank_mask:0xf
	v_cmp_ne_u32_e64 s[26:27], 0, v2
	s_and_saveexec_b64 s[28:29], s[26:27]
; %bb.171:
	v_add_f32_e32 v8, v5, v8
	v_cmp_eq_u32_e64 s[26:27], 0, v7
	v_and_b32_e32 v7, 1, v7
	v_cndmask_b32_e64 v5, v5, v8, s[26:27]
	v_and_b32_e32 v3, 1, v3
	v_cmp_eq_u32_e64 s[26:27], 1, v7
	v_cndmask_b32_e64 v7, v3, 1, s[26:27]
; %bb.172:
	s_or_b64 exec, exec, s[28:29]
	v_mov_b32_dpp v8, v5 row_shr:2 row_mask:0xf bank_mask:0xf
	v_mov_b32_dpp v3, v7 row_shr:2 row_mask:0xf bank_mask:0xf
	v_cmp_lt_u32_e64 s[26:27], 1, v2
	s_and_saveexec_b64 s[28:29], s[26:27]
; %bb.173:
	v_add_f32_e32 v8, v5, v8
	v_cmp_eq_u32_e64 s[26:27], 0, v7
	v_and_b32_e32 v7, 1, v7
	v_cndmask_b32_e64 v5, v5, v8, s[26:27]
	v_and_b32_e32 v3, 1, v3
	v_cmp_eq_u32_e64 s[26:27], 1, v7
	v_cndmask_b32_e64 v7, v3, 1, s[26:27]
; %bb.174:
	s_or_b64 exec, exec, s[28:29]
	v_mov_b32_dpp v8, v5 row_shr:4 row_mask:0xf bank_mask:0xf
	v_mov_b32_dpp v3, v7 row_shr:4 row_mask:0xf bank_mask:0xf
	v_cmp_lt_u32_e64 s[26:27], 3, v2
	;; [unrolled: 14-line block ×3, first 2 shown]
	s_and_saveexec_b64 s[28:29], s[26:27]
; %bb.177:
	v_add_f32_e32 v2, v5, v8
	v_cmp_eq_u32_e64 s[26:27], 0, v7
	v_cndmask_b32_e64 v5, v5, v2, s[26:27]
	v_and_b32_e32 v2, 1, v7
	v_and_b32_e32 v3, 1, v3
	v_cmp_eq_u32_e64 s[26:27], 1, v2
	v_cndmask_b32_e64 v7, v3, 1, s[26:27]
; %bb.178:
	s_or_b64 exec, exec, s[28:29]
	v_and_b32_e32 v8, 16, v6
	v_mov_b32_dpp v3, v5 row_bcast:15 row_mask:0xf bank_mask:0xf
	v_mov_b32_dpp v2, v7 row_bcast:15 row_mask:0xf bank_mask:0xf
	v_cmp_ne_u32_e64 s[26:27], 0, v8
	s_and_saveexec_b64 s[28:29], s[26:27]
; %bb.179:
	v_add_f32_e32 v3, v5, v3
	v_cmp_eq_u32_e64 s[26:27], 0, v7
	v_cndmask_b32_e64 v5, v5, v3, s[26:27]
	v_and_b32_e32 v3, 1, v7
	v_and_b32_e32 v2, 1, v2
	v_cmp_eq_u32_e64 s[26:27], 1, v3
	v_cndmask_b32_e64 v7, v2, 1, s[26:27]
; %bb.180:
	s_or_b64 exec, exec, s[28:29]
	v_mov_b32_dpp v3, v5 row_bcast:31 row_mask:0xf bank_mask:0xf
	v_mov_b32_dpp v2, v7 row_bcast:31 row_mask:0xf bank_mask:0xf
	v_cmp_lt_u32_e64 s[26:27], 31, v6
	s_and_saveexec_b64 s[28:29], s[26:27]
; %bb.181:
	v_add_f32_e32 v3, v5, v3
	v_cmp_eq_u32_e64 s[26:27], 0, v7
	v_cndmask_b32_e64 v5, v5, v3, s[26:27]
	v_and_b32_e32 v3, 1, v7
	v_and_b32_e32 v2, 1, v2
	v_cmp_eq_u32_e64 s[26:27], 1, v3
	v_cndmask_b32_e64 v7, v2, 1, s[26:27]
; %bb.182:
	s_or_b64 exec, exec, s[28:29]
	v_or_b32_e32 v2, 63, v0
	v_lshrrev_b32_e32 v8, 6, v0
	v_cmp_eq_u32_e64 s[26:27], v2, v0
	s_and_saveexec_b64 s[28:29], s[26:27]
	s_cbranch_execz .LBB1800_184
; %bb.183:
	v_lshlrev_b32_e32 v2, 3, v8
	ds_write_b32 v2, v5
	ds_write_b8 v2, v7 offset:4
.LBB1800_184:
	s_or_b64 exec, exec, s[28:29]
	v_cmp_gt_u32_e64 s[26:27], 4, v0
	s_waitcnt lgkmcnt(0)
	s_barrier
	s_and_saveexec_b64 s[28:29], s[26:27]
	s_cbranch_execz .LBB1800_188
; %bb.185:
	v_lshlrev_b32_e32 v9, 3, v0
	ds_read_b64 v[2:3], v9
	v_and_b32_e32 v10, 3, v6
	v_cmp_ne_u32_e64 s[26:27], 0, v10
	s_waitcnt lgkmcnt(0)
	v_mov_b32_dpp v13, v2 row_shr:1 row_mask:0xf bank_mask:0xf
	v_mov_b32_dpp v12, v3 row_shr:1 row_mask:0xf bank_mask:0xf
	v_mov_b32_e32 v11, v3
	s_and_saveexec_b64 s[30:31], s[26:27]
; %bb.186:
	v_mov_b32_e32 v11, 0
	v_add_f32_e32 v13, v2, v13
	v_cmp_eq_u16_sdwa s[26:27], v3, v11 src0_sel:BYTE_0 src1_sel:DWORD
	v_and_b32_e32 v11, 1, v3
	v_cndmask_b32_e64 v2, v2, v13, s[26:27]
	v_and_b32_e32 v12, 1, v12
	v_cmp_eq_u32_e64 s[26:27], 1, v11
	v_cndmask_b32_e64 v11, v12, 1, s[26:27]
	s_movk_i32 s26, 0xff00
	v_and_or_b32 v3, v3, s26, v11
; %bb.187:
	s_or_b64 exec, exec, s[30:31]
	v_mov_b32_e32 v14, 0
	v_mov_b32_dpp v13, v3 row_shr:2 row_mask:0xf bank_mask:0xf
	v_cmp_eq_u16_sdwa s[30:31], v11, v14 src0_sel:BYTE_0 src1_sel:DWORD
	v_and_b32_e32 v11, 1, v11
	v_and_b32_e32 v13, 1, v13
	v_cmp_eq_u32_e64 s[26:27], 1, v11
	v_mov_b32_dpp v12, v2 row_shr:2 row_mask:0xf bank_mask:0xf
	v_cndmask_b32_e64 v11, v13, 1, s[26:27]
	v_cmp_lt_u32_e64 s[26:27], 1, v10
	v_add_f32_e32 v12, v2, v12
	v_cndmask_b32_e64 v3, v3, v11, s[26:27]
	s_and_b64 s[26:27], s[26:27], s[30:31]
	v_cndmask_b32_e64 v2, v2, v12, s[26:27]
	ds_write_b32 v9, v2
	ds_write_b8 v9, v3 offset:4
.LBB1800_188:
	s_or_b64 exec, exec, s[28:29]
	v_cmp_lt_u32_e64 s[26:27], 63, v0
	s_waitcnt vmcnt(0)
	v_mov_b32_e32 v2, v4
	s_waitcnt lgkmcnt(0)
	s_barrier
	s_and_saveexec_b64 s[28:29], s[26:27]
	s_cbranch_execz .LBB1800_190
; %bb.189:
	v_lshl_add_u32 v2, v8, 3, -8
	ds_read_b32 v3, v2
	ds_read_u8 v2, v2 offset:4
	s_waitcnt lgkmcnt(1)
	v_add_f32_e32 v8, v4, v3
	s_waitcnt lgkmcnt(0)
	v_cmp_eq_u16_e64 s[26:27], 0, v2
	v_cndmask_b32_e64 v2, v3, v8, s[26:27]
.LBB1800_190:
	s_or_b64 exec, exec, s[28:29]
	v_add_f32_e32 v3, v5, v2
	v_cmp_eq_u32_e64 s[26:27], 0, v7
	v_cndmask_b32_e64 v3, v5, v3, s[26:27]
	v_add_u32_e32 v5, -1, v6
	v_and_b32_e32 v7, 64, v6
	v_cmp_lt_i32_e64 s[26:27], v5, v7
	v_cndmask_b32_e64 v5, v5, v6, s[26:27]
	v_lshlrev_b32_e32 v5, 2, v5
	ds_bpermute_b32 v3, v5, v3
	v_cmp_eq_u32_e64 s[26:27], 0, v6
	v_mov_b32_e32 v15, 0
	s_waitcnt lgkmcnt(0)
	v_cndmask_b32_e64 v2, v3, v2, s[26:27]
	v_cndmask_b32_e64 v3, v2, v4, s[0:1]
	v_add_f32_e32 v3, v30, v3
	v_cmp_eq_u16_sdwa s[26:27], v1, v15 src0_sel:BYTE_0 src1_sel:DWORD
	v_cndmask_b32_e64 v3, v30, v3, s[26:27]
	v_add_f32_e32 v1, v28, v3
	v_cndmask_b32_e64 v18, v28, v1, s[4:5]
	v_add_f32_e32 v1, v29, v18
	;; [unrolled: 2-line block ×12, first 2 shown]
	s_and_saveexec_b64 s[4:5], s[0:1]
	s_cbranch_execz .LBB1800_192
; %bb.191:
	ds_read_b32 v2, v15 offset:24
	ds_read_u8 v5, v15 offset:28
	s_add_u32 s6, s44, 0x400
	s_addc_u32 s7, s45, 0
	v_mov_b32_e32 v14, 2
	s_waitcnt lgkmcnt(1)
	v_add_f32_e32 v8, v4, v2
	s_waitcnt lgkmcnt(0)
	v_cmp_eq_u16_e64 s[0:1], 0, v5
	v_cndmask_b32_e64 v12, v2, v8, s[0:1]
	v_and_b32_e32 v13, 0xffff, v5
	v_pk_mov_b32 v[8:9], s[6:7], s[6:7] op_sel:[0,1]
	;;#ASMSTART
	global_store_dwordx4 v[8:9], v[12:15] off	
s_waitcnt vmcnt(0)
	;;#ASMEND
	v_mov_b32_e32 v2, v4
.LBB1800_192:
	s_or_b64 exec, exec, s[4:5]
	v_cndmask_b32_e32 v25, v26, v1, vcc
.LBB1800_193:
	s_add_u32 s0, s42, s34
	s_addc_u32 s1, s43, s35
	v_mov_b32_e32 v1, s1
	v_add_co_u32_e32 v32, vcc, s0, v16
	v_addc_co_u32_e32 v33, vcc, v1, v17, vcc
	v_mul_u32_u24_e32 v1, 14, v0
	s_and_b64 vcc, exec, s[2:3]
	v_lshlrev_b32_e32 v4, 2, v1
	s_cbranch_vccz .LBB1800_221
; %bb.194:
	s_movk_i32 s0, 0xffcc
	v_mad_i32_i24 v5, v0, s0, v4
	s_barrier
	ds_write2_b64 v4, v[2:3], v[18:19] offset1:1
	ds_write2_b64 v4, v[6:7], v[20:21] offset0:2 offset1:3
	ds_write2_b64 v4, v[10:11], v[22:23] offset0:4 offset1:5
	s_waitcnt vmcnt(0)
	ds_write_b64 v4, v[24:25] offset:48
	s_waitcnt lgkmcnt(0)
	s_barrier
	ds_read2st64_b32 v[30:31], v5 offset0:4 offset1:8
	ds_read2st64_b32 v[28:29], v5 offset0:12 offset1:16
	;; [unrolled: 1-line block ×6, first 2 shown]
	ds_read_b32 v5, v5 offset:13312
	v_add_co_u32_e32 v8, vcc, v32, v51
	s_add_i32 s33, s33, s46
	v_addc_co_u32_e32 v9, vcc, 0, v33, vcc
	v_mov_b32_e32 v1, 0
	v_cmp_gt_u32_e32 vcc, s33, v0
	s_and_saveexec_b64 s[0:1], vcc
	s_cbranch_execz .LBB1800_196
; %bb.195:
	v_mul_i32_i24_e32 v34, 0xffffffcc, v0
	v_add_u32_e32 v34, v4, v34
	ds_read_b32 v34, v34
	s_waitcnt lgkmcnt(0)
	v_cvt_i32_f32_e32 v34, v34
	flat_store_dword v[8:9], v34
.LBB1800_196:
	s_or_b64 exec, exec, s[0:1]
	v_or_b32_e32 v34, 0x100, v0
	v_cmp_gt_u32_e32 vcc, s33, v34
	s_and_saveexec_b64 s[0:1], vcc
	s_cbranch_execz .LBB1800_198
; %bb.197:
	s_waitcnt lgkmcnt(0)
	v_cvt_i32_f32_e32 v30, v30
	flat_store_dword v[8:9], v30 offset:1024
.LBB1800_198:
	s_or_b64 exec, exec, s[0:1]
	s_waitcnt lgkmcnt(0)
	v_or_b32_e32 v30, 0x200, v0
	v_cmp_gt_u32_e32 vcc, s33, v30
	s_and_saveexec_b64 s[0:1], vcc
	s_cbranch_execz .LBB1800_200
; %bb.199:
	v_cvt_i32_f32_e32 v30, v31
	flat_store_dword v[8:9], v30 offset:2048
.LBB1800_200:
	s_or_b64 exec, exec, s[0:1]
	v_or_b32_e32 v30, 0x300, v0
	v_cmp_gt_u32_e32 vcc, s33, v30
	s_and_saveexec_b64 s[0:1], vcc
	s_cbranch_execz .LBB1800_202
; %bb.201:
	v_cvt_i32_f32_e32 v28, v28
	flat_store_dword v[8:9], v28 offset:3072
.LBB1800_202:
	s_or_b64 exec, exec, s[0:1]
	v_or_b32_e32 v28, 0x400, v0
	v_cmp_gt_u32_e32 vcc, s33, v28
	s_and_saveexec_b64 s[0:1], vcc
	s_cbranch_execz .LBB1800_204
; %bb.203:
	v_cvt_i32_f32_e32 v30, v29
	v_add_co_u32_e32 v28, vcc, 0x1000, v8
	v_addc_co_u32_e32 v29, vcc, 0, v9, vcc
	flat_store_dword v[28:29], v30
.LBB1800_204:
	s_or_b64 exec, exec, s[0:1]
	v_or_b32_e32 v28, 0x500, v0
	v_cmp_gt_u32_e32 vcc, s33, v28
	s_and_saveexec_b64 s[0:1], vcc
	s_cbranch_execz .LBB1800_206
; %bb.205:
	v_cvt_i32_f32_e32 v26, v26
	v_add_co_u32_e32 v28, vcc, 0x1000, v8
	v_addc_co_u32_e32 v29, vcc, 0, v9, vcc
	flat_store_dword v[28:29], v26 offset:1024
.LBB1800_206:
	s_or_b64 exec, exec, s[0:1]
	v_or_b32_e32 v26, 0x600, v0
	v_cmp_gt_u32_e32 vcc, s33, v26
	s_and_saveexec_b64 s[0:1], vcc
	s_cbranch_execz .LBB1800_208
; %bb.207:
	v_cvt_i32_f32_e32 v28, v27
	v_add_co_u32_e32 v26, vcc, 0x1000, v8
	v_addc_co_u32_e32 v27, vcc, 0, v9, vcc
	flat_store_dword v[26:27], v28 offset:2048
.LBB1800_208:
	;; [unrolled: 11-line block ×3, first 2 shown]
	s_or_b64 exec, exec, s[0:1]
	v_or_b32_e32 v16, 0x800, v0
	v_cmp_gt_u32_e32 vcc, s33, v16
	s_and_saveexec_b64 s[0:1], vcc
	s_cbranch_execz .LBB1800_212
; %bb.211:
	v_cvt_i32_f32_e32 v26, v17
	v_add_co_u32_e32 v16, vcc, 0x2000, v8
	v_addc_co_u32_e32 v17, vcc, 0, v9, vcc
	flat_store_dword v[16:17], v26
.LBB1800_212:
	s_or_b64 exec, exec, s[0:1]
	v_or_b32_e32 v16, 0x900, v0
	v_cmp_gt_u32_e32 vcc, s33, v16
	s_and_saveexec_b64 s[0:1], vcc
	s_cbranch_execz .LBB1800_214
; %bb.213:
	v_cvt_i32_f32_e32 v14, v14
	v_add_co_u32_e32 v16, vcc, 0x2000, v8
	v_addc_co_u32_e32 v17, vcc, 0, v9, vcc
	flat_store_dword v[16:17], v14 offset:1024
.LBB1800_214:
	s_or_b64 exec, exec, s[0:1]
	v_or_b32_e32 v14, 0xa00, v0
	v_cmp_gt_u32_e32 vcc, s33, v14
	s_and_saveexec_b64 s[0:1], vcc
	s_cbranch_execz .LBB1800_216
; %bb.215:
	v_cvt_i32_f32_e32 v16, v15
	v_add_co_u32_e32 v14, vcc, 0x2000, v8
	v_addc_co_u32_e32 v15, vcc, 0, v9, vcc
	flat_store_dword v[14:15], v16 offset:2048
.LBB1800_216:
	;; [unrolled: 11-line block ×3, first 2 shown]
	s_or_b64 exec, exec, s[0:1]
	v_or_b32_e32 v12, 0xc00, v0
	v_cmp_gt_u32_e32 vcc, s33, v12
	s_and_saveexec_b64 s[0:1], vcc
	s_cbranch_execz .LBB1800_220
; %bb.219:
	v_cvt_i32_f32_e32 v12, v13
	v_add_co_u32_e32 v8, vcc, 0x3000, v8
	v_addc_co_u32_e32 v9, vcc, 0, v9, vcc
	flat_store_dword v[8:9], v12
.LBB1800_220:
	s_or_b64 exec, exec, s[0:1]
	v_or_b32_e32 v8, 0xd00, v0
	v_cmp_gt_u32_e64 s[0:1], s33, v8
	s_branch .LBB1800_223
.LBB1800_221:
	s_mov_b64 s[0:1], 0
                                        ; implicit-def: $vgpr5
	s_cbranch_execz .LBB1800_223
; %bb.222:
	s_movk_i32 s2, 0xffcc
	s_waitcnt lgkmcnt(0)
	s_barrier
	ds_write2_b64 v4, v[2:3], v[18:19] offset1:1
	ds_write2_b64 v4, v[6:7], v[20:21] offset0:2 offset1:3
	ds_write2_b64 v4, v[10:11], v[22:23] offset0:4 offset1:5
	s_waitcnt vmcnt(0)
	ds_write_b64 v4, v[24:25] offset:48
	v_mad_i32_i24 v4, v0, s2, v4
	s_waitcnt lgkmcnt(0)
	s_barrier
	ds_read2st64_b32 v[2:3], v4 offset1:4
	ds_read2st64_b32 v[6:7], v4 offset0:8 offset1:12
	ds_read2st64_b32 v[8:9], v4 offset0:16 offset1:20
	;; [unrolled: 1-line block ×6, first 2 shown]
	s_waitcnt lgkmcnt(6)
	v_cvt_i32_f32_e32 v2, v2
	v_cvt_i32_f32_e32 v3, v3
	v_add_co_u32_e32 v16, vcc, v32, v51
	s_waitcnt lgkmcnt(5)
	v_cvt_i32_f32_e32 v6, v6
	v_addc_co_u32_e32 v17, vcc, 0, v33, vcc
	v_cvt_i32_f32_e32 v7, v7
	flat_store_dword v[16:17], v2
	flat_store_dword v[16:17], v3 offset:1024
	flat_store_dword v[16:17], v6 offset:2048
	;; [unrolled: 1-line block ×3, first 2 shown]
	s_waitcnt lgkmcnt(0)
	v_cvt_i32_f32_e32 v6, v8
	s_movk_i32 s2, 0x1000
	v_cvt_i32_f32_e32 v7, v9
	v_add_co_u32_e32 v2, vcc, s2, v16
	v_cvt_i32_f32_e32 v8, v10
	v_addc_co_u32_e32 v3, vcc, 0, v17, vcc
	v_cvt_i32_f32_e32 v9, v11
	flat_store_dword v[2:3], v6
	flat_store_dword v[2:3], v7 offset:1024
	flat_store_dword v[2:3], v8 offset:2048
	;; [unrolled: 1-line block ×3, first 2 shown]
	v_cvt_i32_f32_e32 v6, v12
	s_movk_i32 s2, 0x2000
	v_cvt_i32_f32_e32 v7, v13
	v_add_co_u32_e32 v2, vcc, s2, v16
	v_cvt_i32_f32_e32 v8, v14
	v_cvt_i32_f32_e32 v4, v4
	v_addc_co_u32_e32 v3, vcc, 0, v17, vcc
	v_cvt_i32_f32_e32 v9, v15
	flat_store_dword v[2:3], v6
	flat_store_dword v[2:3], v7 offset:1024
	flat_store_dword v[2:3], v8 offset:2048
	;; [unrolled: 1-line block ×3, first 2 shown]
	v_add_co_u32_e32 v2, vcc, 0x3000, v16
	v_mov_b32_e32 v1, 0
	v_addc_co_u32_e32 v3, vcc, 0, v17, vcc
	s_or_b64 s[0:1], s[0:1], exec
	flat_store_dword v[2:3], v4
.LBB1800_223:
	s_and_saveexec_b64 s[2:3], s[0:1]
	s_cbranch_execz .LBB1800_225
; %bb.224:
	v_lshlrev_b64 v[0:1], 2, v[0:1]
	v_add_co_u32_e32 v0, vcc, v32, v0
	v_cvt_i32_f32_e32 v2, v5
	v_addc_co_u32_e32 v1, vcc, v33, v1, vcc
	v_add_co_u32_e32 v0, vcc, 0x3000, v0
	v_addc_co_u32_e32 v1, vcc, 0, v1, vcc
	flat_store_dword v[0:1], v2 offset:1024
	s_endpgm
.LBB1800_225:
	s_endpgm
	.section	.rodata,"a",@progbits
	.p2align	6, 0x0
	.amdhsa_kernel _ZN7rocprim17ROCPRIM_400000_NS6detail17trampoline_kernelINS0_14default_configENS1_27scan_by_key_config_selectorIifEEZZNS1_16scan_by_key_implILNS1_25lookback_scan_determinismE0ELb1ES3_N6thrust23THRUST_200600_302600_NS6detail15normal_iteratorINS9_10device_ptrIiEEEENSB_INSC_IjEEEESE_fNS9_4plusIvEENS9_8equal_toIvEEfEE10hipError_tPvRmT2_T3_T4_T5_mT6_T7_P12ihipStream_tbENKUlT_T0_E_clISt17integral_constantIbLb1EES11_EEDaSW_SX_EUlSW_E_NS1_11comp_targetILNS1_3genE4ELNS1_11target_archE910ELNS1_3gpuE8ELNS1_3repE0EEENS1_30default_config_static_selectorELNS0_4arch9wavefront6targetE1EEEvT1_
		.amdhsa_group_segment_fixed_size 16384
		.amdhsa_private_segment_fixed_size 0
		.amdhsa_kernarg_size 112
		.amdhsa_user_sgpr_count 6
		.amdhsa_user_sgpr_private_segment_buffer 1
		.amdhsa_user_sgpr_dispatch_ptr 0
		.amdhsa_user_sgpr_queue_ptr 0
		.amdhsa_user_sgpr_kernarg_segment_ptr 1
		.amdhsa_user_sgpr_dispatch_id 0
		.amdhsa_user_sgpr_flat_scratch_init 0
		.amdhsa_user_sgpr_kernarg_preload_length 0
		.amdhsa_user_sgpr_kernarg_preload_offset 0
		.amdhsa_user_sgpr_private_segment_size 0
		.amdhsa_uses_dynamic_stack 0
		.amdhsa_system_sgpr_private_segment_wavefront_offset 0
		.amdhsa_system_sgpr_workgroup_id_x 1
		.amdhsa_system_sgpr_workgroup_id_y 0
		.amdhsa_system_sgpr_workgroup_id_z 0
		.amdhsa_system_sgpr_workgroup_info 0
		.amdhsa_system_vgpr_workitem_id 0
		.amdhsa_next_free_vgpr 67
		.amdhsa_next_free_sgpr 60
		.amdhsa_accum_offset 68
		.amdhsa_reserve_vcc 1
		.amdhsa_reserve_flat_scratch 0
		.amdhsa_float_round_mode_32 0
		.amdhsa_float_round_mode_16_64 0
		.amdhsa_float_denorm_mode_32 3
		.amdhsa_float_denorm_mode_16_64 3
		.amdhsa_dx10_clamp 1
		.amdhsa_ieee_mode 1
		.amdhsa_fp16_overflow 0
		.amdhsa_tg_split 0
		.amdhsa_exception_fp_ieee_invalid_op 0
		.amdhsa_exception_fp_denorm_src 0
		.amdhsa_exception_fp_ieee_div_zero 0
		.amdhsa_exception_fp_ieee_overflow 0
		.amdhsa_exception_fp_ieee_underflow 0
		.amdhsa_exception_fp_ieee_inexact 0
		.amdhsa_exception_int_div_zero 0
	.end_amdhsa_kernel
	.section	.text._ZN7rocprim17ROCPRIM_400000_NS6detail17trampoline_kernelINS0_14default_configENS1_27scan_by_key_config_selectorIifEEZZNS1_16scan_by_key_implILNS1_25lookback_scan_determinismE0ELb1ES3_N6thrust23THRUST_200600_302600_NS6detail15normal_iteratorINS9_10device_ptrIiEEEENSB_INSC_IjEEEESE_fNS9_4plusIvEENS9_8equal_toIvEEfEE10hipError_tPvRmT2_T3_T4_T5_mT6_T7_P12ihipStream_tbENKUlT_T0_E_clISt17integral_constantIbLb1EES11_EEDaSW_SX_EUlSW_E_NS1_11comp_targetILNS1_3genE4ELNS1_11target_archE910ELNS1_3gpuE8ELNS1_3repE0EEENS1_30default_config_static_selectorELNS0_4arch9wavefront6targetE1EEEvT1_,"axG",@progbits,_ZN7rocprim17ROCPRIM_400000_NS6detail17trampoline_kernelINS0_14default_configENS1_27scan_by_key_config_selectorIifEEZZNS1_16scan_by_key_implILNS1_25lookback_scan_determinismE0ELb1ES3_N6thrust23THRUST_200600_302600_NS6detail15normal_iteratorINS9_10device_ptrIiEEEENSB_INSC_IjEEEESE_fNS9_4plusIvEENS9_8equal_toIvEEfEE10hipError_tPvRmT2_T3_T4_T5_mT6_T7_P12ihipStream_tbENKUlT_T0_E_clISt17integral_constantIbLb1EES11_EEDaSW_SX_EUlSW_E_NS1_11comp_targetILNS1_3genE4ELNS1_11target_archE910ELNS1_3gpuE8ELNS1_3repE0EEENS1_30default_config_static_selectorELNS0_4arch9wavefront6targetE1EEEvT1_,comdat
.Lfunc_end1800:
	.size	_ZN7rocprim17ROCPRIM_400000_NS6detail17trampoline_kernelINS0_14default_configENS1_27scan_by_key_config_selectorIifEEZZNS1_16scan_by_key_implILNS1_25lookback_scan_determinismE0ELb1ES3_N6thrust23THRUST_200600_302600_NS6detail15normal_iteratorINS9_10device_ptrIiEEEENSB_INSC_IjEEEESE_fNS9_4plusIvEENS9_8equal_toIvEEfEE10hipError_tPvRmT2_T3_T4_T5_mT6_T7_P12ihipStream_tbENKUlT_T0_E_clISt17integral_constantIbLb1EES11_EEDaSW_SX_EUlSW_E_NS1_11comp_targetILNS1_3genE4ELNS1_11target_archE910ELNS1_3gpuE8ELNS1_3repE0EEENS1_30default_config_static_selectorELNS0_4arch9wavefront6targetE1EEEvT1_, .Lfunc_end1800-_ZN7rocprim17ROCPRIM_400000_NS6detail17trampoline_kernelINS0_14default_configENS1_27scan_by_key_config_selectorIifEEZZNS1_16scan_by_key_implILNS1_25lookback_scan_determinismE0ELb1ES3_N6thrust23THRUST_200600_302600_NS6detail15normal_iteratorINS9_10device_ptrIiEEEENSB_INSC_IjEEEESE_fNS9_4plusIvEENS9_8equal_toIvEEfEE10hipError_tPvRmT2_T3_T4_T5_mT6_T7_P12ihipStream_tbENKUlT_T0_E_clISt17integral_constantIbLb1EES11_EEDaSW_SX_EUlSW_E_NS1_11comp_targetILNS1_3genE4ELNS1_11target_archE910ELNS1_3gpuE8ELNS1_3repE0EEENS1_30default_config_static_selectorELNS0_4arch9wavefront6targetE1EEEvT1_
                                        ; -- End function
	.section	.AMDGPU.csdata,"",@progbits
; Kernel info:
; codeLenInByte = 10952
; NumSgprs: 64
; NumVgprs: 67
; NumAgprs: 0
; TotalNumVgprs: 67
; ScratchSize: 0
; MemoryBound: 0
; FloatMode: 240
; IeeeMode: 1
; LDSByteSize: 16384 bytes/workgroup (compile time only)
; SGPRBlocks: 7
; VGPRBlocks: 8
; NumSGPRsForWavesPerEU: 64
; NumVGPRsForWavesPerEU: 67
; AccumOffset: 68
; Occupancy: 4
; WaveLimiterHint : 1
; COMPUTE_PGM_RSRC2:SCRATCH_EN: 0
; COMPUTE_PGM_RSRC2:USER_SGPR: 6
; COMPUTE_PGM_RSRC2:TRAP_HANDLER: 0
; COMPUTE_PGM_RSRC2:TGID_X_EN: 1
; COMPUTE_PGM_RSRC2:TGID_Y_EN: 0
; COMPUTE_PGM_RSRC2:TGID_Z_EN: 0
; COMPUTE_PGM_RSRC2:TIDIG_COMP_CNT: 0
; COMPUTE_PGM_RSRC3_GFX90A:ACCUM_OFFSET: 16
; COMPUTE_PGM_RSRC3_GFX90A:TG_SPLIT: 0
	.section	.text._ZN7rocprim17ROCPRIM_400000_NS6detail17trampoline_kernelINS0_14default_configENS1_27scan_by_key_config_selectorIifEEZZNS1_16scan_by_key_implILNS1_25lookback_scan_determinismE0ELb1ES3_N6thrust23THRUST_200600_302600_NS6detail15normal_iteratorINS9_10device_ptrIiEEEENSB_INSC_IjEEEESE_fNS9_4plusIvEENS9_8equal_toIvEEfEE10hipError_tPvRmT2_T3_T4_T5_mT6_T7_P12ihipStream_tbENKUlT_T0_E_clISt17integral_constantIbLb1EES11_EEDaSW_SX_EUlSW_E_NS1_11comp_targetILNS1_3genE3ELNS1_11target_archE908ELNS1_3gpuE7ELNS1_3repE0EEENS1_30default_config_static_selectorELNS0_4arch9wavefront6targetE1EEEvT1_,"axG",@progbits,_ZN7rocprim17ROCPRIM_400000_NS6detail17trampoline_kernelINS0_14default_configENS1_27scan_by_key_config_selectorIifEEZZNS1_16scan_by_key_implILNS1_25lookback_scan_determinismE0ELb1ES3_N6thrust23THRUST_200600_302600_NS6detail15normal_iteratorINS9_10device_ptrIiEEEENSB_INSC_IjEEEESE_fNS9_4plusIvEENS9_8equal_toIvEEfEE10hipError_tPvRmT2_T3_T4_T5_mT6_T7_P12ihipStream_tbENKUlT_T0_E_clISt17integral_constantIbLb1EES11_EEDaSW_SX_EUlSW_E_NS1_11comp_targetILNS1_3genE3ELNS1_11target_archE908ELNS1_3gpuE7ELNS1_3repE0EEENS1_30default_config_static_selectorELNS0_4arch9wavefront6targetE1EEEvT1_,comdat
	.protected	_ZN7rocprim17ROCPRIM_400000_NS6detail17trampoline_kernelINS0_14default_configENS1_27scan_by_key_config_selectorIifEEZZNS1_16scan_by_key_implILNS1_25lookback_scan_determinismE0ELb1ES3_N6thrust23THRUST_200600_302600_NS6detail15normal_iteratorINS9_10device_ptrIiEEEENSB_INSC_IjEEEESE_fNS9_4plusIvEENS9_8equal_toIvEEfEE10hipError_tPvRmT2_T3_T4_T5_mT6_T7_P12ihipStream_tbENKUlT_T0_E_clISt17integral_constantIbLb1EES11_EEDaSW_SX_EUlSW_E_NS1_11comp_targetILNS1_3genE3ELNS1_11target_archE908ELNS1_3gpuE7ELNS1_3repE0EEENS1_30default_config_static_selectorELNS0_4arch9wavefront6targetE1EEEvT1_ ; -- Begin function _ZN7rocprim17ROCPRIM_400000_NS6detail17trampoline_kernelINS0_14default_configENS1_27scan_by_key_config_selectorIifEEZZNS1_16scan_by_key_implILNS1_25lookback_scan_determinismE0ELb1ES3_N6thrust23THRUST_200600_302600_NS6detail15normal_iteratorINS9_10device_ptrIiEEEENSB_INSC_IjEEEESE_fNS9_4plusIvEENS9_8equal_toIvEEfEE10hipError_tPvRmT2_T3_T4_T5_mT6_T7_P12ihipStream_tbENKUlT_T0_E_clISt17integral_constantIbLb1EES11_EEDaSW_SX_EUlSW_E_NS1_11comp_targetILNS1_3genE3ELNS1_11target_archE908ELNS1_3gpuE7ELNS1_3repE0EEENS1_30default_config_static_selectorELNS0_4arch9wavefront6targetE1EEEvT1_
	.globl	_ZN7rocprim17ROCPRIM_400000_NS6detail17trampoline_kernelINS0_14default_configENS1_27scan_by_key_config_selectorIifEEZZNS1_16scan_by_key_implILNS1_25lookback_scan_determinismE0ELb1ES3_N6thrust23THRUST_200600_302600_NS6detail15normal_iteratorINS9_10device_ptrIiEEEENSB_INSC_IjEEEESE_fNS9_4plusIvEENS9_8equal_toIvEEfEE10hipError_tPvRmT2_T3_T4_T5_mT6_T7_P12ihipStream_tbENKUlT_T0_E_clISt17integral_constantIbLb1EES11_EEDaSW_SX_EUlSW_E_NS1_11comp_targetILNS1_3genE3ELNS1_11target_archE908ELNS1_3gpuE7ELNS1_3repE0EEENS1_30default_config_static_selectorELNS0_4arch9wavefront6targetE1EEEvT1_
	.p2align	8
	.type	_ZN7rocprim17ROCPRIM_400000_NS6detail17trampoline_kernelINS0_14default_configENS1_27scan_by_key_config_selectorIifEEZZNS1_16scan_by_key_implILNS1_25lookback_scan_determinismE0ELb1ES3_N6thrust23THRUST_200600_302600_NS6detail15normal_iteratorINS9_10device_ptrIiEEEENSB_INSC_IjEEEESE_fNS9_4plusIvEENS9_8equal_toIvEEfEE10hipError_tPvRmT2_T3_T4_T5_mT6_T7_P12ihipStream_tbENKUlT_T0_E_clISt17integral_constantIbLb1EES11_EEDaSW_SX_EUlSW_E_NS1_11comp_targetILNS1_3genE3ELNS1_11target_archE908ELNS1_3gpuE7ELNS1_3repE0EEENS1_30default_config_static_selectorELNS0_4arch9wavefront6targetE1EEEvT1_,@function
_ZN7rocprim17ROCPRIM_400000_NS6detail17trampoline_kernelINS0_14default_configENS1_27scan_by_key_config_selectorIifEEZZNS1_16scan_by_key_implILNS1_25lookback_scan_determinismE0ELb1ES3_N6thrust23THRUST_200600_302600_NS6detail15normal_iteratorINS9_10device_ptrIiEEEENSB_INSC_IjEEEESE_fNS9_4plusIvEENS9_8equal_toIvEEfEE10hipError_tPvRmT2_T3_T4_T5_mT6_T7_P12ihipStream_tbENKUlT_T0_E_clISt17integral_constantIbLb1EES11_EEDaSW_SX_EUlSW_E_NS1_11comp_targetILNS1_3genE3ELNS1_11target_archE908ELNS1_3gpuE7ELNS1_3repE0EEENS1_30default_config_static_selectorELNS0_4arch9wavefront6targetE1EEEvT1_: ; @_ZN7rocprim17ROCPRIM_400000_NS6detail17trampoline_kernelINS0_14default_configENS1_27scan_by_key_config_selectorIifEEZZNS1_16scan_by_key_implILNS1_25lookback_scan_determinismE0ELb1ES3_N6thrust23THRUST_200600_302600_NS6detail15normal_iteratorINS9_10device_ptrIiEEEENSB_INSC_IjEEEESE_fNS9_4plusIvEENS9_8equal_toIvEEfEE10hipError_tPvRmT2_T3_T4_T5_mT6_T7_P12ihipStream_tbENKUlT_T0_E_clISt17integral_constantIbLb1EES11_EEDaSW_SX_EUlSW_E_NS1_11comp_targetILNS1_3genE3ELNS1_11target_archE908ELNS1_3gpuE7ELNS1_3repE0EEENS1_30default_config_static_selectorELNS0_4arch9wavefront6targetE1EEEvT1_
; %bb.0:
	.section	.rodata,"a",@progbits
	.p2align	6, 0x0
	.amdhsa_kernel _ZN7rocprim17ROCPRIM_400000_NS6detail17trampoline_kernelINS0_14default_configENS1_27scan_by_key_config_selectorIifEEZZNS1_16scan_by_key_implILNS1_25lookback_scan_determinismE0ELb1ES3_N6thrust23THRUST_200600_302600_NS6detail15normal_iteratorINS9_10device_ptrIiEEEENSB_INSC_IjEEEESE_fNS9_4plusIvEENS9_8equal_toIvEEfEE10hipError_tPvRmT2_T3_T4_T5_mT6_T7_P12ihipStream_tbENKUlT_T0_E_clISt17integral_constantIbLb1EES11_EEDaSW_SX_EUlSW_E_NS1_11comp_targetILNS1_3genE3ELNS1_11target_archE908ELNS1_3gpuE7ELNS1_3repE0EEENS1_30default_config_static_selectorELNS0_4arch9wavefront6targetE1EEEvT1_
		.amdhsa_group_segment_fixed_size 0
		.amdhsa_private_segment_fixed_size 0
		.amdhsa_kernarg_size 112
		.amdhsa_user_sgpr_count 6
		.amdhsa_user_sgpr_private_segment_buffer 1
		.amdhsa_user_sgpr_dispatch_ptr 0
		.amdhsa_user_sgpr_queue_ptr 0
		.amdhsa_user_sgpr_kernarg_segment_ptr 1
		.amdhsa_user_sgpr_dispatch_id 0
		.amdhsa_user_sgpr_flat_scratch_init 0
		.amdhsa_user_sgpr_kernarg_preload_length 0
		.amdhsa_user_sgpr_kernarg_preload_offset 0
		.amdhsa_user_sgpr_private_segment_size 0
		.amdhsa_uses_dynamic_stack 0
		.amdhsa_system_sgpr_private_segment_wavefront_offset 0
		.amdhsa_system_sgpr_workgroup_id_x 1
		.amdhsa_system_sgpr_workgroup_id_y 0
		.amdhsa_system_sgpr_workgroup_id_z 0
		.amdhsa_system_sgpr_workgroup_info 0
		.amdhsa_system_vgpr_workitem_id 0
		.amdhsa_next_free_vgpr 1
		.amdhsa_next_free_sgpr 0
		.amdhsa_accum_offset 4
		.amdhsa_reserve_vcc 0
		.amdhsa_reserve_flat_scratch 0
		.amdhsa_float_round_mode_32 0
		.amdhsa_float_round_mode_16_64 0
		.amdhsa_float_denorm_mode_32 3
		.amdhsa_float_denorm_mode_16_64 3
		.amdhsa_dx10_clamp 1
		.amdhsa_ieee_mode 1
		.amdhsa_fp16_overflow 0
		.amdhsa_tg_split 0
		.amdhsa_exception_fp_ieee_invalid_op 0
		.amdhsa_exception_fp_denorm_src 0
		.amdhsa_exception_fp_ieee_div_zero 0
		.amdhsa_exception_fp_ieee_overflow 0
		.amdhsa_exception_fp_ieee_underflow 0
		.amdhsa_exception_fp_ieee_inexact 0
		.amdhsa_exception_int_div_zero 0
	.end_amdhsa_kernel
	.section	.text._ZN7rocprim17ROCPRIM_400000_NS6detail17trampoline_kernelINS0_14default_configENS1_27scan_by_key_config_selectorIifEEZZNS1_16scan_by_key_implILNS1_25lookback_scan_determinismE0ELb1ES3_N6thrust23THRUST_200600_302600_NS6detail15normal_iteratorINS9_10device_ptrIiEEEENSB_INSC_IjEEEESE_fNS9_4plusIvEENS9_8equal_toIvEEfEE10hipError_tPvRmT2_T3_T4_T5_mT6_T7_P12ihipStream_tbENKUlT_T0_E_clISt17integral_constantIbLb1EES11_EEDaSW_SX_EUlSW_E_NS1_11comp_targetILNS1_3genE3ELNS1_11target_archE908ELNS1_3gpuE7ELNS1_3repE0EEENS1_30default_config_static_selectorELNS0_4arch9wavefront6targetE1EEEvT1_,"axG",@progbits,_ZN7rocprim17ROCPRIM_400000_NS6detail17trampoline_kernelINS0_14default_configENS1_27scan_by_key_config_selectorIifEEZZNS1_16scan_by_key_implILNS1_25lookback_scan_determinismE0ELb1ES3_N6thrust23THRUST_200600_302600_NS6detail15normal_iteratorINS9_10device_ptrIiEEEENSB_INSC_IjEEEESE_fNS9_4plusIvEENS9_8equal_toIvEEfEE10hipError_tPvRmT2_T3_T4_T5_mT6_T7_P12ihipStream_tbENKUlT_T0_E_clISt17integral_constantIbLb1EES11_EEDaSW_SX_EUlSW_E_NS1_11comp_targetILNS1_3genE3ELNS1_11target_archE908ELNS1_3gpuE7ELNS1_3repE0EEENS1_30default_config_static_selectorELNS0_4arch9wavefront6targetE1EEEvT1_,comdat
.Lfunc_end1801:
	.size	_ZN7rocprim17ROCPRIM_400000_NS6detail17trampoline_kernelINS0_14default_configENS1_27scan_by_key_config_selectorIifEEZZNS1_16scan_by_key_implILNS1_25lookback_scan_determinismE0ELb1ES3_N6thrust23THRUST_200600_302600_NS6detail15normal_iteratorINS9_10device_ptrIiEEEENSB_INSC_IjEEEESE_fNS9_4plusIvEENS9_8equal_toIvEEfEE10hipError_tPvRmT2_T3_T4_T5_mT6_T7_P12ihipStream_tbENKUlT_T0_E_clISt17integral_constantIbLb1EES11_EEDaSW_SX_EUlSW_E_NS1_11comp_targetILNS1_3genE3ELNS1_11target_archE908ELNS1_3gpuE7ELNS1_3repE0EEENS1_30default_config_static_selectorELNS0_4arch9wavefront6targetE1EEEvT1_, .Lfunc_end1801-_ZN7rocprim17ROCPRIM_400000_NS6detail17trampoline_kernelINS0_14default_configENS1_27scan_by_key_config_selectorIifEEZZNS1_16scan_by_key_implILNS1_25lookback_scan_determinismE0ELb1ES3_N6thrust23THRUST_200600_302600_NS6detail15normal_iteratorINS9_10device_ptrIiEEEENSB_INSC_IjEEEESE_fNS9_4plusIvEENS9_8equal_toIvEEfEE10hipError_tPvRmT2_T3_T4_T5_mT6_T7_P12ihipStream_tbENKUlT_T0_E_clISt17integral_constantIbLb1EES11_EEDaSW_SX_EUlSW_E_NS1_11comp_targetILNS1_3genE3ELNS1_11target_archE908ELNS1_3gpuE7ELNS1_3repE0EEENS1_30default_config_static_selectorELNS0_4arch9wavefront6targetE1EEEvT1_
                                        ; -- End function
	.section	.AMDGPU.csdata,"",@progbits
; Kernel info:
; codeLenInByte = 0
; NumSgprs: 4
; NumVgprs: 0
; NumAgprs: 0
; TotalNumVgprs: 0
; ScratchSize: 0
; MemoryBound: 0
; FloatMode: 240
; IeeeMode: 1
; LDSByteSize: 0 bytes/workgroup (compile time only)
; SGPRBlocks: 0
; VGPRBlocks: 0
; NumSGPRsForWavesPerEU: 4
; NumVGPRsForWavesPerEU: 1
; AccumOffset: 4
; Occupancy: 8
; WaveLimiterHint : 0
; COMPUTE_PGM_RSRC2:SCRATCH_EN: 0
; COMPUTE_PGM_RSRC2:USER_SGPR: 6
; COMPUTE_PGM_RSRC2:TRAP_HANDLER: 0
; COMPUTE_PGM_RSRC2:TGID_X_EN: 1
; COMPUTE_PGM_RSRC2:TGID_Y_EN: 0
; COMPUTE_PGM_RSRC2:TGID_Z_EN: 0
; COMPUTE_PGM_RSRC2:TIDIG_COMP_CNT: 0
; COMPUTE_PGM_RSRC3_GFX90A:ACCUM_OFFSET: 0
; COMPUTE_PGM_RSRC3_GFX90A:TG_SPLIT: 0
	.section	.text._ZN7rocprim17ROCPRIM_400000_NS6detail17trampoline_kernelINS0_14default_configENS1_27scan_by_key_config_selectorIifEEZZNS1_16scan_by_key_implILNS1_25lookback_scan_determinismE0ELb1ES3_N6thrust23THRUST_200600_302600_NS6detail15normal_iteratorINS9_10device_ptrIiEEEENSB_INSC_IjEEEESE_fNS9_4plusIvEENS9_8equal_toIvEEfEE10hipError_tPvRmT2_T3_T4_T5_mT6_T7_P12ihipStream_tbENKUlT_T0_E_clISt17integral_constantIbLb1EES11_EEDaSW_SX_EUlSW_E_NS1_11comp_targetILNS1_3genE2ELNS1_11target_archE906ELNS1_3gpuE6ELNS1_3repE0EEENS1_30default_config_static_selectorELNS0_4arch9wavefront6targetE1EEEvT1_,"axG",@progbits,_ZN7rocprim17ROCPRIM_400000_NS6detail17trampoline_kernelINS0_14default_configENS1_27scan_by_key_config_selectorIifEEZZNS1_16scan_by_key_implILNS1_25lookback_scan_determinismE0ELb1ES3_N6thrust23THRUST_200600_302600_NS6detail15normal_iteratorINS9_10device_ptrIiEEEENSB_INSC_IjEEEESE_fNS9_4plusIvEENS9_8equal_toIvEEfEE10hipError_tPvRmT2_T3_T4_T5_mT6_T7_P12ihipStream_tbENKUlT_T0_E_clISt17integral_constantIbLb1EES11_EEDaSW_SX_EUlSW_E_NS1_11comp_targetILNS1_3genE2ELNS1_11target_archE906ELNS1_3gpuE6ELNS1_3repE0EEENS1_30default_config_static_selectorELNS0_4arch9wavefront6targetE1EEEvT1_,comdat
	.protected	_ZN7rocprim17ROCPRIM_400000_NS6detail17trampoline_kernelINS0_14default_configENS1_27scan_by_key_config_selectorIifEEZZNS1_16scan_by_key_implILNS1_25lookback_scan_determinismE0ELb1ES3_N6thrust23THRUST_200600_302600_NS6detail15normal_iteratorINS9_10device_ptrIiEEEENSB_INSC_IjEEEESE_fNS9_4plusIvEENS9_8equal_toIvEEfEE10hipError_tPvRmT2_T3_T4_T5_mT6_T7_P12ihipStream_tbENKUlT_T0_E_clISt17integral_constantIbLb1EES11_EEDaSW_SX_EUlSW_E_NS1_11comp_targetILNS1_3genE2ELNS1_11target_archE906ELNS1_3gpuE6ELNS1_3repE0EEENS1_30default_config_static_selectorELNS0_4arch9wavefront6targetE1EEEvT1_ ; -- Begin function _ZN7rocprim17ROCPRIM_400000_NS6detail17trampoline_kernelINS0_14default_configENS1_27scan_by_key_config_selectorIifEEZZNS1_16scan_by_key_implILNS1_25lookback_scan_determinismE0ELb1ES3_N6thrust23THRUST_200600_302600_NS6detail15normal_iteratorINS9_10device_ptrIiEEEENSB_INSC_IjEEEESE_fNS9_4plusIvEENS9_8equal_toIvEEfEE10hipError_tPvRmT2_T3_T4_T5_mT6_T7_P12ihipStream_tbENKUlT_T0_E_clISt17integral_constantIbLb1EES11_EEDaSW_SX_EUlSW_E_NS1_11comp_targetILNS1_3genE2ELNS1_11target_archE906ELNS1_3gpuE6ELNS1_3repE0EEENS1_30default_config_static_selectorELNS0_4arch9wavefront6targetE1EEEvT1_
	.globl	_ZN7rocprim17ROCPRIM_400000_NS6detail17trampoline_kernelINS0_14default_configENS1_27scan_by_key_config_selectorIifEEZZNS1_16scan_by_key_implILNS1_25lookback_scan_determinismE0ELb1ES3_N6thrust23THRUST_200600_302600_NS6detail15normal_iteratorINS9_10device_ptrIiEEEENSB_INSC_IjEEEESE_fNS9_4plusIvEENS9_8equal_toIvEEfEE10hipError_tPvRmT2_T3_T4_T5_mT6_T7_P12ihipStream_tbENKUlT_T0_E_clISt17integral_constantIbLb1EES11_EEDaSW_SX_EUlSW_E_NS1_11comp_targetILNS1_3genE2ELNS1_11target_archE906ELNS1_3gpuE6ELNS1_3repE0EEENS1_30default_config_static_selectorELNS0_4arch9wavefront6targetE1EEEvT1_
	.p2align	8
	.type	_ZN7rocprim17ROCPRIM_400000_NS6detail17trampoline_kernelINS0_14default_configENS1_27scan_by_key_config_selectorIifEEZZNS1_16scan_by_key_implILNS1_25lookback_scan_determinismE0ELb1ES3_N6thrust23THRUST_200600_302600_NS6detail15normal_iteratorINS9_10device_ptrIiEEEENSB_INSC_IjEEEESE_fNS9_4plusIvEENS9_8equal_toIvEEfEE10hipError_tPvRmT2_T3_T4_T5_mT6_T7_P12ihipStream_tbENKUlT_T0_E_clISt17integral_constantIbLb1EES11_EEDaSW_SX_EUlSW_E_NS1_11comp_targetILNS1_3genE2ELNS1_11target_archE906ELNS1_3gpuE6ELNS1_3repE0EEENS1_30default_config_static_selectorELNS0_4arch9wavefront6targetE1EEEvT1_,@function
_ZN7rocprim17ROCPRIM_400000_NS6detail17trampoline_kernelINS0_14default_configENS1_27scan_by_key_config_selectorIifEEZZNS1_16scan_by_key_implILNS1_25lookback_scan_determinismE0ELb1ES3_N6thrust23THRUST_200600_302600_NS6detail15normal_iteratorINS9_10device_ptrIiEEEENSB_INSC_IjEEEESE_fNS9_4plusIvEENS9_8equal_toIvEEfEE10hipError_tPvRmT2_T3_T4_T5_mT6_T7_P12ihipStream_tbENKUlT_T0_E_clISt17integral_constantIbLb1EES11_EEDaSW_SX_EUlSW_E_NS1_11comp_targetILNS1_3genE2ELNS1_11target_archE906ELNS1_3gpuE6ELNS1_3repE0EEENS1_30default_config_static_selectorELNS0_4arch9wavefront6targetE1EEEvT1_: ; @_ZN7rocprim17ROCPRIM_400000_NS6detail17trampoline_kernelINS0_14default_configENS1_27scan_by_key_config_selectorIifEEZZNS1_16scan_by_key_implILNS1_25lookback_scan_determinismE0ELb1ES3_N6thrust23THRUST_200600_302600_NS6detail15normal_iteratorINS9_10device_ptrIiEEEENSB_INSC_IjEEEESE_fNS9_4plusIvEENS9_8equal_toIvEEfEE10hipError_tPvRmT2_T3_T4_T5_mT6_T7_P12ihipStream_tbENKUlT_T0_E_clISt17integral_constantIbLb1EES11_EEDaSW_SX_EUlSW_E_NS1_11comp_targetILNS1_3genE2ELNS1_11target_archE906ELNS1_3gpuE6ELNS1_3repE0EEENS1_30default_config_static_selectorELNS0_4arch9wavefront6targetE1EEEvT1_
; %bb.0:
	.section	.rodata,"a",@progbits
	.p2align	6, 0x0
	.amdhsa_kernel _ZN7rocprim17ROCPRIM_400000_NS6detail17trampoline_kernelINS0_14default_configENS1_27scan_by_key_config_selectorIifEEZZNS1_16scan_by_key_implILNS1_25lookback_scan_determinismE0ELb1ES3_N6thrust23THRUST_200600_302600_NS6detail15normal_iteratorINS9_10device_ptrIiEEEENSB_INSC_IjEEEESE_fNS9_4plusIvEENS9_8equal_toIvEEfEE10hipError_tPvRmT2_T3_T4_T5_mT6_T7_P12ihipStream_tbENKUlT_T0_E_clISt17integral_constantIbLb1EES11_EEDaSW_SX_EUlSW_E_NS1_11comp_targetILNS1_3genE2ELNS1_11target_archE906ELNS1_3gpuE6ELNS1_3repE0EEENS1_30default_config_static_selectorELNS0_4arch9wavefront6targetE1EEEvT1_
		.amdhsa_group_segment_fixed_size 0
		.amdhsa_private_segment_fixed_size 0
		.amdhsa_kernarg_size 112
		.amdhsa_user_sgpr_count 6
		.amdhsa_user_sgpr_private_segment_buffer 1
		.amdhsa_user_sgpr_dispatch_ptr 0
		.amdhsa_user_sgpr_queue_ptr 0
		.amdhsa_user_sgpr_kernarg_segment_ptr 1
		.amdhsa_user_sgpr_dispatch_id 0
		.amdhsa_user_sgpr_flat_scratch_init 0
		.amdhsa_user_sgpr_kernarg_preload_length 0
		.amdhsa_user_sgpr_kernarg_preload_offset 0
		.amdhsa_user_sgpr_private_segment_size 0
		.amdhsa_uses_dynamic_stack 0
		.amdhsa_system_sgpr_private_segment_wavefront_offset 0
		.amdhsa_system_sgpr_workgroup_id_x 1
		.amdhsa_system_sgpr_workgroup_id_y 0
		.amdhsa_system_sgpr_workgroup_id_z 0
		.amdhsa_system_sgpr_workgroup_info 0
		.amdhsa_system_vgpr_workitem_id 0
		.amdhsa_next_free_vgpr 1
		.amdhsa_next_free_sgpr 0
		.amdhsa_accum_offset 4
		.amdhsa_reserve_vcc 0
		.amdhsa_reserve_flat_scratch 0
		.amdhsa_float_round_mode_32 0
		.amdhsa_float_round_mode_16_64 0
		.amdhsa_float_denorm_mode_32 3
		.amdhsa_float_denorm_mode_16_64 3
		.amdhsa_dx10_clamp 1
		.amdhsa_ieee_mode 1
		.amdhsa_fp16_overflow 0
		.amdhsa_tg_split 0
		.amdhsa_exception_fp_ieee_invalid_op 0
		.amdhsa_exception_fp_denorm_src 0
		.amdhsa_exception_fp_ieee_div_zero 0
		.amdhsa_exception_fp_ieee_overflow 0
		.amdhsa_exception_fp_ieee_underflow 0
		.amdhsa_exception_fp_ieee_inexact 0
		.amdhsa_exception_int_div_zero 0
	.end_amdhsa_kernel
	.section	.text._ZN7rocprim17ROCPRIM_400000_NS6detail17trampoline_kernelINS0_14default_configENS1_27scan_by_key_config_selectorIifEEZZNS1_16scan_by_key_implILNS1_25lookback_scan_determinismE0ELb1ES3_N6thrust23THRUST_200600_302600_NS6detail15normal_iteratorINS9_10device_ptrIiEEEENSB_INSC_IjEEEESE_fNS9_4plusIvEENS9_8equal_toIvEEfEE10hipError_tPvRmT2_T3_T4_T5_mT6_T7_P12ihipStream_tbENKUlT_T0_E_clISt17integral_constantIbLb1EES11_EEDaSW_SX_EUlSW_E_NS1_11comp_targetILNS1_3genE2ELNS1_11target_archE906ELNS1_3gpuE6ELNS1_3repE0EEENS1_30default_config_static_selectorELNS0_4arch9wavefront6targetE1EEEvT1_,"axG",@progbits,_ZN7rocprim17ROCPRIM_400000_NS6detail17trampoline_kernelINS0_14default_configENS1_27scan_by_key_config_selectorIifEEZZNS1_16scan_by_key_implILNS1_25lookback_scan_determinismE0ELb1ES3_N6thrust23THRUST_200600_302600_NS6detail15normal_iteratorINS9_10device_ptrIiEEEENSB_INSC_IjEEEESE_fNS9_4plusIvEENS9_8equal_toIvEEfEE10hipError_tPvRmT2_T3_T4_T5_mT6_T7_P12ihipStream_tbENKUlT_T0_E_clISt17integral_constantIbLb1EES11_EEDaSW_SX_EUlSW_E_NS1_11comp_targetILNS1_3genE2ELNS1_11target_archE906ELNS1_3gpuE6ELNS1_3repE0EEENS1_30default_config_static_selectorELNS0_4arch9wavefront6targetE1EEEvT1_,comdat
.Lfunc_end1802:
	.size	_ZN7rocprim17ROCPRIM_400000_NS6detail17trampoline_kernelINS0_14default_configENS1_27scan_by_key_config_selectorIifEEZZNS1_16scan_by_key_implILNS1_25lookback_scan_determinismE0ELb1ES3_N6thrust23THRUST_200600_302600_NS6detail15normal_iteratorINS9_10device_ptrIiEEEENSB_INSC_IjEEEESE_fNS9_4plusIvEENS9_8equal_toIvEEfEE10hipError_tPvRmT2_T3_T4_T5_mT6_T7_P12ihipStream_tbENKUlT_T0_E_clISt17integral_constantIbLb1EES11_EEDaSW_SX_EUlSW_E_NS1_11comp_targetILNS1_3genE2ELNS1_11target_archE906ELNS1_3gpuE6ELNS1_3repE0EEENS1_30default_config_static_selectorELNS0_4arch9wavefront6targetE1EEEvT1_, .Lfunc_end1802-_ZN7rocprim17ROCPRIM_400000_NS6detail17trampoline_kernelINS0_14default_configENS1_27scan_by_key_config_selectorIifEEZZNS1_16scan_by_key_implILNS1_25lookback_scan_determinismE0ELb1ES3_N6thrust23THRUST_200600_302600_NS6detail15normal_iteratorINS9_10device_ptrIiEEEENSB_INSC_IjEEEESE_fNS9_4plusIvEENS9_8equal_toIvEEfEE10hipError_tPvRmT2_T3_T4_T5_mT6_T7_P12ihipStream_tbENKUlT_T0_E_clISt17integral_constantIbLb1EES11_EEDaSW_SX_EUlSW_E_NS1_11comp_targetILNS1_3genE2ELNS1_11target_archE906ELNS1_3gpuE6ELNS1_3repE0EEENS1_30default_config_static_selectorELNS0_4arch9wavefront6targetE1EEEvT1_
                                        ; -- End function
	.section	.AMDGPU.csdata,"",@progbits
; Kernel info:
; codeLenInByte = 0
; NumSgprs: 4
; NumVgprs: 0
; NumAgprs: 0
; TotalNumVgprs: 0
; ScratchSize: 0
; MemoryBound: 0
; FloatMode: 240
; IeeeMode: 1
; LDSByteSize: 0 bytes/workgroup (compile time only)
; SGPRBlocks: 0
; VGPRBlocks: 0
; NumSGPRsForWavesPerEU: 4
; NumVGPRsForWavesPerEU: 1
; AccumOffset: 4
; Occupancy: 8
; WaveLimiterHint : 0
; COMPUTE_PGM_RSRC2:SCRATCH_EN: 0
; COMPUTE_PGM_RSRC2:USER_SGPR: 6
; COMPUTE_PGM_RSRC2:TRAP_HANDLER: 0
; COMPUTE_PGM_RSRC2:TGID_X_EN: 1
; COMPUTE_PGM_RSRC2:TGID_Y_EN: 0
; COMPUTE_PGM_RSRC2:TGID_Z_EN: 0
; COMPUTE_PGM_RSRC2:TIDIG_COMP_CNT: 0
; COMPUTE_PGM_RSRC3_GFX90A:ACCUM_OFFSET: 0
; COMPUTE_PGM_RSRC3_GFX90A:TG_SPLIT: 0
	.section	.text._ZN7rocprim17ROCPRIM_400000_NS6detail17trampoline_kernelINS0_14default_configENS1_27scan_by_key_config_selectorIifEEZZNS1_16scan_by_key_implILNS1_25lookback_scan_determinismE0ELb1ES3_N6thrust23THRUST_200600_302600_NS6detail15normal_iteratorINS9_10device_ptrIiEEEENSB_INSC_IjEEEESE_fNS9_4plusIvEENS9_8equal_toIvEEfEE10hipError_tPvRmT2_T3_T4_T5_mT6_T7_P12ihipStream_tbENKUlT_T0_E_clISt17integral_constantIbLb1EES11_EEDaSW_SX_EUlSW_E_NS1_11comp_targetILNS1_3genE10ELNS1_11target_archE1200ELNS1_3gpuE4ELNS1_3repE0EEENS1_30default_config_static_selectorELNS0_4arch9wavefront6targetE1EEEvT1_,"axG",@progbits,_ZN7rocprim17ROCPRIM_400000_NS6detail17trampoline_kernelINS0_14default_configENS1_27scan_by_key_config_selectorIifEEZZNS1_16scan_by_key_implILNS1_25lookback_scan_determinismE0ELb1ES3_N6thrust23THRUST_200600_302600_NS6detail15normal_iteratorINS9_10device_ptrIiEEEENSB_INSC_IjEEEESE_fNS9_4plusIvEENS9_8equal_toIvEEfEE10hipError_tPvRmT2_T3_T4_T5_mT6_T7_P12ihipStream_tbENKUlT_T0_E_clISt17integral_constantIbLb1EES11_EEDaSW_SX_EUlSW_E_NS1_11comp_targetILNS1_3genE10ELNS1_11target_archE1200ELNS1_3gpuE4ELNS1_3repE0EEENS1_30default_config_static_selectorELNS0_4arch9wavefront6targetE1EEEvT1_,comdat
	.protected	_ZN7rocprim17ROCPRIM_400000_NS6detail17trampoline_kernelINS0_14default_configENS1_27scan_by_key_config_selectorIifEEZZNS1_16scan_by_key_implILNS1_25lookback_scan_determinismE0ELb1ES3_N6thrust23THRUST_200600_302600_NS6detail15normal_iteratorINS9_10device_ptrIiEEEENSB_INSC_IjEEEESE_fNS9_4plusIvEENS9_8equal_toIvEEfEE10hipError_tPvRmT2_T3_T4_T5_mT6_T7_P12ihipStream_tbENKUlT_T0_E_clISt17integral_constantIbLb1EES11_EEDaSW_SX_EUlSW_E_NS1_11comp_targetILNS1_3genE10ELNS1_11target_archE1200ELNS1_3gpuE4ELNS1_3repE0EEENS1_30default_config_static_selectorELNS0_4arch9wavefront6targetE1EEEvT1_ ; -- Begin function _ZN7rocprim17ROCPRIM_400000_NS6detail17trampoline_kernelINS0_14default_configENS1_27scan_by_key_config_selectorIifEEZZNS1_16scan_by_key_implILNS1_25lookback_scan_determinismE0ELb1ES3_N6thrust23THRUST_200600_302600_NS6detail15normal_iteratorINS9_10device_ptrIiEEEENSB_INSC_IjEEEESE_fNS9_4plusIvEENS9_8equal_toIvEEfEE10hipError_tPvRmT2_T3_T4_T5_mT6_T7_P12ihipStream_tbENKUlT_T0_E_clISt17integral_constantIbLb1EES11_EEDaSW_SX_EUlSW_E_NS1_11comp_targetILNS1_3genE10ELNS1_11target_archE1200ELNS1_3gpuE4ELNS1_3repE0EEENS1_30default_config_static_selectorELNS0_4arch9wavefront6targetE1EEEvT1_
	.globl	_ZN7rocprim17ROCPRIM_400000_NS6detail17trampoline_kernelINS0_14default_configENS1_27scan_by_key_config_selectorIifEEZZNS1_16scan_by_key_implILNS1_25lookback_scan_determinismE0ELb1ES3_N6thrust23THRUST_200600_302600_NS6detail15normal_iteratorINS9_10device_ptrIiEEEENSB_INSC_IjEEEESE_fNS9_4plusIvEENS9_8equal_toIvEEfEE10hipError_tPvRmT2_T3_T4_T5_mT6_T7_P12ihipStream_tbENKUlT_T0_E_clISt17integral_constantIbLb1EES11_EEDaSW_SX_EUlSW_E_NS1_11comp_targetILNS1_3genE10ELNS1_11target_archE1200ELNS1_3gpuE4ELNS1_3repE0EEENS1_30default_config_static_selectorELNS0_4arch9wavefront6targetE1EEEvT1_
	.p2align	8
	.type	_ZN7rocprim17ROCPRIM_400000_NS6detail17trampoline_kernelINS0_14default_configENS1_27scan_by_key_config_selectorIifEEZZNS1_16scan_by_key_implILNS1_25lookback_scan_determinismE0ELb1ES3_N6thrust23THRUST_200600_302600_NS6detail15normal_iteratorINS9_10device_ptrIiEEEENSB_INSC_IjEEEESE_fNS9_4plusIvEENS9_8equal_toIvEEfEE10hipError_tPvRmT2_T3_T4_T5_mT6_T7_P12ihipStream_tbENKUlT_T0_E_clISt17integral_constantIbLb1EES11_EEDaSW_SX_EUlSW_E_NS1_11comp_targetILNS1_3genE10ELNS1_11target_archE1200ELNS1_3gpuE4ELNS1_3repE0EEENS1_30default_config_static_selectorELNS0_4arch9wavefront6targetE1EEEvT1_,@function
_ZN7rocprim17ROCPRIM_400000_NS6detail17trampoline_kernelINS0_14default_configENS1_27scan_by_key_config_selectorIifEEZZNS1_16scan_by_key_implILNS1_25lookback_scan_determinismE0ELb1ES3_N6thrust23THRUST_200600_302600_NS6detail15normal_iteratorINS9_10device_ptrIiEEEENSB_INSC_IjEEEESE_fNS9_4plusIvEENS9_8equal_toIvEEfEE10hipError_tPvRmT2_T3_T4_T5_mT6_T7_P12ihipStream_tbENKUlT_T0_E_clISt17integral_constantIbLb1EES11_EEDaSW_SX_EUlSW_E_NS1_11comp_targetILNS1_3genE10ELNS1_11target_archE1200ELNS1_3gpuE4ELNS1_3repE0EEENS1_30default_config_static_selectorELNS0_4arch9wavefront6targetE1EEEvT1_: ; @_ZN7rocprim17ROCPRIM_400000_NS6detail17trampoline_kernelINS0_14default_configENS1_27scan_by_key_config_selectorIifEEZZNS1_16scan_by_key_implILNS1_25lookback_scan_determinismE0ELb1ES3_N6thrust23THRUST_200600_302600_NS6detail15normal_iteratorINS9_10device_ptrIiEEEENSB_INSC_IjEEEESE_fNS9_4plusIvEENS9_8equal_toIvEEfEE10hipError_tPvRmT2_T3_T4_T5_mT6_T7_P12ihipStream_tbENKUlT_T0_E_clISt17integral_constantIbLb1EES11_EEDaSW_SX_EUlSW_E_NS1_11comp_targetILNS1_3genE10ELNS1_11target_archE1200ELNS1_3gpuE4ELNS1_3repE0EEENS1_30default_config_static_selectorELNS0_4arch9wavefront6targetE1EEEvT1_
; %bb.0:
	.section	.rodata,"a",@progbits
	.p2align	6, 0x0
	.amdhsa_kernel _ZN7rocprim17ROCPRIM_400000_NS6detail17trampoline_kernelINS0_14default_configENS1_27scan_by_key_config_selectorIifEEZZNS1_16scan_by_key_implILNS1_25lookback_scan_determinismE0ELb1ES3_N6thrust23THRUST_200600_302600_NS6detail15normal_iteratorINS9_10device_ptrIiEEEENSB_INSC_IjEEEESE_fNS9_4plusIvEENS9_8equal_toIvEEfEE10hipError_tPvRmT2_T3_T4_T5_mT6_T7_P12ihipStream_tbENKUlT_T0_E_clISt17integral_constantIbLb1EES11_EEDaSW_SX_EUlSW_E_NS1_11comp_targetILNS1_3genE10ELNS1_11target_archE1200ELNS1_3gpuE4ELNS1_3repE0EEENS1_30default_config_static_selectorELNS0_4arch9wavefront6targetE1EEEvT1_
		.amdhsa_group_segment_fixed_size 0
		.amdhsa_private_segment_fixed_size 0
		.amdhsa_kernarg_size 112
		.amdhsa_user_sgpr_count 6
		.amdhsa_user_sgpr_private_segment_buffer 1
		.amdhsa_user_sgpr_dispatch_ptr 0
		.amdhsa_user_sgpr_queue_ptr 0
		.amdhsa_user_sgpr_kernarg_segment_ptr 1
		.amdhsa_user_sgpr_dispatch_id 0
		.amdhsa_user_sgpr_flat_scratch_init 0
		.amdhsa_user_sgpr_kernarg_preload_length 0
		.amdhsa_user_sgpr_kernarg_preload_offset 0
		.amdhsa_user_sgpr_private_segment_size 0
		.amdhsa_uses_dynamic_stack 0
		.amdhsa_system_sgpr_private_segment_wavefront_offset 0
		.amdhsa_system_sgpr_workgroup_id_x 1
		.amdhsa_system_sgpr_workgroup_id_y 0
		.amdhsa_system_sgpr_workgroup_id_z 0
		.amdhsa_system_sgpr_workgroup_info 0
		.amdhsa_system_vgpr_workitem_id 0
		.amdhsa_next_free_vgpr 1
		.amdhsa_next_free_sgpr 0
		.amdhsa_accum_offset 4
		.amdhsa_reserve_vcc 0
		.amdhsa_reserve_flat_scratch 0
		.amdhsa_float_round_mode_32 0
		.amdhsa_float_round_mode_16_64 0
		.amdhsa_float_denorm_mode_32 3
		.amdhsa_float_denorm_mode_16_64 3
		.amdhsa_dx10_clamp 1
		.amdhsa_ieee_mode 1
		.amdhsa_fp16_overflow 0
		.amdhsa_tg_split 0
		.amdhsa_exception_fp_ieee_invalid_op 0
		.amdhsa_exception_fp_denorm_src 0
		.amdhsa_exception_fp_ieee_div_zero 0
		.amdhsa_exception_fp_ieee_overflow 0
		.amdhsa_exception_fp_ieee_underflow 0
		.amdhsa_exception_fp_ieee_inexact 0
		.amdhsa_exception_int_div_zero 0
	.end_amdhsa_kernel
	.section	.text._ZN7rocprim17ROCPRIM_400000_NS6detail17trampoline_kernelINS0_14default_configENS1_27scan_by_key_config_selectorIifEEZZNS1_16scan_by_key_implILNS1_25lookback_scan_determinismE0ELb1ES3_N6thrust23THRUST_200600_302600_NS6detail15normal_iteratorINS9_10device_ptrIiEEEENSB_INSC_IjEEEESE_fNS9_4plusIvEENS9_8equal_toIvEEfEE10hipError_tPvRmT2_T3_T4_T5_mT6_T7_P12ihipStream_tbENKUlT_T0_E_clISt17integral_constantIbLb1EES11_EEDaSW_SX_EUlSW_E_NS1_11comp_targetILNS1_3genE10ELNS1_11target_archE1200ELNS1_3gpuE4ELNS1_3repE0EEENS1_30default_config_static_selectorELNS0_4arch9wavefront6targetE1EEEvT1_,"axG",@progbits,_ZN7rocprim17ROCPRIM_400000_NS6detail17trampoline_kernelINS0_14default_configENS1_27scan_by_key_config_selectorIifEEZZNS1_16scan_by_key_implILNS1_25lookback_scan_determinismE0ELb1ES3_N6thrust23THRUST_200600_302600_NS6detail15normal_iteratorINS9_10device_ptrIiEEEENSB_INSC_IjEEEESE_fNS9_4plusIvEENS9_8equal_toIvEEfEE10hipError_tPvRmT2_T3_T4_T5_mT6_T7_P12ihipStream_tbENKUlT_T0_E_clISt17integral_constantIbLb1EES11_EEDaSW_SX_EUlSW_E_NS1_11comp_targetILNS1_3genE10ELNS1_11target_archE1200ELNS1_3gpuE4ELNS1_3repE0EEENS1_30default_config_static_selectorELNS0_4arch9wavefront6targetE1EEEvT1_,comdat
.Lfunc_end1803:
	.size	_ZN7rocprim17ROCPRIM_400000_NS6detail17trampoline_kernelINS0_14default_configENS1_27scan_by_key_config_selectorIifEEZZNS1_16scan_by_key_implILNS1_25lookback_scan_determinismE0ELb1ES3_N6thrust23THRUST_200600_302600_NS6detail15normal_iteratorINS9_10device_ptrIiEEEENSB_INSC_IjEEEESE_fNS9_4plusIvEENS9_8equal_toIvEEfEE10hipError_tPvRmT2_T3_T4_T5_mT6_T7_P12ihipStream_tbENKUlT_T0_E_clISt17integral_constantIbLb1EES11_EEDaSW_SX_EUlSW_E_NS1_11comp_targetILNS1_3genE10ELNS1_11target_archE1200ELNS1_3gpuE4ELNS1_3repE0EEENS1_30default_config_static_selectorELNS0_4arch9wavefront6targetE1EEEvT1_, .Lfunc_end1803-_ZN7rocprim17ROCPRIM_400000_NS6detail17trampoline_kernelINS0_14default_configENS1_27scan_by_key_config_selectorIifEEZZNS1_16scan_by_key_implILNS1_25lookback_scan_determinismE0ELb1ES3_N6thrust23THRUST_200600_302600_NS6detail15normal_iteratorINS9_10device_ptrIiEEEENSB_INSC_IjEEEESE_fNS9_4plusIvEENS9_8equal_toIvEEfEE10hipError_tPvRmT2_T3_T4_T5_mT6_T7_P12ihipStream_tbENKUlT_T0_E_clISt17integral_constantIbLb1EES11_EEDaSW_SX_EUlSW_E_NS1_11comp_targetILNS1_3genE10ELNS1_11target_archE1200ELNS1_3gpuE4ELNS1_3repE0EEENS1_30default_config_static_selectorELNS0_4arch9wavefront6targetE1EEEvT1_
                                        ; -- End function
	.section	.AMDGPU.csdata,"",@progbits
; Kernel info:
; codeLenInByte = 0
; NumSgprs: 4
; NumVgprs: 0
; NumAgprs: 0
; TotalNumVgprs: 0
; ScratchSize: 0
; MemoryBound: 0
; FloatMode: 240
; IeeeMode: 1
; LDSByteSize: 0 bytes/workgroup (compile time only)
; SGPRBlocks: 0
; VGPRBlocks: 0
; NumSGPRsForWavesPerEU: 4
; NumVGPRsForWavesPerEU: 1
; AccumOffset: 4
; Occupancy: 8
; WaveLimiterHint : 0
; COMPUTE_PGM_RSRC2:SCRATCH_EN: 0
; COMPUTE_PGM_RSRC2:USER_SGPR: 6
; COMPUTE_PGM_RSRC2:TRAP_HANDLER: 0
; COMPUTE_PGM_RSRC2:TGID_X_EN: 1
; COMPUTE_PGM_RSRC2:TGID_Y_EN: 0
; COMPUTE_PGM_RSRC2:TGID_Z_EN: 0
; COMPUTE_PGM_RSRC2:TIDIG_COMP_CNT: 0
; COMPUTE_PGM_RSRC3_GFX90A:ACCUM_OFFSET: 0
; COMPUTE_PGM_RSRC3_GFX90A:TG_SPLIT: 0
	.section	.text._ZN7rocprim17ROCPRIM_400000_NS6detail17trampoline_kernelINS0_14default_configENS1_27scan_by_key_config_selectorIifEEZZNS1_16scan_by_key_implILNS1_25lookback_scan_determinismE0ELb1ES3_N6thrust23THRUST_200600_302600_NS6detail15normal_iteratorINS9_10device_ptrIiEEEENSB_INSC_IjEEEESE_fNS9_4plusIvEENS9_8equal_toIvEEfEE10hipError_tPvRmT2_T3_T4_T5_mT6_T7_P12ihipStream_tbENKUlT_T0_E_clISt17integral_constantIbLb1EES11_EEDaSW_SX_EUlSW_E_NS1_11comp_targetILNS1_3genE9ELNS1_11target_archE1100ELNS1_3gpuE3ELNS1_3repE0EEENS1_30default_config_static_selectorELNS0_4arch9wavefront6targetE1EEEvT1_,"axG",@progbits,_ZN7rocprim17ROCPRIM_400000_NS6detail17trampoline_kernelINS0_14default_configENS1_27scan_by_key_config_selectorIifEEZZNS1_16scan_by_key_implILNS1_25lookback_scan_determinismE0ELb1ES3_N6thrust23THRUST_200600_302600_NS6detail15normal_iteratorINS9_10device_ptrIiEEEENSB_INSC_IjEEEESE_fNS9_4plusIvEENS9_8equal_toIvEEfEE10hipError_tPvRmT2_T3_T4_T5_mT6_T7_P12ihipStream_tbENKUlT_T0_E_clISt17integral_constantIbLb1EES11_EEDaSW_SX_EUlSW_E_NS1_11comp_targetILNS1_3genE9ELNS1_11target_archE1100ELNS1_3gpuE3ELNS1_3repE0EEENS1_30default_config_static_selectorELNS0_4arch9wavefront6targetE1EEEvT1_,comdat
	.protected	_ZN7rocprim17ROCPRIM_400000_NS6detail17trampoline_kernelINS0_14default_configENS1_27scan_by_key_config_selectorIifEEZZNS1_16scan_by_key_implILNS1_25lookback_scan_determinismE0ELb1ES3_N6thrust23THRUST_200600_302600_NS6detail15normal_iteratorINS9_10device_ptrIiEEEENSB_INSC_IjEEEESE_fNS9_4plusIvEENS9_8equal_toIvEEfEE10hipError_tPvRmT2_T3_T4_T5_mT6_T7_P12ihipStream_tbENKUlT_T0_E_clISt17integral_constantIbLb1EES11_EEDaSW_SX_EUlSW_E_NS1_11comp_targetILNS1_3genE9ELNS1_11target_archE1100ELNS1_3gpuE3ELNS1_3repE0EEENS1_30default_config_static_selectorELNS0_4arch9wavefront6targetE1EEEvT1_ ; -- Begin function _ZN7rocprim17ROCPRIM_400000_NS6detail17trampoline_kernelINS0_14default_configENS1_27scan_by_key_config_selectorIifEEZZNS1_16scan_by_key_implILNS1_25lookback_scan_determinismE0ELb1ES3_N6thrust23THRUST_200600_302600_NS6detail15normal_iteratorINS9_10device_ptrIiEEEENSB_INSC_IjEEEESE_fNS9_4plusIvEENS9_8equal_toIvEEfEE10hipError_tPvRmT2_T3_T4_T5_mT6_T7_P12ihipStream_tbENKUlT_T0_E_clISt17integral_constantIbLb1EES11_EEDaSW_SX_EUlSW_E_NS1_11comp_targetILNS1_3genE9ELNS1_11target_archE1100ELNS1_3gpuE3ELNS1_3repE0EEENS1_30default_config_static_selectorELNS0_4arch9wavefront6targetE1EEEvT1_
	.globl	_ZN7rocprim17ROCPRIM_400000_NS6detail17trampoline_kernelINS0_14default_configENS1_27scan_by_key_config_selectorIifEEZZNS1_16scan_by_key_implILNS1_25lookback_scan_determinismE0ELb1ES3_N6thrust23THRUST_200600_302600_NS6detail15normal_iteratorINS9_10device_ptrIiEEEENSB_INSC_IjEEEESE_fNS9_4plusIvEENS9_8equal_toIvEEfEE10hipError_tPvRmT2_T3_T4_T5_mT6_T7_P12ihipStream_tbENKUlT_T0_E_clISt17integral_constantIbLb1EES11_EEDaSW_SX_EUlSW_E_NS1_11comp_targetILNS1_3genE9ELNS1_11target_archE1100ELNS1_3gpuE3ELNS1_3repE0EEENS1_30default_config_static_selectorELNS0_4arch9wavefront6targetE1EEEvT1_
	.p2align	8
	.type	_ZN7rocprim17ROCPRIM_400000_NS6detail17trampoline_kernelINS0_14default_configENS1_27scan_by_key_config_selectorIifEEZZNS1_16scan_by_key_implILNS1_25lookback_scan_determinismE0ELb1ES3_N6thrust23THRUST_200600_302600_NS6detail15normal_iteratorINS9_10device_ptrIiEEEENSB_INSC_IjEEEESE_fNS9_4plusIvEENS9_8equal_toIvEEfEE10hipError_tPvRmT2_T3_T4_T5_mT6_T7_P12ihipStream_tbENKUlT_T0_E_clISt17integral_constantIbLb1EES11_EEDaSW_SX_EUlSW_E_NS1_11comp_targetILNS1_3genE9ELNS1_11target_archE1100ELNS1_3gpuE3ELNS1_3repE0EEENS1_30default_config_static_selectorELNS0_4arch9wavefront6targetE1EEEvT1_,@function
_ZN7rocprim17ROCPRIM_400000_NS6detail17trampoline_kernelINS0_14default_configENS1_27scan_by_key_config_selectorIifEEZZNS1_16scan_by_key_implILNS1_25lookback_scan_determinismE0ELb1ES3_N6thrust23THRUST_200600_302600_NS6detail15normal_iteratorINS9_10device_ptrIiEEEENSB_INSC_IjEEEESE_fNS9_4plusIvEENS9_8equal_toIvEEfEE10hipError_tPvRmT2_T3_T4_T5_mT6_T7_P12ihipStream_tbENKUlT_T0_E_clISt17integral_constantIbLb1EES11_EEDaSW_SX_EUlSW_E_NS1_11comp_targetILNS1_3genE9ELNS1_11target_archE1100ELNS1_3gpuE3ELNS1_3repE0EEENS1_30default_config_static_selectorELNS0_4arch9wavefront6targetE1EEEvT1_: ; @_ZN7rocprim17ROCPRIM_400000_NS6detail17trampoline_kernelINS0_14default_configENS1_27scan_by_key_config_selectorIifEEZZNS1_16scan_by_key_implILNS1_25lookback_scan_determinismE0ELb1ES3_N6thrust23THRUST_200600_302600_NS6detail15normal_iteratorINS9_10device_ptrIiEEEENSB_INSC_IjEEEESE_fNS9_4plusIvEENS9_8equal_toIvEEfEE10hipError_tPvRmT2_T3_T4_T5_mT6_T7_P12ihipStream_tbENKUlT_T0_E_clISt17integral_constantIbLb1EES11_EEDaSW_SX_EUlSW_E_NS1_11comp_targetILNS1_3genE9ELNS1_11target_archE1100ELNS1_3gpuE3ELNS1_3repE0EEENS1_30default_config_static_selectorELNS0_4arch9wavefront6targetE1EEEvT1_
; %bb.0:
	.section	.rodata,"a",@progbits
	.p2align	6, 0x0
	.amdhsa_kernel _ZN7rocprim17ROCPRIM_400000_NS6detail17trampoline_kernelINS0_14default_configENS1_27scan_by_key_config_selectorIifEEZZNS1_16scan_by_key_implILNS1_25lookback_scan_determinismE0ELb1ES3_N6thrust23THRUST_200600_302600_NS6detail15normal_iteratorINS9_10device_ptrIiEEEENSB_INSC_IjEEEESE_fNS9_4plusIvEENS9_8equal_toIvEEfEE10hipError_tPvRmT2_T3_T4_T5_mT6_T7_P12ihipStream_tbENKUlT_T0_E_clISt17integral_constantIbLb1EES11_EEDaSW_SX_EUlSW_E_NS1_11comp_targetILNS1_3genE9ELNS1_11target_archE1100ELNS1_3gpuE3ELNS1_3repE0EEENS1_30default_config_static_selectorELNS0_4arch9wavefront6targetE1EEEvT1_
		.amdhsa_group_segment_fixed_size 0
		.amdhsa_private_segment_fixed_size 0
		.amdhsa_kernarg_size 112
		.amdhsa_user_sgpr_count 6
		.amdhsa_user_sgpr_private_segment_buffer 1
		.amdhsa_user_sgpr_dispatch_ptr 0
		.amdhsa_user_sgpr_queue_ptr 0
		.amdhsa_user_sgpr_kernarg_segment_ptr 1
		.amdhsa_user_sgpr_dispatch_id 0
		.amdhsa_user_sgpr_flat_scratch_init 0
		.amdhsa_user_sgpr_kernarg_preload_length 0
		.amdhsa_user_sgpr_kernarg_preload_offset 0
		.amdhsa_user_sgpr_private_segment_size 0
		.amdhsa_uses_dynamic_stack 0
		.amdhsa_system_sgpr_private_segment_wavefront_offset 0
		.amdhsa_system_sgpr_workgroup_id_x 1
		.amdhsa_system_sgpr_workgroup_id_y 0
		.amdhsa_system_sgpr_workgroup_id_z 0
		.amdhsa_system_sgpr_workgroup_info 0
		.amdhsa_system_vgpr_workitem_id 0
		.amdhsa_next_free_vgpr 1
		.amdhsa_next_free_sgpr 0
		.amdhsa_accum_offset 4
		.amdhsa_reserve_vcc 0
		.amdhsa_reserve_flat_scratch 0
		.amdhsa_float_round_mode_32 0
		.amdhsa_float_round_mode_16_64 0
		.amdhsa_float_denorm_mode_32 3
		.amdhsa_float_denorm_mode_16_64 3
		.amdhsa_dx10_clamp 1
		.amdhsa_ieee_mode 1
		.amdhsa_fp16_overflow 0
		.amdhsa_tg_split 0
		.amdhsa_exception_fp_ieee_invalid_op 0
		.amdhsa_exception_fp_denorm_src 0
		.amdhsa_exception_fp_ieee_div_zero 0
		.amdhsa_exception_fp_ieee_overflow 0
		.amdhsa_exception_fp_ieee_underflow 0
		.amdhsa_exception_fp_ieee_inexact 0
		.amdhsa_exception_int_div_zero 0
	.end_amdhsa_kernel
	.section	.text._ZN7rocprim17ROCPRIM_400000_NS6detail17trampoline_kernelINS0_14default_configENS1_27scan_by_key_config_selectorIifEEZZNS1_16scan_by_key_implILNS1_25lookback_scan_determinismE0ELb1ES3_N6thrust23THRUST_200600_302600_NS6detail15normal_iteratorINS9_10device_ptrIiEEEENSB_INSC_IjEEEESE_fNS9_4plusIvEENS9_8equal_toIvEEfEE10hipError_tPvRmT2_T3_T4_T5_mT6_T7_P12ihipStream_tbENKUlT_T0_E_clISt17integral_constantIbLb1EES11_EEDaSW_SX_EUlSW_E_NS1_11comp_targetILNS1_3genE9ELNS1_11target_archE1100ELNS1_3gpuE3ELNS1_3repE0EEENS1_30default_config_static_selectorELNS0_4arch9wavefront6targetE1EEEvT1_,"axG",@progbits,_ZN7rocprim17ROCPRIM_400000_NS6detail17trampoline_kernelINS0_14default_configENS1_27scan_by_key_config_selectorIifEEZZNS1_16scan_by_key_implILNS1_25lookback_scan_determinismE0ELb1ES3_N6thrust23THRUST_200600_302600_NS6detail15normal_iteratorINS9_10device_ptrIiEEEENSB_INSC_IjEEEESE_fNS9_4plusIvEENS9_8equal_toIvEEfEE10hipError_tPvRmT2_T3_T4_T5_mT6_T7_P12ihipStream_tbENKUlT_T0_E_clISt17integral_constantIbLb1EES11_EEDaSW_SX_EUlSW_E_NS1_11comp_targetILNS1_3genE9ELNS1_11target_archE1100ELNS1_3gpuE3ELNS1_3repE0EEENS1_30default_config_static_selectorELNS0_4arch9wavefront6targetE1EEEvT1_,comdat
.Lfunc_end1804:
	.size	_ZN7rocprim17ROCPRIM_400000_NS6detail17trampoline_kernelINS0_14default_configENS1_27scan_by_key_config_selectorIifEEZZNS1_16scan_by_key_implILNS1_25lookback_scan_determinismE0ELb1ES3_N6thrust23THRUST_200600_302600_NS6detail15normal_iteratorINS9_10device_ptrIiEEEENSB_INSC_IjEEEESE_fNS9_4plusIvEENS9_8equal_toIvEEfEE10hipError_tPvRmT2_T3_T4_T5_mT6_T7_P12ihipStream_tbENKUlT_T0_E_clISt17integral_constantIbLb1EES11_EEDaSW_SX_EUlSW_E_NS1_11comp_targetILNS1_3genE9ELNS1_11target_archE1100ELNS1_3gpuE3ELNS1_3repE0EEENS1_30default_config_static_selectorELNS0_4arch9wavefront6targetE1EEEvT1_, .Lfunc_end1804-_ZN7rocprim17ROCPRIM_400000_NS6detail17trampoline_kernelINS0_14default_configENS1_27scan_by_key_config_selectorIifEEZZNS1_16scan_by_key_implILNS1_25lookback_scan_determinismE0ELb1ES3_N6thrust23THRUST_200600_302600_NS6detail15normal_iteratorINS9_10device_ptrIiEEEENSB_INSC_IjEEEESE_fNS9_4plusIvEENS9_8equal_toIvEEfEE10hipError_tPvRmT2_T3_T4_T5_mT6_T7_P12ihipStream_tbENKUlT_T0_E_clISt17integral_constantIbLb1EES11_EEDaSW_SX_EUlSW_E_NS1_11comp_targetILNS1_3genE9ELNS1_11target_archE1100ELNS1_3gpuE3ELNS1_3repE0EEENS1_30default_config_static_selectorELNS0_4arch9wavefront6targetE1EEEvT1_
                                        ; -- End function
	.section	.AMDGPU.csdata,"",@progbits
; Kernel info:
; codeLenInByte = 0
; NumSgprs: 4
; NumVgprs: 0
; NumAgprs: 0
; TotalNumVgprs: 0
; ScratchSize: 0
; MemoryBound: 0
; FloatMode: 240
; IeeeMode: 1
; LDSByteSize: 0 bytes/workgroup (compile time only)
; SGPRBlocks: 0
; VGPRBlocks: 0
; NumSGPRsForWavesPerEU: 4
; NumVGPRsForWavesPerEU: 1
; AccumOffset: 4
; Occupancy: 8
; WaveLimiterHint : 0
; COMPUTE_PGM_RSRC2:SCRATCH_EN: 0
; COMPUTE_PGM_RSRC2:USER_SGPR: 6
; COMPUTE_PGM_RSRC2:TRAP_HANDLER: 0
; COMPUTE_PGM_RSRC2:TGID_X_EN: 1
; COMPUTE_PGM_RSRC2:TGID_Y_EN: 0
; COMPUTE_PGM_RSRC2:TGID_Z_EN: 0
; COMPUTE_PGM_RSRC2:TIDIG_COMP_CNT: 0
; COMPUTE_PGM_RSRC3_GFX90A:ACCUM_OFFSET: 0
; COMPUTE_PGM_RSRC3_GFX90A:TG_SPLIT: 0
	.section	.text._ZN7rocprim17ROCPRIM_400000_NS6detail17trampoline_kernelINS0_14default_configENS1_27scan_by_key_config_selectorIifEEZZNS1_16scan_by_key_implILNS1_25lookback_scan_determinismE0ELb1ES3_N6thrust23THRUST_200600_302600_NS6detail15normal_iteratorINS9_10device_ptrIiEEEENSB_INSC_IjEEEESE_fNS9_4plusIvEENS9_8equal_toIvEEfEE10hipError_tPvRmT2_T3_T4_T5_mT6_T7_P12ihipStream_tbENKUlT_T0_E_clISt17integral_constantIbLb1EES11_EEDaSW_SX_EUlSW_E_NS1_11comp_targetILNS1_3genE8ELNS1_11target_archE1030ELNS1_3gpuE2ELNS1_3repE0EEENS1_30default_config_static_selectorELNS0_4arch9wavefront6targetE1EEEvT1_,"axG",@progbits,_ZN7rocprim17ROCPRIM_400000_NS6detail17trampoline_kernelINS0_14default_configENS1_27scan_by_key_config_selectorIifEEZZNS1_16scan_by_key_implILNS1_25lookback_scan_determinismE0ELb1ES3_N6thrust23THRUST_200600_302600_NS6detail15normal_iteratorINS9_10device_ptrIiEEEENSB_INSC_IjEEEESE_fNS9_4plusIvEENS9_8equal_toIvEEfEE10hipError_tPvRmT2_T3_T4_T5_mT6_T7_P12ihipStream_tbENKUlT_T0_E_clISt17integral_constantIbLb1EES11_EEDaSW_SX_EUlSW_E_NS1_11comp_targetILNS1_3genE8ELNS1_11target_archE1030ELNS1_3gpuE2ELNS1_3repE0EEENS1_30default_config_static_selectorELNS0_4arch9wavefront6targetE1EEEvT1_,comdat
	.protected	_ZN7rocprim17ROCPRIM_400000_NS6detail17trampoline_kernelINS0_14default_configENS1_27scan_by_key_config_selectorIifEEZZNS1_16scan_by_key_implILNS1_25lookback_scan_determinismE0ELb1ES3_N6thrust23THRUST_200600_302600_NS6detail15normal_iteratorINS9_10device_ptrIiEEEENSB_INSC_IjEEEESE_fNS9_4plusIvEENS9_8equal_toIvEEfEE10hipError_tPvRmT2_T3_T4_T5_mT6_T7_P12ihipStream_tbENKUlT_T0_E_clISt17integral_constantIbLb1EES11_EEDaSW_SX_EUlSW_E_NS1_11comp_targetILNS1_3genE8ELNS1_11target_archE1030ELNS1_3gpuE2ELNS1_3repE0EEENS1_30default_config_static_selectorELNS0_4arch9wavefront6targetE1EEEvT1_ ; -- Begin function _ZN7rocprim17ROCPRIM_400000_NS6detail17trampoline_kernelINS0_14default_configENS1_27scan_by_key_config_selectorIifEEZZNS1_16scan_by_key_implILNS1_25lookback_scan_determinismE0ELb1ES3_N6thrust23THRUST_200600_302600_NS6detail15normal_iteratorINS9_10device_ptrIiEEEENSB_INSC_IjEEEESE_fNS9_4plusIvEENS9_8equal_toIvEEfEE10hipError_tPvRmT2_T3_T4_T5_mT6_T7_P12ihipStream_tbENKUlT_T0_E_clISt17integral_constantIbLb1EES11_EEDaSW_SX_EUlSW_E_NS1_11comp_targetILNS1_3genE8ELNS1_11target_archE1030ELNS1_3gpuE2ELNS1_3repE0EEENS1_30default_config_static_selectorELNS0_4arch9wavefront6targetE1EEEvT1_
	.globl	_ZN7rocprim17ROCPRIM_400000_NS6detail17trampoline_kernelINS0_14default_configENS1_27scan_by_key_config_selectorIifEEZZNS1_16scan_by_key_implILNS1_25lookback_scan_determinismE0ELb1ES3_N6thrust23THRUST_200600_302600_NS6detail15normal_iteratorINS9_10device_ptrIiEEEENSB_INSC_IjEEEESE_fNS9_4plusIvEENS9_8equal_toIvEEfEE10hipError_tPvRmT2_T3_T4_T5_mT6_T7_P12ihipStream_tbENKUlT_T0_E_clISt17integral_constantIbLb1EES11_EEDaSW_SX_EUlSW_E_NS1_11comp_targetILNS1_3genE8ELNS1_11target_archE1030ELNS1_3gpuE2ELNS1_3repE0EEENS1_30default_config_static_selectorELNS0_4arch9wavefront6targetE1EEEvT1_
	.p2align	8
	.type	_ZN7rocprim17ROCPRIM_400000_NS6detail17trampoline_kernelINS0_14default_configENS1_27scan_by_key_config_selectorIifEEZZNS1_16scan_by_key_implILNS1_25lookback_scan_determinismE0ELb1ES3_N6thrust23THRUST_200600_302600_NS6detail15normal_iteratorINS9_10device_ptrIiEEEENSB_INSC_IjEEEESE_fNS9_4plusIvEENS9_8equal_toIvEEfEE10hipError_tPvRmT2_T3_T4_T5_mT6_T7_P12ihipStream_tbENKUlT_T0_E_clISt17integral_constantIbLb1EES11_EEDaSW_SX_EUlSW_E_NS1_11comp_targetILNS1_3genE8ELNS1_11target_archE1030ELNS1_3gpuE2ELNS1_3repE0EEENS1_30default_config_static_selectorELNS0_4arch9wavefront6targetE1EEEvT1_,@function
_ZN7rocprim17ROCPRIM_400000_NS6detail17trampoline_kernelINS0_14default_configENS1_27scan_by_key_config_selectorIifEEZZNS1_16scan_by_key_implILNS1_25lookback_scan_determinismE0ELb1ES3_N6thrust23THRUST_200600_302600_NS6detail15normal_iteratorINS9_10device_ptrIiEEEENSB_INSC_IjEEEESE_fNS9_4plusIvEENS9_8equal_toIvEEfEE10hipError_tPvRmT2_T3_T4_T5_mT6_T7_P12ihipStream_tbENKUlT_T0_E_clISt17integral_constantIbLb1EES11_EEDaSW_SX_EUlSW_E_NS1_11comp_targetILNS1_3genE8ELNS1_11target_archE1030ELNS1_3gpuE2ELNS1_3repE0EEENS1_30default_config_static_selectorELNS0_4arch9wavefront6targetE1EEEvT1_: ; @_ZN7rocprim17ROCPRIM_400000_NS6detail17trampoline_kernelINS0_14default_configENS1_27scan_by_key_config_selectorIifEEZZNS1_16scan_by_key_implILNS1_25lookback_scan_determinismE0ELb1ES3_N6thrust23THRUST_200600_302600_NS6detail15normal_iteratorINS9_10device_ptrIiEEEENSB_INSC_IjEEEESE_fNS9_4plusIvEENS9_8equal_toIvEEfEE10hipError_tPvRmT2_T3_T4_T5_mT6_T7_P12ihipStream_tbENKUlT_T0_E_clISt17integral_constantIbLb1EES11_EEDaSW_SX_EUlSW_E_NS1_11comp_targetILNS1_3genE8ELNS1_11target_archE1030ELNS1_3gpuE2ELNS1_3repE0EEENS1_30default_config_static_selectorELNS0_4arch9wavefront6targetE1EEEvT1_
; %bb.0:
	.section	.rodata,"a",@progbits
	.p2align	6, 0x0
	.amdhsa_kernel _ZN7rocprim17ROCPRIM_400000_NS6detail17trampoline_kernelINS0_14default_configENS1_27scan_by_key_config_selectorIifEEZZNS1_16scan_by_key_implILNS1_25lookback_scan_determinismE0ELb1ES3_N6thrust23THRUST_200600_302600_NS6detail15normal_iteratorINS9_10device_ptrIiEEEENSB_INSC_IjEEEESE_fNS9_4plusIvEENS9_8equal_toIvEEfEE10hipError_tPvRmT2_T3_T4_T5_mT6_T7_P12ihipStream_tbENKUlT_T0_E_clISt17integral_constantIbLb1EES11_EEDaSW_SX_EUlSW_E_NS1_11comp_targetILNS1_3genE8ELNS1_11target_archE1030ELNS1_3gpuE2ELNS1_3repE0EEENS1_30default_config_static_selectorELNS0_4arch9wavefront6targetE1EEEvT1_
		.amdhsa_group_segment_fixed_size 0
		.amdhsa_private_segment_fixed_size 0
		.amdhsa_kernarg_size 112
		.amdhsa_user_sgpr_count 6
		.amdhsa_user_sgpr_private_segment_buffer 1
		.amdhsa_user_sgpr_dispatch_ptr 0
		.amdhsa_user_sgpr_queue_ptr 0
		.amdhsa_user_sgpr_kernarg_segment_ptr 1
		.amdhsa_user_sgpr_dispatch_id 0
		.amdhsa_user_sgpr_flat_scratch_init 0
		.amdhsa_user_sgpr_kernarg_preload_length 0
		.amdhsa_user_sgpr_kernarg_preload_offset 0
		.amdhsa_user_sgpr_private_segment_size 0
		.amdhsa_uses_dynamic_stack 0
		.amdhsa_system_sgpr_private_segment_wavefront_offset 0
		.amdhsa_system_sgpr_workgroup_id_x 1
		.amdhsa_system_sgpr_workgroup_id_y 0
		.amdhsa_system_sgpr_workgroup_id_z 0
		.amdhsa_system_sgpr_workgroup_info 0
		.amdhsa_system_vgpr_workitem_id 0
		.amdhsa_next_free_vgpr 1
		.amdhsa_next_free_sgpr 0
		.amdhsa_accum_offset 4
		.amdhsa_reserve_vcc 0
		.amdhsa_reserve_flat_scratch 0
		.amdhsa_float_round_mode_32 0
		.amdhsa_float_round_mode_16_64 0
		.amdhsa_float_denorm_mode_32 3
		.amdhsa_float_denorm_mode_16_64 3
		.amdhsa_dx10_clamp 1
		.amdhsa_ieee_mode 1
		.amdhsa_fp16_overflow 0
		.amdhsa_tg_split 0
		.amdhsa_exception_fp_ieee_invalid_op 0
		.amdhsa_exception_fp_denorm_src 0
		.amdhsa_exception_fp_ieee_div_zero 0
		.amdhsa_exception_fp_ieee_overflow 0
		.amdhsa_exception_fp_ieee_underflow 0
		.amdhsa_exception_fp_ieee_inexact 0
		.amdhsa_exception_int_div_zero 0
	.end_amdhsa_kernel
	.section	.text._ZN7rocprim17ROCPRIM_400000_NS6detail17trampoline_kernelINS0_14default_configENS1_27scan_by_key_config_selectorIifEEZZNS1_16scan_by_key_implILNS1_25lookback_scan_determinismE0ELb1ES3_N6thrust23THRUST_200600_302600_NS6detail15normal_iteratorINS9_10device_ptrIiEEEENSB_INSC_IjEEEESE_fNS9_4plusIvEENS9_8equal_toIvEEfEE10hipError_tPvRmT2_T3_T4_T5_mT6_T7_P12ihipStream_tbENKUlT_T0_E_clISt17integral_constantIbLb1EES11_EEDaSW_SX_EUlSW_E_NS1_11comp_targetILNS1_3genE8ELNS1_11target_archE1030ELNS1_3gpuE2ELNS1_3repE0EEENS1_30default_config_static_selectorELNS0_4arch9wavefront6targetE1EEEvT1_,"axG",@progbits,_ZN7rocprim17ROCPRIM_400000_NS6detail17trampoline_kernelINS0_14default_configENS1_27scan_by_key_config_selectorIifEEZZNS1_16scan_by_key_implILNS1_25lookback_scan_determinismE0ELb1ES3_N6thrust23THRUST_200600_302600_NS6detail15normal_iteratorINS9_10device_ptrIiEEEENSB_INSC_IjEEEESE_fNS9_4plusIvEENS9_8equal_toIvEEfEE10hipError_tPvRmT2_T3_T4_T5_mT6_T7_P12ihipStream_tbENKUlT_T0_E_clISt17integral_constantIbLb1EES11_EEDaSW_SX_EUlSW_E_NS1_11comp_targetILNS1_3genE8ELNS1_11target_archE1030ELNS1_3gpuE2ELNS1_3repE0EEENS1_30default_config_static_selectorELNS0_4arch9wavefront6targetE1EEEvT1_,comdat
.Lfunc_end1805:
	.size	_ZN7rocprim17ROCPRIM_400000_NS6detail17trampoline_kernelINS0_14default_configENS1_27scan_by_key_config_selectorIifEEZZNS1_16scan_by_key_implILNS1_25lookback_scan_determinismE0ELb1ES3_N6thrust23THRUST_200600_302600_NS6detail15normal_iteratorINS9_10device_ptrIiEEEENSB_INSC_IjEEEESE_fNS9_4plusIvEENS9_8equal_toIvEEfEE10hipError_tPvRmT2_T3_T4_T5_mT6_T7_P12ihipStream_tbENKUlT_T0_E_clISt17integral_constantIbLb1EES11_EEDaSW_SX_EUlSW_E_NS1_11comp_targetILNS1_3genE8ELNS1_11target_archE1030ELNS1_3gpuE2ELNS1_3repE0EEENS1_30default_config_static_selectorELNS0_4arch9wavefront6targetE1EEEvT1_, .Lfunc_end1805-_ZN7rocprim17ROCPRIM_400000_NS6detail17trampoline_kernelINS0_14default_configENS1_27scan_by_key_config_selectorIifEEZZNS1_16scan_by_key_implILNS1_25lookback_scan_determinismE0ELb1ES3_N6thrust23THRUST_200600_302600_NS6detail15normal_iteratorINS9_10device_ptrIiEEEENSB_INSC_IjEEEESE_fNS9_4plusIvEENS9_8equal_toIvEEfEE10hipError_tPvRmT2_T3_T4_T5_mT6_T7_P12ihipStream_tbENKUlT_T0_E_clISt17integral_constantIbLb1EES11_EEDaSW_SX_EUlSW_E_NS1_11comp_targetILNS1_3genE8ELNS1_11target_archE1030ELNS1_3gpuE2ELNS1_3repE0EEENS1_30default_config_static_selectorELNS0_4arch9wavefront6targetE1EEEvT1_
                                        ; -- End function
	.section	.AMDGPU.csdata,"",@progbits
; Kernel info:
; codeLenInByte = 0
; NumSgprs: 4
; NumVgprs: 0
; NumAgprs: 0
; TotalNumVgprs: 0
; ScratchSize: 0
; MemoryBound: 0
; FloatMode: 240
; IeeeMode: 1
; LDSByteSize: 0 bytes/workgroup (compile time only)
; SGPRBlocks: 0
; VGPRBlocks: 0
; NumSGPRsForWavesPerEU: 4
; NumVGPRsForWavesPerEU: 1
; AccumOffset: 4
; Occupancy: 8
; WaveLimiterHint : 0
; COMPUTE_PGM_RSRC2:SCRATCH_EN: 0
; COMPUTE_PGM_RSRC2:USER_SGPR: 6
; COMPUTE_PGM_RSRC2:TRAP_HANDLER: 0
; COMPUTE_PGM_RSRC2:TGID_X_EN: 1
; COMPUTE_PGM_RSRC2:TGID_Y_EN: 0
; COMPUTE_PGM_RSRC2:TGID_Z_EN: 0
; COMPUTE_PGM_RSRC2:TIDIG_COMP_CNT: 0
; COMPUTE_PGM_RSRC3_GFX90A:ACCUM_OFFSET: 0
; COMPUTE_PGM_RSRC3_GFX90A:TG_SPLIT: 0
	.section	.text._ZN7rocprim17ROCPRIM_400000_NS6detail17trampoline_kernelINS0_14default_configENS1_27scan_by_key_config_selectorIifEEZZNS1_16scan_by_key_implILNS1_25lookback_scan_determinismE0ELb1ES3_N6thrust23THRUST_200600_302600_NS6detail15normal_iteratorINS9_10device_ptrIiEEEENSB_INSC_IjEEEESE_fNS9_4plusIvEENS9_8equal_toIvEEfEE10hipError_tPvRmT2_T3_T4_T5_mT6_T7_P12ihipStream_tbENKUlT_T0_E_clISt17integral_constantIbLb1EES10_IbLb0EEEEDaSW_SX_EUlSW_E_NS1_11comp_targetILNS1_3genE0ELNS1_11target_archE4294967295ELNS1_3gpuE0ELNS1_3repE0EEENS1_30default_config_static_selectorELNS0_4arch9wavefront6targetE1EEEvT1_,"axG",@progbits,_ZN7rocprim17ROCPRIM_400000_NS6detail17trampoline_kernelINS0_14default_configENS1_27scan_by_key_config_selectorIifEEZZNS1_16scan_by_key_implILNS1_25lookback_scan_determinismE0ELb1ES3_N6thrust23THRUST_200600_302600_NS6detail15normal_iteratorINS9_10device_ptrIiEEEENSB_INSC_IjEEEESE_fNS9_4plusIvEENS9_8equal_toIvEEfEE10hipError_tPvRmT2_T3_T4_T5_mT6_T7_P12ihipStream_tbENKUlT_T0_E_clISt17integral_constantIbLb1EES10_IbLb0EEEEDaSW_SX_EUlSW_E_NS1_11comp_targetILNS1_3genE0ELNS1_11target_archE4294967295ELNS1_3gpuE0ELNS1_3repE0EEENS1_30default_config_static_selectorELNS0_4arch9wavefront6targetE1EEEvT1_,comdat
	.protected	_ZN7rocprim17ROCPRIM_400000_NS6detail17trampoline_kernelINS0_14default_configENS1_27scan_by_key_config_selectorIifEEZZNS1_16scan_by_key_implILNS1_25lookback_scan_determinismE0ELb1ES3_N6thrust23THRUST_200600_302600_NS6detail15normal_iteratorINS9_10device_ptrIiEEEENSB_INSC_IjEEEESE_fNS9_4plusIvEENS9_8equal_toIvEEfEE10hipError_tPvRmT2_T3_T4_T5_mT6_T7_P12ihipStream_tbENKUlT_T0_E_clISt17integral_constantIbLb1EES10_IbLb0EEEEDaSW_SX_EUlSW_E_NS1_11comp_targetILNS1_3genE0ELNS1_11target_archE4294967295ELNS1_3gpuE0ELNS1_3repE0EEENS1_30default_config_static_selectorELNS0_4arch9wavefront6targetE1EEEvT1_ ; -- Begin function _ZN7rocprim17ROCPRIM_400000_NS6detail17trampoline_kernelINS0_14default_configENS1_27scan_by_key_config_selectorIifEEZZNS1_16scan_by_key_implILNS1_25lookback_scan_determinismE0ELb1ES3_N6thrust23THRUST_200600_302600_NS6detail15normal_iteratorINS9_10device_ptrIiEEEENSB_INSC_IjEEEESE_fNS9_4plusIvEENS9_8equal_toIvEEfEE10hipError_tPvRmT2_T3_T4_T5_mT6_T7_P12ihipStream_tbENKUlT_T0_E_clISt17integral_constantIbLb1EES10_IbLb0EEEEDaSW_SX_EUlSW_E_NS1_11comp_targetILNS1_3genE0ELNS1_11target_archE4294967295ELNS1_3gpuE0ELNS1_3repE0EEENS1_30default_config_static_selectorELNS0_4arch9wavefront6targetE1EEEvT1_
	.globl	_ZN7rocprim17ROCPRIM_400000_NS6detail17trampoline_kernelINS0_14default_configENS1_27scan_by_key_config_selectorIifEEZZNS1_16scan_by_key_implILNS1_25lookback_scan_determinismE0ELb1ES3_N6thrust23THRUST_200600_302600_NS6detail15normal_iteratorINS9_10device_ptrIiEEEENSB_INSC_IjEEEESE_fNS9_4plusIvEENS9_8equal_toIvEEfEE10hipError_tPvRmT2_T3_T4_T5_mT6_T7_P12ihipStream_tbENKUlT_T0_E_clISt17integral_constantIbLb1EES10_IbLb0EEEEDaSW_SX_EUlSW_E_NS1_11comp_targetILNS1_3genE0ELNS1_11target_archE4294967295ELNS1_3gpuE0ELNS1_3repE0EEENS1_30default_config_static_selectorELNS0_4arch9wavefront6targetE1EEEvT1_
	.p2align	8
	.type	_ZN7rocprim17ROCPRIM_400000_NS6detail17trampoline_kernelINS0_14default_configENS1_27scan_by_key_config_selectorIifEEZZNS1_16scan_by_key_implILNS1_25lookback_scan_determinismE0ELb1ES3_N6thrust23THRUST_200600_302600_NS6detail15normal_iteratorINS9_10device_ptrIiEEEENSB_INSC_IjEEEESE_fNS9_4plusIvEENS9_8equal_toIvEEfEE10hipError_tPvRmT2_T3_T4_T5_mT6_T7_P12ihipStream_tbENKUlT_T0_E_clISt17integral_constantIbLb1EES10_IbLb0EEEEDaSW_SX_EUlSW_E_NS1_11comp_targetILNS1_3genE0ELNS1_11target_archE4294967295ELNS1_3gpuE0ELNS1_3repE0EEENS1_30default_config_static_selectorELNS0_4arch9wavefront6targetE1EEEvT1_,@function
_ZN7rocprim17ROCPRIM_400000_NS6detail17trampoline_kernelINS0_14default_configENS1_27scan_by_key_config_selectorIifEEZZNS1_16scan_by_key_implILNS1_25lookback_scan_determinismE0ELb1ES3_N6thrust23THRUST_200600_302600_NS6detail15normal_iteratorINS9_10device_ptrIiEEEENSB_INSC_IjEEEESE_fNS9_4plusIvEENS9_8equal_toIvEEfEE10hipError_tPvRmT2_T3_T4_T5_mT6_T7_P12ihipStream_tbENKUlT_T0_E_clISt17integral_constantIbLb1EES10_IbLb0EEEEDaSW_SX_EUlSW_E_NS1_11comp_targetILNS1_3genE0ELNS1_11target_archE4294967295ELNS1_3gpuE0ELNS1_3repE0EEENS1_30default_config_static_selectorELNS0_4arch9wavefront6targetE1EEEvT1_: ; @_ZN7rocprim17ROCPRIM_400000_NS6detail17trampoline_kernelINS0_14default_configENS1_27scan_by_key_config_selectorIifEEZZNS1_16scan_by_key_implILNS1_25lookback_scan_determinismE0ELb1ES3_N6thrust23THRUST_200600_302600_NS6detail15normal_iteratorINS9_10device_ptrIiEEEENSB_INSC_IjEEEESE_fNS9_4plusIvEENS9_8equal_toIvEEfEE10hipError_tPvRmT2_T3_T4_T5_mT6_T7_P12ihipStream_tbENKUlT_T0_E_clISt17integral_constantIbLb1EES10_IbLb0EEEEDaSW_SX_EUlSW_E_NS1_11comp_targetILNS1_3genE0ELNS1_11target_archE4294967295ELNS1_3gpuE0ELNS1_3repE0EEENS1_30default_config_static_selectorELNS0_4arch9wavefront6targetE1EEEvT1_
; %bb.0:
	.section	.rodata,"a",@progbits
	.p2align	6, 0x0
	.amdhsa_kernel _ZN7rocprim17ROCPRIM_400000_NS6detail17trampoline_kernelINS0_14default_configENS1_27scan_by_key_config_selectorIifEEZZNS1_16scan_by_key_implILNS1_25lookback_scan_determinismE0ELb1ES3_N6thrust23THRUST_200600_302600_NS6detail15normal_iteratorINS9_10device_ptrIiEEEENSB_INSC_IjEEEESE_fNS9_4plusIvEENS9_8equal_toIvEEfEE10hipError_tPvRmT2_T3_T4_T5_mT6_T7_P12ihipStream_tbENKUlT_T0_E_clISt17integral_constantIbLb1EES10_IbLb0EEEEDaSW_SX_EUlSW_E_NS1_11comp_targetILNS1_3genE0ELNS1_11target_archE4294967295ELNS1_3gpuE0ELNS1_3repE0EEENS1_30default_config_static_selectorELNS0_4arch9wavefront6targetE1EEEvT1_
		.amdhsa_group_segment_fixed_size 0
		.amdhsa_private_segment_fixed_size 0
		.amdhsa_kernarg_size 112
		.amdhsa_user_sgpr_count 6
		.amdhsa_user_sgpr_private_segment_buffer 1
		.amdhsa_user_sgpr_dispatch_ptr 0
		.amdhsa_user_sgpr_queue_ptr 0
		.amdhsa_user_sgpr_kernarg_segment_ptr 1
		.amdhsa_user_sgpr_dispatch_id 0
		.amdhsa_user_sgpr_flat_scratch_init 0
		.amdhsa_user_sgpr_kernarg_preload_length 0
		.amdhsa_user_sgpr_kernarg_preload_offset 0
		.amdhsa_user_sgpr_private_segment_size 0
		.amdhsa_uses_dynamic_stack 0
		.amdhsa_system_sgpr_private_segment_wavefront_offset 0
		.amdhsa_system_sgpr_workgroup_id_x 1
		.amdhsa_system_sgpr_workgroup_id_y 0
		.amdhsa_system_sgpr_workgroup_id_z 0
		.amdhsa_system_sgpr_workgroup_info 0
		.amdhsa_system_vgpr_workitem_id 0
		.amdhsa_next_free_vgpr 1
		.amdhsa_next_free_sgpr 0
		.amdhsa_accum_offset 4
		.amdhsa_reserve_vcc 0
		.amdhsa_reserve_flat_scratch 0
		.amdhsa_float_round_mode_32 0
		.amdhsa_float_round_mode_16_64 0
		.amdhsa_float_denorm_mode_32 3
		.amdhsa_float_denorm_mode_16_64 3
		.amdhsa_dx10_clamp 1
		.amdhsa_ieee_mode 1
		.amdhsa_fp16_overflow 0
		.amdhsa_tg_split 0
		.amdhsa_exception_fp_ieee_invalid_op 0
		.amdhsa_exception_fp_denorm_src 0
		.amdhsa_exception_fp_ieee_div_zero 0
		.amdhsa_exception_fp_ieee_overflow 0
		.amdhsa_exception_fp_ieee_underflow 0
		.amdhsa_exception_fp_ieee_inexact 0
		.amdhsa_exception_int_div_zero 0
	.end_amdhsa_kernel
	.section	.text._ZN7rocprim17ROCPRIM_400000_NS6detail17trampoline_kernelINS0_14default_configENS1_27scan_by_key_config_selectorIifEEZZNS1_16scan_by_key_implILNS1_25lookback_scan_determinismE0ELb1ES3_N6thrust23THRUST_200600_302600_NS6detail15normal_iteratorINS9_10device_ptrIiEEEENSB_INSC_IjEEEESE_fNS9_4plusIvEENS9_8equal_toIvEEfEE10hipError_tPvRmT2_T3_T4_T5_mT6_T7_P12ihipStream_tbENKUlT_T0_E_clISt17integral_constantIbLb1EES10_IbLb0EEEEDaSW_SX_EUlSW_E_NS1_11comp_targetILNS1_3genE0ELNS1_11target_archE4294967295ELNS1_3gpuE0ELNS1_3repE0EEENS1_30default_config_static_selectorELNS0_4arch9wavefront6targetE1EEEvT1_,"axG",@progbits,_ZN7rocprim17ROCPRIM_400000_NS6detail17trampoline_kernelINS0_14default_configENS1_27scan_by_key_config_selectorIifEEZZNS1_16scan_by_key_implILNS1_25lookback_scan_determinismE0ELb1ES3_N6thrust23THRUST_200600_302600_NS6detail15normal_iteratorINS9_10device_ptrIiEEEENSB_INSC_IjEEEESE_fNS9_4plusIvEENS9_8equal_toIvEEfEE10hipError_tPvRmT2_T3_T4_T5_mT6_T7_P12ihipStream_tbENKUlT_T0_E_clISt17integral_constantIbLb1EES10_IbLb0EEEEDaSW_SX_EUlSW_E_NS1_11comp_targetILNS1_3genE0ELNS1_11target_archE4294967295ELNS1_3gpuE0ELNS1_3repE0EEENS1_30default_config_static_selectorELNS0_4arch9wavefront6targetE1EEEvT1_,comdat
.Lfunc_end1806:
	.size	_ZN7rocprim17ROCPRIM_400000_NS6detail17trampoline_kernelINS0_14default_configENS1_27scan_by_key_config_selectorIifEEZZNS1_16scan_by_key_implILNS1_25lookback_scan_determinismE0ELb1ES3_N6thrust23THRUST_200600_302600_NS6detail15normal_iteratorINS9_10device_ptrIiEEEENSB_INSC_IjEEEESE_fNS9_4plusIvEENS9_8equal_toIvEEfEE10hipError_tPvRmT2_T3_T4_T5_mT6_T7_P12ihipStream_tbENKUlT_T0_E_clISt17integral_constantIbLb1EES10_IbLb0EEEEDaSW_SX_EUlSW_E_NS1_11comp_targetILNS1_3genE0ELNS1_11target_archE4294967295ELNS1_3gpuE0ELNS1_3repE0EEENS1_30default_config_static_selectorELNS0_4arch9wavefront6targetE1EEEvT1_, .Lfunc_end1806-_ZN7rocprim17ROCPRIM_400000_NS6detail17trampoline_kernelINS0_14default_configENS1_27scan_by_key_config_selectorIifEEZZNS1_16scan_by_key_implILNS1_25lookback_scan_determinismE0ELb1ES3_N6thrust23THRUST_200600_302600_NS6detail15normal_iteratorINS9_10device_ptrIiEEEENSB_INSC_IjEEEESE_fNS9_4plusIvEENS9_8equal_toIvEEfEE10hipError_tPvRmT2_T3_T4_T5_mT6_T7_P12ihipStream_tbENKUlT_T0_E_clISt17integral_constantIbLb1EES10_IbLb0EEEEDaSW_SX_EUlSW_E_NS1_11comp_targetILNS1_3genE0ELNS1_11target_archE4294967295ELNS1_3gpuE0ELNS1_3repE0EEENS1_30default_config_static_selectorELNS0_4arch9wavefront6targetE1EEEvT1_
                                        ; -- End function
	.section	.AMDGPU.csdata,"",@progbits
; Kernel info:
; codeLenInByte = 0
; NumSgprs: 4
; NumVgprs: 0
; NumAgprs: 0
; TotalNumVgprs: 0
; ScratchSize: 0
; MemoryBound: 0
; FloatMode: 240
; IeeeMode: 1
; LDSByteSize: 0 bytes/workgroup (compile time only)
; SGPRBlocks: 0
; VGPRBlocks: 0
; NumSGPRsForWavesPerEU: 4
; NumVGPRsForWavesPerEU: 1
; AccumOffset: 4
; Occupancy: 8
; WaveLimiterHint : 0
; COMPUTE_PGM_RSRC2:SCRATCH_EN: 0
; COMPUTE_PGM_RSRC2:USER_SGPR: 6
; COMPUTE_PGM_RSRC2:TRAP_HANDLER: 0
; COMPUTE_PGM_RSRC2:TGID_X_EN: 1
; COMPUTE_PGM_RSRC2:TGID_Y_EN: 0
; COMPUTE_PGM_RSRC2:TGID_Z_EN: 0
; COMPUTE_PGM_RSRC2:TIDIG_COMP_CNT: 0
; COMPUTE_PGM_RSRC3_GFX90A:ACCUM_OFFSET: 0
; COMPUTE_PGM_RSRC3_GFX90A:TG_SPLIT: 0
	.section	.text._ZN7rocprim17ROCPRIM_400000_NS6detail17trampoline_kernelINS0_14default_configENS1_27scan_by_key_config_selectorIifEEZZNS1_16scan_by_key_implILNS1_25lookback_scan_determinismE0ELb1ES3_N6thrust23THRUST_200600_302600_NS6detail15normal_iteratorINS9_10device_ptrIiEEEENSB_INSC_IjEEEESE_fNS9_4plusIvEENS9_8equal_toIvEEfEE10hipError_tPvRmT2_T3_T4_T5_mT6_T7_P12ihipStream_tbENKUlT_T0_E_clISt17integral_constantIbLb1EES10_IbLb0EEEEDaSW_SX_EUlSW_E_NS1_11comp_targetILNS1_3genE10ELNS1_11target_archE1201ELNS1_3gpuE5ELNS1_3repE0EEENS1_30default_config_static_selectorELNS0_4arch9wavefront6targetE1EEEvT1_,"axG",@progbits,_ZN7rocprim17ROCPRIM_400000_NS6detail17trampoline_kernelINS0_14default_configENS1_27scan_by_key_config_selectorIifEEZZNS1_16scan_by_key_implILNS1_25lookback_scan_determinismE0ELb1ES3_N6thrust23THRUST_200600_302600_NS6detail15normal_iteratorINS9_10device_ptrIiEEEENSB_INSC_IjEEEESE_fNS9_4plusIvEENS9_8equal_toIvEEfEE10hipError_tPvRmT2_T3_T4_T5_mT6_T7_P12ihipStream_tbENKUlT_T0_E_clISt17integral_constantIbLb1EES10_IbLb0EEEEDaSW_SX_EUlSW_E_NS1_11comp_targetILNS1_3genE10ELNS1_11target_archE1201ELNS1_3gpuE5ELNS1_3repE0EEENS1_30default_config_static_selectorELNS0_4arch9wavefront6targetE1EEEvT1_,comdat
	.protected	_ZN7rocprim17ROCPRIM_400000_NS6detail17trampoline_kernelINS0_14default_configENS1_27scan_by_key_config_selectorIifEEZZNS1_16scan_by_key_implILNS1_25lookback_scan_determinismE0ELb1ES3_N6thrust23THRUST_200600_302600_NS6detail15normal_iteratorINS9_10device_ptrIiEEEENSB_INSC_IjEEEESE_fNS9_4plusIvEENS9_8equal_toIvEEfEE10hipError_tPvRmT2_T3_T4_T5_mT6_T7_P12ihipStream_tbENKUlT_T0_E_clISt17integral_constantIbLb1EES10_IbLb0EEEEDaSW_SX_EUlSW_E_NS1_11comp_targetILNS1_3genE10ELNS1_11target_archE1201ELNS1_3gpuE5ELNS1_3repE0EEENS1_30default_config_static_selectorELNS0_4arch9wavefront6targetE1EEEvT1_ ; -- Begin function _ZN7rocprim17ROCPRIM_400000_NS6detail17trampoline_kernelINS0_14default_configENS1_27scan_by_key_config_selectorIifEEZZNS1_16scan_by_key_implILNS1_25lookback_scan_determinismE0ELb1ES3_N6thrust23THRUST_200600_302600_NS6detail15normal_iteratorINS9_10device_ptrIiEEEENSB_INSC_IjEEEESE_fNS9_4plusIvEENS9_8equal_toIvEEfEE10hipError_tPvRmT2_T3_T4_T5_mT6_T7_P12ihipStream_tbENKUlT_T0_E_clISt17integral_constantIbLb1EES10_IbLb0EEEEDaSW_SX_EUlSW_E_NS1_11comp_targetILNS1_3genE10ELNS1_11target_archE1201ELNS1_3gpuE5ELNS1_3repE0EEENS1_30default_config_static_selectorELNS0_4arch9wavefront6targetE1EEEvT1_
	.globl	_ZN7rocprim17ROCPRIM_400000_NS6detail17trampoline_kernelINS0_14default_configENS1_27scan_by_key_config_selectorIifEEZZNS1_16scan_by_key_implILNS1_25lookback_scan_determinismE0ELb1ES3_N6thrust23THRUST_200600_302600_NS6detail15normal_iteratorINS9_10device_ptrIiEEEENSB_INSC_IjEEEESE_fNS9_4plusIvEENS9_8equal_toIvEEfEE10hipError_tPvRmT2_T3_T4_T5_mT6_T7_P12ihipStream_tbENKUlT_T0_E_clISt17integral_constantIbLb1EES10_IbLb0EEEEDaSW_SX_EUlSW_E_NS1_11comp_targetILNS1_3genE10ELNS1_11target_archE1201ELNS1_3gpuE5ELNS1_3repE0EEENS1_30default_config_static_selectorELNS0_4arch9wavefront6targetE1EEEvT1_
	.p2align	8
	.type	_ZN7rocprim17ROCPRIM_400000_NS6detail17trampoline_kernelINS0_14default_configENS1_27scan_by_key_config_selectorIifEEZZNS1_16scan_by_key_implILNS1_25lookback_scan_determinismE0ELb1ES3_N6thrust23THRUST_200600_302600_NS6detail15normal_iteratorINS9_10device_ptrIiEEEENSB_INSC_IjEEEESE_fNS9_4plusIvEENS9_8equal_toIvEEfEE10hipError_tPvRmT2_T3_T4_T5_mT6_T7_P12ihipStream_tbENKUlT_T0_E_clISt17integral_constantIbLb1EES10_IbLb0EEEEDaSW_SX_EUlSW_E_NS1_11comp_targetILNS1_3genE10ELNS1_11target_archE1201ELNS1_3gpuE5ELNS1_3repE0EEENS1_30default_config_static_selectorELNS0_4arch9wavefront6targetE1EEEvT1_,@function
_ZN7rocprim17ROCPRIM_400000_NS6detail17trampoline_kernelINS0_14default_configENS1_27scan_by_key_config_selectorIifEEZZNS1_16scan_by_key_implILNS1_25lookback_scan_determinismE0ELb1ES3_N6thrust23THRUST_200600_302600_NS6detail15normal_iteratorINS9_10device_ptrIiEEEENSB_INSC_IjEEEESE_fNS9_4plusIvEENS9_8equal_toIvEEfEE10hipError_tPvRmT2_T3_T4_T5_mT6_T7_P12ihipStream_tbENKUlT_T0_E_clISt17integral_constantIbLb1EES10_IbLb0EEEEDaSW_SX_EUlSW_E_NS1_11comp_targetILNS1_3genE10ELNS1_11target_archE1201ELNS1_3gpuE5ELNS1_3repE0EEENS1_30default_config_static_selectorELNS0_4arch9wavefront6targetE1EEEvT1_: ; @_ZN7rocprim17ROCPRIM_400000_NS6detail17trampoline_kernelINS0_14default_configENS1_27scan_by_key_config_selectorIifEEZZNS1_16scan_by_key_implILNS1_25lookback_scan_determinismE0ELb1ES3_N6thrust23THRUST_200600_302600_NS6detail15normal_iteratorINS9_10device_ptrIiEEEENSB_INSC_IjEEEESE_fNS9_4plusIvEENS9_8equal_toIvEEfEE10hipError_tPvRmT2_T3_T4_T5_mT6_T7_P12ihipStream_tbENKUlT_T0_E_clISt17integral_constantIbLb1EES10_IbLb0EEEEDaSW_SX_EUlSW_E_NS1_11comp_targetILNS1_3genE10ELNS1_11target_archE1201ELNS1_3gpuE5ELNS1_3repE0EEENS1_30default_config_static_selectorELNS0_4arch9wavefront6targetE1EEEvT1_
; %bb.0:
	.section	.rodata,"a",@progbits
	.p2align	6, 0x0
	.amdhsa_kernel _ZN7rocprim17ROCPRIM_400000_NS6detail17trampoline_kernelINS0_14default_configENS1_27scan_by_key_config_selectorIifEEZZNS1_16scan_by_key_implILNS1_25lookback_scan_determinismE0ELb1ES3_N6thrust23THRUST_200600_302600_NS6detail15normal_iteratorINS9_10device_ptrIiEEEENSB_INSC_IjEEEESE_fNS9_4plusIvEENS9_8equal_toIvEEfEE10hipError_tPvRmT2_T3_T4_T5_mT6_T7_P12ihipStream_tbENKUlT_T0_E_clISt17integral_constantIbLb1EES10_IbLb0EEEEDaSW_SX_EUlSW_E_NS1_11comp_targetILNS1_3genE10ELNS1_11target_archE1201ELNS1_3gpuE5ELNS1_3repE0EEENS1_30default_config_static_selectorELNS0_4arch9wavefront6targetE1EEEvT1_
		.amdhsa_group_segment_fixed_size 0
		.amdhsa_private_segment_fixed_size 0
		.amdhsa_kernarg_size 112
		.amdhsa_user_sgpr_count 6
		.amdhsa_user_sgpr_private_segment_buffer 1
		.amdhsa_user_sgpr_dispatch_ptr 0
		.amdhsa_user_sgpr_queue_ptr 0
		.amdhsa_user_sgpr_kernarg_segment_ptr 1
		.amdhsa_user_sgpr_dispatch_id 0
		.amdhsa_user_sgpr_flat_scratch_init 0
		.amdhsa_user_sgpr_kernarg_preload_length 0
		.amdhsa_user_sgpr_kernarg_preload_offset 0
		.amdhsa_user_sgpr_private_segment_size 0
		.amdhsa_uses_dynamic_stack 0
		.amdhsa_system_sgpr_private_segment_wavefront_offset 0
		.amdhsa_system_sgpr_workgroup_id_x 1
		.amdhsa_system_sgpr_workgroup_id_y 0
		.amdhsa_system_sgpr_workgroup_id_z 0
		.amdhsa_system_sgpr_workgroup_info 0
		.amdhsa_system_vgpr_workitem_id 0
		.amdhsa_next_free_vgpr 1
		.amdhsa_next_free_sgpr 0
		.amdhsa_accum_offset 4
		.amdhsa_reserve_vcc 0
		.amdhsa_reserve_flat_scratch 0
		.amdhsa_float_round_mode_32 0
		.amdhsa_float_round_mode_16_64 0
		.amdhsa_float_denorm_mode_32 3
		.amdhsa_float_denorm_mode_16_64 3
		.amdhsa_dx10_clamp 1
		.amdhsa_ieee_mode 1
		.amdhsa_fp16_overflow 0
		.amdhsa_tg_split 0
		.amdhsa_exception_fp_ieee_invalid_op 0
		.amdhsa_exception_fp_denorm_src 0
		.amdhsa_exception_fp_ieee_div_zero 0
		.amdhsa_exception_fp_ieee_overflow 0
		.amdhsa_exception_fp_ieee_underflow 0
		.amdhsa_exception_fp_ieee_inexact 0
		.amdhsa_exception_int_div_zero 0
	.end_amdhsa_kernel
	.section	.text._ZN7rocprim17ROCPRIM_400000_NS6detail17trampoline_kernelINS0_14default_configENS1_27scan_by_key_config_selectorIifEEZZNS1_16scan_by_key_implILNS1_25lookback_scan_determinismE0ELb1ES3_N6thrust23THRUST_200600_302600_NS6detail15normal_iteratorINS9_10device_ptrIiEEEENSB_INSC_IjEEEESE_fNS9_4plusIvEENS9_8equal_toIvEEfEE10hipError_tPvRmT2_T3_T4_T5_mT6_T7_P12ihipStream_tbENKUlT_T0_E_clISt17integral_constantIbLb1EES10_IbLb0EEEEDaSW_SX_EUlSW_E_NS1_11comp_targetILNS1_3genE10ELNS1_11target_archE1201ELNS1_3gpuE5ELNS1_3repE0EEENS1_30default_config_static_selectorELNS0_4arch9wavefront6targetE1EEEvT1_,"axG",@progbits,_ZN7rocprim17ROCPRIM_400000_NS6detail17trampoline_kernelINS0_14default_configENS1_27scan_by_key_config_selectorIifEEZZNS1_16scan_by_key_implILNS1_25lookback_scan_determinismE0ELb1ES3_N6thrust23THRUST_200600_302600_NS6detail15normal_iteratorINS9_10device_ptrIiEEEENSB_INSC_IjEEEESE_fNS9_4plusIvEENS9_8equal_toIvEEfEE10hipError_tPvRmT2_T3_T4_T5_mT6_T7_P12ihipStream_tbENKUlT_T0_E_clISt17integral_constantIbLb1EES10_IbLb0EEEEDaSW_SX_EUlSW_E_NS1_11comp_targetILNS1_3genE10ELNS1_11target_archE1201ELNS1_3gpuE5ELNS1_3repE0EEENS1_30default_config_static_selectorELNS0_4arch9wavefront6targetE1EEEvT1_,comdat
.Lfunc_end1807:
	.size	_ZN7rocprim17ROCPRIM_400000_NS6detail17trampoline_kernelINS0_14default_configENS1_27scan_by_key_config_selectorIifEEZZNS1_16scan_by_key_implILNS1_25lookback_scan_determinismE0ELb1ES3_N6thrust23THRUST_200600_302600_NS6detail15normal_iteratorINS9_10device_ptrIiEEEENSB_INSC_IjEEEESE_fNS9_4plusIvEENS9_8equal_toIvEEfEE10hipError_tPvRmT2_T3_T4_T5_mT6_T7_P12ihipStream_tbENKUlT_T0_E_clISt17integral_constantIbLb1EES10_IbLb0EEEEDaSW_SX_EUlSW_E_NS1_11comp_targetILNS1_3genE10ELNS1_11target_archE1201ELNS1_3gpuE5ELNS1_3repE0EEENS1_30default_config_static_selectorELNS0_4arch9wavefront6targetE1EEEvT1_, .Lfunc_end1807-_ZN7rocprim17ROCPRIM_400000_NS6detail17trampoline_kernelINS0_14default_configENS1_27scan_by_key_config_selectorIifEEZZNS1_16scan_by_key_implILNS1_25lookback_scan_determinismE0ELb1ES3_N6thrust23THRUST_200600_302600_NS6detail15normal_iteratorINS9_10device_ptrIiEEEENSB_INSC_IjEEEESE_fNS9_4plusIvEENS9_8equal_toIvEEfEE10hipError_tPvRmT2_T3_T4_T5_mT6_T7_P12ihipStream_tbENKUlT_T0_E_clISt17integral_constantIbLb1EES10_IbLb0EEEEDaSW_SX_EUlSW_E_NS1_11comp_targetILNS1_3genE10ELNS1_11target_archE1201ELNS1_3gpuE5ELNS1_3repE0EEENS1_30default_config_static_selectorELNS0_4arch9wavefront6targetE1EEEvT1_
                                        ; -- End function
	.section	.AMDGPU.csdata,"",@progbits
; Kernel info:
; codeLenInByte = 0
; NumSgprs: 4
; NumVgprs: 0
; NumAgprs: 0
; TotalNumVgprs: 0
; ScratchSize: 0
; MemoryBound: 0
; FloatMode: 240
; IeeeMode: 1
; LDSByteSize: 0 bytes/workgroup (compile time only)
; SGPRBlocks: 0
; VGPRBlocks: 0
; NumSGPRsForWavesPerEU: 4
; NumVGPRsForWavesPerEU: 1
; AccumOffset: 4
; Occupancy: 8
; WaveLimiterHint : 0
; COMPUTE_PGM_RSRC2:SCRATCH_EN: 0
; COMPUTE_PGM_RSRC2:USER_SGPR: 6
; COMPUTE_PGM_RSRC2:TRAP_HANDLER: 0
; COMPUTE_PGM_RSRC2:TGID_X_EN: 1
; COMPUTE_PGM_RSRC2:TGID_Y_EN: 0
; COMPUTE_PGM_RSRC2:TGID_Z_EN: 0
; COMPUTE_PGM_RSRC2:TIDIG_COMP_CNT: 0
; COMPUTE_PGM_RSRC3_GFX90A:ACCUM_OFFSET: 0
; COMPUTE_PGM_RSRC3_GFX90A:TG_SPLIT: 0
	.section	.text._ZN7rocprim17ROCPRIM_400000_NS6detail17trampoline_kernelINS0_14default_configENS1_27scan_by_key_config_selectorIifEEZZNS1_16scan_by_key_implILNS1_25lookback_scan_determinismE0ELb1ES3_N6thrust23THRUST_200600_302600_NS6detail15normal_iteratorINS9_10device_ptrIiEEEENSB_INSC_IjEEEESE_fNS9_4plusIvEENS9_8equal_toIvEEfEE10hipError_tPvRmT2_T3_T4_T5_mT6_T7_P12ihipStream_tbENKUlT_T0_E_clISt17integral_constantIbLb1EES10_IbLb0EEEEDaSW_SX_EUlSW_E_NS1_11comp_targetILNS1_3genE5ELNS1_11target_archE942ELNS1_3gpuE9ELNS1_3repE0EEENS1_30default_config_static_selectorELNS0_4arch9wavefront6targetE1EEEvT1_,"axG",@progbits,_ZN7rocprim17ROCPRIM_400000_NS6detail17trampoline_kernelINS0_14default_configENS1_27scan_by_key_config_selectorIifEEZZNS1_16scan_by_key_implILNS1_25lookback_scan_determinismE0ELb1ES3_N6thrust23THRUST_200600_302600_NS6detail15normal_iteratorINS9_10device_ptrIiEEEENSB_INSC_IjEEEESE_fNS9_4plusIvEENS9_8equal_toIvEEfEE10hipError_tPvRmT2_T3_T4_T5_mT6_T7_P12ihipStream_tbENKUlT_T0_E_clISt17integral_constantIbLb1EES10_IbLb0EEEEDaSW_SX_EUlSW_E_NS1_11comp_targetILNS1_3genE5ELNS1_11target_archE942ELNS1_3gpuE9ELNS1_3repE0EEENS1_30default_config_static_selectorELNS0_4arch9wavefront6targetE1EEEvT1_,comdat
	.protected	_ZN7rocprim17ROCPRIM_400000_NS6detail17trampoline_kernelINS0_14default_configENS1_27scan_by_key_config_selectorIifEEZZNS1_16scan_by_key_implILNS1_25lookback_scan_determinismE0ELb1ES3_N6thrust23THRUST_200600_302600_NS6detail15normal_iteratorINS9_10device_ptrIiEEEENSB_INSC_IjEEEESE_fNS9_4plusIvEENS9_8equal_toIvEEfEE10hipError_tPvRmT2_T3_T4_T5_mT6_T7_P12ihipStream_tbENKUlT_T0_E_clISt17integral_constantIbLb1EES10_IbLb0EEEEDaSW_SX_EUlSW_E_NS1_11comp_targetILNS1_3genE5ELNS1_11target_archE942ELNS1_3gpuE9ELNS1_3repE0EEENS1_30default_config_static_selectorELNS0_4arch9wavefront6targetE1EEEvT1_ ; -- Begin function _ZN7rocprim17ROCPRIM_400000_NS6detail17trampoline_kernelINS0_14default_configENS1_27scan_by_key_config_selectorIifEEZZNS1_16scan_by_key_implILNS1_25lookback_scan_determinismE0ELb1ES3_N6thrust23THRUST_200600_302600_NS6detail15normal_iteratorINS9_10device_ptrIiEEEENSB_INSC_IjEEEESE_fNS9_4plusIvEENS9_8equal_toIvEEfEE10hipError_tPvRmT2_T3_T4_T5_mT6_T7_P12ihipStream_tbENKUlT_T0_E_clISt17integral_constantIbLb1EES10_IbLb0EEEEDaSW_SX_EUlSW_E_NS1_11comp_targetILNS1_3genE5ELNS1_11target_archE942ELNS1_3gpuE9ELNS1_3repE0EEENS1_30default_config_static_selectorELNS0_4arch9wavefront6targetE1EEEvT1_
	.globl	_ZN7rocprim17ROCPRIM_400000_NS6detail17trampoline_kernelINS0_14default_configENS1_27scan_by_key_config_selectorIifEEZZNS1_16scan_by_key_implILNS1_25lookback_scan_determinismE0ELb1ES3_N6thrust23THRUST_200600_302600_NS6detail15normal_iteratorINS9_10device_ptrIiEEEENSB_INSC_IjEEEESE_fNS9_4plusIvEENS9_8equal_toIvEEfEE10hipError_tPvRmT2_T3_T4_T5_mT6_T7_P12ihipStream_tbENKUlT_T0_E_clISt17integral_constantIbLb1EES10_IbLb0EEEEDaSW_SX_EUlSW_E_NS1_11comp_targetILNS1_3genE5ELNS1_11target_archE942ELNS1_3gpuE9ELNS1_3repE0EEENS1_30default_config_static_selectorELNS0_4arch9wavefront6targetE1EEEvT1_
	.p2align	8
	.type	_ZN7rocprim17ROCPRIM_400000_NS6detail17trampoline_kernelINS0_14default_configENS1_27scan_by_key_config_selectorIifEEZZNS1_16scan_by_key_implILNS1_25lookback_scan_determinismE0ELb1ES3_N6thrust23THRUST_200600_302600_NS6detail15normal_iteratorINS9_10device_ptrIiEEEENSB_INSC_IjEEEESE_fNS9_4plusIvEENS9_8equal_toIvEEfEE10hipError_tPvRmT2_T3_T4_T5_mT6_T7_P12ihipStream_tbENKUlT_T0_E_clISt17integral_constantIbLb1EES10_IbLb0EEEEDaSW_SX_EUlSW_E_NS1_11comp_targetILNS1_3genE5ELNS1_11target_archE942ELNS1_3gpuE9ELNS1_3repE0EEENS1_30default_config_static_selectorELNS0_4arch9wavefront6targetE1EEEvT1_,@function
_ZN7rocprim17ROCPRIM_400000_NS6detail17trampoline_kernelINS0_14default_configENS1_27scan_by_key_config_selectorIifEEZZNS1_16scan_by_key_implILNS1_25lookback_scan_determinismE0ELb1ES3_N6thrust23THRUST_200600_302600_NS6detail15normal_iteratorINS9_10device_ptrIiEEEENSB_INSC_IjEEEESE_fNS9_4plusIvEENS9_8equal_toIvEEfEE10hipError_tPvRmT2_T3_T4_T5_mT6_T7_P12ihipStream_tbENKUlT_T0_E_clISt17integral_constantIbLb1EES10_IbLb0EEEEDaSW_SX_EUlSW_E_NS1_11comp_targetILNS1_3genE5ELNS1_11target_archE942ELNS1_3gpuE9ELNS1_3repE0EEENS1_30default_config_static_selectorELNS0_4arch9wavefront6targetE1EEEvT1_: ; @_ZN7rocprim17ROCPRIM_400000_NS6detail17trampoline_kernelINS0_14default_configENS1_27scan_by_key_config_selectorIifEEZZNS1_16scan_by_key_implILNS1_25lookback_scan_determinismE0ELb1ES3_N6thrust23THRUST_200600_302600_NS6detail15normal_iteratorINS9_10device_ptrIiEEEENSB_INSC_IjEEEESE_fNS9_4plusIvEENS9_8equal_toIvEEfEE10hipError_tPvRmT2_T3_T4_T5_mT6_T7_P12ihipStream_tbENKUlT_T0_E_clISt17integral_constantIbLb1EES10_IbLb0EEEEDaSW_SX_EUlSW_E_NS1_11comp_targetILNS1_3genE5ELNS1_11target_archE942ELNS1_3gpuE9ELNS1_3repE0EEENS1_30default_config_static_selectorELNS0_4arch9wavefront6targetE1EEEvT1_
; %bb.0:
	.section	.rodata,"a",@progbits
	.p2align	6, 0x0
	.amdhsa_kernel _ZN7rocprim17ROCPRIM_400000_NS6detail17trampoline_kernelINS0_14default_configENS1_27scan_by_key_config_selectorIifEEZZNS1_16scan_by_key_implILNS1_25lookback_scan_determinismE0ELb1ES3_N6thrust23THRUST_200600_302600_NS6detail15normal_iteratorINS9_10device_ptrIiEEEENSB_INSC_IjEEEESE_fNS9_4plusIvEENS9_8equal_toIvEEfEE10hipError_tPvRmT2_T3_T4_T5_mT6_T7_P12ihipStream_tbENKUlT_T0_E_clISt17integral_constantIbLb1EES10_IbLb0EEEEDaSW_SX_EUlSW_E_NS1_11comp_targetILNS1_3genE5ELNS1_11target_archE942ELNS1_3gpuE9ELNS1_3repE0EEENS1_30default_config_static_selectorELNS0_4arch9wavefront6targetE1EEEvT1_
		.amdhsa_group_segment_fixed_size 0
		.amdhsa_private_segment_fixed_size 0
		.amdhsa_kernarg_size 112
		.amdhsa_user_sgpr_count 6
		.amdhsa_user_sgpr_private_segment_buffer 1
		.amdhsa_user_sgpr_dispatch_ptr 0
		.amdhsa_user_sgpr_queue_ptr 0
		.amdhsa_user_sgpr_kernarg_segment_ptr 1
		.amdhsa_user_sgpr_dispatch_id 0
		.amdhsa_user_sgpr_flat_scratch_init 0
		.amdhsa_user_sgpr_kernarg_preload_length 0
		.amdhsa_user_sgpr_kernarg_preload_offset 0
		.amdhsa_user_sgpr_private_segment_size 0
		.amdhsa_uses_dynamic_stack 0
		.amdhsa_system_sgpr_private_segment_wavefront_offset 0
		.amdhsa_system_sgpr_workgroup_id_x 1
		.amdhsa_system_sgpr_workgroup_id_y 0
		.amdhsa_system_sgpr_workgroup_id_z 0
		.amdhsa_system_sgpr_workgroup_info 0
		.amdhsa_system_vgpr_workitem_id 0
		.amdhsa_next_free_vgpr 1
		.amdhsa_next_free_sgpr 0
		.amdhsa_accum_offset 4
		.amdhsa_reserve_vcc 0
		.amdhsa_reserve_flat_scratch 0
		.amdhsa_float_round_mode_32 0
		.amdhsa_float_round_mode_16_64 0
		.amdhsa_float_denorm_mode_32 3
		.amdhsa_float_denorm_mode_16_64 3
		.amdhsa_dx10_clamp 1
		.amdhsa_ieee_mode 1
		.amdhsa_fp16_overflow 0
		.amdhsa_tg_split 0
		.amdhsa_exception_fp_ieee_invalid_op 0
		.amdhsa_exception_fp_denorm_src 0
		.amdhsa_exception_fp_ieee_div_zero 0
		.amdhsa_exception_fp_ieee_overflow 0
		.amdhsa_exception_fp_ieee_underflow 0
		.amdhsa_exception_fp_ieee_inexact 0
		.amdhsa_exception_int_div_zero 0
	.end_amdhsa_kernel
	.section	.text._ZN7rocprim17ROCPRIM_400000_NS6detail17trampoline_kernelINS0_14default_configENS1_27scan_by_key_config_selectorIifEEZZNS1_16scan_by_key_implILNS1_25lookback_scan_determinismE0ELb1ES3_N6thrust23THRUST_200600_302600_NS6detail15normal_iteratorINS9_10device_ptrIiEEEENSB_INSC_IjEEEESE_fNS9_4plusIvEENS9_8equal_toIvEEfEE10hipError_tPvRmT2_T3_T4_T5_mT6_T7_P12ihipStream_tbENKUlT_T0_E_clISt17integral_constantIbLb1EES10_IbLb0EEEEDaSW_SX_EUlSW_E_NS1_11comp_targetILNS1_3genE5ELNS1_11target_archE942ELNS1_3gpuE9ELNS1_3repE0EEENS1_30default_config_static_selectorELNS0_4arch9wavefront6targetE1EEEvT1_,"axG",@progbits,_ZN7rocprim17ROCPRIM_400000_NS6detail17trampoline_kernelINS0_14default_configENS1_27scan_by_key_config_selectorIifEEZZNS1_16scan_by_key_implILNS1_25lookback_scan_determinismE0ELb1ES3_N6thrust23THRUST_200600_302600_NS6detail15normal_iteratorINS9_10device_ptrIiEEEENSB_INSC_IjEEEESE_fNS9_4plusIvEENS9_8equal_toIvEEfEE10hipError_tPvRmT2_T3_T4_T5_mT6_T7_P12ihipStream_tbENKUlT_T0_E_clISt17integral_constantIbLb1EES10_IbLb0EEEEDaSW_SX_EUlSW_E_NS1_11comp_targetILNS1_3genE5ELNS1_11target_archE942ELNS1_3gpuE9ELNS1_3repE0EEENS1_30default_config_static_selectorELNS0_4arch9wavefront6targetE1EEEvT1_,comdat
.Lfunc_end1808:
	.size	_ZN7rocprim17ROCPRIM_400000_NS6detail17trampoline_kernelINS0_14default_configENS1_27scan_by_key_config_selectorIifEEZZNS1_16scan_by_key_implILNS1_25lookback_scan_determinismE0ELb1ES3_N6thrust23THRUST_200600_302600_NS6detail15normal_iteratorINS9_10device_ptrIiEEEENSB_INSC_IjEEEESE_fNS9_4plusIvEENS9_8equal_toIvEEfEE10hipError_tPvRmT2_T3_T4_T5_mT6_T7_P12ihipStream_tbENKUlT_T0_E_clISt17integral_constantIbLb1EES10_IbLb0EEEEDaSW_SX_EUlSW_E_NS1_11comp_targetILNS1_3genE5ELNS1_11target_archE942ELNS1_3gpuE9ELNS1_3repE0EEENS1_30default_config_static_selectorELNS0_4arch9wavefront6targetE1EEEvT1_, .Lfunc_end1808-_ZN7rocprim17ROCPRIM_400000_NS6detail17trampoline_kernelINS0_14default_configENS1_27scan_by_key_config_selectorIifEEZZNS1_16scan_by_key_implILNS1_25lookback_scan_determinismE0ELb1ES3_N6thrust23THRUST_200600_302600_NS6detail15normal_iteratorINS9_10device_ptrIiEEEENSB_INSC_IjEEEESE_fNS9_4plusIvEENS9_8equal_toIvEEfEE10hipError_tPvRmT2_T3_T4_T5_mT6_T7_P12ihipStream_tbENKUlT_T0_E_clISt17integral_constantIbLb1EES10_IbLb0EEEEDaSW_SX_EUlSW_E_NS1_11comp_targetILNS1_3genE5ELNS1_11target_archE942ELNS1_3gpuE9ELNS1_3repE0EEENS1_30default_config_static_selectorELNS0_4arch9wavefront6targetE1EEEvT1_
                                        ; -- End function
	.section	.AMDGPU.csdata,"",@progbits
; Kernel info:
; codeLenInByte = 0
; NumSgprs: 4
; NumVgprs: 0
; NumAgprs: 0
; TotalNumVgprs: 0
; ScratchSize: 0
; MemoryBound: 0
; FloatMode: 240
; IeeeMode: 1
; LDSByteSize: 0 bytes/workgroup (compile time only)
; SGPRBlocks: 0
; VGPRBlocks: 0
; NumSGPRsForWavesPerEU: 4
; NumVGPRsForWavesPerEU: 1
; AccumOffset: 4
; Occupancy: 8
; WaveLimiterHint : 0
; COMPUTE_PGM_RSRC2:SCRATCH_EN: 0
; COMPUTE_PGM_RSRC2:USER_SGPR: 6
; COMPUTE_PGM_RSRC2:TRAP_HANDLER: 0
; COMPUTE_PGM_RSRC2:TGID_X_EN: 1
; COMPUTE_PGM_RSRC2:TGID_Y_EN: 0
; COMPUTE_PGM_RSRC2:TGID_Z_EN: 0
; COMPUTE_PGM_RSRC2:TIDIG_COMP_CNT: 0
; COMPUTE_PGM_RSRC3_GFX90A:ACCUM_OFFSET: 0
; COMPUTE_PGM_RSRC3_GFX90A:TG_SPLIT: 0
	.section	.text._ZN7rocprim17ROCPRIM_400000_NS6detail17trampoline_kernelINS0_14default_configENS1_27scan_by_key_config_selectorIifEEZZNS1_16scan_by_key_implILNS1_25lookback_scan_determinismE0ELb1ES3_N6thrust23THRUST_200600_302600_NS6detail15normal_iteratorINS9_10device_ptrIiEEEENSB_INSC_IjEEEESE_fNS9_4plusIvEENS9_8equal_toIvEEfEE10hipError_tPvRmT2_T3_T4_T5_mT6_T7_P12ihipStream_tbENKUlT_T0_E_clISt17integral_constantIbLb1EES10_IbLb0EEEEDaSW_SX_EUlSW_E_NS1_11comp_targetILNS1_3genE4ELNS1_11target_archE910ELNS1_3gpuE8ELNS1_3repE0EEENS1_30default_config_static_selectorELNS0_4arch9wavefront6targetE1EEEvT1_,"axG",@progbits,_ZN7rocprim17ROCPRIM_400000_NS6detail17trampoline_kernelINS0_14default_configENS1_27scan_by_key_config_selectorIifEEZZNS1_16scan_by_key_implILNS1_25lookback_scan_determinismE0ELb1ES3_N6thrust23THRUST_200600_302600_NS6detail15normal_iteratorINS9_10device_ptrIiEEEENSB_INSC_IjEEEESE_fNS9_4plusIvEENS9_8equal_toIvEEfEE10hipError_tPvRmT2_T3_T4_T5_mT6_T7_P12ihipStream_tbENKUlT_T0_E_clISt17integral_constantIbLb1EES10_IbLb0EEEEDaSW_SX_EUlSW_E_NS1_11comp_targetILNS1_3genE4ELNS1_11target_archE910ELNS1_3gpuE8ELNS1_3repE0EEENS1_30default_config_static_selectorELNS0_4arch9wavefront6targetE1EEEvT1_,comdat
	.protected	_ZN7rocprim17ROCPRIM_400000_NS6detail17trampoline_kernelINS0_14default_configENS1_27scan_by_key_config_selectorIifEEZZNS1_16scan_by_key_implILNS1_25lookback_scan_determinismE0ELb1ES3_N6thrust23THRUST_200600_302600_NS6detail15normal_iteratorINS9_10device_ptrIiEEEENSB_INSC_IjEEEESE_fNS9_4plusIvEENS9_8equal_toIvEEfEE10hipError_tPvRmT2_T3_T4_T5_mT6_T7_P12ihipStream_tbENKUlT_T0_E_clISt17integral_constantIbLb1EES10_IbLb0EEEEDaSW_SX_EUlSW_E_NS1_11comp_targetILNS1_3genE4ELNS1_11target_archE910ELNS1_3gpuE8ELNS1_3repE0EEENS1_30default_config_static_selectorELNS0_4arch9wavefront6targetE1EEEvT1_ ; -- Begin function _ZN7rocprim17ROCPRIM_400000_NS6detail17trampoline_kernelINS0_14default_configENS1_27scan_by_key_config_selectorIifEEZZNS1_16scan_by_key_implILNS1_25lookback_scan_determinismE0ELb1ES3_N6thrust23THRUST_200600_302600_NS6detail15normal_iteratorINS9_10device_ptrIiEEEENSB_INSC_IjEEEESE_fNS9_4plusIvEENS9_8equal_toIvEEfEE10hipError_tPvRmT2_T3_T4_T5_mT6_T7_P12ihipStream_tbENKUlT_T0_E_clISt17integral_constantIbLb1EES10_IbLb0EEEEDaSW_SX_EUlSW_E_NS1_11comp_targetILNS1_3genE4ELNS1_11target_archE910ELNS1_3gpuE8ELNS1_3repE0EEENS1_30default_config_static_selectorELNS0_4arch9wavefront6targetE1EEEvT1_
	.globl	_ZN7rocprim17ROCPRIM_400000_NS6detail17trampoline_kernelINS0_14default_configENS1_27scan_by_key_config_selectorIifEEZZNS1_16scan_by_key_implILNS1_25lookback_scan_determinismE0ELb1ES3_N6thrust23THRUST_200600_302600_NS6detail15normal_iteratorINS9_10device_ptrIiEEEENSB_INSC_IjEEEESE_fNS9_4plusIvEENS9_8equal_toIvEEfEE10hipError_tPvRmT2_T3_T4_T5_mT6_T7_P12ihipStream_tbENKUlT_T0_E_clISt17integral_constantIbLb1EES10_IbLb0EEEEDaSW_SX_EUlSW_E_NS1_11comp_targetILNS1_3genE4ELNS1_11target_archE910ELNS1_3gpuE8ELNS1_3repE0EEENS1_30default_config_static_selectorELNS0_4arch9wavefront6targetE1EEEvT1_
	.p2align	8
	.type	_ZN7rocprim17ROCPRIM_400000_NS6detail17trampoline_kernelINS0_14default_configENS1_27scan_by_key_config_selectorIifEEZZNS1_16scan_by_key_implILNS1_25lookback_scan_determinismE0ELb1ES3_N6thrust23THRUST_200600_302600_NS6detail15normal_iteratorINS9_10device_ptrIiEEEENSB_INSC_IjEEEESE_fNS9_4plusIvEENS9_8equal_toIvEEfEE10hipError_tPvRmT2_T3_T4_T5_mT6_T7_P12ihipStream_tbENKUlT_T0_E_clISt17integral_constantIbLb1EES10_IbLb0EEEEDaSW_SX_EUlSW_E_NS1_11comp_targetILNS1_3genE4ELNS1_11target_archE910ELNS1_3gpuE8ELNS1_3repE0EEENS1_30default_config_static_selectorELNS0_4arch9wavefront6targetE1EEEvT1_,@function
_ZN7rocprim17ROCPRIM_400000_NS6detail17trampoline_kernelINS0_14default_configENS1_27scan_by_key_config_selectorIifEEZZNS1_16scan_by_key_implILNS1_25lookback_scan_determinismE0ELb1ES3_N6thrust23THRUST_200600_302600_NS6detail15normal_iteratorINS9_10device_ptrIiEEEENSB_INSC_IjEEEESE_fNS9_4plusIvEENS9_8equal_toIvEEfEE10hipError_tPvRmT2_T3_T4_T5_mT6_T7_P12ihipStream_tbENKUlT_T0_E_clISt17integral_constantIbLb1EES10_IbLb0EEEEDaSW_SX_EUlSW_E_NS1_11comp_targetILNS1_3genE4ELNS1_11target_archE910ELNS1_3gpuE8ELNS1_3repE0EEENS1_30default_config_static_selectorELNS0_4arch9wavefront6targetE1EEEvT1_: ; @_ZN7rocprim17ROCPRIM_400000_NS6detail17trampoline_kernelINS0_14default_configENS1_27scan_by_key_config_selectorIifEEZZNS1_16scan_by_key_implILNS1_25lookback_scan_determinismE0ELb1ES3_N6thrust23THRUST_200600_302600_NS6detail15normal_iteratorINS9_10device_ptrIiEEEENSB_INSC_IjEEEESE_fNS9_4plusIvEENS9_8equal_toIvEEfEE10hipError_tPvRmT2_T3_T4_T5_mT6_T7_P12ihipStream_tbENKUlT_T0_E_clISt17integral_constantIbLb1EES10_IbLb0EEEEDaSW_SX_EUlSW_E_NS1_11comp_targetILNS1_3genE4ELNS1_11target_archE910ELNS1_3gpuE8ELNS1_3repE0EEENS1_30default_config_static_selectorELNS0_4arch9wavefront6targetE1EEEvT1_
; %bb.0:
	s_load_dwordx8 s[36:43], s[4:5], 0x0
	s_load_dword s7, s[4:5], 0x20
	s_load_dwordx4 s[44:47], s[4:5], 0x28
	s_load_dwordx2 s[52:53], s[4:5], 0x38
	s_load_dword s0, s[4:5], 0x40
	s_load_dwordx4 s[48:51], s[4:5], 0x48
	s_waitcnt lgkmcnt(0)
	s_lshl_b64 s[34:35], s[38:39], 2
	s_add_u32 s2, s36, s34
	s_addc_u32 s3, s37, s35
	s_add_u32 s4, s40, s34
	s_mul_i32 s1, s53, s0
	s_mul_hi_u32 s8, s52, s0
	s_addc_u32 s5, s41, s35
	s_add_i32 s8, s8, s1
	s_mul_i32 s9, s52, s0
	s_mul_i32 s0, s6, 0xe00
	s_mov_b32 s1, 0
	s_lshl_b64 s[36:37], s[0:1], 2
	s_add_u32 s38, s2, s36
	s_addc_u32 s39, s3, s37
	s_add_u32 s47, s4, s36
	s_addc_u32 s56, s5, s37
	;; [unrolled: 2-line block ×3, first 2 shown]
	s_add_u32 s4, s48, -1
	s_addc_u32 s5, s49, -1
	v_pk_mov_b32 v[2:3], s[4:5], s[4:5] op_sel:[0,1]
	v_cmp_ge_u64_e64 s[0:1], s[0:1], v[2:3]
	s_mov_b64 s[2:3], -1
	s_and_b64 vcc, exec, s[0:1]
	s_mul_i32 s33, s4, 0xfffff200
	s_barrier
	s_cbranch_vccz .LBB1809_76
; %bb.1:
	v_pk_mov_b32 v[2:3], s[38:39], s[38:39] op_sel:[0,1]
	flat_load_dword v2, v[2:3]
	s_add_i32 s58, s33, s46
	v_cmp_gt_u32_e32 vcc, s58, v0
	s_waitcnt vmcnt(0) lgkmcnt(0)
	v_mov_b32_e32 v3, v2
	s_and_saveexec_b64 s[4:5], vcc
	s_cbranch_execz .LBB1809_3
; %bb.2:
	v_lshlrev_b32_e32 v1, 2, v0
	v_mov_b32_e32 v3, s39
	v_add_co_u32_e64 v4, s[2:3], s38, v1
	v_addc_co_u32_e64 v5, s[2:3], 0, v3, s[2:3]
	flat_load_dword v3, v[4:5]
.LBB1809_3:
	s_or_b64 exec, exec, s[4:5]
	v_or_b32_e32 v1, 0x100, v0
	v_cmp_gt_u32_e64 s[2:3], s58, v1
	v_mov_b32_e32 v4, v2
	s_and_saveexec_b64 s[8:9], s[2:3]
	s_cbranch_execz .LBB1809_5
; %bb.4:
	v_lshlrev_b32_e32 v1, 2, v0
	v_mov_b32_e32 v5, s39
	v_add_co_u32_e64 v4, s[4:5], s38, v1
	v_addc_co_u32_e64 v5, s[4:5], 0, v5, s[4:5]
	flat_load_dword v4, v[4:5] offset:1024
.LBB1809_5:
	s_or_b64 exec, exec, s[8:9]
	v_or_b32_e32 v1, 0x200, v0
	v_cmp_gt_u32_e64 s[4:5], s58, v1
	v_mov_b32_e32 v5, v2
	s_and_saveexec_b64 s[10:11], s[4:5]
	s_cbranch_execz .LBB1809_7
; %bb.6:
	v_lshlrev_b32_e32 v1, 2, v0
	v_mov_b32_e32 v5, s39
	v_add_co_u32_e64 v6, s[8:9], s38, v1
	v_addc_co_u32_e64 v7, s[8:9], 0, v5, s[8:9]
	flat_load_dword v5, v[6:7] offset:2048
.LBB1809_7:
	;; [unrolled: 13-line block ×3, first 2 shown]
	s_or_b64 exec, exec, s[10:11]
	v_or_b32_e32 v1, 0x400, v0
	v_cmp_gt_u32_e64 s[8:9], s58, v1
	v_mov_b32_e32 v7, v2
	s_and_saveexec_b64 s[12:13], s[8:9]
	s_cbranch_execz .LBB1809_11
; %bb.10:
	v_lshlrev_b32_e32 v7, 2, v1
	v_mov_b32_e32 v9, s39
	v_add_co_u32_e64 v8, s[10:11], s38, v7
	v_addc_co_u32_e64 v9, s[10:11], 0, v9, s[10:11]
	flat_load_dword v7, v[8:9]
.LBB1809_11:
	s_or_b64 exec, exec, s[12:13]
	v_or_b32_e32 v16, 0x500, v0
	v_cmp_gt_u32_e64 s[10:11], s58, v16
	v_mov_b32_e32 v8, v2
	s_and_saveexec_b64 s[14:15], s[10:11]
	s_cbranch_execz .LBB1809_13
; %bb.12:
	v_lshlrev_b32_e32 v8, 2, v16
	v_mov_b32_e32 v9, s39
	v_add_co_u32_e64 v8, s[12:13], s38, v8
	v_addc_co_u32_e64 v9, s[12:13], 0, v9, s[12:13]
	flat_load_dword v8, v[8:9]
.LBB1809_13:
	;; [unrolled: 13-line block ×9, first 2 shown]
	s_or_b64 exec, exec, s[30:31]
	v_or_b32_e32 v26, 0xd00, v0
	v_cmp_gt_u32_e64 s[26:27], s58, v26
	s_and_saveexec_b64 s[40:41], s[26:27]
	s_cbranch_execz .LBB1809_29
; %bb.28:
	v_lshlrev_b32_e32 v2, 2, v26
	v_mov_b32_e32 v19, s39
	v_add_co_u32_e64 v18, s[30:31], s38, v2
	v_addc_co_u32_e64 v19, s[30:31], 0, v19, s[30:31]
	flat_load_dword v2, v[18:19]
.LBB1809_29:
	s_or_b64 exec, exec, s[40:41]
	v_lshlrev_b32_e32 v27, 2, v0
	s_waitcnt vmcnt(0) lgkmcnt(0)
	ds_write2st64_b32 v27, v3, v4 offset1:4
	ds_write2st64_b32 v27, v5, v6 offset0:8 offset1:12
	ds_write2st64_b32 v27, v7, v8 offset0:16 offset1:20
	;; [unrolled: 1-line block ×6, first 2 shown]
	v_pk_mov_b32 v[2:3], s[38:39], s[38:39] op_sel:[0,1]
	s_waitcnt lgkmcnt(0)
	s_barrier
	flat_load_dword v18, v[2:3]
	v_mad_u32_u24 v19, v0, 52, v27
	s_movk_i32 s30, 0xffcc
	ds_read2_b64 v[10:13], v19 offset1:1
	ds_read2_b64 v[6:9], v19 offset0:2 offset1:3
	ds_read2_b64 v[2:5], v19 offset0:4 offset1:5
	ds_read_b64 v[14:15], v19 offset:48
	v_mad_i32_i24 v28, v0, s30, v19
	s_movk_i32 s30, 0xff
	v_cmp_ne_u32_e64 s[30:31], s30, v0
	s_waitcnt lgkmcnt(0)
	ds_write_b32 v28, v10 offset:15360
	s_waitcnt lgkmcnt(0)
	s_barrier
	s_and_saveexec_b64 s[40:41], s[30:31]
	s_cbranch_execz .LBB1809_31
; %bb.30:
	s_waitcnt vmcnt(0)
	ds_read_b32 v18, v27 offset:15364
.LBB1809_31:
	s_or_b64 exec, exec, s[40:41]
	s_waitcnt lgkmcnt(0)
	s_barrier
	s_waitcnt lgkmcnt(0)
                                        ; implicit-def: $vgpr28
	s_and_saveexec_b64 s[30:31], vcc
	s_cbranch_execz .LBB1809_151
; %bb.32:
	v_mov_b32_e32 v29, s56
	v_add_co_u32_e32 v28, vcc, s47, v27
	v_addc_co_u32_e32 v29, vcc, 0, v29, vcc
	flat_load_dword v28, v[28:29]
	s_waitcnt vmcnt(0) lgkmcnt(0)
	v_cvt_f32_u32_e32 v28, v28
	s_or_b64 exec, exec, s[30:31]
                                        ; implicit-def: $vgpr29
	s_and_saveexec_b64 s[30:31], s[2:3]
	s_cbranch_execnz .LBB1809_152
.LBB1809_33:
	s_or_b64 exec, exec, s[30:31]
                                        ; implicit-def: $vgpr30
	s_and_saveexec_b64 s[2:3], s[4:5]
	s_cbranch_execz .LBB1809_153
.LBB1809_34:
	v_mov_b32_e32 v31, s56
	v_add_co_u32_e32 v30, vcc, s47, v27
	v_addc_co_u32_e32 v31, vcc, 0, v31, vcc
	flat_load_dword v30, v[30:31] offset:2048
	s_waitcnt vmcnt(0) lgkmcnt(0)
	v_cvt_f32_u32_e32 v30, v30
	s_or_b64 exec, exec, s[2:3]
                                        ; implicit-def: $vgpr31
	s_and_saveexec_b64 s[2:3], s[28:29]
	s_cbranch_execnz .LBB1809_154
.LBB1809_35:
	s_or_b64 exec, exec, s[2:3]
                                        ; implicit-def: $vgpr32
	s_and_saveexec_b64 s[2:3], s[8:9]
	s_cbranch_execz .LBB1809_155
.LBB1809_36:
	v_lshlrev_b32_e32 v1, 2, v1
	v_mov_b32_e32 v33, s56
	v_add_co_u32_e32 v32, vcc, s47, v1
	v_addc_co_u32_e32 v33, vcc, 0, v33, vcc
	flat_load_dword v1, v[32:33]
	s_waitcnt vmcnt(0) lgkmcnt(0)
	v_cvt_f32_u32_e32 v32, v1
	s_or_b64 exec, exec, s[2:3]
                                        ; implicit-def: $vgpr1
	s_and_saveexec_b64 s[2:3], s[10:11]
	s_cbranch_execnz .LBB1809_156
.LBB1809_37:
	s_or_b64 exec, exec, s[2:3]
                                        ; implicit-def: $vgpr16
	s_and_saveexec_b64 s[2:3], s[12:13]
	s_cbranch_execz .LBB1809_157
.LBB1809_38:
	v_lshlrev_b32_e32 v16, 2, v17
	v_mov_b32_e32 v17, s56
	v_add_co_u32_e32 v16, vcc, s47, v16
	v_addc_co_u32_e32 v17, vcc, 0, v17, vcc
	flat_load_dword v16, v[16:17]
	s_waitcnt vmcnt(0) lgkmcnt(0)
	v_cvt_f32_u32_e32 v16, v16
	s_or_b64 exec, exec, s[2:3]
                                        ; implicit-def: $vgpr17
	s_and_saveexec_b64 s[2:3], s[14:15]
	s_cbranch_execnz .LBB1809_158
.LBB1809_39:
	s_or_b64 exec, exec, s[2:3]
                                        ; implicit-def: $vgpr33
	s_and_saveexec_b64 s[2:3], s[16:17]
	s_cbranch_execz .LBB1809_159
.LBB1809_40:
	v_lshlrev_b32_e32 v20, 2, v21
	v_mov_b32_e32 v21, s56
	v_add_co_u32_e32 v20, vcc, s47, v20
	v_addc_co_u32_e32 v21, vcc, 0, v21, vcc
	flat_load_dword v20, v[20:21]
	s_waitcnt vmcnt(0) lgkmcnt(0)
	v_cvt_f32_u32_e32 v33, v20
	s_or_b64 exec, exec, s[2:3]
                                        ; implicit-def: $vgpr21
	s_and_saveexec_b64 s[2:3], s[18:19]
	s_cbranch_execnz .LBB1809_160
.LBB1809_41:
	s_or_b64 exec, exec, s[2:3]
                                        ; implicit-def: $vgpr22
	s_and_saveexec_b64 s[2:3], s[20:21]
	s_cbranch_execz .LBB1809_161
.LBB1809_42:
	v_lshlrev_b32_e32 v20, 2, v23
	v_mov_b32_e32 v23, s56
	v_add_co_u32_e32 v22, vcc, s47, v20
	v_addc_co_u32_e32 v23, vcc, 0, v23, vcc
	flat_load_dword v20, v[22:23]
	s_waitcnt vmcnt(0) lgkmcnt(0)
	v_cvt_f32_u32_e32 v22, v20
	s_or_b64 exec, exec, s[2:3]
                                        ; implicit-def: $vgpr23
	s_and_saveexec_b64 s[2:3], s[22:23]
	s_cbranch_execnz .LBB1809_162
.LBB1809_43:
	s_or_b64 exec, exec, s[2:3]
                                        ; implicit-def: $vgpr24
	s_and_saveexec_b64 s[2:3], s[24:25]
	s_cbranch_execz .LBB1809_45
.LBB1809_44:
	v_lshlrev_b32_e32 v20, 2, v25
	v_mov_b32_e32 v25, s56
	v_add_co_u32_e32 v24, vcc, s47, v20
	v_addc_co_u32_e32 v25, vcc, 0, v25, vcc
	flat_load_dword v20, v[24:25]
	s_waitcnt vmcnt(0) lgkmcnt(0)
	v_cvt_f32_u32_e32 v24, v20
.LBB1809_45:
	s_or_b64 exec, exec, s[2:3]
	v_mul_u32_u24_e32 v20, 14, v0
                                        ; implicit-def: $vgpr25
	s_and_saveexec_b64 s[2:3], s[26:27]
	s_cbranch_execz .LBB1809_47
; %bb.46:
	v_lshlrev_b32_e32 v25, 2, v26
	v_mov_b32_e32 v26, s56
	v_add_co_u32_e32 v34, vcc, s47, v25
	v_addc_co_u32_e32 v35, vcc, 0, v26, vcc
	flat_load_dword v25, v[34:35]
	s_waitcnt vmcnt(0) lgkmcnt(0)
	v_cvt_f32_u32_e32 v25, v25
.LBB1809_47:
	s_or_b64 exec, exec, s[2:3]
	ds_write2st64_b32 v27, v28, v29 offset1:4
	ds_write2st64_b32 v27, v30, v31 offset0:8 offset1:12
	ds_write2st64_b32 v27, v32, v1 offset0:16 offset1:20
	;; [unrolled: 1-line block ×6, first 2 shown]
	v_cmp_gt_u32_e32 vcc, s58, v20
	s_mov_b64 s[2:3], 0
	s_mov_b32 s57, 0
	v_mov_b32_e32 v1, 0
	v_mov_b32_e32 v24, 0
	s_mov_b64 s[10:11], 0
	v_mov_b32_e32 v39, 0
	v_mov_b32_e32 v28, 0
	;; [unrolled: 1-line block ×24, first 2 shown]
	s_waitcnt lgkmcnt(0)
	s_barrier
	s_waitcnt lgkmcnt(0)
                                        ; implicit-def: $sgpr8_sgpr9
                                        ; implicit-def: $vgpr16
	s_and_saveexec_b64 s[4:5], vcc
	s_cbranch_execz .LBB1809_75
; %bb.48:
	ds_read_b32 v16, v19
	v_or_b32_e32 v17, 1, v20
	v_cmp_ne_u32_e32 vcc, v10, v11
	v_mov_b32_e32 v10, s7
	v_cndmask_b32_e64 v1, 0, 1, vcc
	s_waitcnt lgkmcnt(0)
	v_cndmask_b32_e32 v28, v16, v10, vcc
	v_cmp_gt_u32_e32 vcc, s58, v17
	v_mov_b32_e32 v24, 0
	v_mov_b32_e32 v39, 0
	;; [unrolled: 1-line block ×24, first 2 shown]
                                        ; implicit-def: $sgpr12_sgpr13
                                        ; implicit-def: $vgpr16
	s_and_saveexec_b64 s[8:9], vcc
	s_cbranch_execz .LBB1809_74
; %bb.49:
	ds_read2_b32 v[16:17], v19 offset0:1 offset1:2
	v_add_u32_e32 v10, 2, v20
	v_cmp_ne_u32_e32 vcc, v11, v12
	v_mov_b32_e32 v11, s7
	v_cndmask_b32_e64 v32, 0, 1, vcc
	s_waitcnt lgkmcnt(0)
	v_cndmask_b32_e32 v26, v16, v11, vcc
	v_cmp_gt_u32_e32 vcc, s58, v10
	s_mov_b64 s[14:15], 0
	v_mov_b32_e32 v24, 0
	v_mov_b32_e32 v39, 0
	;; [unrolled: 1-line block ×22, first 2 shown]
                                        ; implicit-def: $sgpr12_sgpr13
                                        ; implicit-def: $vgpr16
	s_and_saveexec_b64 s[10:11], vcc
	s_cbranch_execz .LBB1809_73
; %bb.50:
	v_add_u32_e32 v10, 3, v20
	v_cmp_ne_u32_e32 vcc, v12, v13
	v_mov_b32_e32 v11, s7
	v_cndmask_b32_e64 v35, 0, 1, vcc
	v_cndmask_b32_e32 v27, v17, v11, vcc
	v_cmp_gt_u32_e32 vcc, s58, v10
	v_mov_b32_e32 v24, 0
	v_mov_b32_e32 v39, 0
	;; [unrolled: 1-line block ×20, first 2 shown]
                                        ; implicit-def: $sgpr16_sgpr17
                                        ; implicit-def: $vgpr16
	s_and_saveexec_b64 s[12:13], vcc
	s_cbranch_execz .LBB1809_72
; %bb.51:
	ds_read2_b32 v[10:11], v19 offset0:3 offset1:4
	v_add_u32_e32 v12, 4, v20
	v_cmp_ne_u32_e32 vcc, v13, v6
	v_mov_b32_e32 v13, s7
	v_cndmask_b32_e64 v40, 0, 1, vcc
	s_waitcnt lgkmcnt(0)
	v_cndmask_b32_e32 v29, v10, v13, vcc
	v_cmp_gt_u32_e32 vcc, s58, v12
	s_mov_b64 s[18:19], 0
	v_mov_b32_e32 v24, 0
	v_mov_b32_e32 v39, 0
	;; [unrolled: 1-line block ×18, first 2 shown]
                                        ; implicit-def: $sgpr16_sgpr17
                                        ; implicit-def: $vgpr16
	s_and_saveexec_b64 s[14:15], vcc
	s_cbranch_execz .LBB1809_71
; %bb.52:
	v_add_u32_e32 v10, 5, v20
	v_cmp_ne_u32_e32 vcc, v6, v7
	v_mov_b32_e32 v6, s7
	v_cndmask_b32_e64 v41, 0, 1, vcc
	v_cndmask_b32_e32 v25, v11, v6, vcc
	v_cmp_gt_u32_e32 vcc, s58, v10
	v_mov_b32_e32 v24, 0
	v_mov_b32_e32 v39, 0
	;; [unrolled: 1-line block ×16, first 2 shown]
                                        ; implicit-def: $sgpr20_sgpr21
                                        ; implicit-def: $vgpr16
	s_and_saveexec_b64 s[16:17], vcc
	s_cbranch_execz .LBB1809_70
; %bb.53:
	ds_read2_b32 v[10:11], v19 offset0:5 offset1:6
	v_add_u32_e32 v6, 6, v20
	v_cmp_ne_u32_e32 vcc, v7, v8
	v_mov_b32_e32 v7, s7
	v_cndmask_b32_e64 v42, 0, 1, vcc
	s_waitcnt lgkmcnt(0)
	v_cndmask_b32_e32 v30, v10, v7, vcc
	v_cmp_gt_u32_e32 vcc, s58, v6
	s_mov_b64 s[22:23], 0
	v_mov_b32_e32 v24, 0
	v_mov_b32_e32 v39, 0
	;; [unrolled: 1-line block ×14, first 2 shown]
                                        ; implicit-def: $sgpr20_sgpr21
                                        ; implicit-def: $vgpr16
	s_and_saveexec_b64 s[18:19], vcc
	s_cbranch_execz .LBB1809_69
; %bb.54:
	v_add_u32_e32 v6, 7, v20
	v_cmp_ne_u32_e32 vcc, v8, v9
	v_mov_b32_e32 v7, s7
	v_cndmask_b32_e64 v43, 0, 1, vcc
	v_cndmask_b32_e32 v31, v11, v7, vcc
	v_cmp_gt_u32_e32 vcc, s58, v6
	v_mov_b32_e32 v24, 0
	v_mov_b32_e32 v39, 0
	;; [unrolled: 1-line block ×12, first 2 shown]
                                        ; implicit-def: $sgpr24_sgpr25
                                        ; implicit-def: $vgpr16
	s_and_saveexec_b64 s[20:21], vcc
	s_cbranch_execz .LBB1809_68
; %bb.55:
	ds_read2_b32 v[6:7], v19 offset0:7 offset1:8
	v_add_u32_e32 v8, 8, v20
	v_cmp_ne_u32_e32 vcc, v9, v2
	v_mov_b32_e32 v9, s7
	v_cndmask_b32_e64 v44, 0, 1, vcc
	s_waitcnt lgkmcnt(0)
	v_cndmask_b32_e32 v33, v6, v9, vcc
	v_cmp_gt_u32_e32 vcc, s58, v8
	s_mov_b64 s[26:27], 0
	v_mov_b32_e32 v24, 0
	v_mov_b32_e32 v39, 0
	;; [unrolled: 1-line block ×10, first 2 shown]
                                        ; implicit-def: $sgpr24_sgpr25
                                        ; implicit-def: $vgpr16
	s_and_saveexec_b64 s[22:23], vcc
	s_cbranch_execz .LBB1809_67
; %bb.56:
	v_add_u32_e32 v6, 9, v20
	v_cmp_ne_u32_e32 vcc, v2, v3
	v_mov_b32_e32 v2, s7
	v_cndmask_b32_e64 v45, 0, 1, vcc
	v_cndmask_b32_e32 v34, v7, v2, vcc
	v_cmp_gt_u32_e32 vcc, s58, v6
	v_mov_b32_e32 v24, 0
	v_mov_b32_e32 v39, 0
	;; [unrolled: 1-line block ×8, first 2 shown]
                                        ; implicit-def: $sgpr28_sgpr29
                                        ; implicit-def: $vgpr16
	s_and_saveexec_b64 s[24:25], vcc
	s_cbranch_execz .LBB1809_66
; %bb.57:
	ds_read2_b32 v[6:7], v19 offset0:9 offset1:10
	v_add_u32_e32 v2, 10, v20
	v_cmp_ne_u32_e32 vcc, v3, v4
	v_mov_b32_e32 v3, s7
	v_cndmask_b32_e64 v46, 0, 1, vcc
	s_waitcnt lgkmcnt(0)
	v_cndmask_b32_e32 v36, v6, v3, vcc
	v_cmp_gt_u32_e32 vcc, s58, v2
	s_mov_b64 s[30:31], 0
	v_mov_b32_e32 v24, 0
	v_mov_b32_e32 v39, 0
	;; [unrolled: 1-line block ×6, first 2 shown]
                                        ; implicit-def: $sgpr28_sgpr29
                                        ; implicit-def: $vgpr16
	s_and_saveexec_b64 s[26:27], vcc
	s_cbranch_execz .LBB1809_65
; %bb.58:
	v_add_u32_e32 v2, 11, v20
	v_cmp_ne_u32_e32 vcc, v4, v5
	v_mov_b32_e32 v3, s7
	v_cndmask_b32_e64 v47, 0, 1, vcc
	v_cndmask_b32_e32 v37, v7, v3, vcc
	v_cmp_gt_u32_e32 vcc, s58, v2
	v_mov_b32_e32 v24, 0
	v_mov_b32_e32 v39, 0
	;; [unrolled: 1-line block ×4, first 2 shown]
                                        ; implicit-def: $sgpr40_sgpr41
                                        ; implicit-def: $vgpr16
	s_and_saveexec_b64 s[28:29], vcc
	s_cbranch_execz .LBB1809_64
; %bb.59:
	ds_read2_b32 v[2:3], v19 offset0:11 offset1:12
	v_add_u32_e32 v4, 12, v20
	v_cmp_ne_u32_e32 vcc, v5, v14
	v_mov_b32_e32 v5, s7
	v_cndmask_b32_e64 v48, 0, 1, vcc
	s_waitcnt lgkmcnt(0)
	v_cndmask_b32_e32 v38, v2, v5, vcc
	v_cmp_gt_u32_e32 vcc, s58, v4
	s_mov_b64 s[48:49], 0
	v_mov_b32_e32 v24, 0
	v_mov_b32_e32 v39, 0
                                        ; implicit-def: $sgpr54_sgpr55
                                        ; implicit-def: $vgpr16
	s_and_saveexec_b64 s[30:31], vcc
	s_cbranch_execz .LBB1809_63
; %bb.60:
	v_add_u32_e32 v2, 13, v20
	v_cmp_ne_u32_e32 vcc, v14, v15
	v_mov_b32_e32 v4, s7
	v_cndmask_b32_e64 v39, 0, 1, vcc
	v_cndmask_b32_e32 v24, v3, v4, vcc
	v_cmp_gt_u32_e32 vcc, s58, v2
	s_mov_b64 s[40:41], 0
                                        ; implicit-def: $sgpr48_sgpr49
                                        ; implicit-def: $vgpr16
	s_and_saveexec_b64 s[54:55], vcc
	s_xor_b64 s[54:55], exec, s[54:55]
	s_cbranch_execz .LBB1809_62
; %bb.61:
	ds_read_b32 v2, v19 offset:52
	v_mov_b32_e32 v3, s7
	s_waitcnt vmcnt(0)
	v_cmp_ne_u32_e32 vcc, v15, v18
	s_mov_b64 s[40:41], exec
	s_and_b64 s[48:49], vcc, exec
	s_waitcnt lgkmcnt(0)
	v_cndmask_b32_e32 v16, v2, v3, vcc
.LBB1809_62:
	s_or_b64 exec, exec, s[54:55]
	s_and_b64 s[54:55], s[48:49], exec
	s_and_b64 s[48:49], s[40:41], exec
.LBB1809_63:
	s_or_b64 exec, exec, s[30:31]
	s_and_b64 s[40:41], s[54:55], exec
	s_and_b64 s[30:31], s[48:49], exec
.LBB1809_64:
	s_or_b64 exec, exec, s[28:29]
	s_and_b64 s[28:29], s[40:41], exec
	s_and_b64 s[30:31], s[30:31], exec
.LBB1809_65:
	s_or_b64 exec, exec, s[26:27]
	s_and_b64 s[28:29], s[28:29], exec
	s_and_b64 s[26:27], s[30:31], exec
.LBB1809_66:
	s_or_b64 exec, exec, s[24:25]
	s_and_b64 s[24:25], s[28:29], exec
	s_and_b64 s[26:27], s[26:27], exec
.LBB1809_67:
	s_or_b64 exec, exec, s[22:23]
	s_and_b64 s[24:25], s[24:25], exec
	s_and_b64 s[22:23], s[26:27], exec
.LBB1809_68:
	s_or_b64 exec, exec, s[20:21]
	s_and_b64 s[20:21], s[24:25], exec
	s_and_b64 s[22:23], s[22:23], exec
.LBB1809_69:
	s_or_b64 exec, exec, s[18:19]
	s_and_b64 s[20:21], s[20:21], exec
	s_and_b64 s[18:19], s[22:23], exec
.LBB1809_70:
	s_or_b64 exec, exec, s[16:17]
	s_and_b64 s[16:17], s[20:21], exec
	s_and_b64 s[18:19], s[18:19], exec
.LBB1809_71:
	s_or_b64 exec, exec, s[14:15]
	s_and_b64 s[16:17], s[16:17], exec
	s_and_b64 s[14:15], s[18:19], exec
.LBB1809_72:
	s_or_b64 exec, exec, s[12:13]
	s_and_b64 s[12:13], s[16:17], exec
	s_and_b64 s[14:15], s[14:15], exec
.LBB1809_73:
	s_or_b64 exec, exec, s[10:11]
	s_and_b64 s[12:13], s[12:13], exec
	s_and_b64 s[10:11], s[14:15], exec
.LBB1809_74:
	s_or_b64 exec, exec, s[8:9]
	s_and_b64 s[8:9], s[12:13], exec
	s_and_b64 s[10:11], s[10:11], exec
.LBB1809_75:
	s_or_b64 exec, exec, s[4:5]
	s_mov_b32 s4, 0
	s_and_b64 vcc, exec, s[2:3]
	v_lshlrev_b32_e32 v49, 2, v0
	s_cbranch_vccnz .LBB1809_77
	s_branch .LBB1809_82
.LBB1809_76:
	s_mov_b64 s[10:11], 0
                                        ; implicit-def: $sgpr8_sgpr9
                                        ; implicit-def: $vgpr16
                                        ; implicit-def: $vgpr1
                                        ; implicit-def: $vgpr24
                                        ; implicit-def: $vgpr39
                                        ; implicit-def: $vgpr28
                                        ; implicit-def: $vgpr38
                                        ; implicit-def: $vgpr48
                                        ; implicit-def: $vgpr32
                                        ; implicit-def: $vgpr37
                                        ; implicit-def: $vgpr47
                                        ; implicit-def: $vgpr26
                                        ; implicit-def: $vgpr36
                                        ; implicit-def: $vgpr46
                                        ; implicit-def: $vgpr35
                                        ; implicit-def: $vgpr34
                                        ; implicit-def: $vgpr45
                                        ; implicit-def: $vgpr27
                                        ; implicit-def: $vgpr33
                                        ; implicit-def: $vgpr44
                                        ; implicit-def: $vgpr40
                                        ; implicit-def: $vgpr31
                                        ; implicit-def: $vgpr43
                                        ; implicit-def: $vgpr29
                                        ; implicit-def: $vgpr30
                                        ; implicit-def: $vgpr42
                                        ; implicit-def: $vgpr41
                                        ; implicit-def: $vgpr25
                                        ; implicit-def: $sgpr4
                                        ; implicit-def: $sgpr57
	s_and_b64 vcc, exec, s[2:3]
	v_lshlrev_b32_e32 v49, 2, v0
	s_cbranch_vccz .LBB1809_82
.LBB1809_77:
	v_mov_b32_e32 v1, s39
	v_add_co_u32_e32 v2, vcc, s38, v49
	v_addc_co_u32_e32 v3, vcc, 0, v1, vcc
	v_add_co_u32_e32 v4, vcc, 0x1000, v2
	v_addc_co_u32_e32 v5, vcc, 0, v3, vcc
	flat_load_dword v1, v[2:3]
	flat_load_dword v6, v[2:3] offset:1024
	flat_load_dword v7, v[2:3] offset:2048
	;; [unrolled: 1-line block ×3, first 2 shown]
	flat_load_dword v9, v[4:5]
	flat_load_dword v10, v[4:5] offset:1024
	flat_load_dword v11, v[4:5] offset:2048
	;; [unrolled: 1-line block ×3, first 2 shown]
	v_add_co_u32_e32 v4, vcc, 0x2000, v2
	v_addc_co_u32_e32 v5, vcc, 0, v3, vcc
	v_add_co_u32_e32 v2, vcc, 0x3000, v2
	v_addc_co_u32_e32 v3, vcc, 0, v3, vcc
	flat_load_dword v13, v[4:5]
	flat_load_dword v14, v[4:5] offset:1024
	flat_load_dword v15, v[4:5] offset:2048
	;; [unrolled: 1-line block ×3, first 2 shown]
	flat_load_dword v17, v[2:3]
	s_waitcnt vmcnt(0)
	flat_load_dword v18, v[2:3] offset:1024
	v_mov_b32_e32 v2, s38
	v_mov_b32_e32 v3, s39
	v_add_co_u32_e32 v2, vcc, 0x3000, v2
	v_addc_co_u32_e32 v3, vcc, 0, v3, vcc
	s_movk_i32 s2, 0xffcc
	s_movk_i32 s8, 0x1000
	;; [unrolled: 1-line block ×4, first 2 shown]
	s_waitcnt lgkmcnt(0)
	ds_write2st64_b32 v49, v1, v6 offset1:4
	ds_write2st64_b32 v49, v7, v8 offset0:8 offset1:12
	ds_write2st64_b32 v49, v9, v10 offset0:16 offset1:20
	;; [unrolled: 1-line block ×5, first 2 shown]
	s_waitcnt vmcnt(0)
	ds_write2st64_b32 v49, v17, v18 offset0:48 offset1:52
	s_waitcnt lgkmcnt(0)
	s_barrier
	flat_load_dword v50, v[2:3] offset:2048
	v_mad_u32_u24 v1, v0, 52, v49
	ds_read2_b64 v[10:13], v1 offset1:1
	ds_read2_b64 v[6:9], v1 offset0:2 offset1:3
	ds_read2_b64 v[2:5], v1 offset0:4 offset1:5
	ds_read_b64 v[14:15], v1 offset:48
	v_mad_i32_i24 v16, v0, s2, v1
	s_movk_i32 s2, 0xff
	v_cmp_ne_u32_e32 vcc, s2, v0
	s_waitcnt lgkmcnt(0)
	ds_write_b32 v16, v10 offset:15360
	s_waitcnt lgkmcnt(0)
	s_barrier
	s_and_saveexec_b64 s[2:3], vcc
	s_cbranch_execz .LBB1809_79
; %bb.78:
	s_waitcnt vmcnt(0)
	ds_read_b32 v50, v49 offset:15364
.LBB1809_79:
	s_or_b64 exec, exec, s[2:3]
	v_mov_b32_e32 v17, s56
	v_add_co_u32_e32 v16, vcc, s47, v49
	v_addc_co_u32_e32 v17, vcc, 0, v17, vcc
	v_add_co_u32_e32 v18, vcc, s8, v16
	v_addc_co_u32_e32 v19, vcc, 0, v17, vcc
	s_waitcnt lgkmcnt(0)
	s_barrier
	flat_load_dword v20, v[16:17]
	flat_load_dword v21, v[16:17] offset:1024
	flat_load_dword v22, v[16:17] offset:2048
	flat_load_dword v23, v[16:17] offset:3072
	flat_load_dword v24, v[18:19]
	flat_load_dword v25, v[18:19] offset:1024
	flat_load_dword v26, v[18:19] offset:2048
	flat_load_dword v27, v[18:19] offset:3072
	v_add_co_u32_e32 v18, vcc, s5, v16
	v_addc_co_u32_e32 v19, vcc, 0, v17, vcc
	v_add_co_u32_e32 v16, vcc, s4, v16
	v_addc_co_u32_e32 v17, vcc, 0, v17, vcc
	flat_load_dword v28, v[18:19]
	flat_load_dword v29, v[18:19] offset:1024
	flat_load_dword v30, v[18:19] offset:2048
	;; [unrolled: 1-line block ×3, first 2 shown]
	flat_load_dword v32, v[16:17]
	flat_load_dword v33, v[16:17] offset:1024
	v_cmp_ne_u32_e32 vcc, v10, v11
	v_cmp_eq_u32_e64 s[2:3], v10, v11
	s_waitcnt vmcnt(0) lgkmcnt(0)
	v_cvt_f32_u32_e32 v16, v20
	v_cvt_f32_u32_e32 v17, v21
	;; [unrolled: 1-line block ×14, first 2 shown]
	ds_write2st64_b32 v49, v16, v17 offset1:4
	ds_write2st64_b32 v49, v18, v19 offset0:8 offset1:12
	ds_write2st64_b32 v49, v20, v21 offset0:16 offset1:20
	;; [unrolled: 1-line block ×6, first 2 shown]
	s_waitcnt lgkmcnt(0)
	s_barrier
	ds_read2_b32 v[26:27], v1 offset0:1 offset1:2
	ds_read2_b32 v[24:25], v1 offset0:3 offset1:4
	;; [unrolled: 1-line block ×6, first 2 shown]
	ds_read_b32 v51, v1 offset:52
	v_mov_b32_e32 v28, s7
	s_and_saveexec_b64 s[4:5], s[2:3]
	s_cbranch_execz .LBB1809_81
; %bb.80:
	ds_read_b32 v28, v1
.LBB1809_81:
	s_or_b64 exec, exec, s[4:5]
	v_cmp_ne_u32_e64 s[8:9], v6, v7
	v_cmp_ne_u32_e64 s[14:15], v9, v2
	;; [unrolled: 1-line block ×3, first 2 shown]
	v_mov_b32_e32 v2, s7
	v_cndmask_b32_e64 v1, 0, 1, vcc
	v_cmp_ne_u32_e32 vcc, v11, v12
	v_cmp_ne_u32_e64 s[2:3], v12, v13
	v_cmp_ne_u32_e64 s[4:5], v13, v6
	v_cndmask_b32_e64 v41, 0, 1, s[8:9]
	v_cmp_ne_u32_e64 s[10:11], v7, v8
	v_cmp_ne_u32_e64 s[12:13], v8, v9
	;; [unrolled: 1-line block ×6, first 2 shown]
	s_waitcnt lgkmcnt(5)
	v_cndmask_b32_e64 v25, v25, v2, s[8:9]
	v_cmp_ne_u32_e64 s[8:9], v15, v50
	v_cndmask_b32_e64 v32, 0, 1, vcc
	v_cndmask_b32_e64 v35, 0, 1, s[2:3]
	v_cndmask_b32_e64 v40, 0, 1, s[4:5]
	;; [unrolled: 1-line block ×10, first 2 shown]
	v_cndmask_b32_e32 v26, v26, v2, vcc
	v_cndmask_b32_e64 v27, v27, v2, s[2:3]
	v_cndmask_b32_e64 v29, v24, v2, s[4:5]
	s_waitcnt lgkmcnt(4)
	v_cndmask_b32_e64 v30, v22, v2, s[10:11]
	v_cndmask_b32_e64 v31, v23, v2, s[12:13]
	s_waitcnt lgkmcnt(3)
	;; [unrolled: 3-line block ×5, first 2 shown]
	v_cndmask_b32_e64 v16, v51, v2, s[8:9]
	s_mov_b64 s[10:11], -1
                                        ; implicit-def: $sgpr4
                                        ; implicit-def: $sgpr57
.LBB1809_82:
	v_mov_b32_e32 v14, s57
	v_mov_b32_e32 v15, s4
	s_and_saveexec_b64 s[2:3], s[10:11]
; %bb.83:
	v_cndmask_b32_e64 v14, 0, 1, s[8:9]
	v_mov_b32_e32 v15, v16
; %bb.84:
	s_or_b64 exec, exec, s[2:3]
	v_or_b32_e32 v2, v14, v39
	s_cmp_lg_u32 s6, 0
	v_add_f32_e32 v52, v26, v28
	v_or_b32_e32 v51, v2, v48
	v_mbcnt_lo_u32_b32 v50, -1, 0
	s_barrier
	s_cbranch_scc0 .LBB1809_163
; %bb.85:
	v_mov_b32_e32 v2, 0
	v_cmp_eq_u16_sdwa s[2:3], v32, v2 src0_sel:BYTE_0 src1_sel:DWORD
	v_cndmask_b32_e64 v3, v26, v52, s[2:3]
	v_add_f32_e32 v3, v27, v3
	v_cmp_eq_u16_sdwa s[4:5], v35, v2 src0_sel:BYTE_0 src1_sel:DWORD
	v_cndmask_b32_e64 v3, v27, v3, s[4:5]
	v_add_f32_e32 v3, v29, v3
	;; [unrolled: 3-line block ×7, first 2 shown]
	v_cmp_eq_u16_sdwa s[16:17], v45, v2 src0_sel:BYTE_0 src1_sel:DWORD
	v_cmp_eq_u16_sdwa s[18:19], v46, v2 src0_sel:BYTE_0 src1_sel:DWORD
	;; [unrolled: 1-line block ×5, first 2 shown]
	v_cmp_eq_u16_sdwa vcc, v14, v2 src0_sel:BYTE_0 src1_sel:DWORD
	v_or_b32_e32 v2, v51, v47
	v_cndmask_b32_e64 v3, v34, v3, s[16:17]
	v_or_b32_e32 v2, v2, v46
	v_add_f32_e32 v3, v36, v3
	v_or_b32_e32 v2, v2, v45
	v_cndmask_b32_e64 v3, v36, v3, s[18:19]
	v_or_b32_e32 v2, v2, v44
	v_add_f32_e32 v3, v37, v3
	;; [unrolled: 4-line block ×5, first 2 shown]
	v_and_b32_e32 v2, 1, v2
	v_and_b32_e32 v5, 0xff, v1
	v_cndmask_b32_e32 v4, v15, v3, vcc
	v_cmp_eq_u32_e32 vcc, 1, v2
	v_mbcnt_hi_u32_b32 v11, -1, v50
	v_cndmask_b32_e64 v5, v5, 1, vcc
	v_and_b32_e32 v2, 15, v11
	v_mov_b32_dpp v6, v4 row_shr:1 row_mask:0xf bank_mask:0xf
	v_mov_b32_dpp v3, v5 row_shr:1 row_mask:0xf bank_mask:0xf
	v_cmp_ne_u32_e32 vcc, 0, v2
	s_and_saveexec_b64 s[26:27], vcc
; %bb.86:
	v_add_f32_e32 v6, v4, v6
	v_cmp_eq_u32_e32 vcc, 0, v5
	v_and_b32_e32 v5, 1, v5
	v_cndmask_b32_e32 v4, v4, v6, vcc
	v_and_b32_e32 v3, 1, v3
	v_cmp_eq_u32_e32 vcc, 1, v5
	v_cndmask_b32_e64 v5, v3, 1, vcc
; %bb.87:
	s_or_b64 exec, exec, s[26:27]
	v_mov_b32_dpp v6, v4 row_shr:2 row_mask:0xf bank_mask:0xf
	v_mov_b32_dpp v3, v5 row_shr:2 row_mask:0xf bank_mask:0xf
	v_cmp_lt_u32_e32 vcc, 1, v2
	s_and_saveexec_b64 s[26:27], vcc
; %bb.88:
	v_add_f32_e32 v6, v4, v6
	v_cmp_eq_u32_e32 vcc, 0, v5
	v_and_b32_e32 v5, 1, v5
	v_cndmask_b32_e32 v4, v4, v6, vcc
	v_and_b32_e32 v3, 1, v3
	v_cmp_eq_u32_e32 vcc, 1, v5
	v_cndmask_b32_e64 v5, v3, 1, vcc
; %bb.89:
	s_or_b64 exec, exec, s[26:27]
	v_mov_b32_dpp v6, v4 row_shr:4 row_mask:0xf bank_mask:0xf
	v_mov_b32_dpp v3, v5 row_shr:4 row_mask:0xf bank_mask:0xf
	v_cmp_lt_u32_e32 vcc, 3, v2
	;; [unrolled: 14-line block ×3, first 2 shown]
	s_and_saveexec_b64 s[26:27], vcc
; %bb.92:
	v_add_f32_e32 v2, v4, v6
	v_cmp_eq_u32_e32 vcc, 0, v5
	v_cndmask_b32_e32 v4, v4, v2, vcc
	v_and_b32_e32 v2, 1, v5
	v_and_b32_e32 v3, 1, v3
	v_cmp_eq_u32_e32 vcc, 1, v2
	v_cndmask_b32_e64 v5, v3, 1, vcc
; %bb.93:
	s_or_b64 exec, exec, s[26:27]
	v_and_b32_e32 v6, 16, v11
	v_mov_b32_dpp v3, v4 row_bcast:15 row_mask:0xf bank_mask:0xf
	v_mov_b32_dpp v2, v5 row_bcast:15 row_mask:0xf bank_mask:0xf
	v_cmp_ne_u32_e32 vcc, 0, v6
	s_and_saveexec_b64 s[26:27], vcc
; %bb.94:
	v_add_f32_e32 v3, v4, v3
	v_cmp_eq_u32_e32 vcc, 0, v5
	v_cndmask_b32_e32 v4, v4, v3, vcc
	v_and_b32_e32 v3, 1, v5
	v_and_b32_e32 v2, 1, v2
	v_cmp_eq_u32_e32 vcc, 1, v3
	v_cndmask_b32_e64 v5, v2, 1, vcc
; %bb.95:
	s_or_b64 exec, exec, s[26:27]
	v_mov_b32_dpp v3, v4 row_bcast:31 row_mask:0xf bank_mask:0xf
	v_mov_b32_dpp v2, v5 row_bcast:31 row_mask:0xf bank_mask:0xf
	v_cmp_lt_u32_e32 vcc, 31, v11
	s_and_saveexec_b64 s[26:27], vcc
; %bb.96:
	v_add_f32_e32 v3, v4, v3
	v_cmp_eq_u32_e32 vcc, 0, v5
	v_cndmask_b32_e32 v4, v4, v3, vcc
	v_and_b32_e32 v3, 1, v5
	v_and_b32_e32 v2, 1, v2
	v_cmp_eq_u32_e32 vcc, 1, v3
	v_cndmask_b32_e64 v5, v2, 1, vcc
; %bb.97:
	s_or_b64 exec, exec, s[26:27]
	v_or_b32_e32 v2, 63, v0
	v_lshrrev_b32_e32 v6, 6, v0
	v_cmp_eq_u32_e32 vcc, v2, v0
	s_and_saveexec_b64 s[26:27], vcc
	s_cbranch_execz .LBB1809_99
; %bb.98:
	v_lshlrev_b32_e32 v2, 3, v6
	ds_write_b32 v2, v4
	ds_write_b8 v2, v5 offset:4
.LBB1809_99:
	s_or_b64 exec, exec, s[26:27]
	v_cmp_gt_u32_e32 vcc, 4, v0
	s_waitcnt lgkmcnt(0)
	s_barrier
	s_and_saveexec_b64 s[26:27], vcc
	s_cbranch_execz .LBB1809_103
; %bb.100:
	v_lshlrev_b32_e32 v7, 3, v0
	ds_read_b64 v[2:3], v7
	v_and_b32_e32 v8, 3, v11
	v_cmp_ne_u32_e32 vcc, 0, v8
	s_waitcnt lgkmcnt(0)
	v_mov_b32_dpp v12, v2 row_shr:1 row_mask:0xf bank_mask:0xf
	v_mov_b32_dpp v10, v3 row_shr:1 row_mask:0xf bank_mask:0xf
	v_mov_b32_e32 v9, v3
	s_and_saveexec_b64 s[30:31], vcc
; %bb.101:
	v_mov_b32_e32 v9, 0
	v_add_f32_e32 v12, v2, v12
	v_cmp_eq_u16_sdwa vcc, v3, v9 src0_sel:BYTE_0 src1_sel:DWORD
	v_and_b32_e32 v9, 1, v3
	v_cndmask_b32_e32 v2, v2, v12, vcc
	v_and_b32_e32 v10, 1, v10
	v_cmp_eq_u32_e32 vcc, 1, v9
	v_cndmask_b32_e64 v9, v10, 1, vcc
	s_movk_i32 s38, 0xff00
	v_and_or_b32 v3, v3, s38, v9
; %bb.102:
	s_or_b64 exec, exec, s[30:31]
	v_mov_b32_e32 v13, 0
	v_mov_b32_dpp v12, v3 row_shr:2 row_mask:0xf bank_mask:0xf
	v_cmp_eq_u16_sdwa s[30:31], v9, v13 src0_sel:BYTE_0 src1_sel:DWORD
	v_and_b32_e32 v9, 1, v9
	v_and_b32_e32 v12, 1, v12
	v_cmp_eq_u32_e32 vcc, 1, v9
	v_mov_b32_dpp v10, v2 row_shr:2 row_mask:0xf bank_mask:0xf
	v_cndmask_b32_e64 v9, v12, 1, vcc
	v_cmp_lt_u32_e32 vcc, 1, v8
	v_add_f32_e32 v10, v2, v10
	v_cndmask_b32_e32 v3, v3, v9, vcc
	s_and_b64 vcc, vcc, s[30:31]
	v_cndmask_b32_e32 v2, v2, v10, vcc
	ds_write_b32 v7, v2
	ds_write_b8 v7, v3 offset:4
.LBB1809_103:
	s_or_b64 exec, exec, s[26:27]
	v_cmp_gt_u32_e32 vcc, 64, v0
	v_cmp_lt_u32_e64 s[26:27], 63, v0
	v_mov_b32_e32 v16, 0
	v_mov_b32_e32 v17, 0
	s_waitcnt lgkmcnt(0)
	s_barrier
	s_and_saveexec_b64 s[30:31], s[26:27]
	s_cbranch_execz .LBB1809_105
; %bb.104:
	v_lshl_add_u32 v2, v6, 3, -8
	ds_read_b32 v16, v2
	ds_read_u8 v17, v2 offset:4
	v_and_b32_e32 v2, 1, v5
	v_cmp_eq_u32_e64 s[26:27], 0, v5
	s_waitcnt lgkmcnt(0)
	v_add_f32_e32 v3, v4, v16
	v_and_b32_e32 v6, 1, v17
	v_cndmask_b32_e64 v4, v4, v3, s[26:27]
	v_cmp_eq_u32_e64 s[26:27], 1, v2
	v_cndmask_b32_e64 v5, v6, 1, s[26:27]
.LBB1809_105:
	s_or_b64 exec, exec, s[30:31]
	v_add_u32_e32 v2, -1, v11
	v_and_b32_e32 v3, 64, v11
	v_cmp_lt_i32_e64 s[26:27], v2, v3
	v_cndmask_b32_e64 v2, v2, v11, s[26:27]
	v_lshlrev_b32_e32 v2, 2, v2
	s_waitcnt vmcnt(0)
	ds_bpermute_b32 v18, v2, v4
	ds_bpermute_b32 v19, v2, v5
	v_cmp_eq_u32_e64 s[26:27], 0, v11
	s_and_saveexec_b64 s[30:31], vcc
	s_cbranch_execz .LBB1809_150
; %bb.106:
	v_mov_b32_e32 v5, 0
	ds_read_b64 v[2:3], v5 offset:24
	s_waitcnt lgkmcnt(0)
	v_readfirstlane_b32 s47, v3
	s_and_saveexec_b64 s[38:39], s[26:27]
	s_cbranch_execz .LBB1809_108
; %bb.107:
	s_add_i32 s40, s6, 64
	s_mov_b32 s41, 0
	s_lshl_b64 s[48:49], s[40:41], 4
	s_add_u32 s48, s44, s48
	s_addc_u32 s49, s45, s49
	s_and_b32 s55, s47, 0xff000000
	s_mov_b32 s54, s41
	s_and_b32 s57, s47, 0xff0000
	s_mov_b32 s56, s41
	s_or_b64 s[54:55], s[56:57], s[54:55]
	s_and_b32 s57, s47, 0xff00
	s_or_b64 s[54:55], s[54:55], s[56:57]
	s_and_b32 s57, s47, 0xff
	s_or_b64 s[40:41], s[54:55], s[56:57]
	v_mov_b32_e32 v3, s41
	v_mov_b32_e32 v4, 1
	v_pk_mov_b32 v[6:7], s[48:49], s[48:49] op_sel:[0,1]
	;;#ASMSTART
	global_store_dwordx4 v[6:7], v[2:5] off	
s_waitcnt vmcnt(0)
	;;#ASMEND
.LBB1809_108:
	s_or_b64 exec, exec, s[38:39]
	v_xad_u32 v10, v11, -1, s6
	v_add_u32_e32 v4, 64, v10
	v_lshlrev_b64 v[6:7], 4, v[4:5]
	v_mov_b32_e32 v3, s45
	v_add_co_u32_e32 v12, vcc, s44, v6
	v_addc_co_u32_e32 v13, vcc, v3, v7, vcc
	;;#ASMSTART
	global_load_dwordx4 v[6:9], v[12:13] off glc	
s_waitcnt vmcnt(0)
	;;#ASMEND
	v_cmp_eq_u16_sdwa s[40:41], v8, v5 src0_sel:BYTE_0 src1_sel:DWORD
	s_and_saveexec_b64 s[38:39], s[40:41]
	s_cbranch_execz .LBB1809_114
; %bb.109:
	s_mov_b32 s48, 1
	s_mov_b64 s[40:41], 0
	v_mov_b32_e32 v3, 0
.LBB1809_110:                           ; =>This Loop Header: Depth=1
                                        ;     Child Loop BB1809_111 Depth 2
	s_max_u32 s49, s48, 1
.LBB1809_111:                           ;   Parent Loop BB1809_110 Depth=1
                                        ; =>  This Inner Loop Header: Depth=2
	s_add_i32 s49, s49, -1
	s_cmp_eq_u32 s49, 0
	s_sleep 1
	s_cbranch_scc0 .LBB1809_111
; %bb.112:                              ;   in Loop: Header=BB1809_110 Depth=1
	s_cmp_lt_u32 s48, 32
	s_cselect_b64 s[54:55], -1, 0
	s_cmp_lg_u64 s[54:55], 0
	s_addc_u32 s48, s48, 0
	;;#ASMSTART
	global_load_dwordx4 v[6:9], v[12:13] off glc	
s_waitcnt vmcnt(0)
	;;#ASMEND
	v_cmp_ne_u16_sdwa s[54:55], v8, v3 src0_sel:BYTE_0 src1_sel:DWORD
	s_or_b64 s[40:41], s[54:55], s[40:41]
	s_andn2_b64 exec, exec, s[40:41]
	s_cbranch_execnz .LBB1809_110
; %bb.113:
	s_or_b64 exec, exec, s[40:41]
.LBB1809_114:
	s_or_b64 exec, exec, s[38:39]
	v_mov_b32_e32 v3, 2
	v_cmp_eq_u16_sdwa s[38:39], v8, v3 src0_sel:BYTE_0 src1_sel:DWORD
	v_lshlrev_b64 v[4:5], v11, -1
	v_and_b32_e32 v3, s39, v5
	v_or_b32_e32 v3, 0x80000000, v3
	v_ffbl_b32_e32 v22, v3
	v_and_b32_e32 v3, 63, v11
	v_cmp_ne_u32_e32 vcc, 63, v3
	v_addc_co_u32_e32 v13, vcc, 0, v11, vcc
	v_and_b32_e32 v12, 0xff, v7
	v_lshlrev_b32_e32 v20, 2, v13
	ds_bpermute_b32 v21, v20, v6
	ds_bpermute_b32 v13, v20, v12
	v_and_b32_e32 v9, s38, v4
	v_add_u32_e32 v22, 32, v22
	v_ffbl_b32_e32 v9, v9
	v_min_u32_e32 v9, v9, v22
	v_cmp_lt_u32_e32 vcc, v3, v9
	s_and_saveexec_b64 s[38:39], vcc
	s_cbranch_execz .LBB1809_116
; %bb.115:
	v_mov_b32_e32 v12, 0
	s_waitcnt lgkmcnt(1)
	v_add_f32_e32 v21, v6, v21
	v_cmp_eq_u16_sdwa vcc, v7, v12 src0_sel:BYTE_0 src1_sel:DWORD
	v_and_b32_e32 v7, 1, v7
	v_cndmask_b32_e32 v6, v6, v21, vcc
	s_waitcnt lgkmcnt(0)
	v_and_b32_e32 v12, 1, v13
	v_cmp_eq_u32_e32 vcc, 1, v7
	v_cndmask_b32_e64 v7, v12, 1, vcc
	v_and_b32_e32 v12, 0xffff, v7
.LBB1809_116:
	s_or_b64 exec, exec, s[38:39]
	v_cmp_gt_u32_e32 vcc, 62, v3
	s_waitcnt lgkmcnt(0)
	v_cndmask_b32_e64 v13, 0, 1, vcc
	v_lshlrev_b32_e32 v13, 1, v13
	v_add_lshl_u32 v21, v13, v11, 2
	ds_bpermute_b32 v23, v21, v6
	ds_bpermute_b32 v13, v21, v12
	v_add_u32_e32 v22, 2, v3
	v_cmp_le_u32_e32 vcc, v22, v9
	s_and_saveexec_b64 s[38:39], vcc
	s_cbranch_execz .LBB1809_118
; %bb.117:
	v_mov_b32_e32 v12, 0
	s_waitcnt lgkmcnt(1)
	v_add_f32_e32 v23, v6, v23
	v_cmp_eq_u16_sdwa vcc, v7, v12 src0_sel:BYTE_0 src1_sel:DWORD
	v_and_b32_e32 v7, 1, v7
	v_cndmask_b32_e32 v6, v6, v23, vcc
	s_waitcnt lgkmcnt(0)
	v_and_b32_e32 v12, 1, v13
	v_cmp_eq_u32_e32 vcc, 1, v7
	v_cndmask_b32_e64 v7, v12, 1, vcc
	v_and_b32_e32 v12, 0xffff, v7
.LBB1809_118:
	s_or_b64 exec, exec, s[38:39]
	v_cmp_gt_u32_e32 vcc, 60, v3
	s_waitcnt lgkmcnt(0)
	v_cndmask_b32_e64 v13, 0, 1, vcc
	v_lshlrev_b32_e32 v13, 2, v13
	v_add_lshl_u32 v23, v13, v11, 2
	ds_bpermute_b32 v54, v23, v6
	ds_bpermute_b32 v13, v23, v12
	v_add_u32_e32 v53, 4, v3
	v_cmp_le_u32_e32 vcc, v53, v9
	;; [unrolled: 25-line block ×5, first 2 shown]
	s_and_saveexec_b64 s[38:39], vcc
	s_cbranch_execz .LBB1809_126
; %bb.125:
	v_mov_b32_e32 v9, 0
	s_waitcnt lgkmcnt(1)
	v_add_f32_e32 v12, v6, v13
	v_cmp_eq_u16_sdwa vcc, v7, v9 src0_sel:BYTE_0 src1_sel:DWORD
	v_and_b32_e32 v7, 1, v7
	v_cndmask_b32_e32 v6, v6, v12, vcc
	s_waitcnt lgkmcnt(0)
	v_and_b32_e32 v9, 1, v11
	v_cmp_eq_u32_e32 vcc, 1, v7
	v_cndmask_b32_e64 v7, v9, 1, vcc
.LBB1809_126:
	s_or_b64 exec, exec, s[38:39]
	s_waitcnt lgkmcnt(0)
	v_mov_b32_e32 v11, 0
	v_mov_b32_e32 v62, 2
	s_branch .LBB1809_128
.LBB1809_127:                           ;   in Loop: Header=BB1809_128 Depth=1
	s_or_b64 exec, exec, s[38:39]
	s_waitcnt lgkmcnt(0)
	ds_bpermute_b32 v13, v59, v6
	ds_bpermute_b32 v12, v59, v12
	v_and_b32_e32 v63, 1, v7
	v_cmp_eq_u16_sdwa vcc, v7, v11 src0_sel:BYTE_0 src1_sel:DWORD
	v_subrev_u32_e32 v10, 64, v10
	s_waitcnt lgkmcnt(1)
	v_add_f32_e32 v13, v6, v13
	v_cndmask_b32_e32 v13, v6, v13, vcc
	v_cmp_eq_u32_e32 vcc, 1, v63
	s_waitcnt lgkmcnt(0)
	v_cndmask_b32_e64 v12, v12, 1, vcc
	v_cmp_gt_u32_e32 vcc, v61, v9
	v_cndmask_b32_e32 v6, v13, v6, vcc
	v_cndmask_b32_e32 v7, v12, v7, vcc
	v_add_f32_e32 v6, v60, v6
	v_cmp_eq_u16_sdwa vcc, v58, v11 src0_sel:BYTE_0 src1_sel:DWORD
	v_and_b32_e32 v9, 1, v58
	v_cndmask_b32_e32 v6, v60, v6, vcc
	v_and_b32_e32 v7, 1, v7
	v_cmp_eq_u32_e32 vcc, 1, v9
	v_cndmask_b32_e64 v7, v7, 1, vcc
.LBB1809_128:                           ; =>This Loop Header: Depth=1
                                        ;     Child Loop BB1809_131 Depth 2
                                        ;       Child Loop BB1809_132 Depth 3
	v_cmp_ne_u16_sdwa s[38:39], v8, v62 src0_sel:BYTE_0 src1_sel:DWORD
	v_mov_b32_e32 v58, v7
	v_cndmask_b32_e64 v7, 0, 1, s[38:39]
	;;#ASMSTART
	;;#ASMEND
	v_cmp_ne_u32_e32 vcc, 0, v7
	s_cmp_lg_u64 vcc, exec
	v_mov_b32_e32 v60, v6
	s_cbranch_scc1 .LBB1809_145
; %bb.129:                              ;   in Loop: Header=BB1809_128 Depth=1
	v_lshlrev_b64 v[6:7], 4, v[10:11]
	v_mov_b32_e32 v8, s45
	v_add_co_u32_e32 v12, vcc, s44, v6
	v_addc_co_u32_e32 v13, vcc, v8, v7, vcc
	;;#ASMSTART
	global_load_dwordx4 v[6:9], v[12:13] off glc	
s_waitcnt vmcnt(0)
	;;#ASMEND
	v_cmp_eq_u16_sdwa s[40:41], v8, v11 src0_sel:BYTE_0 src1_sel:DWORD
	s_and_saveexec_b64 s[38:39], s[40:41]
	s_cbranch_execz .LBB1809_135
; %bb.130:                              ;   in Loop: Header=BB1809_128 Depth=1
	s_mov_b32 s48, 1
	s_mov_b64 s[40:41], 0
.LBB1809_131:                           ;   Parent Loop BB1809_128 Depth=1
                                        ; =>  This Loop Header: Depth=2
                                        ;       Child Loop BB1809_132 Depth 3
	s_max_u32 s49, s48, 1
.LBB1809_132:                           ;   Parent Loop BB1809_128 Depth=1
                                        ;     Parent Loop BB1809_131 Depth=2
                                        ; =>    This Inner Loop Header: Depth=3
	s_add_i32 s49, s49, -1
	s_cmp_eq_u32 s49, 0
	s_sleep 1
	s_cbranch_scc0 .LBB1809_132
; %bb.133:                              ;   in Loop: Header=BB1809_131 Depth=2
	s_cmp_lt_u32 s48, 32
	s_cselect_b64 s[54:55], -1, 0
	s_cmp_lg_u64 s[54:55], 0
	s_addc_u32 s48, s48, 0
	;;#ASMSTART
	global_load_dwordx4 v[6:9], v[12:13] off glc	
s_waitcnt vmcnt(0)
	;;#ASMEND
	v_cmp_ne_u16_sdwa s[54:55], v8, v11 src0_sel:BYTE_0 src1_sel:DWORD
	s_or_b64 s[40:41], s[54:55], s[40:41]
	s_andn2_b64 exec, exec, s[40:41]
	s_cbranch_execnz .LBB1809_131
; %bb.134:                              ;   in Loop: Header=BB1809_128 Depth=1
	s_or_b64 exec, exec, s[40:41]
.LBB1809_135:                           ;   in Loop: Header=BB1809_128 Depth=1
	s_or_b64 exec, exec, s[38:39]
	v_cmp_eq_u16_sdwa s[38:39], v8, v62 src0_sel:BYTE_0 src1_sel:DWORD
	v_and_b32_e32 v9, s39, v5
	v_and_b32_e32 v12, 0xff, v7
	v_or_b32_e32 v9, 0x80000000, v9
	ds_bpermute_b32 v63, v20, v6
	ds_bpermute_b32 v13, v20, v12
	v_and_b32_e32 v64, s38, v4
	v_ffbl_b32_e32 v9, v9
	v_add_u32_e32 v9, 32, v9
	v_ffbl_b32_e32 v64, v64
	v_min_u32_e32 v9, v64, v9
	v_cmp_lt_u32_e32 vcc, v3, v9
	s_and_saveexec_b64 s[38:39], vcc
	s_cbranch_execz .LBB1809_137
; %bb.136:                              ;   in Loop: Header=BB1809_128 Depth=1
	s_waitcnt lgkmcnt(1)
	v_add_f32_e32 v12, v6, v63
	v_cmp_eq_u16_sdwa vcc, v7, v11 src0_sel:BYTE_0 src1_sel:DWORD
	v_and_b32_e32 v7, 1, v7
	v_cndmask_b32_e32 v6, v6, v12, vcc
	s_waitcnt lgkmcnt(0)
	v_and_b32_e32 v12, 1, v13
	v_cmp_eq_u32_e32 vcc, 1, v7
	v_cndmask_b32_e64 v7, v12, 1, vcc
	v_and_b32_e32 v12, 0xffff, v7
.LBB1809_137:                           ;   in Loop: Header=BB1809_128 Depth=1
	s_or_b64 exec, exec, s[38:39]
	s_waitcnt lgkmcnt(1)
	ds_bpermute_b32 v63, v21, v6
	s_waitcnt lgkmcnt(1)
	ds_bpermute_b32 v13, v21, v12
	v_cmp_le_u32_e32 vcc, v22, v9
	s_and_saveexec_b64 s[38:39], vcc
	s_cbranch_execz .LBB1809_139
; %bb.138:                              ;   in Loop: Header=BB1809_128 Depth=1
	s_waitcnt lgkmcnt(1)
	v_add_f32_e32 v12, v6, v63
	v_cmp_eq_u16_sdwa vcc, v7, v11 src0_sel:BYTE_0 src1_sel:DWORD
	v_and_b32_e32 v7, 1, v7
	v_cndmask_b32_e32 v6, v6, v12, vcc
	s_waitcnt lgkmcnt(0)
	v_and_b32_e32 v12, 1, v13
	v_cmp_eq_u32_e32 vcc, 1, v7
	v_cndmask_b32_e64 v7, v12, 1, vcc
	v_and_b32_e32 v12, 0xffff, v7
.LBB1809_139:                           ;   in Loop: Header=BB1809_128 Depth=1
	s_or_b64 exec, exec, s[38:39]
	s_waitcnt lgkmcnt(1)
	ds_bpermute_b32 v63, v23, v6
	s_waitcnt lgkmcnt(1)
	ds_bpermute_b32 v13, v23, v12
	v_cmp_le_u32_e32 vcc, v53, v9
	;; [unrolled: 20-line block ×4, first 2 shown]
	s_and_saveexec_b64 s[38:39], vcc
	s_cbranch_execz .LBB1809_127
; %bb.144:                              ;   in Loop: Header=BB1809_128 Depth=1
	s_waitcnt lgkmcnt(1)
	v_add_f32_e32 v12, v6, v63
	v_cmp_eq_u16_sdwa vcc, v7, v11 src0_sel:BYTE_0 src1_sel:DWORD
	v_and_b32_e32 v7, 1, v7
	v_cndmask_b32_e32 v6, v6, v12, vcc
	s_waitcnt lgkmcnt(0)
	v_and_b32_e32 v12, 1, v13
	v_cmp_eq_u32_e32 vcc, 1, v7
	v_cndmask_b32_e64 v7, v12, 1, vcc
	v_and_b32_e32 v12, 0xffff, v7
	s_branch .LBB1809_127
.LBB1809_145:                           ;   in Loop: Header=BB1809_128 Depth=1
                                        ; implicit-def: $vgpr7
	s_cbranch_execz .LBB1809_128
; %bb.146:
	s_and_saveexec_b64 s[38:39], s[26:27]
	s_cbranch_execz .LBB1809_148
; %bb.147:
	s_and_b32 s40, s47, 0xff
	s_cmp_eq_u32 s40, 0
	s_cselect_b64 vcc, -1, 0
	s_bitcmp1_b32 s47, 0
	s_mov_b32 s41, 0
	s_cselect_b64 s[48:49], -1, 0
	s_add_i32 s40, s6, 64
	s_lshl_b64 s[40:41], s[40:41], 4
	v_add_f32_e32 v3, v60, v2
	s_add_u32 s40, s44, s40
	v_cndmask_b32_e32 v2, v2, v3, vcc
	v_and_b32_e32 v3, 1, v58
	s_addc_u32 s41, s45, s41
	v_cndmask_b32_e64 v3, v3, 1, s[48:49]
	v_mov_b32_e32 v4, 2
	v_mov_b32_e32 v5, 0
	v_pk_mov_b32 v[6:7], s[40:41], s[40:41] op_sel:[0,1]
	;;#ASMSTART
	global_store_dwordx4 v[6:7], v[2:5] off	
s_waitcnt vmcnt(0)
	;;#ASMEND
.LBB1809_148:
	s_or_b64 exec, exec, s[38:39]
	v_cmp_eq_u32_e32 vcc, 0, v0
	s_and_b64 exec, exec, vcc
	s_cbranch_execz .LBB1809_150
; %bb.149:
	v_mov_b32_e32 v2, 0
	ds_write_b32 v2, v60 offset:24
	ds_write_b8 v2, v58 offset:28
.LBB1809_150:
	s_or_b64 exec, exec, s[30:31]
	v_mov_b32_e32 v3, 0
	s_waitcnt lgkmcnt(0)
	s_barrier
	ds_read_b32 v2, v3 offset:24
	v_cndmask_b32_e64 v4, v19, v17, s[26:27]
	v_cndmask_b32_e64 v5, v18, v16, s[26:27]
	v_cmp_eq_u32_sdwa vcc, v4, v3 src0_sel:BYTE_0 src1_sel:DWORD
	s_waitcnt lgkmcnt(0)
	v_add_f32_e32 v6, v5, v2
	v_cndmask_b32_e32 v4, v5, v6, vcc
	v_cmp_eq_u32_e32 vcc, 0, v0
	v_cndmask_b32_e32 v2, v4, v2, vcc
	v_add_f32_e32 v4, v28, v2
	v_cmp_eq_u16_sdwa vcc, v1, v3 src0_sel:BYTE_0 src1_sel:DWORD
	v_cndmask_b32_e32 v3, v28, v4, vcc
	v_add_f32_e32 v4, v26, v3
	v_cndmask_b32_e64 v16, v26, v4, s[2:3]
	v_add_f32_e32 v4, v27, v16
	v_cndmask_b32_e64 v17, v27, v4, s[4:5]
	;; [unrolled: 2-line block ×12, first 2 shown]
	s_branch .LBB1809_189
.LBB1809_151:
	s_or_b64 exec, exec, s[30:31]
                                        ; implicit-def: $vgpr29
	s_and_saveexec_b64 s[30:31], s[2:3]
	s_cbranch_execz .LBB1809_33
.LBB1809_152:
	v_mov_b32_e32 v29, s56
	v_add_co_u32_e32 v30, vcc, s47, v27
	v_addc_co_u32_e32 v31, vcc, 0, v29, vcc
	flat_load_dword v29, v[30:31] offset:1024
	s_waitcnt vmcnt(0) lgkmcnt(0)
	v_cvt_f32_u32_e32 v29, v29
	s_or_b64 exec, exec, s[30:31]
                                        ; implicit-def: $vgpr30
	s_and_saveexec_b64 s[2:3], s[4:5]
	s_cbranch_execnz .LBB1809_34
.LBB1809_153:
	s_or_b64 exec, exec, s[2:3]
                                        ; implicit-def: $vgpr31
	s_and_saveexec_b64 s[2:3], s[28:29]
	s_cbranch_execz .LBB1809_35
.LBB1809_154:
	v_mov_b32_e32 v31, s56
	v_add_co_u32_e32 v32, vcc, s47, v27
	v_addc_co_u32_e32 v33, vcc, 0, v31, vcc
	flat_load_dword v31, v[32:33] offset:3072
	s_waitcnt vmcnt(0) lgkmcnt(0)
	v_cvt_f32_u32_e32 v31, v31
	s_or_b64 exec, exec, s[2:3]
                                        ; implicit-def: $vgpr32
	s_and_saveexec_b64 s[2:3], s[8:9]
	s_cbranch_execnz .LBB1809_36
.LBB1809_155:
	s_or_b64 exec, exec, s[2:3]
                                        ; implicit-def: $vgpr1
	s_and_saveexec_b64 s[2:3], s[10:11]
	s_cbranch_execz .LBB1809_37
.LBB1809_156:
	v_lshlrev_b32_e32 v1, 2, v16
	v_mov_b32_e32 v16, s56
	v_add_co_u32_e32 v34, vcc, s47, v1
	v_addc_co_u32_e32 v35, vcc, 0, v16, vcc
	flat_load_dword v1, v[34:35]
	s_waitcnt vmcnt(0) lgkmcnt(0)
	v_cvt_f32_u32_e32 v1, v1
	s_or_b64 exec, exec, s[2:3]
                                        ; implicit-def: $vgpr16
	s_and_saveexec_b64 s[2:3], s[12:13]
	s_cbranch_execnz .LBB1809_38
.LBB1809_157:
	s_or_b64 exec, exec, s[2:3]
                                        ; implicit-def: $vgpr17
	s_and_saveexec_b64 s[2:3], s[14:15]
	s_cbranch_execz .LBB1809_39
.LBB1809_158:
	v_lshlrev_b32_e32 v17, 2, v20
	v_mov_b32_e32 v20, s56
	v_add_co_u32_e32 v34, vcc, s47, v17
	v_addc_co_u32_e32 v35, vcc, 0, v20, vcc
	flat_load_dword v17, v[34:35]
	s_waitcnt vmcnt(0) lgkmcnt(0)
	v_cvt_f32_u32_e32 v17, v17
	s_or_b64 exec, exec, s[2:3]
                                        ; implicit-def: $vgpr33
	s_and_saveexec_b64 s[2:3], s[16:17]
	s_cbranch_execnz .LBB1809_40
.LBB1809_159:
	s_or_b64 exec, exec, s[2:3]
                                        ; implicit-def: $vgpr21
	s_and_saveexec_b64 s[2:3], s[18:19]
	s_cbranch_execz .LBB1809_41
.LBB1809_160:
	v_lshlrev_b32_e32 v20, 2, v22
	v_mov_b32_e32 v21, s56
	v_add_co_u32_e32 v20, vcc, s47, v20
	v_addc_co_u32_e32 v21, vcc, 0, v21, vcc
	flat_load_dword v20, v[20:21]
	s_waitcnt vmcnt(0) lgkmcnt(0)
	v_cvt_f32_u32_e32 v21, v20
	s_or_b64 exec, exec, s[2:3]
                                        ; implicit-def: $vgpr22
	s_and_saveexec_b64 s[2:3], s[20:21]
	s_cbranch_execnz .LBB1809_42
.LBB1809_161:
	s_or_b64 exec, exec, s[2:3]
                                        ; implicit-def: $vgpr23
	s_and_saveexec_b64 s[2:3], s[22:23]
	s_cbranch_execz .LBB1809_43
.LBB1809_162:
	v_lshlrev_b32_e32 v20, 2, v24
	v_mov_b32_e32 v23, s56
	v_add_co_u32_e32 v34, vcc, s47, v20
	v_addc_co_u32_e32 v35, vcc, 0, v23, vcc
	flat_load_dword v20, v[34:35]
	s_waitcnt vmcnt(0) lgkmcnt(0)
	v_cvt_f32_u32_e32 v23, v20
	s_or_b64 exec, exec, s[2:3]
                                        ; implicit-def: $vgpr24
	s_and_saveexec_b64 s[2:3], s[24:25]
	s_cbranch_execz .LBB1809_45
	s_branch .LBB1809_44
.LBB1809_163:
                                        ; implicit-def: $vgpr23
                                        ; implicit-def: $vgpr21
                                        ; implicit-def: $vgpr19
                                        ; implicit-def: $vgpr17
                                        ; implicit-def: $vgpr10_vgpr11_vgpr12_vgpr13
                                        ; implicit-def: $vgpr6_vgpr7_vgpr8_vgpr9
                                        ; implicit-def: $vgpr2_vgpr3_vgpr4_vgpr5
	s_cbranch_execz .LBB1809_189
; %bb.164:
	s_cmp_lg_u64 s[52:53], 0
	s_cselect_b32 s3, s51, 0
	s_cselect_b32 s2, s50, 0
	s_cmp_eq_u64 s[2:3], 0
	v_mov_b32_e32 v4, s7
	s_cbranch_scc1 .LBB1809_166
; %bb.165:
	v_mov_b32_e32 v2, 0
	global_load_dword v4, v2, s[2:3]
.LBB1809_166:
	v_mov_b32_e32 v2, 0
	v_cmp_eq_u16_sdwa s[2:3], v32, v2 src0_sel:BYTE_0 src1_sel:DWORD
	v_cndmask_b32_e64 v3, v26, v52, s[2:3]
	v_add_f32_e32 v3, v27, v3
	v_cmp_eq_u16_sdwa s[4:5], v35, v2 src0_sel:BYTE_0 src1_sel:DWORD
	v_cndmask_b32_e64 v3, v27, v3, s[4:5]
	v_add_f32_e32 v3, v29, v3
	;; [unrolled: 3-line block ×7, first 2 shown]
	v_cmp_eq_u16_sdwa s[16:17], v45, v2 src0_sel:BYTE_0 src1_sel:DWORD
	v_cmp_eq_u16_sdwa s[18:19], v46, v2 src0_sel:BYTE_0 src1_sel:DWORD
	;; [unrolled: 1-line block ×4, first 2 shown]
	v_cmp_eq_u16_sdwa vcc, v39, v2 src0_sel:BYTE_0 src1_sel:DWORD
	v_cmp_eq_u16_sdwa s[24:25], v14, v2 src0_sel:BYTE_0 src1_sel:DWORD
	v_or_b32_e32 v2, v51, v47
	v_cndmask_b32_e64 v3, v34, v3, s[16:17]
	v_or_b32_e32 v2, v2, v46
	v_add_f32_e32 v3, v36, v3
	v_or_b32_e32 v2, v2, v45
	v_cndmask_b32_e64 v3, v36, v3, s[18:19]
	v_or_b32_e32 v2, v2, v44
	v_add_f32_e32 v3, v37, v3
	;; [unrolled: 4-line block ×4, first 2 shown]
	v_or_b32_e32 v2, v2, v35
	v_cndmask_b32_e32 v3, v24, v3, vcc
	v_or_b32_e32 v2, v2, v32
	v_add_f32_e32 v3, v15, v3
	v_and_b32_e32 v2, 1, v2
	v_and_b32_e32 v6, 0xff, v1
	v_cndmask_b32_e64 v5, v15, v3, s[24:25]
	v_cmp_eq_u32_e64 s[24:25], 1, v2
	v_cndmask_b32_e64 v7, v6, 1, s[24:25]
	v_mbcnt_hi_u32_b32 v6, -1, v50
	v_and_b32_e32 v2, 15, v6
	v_mov_b32_dpp v8, v5 row_shr:1 row_mask:0xf bank_mask:0xf
	v_mov_b32_dpp v3, v7 row_shr:1 row_mask:0xf bank_mask:0xf
	v_cmp_ne_u32_e64 s[24:25], 0, v2
	s_and_saveexec_b64 s[26:27], s[24:25]
; %bb.167:
	v_add_f32_e32 v8, v5, v8
	v_cmp_eq_u32_e64 s[24:25], 0, v7
	v_and_b32_e32 v7, 1, v7
	v_cndmask_b32_e64 v5, v5, v8, s[24:25]
	v_and_b32_e32 v3, 1, v3
	v_cmp_eq_u32_e64 s[24:25], 1, v7
	v_cndmask_b32_e64 v7, v3, 1, s[24:25]
; %bb.168:
	s_or_b64 exec, exec, s[26:27]
	v_mov_b32_dpp v8, v5 row_shr:2 row_mask:0xf bank_mask:0xf
	v_mov_b32_dpp v3, v7 row_shr:2 row_mask:0xf bank_mask:0xf
	v_cmp_lt_u32_e64 s[24:25], 1, v2
	s_and_saveexec_b64 s[26:27], s[24:25]
; %bb.169:
	v_add_f32_e32 v8, v5, v8
	v_cmp_eq_u32_e64 s[24:25], 0, v7
	v_and_b32_e32 v7, 1, v7
	v_cndmask_b32_e64 v5, v5, v8, s[24:25]
	v_and_b32_e32 v3, 1, v3
	v_cmp_eq_u32_e64 s[24:25], 1, v7
	v_cndmask_b32_e64 v7, v3, 1, s[24:25]
; %bb.170:
	s_or_b64 exec, exec, s[26:27]
	v_mov_b32_dpp v8, v5 row_shr:4 row_mask:0xf bank_mask:0xf
	v_mov_b32_dpp v3, v7 row_shr:4 row_mask:0xf bank_mask:0xf
	v_cmp_lt_u32_e64 s[24:25], 3, v2
	s_and_saveexec_b64 s[26:27], s[24:25]
; %bb.171:
	v_add_f32_e32 v8, v5, v8
	v_cmp_eq_u32_e64 s[24:25], 0, v7
	v_and_b32_e32 v7, 1, v7
	v_cndmask_b32_e64 v5, v5, v8, s[24:25]
	v_and_b32_e32 v3, 1, v3
	v_cmp_eq_u32_e64 s[24:25], 1, v7
	v_cndmask_b32_e64 v7, v3, 1, s[24:25]
; %bb.172:
	s_or_b64 exec, exec, s[26:27]
	v_mov_b32_dpp v8, v5 row_shr:8 row_mask:0xf bank_mask:0xf
	v_mov_b32_dpp v3, v7 row_shr:8 row_mask:0xf bank_mask:0xf
	v_cmp_lt_u32_e64 s[24:25], 7, v2
	s_and_saveexec_b64 s[26:27], s[24:25]
; %bb.173:
	v_add_f32_e32 v2, v5, v8
	v_cmp_eq_u32_e64 s[24:25], 0, v7
	v_cndmask_b32_e64 v5, v5, v2, s[24:25]
	v_and_b32_e32 v2, 1, v7
	v_and_b32_e32 v3, 1, v3
	v_cmp_eq_u32_e64 s[24:25], 1, v2
	v_cndmask_b32_e64 v7, v3, 1, s[24:25]
; %bb.174:
	s_or_b64 exec, exec, s[26:27]
	v_and_b32_e32 v8, 16, v6
	v_mov_b32_dpp v3, v5 row_bcast:15 row_mask:0xf bank_mask:0xf
	v_mov_b32_dpp v2, v7 row_bcast:15 row_mask:0xf bank_mask:0xf
	v_cmp_ne_u32_e64 s[24:25], 0, v8
	s_and_saveexec_b64 s[26:27], s[24:25]
; %bb.175:
	v_add_f32_e32 v3, v5, v3
	v_cmp_eq_u32_e64 s[24:25], 0, v7
	v_cndmask_b32_e64 v5, v5, v3, s[24:25]
	v_and_b32_e32 v3, 1, v7
	v_and_b32_e32 v2, 1, v2
	v_cmp_eq_u32_e64 s[24:25], 1, v3
	v_cndmask_b32_e64 v7, v2, 1, s[24:25]
; %bb.176:
	s_or_b64 exec, exec, s[26:27]
	v_mov_b32_dpp v3, v5 row_bcast:31 row_mask:0xf bank_mask:0xf
	v_mov_b32_dpp v2, v7 row_bcast:31 row_mask:0xf bank_mask:0xf
	v_cmp_lt_u32_e64 s[24:25], 31, v6
	s_and_saveexec_b64 s[26:27], s[24:25]
; %bb.177:
	v_add_f32_e32 v3, v5, v3
	v_cmp_eq_u32_e64 s[24:25], 0, v7
	v_cndmask_b32_e64 v5, v5, v3, s[24:25]
	v_and_b32_e32 v3, 1, v7
	v_and_b32_e32 v2, 1, v2
	v_cmp_eq_u32_e64 s[24:25], 1, v3
	v_cndmask_b32_e64 v7, v2, 1, s[24:25]
; %bb.178:
	s_or_b64 exec, exec, s[26:27]
	v_or_b32_e32 v2, 63, v0
	v_lshrrev_b32_e32 v8, 6, v0
	v_cmp_eq_u32_e64 s[24:25], v2, v0
	s_and_saveexec_b64 s[26:27], s[24:25]
	s_cbranch_execz .LBB1809_180
; %bb.179:
	v_lshlrev_b32_e32 v2, 3, v8
	ds_write_b32 v2, v5
	ds_write_b8 v2, v7 offset:4
.LBB1809_180:
	s_or_b64 exec, exec, s[26:27]
	v_cmp_gt_u32_e64 s[24:25], 4, v0
	s_waitcnt lgkmcnt(0)
	s_barrier
	s_and_saveexec_b64 s[26:27], s[24:25]
	s_cbranch_execz .LBB1809_184
; %bb.181:
	v_lshlrev_b32_e32 v9, 3, v0
	ds_read_b64 v[2:3], v9
	v_and_b32_e32 v10, 3, v6
	v_cmp_ne_u32_e64 s[24:25], 0, v10
	s_waitcnt lgkmcnt(0)
	v_mov_b32_dpp v13, v2 row_shr:1 row_mask:0xf bank_mask:0xf
	v_mov_b32_dpp v12, v3 row_shr:1 row_mask:0xf bank_mask:0xf
	v_mov_b32_e32 v11, v3
	s_and_saveexec_b64 s[28:29], s[24:25]
; %bb.182:
	v_mov_b32_e32 v11, 0
	v_add_f32_e32 v13, v2, v13
	v_cmp_eq_u16_sdwa s[24:25], v3, v11 src0_sel:BYTE_0 src1_sel:DWORD
	v_and_b32_e32 v11, 1, v3
	v_cndmask_b32_e64 v2, v2, v13, s[24:25]
	v_and_b32_e32 v12, 1, v12
	v_cmp_eq_u32_e64 s[24:25], 1, v11
	v_cndmask_b32_e64 v11, v12, 1, s[24:25]
	s_movk_i32 s24, 0xff00
	v_and_or_b32 v3, v3, s24, v11
; %bb.183:
	s_or_b64 exec, exec, s[28:29]
	v_mov_b32_e32 v14, 0
	v_mov_b32_dpp v13, v3 row_shr:2 row_mask:0xf bank_mask:0xf
	v_cmp_eq_u16_sdwa s[28:29], v11, v14 src0_sel:BYTE_0 src1_sel:DWORD
	v_and_b32_e32 v11, 1, v11
	v_and_b32_e32 v13, 1, v13
	v_cmp_eq_u32_e64 s[24:25], 1, v11
	v_mov_b32_dpp v12, v2 row_shr:2 row_mask:0xf bank_mask:0xf
	v_cndmask_b32_e64 v11, v13, 1, s[24:25]
	v_cmp_lt_u32_e64 s[24:25], 1, v10
	v_add_f32_e32 v12, v2, v12
	v_cndmask_b32_e64 v3, v3, v11, s[24:25]
	s_and_b64 s[24:25], s[24:25], s[28:29]
	v_cndmask_b32_e64 v2, v2, v12, s[24:25]
	ds_write_b32 v9, v2
	ds_write_b8 v9, v3 offset:4
.LBB1809_184:
	s_or_b64 exec, exec, s[26:27]
	v_cmp_lt_u32_e64 s[24:25], 63, v0
	s_waitcnt vmcnt(0)
	v_mov_b32_e32 v2, v4
	s_waitcnt lgkmcnt(0)
	s_barrier
	s_and_saveexec_b64 s[26:27], s[24:25]
	s_cbranch_execz .LBB1809_186
; %bb.185:
	v_lshl_add_u32 v2, v8, 3, -8
	ds_read_b32 v3, v2
	ds_read_u8 v2, v2 offset:4
	s_waitcnt lgkmcnt(1)
	v_add_f32_e32 v8, v4, v3
	s_waitcnt lgkmcnt(0)
	v_cmp_eq_u16_e64 s[24:25], 0, v2
	v_cndmask_b32_e64 v2, v3, v8, s[24:25]
.LBB1809_186:
	s_or_b64 exec, exec, s[26:27]
	v_add_f32_e32 v3, v5, v2
	v_cmp_eq_u32_e64 s[24:25], 0, v7
	v_cndmask_b32_e64 v3, v5, v3, s[24:25]
	v_add_u32_e32 v5, -1, v6
	v_and_b32_e32 v7, 64, v6
	v_cmp_lt_i32_e64 s[24:25], v5, v7
	v_cndmask_b32_e64 v5, v5, v6, s[24:25]
	v_lshlrev_b32_e32 v5, 2, v5
	ds_bpermute_b32 v3, v5, v3
	v_cmp_eq_u32_e64 s[24:25], 0, v6
	v_mov_b32_e32 v15, 0
	v_cmp_eq_u16_sdwa s[26:27], v1, v15 src0_sel:BYTE_0 src1_sel:DWORD
	s_waitcnt lgkmcnt(0)
	v_cndmask_b32_e64 v2, v3, v2, s[24:25]
	v_cmp_eq_u32_e64 s[24:25], 0, v0
	v_cndmask_b32_e64 v3, v2, v4, s[24:25]
	v_add_f32_e32 v3, v28, v3
	v_cndmask_b32_e64 v3, v28, v3, s[26:27]
	v_add_f32_e32 v1, v26, v3
	;; [unrolled: 2-line block ×13, first 2 shown]
	s_and_saveexec_b64 s[4:5], s[24:25]
	s_cbranch_execz .LBB1809_188
; %bb.187:
	ds_read_b32 v2, v15 offset:24
	ds_read_u8 v5, v15 offset:28
	s_add_u32 s6, s44, 0x400
	s_addc_u32 s7, s45, 0
	v_mov_b32_e32 v14, 2
	s_waitcnt lgkmcnt(1)
	v_add_f32_e32 v8, v4, v2
	s_waitcnt lgkmcnt(0)
	v_cmp_eq_u16_e64 s[2:3], 0, v5
	v_cndmask_b32_e64 v12, v2, v8, s[2:3]
	v_and_b32_e32 v13, 0xffff, v5
	v_pk_mov_b32 v[8:9], s[6:7], s[6:7] op_sel:[0,1]
	;;#ASMSTART
	global_store_dwordx4 v[8:9], v[12:15] off	
s_waitcnt vmcnt(0)
	;;#ASMEND
	v_mov_b32_e32 v2, v4
.LBB1809_188:
	s_or_b64 exec, exec, s[4:5]
	v_cndmask_b32_e32 v23, v24, v1, vcc
.LBB1809_189:
	s_add_u32 s2, s42, s34
	s_addc_u32 s3, s43, s35
	s_add_u32 s4, s2, s36
	v_mul_u32_u24_e32 v1, 14, v0
	s_addc_u32 s5, s3, s37
	s_and_b64 vcc, exec, s[0:1]
	v_lshlrev_b32_e32 v4, 2, v1
	s_cbranch_vccz .LBB1809_217
; %bb.190:
	s_movk_i32 s0, 0xffcc
	v_mad_i32_i24 v5, v0, s0, v4
	s_barrier
	ds_write2_b64 v4, v[2:3], v[16:17] offset1:1
	s_waitcnt vmcnt(0)
	ds_write2_b64 v4, v[6:7], v[18:19] offset0:2 offset1:3
	ds_write2_b64 v4, v[10:11], v[20:21] offset0:4 offset1:5
	ds_write_b64 v4, v[22:23] offset:48
	s_waitcnt lgkmcnt(0)
	s_barrier
	ds_read2st64_b32 v[30:31], v5 offset0:4 offset1:8
	ds_read2st64_b32 v[28:29], v5 offset0:12 offset1:16
	;; [unrolled: 1-line block ×6, first 2 shown]
	ds_read_b32 v5, v5 offset:13312
	v_mov_b32_e32 v9, s5
	v_add_co_u32_e32 v8, vcc, s4, v49
	s_add_i32 s33, s33, s46
	v_addc_co_u32_e32 v9, vcc, 0, v9, vcc
	v_mov_b32_e32 v1, 0
	v_cmp_gt_u32_e32 vcc, s33, v0
	s_and_saveexec_b64 s[0:1], vcc
	s_cbranch_execz .LBB1809_192
; %bb.191:
	v_mul_i32_i24_e32 v32, 0xffffffcc, v0
	v_add_u32_e32 v32, v4, v32
	ds_read_b32 v32, v32
	s_waitcnt lgkmcnt(0)
	v_cvt_i32_f32_e32 v32, v32
	flat_store_dword v[8:9], v32
.LBB1809_192:
	s_or_b64 exec, exec, s[0:1]
	v_or_b32_e32 v32, 0x100, v0
	v_cmp_gt_u32_e32 vcc, s33, v32
	s_and_saveexec_b64 s[0:1], vcc
	s_cbranch_execz .LBB1809_194
; %bb.193:
	s_waitcnt lgkmcnt(0)
	v_cvt_i32_f32_e32 v30, v30
	flat_store_dword v[8:9], v30 offset:1024
.LBB1809_194:
	s_or_b64 exec, exec, s[0:1]
	s_waitcnt lgkmcnt(0)
	v_or_b32_e32 v30, 0x200, v0
	v_cmp_gt_u32_e32 vcc, s33, v30
	s_and_saveexec_b64 s[0:1], vcc
	s_cbranch_execz .LBB1809_196
; %bb.195:
	v_cvt_i32_f32_e32 v30, v31
	flat_store_dword v[8:9], v30 offset:2048
.LBB1809_196:
	s_or_b64 exec, exec, s[0:1]
	v_or_b32_e32 v30, 0x300, v0
	v_cmp_gt_u32_e32 vcc, s33, v30
	s_and_saveexec_b64 s[0:1], vcc
	s_cbranch_execz .LBB1809_198
; %bb.197:
	v_cvt_i32_f32_e32 v28, v28
	flat_store_dword v[8:9], v28 offset:3072
.LBB1809_198:
	s_or_b64 exec, exec, s[0:1]
	v_or_b32_e32 v28, 0x400, v0
	v_cmp_gt_u32_e32 vcc, s33, v28
	s_and_saveexec_b64 s[0:1], vcc
	s_cbranch_execz .LBB1809_200
; %bb.199:
	v_cvt_i32_f32_e32 v30, v29
	v_add_co_u32_e32 v28, vcc, 0x1000, v8
	v_addc_co_u32_e32 v29, vcc, 0, v9, vcc
	flat_store_dword v[28:29], v30
.LBB1809_200:
	s_or_b64 exec, exec, s[0:1]
	v_or_b32_e32 v28, 0x500, v0
	v_cmp_gt_u32_e32 vcc, s33, v28
	s_and_saveexec_b64 s[0:1], vcc
	s_cbranch_execz .LBB1809_202
; %bb.201:
	v_cvt_i32_f32_e32 v26, v26
	v_add_co_u32_e32 v28, vcc, 0x1000, v8
	v_addc_co_u32_e32 v29, vcc, 0, v9, vcc
	flat_store_dword v[28:29], v26 offset:1024
.LBB1809_202:
	s_or_b64 exec, exec, s[0:1]
	v_or_b32_e32 v26, 0x600, v0
	v_cmp_gt_u32_e32 vcc, s33, v26
	s_and_saveexec_b64 s[0:1], vcc
	s_cbranch_execz .LBB1809_204
; %bb.203:
	v_cvt_i32_f32_e32 v28, v27
	v_add_co_u32_e32 v26, vcc, 0x1000, v8
	v_addc_co_u32_e32 v27, vcc, 0, v9, vcc
	flat_store_dword v[26:27], v28 offset:2048
.LBB1809_204:
	;; [unrolled: 11-line block ×3, first 2 shown]
	s_or_b64 exec, exec, s[0:1]
	v_or_b32_e32 v24, 0x800, v0
	v_cmp_gt_u32_e32 vcc, s33, v24
	s_and_saveexec_b64 s[0:1], vcc
	s_cbranch_execz .LBB1809_208
; %bb.207:
	v_cvt_i32_f32_e32 v26, v25
	v_add_co_u32_e32 v24, vcc, 0x2000, v8
	v_addc_co_u32_e32 v25, vcc, 0, v9, vcc
	flat_store_dword v[24:25], v26
.LBB1809_208:
	s_or_b64 exec, exec, s[0:1]
	v_or_b32_e32 v24, 0x900, v0
	v_cmp_gt_u32_e32 vcc, s33, v24
	s_and_saveexec_b64 s[0:1], vcc
	s_cbranch_execz .LBB1809_210
; %bb.209:
	v_cvt_i32_f32_e32 v14, v14
	v_add_co_u32_e32 v24, vcc, 0x2000, v8
	v_addc_co_u32_e32 v25, vcc, 0, v9, vcc
	flat_store_dword v[24:25], v14 offset:1024
.LBB1809_210:
	s_or_b64 exec, exec, s[0:1]
	v_or_b32_e32 v14, 0xa00, v0
	v_cmp_gt_u32_e32 vcc, s33, v14
	s_and_saveexec_b64 s[0:1], vcc
	s_cbranch_execz .LBB1809_212
; %bb.211:
	v_cvt_i32_f32_e32 v24, v15
	v_add_co_u32_e32 v14, vcc, 0x2000, v8
	v_addc_co_u32_e32 v15, vcc, 0, v9, vcc
	flat_store_dword v[14:15], v24 offset:2048
.LBB1809_212:
	;; [unrolled: 11-line block ×3, first 2 shown]
	s_or_b64 exec, exec, s[0:1]
	v_or_b32_e32 v12, 0xc00, v0
	v_cmp_gt_u32_e32 vcc, s33, v12
	s_and_saveexec_b64 s[0:1], vcc
	s_cbranch_execz .LBB1809_216
; %bb.215:
	v_cvt_i32_f32_e32 v12, v13
	v_add_co_u32_e32 v8, vcc, 0x3000, v8
	v_addc_co_u32_e32 v9, vcc, 0, v9, vcc
	flat_store_dword v[8:9], v12
.LBB1809_216:
	s_or_b64 exec, exec, s[0:1]
	v_or_b32_e32 v8, 0xd00, v0
	v_cmp_gt_u32_e64 s[0:1], s33, v8
	s_branch .LBB1809_219
.LBB1809_217:
	s_mov_b64 s[0:1], 0
                                        ; implicit-def: $vgpr5
	s_cbranch_execz .LBB1809_219
; %bb.218:
	s_movk_i32 s2, 0xffcc
	s_waitcnt lgkmcnt(0)
	s_barrier
	ds_write2_b64 v4, v[2:3], v[16:17] offset1:1
	s_waitcnt vmcnt(0)
	ds_write2_b64 v4, v[6:7], v[18:19] offset0:2 offset1:3
	ds_write2_b64 v4, v[10:11], v[20:21] offset0:4 offset1:5
	ds_write_b64 v4, v[22:23] offset:48
	v_mad_i32_i24 v4, v0, s2, v4
	s_waitcnt lgkmcnt(0)
	s_barrier
	ds_read2st64_b32 v[2:3], v4 offset1:4
	ds_read2st64_b32 v[6:7], v4 offset0:8 offset1:12
	ds_read2st64_b32 v[8:9], v4 offset0:16 offset1:20
	;; [unrolled: 1-line block ×6, first 2 shown]
	s_waitcnt lgkmcnt(6)
	v_cvt_i32_f32_e32 v2, v2
	v_cvt_i32_f32_e32 v3, v3
	v_mov_b32_e32 v17, s5
	v_add_co_u32_e32 v16, vcc, s4, v49
	s_waitcnt lgkmcnt(5)
	v_cvt_i32_f32_e32 v6, v6
	v_addc_co_u32_e32 v17, vcc, 0, v17, vcc
	v_cvt_i32_f32_e32 v7, v7
	flat_store_dword v[16:17], v2
	flat_store_dword v[16:17], v3 offset:1024
	flat_store_dword v[16:17], v6 offset:2048
	;; [unrolled: 1-line block ×3, first 2 shown]
	s_waitcnt lgkmcnt(0)
	v_cvt_i32_f32_e32 v6, v8
	s_movk_i32 s2, 0x1000
	v_cvt_i32_f32_e32 v7, v9
	v_add_co_u32_e32 v2, vcc, s2, v16
	v_cvt_i32_f32_e32 v8, v10
	v_addc_co_u32_e32 v3, vcc, 0, v17, vcc
	v_cvt_i32_f32_e32 v9, v11
	flat_store_dword v[2:3], v6
	flat_store_dword v[2:3], v7 offset:1024
	flat_store_dword v[2:3], v8 offset:2048
	;; [unrolled: 1-line block ×3, first 2 shown]
	v_cvt_i32_f32_e32 v6, v12
	s_movk_i32 s2, 0x2000
	v_cvt_i32_f32_e32 v7, v13
	v_add_co_u32_e32 v2, vcc, s2, v16
	v_cvt_i32_f32_e32 v8, v14
	v_cvt_i32_f32_e32 v4, v4
	v_addc_co_u32_e32 v3, vcc, 0, v17, vcc
	v_cvt_i32_f32_e32 v9, v15
	flat_store_dword v[2:3], v6
	flat_store_dword v[2:3], v7 offset:1024
	flat_store_dword v[2:3], v8 offset:2048
	;; [unrolled: 1-line block ×3, first 2 shown]
	v_add_co_u32_e32 v2, vcc, 0x3000, v16
	v_mov_b32_e32 v1, 0
	v_addc_co_u32_e32 v3, vcc, 0, v17, vcc
	s_or_b64 s[0:1], s[0:1], exec
	flat_store_dword v[2:3], v4
.LBB1809_219:
	s_and_saveexec_b64 s[2:3], s[0:1]
	s_cbranch_execz .LBB1809_221
; %bb.220:
	v_lshlrev_b64 v[0:1], 2, v[0:1]
	v_mov_b32_e32 v2, s5
	v_add_co_u32_e32 v0, vcc, s4, v0
	v_addc_co_u32_e32 v1, vcc, v2, v1, vcc
	v_cvt_i32_f32_e32 v2, v5
	v_add_co_u32_e32 v0, vcc, 0x3000, v0
	v_addc_co_u32_e32 v1, vcc, 0, v1, vcc
	flat_store_dword v[0:1], v2 offset:1024
	s_endpgm
.LBB1809_221:
	s_endpgm
	.section	.rodata,"a",@progbits
	.p2align	6, 0x0
	.amdhsa_kernel _ZN7rocprim17ROCPRIM_400000_NS6detail17trampoline_kernelINS0_14default_configENS1_27scan_by_key_config_selectorIifEEZZNS1_16scan_by_key_implILNS1_25lookback_scan_determinismE0ELb1ES3_N6thrust23THRUST_200600_302600_NS6detail15normal_iteratorINS9_10device_ptrIiEEEENSB_INSC_IjEEEESE_fNS9_4plusIvEENS9_8equal_toIvEEfEE10hipError_tPvRmT2_T3_T4_T5_mT6_T7_P12ihipStream_tbENKUlT_T0_E_clISt17integral_constantIbLb1EES10_IbLb0EEEEDaSW_SX_EUlSW_E_NS1_11comp_targetILNS1_3genE4ELNS1_11target_archE910ELNS1_3gpuE8ELNS1_3repE0EEENS1_30default_config_static_selectorELNS0_4arch9wavefront6targetE1EEEvT1_
		.amdhsa_group_segment_fixed_size 16384
		.amdhsa_private_segment_fixed_size 0
		.amdhsa_kernarg_size 112
		.amdhsa_user_sgpr_count 6
		.amdhsa_user_sgpr_private_segment_buffer 1
		.amdhsa_user_sgpr_dispatch_ptr 0
		.amdhsa_user_sgpr_queue_ptr 0
		.amdhsa_user_sgpr_kernarg_segment_ptr 1
		.amdhsa_user_sgpr_dispatch_id 0
		.amdhsa_user_sgpr_flat_scratch_init 0
		.amdhsa_user_sgpr_kernarg_preload_length 0
		.amdhsa_user_sgpr_kernarg_preload_offset 0
		.amdhsa_user_sgpr_private_segment_size 0
		.amdhsa_uses_dynamic_stack 0
		.amdhsa_system_sgpr_private_segment_wavefront_offset 0
		.amdhsa_system_sgpr_workgroup_id_x 1
		.amdhsa_system_sgpr_workgroup_id_y 0
		.amdhsa_system_sgpr_workgroup_id_z 0
		.amdhsa_system_sgpr_workgroup_info 0
		.amdhsa_system_vgpr_workitem_id 0
		.amdhsa_next_free_vgpr 65
		.amdhsa_next_free_sgpr 59
		.amdhsa_accum_offset 68
		.amdhsa_reserve_vcc 1
		.amdhsa_reserve_flat_scratch 0
		.amdhsa_float_round_mode_32 0
		.amdhsa_float_round_mode_16_64 0
		.amdhsa_float_denorm_mode_32 3
		.amdhsa_float_denorm_mode_16_64 3
		.amdhsa_dx10_clamp 1
		.amdhsa_ieee_mode 1
		.amdhsa_fp16_overflow 0
		.amdhsa_tg_split 0
		.amdhsa_exception_fp_ieee_invalid_op 0
		.amdhsa_exception_fp_denorm_src 0
		.amdhsa_exception_fp_ieee_div_zero 0
		.amdhsa_exception_fp_ieee_overflow 0
		.amdhsa_exception_fp_ieee_underflow 0
		.amdhsa_exception_fp_ieee_inexact 0
		.amdhsa_exception_int_div_zero 0
	.end_amdhsa_kernel
	.section	.text._ZN7rocprim17ROCPRIM_400000_NS6detail17trampoline_kernelINS0_14default_configENS1_27scan_by_key_config_selectorIifEEZZNS1_16scan_by_key_implILNS1_25lookback_scan_determinismE0ELb1ES3_N6thrust23THRUST_200600_302600_NS6detail15normal_iteratorINS9_10device_ptrIiEEEENSB_INSC_IjEEEESE_fNS9_4plusIvEENS9_8equal_toIvEEfEE10hipError_tPvRmT2_T3_T4_T5_mT6_T7_P12ihipStream_tbENKUlT_T0_E_clISt17integral_constantIbLb1EES10_IbLb0EEEEDaSW_SX_EUlSW_E_NS1_11comp_targetILNS1_3genE4ELNS1_11target_archE910ELNS1_3gpuE8ELNS1_3repE0EEENS1_30default_config_static_selectorELNS0_4arch9wavefront6targetE1EEEvT1_,"axG",@progbits,_ZN7rocprim17ROCPRIM_400000_NS6detail17trampoline_kernelINS0_14default_configENS1_27scan_by_key_config_selectorIifEEZZNS1_16scan_by_key_implILNS1_25lookback_scan_determinismE0ELb1ES3_N6thrust23THRUST_200600_302600_NS6detail15normal_iteratorINS9_10device_ptrIiEEEENSB_INSC_IjEEEESE_fNS9_4plusIvEENS9_8equal_toIvEEfEE10hipError_tPvRmT2_T3_T4_T5_mT6_T7_P12ihipStream_tbENKUlT_T0_E_clISt17integral_constantIbLb1EES10_IbLb0EEEEDaSW_SX_EUlSW_E_NS1_11comp_targetILNS1_3genE4ELNS1_11target_archE910ELNS1_3gpuE8ELNS1_3repE0EEENS1_30default_config_static_selectorELNS0_4arch9wavefront6targetE1EEEvT1_,comdat
.Lfunc_end1809:
	.size	_ZN7rocprim17ROCPRIM_400000_NS6detail17trampoline_kernelINS0_14default_configENS1_27scan_by_key_config_selectorIifEEZZNS1_16scan_by_key_implILNS1_25lookback_scan_determinismE0ELb1ES3_N6thrust23THRUST_200600_302600_NS6detail15normal_iteratorINS9_10device_ptrIiEEEENSB_INSC_IjEEEESE_fNS9_4plusIvEENS9_8equal_toIvEEfEE10hipError_tPvRmT2_T3_T4_T5_mT6_T7_P12ihipStream_tbENKUlT_T0_E_clISt17integral_constantIbLb1EES10_IbLb0EEEEDaSW_SX_EUlSW_E_NS1_11comp_targetILNS1_3genE4ELNS1_11target_archE910ELNS1_3gpuE8ELNS1_3repE0EEENS1_30default_config_static_selectorELNS0_4arch9wavefront6targetE1EEEvT1_, .Lfunc_end1809-_ZN7rocprim17ROCPRIM_400000_NS6detail17trampoline_kernelINS0_14default_configENS1_27scan_by_key_config_selectorIifEEZZNS1_16scan_by_key_implILNS1_25lookback_scan_determinismE0ELb1ES3_N6thrust23THRUST_200600_302600_NS6detail15normal_iteratorINS9_10device_ptrIiEEEENSB_INSC_IjEEEESE_fNS9_4plusIvEENS9_8equal_toIvEEfEE10hipError_tPvRmT2_T3_T4_T5_mT6_T7_P12ihipStream_tbENKUlT_T0_E_clISt17integral_constantIbLb1EES10_IbLb0EEEEDaSW_SX_EUlSW_E_NS1_11comp_targetILNS1_3genE4ELNS1_11target_archE910ELNS1_3gpuE8ELNS1_3repE0EEENS1_30default_config_static_selectorELNS0_4arch9wavefront6targetE1EEEvT1_
                                        ; -- End function
	.section	.AMDGPU.csdata,"",@progbits
; Kernel info:
; codeLenInByte = 10964
; NumSgprs: 63
; NumVgprs: 65
; NumAgprs: 0
; TotalNumVgprs: 65
; ScratchSize: 0
; MemoryBound: 0
; FloatMode: 240
; IeeeMode: 1
; LDSByteSize: 16384 bytes/workgroup (compile time only)
; SGPRBlocks: 7
; VGPRBlocks: 8
; NumSGPRsForWavesPerEU: 63
; NumVGPRsForWavesPerEU: 65
; AccumOffset: 68
; Occupancy: 4
; WaveLimiterHint : 1
; COMPUTE_PGM_RSRC2:SCRATCH_EN: 0
; COMPUTE_PGM_RSRC2:USER_SGPR: 6
; COMPUTE_PGM_RSRC2:TRAP_HANDLER: 0
; COMPUTE_PGM_RSRC2:TGID_X_EN: 1
; COMPUTE_PGM_RSRC2:TGID_Y_EN: 0
; COMPUTE_PGM_RSRC2:TGID_Z_EN: 0
; COMPUTE_PGM_RSRC2:TIDIG_COMP_CNT: 0
; COMPUTE_PGM_RSRC3_GFX90A:ACCUM_OFFSET: 16
; COMPUTE_PGM_RSRC3_GFX90A:TG_SPLIT: 0
	.section	.text._ZN7rocprim17ROCPRIM_400000_NS6detail17trampoline_kernelINS0_14default_configENS1_27scan_by_key_config_selectorIifEEZZNS1_16scan_by_key_implILNS1_25lookback_scan_determinismE0ELb1ES3_N6thrust23THRUST_200600_302600_NS6detail15normal_iteratorINS9_10device_ptrIiEEEENSB_INSC_IjEEEESE_fNS9_4plusIvEENS9_8equal_toIvEEfEE10hipError_tPvRmT2_T3_T4_T5_mT6_T7_P12ihipStream_tbENKUlT_T0_E_clISt17integral_constantIbLb1EES10_IbLb0EEEEDaSW_SX_EUlSW_E_NS1_11comp_targetILNS1_3genE3ELNS1_11target_archE908ELNS1_3gpuE7ELNS1_3repE0EEENS1_30default_config_static_selectorELNS0_4arch9wavefront6targetE1EEEvT1_,"axG",@progbits,_ZN7rocprim17ROCPRIM_400000_NS6detail17trampoline_kernelINS0_14default_configENS1_27scan_by_key_config_selectorIifEEZZNS1_16scan_by_key_implILNS1_25lookback_scan_determinismE0ELb1ES3_N6thrust23THRUST_200600_302600_NS6detail15normal_iteratorINS9_10device_ptrIiEEEENSB_INSC_IjEEEESE_fNS9_4plusIvEENS9_8equal_toIvEEfEE10hipError_tPvRmT2_T3_T4_T5_mT6_T7_P12ihipStream_tbENKUlT_T0_E_clISt17integral_constantIbLb1EES10_IbLb0EEEEDaSW_SX_EUlSW_E_NS1_11comp_targetILNS1_3genE3ELNS1_11target_archE908ELNS1_3gpuE7ELNS1_3repE0EEENS1_30default_config_static_selectorELNS0_4arch9wavefront6targetE1EEEvT1_,comdat
	.protected	_ZN7rocprim17ROCPRIM_400000_NS6detail17trampoline_kernelINS0_14default_configENS1_27scan_by_key_config_selectorIifEEZZNS1_16scan_by_key_implILNS1_25lookback_scan_determinismE0ELb1ES3_N6thrust23THRUST_200600_302600_NS6detail15normal_iteratorINS9_10device_ptrIiEEEENSB_INSC_IjEEEESE_fNS9_4plusIvEENS9_8equal_toIvEEfEE10hipError_tPvRmT2_T3_T4_T5_mT6_T7_P12ihipStream_tbENKUlT_T0_E_clISt17integral_constantIbLb1EES10_IbLb0EEEEDaSW_SX_EUlSW_E_NS1_11comp_targetILNS1_3genE3ELNS1_11target_archE908ELNS1_3gpuE7ELNS1_3repE0EEENS1_30default_config_static_selectorELNS0_4arch9wavefront6targetE1EEEvT1_ ; -- Begin function _ZN7rocprim17ROCPRIM_400000_NS6detail17trampoline_kernelINS0_14default_configENS1_27scan_by_key_config_selectorIifEEZZNS1_16scan_by_key_implILNS1_25lookback_scan_determinismE0ELb1ES3_N6thrust23THRUST_200600_302600_NS6detail15normal_iteratorINS9_10device_ptrIiEEEENSB_INSC_IjEEEESE_fNS9_4plusIvEENS9_8equal_toIvEEfEE10hipError_tPvRmT2_T3_T4_T5_mT6_T7_P12ihipStream_tbENKUlT_T0_E_clISt17integral_constantIbLb1EES10_IbLb0EEEEDaSW_SX_EUlSW_E_NS1_11comp_targetILNS1_3genE3ELNS1_11target_archE908ELNS1_3gpuE7ELNS1_3repE0EEENS1_30default_config_static_selectorELNS0_4arch9wavefront6targetE1EEEvT1_
	.globl	_ZN7rocprim17ROCPRIM_400000_NS6detail17trampoline_kernelINS0_14default_configENS1_27scan_by_key_config_selectorIifEEZZNS1_16scan_by_key_implILNS1_25lookback_scan_determinismE0ELb1ES3_N6thrust23THRUST_200600_302600_NS6detail15normal_iteratorINS9_10device_ptrIiEEEENSB_INSC_IjEEEESE_fNS9_4plusIvEENS9_8equal_toIvEEfEE10hipError_tPvRmT2_T3_T4_T5_mT6_T7_P12ihipStream_tbENKUlT_T0_E_clISt17integral_constantIbLb1EES10_IbLb0EEEEDaSW_SX_EUlSW_E_NS1_11comp_targetILNS1_3genE3ELNS1_11target_archE908ELNS1_3gpuE7ELNS1_3repE0EEENS1_30default_config_static_selectorELNS0_4arch9wavefront6targetE1EEEvT1_
	.p2align	8
	.type	_ZN7rocprim17ROCPRIM_400000_NS6detail17trampoline_kernelINS0_14default_configENS1_27scan_by_key_config_selectorIifEEZZNS1_16scan_by_key_implILNS1_25lookback_scan_determinismE0ELb1ES3_N6thrust23THRUST_200600_302600_NS6detail15normal_iteratorINS9_10device_ptrIiEEEENSB_INSC_IjEEEESE_fNS9_4plusIvEENS9_8equal_toIvEEfEE10hipError_tPvRmT2_T3_T4_T5_mT6_T7_P12ihipStream_tbENKUlT_T0_E_clISt17integral_constantIbLb1EES10_IbLb0EEEEDaSW_SX_EUlSW_E_NS1_11comp_targetILNS1_3genE3ELNS1_11target_archE908ELNS1_3gpuE7ELNS1_3repE0EEENS1_30default_config_static_selectorELNS0_4arch9wavefront6targetE1EEEvT1_,@function
_ZN7rocprim17ROCPRIM_400000_NS6detail17trampoline_kernelINS0_14default_configENS1_27scan_by_key_config_selectorIifEEZZNS1_16scan_by_key_implILNS1_25lookback_scan_determinismE0ELb1ES3_N6thrust23THRUST_200600_302600_NS6detail15normal_iteratorINS9_10device_ptrIiEEEENSB_INSC_IjEEEESE_fNS9_4plusIvEENS9_8equal_toIvEEfEE10hipError_tPvRmT2_T3_T4_T5_mT6_T7_P12ihipStream_tbENKUlT_T0_E_clISt17integral_constantIbLb1EES10_IbLb0EEEEDaSW_SX_EUlSW_E_NS1_11comp_targetILNS1_3genE3ELNS1_11target_archE908ELNS1_3gpuE7ELNS1_3repE0EEENS1_30default_config_static_selectorELNS0_4arch9wavefront6targetE1EEEvT1_: ; @_ZN7rocprim17ROCPRIM_400000_NS6detail17trampoline_kernelINS0_14default_configENS1_27scan_by_key_config_selectorIifEEZZNS1_16scan_by_key_implILNS1_25lookback_scan_determinismE0ELb1ES3_N6thrust23THRUST_200600_302600_NS6detail15normal_iteratorINS9_10device_ptrIiEEEENSB_INSC_IjEEEESE_fNS9_4plusIvEENS9_8equal_toIvEEfEE10hipError_tPvRmT2_T3_T4_T5_mT6_T7_P12ihipStream_tbENKUlT_T0_E_clISt17integral_constantIbLb1EES10_IbLb0EEEEDaSW_SX_EUlSW_E_NS1_11comp_targetILNS1_3genE3ELNS1_11target_archE908ELNS1_3gpuE7ELNS1_3repE0EEENS1_30default_config_static_selectorELNS0_4arch9wavefront6targetE1EEEvT1_
; %bb.0:
	.section	.rodata,"a",@progbits
	.p2align	6, 0x0
	.amdhsa_kernel _ZN7rocprim17ROCPRIM_400000_NS6detail17trampoline_kernelINS0_14default_configENS1_27scan_by_key_config_selectorIifEEZZNS1_16scan_by_key_implILNS1_25lookback_scan_determinismE0ELb1ES3_N6thrust23THRUST_200600_302600_NS6detail15normal_iteratorINS9_10device_ptrIiEEEENSB_INSC_IjEEEESE_fNS9_4plusIvEENS9_8equal_toIvEEfEE10hipError_tPvRmT2_T3_T4_T5_mT6_T7_P12ihipStream_tbENKUlT_T0_E_clISt17integral_constantIbLb1EES10_IbLb0EEEEDaSW_SX_EUlSW_E_NS1_11comp_targetILNS1_3genE3ELNS1_11target_archE908ELNS1_3gpuE7ELNS1_3repE0EEENS1_30default_config_static_selectorELNS0_4arch9wavefront6targetE1EEEvT1_
		.amdhsa_group_segment_fixed_size 0
		.amdhsa_private_segment_fixed_size 0
		.amdhsa_kernarg_size 112
		.amdhsa_user_sgpr_count 6
		.amdhsa_user_sgpr_private_segment_buffer 1
		.amdhsa_user_sgpr_dispatch_ptr 0
		.amdhsa_user_sgpr_queue_ptr 0
		.amdhsa_user_sgpr_kernarg_segment_ptr 1
		.amdhsa_user_sgpr_dispatch_id 0
		.amdhsa_user_sgpr_flat_scratch_init 0
		.amdhsa_user_sgpr_kernarg_preload_length 0
		.amdhsa_user_sgpr_kernarg_preload_offset 0
		.amdhsa_user_sgpr_private_segment_size 0
		.amdhsa_uses_dynamic_stack 0
		.amdhsa_system_sgpr_private_segment_wavefront_offset 0
		.amdhsa_system_sgpr_workgroup_id_x 1
		.amdhsa_system_sgpr_workgroup_id_y 0
		.amdhsa_system_sgpr_workgroup_id_z 0
		.amdhsa_system_sgpr_workgroup_info 0
		.amdhsa_system_vgpr_workitem_id 0
		.amdhsa_next_free_vgpr 1
		.amdhsa_next_free_sgpr 0
		.amdhsa_accum_offset 4
		.amdhsa_reserve_vcc 0
		.amdhsa_reserve_flat_scratch 0
		.amdhsa_float_round_mode_32 0
		.amdhsa_float_round_mode_16_64 0
		.amdhsa_float_denorm_mode_32 3
		.amdhsa_float_denorm_mode_16_64 3
		.amdhsa_dx10_clamp 1
		.amdhsa_ieee_mode 1
		.amdhsa_fp16_overflow 0
		.amdhsa_tg_split 0
		.amdhsa_exception_fp_ieee_invalid_op 0
		.amdhsa_exception_fp_denorm_src 0
		.amdhsa_exception_fp_ieee_div_zero 0
		.amdhsa_exception_fp_ieee_overflow 0
		.amdhsa_exception_fp_ieee_underflow 0
		.amdhsa_exception_fp_ieee_inexact 0
		.amdhsa_exception_int_div_zero 0
	.end_amdhsa_kernel
	.section	.text._ZN7rocprim17ROCPRIM_400000_NS6detail17trampoline_kernelINS0_14default_configENS1_27scan_by_key_config_selectorIifEEZZNS1_16scan_by_key_implILNS1_25lookback_scan_determinismE0ELb1ES3_N6thrust23THRUST_200600_302600_NS6detail15normal_iteratorINS9_10device_ptrIiEEEENSB_INSC_IjEEEESE_fNS9_4plusIvEENS9_8equal_toIvEEfEE10hipError_tPvRmT2_T3_T4_T5_mT6_T7_P12ihipStream_tbENKUlT_T0_E_clISt17integral_constantIbLb1EES10_IbLb0EEEEDaSW_SX_EUlSW_E_NS1_11comp_targetILNS1_3genE3ELNS1_11target_archE908ELNS1_3gpuE7ELNS1_3repE0EEENS1_30default_config_static_selectorELNS0_4arch9wavefront6targetE1EEEvT1_,"axG",@progbits,_ZN7rocprim17ROCPRIM_400000_NS6detail17trampoline_kernelINS0_14default_configENS1_27scan_by_key_config_selectorIifEEZZNS1_16scan_by_key_implILNS1_25lookback_scan_determinismE0ELb1ES3_N6thrust23THRUST_200600_302600_NS6detail15normal_iteratorINS9_10device_ptrIiEEEENSB_INSC_IjEEEESE_fNS9_4plusIvEENS9_8equal_toIvEEfEE10hipError_tPvRmT2_T3_T4_T5_mT6_T7_P12ihipStream_tbENKUlT_T0_E_clISt17integral_constantIbLb1EES10_IbLb0EEEEDaSW_SX_EUlSW_E_NS1_11comp_targetILNS1_3genE3ELNS1_11target_archE908ELNS1_3gpuE7ELNS1_3repE0EEENS1_30default_config_static_selectorELNS0_4arch9wavefront6targetE1EEEvT1_,comdat
.Lfunc_end1810:
	.size	_ZN7rocprim17ROCPRIM_400000_NS6detail17trampoline_kernelINS0_14default_configENS1_27scan_by_key_config_selectorIifEEZZNS1_16scan_by_key_implILNS1_25lookback_scan_determinismE0ELb1ES3_N6thrust23THRUST_200600_302600_NS6detail15normal_iteratorINS9_10device_ptrIiEEEENSB_INSC_IjEEEESE_fNS9_4plusIvEENS9_8equal_toIvEEfEE10hipError_tPvRmT2_T3_T4_T5_mT6_T7_P12ihipStream_tbENKUlT_T0_E_clISt17integral_constantIbLb1EES10_IbLb0EEEEDaSW_SX_EUlSW_E_NS1_11comp_targetILNS1_3genE3ELNS1_11target_archE908ELNS1_3gpuE7ELNS1_3repE0EEENS1_30default_config_static_selectorELNS0_4arch9wavefront6targetE1EEEvT1_, .Lfunc_end1810-_ZN7rocprim17ROCPRIM_400000_NS6detail17trampoline_kernelINS0_14default_configENS1_27scan_by_key_config_selectorIifEEZZNS1_16scan_by_key_implILNS1_25lookback_scan_determinismE0ELb1ES3_N6thrust23THRUST_200600_302600_NS6detail15normal_iteratorINS9_10device_ptrIiEEEENSB_INSC_IjEEEESE_fNS9_4plusIvEENS9_8equal_toIvEEfEE10hipError_tPvRmT2_T3_T4_T5_mT6_T7_P12ihipStream_tbENKUlT_T0_E_clISt17integral_constantIbLb1EES10_IbLb0EEEEDaSW_SX_EUlSW_E_NS1_11comp_targetILNS1_3genE3ELNS1_11target_archE908ELNS1_3gpuE7ELNS1_3repE0EEENS1_30default_config_static_selectorELNS0_4arch9wavefront6targetE1EEEvT1_
                                        ; -- End function
	.section	.AMDGPU.csdata,"",@progbits
; Kernel info:
; codeLenInByte = 0
; NumSgprs: 4
; NumVgprs: 0
; NumAgprs: 0
; TotalNumVgprs: 0
; ScratchSize: 0
; MemoryBound: 0
; FloatMode: 240
; IeeeMode: 1
; LDSByteSize: 0 bytes/workgroup (compile time only)
; SGPRBlocks: 0
; VGPRBlocks: 0
; NumSGPRsForWavesPerEU: 4
; NumVGPRsForWavesPerEU: 1
; AccumOffset: 4
; Occupancy: 8
; WaveLimiterHint : 0
; COMPUTE_PGM_RSRC2:SCRATCH_EN: 0
; COMPUTE_PGM_RSRC2:USER_SGPR: 6
; COMPUTE_PGM_RSRC2:TRAP_HANDLER: 0
; COMPUTE_PGM_RSRC2:TGID_X_EN: 1
; COMPUTE_PGM_RSRC2:TGID_Y_EN: 0
; COMPUTE_PGM_RSRC2:TGID_Z_EN: 0
; COMPUTE_PGM_RSRC2:TIDIG_COMP_CNT: 0
; COMPUTE_PGM_RSRC3_GFX90A:ACCUM_OFFSET: 0
; COMPUTE_PGM_RSRC3_GFX90A:TG_SPLIT: 0
	.section	.text._ZN7rocprim17ROCPRIM_400000_NS6detail17trampoline_kernelINS0_14default_configENS1_27scan_by_key_config_selectorIifEEZZNS1_16scan_by_key_implILNS1_25lookback_scan_determinismE0ELb1ES3_N6thrust23THRUST_200600_302600_NS6detail15normal_iteratorINS9_10device_ptrIiEEEENSB_INSC_IjEEEESE_fNS9_4plusIvEENS9_8equal_toIvEEfEE10hipError_tPvRmT2_T3_T4_T5_mT6_T7_P12ihipStream_tbENKUlT_T0_E_clISt17integral_constantIbLb1EES10_IbLb0EEEEDaSW_SX_EUlSW_E_NS1_11comp_targetILNS1_3genE2ELNS1_11target_archE906ELNS1_3gpuE6ELNS1_3repE0EEENS1_30default_config_static_selectorELNS0_4arch9wavefront6targetE1EEEvT1_,"axG",@progbits,_ZN7rocprim17ROCPRIM_400000_NS6detail17trampoline_kernelINS0_14default_configENS1_27scan_by_key_config_selectorIifEEZZNS1_16scan_by_key_implILNS1_25lookback_scan_determinismE0ELb1ES3_N6thrust23THRUST_200600_302600_NS6detail15normal_iteratorINS9_10device_ptrIiEEEENSB_INSC_IjEEEESE_fNS9_4plusIvEENS9_8equal_toIvEEfEE10hipError_tPvRmT2_T3_T4_T5_mT6_T7_P12ihipStream_tbENKUlT_T0_E_clISt17integral_constantIbLb1EES10_IbLb0EEEEDaSW_SX_EUlSW_E_NS1_11comp_targetILNS1_3genE2ELNS1_11target_archE906ELNS1_3gpuE6ELNS1_3repE0EEENS1_30default_config_static_selectorELNS0_4arch9wavefront6targetE1EEEvT1_,comdat
	.protected	_ZN7rocprim17ROCPRIM_400000_NS6detail17trampoline_kernelINS0_14default_configENS1_27scan_by_key_config_selectorIifEEZZNS1_16scan_by_key_implILNS1_25lookback_scan_determinismE0ELb1ES3_N6thrust23THRUST_200600_302600_NS6detail15normal_iteratorINS9_10device_ptrIiEEEENSB_INSC_IjEEEESE_fNS9_4plusIvEENS9_8equal_toIvEEfEE10hipError_tPvRmT2_T3_T4_T5_mT6_T7_P12ihipStream_tbENKUlT_T0_E_clISt17integral_constantIbLb1EES10_IbLb0EEEEDaSW_SX_EUlSW_E_NS1_11comp_targetILNS1_3genE2ELNS1_11target_archE906ELNS1_3gpuE6ELNS1_3repE0EEENS1_30default_config_static_selectorELNS0_4arch9wavefront6targetE1EEEvT1_ ; -- Begin function _ZN7rocprim17ROCPRIM_400000_NS6detail17trampoline_kernelINS0_14default_configENS1_27scan_by_key_config_selectorIifEEZZNS1_16scan_by_key_implILNS1_25lookback_scan_determinismE0ELb1ES3_N6thrust23THRUST_200600_302600_NS6detail15normal_iteratorINS9_10device_ptrIiEEEENSB_INSC_IjEEEESE_fNS9_4plusIvEENS9_8equal_toIvEEfEE10hipError_tPvRmT2_T3_T4_T5_mT6_T7_P12ihipStream_tbENKUlT_T0_E_clISt17integral_constantIbLb1EES10_IbLb0EEEEDaSW_SX_EUlSW_E_NS1_11comp_targetILNS1_3genE2ELNS1_11target_archE906ELNS1_3gpuE6ELNS1_3repE0EEENS1_30default_config_static_selectorELNS0_4arch9wavefront6targetE1EEEvT1_
	.globl	_ZN7rocprim17ROCPRIM_400000_NS6detail17trampoline_kernelINS0_14default_configENS1_27scan_by_key_config_selectorIifEEZZNS1_16scan_by_key_implILNS1_25lookback_scan_determinismE0ELb1ES3_N6thrust23THRUST_200600_302600_NS6detail15normal_iteratorINS9_10device_ptrIiEEEENSB_INSC_IjEEEESE_fNS9_4plusIvEENS9_8equal_toIvEEfEE10hipError_tPvRmT2_T3_T4_T5_mT6_T7_P12ihipStream_tbENKUlT_T0_E_clISt17integral_constantIbLb1EES10_IbLb0EEEEDaSW_SX_EUlSW_E_NS1_11comp_targetILNS1_3genE2ELNS1_11target_archE906ELNS1_3gpuE6ELNS1_3repE0EEENS1_30default_config_static_selectorELNS0_4arch9wavefront6targetE1EEEvT1_
	.p2align	8
	.type	_ZN7rocprim17ROCPRIM_400000_NS6detail17trampoline_kernelINS0_14default_configENS1_27scan_by_key_config_selectorIifEEZZNS1_16scan_by_key_implILNS1_25lookback_scan_determinismE0ELb1ES3_N6thrust23THRUST_200600_302600_NS6detail15normal_iteratorINS9_10device_ptrIiEEEENSB_INSC_IjEEEESE_fNS9_4plusIvEENS9_8equal_toIvEEfEE10hipError_tPvRmT2_T3_T4_T5_mT6_T7_P12ihipStream_tbENKUlT_T0_E_clISt17integral_constantIbLb1EES10_IbLb0EEEEDaSW_SX_EUlSW_E_NS1_11comp_targetILNS1_3genE2ELNS1_11target_archE906ELNS1_3gpuE6ELNS1_3repE0EEENS1_30default_config_static_selectorELNS0_4arch9wavefront6targetE1EEEvT1_,@function
_ZN7rocprim17ROCPRIM_400000_NS6detail17trampoline_kernelINS0_14default_configENS1_27scan_by_key_config_selectorIifEEZZNS1_16scan_by_key_implILNS1_25lookback_scan_determinismE0ELb1ES3_N6thrust23THRUST_200600_302600_NS6detail15normal_iteratorINS9_10device_ptrIiEEEENSB_INSC_IjEEEESE_fNS9_4plusIvEENS9_8equal_toIvEEfEE10hipError_tPvRmT2_T3_T4_T5_mT6_T7_P12ihipStream_tbENKUlT_T0_E_clISt17integral_constantIbLb1EES10_IbLb0EEEEDaSW_SX_EUlSW_E_NS1_11comp_targetILNS1_3genE2ELNS1_11target_archE906ELNS1_3gpuE6ELNS1_3repE0EEENS1_30default_config_static_selectorELNS0_4arch9wavefront6targetE1EEEvT1_: ; @_ZN7rocprim17ROCPRIM_400000_NS6detail17trampoline_kernelINS0_14default_configENS1_27scan_by_key_config_selectorIifEEZZNS1_16scan_by_key_implILNS1_25lookback_scan_determinismE0ELb1ES3_N6thrust23THRUST_200600_302600_NS6detail15normal_iteratorINS9_10device_ptrIiEEEENSB_INSC_IjEEEESE_fNS9_4plusIvEENS9_8equal_toIvEEfEE10hipError_tPvRmT2_T3_T4_T5_mT6_T7_P12ihipStream_tbENKUlT_T0_E_clISt17integral_constantIbLb1EES10_IbLb0EEEEDaSW_SX_EUlSW_E_NS1_11comp_targetILNS1_3genE2ELNS1_11target_archE906ELNS1_3gpuE6ELNS1_3repE0EEENS1_30default_config_static_selectorELNS0_4arch9wavefront6targetE1EEEvT1_
; %bb.0:
	.section	.rodata,"a",@progbits
	.p2align	6, 0x0
	.amdhsa_kernel _ZN7rocprim17ROCPRIM_400000_NS6detail17trampoline_kernelINS0_14default_configENS1_27scan_by_key_config_selectorIifEEZZNS1_16scan_by_key_implILNS1_25lookback_scan_determinismE0ELb1ES3_N6thrust23THRUST_200600_302600_NS6detail15normal_iteratorINS9_10device_ptrIiEEEENSB_INSC_IjEEEESE_fNS9_4plusIvEENS9_8equal_toIvEEfEE10hipError_tPvRmT2_T3_T4_T5_mT6_T7_P12ihipStream_tbENKUlT_T0_E_clISt17integral_constantIbLb1EES10_IbLb0EEEEDaSW_SX_EUlSW_E_NS1_11comp_targetILNS1_3genE2ELNS1_11target_archE906ELNS1_3gpuE6ELNS1_3repE0EEENS1_30default_config_static_selectorELNS0_4arch9wavefront6targetE1EEEvT1_
		.amdhsa_group_segment_fixed_size 0
		.amdhsa_private_segment_fixed_size 0
		.amdhsa_kernarg_size 112
		.amdhsa_user_sgpr_count 6
		.amdhsa_user_sgpr_private_segment_buffer 1
		.amdhsa_user_sgpr_dispatch_ptr 0
		.amdhsa_user_sgpr_queue_ptr 0
		.amdhsa_user_sgpr_kernarg_segment_ptr 1
		.amdhsa_user_sgpr_dispatch_id 0
		.amdhsa_user_sgpr_flat_scratch_init 0
		.amdhsa_user_sgpr_kernarg_preload_length 0
		.amdhsa_user_sgpr_kernarg_preload_offset 0
		.amdhsa_user_sgpr_private_segment_size 0
		.amdhsa_uses_dynamic_stack 0
		.amdhsa_system_sgpr_private_segment_wavefront_offset 0
		.amdhsa_system_sgpr_workgroup_id_x 1
		.amdhsa_system_sgpr_workgroup_id_y 0
		.amdhsa_system_sgpr_workgroup_id_z 0
		.amdhsa_system_sgpr_workgroup_info 0
		.amdhsa_system_vgpr_workitem_id 0
		.amdhsa_next_free_vgpr 1
		.amdhsa_next_free_sgpr 0
		.amdhsa_accum_offset 4
		.amdhsa_reserve_vcc 0
		.amdhsa_reserve_flat_scratch 0
		.amdhsa_float_round_mode_32 0
		.amdhsa_float_round_mode_16_64 0
		.amdhsa_float_denorm_mode_32 3
		.amdhsa_float_denorm_mode_16_64 3
		.amdhsa_dx10_clamp 1
		.amdhsa_ieee_mode 1
		.amdhsa_fp16_overflow 0
		.amdhsa_tg_split 0
		.amdhsa_exception_fp_ieee_invalid_op 0
		.amdhsa_exception_fp_denorm_src 0
		.amdhsa_exception_fp_ieee_div_zero 0
		.amdhsa_exception_fp_ieee_overflow 0
		.amdhsa_exception_fp_ieee_underflow 0
		.amdhsa_exception_fp_ieee_inexact 0
		.amdhsa_exception_int_div_zero 0
	.end_amdhsa_kernel
	.section	.text._ZN7rocprim17ROCPRIM_400000_NS6detail17trampoline_kernelINS0_14default_configENS1_27scan_by_key_config_selectorIifEEZZNS1_16scan_by_key_implILNS1_25lookback_scan_determinismE0ELb1ES3_N6thrust23THRUST_200600_302600_NS6detail15normal_iteratorINS9_10device_ptrIiEEEENSB_INSC_IjEEEESE_fNS9_4plusIvEENS9_8equal_toIvEEfEE10hipError_tPvRmT2_T3_T4_T5_mT6_T7_P12ihipStream_tbENKUlT_T0_E_clISt17integral_constantIbLb1EES10_IbLb0EEEEDaSW_SX_EUlSW_E_NS1_11comp_targetILNS1_3genE2ELNS1_11target_archE906ELNS1_3gpuE6ELNS1_3repE0EEENS1_30default_config_static_selectorELNS0_4arch9wavefront6targetE1EEEvT1_,"axG",@progbits,_ZN7rocprim17ROCPRIM_400000_NS6detail17trampoline_kernelINS0_14default_configENS1_27scan_by_key_config_selectorIifEEZZNS1_16scan_by_key_implILNS1_25lookback_scan_determinismE0ELb1ES3_N6thrust23THRUST_200600_302600_NS6detail15normal_iteratorINS9_10device_ptrIiEEEENSB_INSC_IjEEEESE_fNS9_4plusIvEENS9_8equal_toIvEEfEE10hipError_tPvRmT2_T3_T4_T5_mT6_T7_P12ihipStream_tbENKUlT_T0_E_clISt17integral_constantIbLb1EES10_IbLb0EEEEDaSW_SX_EUlSW_E_NS1_11comp_targetILNS1_3genE2ELNS1_11target_archE906ELNS1_3gpuE6ELNS1_3repE0EEENS1_30default_config_static_selectorELNS0_4arch9wavefront6targetE1EEEvT1_,comdat
.Lfunc_end1811:
	.size	_ZN7rocprim17ROCPRIM_400000_NS6detail17trampoline_kernelINS0_14default_configENS1_27scan_by_key_config_selectorIifEEZZNS1_16scan_by_key_implILNS1_25lookback_scan_determinismE0ELb1ES3_N6thrust23THRUST_200600_302600_NS6detail15normal_iteratorINS9_10device_ptrIiEEEENSB_INSC_IjEEEESE_fNS9_4plusIvEENS9_8equal_toIvEEfEE10hipError_tPvRmT2_T3_T4_T5_mT6_T7_P12ihipStream_tbENKUlT_T0_E_clISt17integral_constantIbLb1EES10_IbLb0EEEEDaSW_SX_EUlSW_E_NS1_11comp_targetILNS1_3genE2ELNS1_11target_archE906ELNS1_3gpuE6ELNS1_3repE0EEENS1_30default_config_static_selectorELNS0_4arch9wavefront6targetE1EEEvT1_, .Lfunc_end1811-_ZN7rocprim17ROCPRIM_400000_NS6detail17trampoline_kernelINS0_14default_configENS1_27scan_by_key_config_selectorIifEEZZNS1_16scan_by_key_implILNS1_25lookback_scan_determinismE0ELb1ES3_N6thrust23THRUST_200600_302600_NS6detail15normal_iteratorINS9_10device_ptrIiEEEENSB_INSC_IjEEEESE_fNS9_4plusIvEENS9_8equal_toIvEEfEE10hipError_tPvRmT2_T3_T4_T5_mT6_T7_P12ihipStream_tbENKUlT_T0_E_clISt17integral_constantIbLb1EES10_IbLb0EEEEDaSW_SX_EUlSW_E_NS1_11comp_targetILNS1_3genE2ELNS1_11target_archE906ELNS1_3gpuE6ELNS1_3repE0EEENS1_30default_config_static_selectorELNS0_4arch9wavefront6targetE1EEEvT1_
                                        ; -- End function
	.section	.AMDGPU.csdata,"",@progbits
; Kernel info:
; codeLenInByte = 0
; NumSgprs: 4
; NumVgprs: 0
; NumAgprs: 0
; TotalNumVgprs: 0
; ScratchSize: 0
; MemoryBound: 0
; FloatMode: 240
; IeeeMode: 1
; LDSByteSize: 0 bytes/workgroup (compile time only)
; SGPRBlocks: 0
; VGPRBlocks: 0
; NumSGPRsForWavesPerEU: 4
; NumVGPRsForWavesPerEU: 1
; AccumOffset: 4
; Occupancy: 8
; WaveLimiterHint : 0
; COMPUTE_PGM_RSRC2:SCRATCH_EN: 0
; COMPUTE_PGM_RSRC2:USER_SGPR: 6
; COMPUTE_PGM_RSRC2:TRAP_HANDLER: 0
; COMPUTE_PGM_RSRC2:TGID_X_EN: 1
; COMPUTE_PGM_RSRC2:TGID_Y_EN: 0
; COMPUTE_PGM_RSRC2:TGID_Z_EN: 0
; COMPUTE_PGM_RSRC2:TIDIG_COMP_CNT: 0
; COMPUTE_PGM_RSRC3_GFX90A:ACCUM_OFFSET: 0
; COMPUTE_PGM_RSRC3_GFX90A:TG_SPLIT: 0
	.section	.text._ZN7rocprim17ROCPRIM_400000_NS6detail17trampoline_kernelINS0_14default_configENS1_27scan_by_key_config_selectorIifEEZZNS1_16scan_by_key_implILNS1_25lookback_scan_determinismE0ELb1ES3_N6thrust23THRUST_200600_302600_NS6detail15normal_iteratorINS9_10device_ptrIiEEEENSB_INSC_IjEEEESE_fNS9_4plusIvEENS9_8equal_toIvEEfEE10hipError_tPvRmT2_T3_T4_T5_mT6_T7_P12ihipStream_tbENKUlT_T0_E_clISt17integral_constantIbLb1EES10_IbLb0EEEEDaSW_SX_EUlSW_E_NS1_11comp_targetILNS1_3genE10ELNS1_11target_archE1200ELNS1_3gpuE4ELNS1_3repE0EEENS1_30default_config_static_selectorELNS0_4arch9wavefront6targetE1EEEvT1_,"axG",@progbits,_ZN7rocprim17ROCPRIM_400000_NS6detail17trampoline_kernelINS0_14default_configENS1_27scan_by_key_config_selectorIifEEZZNS1_16scan_by_key_implILNS1_25lookback_scan_determinismE0ELb1ES3_N6thrust23THRUST_200600_302600_NS6detail15normal_iteratorINS9_10device_ptrIiEEEENSB_INSC_IjEEEESE_fNS9_4plusIvEENS9_8equal_toIvEEfEE10hipError_tPvRmT2_T3_T4_T5_mT6_T7_P12ihipStream_tbENKUlT_T0_E_clISt17integral_constantIbLb1EES10_IbLb0EEEEDaSW_SX_EUlSW_E_NS1_11comp_targetILNS1_3genE10ELNS1_11target_archE1200ELNS1_3gpuE4ELNS1_3repE0EEENS1_30default_config_static_selectorELNS0_4arch9wavefront6targetE1EEEvT1_,comdat
	.protected	_ZN7rocprim17ROCPRIM_400000_NS6detail17trampoline_kernelINS0_14default_configENS1_27scan_by_key_config_selectorIifEEZZNS1_16scan_by_key_implILNS1_25lookback_scan_determinismE0ELb1ES3_N6thrust23THRUST_200600_302600_NS6detail15normal_iteratorINS9_10device_ptrIiEEEENSB_INSC_IjEEEESE_fNS9_4plusIvEENS9_8equal_toIvEEfEE10hipError_tPvRmT2_T3_T4_T5_mT6_T7_P12ihipStream_tbENKUlT_T0_E_clISt17integral_constantIbLb1EES10_IbLb0EEEEDaSW_SX_EUlSW_E_NS1_11comp_targetILNS1_3genE10ELNS1_11target_archE1200ELNS1_3gpuE4ELNS1_3repE0EEENS1_30default_config_static_selectorELNS0_4arch9wavefront6targetE1EEEvT1_ ; -- Begin function _ZN7rocprim17ROCPRIM_400000_NS6detail17trampoline_kernelINS0_14default_configENS1_27scan_by_key_config_selectorIifEEZZNS1_16scan_by_key_implILNS1_25lookback_scan_determinismE0ELb1ES3_N6thrust23THRUST_200600_302600_NS6detail15normal_iteratorINS9_10device_ptrIiEEEENSB_INSC_IjEEEESE_fNS9_4plusIvEENS9_8equal_toIvEEfEE10hipError_tPvRmT2_T3_T4_T5_mT6_T7_P12ihipStream_tbENKUlT_T0_E_clISt17integral_constantIbLb1EES10_IbLb0EEEEDaSW_SX_EUlSW_E_NS1_11comp_targetILNS1_3genE10ELNS1_11target_archE1200ELNS1_3gpuE4ELNS1_3repE0EEENS1_30default_config_static_selectorELNS0_4arch9wavefront6targetE1EEEvT1_
	.globl	_ZN7rocprim17ROCPRIM_400000_NS6detail17trampoline_kernelINS0_14default_configENS1_27scan_by_key_config_selectorIifEEZZNS1_16scan_by_key_implILNS1_25lookback_scan_determinismE0ELb1ES3_N6thrust23THRUST_200600_302600_NS6detail15normal_iteratorINS9_10device_ptrIiEEEENSB_INSC_IjEEEESE_fNS9_4plusIvEENS9_8equal_toIvEEfEE10hipError_tPvRmT2_T3_T4_T5_mT6_T7_P12ihipStream_tbENKUlT_T0_E_clISt17integral_constantIbLb1EES10_IbLb0EEEEDaSW_SX_EUlSW_E_NS1_11comp_targetILNS1_3genE10ELNS1_11target_archE1200ELNS1_3gpuE4ELNS1_3repE0EEENS1_30default_config_static_selectorELNS0_4arch9wavefront6targetE1EEEvT1_
	.p2align	8
	.type	_ZN7rocprim17ROCPRIM_400000_NS6detail17trampoline_kernelINS0_14default_configENS1_27scan_by_key_config_selectorIifEEZZNS1_16scan_by_key_implILNS1_25lookback_scan_determinismE0ELb1ES3_N6thrust23THRUST_200600_302600_NS6detail15normal_iteratorINS9_10device_ptrIiEEEENSB_INSC_IjEEEESE_fNS9_4plusIvEENS9_8equal_toIvEEfEE10hipError_tPvRmT2_T3_T4_T5_mT6_T7_P12ihipStream_tbENKUlT_T0_E_clISt17integral_constantIbLb1EES10_IbLb0EEEEDaSW_SX_EUlSW_E_NS1_11comp_targetILNS1_3genE10ELNS1_11target_archE1200ELNS1_3gpuE4ELNS1_3repE0EEENS1_30default_config_static_selectorELNS0_4arch9wavefront6targetE1EEEvT1_,@function
_ZN7rocprim17ROCPRIM_400000_NS6detail17trampoline_kernelINS0_14default_configENS1_27scan_by_key_config_selectorIifEEZZNS1_16scan_by_key_implILNS1_25lookback_scan_determinismE0ELb1ES3_N6thrust23THRUST_200600_302600_NS6detail15normal_iteratorINS9_10device_ptrIiEEEENSB_INSC_IjEEEESE_fNS9_4plusIvEENS9_8equal_toIvEEfEE10hipError_tPvRmT2_T3_T4_T5_mT6_T7_P12ihipStream_tbENKUlT_T0_E_clISt17integral_constantIbLb1EES10_IbLb0EEEEDaSW_SX_EUlSW_E_NS1_11comp_targetILNS1_3genE10ELNS1_11target_archE1200ELNS1_3gpuE4ELNS1_3repE0EEENS1_30default_config_static_selectorELNS0_4arch9wavefront6targetE1EEEvT1_: ; @_ZN7rocprim17ROCPRIM_400000_NS6detail17trampoline_kernelINS0_14default_configENS1_27scan_by_key_config_selectorIifEEZZNS1_16scan_by_key_implILNS1_25lookback_scan_determinismE0ELb1ES3_N6thrust23THRUST_200600_302600_NS6detail15normal_iteratorINS9_10device_ptrIiEEEENSB_INSC_IjEEEESE_fNS9_4plusIvEENS9_8equal_toIvEEfEE10hipError_tPvRmT2_T3_T4_T5_mT6_T7_P12ihipStream_tbENKUlT_T0_E_clISt17integral_constantIbLb1EES10_IbLb0EEEEDaSW_SX_EUlSW_E_NS1_11comp_targetILNS1_3genE10ELNS1_11target_archE1200ELNS1_3gpuE4ELNS1_3repE0EEENS1_30default_config_static_selectorELNS0_4arch9wavefront6targetE1EEEvT1_
; %bb.0:
	.section	.rodata,"a",@progbits
	.p2align	6, 0x0
	.amdhsa_kernel _ZN7rocprim17ROCPRIM_400000_NS6detail17trampoline_kernelINS0_14default_configENS1_27scan_by_key_config_selectorIifEEZZNS1_16scan_by_key_implILNS1_25lookback_scan_determinismE0ELb1ES3_N6thrust23THRUST_200600_302600_NS6detail15normal_iteratorINS9_10device_ptrIiEEEENSB_INSC_IjEEEESE_fNS9_4plusIvEENS9_8equal_toIvEEfEE10hipError_tPvRmT2_T3_T4_T5_mT6_T7_P12ihipStream_tbENKUlT_T0_E_clISt17integral_constantIbLb1EES10_IbLb0EEEEDaSW_SX_EUlSW_E_NS1_11comp_targetILNS1_3genE10ELNS1_11target_archE1200ELNS1_3gpuE4ELNS1_3repE0EEENS1_30default_config_static_selectorELNS0_4arch9wavefront6targetE1EEEvT1_
		.amdhsa_group_segment_fixed_size 0
		.amdhsa_private_segment_fixed_size 0
		.amdhsa_kernarg_size 112
		.amdhsa_user_sgpr_count 6
		.amdhsa_user_sgpr_private_segment_buffer 1
		.amdhsa_user_sgpr_dispatch_ptr 0
		.amdhsa_user_sgpr_queue_ptr 0
		.amdhsa_user_sgpr_kernarg_segment_ptr 1
		.amdhsa_user_sgpr_dispatch_id 0
		.amdhsa_user_sgpr_flat_scratch_init 0
		.amdhsa_user_sgpr_kernarg_preload_length 0
		.amdhsa_user_sgpr_kernarg_preload_offset 0
		.amdhsa_user_sgpr_private_segment_size 0
		.amdhsa_uses_dynamic_stack 0
		.amdhsa_system_sgpr_private_segment_wavefront_offset 0
		.amdhsa_system_sgpr_workgroup_id_x 1
		.amdhsa_system_sgpr_workgroup_id_y 0
		.amdhsa_system_sgpr_workgroup_id_z 0
		.amdhsa_system_sgpr_workgroup_info 0
		.amdhsa_system_vgpr_workitem_id 0
		.amdhsa_next_free_vgpr 1
		.amdhsa_next_free_sgpr 0
		.amdhsa_accum_offset 4
		.amdhsa_reserve_vcc 0
		.amdhsa_reserve_flat_scratch 0
		.amdhsa_float_round_mode_32 0
		.amdhsa_float_round_mode_16_64 0
		.amdhsa_float_denorm_mode_32 3
		.amdhsa_float_denorm_mode_16_64 3
		.amdhsa_dx10_clamp 1
		.amdhsa_ieee_mode 1
		.amdhsa_fp16_overflow 0
		.amdhsa_tg_split 0
		.amdhsa_exception_fp_ieee_invalid_op 0
		.amdhsa_exception_fp_denorm_src 0
		.amdhsa_exception_fp_ieee_div_zero 0
		.amdhsa_exception_fp_ieee_overflow 0
		.amdhsa_exception_fp_ieee_underflow 0
		.amdhsa_exception_fp_ieee_inexact 0
		.amdhsa_exception_int_div_zero 0
	.end_amdhsa_kernel
	.section	.text._ZN7rocprim17ROCPRIM_400000_NS6detail17trampoline_kernelINS0_14default_configENS1_27scan_by_key_config_selectorIifEEZZNS1_16scan_by_key_implILNS1_25lookback_scan_determinismE0ELb1ES3_N6thrust23THRUST_200600_302600_NS6detail15normal_iteratorINS9_10device_ptrIiEEEENSB_INSC_IjEEEESE_fNS9_4plusIvEENS9_8equal_toIvEEfEE10hipError_tPvRmT2_T3_T4_T5_mT6_T7_P12ihipStream_tbENKUlT_T0_E_clISt17integral_constantIbLb1EES10_IbLb0EEEEDaSW_SX_EUlSW_E_NS1_11comp_targetILNS1_3genE10ELNS1_11target_archE1200ELNS1_3gpuE4ELNS1_3repE0EEENS1_30default_config_static_selectorELNS0_4arch9wavefront6targetE1EEEvT1_,"axG",@progbits,_ZN7rocprim17ROCPRIM_400000_NS6detail17trampoline_kernelINS0_14default_configENS1_27scan_by_key_config_selectorIifEEZZNS1_16scan_by_key_implILNS1_25lookback_scan_determinismE0ELb1ES3_N6thrust23THRUST_200600_302600_NS6detail15normal_iteratorINS9_10device_ptrIiEEEENSB_INSC_IjEEEESE_fNS9_4plusIvEENS9_8equal_toIvEEfEE10hipError_tPvRmT2_T3_T4_T5_mT6_T7_P12ihipStream_tbENKUlT_T0_E_clISt17integral_constantIbLb1EES10_IbLb0EEEEDaSW_SX_EUlSW_E_NS1_11comp_targetILNS1_3genE10ELNS1_11target_archE1200ELNS1_3gpuE4ELNS1_3repE0EEENS1_30default_config_static_selectorELNS0_4arch9wavefront6targetE1EEEvT1_,comdat
.Lfunc_end1812:
	.size	_ZN7rocprim17ROCPRIM_400000_NS6detail17trampoline_kernelINS0_14default_configENS1_27scan_by_key_config_selectorIifEEZZNS1_16scan_by_key_implILNS1_25lookback_scan_determinismE0ELb1ES3_N6thrust23THRUST_200600_302600_NS6detail15normal_iteratorINS9_10device_ptrIiEEEENSB_INSC_IjEEEESE_fNS9_4plusIvEENS9_8equal_toIvEEfEE10hipError_tPvRmT2_T3_T4_T5_mT6_T7_P12ihipStream_tbENKUlT_T0_E_clISt17integral_constantIbLb1EES10_IbLb0EEEEDaSW_SX_EUlSW_E_NS1_11comp_targetILNS1_3genE10ELNS1_11target_archE1200ELNS1_3gpuE4ELNS1_3repE0EEENS1_30default_config_static_selectorELNS0_4arch9wavefront6targetE1EEEvT1_, .Lfunc_end1812-_ZN7rocprim17ROCPRIM_400000_NS6detail17trampoline_kernelINS0_14default_configENS1_27scan_by_key_config_selectorIifEEZZNS1_16scan_by_key_implILNS1_25lookback_scan_determinismE0ELb1ES3_N6thrust23THRUST_200600_302600_NS6detail15normal_iteratorINS9_10device_ptrIiEEEENSB_INSC_IjEEEESE_fNS9_4plusIvEENS9_8equal_toIvEEfEE10hipError_tPvRmT2_T3_T4_T5_mT6_T7_P12ihipStream_tbENKUlT_T0_E_clISt17integral_constantIbLb1EES10_IbLb0EEEEDaSW_SX_EUlSW_E_NS1_11comp_targetILNS1_3genE10ELNS1_11target_archE1200ELNS1_3gpuE4ELNS1_3repE0EEENS1_30default_config_static_selectorELNS0_4arch9wavefront6targetE1EEEvT1_
                                        ; -- End function
	.section	.AMDGPU.csdata,"",@progbits
; Kernel info:
; codeLenInByte = 0
; NumSgprs: 4
; NumVgprs: 0
; NumAgprs: 0
; TotalNumVgprs: 0
; ScratchSize: 0
; MemoryBound: 0
; FloatMode: 240
; IeeeMode: 1
; LDSByteSize: 0 bytes/workgroup (compile time only)
; SGPRBlocks: 0
; VGPRBlocks: 0
; NumSGPRsForWavesPerEU: 4
; NumVGPRsForWavesPerEU: 1
; AccumOffset: 4
; Occupancy: 8
; WaveLimiterHint : 0
; COMPUTE_PGM_RSRC2:SCRATCH_EN: 0
; COMPUTE_PGM_RSRC2:USER_SGPR: 6
; COMPUTE_PGM_RSRC2:TRAP_HANDLER: 0
; COMPUTE_PGM_RSRC2:TGID_X_EN: 1
; COMPUTE_PGM_RSRC2:TGID_Y_EN: 0
; COMPUTE_PGM_RSRC2:TGID_Z_EN: 0
; COMPUTE_PGM_RSRC2:TIDIG_COMP_CNT: 0
; COMPUTE_PGM_RSRC3_GFX90A:ACCUM_OFFSET: 0
; COMPUTE_PGM_RSRC3_GFX90A:TG_SPLIT: 0
	.section	.text._ZN7rocprim17ROCPRIM_400000_NS6detail17trampoline_kernelINS0_14default_configENS1_27scan_by_key_config_selectorIifEEZZNS1_16scan_by_key_implILNS1_25lookback_scan_determinismE0ELb1ES3_N6thrust23THRUST_200600_302600_NS6detail15normal_iteratorINS9_10device_ptrIiEEEENSB_INSC_IjEEEESE_fNS9_4plusIvEENS9_8equal_toIvEEfEE10hipError_tPvRmT2_T3_T4_T5_mT6_T7_P12ihipStream_tbENKUlT_T0_E_clISt17integral_constantIbLb1EES10_IbLb0EEEEDaSW_SX_EUlSW_E_NS1_11comp_targetILNS1_3genE9ELNS1_11target_archE1100ELNS1_3gpuE3ELNS1_3repE0EEENS1_30default_config_static_selectorELNS0_4arch9wavefront6targetE1EEEvT1_,"axG",@progbits,_ZN7rocprim17ROCPRIM_400000_NS6detail17trampoline_kernelINS0_14default_configENS1_27scan_by_key_config_selectorIifEEZZNS1_16scan_by_key_implILNS1_25lookback_scan_determinismE0ELb1ES3_N6thrust23THRUST_200600_302600_NS6detail15normal_iteratorINS9_10device_ptrIiEEEENSB_INSC_IjEEEESE_fNS9_4plusIvEENS9_8equal_toIvEEfEE10hipError_tPvRmT2_T3_T4_T5_mT6_T7_P12ihipStream_tbENKUlT_T0_E_clISt17integral_constantIbLb1EES10_IbLb0EEEEDaSW_SX_EUlSW_E_NS1_11comp_targetILNS1_3genE9ELNS1_11target_archE1100ELNS1_3gpuE3ELNS1_3repE0EEENS1_30default_config_static_selectorELNS0_4arch9wavefront6targetE1EEEvT1_,comdat
	.protected	_ZN7rocprim17ROCPRIM_400000_NS6detail17trampoline_kernelINS0_14default_configENS1_27scan_by_key_config_selectorIifEEZZNS1_16scan_by_key_implILNS1_25lookback_scan_determinismE0ELb1ES3_N6thrust23THRUST_200600_302600_NS6detail15normal_iteratorINS9_10device_ptrIiEEEENSB_INSC_IjEEEESE_fNS9_4plusIvEENS9_8equal_toIvEEfEE10hipError_tPvRmT2_T3_T4_T5_mT6_T7_P12ihipStream_tbENKUlT_T0_E_clISt17integral_constantIbLb1EES10_IbLb0EEEEDaSW_SX_EUlSW_E_NS1_11comp_targetILNS1_3genE9ELNS1_11target_archE1100ELNS1_3gpuE3ELNS1_3repE0EEENS1_30default_config_static_selectorELNS0_4arch9wavefront6targetE1EEEvT1_ ; -- Begin function _ZN7rocprim17ROCPRIM_400000_NS6detail17trampoline_kernelINS0_14default_configENS1_27scan_by_key_config_selectorIifEEZZNS1_16scan_by_key_implILNS1_25lookback_scan_determinismE0ELb1ES3_N6thrust23THRUST_200600_302600_NS6detail15normal_iteratorINS9_10device_ptrIiEEEENSB_INSC_IjEEEESE_fNS9_4plusIvEENS9_8equal_toIvEEfEE10hipError_tPvRmT2_T3_T4_T5_mT6_T7_P12ihipStream_tbENKUlT_T0_E_clISt17integral_constantIbLb1EES10_IbLb0EEEEDaSW_SX_EUlSW_E_NS1_11comp_targetILNS1_3genE9ELNS1_11target_archE1100ELNS1_3gpuE3ELNS1_3repE0EEENS1_30default_config_static_selectorELNS0_4arch9wavefront6targetE1EEEvT1_
	.globl	_ZN7rocprim17ROCPRIM_400000_NS6detail17trampoline_kernelINS0_14default_configENS1_27scan_by_key_config_selectorIifEEZZNS1_16scan_by_key_implILNS1_25lookback_scan_determinismE0ELb1ES3_N6thrust23THRUST_200600_302600_NS6detail15normal_iteratorINS9_10device_ptrIiEEEENSB_INSC_IjEEEESE_fNS9_4plusIvEENS9_8equal_toIvEEfEE10hipError_tPvRmT2_T3_T4_T5_mT6_T7_P12ihipStream_tbENKUlT_T0_E_clISt17integral_constantIbLb1EES10_IbLb0EEEEDaSW_SX_EUlSW_E_NS1_11comp_targetILNS1_3genE9ELNS1_11target_archE1100ELNS1_3gpuE3ELNS1_3repE0EEENS1_30default_config_static_selectorELNS0_4arch9wavefront6targetE1EEEvT1_
	.p2align	8
	.type	_ZN7rocprim17ROCPRIM_400000_NS6detail17trampoline_kernelINS0_14default_configENS1_27scan_by_key_config_selectorIifEEZZNS1_16scan_by_key_implILNS1_25lookback_scan_determinismE0ELb1ES3_N6thrust23THRUST_200600_302600_NS6detail15normal_iteratorINS9_10device_ptrIiEEEENSB_INSC_IjEEEESE_fNS9_4plusIvEENS9_8equal_toIvEEfEE10hipError_tPvRmT2_T3_T4_T5_mT6_T7_P12ihipStream_tbENKUlT_T0_E_clISt17integral_constantIbLb1EES10_IbLb0EEEEDaSW_SX_EUlSW_E_NS1_11comp_targetILNS1_3genE9ELNS1_11target_archE1100ELNS1_3gpuE3ELNS1_3repE0EEENS1_30default_config_static_selectorELNS0_4arch9wavefront6targetE1EEEvT1_,@function
_ZN7rocprim17ROCPRIM_400000_NS6detail17trampoline_kernelINS0_14default_configENS1_27scan_by_key_config_selectorIifEEZZNS1_16scan_by_key_implILNS1_25lookback_scan_determinismE0ELb1ES3_N6thrust23THRUST_200600_302600_NS6detail15normal_iteratorINS9_10device_ptrIiEEEENSB_INSC_IjEEEESE_fNS9_4plusIvEENS9_8equal_toIvEEfEE10hipError_tPvRmT2_T3_T4_T5_mT6_T7_P12ihipStream_tbENKUlT_T0_E_clISt17integral_constantIbLb1EES10_IbLb0EEEEDaSW_SX_EUlSW_E_NS1_11comp_targetILNS1_3genE9ELNS1_11target_archE1100ELNS1_3gpuE3ELNS1_3repE0EEENS1_30default_config_static_selectorELNS0_4arch9wavefront6targetE1EEEvT1_: ; @_ZN7rocprim17ROCPRIM_400000_NS6detail17trampoline_kernelINS0_14default_configENS1_27scan_by_key_config_selectorIifEEZZNS1_16scan_by_key_implILNS1_25lookback_scan_determinismE0ELb1ES3_N6thrust23THRUST_200600_302600_NS6detail15normal_iteratorINS9_10device_ptrIiEEEENSB_INSC_IjEEEESE_fNS9_4plusIvEENS9_8equal_toIvEEfEE10hipError_tPvRmT2_T3_T4_T5_mT6_T7_P12ihipStream_tbENKUlT_T0_E_clISt17integral_constantIbLb1EES10_IbLb0EEEEDaSW_SX_EUlSW_E_NS1_11comp_targetILNS1_3genE9ELNS1_11target_archE1100ELNS1_3gpuE3ELNS1_3repE0EEENS1_30default_config_static_selectorELNS0_4arch9wavefront6targetE1EEEvT1_
; %bb.0:
	.section	.rodata,"a",@progbits
	.p2align	6, 0x0
	.amdhsa_kernel _ZN7rocprim17ROCPRIM_400000_NS6detail17trampoline_kernelINS0_14default_configENS1_27scan_by_key_config_selectorIifEEZZNS1_16scan_by_key_implILNS1_25lookback_scan_determinismE0ELb1ES3_N6thrust23THRUST_200600_302600_NS6detail15normal_iteratorINS9_10device_ptrIiEEEENSB_INSC_IjEEEESE_fNS9_4plusIvEENS9_8equal_toIvEEfEE10hipError_tPvRmT2_T3_T4_T5_mT6_T7_P12ihipStream_tbENKUlT_T0_E_clISt17integral_constantIbLb1EES10_IbLb0EEEEDaSW_SX_EUlSW_E_NS1_11comp_targetILNS1_3genE9ELNS1_11target_archE1100ELNS1_3gpuE3ELNS1_3repE0EEENS1_30default_config_static_selectorELNS0_4arch9wavefront6targetE1EEEvT1_
		.amdhsa_group_segment_fixed_size 0
		.amdhsa_private_segment_fixed_size 0
		.amdhsa_kernarg_size 112
		.amdhsa_user_sgpr_count 6
		.amdhsa_user_sgpr_private_segment_buffer 1
		.amdhsa_user_sgpr_dispatch_ptr 0
		.amdhsa_user_sgpr_queue_ptr 0
		.amdhsa_user_sgpr_kernarg_segment_ptr 1
		.amdhsa_user_sgpr_dispatch_id 0
		.amdhsa_user_sgpr_flat_scratch_init 0
		.amdhsa_user_sgpr_kernarg_preload_length 0
		.amdhsa_user_sgpr_kernarg_preload_offset 0
		.amdhsa_user_sgpr_private_segment_size 0
		.amdhsa_uses_dynamic_stack 0
		.amdhsa_system_sgpr_private_segment_wavefront_offset 0
		.amdhsa_system_sgpr_workgroup_id_x 1
		.amdhsa_system_sgpr_workgroup_id_y 0
		.amdhsa_system_sgpr_workgroup_id_z 0
		.amdhsa_system_sgpr_workgroup_info 0
		.amdhsa_system_vgpr_workitem_id 0
		.amdhsa_next_free_vgpr 1
		.amdhsa_next_free_sgpr 0
		.amdhsa_accum_offset 4
		.amdhsa_reserve_vcc 0
		.amdhsa_reserve_flat_scratch 0
		.amdhsa_float_round_mode_32 0
		.amdhsa_float_round_mode_16_64 0
		.amdhsa_float_denorm_mode_32 3
		.amdhsa_float_denorm_mode_16_64 3
		.amdhsa_dx10_clamp 1
		.amdhsa_ieee_mode 1
		.amdhsa_fp16_overflow 0
		.amdhsa_tg_split 0
		.amdhsa_exception_fp_ieee_invalid_op 0
		.amdhsa_exception_fp_denorm_src 0
		.amdhsa_exception_fp_ieee_div_zero 0
		.amdhsa_exception_fp_ieee_overflow 0
		.amdhsa_exception_fp_ieee_underflow 0
		.amdhsa_exception_fp_ieee_inexact 0
		.amdhsa_exception_int_div_zero 0
	.end_amdhsa_kernel
	.section	.text._ZN7rocprim17ROCPRIM_400000_NS6detail17trampoline_kernelINS0_14default_configENS1_27scan_by_key_config_selectorIifEEZZNS1_16scan_by_key_implILNS1_25lookback_scan_determinismE0ELb1ES3_N6thrust23THRUST_200600_302600_NS6detail15normal_iteratorINS9_10device_ptrIiEEEENSB_INSC_IjEEEESE_fNS9_4plusIvEENS9_8equal_toIvEEfEE10hipError_tPvRmT2_T3_T4_T5_mT6_T7_P12ihipStream_tbENKUlT_T0_E_clISt17integral_constantIbLb1EES10_IbLb0EEEEDaSW_SX_EUlSW_E_NS1_11comp_targetILNS1_3genE9ELNS1_11target_archE1100ELNS1_3gpuE3ELNS1_3repE0EEENS1_30default_config_static_selectorELNS0_4arch9wavefront6targetE1EEEvT1_,"axG",@progbits,_ZN7rocprim17ROCPRIM_400000_NS6detail17trampoline_kernelINS0_14default_configENS1_27scan_by_key_config_selectorIifEEZZNS1_16scan_by_key_implILNS1_25lookback_scan_determinismE0ELb1ES3_N6thrust23THRUST_200600_302600_NS6detail15normal_iteratorINS9_10device_ptrIiEEEENSB_INSC_IjEEEESE_fNS9_4plusIvEENS9_8equal_toIvEEfEE10hipError_tPvRmT2_T3_T4_T5_mT6_T7_P12ihipStream_tbENKUlT_T0_E_clISt17integral_constantIbLb1EES10_IbLb0EEEEDaSW_SX_EUlSW_E_NS1_11comp_targetILNS1_3genE9ELNS1_11target_archE1100ELNS1_3gpuE3ELNS1_3repE0EEENS1_30default_config_static_selectorELNS0_4arch9wavefront6targetE1EEEvT1_,comdat
.Lfunc_end1813:
	.size	_ZN7rocprim17ROCPRIM_400000_NS6detail17trampoline_kernelINS0_14default_configENS1_27scan_by_key_config_selectorIifEEZZNS1_16scan_by_key_implILNS1_25lookback_scan_determinismE0ELb1ES3_N6thrust23THRUST_200600_302600_NS6detail15normal_iteratorINS9_10device_ptrIiEEEENSB_INSC_IjEEEESE_fNS9_4plusIvEENS9_8equal_toIvEEfEE10hipError_tPvRmT2_T3_T4_T5_mT6_T7_P12ihipStream_tbENKUlT_T0_E_clISt17integral_constantIbLb1EES10_IbLb0EEEEDaSW_SX_EUlSW_E_NS1_11comp_targetILNS1_3genE9ELNS1_11target_archE1100ELNS1_3gpuE3ELNS1_3repE0EEENS1_30default_config_static_selectorELNS0_4arch9wavefront6targetE1EEEvT1_, .Lfunc_end1813-_ZN7rocprim17ROCPRIM_400000_NS6detail17trampoline_kernelINS0_14default_configENS1_27scan_by_key_config_selectorIifEEZZNS1_16scan_by_key_implILNS1_25lookback_scan_determinismE0ELb1ES3_N6thrust23THRUST_200600_302600_NS6detail15normal_iteratorINS9_10device_ptrIiEEEENSB_INSC_IjEEEESE_fNS9_4plusIvEENS9_8equal_toIvEEfEE10hipError_tPvRmT2_T3_T4_T5_mT6_T7_P12ihipStream_tbENKUlT_T0_E_clISt17integral_constantIbLb1EES10_IbLb0EEEEDaSW_SX_EUlSW_E_NS1_11comp_targetILNS1_3genE9ELNS1_11target_archE1100ELNS1_3gpuE3ELNS1_3repE0EEENS1_30default_config_static_selectorELNS0_4arch9wavefront6targetE1EEEvT1_
                                        ; -- End function
	.section	.AMDGPU.csdata,"",@progbits
; Kernel info:
; codeLenInByte = 0
; NumSgprs: 4
; NumVgprs: 0
; NumAgprs: 0
; TotalNumVgprs: 0
; ScratchSize: 0
; MemoryBound: 0
; FloatMode: 240
; IeeeMode: 1
; LDSByteSize: 0 bytes/workgroup (compile time only)
; SGPRBlocks: 0
; VGPRBlocks: 0
; NumSGPRsForWavesPerEU: 4
; NumVGPRsForWavesPerEU: 1
; AccumOffset: 4
; Occupancy: 8
; WaveLimiterHint : 0
; COMPUTE_PGM_RSRC2:SCRATCH_EN: 0
; COMPUTE_PGM_RSRC2:USER_SGPR: 6
; COMPUTE_PGM_RSRC2:TRAP_HANDLER: 0
; COMPUTE_PGM_RSRC2:TGID_X_EN: 1
; COMPUTE_PGM_RSRC2:TGID_Y_EN: 0
; COMPUTE_PGM_RSRC2:TGID_Z_EN: 0
; COMPUTE_PGM_RSRC2:TIDIG_COMP_CNT: 0
; COMPUTE_PGM_RSRC3_GFX90A:ACCUM_OFFSET: 0
; COMPUTE_PGM_RSRC3_GFX90A:TG_SPLIT: 0
	.section	.text._ZN7rocprim17ROCPRIM_400000_NS6detail17trampoline_kernelINS0_14default_configENS1_27scan_by_key_config_selectorIifEEZZNS1_16scan_by_key_implILNS1_25lookback_scan_determinismE0ELb1ES3_N6thrust23THRUST_200600_302600_NS6detail15normal_iteratorINS9_10device_ptrIiEEEENSB_INSC_IjEEEESE_fNS9_4plusIvEENS9_8equal_toIvEEfEE10hipError_tPvRmT2_T3_T4_T5_mT6_T7_P12ihipStream_tbENKUlT_T0_E_clISt17integral_constantIbLb1EES10_IbLb0EEEEDaSW_SX_EUlSW_E_NS1_11comp_targetILNS1_3genE8ELNS1_11target_archE1030ELNS1_3gpuE2ELNS1_3repE0EEENS1_30default_config_static_selectorELNS0_4arch9wavefront6targetE1EEEvT1_,"axG",@progbits,_ZN7rocprim17ROCPRIM_400000_NS6detail17trampoline_kernelINS0_14default_configENS1_27scan_by_key_config_selectorIifEEZZNS1_16scan_by_key_implILNS1_25lookback_scan_determinismE0ELb1ES3_N6thrust23THRUST_200600_302600_NS6detail15normal_iteratorINS9_10device_ptrIiEEEENSB_INSC_IjEEEESE_fNS9_4plusIvEENS9_8equal_toIvEEfEE10hipError_tPvRmT2_T3_T4_T5_mT6_T7_P12ihipStream_tbENKUlT_T0_E_clISt17integral_constantIbLb1EES10_IbLb0EEEEDaSW_SX_EUlSW_E_NS1_11comp_targetILNS1_3genE8ELNS1_11target_archE1030ELNS1_3gpuE2ELNS1_3repE0EEENS1_30default_config_static_selectorELNS0_4arch9wavefront6targetE1EEEvT1_,comdat
	.protected	_ZN7rocprim17ROCPRIM_400000_NS6detail17trampoline_kernelINS0_14default_configENS1_27scan_by_key_config_selectorIifEEZZNS1_16scan_by_key_implILNS1_25lookback_scan_determinismE0ELb1ES3_N6thrust23THRUST_200600_302600_NS6detail15normal_iteratorINS9_10device_ptrIiEEEENSB_INSC_IjEEEESE_fNS9_4plusIvEENS9_8equal_toIvEEfEE10hipError_tPvRmT2_T3_T4_T5_mT6_T7_P12ihipStream_tbENKUlT_T0_E_clISt17integral_constantIbLb1EES10_IbLb0EEEEDaSW_SX_EUlSW_E_NS1_11comp_targetILNS1_3genE8ELNS1_11target_archE1030ELNS1_3gpuE2ELNS1_3repE0EEENS1_30default_config_static_selectorELNS0_4arch9wavefront6targetE1EEEvT1_ ; -- Begin function _ZN7rocprim17ROCPRIM_400000_NS6detail17trampoline_kernelINS0_14default_configENS1_27scan_by_key_config_selectorIifEEZZNS1_16scan_by_key_implILNS1_25lookback_scan_determinismE0ELb1ES3_N6thrust23THRUST_200600_302600_NS6detail15normal_iteratorINS9_10device_ptrIiEEEENSB_INSC_IjEEEESE_fNS9_4plusIvEENS9_8equal_toIvEEfEE10hipError_tPvRmT2_T3_T4_T5_mT6_T7_P12ihipStream_tbENKUlT_T0_E_clISt17integral_constantIbLb1EES10_IbLb0EEEEDaSW_SX_EUlSW_E_NS1_11comp_targetILNS1_3genE8ELNS1_11target_archE1030ELNS1_3gpuE2ELNS1_3repE0EEENS1_30default_config_static_selectorELNS0_4arch9wavefront6targetE1EEEvT1_
	.globl	_ZN7rocprim17ROCPRIM_400000_NS6detail17trampoline_kernelINS0_14default_configENS1_27scan_by_key_config_selectorIifEEZZNS1_16scan_by_key_implILNS1_25lookback_scan_determinismE0ELb1ES3_N6thrust23THRUST_200600_302600_NS6detail15normal_iteratorINS9_10device_ptrIiEEEENSB_INSC_IjEEEESE_fNS9_4plusIvEENS9_8equal_toIvEEfEE10hipError_tPvRmT2_T3_T4_T5_mT6_T7_P12ihipStream_tbENKUlT_T0_E_clISt17integral_constantIbLb1EES10_IbLb0EEEEDaSW_SX_EUlSW_E_NS1_11comp_targetILNS1_3genE8ELNS1_11target_archE1030ELNS1_3gpuE2ELNS1_3repE0EEENS1_30default_config_static_selectorELNS0_4arch9wavefront6targetE1EEEvT1_
	.p2align	8
	.type	_ZN7rocprim17ROCPRIM_400000_NS6detail17trampoline_kernelINS0_14default_configENS1_27scan_by_key_config_selectorIifEEZZNS1_16scan_by_key_implILNS1_25lookback_scan_determinismE0ELb1ES3_N6thrust23THRUST_200600_302600_NS6detail15normal_iteratorINS9_10device_ptrIiEEEENSB_INSC_IjEEEESE_fNS9_4plusIvEENS9_8equal_toIvEEfEE10hipError_tPvRmT2_T3_T4_T5_mT6_T7_P12ihipStream_tbENKUlT_T0_E_clISt17integral_constantIbLb1EES10_IbLb0EEEEDaSW_SX_EUlSW_E_NS1_11comp_targetILNS1_3genE8ELNS1_11target_archE1030ELNS1_3gpuE2ELNS1_3repE0EEENS1_30default_config_static_selectorELNS0_4arch9wavefront6targetE1EEEvT1_,@function
_ZN7rocprim17ROCPRIM_400000_NS6detail17trampoline_kernelINS0_14default_configENS1_27scan_by_key_config_selectorIifEEZZNS1_16scan_by_key_implILNS1_25lookback_scan_determinismE0ELb1ES3_N6thrust23THRUST_200600_302600_NS6detail15normal_iteratorINS9_10device_ptrIiEEEENSB_INSC_IjEEEESE_fNS9_4plusIvEENS9_8equal_toIvEEfEE10hipError_tPvRmT2_T3_T4_T5_mT6_T7_P12ihipStream_tbENKUlT_T0_E_clISt17integral_constantIbLb1EES10_IbLb0EEEEDaSW_SX_EUlSW_E_NS1_11comp_targetILNS1_3genE8ELNS1_11target_archE1030ELNS1_3gpuE2ELNS1_3repE0EEENS1_30default_config_static_selectorELNS0_4arch9wavefront6targetE1EEEvT1_: ; @_ZN7rocprim17ROCPRIM_400000_NS6detail17trampoline_kernelINS0_14default_configENS1_27scan_by_key_config_selectorIifEEZZNS1_16scan_by_key_implILNS1_25lookback_scan_determinismE0ELb1ES3_N6thrust23THRUST_200600_302600_NS6detail15normal_iteratorINS9_10device_ptrIiEEEENSB_INSC_IjEEEESE_fNS9_4plusIvEENS9_8equal_toIvEEfEE10hipError_tPvRmT2_T3_T4_T5_mT6_T7_P12ihipStream_tbENKUlT_T0_E_clISt17integral_constantIbLb1EES10_IbLb0EEEEDaSW_SX_EUlSW_E_NS1_11comp_targetILNS1_3genE8ELNS1_11target_archE1030ELNS1_3gpuE2ELNS1_3repE0EEENS1_30default_config_static_selectorELNS0_4arch9wavefront6targetE1EEEvT1_
; %bb.0:
	.section	.rodata,"a",@progbits
	.p2align	6, 0x0
	.amdhsa_kernel _ZN7rocprim17ROCPRIM_400000_NS6detail17trampoline_kernelINS0_14default_configENS1_27scan_by_key_config_selectorIifEEZZNS1_16scan_by_key_implILNS1_25lookback_scan_determinismE0ELb1ES3_N6thrust23THRUST_200600_302600_NS6detail15normal_iteratorINS9_10device_ptrIiEEEENSB_INSC_IjEEEESE_fNS9_4plusIvEENS9_8equal_toIvEEfEE10hipError_tPvRmT2_T3_T4_T5_mT6_T7_P12ihipStream_tbENKUlT_T0_E_clISt17integral_constantIbLb1EES10_IbLb0EEEEDaSW_SX_EUlSW_E_NS1_11comp_targetILNS1_3genE8ELNS1_11target_archE1030ELNS1_3gpuE2ELNS1_3repE0EEENS1_30default_config_static_selectorELNS0_4arch9wavefront6targetE1EEEvT1_
		.amdhsa_group_segment_fixed_size 0
		.amdhsa_private_segment_fixed_size 0
		.amdhsa_kernarg_size 112
		.amdhsa_user_sgpr_count 6
		.amdhsa_user_sgpr_private_segment_buffer 1
		.amdhsa_user_sgpr_dispatch_ptr 0
		.amdhsa_user_sgpr_queue_ptr 0
		.amdhsa_user_sgpr_kernarg_segment_ptr 1
		.amdhsa_user_sgpr_dispatch_id 0
		.amdhsa_user_sgpr_flat_scratch_init 0
		.amdhsa_user_sgpr_kernarg_preload_length 0
		.amdhsa_user_sgpr_kernarg_preload_offset 0
		.amdhsa_user_sgpr_private_segment_size 0
		.amdhsa_uses_dynamic_stack 0
		.amdhsa_system_sgpr_private_segment_wavefront_offset 0
		.amdhsa_system_sgpr_workgroup_id_x 1
		.amdhsa_system_sgpr_workgroup_id_y 0
		.amdhsa_system_sgpr_workgroup_id_z 0
		.amdhsa_system_sgpr_workgroup_info 0
		.amdhsa_system_vgpr_workitem_id 0
		.amdhsa_next_free_vgpr 1
		.amdhsa_next_free_sgpr 0
		.amdhsa_accum_offset 4
		.amdhsa_reserve_vcc 0
		.amdhsa_reserve_flat_scratch 0
		.amdhsa_float_round_mode_32 0
		.amdhsa_float_round_mode_16_64 0
		.amdhsa_float_denorm_mode_32 3
		.amdhsa_float_denorm_mode_16_64 3
		.amdhsa_dx10_clamp 1
		.amdhsa_ieee_mode 1
		.amdhsa_fp16_overflow 0
		.amdhsa_tg_split 0
		.amdhsa_exception_fp_ieee_invalid_op 0
		.amdhsa_exception_fp_denorm_src 0
		.amdhsa_exception_fp_ieee_div_zero 0
		.amdhsa_exception_fp_ieee_overflow 0
		.amdhsa_exception_fp_ieee_underflow 0
		.amdhsa_exception_fp_ieee_inexact 0
		.amdhsa_exception_int_div_zero 0
	.end_amdhsa_kernel
	.section	.text._ZN7rocprim17ROCPRIM_400000_NS6detail17trampoline_kernelINS0_14default_configENS1_27scan_by_key_config_selectorIifEEZZNS1_16scan_by_key_implILNS1_25lookback_scan_determinismE0ELb1ES3_N6thrust23THRUST_200600_302600_NS6detail15normal_iteratorINS9_10device_ptrIiEEEENSB_INSC_IjEEEESE_fNS9_4plusIvEENS9_8equal_toIvEEfEE10hipError_tPvRmT2_T3_T4_T5_mT6_T7_P12ihipStream_tbENKUlT_T0_E_clISt17integral_constantIbLb1EES10_IbLb0EEEEDaSW_SX_EUlSW_E_NS1_11comp_targetILNS1_3genE8ELNS1_11target_archE1030ELNS1_3gpuE2ELNS1_3repE0EEENS1_30default_config_static_selectorELNS0_4arch9wavefront6targetE1EEEvT1_,"axG",@progbits,_ZN7rocprim17ROCPRIM_400000_NS6detail17trampoline_kernelINS0_14default_configENS1_27scan_by_key_config_selectorIifEEZZNS1_16scan_by_key_implILNS1_25lookback_scan_determinismE0ELb1ES3_N6thrust23THRUST_200600_302600_NS6detail15normal_iteratorINS9_10device_ptrIiEEEENSB_INSC_IjEEEESE_fNS9_4plusIvEENS9_8equal_toIvEEfEE10hipError_tPvRmT2_T3_T4_T5_mT6_T7_P12ihipStream_tbENKUlT_T0_E_clISt17integral_constantIbLb1EES10_IbLb0EEEEDaSW_SX_EUlSW_E_NS1_11comp_targetILNS1_3genE8ELNS1_11target_archE1030ELNS1_3gpuE2ELNS1_3repE0EEENS1_30default_config_static_selectorELNS0_4arch9wavefront6targetE1EEEvT1_,comdat
.Lfunc_end1814:
	.size	_ZN7rocprim17ROCPRIM_400000_NS6detail17trampoline_kernelINS0_14default_configENS1_27scan_by_key_config_selectorIifEEZZNS1_16scan_by_key_implILNS1_25lookback_scan_determinismE0ELb1ES3_N6thrust23THRUST_200600_302600_NS6detail15normal_iteratorINS9_10device_ptrIiEEEENSB_INSC_IjEEEESE_fNS9_4plusIvEENS9_8equal_toIvEEfEE10hipError_tPvRmT2_T3_T4_T5_mT6_T7_P12ihipStream_tbENKUlT_T0_E_clISt17integral_constantIbLb1EES10_IbLb0EEEEDaSW_SX_EUlSW_E_NS1_11comp_targetILNS1_3genE8ELNS1_11target_archE1030ELNS1_3gpuE2ELNS1_3repE0EEENS1_30default_config_static_selectorELNS0_4arch9wavefront6targetE1EEEvT1_, .Lfunc_end1814-_ZN7rocprim17ROCPRIM_400000_NS6detail17trampoline_kernelINS0_14default_configENS1_27scan_by_key_config_selectorIifEEZZNS1_16scan_by_key_implILNS1_25lookback_scan_determinismE0ELb1ES3_N6thrust23THRUST_200600_302600_NS6detail15normal_iteratorINS9_10device_ptrIiEEEENSB_INSC_IjEEEESE_fNS9_4plusIvEENS9_8equal_toIvEEfEE10hipError_tPvRmT2_T3_T4_T5_mT6_T7_P12ihipStream_tbENKUlT_T0_E_clISt17integral_constantIbLb1EES10_IbLb0EEEEDaSW_SX_EUlSW_E_NS1_11comp_targetILNS1_3genE8ELNS1_11target_archE1030ELNS1_3gpuE2ELNS1_3repE0EEENS1_30default_config_static_selectorELNS0_4arch9wavefront6targetE1EEEvT1_
                                        ; -- End function
	.section	.AMDGPU.csdata,"",@progbits
; Kernel info:
; codeLenInByte = 0
; NumSgprs: 4
; NumVgprs: 0
; NumAgprs: 0
; TotalNumVgprs: 0
; ScratchSize: 0
; MemoryBound: 0
; FloatMode: 240
; IeeeMode: 1
; LDSByteSize: 0 bytes/workgroup (compile time only)
; SGPRBlocks: 0
; VGPRBlocks: 0
; NumSGPRsForWavesPerEU: 4
; NumVGPRsForWavesPerEU: 1
; AccumOffset: 4
; Occupancy: 8
; WaveLimiterHint : 0
; COMPUTE_PGM_RSRC2:SCRATCH_EN: 0
; COMPUTE_PGM_RSRC2:USER_SGPR: 6
; COMPUTE_PGM_RSRC2:TRAP_HANDLER: 0
; COMPUTE_PGM_RSRC2:TGID_X_EN: 1
; COMPUTE_PGM_RSRC2:TGID_Y_EN: 0
; COMPUTE_PGM_RSRC2:TGID_Z_EN: 0
; COMPUTE_PGM_RSRC2:TIDIG_COMP_CNT: 0
; COMPUTE_PGM_RSRC3_GFX90A:ACCUM_OFFSET: 0
; COMPUTE_PGM_RSRC3_GFX90A:TG_SPLIT: 0
	.section	.text._ZN7rocprim17ROCPRIM_400000_NS6detail17trampoline_kernelINS0_14default_configENS1_27scan_by_key_config_selectorIifEEZZNS1_16scan_by_key_implILNS1_25lookback_scan_determinismE0ELb1ES3_N6thrust23THRUST_200600_302600_NS6detail15normal_iteratorINS9_10device_ptrIiEEEENSB_INSC_IjEEEESE_fNS9_4plusIvEENS9_8equal_toIvEEfEE10hipError_tPvRmT2_T3_T4_T5_mT6_T7_P12ihipStream_tbENKUlT_T0_E_clISt17integral_constantIbLb0EES10_IbLb1EEEEDaSW_SX_EUlSW_E_NS1_11comp_targetILNS1_3genE0ELNS1_11target_archE4294967295ELNS1_3gpuE0ELNS1_3repE0EEENS1_30default_config_static_selectorELNS0_4arch9wavefront6targetE1EEEvT1_,"axG",@progbits,_ZN7rocprim17ROCPRIM_400000_NS6detail17trampoline_kernelINS0_14default_configENS1_27scan_by_key_config_selectorIifEEZZNS1_16scan_by_key_implILNS1_25lookback_scan_determinismE0ELb1ES3_N6thrust23THRUST_200600_302600_NS6detail15normal_iteratorINS9_10device_ptrIiEEEENSB_INSC_IjEEEESE_fNS9_4plusIvEENS9_8equal_toIvEEfEE10hipError_tPvRmT2_T3_T4_T5_mT6_T7_P12ihipStream_tbENKUlT_T0_E_clISt17integral_constantIbLb0EES10_IbLb1EEEEDaSW_SX_EUlSW_E_NS1_11comp_targetILNS1_3genE0ELNS1_11target_archE4294967295ELNS1_3gpuE0ELNS1_3repE0EEENS1_30default_config_static_selectorELNS0_4arch9wavefront6targetE1EEEvT1_,comdat
	.protected	_ZN7rocprim17ROCPRIM_400000_NS6detail17trampoline_kernelINS0_14default_configENS1_27scan_by_key_config_selectorIifEEZZNS1_16scan_by_key_implILNS1_25lookback_scan_determinismE0ELb1ES3_N6thrust23THRUST_200600_302600_NS6detail15normal_iteratorINS9_10device_ptrIiEEEENSB_INSC_IjEEEESE_fNS9_4plusIvEENS9_8equal_toIvEEfEE10hipError_tPvRmT2_T3_T4_T5_mT6_T7_P12ihipStream_tbENKUlT_T0_E_clISt17integral_constantIbLb0EES10_IbLb1EEEEDaSW_SX_EUlSW_E_NS1_11comp_targetILNS1_3genE0ELNS1_11target_archE4294967295ELNS1_3gpuE0ELNS1_3repE0EEENS1_30default_config_static_selectorELNS0_4arch9wavefront6targetE1EEEvT1_ ; -- Begin function _ZN7rocprim17ROCPRIM_400000_NS6detail17trampoline_kernelINS0_14default_configENS1_27scan_by_key_config_selectorIifEEZZNS1_16scan_by_key_implILNS1_25lookback_scan_determinismE0ELb1ES3_N6thrust23THRUST_200600_302600_NS6detail15normal_iteratorINS9_10device_ptrIiEEEENSB_INSC_IjEEEESE_fNS9_4plusIvEENS9_8equal_toIvEEfEE10hipError_tPvRmT2_T3_T4_T5_mT6_T7_P12ihipStream_tbENKUlT_T0_E_clISt17integral_constantIbLb0EES10_IbLb1EEEEDaSW_SX_EUlSW_E_NS1_11comp_targetILNS1_3genE0ELNS1_11target_archE4294967295ELNS1_3gpuE0ELNS1_3repE0EEENS1_30default_config_static_selectorELNS0_4arch9wavefront6targetE1EEEvT1_
	.globl	_ZN7rocprim17ROCPRIM_400000_NS6detail17trampoline_kernelINS0_14default_configENS1_27scan_by_key_config_selectorIifEEZZNS1_16scan_by_key_implILNS1_25lookback_scan_determinismE0ELb1ES3_N6thrust23THRUST_200600_302600_NS6detail15normal_iteratorINS9_10device_ptrIiEEEENSB_INSC_IjEEEESE_fNS9_4plusIvEENS9_8equal_toIvEEfEE10hipError_tPvRmT2_T3_T4_T5_mT6_T7_P12ihipStream_tbENKUlT_T0_E_clISt17integral_constantIbLb0EES10_IbLb1EEEEDaSW_SX_EUlSW_E_NS1_11comp_targetILNS1_3genE0ELNS1_11target_archE4294967295ELNS1_3gpuE0ELNS1_3repE0EEENS1_30default_config_static_selectorELNS0_4arch9wavefront6targetE1EEEvT1_
	.p2align	8
	.type	_ZN7rocprim17ROCPRIM_400000_NS6detail17trampoline_kernelINS0_14default_configENS1_27scan_by_key_config_selectorIifEEZZNS1_16scan_by_key_implILNS1_25lookback_scan_determinismE0ELb1ES3_N6thrust23THRUST_200600_302600_NS6detail15normal_iteratorINS9_10device_ptrIiEEEENSB_INSC_IjEEEESE_fNS9_4plusIvEENS9_8equal_toIvEEfEE10hipError_tPvRmT2_T3_T4_T5_mT6_T7_P12ihipStream_tbENKUlT_T0_E_clISt17integral_constantIbLb0EES10_IbLb1EEEEDaSW_SX_EUlSW_E_NS1_11comp_targetILNS1_3genE0ELNS1_11target_archE4294967295ELNS1_3gpuE0ELNS1_3repE0EEENS1_30default_config_static_selectorELNS0_4arch9wavefront6targetE1EEEvT1_,@function
_ZN7rocprim17ROCPRIM_400000_NS6detail17trampoline_kernelINS0_14default_configENS1_27scan_by_key_config_selectorIifEEZZNS1_16scan_by_key_implILNS1_25lookback_scan_determinismE0ELb1ES3_N6thrust23THRUST_200600_302600_NS6detail15normal_iteratorINS9_10device_ptrIiEEEENSB_INSC_IjEEEESE_fNS9_4plusIvEENS9_8equal_toIvEEfEE10hipError_tPvRmT2_T3_T4_T5_mT6_T7_P12ihipStream_tbENKUlT_T0_E_clISt17integral_constantIbLb0EES10_IbLb1EEEEDaSW_SX_EUlSW_E_NS1_11comp_targetILNS1_3genE0ELNS1_11target_archE4294967295ELNS1_3gpuE0ELNS1_3repE0EEENS1_30default_config_static_selectorELNS0_4arch9wavefront6targetE1EEEvT1_: ; @_ZN7rocprim17ROCPRIM_400000_NS6detail17trampoline_kernelINS0_14default_configENS1_27scan_by_key_config_selectorIifEEZZNS1_16scan_by_key_implILNS1_25lookback_scan_determinismE0ELb1ES3_N6thrust23THRUST_200600_302600_NS6detail15normal_iteratorINS9_10device_ptrIiEEEENSB_INSC_IjEEEESE_fNS9_4plusIvEENS9_8equal_toIvEEfEE10hipError_tPvRmT2_T3_T4_T5_mT6_T7_P12ihipStream_tbENKUlT_T0_E_clISt17integral_constantIbLb0EES10_IbLb1EEEEDaSW_SX_EUlSW_E_NS1_11comp_targetILNS1_3genE0ELNS1_11target_archE4294967295ELNS1_3gpuE0ELNS1_3repE0EEENS1_30default_config_static_selectorELNS0_4arch9wavefront6targetE1EEEvT1_
; %bb.0:
	.section	.rodata,"a",@progbits
	.p2align	6, 0x0
	.amdhsa_kernel _ZN7rocprim17ROCPRIM_400000_NS6detail17trampoline_kernelINS0_14default_configENS1_27scan_by_key_config_selectorIifEEZZNS1_16scan_by_key_implILNS1_25lookback_scan_determinismE0ELb1ES3_N6thrust23THRUST_200600_302600_NS6detail15normal_iteratorINS9_10device_ptrIiEEEENSB_INSC_IjEEEESE_fNS9_4plusIvEENS9_8equal_toIvEEfEE10hipError_tPvRmT2_T3_T4_T5_mT6_T7_P12ihipStream_tbENKUlT_T0_E_clISt17integral_constantIbLb0EES10_IbLb1EEEEDaSW_SX_EUlSW_E_NS1_11comp_targetILNS1_3genE0ELNS1_11target_archE4294967295ELNS1_3gpuE0ELNS1_3repE0EEENS1_30default_config_static_selectorELNS0_4arch9wavefront6targetE1EEEvT1_
		.amdhsa_group_segment_fixed_size 0
		.amdhsa_private_segment_fixed_size 0
		.amdhsa_kernarg_size 112
		.amdhsa_user_sgpr_count 6
		.amdhsa_user_sgpr_private_segment_buffer 1
		.amdhsa_user_sgpr_dispatch_ptr 0
		.amdhsa_user_sgpr_queue_ptr 0
		.amdhsa_user_sgpr_kernarg_segment_ptr 1
		.amdhsa_user_sgpr_dispatch_id 0
		.amdhsa_user_sgpr_flat_scratch_init 0
		.amdhsa_user_sgpr_kernarg_preload_length 0
		.amdhsa_user_sgpr_kernarg_preload_offset 0
		.amdhsa_user_sgpr_private_segment_size 0
		.amdhsa_uses_dynamic_stack 0
		.amdhsa_system_sgpr_private_segment_wavefront_offset 0
		.amdhsa_system_sgpr_workgroup_id_x 1
		.amdhsa_system_sgpr_workgroup_id_y 0
		.amdhsa_system_sgpr_workgroup_id_z 0
		.amdhsa_system_sgpr_workgroup_info 0
		.amdhsa_system_vgpr_workitem_id 0
		.amdhsa_next_free_vgpr 1
		.amdhsa_next_free_sgpr 0
		.amdhsa_accum_offset 4
		.amdhsa_reserve_vcc 0
		.amdhsa_reserve_flat_scratch 0
		.amdhsa_float_round_mode_32 0
		.amdhsa_float_round_mode_16_64 0
		.amdhsa_float_denorm_mode_32 3
		.amdhsa_float_denorm_mode_16_64 3
		.amdhsa_dx10_clamp 1
		.amdhsa_ieee_mode 1
		.amdhsa_fp16_overflow 0
		.amdhsa_tg_split 0
		.amdhsa_exception_fp_ieee_invalid_op 0
		.amdhsa_exception_fp_denorm_src 0
		.amdhsa_exception_fp_ieee_div_zero 0
		.amdhsa_exception_fp_ieee_overflow 0
		.amdhsa_exception_fp_ieee_underflow 0
		.amdhsa_exception_fp_ieee_inexact 0
		.amdhsa_exception_int_div_zero 0
	.end_amdhsa_kernel
	.section	.text._ZN7rocprim17ROCPRIM_400000_NS6detail17trampoline_kernelINS0_14default_configENS1_27scan_by_key_config_selectorIifEEZZNS1_16scan_by_key_implILNS1_25lookback_scan_determinismE0ELb1ES3_N6thrust23THRUST_200600_302600_NS6detail15normal_iteratorINS9_10device_ptrIiEEEENSB_INSC_IjEEEESE_fNS9_4plusIvEENS9_8equal_toIvEEfEE10hipError_tPvRmT2_T3_T4_T5_mT6_T7_P12ihipStream_tbENKUlT_T0_E_clISt17integral_constantIbLb0EES10_IbLb1EEEEDaSW_SX_EUlSW_E_NS1_11comp_targetILNS1_3genE0ELNS1_11target_archE4294967295ELNS1_3gpuE0ELNS1_3repE0EEENS1_30default_config_static_selectorELNS0_4arch9wavefront6targetE1EEEvT1_,"axG",@progbits,_ZN7rocprim17ROCPRIM_400000_NS6detail17trampoline_kernelINS0_14default_configENS1_27scan_by_key_config_selectorIifEEZZNS1_16scan_by_key_implILNS1_25lookback_scan_determinismE0ELb1ES3_N6thrust23THRUST_200600_302600_NS6detail15normal_iteratorINS9_10device_ptrIiEEEENSB_INSC_IjEEEESE_fNS9_4plusIvEENS9_8equal_toIvEEfEE10hipError_tPvRmT2_T3_T4_T5_mT6_T7_P12ihipStream_tbENKUlT_T0_E_clISt17integral_constantIbLb0EES10_IbLb1EEEEDaSW_SX_EUlSW_E_NS1_11comp_targetILNS1_3genE0ELNS1_11target_archE4294967295ELNS1_3gpuE0ELNS1_3repE0EEENS1_30default_config_static_selectorELNS0_4arch9wavefront6targetE1EEEvT1_,comdat
.Lfunc_end1815:
	.size	_ZN7rocprim17ROCPRIM_400000_NS6detail17trampoline_kernelINS0_14default_configENS1_27scan_by_key_config_selectorIifEEZZNS1_16scan_by_key_implILNS1_25lookback_scan_determinismE0ELb1ES3_N6thrust23THRUST_200600_302600_NS6detail15normal_iteratorINS9_10device_ptrIiEEEENSB_INSC_IjEEEESE_fNS9_4plusIvEENS9_8equal_toIvEEfEE10hipError_tPvRmT2_T3_T4_T5_mT6_T7_P12ihipStream_tbENKUlT_T0_E_clISt17integral_constantIbLb0EES10_IbLb1EEEEDaSW_SX_EUlSW_E_NS1_11comp_targetILNS1_3genE0ELNS1_11target_archE4294967295ELNS1_3gpuE0ELNS1_3repE0EEENS1_30default_config_static_selectorELNS0_4arch9wavefront6targetE1EEEvT1_, .Lfunc_end1815-_ZN7rocprim17ROCPRIM_400000_NS6detail17trampoline_kernelINS0_14default_configENS1_27scan_by_key_config_selectorIifEEZZNS1_16scan_by_key_implILNS1_25lookback_scan_determinismE0ELb1ES3_N6thrust23THRUST_200600_302600_NS6detail15normal_iteratorINS9_10device_ptrIiEEEENSB_INSC_IjEEEESE_fNS9_4plusIvEENS9_8equal_toIvEEfEE10hipError_tPvRmT2_T3_T4_T5_mT6_T7_P12ihipStream_tbENKUlT_T0_E_clISt17integral_constantIbLb0EES10_IbLb1EEEEDaSW_SX_EUlSW_E_NS1_11comp_targetILNS1_3genE0ELNS1_11target_archE4294967295ELNS1_3gpuE0ELNS1_3repE0EEENS1_30default_config_static_selectorELNS0_4arch9wavefront6targetE1EEEvT1_
                                        ; -- End function
	.section	.AMDGPU.csdata,"",@progbits
; Kernel info:
; codeLenInByte = 0
; NumSgprs: 4
; NumVgprs: 0
; NumAgprs: 0
; TotalNumVgprs: 0
; ScratchSize: 0
; MemoryBound: 0
; FloatMode: 240
; IeeeMode: 1
; LDSByteSize: 0 bytes/workgroup (compile time only)
; SGPRBlocks: 0
; VGPRBlocks: 0
; NumSGPRsForWavesPerEU: 4
; NumVGPRsForWavesPerEU: 1
; AccumOffset: 4
; Occupancy: 8
; WaveLimiterHint : 0
; COMPUTE_PGM_RSRC2:SCRATCH_EN: 0
; COMPUTE_PGM_RSRC2:USER_SGPR: 6
; COMPUTE_PGM_RSRC2:TRAP_HANDLER: 0
; COMPUTE_PGM_RSRC2:TGID_X_EN: 1
; COMPUTE_PGM_RSRC2:TGID_Y_EN: 0
; COMPUTE_PGM_RSRC2:TGID_Z_EN: 0
; COMPUTE_PGM_RSRC2:TIDIG_COMP_CNT: 0
; COMPUTE_PGM_RSRC3_GFX90A:ACCUM_OFFSET: 0
; COMPUTE_PGM_RSRC3_GFX90A:TG_SPLIT: 0
	.section	.text._ZN7rocprim17ROCPRIM_400000_NS6detail17trampoline_kernelINS0_14default_configENS1_27scan_by_key_config_selectorIifEEZZNS1_16scan_by_key_implILNS1_25lookback_scan_determinismE0ELb1ES3_N6thrust23THRUST_200600_302600_NS6detail15normal_iteratorINS9_10device_ptrIiEEEENSB_INSC_IjEEEESE_fNS9_4plusIvEENS9_8equal_toIvEEfEE10hipError_tPvRmT2_T3_T4_T5_mT6_T7_P12ihipStream_tbENKUlT_T0_E_clISt17integral_constantIbLb0EES10_IbLb1EEEEDaSW_SX_EUlSW_E_NS1_11comp_targetILNS1_3genE10ELNS1_11target_archE1201ELNS1_3gpuE5ELNS1_3repE0EEENS1_30default_config_static_selectorELNS0_4arch9wavefront6targetE1EEEvT1_,"axG",@progbits,_ZN7rocprim17ROCPRIM_400000_NS6detail17trampoline_kernelINS0_14default_configENS1_27scan_by_key_config_selectorIifEEZZNS1_16scan_by_key_implILNS1_25lookback_scan_determinismE0ELb1ES3_N6thrust23THRUST_200600_302600_NS6detail15normal_iteratorINS9_10device_ptrIiEEEENSB_INSC_IjEEEESE_fNS9_4plusIvEENS9_8equal_toIvEEfEE10hipError_tPvRmT2_T3_T4_T5_mT6_T7_P12ihipStream_tbENKUlT_T0_E_clISt17integral_constantIbLb0EES10_IbLb1EEEEDaSW_SX_EUlSW_E_NS1_11comp_targetILNS1_3genE10ELNS1_11target_archE1201ELNS1_3gpuE5ELNS1_3repE0EEENS1_30default_config_static_selectorELNS0_4arch9wavefront6targetE1EEEvT1_,comdat
	.protected	_ZN7rocprim17ROCPRIM_400000_NS6detail17trampoline_kernelINS0_14default_configENS1_27scan_by_key_config_selectorIifEEZZNS1_16scan_by_key_implILNS1_25lookback_scan_determinismE0ELb1ES3_N6thrust23THRUST_200600_302600_NS6detail15normal_iteratorINS9_10device_ptrIiEEEENSB_INSC_IjEEEESE_fNS9_4plusIvEENS9_8equal_toIvEEfEE10hipError_tPvRmT2_T3_T4_T5_mT6_T7_P12ihipStream_tbENKUlT_T0_E_clISt17integral_constantIbLb0EES10_IbLb1EEEEDaSW_SX_EUlSW_E_NS1_11comp_targetILNS1_3genE10ELNS1_11target_archE1201ELNS1_3gpuE5ELNS1_3repE0EEENS1_30default_config_static_selectorELNS0_4arch9wavefront6targetE1EEEvT1_ ; -- Begin function _ZN7rocprim17ROCPRIM_400000_NS6detail17trampoline_kernelINS0_14default_configENS1_27scan_by_key_config_selectorIifEEZZNS1_16scan_by_key_implILNS1_25lookback_scan_determinismE0ELb1ES3_N6thrust23THRUST_200600_302600_NS6detail15normal_iteratorINS9_10device_ptrIiEEEENSB_INSC_IjEEEESE_fNS9_4plusIvEENS9_8equal_toIvEEfEE10hipError_tPvRmT2_T3_T4_T5_mT6_T7_P12ihipStream_tbENKUlT_T0_E_clISt17integral_constantIbLb0EES10_IbLb1EEEEDaSW_SX_EUlSW_E_NS1_11comp_targetILNS1_3genE10ELNS1_11target_archE1201ELNS1_3gpuE5ELNS1_3repE0EEENS1_30default_config_static_selectorELNS0_4arch9wavefront6targetE1EEEvT1_
	.globl	_ZN7rocprim17ROCPRIM_400000_NS6detail17trampoline_kernelINS0_14default_configENS1_27scan_by_key_config_selectorIifEEZZNS1_16scan_by_key_implILNS1_25lookback_scan_determinismE0ELb1ES3_N6thrust23THRUST_200600_302600_NS6detail15normal_iteratorINS9_10device_ptrIiEEEENSB_INSC_IjEEEESE_fNS9_4plusIvEENS9_8equal_toIvEEfEE10hipError_tPvRmT2_T3_T4_T5_mT6_T7_P12ihipStream_tbENKUlT_T0_E_clISt17integral_constantIbLb0EES10_IbLb1EEEEDaSW_SX_EUlSW_E_NS1_11comp_targetILNS1_3genE10ELNS1_11target_archE1201ELNS1_3gpuE5ELNS1_3repE0EEENS1_30default_config_static_selectorELNS0_4arch9wavefront6targetE1EEEvT1_
	.p2align	8
	.type	_ZN7rocprim17ROCPRIM_400000_NS6detail17trampoline_kernelINS0_14default_configENS1_27scan_by_key_config_selectorIifEEZZNS1_16scan_by_key_implILNS1_25lookback_scan_determinismE0ELb1ES3_N6thrust23THRUST_200600_302600_NS6detail15normal_iteratorINS9_10device_ptrIiEEEENSB_INSC_IjEEEESE_fNS9_4plusIvEENS9_8equal_toIvEEfEE10hipError_tPvRmT2_T3_T4_T5_mT6_T7_P12ihipStream_tbENKUlT_T0_E_clISt17integral_constantIbLb0EES10_IbLb1EEEEDaSW_SX_EUlSW_E_NS1_11comp_targetILNS1_3genE10ELNS1_11target_archE1201ELNS1_3gpuE5ELNS1_3repE0EEENS1_30default_config_static_selectorELNS0_4arch9wavefront6targetE1EEEvT1_,@function
_ZN7rocprim17ROCPRIM_400000_NS6detail17trampoline_kernelINS0_14default_configENS1_27scan_by_key_config_selectorIifEEZZNS1_16scan_by_key_implILNS1_25lookback_scan_determinismE0ELb1ES3_N6thrust23THRUST_200600_302600_NS6detail15normal_iteratorINS9_10device_ptrIiEEEENSB_INSC_IjEEEESE_fNS9_4plusIvEENS9_8equal_toIvEEfEE10hipError_tPvRmT2_T3_T4_T5_mT6_T7_P12ihipStream_tbENKUlT_T0_E_clISt17integral_constantIbLb0EES10_IbLb1EEEEDaSW_SX_EUlSW_E_NS1_11comp_targetILNS1_3genE10ELNS1_11target_archE1201ELNS1_3gpuE5ELNS1_3repE0EEENS1_30default_config_static_selectorELNS0_4arch9wavefront6targetE1EEEvT1_: ; @_ZN7rocprim17ROCPRIM_400000_NS6detail17trampoline_kernelINS0_14default_configENS1_27scan_by_key_config_selectorIifEEZZNS1_16scan_by_key_implILNS1_25lookback_scan_determinismE0ELb1ES3_N6thrust23THRUST_200600_302600_NS6detail15normal_iteratorINS9_10device_ptrIiEEEENSB_INSC_IjEEEESE_fNS9_4plusIvEENS9_8equal_toIvEEfEE10hipError_tPvRmT2_T3_T4_T5_mT6_T7_P12ihipStream_tbENKUlT_T0_E_clISt17integral_constantIbLb0EES10_IbLb1EEEEDaSW_SX_EUlSW_E_NS1_11comp_targetILNS1_3genE10ELNS1_11target_archE1201ELNS1_3gpuE5ELNS1_3repE0EEENS1_30default_config_static_selectorELNS0_4arch9wavefront6targetE1EEEvT1_
; %bb.0:
	.section	.rodata,"a",@progbits
	.p2align	6, 0x0
	.amdhsa_kernel _ZN7rocprim17ROCPRIM_400000_NS6detail17trampoline_kernelINS0_14default_configENS1_27scan_by_key_config_selectorIifEEZZNS1_16scan_by_key_implILNS1_25lookback_scan_determinismE0ELb1ES3_N6thrust23THRUST_200600_302600_NS6detail15normal_iteratorINS9_10device_ptrIiEEEENSB_INSC_IjEEEESE_fNS9_4plusIvEENS9_8equal_toIvEEfEE10hipError_tPvRmT2_T3_T4_T5_mT6_T7_P12ihipStream_tbENKUlT_T0_E_clISt17integral_constantIbLb0EES10_IbLb1EEEEDaSW_SX_EUlSW_E_NS1_11comp_targetILNS1_3genE10ELNS1_11target_archE1201ELNS1_3gpuE5ELNS1_3repE0EEENS1_30default_config_static_selectorELNS0_4arch9wavefront6targetE1EEEvT1_
		.amdhsa_group_segment_fixed_size 0
		.amdhsa_private_segment_fixed_size 0
		.amdhsa_kernarg_size 112
		.amdhsa_user_sgpr_count 6
		.amdhsa_user_sgpr_private_segment_buffer 1
		.amdhsa_user_sgpr_dispatch_ptr 0
		.amdhsa_user_sgpr_queue_ptr 0
		.amdhsa_user_sgpr_kernarg_segment_ptr 1
		.amdhsa_user_sgpr_dispatch_id 0
		.amdhsa_user_sgpr_flat_scratch_init 0
		.amdhsa_user_sgpr_kernarg_preload_length 0
		.amdhsa_user_sgpr_kernarg_preload_offset 0
		.amdhsa_user_sgpr_private_segment_size 0
		.amdhsa_uses_dynamic_stack 0
		.amdhsa_system_sgpr_private_segment_wavefront_offset 0
		.amdhsa_system_sgpr_workgroup_id_x 1
		.amdhsa_system_sgpr_workgroup_id_y 0
		.amdhsa_system_sgpr_workgroup_id_z 0
		.amdhsa_system_sgpr_workgroup_info 0
		.amdhsa_system_vgpr_workitem_id 0
		.amdhsa_next_free_vgpr 1
		.amdhsa_next_free_sgpr 0
		.amdhsa_accum_offset 4
		.amdhsa_reserve_vcc 0
		.amdhsa_reserve_flat_scratch 0
		.amdhsa_float_round_mode_32 0
		.amdhsa_float_round_mode_16_64 0
		.amdhsa_float_denorm_mode_32 3
		.amdhsa_float_denorm_mode_16_64 3
		.amdhsa_dx10_clamp 1
		.amdhsa_ieee_mode 1
		.amdhsa_fp16_overflow 0
		.amdhsa_tg_split 0
		.amdhsa_exception_fp_ieee_invalid_op 0
		.amdhsa_exception_fp_denorm_src 0
		.amdhsa_exception_fp_ieee_div_zero 0
		.amdhsa_exception_fp_ieee_overflow 0
		.amdhsa_exception_fp_ieee_underflow 0
		.amdhsa_exception_fp_ieee_inexact 0
		.amdhsa_exception_int_div_zero 0
	.end_amdhsa_kernel
	.section	.text._ZN7rocprim17ROCPRIM_400000_NS6detail17trampoline_kernelINS0_14default_configENS1_27scan_by_key_config_selectorIifEEZZNS1_16scan_by_key_implILNS1_25lookback_scan_determinismE0ELb1ES3_N6thrust23THRUST_200600_302600_NS6detail15normal_iteratorINS9_10device_ptrIiEEEENSB_INSC_IjEEEESE_fNS9_4plusIvEENS9_8equal_toIvEEfEE10hipError_tPvRmT2_T3_T4_T5_mT6_T7_P12ihipStream_tbENKUlT_T0_E_clISt17integral_constantIbLb0EES10_IbLb1EEEEDaSW_SX_EUlSW_E_NS1_11comp_targetILNS1_3genE10ELNS1_11target_archE1201ELNS1_3gpuE5ELNS1_3repE0EEENS1_30default_config_static_selectorELNS0_4arch9wavefront6targetE1EEEvT1_,"axG",@progbits,_ZN7rocprim17ROCPRIM_400000_NS6detail17trampoline_kernelINS0_14default_configENS1_27scan_by_key_config_selectorIifEEZZNS1_16scan_by_key_implILNS1_25lookback_scan_determinismE0ELb1ES3_N6thrust23THRUST_200600_302600_NS6detail15normal_iteratorINS9_10device_ptrIiEEEENSB_INSC_IjEEEESE_fNS9_4plusIvEENS9_8equal_toIvEEfEE10hipError_tPvRmT2_T3_T4_T5_mT6_T7_P12ihipStream_tbENKUlT_T0_E_clISt17integral_constantIbLb0EES10_IbLb1EEEEDaSW_SX_EUlSW_E_NS1_11comp_targetILNS1_3genE10ELNS1_11target_archE1201ELNS1_3gpuE5ELNS1_3repE0EEENS1_30default_config_static_selectorELNS0_4arch9wavefront6targetE1EEEvT1_,comdat
.Lfunc_end1816:
	.size	_ZN7rocprim17ROCPRIM_400000_NS6detail17trampoline_kernelINS0_14default_configENS1_27scan_by_key_config_selectorIifEEZZNS1_16scan_by_key_implILNS1_25lookback_scan_determinismE0ELb1ES3_N6thrust23THRUST_200600_302600_NS6detail15normal_iteratorINS9_10device_ptrIiEEEENSB_INSC_IjEEEESE_fNS9_4plusIvEENS9_8equal_toIvEEfEE10hipError_tPvRmT2_T3_T4_T5_mT6_T7_P12ihipStream_tbENKUlT_T0_E_clISt17integral_constantIbLb0EES10_IbLb1EEEEDaSW_SX_EUlSW_E_NS1_11comp_targetILNS1_3genE10ELNS1_11target_archE1201ELNS1_3gpuE5ELNS1_3repE0EEENS1_30default_config_static_selectorELNS0_4arch9wavefront6targetE1EEEvT1_, .Lfunc_end1816-_ZN7rocprim17ROCPRIM_400000_NS6detail17trampoline_kernelINS0_14default_configENS1_27scan_by_key_config_selectorIifEEZZNS1_16scan_by_key_implILNS1_25lookback_scan_determinismE0ELb1ES3_N6thrust23THRUST_200600_302600_NS6detail15normal_iteratorINS9_10device_ptrIiEEEENSB_INSC_IjEEEESE_fNS9_4plusIvEENS9_8equal_toIvEEfEE10hipError_tPvRmT2_T3_T4_T5_mT6_T7_P12ihipStream_tbENKUlT_T0_E_clISt17integral_constantIbLb0EES10_IbLb1EEEEDaSW_SX_EUlSW_E_NS1_11comp_targetILNS1_3genE10ELNS1_11target_archE1201ELNS1_3gpuE5ELNS1_3repE0EEENS1_30default_config_static_selectorELNS0_4arch9wavefront6targetE1EEEvT1_
                                        ; -- End function
	.section	.AMDGPU.csdata,"",@progbits
; Kernel info:
; codeLenInByte = 0
; NumSgprs: 4
; NumVgprs: 0
; NumAgprs: 0
; TotalNumVgprs: 0
; ScratchSize: 0
; MemoryBound: 0
; FloatMode: 240
; IeeeMode: 1
; LDSByteSize: 0 bytes/workgroup (compile time only)
; SGPRBlocks: 0
; VGPRBlocks: 0
; NumSGPRsForWavesPerEU: 4
; NumVGPRsForWavesPerEU: 1
; AccumOffset: 4
; Occupancy: 8
; WaveLimiterHint : 0
; COMPUTE_PGM_RSRC2:SCRATCH_EN: 0
; COMPUTE_PGM_RSRC2:USER_SGPR: 6
; COMPUTE_PGM_RSRC2:TRAP_HANDLER: 0
; COMPUTE_PGM_RSRC2:TGID_X_EN: 1
; COMPUTE_PGM_RSRC2:TGID_Y_EN: 0
; COMPUTE_PGM_RSRC2:TGID_Z_EN: 0
; COMPUTE_PGM_RSRC2:TIDIG_COMP_CNT: 0
; COMPUTE_PGM_RSRC3_GFX90A:ACCUM_OFFSET: 0
; COMPUTE_PGM_RSRC3_GFX90A:TG_SPLIT: 0
	.section	.text._ZN7rocprim17ROCPRIM_400000_NS6detail17trampoline_kernelINS0_14default_configENS1_27scan_by_key_config_selectorIifEEZZNS1_16scan_by_key_implILNS1_25lookback_scan_determinismE0ELb1ES3_N6thrust23THRUST_200600_302600_NS6detail15normal_iteratorINS9_10device_ptrIiEEEENSB_INSC_IjEEEESE_fNS9_4plusIvEENS9_8equal_toIvEEfEE10hipError_tPvRmT2_T3_T4_T5_mT6_T7_P12ihipStream_tbENKUlT_T0_E_clISt17integral_constantIbLb0EES10_IbLb1EEEEDaSW_SX_EUlSW_E_NS1_11comp_targetILNS1_3genE5ELNS1_11target_archE942ELNS1_3gpuE9ELNS1_3repE0EEENS1_30default_config_static_selectorELNS0_4arch9wavefront6targetE1EEEvT1_,"axG",@progbits,_ZN7rocprim17ROCPRIM_400000_NS6detail17trampoline_kernelINS0_14default_configENS1_27scan_by_key_config_selectorIifEEZZNS1_16scan_by_key_implILNS1_25lookback_scan_determinismE0ELb1ES3_N6thrust23THRUST_200600_302600_NS6detail15normal_iteratorINS9_10device_ptrIiEEEENSB_INSC_IjEEEESE_fNS9_4plusIvEENS9_8equal_toIvEEfEE10hipError_tPvRmT2_T3_T4_T5_mT6_T7_P12ihipStream_tbENKUlT_T0_E_clISt17integral_constantIbLb0EES10_IbLb1EEEEDaSW_SX_EUlSW_E_NS1_11comp_targetILNS1_3genE5ELNS1_11target_archE942ELNS1_3gpuE9ELNS1_3repE0EEENS1_30default_config_static_selectorELNS0_4arch9wavefront6targetE1EEEvT1_,comdat
	.protected	_ZN7rocprim17ROCPRIM_400000_NS6detail17trampoline_kernelINS0_14default_configENS1_27scan_by_key_config_selectorIifEEZZNS1_16scan_by_key_implILNS1_25lookback_scan_determinismE0ELb1ES3_N6thrust23THRUST_200600_302600_NS6detail15normal_iteratorINS9_10device_ptrIiEEEENSB_INSC_IjEEEESE_fNS9_4plusIvEENS9_8equal_toIvEEfEE10hipError_tPvRmT2_T3_T4_T5_mT6_T7_P12ihipStream_tbENKUlT_T0_E_clISt17integral_constantIbLb0EES10_IbLb1EEEEDaSW_SX_EUlSW_E_NS1_11comp_targetILNS1_3genE5ELNS1_11target_archE942ELNS1_3gpuE9ELNS1_3repE0EEENS1_30default_config_static_selectorELNS0_4arch9wavefront6targetE1EEEvT1_ ; -- Begin function _ZN7rocprim17ROCPRIM_400000_NS6detail17trampoline_kernelINS0_14default_configENS1_27scan_by_key_config_selectorIifEEZZNS1_16scan_by_key_implILNS1_25lookback_scan_determinismE0ELb1ES3_N6thrust23THRUST_200600_302600_NS6detail15normal_iteratorINS9_10device_ptrIiEEEENSB_INSC_IjEEEESE_fNS9_4plusIvEENS9_8equal_toIvEEfEE10hipError_tPvRmT2_T3_T4_T5_mT6_T7_P12ihipStream_tbENKUlT_T0_E_clISt17integral_constantIbLb0EES10_IbLb1EEEEDaSW_SX_EUlSW_E_NS1_11comp_targetILNS1_3genE5ELNS1_11target_archE942ELNS1_3gpuE9ELNS1_3repE0EEENS1_30default_config_static_selectorELNS0_4arch9wavefront6targetE1EEEvT1_
	.globl	_ZN7rocprim17ROCPRIM_400000_NS6detail17trampoline_kernelINS0_14default_configENS1_27scan_by_key_config_selectorIifEEZZNS1_16scan_by_key_implILNS1_25lookback_scan_determinismE0ELb1ES3_N6thrust23THRUST_200600_302600_NS6detail15normal_iteratorINS9_10device_ptrIiEEEENSB_INSC_IjEEEESE_fNS9_4plusIvEENS9_8equal_toIvEEfEE10hipError_tPvRmT2_T3_T4_T5_mT6_T7_P12ihipStream_tbENKUlT_T0_E_clISt17integral_constantIbLb0EES10_IbLb1EEEEDaSW_SX_EUlSW_E_NS1_11comp_targetILNS1_3genE5ELNS1_11target_archE942ELNS1_3gpuE9ELNS1_3repE0EEENS1_30default_config_static_selectorELNS0_4arch9wavefront6targetE1EEEvT1_
	.p2align	8
	.type	_ZN7rocprim17ROCPRIM_400000_NS6detail17trampoline_kernelINS0_14default_configENS1_27scan_by_key_config_selectorIifEEZZNS1_16scan_by_key_implILNS1_25lookback_scan_determinismE0ELb1ES3_N6thrust23THRUST_200600_302600_NS6detail15normal_iteratorINS9_10device_ptrIiEEEENSB_INSC_IjEEEESE_fNS9_4plusIvEENS9_8equal_toIvEEfEE10hipError_tPvRmT2_T3_T4_T5_mT6_T7_P12ihipStream_tbENKUlT_T0_E_clISt17integral_constantIbLb0EES10_IbLb1EEEEDaSW_SX_EUlSW_E_NS1_11comp_targetILNS1_3genE5ELNS1_11target_archE942ELNS1_3gpuE9ELNS1_3repE0EEENS1_30default_config_static_selectorELNS0_4arch9wavefront6targetE1EEEvT1_,@function
_ZN7rocprim17ROCPRIM_400000_NS6detail17trampoline_kernelINS0_14default_configENS1_27scan_by_key_config_selectorIifEEZZNS1_16scan_by_key_implILNS1_25lookback_scan_determinismE0ELb1ES3_N6thrust23THRUST_200600_302600_NS6detail15normal_iteratorINS9_10device_ptrIiEEEENSB_INSC_IjEEEESE_fNS9_4plusIvEENS9_8equal_toIvEEfEE10hipError_tPvRmT2_T3_T4_T5_mT6_T7_P12ihipStream_tbENKUlT_T0_E_clISt17integral_constantIbLb0EES10_IbLb1EEEEDaSW_SX_EUlSW_E_NS1_11comp_targetILNS1_3genE5ELNS1_11target_archE942ELNS1_3gpuE9ELNS1_3repE0EEENS1_30default_config_static_selectorELNS0_4arch9wavefront6targetE1EEEvT1_: ; @_ZN7rocprim17ROCPRIM_400000_NS6detail17trampoline_kernelINS0_14default_configENS1_27scan_by_key_config_selectorIifEEZZNS1_16scan_by_key_implILNS1_25lookback_scan_determinismE0ELb1ES3_N6thrust23THRUST_200600_302600_NS6detail15normal_iteratorINS9_10device_ptrIiEEEENSB_INSC_IjEEEESE_fNS9_4plusIvEENS9_8equal_toIvEEfEE10hipError_tPvRmT2_T3_T4_T5_mT6_T7_P12ihipStream_tbENKUlT_T0_E_clISt17integral_constantIbLb0EES10_IbLb1EEEEDaSW_SX_EUlSW_E_NS1_11comp_targetILNS1_3genE5ELNS1_11target_archE942ELNS1_3gpuE9ELNS1_3repE0EEENS1_30default_config_static_selectorELNS0_4arch9wavefront6targetE1EEEvT1_
; %bb.0:
	.section	.rodata,"a",@progbits
	.p2align	6, 0x0
	.amdhsa_kernel _ZN7rocprim17ROCPRIM_400000_NS6detail17trampoline_kernelINS0_14default_configENS1_27scan_by_key_config_selectorIifEEZZNS1_16scan_by_key_implILNS1_25lookback_scan_determinismE0ELb1ES3_N6thrust23THRUST_200600_302600_NS6detail15normal_iteratorINS9_10device_ptrIiEEEENSB_INSC_IjEEEESE_fNS9_4plusIvEENS9_8equal_toIvEEfEE10hipError_tPvRmT2_T3_T4_T5_mT6_T7_P12ihipStream_tbENKUlT_T0_E_clISt17integral_constantIbLb0EES10_IbLb1EEEEDaSW_SX_EUlSW_E_NS1_11comp_targetILNS1_3genE5ELNS1_11target_archE942ELNS1_3gpuE9ELNS1_3repE0EEENS1_30default_config_static_selectorELNS0_4arch9wavefront6targetE1EEEvT1_
		.amdhsa_group_segment_fixed_size 0
		.amdhsa_private_segment_fixed_size 0
		.amdhsa_kernarg_size 112
		.amdhsa_user_sgpr_count 6
		.amdhsa_user_sgpr_private_segment_buffer 1
		.amdhsa_user_sgpr_dispatch_ptr 0
		.amdhsa_user_sgpr_queue_ptr 0
		.amdhsa_user_sgpr_kernarg_segment_ptr 1
		.amdhsa_user_sgpr_dispatch_id 0
		.amdhsa_user_sgpr_flat_scratch_init 0
		.amdhsa_user_sgpr_kernarg_preload_length 0
		.amdhsa_user_sgpr_kernarg_preload_offset 0
		.amdhsa_user_sgpr_private_segment_size 0
		.amdhsa_uses_dynamic_stack 0
		.amdhsa_system_sgpr_private_segment_wavefront_offset 0
		.amdhsa_system_sgpr_workgroup_id_x 1
		.amdhsa_system_sgpr_workgroup_id_y 0
		.amdhsa_system_sgpr_workgroup_id_z 0
		.amdhsa_system_sgpr_workgroup_info 0
		.amdhsa_system_vgpr_workitem_id 0
		.amdhsa_next_free_vgpr 1
		.amdhsa_next_free_sgpr 0
		.amdhsa_accum_offset 4
		.amdhsa_reserve_vcc 0
		.amdhsa_reserve_flat_scratch 0
		.amdhsa_float_round_mode_32 0
		.amdhsa_float_round_mode_16_64 0
		.amdhsa_float_denorm_mode_32 3
		.amdhsa_float_denorm_mode_16_64 3
		.amdhsa_dx10_clamp 1
		.amdhsa_ieee_mode 1
		.amdhsa_fp16_overflow 0
		.amdhsa_tg_split 0
		.amdhsa_exception_fp_ieee_invalid_op 0
		.amdhsa_exception_fp_denorm_src 0
		.amdhsa_exception_fp_ieee_div_zero 0
		.amdhsa_exception_fp_ieee_overflow 0
		.amdhsa_exception_fp_ieee_underflow 0
		.amdhsa_exception_fp_ieee_inexact 0
		.amdhsa_exception_int_div_zero 0
	.end_amdhsa_kernel
	.section	.text._ZN7rocprim17ROCPRIM_400000_NS6detail17trampoline_kernelINS0_14default_configENS1_27scan_by_key_config_selectorIifEEZZNS1_16scan_by_key_implILNS1_25lookback_scan_determinismE0ELb1ES3_N6thrust23THRUST_200600_302600_NS6detail15normal_iteratorINS9_10device_ptrIiEEEENSB_INSC_IjEEEESE_fNS9_4plusIvEENS9_8equal_toIvEEfEE10hipError_tPvRmT2_T3_T4_T5_mT6_T7_P12ihipStream_tbENKUlT_T0_E_clISt17integral_constantIbLb0EES10_IbLb1EEEEDaSW_SX_EUlSW_E_NS1_11comp_targetILNS1_3genE5ELNS1_11target_archE942ELNS1_3gpuE9ELNS1_3repE0EEENS1_30default_config_static_selectorELNS0_4arch9wavefront6targetE1EEEvT1_,"axG",@progbits,_ZN7rocprim17ROCPRIM_400000_NS6detail17trampoline_kernelINS0_14default_configENS1_27scan_by_key_config_selectorIifEEZZNS1_16scan_by_key_implILNS1_25lookback_scan_determinismE0ELb1ES3_N6thrust23THRUST_200600_302600_NS6detail15normal_iteratorINS9_10device_ptrIiEEEENSB_INSC_IjEEEESE_fNS9_4plusIvEENS9_8equal_toIvEEfEE10hipError_tPvRmT2_T3_T4_T5_mT6_T7_P12ihipStream_tbENKUlT_T0_E_clISt17integral_constantIbLb0EES10_IbLb1EEEEDaSW_SX_EUlSW_E_NS1_11comp_targetILNS1_3genE5ELNS1_11target_archE942ELNS1_3gpuE9ELNS1_3repE0EEENS1_30default_config_static_selectorELNS0_4arch9wavefront6targetE1EEEvT1_,comdat
.Lfunc_end1817:
	.size	_ZN7rocprim17ROCPRIM_400000_NS6detail17trampoline_kernelINS0_14default_configENS1_27scan_by_key_config_selectorIifEEZZNS1_16scan_by_key_implILNS1_25lookback_scan_determinismE0ELb1ES3_N6thrust23THRUST_200600_302600_NS6detail15normal_iteratorINS9_10device_ptrIiEEEENSB_INSC_IjEEEESE_fNS9_4plusIvEENS9_8equal_toIvEEfEE10hipError_tPvRmT2_T3_T4_T5_mT6_T7_P12ihipStream_tbENKUlT_T0_E_clISt17integral_constantIbLb0EES10_IbLb1EEEEDaSW_SX_EUlSW_E_NS1_11comp_targetILNS1_3genE5ELNS1_11target_archE942ELNS1_3gpuE9ELNS1_3repE0EEENS1_30default_config_static_selectorELNS0_4arch9wavefront6targetE1EEEvT1_, .Lfunc_end1817-_ZN7rocprim17ROCPRIM_400000_NS6detail17trampoline_kernelINS0_14default_configENS1_27scan_by_key_config_selectorIifEEZZNS1_16scan_by_key_implILNS1_25lookback_scan_determinismE0ELb1ES3_N6thrust23THRUST_200600_302600_NS6detail15normal_iteratorINS9_10device_ptrIiEEEENSB_INSC_IjEEEESE_fNS9_4plusIvEENS9_8equal_toIvEEfEE10hipError_tPvRmT2_T3_T4_T5_mT6_T7_P12ihipStream_tbENKUlT_T0_E_clISt17integral_constantIbLb0EES10_IbLb1EEEEDaSW_SX_EUlSW_E_NS1_11comp_targetILNS1_3genE5ELNS1_11target_archE942ELNS1_3gpuE9ELNS1_3repE0EEENS1_30default_config_static_selectorELNS0_4arch9wavefront6targetE1EEEvT1_
                                        ; -- End function
	.section	.AMDGPU.csdata,"",@progbits
; Kernel info:
; codeLenInByte = 0
; NumSgprs: 4
; NumVgprs: 0
; NumAgprs: 0
; TotalNumVgprs: 0
; ScratchSize: 0
; MemoryBound: 0
; FloatMode: 240
; IeeeMode: 1
; LDSByteSize: 0 bytes/workgroup (compile time only)
; SGPRBlocks: 0
; VGPRBlocks: 0
; NumSGPRsForWavesPerEU: 4
; NumVGPRsForWavesPerEU: 1
; AccumOffset: 4
; Occupancy: 8
; WaveLimiterHint : 0
; COMPUTE_PGM_RSRC2:SCRATCH_EN: 0
; COMPUTE_PGM_RSRC2:USER_SGPR: 6
; COMPUTE_PGM_RSRC2:TRAP_HANDLER: 0
; COMPUTE_PGM_RSRC2:TGID_X_EN: 1
; COMPUTE_PGM_RSRC2:TGID_Y_EN: 0
; COMPUTE_PGM_RSRC2:TGID_Z_EN: 0
; COMPUTE_PGM_RSRC2:TIDIG_COMP_CNT: 0
; COMPUTE_PGM_RSRC3_GFX90A:ACCUM_OFFSET: 0
; COMPUTE_PGM_RSRC3_GFX90A:TG_SPLIT: 0
	.section	.text._ZN7rocprim17ROCPRIM_400000_NS6detail17trampoline_kernelINS0_14default_configENS1_27scan_by_key_config_selectorIifEEZZNS1_16scan_by_key_implILNS1_25lookback_scan_determinismE0ELb1ES3_N6thrust23THRUST_200600_302600_NS6detail15normal_iteratorINS9_10device_ptrIiEEEENSB_INSC_IjEEEESE_fNS9_4plusIvEENS9_8equal_toIvEEfEE10hipError_tPvRmT2_T3_T4_T5_mT6_T7_P12ihipStream_tbENKUlT_T0_E_clISt17integral_constantIbLb0EES10_IbLb1EEEEDaSW_SX_EUlSW_E_NS1_11comp_targetILNS1_3genE4ELNS1_11target_archE910ELNS1_3gpuE8ELNS1_3repE0EEENS1_30default_config_static_selectorELNS0_4arch9wavefront6targetE1EEEvT1_,"axG",@progbits,_ZN7rocprim17ROCPRIM_400000_NS6detail17trampoline_kernelINS0_14default_configENS1_27scan_by_key_config_selectorIifEEZZNS1_16scan_by_key_implILNS1_25lookback_scan_determinismE0ELb1ES3_N6thrust23THRUST_200600_302600_NS6detail15normal_iteratorINS9_10device_ptrIiEEEENSB_INSC_IjEEEESE_fNS9_4plusIvEENS9_8equal_toIvEEfEE10hipError_tPvRmT2_T3_T4_T5_mT6_T7_P12ihipStream_tbENKUlT_T0_E_clISt17integral_constantIbLb0EES10_IbLb1EEEEDaSW_SX_EUlSW_E_NS1_11comp_targetILNS1_3genE4ELNS1_11target_archE910ELNS1_3gpuE8ELNS1_3repE0EEENS1_30default_config_static_selectorELNS0_4arch9wavefront6targetE1EEEvT1_,comdat
	.protected	_ZN7rocprim17ROCPRIM_400000_NS6detail17trampoline_kernelINS0_14default_configENS1_27scan_by_key_config_selectorIifEEZZNS1_16scan_by_key_implILNS1_25lookback_scan_determinismE0ELb1ES3_N6thrust23THRUST_200600_302600_NS6detail15normal_iteratorINS9_10device_ptrIiEEEENSB_INSC_IjEEEESE_fNS9_4plusIvEENS9_8equal_toIvEEfEE10hipError_tPvRmT2_T3_T4_T5_mT6_T7_P12ihipStream_tbENKUlT_T0_E_clISt17integral_constantIbLb0EES10_IbLb1EEEEDaSW_SX_EUlSW_E_NS1_11comp_targetILNS1_3genE4ELNS1_11target_archE910ELNS1_3gpuE8ELNS1_3repE0EEENS1_30default_config_static_selectorELNS0_4arch9wavefront6targetE1EEEvT1_ ; -- Begin function _ZN7rocprim17ROCPRIM_400000_NS6detail17trampoline_kernelINS0_14default_configENS1_27scan_by_key_config_selectorIifEEZZNS1_16scan_by_key_implILNS1_25lookback_scan_determinismE0ELb1ES3_N6thrust23THRUST_200600_302600_NS6detail15normal_iteratorINS9_10device_ptrIiEEEENSB_INSC_IjEEEESE_fNS9_4plusIvEENS9_8equal_toIvEEfEE10hipError_tPvRmT2_T3_T4_T5_mT6_T7_P12ihipStream_tbENKUlT_T0_E_clISt17integral_constantIbLb0EES10_IbLb1EEEEDaSW_SX_EUlSW_E_NS1_11comp_targetILNS1_3genE4ELNS1_11target_archE910ELNS1_3gpuE8ELNS1_3repE0EEENS1_30default_config_static_selectorELNS0_4arch9wavefront6targetE1EEEvT1_
	.globl	_ZN7rocprim17ROCPRIM_400000_NS6detail17trampoline_kernelINS0_14default_configENS1_27scan_by_key_config_selectorIifEEZZNS1_16scan_by_key_implILNS1_25lookback_scan_determinismE0ELb1ES3_N6thrust23THRUST_200600_302600_NS6detail15normal_iteratorINS9_10device_ptrIiEEEENSB_INSC_IjEEEESE_fNS9_4plusIvEENS9_8equal_toIvEEfEE10hipError_tPvRmT2_T3_T4_T5_mT6_T7_P12ihipStream_tbENKUlT_T0_E_clISt17integral_constantIbLb0EES10_IbLb1EEEEDaSW_SX_EUlSW_E_NS1_11comp_targetILNS1_3genE4ELNS1_11target_archE910ELNS1_3gpuE8ELNS1_3repE0EEENS1_30default_config_static_selectorELNS0_4arch9wavefront6targetE1EEEvT1_
	.p2align	8
	.type	_ZN7rocprim17ROCPRIM_400000_NS6detail17trampoline_kernelINS0_14default_configENS1_27scan_by_key_config_selectorIifEEZZNS1_16scan_by_key_implILNS1_25lookback_scan_determinismE0ELb1ES3_N6thrust23THRUST_200600_302600_NS6detail15normal_iteratorINS9_10device_ptrIiEEEENSB_INSC_IjEEEESE_fNS9_4plusIvEENS9_8equal_toIvEEfEE10hipError_tPvRmT2_T3_T4_T5_mT6_T7_P12ihipStream_tbENKUlT_T0_E_clISt17integral_constantIbLb0EES10_IbLb1EEEEDaSW_SX_EUlSW_E_NS1_11comp_targetILNS1_3genE4ELNS1_11target_archE910ELNS1_3gpuE8ELNS1_3repE0EEENS1_30default_config_static_selectorELNS0_4arch9wavefront6targetE1EEEvT1_,@function
_ZN7rocprim17ROCPRIM_400000_NS6detail17trampoline_kernelINS0_14default_configENS1_27scan_by_key_config_selectorIifEEZZNS1_16scan_by_key_implILNS1_25lookback_scan_determinismE0ELb1ES3_N6thrust23THRUST_200600_302600_NS6detail15normal_iteratorINS9_10device_ptrIiEEEENSB_INSC_IjEEEESE_fNS9_4plusIvEENS9_8equal_toIvEEfEE10hipError_tPvRmT2_T3_T4_T5_mT6_T7_P12ihipStream_tbENKUlT_T0_E_clISt17integral_constantIbLb0EES10_IbLb1EEEEDaSW_SX_EUlSW_E_NS1_11comp_targetILNS1_3genE4ELNS1_11target_archE910ELNS1_3gpuE8ELNS1_3repE0EEENS1_30default_config_static_selectorELNS0_4arch9wavefront6targetE1EEEvT1_: ; @_ZN7rocprim17ROCPRIM_400000_NS6detail17trampoline_kernelINS0_14default_configENS1_27scan_by_key_config_selectorIifEEZZNS1_16scan_by_key_implILNS1_25lookback_scan_determinismE0ELb1ES3_N6thrust23THRUST_200600_302600_NS6detail15normal_iteratorINS9_10device_ptrIiEEEENSB_INSC_IjEEEESE_fNS9_4plusIvEENS9_8equal_toIvEEfEE10hipError_tPvRmT2_T3_T4_T5_mT6_T7_P12ihipStream_tbENKUlT_T0_E_clISt17integral_constantIbLb0EES10_IbLb1EEEEDaSW_SX_EUlSW_E_NS1_11comp_targetILNS1_3genE4ELNS1_11target_archE910ELNS1_3gpuE8ELNS1_3repE0EEENS1_30default_config_static_selectorELNS0_4arch9wavefront6targetE1EEEvT1_
; %bb.0:
	s_load_dword s54, s[4:5], 0x20
	s_load_dwordx4 s[44:47], s[4:5], 0x28
	s_load_dwordx2 s[52:53], s[4:5], 0x38
	v_cmp_eq_u32_e64 s[0:1], 0, v0
	s_and_saveexec_b64 s[2:3], s[0:1]
	s_cbranch_execz .LBB1818_4
; %bb.1:
	s_mov_b64 s[8:9], exec
	v_mbcnt_lo_u32_b32 v1, s8, 0
	v_mbcnt_hi_u32_b32 v1, s9, v1
	v_cmp_eq_u32_e32 vcc, 0, v1
                                        ; implicit-def: $vgpr2
	s_and_saveexec_b64 s[6:7], vcc
	s_cbranch_execz .LBB1818_3
; %bb.2:
	s_load_dwordx2 s[10:11], s[4:5], 0x68
	s_bcnt1_i32_b64 s8, s[8:9]
	v_mov_b32_e32 v2, 0
	v_mov_b32_e32 v3, s8
	s_waitcnt lgkmcnt(0)
	global_atomic_add v2, v2, v3, s[10:11] glc
.LBB1818_3:
	s_or_b64 exec, exec, s[6:7]
	s_waitcnt vmcnt(0)
	v_readfirstlane_b32 s6, v2
	v_add_u32_e32 v1, s6, v1
	v_mov_b32_e32 v2, 0
	ds_write_b32 v2, v1
.LBB1818_4:
	s_or_b64 exec, exec, s[2:3]
	s_load_dwordx8 s[36:43], s[4:5], 0x0
	s_load_dword s2, s[4:5], 0x40
	s_load_dwordx4 s[48:51], s[4:5], 0x48
	v_mov_b32_e32 v3, 0
	s_waitcnt lgkmcnt(0)
	s_lshl_b64 s[34:35], s[38:39], 2
	s_barrier
	ds_read_b32 v1, v3
	s_add_u32 s3, s36, s34
	s_addc_u32 s4, s37, s35
	s_add_u32 s5, s40, s34
	s_mul_i32 s7, s53, s2
	s_mul_hi_u32 s8, s52, s2
	s_addc_u32 s6, s41, s35
	s_add_i32 s7, s8, s7
	s_movk_i32 s8, 0xe00
	s_waitcnt lgkmcnt(0)
	v_mul_lo_u32 v2, v1, s8
	v_lshlrev_b64 v[16:17], 2, v[2:3]
	v_mov_b32_e32 v2, s4
	v_add_co_u32_e32 v14, vcc, s3, v16
	v_addc_co_u32_e32 v15, vcc, v2, v17, vcc
	v_mov_b32_e32 v2, s6
	v_add_co_u32_e32 v22, vcc, s5, v16
	s_mul_i32 s2, s52, s2
	v_addc_co_u32_e32 v23, vcc, v2, v17, vcc
	v_mov_b32_e32 v3, s7
	v_add_co_u32_e32 v2, vcc, s2, v1
	s_add_u32 s6, s48, -1
	v_addc_co_u32_e32 v3, vcc, 0, v3, vcc
	s_addc_u32 s7, s49, -1
	v_cmp_le_u64_e64 s[2:3], s[6:7], v[2:3]
	v_readfirstlane_b32 s47, v1
	s_mov_b64 s[4:5], -1
	s_and_b64 vcc, exec, s[2:3]
	s_mul_i32 s33, s6, 0xfffff200
	s_barrier
	s_barrier
	s_cbranch_vccz .LBB1818_80
; %bb.5:
	flat_load_dword v2, v[14:15]
	s_add_i32 s49, s33, s46
	v_cmp_gt_u32_e32 vcc, s49, v0
	s_waitcnt vmcnt(0) lgkmcnt(0)
	v_mov_b32_e32 v3, v2
	s_and_saveexec_b64 s[6:7], vcc
	s_cbranch_execz .LBB1818_7
; %bb.6:
	v_lshlrev_b32_e32 v1, 2, v0
	v_add_co_u32_e64 v4, s[4:5], v14, v1
	v_addc_co_u32_e64 v5, s[4:5], 0, v15, s[4:5]
	flat_load_dword v3, v[4:5]
.LBB1818_7:
	s_or_b64 exec, exec, s[6:7]
	v_or_b32_e32 v1, 0x100, v0
	v_cmp_gt_u32_e64 s[4:5], s49, v1
	v_mov_b32_e32 v4, v2
	s_and_saveexec_b64 s[8:9], s[4:5]
	s_cbranch_execz .LBB1818_9
; %bb.8:
	v_lshlrev_b32_e32 v1, 2, v0
	v_add_co_u32_e64 v4, s[6:7], v14, v1
	v_addc_co_u32_e64 v5, s[6:7], 0, v15, s[6:7]
	flat_load_dword v4, v[4:5] offset:1024
.LBB1818_9:
	s_or_b64 exec, exec, s[8:9]
	v_or_b32_e32 v1, 0x200, v0
	v_cmp_gt_u32_e64 s[6:7], s49, v1
	v_mov_b32_e32 v5, v2
	s_and_saveexec_b64 s[10:11], s[6:7]
	s_cbranch_execz .LBB1818_11
; %bb.10:
	v_lshlrev_b32_e32 v1, 2, v0
	v_add_co_u32_e64 v6, s[8:9], v14, v1
	v_addc_co_u32_e64 v7, s[8:9], 0, v15, s[8:9]
	flat_load_dword v5, v[6:7] offset:2048
.LBB1818_11:
	;; [unrolled: 12-line block ×3, first 2 shown]
	s_or_b64 exec, exec, s[12:13]
	v_or_b32_e32 v1, 0x400, v0
	v_cmp_gt_u32_e64 s[10:11], s49, v1
	v_lshlrev_b32_e32 v1, 2, v1
	v_mov_b32_e32 v7, v2
	s_and_saveexec_b64 s[14:15], s[10:11]
	s_cbranch_execz .LBB1818_15
; %bb.14:
	v_add_co_u32_e64 v8, s[12:13], v14, v1
	v_addc_co_u32_e64 v9, s[12:13], 0, v15, s[12:13]
	flat_load_dword v7, v[8:9]
.LBB1818_15:
	s_or_b64 exec, exec, s[14:15]
	v_or_b32_e32 v8, 0x500, v0
	v_cmp_gt_u32_e64 s[12:13], s49, v8
	v_lshlrev_b32_e32 v20, 2, v8
	v_mov_b32_e32 v8, v2
	s_and_saveexec_b64 s[16:17], s[12:13]
	s_cbranch_execz .LBB1818_17
; %bb.16:
	v_add_co_u32_e64 v8, s[14:15], v14, v20
	v_addc_co_u32_e64 v9, s[14:15], 0, v15, s[14:15]
	flat_load_dword v8, v[8:9]
.LBB1818_17:
	;; [unrolled: 12-line block ×9, first 2 shown]
	s_or_b64 exec, exec, s[30:31]
	v_or_b32_e32 v24, 0xd00, v0
	v_cmp_gt_u32_e64 s[28:29], s49, v24
	v_lshlrev_b32_e32 v32, 2, v24
	s_and_saveexec_b64 s[36:37], s[28:29]
	s_cbranch_execz .LBB1818_33
; %bb.32:
	v_add_co_u32_e64 v24, s[30:31], v14, v32
	v_addc_co_u32_e64 v25, s[30:31], 0, v15, s[30:31]
	flat_load_dword v2, v[24:25]
.LBB1818_33:
	s_or_b64 exec, exec, s[36:37]
	v_lshlrev_b32_e32 v33, 2, v0
	s_waitcnt vmcnt(0) lgkmcnt(0)
	ds_write2st64_b32 v33, v3, v4 offset1:4
	ds_write2st64_b32 v33, v5, v6 offset0:8 offset1:12
	ds_write2st64_b32 v33, v7, v8 offset0:16 offset1:20
	;; [unrolled: 1-line block ×6, first 2 shown]
	s_waitcnt lgkmcnt(0)
	s_barrier
	flat_load_dword v24, v[14:15]
	v_mad_u32_u24 v25, v0, 52, v33
	s_movk_i32 s30, 0xffcc
	ds_read2_b64 v[10:13], v25 offset1:1
	ds_read2_b64 v[6:9], v25 offset0:2 offset1:3
	ds_read2_b64 v[2:5], v25 offset0:4 offset1:5
	ds_read_b64 v[18:19], v25 offset:48
	v_mad_i32_i24 v34, v0, s30, v25
	s_movk_i32 s30, 0xff
	v_cmp_ne_u32_e64 s[30:31], s30, v0
	s_waitcnt lgkmcnt(0)
	ds_write_b32 v34, v10 offset:15360
	s_waitcnt lgkmcnt(0)
	s_barrier
	s_and_saveexec_b64 s[36:37], s[30:31]
	s_cbranch_execz .LBB1818_35
; %bb.34:
	s_waitcnt vmcnt(0)
	ds_read_b32 v24, v33 offset:15364
.LBB1818_35:
	s_or_b64 exec, exec, s[36:37]
	s_waitcnt lgkmcnt(0)
	s_barrier
	s_waitcnt lgkmcnt(0)
                                        ; implicit-def: $vgpr34
	s_and_saveexec_b64 s[30:31], vcc
	s_cbranch_execz .LBB1818_151
; %bb.36:
	v_add_co_u32_e32 v34, vcc, v22, v33
	v_addc_co_u32_e32 v35, vcc, 0, v23, vcc
	flat_load_dword v34, v[34:35]
	s_waitcnt vmcnt(0) lgkmcnt(0)
	v_cvt_f32_u32_e32 v34, v34
	s_or_b64 exec, exec, s[30:31]
                                        ; implicit-def: $vgpr35
	s_and_saveexec_b64 s[30:31], s[4:5]
	s_cbranch_execnz .LBB1818_152
.LBB1818_37:
	s_or_b64 exec, exec, s[30:31]
                                        ; implicit-def: $vgpr36
	s_and_saveexec_b64 s[4:5], s[6:7]
	s_cbranch_execz .LBB1818_153
.LBB1818_38:
	v_add_co_u32_e32 v36, vcc, v22, v33
	v_addc_co_u32_e32 v37, vcc, 0, v23, vcc
	flat_load_dword v36, v[36:37] offset:2048
	s_waitcnt vmcnt(0) lgkmcnt(0)
	v_cvt_f32_u32_e32 v36, v36
	s_or_b64 exec, exec, s[4:5]
                                        ; implicit-def: $vgpr37
	s_and_saveexec_b64 s[4:5], s[8:9]
	s_cbranch_execnz .LBB1818_154
.LBB1818_39:
	s_or_b64 exec, exec, s[4:5]
                                        ; implicit-def: $vgpr38
	s_and_saveexec_b64 s[4:5], s[10:11]
	s_cbranch_execz .LBB1818_155
.LBB1818_40:
	v_add_co_u32_e32 v38, vcc, v22, v1
	v_addc_co_u32_e32 v39, vcc, 0, v23, vcc
	flat_load_dword v1, v[38:39]
	s_waitcnt vmcnt(0) lgkmcnt(0)
	v_cvt_f32_u32_e32 v38, v1
	s_or_b64 exec, exec, s[4:5]
                                        ; implicit-def: $vgpr1
	s_and_saveexec_b64 s[4:5], s[12:13]
	s_cbranch_execnz .LBB1818_156
.LBB1818_41:
	s_or_b64 exec, exec, s[4:5]
                                        ; implicit-def: $vgpr20
	s_and_saveexec_b64 s[4:5], s[14:15]
	s_cbranch_execz .LBB1818_157
.LBB1818_42:
	v_add_co_u32_e32 v20, vcc, v22, v21
	v_addc_co_u32_e32 v21, vcc, 0, v23, vcc
	flat_load_dword v20, v[20:21]
	s_waitcnt vmcnt(0) lgkmcnt(0)
	v_cvt_f32_u32_e32 v20, v20
	s_or_b64 exec, exec, s[4:5]
                                        ; implicit-def: $vgpr21
	s_and_saveexec_b64 s[4:5], s[16:17]
	s_cbranch_execnz .LBB1818_158
.LBB1818_43:
	s_or_b64 exec, exec, s[4:5]
                                        ; implicit-def: $vgpr26
	s_and_saveexec_b64 s[4:5], s[18:19]
	s_cbranch_execz .LBB1818_159
.LBB1818_44:
	v_add_co_u32_e32 v26, vcc, v22, v27
	v_addc_co_u32_e32 v27, vcc, 0, v23, vcc
	flat_load_dword v26, v[26:27]
	s_waitcnt vmcnt(0) lgkmcnt(0)
	v_cvt_f32_u32_e32 v26, v26
	s_or_b64 exec, exec, s[4:5]
                                        ; implicit-def: $vgpr27
	s_and_saveexec_b64 s[4:5], s[20:21]
	s_cbranch_execnz .LBB1818_160
.LBB1818_45:
	s_or_b64 exec, exec, s[4:5]
                                        ; implicit-def: $vgpr28
	s_and_saveexec_b64 s[4:5], s[22:23]
	s_cbranch_execz .LBB1818_161
.LBB1818_46:
	v_add_co_u32_e32 v28, vcc, v22, v29
	v_addc_co_u32_e32 v29, vcc, 0, v23, vcc
	flat_load_dword v28, v[28:29]
	s_waitcnt vmcnt(0) lgkmcnt(0)
	v_cvt_f32_u32_e32 v28, v28
	s_or_b64 exec, exec, s[4:5]
                                        ; implicit-def: $vgpr29
	s_and_saveexec_b64 s[4:5], s[24:25]
	s_cbranch_execnz .LBB1818_162
.LBB1818_47:
	s_or_b64 exec, exec, s[4:5]
                                        ; implicit-def: $vgpr30
	s_and_saveexec_b64 s[4:5], s[26:27]
	s_cbranch_execz .LBB1818_49
.LBB1818_48:
	v_add_co_u32_e32 v30, vcc, v22, v31
	v_addc_co_u32_e32 v31, vcc, 0, v23, vcc
	flat_load_dword v30, v[30:31]
	s_waitcnt vmcnt(0) lgkmcnt(0)
	v_cvt_f32_u32_e32 v30, v30
.LBB1818_49:
	s_or_b64 exec, exec, s[4:5]
	v_mul_u32_u24_e32 v51, 14, v0
                                        ; implicit-def: $vgpr31
	s_and_saveexec_b64 s[4:5], s[28:29]
	s_cbranch_execz .LBB1818_51
; %bb.50:
	v_add_co_u32_e32 v40, vcc, v22, v32
	v_addc_co_u32_e32 v41, vcc, 0, v23, vcc
	flat_load_dword v31, v[40:41]
	s_waitcnt vmcnt(0) lgkmcnt(0)
	v_cvt_f32_u32_e32 v31, v31
.LBB1818_51:
	s_or_b64 exec, exec, s[4:5]
	ds_write2st64_b32 v33, v34, v35 offset1:4
	ds_write2st64_b32 v33, v36, v37 offset0:8 offset1:12
	ds_write2st64_b32 v33, v38, v1 offset0:16 offset1:20
	;; [unrolled: 1-line block ×6, first 2 shown]
	v_cmp_gt_u32_e32 vcc, s49, v51
	s_mov_b64 s[4:5], 0
	s_mov_b32 s48, 0
	v_mov_b32_e32 v1, 0
	v_mov_b32_e32 v26, 0
	s_mov_b64 s[10:11], 0
	v_mov_b32_e32 v40, 0
	v_mov_b32_e32 v30, 0
	;; [unrolled: 1-line block ×24, first 2 shown]
	s_waitcnt lgkmcnt(0)
	s_barrier
	s_waitcnt lgkmcnt(0)
                                        ; implicit-def: $sgpr8_sgpr9
                                        ; implicit-def: $vgpr20
	s_and_saveexec_b64 s[6:7], vcc
	s_cbranch_execz .LBB1818_79
; %bb.52:
	ds_read_b32 v20, v25
	v_or_b32_e32 v21, 1, v51
	v_cmp_ne_u32_e32 vcc, v10, v11
	v_mov_b32_e32 v10, s54
	v_cndmask_b32_e64 v1, 0, 1, vcc
	s_waitcnt lgkmcnt(0)
	v_cndmask_b32_e32 v30, v20, v10, vcc
	v_cmp_gt_u32_e32 vcc, s49, v21
	v_mov_b32_e32 v26, 0
	v_mov_b32_e32 v40, 0
	;; [unrolled: 1-line block ×24, first 2 shown]
                                        ; implicit-def: $sgpr12_sgpr13
                                        ; implicit-def: $vgpr20
	s_and_saveexec_b64 s[8:9], vcc
	s_cbranch_execz .LBB1818_78
; %bb.53:
	ds_read2_b32 v[20:21], v25 offset0:1 offset1:2
	v_add_u32_e32 v10, 2, v51
	v_cmp_ne_u32_e32 vcc, v11, v12
	v_mov_b32_e32 v11, s54
	v_cndmask_b32_e64 v34, 0, 1, vcc
	s_waitcnt lgkmcnt(0)
	v_cndmask_b32_e32 v28, v20, v11, vcc
	v_cmp_gt_u32_e32 vcc, s49, v10
	s_mov_b64 s[14:15], 0
	v_mov_b32_e32 v26, 0
	v_mov_b32_e32 v40, 0
	;; [unrolled: 1-line block ×22, first 2 shown]
                                        ; implicit-def: $sgpr12_sgpr13
                                        ; implicit-def: $vgpr20
	s_and_saveexec_b64 s[10:11], vcc
	s_cbranch_execz .LBB1818_77
; %bb.54:
	v_add_u32_e32 v10, 3, v51
	v_cmp_ne_u32_e32 vcc, v12, v13
	v_mov_b32_e32 v11, s54
	v_cndmask_b32_e64 v37, 0, 1, vcc
	v_cndmask_b32_e32 v29, v21, v11, vcc
	v_cmp_gt_u32_e32 vcc, s49, v10
	v_mov_b32_e32 v26, 0
	v_mov_b32_e32 v40, 0
	;; [unrolled: 1-line block ×20, first 2 shown]
                                        ; implicit-def: $sgpr16_sgpr17
                                        ; implicit-def: $vgpr20
	s_and_saveexec_b64 s[12:13], vcc
	s_cbranch_execz .LBB1818_76
; %bb.55:
	ds_read2_b32 v[10:11], v25 offset0:3 offset1:4
	v_add_u32_e32 v12, 4, v51
	v_cmp_ne_u32_e32 vcc, v13, v6
	v_mov_b32_e32 v13, s54
	v_cndmask_b32_e64 v42, 0, 1, vcc
	s_waitcnt lgkmcnt(0)
	v_cndmask_b32_e32 v31, v10, v13, vcc
	v_cmp_gt_u32_e32 vcc, s49, v12
	s_mov_b64 s[18:19], 0
	v_mov_b32_e32 v26, 0
	v_mov_b32_e32 v40, 0
	;; [unrolled: 1-line block ×18, first 2 shown]
                                        ; implicit-def: $sgpr16_sgpr17
                                        ; implicit-def: $vgpr20
	s_and_saveexec_b64 s[14:15], vcc
	s_cbranch_execz .LBB1818_75
; %bb.56:
	v_add_u32_e32 v10, 5, v51
	v_cmp_ne_u32_e32 vcc, v6, v7
	v_mov_b32_e32 v6, s54
	v_cndmask_b32_e64 v43, 0, 1, vcc
	v_cndmask_b32_e32 v27, v11, v6, vcc
	v_cmp_gt_u32_e32 vcc, s49, v10
	v_mov_b32_e32 v26, 0
	v_mov_b32_e32 v40, 0
	v_mov_b32_e32 v41, 0
	v_mov_b32_e32 v50, 0
	v_mov_b32_e32 v39, 0
	v_mov_b32_e32 v49, 0
	v_mov_b32_e32 v38, 0
	v_mov_b32_e32 v48, 0
	v_mov_b32_e32 v36, 0
	v_mov_b32_e32 v47, 0
	v_mov_b32_e32 v35, 0
	v_mov_b32_e32 v46, 0
	v_mov_b32_e32 v33, 0
	v_mov_b32_e32 v45, 0
	v_mov_b32_e32 v32, 0
	v_mov_b32_e32 v44, 0
                                        ; implicit-def: $sgpr20_sgpr21
                                        ; implicit-def: $vgpr20
	s_and_saveexec_b64 s[16:17], vcc
	s_cbranch_execz .LBB1818_74
; %bb.57:
	ds_read2_b32 v[10:11], v25 offset0:5 offset1:6
	v_add_u32_e32 v6, 6, v51
	v_cmp_ne_u32_e32 vcc, v7, v8
	v_mov_b32_e32 v7, s54
	v_cndmask_b32_e64 v44, 0, 1, vcc
	s_waitcnt lgkmcnt(0)
	v_cndmask_b32_e32 v32, v10, v7, vcc
	v_cmp_gt_u32_e32 vcc, s49, v6
	s_mov_b64 s[22:23], 0
	v_mov_b32_e32 v26, 0
	v_mov_b32_e32 v40, 0
	;; [unrolled: 1-line block ×14, first 2 shown]
                                        ; implicit-def: $sgpr20_sgpr21
                                        ; implicit-def: $vgpr20
	s_and_saveexec_b64 s[18:19], vcc
	s_cbranch_execz .LBB1818_73
; %bb.58:
	v_add_u32_e32 v6, 7, v51
	v_cmp_ne_u32_e32 vcc, v8, v9
	v_mov_b32_e32 v7, s54
	v_cndmask_b32_e64 v45, 0, 1, vcc
	v_cndmask_b32_e32 v33, v11, v7, vcc
	v_cmp_gt_u32_e32 vcc, s49, v6
	v_mov_b32_e32 v26, 0
	v_mov_b32_e32 v40, 0
	;; [unrolled: 1-line block ×12, first 2 shown]
                                        ; implicit-def: $sgpr24_sgpr25
                                        ; implicit-def: $vgpr20
	s_and_saveexec_b64 s[20:21], vcc
	s_cbranch_execz .LBB1818_72
; %bb.59:
	ds_read2_b32 v[6:7], v25 offset0:7 offset1:8
	v_add_u32_e32 v8, 8, v51
	v_cmp_ne_u32_e32 vcc, v9, v2
	v_mov_b32_e32 v9, s54
	v_cndmask_b32_e64 v46, 0, 1, vcc
	s_waitcnt lgkmcnt(0)
	v_cndmask_b32_e32 v35, v6, v9, vcc
	v_cmp_gt_u32_e32 vcc, s49, v8
	s_mov_b64 s[26:27], 0
	v_mov_b32_e32 v26, 0
	v_mov_b32_e32 v40, 0
	;; [unrolled: 1-line block ×10, first 2 shown]
                                        ; implicit-def: $sgpr24_sgpr25
                                        ; implicit-def: $vgpr20
	s_and_saveexec_b64 s[22:23], vcc
	s_cbranch_execz .LBB1818_71
; %bb.60:
	v_add_u32_e32 v6, 9, v51
	v_cmp_ne_u32_e32 vcc, v2, v3
	v_mov_b32_e32 v2, s54
	v_cndmask_b32_e64 v47, 0, 1, vcc
	v_cndmask_b32_e32 v36, v7, v2, vcc
	v_cmp_gt_u32_e32 vcc, s49, v6
	v_mov_b32_e32 v26, 0
	v_mov_b32_e32 v40, 0
	;; [unrolled: 1-line block ×8, first 2 shown]
                                        ; implicit-def: $sgpr28_sgpr29
                                        ; implicit-def: $vgpr20
	s_and_saveexec_b64 s[24:25], vcc
	s_cbranch_execz .LBB1818_70
; %bb.61:
	ds_read2_b32 v[6:7], v25 offset0:9 offset1:10
	v_add_u32_e32 v2, 10, v51
	v_cmp_ne_u32_e32 vcc, v3, v4
	v_mov_b32_e32 v3, s54
	v_cndmask_b32_e64 v48, 0, 1, vcc
	s_waitcnt lgkmcnt(0)
	v_cndmask_b32_e32 v38, v6, v3, vcc
	v_cmp_gt_u32_e32 vcc, s49, v2
	s_mov_b64 s[30:31], 0
	v_mov_b32_e32 v26, 0
	v_mov_b32_e32 v40, 0
	;; [unrolled: 1-line block ×6, first 2 shown]
                                        ; implicit-def: $sgpr28_sgpr29
                                        ; implicit-def: $vgpr20
	s_and_saveexec_b64 s[26:27], vcc
	s_cbranch_execz .LBB1818_69
; %bb.62:
	v_add_u32_e32 v2, 11, v51
	v_cmp_ne_u32_e32 vcc, v4, v5
	v_mov_b32_e32 v3, s54
	v_cndmask_b32_e64 v49, 0, 1, vcc
	v_cndmask_b32_e32 v39, v7, v3, vcc
	v_cmp_gt_u32_e32 vcc, s49, v2
	v_mov_b32_e32 v26, 0
	v_mov_b32_e32 v40, 0
	;; [unrolled: 1-line block ×4, first 2 shown]
                                        ; implicit-def: $sgpr36_sgpr37
                                        ; implicit-def: $vgpr20
	s_and_saveexec_b64 s[28:29], vcc
	s_cbranch_execz .LBB1818_68
; %bb.63:
	ds_read2_b32 v[2:3], v25 offset0:11 offset1:12
	v_add_u32_e32 v4, 12, v51
	v_cmp_ne_u32_e32 vcc, v5, v18
	v_mov_b32_e32 v5, s54
	v_cndmask_b32_e64 v50, 0, 1, vcc
	s_waitcnt lgkmcnt(0)
	v_cndmask_b32_e32 v41, v2, v5, vcc
	v_cmp_gt_u32_e32 vcc, s49, v4
	s_mov_b64 s[38:39], 0
	v_mov_b32_e32 v26, 0
	v_mov_b32_e32 v40, 0
                                        ; implicit-def: $sgpr40_sgpr41
                                        ; implicit-def: $vgpr20
	s_and_saveexec_b64 s[30:31], vcc
	s_cbranch_execz .LBB1818_67
; %bb.64:
	v_add_u32_e32 v2, 13, v51
	v_cmp_ne_u32_e32 vcc, v18, v19
	v_mov_b32_e32 v4, s54
	v_cndmask_b32_e64 v40, 0, 1, vcc
	v_cndmask_b32_e32 v26, v3, v4, vcc
	v_cmp_gt_u32_e32 vcc, s49, v2
	s_mov_b64 s[36:37], 0
                                        ; implicit-def: $sgpr38_sgpr39
                                        ; implicit-def: $vgpr20
	s_and_saveexec_b64 s[40:41], vcc
	s_xor_b64 s[40:41], exec, s[40:41]
	s_cbranch_execz .LBB1818_66
; %bb.65:
	ds_read_b32 v2, v25 offset:52
	v_mov_b32_e32 v3, s54
	s_waitcnt vmcnt(0)
	v_cmp_ne_u32_e32 vcc, v19, v24
	s_mov_b64 s[36:37], exec
	s_and_b64 s[38:39], vcc, exec
	s_waitcnt lgkmcnt(0)
	v_cndmask_b32_e32 v20, v2, v3, vcc
.LBB1818_66:
	s_or_b64 exec, exec, s[40:41]
	s_and_b64 s[40:41], s[38:39], exec
	s_and_b64 s[38:39], s[36:37], exec
.LBB1818_67:
	s_or_b64 exec, exec, s[30:31]
	s_and_b64 s[36:37], s[40:41], exec
	s_and_b64 s[30:31], s[38:39], exec
.LBB1818_68:
	s_or_b64 exec, exec, s[28:29]
	s_and_b64 s[28:29], s[36:37], exec
	s_and_b64 s[30:31], s[30:31], exec
.LBB1818_69:
	s_or_b64 exec, exec, s[26:27]
	s_and_b64 s[28:29], s[28:29], exec
	s_and_b64 s[26:27], s[30:31], exec
.LBB1818_70:
	s_or_b64 exec, exec, s[24:25]
	s_and_b64 s[24:25], s[28:29], exec
	s_and_b64 s[26:27], s[26:27], exec
.LBB1818_71:
	s_or_b64 exec, exec, s[22:23]
	s_and_b64 s[24:25], s[24:25], exec
	s_and_b64 s[22:23], s[26:27], exec
.LBB1818_72:
	s_or_b64 exec, exec, s[20:21]
	s_and_b64 s[20:21], s[24:25], exec
	s_and_b64 s[22:23], s[22:23], exec
.LBB1818_73:
	s_or_b64 exec, exec, s[18:19]
	s_and_b64 s[20:21], s[20:21], exec
	s_and_b64 s[18:19], s[22:23], exec
.LBB1818_74:
	s_or_b64 exec, exec, s[16:17]
	s_and_b64 s[16:17], s[20:21], exec
	s_and_b64 s[18:19], s[18:19], exec
.LBB1818_75:
	s_or_b64 exec, exec, s[14:15]
	s_and_b64 s[16:17], s[16:17], exec
	s_and_b64 s[14:15], s[18:19], exec
.LBB1818_76:
	s_or_b64 exec, exec, s[12:13]
	s_and_b64 s[12:13], s[16:17], exec
	s_and_b64 s[14:15], s[14:15], exec
.LBB1818_77:
	s_or_b64 exec, exec, s[10:11]
	s_and_b64 s[12:13], s[12:13], exec
	s_and_b64 s[10:11], s[14:15], exec
.LBB1818_78:
	s_or_b64 exec, exec, s[8:9]
	s_and_b64 s[8:9], s[12:13], exec
	s_and_b64 s[10:11], s[10:11], exec
.LBB1818_79:
	s_or_b64 exec, exec, s[6:7]
	s_mov_b32 s6, 0
	s_and_b64 vcc, exec, s[4:5]
	v_lshlrev_b32_e32 v51, 2, v0
	s_cbranch_vccnz .LBB1818_81
	s_branch .LBB1818_86
.LBB1818_80:
	s_mov_b64 s[10:11], 0
                                        ; implicit-def: $sgpr8_sgpr9
                                        ; implicit-def: $vgpr20
                                        ; implicit-def: $vgpr1
                                        ; implicit-def: $vgpr26
                                        ; implicit-def: $vgpr40
                                        ; implicit-def: $vgpr30
                                        ; implicit-def: $vgpr41
                                        ; implicit-def: $vgpr50
                                        ; implicit-def: $vgpr34
                                        ; implicit-def: $vgpr39
                                        ; implicit-def: $vgpr49
                                        ; implicit-def: $vgpr28
                                        ; implicit-def: $vgpr38
                                        ; implicit-def: $vgpr48
                                        ; implicit-def: $vgpr37
                                        ; implicit-def: $vgpr36
                                        ; implicit-def: $vgpr47
                                        ; implicit-def: $vgpr29
                                        ; implicit-def: $vgpr35
                                        ; implicit-def: $vgpr46
                                        ; implicit-def: $vgpr42
                                        ; implicit-def: $vgpr33
                                        ; implicit-def: $vgpr45
                                        ; implicit-def: $vgpr31
                                        ; implicit-def: $vgpr32
                                        ; implicit-def: $vgpr44
                                        ; implicit-def: $vgpr43
                                        ; implicit-def: $vgpr27
                                        ; implicit-def: $sgpr6
                                        ; implicit-def: $sgpr48
	s_and_b64 vcc, exec, s[4:5]
	v_lshlrev_b32_e32 v51, 2, v0
	s_cbranch_vccz .LBB1818_86
.LBB1818_81:
	v_add_co_u32_e32 v2, vcc, v14, v51
	v_addc_co_u32_e32 v3, vcc, 0, v15, vcc
	v_add_co_u32_e32 v4, vcc, 0x1000, v2
	v_addc_co_u32_e32 v5, vcc, 0, v3, vcc
	flat_load_dword v1, v[2:3]
	flat_load_dword v6, v[2:3] offset:1024
	flat_load_dword v7, v[2:3] offset:2048
	;; [unrolled: 1-line block ×3, first 2 shown]
	flat_load_dword v9, v[4:5]
	flat_load_dword v10, v[4:5] offset:1024
	flat_load_dword v11, v[4:5] offset:2048
	;; [unrolled: 1-line block ×3, first 2 shown]
	v_add_co_u32_e32 v4, vcc, 0x2000, v2
	v_addc_co_u32_e32 v5, vcc, 0, v3, vcc
	v_add_co_u32_e32 v2, vcc, 0x3000, v2
	v_addc_co_u32_e32 v3, vcc, 0, v3, vcc
	flat_load_dword v13, v[4:5]
	flat_load_dword v18, v[4:5] offset:1024
	flat_load_dword v19, v[4:5] offset:2048
	;; [unrolled: 1-line block ×3, first 2 shown]
	flat_load_dword v21, v[2:3]
	s_waitcnt vmcnt(0)
	flat_load_dword v24, v[2:3] offset:1024
	v_add_co_u32_e32 v2, vcc, 0x3000, v14
	v_addc_co_u32_e32 v3, vcc, 0, v15, vcc
	s_movk_i32 s4, 0xffcc
	s_movk_i32 s8, 0x1000
	;; [unrolled: 1-line block ×4, first 2 shown]
	s_waitcnt lgkmcnt(0)
	ds_write2st64_b32 v51, v1, v6 offset1:4
	ds_write2st64_b32 v51, v7, v8 offset0:8 offset1:12
	ds_write2st64_b32 v51, v9, v10 offset0:16 offset1:20
	;; [unrolled: 1-line block ×5, first 2 shown]
	s_waitcnt vmcnt(0)
	ds_write2st64_b32 v51, v21, v24 offset0:48 offset1:52
	s_waitcnt lgkmcnt(0)
	s_barrier
	flat_load_dword v52, v[2:3] offset:2048
	v_mad_u32_u24 v1, v0, 52, v51
	ds_read2_b64 v[10:13], v1 offset1:1
	ds_read2_b64 v[6:9], v1 offset0:2 offset1:3
	ds_read2_b64 v[2:5], v1 offset0:4 offset1:5
	ds_read_b64 v[14:15], v1 offset:48
	v_mad_i32_i24 v18, v0, s4, v1
	s_movk_i32 s4, 0xff
	v_cmp_ne_u32_e32 vcc, s4, v0
	s_waitcnt lgkmcnt(0)
	ds_write_b32 v18, v10 offset:15360
	s_waitcnt lgkmcnt(0)
	s_barrier
	s_and_saveexec_b64 s[4:5], vcc
	s_cbranch_execz .LBB1818_83
; %bb.82:
	s_waitcnt vmcnt(0)
	ds_read_b32 v52, v51 offset:15364
.LBB1818_83:
	s_or_b64 exec, exec, s[4:5]
	v_add_co_u32_e32 v18, vcc, v22, v51
	v_addc_co_u32_e32 v19, vcc, 0, v23, vcc
	v_add_co_u32_e32 v20, vcc, s8, v18
	v_addc_co_u32_e32 v21, vcc, 0, v19, vcc
	s_waitcnt lgkmcnt(0)
	s_barrier
	flat_load_dword v22, v[18:19]
	flat_load_dword v23, v[18:19] offset:1024
	flat_load_dword v24, v[18:19] offset:2048
	;; [unrolled: 1-line block ×3, first 2 shown]
	flat_load_dword v26, v[20:21]
	flat_load_dword v27, v[20:21] offset:1024
	flat_load_dword v28, v[20:21] offset:2048
	;; [unrolled: 1-line block ×3, first 2 shown]
	v_add_co_u32_e32 v20, vcc, s7, v18
	v_addc_co_u32_e32 v21, vcc, 0, v19, vcc
	v_add_co_u32_e32 v18, vcc, s6, v18
	v_addc_co_u32_e32 v19, vcc, 0, v19, vcc
	flat_load_dword v30, v[20:21]
	flat_load_dword v31, v[20:21] offset:1024
	flat_load_dword v32, v[20:21] offset:2048
	;; [unrolled: 1-line block ×3, first 2 shown]
	flat_load_dword v34, v[18:19]
	flat_load_dword v35, v[18:19] offset:1024
	v_cmp_ne_u32_e32 vcc, v10, v11
	v_cmp_eq_u32_e64 s[4:5], v10, v11
	s_waitcnt vmcnt(0) lgkmcnt(0)
	v_cvt_f32_u32_e32 v18, v22
	v_cvt_f32_u32_e32 v19, v23
	;; [unrolled: 1-line block ×14, first 2 shown]
	ds_write2st64_b32 v51, v18, v19 offset1:4
	ds_write2st64_b32 v51, v20, v21 offset0:8 offset1:12
	ds_write2st64_b32 v51, v22, v23 offset0:16 offset1:20
	ds_write2st64_b32 v51, v24, v25 offset0:24 offset1:28
	ds_write2st64_b32 v51, v26, v27 offset0:32 offset1:36
	ds_write2st64_b32 v51, v28, v29 offset0:40 offset1:44
	ds_write2st64_b32 v51, v30, v31 offset0:48 offset1:52
	s_waitcnt lgkmcnt(0)
	s_barrier
	ds_read2_b32 v[28:29], v1 offset0:1 offset1:2
	ds_read2_b32 v[26:27], v1 offset0:3 offset1:4
	;; [unrolled: 1-line block ×6, first 2 shown]
	ds_read_b32 v53, v1 offset:52
	v_mov_b32_e32 v30, s54
	s_and_saveexec_b64 s[6:7], s[4:5]
	s_cbranch_execz .LBB1818_85
; %bb.84:
	ds_read_b32 v30, v1
.LBB1818_85:
	s_or_b64 exec, exec, s[6:7]
	v_cmp_ne_u32_e64 s[8:9], v6, v7
	v_cmp_ne_u32_e64 s[14:15], v9, v2
	;; [unrolled: 1-line block ×3, first 2 shown]
	v_mov_b32_e32 v2, s54
	v_cndmask_b32_e64 v1, 0, 1, vcc
	v_cmp_ne_u32_e32 vcc, v11, v12
	v_cmp_ne_u32_e64 s[4:5], v12, v13
	v_cmp_ne_u32_e64 s[6:7], v13, v6
	v_cndmask_b32_e64 v43, 0, 1, s[8:9]
	v_cmp_ne_u32_e64 s[10:11], v7, v8
	v_cmp_ne_u32_e64 s[12:13], v8, v9
	;; [unrolled: 1-line block ×6, first 2 shown]
	s_waitcnt lgkmcnt(5)
	v_cndmask_b32_e64 v27, v27, v2, s[8:9]
	v_cmp_ne_u32_e64 s[8:9], v15, v52
	v_cndmask_b32_e64 v34, 0, 1, vcc
	v_cndmask_b32_e64 v37, 0, 1, s[4:5]
	v_cndmask_b32_e64 v42, 0, 1, s[6:7]
	;; [unrolled: 1-line block ×10, first 2 shown]
	v_cndmask_b32_e32 v28, v28, v2, vcc
	v_cndmask_b32_e64 v29, v29, v2, s[4:5]
	v_cndmask_b32_e64 v31, v26, v2, s[6:7]
	s_waitcnt lgkmcnt(4)
	v_cndmask_b32_e64 v32, v24, v2, s[10:11]
	v_cndmask_b32_e64 v33, v25, v2, s[12:13]
	s_waitcnt lgkmcnt(3)
	;; [unrolled: 3-line block ×5, first 2 shown]
	v_cndmask_b32_e64 v20, v53, v2, s[8:9]
	s_mov_b64 s[10:11], -1
                                        ; implicit-def: $sgpr6
                                        ; implicit-def: $sgpr48
.LBB1818_86:
	v_mov_b32_e32 v14, s48
	v_mov_b32_e32 v15, s6
	s_and_saveexec_b64 s[4:5], s[10:11]
; %bb.87:
	v_cndmask_b32_e64 v14, 0, 1, s[8:9]
	v_mov_b32_e32 v15, v20
; %bb.88:
	s_or_b64 exec, exec, s[4:5]
	v_or_b32_e32 v2, v14, v40
	s_cmp_lg_u32 s47, 0
	v_add_f32_e32 v54, v28, v30
	v_or_b32_e32 v53, v2, v50
	v_mbcnt_lo_u32_b32 v52, -1, 0
	s_barrier
	s_cbranch_scc0 .LBB1818_163
; %bb.89:
	v_mov_b32_e32 v2, 0
	v_cmp_eq_u16_sdwa s[4:5], v34, v2 src0_sel:BYTE_0 src1_sel:DWORD
	v_cndmask_b32_e64 v3, v28, v54, s[4:5]
	v_add_f32_e32 v3, v29, v3
	v_cmp_eq_u16_sdwa s[6:7], v37, v2 src0_sel:BYTE_0 src1_sel:DWORD
	v_cndmask_b32_e64 v3, v29, v3, s[6:7]
	v_add_f32_e32 v3, v31, v3
	;; [unrolled: 3-line block ×7, first 2 shown]
	v_cmp_eq_u16_sdwa s[18:19], v47, v2 src0_sel:BYTE_0 src1_sel:DWORD
	v_cmp_eq_u16_sdwa s[20:21], v48, v2 src0_sel:BYTE_0 src1_sel:DWORD
	;; [unrolled: 1-line block ×5, first 2 shown]
	v_cmp_eq_u16_sdwa vcc, v14, v2 src0_sel:BYTE_0 src1_sel:DWORD
	v_or_b32_e32 v2, v53, v49
	v_cndmask_b32_e64 v3, v36, v3, s[18:19]
	v_or_b32_e32 v2, v2, v48
	v_add_f32_e32 v3, v38, v3
	v_or_b32_e32 v2, v2, v47
	v_cndmask_b32_e64 v3, v38, v3, s[20:21]
	v_or_b32_e32 v2, v2, v46
	v_add_f32_e32 v3, v39, v3
	;; [unrolled: 4-line block ×5, first 2 shown]
	v_and_b32_e32 v2, 1, v2
	v_and_b32_e32 v5, 0xff, v1
	v_cndmask_b32_e32 v4, v15, v3, vcc
	v_cmp_eq_u32_e32 vcc, 1, v2
	v_mbcnt_hi_u32_b32 v11, -1, v52
	v_cndmask_b32_e64 v5, v5, 1, vcc
	v_and_b32_e32 v2, 15, v11
	v_mov_b32_dpp v6, v4 row_shr:1 row_mask:0xf bank_mask:0xf
	v_mov_b32_dpp v3, v5 row_shr:1 row_mask:0xf bank_mask:0xf
	v_cmp_ne_u32_e32 vcc, 0, v2
	s_and_saveexec_b64 s[28:29], vcc
; %bb.90:
	v_add_f32_e32 v6, v4, v6
	v_cmp_eq_u32_e32 vcc, 0, v5
	v_and_b32_e32 v5, 1, v5
	v_cndmask_b32_e32 v4, v4, v6, vcc
	v_and_b32_e32 v3, 1, v3
	v_cmp_eq_u32_e32 vcc, 1, v5
	v_cndmask_b32_e64 v5, v3, 1, vcc
; %bb.91:
	s_or_b64 exec, exec, s[28:29]
	v_mov_b32_dpp v6, v4 row_shr:2 row_mask:0xf bank_mask:0xf
	v_mov_b32_dpp v3, v5 row_shr:2 row_mask:0xf bank_mask:0xf
	v_cmp_lt_u32_e32 vcc, 1, v2
	s_and_saveexec_b64 s[28:29], vcc
; %bb.92:
	v_add_f32_e32 v6, v4, v6
	v_cmp_eq_u32_e32 vcc, 0, v5
	v_and_b32_e32 v5, 1, v5
	v_cndmask_b32_e32 v4, v4, v6, vcc
	v_and_b32_e32 v3, 1, v3
	v_cmp_eq_u32_e32 vcc, 1, v5
	v_cndmask_b32_e64 v5, v3, 1, vcc
; %bb.93:
	s_or_b64 exec, exec, s[28:29]
	v_mov_b32_dpp v6, v4 row_shr:4 row_mask:0xf bank_mask:0xf
	v_mov_b32_dpp v3, v5 row_shr:4 row_mask:0xf bank_mask:0xf
	v_cmp_lt_u32_e32 vcc, 3, v2
	;; [unrolled: 14-line block ×3, first 2 shown]
	s_and_saveexec_b64 s[28:29], vcc
; %bb.96:
	v_add_f32_e32 v2, v4, v6
	v_cmp_eq_u32_e32 vcc, 0, v5
	v_cndmask_b32_e32 v4, v4, v2, vcc
	v_and_b32_e32 v2, 1, v5
	v_and_b32_e32 v3, 1, v3
	v_cmp_eq_u32_e32 vcc, 1, v2
	v_cndmask_b32_e64 v5, v3, 1, vcc
; %bb.97:
	s_or_b64 exec, exec, s[28:29]
	v_and_b32_e32 v6, 16, v11
	v_mov_b32_dpp v3, v4 row_bcast:15 row_mask:0xf bank_mask:0xf
	v_mov_b32_dpp v2, v5 row_bcast:15 row_mask:0xf bank_mask:0xf
	v_cmp_ne_u32_e32 vcc, 0, v6
	s_and_saveexec_b64 s[28:29], vcc
; %bb.98:
	v_add_f32_e32 v3, v4, v3
	v_cmp_eq_u32_e32 vcc, 0, v5
	v_cndmask_b32_e32 v4, v4, v3, vcc
	v_and_b32_e32 v3, 1, v5
	v_and_b32_e32 v2, 1, v2
	v_cmp_eq_u32_e32 vcc, 1, v3
	v_cndmask_b32_e64 v5, v2, 1, vcc
; %bb.99:
	s_or_b64 exec, exec, s[28:29]
	v_mov_b32_dpp v3, v4 row_bcast:31 row_mask:0xf bank_mask:0xf
	v_mov_b32_dpp v2, v5 row_bcast:31 row_mask:0xf bank_mask:0xf
	v_cmp_lt_u32_e32 vcc, 31, v11
	s_and_saveexec_b64 s[28:29], vcc
; %bb.100:
	v_add_f32_e32 v3, v4, v3
	v_cmp_eq_u32_e32 vcc, 0, v5
	v_cndmask_b32_e32 v4, v4, v3, vcc
	v_and_b32_e32 v3, 1, v5
	v_and_b32_e32 v2, 1, v2
	v_cmp_eq_u32_e32 vcc, 1, v3
	v_cndmask_b32_e64 v5, v2, 1, vcc
; %bb.101:
	s_or_b64 exec, exec, s[28:29]
	v_or_b32_e32 v2, 63, v0
	v_lshrrev_b32_e32 v6, 6, v0
	v_cmp_eq_u32_e32 vcc, v2, v0
	s_and_saveexec_b64 s[28:29], vcc
	s_cbranch_execz .LBB1818_103
; %bb.102:
	v_lshlrev_b32_e32 v2, 3, v6
	ds_write_b32 v2, v4
	ds_write_b8 v2, v5 offset:4
.LBB1818_103:
	s_or_b64 exec, exec, s[28:29]
	v_cmp_gt_u32_e32 vcc, 4, v0
	s_waitcnt lgkmcnt(0)
	s_barrier
	s_and_saveexec_b64 s[28:29], vcc
	s_cbranch_execz .LBB1818_107
; %bb.104:
	v_lshlrev_b32_e32 v7, 3, v0
	ds_read_b64 v[2:3], v7
	v_and_b32_e32 v8, 3, v11
	v_cmp_ne_u32_e32 vcc, 0, v8
	s_waitcnt lgkmcnt(0)
	v_mov_b32_dpp v12, v2 row_shr:1 row_mask:0xf bank_mask:0xf
	v_mov_b32_dpp v10, v3 row_shr:1 row_mask:0xf bank_mask:0xf
	v_mov_b32_e32 v9, v3
	s_and_saveexec_b64 s[30:31], vcc
; %bb.105:
	v_mov_b32_e32 v9, 0
	v_add_f32_e32 v12, v2, v12
	v_cmp_eq_u16_sdwa vcc, v3, v9 src0_sel:BYTE_0 src1_sel:DWORD
	v_and_b32_e32 v9, 1, v3
	v_cndmask_b32_e32 v2, v2, v12, vcc
	v_and_b32_e32 v10, 1, v10
	v_cmp_eq_u32_e32 vcc, 1, v9
	v_cndmask_b32_e64 v9, v10, 1, vcc
	s_movk_i32 s36, 0xff00
	v_and_or_b32 v3, v3, s36, v9
; %bb.106:
	s_or_b64 exec, exec, s[30:31]
	v_mov_b32_e32 v13, 0
	v_mov_b32_dpp v12, v3 row_shr:2 row_mask:0xf bank_mask:0xf
	v_cmp_eq_u16_sdwa s[30:31], v9, v13 src0_sel:BYTE_0 src1_sel:DWORD
	v_and_b32_e32 v9, 1, v9
	v_and_b32_e32 v12, 1, v12
	v_cmp_eq_u32_e32 vcc, 1, v9
	v_mov_b32_dpp v10, v2 row_shr:2 row_mask:0xf bank_mask:0xf
	v_cndmask_b32_e64 v9, v12, 1, vcc
	v_cmp_lt_u32_e32 vcc, 1, v8
	v_add_f32_e32 v10, v2, v10
	v_cndmask_b32_e32 v3, v3, v9, vcc
	s_and_b64 vcc, vcc, s[30:31]
	v_cndmask_b32_e32 v2, v2, v10, vcc
	ds_write_b32 v7, v2
	ds_write_b8 v7, v3 offset:4
.LBB1818_107:
	s_or_b64 exec, exec, s[28:29]
	v_cmp_gt_u32_e32 vcc, 64, v0
	v_cmp_lt_u32_e64 s[28:29], 63, v0
	v_mov_b32_e32 v18, 0
	v_mov_b32_e32 v19, 0
	s_waitcnt lgkmcnt(0)
	s_barrier
	s_and_saveexec_b64 s[30:31], s[28:29]
	s_cbranch_execz .LBB1818_109
; %bb.108:
	v_lshl_add_u32 v2, v6, 3, -8
	ds_read_b32 v18, v2
	ds_read_u8 v19, v2 offset:4
	v_and_b32_e32 v2, 1, v5
	v_cmp_eq_u32_e64 s[28:29], 0, v5
	s_waitcnt lgkmcnt(0)
	v_add_f32_e32 v3, v4, v18
	v_and_b32_e32 v6, 1, v19
	v_cndmask_b32_e64 v4, v4, v3, s[28:29]
	v_cmp_eq_u32_e64 s[28:29], 1, v2
	v_cndmask_b32_e64 v5, v6, 1, s[28:29]
.LBB1818_109:
	s_or_b64 exec, exec, s[30:31]
	v_add_u32_e32 v2, -1, v11
	v_and_b32_e32 v3, 64, v11
	v_cmp_lt_i32_e64 s[28:29], v2, v3
	v_cndmask_b32_e64 v2, v2, v11, s[28:29]
	v_lshlrev_b32_e32 v2, 2, v2
	ds_bpermute_b32 v20, v2, v4
	ds_bpermute_b32 v21, v2, v5
	v_cmp_eq_u32_e64 s[28:29], 0, v11
	s_and_saveexec_b64 s[30:31], vcc
	s_cbranch_execz .LBB1818_150
; %bb.110:
	v_mov_b32_e32 v5, 0
	ds_read_b64 v[2:3], v5 offset:24
	s_waitcnt lgkmcnt(0)
	v_readfirstlane_b32 s40, v3
	s_and_saveexec_b64 s[36:37], s[28:29]
	s_cbranch_execz .LBB1818_112
; %bb.111:
	s_add_i32 s38, s47, 64
	s_mov_b32 s39, 0
	s_lshl_b64 s[48:49], s[38:39], 4
	s_add_u32 s48, s44, s48
	s_addc_u32 s49, s45, s49
	s_and_b32 s57, s40, 0xff000000
	s_mov_b32 s56, s39
	s_and_b32 s59, s40, 0xff0000
	s_mov_b32 s58, s39
	s_or_b64 s[56:57], s[58:59], s[56:57]
	s_and_b32 s59, s40, 0xff00
	s_or_b64 s[56:57], s[56:57], s[58:59]
	s_and_b32 s59, s40, 0xff
	s_or_b64 s[38:39], s[56:57], s[58:59]
	v_mov_b32_e32 v3, s39
	v_mov_b32_e32 v4, 1
	v_pk_mov_b32 v[6:7], s[48:49], s[48:49] op_sel:[0,1]
	;;#ASMSTART
	global_store_dwordx4 v[6:7], v[2:5] off	
s_waitcnt vmcnt(0)
	;;#ASMEND
.LBB1818_112:
	s_or_b64 exec, exec, s[36:37]
	v_xad_u32 v10, v11, -1, s47
	v_add_u32_e32 v4, 64, v10
	v_lshlrev_b64 v[6:7], 4, v[4:5]
	v_mov_b32_e32 v3, s45
	v_add_co_u32_e32 v12, vcc, s44, v6
	v_addc_co_u32_e32 v13, vcc, v3, v7, vcc
	;;#ASMSTART
	global_load_dwordx4 v[6:9], v[12:13] off glc	
s_waitcnt vmcnt(0)
	;;#ASMEND
	v_cmp_eq_u16_sdwa s[38:39], v8, v5 src0_sel:BYTE_0 src1_sel:DWORD
	s_and_saveexec_b64 s[36:37], s[38:39]
	s_cbranch_execz .LBB1818_116
; %bb.113:
	s_mov_b64 s[38:39], 0
	v_mov_b32_e32 v3, 0
.LBB1818_114:                           ; =>This Inner Loop Header: Depth=1
	;;#ASMSTART
	global_load_dwordx4 v[6:9], v[12:13] off glc	
s_waitcnt vmcnt(0)
	;;#ASMEND
	v_cmp_ne_u16_sdwa s[48:49], v8, v3 src0_sel:BYTE_0 src1_sel:DWORD
	s_or_b64 s[38:39], s[48:49], s[38:39]
	s_andn2_b64 exec, exec, s[38:39]
	s_cbranch_execnz .LBB1818_114
; %bb.115:
	s_or_b64 exec, exec, s[38:39]
.LBB1818_116:
	s_or_b64 exec, exec, s[36:37]
	v_mov_b32_e32 v3, 2
	v_cmp_eq_u16_sdwa s[36:37], v8, v3 src0_sel:BYTE_0 src1_sel:DWORD
	v_lshlrev_b64 v[4:5], v11, -1
	v_and_b32_e32 v3, s37, v5
	v_or_b32_e32 v3, 0x80000000, v3
	s_waitcnt vmcnt(0)
	v_ffbl_b32_e32 v24, v3
	v_and_b32_e32 v3, 63, v11
	v_cmp_ne_u32_e32 vcc, 63, v3
	v_addc_co_u32_e32 v13, vcc, 0, v11, vcc
	v_and_b32_e32 v12, 0xff, v7
	v_lshlrev_b32_e32 v22, 2, v13
	ds_bpermute_b32 v23, v22, v6
	ds_bpermute_b32 v13, v22, v12
	v_and_b32_e32 v9, s36, v4
	v_add_u32_e32 v24, 32, v24
	v_ffbl_b32_e32 v9, v9
	v_min_u32_e32 v9, v9, v24
	v_cmp_lt_u32_e32 vcc, v3, v9
	s_and_saveexec_b64 s[36:37], vcc
	s_cbranch_execz .LBB1818_118
; %bb.117:
	v_mov_b32_e32 v12, 0
	s_waitcnt lgkmcnt(1)
	v_add_f32_e32 v23, v6, v23
	v_cmp_eq_u16_sdwa vcc, v7, v12 src0_sel:BYTE_0 src1_sel:DWORD
	v_and_b32_e32 v7, 1, v7
	v_cndmask_b32_e32 v6, v6, v23, vcc
	s_waitcnt lgkmcnt(0)
	v_and_b32_e32 v12, 1, v13
	v_cmp_eq_u32_e32 vcc, 1, v7
	v_cndmask_b32_e64 v7, v12, 1, vcc
	v_and_b32_e32 v12, 0xffff, v7
.LBB1818_118:
	s_or_b64 exec, exec, s[36:37]
	v_cmp_gt_u32_e32 vcc, 62, v3
	s_waitcnt lgkmcnt(0)
	v_cndmask_b32_e64 v13, 0, 1, vcc
	v_lshlrev_b32_e32 v13, 1, v13
	v_add_lshl_u32 v23, v13, v11, 2
	ds_bpermute_b32 v25, v23, v6
	ds_bpermute_b32 v13, v23, v12
	v_add_u32_e32 v24, 2, v3
	v_cmp_le_u32_e32 vcc, v24, v9
	s_and_saveexec_b64 s[36:37], vcc
	s_cbranch_execz .LBB1818_120
; %bb.119:
	v_mov_b32_e32 v12, 0
	s_waitcnt lgkmcnt(1)
	v_add_f32_e32 v25, v6, v25
	v_cmp_eq_u16_sdwa vcc, v7, v12 src0_sel:BYTE_0 src1_sel:DWORD
	v_and_b32_e32 v7, 1, v7
	v_cndmask_b32_e32 v6, v6, v25, vcc
	s_waitcnt lgkmcnt(0)
	v_and_b32_e32 v12, 1, v13
	v_cmp_eq_u32_e32 vcc, 1, v7
	v_cndmask_b32_e64 v7, v12, 1, vcc
	v_and_b32_e32 v12, 0xffff, v7
.LBB1818_120:
	s_or_b64 exec, exec, s[36:37]
	v_cmp_gt_u32_e32 vcc, 60, v3
	s_waitcnt lgkmcnt(0)
	v_cndmask_b32_e64 v13, 0, 1, vcc
	v_lshlrev_b32_e32 v13, 2, v13
	v_add_lshl_u32 v25, v13, v11, 2
	ds_bpermute_b32 v56, v25, v6
	ds_bpermute_b32 v13, v25, v12
	v_add_u32_e32 v55, 4, v3
	v_cmp_le_u32_e32 vcc, v55, v9
	;; [unrolled: 25-line block ×5, first 2 shown]
	s_and_saveexec_b64 s[36:37], vcc
	s_cbranch_execz .LBB1818_128
; %bb.127:
	v_mov_b32_e32 v9, 0
	s_waitcnt lgkmcnt(1)
	v_add_f32_e32 v12, v6, v13
	v_cmp_eq_u16_sdwa vcc, v7, v9 src0_sel:BYTE_0 src1_sel:DWORD
	v_and_b32_e32 v7, 1, v7
	v_cndmask_b32_e32 v6, v6, v12, vcc
	s_waitcnt lgkmcnt(0)
	v_and_b32_e32 v9, 1, v11
	v_cmp_eq_u32_e32 vcc, 1, v7
	v_cndmask_b32_e64 v7, v9, 1, vcc
.LBB1818_128:
	s_or_b64 exec, exec, s[36:37]
	s_waitcnt lgkmcnt(0)
	v_mov_b32_e32 v11, 0
	v_mov_b32_e32 v64, 2
	s_branch .LBB1818_130
.LBB1818_129:                           ;   in Loop: Header=BB1818_130 Depth=1
	s_or_b64 exec, exec, s[36:37]
	s_waitcnt lgkmcnt(0)
	ds_bpermute_b32 v13, v61, v6
	ds_bpermute_b32 v12, v61, v12
	v_and_b32_e32 v65, 1, v7
	v_cmp_eq_u16_sdwa vcc, v7, v11 src0_sel:BYTE_0 src1_sel:DWORD
	v_subrev_u32_e32 v10, 64, v10
	s_waitcnt lgkmcnt(1)
	v_add_f32_e32 v13, v6, v13
	v_cndmask_b32_e32 v13, v6, v13, vcc
	v_cmp_eq_u32_e32 vcc, 1, v65
	s_waitcnt lgkmcnt(0)
	v_cndmask_b32_e64 v12, v12, 1, vcc
	v_cmp_gt_u32_e32 vcc, v63, v9
	v_cndmask_b32_e32 v6, v13, v6, vcc
	v_cndmask_b32_e32 v7, v12, v7, vcc
	v_add_f32_e32 v6, v62, v6
	v_cmp_eq_u16_sdwa vcc, v60, v11 src0_sel:BYTE_0 src1_sel:DWORD
	v_and_b32_e32 v9, 1, v60
	v_cndmask_b32_e32 v6, v62, v6, vcc
	v_and_b32_e32 v7, 1, v7
	v_cmp_eq_u32_e32 vcc, 1, v9
	v_cndmask_b32_e64 v7, v7, 1, vcc
.LBB1818_130:                           ; =>This Loop Header: Depth=1
                                        ;     Child Loop BB1818_133 Depth 2
	v_cmp_ne_u16_sdwa s[36:37], v8, v64 src0_sel:BYTE_0 src1_sel:DWORD
	v_mov_b32_e32 v60, v7
	v_cndmask_b32_e64 v7, 0, 1, s[36:37]
	;;#ASMSTART
	;;#ASMEND
	v_cmp_ne_u32_e32 vcc, 0, v7
	s_cmp_lg_u64 vcc, exec
	v_mov_b32_e32 v62, v6
	s_cbranch_scc1 .LBB1818_145
; %bb.131:                              ;   in Loop: Header=BB1818_130 Depth=1
	v_lshlrev_b64 v[6:7], 4, v[10:11]
	v_mov_b32_e32 v8, s45
	v_add_co_u32_e32 v12, vcc, s44, v6
	v_addc_co_u32_e32 v13, vcc, v8, v7, vcc
	;;#ASMSTART
	global_load_dwordx4 v[6:9], v[12:13] off glc	
s_waitcnt vmcnt(0)
	;;#ASMEND
	v_cmp_eq_u16_sdwa s[38:39], v8, v11 src0_sel:BYTE_0 src1_sel:DWORD
	s_and_saveexec_b64 s[36:37], s[38:39]
	s_cbranch_execz .LBB1818_135
; %bb.132:                              ;   in Loop: Header=BB1818_130 Depth=1
	s_mov_b64 s[38:39], 0
.LBB1818_133:                           ;   Parent Loop BB1818_130 Depth=1
                                        ; =>  This Inner Loop Header: Depth=2
	;;#ASMSTART
	global_load_dwordx4 v[6:9], v[12:13] off glc	
s_waitcnt vmcnt(0)
	;;#ASMEND
	v_cmp_ne_u16_sdwa s[48:49], v8, v11 src0_sel:BYTE_0 src1_sel:DWORD
	s_or_b64 s[38:39], s[48:49], s[38:39]
	s_andn2_b64 exec, exec, s[38:39]
	s_cbranch_execnz .LBB1818_133
; %bb.134:                              ;   in Loop: Header=BB1818_130 Depth=1
	s_or_b64 exec, exec, s[38:39]
.LBB1818_135:                           ;   in Loop: Header=BB1818_130 Depth=1
	s_or_b64 exec, exec, s[36:37]
	v_cmp_eq_u16_sdwa s[36:37], v8, v64 src0_sel:BYTE_0 src1_sel:DWORD
	v_and_b32_e32 v9, s37, v5
	v_and_b32_e32 v12, 0xff, v7
	v_or_b32_e32 v9, 0x80000000, v9
	ds_bpermute_b32 v65, v22, v6
	ds_bpermute_b32 v13, v22, v12
	v_and_b32_e32 v66, s36, v4
	v_ffbl_b32_e32 v9, v9
	v_add_u32_e32 v9, 32, v9
	v_ffbl_b32_e32 v66, v66
	v_min_u32_e32 v9, v66, v9
	v_cmp_lt_u32_e32 vcc, v3, v9
	s_and_saveexec_b64 s[36:37], vcc
	s_cbranch_execz .LBB1818_137
; %bb.136:                              ;   in Loop: Header=BB1818_130 Depth=1
	s_waitcnt lgkmcnt(1)
	v_add_f32_e32 v12, v6, v65
	v_cmp_eq_u16_sdwa vcc, v7, v11 src0_sel:BYTE_0 src1_sel:DWORD
	v_and_b32_e32 v7, 1, v7
	v_cndmask_b32_e32 v6, v6, v12, vcc
	s_waitcnt lgkmcnt(0)
	v_and_b32_e32 v12, 1, v13
	v_cmp_eq_u32_e32 vcc, 1, v7
	v_cndmask_b32_e64 v7, v12, 1, vcc
	v_and_b32_e32 v12, 0xffff, v7
.LBB1818_137:                           ;   in Loop: Header=BB1818_130 Depth=1
	s_or_b64 exec, exec, s[36:37]
	s_waitcnt lgkmcnt(1)
	ds_bpermute_b32 v65, v23, v6
	s_waitcnt lgkmcnt(1)
	ds_bpermute_b32 v13, v23, v12
	v_cmp_le_u32_e32 vcc, v24, v9
	s_and_saveexec_b64 s[36:37], vcc
	s_cbranch_execz .LBB1818_139
; %bb.138:                              ;   in Loop: Header=BB1818_130 Depth=1
	s_waitcnt lgkmcnt(1)
	v_add_f32_e32 v12, v6, v65
	v_cmp_eq_u16_sdwa vcc, v7, v11 src0_sel:BYTE_0 src1_sel:DWORD
	v_and_b32_e32 v7, 1, v7
	v_cndmask_b32_e32 v6, v6, v12, vcc
	s_waitcnt lgkmcnt(0)
	v_and_b32_e32 v12, 1, v13
	v_cmp_eq_u32_e32 vcc, 1, v7
	v_cndmask_b32_e64 v7, v12, 1, vcc
	v_and_b32_e32 v12, 0xffff, v7
.LBB1818_139:                           ;   in Loop: Header=BB1818_130 Depth=1
	s_or_b64 exec, exec, s[36:37]
	s_waitcnt lgkmcnt(1)
	ds_bpermute_b32 v65, v25, v6
	s_waitcnt lgkmcnt(1)
	ds_bpermute_b32 v13, v25, v12
	v_cmp_le_u32_e32 vcc, v55, v9
	;; [unrolled: 20-line block ×4, first 2 shown]
	s_and_saveexec_b64 s[36:37], vcc
	s_cbranch_execz .LBB1818_129
; %bb.144:                              ;   in Loop: Header=BB1818_130 Depth=1
	s_waitcnt lgkmcnt(1)
	v_add_f32_e32 v12, v6, v65
	v_cmp_eq_u16_sdwa vcc, v7, v11 src0_sel:BYTE_0 src1_sel:DWORD
	v_and_b32_e32 v7, 1, v7
	v_cndmask_b32_e32 v6, v6, v12, vcc
	s_waitcnt lgkmcnt(0)
	v_and_b32_e32 v12, 1, v13
	v_cmp_eq_u32_e32 vcc, 1, v7
	v_cndmask_b32_e64 v7, v12, 1, vcc
	v_and_b32_e32 v12, 0xffff, v7
	s_branch .LBB1818_129
.LBB1818_145:                           ;   in Loop: Header=BB1818_130 Depth=1
                                        ; implicit-def: $vgpr7
	s_cbranch_execz .LBB1818_130
; %bb.146:
	s_and_saveexec_b64 s[36:37], s[28:29]
	s_cbranch_execz .LBB1818_148
; %bb.147:
	s_and_b32 s38, s40, 0xff
	s_cmp_eq_u32 s38, 0
	s_cselect_b64 vcc, -1, 0
	s_bitcmp1_b32 s40, 0
	s_mov_b32 s39, 0
	s_cselect_b64 s[40:41], -1, 0
	s_add_i32 s38, s47, 64
	s_lshl_b64 s[38:39], s[38:39], 4
	v_add_f32_e32 v3, v62, v2
	s_add_u32 s38, s44, s38
	v_cndmask_b32_e32 v2, v2, v3, vcc
	v_and_b32_e32 v3, 1, v60
	s_addc_u32 s39, s45, s39
	v_cndmask_b32_e64 v3, v3, 1, s[40:41]
	v_mov_b32_e32 v4, 2
	v_mov_b32_e32 v5, 0
	v_pk_mov_b32 v[6:7], s[38:39], s[38:39] op_sel:[0,1]
	;;#ASMSTART
	global_store_dwordx4 v[6:7], v[2:5] off	
s_waitcnt vmcnt(0)
	;;#ASMEND
.LBB1818_148:
	s_or_b64 exec, exec, s[36:37]
	s_and_b64 exec, exec, s[0:1]
	s_cbranch_execz .LBB1818_150
; %bb.149:
	v_mov_b32_e32 v2, 0
	ds_write_b32 v2, v62 offset:24
	ds_write_b8 v2, v60 offset:28
.LBB1818_150:
	s_or_b64 exec, exec, s[30:31]
	v_mov_b32_e32 v3, 0
	s_waitcnt lgkmcnt(0)
	s_barrier
	ds_read_b32 v2, v3 offset:24
	v_cndmask_b32_e64 v4, v21, v19, s[28:29]
	v_cndmask_b32_e64 v5, v20, v18, s[28:29]
	v_cmp_eq_u32_sdwa vcc, v4, v3 src0_sel:BYTE_0 src1_sel:DWORD
	s_waitcnt lgkmcnt(0)
	v_add_f32_e32 v6, v5, v2
	v_cndmask_b32_e32 v4, v5, v6, vcc
	v_cndmask_b32_e64 v2, v4, v2, s[0:1]
	v_add_f32_e32 v4, v30, v2
	v_cmp_eq_u16_sdwa vcc, v1, v3 src0_sel:BYTE_0 src1_sel:DWORD
	v_cndmask_b32_e32 v3, v30, v4, vcc
	v_add_f32_e32 v4, v28, v3
	v_cndmask_b32_e64 v18, v28, v4, s[4:5]
	v_add_f32_e32 v4, v29, v18
	v_cndmask_b32_e64 v19, v29, v4, s[6:7]
	;; [unrolled: 2-line block ×10, first 2 shown]
	v_add_f32_e32 v4, v41, v23
	s_waitcnt vmcnt(0)
	v_cndmask_b32_e64 v24, v41, v4, s[24:25]
	v_add_f32_e32 v4, v26, v24
	v_cndmask_b32_e64 v25, v26, v4, s[26:27]
	s_branch .LBB1818_189
.LBB1818_151:
	s_or_b64 exec, exec, s[30:31]
                                        ; implicit-def: $vgpr35
	s_and_saveexec_b64 s[30:31], s[4:5]
	s_cbranch_execz .LBB1818_37
.LBB1818_152:
	v_add_co_u32_e32 v36, vcc, v22, v33
	v_addc_co_u32_e32 v37, vcc, 0, v23, vcc
	flat_load_dword v35, v[36:37] offset:1024
	s_waitcnt vmcnt(0) lgkmcnt(0)
	v_cvt_f32_u32_e32 v35, v35
	s_or_b64 exec, exec, s[30:31]
                                        ; implicit-def: $vgpr36
	s_and_saveexec_b64 s[4:5], s[6:7]
	s_cbranch_execnz .LBB1818_38
.LBB1818_153:
	s_or_b64 exec, exec, s[4:5]
                                        ; implicit-def: $vgpr37
	s_and_saveexec_b64 s[4:5], s[8:9]
	s_cbranch_execz .LBB1818_39
.LBB1818_154:
	v_add_co_u32_e32 v38, vcc, v22, v33
	v_addc_co_u32_e32 v39, vcc, 0, v23, vcc
	flat_load_dword v37, v[38:39] offset:3072
	s_waitcnt vmcnt(0) lgkmcnt(0)
	v_cvt_f32_u32_e32 v37, v37
	s_or_b64 exec, exec, s[4:5]
                                        ; implicit-def: $vgpr38
	s_and_saveexec_b64 s[4:5], s[10:11]
	s_cbranch_execnz .LBB1818_40
.LBB1818_155:
	s_or_b64 exec, exec, s[4:5]
                                        ; implicit-def: $vgpr1
	s_and_saveexec_b64 s[4:5], s[12:13]
	s_cbranch_execz .LBB1818_41
.LBB1818_156:
	v_add_co_u32_e32 v40, vcc, v22, v20
	v_addc_co_u32_e32 v41, vcc, 0, v23, vcc
	flat_load_dword v1, v[40:41]
	s_waitcnt vmcnt(0) lgkmcnt(0)
	v_cvt_f32_u32_e32 v1, v1
	s_or_b64 exec, exec, s[4:5]
                                        ; implicit-def: $vgpr20
	s_and_saveexec_b64 s[4:5], s[14:15]
	s_cbranch_execnz .LBB1818_42
.LBB1818_157:
	s_or_b64 exec, exec, s[4:5]
                                        ; implicit-def: $vgpr21
	s_and_saveexec_b64 s[4:5], s[16:17]
	s_cbranch_execz .LBB1818_43
.LBB1818_158:
	v_add_co_u32_e32 v40, vcc, v22, v26
	v_addc_co_u32_e32 v41, vcc, 0, v23, vcc
	flat_load_dword v21, v[40:41]
	s_waitcnt vmcnt(0) lgkmcnt(0)
	v_cvt_f32_u32_e32 v21, v21
	s_or_b64 exec, exec, s[4:5]
                                        ; implicit-def: $vgpr26
	s_and_saveexec_b64 s[4:5], s[18:19]
	s_cbranch_execnz .LBB1818_44
.LBB1818_159:
	s_or_b64 exec, exec, s[4:5]
                                        ; implicit-def: $vgpr27
	s_and_saveexec_b64 s[4:5], s[20:21]
	s_cbranch_execz .LBB1818_45
.LBB1818_160:
	v_add_co_u32_e32 v40, vcc, v22, v28
	v_addc_co_u32_e32 v41, vcc, 0, v23, vcc
	flat_load_dword v27, v[40:41]
	s_waitcnt vmcnt(0) lgkmcnt(0)
	v_cvt_f32_u32_e32 v27, v27
	s_or_b64 exec, exec, s[4:5]
                                        ; implicit-def: $vgpr28
	s_and_saveexec_b64 s[4:5], s[22:23]
	s_cbranch_execnz .LBB1818_46
.LBB1818_161:
	s_or_b64 exec, exec, s[4:5]
                                        ; implicit-def: $vgpr29
	s_and_saveexec_b64 s[4:5], s[24:25]
	s_cbranch_execz .LBB1818_47
.LBB1818_162:
	v_add_co_u32_e32 v40, vcc, v22, v30
	v_addc_co_u32_e32 v41, vcc, 0, v23, vcc
	flat_load_dword v29, v[40:41]
	s_waitcnt vmcnt(0) lgkmcnt(0)
	v_cvt_f32_u32_e32 v29, v29
	s_or_b64 exec, exec, s[4:5]
                                        ; implicit-def: $vgpr30
	s_and_saveexec_b64 s[4:5], s[26:27]
	s_cbranch_execz .LBB1818_49
	s_branch .LBB1818_48
.LBB1818_163:
                                        ; implicit-def: $vgpr25
                                        ; implicit-def: $vgpr23
                                        ; implicit-def: $vgpr21
                                        ; implicit-def: $vgpr19
                                        ; implicit-def: $vgpr10_vgpr11_vgpr12_vgpr13
                                        ; implicit-def: $vgpr6_vgpr7_vgpr8_vgpr9
                                        ; implicit-def: $vgpr2_vgpr3_vgpr4_vgpr5
	s_cbranch_execz .LBB1818_189
; %bb.164:
	s_cmp_lg_u64 s[52:53], 0
	s_cselect_b32 s5, s51, 0
	s_cselect_b32 s4, s50, 0
	s_cmp_eq_u64 s[4:5], 0
	v_mov_b32_e32 v4, s54
	s_cbranch_scc1 .LBB1818_166
; %bb.165:
	v_mov_b32_e32 v2, 0
	global_load_dword v4, v2, s[4:5]
.LBB1818_166:
	v_mov_b32_e32 v2, 0
	v_cmp_eq_u16_sdwa s[4:5], v34, v2 src0_sel:BYTE_0 src1_sel:DWORD
	v_cndmask_b32_e64 v3, v28, v54, s[4:5]
	v_add_f32_e32 v3, v29, v3
	v_cmp_eq_u16_sdwa s[6:7], v37, v2 src0_sel:BYTE_0 src1_sel:DWORD
	v_cndmask_b32_e64 v3, v29, v3, s[6:7]
	v_add_f32_e32 v3, v31, v3
	;; [unrolled: 3-line block ×7, first 2 shown]
	v_cmp_eq_u16_sdwa s[18:19], v47, v2 src0_sel:BYTE_0 src1_sel:DWORD
	v_cmp_eq_u16_sdwa s[20:21], v48, v2 src0_sel:BYTE_0 src1_sel:DWORD
	;; [unrolled: 1-line block ×4, first 2 shown]
	v_cmp_eq_u16_sdwa vcc, v40, v2 src0_sel:BYTE_0 src1_sel:DWORD
	v_cmp_eq_u16_sdwa s[26:27], v14, v2 src0_sel:BYTE_0 src1_sel:DWORD
	v_or_b32_e32 v2, v53, v49
	v_cndmask_b32_e64 v3, v36, v3, s[18:19]
	v_or_b32_e32 v2, v2, v48
	v_add_f32_e32 v3, v38, v3
	v_or_b32_e32 v2, v2, v47
	v_cndmask_b32_e64 v3, v38, v3, s[20:21]
	v_or_b32_e32 v2, v2, v46
	v_add_f32_e32 v3, v39, v3
	;; [unrolled: 4-line block ×4, first 2 shown]
	v_or_b32_e32 v2, v2, v37
	v_cndmask_b32_e32 v3, v26, v3, vcc
	v_or_b32_e32 v2, v2, v34
	v_add_f32_e32 v3, v15, v3
	v_and_b32_e32 v2, 1, v2
	v_and_b32_e32 v6, 0xff, v1
	v_cndmask_b32_e64 v5, v15, v3, s[26:27]
	v_cmp_eq_u32_e64 s[26:27], 1, v2
	v_cndmask_b32_e64 v7, v6, 1, s[26:27]
	v_mbcnt_hi_u32_b32 v6, -1, v52
	v_and_b32_e32 v2, 15, v6
	v_mov_b32_dpp v8, v5 row_shr:1 row_mask:0xf bank_mask:0xf
	v_mov_b32_dpp v3, v7 row_shr:1 row_mask:0xf bank_mask:0xf
	v_cmp_ne_u32_e64 s[26:27], 0, v2
	s_and_saveexec_b64 s[28:29], s[26:27]
; %bb.167:
	v_add_f32_e32 v8, v5, v8
	v_cmp_eq_u32_e64 s[26:27], 0, v7
	v_and_b32_e32 v7, 1, v7
	v_cndmask_b32_e64 v5, v5, v8, s[26:27]
	v_and_b32_e32 v3, 1, v3
	v_cmp_eq_u32_e64 s[26:27], 1, v7
	v_cndmask_b32_e64 v7, v3, 1, s[26:27]
; %bb.168:
	s_or_b64 exec, exec, s[28:29]
	v_mov_b32_dpp v8, v5 row_shr:2 row_mask:0xf bank_mask:0xf
	v_mov_b32_dpp v3, v7 row_shr:2 row_mask:0xf bank_mask:0xf
	v_cmp_lt_u32_e64 s[26:27], 1, v2
	s_and_saveexec_b64 s[28:29], s[26:27]
; %bb.169:
	v_add_f32_e32 v8, v5, v8
	v_cmp_eq_u32_e64 s[26:27], 0, v7
	v_and_b32_e32 v7, 1, v7
	v_cndmask_b32_e64 v5, v5, v8, s[26:27]
	v_and_b32_e32 v3, 1, v3
	v_cmp_eq_u32_e64 s[26:27], 1, v7
	v_cndmask_b32_e64 v7, v3, 1, s[26:27]
; %bb.170:
	s_or_b64 exec, exec, s[28:29]
	v_mov_b32_dpp v8, v5 row_shr:4 row_mask:0xf bank_mask:0xf
	v_mov_b32_dpp v3, v7 row_shr:4 row_mask:0xf bank_mask:0xf
	v_cmp_lt_u32_e64 s[26:27], 3, v2
	s_and_saveexec_b64 s[28:29], s[26:27]
; %bb.171:
	v_add_f32_e32 v8, v5, v8
	v_cmp_eq_u32_e64 s[26:27], 0, v7
	v_and_b32_e32 v7, 1, v7
	v_cndmask_b32_e64 v5, v5, v8, s[26:27]
	v_and_b32_e32 v3, 1, v3
	v_cmp_eq_u32_e64 s[26:27], 1, v7
	v_cndmask_b32_e64 v7, v3, 1, s[26:27]
; %bb.172:
	s_or_b64 exec, exec, s[28:29]
	v_mov_b32_dpp v8, v5 row_shr:8 row_mask:0xf bank_mask:0xf
	v_mov_b32_dpp v3, v7 row_shr:8 row_mask:0xf bank_mask:0xf
	v_cmp_lt_u32_e64 s[26:27], 7, v2
	s_and_saveexec_b64 s[28:29], s[26:27]
; %bb.173:
	v_add_f32_e32 v2, v5, v8
	v_cmp_eq_u32_e64 s[26:27], 0, v7
	v_cndmask_b32_e64 v5, v5, v2, s[26:27]
	v_and_b32_e32 v2, 1, v7
	v_and_b32_e32 v3, 1, v3
	v_cmp_eq_u32_e64 s[26:27], 1, v2
	v_cndmask_b32_e64 v7, v3, 1, s[26:27]
; %bb.174:
	s_or_b64 exec, exec, s[28:29]
	v_and_b32_e32 v8, 16, v6
	v_mov_b32_dpp v3, v5 row_bcast:15 row_mask:0xf bank_mask:0xf
	v_mov_b32_dpp v2, v7 row_bcast:15 row_mask:0xf bank_mask:0xf
	v_cmp_ne_u32_e64 s[26:27], 0, v8
	s_and_saveexec_b64 s[28:29], s[26:27]
; %bb.175:
	v_add_f32_e32 v3, v5, v3
	v_cmp_eq_u32_e64 s[26:27], 0, v7
	v_cndmask_b32_e64 v5, v5, v3, s[26:27]
	v_and_b32_e32 v3, 1, v7
	v_and_b32_e32 v2, 1, v2
	v_cmp_eq_u32_e64 s[26:27], 1, v3
	v_cndmask_b32_e64 v7, v2, 1, s[26:27]
; %bb.176:
	s_or_b64 exec, exec, s[28:29]
	v_mov_b32_dpp v3, v5 row_bcast:31 row_mask:0xf bank_mask:0xf
	v_mov_b32_dpp v2, v7 row_bcast:31 row_mask:0xf bank_mask:0xf
	v_cmp_lt_u32_e64 s[26:27], 31, v6
	s_and_saveexec_b64 s[28:29], s[26:27]
; %bb.177:
	v_add_f32_e32 v3, v5, v3
	v_cmp_eq_u32_e64 s[26:27], 0, v7
	v_cndmask_b32_e64 v5, v5, v3, s[26:27]
	v_and_b32_e32 v3, 1, v7
	v_and_b32_e32 v2, 1, v2
	v_cmp_eq_u32_e64 s[26:27], 1, v3
	v_cndmask_b32_e64 v7, v2, 1, s[26:27]
; %bb.178:
	s_or_b64 exec, exec, s[28:29]
	v_or_b32_e32 v2, 63, v0
	v_lshrrev_b32_e32 v8, 6, v0
	v_cmp_eq_u32_e64 s[26:27], v2, v0
	s_and_saveexec_b64 s[28:29], s[26:27]
	s_cbranch_execz .LBB1818_180
; %bb.179:
	v_lshlrev_b32_e32 v2, 3, v8
	ds_write_b32 v2, v5
	ds_write_b8 v2, v7 offset:4
.LBB1818_180:
	s_or_b64 exec, exec, s[28:29]
	v_cmp_gt_u32_e64 s[26:27], 4, v0
	s_waitcnt lgkmcnt(0)
	s_barrier
	s_and_saveexec_b64 s[28:29], s[26:27]
	s_cbranch_execz .LBB1818_184
; %bb.181:
	v_lshlrev_b32_e32 v9, 3, v0
	ds_read_b64 v[2:3], v9
	v_and_b32_e32 v10, 3, v6
	v_cmp_ne_u32_e64 s[26:27], 0, v10
	s_waitcnt lgkmcnt(0)
	v_mov_b32_dpp v13, v2 row_shr:1 row_mask:0xf bank_mask:0xf
	v_mov_b32_dpp v12, v3 row_shr:1 row_mask:0xf bank_mask:0xf
	v_mov_b32_e32 v11, v3
	s_and_saveexec_b64 s[30:31], s[26:27]
; %bb.182:
	v_mov_b32_e32 v11, 0
	v_add_f32_e32 v13, v2, v13
	v_cmp_eq_u16_sdwa s[26:27], v3, v11 src0_sel:BYTE_0 src1_sel:DWORD
	v_and_b32_e32 v11, 1, v3
	v_cndmask_b32_e64 v2, v2, v13, s[26:27]
	v_and_b32_e32 v12, 1, v12
	v_cmp_eq_u32_e64 s[26:27], 1, v11
	v_cndmask_b32_e64 v11, v12, 1, s[26:27]
	s_movk_i32 s26, 0xff00
	v_and_or_b32 v3, v3, s26, v11
; %bb.183:
	s_or_b64 exec, exec, s[30:31]
	v_mov_b32_e32 v14, 0
	v_mov_b32_dpp v13, v3 row_shr:2 row_mask:0xf bank_mask:0xf
	v_cmp_eq_u16_sdwa s[30:31], v11, v14 src0_sel:BYTE_0 src1_sel:DWORD
	v_and_b32_e32 v11, 1, v11
	v_and_b32_e32 v13, 1, v13
	v_cmp_eq_u32_e64 s[26:27], 1, v11
	v_mov_b32_dpp v12, v2 row_shr:2 row_mask:0xf bank_mask:0xf
	v_cndmask_b32_e64 v11, v13, 1, s[26:27]
	v_cmp_lt_u32_e64 s[26:27], 1, v10
	v_add_f32_e32 v12, v2, v12
	v_cndmask_b32_e64 v3, v3, v11, s[26:27]
	s_and_b64 s[26:27], s[26:27], s[30:31]
	v_cndmask_b32_e64 v2, v2, v12, s[26:27]
	ds_write_b32 v9, v2
	ds_write_b8 v9, v3 offset:4
.LBB1818_184:
	s_or_b64 exec, exec, s[28:29]
	v_cmp_lt_u32_e64 s[26:27], 63, v0
	s_waitcnt vmcnt(0)
	v_mov_b32_e32 v2, v4
	s_waitcnt lgkmcnt(0)
	s_barrier
	s_and_saveexec_b64 s[28:29], s[26:27]
	s_cbranch_execz .LBB1818_186
; %bb.185:
	v_lshl_add_u32 v2, v8, 3, -8
	ds_read_b32 v3, v2
	ds_read_u8 v2, v2 offset:4
	s_waitcnt lgkmcnt(1)
	v_add_f32_e32 v8, v4, v3
	s_waitcnt lgkmcnt(0)
	v_cmp_eq_u16_e64 s[26:27], 0, v2
	v_cndmask_b32_e64 v2, v3, v8, s[26:27]
.LBB1818_186:
	s_or_b64 exec, exec, s[28:29]
	v_add_f32_e32 v3, v5, v2
	v_cmp_eq_u32_e64 s[26:27], 0, v7
	v_cndmask_b32_e64 v3, v5, v3, s[26:27]
	v_add_u32_e32 v5, -1, v6
	v_and_b32_e32 v7, 64, v6
	v_cmp_lt_i32_e64 s[26:27], v5, v7
	v_cndmask_b32_e64 v5, v5, v6, s[26:27]
	v_lshlrev_b32_e32 v5, 2, v5
	ds_bpermute_b32 v3, v5, v3
	v_cmp_eq_u32_e64 s[26:27], 0, v6
	v_mov_b32_e32 v15, 0
	s_waitcnt lgkmcnt(0)
	v_cndmask_b32_e64 v2, v3, v2, s[26:27]
	v_cndmask_b32_e64 v3, v2, v4, s[0:1]
	v_add_f32_e32 v3, v30, v3
	v_cmp_eq_u16_sdwa s[26:27], v1, v15 src0_sel:BYTE_0 src1_sel:DWORD
	v_cndmask_b32_e64 v3, v30, v3, s[26:27]
	v_add_f32_e32 v1, v28, v3
	v_cndmask_b32_e64 v18, v28, v1, s[4:5]
	v_add_f32_e32 v1, v29, v18
	;; [unrolled: 2-line block ×12, first 2 shown]
	s_and_saveexec_b64 s[4:5], s[0:1]
	s_cbranch_execz .LBB1818_188
; %bb.187:
	ds_read_b32 v2, v15 offset:24
	ds_read_u8 v5, v15 offset:28
	s_add_u32 s6, s44, 0x400
	s_addc_u32 s7, s45, 0
	v_mov_b32_e32 v14, 2
	s_waitcnt lgkmcnt(1)
	v_add_f32_e32 v8, v4, v2
	s_waitcnt lgkmcnt(0)
	v_cmp_eq_u16_e64 s[0:1], 0, v5
	v_cndmask_b32_e64 v12, v2, v8, s[0:1]
	v_and_b32_e32 v13, 0xffff, v5
	v_pk_mov_b32 v[8:9], s[6:7], s[6:7] op_sel:[0,1]
	;;#ASMSTART
	global_store_dwordx4 v[8:9], v[12:15] off	
s_waitcnt vmcnt(0)
	;;#ASMEND
	v_mov_b32_e32 v2, v4
.LBB1818_188:
	s_or_b64 exec, exec, s[4:5]
	v_cndmask_b32_e32 v25, v26, v1, vcc
.LBB1818_189:
	s_add_u32 s0, s42, s34
	s_addc_u32 s1, s43, s35
	v_mov_b32_e32 v1, s1
	v_add_co_u32_e32 v32, vcc, s0, v16
	v_addc_co_u32_e32 v33, vcc, v1, v17, vcc
	v_mul_u32_u24_e32 v1, 14, v0
	s_and_b64 vcc, exec, s[2:3]
	v_lshlrev_b32_e32 v4, 2, v1
	s_cbranch_vccz .LBB1818_217
; %bb.190:
	s_movk_i32 s0, 0xffcc
	v_mad_i32_i24 v5, v0, s0, v4
	s_barrier
	ds_write2_b64 v4, v[2:3], v[18:19] offset1:1
	ds_write2_b64 v4, v[6:7], v[20:21] offset0:2 offset1:3
	ds_write2_b64 v4, v[10:11], v[22:23] offset0:4 offset1:5
	s_waitcnt vmcnt(0)
	ds_write_b64 v4, v[24:25] offset:48
	s_waitcnt lgkmcnt(0)
	s_barrier
	ds_read2st64_b32 v[30:31], v5 offset0:4 offset1:8
	ds_read2st64_b32 v[28:29], v5 offset0:12 offset1:16
	;; [unrolled: 1-line block ×6, first 2 shown]
	ds_read_b32 v5, v5 offset:13312
	v_add_co_u32_e32 v8, vcc, v32, v51
	s_add_i32 s33, s33, s46
	v_addc_co_u32_e32 v9, vcc, 0, v33, vcc
	v_mov_b32_e32 v1, 0
	v_cmp_gt_u32_e32 vcc, s33, v0
	s_and_saveexec_b64 s[0:1], vcc
	s_cbranch_execz .LBB1818_192
; %bb.191:
	v_mul_i32_i24_e32 v34, 0xffffffcc, v0
	v_add_u32_e32 v34, v4, v34
	ds_read_b32 v34, v34
	s_waitcnt lgkmcnt(0)
	v_cvt_i32_f32_e32 v34, v34
	flat_store_dword v[8:9], v34
.LBB1818_192:
	s_or_b64 exec, exec, s[0:1]
	v_or_b32_e32 v34, 0x100, v0
	v_cmp_gt_u32_e32 vcc, s33, v34
	s_and_saveexec_b64 s[0:1], vcc
	s_cbranch_execz .LBB1818_194
; %bb.193:
	s_waitcnt lgkmcnt(0)
	v_cvt_i32_f32_e32 v30, v30
	flat_store_dword v[8:9], v30 offset:1024
.LBB1818_194:
	s_or_b64 exec, exec, s[0:1]
	s_waitcnt lgkmcnt(0)
	v_or_b32_e32 v30, 0x200, v0
	v_cmp_gt_u32_e32 vcc, s33, v30
	s_and_saveexec_b64 s[0:1], vcc
	s_cbranch_execz .LBB1818_196
; %bb.195:
	v_cvt_i32_f32_e32 v30, v31
	flat_store_dword v[8:9], v30 offset:2048
.LBB1818_196:
	s_or_b64 exec, exec, s[0:1]
	v_or_b32_e32 v30, 0x300, v0
	v_cmp_gt_u32_e32 vcc, s33, v30
	s_and_saveexec_b64 s[0:1], vcc
	s_cbranch_execz .LBB1818_198
; %bb.197:
	v_cvt_i32_f32_e32 v28, v28
	flat_store_dword v[8:9], v28 offset:3072
.LBB1818_198:
	s_or_b64 exec, exec, s[0:1]
	v_or_b32_e32 v28, 0x400, v0
	v_cmp_gt_u32_e32 vcc, s33, v28
	s_and_saveexec_b64 s[0:1], vcc
	s_cbranch_execz .LBB1818_200
; %bb.199:
	v_cvt_i32_f32_e32 v30, v29
	v_add_co_u32_e32 v28, vcc, 0x1000, v8
	v_addc_co_u32_e32 v29, vcc, 0, v9, vcc
	flat_store_dword v[28:29], v30
.LBB1818_200:
	s_or_b64 exec, exec, s[0:1]
	v_or_b32_e32 v28, 0x500, v0
	v_cmp_gt_u32_e32 vcc, s33, v28
	s_and_saveexec_b64 s[0:1], vcc
	s_cbranch_execz .LBB1818_202
; %bb.201:
	v_cvt_i32_f32_e32 v26, v26
	v_add_co_u32_e32 v28, vcc, 0x1000, v8
	v_addc_co_u32_e32 v29, vcc, 0, v9, vcc
	flat_store_dword v[28:29], v26 offset:1024
.LBB1818_202:
	s_or_b64 exec, exec, s[0:1]
	v_or_b32_e32 v26, 0x600, v0
	v_cmp_gt_u32_e32 vcc, s33, v26
	s_and_saveexec_b64 s[0:1], vcc
	s_cbranch_execz .LBB1818_204
; %bb.203:
	v_cvt_i32_f32_e32 v28, v27
	v_add_co_u32_e32 v26, vcc, 0x1000, v8
	v_addc_co_u32_e32 v27, vcc, 0, v9, vcc
	flat_store_dword v[26:27], v28 offset:2048
.LBB1818_204:
	;; [unrolled: 11-line block ×3, first 2 shown]
	s_or_b64 exec, exec, s[0:1]
	v_or_b32_e32 v16, 0x800, v0
	v_cmp_gt_u32_e32 vcc, s33, v16
	s_and_saveexec_b64 s[0:1], vcc
	s_cbranch_execz .LBB1818_208
; %bb.207:
	v_cvt_i32_f32_e32 v26, v17
	v_add_co_u32_e32 v16, vcc, 0x2000, v8
	v_addc_co_u32_e32 v17, vcc, 0, v9, vcc
	flat_store_dword v[16:17], v26
.LBB1818_208:
	s_or_b64 exec, exec, s[0:1]
	v_or_b32_e32 v16, 0x900, v0
	v_cmp_gt_u32_e32 vcc, s33, v16
	s_and_saveexec_b64 s[0:1], vcc
	s_cbranch_execz .LBB1818_210
; %bb.209:
	v_cvt_i32_f32_e32 v14, v14
	v_add_co_u32_e32 v16, vcc, 0x2000, v8
	v_addc_co_u32_e32 v17, vcc, 0, v9, vcc
	flat_store_dword v[16:17], v14 offset:1024
.LBB1818_210:
	s_or_b64 exec, exec, s[0:1]
	v_or_b32_e32 v14, 0xa00, v0
	v_cmp_gt_u32_e32 vcc, s33, v14
	s_and_saveexec_b64 s[0:1], vcc
	s_cbranch_execz .LBB1818_212
; %bb.211:
	v_cvt_i32_f32_e32 v16, v15
	v_add_co_u32_e32 v14, vcc, 0x2000, v8
	v_addc_co_u32_e32 v15, vcc, 0, v9, vcc
	flat_store_dword v[14:15], v16 offset:2048
.LBB1818_212:
	;; [unrolled: 11-line block ×3, first 2 shown]
	s_or_b64 exec, exec, s[0:1]
	v_or_b32_e32 v12, 0xc00, v0
	v_cmp_gt_u32_e32 vcc, s33, v12
	s_and_saveexec_b64 s[0:1], vcc
	s_cbranch_execz .LBB1818_216
; %bb.215:
	v_cvt_i32_f32_e32 v12, v13
	v_add_co_u32_e32 v8, vcc, 0x3000, v8
	v_addc_co_u32_e32 v9, vcc, 0, v9, vcc
	flat_store_dword v[8:9], v12
.LBB1818_216:
	s_or_b64 exec, exec, s[0:1]
	v_or_b32_e32 v8, 0xd00, v0
	v_cmp_gt_u32_e64 s[0:1], s33, v8
	s_branch .LBB1818_219
.LBB1818_217:
	s_mov_b64 s[0:1], 0
                                        ; implicit-def: $vgpr5
	s_cbranch_execz .LBB1818_219
; %bb.218:
	s_movk_i32 s2, 0xffcc
	s_waitcnt lgkmcnt(0)
	s_barrier
	ds_write2_b64 v4, v[2:3], v[18:19] offset1:1
	ds_write2_b64 v4, v[6:7], v[20:21] offset0:2 offset1:3
	ds_write2_b64 v4, v[10:11], v[22:23] offset0:4 offset1:5
	s_waitcnt vmcnt(0)
	ds_write_b64 v4, v[24:25] offset:48
	v_mad_i32_i24 v4, v0, s2, v4
	s_waitcnt lgkmcnt(0)
	s_barrier
	ds_read2st64_b32 v[2:3], v4 offset1:4
	ds_read2st64_b32 v[6:7], v4 offset0:8 offset1:12
	ds_read2st64_b32 v[8:9], v4 offset0:16 offset1:20
	;; [unrolled: 1-line block ×6, first 2 shown]
	s_waitcnt lgkmcnt(6)
	v_cvt_i32_f32_e32 v2, v2
	v_cvt_i32_f32_e32 v3, v3
	v_add_co_u32_e32 v16, vcc, v32, v51
	s_waitcnt lgkmcnt(5)
	v_cvt_i32_f32_e32 v6, v6
	v_addc_co_u32_e32 v17, vcc, 0, v33, vcc
	v_cvt_i32_f32_e32 v7, v7
	flat_store_dword v[16:17], v2
	flat_store_dword v[16:17], v3 offset:1024
	flat_store_dword v[16:17], v6 offset:2048
	;; [unrolled: 1-line block ×3, first 2 shown]
	s_waitcnt lgkmcnt(0)
	v_cvt_i32_f32_e32 v6, v8
	s_movk_i32 s2, 0x1000
	v_cvt_i32_f32_e32 v7, v9
	v_add_co_u32_e32 v2, vcc, s2, v16
	v_cvt_i32_f32_e32 v8, v10
	v_addc_co_u32_e32 v3, vcc, 0, v17, vcc
	v_cvt_i32_f32_e32 v9, v11
	flat_store_dword v[2:3], v6
	flat_store_dword v[2:3], v7 offset:1024
	flat_store_dword v[2:3], v8 offset:2048
	;; [unrolled: 1-line block ×3, first 2 shown]
	v_cvt_i32_f32_e32 v6, v12
	s_movk_i32 s2, 0x2000
	v_cvt_i32_f32_e32 v7, v13
	v_add_co_u32_e32 v2, vcc, s2, v16
	v_cvt_i32_f32_e32 v8, v14
	v_cvt_i32_f32_e32 v4, v4
	v_addc_co_u32_e32 v3, vcc, 0, v17, vcc
	v_cvt_i32_f32_e32 v9, v15
	flat_store_dword v[2:3], v6
	flat_store_dword v[2:3], v7 offset:1024
	flat_store_dword v[2:3], v8 offset:2048
	;; [unrolled: 1-line block ×3, first 2 shown]
	v_add_co_u32_e32 v2, vcc, 0x3000, v16
	v_mov_b32_e32 v1, 0
	v_addc_co_u32_e32 v3, vcc, 0, v17, vcc
	s_or_b64 s[0:1], s[0:1], exec
	flat_store_dword v[2:3], v4
.LBB1818_219:
	s_and_saveexec_b64 s[2:3], s[0:1]
	s_cbranch_execz .LBB1818_221
; %bb.220:
	v_lshlrev_b64 v[0:1], 2, v[0:1]
	v_add_co_u32_e32 v0, vcc, v32, v0
	v_cvt_i32_f32_e32 v2, v5
	v_addc_co_u32_e32 v1, vcc, v33, v1, vcc
	v_add_co_u32_e32 v0, vcc, 0x3000, v0
	v_addc_co_u32_e32 v1, vcc, 0, v1, vcc
	flat_store_dword v[0:1], v2 offset:1024
	s_endpgm
.LBB1818_221:
	s_endpgm
	.section	.rodata,"a",@progbits
	.p2align	6, 0x0
	.amdhsa_kernel _ZN7rocprim17ROCPRIM_400000_NS6detail17trampoline_kernelINS0_14default_configENS1_27scan_by_key_config_selectorIifEEZZNS1_16scan_by_key_implILNS1_25lookback_scan_determinismE0ELb1ES3_N6thrust23THRUST_200600_302600_NS6detail15normal_iteratorINS9_10device_ptrIiEEEENSB_INSC_IjEEEESE_fNS9_4plusIvEENS9_8equal_toIvEEfEE10hipError_tPvRmT2_T3_T4_T5_mT6_T7_P12ihipStream_tbENKUlT_T0_E_clISt17integral_constantIbLb0EES10_IbLb1EEEEDaSW_SX_EUlSW_E_NS1_11comp_targetILNS1_3genE4ELNS1_11target_archE910ELNS1_3gpuE8ELNS1_3repE0EEENS1_30default_config_static_selectorELNS0_4arch9wavefront6targetE1EEEvT1_
		.amdhsa_group_segment_fixed_size 16384
		.amdhsa_private_segment_fixed_size 0
		.amdhsa_kernarg_size 112
		.amdhsa_user_sgpr_count 6
		.amdhsa_user_sgpr_private_segment_buffer 1
		.amdhsa_user_sgpr_dispatch_ptr 0
		.amdhsa_user_sgpr_queue_ptr 0
		.amdhsa_user_sgpr_kernarg_segment_ptr 1
		.amdhsa_user_sgpr_dispatch_id 0
		.amdhsa_user_sgpr_flat_scratch_init 0
		.amdhsa_user_sgpr_kernarg_preload_length 0
		.amdhsa_user_sgpr_kernarg_preload_offset 0
		.amdhsa_user_sgpr_private_segment_size 0
		.amdhsa_uses_dynamic_stack 0
		.amdhsa_system_sgpr_private_segment_wavefront_offset 0
		.amdhsa_system_sgpr_workgroup_id_x 1
		.amdhsa_system_sgpr_workgroup_id_y 0
		.amdhsa_system_sgpr_workgroup_id_z 0
		.amdhsa_system_sgpr_workgroup_info 0
		.amdhsa_system_vgpr_workitem_id 0
		.amdhsa_next_free_vgpr 67
		.amdhsa_next_free_sgpr 60
		.amdhsa_accum_offset 68
		.amdhsa_reserve_vcc 1
		.amdhsa_reserve_flat_scratch 0
		.amdhsa_float_round_mode_32 0
		.amdhsa_float_round_mode_16_64 0
		.amdhsa_float_denorm_mode_32 3
		.amdhsa_float_denorm_mode_16_64 3
		.amdhsa_dx10_clamp 1
		.amdhsa_ieee_mode 1
		.amdhsa_fp16_overflow 0
		.amdhsa_tg_split 0
		.amdhsa_exception_fp_ieee_invalid_op 0
		.amdhsa_exception_fp_denorm_src 0
		.amdhsa_exception_fp_ieee_div_zero 0
		.amdhsa_exception_fp_ieee_overflow 0
		.amdhsa_exception_fp_ieee_underflow 0
		.amdhsa_exception_fp_ieee_inexact 0
		.amdhsa_exception_int_div_zero 0
	.end_amdhsa_kernel
	.section	.text._ZN7rocprim17ROCPRIM_400000_NS6detail17trampoline_kernelINS0_14default_configENS1_27scan_by_key_config_selectorIifEEZZNS1_16scan_by_key_implILNS1_25lookback_scan_determinismE0ELb1ES3_N6thrust23THRUST_200600_302600_NS6detail15normal_iteratorINS9_10device_ptrIiEEEENSB_INSC_IjEEEESE_fNS9_4plusIvEENS9_8equal_toIvEEfEE10hipError_tPvRmT2_T3_T4_T5_mT6_T7_P12ihipStream_tbENKUlT_T0_E_clISt17integral_constantIbLb0EES10_IbLb1EEEEDaSW_SX_EUlSW_E_NS1_11comp_targetILNS1_3genE4ELNS1_11target_archE910ELNS1_3gpuE8ELNS1_3repE0EEENS1_30default_config_static_selectorELNS0_4arch9wavefront6targetE1EEEvT1_,"axG",@progbits,_ZN7rocprim17ROCPRIM_400000_NS6detail17trampoline_kernelINS0_14default_configENS1_27scan_by_key_config_selectorIifEEZZNS1_16scan_by_key_implILNS1_25lookback_scan_determinismE0ELb1ES3_N6thrust23THRUST_200600_302600_NS6detail15normal_iteratorINS9_10device_ptrIiEEEENSB_INSC_IjEEEESE_fNS9_4plusIvEENS9_8equal_toIvEEfEE10hipError_tPvRmT2_T3_T4_T5_mT6_T7_P12ihipStream_tbENKUlT_T0_E_clISt17integral_constantIbLb0EES10_IbLb1EEEEDaSW_SX_EUlSW_E_NS1_11comp_targetILNS1_3genE4ELNS1_11target_archE910ELNS1_3gpuE8ELNS1_3repE0EEENS1_30default_config_static_selectorELNS0_4arch9wavefront6targetE1EEEvT1_,comdat
.Lfunc_end1818:
	.size	_ZN7rocprim17ROCPRIM_400000_NS6detail17trampoline_kernelINS0_14default_configENS1_27scan_by_key_config_selectorIifEEZZNS1_16scan_by_key_implILNS1_25lookback_scan_determinismE0ELb1ES3_N6thrust23THRUST_200600_302600_NS6detail15normal_iteratorINS9_10device_ptrIiEEEENSB_INSC_IjEEEESE_fNS9_4plusIvEENS9_8equal_toIvEEfEE10hipError_tPvRmT2_T3_T4_T5_mT6_T7_P12ihipStream_tbENKUlT_T0_E_clISt17integral_constantIbLb0EES10_IbLb1EEEEDaSW_SX_EUlSW_E_NS1_11comp_targetILNS1_3genE4ELNS1_11target_archE910ELNS1_3gpuE8ELNS1_3repE0EEENS1_30default_config_static_selectorELNS0_4arch9wavefront6targetE1EEEvT1_, .Lfunc_end1818-_ZN7rocprim17ROCPRIM_400000_NS6detail17trampoline_kernelINS0_14default_configENS1_27scan_by_key_config_selectorIifEEZZNS1_16scan_by_key_implILNS1_25lookback_scan_determinismE0ELb1ES3_N6thrust23THRUST_200600_302600_NS6detail15normal_iteratorINS9_10device_ptrIiEEEENSB_INSC_IjEEEESE_fNS9_4plusIvEENS9_8equal_toIvEEfEE10hipError_tPvRmT2_T3_T4_T5_mT6_T7_P12ihipStream_tbENKUlT_T0_E_clISt17integral_constantIbLb0EES10_IbLb1EEEEDaSW_SX_EUlSW_E_NS1_11comp_targetILNS1_3genE4ELNS1_11target_archE910ELNS1_3gpuE8ELNS1_3repE0EEENS1_30default_config_static_selectorELNS0_4arch9wavefront6targetE1EEEvT1_
                                        ; -- End function
	.section	.AMDGPU.csdata,"",@progbits
; Kernel info:
; codeLenInByte = 10832
; NumSgprs: 64
; NumVgprs: 67
; NumAgprs: 0
; TotalNumVgprs: 67
; ScratchSize: 0
; MemoryBound: 0
; FloatMode: 240
; IeeeMode: 1
; LDSByteSize: 16384 bytes/workgroup (compile time only)
; SGPRBlocks: 7
; VGPRBlocks: 8
; NumSGPRsForWavesPerEU: 64
; NumVGPRsForWavesPerEU: 67
; AccumOffset: 68
; Occupancy: 4
; WaveLimiterHint : 1
; COMPUTE_PGM_RSRC2:SCRATCH_EN: 0
; COMPUTE_PGM_RSRC2:USER_SGPR: 6
; COMPUTE_PGM_RSRC2:TRAP_HANDLER: 0
; COMPUTE_PGM_RSRC2:TGID_X_EN: 1
; COMPUTE_PGM_RSRC2:TGID_Y_EN: 0
; COMPUTE_PGM_RSRC2:TGID_Z_EN: 0
; COMPUTE_PGM_RSRC2:TIDIG_COMP_CNT: 0
; COMPUTE_PGM_RSRC3_GFX90A:ACCUM_OFFSET: 16
; COMPUTE_PGM_RSRC3_GFX90A:TG_SPLIT: 0
	.section	.text._ZN7rocprim17ROCPRIM_400000_NS6detail17trampoline_kernelINS0_14default_configENS1_27scan_by_key_config_selectorIifEEZZNS1_16scan_by_key_implILNS1_25lookback_scan_determinismE0ELb1ES3_N6thrust23THRUST_200600_302600_NS6detail15normal_iteratorINS9_10device_ptrIiEEEENSB_INSC_IjEEEESE_fNS9_4plusIvEENS9_8equal_toIvEEfEE10hipError_tPvRmT2_T3_T4_T5_mT6_T7_P12ihipStream_tbENKUlT_T0_E_clISt17integral_constantIbLb0EES10_IbLb1EEEEDaSW_SX_EUlSW_E_NS1_11comp_targetILNS1_3genE3ELNS1_11target_archE908ELNS1_3gpuE7ELNS1_3repE0EEENS1_30default_config_static_selectorELNS0_4arch9wavefront6targetE1EEEvT1_,"axG",@progbits,_ZN7rocprim17ROCPRIM_400000_NS6detail17trampoline_kernelINS0_14default_configENS1_27scan_by_key_config_selectorIifEEZZNS1_16scan_by_key_implILNS1_25lookback_scan_determinismE0ELb1ES3_N6thrust23THRUST_200600_302600_NS6detail15normal_iteratorINS9_10device_ptrIiEEEENSB_INSC_IjEEEESE_fNS9_4plusIvEENS9_8equal_toIvEEfEE10hipError_tPvRmT2_T3_T4_T5_mT6_T7_P12ihipStream_tbENKUlT_T0_E_clISt17integral_constantIbLb0EES10_IbLb1EEEEDaSW_SX_EUlSW_E_NS1_11comp_targetILNS1_3genE3ELNS1_11target_archE908ELNS1_3gpuE7ELNS1_3repE0EEENS1_30default_config_static_selectorELNS0_4arch9wavefront6targetE1EEEvT1_,comdat
	.protected	_ZN7rocprim17ROCPRIM_400000_NS6detail17trampoline_kernelINS0_14default_configENS1_27scan_by_key_config_selectorIifEEZZNS1_16scan_by_key_implILNS1_25lookback_scan_determinismE0ELb1ES3_N6thrust23THRUST_200600_302600_NS6detail15normal_iteratorINS9_10device_ptrIiEEEENSB_INSC_IjEEEESE_fNS9_4plusIvEENS9_8equal_toIvEEfEE10hipError_tPvRmT2_T3_T4_T5_mT6_T7_P12ihipStream_tbENKUlT_T0_E_clISt17integral_constantIbLb0EES10_IbLb1EEEEDaSW_SX_EUlSW_E_NS1_11comp_targetILNS1_3genE3ELNS1_11target_archE908ELNS1_3gpuE7ELNS1_3repE0EEENS1_30default_config_static_selectorELNS0_4arch9wavefront6targetE1EEEvT1_ ; -- Begin function _ZN7rocprim17ROCPRIM_400000_NS6detail17trampoline_kernelINS0_14default_configENS1_27scan_by_key_config_selectorIifEEZZNS1_16scan_by_key_implILNS1_25lookback_scan_determinismE0ELb1ES3_N6thrust23THRUST_200600_302600_NS6detail15normal_iteratorINS9_10device_ptrIiEEEENSB_INSC_IjEEEESE_fNS9_4plusIvEENS9_8equal_toIvEEfEE10hipError_tPvRmT2_T3_T4_T5_mT6_T7_P12ihipStream_tbENKUlT_T0_E_clISt17integral_constantIbLb0EES10_IbLb1EEEEDaSW_SX_EUlSW_E_NS1_11comp_targetILNS1_3genE3ELNS1_11target_archE908ELNS1_3gpuE7ELNS1_3repE0EEENS1_30default_config_static_selectorELNS0_4arch9wavefront6targetE1EEEvT1_
	.globl	_ZN7rocprim17ROCPRIM_400000_NS6detail17trampoline_kernelINS0_14default_configENS1_27scan_by_key_config_selectorIifEEZZNS1_16scan_by_key_implILNS1_25lookback_scan_determinismE0ELb1ES3_N6thrust23THRUST_200600_302600_NS6detail15normal_iteratorINS9_10device_ptrIiEEEENSB_INSC_IjEEEESE_fNS9_4plusIvEENS9_8equal_toIvEEfEE10hipError_tPvRmT2_T3_T4_T5_mT6_T7_P12ihipStream_tbENKUlT_T0_E_clISt17integral_constantIbLb0EES10_IbLb1EEEEDaSW_SX_EUlSW_E_NS1_11comp_targetILNS1_3genE3ELNS1_11target_archE908ELNS1_3gpuE7ELNS1_3repE0EEENS1_30default_config_static_selectorELNS0_4arch9wavefront6targetE1EEEvT1_
	.p2align	8
	.type	_ZN7rocprim17ROCPRIM_400000_NS6detail17trampoline_kernelINS0_14default_configENS1_27scan_by_key_config_selectorIifEEZZNS1_16scan_by_key_implILNS1_25lookback_scan_determinismE0ELb1ES3_N6thrust23THRUST_200600_302600_NS6detail15normal_iteratorINS9_10device_ptrIiEEEENSB_INSC_IjEEEESE_fNS9_4plusIvEENS9_8equal_toIvEEfEE10hipError_tPvRmT2_T3_T4_T5_mT6_T7_P12ihipStream_tbENKUlT_T0_E_clISt17integral_constantIbLb0EES10_IbLb1EEEEDaSW_SX_EUlSW_E_NS1_11comp_targetILNS1_3genE3ELNS1_11target_archE908ELNS1_3gpuE7ELNS1_3repE0EEENS1_30default_config_static_selectorELNS0_4arch9wavefront6targetE1EEEvT1_,@function
_ZN7rocprim17ROCPRIM_400000_NS6detail17trampoline_kernelINS0_14default_configENS1_27scan_by_key_config_selectorIifEEZZNS1_16scan_by_key_implILNS1_25lookback_scan_determinismE0ELb1ES3_N6thrust23THRUST_200600_302600_NS6detail15normal_iteratorINS9_10device_ptrIiEEEENSB_INSC_IjEEEESE_fNS9_4plusIvEENS9_8equal_toIvEEfEE10hipError_tPvRmT2_T3_T4_T5_mT6_T7_P12ihipStream_tbENKUlT_T0_E_clISt17integral_constantIbLb0EES10_IbLb1EEEEDaSW_SX_EUlSW_E_NS1_11comp_targetILNS1_3genE3ELNS1_11target_archE908ELNS1_3gpuE7ELNS1_3repE0EEENS1_30default_config_static_selectorELNS0_4arch9wavefront6targetE1EEEvT1_: ; @_ZN7rocprim17ROCPRIM_400000_NS6detail17trampoline_kernelINS0_14default_configENS1_27scan_by_key_config_selectorIifEEZZNS1_16scan_by_key_implILNS1_25lookback_scan_determinismE0ELb1ES3_N6thrust23THRUST_200600_302600_NS6detail15normal_iteratorINS9_10device_ptrIiEEEENSB_INSC_IjEEEESE_fNS9_4plusIvEENS9_8equal_toIvEEfEE10hipError_tPvRmT2_T3_T4_T5_mT6_T7_P12ihipStream_tbENKUlT_T0_E_clISt17integral_constantIbLb0EES10_IbLb1EEEEDaSW_SX_EUlSW_E_NS1_11comp_targetILNS1_3genE3ELNS1_11target_archE908ELNS1_3gpuE7ELNS1_3repE0EEENS1_30default_config_static_selectorELNS0_4arch9wavefront6targetE1EEEvT1_
; %bb.0:
	.section	.rodata,"a",@progbits
	.p2align	6, 0x0
	.amdhsa_kernel _ZN7rocprim17ROCPRIM_400000_NS6detail17trampoline_kernelINS0_14default_configENS1_27scan_by_key_config_selectorIifEEZZNS1_16scan_by_key_implILNS1_25lookback_scan_determinismE0ELb1ES3_N6thrust23THRUST_200600_302600_NS6detail15normal_iteratorINS9_10device_ptrIiEEEENSB_INSC_IjEEEESE_fNS9_4plusIvEENS9_8equal_toIvEEfEE10hipError_tPvRmT2_T3_T4_T5_mT6_T7_P12ihipStream_tbENKUlT_T0_E_clISt17integral_constantIbLb0EES10_IbLb1EEEEDaSW_SX_EUlSW_E_NS1_11comp_targetILNS1_3genE3ELNS1_11target_archE908ELNS1_3gpuE7ELNS1_3repE0EEENS1_30default_config_static_selectorELNS0_4arch9wavefront6targetE1EEEvT1_
		.amdhsa_group_segment_fixed_size 0
		.amdhsa_private_segment_fixed_size 0
		.amdhsa_kernarg_size 112
		.amdhsa_user_sgpr_count 6
		.amdhsa_user_sgpr_private_segment_buffer 1
		.amdhsa_user_sgpr_dispatch_ptr 0
		.amdhsa_user_sgpr_queue_ptr 0
		.amdhsa_user_sgpr_kernarg_segment_ptr 1
		.amdhsa_user_sgpr_dispatch_id 0
		.amdhsa_user_sgpr_flat_scratch_init 0
		.amdhsa_user_sgpr_kernarg_preload_length 0
		.amdhsa_user_sgpr_kernarg_preload_offset 0
		.amdhsa_user_sgpr_private_segment_size 0
		.amdhsa_uses_dynamic_stack 0
		.amdhsa_system_sgpr_private_segment_wavefront_offset 0
		.amdhsa_system_sgpr_workgroup_id_x 1
		.amdhsa_system_sgpr_workgroup_id_y 0
		.amdhsa_system_sgpr_workgroup_id_z 0
		.amdhsa_system_sgpr_workgroup_info 0
		.amdhsa_system_vgpr_workitem_id 0
		.amdhsa_next_free_vgpr 1
		.amdhsa_next_free_sgpr 0
		.amdhsa_accum_offset 4
		.amdhsa_reserve_vcc 0
		.amdhsa_reserve_flat_scratch 0
		.amdhsa_float_round_mode_32 0
		.amdhsa_float_round_mode_16_64 0
		.amdhsa_float_denorm_mode_32 3
		.amdhsa_float_denorm_mode_16_64 3
		.amdhsa_dx10_clamp 1
		.amdhsa_ieee_mode 1
		.amdhsa_fp16_overflow 0
		.amdhsa_tg_split 0
		.amdhsa_exception_fp_ieee_invalid_op 0
		.amdhsa_exception_fp_denorm_src 0
		.amdhsa_exception_fp_ieee_div_zero 0
		.amdhsa_exception_fp_ieee_overflow 0
		.amdhsa_exception_fp_ieee_underflow 0
		.amdhsa_exception_fp_ieee_inexact 0
		.amdhsa_exception_int_div_zero 0
	.end_amdhsa_kernel
	.section	.text._ZN7rocprim17ROCPRIM_400000_NS6detail17trampoline_kernelINS0_14default_configENS1_27scan_by_key_config_selectorIifEEZZNS1_16scan_by_key_implILNS1_25lookback_scan_determinismE0ELb1ES3_N6thrust23THRUST_200600_302600_NS6detail15normal_iteratorINS9_10device_ptrIiEEEENSB_INSC_IjEEEESE_fNS9_4plusIvEENS9_8equal_toIvEEfEE10hipError_tPvRmT2_T3_T4_T5_mT6_T7_P12ihipStream_tbENKUlT_T0_E_clISt17integral_constantIbLb0EES10_IbLb1EEEEDaSW_SX_EUlSW_E_NS1_11comp_targetILNS1_3genE3ELNS1_11target_archE908ELNS1_3gpuE7ELNS1_3repE0EEENS1_30default_config_static_selectorELNS0_4arch9wavefront6targetE1EEEvT1_,"axG",@progbits,_ZN7rocprim17ROCPRIM_400000_NS6detail17trampoline_kernelINS0_14default_configENS1_27scan_by_key_config_selectorIifEEZZNS1_16scan_by_key_implILNS1_25lookback_scan_determinismE0ELb1ES3_N6thrust23THRUST_200600_302600_NS6detail15normal_iteratorINS9_10device_ptrIiEEEENSB_INSC_IjEEEESE_fNS9_4plusIvEENS9_8equal_toIvEEfEE10hipError_tPvRmT2_T3_T4_T5_mT6_T7_P12ihipStream_tbENKUlT_T0_E_clISt17integral_constantIbLb0EES10_IbLb1EEEEDaSW_SX_EUlSW_E_NS1_11comp_targetILNS1_3genE3ELNS1_11target_archE908ELNS1_3gpuE7ELNS1_3repE0EEENS1_30default_config_static_selectorELNS0_4arch9wavefront6targetE1EEEvT1_,comdat
.Lfunc_end1819:
	.size	_ZN7rocprim17ROCPRIM_400000_NS6detail17trampoline_kernelINS0_14default_configENS1_27scan_by_key_config_selectorIifEEZZNS1_16scan_by_key_implILNS1_25lookback_scan_determinismE0ELb1ES3_N6thrust23THRUST_200600_302600_NS6detail15normal_iteratorINS9_10device_ptrIiEEEENSB_INSC_IjEEEESE_fNS9_4plusIvEENS9_8equal_toIvEEfEE10hipError_tPvRmT2_T3_T4_T5_mT6_T7_P12ihipStream_tbENKUlT_T0_E_clISt17integral_constantIbLb0EES10_IbLb1EEEEDaSW_SX_EUlSW_E_NS1_11comp_targetILNS1_3genE3ELNS1_11target_archE908ELNS1_3gpuE7ELNS1_3repE0EEENS1_30default_config_static_selectorELNS0_4arch9wavefront6targetE1EEEvT1_, .Lfunc_end1819-_ZN7rocprim17ROCPRIM_400000_NS6detail17trampoline_kernelINS0_14default_configENS1_27scan_by_key_config_selectorIifEEZZNS1_16scan_by_key_implILNS1_25lookback_scan_determinismE0ELb1ES3_N6thrust23THRUST_200600_302600_NS6detail15normal_iteratorINS9_10device_ptrIiEEEENSB_INSC_IjEEEESE_fNS9_4plusIvEENS9_8equal_toIvEEfEE10hipError_tPvRmT2_T3_T4_T5_mT6_T7_P12ihipStream_tbENKUlT_T0_E_clISt17integral_constantIbLb0EES10_IbLb1EEEEDaSW_SX_EUlSW_E_NS1_11comp_targetILNS1_3genE3ELNS1_11target_archE908ELNS1_3gpuE7ELNS1_3repE0EEENS1_30default_config_static_selectorELNS0_4arch9wavefront6targetE1EEEvT1_
                                        ; -- End function
	.section	.AMDGPU.csdata,"",@progbits
; Kernel info:
; codeLenInByte = 0
; NumSgprs: 4
; NumVgprs: 0
; NumAgprs: 0
; TotalNumVgprs: 0
; ScratchSize: 0
; MemoryBound: 0
; FloatMode: 240
; IeeeMode: 1
; LDSByteSize: 0 bytes/workgroup (compile time only)
; SGPRBlocks: 0
; VGPRBlocks: 0
; NumSGPRsForWavesPerEU: 4
; NumVGPRsForWavesPerEU: 1
; AccumOffset: 4
; Occupancy: 8
; WaveLimiterHint : 0
; COMPUTE_PGM_RSRC2:SCRATCH_EN: 0
; COMPUTE_PGM_RSRC2:USER_SGPR: 6
; COMPUTE_PGM_RSRC2:TRAP_HANDLER: 0
; COMPUTE_PGM_RSRC2:TGID_X_EN: 1
; COMPUTE_PGM_RSRC2:TGID_Y_EN: 0
; COMPUTE_PGM_RSRC2:TGID_Z_EN: 0
; COMPUTE_PGM_RSRC2:TIDIG_COMP_CNT: 0
; COMPUTE_PGM_RSRC3_GFX90A:ACCUM_OFFSET: 0
; COMPUTE_PGM_RSRC3_GFX90A:TG_SPLIT: 0
	.section	.text._ZN7rocprim17ROCPRIM_400000_NS6detail17trampoline_kernelINS0_14default_configENS1_27scan_by_key_config_selectorIifEEZZNS1_16scan_by_key_implILNS1_25lookback_scan_determinismE0ELb1ES3_N6thrust23THRUST_200600_302600_NS6detail15normal_iteratorINS9_10device_ptrIiEEEENSB_INSC_IjEEEESE_fNS9_4plusIvEENS9_8equal_toIvEEfEE10hipError_tPvRmT2_T3_T4_T5_mT6_T7_P12ihipStream_tbENKUlT_T0_E_clISt17integral_constantIbLb0EES10_IbLb1EEEEDaSW_SX_EUlSW_E_NS1_11comp_targetILNS1_3genE2ELNS1_11target_archE906ELNS1_3gpuE6ELNS1_3repE0EEENS1_30default_config_static_selectorELNS0_4arch9wavefront6targetE1EEEvT1_,"axG",@progbits,_ZN7rocprim17ROCPRIM_400000_NS6detail17trampoline_kernelINS0_14default_configENS1_27scan_by_key_config_selectorIifEEZZNS1_16scan_by_key_implILNS1_25lookback_scan_determinismE0ELb1ES3_N6thrust23THRUST_200600_302600_NS6detail15normal_iteratorINS9_10device_ptrIiEEEENSB_INSC_IjEEEESE_fNS9_4plusIvEENS9_8equal_toIvEEfEE10hipError_tPvRmT2_T3_T4_T5_mT6_T7_P12ihipStream_tbENKUlT_T0_E_clISt17integral_constantIbLb0EES10_IbLb1EEEEDaSW_SX_EUlSW_E_NS1_11comp_targetILNS1_3genE2ELNS1_11target_archE906ELNS1_3gpuE6ELNS1_3repE0EEENS1_30default_config_static_selectorELNS0_4arch9wavefront6targetE1EEEvT1_,comdat
	.protected	_ZN7rocprim17ROCPRIM_400000_NS6detail17trampoline_kernelINS0_14default_configENS1_27scan_by_key_config_selectorIifEEZZNS1_16scan_by_key_implILNS1_25lookback_scan_determinismE0ELb1ES3_N6thrust23THRUST_200600_302600_NS6detail15normal_iteratorINS9_10device_ptrIiEEEENSB_INSC_IjEEEESE_fNS9_4plusIvEENS9_8equal_toIvEEfEE10hipError_tPvRmT2_T3_T4_T5_mT6_T7_P12ihipStream_tbENKUlT_T0_E_clISt17integral_constantIbLb0EES10_IbLb1EEEEDaSW_SX_EUlSW_E_NS1_11comp_targetILNS1_3genE2ELNS1_11target_archE906ELNS1_3gpuE6ELNS1_3repE0EEENS1_30default_config_static_selectorELNS0_4arch9wavefront6targetE1EEEvT1_ ; -- Begin function _ZN7rocprim17ROCPRIM_400000_NS6detail17trampoline_kernelINS0_14default_configENS1_27scan_by_key_config_selectorIifEEZZNS1_16scan_by_key_implILNS1_25lookback_scan_determinismE0ELb1ES3_N6thrust23THRUST_200600_302600_NS6detail15normal_iteratorINS9_10device_ptrIiEEEENSB_INSC_IjEEEESE_fNS9_4plusIvEENS9_8equal_toIvEEfEE10hipError_tPvRmT2_T3_T4_T5_mT6_T7_P12ihipStream_tbENKUlT_T0_E_clISt17integral_constantIbLb0EES10_IbLb1EEEEDaSW_SX_EUlSW_E_NS1_11comp_targetILNS1_3genE2ELNS1_11target_archE906ELNS1_3gpuE6ELNS1_3repE0EEENS1_30default_config_static_selectorELNS0_4arch9wavefront6targetE1EEEvT1_
	.globl	_ZN7rocprim17ROCPRIM_400000_NS6detail17trampoline_kernelINS0_14default_configENS1_27scan_by_key_config_selectorIifEEZZNS1_16scan_by_key_implILNS1_25lookback_scan_determinismE0ELb1ES3_N6thrust23THRUST_200600_302600_NS6detail15normal_iteratorINS9_10device_ptrIiEEEENSB_INSC_IjEEEESE_fNS9_4plusIvEENS9_8equal_toIvEEfEE10hipError_tPvRmT2_T3_T4_T5_mT6_T7_P12ihipStream_tbENKUlT_T0_E_clISt17integral_constantIbLb0EES10_IbLb1EEEEDaSW_SX_EUlSW_E_NS1_11comp_targetILNS1_3genE2ELNS1_11target_archE906ELNS1_3gpuE6ELNS1_3repE0EEENS1_30default_config_static_selectorELNS0_4arch9wavefront6targetE1EEEvT1_
	.p2align	8
	.type	_ZN7rocprim17ROCPRIM_400000_NS6detail17trampoline_kernelINS0_14default_configENS1_27scan_by_key_config_selectorIifEEZZNS1_16scan_by_key_implILNS1_25lookback_scan_determinismE0ELb1ES3_N6thrust23THRUST_200600_302600_NS6detail15normal_iteratorINS9_10device_ptrIiEEEENSB_INSC_IjEEEESE_fNS9_4plusIvEENS9_8equal_toIvEEfEE10hipError_tPvRmT2_T3_T4_T5_mT6_T7_P12ihipStream_tbENKUlT_T0_E_clISt17integral_constantIbLb0EES10_IbLb1EEEEDaSW_SX_EUlSW_E_NS1_11comp_targetILNS1_3genE2ELNS1_11target_archE906ELNS1_3gpuE6ELNS1_3repE0EEENS1_30default_config_static_selectorELNS0_4arch9wavefront6targetE1EEEvT1_,@function
_ZN7rocprim17ROCPRIM_400000_NS6detail17trampoline_kernelINS0_14default_configENS1_27scan_by_key_config_selectorIifEEZZNS1_16scan_by_key_implILNS1_25lookback_scan_determinismE0ELb1ES3_N6thrust23THRUST_200600_302600_NS6detail15normal_iteratorINS9_10device_ptrIiEEEENSB_INSC_IjEEEESE_fNS9_4plusIvEENS9_8equal_toIvEEfEE10hipError_tPvRmT2_T3_T4_T5_mT6_T7_P12ihipStream_tbENKUlT_T0_E_clISt17integral_constantIbLb0EES10_IbLb1EEEEDaSW_SX_EUlSW_E_NS1_11comp_targetILNS1_3genE2ELNS1_11target_archE906ELNS1_3gpuE6ELNS1_3repE0EEENS1_30default_config_static_selectorELNS0_4arch9wavefront6targetE1EEEvT1_: ; @_ZN7rocprim17ROCPRIM_400000_NS6detail17trampoline_kernelINS0_14default_configENS1_27scan_by_key_config_selectorIifEEZZNS1_16scan_by_key_implILNS1_25lookback_scan_determinismE0ELb1ES3_N6thrust23THRUST_200600_302600_NS6detail15normal_iteratorINS9_10device_ptrIiEEEENSB_INSC_IjEEEESE_fNS9_4plusIvEENS9_8equal_toIvEEfEE10hipError_tPvRmT2_T3_T4_T5_mT6_T7_P12ihipStream_tbENKUlT_T0_E_clISt17integral_constantIbLb0EES10_IbLb1EEEEDaSW_SX_EUlSW_E_NS1_11comp_targetILNS1_3genE2ELNS1_11target_archE906ELNS1_3gpuE6ELNS1_3repE0EEENS1_30default_config_static_selectorELNS0_4arch9wavefront6targetE1EEEvT1_
; %bb.0:
	.section	.rodata,"a",@progbits
	.p2align	6, 0x0
	.amdhsa_kernel _ZN7rocprim17ROCPRIM_400000_NS6detail17trampoline_kernelINS0_14default_configENS1_27scan_by_key_config_selectorIifEEZZNS1_16scan_by_key_implILNS1_25lookback_scan_determinismE0ELb1ES3_N6thrust23THRUST_200600_302600_NS6detail15normal_iteratorINS9_10device_ptrIiEEEENSB_INSC_IjEEEESE_fNS9_4plusIvEENS9_8equal_toIvEEfEE10hipError_tPvRmT2_T3_T4_T5_mT6_T7_P12ihipStream_tbENKUlT_T0_E_clISt17integral_constantIbLb0EES10_IbLb1EEEEDaSW_SX_EUlSW_E_NS1_11comp_targetILNS1_3genE2ELNS1_11target_archE906ELNS1_3gpuE6ELNS1_3repE0EEENS1_30default_config_static_selectorELNS0_4arch9wavefront6targetE1EEEvT1_
		.amdhsa_group_segment_fixed_size 0
		.amdhsa_private_segment_fixed_size 0
		.amdhsa_kernarg_size 112
		.amdhsa_user_sgpr_count 6
		.amdhsa_user_sgpr_private_segment_buffer 1
		.amdhsa_user_sgpr_dispatch_ptr 0
		.amdhsa_user_sgpr_queue_ptr 0
		.amdhsa_user_sgpr_kernarg_segment_ptr 1
		.amdhsa_user_sgpr_dispatch_id 0
		.amdhsa_user_sgpr_flat_scratch_init 0
		.amdhsa_user_sgpr_kernarg_preload_length 0
		.amdhsa_user_sgpr_kernarg_preload_offset 0
		.amdhsa_user_sgpr_private_segment_size 0
		.amdhsa_uses_dynamic_stack 0
		.amdhsa_system_sgpr_private_segment_wavefront_offset 0
		.amdhsa_system_sgpr_workgroup_id_x 1
		.amdhsa_system_sgpr_workgroup_id_y 0
		.amdhsa_system_sgpr_workgroup_id_z 0
		.amdhsa_system_sgpr_workgroup_info 0
		.amdhsa_system_vgpr_workitem_id 0
		.amdhsa_next_free_vgpr 1
		.amdhsa_next_free_sgpr 0
		.amdhsa_accum_offset 4
		.amdhsa_reserve_vcc 0
		.amdhsa_reserve_flat_scratch 0
		.amdhsa_float_round_mode_32 0
		.amdhsa_float_round_mode_16_64 0
		.amdhsa_float_denorm_mode_32 3
		.amdhsa_float_denorm_mode_16_64 3
		.amdhsa_dx10_clamp 1
		.amdhsa_ieee_mode 1
		.amdhsa_fp16_overflow 0
		.amdhsa_tg_split 0
		.amdhsa_exception_fp_ieee_invalid_op 0
		.amdhsa_exception_fp_denorm_src 0
		.amdhsa_exception_fp_ieee_div_zero 0
		.amdhsa_exception_fp_ieee_overflow 0
		.amdhsa_exception_fp_ieee_underflow 0
		.amdhsa_exception_fp_ieee_inexact 0
		.amdhsa_exception_int_div_zero 0
	.end_amdhsa_kernel
	.section	.text._ZN7rocprim17ROCPRIM_400000_NS6detail17trampoline_kernelINS0_14default_configENS1_27scan_by_key_config_selectorIifEEZZNS1_16scan_by_key_implILNS1_25lookback_scan_determinismE0ELb1ES3_N6thrust23THRUST_200600_302600_NS6detail15normal_iteratorINS9_10device_ptrIiEEEENSB_INSC_IjEEEESE_fNS9_4plusIvEENS9_8equal_toIvEEfEE10hipError_tPvRmT2_T3_T4_T5_mT6_T7_P12ihipStream_tbENKUlT_T0_E_clISt17integral_constantIbLb0EES10_IbLb1EEEEDaSW_SX_EUlSW_E_NS1_11comp_targetILNS1_3genE2ELNS1_11target_archE906ELNS1_3gpuE6ELNS1_3repE0EEENS1_30default_config_static_selectorELNS0_4arch9wavefront6targetE1EEEvT1_,"axG",@progbits,_ZN7rocprim17ROCPRIM_400000_NS6detail17trampoline_kernelINS0_14default_configENS1_27scan_by_key_config_selectorIifEEZZNS1_16scan_by_key_implILNS1_25lookback_scan_determinismE0ELb1ES3_N6thrust23THRUST_200600_302600_NS6detail15normal_iteratorINS9_10device_ptrIiEEEENSB_INSC_IjEEEESE_fNS9_4plusIvEENS9_8equal_toIvEEfEE10hipError_tPvRmT2_T3_T4_T5_mT6_T7_P12ihipStream_tbENKUlT_T0_E_clISt17integral_constantIbLb0EES10_IbLb1EEEEDaSW_SX_EUlSW_E_NS1_11comp_targetILNS1_3genE2ELNS1_11target_archE906ELNS1_3gpuE6ELNS1_3repE0EEENS1_30default_config_static_selectorELNS0_4arch9wavefront6targetE1EEEvT1_,comdat
.Lfunc_end1820:
	.size	_ZN7rocprim17ROCPRIM_400000_NS6detail17trampoline_kernelINS0_14default_configENS1_27scan_by_key_config_selectorIifEEZZNS1_16scan_by_key_implILNS1_25lookback_scan_determinismE0ELb1ES3_N6thrust23THRUST_200600_302600_NS6detail15normal_iteratorINS9_10device_ptrIiEEEENSB_INSC_IjEEEESE_fNS9_4plusIvEENS9_8equal_toIvEEfEE10hipError_tPvRmT2_T3_T4_T5_mT6_T7_P12ihipStream_tbENKUlT_T0_E_clISt17integral_constantIbLb0EES10_IbLb1EEEEDaSW_SX_EUlSW_E_NS1_11comp_targetILNS1_3genE2ELNS1_11target_archE906ELNS1_3gpuE6ELNS1_3repE0EEENS1_30default_config_static_selectorELNS0_4arch9wavefront6targetE1EEEvT1_, .Lfunc_end1820-_ZN7rocprim17ROCPRIM_400000_NS6detail17trampoline_kernelINS0_14default_configENS1_27scan_by_key_config_selectorIifEEZZNS1_16scan_by_key_implILNS1_25lookback_scan_determinismE0ELb1ES3_N6thrust23THRUST_200600_302600_NS6detail15normal_iteratorINS9_10device_ptrIiEEEENSB_INSC_IjEEEESE_fNS9_4plusIvEENS9_8equal_toIvEEfEE10hipError_tPvRmT2_T3_T4_T5_mT6_T7_P12ihipStream_tbENKUlT_T0_E_clISt17integral_constantIbLb0EES10_IbLb1EEEEDaSW_SX_EUlSW_E_NS1_11comp_targetILNS1_3genE2ELNS1_11target_archE906ELNS1_3gpuE6ELNS1_3repE0EEENS1_30default_config_static_selectorELNS0_4arch9wavefront6targetE1EEEvT1_
                                        ; -- End function
	.section	.AMDGPU.csdata,"",@progbits
; Kernel info:
; codeLenInByte = 0
; NumSgprs: 4
; NumVgprs: 0
; NumAgprs: 0
; TotalNumVgprs: 0
; ScratchSize: 0
; MemoryBound: 0
; FloatMode: 240
; IeeeMode: 1
; LDSByteSize: 0 bytes/workgroup (compile time only)
; SGPRBlocks: 0
; VGPRBlocks: 0
; NumSGPRsForWavesPerEU: 4
; NumVGPRsForWavesPerEU: 1
; AccumOffset: 4
; Occupancy: 8
; WaveLimiterHint : 0
; COMPUTE_PGM_RSRC2:SCRATCH_EN: 0
; COMPUTE_PGM_RSRC2:USER_SGPR: 6
; COMPUTE_PGM_RSRC2:TRAP_HANDLER: 0
; COMPUTE_PGM_RSRC2:TGID_X_EN: 1
; COMPUTE_PGM_RSRC2:TGID_Y_EN: 0
; COMPUTE_PGM_RSRC2:TGID_Z_EN: 0
; COMPUTE_PGM_RSRC2:TIDIG_COMP_CNT: 0
; COMPUTE_PGM_RSRC3_GFX90A:ACCUM_OFFSET: 0
; COMPUTE_PGM_RSRC3_GFX90A:TG_SPLIT: 0
	.section	.text._ZN7rocprim17ROCPRIM_400000_NS6detail17trampoline_kernelINS0_14default_configENS1_27scan_by_key_config_selectorIifEEZZNS1_16scan_by_key_implILNS1_25lookback_scan_determinismE0ELb1ES3_N6thrust23THRUST_200600_302600_NS6detail15normal_iteratorINS9_10device_ptrIiEEEENSB_INSC_IjEEEESE_fNS9_4plusIvEENS9_8equal_toIvEEfEE10hipError_tPvRmT2_T3_T4_T5_mT6_T7_P12ihipStream_tbENKUlT_T0_E_clISt17integral_constantIbLb0EES10_IbLb1EEEEDaSW_SX_EUlSW_E_NS1_11comp_targetILNS1_3genE10ELNS1_11target_archE1200ELNS1_3gpuE4ELNS1_3repE0EEENS1_30default_config_static_selectorELNS0_4arch9wavefront6targetE1EEEvT1_,"axG",@progbits,_ZN7rocprim17ROCPRIM_400000_NS6detail17trampoline_kernelINS0_14default_configENS1_27scan_by_key_config_selectorIifEEZZNS1_16scan_by_key_implILNS1_25lookback_scan_determinismE0ELb1ES3_N6thrust23THRUST_200600_302600_NS6detail15normal_iteratorINS9_10device_ptrIiEEEENSB_INSC_IjEEEESE_fNS9_4plusIvEENS9_8equal_toIvEEfEE10hipError_tPvRmT2_T3_T4_T5_mT6_T7_P12ihipStream_tbENKUlT_T0_E_clISt17integral_constantIbLb0EES10_IbLb1EEEEDaSW_SX_EUlSW_E_NS1_11comp_targetILNS1_3genE10ELNS1_11target_archE1200ELNS1_3gpuE4ELNS1_3repE0EEENS1_30default_config_static_selectorELNS0_4arch9wavefront6targetE1EEEvT1_,comdat
	.protected	_ZN7rocprim17ROCPRIM_400000_NS6detail17trampoline_kernelINS0_14default_configENS1_27scan_by_key_config_selectorIifEEZZNS1_16scan_by_key_implILNS1_25lookback_scan_determinismE0ELb1ES3_N6thrust23THRUST_200600_302600_NS6detail15normal_iteratorINS9_10device_ptrIiEEEENSB_INSC_IjEEEESE_fNS9_4plusIvEENS9_8equal_toIvEEfEE10hipError_tPvRmT2_T3_T4_T5_mT6_T7_P12ihipStream_tbENKUlT_T0_E_clISt17integral_constantIbLb0EES10_IbLb1EEEEDaSW_SX_EUlSW_E_NS1_11comp_targetILNS1_3genE10ELNS1_11target_archE1200ELNS1_3gpuE4ELNS1_3repE0EEENS1_30default_config_static_selectorELNS0_4arch9wavefront6targetE1EEEvT1_ ; -- Begin function _ZN7rocprim17ROCPRIM_400000_NS6detail17trampoline_kernelINS0_14default_configENS1_27scan_by_key_config_selectorIifEEZZNS1_16scan_by_key_implILNS1_25lookback_scan_determinismE0ELb1ES3_N6thrust23THRUST_200600_302600_NS6detail15normal_iteratorINS9_10device_ptrIiEEEENSB_INSC_IjEEEESE_fNS9_4plusIvEENS9_8equal_toIvEEfEE10hipError_tPvRmT2_T3_T4_T5_mT6_T7_P12ihipStream_tbENKUlT_T0_E_clISt17integral_constantIbLb0EES10_IbLb1EEEEDaSW_SX_EUlSW_E_NS1_11comp_targetILNS1_3genE10ELNS1_11target_archE1200ELNS1_3gpuE4ELNS1_3repE0EEENS1_30default_config_static_selectorELNS0_4arch9wavefront6targetE1EEEvT1_
	.globl	_ZN7rocprim17ROCPRIM_400000_NS6detail17trampoline_kernelINS0_14default_configENS1_27scan_by_key_config_selectorIifEEZZNS1_16scan_by_key_implILNS1_25lookback_scan_determinismE0ELb1ES3_N6thrust23THRUST_200600_302600_NS6detail15normal_iteratorINS9_10device_ptrIiEEEENSB_INSC_IjEEEESE_fNS9_4plusIvEENS9_8equal_toIvEEfEE10hipError_tPvRmT2_T3_T4_T5_mT6_T7_P12ihipStream_tbENKUlT_T0_E_clISt17integral_constantIbLb0EES10_IbLb1EEEEDaSW_SX_EUlSW_E_NS1_11comp_targetILNS1_3genE10ELNS1_11target_archE1200ELNS1_3gpuE4ELNS1_3repE0EEENS1_30default_config_static_selectorELNS0_4arch9wavefront6targetE1EEEvT1_
	.p2align	8
	.type	_ZN7rocprim17ROCPRIM_400000_NS6detail17trampoline_kernelINS0_14default_configENS1_27scan_by_key_config_selectorIifEEZZNS1_16scan_by_key_implILNS1_25lookback_scan_determinismE0ELb1ES3_N6thrust23THRUST_200600_302600_NS6detail15normal_iteratorINS9_10device_ptrIiEEEENSB_INSC_IjEEEESE_fNS9_4plusIvEENS9_8equal_toIvEEfEE10hipError_tPvRmT2_T3_T4_T5_mT6_T7_P12ihipStream_tbENKUlT_T0_E_clISt17integral_constantIbLb0EES10_IbLb1EEEEDaSW_SX_EUlSW_E_NS1_11comp_targetILNS1_3genE10ELNS1_11target_archE1200ELNS1_3gpuE4ELNS1_3repE0EEENS1_30default_config_static_selectorELNS0_4arch9wavefront6targetE1EEEvT1_,@function
_ZN7rocprim17ROCPRIM_400000_NS6detail17trampoline_kernelINS0_14default_configENS1_27scan_by_key_config_selectorIifEEZZNS1_16scan_by_key_implILNS1_25lookback_scan_determinismE0ELb1ES3_N6thrust23THRUST_200600_302600_NS6detail15normal_iteratorINS9_10device_ptrIiEEEENSB_INSC_IjEEEESE_fNS9_4plusIvEENS9_8equal_toIvEEfEE10hipError_tPvRmT2_T3_T4_T5_mT6_T7_P12ihipStream_tbENKUlT_T0_E_clISt17integral_constantIbLb0EES10_IbLb1EEEEDaSW_SX_EUlSW_E_NS1_11comp_targetILNS1_3genE10ELNS1_11target_archE1200ELNS1_3gpuE4ELNS1_3repE0EEENS1_30default_config_static_selectorELNS0_4arch9wavefront6targetE1EEEvT1_: ; @_ZN7rocprim17ROCPRIM_400000_NS6detail17trampoline_kernelINS0_14default_configENS1_27scan_by_key_config_selectorIifEEZZNS1_16scan_by_key_implILNS1_25lookback_scan_determinismE0ELb1ES3_N6thrust23THRUST_200600_302600_NS6detail15normal_iteratorINS9_10device_ptrIiEEEENSB_INSC_IjEEEESE_fNS9_4plusIvEENS9_8equal_toIvEEfEE10hipError_tPvRmT2_T3_T4_T5_mT6_T7_P12ihipStream_tbENKUlT_T0_E_clISt17integral_constantIbLb0EES10_IbLb1EEEEDaSW_SX_EUlSW_E_NS1_11comp_targetILNS1_3genE10ELNS1_11target_archE1200ELNS1_3gpuE4ELNS1_3repE0EEENS1_30default_config_static_selectorELNS0_4arch9wavefront6targetE1EEEvT1_
; %bb.0:
	.section	.rodata,"a",@progbits
	.p2align	6, 0x0
	.amdhsa_kernel _ZN7rocprim17ROCPRIM_400000_NS6detail17trampoline_kernelINS0_14default_configENS1_27scan_by_key_config_selectorIifEEZZNS1_16scan_by_key_implILNS1_25lookback_scan_determinismE0ELb1ES3_N6thrust23THRUST_200600_302600_NS6detail15normal_iteratorINS9_10device_ptrIiEEEENSB_INSC_IjEEEESE_fNS9_4plusIvEENS9_8equal_toIvEEfEE10hipError_tPvRmT2_T3_T4_T5_mT6_T7_P12ihipStream_tbENKUlT_T0_E_clISt17integral_constantIbLb0EES10_IbLb1EEEEDaSW_SX_EUlSW_E_NS1_11comp_targetILNS1_3genE10ELNS1_11target_archE1200ELNS1_3gpuE4ELNS1_3repE0EEENS1_30default_config_static_selectorELNS0_4arch9wavefront6targetE1EEEvT1_
		.amdhsa_group_segment_fixed_size 0
		.amdhsa_private_segment_fixed_size 0
		.amdhsa_kernarg_size 112
		.amdhsa_user_sgpr_count 6
		.amdhsa_user_sgpr_private_segment_buffer 1
		.amdhsa_user_sgpr_dispatch_ptr 0
		.amdhsa_user_sgpr_queue_ptr 0
		.amdhsa_user_sgpr_kernarg_segment_ptr 1
		.amdhsa_user_sgpr_dispatch_id 0
		.amdhsa_user_sgpr_flat_scratch_init 0
		.amdhsa_user_sgpr_kernarg_preload_length 0
		.amdhsa_user_sgpr_kernarg_preload_offset 0
		.amdhsa_user_sgpr_private_segment_size 0
		.amdhsa_uses_dynamic_stack 0
		.amdhsa_system_sgpr_private_segment_wavefront_offset 0
		.amdhsa_system_sgpr_workgroup_id_x 1
		.amdhsa_system_sgpr_workgroup_id_y 0
		.amdhsa_system_sgpr_workgroup_id_z 0
		.amdhsa_system_sgpr_workgroup_info 0
		.amdhsa_system_vgpr_workitem_id 0
		.amdhsa_next_free_vgpr 1
		.amdhsa_next_free_sgpr 0
		.amdhsa_accum_offset 4
		.amdhsa_reserve_vcc 0
		.amdhsa_reserve_flat_scratch 0
		.amdhsa_float_round_mode_32 0
		.amdhsa_float_round_mode_16_64 0
		.amdhsa_float_denorm_mode_32 3
		.amdhsa_float_denorm_mode_16_64 3
		.amdhsa_dx10_clamp 1
		.amdhsa_ieee_mode 1
		.amdhsa_fp16_overflow 0
		.amdhsa_tg_split 0
		.amdhsa_exception_fp_ieee_invalid_op 0
		.amdhsa_exception_fp_denorm_src 0
		.amdhsa_exception_fp_ieee_div_zero 0
		.amdhsa_exception_fp_ieee_overflow 0
		.amdhsa_exception_fp_ieee_underflow 0
		.amdhsa_exception_fp_ieee_inexact 0
		.amdhsa_exception_int_div_zero 0
	.end_amdhsa_kernel
	.section	.text._ZN7rocprim17ROCPRIM_400000_NS6detail17trampoline_kernelINS0_14default_configENS1_27scan_by_key_config_selectorIifEEZZNS1_16scan_by_key_implILNS1_25lookback_scan_determinismE0ELb1ES3_N6thrust23THRUST_200600_302600_NS6detail15normal_iteratorINS9_10device_ptrIiEEEENSB_INSC_IjEEEESE_fNS9_4plusIvEENS9_8equal_toIvEEfEE10hipError_tPvRmT2_T3_T4_T5_mT6_T7_P12ihipStream_tbENKUlT_T0_E_clISt17integral_constantIbLb0EES10_IbLb1EEEEDaSW_SX_EUlSW_E_NS1_11comp_targetILNS1_3genE10ELNS1_11target_archE1200ELNS1_3gpuE4ELNS1_3repE0EEENS1_30default_config_static_selectorELNS0_4arch9wavefront6targetE1EEEvT1_,"axG",@progbits,_ZN7rocprim17ROCPRIM_400000_NS6detail17trampoline_kernelINS0_14default_configENS1_27scan_by_key_config_selectorIifEEZZNS1_16scan_by_key_implILNS1_25lookback_scan_determinismE0ELb1ES3_N6thrust23THRUST_200600_302600_NS6detail15normal_iteratorINS9_10device_ptrIiEEEENSB_INSC_IjEEEESE_fNS9_4plusIvEENS9_8equal_toIvEEfEE10hipError_tPvRmT2_T3_T4_T5_mT6_T7_P12ihipStream_tbENKUlT_T0_E_clISt17integral_constantIbLb0EES10_IbLb1EEEEDaSW_SX_EUlSW_E_NS1_11comp_targetILNS1_3genE10ELNS1_11target_archE1200ELNS1_3gpuE4ELNS1_3repE0EEENS1_30default_config_static_selectorELNS0_4arch9wavefront6targetE1EEEvT1_,comdat
.Lfunc_end1821:
	.size	_ZN7rocprim17ROCPRIM_400000_NS6detail17trampoline_kernelINS0_14default_configENS1_27scan_by_key_config_selectorIifEEZZNS1_16scan_by_key_implILNS1_25lookback_scan_determinismE0ELb1ES3_N6thrust23THRUST_200600_302600_NS6detail15normal_iteratorINS9_10device_ptrIiEEEENSB_INSC_IjEEEESE_fNS9_4plusIvEENS9_8equal_toIvEEfEE10hipError_tPvRmT2_T3_T4_T5_mT6_T7_P12ihipStream_tbENKUlT_T0_E_clISt17integral_constantIbLb0EES10_IbLb1EEEEDaSW_SX_EUlSW_E_NS1_11comp_targetILNS1_3genE10ELNS1_11target_archE1200ELNS1_3gpuE4ELNS1_3repE0EEENS1_30default_config_static_selectorELNS0_4arch9wavefront6targetE1EEEvT1_, .Lfunc_end1821-_ZN7rocprim17ROCPRIM_400000_NS6detail17trampoline_kernelINS0_14default_configENS1_27scan_by_key_config_selectorIifEEZZNS1_16scan_by_key_implILNS1_25lookback_scan_determinismE0ELb1ES3_N6thrust23THRUST_200600_302600_NS6detail15normal_iteratorINS9_10device_ptrIiEEEENSB_INSC_IjEEEESE_fNS9_4plusIvEENS9_8equal_toIvEEfEE10hipError_tPvRmT2_T3_T4_T5_mT6_T7_P12ihipStream_tbENKUlT_T0_E_clISt17integral_constantIbLb0EES10_IbLb1EEEEDaSW_SX_EUlSW_E_NS1_11comp_targetILNS1_3genE10ELNS1_11target_archE1200ELNS1_3gpuE4ELNS1_3repE0EEENS1_30default_config_static_selectorELNS0_4arch9wavefront6targetE1EEEvT1_
                                        ; -- End function
	.section	.AMDGPU.csdata,"",@progbits
; Kernel info:
; codeLenInByte = 0
; NumSgprs: 4
; NumVgprs: 0
; NumAgprs: 0
; TotalNumVgprs: 0
; ScratchSize: 0
; MemoryBound: 0
; FloatMode: 240
; IeeeMode: 1
; LDSByteSize: 0 bytes/workgroup (compile time only)
; SGPRBlocks: 0
; VGPRBlocks: 0
; NumSGPRsForWavesPerEU: 4
; NumVGPRsForWavesPerEU: 1
; AccumOffset: 4
; Occupancy: 8
; WaveLimiterHint : 0
; COMPUTE_PGM_RSRC2:SCRATCH_EN: 0
; COMPUTE_PGM_RSRC2:USER_SGPR: 6
; COMPUTE_PGM_RSRC2:TRAP_HANDLER: 0
; COMPUTE_PGM_RSRC2:TGID_X_EN: 1
; COMPUTE_PGM_RSRC2:TGID_Y_EN: 0
; COMPUTE_PGM_RSRC2:TGID_Z_EN: 0
; COMPUTE_PGM_RSRC2:TIDIG_COMP_CNT: 0
; COMPUTE_PGM_RSRC3_GFX90A:ACCUM_OFFSET: 0
; COMPUTE_PGM_RSRC3_GFX90A:TG_SPLIT: 0
	.section	.text._ZN7rocprim17ROCPRIM_400000_NS6detail17trampoline_kernelINS0_14default_configENS1_27scan_by_key_config_selectorIifEEZZNS1_16scan_by_key_implILNS1_25lookback_scan_determinismE0ELb1ES3_N6thrust23THRUST_200600_302600_NS6detail15normal_iteratorINS9_10device_ptrIiEEEENSB_INSC_IjEEEESE_fNS9_4plusIvEENS9_8equal_toIvEEfEE10hipError_tPvRmT2_T3_T4_T5_mT6_T7_P12ihipStream_tbENKUlT_T0_E_clISt17integral_constantIbLb0EES10_IbLb1EEEEDaSW_SX_EUlSW_E_NS1_11comp_targetILNS1_3genE9ELNS1_11target_archE1100ELNS1_3gpuE3ELNS1_3repE0EEENS1_30default_config_static_selectorELNS0_4arch9wavefront6targetE1EEEvT1_,"axG",@progbits,_ZN7rocprim17ROCPRIM_400000_NS6detail17trampoline_kernelINS0_14default_configENS1_27scan_by_key_config_selectorIifEEZZNS1_16scan_by_key_implILNS1_25lookback_scan_determinismE0ELb1ES3_N6thrust23THRUST_200600_302600_NS6detail15normal_iteratorINS9_10device_ptrIiEEEENSB_INSC_IjEEEESE_fNS9_4plusIvEENS9_8equal_toIvEEfEE10hipError_tPvRmT2_T3_T4_T5_mT6_T7_P12ihipStream_tbENKUlT_T0_E_clISt17integral_constantIbLb0EES10_IbLb1EEEEDaSW_SX_EUlSW_E_NS1_11comp_targetILNS1_3genE9ELNS1_11target_archE1100ELNS1_3gpuE3ELNS1_3repE0EEENS1_30default_config_static_selectorELNS0_4arch9wavefront6targetE1EEEvT1_,comdat
	.protected	_ZN7rocprim17ROCPRIM_400000_NS6detail17trampoline_kernelINS0_14default_configENS1_27scan_by_key_config_selectorIifEEZZNS1_16scan_by_key_implILNS1_25lookback_scan_determinismE0ELb1ES3_N6thrust23THRUST_200600_302600_NS6detail15normal_iteratorINS9_10device_ptrIiEEEENSB_INSC_IjEEEESE_fNS9_4plusIvEENS9_8equal_toIvEEfEE10hipError_tPvRmT2_T3_T4_T5_mT6_T7_P12ihipStream_tbENKUlT_T0_E_clISt17integral_constantIbLb0EES10_IbLb1EEEEDaSW_SX_EUlSW_E_NS1_11comp_targetILNS1_3genE9ELNS1_11target_archE1100ELNS1_3gpuE3ELNS1_3repE0EEENS1_30default_config_static_selectorELNS0_4arch9wavefront6targetE1EEEvT1_ ; -- Begin function _ZN7rocprim17ROCPRIM_400000_NS6detail17trampoline_kernelINS0_14default_configENS1_27scan_by_key_config_selectorIifEEZZNS1_16scan_by_key_implILNS1_25lookback_scan_determinismE0ELb1ES3_N6thrust23THRUST_200600_302600_NS6detail15normal_iteratorINS9_10device_ptrIiEEEENSB_INSC_IjEEEESE_fNS9_4plusIvEENS9_8equal_toIvEEfEE10hipError_tPvRmT2_T3_T4_T5_mT6_T7_P12ihipStream_tbENKUlT_T0_E_clISt17integral_constantIbLb0EES10_IbLb1EEEEDaSW_SX_EUlSW_E_NS1_11comp_targetILNS1_3genE9ELNS1_11target_archE1100ELNS1_3gpuE3ELNS1_3repE0EEENS1_30default_config_static_selectorELNS0_4arch9wavefront6targetE1EEEvT1_
	.globl	_ZN7rocprim17ROCPRIM_400000_NS6detail17trampoline_kernelINS0_14default_configENS1_27scan_by_key_config_selectorIifEEZZNS1_16scan_by_key_implILNS1_25lookback_scan_determinismE0ELb1ES3_N6thrust23THRUST_200600_302600_NS6detail15normal_iteratorINS9_10device_ptrIiEEEENSB_INSC_IjEEEESE_fNS9_4plusIvEENS9_8equal_toIvEEfEE10hipError_tPvRmT2_T3_T4_T5_mT6_T7_P12ihipStream_tbENKUlT_T0_E_clISt17integral_constantIbLb0EES10_IbLb1EEEEDaSW_SX_EUlSW_E_NS1_11comp_targetILNS1_3genE9ELNS1_11target_archE1100ELNS1_3gpuE3ELNS1_3repE0EEENS1_30default_config_static_selectorELNS0_4arch9wavefront6targetE1EEEvT1_
	.p2align	8
	.type	_ZN7rocprim17ROCPRIM_400000_NS6detail17trampoline_kernelINS0_14default_configENS1_27scan_by_key_config_selectorIifEEZZNS1_16scan_by_key_implILNS1_25lookback_scan_determinismE0ELb1ES3_N6thrust23THRUST_200600_302600_NS6detail15normal_iteratorINS9_10device_ptrIiEEEENSB_INSC_IjEEEESE_fNS9_4plusIvEENS9_8equal_toIvEEfEE10hipError_tPvRmT2_T3_T4_T5_mT6_T7_P12ihipStream_tbENKUlT_T0_E_clISt17integral_constantIbLb0EES10_IbLb1EEEEDaSW_SX_EUlSW_E_NS1_11comp_targetILNS1_3genE9ELNS1_11target_archE1100ELNS1_3gpuE3ELNS1_3repE0EEENS1_30default_config_static_selectorELNS0_4arch9wavefront6targetE1EEEvT1_,@function
_ZN7rocprim17ROCPRIM_400000_NS6detail17trampoline_kernelINS0_14default_configENS1_27scan_by_key_config_selectorIifEEZZNS1_16scan_by_key_implILNS1_25lookback_scan_determinismE0ELb1ES3_N6thrust23THRUST_200600_302600_NS6detail15normal_iteratorINS9_10device_ptrIiEEEENSB_INSC_IjEEEESE_fNS9_4plusIvEENS9_8equal_toIvEEfEE10hipError_tPvRmT2_T3_T4_T5_mT6_T7_P12ihipStream_tbENKUlT_T0_E_clISt17integral_constantIbLb0EES10_IbLb1EEEEDaSW_SX_EUlSW_E_NS1_11comp_targetILNS1_3genE9ELNS1_11target_archE1100ELNS1_3gpuE3ELNS1_3repE0EEENS1_30default_config_static_selectorELNS0_4arch9wavefront6targetE1EEEvT1_: ; @_ZN7rocprim17ROCPRIM_400000_NS6detail17trampoline_kernelINS0_14default_configENS1_27scan_by_key_config_selectorIifEEZZNS1_16scan_by_key_implILNS1_25lookback_scan_determinismE0ELb1ES3_N6thrust23THRUST_200600_302600_NS6detail15normal_iteratorINS9_10device_ptrIiEEEENSB_INSC_IjEEEESE_fNS9_4plusIvEENS9_8equal_toIvEEfEE10hipError_tPvRmT2_T3_T4_T5_mT6_T7_P12ihipStream_tbENKUlT_T0_E_clISt17integral_constantIbLb0EES10_IbLb1EEEEDaSW_SX_EUlSW_E_NS1_11comp_targetILNS1_3genE9ELNS1_11target_archE1100ELNS1_3gpuE3ELNS1_3repE0EEENS1_30default_config_static_selectorELNS0_4arch9wavefront6targetE1EEEvT1_
; %bb.0:
	.section	.rodata,"a",@progbits
	.p2align	6, 0x0
	.amdhsa_kernel _ZN7rocprim17ROCPRIM_400000_NS6detail17trampoline_kernelINS0_14default_configENS1_27scan_by_key_config_selectorIifEEZZNS1_16scan_by_key_implILNS1_25lookback_scan_determinismE0ELb1ES3_N6thrust23THRUST_200600_302600_NS6detail15normal_iteratorINS9_10device_ptrIiEEEENSB_INSC_IjEEEESE_fNS9_4plusIvEENS9_8equal_toIvEEfEE10hipError_tPvRmT2_T3_T4_T5_mT6_T7_P12ihipStream_tbENKUlT_T0_E_clISt17integral_constantIbLb0EES10_IbLb1EEEEDaSW_SX_EUlSW_E_NS1_11comp_targetILNS1_3genE9ELNS1_11target_archE1100ELNS1_3gpuE3ELNS1_3repE0EEENS1_30default_config_static_selectorELNS0_4arch9wavefront6targetE1EEEvT1_
		.amdhsa_group_segment_fixed_size 0
		.amdhsa_private_segment_fixed_size 0
		.amdhsa_kernarg_size 112
		.amdhsa_user_sgpr_count 6
		.amdhsa_user_sgpr_private_segment_buffer 1
		.amdhsa_user_sgpr_dispatch_ptr 0
		.amdhsa_user_sgpr_queue_ptr 0
		.amdhsa_user_sgpr_kernarg_segment_ptr 1
		.amdhsa_user_sgpr_dispatch_id 0
		.amdhsa_user_sgpr_flat_scratch_init 0
		.amdhsa_user_sgpr_kernarg_preload_length 0
		.amdhsa_user_sgpr_kernarg_preload_offset 0
		.amdhsa_user_sgpr_private_segment_size 0
		.amdhsa_uses_dynamic_stack 0
		.amdhsa_system_sgpr_private_segment_wavefront_offset 0
		.amdhsa_system_sgpr_workgroup_id_x 1
		.amdhsa_system_sgpr_workgroup_id_y 0
		.amdhsa_system_sgpr_workgroup_id_z 0
		.amdhsa_system_sgpr_workgroup_info 0
		.amdhsa_system_vgpr_workitem_id 0
		.amdhsa_next_free_vgpr 1
		.amdhsa_next_free_sgpr 0
		.amdhsa_accum_offset 4
		.amdhsa_reserve_vcc 0
		.amdhsa_reserve_flat_scratch 0
		.amdhsa_float_round_mode_32 0
		.amdhsa_float_round_mode_16_64 0
		.amdhsa_float_denorm_mode_32 3
		.amdhsa_float_denorm_mode_16_64 3
		.amdhsa_dx10_clamp 1
		.amdhsa_ieee_mode 1
		.amdhsa_fp16_overflow 0
		.amdhsa_tg_split 0
		.amdhsa_exception_fp_ieee_invalid_op 0
		.amdhsa_exception_fp_denorm_src 0
		.amdhsa_exception_fp_ieee_div_zero 0
		.amdhsa_exception_fp_ieee_overflow 0
		.amdhsa_exception_fp_ieee_underflow 0
		.amdhsa_exception_fp_ieee_inexact 0
		.amdhsa_exception_int_div_zero 0
	.end_amdhsa_kernel
	.section	.text._ZN7rocprim17ROCPRIM_400000_NS6detail17trampoline_kernelINS0_14default_configENS1_27scan_by_key_config_selectorIifEEZZNS1_16scan_by_key_implILNS1_25lookback_scan_determinismE0ELb1ES3_N6thrust23THRUST_200600_302600_NS6detail15normal_iteratorINS9_10device_ptrIiEEEENSB_INSC_IjEEEESE_fNS9_4plusIvEENS9_8equal_toIvEEfEE10hipError_tPvRmT2_T3_T4_T5_mT6_T7_P12ihipStream_tbENKUlT_T0_E_clISt17integral_constantIbLb0EES10_IbLb1EEEEDaSW_SX_EUlSW_E_NS1_11comp_targetILNS1_3genE9ELNS1_11target_archE1100ELNS1_3gpuE3ELNS1_3repE0EEENS1_30default_config_static_selectorELNS0_4arch9wavefront6targetE1EEEvT1_,"axG",@progbits,_ZN7rocprim17ROCPRIM_400000_NS6detail17trampoline_kernelINS0_14default_configENS1_27scan_by_key_config_selectorIifEEZZNS1_16scan_by_key_implILNS1_25lookback_scan_determinismE0ELb1ES3_N6thrust23THRUST_200600_302600_NS6detail15normal_iteratorINS9_10device_ptrIiEEEENSB_INSC_IjEEEESE_fNS9_4plusIvEENS9_8equal_toIvEEfEE10hipError_tPvRmT2_T3_T4_T5_mT6_T7_P12ihipStream_tbENKUlT_T0_E_clISt17integral_constantIbLb0EES10_IbLb1EEEEDaSW_SX_EUlSW_E_NS1_11comp_targetILNS1_3genE9ELNS1_11target_archE1100ELNS1_3gpuE3ELNS1_3repE0EEENS1_30default_config_static_selectorELNS0_4arch9wavefront6targetE1EEEvT1_,comdat
.Lfunc_end1822:
	.size	_ZN7rocprim17ROCPRIM_400000_NS6detail17trampoline_kernelINS0_14default_configENS1_27scan_by_key_config_selectorIifEEZZNS1_16scan_by_key_implILNS1_25lookback_scan_determinismE0ELb1ES3_N6thrust23THRUST_200600_302600_NS6detail15normal_iteratorINS9_10device_ptrIiEEEENSB_INSC_IjEEEESE_fNS9_4plusIvEENS9_8equal_toIvEEfEE10hipError_tPvRmT2_T3_T4_T5_mT6_T7_P12ihipStream_tbENKUlT_T0_E_clISt17integral_constantIbLb0EES10_IbLb1EEEEDaSW_SX_EUlSW_E_NS1_11comp_targetILNS1_3genE9ELNS1_11target_archE1100ELNS1_3gpuE3ELNS1_3repE0EEENS1_30default_config_static_selectorELNS0_4arch9wavefront6targetE1EEEvT1_, .Lfunc_end1822-_ZN7rocprim17ROCPRIM_400000_NS6detail17trampoline_kernelINS0_14default_configENS1_27scan_by_key_config_selectorIifEEZZNS1_16scan_by_key_implILNS1_25lookback_scan_determinismE0ELb1ES3_N6thrust23THRUST_200600_302600_NS6detail15normal_iteratorINS9_10device_ptrIiEEEENSB_INSC_IjEEEESE_fNS9_4plusIvEENS9_8equal_toIvEEfEE10hipError_tPvRmT2_T3_T4_T5_mT6_T7_P12ihipStream_tbENKUlT_T0_E_clISt17integral_constantIbLb0EES10_IbLb1EEEEDaSW_SX_EUlSW_E_NS1_11comp_targetILNS1_3genE9ELNS1_11target_archE1100ELNS1_3gpuE3ELNS1_3repE0EEENS1_30default_config_static_selectorELNS0_4arch9wavefront6targetE1EEEvT1_
                                        ; -- End function
	.section	.AMDGPU.csdata,"",@progbits
; Kernel info:
; codeLenInByte = 0
; NumSgprs: 4
; NumVgprs: 0
; NumAgprs: 0
; TotalNumVgprs: 0
; ScratchSize: 0
; MemoryBound: 0
; FloatMode: 240
; IeeeMode: 1
; LDSByteSize: 0 bytes/workgroup (compile time only)
; SGPRBlocks: 0
; VGPRBlocks: 0
; NumSGPRsForWavesPerEU: 4
; NumVGPRsForWavesPerEU: 1
; AccumOffset: 4
; Occupancy: 8
; WaveLimiterHint : 0
; COMPUTE_PGM_RSRC2:SCRATCH_EN: 0
; COMPUTE_PGM_RSRC2:USER_SGPR: 6
; COMPUTE_PGM_RSRC2:TRAP_HANDLER: 0
; COMPUTE_PGM_RSRC2:TGID_X_EN: 1
; COMPUTE_PGM_RSRC2:TGID_Y_EN: 0
; COMPUTE_PGM_RSRC2:TGID_Z_EN: 0
; COMPUTE_PGM_RSRC2:TIDIG_COMP_CNT: 0
; COMPUTE_PGM_RSRC3_GFX90A:ACCUM_OFFSET: 0
; COMPUTE_PGM_RSRC3_GFX90A:TG_SPLIT: 0
	.section	.text._ZN7rocprim17ROCPRIM_400000_NS6detail17trampoline_kernelINS0_14default_configENS1_27scan_by_key_config_selectorIifEEZZNS1_16scan_by_key_implILNS1_25lookback_scan_determinismE0ELb1ES3_N6thrust23THRUST_200600_302600_NS6detail15normal_iteratorINS9_10device_ptrIiEEEENSB_INSC_IjEEEESE_fNS9_4plusIvEENS9_8equal_toIvEEfEE10hipError_tPvRmT2_T3_T4_T5_mT6_T7_P12ihipStream_tbENKUlT_T0_E_clISt17integral_constantIbLb0EES10_IbLb1EEEEDaSW_SX_EUlSW_E_NS1_11comp_targetILNS1_3genE8ELNS1_11target_archE1030ELNS1_3gpuE2ELNS1_3repE0EEENS1_30default_config_static_selectorELNS0_4arch9wavefront6targetE1EEEvT1_,"axG",@progbits,_ZN7rocprim17ROCPRIM_400000_NS6detail17trampoline_kernelINS0_14default_configENS1_27scan_by_key_config_selectorIifEEZZNS1_16scan_by_key_implILNS1_25lookback_scan_determinismE0ELb1ES3_N6thrust23THRUST_200600_302600_NS6detail15normal_iteratorINS9_10device_ptrIiEEEENSB_INSC_IjEEEESE_fNS9_4plusIvEENS9_8equal_toIvEEfEE10hipError_tPvRmT2_T3_T4_T5_mT6_T7_P12ihipStream_tbENKUlT_T0_E_clISt17integral_constantIbLb0EES10_IbLb1EEEEDaSW_SX_EUlSW_E_NS1_11comp_targetILNS1_3genE8ELNS1_11target_archE1030ELNS1_3gpuE2ELNS1_3repE0EEENS1_30default_config_static_selectorELNS0_4arch9wavefront6targetE1EEEvT1_,comdat
	.protected	_ZN7rocprim17ROCPRIM_400000_NS6detail17trampoline_kernelINS0_14default_configENS1_27scan_by_key_config_selectorIifEEZZNS1_16scan_by_key_implILNS1_25lookback_scan_determinismE0ELb1ES3_N6thrust23THRUST_200600_302600_NS6detail15normal_iteratorINS9_10device_ptrIiEEEENSB_INSC_IjEEEESE_fNS9_4plusIvEENS9_8equal_toIvEEfEE10hipError_tPvRmT2_T3_T4_T5_mT6_T7_P12ihipStream_tbENKUlT_T0_E_clISt17integral_constantIbLb0EES10_IbLb1EEEEDaSW_SX_EUlSW_E_NS1_11comp_targetILNS1_3genE8ELNS1_11target_archE1030ELNS1_3gpuE2ELNS1_3repE0EEENS1_30default_config_static_selectorELNS0_4arch9wavefront6targetE1EEEvT1_ ; -- Begin function _ZN7rocprim17ROCPRIM_400000_NS6detail17trampoline_kernelINS0_14default_configENS1_27scan_by_key_config_selectorIifEEZZNS1_16scan_by_key_implILNS1_25lookback_scan_determinismE0ELb1ES3_N6thrust23THRUST_200600_302600_NS6detail15normal_iteratorINS9_10device_ptrIiEEEENSB_INSC_IjEEEESE_fNS9_4plusIvEENS9_8equal_toIvEEfEE10hipError_tPvRmT2_T3_T4_T5_mT6_T7_P12ihipStream_tbENKUlT_T0_E_clISt17integral_constantIbLb0EES10_IbLb1EEEEDaSW_SX_EUlSW_E_NS1_11comp_targetILNS1_3genE8ELNS1_11target_archE1030ELNS1_3gpuE2ELNS1_3repE0EEENS1_30default_config_static_selectorELNS0_4arch9wavefront6targetE1EEEvT1_
	.globl	_ZN7rocprim17ROCPRIM_400000_NS6detail17trampoline_kernelINS0_14default_configENS1_27scan_by_key_config_selectorIifEEZZNS1_16scan_by_key_implILNS1_25lookback_scan_determinismE0ELb1ES3_N6thrust23THRUST_200600_302600_NS6detail15normal_iteratorINS9_10device_ptrIiEEEENSB_INSC_IjEEEESE_fNS9_4plusIvEENS9_8equal_toIvEEfEE10hipError_tPvRmT2_T3_T4_T5_mT6_T7_P12ihipStream_tbENKUlT_T0_E_clISt17integral_constantIbLb0EES10_IbLb1EEEEDaSW_SX_EUlSW_E_NS1_11comp_targetILNS1_3genE8ELNS1_11target_archE1030ELNS1_3gpuE2ELNS1_3repE0EEENS1_30default_config_static_selectorELNS0_4arch9wavefront6targetE1EEEvT1_
	.p2align	8
	.type	_ZN7rocprim17ROCPRIM_400000_NS6detail17trampoline_kernelINS0_14default_configENS1_27scan_by_key_config_selectorIifEEZZNS1_16scan_by_key_implILNS1_25lookback_scan_determinismE0ELb1ES3_N6thrust23THRUST_200600_302600_NS6detail15normal_iteratorINS9_10device_ptrIiEEEENSB_INSC_IjEEEESE_fNS9_4plusIvEENS9_8equal_toIvEEfEE10hipError_tPvRmT2_T3_T4_T5_mT6_T7_P12ihipStream_tbENKUlT_T0_E_clISt17integral_constantIbLb0EES10_IbLb1EEEEDaSW_SX_EUlSW_E_NS1_11comp_targetILNS1_3genE8ELNS1_11target_archE1030ELNS1_3gpuE2ELNS1_3repE0EEENS1_30default_config_static_selectorELNS0_4arch9wavefront6targetE1EEEvT1_,@function
_ZN7rocprim17ROCPRIM_400000_NS6detail17trampoline_kernelINS0_14default_configENS1_27scan_by_key_config_selectorIifEEZZNS1_16scan_by_key_implILNS1_25lookback_scan_determinismE0ELb1ES3_N6thrust23THRUST_200600_302600_NS6detail15normal_iteratorINS9_10device_ptrIiEEEENSB_INSC_IjEEEESE_fNS9_4plusIvEENS9_8equal_toIvEEfEE10hipError_tPvRmT2_T3_T4_T5_mT6_T7_P12ihipStream_tbENKUlT_T0_E_clISt17integral_constantIbLb0EES10_IbLb1EEEEDaSW_SX_EUlSW_E_NS1_11comp_targetILNS1_3genE8ELNS1_11target_archE1030ELNS1_3gpuE2ELNS1_3repE0EEENS1_30default_config_static_selectorELNS0_4arch9wavefront6targetE1EEEvT1_: ; @_ZN7rocprim17ROCPRIM_400000_NS6detail17trampoline_kernelINS0_14default_configENS1_27scan_by_key_config_selectorIifEEZZNS1_16scan_by_key_implILNS1_25lookback_scan_determinismE0ELb1ES3_N6thrust23THRUST_200600_302600_NS6detail15normal_iteratorINS9_10device_ptrIiEEEENSB_INSC_IjEEEESE_fNS9_4plusIvEENS9_8equal_toIvEEfEE10hipError_tPvRmT2_T3_T4_T5_mT6_T7_P12ihipStream_tbENKUlT_T0_E_clISt17integral_constantIbLb0EES10_IbLb1EEEEDaSW_SX_EUlSW_E_NS1_11comp_targetILNS1_3genE8ELNS1_11target_archE1030ELNS1_3gpuE2ELNS1_3repE0EEENS1_30default_config_static_selectorELNS0_4arch9wavefront6targetE1EEEvT1_
; %bb.0:
	.section	.rodata,"a",@progbits
	.p2align	6, 0x0
	.amdhsa_kernel _ZN7rocprim17ROCPRIM_400000_NS6detail17trampoline_kernelINS0_14default_configENS1_27scan_by_key_config_selectorIifEEZZNS1_16scan_by_key_implILNS1_25lookback_scan_determinismE0ELb1ES3_N6thrust23THRUST_200600_302600_NS6detail15normal_iteratorINS9_10device_ptrIiEEEENSB_INSC_IjEEEESE_fNS9_4plusIvEENS9_8equal_toIvEEfEE10hipError_tPvRmT2_T3_T4_T5_mT6_T7_P12ihipStream_tbENKUlT_T0_E_clISt17integral_constantIbLb0EES10_IbLb1EEEEDaSW_SX_EUlSW_E_NS1_11comp_targetILNS1_3genE8ELNS1_11target_archE1030ELNS1_3gpuE2ELNS1_3repE0EEENS1_30default_config_static_selectorELNS0_4arch9wavefront6targetE1EEEvT1_
		.amdhsa_group_segment_fixed_size 0
		.amdhsa_private_segment_fixed_size 0
		.amdhsa_kernarg_size 112
		.amdhsa_user_sgpr_count 6
		.amdhsa_user_sgpr_private_segment_buffer 1
		.amdhsa_user_sgpr_dispatch_ptr 0
		.amdhsa_user_sgpr_queue_ptr 0
		.amdhsa_user_sgpr_kernarg_segment_ptr 1
		.amdhsa_user_sgpr_dispatch_id 0
		.amdhsa_user_sgpr_flat_scratch_init 0
		.amdhsa_user_sgpr_kernarg_preload_length 0
		.amdhsa_user_sgpr_kernarg_preload_offset 0
		.amdhsa_user_sgpr_private_segment_size 0
		.amdhsa_uses_dynamic_stack 0
		.amdhsa_system_sgpr_private_segment_wavefront_offset 0
		.amdhsa_system_sgpr_workgroup_id_x 1
		.amdhsa_system_sgpr_workgroup_id_y 0
		.amdhsa_system_sgpr_workgroup_id_z 0
		.amdhsa_system_sgpr_workgroup_info 0
		.amdhsa_system_vgpr_workitem_id 0
		.amdhsa_next_free_vgpr 1
		.amdhsa_next_free_sgpr 0
		.amdhsa_accum_offset 4
		.amdhsa_reserve_vcc 0
		.amdhsa_reserve_flat_scratch 0
		.amdhsa_float_round_mode_32 0
		.amdhsa_float_round_mode_16_64 0
		.amdhsa_float_denorm_mode_32 3
		.amdhsa_float_denorm_mode_16_64 3
		.amdhsa_dx10_clamp 1
		.amdhsa_ieee_mode 1
		.amdhsa_fp16_overflow 0
		.amdhsa_tg_split 0
		.amdhsa_exception_fp_ieee_invalid_op 0
		.amdhsa_exception_fp_denorm_src 0
		.amdhsa_exception_fp_ieee_div_zero 0
		.amdhsa_exception_fp_ieee_overflow 0
		.amdhsa_exception_fp_ieee_underflow 0
		.amdhsa_exception_fp_ieee_inexact 0
		.amdhsa_exception_int_div_zero 0
	.end_amdhsa_kernel
	.section	.text._ZN7rocprim17ROCPRIM_400000_NS6detail17trampoline_kernelINS0_14default_configENS1_27scan_by_key_config_selectorIifEEZZNS1_16scan_by_key_implILNS1_25lookback_scan_determinismE0ELb1ES3_N6thrust23THRUST_200600_302600_NS6detail15normal_iteratorINS9_10device_ptrIiEEEENSB_INSC_IjEEEESE_fNS9_4plusIvEENS9_8equal_toIvEEfEE10hipError_tPvRmT2_T3_T4_T5_mT6_T7_P12ihipStream_tbENKUlT_T0_E_clISt17integral_constantIbLb0EES10_IbLb1EEEEDaSW_SX_EUlSW_E_NS1_11comp_targetILNS1_3genE8ELNS1_11target_archE1030ELNS1_3gpuE2ELNS1_3repE0EEENS1_30default_config_static_selectorELNS0_4arch9wavefront6targetE1EEEvT1_,"axG",@progbits,_ZN7rocprim17ROCPRIM_400000_NS6detail17trampoline_kernelINS0_14default_configENS1_27scan_by_key_config_selectorIifEEZZNS1_16scan_by_key_implILNS1_25lookback_scan_determinismE0ELb1ES3_N6thrust23THRUST_200600_302600_NS6detail15normal_iteratorINS9_10device_ptrIiEEEENSB_INSC_IjEEEESE_fNS9_4plusIvEENS9_8equal_toIvEEfEE10hipError_tPvRmT2_T3_T4_T5_mT6_T7_P12ihipStream_tbENKUlT_T0_E_clISt17integral_constantIbLb0EES10_IbLb1EEEEDaSW_SX_EUlSW_E_NS1_11comp_targetILNS1_3genE8ELNS1_11target_archE1030ELNS1_3gpuE2ELNS1_3repE0EEENS1_30default_config_static_selectorELNS0_4arch9wavefront6targetE1EEEvT1_,comdat
.Lfunc_end1823:
	.size	_ZN7rocprim17ROCPRIM_400000_NS6detail17trampoline_kernelINS0_14default_configENS1_27scan_by_key_config_selectorIifEEZZNS1_16scan_by_key_implILNS1_25lookback_scan_determinismE0ELb1ES3_N6thrust23THRUST_200600_302600_NS6detail15normal_iteratorINS9_10device_ptrIiEEEENSB_INSC_IjEEEESE_fNS9_4plusIvEENS9_8equal_toIvEEfEE10hipError_tPvRmT2_T3_T4_T5_mT6_T7_P12ihipStream_tbENKUlT_T0_E_clISt17integral_constantIbLb0EES10_IbLb1EEEEDaSW_SX_EUlSW_E_NS1_11comp_targetILNS1_3genE8ELNS1_11target_archE1030ELNS1_3gpuE2ELNS1_3repE0EEENS1_30default_config_static_selectorELNS0_4arch9wavefront6targetE1EEEvT1_, .Lfunc_end1823-_ZN7rocprim17ROCPRIM_400000_NS6detail17trampoline_kernelINS0_14default_configENS1_27scan_by_key_config_selectorIifEEZZNS1_16scan_by_key_implILNS1_25lookback_scan_determinismE0ELb1ES3_N6thrust23THRUST_200600_302600_NS6detail15normal_iteratorINS9_10device_ptrIiEEEENSB_INSC_IjEEEESE_fNS9_4plusIvEENS9_8equal_toIvEEfEE10hipError_tPvRmT2_T3_T4_T5_mT6_T7_P12ihipStream_tbENKUlT_T0_E_clISt17integral_constantIbLb0EES10_IbLb1EEEEDaSW_SX_EUlSW_E_NS1_11comp_targetILNS1_3genE8ELNS1_11target_archE1030ELNS1_3gpuE2ELNS1_3repE0EEENS1_30default_config_static_selectorELNS0_4arch9wavefront6targetE1EEEvT1_
                                        ; -- End function
	.section	.AMDGPU.csdata,"",@progbits
; Kernel info:
; codeLenInByte = 0
; NumSgprs: 4
; NumVgprs: 0
; NumAgprs: 0
; TotalNumVgprs: 0
; ScratchSize: 0
; MemoryBound: 0
; FloatMode: 240
; IeeeMode: 1
; LDSByteSize: 0 bytes/workgroup (compile time only)
; SGPRBlocks: 0
; VGPRBlocks: 0
; NumSGPRsForWavesPerEU: 4
; NumVGPRsForWavesPerEU: 1
; AccumOffset: 4
; Occupancy: 8
; WaveLimiterHint : 0
; COMPUTE_PGM_RSRC2:SCRATCH_EN: 0
; COMPUTE_PGM_RSRC2:USER_SGPR: 6
; COMPUTE_PGM_RSRC2:TRAP_HANDLER: 0
; COMPUTE_PGM_RSRC2:TGID_X_EN: 1
; COMPUTE_PGM_RSRC2:TGID_Y_EN: 0
; COMPUTE_PGM_RSRC2:TGID_Z_EN: 0
; COMPUTE_PGM_RSRC2:TIDIG_COMP_CNT: 0
; COMPUTE_PGM_RSRC3_GFX90A:ACCUM_OFFSET: 0
; COMPUTE_PGM_RSRC3_GFX90A:TG_SPLIT: 0
	.section	.text._ZN6thrust23THRUST_200600_302600_NS11hip_rocprim14__parallel_for6kernelILj256ENS1_11__transform17unary_transform_fINS0_7pointerIiNS1_3tagENS0_11use_defaultES8_EENS0_10device_ptrIjEENS4_14no_stencil_tagENS0_8identityIiEENS4_21always_true_predicateEEElLj1EEEvT0_T1_SI_,"axG",@progbits,_ZN6thrust23THRUST_200600_302600_NS11hip_rocprim14__parallel_for6kernelILj256ENS1_11__transform17unary_transform_fINS0_7pointerIiNS1_3tagENS0_11use_defaultES8_EENS0_10device_ptrIjEENS4_14no_stencil_tagENS0_8identityIiEENS4_21always_true_predicateEEElLj1EEEvT0_T1_SI_,comdat
	.protected	_ZN6thrust23THRUST_200600_302600_NS11hip_rocprim14__parallel_for6kernelILj256ENS1_11__transform17unary_transform_fINS0_7pointerIiNS1_3tagENS0_11use_defaultES8_EENS0_10device_ptrIjEENS4_14no_stencil_tagENS0_8identityIiEENS4_21always_true_predicateEEElLj1EEEvT0_T1_SI_ ; -- Begin function _ZN6thrust23THRUST_200600_302600_NS11hip_rocprim14__parallel_for6kernelILj256ENS1_11__transform17unary_transform_fINS0_7pointerIiNS1_3tagENS0_11use_defaultES8_EENS0_10device_ptrIjEENS4_14no_stencil_tagENS0_8identityIiEENS4_21always_true_predicateEEElLj1EEEvT0_T1_SI_
	.globl	_ZN6thrust23THRUST_200600_302600_NS11hip_rocprim14__parallel_for6kernelILj256ENS1_11__transform17unary_transform_fINS0_7pointerIiNS1_3tagENS0_11use_defaultES8_EENS0_10device_ptrIjEENS4_14no_stencil_tagENS0_8identityIiEENS4_21always_true_predicateEEElLj1EEEvT0_T1_SI_
	.p2align	8
	.type	_ZN6thrust23THRUST_200600_302600_NS11hip_rocprim14__parallel_for6kernelILj256ENS1_11__transform17unary_transform_fINS0_7pointerIiNS1_3tagENS0_11use_defaultES8_EENS0_10device_ptrIjEENS4_14no_stencil_tagENS0_8identityIiEENS4_21always_true_predicateEEElLj1EEEvT0_T1_SI_,@function
_ZN6thrust23THRUST_200600_302600_NS11hip_rocprim14__parallel_for6kernelILj256ENS1_11__transform17unary_transform_fINS0_7pointerIiNS1_3tagENS0_11use_defaultES8_EENS0_10device_ptrIjEENS4_14no_stencil_tagENS0_8identityIiEENS4_21always_true_predicateEEElLj1EEEvT0_T1_SI_: ; @_ZN6thrust23THRUST_200600_302600_NS11hip_rocprim14__parallel_for6kernelILj256ENS1_11__transform17unary_transform_fINS0_7pointerIiNS1_3tagENS0_11use_defaultES8_EENS0_10device_ptrIjEENS4_14no_stencil_tagENS0_8identityIiEENS4_21always_true_predicateEEElLj1EEEvT0_T1_SI_
; %bb.0:
	s_load_dwordx4 s[8:11], s[4:5], 0x18
	s_load_dwordx4 s[0:3], s[4:5], 0x0
	s_lshl_b32 s4, s6, 8
	v_mov_b32_e32 v2, 0x100
	v_mov_b32_e32 v3, 0
	s_waitcnt lgkmcnt(0)
	s_add_u32 s6, s4, s10
	s_addc_u32 s7, 0, s11
	s_sub_u32 s4, s8, s6
	s_subb_u32 s5, s9, s7
	v_cmp_lt_i64_e32 vcc, s[4:5], v[2:3]
	s_and_b64 s[8:9], vcc, exec
	s_cselect_b32 s8, s4, 0x100
	s_cmpk_lg_i32 s8, 0x100
	s_mov_b64 s[4:5], -1
	s_cbranch_scc1 .LBB1824_3
; %bb.1:
	s_andn2_b64 vcc, exec, s[4:5]
	s_cbranch_vccz .LBB1824_6
.LBB1824_2:
	s_endpgm
.LBB1824_3:
	v_cmp_gt_u32_e32 vcc, s8, v0
	s_and_saveexec_b64 s[4:5], vcc
	s_cbranch_execz .LBB1824_5
; %bb.4:
	v_mov_b32_e32 v1, s7
	v_add_co_u32_e32 v2, vcc, s6, v0
	v_addc_co_u32_e32 v3, vcc, 0, v1, vcc
	v_lshlrev_b64 v[2:3], 2, v[2:3]
	v_mov_b32_e32 v1, s1
	v_add_co_u32_e32 v4, vcc, s0, v2
	v_addc_co_u32_e32 v5, vcc, v1, v3, vcc
	flat_load_dword v1, v[4:5]
	v_mov_b32_e32 v4, s3
	v_add_co_u32_e32 v2, vcc, s2, v2
	v_addc_co_u32_e32 v3, vcc, v4, v3, vcc
	s_waitcnt vmcnt(0) lgkmcnt(0)
	flat_store_dword v[2:3], v1
.LBB1824_5:
	s_or_b64 exec, exec, s[4:5]
	s_cbranch_execnz .LBB1824_2
.LBB1824_6:
	v_mov_b32_e32 v1, s7
	v_add_co_u32_e32 v0, vcc, s6, v0
	v_addc_co_u32_e32 v1, vcc, 0, v1, vcc
	v_lshlrev_b64 v[0:1], 2, v[0:1]
	v_mov_b32_e32 v3, s1
	v_add_co_u32_e32 v2, vcc, s0, v0
	v_addc_co_u32_e32 v3, vcc, v3, v1, vcc
	flat_load_dword v2, v[2:3]
	v_mov_b32_e32 v3, s3
	v_add_co_u32_e32 v0, vcc, s2, v0
	v_addc_co_u32_e32 v1, vcc, v3, v1, vcc
	s_waitcnt vmcnt(0) lgkmcnt(0)
	flat_store_dword v[0:1], v2
	s_endpgm
	.section	.rodata,"a",@progbits
	.p2align	6, 0x0
	.amdhsa_kernel _ZN6thrust23THRUST_200600_302600_NS11hip_rocprim14__parallel_for6kernelILj256ENS1_11__transform17unary_transform_fINS0_7pointerIiNS1_3tagENS0_11use_defaultES8_EENS0_10device_ptrIjEENS4_14no_stencil_tagENS0_8identityIiEENS4_21always_true_predicateEEElLj1EEEvT0_T1_SI_
		.amdhsa_group_segment_fixed_size 0
		.amdhsa_private_segment_fixed_size 0
		.amdhsa_kernarg_size 40
		.amdhsa_user_sgpr_count 6
		.amdhsa_user_sgpr_private_segment_buffer 1
		.amdhsa_user_sgpr_dispatch_ptr 0
		.amdhsa_user_sgpr_queue_ptr 0
		.amdhsa_user_sgpr_kernarg_segment_ptr 1
		.amdhsa_user_sgpr_dispatch_id 0
		.amdhsa_user_sgpr_flat_scratch_init 0
		.amdhsa_user_sgpr_kernarg_preload_length 0
		.amdhsa_user_sgpr_kernarg_preload_offset 0
		.amdhsa_user_sgpr_private_segment_size 0
		.amdhsa_uses_dynamic_stack 0
		.amdhsa_system_sgpr_private_segment_wavefront_offset 0
		.amdhsa_system_sgpr_workgroup_id_x 1
		.amdhsa_system_sgpr_workgroup_id_y 0
		.amdhsa_system_sgpr_workgroup_id_z 0
		.amdhsa_system_sgpr_workgroup_info 0
		.amdhsa_system_vgpr_workitem_id 0
		.amdhsa_next_free_vgpr 6
		.amdhsa_next_free_sgpr 12
		.amdhsa_accum_offset 8
		.amdhsa_reserve_vcc 1
		.amdhsa_reserve_flat_scratch 0
		.amdhsa_float_round_mode_32 0
		.amdhsa_float_round_mode_16_64 0
		.amdhsa_float_denorm_mode_32 3
		.amdhsa_float_denorm_mode_16_64 3
		.amdhsa_dx10_clamp 1
		.amdhsa_ieee_mode 1
		.amdhsa_fp16_overflow 0
		.amdhsa_tg_split 0
		.amdhsa_exception_fp_ieee_invalid_op 0
		.amdhsa_exception_fp_denorm_src 0
		.amdhsa_exception_fp_ieee_div_zero 0
		.amdhsa_exception_fp_ieee_overflow 0
		.amdhsa_exception_fp_ieee_underflow 0
		.amdhsa_exception_fp_ieee_inexact 0
		.amdhsa_exception_int_div_zero 0
	.end_amdhsa_kernel
	.section	.text._ZN6thrust23THRUST_200600_302600_NS11hip_rocprim14__parallel_for6kernelILj256ENS1_11__transform17unary_transform_fINS0_7pointerIiNS1_3tagENS0_11use_defaultES8_EENS0_10device_ptrIjEENS4_14no_stencil_tagENS0_8identityIiEENS4_21always_true_predicateEEElLj1EEEvT0_T1_SI_,"axG",@progbits,_ZN6thrust23THRUST_200600_302600_NS11hip_rocprim14__parallel_for6kernelILj256ENS1_11__transform17unary_transform_fINS0_7pointerIiNS1_3tagENS0_11use_defaultES8_EENS0_10device_ptrIjEENS4_14no_stencil_tagENS0_8identityIiEENS4_21always_true_predicateEEElLj1EEEvT0_T1_SI_,comdat
.Lfunc_end1824:
	.size	_ZN6thrust23THRUST_200600_302600_NS11hip_rocprim14__parallel_for6kernelILj256ENS1_11__transform17unary_transform_fINS0_7pointerIiNS1_3tagENS0_11use_defaultES8_EENS0_10device_ptrIjEENS4_14no_stencil_tagENS0_8identityIiEENS4_21always_true_predicateEEElLj1EEEvT0_T1_SI_, .Lfunc_end1824-_ZN6thrust23THRUST_200600_302600_NS11hip_rocprim14__parallel_for6kernelILj256ENS1_11__transform17unary_transform_fINS0_7pointerIiNS1_3tagENS0_11use_defaultES8_EENS0_10device_ptrIjEENS4_14no_stencil_tagENS0_8identityIiEENS4_21always_true_predicateEEElLj1EEEvT0_T1_SI_
                                        ; -- End function
	.section	.AMDGPU.csdata,"",@progbits
; Kernel info:
; codeLenInByte = 244
; NumSgprs: 16
; NumVgprs: 6
; NumAgprs: 0
; TotalNumVgprs: 6
; ScratchSize: 0
; MemoryBound: 0
; FloatMode: 240
; IeeeMode: 1
; LDSByteSize: 0 bytes/workgroup (compile time only)
; SGPRBlocks: 1
; VGPRBlocks: 0
; NumSGPRsForWavesPerEU: 16
; NumVGPRsForWavesPerEU: 6
; AccumOffset: 8
; Occupancy: 8
; WaveLimiterHint : 0
; COMPUTE_PGM_RSRC2:SCRATCH_EN: 0
; COMPUTE_PGM_RSRC2:USER_SGPR: 6
; COMPUTE_PGM_RSRC2:TRAP_HANDLER: 0
; COMPUTE_PGM_RSRC2:TGID_X_EN: 1
; COMPUTE_PGM_RSRC2:TGID_Y_EN: 0
; COMPUTE_PGM_RSRC2:TGID_Z_EN: 0
; COMPUTE_PGM_RSRC2:TIDIG_COMP_CNT: 0
; COMPUTE_PGM_RSRC3_GFX90A:ACCUM_OFFSET: 1
; COMPUTE_PGM_RSRC3_GFX90A:TG_SPLIT: 0
	.section	.text._ZN7rocprim17ROCPRIM_400000_NS6detail30init_device_scan_by_key_kernelINS1_19lookback_scan_stateINS0_5tupleIJjbEEELb0ELb1EEEN6thrust23THRUST_200600_302600_NS6detail15normal_iteratorINS8_10device_ptrIjEEEEjNS1_16block_id_wrapperIjLb0EEEEEvT_jjPNSG_10value_typeET0_PNSt15iterator_traitsISJ_E10value_typeEmT1_T2_,"axG",@progbits,_ZN7rocprim17ROCPRIM_400000_NS6detail30init_device_scan_by_key_kernelINS1_19lookback_scan_stateINS0_5tupleIJjbEEELb0ELb1EEEN6thrust23THRUST_200600_302600_NS6detail15normal_iteratorINS8_10device_ptrIjEEEEjNS1_16block_id_wrapperIjLb0EEEEEvT_jjPNSG_10value_typeET0_PNSt15iterator_traitsISJ_E10value_typeEmT1_T2_,comdat
	.protected	_ZN7rocprim17ROCPRIM_400000_NS6detail30init_device_scan_by_key_kernelINS1_19lookback_scan_stateINS0_5tupleIJjbEEELb0ELb1EEEN6thrust23THRUST_200600_302600_NS6detail15normal_iteratorINS8_10device_ptrIjEEEEjNS1_16block_id_wrapperIjLb0EEEEEvT_jjPNSG_10value_typeET0_PNSt15iterator_traitsISJ_E10value_typeEmT1_T2_ ; -- Begin function _ZN7rocprim17ROCPRIM_400000_NS6detail30init_device_scan_by_key_kernelINS1_19lookback_scan_stateINS0_5tupleIJjbEEELb0ELb1EEEN6thrust23THRUST_200600_302600_NS6detail15normal_iteratorINS8_10device_ptrIjEEEEjNS1_16block_id_wrapperIjLb0EEEEEvT_jjPNSG_10value_typeET0_PNSt15iterator_traitsISJ_E10value_typeEmT1_T2_
	.globl	_ZN7rocprim17ROCPRIM_400000_NS6detail30init_device_scan_by_key_kernelINS1_19lookback_scan_stateINS0_5tupleIJjbEEELb0ELb1EEEN6thrust23THRUST_200600_302600_NS6detail15normal_iteratorINS8_10device_ptrIjEEEEjNS1_16block_id_wrapperIjLb0EEEEEvT_jjPNSG_10value_typeET0_PNSt15iterator_traitsISJ_E10value_typeEmT1_T2_
	.p2align	8
	.type	_ZN7rocprim17ROCPRIM_400000_NS6detail30init_device_scan_by_key_kernelINS1_19lookback_scan_stateINS0_5tupleIJjbEEELb0ELb1EEEN6thrust23THRUST_200600_302600_NS6detail15normal_iteratorINS8_10device_ptrIjEEEEjNS1_16block_id_wrapperIjLb0EEEEEvT_jjPNSG_10value_typeET0_PNSt15iterator_traitsISJ_E10value_typeEmT1_T2_,@function
_ZN7rocprim17ROCPRIM_400000_NS6detail30init_device_scan_by_key_kernelINS1_19lookback_scan_stateINS0_5tupleIJjbEEELb0ELb1EEEN6thrust23THRUST_200600_302600_NS6detail15normal_iteratorINS8_10device_ptrIjEEEEjNS1_16block_id_wrapperIjLb0EEEEEvT_jjPNSG_10value_typeET0_PNSt15iterator_traitsISJ_E10value_typeEmT1_T2_: ; @_ZN7rocprim17ROCPRIM_400000_NS6detail30init_device_scan_by_key_kernelINS1_19lookback_scan_stateINS0_5tupleIJjbEEELb0ELb1EEEN6thrust23THRUST_200600_302600_NS6detail15normal_iteratorINS8_10device_ptrIjEEEEjNS1_16block_id_wrapperIjLb0EEEEEvT_jjPNSG_10value_typeET0_PNSt15iterator_traitsISJ_E10value_typeEmT1_T2_
; %bb.0:
	s_load_dword s0, s[4:5], 0x44
	s_load_dwordx8 s[8:15], s[4:5], 0x0
	s_load_dword s18, s[4:5], 0x38
	s_waitcnt lgkmcnt(0)
	s_and_b32 s19, s0, 0xffff
	s_mul_i32 s6, s6, s19
	s_cmp_eq_u64 s[12:13], 0
	v_add_u32_e32 v4, s6, v0
	s_cbranch_scc1 .LBB1825_8
; %bb.1:
	s_cmp_lt_u32 s11, s10
	s_cselect_b32 s0, s11, 0
	s_mov_b32 s3, 0
	v_cmp_eq_u32_e32 vcc, s0, v4
	s_and_saveexec_b64 s[0:1], vcc
	s_cbranch_execz .LBB1825_7
; %bb.2:
	s_add_i32 s2, s11, 64
	s_lshl_b64 s[2:3], s[2:3], 4
	s_add_u32 s16, s8, s2
	s_addc_u32 s17, s9, s3
	v_pk_mov_b32 v[0:1], s[16:17], s[16:17] op_sel:[0,1]
	;;#ASMSTART
	global_load_dwordx4 v[0:3], v[0:1] off glc	
s_waitcnt vmcnt(0)
	;;#ASMEND
	v_mov_b32_e32 v7, 0
	v_and_b32_e32 v6, 0xff, v2
	s_mov_b64 s[6:7], 0
	v_cmp_eq_u64_e32 vcc, 0, v[6:7]
	s_and_saveexec_b64 s[2:3], vcc
	s_cbranch_execz .LBB1825_6
; %bb.3:
	v_pk_mov_b32 v[8:9], s[16:17], s[16:17] op_sel:[0,1]
.LBB1825_4:                             ; =>This Inner Loop Header: Depth=1
	;;#ASMSTART
	global_load_dwordx4 v[0:3], v[8:9] off glc	
s_waitcnt vmcnt(0)
	;;#ASMEND
	v_and_b32_e32 v6, 0xff, v2
	v_cmp_ne_u64_e32 vcc, 0, v[6:7]
	s_or_b64 s[6:7], vcc, s[6:7]
	s_andn2_b64 exec, exec, s[6:7]
	s_cbranch_execnz .LBB1825_4
; %bb.5:
	s_or_b64 exec, exec, s[6:7]
.LBB1825_6:
	s_or_b64 exec, exec, s[2:3]
	v_mov_b32_e32 v2, 0
	global_store_dword v2, v0, s[12:13]
	global_store_byte v2, v1, s[12:13] offset:4
.LBB1825_7:
	s_or_b64 exec, exec, s[0:1]
.LBB1825_8:
	v_cmp_gt_u32_e32 vcc, s10, v4
	s_and_saveexec_b64 s[0:1], vcc
	s_cbranch_execz .LBB1825_10
; %bb.9:
	v_add_u32_e32 v0, 64, v4
	v_mov_b32_e32 v1, 0
	v_lshlrev_b64 v[2:3], 4, v[0:1]
	v_mov_b32_e32 v0, s9
	v_add_co_u32_e32 v6, vcc, s8, v2
	v_addc_co_u32_e32 v7, vcc, v0, v3, vcc
	v_mov_b32_e32 v0, v1
	v_mov_b32_e32 v2, v1
	;; [unrolled: 1-line block ×3, first 2 shown]
	global_store_dwordx4 v[6:7], v[0:3], off
.LBB1825_10:
	s_or_b64 exec, exec, s[0:1]
	v_cmp_gt_u32_e32 vcc, 64, v4
	v_mov_b32_e32 v5, 0
	s_and_saveexec_b64 s[0:1], vcc
	s_cbranch_execz .LBB1825_12
; %bb.11:
	v_lshlrev_b64 v[0:1], 4, v[4:5]
	v_mov_b32_e32 v2, s9
	v_add_co_u32_e32 v6, vcc, s8, v0
	v_addc_co_u32_e32 v7, vcc, v2, v1, vcc
	v_mov_b32_e32 v2, 0xff
	v_mov_b32_e32 v0, v5
	;; [unrolled: 1-line block ×4, first 2 shown]
	global_store_dwordx4 v[6:7], v[0:3], off
.LBB1825_12:
	s_or_b64 exec, exec, s[0:1]
	s_load_dwordx2 s[0:1], s[4:5], 0x28
	s_waitcnt lgkmcnt(0)
	v_cmp_gt_u64_e32 vcc, s[0:1], v[4:5]
	s_and_saveexec_b64 s[2:3], vcc
	s_cbranch_execz .LBB1825_15
; %bb.13:
	s_load_dword s10, s[4:5], 0x30
	s_load_dwordx2 s[6:7], s[4:5], 0x20
	s_mov_b32 s5, 0
	s_mov_b32 s3, s5
	s_mul_i32 s2, s18, s19
	s_waitcnt lgkmcnt(0)
	s_add_i32 s4, s10, -1
	s_lshl_b64 s[4:5], s[4:5], 2
	v_mad_u64_u32 v[0:1], s[8:9], s10, v4, 0
	s_add_u32 s4, s14, s4
	v_lshlrev_b64 v[0:1], 2, v[0:1]
	s_addc_u32 s5, s15, s5
	v_mov_b32_e32 v2, s5
	v_add_co_u32_e32 v0, vcc, s4, v0
	v_addc_co_u32_e32 v1, vcc, v2, v1, vcc
	s_mul_hi_u32 s5, s10, s2
	s_mul_i32 s4, s10, s2
	v_lshlrev_b64 v[2:3], 2, v[4:5]
	s_lshl_b64 s[4:5], s[4:5], 2
	v_mov_b32_e32 v6, s7
	v_add_co_u32_e32 v2, vcc, s6, v2
	s_lshl_b64 s[6:7], s[2:3], 2
	v_addc_co_u32_e32 v3, vcc, v6, v3, vcc
	s_mov_b64 s[8:9], 0
	v_mov_b32_e32 v6, s3
	v_mov_b32_e32 v7, s5
	;; [unrolled: 1-line block ×3, first 2 shown]
.LBB1825_14:                            ; =>This Inner Loop Header: Depth=1
	global_load_dword v9, v[0:1], off
	v_add_co_u32_e32 v4, vcc, s2, v4
	v_addc_co_u32_e32 v5, vcc, v5, v6, vcc
	v_add_co_u32_e32 v0, vcc, s4, v0
	v_addc_co_u32_e32 v1, vcc, v1, v7, vcc
	v_cmp_le_u64_e32 vcc, s[0:1], v[4:5]
	s_or_b64 s[8:9], vcc, s[8:9]
	s_waitcnt vmcnt(0)
	global_store_dword v[2:3], v9, off
	v_add_co_u32_e32 v2, vcc, s6, v2
	v_addc_co_u32_e32 v3, vcc, v3, v8, vcc
	s_andn2_b64 exec, exec, s[8:9]
	s_cbranch_execnz .LBB1825_14
.LBB1825_15:
	s_endpgm
	.section	.rodata,"a",@progbits
	.p2align	6, 0x0
	.amdhsa_kernel _ZN7rocprim17ROCPRIM_400000_NS6detail30init_device_scan_by_key_kernelINS1_19lookback_scan_stateINS0_5tupleIJjbEEELb0ELb1EEEN6thrust23THRUST_200600_302600_NS6detail15normal_iteratorINS8_10device_ptrIjEEEEjNS1_16block_id_wrapperIjLb0EEEEEvT_jjPNSG_10value_typeET0_PNSt15iterator_traitsISJ_E10value_typeEmT1_T2_
		.amdhsa_group_segment_fixed_size 0
		.amdhsa_private_segment_fixed_size 0
		.amdhsa_kernarg_size 312
		.amdhsa_user_sgpr_count 6
		.amdhsa_user_sgpr_private_segment_buffer 1
		.amdhsa_user_sgpr_dispatch_ptr 0
		.amdhsa_user_sgpr_queue_ptr 0
		.amdhsa_user_sgpr_kernarg_segment_ptr 1
		.amdhsa_user_sgpr_dispatch_id 0
		.amdhsa_user_sgpr_flat_scratch_init 0
		.amdhsa_user_sgpr_kernarg_preload_length 0
		.amdhsa_user_sgpr_kernarg_preload_offset 0
		.amdhsa_user_sgpr_private_segment_size 0
		.amdhsa_uses_dynamic_stack 0
		.amdhsa_system_sgpr_private_segment_wavefront_offset 0
		.amdhsa_system_sgpr_workgroup_id_x 1
		.amdhsa_system_sgpr_workgroup_id_y 0
		.amdhsa_system_sgpr_workgroup_id_z 0
		.amdhsa_system_sgpr_workgroup_info 0
		.amdhsa_system_vgpr_workitem_id 0
		.amdhsa_next_free_vgpr 10
		.amdhsa_next_free_sgpr 20
		.amdhsa_accum_offset 12
		.amdhsa_reserve_vcc 1
		.amdhsa_reserve_flat_scratch 0
		.amdhsa_float_round_mode_32 0
		.amdhsa_float_round_mode_16_64 0
		.amdhsa_float_denorm_mode_32 3
		.amdhsa_float_denorm_mode_16_64 3
		.amdhsa_dx10_clamp 1
		.amdhsa_ieee_mode 1
		.amdhsa_fp16_overflow 0
		.amdhsa_tg_split 0
		.amdhsa_exception_fp_ieee_invalid_op 0
		.amdhsa_exception_fp_denorm_src 0
		.amdhsa_exception_fp_ieee_div_zero 0
		.amdhsa_exception_fp_ieee_overflow 0
		.amdhsa_exception_fp_ieee_underflow 0
		.amdhsa_exception_fp_ieee_inexact 0
		.amdhsa_exception_int_div_zero 0
	.end_amdhsa_kernel
	.section	.text._ZN7rocprim17ROCPRIM_400000_NS6detail30init_device_scan_by_key_kernelINS1_19lookback_scan_stateINS0_5tupleIJjbEEELb0ELb1EEEN6thrust23THRUST_200600_302600_NS6detail15normal_iteratorINS8_10device_ptrIjEEEEjNS1_16block_id_wrapperIjLb0EEEEEvT_jjPNSG_10value_typeET0_PNSt15iterator_traitsISJ_E10value_typeEmT1_T2_,"axG",@progbits,_ZN7rocprim17ROCPRIM_400000_NS6detail30init_device_scan_by_key_kernelINS1_19lookback_scan_stateINS0_5tupleIJjbEEELb0ELb1EEEN6thrust23THRUST_200600_302600_NS6detail15normal_iteratorINS8_10device_ptrIjEEEEjNS1_16block_id_wrapperIjLb0EEEEEvT_jjPNSG_10value_typeET0_PNSt15iterator_traitsISJ_E10value_typeEmT1_T2_,comdat
.Lfunc_end1825:
	.size	_ZN7rocprim17ROCPRIM_400000_NS6detail30init_device_scan_by_key_kernelINS1_19lookback_scan_stateINS0_5tupleIJjbEEELb0ELb1EEEN6thrust23THRUST_200600_302600_NS6detail15normal_iteratorINS8_10device_ptrIjEEEEjNS1_16block_id_wrapperIjLb0EEEEEvT_jjPNSG_10value_typeET0_PNSt15iterator_traitsISJ_E10value_typeEmT1_T2_, .Lfunc_end1825-_ZN7rocprim17ROCPRIM_400000_NS6detail30init_device_scan_by_key_kernelINS1_19lookback_scan_stateINS0_5tupleIJjbEEELb0ELb1EEEN6thrust23THRUST_200600_302600_NS6detail15normal_iteratorINS8_10device_ptrIjEEEEjNS1_16block_id_wrapperIjLb0EEEEEvT_jjPNSG_10value_typeET0_PNSt15iterator_traitsISJ_E10value_typeEmT1_T2_
                                        ; -- End function
	.section	.AMDGPU.csdata,"",@progbits
; Kernel info:
; codeLenInByte = 572
; NumSgprs: 24
; NumVgprs: 10
; NumAgprs: 0
; TotalNumVgprs: 10
; ScratchSize: 0
; MemoryBound: 0
; FloatMode: 240
; IeeeMode: 1
; LDSByteSize: 0 bytes/workgroup (compile time only)
; SGPRBlocks: 2
; VGPRBlocks: 1
; NumSGPRsForWavesPerEU: 24
; NumVGPRsForWavesPerEU: 10
; AccumOffset: 12
; Occupancy: 8
; WaveLimiterHint : 0
; COMPUTE_PGM_RSRC2:SCRATCH_EN: 0
; COMPUTE_PGM_RSRC2:USER_SGPR: 6
; COMPUTE_PGM_RSRC2:TRAP_HANDLER: 0
; COMPUTE_PGM_RSRC2:TGID_X_EN: 1
; COMPUTE_PGM_RSRC2:TGID_Y_EN: 0
; COMPUTE_PGM_RSRC2:TGID_Z_EN: 0
; COMPUTE_PGM_RSRC2:TIDIG_COMP_CNT: 0
; COMPUTE_PGM_RSRC3_GFX90A:ACCUM_OFFSET: 2
; COMPUTE_PGM_RSRC3_GFX90A:TG_SPLIT: 0
	.section	.text._ZN7rocprim17ROCPRIM_400000_NS6detail17trampoline_kernelINS0_14default_configENS1_27scan_by_key_config_selectorIjjEEZZNS1_16scan_by_key_implILNS1_25lookback_scan_determinismE0ELb0ES3_N6thrust23THRUST_200600_302600_NS6detail15normal_iteratorINS9_10device_ptrIjEEEESE_SE_jNS9_4plusIvEENS9_8equal_toIvEEjEE10hipError_tPvRmT2_T3_T4_T5_mT6_T7_P12ihipStream_tbENKUlT_T0_E_clISt17integral_constantIbLb0EESZ_EEDaSU_SV_EUlSU_E_NS1_11comp_targetILNS1_3genE0ELNS1_11target_archE4294967295ELNS1_3gpuE0ELNS1_3repE0EEENS1_30default_config_static_selectorELNS0_4arch9wavefront6targetE1EEEvT1_,"axG",@progbits,_ZN7rocprim17ROCPRIM_400000_NS6detail17trampoline_kernelINS0_14default_configENS1_27scan_by_key_config_selectorIjjEEZZNS1_16scan_by_key_implILNS1_25lookback_scan_determinismE0ELb0ES3_N6thrust23THRUST_200600_302600_NS6detail15normal_iteratorINS9_10device_ptrIjEEEESE_SE_jNS9_4plusIvEENS9_8equal_toIvEEjEE10hipError_tPvRmT2_T3_T4_T5_mT6_T7_P12ihipStream_tbENKUlT_T0_E_clISt17integral_constantIbLb0EESZ_EEDaSU_SV_EUlSU_E_NS1_11comp_targetILNS1_3genE0ELNS1_11target_archE4294967295ELNS1_3gpuE0ELNS1_3repE0EEENS1_30default_config_static_selectorELNS0_4arch9wavefront6targetE1EEEvT1_,comdat
	.protected	_ZN7rocprim17ROCPRIM_400000_NS6detail17trampoline_kernelINS0_14default_configENS1_27scan_by_key_config_selectorIjjEEZZNS1_16scan_by_key_implILNS1_25lookback_scan_determinismE0ELb0ES3_N6thrust23THRUST_200600_302600_NS6detail15normal_iteratorINS9_10device_ptrIjEEEESE_SE_jNS9_4plusIvEENS9_8equal_toIvEEjEE10hipError_tPvRmT2_T3_T4_T5_mT6_T7_P12ihipStream_tbENKUlT_T0_E_clISt17integral_constantIbLb0EESZ_EEDaSU_SV_EUlSU_E_NS1_11comp_targetILNS1_3genE0ELNS1_11target_archE4294967295ELNS1_3gpuE0ELNS1_3repE0EEENS1_30default_config_static_selectorELNS0_4arch9wavefront6targetE1EEEvT1_ ; -- Begin function _ZN7rocprim17ROCPRIM_400000_NS6detail17trampoline_kernelINS0_14default_configENS1_27scan_by_key_config_selectorIjjEEZZNS1_16scan_by_key_implILNS1_25lookback_scan_determinismE0ELb0ES3_N6thrust23THRUST_200600_302600_NS6detail15normal_iteratorINS9_10device_ptrIjEEEESE_SE_jNS9_4plusIvEENS9_8equal_toIvEEjEE10hipError_tPvRmT2_T3_T4_T5_mT6_T7_P12ihipStream_tbENKUlT_T0_E_clISt17integral_constantIbLb0EESZ_EEDaSU_SV_EUlSU_E_NS1_11comp_targetILNS1_3genE0ELNS1_11target_archE4294967295ELNS1_3gpuE0ELNS1_3repE0EEENS1_30default_config_static_selectorELNS0_4arch9wavefront6targetE1EEEvT1_
	.globl	_ZN7rocprim17ROCPRIM_400000_NS6detail17trampoline_kernelINS0_14default_configENS1_27scan_by_key_config_selectorIjjEEZZNS1_16scan_by_key_implILNS1_25lookback_scan_determinismE0ELb0ES3_N6thrust23THRUST_200600_302600_NS6detail15normal_iteratorINS9_10device_ptrIjEEEESE_SE_jNS9_4plusIvEENS9_8equal_toIvEEjEE10hipError_tPvRmT2_T3_T4_T5_mT6_T7_P12ihipStream_tbENKUlT_T0_E_clISt17integral_constantIbLb0EESZ_EEDaSU_SV_EUlSU_E_NS1_11comp_targetILNS1_3genE0ELNS1_11target_archE4294967295ELNS1_3gpuE0ELNS1_3repE0EEENS1_30default_config_static_selectorELNS0_4arch9wavefront6targetE1EEEvT1_
	.p2align	8
	.type	_ZN7rocprim17ROCPRIM_400000_NS6detail17trampoline_kernelINS0_14default_configENS1_27scan_by_key_config_selectorIjjEEZZNS1_16scan_by_key_implILNS1_25lookback_scan_determinismE0ELb0ES3_N6thrust23THRUST_200600_302600_NS6detail15normal_iteratorINS9_10device_ptrIjEEEESE_SE_jNS9_4plusIvEENS9_8equal_toIvEEjEE10hipError_tPvRmT2_T3_T4_T5_mT6_T7_P12ihipStream_tbENKUlT_T0_E_clISt17integral_constantIbLb0EESZ_EEDaSU_SV_EUlSU_E_NS1_11comp_targetILNS1_3genE0ELNS1_11target_archE4294967295ELNS1_3gpuE0ELNS1_3repE0EEENS1_30default_config_static_selectorELNS0_4arch9wavefront6targetE1EEEvT1_,@function
_ZN7rocprim17ROCPRIM_400000_NS6detail17trampoline_kernelINS0_14default_configENS1_27scan_by_key_config_selectorIjjEEZZNS1_16scan_by_key_implILNS1_25lookback_scan_determinismE0ELb0ES3_N6thrust23THRUST_200600_302600_NS6detail15normal_iteratorINS9_10device_ptrIjEEEESE_SE_jNS9_4plusIvEENS9_8equal_toIvEEjEE10hipError_tPvRmT2_T3_T4_T5_mT6_T7_P12ihipStream_tbENKUlT_T0_E_clISt17integral_constantIbLb0EESZ_EEDaSU_SV_EUlSU_E_NS1_11comp_targetILNS1_3genE0ELNS1_11target_archE4294967295ELNS1_3gpuE0ELNS1_3repE0EEENS1_30default_config_static_selectorELNS0_4arch9wavefront6targetE1EEEvT1_: ; @_ZN7rocprim17ROCPRIM_400000_NS6detail17trampoline_kernelINS0_14default_configENS1_27scan_by_key_config_selectorIjjEEZZNS1_16scan_by_key_implILNS1_25lookback_scan_determinismE0ELb0ES3_N6thrust23THRUST_200600_302600_NS6detail15normal_iteratorINS9_10device_ptrIjEEEESE_SE_jNS9_4plusIvEENS9_8equal_toIvEEjEE10hipError_tPvRmT2_T3_T4_T5_mT6_T7_P12ihipStream_tbENKUlT_T0_E_clISt17integral_constantIbLb0EESZ_EEDaSU_SV_EUlSU_E_NS1_11comp_targetILNS1_3genE0ELNS1_11target_archE4294967295ELNS1_3gpuE0ELNS1_3repE0EEENS1_30default_config_static_selectorELNS0_4arch9wavefront6targetE1EEEvT1_
; %bb.0:
	.section	.rodata,"a",@progbits
	.p2align	6, 0x0
	.amdhsa_kernel _ZN7rocprim17ROCPRIM_400000_NS6detail17trampoline_kernelINS0_14default_configENS1_27scan_by_key_config_selectorIjjEEZZNS1_16scan_by_key_implILNS1_25lookback_scan_determinismE0ELb0ES3_N6thrust23THRUST_200600_302600_NS6detail15normal_iteratorINS9_10device_ptrIjEEEESE_SE_jNS9_4plusIvEENS9_8equal_toIvEEjEE10hipError_tPvRmT2_T3_T4_T5_mT6_T7_P12ihipStream_tbENKUlT_T0_E_clISt17integral_constantIbLb0EESZ_EEDaSU_SV_EUlSU_E_NS1_11comp_targetILNS1_3genE0ELNS1_11target_archE4294967295ELNS1_3gpuE0ELNS1_3repE0EEENS1_30default_config_static_selectorELNS0_4arch9wavefront6targetE1EEEvT1_
		.amdhsa_group_segment_fixed_size 0
		.amdhsa_private_segment_fixed_size 0
		.amdhsa_kernarg_size 112
		.amdhsa_user_sgpr_count 6
		.amdhsa_user_sgpr_private_segment_buffer 1
		.amdhsa_user_sgpr_dispatch_ptr 0
		.amdhsa_user_sgpr_queue_ptr 0
		.amdhsa_user_sgpr_kernarg_segment_ptr 1
		.amdhsa_user_sgpr_dispatch_id 0
		.amdhsa_user_sgpr_flat_scratch_init 0
		.amdhsa_user_sgpr_kernarg_preload_length 0
		.amdhsa_user_sgpr_kernarg_preload_offset 0
		.amdhsa_user_sgpr_private_segment_size 0
		.amdhsa_uses_dynamic_stack 0
		.amdhsa_system_sgpr_private_segment_wavefront_offset 0
		.amdhsa_system_sgpr_workgroup_id_x 1
		.amdhsa_system_sgpr_workgroup_id_y 0
		.amdhsa_system_sgpr_workgroup_id_z 0
		.amdhsa_system_sgpr_workgroup_info 0
		.amdhsa_system_vgpr_workitem_id 0
		.amdhsa_next_free_vgpr 1
		.amdhsa_next_free_sgpr 0
		.amdhsa_accum_offset 4
		.amdhsa_reserve_vcc 0
		.amdhsa_reserve_flat_scratch 0
		.amdhsa_float_round_mode_32 0
		.amdhsa_float_round_mode_16_64 0
		.amdhsa_float_denorm_mode_32 3
		.amdhsa_float_denorm_mode_16_64 3
		.amdhsa_dx10_clamp 1
		.amdhsa_ieee_mode 1
		.amdhsa_fp16_overflow 0
		.amdhsa_tg_split 0
		.amdhsa_exception_fp_ieee_invalid_op 0
		.amdhsa_exception_fp_denorm_src 0
		.amdhsa_exception_fp_ieee_div_zero 0
		.amdhsa_exception_fp_ieee_overflow 0
		.amdhsa_exception_fp_ieee_underflow 0
		.amdhsa_exception_fp_ieee_inexact 0
		.amdhsa_exception_int_div_zero 0
	.end_amdhsa_kernel
	.section	.text._ZN7rocprim17ROCPRIM_400000_NS6detail17trampoline_kernelINS0_14default_configENS1_27scan_by_key_config_selectorIjjEEZZNS1_16scan_by_key_implILNS1_25lookback_scan_determinismE0ELb0ES3_N6thrust23THRUST_200600_302600_NS6detail15normal_iteratorINS9_10device_ptrIjEEEESE_SE_jNS9_4plusIvEENS9_8equal_toIvEEjEE10hipError_tPvRmT2_T3_T4_T5_mT6_T7_P12ihipStream_tbENKUlT_T0_E_clISt17integral_constantIbLb0EESZ_EEDaSU_SV_EUlSU_E_NS1_11comp_targetILNS1_3genE0ELNS1_11target_archE4294967295ELNS1_3gpuE0ELNS1_3repE0EEENS1_30default_config_static_selectorELNS0_4arch9wavefront6targetE1EEEvT1_,"axG",@progbits,_ZN7rocprim17ROCPRIM_400000_NS6detail17trampoline_kernelINS0_14default_configENS1_27scan_by_key_config_selectorIjjEEZZNS1_16scan_by_key_implILNS1_25lookback_scan_determinismE0ELb0ES3_N6thrust23THRUST_200600_302600_NS6detail15normal_iteratorINS9_10device_ptrIjEEEESE_SE_jNS9_4plusIvEENS9_8equal_toIvEEjEE10hipError_tPvRmT2_T3_T4_T5_mT6_T7_P12ihipStream_tbENKUlT_T0_E_clISt17integral_constantIbLb0EESZ_EEDaSU_SV_EUlSU_E_NS1_11comp_targetILNS1_3genE0ELNS1_11target_archE4294967295ELNS1_3gpuE0ELNS1_3repE0EEENS1_30default_config_static_selectorELNS0_4arch9wavefront6targetE1EEEvT1_,comdat
.Lfunc_end1826:
	.size	_ZN7rocprim17ROCPRIM_400000_NS6detail17trampoline_kernelINS0_14default_configENS1_27scan_by_key_config_selectorIjjEEZZNS1_16scan_by_key_implILNS1_25lookback_scan_determinismE0ELb0ES3_N6thrust23THRUST_200600_302600_NS6detail15normal_iteratorINS9_10device_ptrIjEEEESE_SE_jNS9_4plusIvEENS9_8equal_toIvEEjEE10hipError_tPvRmT2_T3_T4_T5_mT6_T7_P12ihipStream_tbENKUlT_T0_E_clISt17integral_constantIbLb0EESZ_EEDaSU_SV_EUlSU_E_NS1_11comp_targetILNS1_3genE0ELNS1_11target_archE4294967295ELNS1_3gpuE0ELNS1_3repE0EEENS1_30default_config_static_selectorELNS0_4arch9wavefront6targetE1EEEvT1_, .Lfunc_end1826-_ZN7rocprim17ROCPRIM_400000_NS6detail17trampoline_kernelINS0_14default_configENS1_27scan_by_key_config_selectorIjjEEZZNS1_16scan_by_key_implILNS1_25lookback_scan_determinismE0ELb0ES3_N6thrust23THRUST_200600_302600_NS6detail15normal_iteratorINS9_10device_ptrIjEEEESE_SE_jNS9_4plusIvEENS9_8equal_toIvEEjEE10hipError_tPvRmT2_T3_T4_T5_mT6_T7_P12ihipStream_tbENKUlT_T0_E_clISt17integral_constantIbLb0EESZ_EEDaSU_SV_EUlSU_E_NS1_11comp_targetILNS1_3genE0ELNS1_11target_archE4294967295ELNS1_3gpuE0ELNS1_3repE0EEENS1_30default_config_static_selectorELNS0_4arch9wavefront6targetE1EEEvT1_
                                        ; -- End function
	.section	.AMDGPU.csdata,"",@progbits
; Kernel info:
; codeLenInByte = 0
; NumSgprs: 4
; NumVgprs: 0
; NumAgprs: 0
; TotalNumVgprs: 0
; ScratchSize: 0
; MemoryBound: 0
; FloatMode: 240
; IeeeMode: 1
; LDSByteSize: 0 bytes/workgroup (compile time only)
; SGPRBlocks: 0
; VGPRBlocks: 0
; NumSGPRsForWavesPerEU: 4
; NumVGPRsForWavesPerEU: 1
; AccumOffset: 4
; Occupancy: 8
; WaveLimiterHint : 0
; COMPUTE_PGM_RSRC2:SCRATCH_EN: 0
; COMPUTE_PGM_RSRC2:USER_SGPR: 6
; COMPUTE_PGM_RSRC2:TRAP_HANDLER: 0
; COMPUTE_PGM_RSRC2:TGID_X_EN: 1
; COMPUTE_PGM_RSRC2:TGID_Y_EN: 0
; COMPUTE_PGM_RSRC2:TGID_Z_EN: 0
; COMPUTE_PGM_RSRC2:TIDIG_COMP_CNT: 0
; COMPUTE_PGM_RSRC3_GFX90A:ACCUM_OFFSET: 0
; COMPUTE_PGM_RSRC3_GFX90A:TG_SPLIT: 0
	.section	.text._ZN7rocprim17ROCPRIM_400000_NS6detail17trampoline_kernelINS0_14default_configENS1_27scan_by_key_config_selectorIjjEEZZNS1_16scan_by_key_implILNS1_25lookback_scan_determinismE0ELb0ES3_N6thrust23THRUST_200600_302600_NS6detail15normal_iteratorINS9_10device_ptrIjEEEESE_SE_jNS9_4plusIvEENS9_8equal_toIvEEjEE10hipError_tPvRmT2_T3_T4_T5_mT6_T7_P12ihipStream_tbENKUlT_T0_E_clISt17integral_constantIbLb0EESZ_EEDaSU_SV_EUlSU_E_NS1_11comp_targetILNS1_3genE10ELNS1_11target_archE1201ELNS1_3gpuE5ELNS1_3repE0EEENS1_30default_config_static_selectorELNS0_4arch9wavefront6targetE1EEEvT1_,"axG",@progbits,_ZN7rocprim17ROCPRIM_400000_NS6detail17trampoline_kernelINS0_14default_configENS1_27scan_by_key_config_selectorIjjEEZZNS1_16scan_by_key_implILNS1_25lookback_scan_determinismE0ELb0ES3_N6thrust23THRUST_200600_302600_NS6detail15normal_iteratorINS9_10device_ptrIjEEEESE_SE_jNS9_4plusIvEENS9_8equal_toIvEEjEE10hipError_tPvRmT2_T3_T4_T5_mT6_T7_P12ihipStream_tbENKUlT_T0_E_clISt17integral_constantIbLb0EESZ_EEDaSU_SV_EUlSU_E_NS1_11comp_targetILNS1_3genE10ELNS1_11target_archE1201ELNS1_3gpuE5ELNS1_3repE0EEENS1_30default_config_static_selectorELNS0_4arch9wavefront6targetE1EEEvT1_,comdat
	.protected	_ZN7rocprim17ROCPRIM_400000_NS6detail17trampoline_kernelINS0_14default_configENS1_27scan_by_key_config_selectorIjjEEZZNS1_16scan_by_key_implILNS1_25lookback_scan_determinismE0ELb0ES3_N6thrust23THRUST_200600_302600_NS6detail15normal_iteratorINS9_10device_ptrIjEEEESE_SE_jNS9_4plusIvEENS9_8equal_toIvEEjEE10hipError_tPvRmT2_T3_T4_T5_mT6_T7_P12ihipStream_tbENKUlT_T0_E_clISt17integral_constantIbLb0EESZ_EEDaSU_SV_EUlSU_E_NS1_11comp_targetILNS1_3genE10ELNS1_11target_archE1201ELNS1_3gpuE5ELNS1_3repE0EEENS1_30default_config_static_selectorELNS0_4arch9wavefront6targetE1EEEvT1_ ; -- Begin function _ZN7rocprim17ROCPRIM_400000_NS6detail17trampoline_kernelINS0_14default_configENS1_27scan_by_key_config_selectorIjjEEZZNS1_16scan_by_key_implILNS1_25lookback_scan_determinismE0ELb0ES3_N6thrust23THRUST_200600_302600_NS6detail15normal_iteratorINS9_10device_ptrIjEEEESE_SE_jNS9_4plusIvEENS9_8equal_toIvEEjEE10hipError_tPvRmT2_T3_T4_T5_mT6_T7_P12ihipStream_tbENKUlT_T0_E_clISt17integral_constantIbLb0EESZ_EEDaSU_SV_EUlSU_E_NS1_11comp_targetILNS1_3genE10ELNS1_11target_archE1201ELNS1_3gpuE5ELNS1_3repE0EEENS1_30default_config_static_selectorELNS0_4arch9wavefront6targetE1EEEvT1_
	.globl	_ZN7rocprim17ROCPRIM_400000_NS6detail17trampoline_kernelINS0_14default_configENS1_27scan_by_key_config_selectorIjjEEZZNS1_16scan_by_key_implILNS1_25lookback_scan_determinismE0ELb0ES3_N6thrust23THRUST_200600_302600_NS6detail15normal_iteratorINS9_10device_ptrIjEEEESE_SE_jNS9_4plusIvEENS9_8equal_toIvEEjEE10hipError_tPvRmT2_T3_T4_T5_mT6_T7_P12ihipStream_tbENKUlT_T0_E_clISt17integral_constantIbLb0EESZ_EEDaSU_SV_EUlSU_E_NS1_11comp_targetILNS1_3genE10ELNS1_11target_archE1201ELNS1_3gpuE5ELNS1_3repE0EEENS1_30default_config_static_selectorELNS0_4arch9wavefront6targetE1EEEvT1_
	.p2align	8
	.type	_ZN7rocprim17ROCPRIM_400000_NS6detail17trampoline_kernelINS0_14default_configENS1_27scan_by_key_config_selectorIjjEEZZNS1_16scan_by_key_implILNS1_25lookback_scan_determinismE0ELb0ES3_N6thrust23THRUST_200600_302600_NS6detail15normal_iteratorINS9_10device_ptrIjEEEESE_SE_jNS9_4plusIvEENS9_8equal_toIvEEjEE10hipError_tPvRmT2_T3_T4_T5_mT6_T7_P12ihipStream_tbENKUlT_T0_E_clISt17integral_constantIbLb0EESZ_EEDaSU_SV_EUlSU_E_NS1_11comp_targetILNS1_3genE10ELNS1_11target_archE1201ELNS1_3gpuE5ELNS1_3repE0EEENS1_30default_config_static_selectorELNS0_4arch9wavefront6targetE1EEEvT1_,@function
_ZN7rocprim17ROCPRIM_400000_NS6detail17trampoline_kernelINS0_14default_configENS1_27scan_by_key_config_selectorIjjEEZZNS1_16scan_by_key_implILNS1_25lookback_scan_determinismE0ELb0ES3_N6thrust23THRUST_200600_302600_NS6detail15normal_iteratorINS9_10device_ptrIjEEEESE_SE_jNS9_4plusIvEENS9_8equal_toIvEEjEE10hipError_tPvRmT2_T3_T4_T5_mT6_T7_P12ihipStream_tbENKUlT_T0_E_clISt17integral_constantIbLb0EESZ_EEDaSU_SV_EUlSU_E_NS1_11comp_targetILNS1_3genE10ELNS1_11target_archE1201ELNS1_3gpuE5ELNS1_3repE0EEENS1_30default_config_static_selectorELNS0_4arch9wavefront6targetE1EEEvT1_: ; @_ZN7rocprim17ROCPRIM_400000_NS6detail17trampoline_kernelINS0_14default_configENS1_27scan_by_key_config_selectorIjjEEZZNS1_16scan_by_key_implILNS1_25lookback_scan_determinismE0ELb0ES3_N6thrust23THRUST_200600_302600_NS6detail15normal_iteratorINS9_10device_ptrIjEEEESE_SE_jNS9_4plusIvEENS9_8equal_toIvEEjEE10hipError_tPvRmT2_T3_T4_T5_mT6_T7_P12ihipStream_tbENKUlT_T0_E_clISt17integral_constantIbLb0EESZ_EEDaSU_SV_EUlSU_E_NS1_11comp_targetILNS1_3genE10ELNS1_11target_archE1201ELNS1_3gpuE5ELNS1_3repE0EEENS1_30default_config_static_selectorELNS0_4arch9wavefront6targetE1EEEvT1_
; %bb.0:
	.section	.rodata,"a",@progbits
	.p2align	6, 0x0
	.amdhsa_kernel _ZN7rocprim17ROCPRIM_400000_NS6detail17trampoline_kernelINS0_14default_configENS1_27scan_by_key_config_selectorIjjEEZZNS1_16scan_by_key_implILNS1_25lookback_scan_determinismE0ELb0ES3_N6thrust23THRUST_200600_302600_NS6detail15normal_iteratorINS9_10device_ptrIjEEEESE_SE_jNS9_4plusIvEENS9_8equal_toIvEEjEE10hipError_tPvRmT2_T3_T4_T5_mT6_T7_P12ihipStream_tbENKUlT_T0_E_clISt17integral_constantIbLb0EESZ_EEDaSU_SV_EUlSU_E_NS1_11comp_targetILNS1_3genE10ELNS1_11target_archE1201ELNS1_3gpuE5ELNS1_3repE0EEENS1_30default_config_static_selectorELNS0_4arch9wavefront6targetE1EEEvT1_
		.amdhsa_group_segment_fixed_size 0
		.amdhsa_private_segment_fixed_size 0
		.amdhsa_kernarg_size 112
		.amdhsa_user_sgpr_count 6
		.amdhsa_user_sgpr_private_segment_buffer 1
		.amdhsa_user_sgpr_dispatch_ptr 0
		.amdhsa_user_sgpr_queue_ptr 0
		.amdhsa_user_sgpr_kernarg_segment_ptr 1
		.amdhsa_user_sgpr_dispatch_id 0
		.amdhsa_user_sgpr_flat_scratch_init 0
		.amdhsa_user_sgpr_kernarg_preload_length 0
		.amdhsa_user_sgpr_kernarg_preload_offset 0
		.amdhsa_user_sgpr_private_segment_size 0
		.amdhsa_uses_dynamic_stack 0
		.amdhsa_system_sgpr_private_segment_wavefront_offset 0
		.amdhsa_system_sgpr_workgroup_id_x 1
		.amdhsa_system_sgpr_workgroup_id_y 0
		.amdhsa_system_sgpr_workgroup_id_z 0
		.amdhsa_system_sgpr_workgroup_info 0
		.amdhsa_system_vgpr_workitem_id 0
		.amdhsa_next_free_vgpr 1
		.amdhsa_next_free_sgpr 0
		.amdhsa_accum_offset 4
		.amdhsa_reserve_vcc 0
		.amdhsa_reserve_flat_scratch 0
		.amdhsa_float_round_mode_32 0
		.amdhsa_float_round_mode_16_64 0
		.amdhsa_float_denorm_mode_32 3
		.amdhsa_float_denorm_mode_16_64 3
		.amdhsa_dx10_clamp 1
		.amdhsa_ieee_mode 1
		.amdhsa_fp16_overflow 0
		.amdhsa_tg_split 0
		.amdhsa_exception_fp_ieee_invalid_op 0
		.amdhsa_exception_fp_denorm_src 0
		.amdhsa_exception_fp_ieee_div_zero 0
		.amdhsa_exception_fp_ieee_overflow 0
		.amdhsa_exception_fp_ieee_underflow 0
		.amdhsa_exception_fp_ieee_inexact 0
		.amdhsa_exception_int_div_zero 0
	.end_amdhsa_kernel
	.section	.text._ZN7rocprim17ROCPRIM_400000_NS6detail17trampoline_kernelINS0_14default_configENS1_27scan_by_key_config_selectorIjjEEZZNS1_16scan_by_key_implILNS1_25lookback_scan_determinismE0ELb0ES3_N6thrust23THRUST_200600_302600_NS6detail15normal_iteratorINS9_10device_ptrIjEEEESE_SE_jNS9_4plusIvEENS9_8equal_toIvEEjEE10hipError_tPvRmT2_T3_T4_T5_mT6_T7_P12ihipStream_tbENKUlT_T0_E_clISt17integral_constantIbLb0EESZ_EEDaSU_SV_EUlSU_E_NS1_11comp_targetILNS1_3genE10ELNS1_11target_archE1201ELNS1_3gpuE5ELNS1_3repE0EEENS1_30default_config_static_selectorELNS0_4arch9wavefront6targetE1EEEvT1_,"axG",@progbits,_ZN7rocprim17ROCPRIM_400000_NS6detail17trampoline_kernelINS0_14default_configENS1_27scan_by_key_config_selectorIjjEEZZNS1_16scan_by_key_implILNS1_25lookback_scan_determinismE0ELb0ES3_N6thrust23THRUST_200600_302600_NS6detail15normal_iteratorINS9_10device_ptrIjEEEESE_SE_jNS9_4plusIvEENS9_8equal_toIvEEjEE10hipError_tPvRmT2_T3_T4_T5_mT6_T7_P12ihipStream_tbENKUlT_T0_E_clISt17integral_constantIbLb0EESZ_EEDaSU_SV_EUlSU_E_NS1_11comp_targetILNS1_3genE10ELNS1_11target_archE1201ELNS1_3gpuE5ELNS1_3repE0EEENS1_30default_config_static_selectorELNS0_4arch9wavefront6targetE1EEEvT1_,comdat
.Lfunc_end1827:
	.size	_ZN7rocprim17ROCPRIM_400000_NS6detail17trampoline_kernelINS0_14default_configENS1_27scan_by_key_config_selectorIjjEEZZNS1_16scan_by_key_implILNS1_25lookback_scan_determinismE0ELb0ES3_N6thrust23THRUST_200600_302600_NS6detail15normal_iteratorINS9_10device_ptrIjEEEESE_SE_jNS9_4plusIvEENS9_8equal_toIvEEjEE10hipError_tPvRmT2_T3_T4_T5_mT6_T7_P12ihipStream_tbENKUlT_T0_E_clISt17integral_constantIbLb0EESZ_EEDaSU_SV_EUlSU_E_NS1_11comp_targetILNS1_3genE10ELNS1_11target_archE1201ELNS1_3gpuE5ELNS1_3repE0EEENS1_30default_config_static_selectorELNS0_4arch9wavefront6targetE1EEEvT1_, .Lfunc_end1827-_ZN7rocprim17ROCPRIM_400000_NS6detail17trampoline_kernelINS0_14default_configENS1_27scan_by_key_config_selectorIjjEEZZNS1_16scan_by_key_implILNS1_25lookback_scan_determinismE0ELb0ES3_N6thrust23THRUST_200600_302600_NS6detail15normal_iteratorINS9_10device_ptrIjEEEESE_SE_jNS9_4plusIvEENS9_8equal_toIvEEjEE10hipError_tPvRmT2_T3_T4_T5_mT6_T7_P12ihipStream_tbENKUlT_T0_E_clISt17integral_constantIbLb0EESZ_EEDaSU_SV_EUlSU_E_NS1_11comp_targetILNS1_3genE10ELNS1_11target_archE1201ELNS1_3gpuE5ELNS1_3repE0EEENS1_30default_config_static_selectorELNS0_4arch9wavefront6targetE1EEEvT1_
                                        ; -- End function
	.section	.AMDGPU.csdata,"",@progbits
; Kernel info:
; codeLenInByte = 0
; NumSgprs: 4
; NumVgprs: 0
; NumAgprs: 0
; TotalNumVgprs: 0
; ScratchSize: 0
; MemoryBound: 0
; FloatMode: 240
; IeeeMode: 1
; LDSByteSize: 0 bytes/workgroup (compile time only)
; SGPRBlocks: 0
; VGPRBlocks: 0
; NumSGPRsForWavesPerEU: 4
; NumVGPRsForWavesPerEU: 1
; AccumOffset: 4
; Occupancy: 8
; WaveLimiterHint : 0
; COMPUTE_PGM_RSRC2:SCRATCH_EN: 0
; COMPUTE_PGM_RSRC2:USER_SGPR: 6
; COMPUTE_PGM_RSRC2:TRAP_HANDLER: 0
; COMPUTE_PGM_RSRC2:TGID_X_EN: 1
; COMPUTE_PGM_RSRC2:TGID_Y_EN: 0
; COMPUTE_PGM_RSRC2:TGID_Z_EN: 0
; COMPUTE_PGM_RSRC2:TIDIG_COMP_CNT: 0
; COMPUTE_PGM_RSRC3_GFX90A:ACCUM_OFFSET: 0
; COMPUTE_PGM_RSRC3_GFX90A:TG_SPLIT: 0
	.section	.text._ZN7rocprim17ROCPRIM_400000_NS6detail17trampoline_kernelINS0_14default_configENS1_27scan_by_key_config_selectorIjjEEZZNS1_16scan_by_key_implILNS1_25lookback_scan_determinismE0ELb0ES3_N6thrust23THRUST_200600_302600_NS6detail15normal_iteratorINS9_10device_ptrIjEEEESE_SE_jNS9_4plusIvEENS9_8equal_toIvEEjEE10hipError_tPvRmT2_T3_T4_T5_mT6_T7_P12ihipStream_tbENKUlT_T0_E_clISt17integral_constantIbLb0EESZ_EEDaSU_SV_EUlSU_E_NS1_11comp_targetILNS1_3genE5ELNS1_11target_archE942ELNS1_3gpuE9ELNS1_3repE0EEENS1_30default_config_static_selectorELNS0_4arch9wavefront6targetE1EEEvT1_,"axG",@progbits,_ZN7rocprim17ROCPRIM_400000_NS6detail17trampoline_kernelINS0_14default_configENS1_27scan_by_key_config_selectorIjjEEZZNS1_16scan_by_key_implILNS1_25lookback_scan_determinismE0ELb0ES3_N6thrust23THRUST_200600_302600_NS6detail15normal_iteratorINS9_10device_ptrIjEEEESE_SE_jNS9_4plusIvEENS9_8equal_toIvEEjEE10hipError_tPvRmT2_T3_T4_T5_mT6_T7_P12ihipStream_tbENKUlT_T0_E_clISt17integral_constantIbLb0EESZ_EEDaSU_SV_EUlSU_E_NS1_11comp_targetILNS1_3genE5ELNS1_11target_archE942ELNS1_3gpuE9ELNS1_3repE0EEENS1_30default_config_static_selectorELNS0_4arch9wavefront6targetE1EEEvT1_,comdat
	.protected	_ZN7rocprim17ROCPRIM_400000_NS6detail17trampoline_kernelINS0_14default_configENS1_27scan_by_key_config_selectorIjjEEZZNS1_16scan_by_key_implILNS1_25lookback_scan_determinismE0ELb0ES3_N6thrust23THRUST_200600_302600_NS6detail15normal_iteratorINS9_10device_ptrIjEEEESE_SE_jNS9_4plusIvEENS9_8equal_toIvEEjEE10hipError_tPvRmT2_T3_T4_T5_mT6_T7_P12ihipStream_tbENKUlT_T0_E_clISt17integral_constantIbLb0EESZ_EEDaSU_SV_EUlSU_E_NS1_11comp_targetILNS1_3genE5ELNS1_11target_archE942ELNS1_3gpuE9ELNS1_3repE0EEENS1_30default_config_static_selectorELNS0_4arch9wavefront6targetE1EEEvT1_ ; -- Begin function _ZN7rocprim17ROCPRIM_400000_NS6detail17trampoline_kernelINS0_14default_configENS1_27scan_by_key_config_selectorIjjEEZZNS1_16scan_by_key_implILNS1_25lookback_scan_determinismE0ELb0ES3_N6thrust23THRUST_200600_302600_NS6detail15normal_iteratorINS9_10device_ptrIjEEEESE_SE_jNS9_4plusIvEENS9_8equal_toIvEEjEE10hipError_tPvRmT2_T3_T4_T5_mT6_T7_P12ihipStream_tbENKUlT_T0_E_clISt17integral_constantIbLb0EESZ_EEDaSU_SV_EUlSU_E_NS1_11comp_targetILNS1_3genE5ELNS1_11target_archE942ELNS1_3gpuE9ELNS1_3repE0EEENS1_30default_config_static_selectorELNS0_4arch9wavefront6targetE1EEEvT1_
	.globl	_ZN7rocprim17ROCPRIM_400000_NS6detail17trampoline_kernelINS0_14default_configENS1_27scan_by_key_config_selectorIjjEEZZNS1_16scan_by_key_implILNS1_25lookback_scan_determinismE0ELb0ES3_N6thrust23THRUST_200600_302600_NS6detail15normal_iteratorINS9_10device_ptrIjEEEESE_SE_jNS9_4plusIvEENS9_8equal_toIvEEjEE10hipError_tPvRmT2_T3_T4_T5_mT6_T7_P12ihipStream_tbENKUlT_T0_E_clISt17integral_constantIbLb0EESZ_EEDaSU_SV_EUlSU_E_NS1_11comp_targetILNS1_3genE5ELNS1_11target_archE942ELNS1_3gpuE9ELNS1_3repE0EEENS1_30default_config_static_selectorELNS0_4arch9wavefront6targetE1EEEvT1_
	.p2align	8
	.type	_ZN7rocprim17ROCPRIM_400000_NS6detail17trampoline_kernelINS0_14default_configENS1_27scan_by_key_config_selectorIjjEEZZNS1_16scan_by_key_implILNS1_25lookback_scan_determinismE0ELb0ES3_N6thrust23THRUST_200600_302600_NS6detail15normal_iteratorINS9_10device_ptrIjEEEESE_SE_jNS9_4plusIvEENS9_8equal_toIvEEjEE10hipError_tPvRmT2_T3_T4_T5_mT6_T7_P12ihipStream_tbENKUlT_T0_E_clISt17integral_constantIbLb0EESZ_EEDaSU_SV_EUlSU_E_NS1_11comp_targetILNS1_3genE5ELNS1_11target_archE942ELNS1_3gpuE9ELNS1_3repE0EEENS1_30default_config_static_selectorELNS0_4arch9wavefront6targetE1EEEvT1_,@function
_ZN7rocprim17ROCPRIM_400000_NS6detail17trampoline_kernelINS0_14default_configENS1_27scan_by_key_config_selectorIjjEEZZNS1_16scan_by_key_implILNS1_25lookback_scan_determinismE0ELb0ES3_N6thrust23THRUST_200600_302600_NS6detail15normal_iteratorINS9_10device_ptrIjEEEESE_SE_jNS9_4plusIvEENS9_8equal_toIvEEjEE10hipError_tPvRmT2_T3_T4_T5_mT6_T7_P12ihipStream_tbENKUlT_T0_E_clISt17integral_constantIbLb0EESZ_EEDaSU_SV_EUlSU_E_NS1_11comp_targetILNS1_3genE5ELNS1_11target_archE942ELNS1_3gpuE9ELNS1_3repE0EEENS1_30default_config_static_selectorELNS0_4arch9wavefront6targetE1EEEvT1_: ; @_ZN7rocprim17ROCPRIM_400000_NS6detail17trampoline_kernelINS0_14default_configENS1_27scan_by_key_config_selectorIjjEEZZNS1_16scan_by_key_implILNS1_25lookback_scan_determinismE0ELb0ES3_N6thrust23THRUST_200600_302600_NS6detail15normal_iteratorINS9_10device_ptrIjEEEESE_SE_jNS9_4plusIvEENS9_8equal_toIvEEjEE10hipError_tPvRmT2_T3_T4_T5_mT6_T7_P12ihipStream_tbENKUlT_T0_E_clISt17integral_constantIbLb0EESZ_EEDaSU_SV_EUlSU_E_NS1_11comp_targetILNS1_3genE5ELNS1_11target_archE942ELNS1_3gpuE9ELNS1_3repE0EEENS1_30default_config_static_selectorELNS0_4arch9wavefront6targetE1EEEvT1_
; %bb.0:
	.section	.rodata,"a",@progbits
	.p2align	6, 0x0
	.amdhsa_kernel _ZN7rocprim17ROCPRIM_400000_NS6detail17trampoline_kernelINS0_14default_configENS1_27scan_by_key_config_selectorIjjEEZZNS1_16scan_by_key_implILNS1_25lookback_scan_determinismE0ELb0ES3_N6thrust23THRUST_200600_302600_NS6detail15normal_iteratorINS9_10device_ptrIjEEEESE_SE_jNS9_4plusIvEENS9_8equal_toIvEEjEE10hipError_tPvRmT2_T3_T4_T5_mT6_T7_P12ihipStream_tbENKUlT_T0_E_clISt17integral_constantIbLb0EESZ_EEDaSU_SV_EUlSU_E_NS1_11comp_targetILNS1_3genE5ELNS1_11target_archE942ELNS1_3gpuE9ELNS1_3repE0EEENS1_30default_config_static_selectorELNS0_4arch9wavefront6targetE1EEEvT1_
		.amdhsa_group_segment_fixed_size 0
		.amdhsa_private_segment_fixed_size 0
		.amdhsa_kernarg_size 112
		.amdhsa_user_sgpr_count 6
		.amdhsa_user_sgpr_private_segment_buffer 1
		.amdhsa_user_sgpr_dispatch_ptr 0
		.amdhsa_user_sgpr_queue_ptr 0
		.amdhsa_user_sgpr_kernarg_segment_ptr 1
		.amdhsa_user_sgpr_dispatch_id 0
		.amdhsa_user_sgpr_flat_scratch_init 0
		.amdhsa_user_sgpr_kernarg_preload_length 0
		.amdhsa_user_sgpr_kernarg_preload_offset 0
		.amdhsa_user_sgpr_private_segment_size 0
		.amdhsa_uses_dynamic_stack 0
		.amdhsa_system_sgpr_private_segment_wavefront_offset 0
		.amdhsa_system_sgpr_workgroup_id_x 1
		.amdhsa_system_sgpr_workgroup_id_y 0
		.amdhsa_system_sgpr_workgroup_id_z 0
		.amdhsa_system_sgpr_workgroup_info 0
		.amdhsa_system_vgpr_workitem_id 0
		.amdhsa_next_free_vgpr 1
		.amdhsa_next_free_sgpr 0
		.amdhsa_accum_offset 4
		.amdhsa_reserve_vcc 0
		.amdhsa_reserve_flat_scratch 0
		.amdhsa_float_round_mode_32 0
		.amdhsa_float_round_mode_16_64 0
		.amdhsa_float_denorm_mode_32 3
		.amdhsa_float_denorm_mode_16_64 3
		.amdhsa_dx10_clamp 1
		.amdhsa_ieee_mode 1
		.amdhsa_fp16_overflow 0
		.amdhsa_tg_split 0
		.amdhsa_exception_fp_ieee_invalid_op 0
		.amdhsa_exception_fp_denorm_src 0
		.amdhsa_exception_fp_ieee_div_zero 0
		.amdhsa_exception_fp_ieee_overflow 0
		.amdhsa_exception_fp_ieee_underflow 0
		.amdhsa_exception_fp_ieee_inexact 0
		.amdhsa_exception_int_div_zero 0
	.end_amdhsa_kernel
	.section	.text._ZN7rocprim17ROCPRIM_400000_NS6detail17trampoline_kernelINS0_14default_configENS1_27scan_by_key_config_selectorIjjEEZZNS1_16scan_by_key_implILNS1_25lookback_scan_determinismE0ELb0ES3_N6thrust23THRUST_200600_302600_NS6detail15normal_iteratorINS9_10device_ptrIjEEEESE_SE_jNS9_4plusIvEENS9_8equal_toIvEEjEE10hipError_tPvRmT2_T3_T4_T5_mT6_T7_P12ihipStream_tbENKUlT_T0_E_clISt17integral_constantIbLb0EESZ_EEDaSU_SV_EUlSU_E_NS1_11comp_targetILNS1_3genE5ELNS1_11target_archE942ELNS1_3gpuE9ELNS1_3repE0EEENS1_30default_config_static_selectorELNS0_4arch9wavefront6targetE1EEEvT1_,"axG",@progbits,_ZN7rocprim17ROCPRIM_400000_NS6detail17trampoline_kernelINS0_14default_configENS1_27scan_by_key_config_selectorIjjEEZZNS1_16scan_by_key_implILNS1_25lookback_scan_determinismE0ELb0ES3_N6thrust23THRUST_200600_302600_NS6detail15normal_iteratorINS9_10device_ptrIjEEEESE_SE_jNS9_4plusIvEENS9_8equal_toIvEEjEE10hipError_tPvRmT2_T3_T4_T5_mT6_T7_P12ihipStream_tbENKUlT_T0_E_clISt17integral_constantIbLb0EESZ_EEDaSU_SV_EUlSU_E_NS1_11comp_targetILNS1_3genE5ELNS1_11target_archE942ELNS1_3gpuE9ELNS1_3repE0EEENS1_30default_config_static_selectorELNS0_4arch9wavefront6targetE1EEEvT1_,comdat
.Lfunc_end1828:
	.size	_ZN7rocprim17ROCPRIM_400000_NS6detail17trampoline_kernelINS0_14default_configENS1_27scan_by_key_config_selectorIjjEEZZNS1_16scan_by_key_implILNS1_25lookback_scan_determinismE0ELb0ES3_N6thrust23THRUST_200600_302600_NS6detail15normal_iteratorINS9_10device_ptrIjEEEESE_SE_jNS9_4plusIvEENS9_8equal_toIvEEjEE10hipError_tPvRmT2_T3_T4_T5_mT6_T7_P12ihipStream_tbENKUlT_T0_E_clISt17integral_constantIbLb0EESZ_EEDaSU_SV_EUlSU_E_NS1_11comp_targetILNS1_3genE5ELNS1_11target_archE942ELNS1_3gpuE9ELNS1_3repE0EEENS1_30default_config_static_selectorELNS0_4arch9wavefront6targetE1EEEvT1_, .Lfunc_end1828-_ZN7rocprim17ROCPRIM_400000_NS6detail17trampoline_kernelINS0_14default_configENS1_27scan_by_key_config_selectorIjjEEZZNS1_16scan_by_key_implILNS1_25lookback_scan_determinismE0ELb0ES3_N6thrust23THRUST_200600_302600_NS6detail15normal_iteratorINS9_10device_ptrIjEEEESE_SE_jNS9_4plusIvEENS9_8equal_toIvEEjEE10hipError_tPvRmT2_T3_T4_T5_mT6_T7_P12ihipStream_tbENKUlT_T0_E_clISt17integral_constantIbLb0EESZ_EEDaSU_SV_EUlSU_E_NS1_11comp_targetILNS1_3genE5ELNS1_11target_archE942ELNS1_3gpuE9ELNS1_3repE0EEENS1_30default_config_static_selectorELNS0_4arch9wavefront6targetE1EEEvT1_
                                        ; -- End function
	.section	.AMDGPU.csdata,"",@progbits
; Kernel info:
; codeLenInByte = 0
; NumSgprs: 4
; NumVgprs: 0
; NumAgprs: 0
; TotalNumVgprs: 0
; ScratchSize: 0
; MemoryBound: 0
; FloatMode: 240
; IeeeMode: 1
; LDSByteSize: 0 bytes/workgroup (compile time only)
; SGPRBlocks: 0
; VGPRBlocks: 0
; NumSGPRsForWavesPerEU: 4
; NumVGPRsForWavesPerEU: 1
; AccumOffset: 4
; Occupancy: 8
; WaveLimiterHint : 0
; COMPUTE_PGM_RSRC2:SCRATCH_EN: 0
; COMPUTE_PGM_RSRC2:USER_SGPR: 6
; COMPUTE_PGM_RSRC2:TRAP_HANDLER: 0
; COMPUTE_PGM_RSRC2:TGID_X_EN: 1
; COMPUTE_PGM_RSRC2:TGID_Y_EN: 0
; COMPUTE_PGM_RSRC2:TGID_Z_EN: 0
; COMPUTE_PGM_RSRC2:TIDIG_COMP_CNT: 0
; COMPUTE_PGM_RSRC3_GFX90A:ACCUM_OFFSET: 0
; COMPUTE_PGM_RSRC3_GFX90A:TG_SPLIT: 0
	.section	.text._ZN7rocprim17ROCPRIM_400000_NS6detail17trampoline_kernelINS0_14default_configENS1_27scan_by_key_config_selectorIjjEEZZNS1_16scan_by_key_implILNS1_25lookback_scan_determinismE0ELb0ES3_N6thrust23THRUST_200600_302600_NS6detail15normal_iteratorINS9_10device_ptrIjEEEESE_SE_jNS9_4plusIvEENS9_8equal_toIvEEjEE10hipError_tPvRmT2_T3_T4_T5_mT6_T7_P12ihipStream_tbENKUlT_T0_E_clISt17integral_constantIbLb0EESZ_EEDaSU_SV_EUlSU_E_NS1_11comp_targetILNS1_3genE4ELNS1_11target_archE910ELNS1_3gpuE8ELNS1_3repE0EEENS1_30default_config_static_selectorELNS0_4arch9wavefront6targetE1EEEvT1_,"axG",@progbits,_ZN7rocprim17ROCPRIM_400000_NS6detail17trampoline_kernelINS0_14default_configENS1_27scan_by_key_config_selectorIjjEEZZNS1_16scan_by_key_implILNS1_25lookback_scan_determinismE0ELb0ES3_N6thrust23THRUST_200600_302600_NS6detail15normal_iteratorINS9_10device_ptrIjEEEESE_SE_jNS9_4plusIvEENS9_8equal_toIvEEjEE10hipError_tPvRmT2_T3_T4_T5_mT6_T7_P12ihipStream_tbENKUlT_T0_E_clISt17integral_constantIbLb0EESZ_EEDaSU_SV_EUlSU_E_NS1_11comp_targetILNS1_3genE4ELNS1_11target_archE910ELNS1_3gpuE8ELNS1_3repE0EEENS1_30default_config_static_selectorELNS0_4arch9wavefront6targetE1EEEvT1_,comdat
	.protected	_ZN7rocprim17ROCPRIM_400000_NS6detail17trampoline_kernelINS0_14default_configENS1_27scan_by_key_config_selectorIjjEEZZNS1_16scan_by_key_implILNS1_25lookback_scan_determinismE0ELb0ES3_N6thrust23THRUST_200600_302600_NS6detail15normal_iteratorINS9_10device_ptrIjEEEESE_SE_jNS9_4plusIvEENS9_8equal_toIvEEjEE10hipError_tPvRmT2_T3_T4_T5_mT6_T7_P12ihipStream_tbENKUlT_T0_E_clISt17integral_constantIbLb0EESZ_EEDaSU_SV_EUlSU_E_NS1_11comp_targetILNS1_3genE4ELNS1_11target_archE910ELNS1_3gpuE8ELNS1_3repE0EEENS1_30default_config_static_selectorELNS0_4arch9wavefront6targetE1EEEvT1_ ; -- Begin function _ZN7rocprim17ROCPRIM_400000_NS6detail17trampoline_kernelINS0_14default_configENS1_27scan_by_key_config_selectorIjjEEZZNS1_16scan_by_key_implILNS1_25lookback_scan_determinismE0ELb0ES3_N6thrust23THRUST_200600_302600_NS6detail15normal_iteratorINS9_10device_ptrIjEEEESE_SE_jNS9_4plusIvEENS9_8equal_toIvEEjEE10hipError_tPvRmT2_T3_T4_T5_mT6_T7_P12ihipStream_tbENKUlT_T0_E_clISt17integral_constantIbLb0EESZ_EEDaSU_SV_EUlSU_E_NS1_11comp_targetILNS1_3genE4ELNS1_11target_archE910ELNS1_3gpuE8ELNS1_3repE0EEENS1_30default_config_static_selectorELNS0_4arch9wavefront6targetE1EEEvT1_
	.globl	_ZN7rocprim17ROCPRIM_400000_NS6detail17trampoline_kernelINS0_14default_configENS1_27scan_by_key_config_selectorIjjEEZZNS1_16scan_by_key_implILNS1_25lookback_scan_determinismE0ELb0ES3_N6thrust23THRUST_200600_302600_NS6detail15normal_iteratorINS9_10device_ptrIjEEEESE_SE_jNS9_4plusIvEENS9_8equal_toIvEEjEE10hipError_tPvRmT2_T3_T4_T5_mT6_T7_P12ihipStream_tbENKUlT_T0_E_clISt17integral_constantIbLb0EESZ_EEDaSU_SV_EUlSU_E_NS1_11comp_targetILNS1_3genE4ELNS1_11target_archE910ELNS1_3gpuE8ELNS1_3repE0EEENS1_30default_config_static_selectorELNS0_4arch9wavefront6targetE1EEEvT1_
	.p2align	8
	.type	_ZN7rocprim17ROCPRIM_400000_NS6detail17trampoline_kernelINS0_14default_configENS1_27scan_by_key_config_selectorIjjEEZZNS1_16scan_by_key_implILNS1_25lookback_scan_determinismE0ELb0ES3_N6thrust23THRUST_200600_302600_NS6detail15normal_iteratorINS9_10device_ptrIjEEEESE_SE_jNS9_4plusIvEENS9_8equal_toIvEEjEE10hipError_tPvRmT2_T3_T4_T5_mT6_T7_P12ihipStream_tbENKUlT_T0_E_clISt17integral_constantIbLb0EESZ_EEDaSU_SV_EUlSU_E_NS1_11comp_targetILNS1_3genE4ELNS1_11target_archE910ELNS1_3gpuE8ELNS1_3repE0EEENS1_30default_config_static_selectorELNS0_4arch9wavefront6targetE1EEEvT1_,@function
_ZN7rocprim17ROCPRIM_400000_NS6detail17trampoline_kernelINS0_14default_configENS1_27scan_by_key_config_selectorIjjEEZZNS1_16scan_by_key_implILNS1_25lookback_scan_determinismE0ELb0ES3_N6thrust23THRUST_200600_302600_NS6detail15normal_iteratorINS9_10device_ptrIjEEEESE_SE_jNS9_4plusIvEENS9_8equal_toIvEEjEE10hipError_tPvRmT2_T3_T4_T5_mT6_T7_P12ihipStream_tbENKUlT_T0_E_clISt17integral_constantIbLb0EESZ_EEDaSU_SV_EUlSU_E_NS1_11comp_targetILNS1_3genE4ELNS1_11target_archE910ELNS1_3gpuE8ELNS1_3repE0EEENS1_30default_config_static_selectorELNS0_4arch9wavefront6targetE1EEEvT1_: ; @_ZN7rocprim17ROCPRIM_400000_NS6detail17trampoline_kernelINS0_14default_configENS1_27scan_by_key_config_selectorIjjEEZZNS1_16scan_by_key_implILNS1_25lookback_scan_determinismE0ELb0ES3_N6thrust23THRUST_200600_302600_NS6detail15normal_iteratorINS9_10device_ptrIjEEEESE_SE_jNS9_4plusIvEENS9_8equal_toIvEEjEE10hipError_tPvRmT2_T3_T4_T5_mT6_T7_P12ihipStream_tbENKUlT_T0_E_clISt17integral_constantIbLb0EESZ_EEDaSU_SV_EUlSU_E_NS1_11comp_targetILNS1_3genE4ELNS1_11target_archE910ELNS1_3gpuE8ELNS1_3repE0EEENS1_30default_config_static_selectorELNS0_4arch9wavefront6targetE1EEEvT1_
; %bb.0:
	s_load_dwordx8 s[36:43], s[4:5], 0x0
	s_load_dwordx4 s[52:55], s[4:5], 0x28
	s_load_dwordx2 s[56:57], s[4:5], 0x38
	s_load_dword s0, s[4:5], 0x40
	s_load_dwordx8 s[44:51], s[4:5], 0x48
	s_waitcnt lgkmcnt(0)
	s_lshl_b64 s[38:39], s[38:39], 2
	s_add_u32 s2, s36, s38
	s_addc_u32 s3, s37, s39
	s_add_u32 s4, s40, s38
	s_mul_i32 s1, s57, s0
	s_mul_hi_u32 s7, s56, s0
	s_addc_u32 s5, s41, s39
	s_add_i32 s8, s7, s1
	s_mul_i32 s9, s56, s0
	s_cmp_lg_u64 s[48:49], 0
	s_mul_i32 s0, s6, 0xe00
	s_mov_b32 s1, 0
	s_cselect_b64 s[40:41], -1, 0
	s_lshl_b64 s[36:37], s[0:1], 2
	s_add_u32 s34, s2, s36
	s_addc_u32 s35, s3, s37
	s_add_u32 s7, s4, s36
	s_addc_u32 s55, s5, s37
	;; [unrolled: 2-line block ×3, first 2 shown]
	s_add_u32 s2, s44, -1
	s_addc_u32 s3, s45, -1
	v_pk_mov_b32 v[2:3], s[2:3], s[2:3] op_sel:[0,1]
	v_cmp_ge_u64_e64 s[0:1], s[48:49], v[2:3]
	s_mov_b64 s[18:19], 0
	s_mov_b64 s[4:5], -1
	s_and_b64 vcc, exec, s[0:1]
	s_mul_i32 s33, s2, 0xfffff200
	s_barrier
	s_cbranch_vccz .LBB1829_77
; %bb.1:
	v_pk_mov_b32 v[2:3], s[34:35], s[34:35] op_sel:[0,1]
	flat_load_dword v1, v[2:3]
	s_add_i32 s60, s33, s54
	v_cmp_gt_u32_e64 s[2:3], s60, v0
	s_waitcnt vmcnt(0) lgkmcnt(0)
	v_mov_b32_e32 v13, v1
	s_and_saveexec_b64 s[4:5], s[2:3]
	s_cbranch_execz .LBB1829_3
; %bb.2:
	v_lshlrev_b32_e32 v2, 2, v0
	v_mov_b32_e32 v3, s35
	v_add_co_u32_e32 v2, vcc, s34, v2
	v_addc_co_u32_e32 v3, vcc, 0, v3, vcc
	flat_load_dword v13, v[2:3]
.LBB1829_3:
	s_or_b64 exec, exec, s[4:5]
	v_or_b32_e32 v2, 0x100, v0
	v_cmp_gt_u32_e64 s[4:5], s60, v2
	v_mov_b32_e32 v14, v1
	s_and_saveexec_b64 s[8:9], s[4:5]
	s_cbranch_execz .LBB1829_5
; %bb.4:
	v_lshlrev_b32_e32 v2, 2, v0
	v_mov_b32_e32 v3, s35
	v_add_co_u32_e32 v2, vcc, s34, v2
	v_addc_co_u32_e32 v3, vcc, 0, v3, vcc
	flat_load_dword v14, v[2:3] offset:1024
.LBB1829_5:
	s_or_b64 exec, exec, s[8:9]
	v_or_b32_e32 v2, 0x200, v0
	v_cmp_gt_u32_e64 s[30:31], s60, v2
	v_mov_b32_e32 v15, v1
	s_and_saveexec_b64 s[8:9], s[30:31]
	s_cbranch_execz .LBB1829_7
; %bb.6:
	v_lshlrev_b32_e32 v2, 2, v0
	v_mov_b32_e32 v3, s35
	v_add_co_u32_e32 v2, vcc, s34, v2
	v_addc_co_u32_e32 v3, vcc, 0, v3, vcc
	flat_load_dword v15, v[2:3] offset:2048
.LBB1829_7:
	;; [unrolled: 13-line block ×3, first 2 shown]
	s_or_b64 exec, exec, s[10:11]
	v_or_b32_e32 v2, 0x400, v0
	v_cmp_gt_u32_e64 s[10:11], s60, v2
	v_lshlrev_b32_e32 v2, 2, v2
	v_mov_b32_e32 v17, v1
	s_and_saveexec_b64 s[12:13], s[10:11]
	s_cbranch_execz .LBB1829_11
; %bb.10:
	v_mov_b32_e32 v3, s35
	v_add_co_u32_e32 v4, vcc, s34, v2
	v_addc_co_u32_e32 v5, vcc, 0, v3, vcc
	flat_load_dword v17, v[4:5]
.LBB1829_11:
	s_or_b64 exec, exec, s[12:13]
	v_or_b32_e32 v3, 0x500, v0
	v_cmp_gt_u32_e64 s[12:13], s60, v3
	v_lshlrev_b32_e32 v3, 2, v3
	v_mov_b32_e32 v18, v1
	s_and_saveexec_b64 s[14:15], s[12:13]
	s_cbranch_execz .LBB1829_13
; %bb.12:
	v_mov_b32_e32 v5, s35
	v_add_co_u32_e32 v4, vcc, s34, v3
	v_addc_co_u32_e32 v5, vcc, 0, v5, vcc
	flat_load_dword v18, v[4:5]
.LBB1829_13:
	;; [unrolled: 13-line block ×9, first 2 shown]
	s_or_b64 exec, exec, s[28:29]
	v_or_b32_e32 v11, 0xd00, v0
	v_cmp_gt_u32_e64 s[28:29], s60, v11
	v_lshlrev_b32_e32 v11, 2, v11
	s_and_saveexec_b64 s[44:45], s[28:29]
	s_cbranch_execz .LBB1829_29
; %bb.28:
	v_mov_b32_e32 v1, s35
	v_add_co_u32_e32 v26, vcc, s34, v11
	v_addc_co_u32_e32 v27, vcc, 0, v1, vcc
	flat_load_dword v1, v[26:27]
.LBB1829_29:
	s_or_b64 exec, exec, s[44:45]
	v_lshlrev_b32_e32 v12, 2, v0
	s_waitcnt vmcnt(0) lgkmcnt(0)
	ds_write2st64_b32 v12, v13, v14 offset1:4
	ds_write2st64_b32 v12, v15, v16 offset0:8 offset1:12
	ds_write2st64_b32 v12, v17, v18 offset0:16 offset1:20
	;; [unrolled: 1-line block ×6, first 2 shown]
	v_mad_u32_u24 v1, v0, 52, v12
	s_waitcnt lgkmcnt(0)
	s_barrier
	ds_read2_b64 v[34:37], v1 offset1:1
	ds_read2_b64 v[30:33], v1 offset0:2 offset1:3
	ds_read2_b64 v[26:29], v1 offset0:4 offset1:5
	ds_read_b64 v[40:41], v1 offset:48
	s_cmp_eq_u64 s[48:49], 0
	s_mov_b64 s[44:45], s[34:35]
	s_cbranch_scc1 .LBB1829_33
; %bb.30:
	s_andn2_b64 vcc, exec, s[40:41]
	s_cbranch_vccnz .LBB1829_179
; %bb.31:
	s_lshl_b64 s[44:45], s[48:49], 2
	s_add_u32 s44, s50, s44
	s_addc_u32 s45, s51, s45
	s_add_u32 s44, s44, -4
	s_addc_u32 s45, s45, -1
	s_cbranch_execnz .LBB1829_33
.LBB1829_32:
	s_add_u32 s44, s34, -4
	s_addc_u32 s45, s35, -1
.LBB1829_33:
	v_pk_mov_b32 v[14:15], s[44:45], s[44:45] op_sel:[0,1]
	flat_load_dword v44, v[14:15]
	s_movk_i32 s44, 0xffcc
	v_mad_i32_i24 v13, v0, s44, v1
	v_cmp_ne_u32_e32 vcc, 0, v0
	s_waitcnt lgkmcnt(0)
	ds_write_b32 v13, v41 offset:14336
	s_waitcnt lgkmcnt(0)
	s_barrier
	s_and_saveexec_b64 s[44:45], vcc
	s_cbranch_execz .LBB1829_35
; %bb.34:
	v_mul_i32_i24_e32 v13, 0xffffffcc, v0
	v_add_u32_e32 v13, v1, v13
	s_waitcnt vmcnt(0)
	ds_read_b32 v44, v13 offset:14332
.LBB1829_35:
	s_or_b64 exec, exec, s[44:45]
	s_waitcnt lgkmcnt(0)
	s_barrier
	s_waitcnt lgkmcnt(0)
                                        ; implicit-def: $vgpr13
	s_and_saveexec_b64 s[44:45], s[2:3]
	s_cbranch_execnz .LBB1829_166
; %bb.36:
	s_or_b64 exec, exec, s[44:45]
                                        ; implicit-def: $vgpr14
	s_and_saveexec_b64 s[2:3], s[4:5]
	s_cbranch_execnz .LBB1829_167
.LBB1829_37:
	s_or_b64 exec, exec, s[2:3]
                                        ; implicit-def: $vgpr15
	s_and_saveexec_b64 s[2:3], s[30:31]
	s_cbranch_execnz .LBB1829_168
.LBB1829_38:
	s_or_b64 exec, exec, s[2:3]
                                        ; implicit-def: $vgpr16
	s_and_saveexec_b64 s[2:3], s[8:9]
	s_cbranch_execnz .LBB1829_169
.LBB1829_39:
	s_or_b64 exec, exec, s[2:3]
                                        ; implicit-def: $vgpr17
	s_and_saveexec_b64 s[2:3], s[10:11]
	s_cbranch_execnz .LBB1829_170
.LBB1829_40:
	s_or_b64 exec, exec, s[2:3]
                                        ; implicit-def: $vgpr2
	s_and_saveexec_b64 s[2:3], s[12:13]
	s_cbranch_execnz .LBB1829_171
.LBB1829_41:
	s_or_b64 exec, exec, s[2:3]
                                        ; implicit-def: $vgpr3
	s_and_saveexec_b64 s[2:3], s[14:15]
	s_cbranch_execnz .LBB1829_172
.LBB1829_42:
	s_or_b64 exec, exec, s[2:3]
                                        ; implicit-def: $vgpr4
	s_and_saveexec_b64 s[2:3], s[16:17]
	s_cbranch_execnz .LBB1829_173
.LBB1829_43:
	s_or_b64 exec, exec, s[2:3]
                                        ; implicit-def: $vgpr5
	s_and_saveexec_b64 s[2:3], s[18:19]
	s_cbranch_execnz .LBB1829_174
.LBB1829_44:
	s_or_b64 exec, exec, s[2:3]
                                        ; implicit-def: $vgpr6
	s_and_saveexec_b64 s[2:3], s[20:21]
	s_cbranch_execnz .LBB1829_175
.LBB1829_45:
	s_or_b64 exec, exec, s[2:3]
                                        ; implicit-def: $vgpr7
	s_and_saveexec_b64 s[2:3], s[22:23]
	s_cbranch_execnz .LBB1829_176
.LBB1829_46:
	s_or_b64 exec, exec, s[2:3]
                                        ; implicit-def: $vgpr8
	s_and_saveexec_b64 s[2:3], s[24:25]
	s_cbranch_execnz .LBB1829_177
.LBB1829_47:
	s_or_b64 exec, exec, s[2:3]
                                        ; implicit-def: $vgpr9
	s_and_saveexec_b64 s[2:3], s[26:27]
	s_cbranch_execnz .LBB1829_178
.LBB1829_48:
	s_or_b64 exec, exec, s[2:3]
                                        ; implicit-def: $vgpr10
	s_and_saveexec_b64 s[2:3], s[28:29]
	s_cbranch_execz .LBB1829_50
.LBB1829_49:
	v_mov_b32_e32 v18, s55
	v_add_co_u32_e32 v10, vcc, s7, v11
	v_addc_co_u32_e32 v11, vcc, 0, v18, vcc
	flat_load_dword v10, v[10:11]
.LBB1829_50:
	s_or_b64 exec, exec, s[2:3]
	s_mov_b32 s8, 0
	s_mov_b32 s9, s8
	s_waitcnt vmcnt(0) lgkmcnt(0)
	ds_write2st64_b32 v12, v13, v14 offset1:4
	ds_write2st64_b32 v12, v15, v16 offset0:8 offset1:12
	ds_write2st64_b32 v12, v17, v2 offset0:16 offset1:20
	;; [unrolled: 1-line block ×6, first 2 shown]
	s_mov_b32 s10, s8
	s_mov_b32 s11, s8
	;; [unrolled: 1-line block ×6, first 2 shown]
	v_pk_mov_b32 v[2:3], s[8:9], s[8:9] op_sel:[0,1]
	v_pk_mov_b32 v[8:9], s[14:15], s[14:15] op_sel:[0,1]
	v_mul_u32_u24_e32 v42, 14, v0
	v_pk_mov_b32 v[4:5], s[10:11], s[10:11] op_sel:[0,1]
	v_pk_mov_b32 v[6:7], s[12:13], s[12:13] op_sel:[0,1]
	;; [unrolled: 1-line block ×4, first 2 shown]
	v_cmp_gt_u32_e32 vcc, s60, v42
	s_mov_b64 s[4:5], 0
	v_pk_mov_b32 v[38:39], 0, 0
	s_mov_b64 s[18:19], 0
	v_pk_mov_b32 v[14:15], v[6:7], v[6:7] op_sel:[0,1]
	v_pk_mov_b32 v[12:13], v[4:5], v[4:5] op_sel:[0,1]
	;; [unrolled: 1-line block ×6, first 2 shown]
	s_waitcnt lgkmcnt(0)
	s_barrier
	s_waitcnt lgkmcnt(0)
                                        ; implicit-def: $sgpr2_sgpr3
                                        ; implicit-def: $vgpr43
	s_and_saveexec_b64 s[16:17], vcc
	s_cbranch_execz .LBB1829_76
; %bb.51:
	v_or_b32_e32 v2, 1, v42
	ds_read_b32 v38, v1
	v_cmp_ne_u32_e32 vcc, v44, v34
	v_cndmask_b32_e64 v39, 0, 1, vcc
	v_cmp_gt_u32_e32 vcc, s60, v2
	v_pk_mov_b32 v[2:3], s[8:9], s[8:9] op_sel:[0,1]
	v_pk_mov_b32 v[8:9], s[14:15], s[14:15] op_sel:[0,1]
	v_pk_mov_b32 v[4:5], s[10:11], s[10:11] op_sel:[0,1]
	v_pk_mov_b32 v[6:7], s[12:13], s[12:13] op_sel:[0,1]
	v_pk_mov_b32 v[16:17], v[8:9], v[8:9] op_sel:[0,1]
	v_pk_mov_b32 v[24:25], v[8:9], v[8:9] op_sel:[0,1]
	s_mov_b64 s[20:21], 0
	v_pk_mov_b32 v[14:15], v[6:7], v[6:7] op_sel:[0,1]
	v_pk_mov_b32 v[12:13], v[4:5], v[4:5] op_sel:[0,1]
	;; [unrolled: 1-line block ×6, first 2 shown]
                                        ; implicit-def: $sgpr8_sgpr9
                                        ; implicit-def: $vgpr43
	s_and_saveexec_b64 s[18:19], vcc
	s_cbranch_execz .LBB1829_75
; %bb.52:
	ds_read2_b32 v[44:45], v1 offset0:1 offset1:2
	s_mov_b32 s8, 0
	s_mov_b32 s14, s8
	;; [unrolled: 1-line block ×8, first 2 shown]
	v_pk_mov_b32 v[16:17], s[14:15], s[14:15] op_sel:[0,1]
	v_add_u32_e32 v2, 2, v42
	v_cmp_ne_u32_e32 vcc, v34, v35
	v_mov_b32_e32 v6, 0
	v_pk_mov_b32 v[14:15], s[12:13], s[12:13] op_sel:[0,1]
	v_pk_mov_b32 v[12:13], s[10:11], s[10:11] op_sel:[0,1]
	;; [unrolled: 1-line block ×4, first 2 shown]
	v_cndmask_b32_e64 v3, 0, 1, vcc
	v_cmp_gt_u32_e32 vcc, s60, v2
	s_waitcnt lgkmcnt(0)
	v_mov_b32_e32 v2, v44
	v_mov_b32_e32 v4, v6
	;; [unrolled: 1-line block ×6, first 2 shown]
	s_mov_b64 s[2:3], 0
	v_pk_mov_b32 v[22:23], v[14:15], v[14:15] op_sel:[0,1]
	v_pk_mov_b32 v[20:21], v[12:13], v[12:13] op_sel:[0,1]
	;; [unrolled: 1-line block ×3, first 2 shown]
                                        ; implicit-def: $sgpr22_sgpr23
                                        ; implicit-def: $vgpr43
	s_and_saveexec_b64 s[20:21], vcc
	s_cbranch_execz .LBB1829_74
; %bb.53:
	v_pk_mov_b32 v[16:17], s[14:15], s[14:15] op_sel:[0,1]
	v_add_u32_e32 v2, 3, v42
	v_cmp_ne_u32_e32 vcc, v35, v36
	v_pk_mov_b32 v[14:15], s[12:13], s[12:13] op_sel:[0,1]
	v_pk_mov_b32 v[12:13], s[10:11], s[10:11] op_sel:[0,1]
	;; [unrolled: 1-line block ×4, first 2 shown]
	v_cndmask_b32_e64 v5, 0, 1, vcc
	v_cmp_gt_u32_e32 vcc, s60, v2
	v_mov_b32_e32 v2, v44
	v_mov_b32_e32 v4, v45
	;; [unrolled: 1-line block ×5, first 2 shown]
	v_pk_mov_b32 v[22:23], v[14:15], v[14:15] op_sel:[0,1]
	v_pk_mov_b32 v[20:21], v[12:13], v[12:13] op_sel:[0,1]
	;; [unrolled: 1-line block ×3, first 2 shown]
                                        ; implicit-def: $sgpr8_sgpr9
                                        ; implicit-def: $vgpr43
	s_and_saveexec_b64 s[22:23], vcc
	s_cbranch_execz .LBB1829_73
; %bb.54:
	ds_read2_b32 v[34:35], v1 offset0:3 offset1:4
	s_mov_b32 s8, 0
	s_mov_b32 s14, s8
	s_mov_b32 s15, s8
	s_mov_b32 s9, s8
	s_mov_b32 s10, s8
	s_mov_b32 s11, s8
	s_mov_b32 s12, s8
	s_mov_b32 s13, s8
	v_pk_mov_b32 v[16:17], s[14:15], s[14:15] op_sel:[0,1]
	v_add_u32_e32 v6, 4, v42
	v_cmp_ne_u32_e32 vcc, v36, v37
	v_pk_mov_b32 v[14:15], s[12:13], s[12:13] op_sel:[0,1]
	v_pk_mov_b32 v[12:13], s[10:11], s[10:11] op_sel:[0,1]
	;; [unrolled: 1-line block ×4, first 2 shown]
	v_cndmask_b32_e64 v7, 0, 1, vcc
	v_cmp_gt_u32_e32 vcc, s60, v6
	s_waitcnt lgkmcnt(0)
	v_mov_b32_e32 v6, v34
	v_mov_b32_e32 v8, s8
	;; [unrolled: 1-line block ×3, first 2 shown]
	v_pk_mov_b32 v[22:23], v[14:15], v[14:15] op_sel:[0,1]
	v_pk_mov_b32 v[20:21], v[12:13], v[12:13] op_sel:[0,1]
	;; [unrolled: 1-line block ×3, first 2 shown]
                                        ; implicit-def: $sgpr26_sgpr27
                                        ; implicit-def: $vgpr43
	s_and_saveexec_b64 s[24:25], vcc
	s_cbranch_execz .LBB1829_72
; %bb.55:
	v_pk_mov_b32 v[16:17], s[14:15], s[14:15] op_sel:[0,1]
	v_add_u32_e32 v8, 5, v42
	v_cmp_ne_u32_e32 vcc, v37, v30
	v_pk_mov_b32 v[14:15], s[12:13], s[12:13] op_sel:[0,1]
	v_pk_mov_b32 v[12:13], s[10:11], s[10:11] op_sel:[0,1]
	;; [unrolled: 1-line block ×4, first 2 shown]
	v_cndmask_b32_e64 v9, 0, 1, vcc
	v_cmp_gt_u32_e32 vcc, s60, v8
	v_mov_b32_e32 v8, v35
	v_pk_mov_b32 v[22:23], v[14:15], v[14:15] op_sel:[0,1]
	v_pk_mov_b32 v[20:21], v[12:13], v[12:13] op_sel:[0,1]
	;; [unrolled: 1-line block ×3, first 2 shown]
                                        ; implicit-def: $sgpr8_sgpr9
                                        ; implicit-def: $vgpr43
	s_and_saveexec_b64 s[26:27], vcc
	s_cbranch_execz .LBB1829_71
; %bb.56:
	ds_read2_b32 v[34:35], v1 offset0:5 offset1:6
	s_mov_b32 s8, 0
	s_mov_b32 s14, s8
	s_mov_b32 s15, s8
	v_add_u32_e32 v10, 6, v42
	v_cmp_ne_u32_e32 vcc, v30, v31
	v_mov_b32_e32 v14, 0
	s_mov_b32 s9, s8
	s_mov_b32 s10, s8
	;; [unrolled: 1-line block ×5, first 2 shown]
	v_pk_mov_b32 v[24:25], s[14:15], s[14:15] op_sel:[0,1]
	v_cndmask_b32_e64 v11, 0, 1, vcc
	v_cmp_gt_u32_e32 vcc, s60, v10
	s_waitcnt lgkmcnt(0)
	v_mov_b32_e32 v10, v34
	v_mov_b32_e32 v12, v14
	;; [unrolled: 1-line block ×6, first 2 shown]
	v_pk_mov_b32 v[22:23], s[12:13], s[12:13] op_sel:[0,1]
	v_pk_mov_b32 v[20:21], s[10:11], s[10:11] op_sel:[0,1]
	;; [unrolled: 1-line block ×3, first 2 shown]
                                        ; implicit-def: $sgpr30_sgpr31
                                        ; implicit-def: $vgpr43
	s_and_saveexec_b64 s[28:29], vcc
	s_cbranch_execz .LBB1829_70
; %bb.57:
	v_add_u32_e32 v10, 7, v42
	v_cmp_ne_u32_e32 vcc, v31, v32
	v_pk_mov_b32 v[24:25], s[14:15], s[14:15] op_sel:[0,1]
	v_cndmask_b32_e64 v13, 0, 1, vcc
	v_cmp_gt_u32_e32 vcc, s60, v10
	v_mov_b32_e32 v10, v34
	v_mov_b32_e32 v12, v35
	;; [unrolled: 1-line block ×5, first 2 shown]
	v_pk_mov_b32 v[22:23], s[12:13], s[12:13] op_sel:[0,1]
	v_pk_mov_b32 v[20:21], s[10:11], s[10:11] op_sel:[0,1]
	;; [unrolled: 1-line block ×3, first 2 shown]
                                        ; implicit-def: $sgpr8_sgpr9
                                        ; implicit-def: $vgpr43
	s_and_saveexec_b64 s[30:31], vcc
	s_cbranch_execz .LBB1829_69
; %bb.58:
	ds_read2_b32 v[30:31], v1 offset0:7 offset1:8
	s_mov_b32 s8, 0
	s_mov_b32 s14, s8
	;; [unrolled: 1-line block ×3, first 2 shown]
	v_add_u32_e32 v14, 8, v42
	v_cmp_ne_u32_e32 vcc, v32, v33
	s_mov_b32 s9, s8
	s_mov_b32 s10, s8
	;; [unrolled: 1-line block ×5, first 2 shown]
	v_pk_mov_b32 v[24:25], s[14:15], s[14:15] op_sel:[0,1]
	v_cndmask_b32_e64 v15, 0, 1, vcc
	v_cmp_gt_u32_e32 vcc, s60, v14
	s_waitcnt lgkmcnt(0)
	v_mov_b32_e32 v14, v30
	v_mov_b32_e32 v16, s8
	;; [unrolled: 1-line block ×3, first 2 shown]
	v_pk_mov_b32 v[22:23], s[12:13], s[12:13] op_sel:[0,1]
	v_pk_mov_b32 v[20:21], s[10:11], s[10:11] op_sel:[0,1]
	;; [unrolled: 1-line block ×3, first 2 shown]
                                        ; implicit-def: $sgpr58_sgpr59
                                        ; implicit-def: $vgpr43
	s_and_saveexec_b64 s[44:45], vcc
	s_cbranch_execz .LBB1829_68
; %bb.59:
	v_add_u32_e32 v16, 9, v42
	v_cmp_ne_u32_e32 vcc, v33, v26
	v_pk_mov_b32 v[24:25], s[14:15], s[14:15] op_sel:[0,1]
	v_cndmask_b32_e64 v17, 0, 1, vcc
	v_cmp_gt_u32_e32 vcc, s60, v16
	v_mov_b32_e32 v16, v31
	v_pk_mov_b32 v[22:23], s[12:13], s[12:13] op_sel:[0,1]
	v_pk_mov_b32 v[20:21], s[10:11], s[10:11] op_sel:[0,1]
	;; [unrolled: 1-line block ×3, first 2 shown]
                                        ; implicit-def: $sgpr10_sgpr11
                                        ; implicit-def: $vgpr43
	s_and_saveexec_b64 s[8:9], vcc
	s_cbranch_execz .LBB1829_67
; %bb.60:
	ds_read2_b32 v[30:31], v1 offset0:9 offset1:10
	v_add_u32_e32 v18, 10, v42
	v_cmp_ne_u32_e32 vcc, v26, v27
	v_mov_b32_e32 v22, 0
	v_cndmask_b32_e64 v19, 0, 1, vcc
	v_cmp_gt_u32_e32 vcc, s60, v18
	s_waitcnt lgkmcnt(0)
	v_mov_b32_e32 v18, v30
	v_mov_b32_e32 v20, v22
	;; [unrolled: 1-line block ×6, first 2 shown]
                                        ; implicit-def: $sgpr12_sgpr13
                                        ; implicit-def: $vgpr43
	s_and_saveexec_b64 s[10:11], vcc
	s_cbranch_execz .LBB1829_66
; %bb.61:
	v_add_u32_e32 v18, 11, v42
	v_cmp_ne_u32_e32 vcc, v27, v28
	v_cndmask_b32_e64 v21, 0, 1, vcc
	v_cmp_gt_u32_e32 vcc, s60, v18
	s_mov_b32 s58, 0
	v_mov_b32_e32 v18, v30
	v_mov_b32_e32 v20, v31
	;; [unrolled: 1-line block ×5, first 2 shown]
                                        ; implicit-def: $sgpr14_sgpr15
                                        ; implicit-def: $vgpr43
	s_and_saveexec_b64 s[12:13], vcc
	s_cbranch_execz .LBB1829_65
; %bb.62:
	ds_read2_b32 v[26:27], v1 offset0:11 offset1:12
	v_add_u32_e32 v22, 12, v42
	v_cmp_ne_u32_e32 vcc, v28, v29
	v_cndmask_b32_e64 v23, 0, 1, vcc
	v_cmp_gt_u32_e32 vcc, s60, v22
	s_waitcnt lgkmcnt(0)
	v_mov_b32_e32 v22, v26
	v_mov_b32_e32 v24, s58
	v_mov_b32_e32 v25, s58
                                        ; implicit-def: $sgpr14_sgpr15
                                        ; implicit-def: $vgpr43
	s_and_saveexec_b64 s[58:59], vcc
	s_xor_b64 s[58:59], exec, s[58:59]
	s_cbranch_execz .LBB1829_64
; %bb.63:
	ds_read_b32 v43, v1 offset:52
	v_add_u32_e32 v1, 13, v42
	v_cmp_ne_u32_e64 s[2:3], v29, v40
	v_cmp_ne_u32_e32 vcc, v40, v41
	v_cndmask_b32_e64 v25, 0, 1, s[2:3]
	v_cmp_gt_u32_e64 s[2:3], s60, v1
	v_mov_b32_e32 v24, v27
	s_and_b64 s[14:15], vcc, exec
	s_and_b64 s[2:3], s[2:3], exec
.LBB1829_64:
	s_or_b64 exec, exec, s[58:59]
	s_and_b64 s[14:15], s[14:15], exec
	s_and_b64 s[2:3], s[2:3], exec
.LBB1829_65:
	s_or_b64 exec, exec, s[12:13]
	s_and_b64 s[12:13], s[14:15], exec
	s_and_b64 s[2:3], s[2:3], exec
.LBB1829_66:
	s_or_b64 exec, exec, s[10:11]
	s_and_b64 s[10:11], s[12:13], exec
	s_and_b64 s[2:3], s[2:3], exec
.LBB1829_67:
	s_or_b64 exec, exec, s[8:9]
	s_and_b64 s[58:59], s[10:11], exec
	s_and_b64 s[2:3], s[2:3], exec
.LBB1829_68:
	s_or_b64 exec, exec, s[44:45]
	s_and_b64 s[8:9], s[58:59], exec
	s_and_b64 s[2:3], s[2:3], exec
.LBB1829_69:
	s_or_b64 exec, exec, s[30:31]
	s_and_b64 s[30:31], s[8:9], exec
	s_and_b64 s[2:3], s[2:3], exec
.LBB1829_70:
	s_or_b64 exec, exec, s[28:29]
	s_and_b64 s[8:9], s[30:31], exec
	s_and_b64 s[2:3], s[2:3], exec
.LBB1829_71:
	s_or_b64 exec, exec, s[26:27]
	s_and_b64 s[26:27], s[8:9], exec
	s_and_b64 s[2:3], s[2:3], exec
.LBB1829_72:
	s_or_b64 exec, exec, s[24:25]
	s_and_b64 s[8:9], s[26:27], exec
	s_and_b64 s[2:3], s[2:3], exec
.LBB1829_73:
	s_or_b64 exec, exec, s[22:23]
	s_and_b64 s[22:23], s[8:9], exec
	s_and_b64 s[2:3], s[2:3], exec
.LBB1829_74:
	s_or_b64 exec, exec, s[20:21]
	s_and_b64 s[8:9], s[22:23], exec
	s_and_b64 s[20:21], s[2:3], exec
.LBB1829_75:
	s_or_b64 exec, exec, s[18:19]
	s_and_b64 s[2:3], s[8:9], exec
	s_and_b64 s[18:19], s[20:21], exec
.LBB1829_76:
	s_or_b64 exec, exec, s[16:17]
	s_and_b64 vcc, exec, s[4:5]
	v_lshlrev_b32_e32 v50, 2, v0
	s_cbranch_vccnz .LBB1829_78
	s_branch .LBB1829_86
.LBB1829_77:
                                        ; implicit-def: $sgpr2_sgpr3
                                        ; implicit-def: $vgpr2_vgpr3_vgpr4_vgpr5_vgpr6_vgpr7_vgpr8_vgpr9
                                        ; implicit-def: $vgpr10_vgpr11_vgpr12_vgpr13_vgpr14_vgpr15_vgpr16_vgpr17
                                        ; implicit-def: $vgpr18_vgpr19_vgpr20_vgpr21_vgpr22_vgpr23_vgpr24_vgpr25
                                        ; implicit-def: $vgpr43
                                        ; implicit-def: $vgpr38_vgpr39
	s_and_b64 vcc, exec, s[4:5]
	v_lshlrev_b32_e32 v50, 2, v0
	s_cbranch_vccz .LBB1829_86
.LBB1829_78:
	v_mov_b32_e32 v1, s35
	v_add_co_u32_e32 v2, vcc, s34, v50
	v_addc_co_u32_e32 v3, vcc, 0, v1, vcc
	v_add_co_u32_e32 v4, vcc, 0x1000, v2
	v_addc_co_u32_e32 v5, vcc, 0, v3, vcc
	flat_load_dword v6, v[2:3]
	flat_load_dword v7, v[2:3] offset:1024
	flat_load_dword v8, v[2:3] offset:2048
	;; [unrolled: 1-line block ×3, first 2 shown]
	flat_load_dword v10, v[4:5]
	flat_load_dword v11, v[4:5] offset:1024
	flat_load_dword v12, v[4:5] offset:2048
	;; [unrolled: 1-line block ×3, first 2 shown]
	v_add_co_u32_e32 v4, vcc, 0x2000, v2
	v_addc_co_u32_e32 v5, vcc, 0, v3, vcc
	v_add_co_u32_e32 v2, vcc, 0x3000, v2
	v_addc_co_u32_e32 v3, vcc, 0, v3, vcc
	flat_load_dword v14, v[4:5]
	flat_load_dword v15, v[4:5] offset:1024
	flat_load_dword v16, v[4:5] offset:2048
	;; [unrolled: 1-line block ×3, first 2 shown]
	flat_load_dword v18, v[2:3]
	flat_load_dword v19, v[2:3] offset:1024
	v_mad_u32_u24 v1, v0, 52, v50
	s_cmp_eq_u64 s[48:49], 0
	s_waitcnt vmcnt(0) lgkmcnt(0)
	ds_write2st64_b32 v50, v6, v7 offset1:4
	ds_write2st64_b32 v50, v8, v9 offset0:8 offset1:12
	ds_write2st64_b32 v50, v10, v11 offset0:16 offset1:20
	;; [unrolled: 1-line block ×6, first 2 shown]
	s_waitcnt lgkmcnt(0)
	s_barrier
	ds_read2_b64 v[2:5], v1 offset1:1
	ds_read2_b64 v[10:13], v1 offset0:2 offset1:3
	ds_read2_b64 v[18:21], v1 offset0:4 offset1:5
	ds_read_b64 v[6:7], v1 offset:48
	s_cbranch_scc1 .LBB1829_83
; %bb.79:
	s_andn2_b64 vcc, exec, s[40:41]
	s_cbranch_vccnz .LBB1829_180
; %bb.80:
	s_lshl_b64 s[2:3], s[48:49], 2
	s_add_u32 s2, s50, s2
	s_addc_u32 s3, s51, s3
	s_add_u32 s2, s2, -4
	s_addc_u32 s3, s3, -1
	s_cbranch_execnz .LBB1829_82
.LBB1829_81:
	s_add_u32 s2, s34, -4
	s_addc_u32 s3, s35, -1
.LBB1829_82:
	s_mov_b64 s[34:35], s[2:3]
.LBB1829_83:
	v_pk_mov_b32 v[8:9], s[34:35], s[34:35] op_sel:[0,1]
	flat_load_dword v8, v[8:9]
	s_movk_i32 s2, 0xffcc
	v_mad_i32_i24 v9, v0, s2, v1
	v_cmp_ne_u32_e32 vcc, 0, v0
	s_waitcnt lgkmcnt(0)
	ds_write_b32 v9, v7 offset:14336
	s_waitcnt lgkmcnt(0)
	s_barrier
	s_and_saveexec_b64 s[2:3], vcc
	s_cbranch_execz .LBB1829_85
; %bb.84:
	s_waitcnt vmcnt(0)
	v_mul_i32_i24_e32 v8, 0xffffffcc, v0
	v_add_u32_e32 v8, v1, v8
	ds_read_b32 v8, v8 offset:14332
.LBB1829_85:
	s_or_b64 exec, exec, s[2:3]
	v_mov_b32_e32 v9, s55
	v_add_co_u32_e32 v14, vcc, s7, v50
	v_addc_co_u32_e32 v15, vcc, 0, v9, vcc
	s_movk_i32 s2, 0x1000
	v_add_co_u32_e32 v16, vcc, s2, v14
	v_addc_co_u32_e32 v17, vcc, 0, v15, vcc
	s_movk_i32 s2, 0x2000
	s_waitcnt lgkmcnt(0)
	s_barrier
	flat_load_dword v22, v[14:15]
	flat_load_dword v24, v[14:15] offset:1024
	flat_load_dword v26, v[14:15] offset:2048
	;; [unrolled: 1-line block ×3, first 2 shown]
	flat_load_dword v28, v[16:17]
	flat_load_dword v29, v[16:17] offset:1024
	flat_load_dword v30, v[16:17] offset:2048
	;; [unrolled: 1-line block ×3, first 2 shown]
	v_add_co_u32_e32 v16, vcc, s2, v14
	v_addc_co_u32_e32 v17, vcc, 0, v15, vcc
	s_movk_i32 s2, 0x3000
	v_add_co_u32_e32 v14, vcc, s2, v14
	v_addc_co_u32_e32 v15, vcc, 0, v15, vcc
	flat_load_dword v32, v[16:17]
	flat_load_dword v33, v[16:17] offset:1024
	flat_load_dword v34, v[16:17] offset:2048
	;; [unrolled: 1-line block ×3, first 2 shown]
	flat_load_dword v36, v[14:15]
	flat_load_dword v37, v[14:15] offset:1024
	s_waitcnt vmcnt(0)
	v_cmp_ne_u32_e32 vcc, v8, v2
	v_cndmask_b32_e64 v39, 0, 1, vcc
	v_cmp_ne_u32_e32 vcc, v5, v10
	v_cndmask_b32_e64 v9, 0, 1, vcc
	v_cmp_ne_u32_e32 vcc, v4, v5
	v_cmp_ne_u32_e64 s[2:3], v6, v7
	v_cndmask_b32_e64 v7, 0, 1, vcc
	v_cmp_ne_u32_e32 vcc, v3, v4
	v_cndmask_b32_e64 v5, 0, 1, vcc
	v_cmp_ne_u32_e32 vcc, v2, v3
	;; [unrolled: 2-line block ×10, first 2 shown]
	v_cndmask_b32_e64 v19, 0, 1, vcc
	s_mov_b64 s[18:19], -1
                                        ; implicit-def: $sgpr4_sgpr5
	s_waitcnt lgkmcnt(0)
	ds_write2st64_b32 v50, v22, v24 offset1:4
	ds_write2st64_b32 v50, v26, v27 offset0:8 offset1:12
	ds_write2st64_b32 v50, v28, v29 offset0:16 offset1:20
	ds_write2st64_b32 v50, v30, v31 offset0:24 offset1:28
	ds_write2st64_b32 v50, v32, v33 offset0:32 offset1:36
	ds_write2st64_b32 v50, v34, v35 offset0:40 offset1:44
	ds_write2st64_b32 v50, v36, v37 offset0:48 offset1:52
	s_waitcnt lgkmcnt(0)
	s_barrier
	ds_read2_b32 v[42:43], v1 offset1:13
	ds_read2_b32 v[26:27], v1 offset0:7 offset1:8
	ds_read2_b32 v[28:29], v1 offset0:5 offset1:6
	;; [unrolled: 1-line block ×6, first 2 shown]
	s_waitcnt lgkmcnt(6)
	v_mov_b32_e32 v38, v42
	s_waitcnt lgkmcnt(4)
	v_mov_b32_e32 v10, v28
	;; [unrolled: 2-line block ×4, first 2 shown]
	v_mov_b32_e32 v4, v33
	v_mov_b32_e32 v8, v31
	;; [unrolled: 1-line block ×5, first 2 shown]
	s_waitcnt lgkmcnt(0)
	v_mov_b32_e32 v18, v36
	v_mov_b32_e32 v20, v37
	;; [unrolled: 1-line block ×4, first 2 shown]
.LBB1829_86:
	v_pk_mov_b32 v[40:41], s[4:5], s[4:5] op_sel:[0,1]
	s_and_saveexec_b64 s[4:5], s[18:19]
	s_cbranch_execz .LBB1829_88
; %bb.87:
	v_cndmask_b32_e64 v41, 0, 1, s[2:3]
	s_waitcnt lgkmcnt(0)
	v_mov_b32_e32 v40, v43
.LBB1829_88:
	s_or_b64 exec, exec, s[4:5]
	s_mov_b32 s26, 0
	s_cmp_lg_u32 s6, 0
	v_mbcnt_lo_u32_b32 v52, -1, 0
	v_lshrrev_b32_e32 v1, 6, v0
	v_or_b32_e32 v51, 63, v0
	s_waitcnt lgkmcnt(0)
	s_barrier
	s_cbranch_scc0 .LBB1829_117
; %bb.89:
	s_mov_b32 s27, 1
	v_cmp_gt_u64_e64 s[2:3], s[26:27], v[2:3]
	v_cndmask_b32_e64 v27, 0, v38, s[2:3]
	v_add_u32_e32 v27, v27, v2
	v_cmp_gt_u64_e64 s[4:5], s[26:27], v[4:5]
	v_cndmask_b32_e64 v27, 0, v27, s[4:5]
	v_add_u32_e32 v27, v27, v4
	;; [unrolled: 3-line block ×13, first 2 shown]
	v_or3_b32 v27, v41, v25, v23
	v_or3_b32 v27, v27, v21, v19
	;; [unrolled: 1-line block ×6, first 2 shown]
	v_mov_b32_e32 v26, 0
	v_and_b32_e32 v27, 1, v27
	v_cmp_eq_u64_e32 vcc, 0, v[26:27]
	v_cndmask_b32_e32 v26, 1, v39, vcc
	v_mbcnt_hi_u32_b32 v46, -1, v52
	v_mov_b32_dpp v29, v28 row_shr:1 row_mask:0xf bank_mask:0xf
	v_mov_b32_dpp v30, v26 row_shr:1 row_mask:0xf bank_mask:0xf
	v_cmp_eq_u32_e32 vcc, 0, v26
	v_and_b32_e32 v31, 1, v26
	v_and_b32_e32 v27, 15, v46
	v_cndmask_b32_e32 v29, 0, v29, vcc
	v_and_b32_e32 v30, 1, v30
	v_cmp_eq_u32_e32 vcc, 1, v31
	v_cndmask_b32_e64 v30, v30, 1, vcc
	v_cmp_eq_u32_e32 vcc, 0, v27
	v_cndmask_b32_e32 v26, v30, v26, vcc
	v_and_b32_e32 v31, 1, v26
	v_cmp_eq_u32_e64 s[28:29], 1, v31
	v_mov_b32_dpp v30, v26 row_shr:2 row_mask:0xf bank_mask:0xf
	v_and_b32_e32 v30, 1, v30
	v_cndmask_b32_e64 v30, v30, 1, s[28:29]
	v_cmp_lt_u32_e64 s[28:29], 1, v27
	v_cndmask_b32_e64 v29, v29, 0, vcc
	v_cmp_eq_u32_e32 vcc, 0, v26
	v_cndmask_b32_e64 v26, v26, v30, s[28:29]
	v_add_u32_e32 v28, v29, v28
	v_and_b32_e32 v31, 1, v26
	v_mov_b32_dpp v30, v26 row_shr:4 row_mask:0xf bank_mask:0xf
	v_mov_b32_dpp v29, v28 row_shr:2 row_mask:0xf bank_mask:0xf
	s_and_b64 vcc, s[28:29], vcc
	v_and_b32_e32 v30, 1, v30
	v_cmp_eq_u32_e64 s[28:29], 1, v31
	v_cndmask_b32_e32 v29, 0, v29, vcc
	v_cndmask_b32_e64 v30, v30, 1, s[28:29]
	v_cmp_lt_u32_e64 s[28:29], 3, v27
	v_add_u32_e32 v28, v29, v28
	v_cmp_eq_u32_e32 vcc, 0, v26
	v_cndmask_b32_e64 v26, v26, v30, s[28:29]
	v_mov_b32_dpp v29, v28 row_shr:4 row_mask:0xf bank_mask:0xf
	s_and_b64 vcc, s[28:29], vcc
	v_mov_b32_dpp v30, v26 row_shr:8 row_mask:0xf bank_mask:0xf
	v_and_b32_e32 v31, 1, v26
	v_cndmask_b32_e32 v29, 0, v29, vcc
	v_and_b32_e32 v30, 1, v30
	v_cmp_eq_u32_e64 s[28:29], 1, v31
	v_add_u32_e32 v28, v29, v28
	v_cmp_eq_u32_e32 vcc, 0, v26
	v_cndmask_b32_e64 v30, v30, 1, s[28:29]
	v_cmp_lt_u32_e64 s[28:29], 7, v27
	v_mov_b32_dpp v29, v28 row_shr:8 row_mask:0xf bank_mask:0xf
	s_and_b64 vcc, s[28:29], vcc
	v_cndmask_b32_e32 v27, 0, v29, vcc
	v_cndmask_b32_e64 v26, v26, v30, s[28:29]
	v_add_u32_e32 v27, v27, v28
	v_cmp_eq_u32_e32 vcc, 0, v26
	v_mov_b32_dpp v29, v26 row_bcast:15 row_mask:0xf bank_mask:0xf
	v_mov_b32_dpp v28, v27 row_bcast:15 row_mask:0xf bank_mask:0xf
	v_and_b32_e32 v32, 1, v26
	v_and_b32_e32 v31, 16, v46
	v_cndmask_b32_e32 v28, 0, v28, vcc
	v_and_b32_e32 v29, 1, v29
	v_cmp_eq_u32_e32 vcc, 1, v32
	v_bfe_i32 v30, v46, 4, 1
	v_cndmask_b32_e64 v29, v29, 1, vcc
	v_cmp_eq_u32_e32 vcc, 0, v31
	v_and_b32_e32 v28, v30, v28
	v_cndmask_b32_e32 v26, v29, v26, vcc
	v_add_u32_e32 v27, v28, v27
	v_and_b32_e32 v30, 1, v26
	v_mov_b32_dpp v28, v26 row_bcast:31 row_mask:0xf bank_mask:0xf
	v_and_b32_e32 v28, 1, v28
	v_cmp_eq_u32_e64 s[28:29], 1, v30
	v_cmp_eq_u32_e32 vcc, 0, v26
	v_cndmask_b32_e64 v28, v28, 1, s[28:29]
	v_cmp_lt_u32_e64 s[28:29], 31, v46
	v_mov_b32_dpp v29, v27 row_bcast:31 row_mask:0xf bank_mask:0xf
	s_and_b64 vcc, s[28:29], vcc
	v_cndmask_b32_e64 v28, v26, v28, s[28:29]
	v_cndmask_b32_e32 v26, 0, v29, vcc
	v_add_u32_e32 v29, v26, v27
	v_cmp_eq_u32_e32 vcc, v51, v0
	s_and_saveexec_b64 s[28:29], vcc
	s_cbranch_execz .LBB1829_91
; %bb.90:
	v_lshlrev_b32_e32 v26, 3, v1
	ds_write_b32 v26, v29
	ds_write_b8 v26, v28 offset:4
.LBB1829_91:
	s_or_b64 exec, exec, s[28:29]
	v_cmp_gt_u32_e32 vcc, 4, v0
	s_waitcnt lgkmcnt(0)
	s_barrier
	s_and_saveexec_b64 s[28:29], vcc
	s_cbranch_execz .LBB1829_95
; %bb.92:
	v_lshlrev_b32_e32 v30, 3, v0
	ds_read_b64 v[26:27], v30
	v_and_b32_e32 v31, 3, v46
	v_cmp_ne_u32_e32 vcc, 0, v31
	s_waitcnt lgkmcnt(0)
	v_mov_b32_dpp v32, v26 row_shr:1 row_mask:0xf bank_mask:0xf
	v_mov_b32_dpp v34, v27 row_shr:1 row_mask:0xf bank_mask:0xf
	v_mov_b32_e32 v33, v27
	s_and_saveexec_b64 s[34:35], vcc
	s_cbranch_execz .LBB1829_94
; %bb.93:
	v_and_b32_e32 v33, 1, v27
	v_and_b32_e32 v34, 1, v34
	v_cmp_eq_u32_e32 vcc, 1, v33
	v_mov_b32_e32 v33, 0
	v_cndmask_b32_e64 v34, v34, 1, vcc
	v_cmp_eq_u16_sdwa vcc, v27, v33 src0_sel:BYTE_0 src1_sel:DWORD
	v_cndmask_b32_e32 v32, 0, v32, vcc
	v_add_u32_e32 v26, v32, v26
	v_and_b32_e32 v32, 0xffff, v34
	s_movk_i32 s7, 0xff00
	v_and_or_b32 v33, v27, s7, v32
	v_mov_b32_e32 v27, v34
.LBB1829_94:
	s_or_b64 exec, exec, s[34:35]
	v_mov_b32_dpp v33, v33 row_shr:2 row_mask:0xf bank_mask:0xf
	v_and_b32_e32 v34, 1, v27
	v_and_b32_e32 v33, 1, v33
	v_cmp_eq_u32_e32 vcc, 1, v34
	v_mov_b32_e32 v34, 0
	v_cndmask_b32_e64 v33, v33, 1, vcc
	v_cmp_eq_u16_sdwa s[34:35], v27, v34 src0_sel:BYTE_0 src1_sel:DWORD
	v_cmp_lt_u32_e32 vcc, 1, v31
	v_mov_b32_dpp v32, v26 row_shr:2 row_mask:0xf bank_mask:0xf
	v_cndmask_b32_e32 v27, v27, v33, vcc
	s_and_b64 vcc, vcc, s[34:35]
	v_cndmask_b32_e32 v31, 0, v32, vcc
	v_add_u32_e32 v26, v31, v26
	ds_write_b32 v30, v26
	ds_write_b8 v30, v27 offset:4
.LBB1829_95:
	s_or_b64 exec, exec, s[28:29]
	v_cmp_gt_u32_e32 vcc, 64, v0
	v_cmp_lt_u32_e64 s[28:29], 63, v0
	v_mov_b32_e32 v42, 0
	v_mov_b32_e32 v43, 0
	s_waitcnt lgkmcnt(0)
	s_barrier
	s_and_saveexec_b64 s[34:35], s[28:29]
	s_cbranch_execz .LBB1829_97
; %bb.96:
	v_lshl_add_u32 v26, v1, 3, -8
	ds_read_b32 v42, v26
	ds_read_u8 v43, v26 offset:4
	v_and_b32_e32 v27, 1, v28
	v_cmp_eq_u32_e64 s[28:29], 0, v28
	s_waitcnt lgkmcnt(1)
	v_cndmask_b32_e64 v26, 0, v42, s[28:29]
	v_cmp_eq_u32_e64 s[28:29], 1, v27
	v_add_u32_e32 v29, v26, v29
	s_waitcnt lgkmcnt(0)
	v_cndmask_b32_e64 v28, v43, 1, s[28:29]
.LBB1829_97:
	s_or_b64 exec, exec, s[34:35]
	v_add_u32_e32 v26, -1, v46
	v_and_b32_e32 v27, 64, v46
	v_cmp_lt_i32_e64 s[28:29], v26, v27
	v_cndmask_b32_e64 v26, v26, v46, s[28:29]
	v_lshlrev_b32_e32 v26, 2, v26
	ds_bpermute_b32 v44, v26, v29
	ds_bpermute_b32 v45, v26, v28
	v_cmp_eq_u32_e64 s[28:29], 0, v46
	s_and_saveexec_b64 s[40:41], vcc
	s_cbranch_execz .LBB1829_116
; %bb.98:
	v_mov_b32_e32 v29, 0
	ds_read_b64 v[26:27], v29 offset:24
	s_waitcnt lgkmcnt(0)
	v_readfirstlane_b32 s7, v27
	s_and_saveexec_b64 s[34:35], s[28:29]
	s_cbranch_execz .LBB1829_100
; %bb.99:
	s_add_i32 s44, s6, 64
	s_mov_b32 s45, 0
	s_lshl_b64 s[48:49], s[44:45], 4
	s_add_u32 s48, s52, s48
	s_addc_u32 s49, s53, s49
	s_and_b32 s51, s7, 0xff000000
	s_mov_b32 s50, s45
	s_and_b32 s59, s7, 0xff0000
	s_mov_b32 s58, s45
	s_or_b64 s[50:51], s[58:59], s[50:51]
	s_and_b32 s59, s7, 0xff00
	s_or_b64 s[50:51], s[50:51], s[58:59]
	s_and_b32 s59, s7, 0xff
	s_or_b64 s[44:45], s[50:51], s[58:59]
	v_mov_b32_e32 v27, s45
	v_mov_b32_e32 v28, 1
	v_pk_mov_b32 v[30:31], s[48:49], s[48:49] op_sel:[0,1]
	;;#ASMSTART
	global_store_dwordx4 v[30:31], v[26:29] off	
s_waitcnt vmcnt(0)
	;;#ASMEND
.LBB1829_100:
	s_or_b64 exec, exec, s[34:35]
	v_xad_u32 v34, v46, -1, s6
	v_add_u32_e32 v28, 64, v34
	v_lshlrev_b64 v[30:31], 4, v[28:29]
	v_mov_b32_e32 v27, s53
	v_add_co_u32_e32 v36, vcc, s52, v30
	v_addc_co_u32_e32 v37, vcc, v27, v31, vcc
	;;#ASMSTART
	global_load_dwordx4 v[30:33], v[36:37] off glc	
s_waitcnt vmcnt(0)
	;;#ASMEND
	v_and_b32_e32 v27, 0xff0000, v30
	v_or_b32_sdwa v27, v30, v27 dst_sel:DWORD dst_unused:UNUSED_PAD src0_sel:WORD_0 src1_sel:DWORD
	v_and_b32_e32 v28, 0xff000000, v30
	v_and_b32_e32 v30, 0xff, v31
	v_or3_b32 v31, 0, 0, v30
	v_or3_b32 v30, v27, v28, 0
	v_cmp_eq_u16_sdwa s[44:45], v32, v29 src0_sel:BYTE_0 src1_sel:DWORD
	s_and_saveexec_b64 s[34:35], s[44:45]
	s_cbranch_execz .LBB1829_104
; %bb.101:
	s_mov_b64 s[44:45], 0
	v_mov_b32_e32 v27, 0
.LBB1829_102:                           ; =>This Inner Loop Header: Depth=1
	;;#ASMSTART
	global_load_dwordx4 v[30:33], v[36:37] off glc	
s_waitcnt vmcnt(0)
	;;#ASMEND
	v_cmp_ne_u16_sdwa s[48:49], v32, v27 src0_sel:BYTE_0 src1_sel:DWORD
	s_or_b64 s[44:45], s[48:49], s[44:45]
	s_andn2_b64 exec, exec, s[44:45]
	s_cbranch_execnz .LBB1829_102
; %bb.103:
	s_or_b64 exec, exec, s[44:45]
	v_and_b32_e32 v31, 0xff, v31
.LBB1829_104:
	s_or_b64 exec, exec, s[34:35]
	v_mov_b32_e32 v27, 2
	v_cmp_eq_u16_sdwa s[34:35], v32, v27 src0_sel:BYTE_0 src1_sel:DWORD
	v_lshlrev_b64 v[28:29], v46, -1
	v_and_b32_e32 v33, s35, v29
	v_or_b32_e32 v33, 0x80000000, v33
	v_and_b32_e32 v35, s34, v28
	v_ffbl_b32_e32 v33, v33
	v_and_b32_e32 v47, 63, v46
	v_add_u32_e32 v33, 32, v33
	v_ffbl_b32_e32 v35, v35
	v_cmp_ne_u32_e32 vcc, 63, v47
	v_min_u32_e32 v33, v35, v33
	v_addc_co_u32_e32 v35, vcc, 0, v46, vcc
	v_lshlrev_b32_e32 v48, 2, v35
	ds_bpermute_b32 v35, v48, v31
	ds_bpermute_b32 v36, v48, v30
	s_mov_b32 s44, 0
	v_and_b32_e32 v37, 1, v31
	s_mov_b32 s45, 1
	s_waitcnt lgkmcnt(1)
	v_and_b32_e32 v35, 1, v35
	v_cmp_eq_u32_e32 vcc, 1, v37
	v_cndmask_b32_e64 v35, v35, 1, vcc
	v_cmp_gt_u64_e32 vcc, s[44:45], v[30:31]
	v_cmp_lt_u32_e64 s[34:35], v47, v33
	s_and_b64 vcc, s[34:35], vcc
	v_and_b32_e32 v37, 0xffff, v35
	v_cndmask_b32_e64 v54, v31, v35, s[34:35]
	s_waitcnt lgkmcnt(0)
	v_cndmask_b32_e32 v35, 0, v36, vcc
	v_cmp_gt_u32_e32 vcc, 62, v47
	v_cndmask_b32_e64 v36, 0, 1, vcc
	v_lshlrev_b32_e32 v36, 1, v36
	v_cndmask_b32_e64 v31, v31, v37, s[34:35]
	v_add_lshl_u32 v49, v36, v46, 2
	ds_bpermute_b32 v36, v49, v31
	v_add_u32_e32 v30, v35, v30
	ds_bpermute_b32 v37, v49, v30
	v_and_b32_e32 v35, 1, v54
	v_cmp_eq_u32_e32 vcc, 1, v35
	s_waitcnt lgkmcnt(1)
	v_and_b32_e32 v36, 1, v36
	v_mov_b32_e32 v35, 0
	v_add_u32_e32 v53, 2, v47
	v_cndmask_b32_e64 v36, v36, 1, vcc
	v_cmp_eq_u16_sdwa vcc, v54, v35 src0_sel:BYTE_0 src1_sel:DWORD
	v_and_b32_e32 v55, 0xffff, v36
	s_waitcnt lgkmcnt(0)
	v_cndmask_b32_e32 v37, 0, v37, vcc
	v_cmp_gt_u32_e32 vcc, v53, v33
	v_cndmask_b32_e32 v36, v36, v54, vcc
	v_cndmask_b32_e64 v37, v37, 0, vcc
	v_cndmask_b32_e32 v31, v55, v31, vcc
	v_cmp_gt_u32_e32 vcc, 60, v47
	v_cndmask_b32_e64 v54, 0, 1, vcc
	v_lshlrev_b32_e32 v54, 2, v54
	v_add_lshl_u32 v54, v54, v46, 2
	ds_bpermute_b32 v56, v54, v31
	v_add_u32_e32 v30, v37, v30
	ds_bpermute_b32 v37, v54, v30
	v_and_b32_e32 v57, 1, v36
	v_cmp_eq_u32_e32 vcc, 1, v57
	s_waitcnt lgkmcnt(1)
	v_and_b32_e32 v56, 1, v56
	v_add_u32_e32 v55, 4, v47
	v_cndmask_b32_e64 v56, v56, 1, vcc
	v_cmp_eq_u16_sdwa vcc, v36, v35 src0_sel:BYTE_0 src1_sel:DWORD
	v_and_b32_e32 v57, 0xffff, v56
	s_waitcnt lgkmcnt(0)
	v_cndmask_b32_e32 v37, 0, v37, vcc
	v_cmp_gt_u32_e32 vcc, v55, v33
	v_cndmask_b32_e32 v36, v56, v36, vcc
	v_cndmask_b32_e64 v37, v37, 0, vcc
	v_cndmask_b32_e32 v31, v57, v31, vcc
	v_cmp_gt_u32_e32 vcc, 56, v47
	v_cndmask_b32_e64 v56, 0, 1, vcc
	v_lshlrev_b32_e32 v56, 3, v56
	v_add_lshl_u32 v56, v56, v46, 2
	ds_bpermute_b32 v58, v56, v31
	v_add_u32_e32 v30, v37, v30
	ds_bpermute_b32 v37, v56, v30
	v_and_b32_e32 v59, 1, v36
	v_cmp_eq_u32_e32 vcc, 1, v59
	s_waitcnt lgkmcnt(1)
	v_and_b32_e32 v58, 1, v58
	;; [unrolled: 21-line block ×4, first 2 shown]
	v_add_u32_e32 v62, 32, v47
	v_cndmask_b32_e64 v31, v31, 1, vcc
	v_cmp_eq_u16_sdwa vcc, v36, v35 src0_sel:BYTE_0 src1_sel:DWORD
	s_waitcnt lgkmcnt(0)
	v_cndmask_b32_e32 v37, 0, v37, vcc
	v_cmp_gt_u32_e32 vcc, v62, v33
	v_cndmask_b32_e64 v33, v37, 0, vcc
	v_cndmask_b32_e32 v31, v31, v36, vcc
	v_add_u32_e32 v30, v33, v30
	s_branch .LBB1829_106
.LBB1829_105:                           ;   in Loop: Header=BB1829_106 Depth=1
	s_or_b64 exec, exec, s[34:35]
	v_cmp_eq_u16_sdwa s[34:35], v32, v27 src0_sel:BYTE_0 src1_sel:DWORD
	v_and_b32_e32 v33, s35, v29
	ds_bpermute_b32 v37, v48, v31
	v_or_b32_e32 v33, 0x80000000, v33
	v_and_b32_e32 v36, s34, v28
	v_ffbl_b32_e32 v33, v33
	v_add_u32_e32 v33, 32, v33
	v_ffbl_b32_e32 v36, v36
	v_min_u32_e32 v33, v36, v33
	ds_bpermute_b32 v36, v48, v30
	v_and_b32_e32 v63, 1, v31
	s_waitcnt lgkmcnt(1)
	v_and_b32_e32 v37, 1, v37
	v_cmp_eq_u32_e32 vcc, 1, v63
	v_cndmask_b32_e64 v37, v37, 1, vcc
	v_cmp_gt_u64_e32 vcc, s[44:45], v[30:31]
	v_and_b32_e32 v63, 0xffff, v37
	v_cmp_lt_u32_e64 s[34:35], v47, v33
	v_cndmask_b32_e64 v37, v31, v37, s[34:35]
	v_cndmask_b32_e64 v31, v31, v63, s[34:35]
	s_and_b64 vcc, s[34:35], vcc
	ds_bpermute_b32 v63, v49, v31
	s_waitcnt lgkmcnt(1)
	v_cndmask_b32_e32 v36, 0, v36, vcc
	v_add_u32_e32 v30, v36, v30
	ds_bpermute_b32 v36, v49, v30
	v_and_b32_e32 v64, 1, v37
	s_waitcnt lgkmcnt(1)
	v_and_b32_e32 v63, 1, v63
	v_cmp_eq_u32_e32 vcc, 1, v64
	v_cndmask_b32_e64 v63, v63, 1, vcc
	v_cmp_eq_u16_sdwa vcc, v37, v35 src0_sel:BYTE_0 src1_sel:DWORD
	v_and_b32_e32 v64, 0xffff, v63
	s_waitcnt lgkmcnt(0)
	v_cndmask_b32_e32 v36, 0, v36, vcc
	v_cmp_gt_u32_e32 vcc, v53, v33
	v_cndmask_b32_e32 v31, v64, v31, vcc
	v_cndmask_b32_e32 v37, v63, v37, vcc
	ds_bpermute_b32 v63, v54, v31
	v_cndmask_b32_e64 v36, v36, 0, vcc
	v_add_u32_e32 v30, v36, v30
	ds_bpermute_b32 v36, v54, v30
	v_and_b32_e32 v64, 1, v37
	s_waitcnt lgkmcnt(1)
	v_and_b32_e32 v63, 1, v63
	v_cmp_eq_u32_e32 vcc, 1, v64
	v_cndmask_b32_e64 v63, v63, 1, vcc
	v_cmp_eq_u16_sdwa vcc, v37, v35 src0_sel:BYTE_0 src1_sel:DWORD
	v_and_b32_e32 v64, 0xffff, v63
	s_waitcnt lgkmcnt(0)
	v_cndmask_b32_e32 v36, 0, v36, vcc
	v_cmp_gt_u32_e32 vcc, v55, v33
	v_cndmask_b32_e32 v31, v64, v31, vcc
	v_cndmask_b32_e32 v37, v63, v37, vcc
	ds_bpermute_b32 v63, v56, v31
	v_cndmask_b32_e64 v36, v36, 0, vcc
	;; [unrolled: 16-line block ×3, first 2 shown]
	v_add_u32_e32 v30, v36, v30
	ds_bpermute_b32 v36, v58, v30
	v_and_b32_e32 v64, 1, v37
	s_waitcnt lgkmcnt(1)
	v_and_b32_e32 v63, 1, v63
	v_cmp_eq_u32_e32 vcc, 1, v64
	v_cndmask_b32_e64 v63, v63, 1, vcc
	v_cmp_eq_u16_sdwa vcc, v37, v35 src0_sel:BYTE_0 src1_sel:DWORD
	v_and_b32_e32 v64, 0xffff, v63
	s_waitcnt lgkmcnt(0)
	v_cndmask_b32_e32 v36, 0, v36, vcc
	v_cmp_gt_u32_e32 vcc, v59, v33
	v_cndmask_b32_e64 v36, v36, 0, vcc
	v_cndmask_b32_e32 v31, v64, v31, vcc
	ds_bpermute_b32 v31, v61, v31
	v_add_u32_e32 v30, v36, v30
	ds_bpermute_b32 v36, v61, v30
	v_cndmask_b32_e32 v37, v63, v37, vcc
	v_and_b32_e32 v63, 1, v37
	v_cmp_eq_u32_e32 vcc, 1, v63
	s_waitcnt lgkmcnt(1)
	v_cndmask_b32_e64 v31, v31, 1, vcc
	v_cmp_eq_u16_sdwa vcc, v37, v35 src0_sel:BYTE_0 src1_sel:DWORD
	s_waitcnt lgkmcnt(0)
	v_cndmask_b32_e32 v36, 0, v36, vcc
	v_cmp_gt_u32_e32 vcc, v62, v33
	v_cndmask_b32_e64 v33, v36, 0, vcc
	v_cndmask_b32_e32 v31, v31, v37, vcc
	v_add_u32_e32 v30, v33, v30
	v_cmp_eq_u16_sdwa vcc, v46, v35 src0_sel:BYTE_0 src1_sel:DWORD
	v_and_b32_e32 v33, 1, v46
	v_cndmask_b32_e32 v30, 0, v30, vcc
	v_and_b32_e32 v31, 1, v31
	v_cmp_eq_u32_e32 vcc, 1, v33
	v_subrev_u32_e32 v34, 64, v34
	v_add_u32_e32 v30, v30, v60
	v_cndmask_b32_e64 v31, v31, 1, vcc
.LBB1829_106:                           ; =>This Loop Header: Depth=1
                                        ;     Child Loop BB1829_109 Depth 2
	v_cmp_ne_u16_sdwa s[34:35], v32, v27 src0_sel:BYTE_0 src1_sel:DWORD
	v_mov_b32_e32 v46, v31
	v_cndmask_b32_e64 v31, 0, 1, s[34:35]
	;;#ASMSTART
	;;#ASMEND
	v_cmp_ne_u32_e32 vcc, 0, v31
	s_cmp_lg_u64 vcc, exec
	v_mov_b32_e32 v60, v30
	s_cbranch_scc1 .LBB1829_111
; %bb.107:                              ;   in Loop: Header=BB1829_106 Depth=1
	v_lshlrev_b64 v[30:31], 4, v[34:35]
	v_mov_b32_e32 v32, s53
	v_add_co_u32_e32 v36, vcc, s52, v30
	v_addc_co_u32_e32 v37, vcc, v32, v31, vcc
	;;#ASMSTART
	global_load_dwordx4 v[30:33], v[36:37] off glc	
s_waitcnt vmcnt(0)
	;;#ASMEND
	v_and_b32_e32 v33, 0xff0000, v30
	v_or_b32_sdwa v33, v30, v33 dst_sel:DWORD dst_unused:UNUSED_PAD src0_sel:WORD_0 src1_sel:DWORD
	v_and_b32_e32 v30, 0xff000000, v30
	v_and_b32_e32 v31, 0xff, v31
	v_or3_b32 v31, 0, 0, v31
	v_or3_b32 v30, v33, v30, 0
	v_cmp_eq_u16_sdwa s[48:49], v32, v35 src0_sel:BYTE_0 src1_sel:DWORD
	s_and_saveexec_b64 s[34:35], s[48:49]
	s_cbranch_execz .LBB1829_105
; %bb.108:                              ;   in Loop: Header=BB1829_106 Depth=1
	s_mov_b64 s[48:49], 0
.LBB1829_109:                           ;   Parent Loop BB1829_106 Depth=1
                                        ; =>  This Inner Loop Header: Depth=2
	;;#ASMSTART
	global_load_dwordx4 v[30:33], v[36:37] off glc	
s_waitcnt vmcnt(0)
	;;#ASMEND
	v_cmp_ne_u16_sdwa s[50:51], v32, v35 src0_sel:BYTE_0 src1_sel:DWORD
	s_or_b64 s[48:49], s[50:51], s[48:49]
	s_andn2_b64 exec, exec, s[48:49]
	s_cbranch_execnz .LBB1829_109
; %bb.110:                              ;   in Loop: Header=BB1829_106 Depth=1
	s_or_b64 exec, exec, s[48:49]
	v_and_b32_e32 v31, 0xff, v31
	s_branch .LBB1829_105
.LBB1829_111:                           ;   in Loop: Header=BB1829_106 Depth=1
                                        ; implicit-def: $vgpr31
                                        ; implicit-def: $vgpr30
                                        ; implicit-def: $vgpr32
	s_cbranch_execz .LBB1829_106
; %bb.112:
	s_and_saveexec_b64 s[34:35], s[28:29]
	s_cbranch_execz .LBB1829_114
; %bb.113:
	s_and_b32 s44, s7, 0xff
	s_cmp_eq_u32 s44, 0
	s_cselect_b64 vcc, -1, 0
	s_bitcmp1_b32 s7, 0
	s_mov_b32 s45, 0
	s_cselect_b64 s[48:49], -1, 0
	s_add_i32 s44, s6, 64
	s_lshl_b64 s[6:7], s[44:45], 4
	v_cndmask_b32_e32 v27, 0, v60, vcc
	s_add_u32 s6, s52, s6
	v_add_u32_e32 v26, v27, v26
	v_and_b32_e32 v27, 1, v46
	s_addc_u32 s7, s53, s7
	v_mov_b32_e32 v29, 0
	v_cndmask_b32_e64 v27, v27, 1, s[48:49]
	v_mov_b32_e32 v28, 2
	v_pk_mov_b32 v[30:31], s[6:7], s[6:7] op_sel:[0,1]
	;;#ASMSTART
	global_store_dwordx4 v[30:31], v[26:29] off	
s_waitcnt vmcnt(0)
	;;#ASMEND
.LBB1829_114:
	s_or_b64 exec, exec, s[34:35]
	v_cmp_eq_u32_e32 vcc, 0, v0
	s_and_b64 exec, exec, vcc
	s_cbranch_execz .LBB1829_116
; %bb.115:
	v_mov_b32_e32 v26, 0
	ds_write_b32 v26, v60 offset:24
	ds_write_b8 v26, v46 offset:28
.LBB1829_116:
	s_or_b64 exec, exec, s[40:41]
	s_mov_b32 s6, 0
	v_mov_b32_e32 v28, 0
	s_mov_b32 s7, 1
	s_waitcnt lgkmcnt(0)
	v_cndmask_b32_e64 v26, v45, v43, s[28:29]
	v_cndmask_b32_e64 v27, v44, v42, s[28:29]
	s_barrier
	ds_read_b32 v29, v28 offset:24
	v_cmp_gt_u64_e32 vcc, s[6:7], v[38:39]
	v_and_b32_e32 v30, 1, v39
	v_cndmask_b32_e32 v27, 0, v27, vcc
	v_and_b32_e32 v26, 1, v26
	v_cmp_eq_u32_e32 vcc, 1, v30
	v_cndmask_b32_e64 v26, v26, 1, vcc
	v_cmp_eq_u32_e32 vcc, 0, v0
	v_cndmask_b32_e32 v26, v26, v39, vcc
	v_cndmask_b32_e64 v27, v27, 0, vcc
	v_cmp_eq_u16_sdwa vcc, v26, v28 src0_sel:BYTE_0 src1_sel:DWORD
	s_waitcnt lgkmcnt(0)
	v_cndmask_b32_e32 v26, 0, v29, vcc
	v_add3_u32 v26, v27, v38, v26
	v_cndmask_b32_e64 v27, 0, v26, s[2:3]
	v_add_u32_e32 v27, v27, v2
	v_cndmask_b32_e64 v28, 0, v27, s[4:5]
	v_add_u32_e32 v42, v28, v4
	;; [unrolled: 2-line block ×13, first 2 shown]
	s_branch .LBB1829_133
.LBB1829_117:
                                        ; implicit-def: $vgpr49
                                        ; implicit-def: $vgpr47
                                        ; implicit-def: $vgpr45
                                        ; implicit-def: $vgpr43
                                        ; implicit-def: $vgpr34_vgpr35_vgpr36_vgpr37
                                        ; implicit-def: $vgpr30_vgpr31_vgpr32_vgpr33
                                        ; implicit-def: $vgpr26_vgpr27_vgpr28_vgpr29
	s_cbranch_execz .LBB1829_133
; %bb.118:
	s_cmp_lg_u64 s[56:57], 0
	s_cselect_b32 s5, s47, 0
	s_cselect_b32 s4, s46, 0
	s_cmp_lg_u64 s[4:5], 0
	s_cselect_b64 s[6:7], -1, 0
	v_cmp_eq_u32_e32 vcc, 0, v0
	s_mov_b32 s28, 0
	v_cmp_ne_u32_e64 s[2:3], 0, v0
	s_and_b64 s[8:9], vcc, s[6:7]
	s_and_saveexec_b64 s[6:7], s[8:9]
	s_cbranch_execz .LBB1829_120
; %bb.119:
	v_mov_b32_e32 v26, 0
	global_load_dword v28, v26, s[4:5]
	global_load_ubyte v29, v26, s[4:5] offset:4
	s_mov_b32 s29, 1
	v_and_b32_e32 v27, 1, v39
	v_cmp_gt_u64_e64 s[4:5], s[28:29], v[38:39]
	s_waitcnt vmcnt(1)
	v_cndmask_b32_e64 v28, 0, v28, s[4:5]
	s_waitcnt vmcnt(0)
	v_and_b32_e32 v29, 1, v29
	v_cmp_eq_u64_e64 s[4:5], 0, v[26:27]
	v_add_u32_e32 v38, v28, v38
	v_cndmask_b32_e64 v39, 1, v29, s[4:5]
.LBB1829_120:
	s_or_b64 exec, exec, s[6:7]
	s_mov_b32 s29, 1
	v_cmp_gt_u64_e64 s[4:5], s[28:29], v[2:3]
	v_cndmask_b32_e64 v26, 0, v38, s[4:5]
	v_add_u32_e32 v27, v26, v2
	v_cmp_gt_u64_e64 s[6:7], s[28:29], v[4:5]
	v_cndmask_b32_e64 v26, 0, v27, s[6:7]
	v_add_u32_e32 v42, v26, v4
	;; [unrolled: 3-line block ×7, first 2 shown]
	v_cmp_gt_u64_e64 s[18:19], s[28:29], v[16:17]
	v_mov_b32_e32 v28, 0
	v_cndmask_b32_e64 v26, 0, v45, s[18:19]
	v_or3_b32 v7, v23, v15, v7
	v_add_u32_e32 v34, v26, v16
	v_cmp_gt_u64_e64 s[20:21], s[28:29], v[18:19]
	v_or3_b32 v9, v25, v17, v9
	v_and_b32_e32 v55, 1, v7
	v_mov_b32_e32 v54, v28
	v_cndmask_b32_e64 v26, 0, v34, s[20:21]
	v_or3_b32 v3, v19, v11, v3
	v_and_b32_e32 v37, 1, v9
	v_mov_b32_e32 v36, v28
	v_cmp_ne_u64_e64 s[34:35], 0, v[54:55]
	v_add_u32_e32 v35, v26, v18
	v_cmp_gt_u64_e64 s[22:23], s[28:29], v[20:21]
	v_or3_b32 v5, v21, v13, v5
	v_and_b32_e32 v29, 1, v3
	v_cndmask_b32_e64 v3, 0, 1, s[34:35]
	v_cmp_ne_u64_e64 s[34:35], 0, v[36:37]
	v_cndmask_b32_e64 v26, 0, v35, s[22:23]
	v_and_b32_e32 v33, 1, v5
	v_mov_b32_e32 v32, v28
	v_cndmask_b32_e64 v5, 0, 1, s[34:35]
	v_add_u32_e32 v46, v26, v20
	v_cmp_gt_u64_e64 s[24:25], s[28:29], v[22:23]
	v_lshlrev_b16_e32 v3, 2, v3
	v_lshlrev_b16_e32 v5, 3, v5
	v_cmp_ne_u64_e64 s[34:35], 0, v[32:33]
	v_cndmask_b32_e64 v26, 0, v46, s[24:25]
	v_or_b32_e32 v3, v5, v3
	v_cndmask_b32_e64 v5, 0, 1, s[34:35]
	v_cmp_ne_u64_e64 s[34:35], 0, v[28:29]
	v_add_u32_e32 v47, v26, v22
	v_cmp_gt_u64_e64 s[26:27], s[28:29], v[24:25]
	v_lshlrev_b16_e32 v5, 1, v5
	v_cndmask_b32_e64 v7, 0, 1, s[34:35]
	v_cndmask_b32_e64 v26, 0, v47, s[26:27]
	v_or_b32_e32 v5, v7, v5
	v_add_u32_e32 v48, v26, v24
	v_cmp_gt_u64_e64 s[28:29], s[28:29], v[40:41]
	v_and_b32_e32 v5, 3, v5
	v_cndmask_b32_e64 v26, 0, v48, s[28:29]
	v_or_b32_e32 v3, v5, v3
	v_add_u32_e32 v49, v26, v40
	v_and_b32_e32 v26, 1, v41
	v_and_b32_e32 v3, 15, v3
	v_cmp_eq_u32_e64 s[30:31], 1, v26
	v_cmp_ne_u16_e64 s[34:35], 0, v3
	s_or_b64 s[30:31], s[30:31], s[34:35]
	v_cndmask_b32_e64 v5, v39, 1, s[30:31]
	v_mbcnt_hi_u32_b32 v3, -1, v52
	v_mov_b32_dpp v9, v49 row_shr:1 row_mask:0xf bank_mask:0xf
	v_mov_b32_dpp v11, v5 row_shr:1 row_mask:0xf bank_mask:0xf
	v_cmp_eq_u32_e64 s[30:31], 0, v5
	v_and_b32_e32 v13, 1, v5
	v_and_b32_e32 v7, 15, v3
	v_cndmask_b32_e64 v9, 0, v9, s[30:31]
	v_and_b32_e32 v11, 1, v11
	v_cmp_eq_u32_e64 s[30:31], 1, v13
	v_cndmask_b32_e64 v11, v11, 1, s[30:31]
	v_cmp_eq_u32_e64 s[30:31], 0, v7
	v_cndmask_b32_e64 v5, v11, v5, s[30:31]
	v_and_b32_e32 v15, 1, v5
	v_cmp_eq_u32_e64 s[34:35], 1, v15
	v_mov_b32_dpp v13, v5 row_shr:2 row_mask:0xf bank_mask:0xf
	v_and_b32_e32 v13, 1, v13
	v_cndmask_b32_e64 v13, v13, 1, s[34:35]
	v_cmp_lt_u32_e64 s[34:35], 1, v7
	v_cndmask_b32_e64 v9, v9, 0, s[30:31]
	v_cmp_eq_u32_e64 s[30:31], 0, v5
	v_cndmask_b32_e64 v5, v5, v13, s[34:35]
	v_add_u32_e32 v9, v49, v9
	v_and_b32_e32 v15, 1, v5
	v_mov_b32_dpp v13, v5 row_shr:4 row_mask:0xf bank_mask:0xf
	v_mov_b32_dpp v11, v9 row_shr:2 row_mask:0xf bank_mask:0xf
	s_and_b64 s[30:31], s[34:35], s[30:31]
	v_and_b32_e32 v13, 1, v13
	v_cmp_eq_u32_e64 s[34:35], 1, v15
	v_cndmask_b32_e64 v11, 0, v11, s[30:31]
	v_cndmask_b32_e64 v13, v13, 1, s[34:35]
	v_cmp_lt_u32_e64 s[34:35], 3, v7
	v_add_u32_e32 v9, v9, v11
	v_cmp_eq_u32_e64 s[30:31], 0, v5
	v_cndmask_b32_e64 v5, v5, v13, s[34:35]
	v_mov_b32_dpp v11, v9 row_shr:4 row_mask:0xf bank_mask:0xf
	s_and_b64 s[30:31], s[34:35], s[30:31]
	v_mov_b32_dpp v13, v5 row_shr:8 row_mask:0xf bank_mask:0xf
	v_and_b32_e32 v15, 1, v5
	v_cndmask_b32_e64 v11, 0, v11, s[30:31]
	v_and_b32_e32 v13, 1, v13
	v_cmp_eq_u32_e64 s[34:35], 1, v15
	v_add_u32_e32 v9, v9, v11
	v_cmp_eq_u32_e64 s[30:31], 0, v5
	v_cndmask_b32_e64 v13, v13, 1, s[34:35]
	v_cmp_lt_u32_e64 s[34:35], 7, v7
	v_mov_b32_dpp v11, v9 row_shr:8 row_mask:0xf bank_mask:0xf
	s_and_b64 s[30:31], s[34:35], s[30:31]
	v_cndmask_b32_e64 v7, 0, v11, s[30:31]
	v_cndmask_b32_e64 v5, v5, v13, s[34:35]
	v_add_u32_e32 v7, v9, v7
	v_cmp_eq_u32_e64 s[30:31], 0, v5
	v_mov_b32_dpp v11, v5 row_bcast:15 row_mask:0xf bank_mask:0xf
	v_mov_b32_dpp v9, v7 row_bcast:15 row_mask:0xf bank_mask:0xf
	v_and_b32_e32 v17, 1, v5
	v_and_b32_e32 v15, 16, v3
	v_cndmask_b32_e64 v9, 0, v9, s[30:31]
	v_and_b32_e32 v11, 1, v11
	v_cmp_eq_u32_e64 s[30:31], 1, v17
	v_bfe_i32 v13, v3, 4, 1
	v_cndmask_b32_e64 v11, v11, 1, s[30:31]
	v_cmp_eq_u32_e64 s[30:31], 0, v15
	v_and_b32_e32 v9, v13, v9
	v_cndmask_b32_e64 v5, v11, v5, s[30:31]
	v_add_u32_e32 v9, v7, v9
	v_and_b32_e32 v13, 1, v5
	v_mov_b32_dpp v7, v5 row_bcast:31 row_mask:0xf bank_mask:0xf
	v_and_b32_e32 v7, 1, v7
	v_cmp_eq_u32_e64 s[34:35], 1, v13
	v_cmp_eq_u32_e64 s[30:31], 0, v5
	v_cndmask_b32_e64 v7, v7, 1, s[34:35]
	v_cmp_lt_u32_e64 s[34:35], 31, v3
	v_mov_b32_dpp v11, v9 row_bcast:31 row_mask:0xf bank_mask:0xf
	s_and_b64 s[30:31], s[34:35], s[30:31]
	v_cndmask_b32_e64 v7, v5, v7, s[34:35]
	v_cndmask_b32_e64 v5, 0, v11, s[30:31]
	v_add_u32_e32 v5, v9, v5
	v_cmp_eq_u32_e64 s[30:31], v51, v0
	s_and_saveexec_b64 s[34:35], s[30:31]
	s_cbranch_execz .LBB1829_122
; %bb.121:
	v_lshlrev_b32_e32 v9, 3, v1
	ds_write_b32 v9, v5
	ds_write_b8 v9, v7 offset:4
.LBB1829_122:
	s_or_b64 exec, exec, s[34:35]
	v_cmp_gt_u32_e64 s[30:31], 4, v0
	s_waitcnt lgkmcnt(0)
	s_barrier
	s_and_saveexec_b64 s[34:35], s[30:31]
	s_cbranch_execz .LBB1829_126
; %bb.123:
	v_lshlrev_b32_e32 v9, 3, v0
	ds_read_b64 v[28:29], v9
	v_and_b32_e32 v11, 3, v3
	v_cmp_ne_u32_e64 s[30:31], 0, v11
	s_waitcnt lgkmcnt(0)
	v_mov_b32_dpp v13, v28 row_shr:1 row_mask:0xf bank_mask:0xf
	v_mov_b32_dpp v17, v29 row_shr:1 row_mask:0xf bank_mask:0xf
	v_mov_b32_e32 v15, v29
	s_and_saveexec_b64 s[40:41], s[30:31]
	s_cbranch_execz .LBB1829_125
; %bb.124:
	v_and_b32_e32 v15, 1, v29
	v_and_b32_e32 v17, 1, v17
	v_cmp_eq_u32_e64 s[30:31], 1, v15
	v_mov_b32_e32 v15, 0
	v_cndmask_b32_e64 v17, v17, 1, s[30:31]
	v_cmp_eq_u16_sdwa s[30:31], v29, v15 src0_sel:BYTE_0 src1_sel:DWORD
	v_cndmask_b32_e64 v13, 0, v13, s[30:31]
	v_add_u32_e32 v28, v13, v28
	v_and_b32_e32 v13, 0xffff, v17
	s_movk_i32 s30, 0xff00
	v_and_or_b32 v15, v29, s30, v13
	v_mov_b32_e32 v29, v17
.LBB1829_125:
	s_or_b64 exec, exec, s[40:41]
	v_mov_b32_dpp v15, v15 row_shr:2 row_mask:0xf bank_mask:0xf
	v_and_b32_e32 v17, 1, v29
	v_and_b32_e32 v15, 1, v15
	v_cmp_eq_u32_e64 s[30:31], 1, v17
	v_mov_b32_e32 v17, 0
	v_cndmask_b32_e64 v15, v15, 1, s[30:31]
	v_cmp_eq_u16_sdwa s[40:41], v29, v17 src0_sel:BYTE_0 src1_sel:DWORD
	v_cmp_lt_u32_e64 s[30:31], 1, v11
	v_mov_b32_dpp v13, v28 row_shr:2 row_mask:0xf bank_mask:0xf
	v_cndmask_b32_e64 v11, v29, v15, s[30:31]
	s_and_b64 s[30:31], s[30:31], s[40:41]
	v_cndmask_b32_e64 v13, 0, v13, s[30:31]
	v_add_u32_e32 v13, v13, v28
	ds_write_b32 v9, v13
	ds_write_b8 v9, v11 offset:4
.LBB1829_126:
	s_or_b64 exec, exec, s[34:35]
	v_cmp_lt_u32_e64 s[30:31], 63, v0
	v_mov_b32_e32 v9, 0
	s_waitcnt lgkmcnt(0)
	s_barrier
	s_and_saveexec_b64 s[34:35], s[30:31]
	s_cbranch_execz .LBB1829_128
; %bb.127:
	v_lshl_add_u32 v1, v1, 3, -8
	ds_read_b32 v9, v1
	v_cmp_eq_u32_e64 s[30:31], 0, v7
	s_waitcnt lgkmcnt(0)
	v_cndmask_b32_e64 v1, 0, v9, s[30:31]
	v_add_u32_e32 v5, v1, v5
.LBB1829_128:
	s_or_b64 exec, exec, s[34:35]
	v_add_u32_e32 v1, -1, v3
	v_and_b32_e32 v7, 64, v3
	v_cmp_lt_i32_e64 s[30:31], v1, v7
	v_cndmask_b32_e64 v1, v1, v3, s[30:31]
	v_lshlrev_b32_e32 v1, 2, v1
	ds_bpermute_b32 v1, v1, v5
	s_and_saveexec_b64 s[30:31], s[2:3]
	s_cbranch_execz .LBB1829_130
; %bb.129:
	v_and_b32_e32 v27, 0xff, v39
	v_mov_b32_e32 v26, 0
	v_cmp_eq_u32_e64 s[2:3], 0, v3
	s_waitcnt lgkmcnt(0)
	v_cndmask_b32_e64 v1, v1, v9, s[2:3]
	v_cmp_eq_u64_e64 s[2:3], 0, v[26:27]
	v_cndmask_b32_e64 v1, 0, v1, s[2:3]
	v_add_u32_e32 v38, v1, v38
	v_cndmask_b32_e64 v1, 0, v38, s[4:5]
	v_add_u32_e32 v27, v1, v2
	;; [unrolled: 2-line block ×14, first 2 shown]
	;;#ASMSTART
	;;#ASMEND
.LBB1829_130:
	s_or_b64 exec, exec, s[30:31]
	s_and_saveexec_b64 s[2:3], vcc
	s_cbranch_execz .LBB1829_132
; %bb.131:
	v_mov_b32_e32 v5, 0
	ds_read_b32 v2, v5 offset:24
	ds_read_u8 v3, v5 offset:28
	s_add_u32 s4, s52, 0x400
	s_addc_u32 s5, s53, 0
	v_mov_b32_e32 v4, 2
	v_pk_mov_b32 v[6:7], s[4:5], s[4:5] op_sel:[0,1]
	s_waitcnt lgkmcnt(0)
	;;#ASMSTART
	global_store_dwordx4 v[6:7], v[2:5] off	
s_waitcnt vmcnt(0)
	;;#ASMEND
.LBB1829_132:
	s_or_b64 exec, exec, s[2:3]
	v_mov_b32_e32 v26, v38
.LBB1829_133:
	s_add_u32 s2, s42, s38
	s_addc_u32 s3, s43, s39
	s_add_u32 s4, s2, s36
	s_waitcnt lgkmcnt(0)
	v_mul_u32_u24_e32 v1, 14, v0
	s_addc_u32 s5, s3, s37
	s_and_b64 vcc, exec, s[0:1]
	v_lshlrev_b32_e32 v2, 2, v1
	s_cbranch_vccz .LBB1829_161
; %bb.134:
	s_movk_i32 s0, 0xffcc
	v_mad_i32_i24 v3, v0, s0, v2
	s_barrier
	ds_write2_b64 v2, v[26:27], v[42:43] offset1:1
	ds_write2_b64 v2, v[30:31], v[44:45] offset0:2 offset1:3
	ds_write2_b64 v2, v[34:35], v[46:47] offset0:4 offset1:5
	ds_write_b64 v2, v[48:49] offset:48
	s_waitcnt lgkmcnt(0)
	s_barrier
	ds_read2st64_b32 v[16:17], v3 offset0:4 offset1:8
	ds_read2st64_b32 v[14:15], v3 offset0:12 offset1:16
	;; [unrolled: 1-line block ×6, first 2 shown]
	ds_read_b32 v3, v3 offset:13312
	v_mov_b32_e32 v7, s5
	v_add_co_u32_e32 v6, vcc, s4, v50
	s_add_i32 s33, s33, s54
	v_addc_co_u32_e32 v7, vcc, 0, v7, vcc
	v_mov_b32_e32 v1, 0
	v_cmp_gt_u32_e32 vcc, s33, v0
	s_and_saveexec_b64 s[0:1], vcc
	s_cbranch_execz .LBB1829_136
; %bb.135:
	v_mul_i32_i24_e32 v18, 0xffffffcc, v0
	v_add_u32_e32 v18, v2, v18
	ds_read_b32 v18, v18
	s_waitcnt lgkmcnt(0)
	flat_store_dword v[6:7], v18
.LBB1829_136:
	s_or_b64 exec, exec, s[0:1]
	v_or_b32_e32 v18, 0x100, v0
	v_cmp_gt_u32_e32 vcc, s33, v18
	s_and_saveexec_b64 s[0:1], vcc
	s_cbranch_execz .LBB1829_138
; %bb.137:
	s_waitcnt lgkmcnt(0)
	flat_store_dword v[6:7], v16 offset:1024
.LBB1829_138:
	s_or_b64 exec, exec, s[0:1]
	s_waitcnt lgkmcnt(0)
	v_or_b32_e32 v16, 0x200, v0
	v_cmp_gt_u32_e32 vcc, s33, v16
	s_and_saveexec_b64 s[0:1], vcc
	s_cbranch_execz .LBB1829_140
; %bb.139:
	flat_store_dword v[6:7], v17 offset:2048
.LBB1829_140:
	s_or_b64 exec, exec, s[0:1]
	v_or_b32_e32 v16, 0x300, v0
	v_cmp_gt_u32_e32 vcc, s33, v16
	s_and_saveexec_b64 s[0:1], vcc
	s_cbranch_execz .LBB1829_142
; %bb.141:
	flat_store_dword v[6:7], v14 offset:3072
.LBB1829_142:
	s_or_b64 exec, exec, s[0:1]
	v_or_b32_e32 v14, 0x400, v0
	v_cmp_gt_u32_e32 vcc, s33, v14
	s_and_saveexec_b64 s[0:1], vcc
	s_cbranch_execz .LBB1829_144
; %bb.143:
	v_add_co_u32_e32 v16, vcc, 0x1000, v6
	v_addc_co_u32_e32 v17, vcc, 0, v7, vcc
	flat_store_dword v[16:17], v15
.LBB1829_144:
	s_or_b64 exec, exec, s[0:1]
	v_or_b32_e32 v14, 0x500, v0
	v_cmp_gt_u32_e32 vcc, s33, v14
	s_and_saveexec_b64 s[0:1], vcc
	s_cbranch_execz .LBB1829_146
; %bb.145:
	v_add_co_u32_e32 v14, vcc, 0x1000, v6
	v_addc_co_u32_e32 v15, vcc, 0, v7, vcc
	flat_store_dword v[14:15], v12 offset:1024
.LBB1829_146:
	s_or_b64 exec, exec, s[0:1]
	v_or_b32_e32 v12, 0x600, v0
	v_cmp_gt_u32_e32 vcc, s33, v12
	s_and_saveexec_b64 s[0:1], vcc
	s_cbranch_execz .LBB1829_148
; %bb.147:
	v_add_co_u32_e32 v14, vcc, 0x1000, v6
	v_addc_co_u32_e32 v15, vcc, 0, v7, vcc
	flat_store_dword v[14:15], v13 offset:2048
.LBB1829_148:
	;; [unrolled: 10-line block ×3, first 2 shown]
	s_or_b64 exec, exec, s[0:1]
	v_or_b32_e32 v10, 0x800, v0
	v_cmp_gt_u32_e32 vcc, s33, v10
	s_and_saveexec_b64 s[0:1], vcc
	s_cbranch_execz .LBB1829_152
; %bb.151:
	v_add_co_u32_e32 v12, vcc, 0x2000, v6
	v_addc_co_u32_e32 v13, vcc, 0, v7, vcc
	flat_store_dword v[12:13], v11
.LBB1829_152:
	s_or_b64 exec, exec, s[0:1]
	v_or_b32_e32 v10, 0x900, v0
	v_cmp_gt_u32_e32 vcc, s33, v10
	s_and_saveexec_b64 s[0:1], vcc
	s_cbranch_execz .LBB1829_154
; %bb.153:
	v_add_co_u32_e32 v10, vcc, 0x2000, v6
	v_addc_co_u32_e32 v11, vcc, 0, v7, vcc
	flat_store_dword v[10:11], v8 offset:1024
.LBB1829_154:
	s_or_b64 exec, exec, s[0:1]
	v_or_b32_e32 v8, 0xa00, v0
	v_cmp_gt_u32_e32 vcc, s33, v8
	s_and_saveexec_b64 s[0:1], vcc
	s_cbranch_execz .LBB1829_156
; %bb.155:
	v_add_co_u32_e32 v10, vcc, 0x2000, v6
	v_addc_co_u32_e32 v11, vcc, 0, v7, vcc
	flat_store_dword v[10:11], v9 offset:2048
.LBB1829_156:
	;; [unrolled: 10-line block ×3, first 2 shown]
	s_or_b64 exec, exec, s[0:1]
	v_or_b32_e32 v4, 0xc00, v0
	v_cmp_gt_u32_e32 vcc, s33, v4
	s_and_saveexec_b64 s[0:1], vcc
	s_cbranch_execz .LBB1829_160
; %bb.159:
	v_add_co_u32_e32 v6, vcc, 0x3000, v6
	v_addc_co_u32_e32 v7, vcc, 0, v7, vcc
	flat_store_dword v[6:7], v5
.LBB1829_160:
	s_or_b64 exec, exec, s[0:1]
	v_or_b32_e32 v4, 0xd00, v0
	v_cmp_gt_u32_e64 s[0:1], s33, v4
	s_branch .LBB1829_163
.LBB1829_161:
	s_mov_b64 s[0:1], 0
                                        ; implicit-def: $vgpr3
	s_cbranch_execz .LBB1829_163
; %bb.162:
	s_movk_i32 s2, 0xffcc
	s_waitcnt lgkmcnt(0)
	s_barrier
	ds_write2_b64 v2, v[26:27], v[42:43] offset1:1
	ds_write2_b64 v2, v[30:31], v[44:45] offset0:2 offset1:3
	ds_write2_b64 v2, v[34:35], v[46:47] offset0:4 offset1:5
	ds_write_b64 v2, v[48:49] offset:48
	v_mad_i32_i24 v2, v0, s2, v2
	v_mov_b32_e32 v17, s5
	v_add_co_u32_e32 v16, vcc, s4, v50
	s_waitcnt lgkmcnt(0)
	s_barrier
	ds_read2st64_b32 v[4:5], v2 offset1:4
	ds_read2st64_b32 v[6:7], v2 offset0:8 offset1:12
	ds_read2st64_b32 v[8:9], v2 offset0:16 offset1:20
	;; [unrolled: 1-line block ×6, first 2 shown]
	v_addc_co_u32_e32 v17, vcc, 0, v17, vcc
	s_movk_i32 s2, 0x1000
	s_waitcnt lgkmcnt(0)
	flat_store_dword v[16:17], v4
	flat_store_dword v[16:17], v5 offset:1024
	flat_store_dword v[16:17], v6 offset:2048
	;; [unrolled: 1-line block ×3, first 2 shown]
	v_add_co_u32_e32 v4, vcc, s2, v16
	v_addc_co_u32_e32 v5, vcc, 0, v17, vcc
	flat_store_dword v[4:5], v8
	flat_store_dword v[4:5], v9 offset:1024
	flat_store_dword v[4:5], v10 offset:2048
	;; [unrolled: 1-line block ×3, first 2 shown]
	v_add_co_u32_e32 v4, vcc, 0x2000, v16
	v_addc_co_u32_e32 v5, vcc, 0, v17, vcc
	flat_store_dword v[4:5], v12
	flat_store_dword v[4:5], v13 offset:1024
	flat_store_dword v[4:5], v14 offset:2048
	;; [unrolled: 1-line block ×3, first 2 shown]
	v_add_co_u32_e32 v4, vcc, 0x3000, v16
	v_mov_b32_e32 v1, 0
	v_addc_co_u32_e32 v5, vcc, 0, v17, vcc
	s_or_b64 s[0:1], s[0:1], exec
	flat_store_dword v[4:5], v2
.LBB1829_163:
	s_and_saveexec_b64 s[2:3], s[0:1]
	s_cbranch_execnz .LBB1829_165
; %bb.164:
	s_endpgm
.LBB1829_165:
	v_lshlrev_b64 v[0:1], 2, v[0:1]
	v_mov_b32_e32 v2, s5
	v_add_co_u32_e32 v0, vcc, s4, v0
	v_addc_co_u32_e32 v1, vcc, v2, v1, vcc
	v_add_co_u32_e32 v0, vcc, 0x3000, v0
	v_addc_co_u32_e32 v1, vcc, 0, v1, vcc
	flat_store_dword v[0:1], v3 offset:1024
	s_endpgm
.LBB1829_166:
	v_mov_b32_e32 v13, s55
	v_add_co_u32_e32 v14, vcc, s7, v12
	v_addc_co_u32_e32 v15, vcc, 0, v13, vcc
	flat_load_dword v13, v[14:15]
	s_or_b64 exec, exec, s[44:45]
                                        ; implicit-def: $vgpr14
	s_and_saveexec_b64 s[2:3], s[4:5]
	s_cbranch_execz .LBB1829_37
.LBB1829_167:
	v_mov_b32_e32 v15, s55
	v_add_co_u32_e32 v14, vcc, s7, v12
	v_addc_co_u32_e32 v15, vcc, 0, v15, vcc
	flat_load_dword v14, v[14:15] offset:1024
	s_or_b64 exec, exec, s[2:3]
                                        ; implicit-def: $vgpr15
	s_and_saveexec_b64 s[2:3], s[30:31]
	s_cbranch_execz .LBB1829_38
.LBB1829_168:
	v_mov_b32_e32 v15, s55
	v_add_co_u32_e32 v16, vcc, s7, v12
	v_addc_co_u32_e32 v17, vcc, 0, v15, vcc
	flat_load_dword v15, v[16:17] offset:2048
	s_or_b64 exec, exec, s[2:3]
                                        ; implicit-def: $vgpr16
	s_and_saveexec_b64 s[2:3], s[8:9]
	s_cbranch_execz .LBB1829_39
.LBB1829_169:
	v_mov_b32_e32 v17, s55
	v_add_co_u32_e32 v16, vcc, s7, v12
	v_addc_co_u32_e32 v17, vcc, 0, v17, vcc
	flat_load_dword v16, v[16:17] offset:3072
	s_or_b64 exec, exec, s[2:3]
                                        ; implicit-def: $vgpr17
	s_and_saveexec_b64 s[2:3], s[10:11]
	s_cbranch_execz .LBB1829_40
.LBB1829_170:
	v_mov_b32_e32 v17, s55
	v_add_co_u32_e32 v18, vcc, s7, v2
	v_addc_co_u32_e32 v19, vcc, 0, v17, vcc
	flat_load_dword v17, v[18:19]
	s_or_b64 exec, exec, s[2:3]
                                        ; implicit-def: $vgpr2
	s_and_saveexec_b64 s[2:3], s[12:13]
	s_cbranch_execz .LBB1829_41
.LBB1829_171:
	v_mov_b32_e32 v18, s55
	v_add_co_u32_e32 v2, vcc, s7, v3
	v_addc_co_u32_e32 v3, vcc, 0, v18, vcc
	flat_load_dword v2, v[2:3]
	s_or_b64 exec, exec, s[2:3]
                                        ; implicit-def: $vgpr3
	s_and_saveexec_b64 s[2:3], s[14:15]
	s_cbranch_execz .LBB1829_42
.LBB1829_172:
	v_mov_b32_e32 v3, s55
	v_add_co_u32_e32 v18, vcc, s7, v4
	v_addc_co_u32_e32 v19, vcc, 0, v3, vcc
	flat_load_dword v3, v[18:19]
	s_or_b64 exec, exec, s[2:3]
                                        ; implicit-def: $vgpr4
	s_and_saveexec_b64 s[2:3], s[16:17]
	s_cbranch_execz .LBB1829_43
.LBB1829_173:
	v_mov_b32_e32 v18, s55
	v_add_co_u32_e32 v4, vcc, s7, v5
	v_addc_co_u32_e32 v5, vcc, 0, v18, vcc
	flat_load_dword v4, v[4:5]
	s_or_b64 exec, exec, s[2:3]
                                        ; implicit-def: $vgpr5
	s_and_saveexec_b64 s[2:3], s[18:19]
	s_cbranch_execz .LBB1829_44
.LBB1829_174:
	v_mov_b32_e32 v5, s55
	v_add_co_u32_e32 v18, vcc, s7, v6
	v_addc_co_u32_e32 v19, vcc, 0, v5, vcc
	flat_load_dword v5, v[18:19]
	s_or_b64 exec, exec, s[2:3]
                                        ; implicit-def: $vgpr6
	s_and_saveexec_b64 s[2:3], s[20:21]
	s_cbranch_execz .LBB1829_45
.LBB1829_175:
	v_mov_b32_e32 v18, s55
	v_add_co_u32_e32 v6, vcc, s7, v7
	v_addc_co_u32_e32 v7, vcc, 0, v18, vcc
	flat_load_dword v6, v[6:7]
	s_or_b64 exec, exec, s[2:3]
                                        ; implicit-def: $vgpr7
	s_and_saveexec_b64 s[2:3], s[22:23]
	s_cbranch_execz .LBB1829_46
.LBB1829_176:
	v_mov_b32_e32 v7, s55
	v_add_co_u32_e32 v18, vcc, s7, v8
	v_addc_co_u32_e32 v19, vcc, 0, v7, vcc
	flat_load_dword v7, v[18:19]
	s_or_b64 exec, exec, s[2:3]
                                        ; implicit-def: $vgpr8
	s_and_saveexec_b64 s[2:3], s[24:25]
	s_cbranch_execz .LBB1829_47
.LBB1829_177:
	v_mov_b32_e32 v18, s55
	v_add_co_u32_e32 v8, vcc, s7, v9
	v_addc_co_u32_e32 v9, vcc, 0, v18, vcc
	flat_load_dword v8, v[8:9]
	s_or_b64 exec, exec, s[2:3]
                                        ; implicit-def: $vgpr9
	s_and_saveexec_b64 s[2:3], s[26:27]
	s_cbranch_execz .LBB1829_48
.LBB1829_178:
	v_mov_b32_e32 v9, s55
	v_add_co_u32_e32 v18, vcc, s7, v10
	v_addc_co_u32_e32 v19, vcc, 0, v9, vcc
	flat_load_dword v9, v[18:19]
	s_or_b64 exec, exec, s[2:3]
                                        ; implicit-def: $vgpr10
	s_and_saveexec_b64 s[2:3], s[28:29]
	s_cbranch_execnz .LBB1829_49
	s_branch .LBB1829_50
.LBB1829_179:
                                        ; implicit-def: $sgpr44_sgpr45
	s_branch .LBB1829_32
.LBB1829_180:
                                        ; implicit-def: $sgpr2_sgpr3
	s_branch .LBB1829_81
	.section	.rodata,"a",@progbits
	.p2align	6, 0x0
	.amdhsa_kernel _ZN7rocprim17ROCPRIM_400000_NS6detail17trampoline_kernelINS0_14default_configENS1_27scan_by_key_config_selectorIjjEEZZNS1_16scan_by_key_implILNS1_25lookback_scan_determinismE0ELb0ES3_N6thrust23THRUST_200600_302600_NS6detail15normal_iteratorINS9_10device_ptrIjEEEESE_SE_jNS9_4plusIvEENS9_8equal_toIvEEjEE10hipError_tPvRmT2_T3_T4_T5_mT6_T7_P12ihipStream_tbENKUlT_T0_E_clISt17integral_constantIbLb0EESZ_EEDaSU_SV_EUlSU_E_NS1_11comp_targetILNS1_3genE4ELNS1_11target_archE910ELNS1_3gpuE8ELNS1_3repE0EEENS1_30default_config_static_selectorELNS0_4arch9wavefront6targetE1EEEvT1_
		.amdhsa_group_segment_fixed_size 16384
		.amdhsa_private_segment_fixed_size 0
		.amdhsa_kernarg_size 112
		.amdhsa_user_sgpr_count 6
		.amdhsa_user_sgpr_private_segment_buffer 1
		.amdhsa_user_sgpr_dispatch_ptr 0
		.amdhsa_user_sgpr_queue_ptr 0
		.amdhsa_user_sgpr_kernarg_segment_ptr 1
		.amdhsa_user_sgpr_dispatch_id 0
		.amdhsa_user_sgpr_flat_scratch_init 0
		.amdhsa_user_sgpr_kernarg_preload_length 0
		.amdhsa_user_sgpr_kernarg_preload_offset 0
		.amdhsa_user_sgpr_private_segment_size 0
		.amdhsa_uses_dynamic_stack 0
		.amdhsa_system_sgpr_private_segment_wavefront_offset 0
		.amdhsa_system_sgpr_workgroup_id_x 1
		.amdhsa_system_sgpr_workgroup_id_y 0
		.amdhsa_system_sgpr_workgroup_id_z 0
		.amdhsa_system_sgpr_workgroup_info 0
		.amdhsa_system_vgpr_workitem_id 0
		.amdhsa_next_free_vgpr 65
		.amdhsa_next_free_sgpr 61
		.amdhsa_accum_offset 68
		.amdhsa_reserve_vcc 1
		.amdhsa_reserve_flat_scratch 0
		.amdhsa_float_round_mode_32 0
		.amdhsa_float_round_mode_16_64 0
		.amdhsa_float_denorm_mode_32 3
		.amdhsa_float_denorm_mode_16_64 3
		.amdhsa_dx10_clamp 1
		.amdhsa_ieee_mode 1
		.amdhsa_fp16_overflow 0
		.amdhsa_tg_split 0
		.amdhsa_exception_fp_ieee_invalid_op 0
		.amdhsa_exception_fp_denorm_src 0
		.amdhsa_exception_fp_ieee_div_zero 0
		.amdhsa_exception_fp_ieee_overflow 0
		.amdhsa_exception_fp_ieee_underflow 0
		.amdhsa_exception_fp_ieee_inexact 0
		.amdhsa_exception_int_div_zero 0
	.end_amdhsa_kernel
	.section	.text._ZN7rocprim17ROCPRIM_400000_NS6detail17trampoline_kernelINS0_14default_configENS1_27scan_by_key_config_selectorIjjEEZZNS1_16scan_by_key_implILNS1_25lookback_scan_determinismE0ELb0ES3_N6thrust23THRUST_200600_302600_NS6detail15normal_iteratorINS9_10device_ptrIjEEEESE_SE_jNS9_4plusIvEENS9_8equal_toIvEEjEE10hipError_tPvRmT2_T3_T4_T5_mT6_T7_P12ihipStream_tbENKUlT_T0_E_clISt17integral_constantIbLb0EESZ_EEDaSU_SV_EUlSU_E_NS1_11comp_targetILNS1_3genE4ELNS1_11target_archE910ELNS1_3gpuE8ELNS1_3repE0EEENS1_30default_config_static_selectorELNS0_4arch9wavefront6targetE1EEEvT1_,"axG",@progbits,_ZN7rocprim17ROCPRIM_400000_NS6detail17trampoline_kernelINS0_14default_configENS1_27scan_by_key_config_selectorIjjEEZZNS1_16scan_by_key_implILNS1_25lookback_scan_determinismE0ELb0ES3_N6thrust23THRUST_200600_302600_NS6detail15normal_iteratorINS9_10device_ptrIjEEEESE_SE_jNS9_4plusIvEENS9_8equal_toIvEEjEE10hipError_tPvRmT2_T3_T4_T5_mT6_T7_P12ihipStream_tbENKUlT_T0_E_clISt17integral_constantIbLb0EESZ_EEDaSU_SV_EUlSU_E_NS1_11comp_targetILNS1_3genE4ELNS1_11target_archE910ELNS1_3gpuE8ELNS1_3repE0EEENS1_30default_config_static_selectorELNS0_4arch9wavefront6targetE1EEEvT1_,comdat
.Lfunc_end1829:
	.size	_ZN7rocprim17ROCPRIM_400000_NS6detail17trampoline_kernelINS0_14default_configENS1_27scan_by_key_config_selectorIjjEEZZNS1_16scan_by_key_implILNS1_25lookback_scan_determinismE0ELb0ES3_N6thrust23THRUST_200600_302600_NS6detail15normal_iteratorINS9_10device_ptrIjEEEESE_SE_jNS9_4plusIvEENS9_8equal_toIvEEjEE10hipError_tPvRmT2_T3_T4_T5_mT6_T7_P12ihipStream_tbENKUlT_T0_E_clISt17integral_constantIbLb0EESZ_EEDaSU_SV_EUlSU_E_NS1_11comp_targetILNS1_3genE4ELNS1_11target_archE910ELNS1_3gpuE8ELNS1_3repE0EEENS1_30default_config_static_selectorELNS0_4arch9wavefront6targetE1EEEvT1_, .Lfunc_end1829-_ZN7rocprim17ROCPRIM_400000_NS6detail17trampoline_kernelINS0_14default_configENS1_27scan_by_key_config_selectorIjjEEZZNS1_16scan_by_key_implILNS1_25lookback_scan_determinismE0ELb0ES3_N6thrust23THRUST_200600_302600_NS6detail15normal_iteratorINS9_10device_ptrIjEEEESE_SE_jNS9_4plusIvEENS9_8equal_toIvEEjEE10hipError_tPvRmT2_T3_T4_T5_mT6_T7_P12ihipStream_tbENKUlT_T0_E_clISt17integral_constantIbLb0EESZ_EEDaSU_SV_EUlSU_E_NS1_11comp_targetILNS1_3genE4ELNS1_11target_archE910ELNS1_3gpuE8ELNS1_3repE0EEENS1_30default_config_static_selectorELNS0_4arch9wavefront6targetE1EEEvT1_
                                        ; -- End function
	.section	.AMDGPU.csdata,"",@progbits
; Kernel info:
; codeLenInByte = 10908
; NumSgprs: 65
; NumVgprs: 65
; NumAgprs: 0
; TotalNumVgprs: 65
; ScratchSize: 0
; MemoryBound: 0
; FloatMode: 240
; IeeeMode: 1
; LDSByteSize: 16384 bytes/workgroup (compile time only)
; SGPRBlocks: 8
; VGPRBlocks: 8
; NumSGPRsForWavesPerEU: 65
; NumVGPRsForWavesPerEU: 65
; AccumOffset: 68
; Occupancy: 4
; WaveLimiterHint : 1
; COMPUTE_PGM_RSRC2:SCRATCH_EN: 0
; COMPUTE_PGM_RSRC2:USER_SGPR: 6
; COMPUTE_PGM_RSRC2:TRAP_HANDLER: 0
; COMPUTE_PGM_RSRC2:TGID_X_EN: 1
; COMPUTE_PGM_RSRC2:TGID_Y_EN: 0
; COMPUTE_PGM_RSRC2:TGID_Z_EN: 0
; COMPUTE_PGM_RSRC2:TIDIG_COMP_CNT: 0
; COMPUTE_PGM_RSRC3_GFX90A:ACCUM_OFFSET: 16
; COMPUTE_PGM_RSRC3_GFX90A:TG_SPLIT: 0
	.section	.text._ZN7rocprim17ROCPRIM_400000_NS6detail17trampoline_kernelINS0_14default_configENS1_27scan_by_key_config_selectorIjjEEZZNS1_16scan_by_key_implILNS1_25lookback_scan_determinismE0ELb0ES3_N6thrust23THRUST_200600_302600_NS6detail15normal_iteratorINS9_10device_ptrIjEEEESE_SE_jNS9_4plusIvEENS9_8equal_toIvEEjEE10hipError_tPvRmT2_T3_T4_T5_mT6_T7_P12ihipStream_tbENKUlT_T0_E_clISt17integral_constantIbLb0EESZ_EEDaSU_SV_EUlSU_E_NS1_11comp_targetILNS1_3genE3ELNS1_11target_archE908ELNS1_3gpuE7ELNS1_3repE0EEENS1_30default_config_static_selectorELNS0_4arch9wavefront6targetE1EEEvT1_,"axG",@progbits,_ZN7rocprim17ROCPRIM_400000_NS6detail17trampoline_kernelINS0_14default_configENS1_27scan_by_key_config_selectorIjjEEZZNS1_16scan_by_key_implILNS1_25lookback_scan_determinismE0ELb0ES3_N6thrust23THRUST_200600_302600_NS6detail15normal_iteratorINS9_10device_ptrIjEEEESE_SE_jNS9_4plusIvEENS9_8equal_toIvEEjEE10hipError_tPvRmT2_T3_T4_T5_mT6_T7_P12ihipStream_tbENKUlT_T0_E_clISt17integral_constantIbLb0EESZ_EEDaSU_SV_EUlSU_E_NS1_11comp_targetILNS1_3genE3ELNS1_11target_archE908ELNS1_3gpuE7ELNS1_3repE0EEENS1_30default_config_static_selectorELNS0_4arch9wavefront6targetE1EEEvT1_,comdat
	.protected	_ZN7rocprim17ROCPRIM_400000_NS6detail17trampoline_kernelINS0_14default_configENS1_27scan_by_key_config_selectorIjjEEZZNS1_16scan_by_key_implILNS1_25lookback_scan_determinismE0ELb0ES3_N6thrust23THRUST_200600_302600_NS6detail15normal_iteratorINS9_10device_ptrIjEEEESE_SE_jNS9_4plusIvEENS9_8equal_toIvEEjEE10hipError_tPvRmT2_T3_T4_T5_mT6_T7_P12ihipStream_tbENKUlT_T0_E_clISt17integral_constantIbLb0EESZ_EEDaSU_SV_EUlSU_E_NS1_11comp_targetILNS1_3genE3ELNS1_11target_archE908ELNS1_3gpuE7ELNS1_3repE0EEENS1_30default_config_static_selectorELNS0_4arch9wavefront6targetE1EEEvT1_ ; -- Begin function _ZN7rocprim17ROCPRIM_400000_NS6detail17trampoline_kernelINS0_14default_configENS1_27scan_by_key_config_selectorIjjEEZZNS1_16scan_by_key_implILNS1_25lookback_scan_determinismE0ELb0ES3_N6thrust23THRUST_200600_302600_NS6detail15normal_iteratorINS9_10device_ptrIjEEEESE_SE_jNS9_4plusIvEENS9_8equal_toIvEEjEE10hipError_tPvRmT2_T3_T4_T5_mT6_T7_P12ihipStream_tbENKUlT_T0_E_clISt17integral_constantIbLb0EESZ_EEDaSU_SV_EUlSU_E_NS1_11comp_targetILNS1_3genE3ELNS1_11target_archE908ELNS1_3gpuE7ELNS1_3repE0EEENS1_30default_config_static_selectorELNS0_4arch9wavefront6targetE1EEEvT1_
	.globl	_ZN7rocprim17ROCPRIM_400000_NS6detail17trampoline_kernelINS0_14default_configENS1_27scan_by_key_config_selectorIjjEEZZNS1_16scan_by_key_implILNS1_25lookback_scan_determinismE0ELb0ES3_N6thrust23THRUST_200600_302600_NS6detail15normal_iteratorINS9_10device_ptrIjEEEESE_SE_jNS9_4plusIvEENS9_8equal_toIvEEjEE10hipError_tPvRmT2_T3_T4_T5_mT6_T7_P12ihipStream_tbENKUlT_T0_E_clISt17integral_constantIbLb0EESZ_EEDaSU_SV_EUlSU_E_NS1_11comp_targetILNS1_3genE3ELNS1_11target_archE908ELNS1_3gpuE7ELNS1_3repE0EEENS1_30default_config_static_selectorELNS0_4arch9wavefront6targetE1EEEvT1_
	.p2align	8
	.type	_ZN7rocprim17ROCPRIM_400000_NS6detail17trampoline_kernelINS0_14default_configENS1_27scan_by_key_config_selectorIjjEEZZNS1_16scan_by_key_implILNS1_25lookback_scan_determinismE0ELb0ES3_N6thrust23THRUST_200600_302600_NS6detail15normal_iteratorINS9_10device_ptrIjEEEESE_SE_jNS9_4plusIvEENS9_8equal_toIvEEjEE10hipError_tPvRmT2_T3_T4_T5_mT6_T7_P12ihipStream_tbENKUlT_T0_E_clISt17integral_constantIbLb0EESZ_EEDaSU_SV_EUlSU_E_NS1_11comp_targetILNS1_3genE3ELNS1_11target_archE908ELNS1_3gpuE7ELNS1_3repE0EEENS1_30default_config_static_selectorELNS0_4arch9wavefront6targetE1EEEvT1_,@function
_ZN7rocprim17ROCPRIM_400000_NS6detail17trampoline_kernelINS0_14default_configENS1_27scan_by_key_config_selectorIjjEEZZNS1_16scan_by_key_implILNS1_25lookback_scan_determinismE0ELb0ES3_N6thrust23THRUST_200600_302600_NS6detail15normal_iteratorINS9_10device_ptrIjEEEESE_SE_jNS9_4plusIvEENS9_8equal_toIvEEjEE10hipError_tPvRmT2_T3_T4_T5_mT6_T7_P12ihipStream_tbENKUlT_T0_E_clISt17integral_constantIbLb0EESZ_EEDaSU_SV_EUlSU_E_NS1_11comp_targetILNS1_3genE3ELNS1_11target_archE908ELNS1_3gpuE7ELNS1_3repE0EEENS1_30default_config_static_selectorELNS0_4arch9wavefront6targetE1EEEvT1_: ; @_ZN7rocprim17ROCPRIM_400000_NS6detail17trampoline_kernelINS0_14default_configENS1_27scan_by_key_config_selectorIjjEEZZNS1_16scan_by_key_implILNS1_25lookback_scan_determinismE0ELb0ES3_N6thrust23THRUST_200600_302600_NS6detail15normal_iteratorINS9_10device_ptrIjEEEESE_SE_jNS9_4plusIvEENS9_8equal_toIvEEjEE10hipError_tPvRmT2_T3_T4_T5_mT6_T7_P12ihipStream_tbENKUlT_T0_E_clISt17integral_constantIbLb0EESZ_EEDaSU_SV_EUlSU_E_NS1_11comp_targetILNS1_3genE3ELNS1_11target_archE908ELNS1_3gpuE7ELNS1_3repE0EEENS1_30default_config_static_selectorELNS0_4arch9wavefront6targetE1EEEvT1_
; %bb.0:
	.section	.rodata,"a",@progbits
	.p2align	6, 0x0
	.amdhsa_kernel _ZN7rocprim17ROCPRIM_400000_NS6detail17trampoline_kernelINS0_14default_configENS1_27scan_by_key_config_selectorIjjEEZZNS1_16scan_by_key_implILNS1_25lookback_scan_determinismE0ELb0ES3_N6thrust23THRUST_200600_302600_NS6detail15normal_iteratorINS9_10device_ptrIjEEEESE_SE_jNS9_4plusIvEENS9_8equal_toIvEEjEE10hipError_tPvRmT2_T3_T4_T5_mT6_T7_P12ihipStream_tbENKUlT_T0_E_clISt17integral_constantIbLb0EESZ_EEDaSU_SV_EUlSU_E_NS1_11comp_targetILNS1_3genE3ELNS1_11target_archE908ELNS1_3gpuE7ELNS1_3repE0EEENS1_30default_config_static_selectorELNS0_4arch9wavefront6targetE1EEEvT1_
		.amdhsa_group_segment_fixed_size 0
		.amdhsa_private_segment_fixed_size 0
		.amdhsa_kernarg_size 112
		.amdhsa_user_sgpr_count 6
		.amdhsa_user_sgpr_private_segment_buffer 1
		.amdhsa_user_sgpr_dispatch_ptr 0
		.amdhsa_user_sgpr_queue_ptr 0
		.amdhsa_user_sgpr_kernarg_segment_ptr 1
		.amdhsa_user_sgpr_dispatch_id 0
		.amdhsa_user_sgpr_flat_scratch_init 0
		.amdhsa_user_sgpr_kernarg_preload_length 0
		.amdhsa_user_sgpr_kernarg_preload_offset 0
		.amdhsa_user_sgpr_private_segment_size 0
		.amdhsa_uses_dynamic_stack 0
		.amdhsa_system_sgpr_private_segment_wavefront_offset 0
		.amdhsa_system_sgpr_workgroup_id_x 1
		.amdhsa_system_sgpr_workgroup_id_y 0
		.amdhsa_system_sgpr_workgroup_id_z 0
		.amdhsa_system_sgpr_workgroup_info 0
		.amdhsa_system_vgpr_workitem_id 0
		.amdhsa_next_free_vgpr 1
		.amdhsa_next_free_sgpr 0
		.amdhsa_accum_offset 4
		.amdhsa_reserve_vcc 0
		.amdhsa_reserve_flat_scratch 0
		.amdhsa_float_round_mode_32 0
		.amdhsa_float_round_mode_16_64 0
		.amdhsa_float_denorm_mode_32 3
		.amdhsa_float_denorm_mode_16_64 3
		.amdhsa_dx10_clamp 1
		.amdhsa_ieee_mode 1
		.amdhsa_fp16_overflow 0
		.amdhsa_tg_split 0
		.amdhsa_exception_fp_ieee_invalid_op 0
		.amdhsa_exception_fp_denorm_src 0
		.amdhsa_exception_fp_ieee_div_zero 0
		.amdhsa_exception_fp_ieee_overflow 0
		.amdhsa_exception_fp_ieee_underflow 0
		.amdhsa_exception_fp_ieee_inexact 0
		.amdhsa_exception_int_div_zero 0
	.end_amdhsa_kernel
	.section	.text._ZN7rocprim17ROCPRIM_400000_NS6detail17trampoline_kernelINS0_14default_configENS1_27scan_by_key_config_selectorIjjEEZZNS1_16scan_by_key_implILNS1_25lookback_scan_determinismE0ELb0ES3_N6thrust23THRUST_200600_302600_NS6detail15normal_iteratorINS9_10device_ptrIjEEEESE_SE_jNS9_4plusIvEENS9_8equal_toIvEEjEE10hipError_tPvRmT2_T3_T4_T5_mT6_T7_P12ihipStream_tbENKUlT_T0_E_clISt17integral_constantIbLb0EESZ_EEDaSU_SV_EUlSU_E_NS1_11comp_targetILNS1_3genE3ELNS1_11target_archE908ELNS1_3gpuE7ELNS1_3repE0EEENS1_30default_config_static_selectorELNS0_4arch9wavefront6targetE1EEEvT1_,"axG",@progbits,_ZN7rocprim17ROCPRIM_400000_NS6detail17trampoline_kernelINS0_14default_configENS1_27scan_by_key_config_selectorIjjEEZZNS1_16scan_by_key_implILNS1_25lookback_scan_determinismE0ELb0ES3_N6thrust23THRUST_200600_302600_NS6detail15normal_iteratorINS9_10device_ptrIjEEEESE_SE_jNS9_4plusIvEENS9_8equal_toIvEEjEE10hipError_tPvRmT2_T3_T4_T5_mT6_T7_P12ihipStream_tbENKUlT_T0_E_clISt17integral_constantIbLb0EESZ_EEDaSU_SV_EUlSU_E_NS1_11comp_targetILNS1_3genE3ELNS1_11target_archE908ELNS1_3gpuE7ELNS1_3repE0EEENS1_30default_config_static_selectorELNS0_4arch9wavefront6targetE1EEEvT1_,comdat
.Lfunc_end1830:
	.size	_ZN7rocprim17ROCPRIM_400000_NS6detail17trampoline_kernelINS0_14default_configENS1_27scan_by_key_config_selectorIjjEEZZNS1_16scan_by_key_implILNS1_25lookback_scan_determinismE0ELb0ES3_N6thrust23THRUST_200600_302600_NS6detail15normal_iteratorINS9_10device_ptrIjEEEESE_SE_jNS9_4plusIvEENS9_8equal_toIvEEjEE10hipError_tPvRmT2_T3_T4_T5_mT6_T7_P12ihipStream_tbENKUlT_T0_E_clISt17integral_constantIbLb0EESZ_EEDaSU_SV_EUlSU_E_NS1_11comp_targetILNS1_3genE3ELNS1_11target_archE908ELNS1_3gpuE7ELNS1_3repE0EEENS1_30default_config_static_selectorELNS0_4arch9wavefront6targetE1EEEvT1_, .Lfunc_end1830-_ZN7rocprim17ROCPRIM_400000_NS6detail17trampoline_kernelINS0_14default_configENS1_27scan_by_key_config_selectorIjjEEZZNS1_16scan_by_key_implILNS1_25lookback_scan_determinismE0ELb0ES3_N6thrust23THRUST_200600_302600_NS6detail15normal_iteratorINS9_10device_ptrIjEEEESE_SE_jNS9_4plusIvEENS9_8equal_toIvEEjEE10hipError_tPvRmT2_T3_T4_T5_mT6_T7_P12ihipStream_tbENKUlT_T0_E_clISt17integral_constantIbLb0EESZ_EEDaSU_SV_EUlSU_E_NS1_11comp_targetILNS1_3genE3ELNS1_11target_archE908ELNS1_3gpuE7ELNS1_3repE0EEENS1_30default_config_static_selectorELNS0_4arch9wavefront6targetE1EEEvT1_
                                        ; -- End function
	.section	.AMDGPU.csdata,"",@progbits
; Kernel info:
; codeLenInByte = 0
; NumSgprs: 4
; NumVgprs: 0
; NumAgprs: 0
; TotalNumVgprs: 0
; ScratchSize: 0
; MemoryBound: 0
; FloatMode: 240
; IeeeMode: 1
; LDSByteSize: 0 bytes/workgroup (compile time only)
; SGPRBlocks: 0
; VGPRBlocks: 0
; NumSGPRsForWavesPerEU: 4
; NumVGPRsForWavesPerEU: 1
; AccumOffset: 4
; Occupancy: 8
; WaveLimiterHint : 0
; COMPUTE_PGM_RSRC2:SCRATCH_EN: 0
; COMPUTE_PGM_RSRC2:USER_SGPR: 6
; COMPUTE_PGM_RSRC2:TRAP_HANDLER: 0
; COMPUTE_PGM_RSRC2:TGID_X_EN: 1
; COMPUTE_PGM_RSRC2:TGID_Y_EN: 0
; COMPUTE_PGM_RSRC2:TGID_Z_EN: 0
; COMPUTE_PGM_RSRC2:TIDIG_COMP_CNT: 0
; COMPUTE_PGM_RSRC3_GFX90A:ACCUM_OFFSET: 0
; COMPUTE_PGM_RSRC3_GFX90A:TG_SPLIT: 0
	.section	.text._ZN7rocprim17ROCPRIM_400000_NS6detail17trampoline_kernelINS0_14default_configENS1_27scan_by_key_config_selectorIjjEEZZNS1_16scan_by_key_implILNS1_25lookback_scan_determinismE0ELb0ES3_N6thrust23THRUST_200600_302600_NS6detail15normal_iteratorINS9_10device_ptrIjEEEESE_SE_jNS9_4plusIvEENS9_8equal_toIvEEjEE10hipError_tPvRmT2_T3_T4_T5_mT6_T7_P12ihipStream_tbENKUlT_T0_E_clISt17integral_constantIbLb0EESZ_EEDaSU_SV_EUlSU_E_NS1_11comp_targetILNS1_3genE2ELNS1_11target_archE906ELNS1_3gpuE6ELNS1_3repE0EEENS1_30default_config_static_selectorELNS0_4arch9wavefront6targetE1EEEvT1_,"axG",@progbits,_ZN7rocprim17ROCPRIM_400000_NS6detail17trampoline_kernelINS0_14default_configENS1_27scan_by_key_config_selectorIjjEEZZNS1_16scan_by_key_implILNS1_25lookback_scan_determinismE0ELb0ES3_N6thrust23THRUST_200600_302600_NS6detail15normal_iteratorINS9_10device_ptrIjEEEESE_SE_jNS9_4plusIvEENS9_8equal_toIvEEjEE10hipError_tPvRmT2_T3_T4_T5_mT6_T7_P12ihipStream_tbENKUlT_T0_E_clISt17integral_constantIbLb0EESZ_EEDaSU_SV_EUlSU_E_NS1_11comp_targetILNS1_3genE2ELNS1_11target_archE906ELNS1_3gpuE6ELNS1_3repE0EEENS1_30default_config_static_selectorELNS0_4arch9wavefront6targetE1EEEvT1_,comdat
	.protected	_ZN7rocprim17ROCPRIM_400000_NS6detail17trampoline_kernelINS0_14default_configENS1_27scan_by_key_config_selectorIjjEEZZNS1_16scan_by_key_implILNS1_25lookback_scan_determinismE0ELb0ES3_N6thrust23THRUST_200600_302600_NS6detail15normal_iteratorINS9_10device_ptrIjEEEESE_SE_jNS9_4plusIvEENS9_8equal_toIvEEjEE10hipError_tPvRmT2_T3_T4_T5_mT6_T7_P12ihipStream_tbENKUlT_T0_E_clISt17integral_constantIbLb0EESZ_EEDaSU_SV_EUlSU_E_NS1_11comp_targetILNS1_3genE2ELNS1_11target_archE906ELNS1_3gpuE6ELNS1_3repE0EEENS1_30default_config_static_selectorELNS0_4arch9wavefront6targetE1EEEvT1_ ; -- Begin function _ZN7rocprim17ROCPRIM_400000_NS6detail17trampoline_kernelINS0_14default_configENS1_27scan_by_key_config_selectorIjjEEZZNS1_16scan_by_key_implILNS1_25lookback_scan_determinismE0ELb0ES3_N6thrust23THRUST_200600_302600_NS6detail15normal_iteratorINS9_10device_ptrIjEEEESE_SE_jNS9_4plusIvEENS9_8equal_toIvEEjEE10hipError_tPvRmT2_T3_T4_T5_mT6_T7_P12ihipStream_tbENKUlT_T0_E_clISt17integral_constantIbLb0EESZ_EEDaSU_SV_EUlSU_E_NS1_11comp_targetILNS1_3genE2ELNS1_11target_archE906ELNS1_3gpuE6ELNS1_3repE0EEENS1_30default_config_static_selectorELNS0_4arch9wavefront6targetE1EEEvT1_
	.globl	_ZN7rocprim17ROCPRIM_400000_NS6detail17trampoline_kernelINS0_14default_configENS1_27scan_by_key_config_selectorIjjEEZZNS1_16scan_by_key_implILNS1_25lookback_scan_determinismE0ELb0ES3_N6thrust23THRUST_200600_302600_NS6detail15normal_iteratorINS9_10device_ptrIjEEEESE_SE_jNS9_4plusIvEENS9_8equal_toIvEEjEE10hipError_tPvRmT2_T3_T4_T5_mT6_T7_P12ihipStream_tbENKUlT_T0_E_clISt17integral_constantIbLb0EESZ_EEDaSU_SV_EUlSU_E_NS1_11comp_targetILNS1_3genE2ELNS1_11target_archE906ELNS1_3gpuE6ELNS1_3repE0EEENS1_30default_config_static_selectorELNS0_4arch9wavefront6targetE1EEEvT1_
	.p2align	8
	.type	_ZN7rocprim17ROCPRIM_400000_NS6detail17trampoline_kernelINS0_14default_configENS1_27scan_by_key_config_selectorIjjEEZZNS1_16scan_by_key_implILNS1_25lookback_scan_determinismE0ELb0ES3_N6thrust23THRUST_200600_302600_NS6detail15normal_iteratorINS9_10device_ptrIjEEEESE_SE_jNS9_4plusIvEENS9_8equal_toIvEEjEE10hipError_tPvRmT2_T3_T4_T5_mT6_T7_P12ihipStream_tbENKUlT_T0_E_clISt17integral_constantIbLb0EESZ_EEDaSU_SV_EUlSU_E_NS1_11comp_targetILNS1_3genE2ELNS1_11target_archE906ELNS1_3gpuE6ELNS1_3repE0EEENS1_30default_config_static_selectorELNS0_4arch9wavefront6targetE1EEEvT1_,@function
_ZN7rocprim17ROCPRIM_400000_NS6detail17trampoline_kernelINS0_14default_configENS1_27scan_by_key_config_selectorIjjEEZZNS1_16scan_by_key_implILNS1_25lookback_scan_determinismE0ELb0ES3_N6thrust23THRUST_200600_302600_NS6detail15normal_iteratorINS9_10device_ptrIjEEEESE_SE_jNS9_4plusIvEENS9_8equal_toIvEEjEE10hipError_tPvRmT2_T3_T4_T5_mT6_T7_P12ihipStream_tbENKUlT_T0_E_clISt17integral_constantIbLb0EESZ_EEDaSU_SV_EUlSU_E_NS1_11comp_targetILNS1_3genE2ELNS1_11target_archE906ELNS1_3gpuE6ELNS1_3repE0EEENS1_30default_config_static_selectorELNS0_4arch9wavefront6targetE1EEEvT1_: ; @_ZN7rocprim17ROCPRIM_400000_NS6detail17trampoline_kernelINS0_14default_configENS1_27scan_by_key_config_selectorIjjEEZZNS1_16scan_by_key_implILNS1_25lookback_scan_determinismE0ELb0ES3_N6thrust23THRUST_200600_302600_NS6detail15normal_iteratorINS9_10device_ptrIjEEEESE_SE_jNS9_4plusIvEENS9_8equal_toIvEEjEE10hipError_tPvRmT2_T3_T4_T5_mT6_T7_P12ihipStream_tbENKUlT_T0_E_clISt17integral_constantIbLb0EESZ_EEDaSU_SV_EUlSU_E_NS1_11comp_targetILNS1_3genE2ELNS1_11target_archE906ELNS1_3gpuE6ELNS1_3repE0EEENS1_30default_config_static_selectorELNS0_4arch9wavefront6targetE1EEEvT1_
; %bb.0:
	.section	.rodata,"a",@progbits
	.p2align	6, 0x0
	.amdhsa_kernel _ZN7rocprim17ROCPRIM_400000_NS6detail17trampoline_kernelINS0_14default_configENS1_27scan_by_key_config_selectorIjjEEZZNS1_16scan_by_key_implILNS1_25lookback_scan_determinismE0ELb0ES3_N6thrust23THRUST_200600_302600_NS6detail15normal_iteratorINS9_10device_ptrIjEEEESE_SE_jNS9_4plusIvEENS9_8equal_toIvEEjEE10hipError_tPvRmT2_T3_T4_T5_mT6_T7_P12ihipStream_tbENKUlT_T0_E_clISt17integral_constantIbLb0EESZ_EEDaSU_SV_EUlSU_E_NS1_11comp_targetILNS1_3genE2ELNS1_11target_archE906ELNS1_3gpuE6ELNS1_3repE0EEENS1_30default_config_static_selectorELNS0_4arch9wavefront6targetE1EEEvT1_
		.amdhsa_group_segment_fixed_size 0
		.amdhsa_private_segment_fixed_size 0
		.amdhsa_kernarg_size 112
		.amdhsa_user_sgpr_count 6
		.amdhsa_user_sgpr_private_segment_buffer 1
		.amdhsa_user_sgpr_dispatch_ptr 0
		.amdhsa_user_sgpr_queue_ptr 0
		.amdhsa_user_sgpr_kernarg_segment_ptr 1
		.amdhsa_user_sgpr_dispatch_id 0
		.amdhsa_user_sgpr_flat_scratch_init 0
		.amdhsa_user_sgpr_kernarg_preload_length 0
		.amdhsa_user_sgpr_kernarg_preload_offset 0
		.amdhsa_user_sgpr_private_segment_size 0
		.amdhsa_uses_dynamic_stack 0
		.amdhsa_system_sgpr_private_segment_wavefront_offset 0
		.amdhsa_system_sgpr_workgroup_id_x 1
		.amdhsa_system_sgpr_workgroup_id_y 0
		.amdhsa_system_sgpr_workgroup_id_z 0
		.amdhsa_system_sgpr_workgroup_info 0
		.amdhsa_system_vgpr_workitem_id 0
		.amdhsa_next_free_vgpr 1
		.amdhsa_next_free_sgpr 0
		.amdhsa_accum_offset 4
		.amdhsa_reserve_vcc 0
		.amdhsa_reserve_flat_scratch 0
		.amdhsa_float_round_mode_32 0
		.amdhsa_float_round_mode_16_64 0
		.amdhsa_float_denorm_mode_32 3
		.amdhsa_float_denorm_mode_16_64 3
		.amdhsa_dx10_clamp 1
		.amdhsa_ieee_mode 1
		.amdhsa_fp16_overflow 0
		.amdhsa_tg_split 0
		.amdhsa_exception_fp_ieee_invalid_op 0
		.amdhsa_exception_fp_denorm_src 0
		.amdhsa_exception_fp_ieee_div_zero 0
		.amdhsa_exception_fp_ieee_overflow 0
		.amdhsa_exception_fp_ieee_underflow 0
		.amdhsa_exception_fp_ieee_inexact 0
		.amdhsa_exception_int_div_zero 0
	.end_amdhsa_kernel
	.section	.text._ZN7rocprim17ROCPRIM_400000_NS6detail17trampoline_kernelINS0_14default_configENS1_27scan_by_key_config_selectorIjjEEZZNS1_16scan_by_key_implILNS1_25lookback_scan_determinismE0ELb0ES3_N6thrust23THRUST_200600_302600_NS6detail15normal_iteratorINS9_10device_ptrIjEEEESE_SE_jNS9_4plusIvEENS9_8equal_toIvEEjEE10hipError_tPvRmT2_T3_T4_T5_mT6_T7_P12ihipStream_tbENKUlT_T0_E_clISt17integral_constantIbLb0EESZ_EEDaSU_SV_EUlSU_E_NS1_11comp_targetILNS1_3genE2ELNS1_11target_archE906ELNS1_3gpuE6ELNS1_3repE0EEENS1_30default_config_static_selectorELNS0_4arch9wavefront6targetE1EEEvT1_,"axG",@progbits,_ZN7rocprim17ROCPRIM_400000_NS6detail17trampoline_kernelINS0_14default_configENS1_27scan_by_key_config_selectorIjjEEZZNS1_16scan_by_key_implILNS1_25lookback_scan_determinismE0ELb0ES3_N6thrust23THRUST_200600_302600_NS6detail15normal_iteratorINS9_10device_ptrIjEEEESE_SE_jNS9_4plusIvEENS9_8equal_toIvEEjEE10hipError_tPvRmT2_T3_T4_T5_mT6_T7_P12ihipStream_tbENKUlT_T0_E_clISt17integral_constantIbLb0EESZ_EEDaSU_SV_EUlSU_E_NS1_11comp_targetILNS1_3genE2ELNS1_11target_archE906ELNS1_3gpuE6ELNS1_3repE0EEENS1_30default_config_static_selectorELNS0_4arch9wavefront6targetE1EEEvT1_,comdat
.Lfunc_end1831:
	.size	_ZN7rocprim17ROCPRIM_400000_NS6detail17trampoline_kernelINS0_14default_configENS1_27scan_by_key_config_selectorIjjEEZZNS1_16scan_by_key_implILNS1_25lookback_scan_determinismE0ELb0ES3_N6thrust23THRUST_200600_302600_NS6detail15normal_iteratorINS9_10device_ptrIjEEEESE_SE_jNS9_4plusIvEENS9_8equal_toIvEEjEE10hipError_tPvRmT2_T3_T4_T5_mT6_T7_P12ihipStream_tbENKUlT_T0_E_clISt17integral_constantIbLb0EESZ_EEDaSU_SV_EUlSU_E_NS1_11comp_targetILNS1_3genE2ELNS1_11target_archE906ELNS1_3gpuE6ELNS1_3repE0EEENS1_30default_config_static_selectorELNS0_4arch9wavefront6targetE1EEEvT1_, .Lfunc_end1831-_ZN7rocprim17ROCPRIM_400000_NS6detail17trampoline_kernelINS0_14default_configENS1_27scan_by_key_config_selectorIjjEEZZNS1_16scan_by_key_implILNS1_25lookback_scan_determinismE0ELb0ES3_N6thrust23THRUST_200600_302600_NS6detail15normal_iteratorINS9_10device_ptrIjEEEESE_SE_jNS9_4plusIvEENS9_8equal_toIvEEjEE10hipError_tPvRmT2_T3_T4_T5_mT6_T7_P12ihipStream_tbENKUlT_T0_E_clISt17integral_constantIbLb0EESZ_EEDaSU_SV_EUlSU_E_NS1_11comp_targetILNS1_3genE2ELNS1_11target_archE906ELNS1_3gpuE6ELNS1_3repE0EEENS1_30default_config_static_selectorELNS0_4arch9wavefront6targetE1EEEvT1_
                                        ; -- End function
	.section	.AMDGPU.csdata,"",@progbits
; Kernel info:
; codeLenInByte = 0
; NumSgprs: 4
; NumVgprs: 0
; NumAgprs: 0
; TotalNumVgprs: 0
; ScratchSize: 0
; MemoryBound: 0
; FloatMode: 240
; IeeeMode: 1
; LDSByteSize: 0 bytes/workgroup (compile time only)
; SGPRBlocks: 0
; VGPRBlocks: 0
; NumSGPRsForWavesPerEU: 4
; NumVGPRsForWavesPerEU: 1
; AccumOffset: 4
; Occupancy: 8
; WaveLimiterHint : 0
; COMPUTE_PGM_RSRC2:SCRATCH_EN: 0
; COMPUTE_PGM_RSRC2:USER_SGPR: 6
; COMPUTE_PGM_RSRC2:TRAP_HANDLER: 0
; COMPUTE_PGM_RSRC2:TGID_X_EN: 1
; COMPUTE_PGM_RSRC2:TGID_Y_EN: 0
; COMPUTE_PGM_RSRC2:TGID_Z_EN: 0
; COMPUTE_PGM_RSRC2:TIDIG_COMP_CNT: 0
; COMPUTE_PGM_RSRC3_GFX90A:ACCUM_OFFSET: 0
; COMPUTE_PGM_RSRC3_GFX90A:TG_SPLIT: 0
	.section	.text._ZN7rocprim17ROCPRIM_400000_NS6detail17trampoline_kernelINS0_14default_configENS1_27scan_by_key_config_selectorIjjEEZZNS1_16scan_by_key_implILNS1_25lookback_scan_determinismE0ELb0ES3_N6thrust23THRUST_200600_302600_NS6detail15normal_iteratorINS9_10device_ptrIjEEEESE_SE_jNS9_4plusIvEENS9_8equal_toIvEEjEE10hipError_tPvRmT2_T3_T4_T5_mT6_T7_P12ihipStream_tbENKUlT_T0_E_clISt17integral_constantIbLb0EESZ_EEDaSU_SV_EUlSU_E_NS1_11comp_targetILNS1_3genE10ELNS1_11target_archE1200ELNS1_3gpuE4ELNS1_3repE0EEENS1_30default_config_static_selectorELNS0_4arch9wavefront6targetE1EEEvT1_,"axG",@progbits,_ZN7rocprim17ROCPRIM_400000_NS6detail17trampoline_kernelINS0_14default_configENS1_27scan_by_key_config_selectorIjjEEZZNS1_16scan_by_key_implILNS1_25lookback_scan_determinismE0ELb0ES3_N6thrust23THRUST_200600_302600_NS6detail15normal_iteratorINS9_10device_ptrIjEEEESE_SE_jNS9_4plusIvEENS9_8equal_toIvEEjEE10hipError_tPvRmT2_T3_T4_T5_mT6_T7_P12ihipStream_tbENKUlT_T0_E_clISt17integral_constantIbLb0EESZ_EEDaSU_SV_EUlSU_E_NS1_11comp_targetILNS1_3genE10ELNS1_11target_archE1200ELNS1_3gpuE4ELNS1_3repE0EEENS1_30default_config_static_selectorELNS0_4arch9wavefront6targetE1EEEvT1_,comdat
	.protected	_ZN7rocprim17ROCPRIM_400000_NS6detail17trampoline_kernelINS0_14default_configENS1_27scan_by_key_config_selectorIjjEEZZNS1_16scan_by_key_implILNS1_25lookback_scan_determinismE0ELb0ES3_N6thrust23THRUST_200600_302600_NS6detail15normal_iteratorINS9_10device_ptrIjEEEESE_SE_jNS9_4plusIvEENS9_8equal_toIvEEjEE10hipError_tPvRmT2_T3_T4_T5_mT6_T7_P12ihipStream_tbENKUlT_T0_E_clISt17integral_constantIbLb0EESZ_EEDaSU_SV_EUlSU_E_NS1_11comp_targetILNS1_3genE10ELNS1_11target_archE1200ELNS1_3gpuE4ELNS1_3repE0EEENS1_30default_config_static_selectorELNS0_4arch9wavefront6targetE1EEEvT1_ ; -- Begin function _ZN7rocprim17ROCPRIM_400000_NS6detail17trampoline_kernelINS0_14default_configENS1_27scan_by_key_config_selectorIjjEEZZNS1_16scan_by_key_implILNS1_25lookback_scan_determinismE0ELb0ES3_N6thrust23THRUST_200600_302600_NS6detail15normal_iteratorINS9_10device_ptrIjEEEESE_SE_jNS9_4plusIvEENS9_8equal_toIvEEjEE10hipError_tPvRmT2_T3_T4_T5_mT6_T7_P12ihipStream_tbENKUlT_T0_E_clISt17integral_constantIbLb0EESZ_EEDaSU_SV_EUlSU_E_NS1_11comp_targetILNS1_3genE10ELNS1_11target_archE1200ELNS1_3gpuE4ELNS1_3repE0EEENS1_30default_config_static_selectorELNS0_4arch9wavefront6targetE1EEEvT1_
	.globl	_ZN7rocprim17ROCPRIM_400000_NS6detail17trampoline_kernelINS0_14default_configENS1_27scan_by_key_config_selectorIjjEEZZNS1_16scan_by_key_implILNS1_25lookback_scan_determinismE0ELb0ES3_N6thrust23THRUST_200600_302600_NS6detail15normal_iteratorINS9_10device_ptrIjEEEESE_SE_jNS9_4plusIvEENS9_8equal_toIvEEjEE10hipError_tPvRmT2_T3_T4_T5_mT6_T7_P12ihipStream_tbENKUlT_T0_E_clISt17integral_constantIbLb0EESZ_EEDaSU_SV_EUlSU_E_NS1_11comp_targetILNS1_3genE10ELNS1_11target_archE1200ELNS1_3gpuE4ELNS1_3repE0EEENS1_30default_config_static_selectorELNS0_4arch9wavefront6targetE1EEEvT1_
	.p2align	8
	.type	_ZN7rocprim17ROCPRIM_400000_NS6detail17trampoline_kernelINS0_14default_configENS1_27scan_by_key_config_selectorIjjEEZZNS1_16scan_by_key_implILNS1_25lookback_scan_determinismE0ELb0ES3_N6thrust23THRUST_200600_302600_NS6detail15normal_iteratorINS9_10device_ptrIjEEEESE_SE_jNS9_4plusIvEENS9_8equal_toIvEEjEE10hipError_tPvRmT2_T3_T4_T5_mT6_T7_P12ihipStream_tbENKUlT_T0_E_clISt17integral_constantIbLb0EESZ_EEDaSU_SV_EUlSU_E_NS1_11comp_targetILNS1_3genE10ELNS1_11target_archE1200ELNS1_3gpuE4ELNS1_3repE0EEENS1_30default_config_static_selectorELNS0_4arch9wavefront6targetE1EEEvT1_,@function
_ZN7rocprim17ROCPRIM_400000_NS6detail17trampoline_kernelINS0_14default_configENS1_27scan_by_key_config_selectorIjjEEZZNS1_16scan_by_key_implILNS1_25lookback_scan_determinismE0ELb0ES3_N6thrust23THRUST_200600_302600_NS6detail15normal_iteratorINS9_10device_ptrIjEEEESE_SE_jNS9_4plusIvEENS9_8equal_toIvEEjEE10hipError_tPvRmT2_T3_T4_T5_mT6_T7_P12ihipStream_tbENKUlT_T0_E_clISt17integral_constantIbLb0EESZ_EEDaSU_SV_EUlSU_E_NS1_11comp_targetILNS1_3genE10ELNS1_11target_archE1200ELNS1_3gpuE4ELNS1_3repE0EEENS1_30default_config_static_selectorELNS0_4arch9wavefront6targetE1EEEvT1_: ; @_ZN7rocprim17ROCPRIM_400000_NS6detail17trampoline_kernelINS0_14default_configENS1_27scan_by_key_config_selectorIjjEEZZNS1_16scan_by_key_implILNS1_25lookback_scan_determinismE0ELb0ES3_N6thrust23THRUST_200600_302600_NS6detail15normal_iteratorINS9_10device_ptrIjEEEESE_SE_jNS9_4plusIvEENS9_8equal_toIvEEjEE10hipError_tPvRmT2_T3_T4_T5_mT6_T7_P12ihipStream_tbENKUlT_T0_E_clISt17integral_constantIbLb0EESZ_EEDaSU_SV_EUlSU_E_NS1_11comp_targetILNS1_3genE10ELNS1_11target_archE1200ELNS1_3gpuE4ELNS1_3repE0EEENS1_30default_config_static_selectorELNS0_4arch9wavefront6targetE1EEEvT1_
; %bb.0:
	.section	.rodata,"a",@progbits
	.p2align	6, 0x0
	.amdhsa_kernel _ZN7rocprim17ROCPRIM_400000_NS6detail17trampoline_kernelINS0_14default_configENS1_27scan_by_key_config_selectorIjjEEZZNS1_16scan_by_key_implILNS1_25lookback_scan_determinismE0ELb0ES3_N6thrust23THRUST_200600_302600_NS6detail15normal_iteratorINS9_10device_ptrIjEEEESE_SE_jNS9_4plusIvEENS9_8equal_toIvEEjEE10hipError_tPvRmT2_T3_T4_T5_mT6_T7_P12ihipStream_tbENKUlT_T0_E_clISt17integral_constantIbLb0EESZ_EEDaSU_SV_EUlSU_E_NS1_11comp_targetILNS1_3genE10ELNS1_11target_archE1200ELNS1_3gpuE4ELNS1_3repE0EEENS1_30default_config_static_selectorELNS0_4arch9wavefront6targetE1EEEvT1_
		.amdhsa_group_segment_fixed_size 0
		.amdhsa_private_segment_fixed_size 0
		.amdhsa_kernarg_size 112
		.amdhsa_user_sgpr_count 6
		.amdhsa_user_sgpr_private_segment_buffer 1
		.amdhsa_user_sgpr_dispatch_ptr 0
		.amdhsa_user_sgpr_queue_ptr 0
		.amdhsa_user_sgpr_kernarg_segment_ptr 1
		.amdhsa_user_sgpr_dispatch_id 0
		.amdhsa_user_sgpr_flat_scratch_init 0
		.amdhsa_user_sgpr_kernarg_preload_length 0
		.amdhsa_user_sgpr_kernarg_preload_offset 0
		.amdhsa_user_sgpr_private_segment_size 0
		.amdhsa_uses_dynamic_stack 0
		.amdhsa_system_sgpr_private_segment_wavefront_offset 0
		.amdhsa_system_sgpr_workgroup_id_x 1
		.amdhsa_system_sgpr_workgroup_id_y 0
		.amdhsa_system_sgpr_workgroup_id_z 0
		.amdhsa_system_sgpr_workgroup_info 0
		.amdhsa_system_vgpr_workitem_id 0
		.amdhsa_next_free_vgpr 1
		.amdhsa_next_free_sgpr 0
		.amdhsa_accum_offset 4
		.amdhsa_reserve_vcc 0
		.amdhsa_reserve_flat_scratch 0
		.amdhsa_float_round_mode_32 0
		.amdhsa_float_round_mode_16_64 0
		.amdhsa_float_denorm_mode_32 3
		.amdhsa_float_denorm_mode_16_64 3
		.amdhsa_dx10_clamp 1
		.amdhsa_ieee_mode 1
		.amdhsa_fp16_overflow 0
		.amdhsa_tg_split 0
		.amdhsa_exception_fp_ieee_invalid_op 0
		.amdhsa_exception_fp_denorm_src 0
		.amdhsa_exception_fp_ieee_div_zero 0
		.amdhsa_exception_fp_ieee_overflow 0
		.amdhsa_exception_fp_ieee_underflow 0
		.amdhsa_exception_fp_ieee_inexact 0
		.amdhsa_exception_int_div_zero 0
	.end_amdhsa_kernel
	.section	.text._ZN7rocprim17ROCPRIM_400000_NS6detail17trampoline_kernelINS0_14default_configENS1_27scan_by_key_config_selectorIjjEEZZNS1_16scan_by_key_implILNS1_25lookback_scan_determinismE0ELb0ES3_N6thrust23THRUST_200600_302600_NS6detail15normal_iteratorINS9_10device_ptrIjEEEESE_SE_jNS9_4plusIvEENS9_8equal_toIvEEjEE10hipError_tPvRmT2_T3_T4_T5_mT6_T7_P12ihipStream_tbENKUlT_T0_E_clISt17integral_constantIbLb0EESZ_EEDaSU_SV_EUlSU_E_NS1_11comp_targetILNS1_3genE10ELNS1_11target_archE1200ELNS1_3gpuE4ELNS1_3repE0EEENS1_30default_config_static_selectorELNS0_4arch9wavefront6targetE1EEEvT1_,"axG",@progbits,_ZN7rocprim17ROCPRIM_400000_NS6detail17trampoline_kernelINS0_14default_configENS1_27scan_by_key_config_selectorIjjEEZZNS1_16scan_by_key_implILNS1_25lookback_scan_determinismE0ELb0ES3_N6thrust23THRUST_200600_302600_NS6detail15normal_iteratorINS9_10device_ptrIjEEEESE_SE_jNS9_4plusIvEENS9_8equal_toIvEEjEE10hipError_tPvRmT2_T3_T4_T5_mT6_T7_P12ihipStream_tbENKUlT_T0_E_clISt17integral_constantIbLb0EESZ_EEDaSU_SV_EUlSU_E_NS1_11comp_targetILNS1_3genE10ELNS1_11target_archE1200ELNS1_3gpuE4ELNS1_3repE0EEENS1_30default_config_static_selectorELNS0_4arch9wavefront6targetE1EEEvT1_,comdat
.Lfunc_end1832:
	.size	_ZN7rocprim17ROCPRIM_400000_NS6detail17trampoline_kernelINS0_14default_configENS1_27scan_by_key_config_selectorIjjEEZZNS1_16scan_by_key_implILNS1_25lookback_scan_determinismE0ELb0ES3_N6thrust23THRUST_200600_302600_NS6detail15normal_iteratorINS9_10device_ptrIjEEEESE_SE_jNS9_4plusIvEENS9_8equal_toIvEEjEE10hipError_tPvRmT2_T3_T4_T5_mT6_T7_P12ihipStream_tbENKUlT_T0_E_clISt17integral_constantIbLb0EESZ_EEDaSU_SV_EUlSU_E_NS1_11comp_targetILNS1_3genE10ELNS1_11target_archE1200ELNS1_3gpuE4ELNS1_3repE0EEENS1_30default_config_static_selectorELNS0_4arch9wavefront6targetE1EEEvT1_, .Lfunc_end1832-_ZN7rocprim17ROCPRIM_400000_NS6detail17trampoline_kernelINS0_14default_configENS1_27scan_by_key_config_selectorIjjEEZZNS1_16scan_by_key_implILNS1_25lookback_scan_determinismE0ELb0ES3_N6thrust23THRUST_200600_302600_NS6detail15normal_iteratorINS9_10device_ptrIjEEEESE_SE_jNS9_4plusIvEENS9_8equal_toIvEEjEE10hipError_tPvRmT2_T3_T4_T5_mT6_T7_P12ihipStream_tbENKUlT_T0_E_clISt17integral_constantIbLb0EESZ_EEDaSU_SV_EUlSU_E_NS1_11comp_targetILNS1_3genE10ELNS1_11target_archE1200ELNS1_3gpuE4ELNS1_3repE0EEENS1_30default_config_static_selectorELNS0_4arch9wavefront6targetE1EEEvT1_
                                        ; -- End function
	.section	.AMDGPU.csdata,"",@progbits
; Kernel info:
; codeLenInByte = 0
; NumSgprs: 4
; NumVgprs: 0
; NumAgprs: 0
; TotalNumVgprs: 0
; ScratchSize: 0
; MemoryBound: 0
; FloatMode: 240
; IeeeMode: 1
; LDSByteSize: 0 bytes/workgroup (compile time only)
; SGPRBlocks: 0
; VGPRBlocks: 0
; NumSGPRsForWavesPerEU: 4
; NumVGPRsForWavesPerEU: 1
; AccumOffset: 4
; Occupancy: 8
; WaveLimiterHint : 0
; COMPUTE_PGM_RSRC2:SCRATCH_EN: 0
; COMPUTE_PGM_RSRC2:USER_SGPR: 6
; COMPUTE_PGM_RSRC2:TRAP_HANDLER: 0
; COMPUTE_PGM_RSRC2:TGID_X_EN: 1
; COMPUTE_PGM_RSRC2:TGID_Y_EN: 0
; COMPUTE_PGM_RSRC2:TGID_Z_EN: 0
; COMPUTE_PGM_RSRC2:TIDIG_COMP_CNT: 0
; COMPUTE_PGM_RSRC3_GFX90A:ACCUM_OFFSET: 0
; COMPUTE_PGM_RSRC3_GFX90A:TG_SPLIT: 0
	.section	.text._ZN7rocprim17ROCPRIM_400000_NS6detail17trampoline_kernelINS0_14default_configENS1_27scan_by_key_config_selectorIjjEEZZNS1_16scan_by_key_implILNS1_25lookback_scan_determinismE0ELb0ES3_N6thrust23THRUST_200600_302600_NS6detail15normal_iteratorINS9_10device_ptrIjEEEESE_SE_jNS9_4plusIvEENS9_8equal_toIvEEjEE10hipError_tPvRmT2_T3_T4_T5_mT6_T7_P12ihipStream_tbENKUlT_T0_E_clISt17integral_constantIbLb0EESZ_EEDaSU_SV_EUlSU_E_NS1_11comp_targetILNS1_3genE9ELNS1_11target_archE1100ELNS1_3gpuE3ELNS1_3repE0EEENS1_30default_config_static_selectorELNS0_4arch9wavefront6targetE1EEEvT1_,"axG",@progbits,_ZN7rocprim17ROCPRIM_400000_NS6detail17trampoline_kernelINS0_14default_configENS1_27scan_by_key_config_selectorIjjEEZZNS1_16scan_by_key_implILNS1_25lookback_scan_determinismE0ELb0ES3_N6thrust23THRUST_200600_302600_NS6detail15normal_iteratorINS9_10device_ptrIjEEEESE_SE_jNS9_4plusIvEENS9_8equal_toIvEEjEE10hipError_tPvRmT2_T3_T4_T5_mT6_T7_P12ihipStream_tbENKUlT_T0_E_clISt17integral_constantIbLb0EESZ_EEDaSU_SV_EUlSU_E_NS1_11comp_targetILNS1_3genE9ELNS1_11target_archE1100ELNS1_3gpuE3ELNS1_3repE0EEENS1_30default_config_static_selectorELNS0_4arch9wavefront6targetE1EEEvT1_,comdat
	.protected	_ZN7rocprim17ROCPRIM_400000_NS6detail17trampoline_kernelINS0_14default_configENS1_27scan_by_key_config_selectorIjjEEZZNS1_16scan_by_key_implILNS1_25lookback_scan_determinismE0ELb0ES3_N6thrust23THRUST_200600_302600_NS6detail15normal_iteratorINS9_10device_ptrIjEEEESE_SE_jNS9_4plusIvEENS9_8equal_toIvEEjEE10hipError_tPvRmT2_T3_T4_T5_mT6_T7_P12ihipStream_tbENKUlT_T0_E_clISt17integral_constantIbLb0EESZ_EEDaSU_SV_EUlSU_E_NS1_11comp_targetILNS1_3genE9ELNS1_11target_archE1100ELNS1_3gpuE3ELNS1_3repE0EEENS1_30default_config_static_selectorELNS0_4arch9wavefront6targetE1EEEvT1_ ; -- Begin function _ZN7rocprim17ROCPRIM_400000_NS6detail17trampoline_kernelINS0_14default_configENS1_27scan_by_key_config_selectorIjjEEZZNS1_16scan_by_key_implILNS1_25lookback_scan_determinismE0ELb0ES3_N6thrust23THRUST_200600_302600_NS6detail15normal_iteratorINS9_10device_ptrIjEEEESE_SE_jNS9_4plusIvEENS9_8equal_toIvEEjEE10hipError_tPvRmT2_T3_T4_T5_mT6_T7_P12ihipStream_tbENKUlT_T0_E_clISt17integral_constantIbLb0EESZ_EEDaSU_SV_EUlSU_E_NS1_11comp_targetILNS1_3genE9ELNS1_11target_archE1100ELNS1_3gpuE3ELNS1_3repE0EEENS1_30default_config_static_selectorELNS0_4arch9wavefront6targetE1EEEvT1_
	.globl	_ZN7rocprim17ROCPRIM_400000_NS6detail17trampoline_kernelINS0_14default_configENS1_27scan_by_key_config_selectorIjjEEZZNS1_16scan_by_key_implILNS1_25lookback_scan_determinismE0ELb0ES3_N6thrust23THRUST_200600_302600_NS6detail15normal_iteratorINS9_10device_ptrIjEEEESE_SE_jNS9_4plusIvEENS9_8equal_toIvEEjEE10hipError_tPvRmT2_T3_T4_T5_mT6_T7_P12ihipStream_tbENKUlT_T0_E_clISt17integral_constantIbLb0EESZ_EEDaSU_SV_EUlSU_E_NS1_11comp_targetILNS1_3genE9ELNS1_11target_archE1100ELNS1_3gpuE3ELNS1_3repE0EEENS1_30default_config_static_selectorELNS0_4arch9wavefront6targetE1EEEvT1_
	.p2align	8
	.type	_ZN7rocprim17ROCPRIM_400000_NS6detail17trampoline_kernelINS0_14default_configENS1_27scan_by_key_config_selectorIjjEEZZNS1_16scan_by_key_implILNS1_25lookback_scan_determinismE0ELb0ES3_N6thrust23THRUST_200600_302600_NS6detail15normal_iteratorINS9_10device_ptrIjEEEESE_SE_jNS9_4plusIvEENS9_8equal_toIvEEjEE10hipError_tPvRmT2_T3_T4_T5_mT6_T7_P12ihipStream_tbENKUlT_T0_E_clISt17integral_constantIbLb0EESZ_EEDaSU_SV_EUlSU_E_NS1_11comp_targetILNS1_3genE9ELNS1_11target_archE1100ELNS1_3gpuE3ELNS1_3repE0EEENS1_30default_config_static_selectorELNS0_4arch9wavefront6targetE1EEEvT1_,@function
_ZN7rocprim17ROCPRIM_400000_NS6detail17trampoline_kernelINS0_14default_configENS1_27scan_by_key_config_selectorIjjEEZZNS1_16scan_by_key_implILNS1_25lookback_scan_determinismE0ELb0ES3_N6thrust23THRUST_200600_302600_NS6detail15normal_iteratorINS9_10device_ptrIjEEEESE_SE_jNS9_4plusIvEENS9_8equal_toIvEEjEE10hipError_tPvRmT2_T3_T4_T5_mT6_T7_P12ihipStream_tbENKUlT_T0_E_clISt17integral_constantIbLb0EESZ_EEDaSU_SV_EUlSU_E_NS1_11comp_targetILNS1_3genE9ELNS1_11target_archE1100ELNS1_3gpuE3ELNS1_3repE0EEENS1_30default_config_static_selectorELNS0_4arch9wavefront6targetE1EEEvT1_: ; @_ZN7rocprim17ROCPRIM_400000_NS6detail17trampoline_kernelINS0_14default_configENS1_27scan_by_key_config_selectorIjjEEZZNS1_16scan_by_key_implILNS1_25lookback_scan_determinismE0ELb0ES3_N6thrust23THRUST_200600_302600_NS6detail15normal_iteratorINS9_10device_ptrIjEEEESE_SE_jNS9_4plusIvEENS9_8equal_toIvEEjEE10hipError_tPvRmT2_T3_T4_T5_mT6_T7_P12ihipStream_tbENKUlT_T0_E_clISt17integral_constantIbLb0EESZ_EEDaSU_SV_EUlSU_E_NS1_11comp_targetILNS1_3genE9ELNS1_11target_archE1100ELNS1_3gpuE3ELNS1_3repE0EEENS1_30default_config_static_selectorELNS0_4arch9wavefront6targetE1EEEvT1_
; %bb.0:
	.section	.rodata,"a",@progbits
	.p2align	6, 0x0
	.amdhsa_kernel _ZN7rocprim17ROCPRIM_400000_NS6detail17trampoline_kernelINS0_14default_configENS1_27scan_by_key_config_selectorIjjEEZZNS1_16scan_by_key_implILNS1_25lookback_scan_determinismE0ELb0ES3_N6thrust23THRUST_200600_302600_NS6detail15normal_iteratorINS9_10device_ptrIjEEEESE_SE_jNS9_4plusIvEENS9_8equal_toIvEEjEE10hipError_tPvRmT2_T3_T4_T5_mT6_T7_P12ihipStream_tbENKUlT_T0_E_clISt17integral_constantIbLb0EESZ_EEDaSU_SV_EUlSU_E_NS1_11comp_targetILNS1_3genE9ELNS1_11target_archE1100ELNS1_3gpuE3ELNS1_3repE0EEENS1_30default_config_static_selectorELNS0_4arch9wavefront6targetE1EEEvT1_
		.amdhsa_group_segment_fixed_size 0
		.amdhsa_private_segment_fixed_size 0
		.amdhsa_kernarg_size 112
		.amdhsa_user_sgpr_count 6
		.amdhsa_user_sgpr_private_segment_buffer 1
		.amdhsa_user_sgpr_dispatch_ptr 0
		.amdhsa_user_sgpr_queue_ptr 0
		.amdhsa_user_sgpr_kernarg_segment_ptr 1
		.amdhsa_user_sgpr_dispatch_id 0
		.amdhsa_user_sgpr_flat_scratch_init 0
		.amdhsa_user_sgpr_kernarg_preload_length 0
		.amdhsa_user_sgpr_kernarg_preload_offset 0
		.amdhsa_user_sgpr_private_segment_size 0
		.amdhsa_uses_dynamic_stack 0
		.amdhsa_system_sgpr_private_segment_wavefront_offset 0
		.amdhsa_system_sgpr_workgroup_id_x 1
		.amdhsa_system_sgpr_workgroup_id_y 0
		.amdhsa_system_sgpr_workgroup_id_z 0
		.amdhsa_system_sgpr_workgroup_info 0
		.amdhsa_system_vgpr_workitem_id 0
		.amdhsa_next_free_vgpr 1
		.amdhsa_next_free_sgpr 0
		.amdhsa_accum_offset 4
		.amdhsa_reserve_vcc 0
		.amdhsa_reserve_flat_scratch 0
		.amdhsa_float_round_mode_32 0
		.amdhsa_float_round_mode_16_64 0
		.amdhsa_float_denorm_mode_32 3
		.amdhsa_float_denorm_mode_16_64 3
		.amdhsa_dx10_clamp 1
		.amdhsa_ieee_mode 1
		.amdhsa_fp16_overflow 0
		.amdhsa_tg_split 0
		.amdhsa_exception_fp_ieee_invalid_op 0
		.amdhsa_exception_fp_denorm_src 0
		.amdhsa_exception_fp_ieee_div_zero 0
		.amdhsa_exception_fp_ieee_overflow 0
		.amdhsa_exception_fp_ieee_underflow 0
		.amdhsa_exception_fp_ieee_inexact 0
		.amdhsa_exception_int_div_zero 0
	.end_amdhsa_kernel
	.section	.text._ZN7rocprim17ROCPRIM_400000_NS6detail17trampoline_kernelINS0_14default_configENS1_27scan_by_key_config_selectorIjjEEZZNS1_16scan_by_key_implILNS1_25lookback_scan_determinismE0ELb0ES3_N6thrust23THRUST_200600_302600_NS6detail15normal_iteratorINS9_10device_ptrIjEEEESE_SE_jNS9_4plusIvEENS9_8equal_toIvEEjEE10hipError_tPvRmT2_T3_T4_T5_mT6_T7_P12ihipStream_tbENKUlT_T0_E_clISt17integral_constantIbLb0EESZ_EEDaSU_SV_EUlSU_E_NS1_11comp_targetILNS1_3genE9ELNS1_11target_archE1100ELNS1_3gpuE3ELNS1_3repE0EEENS1_30default_config_static_selectorELNS0_4arch9wavefront6targetE1EEEvT1_,"axG",@progbits,_ZN7rocprim17ROCPRIM_400000_NS6detail17trampoline_kernelINS0_14default_configENS1_27scan_by_key_config_selectorIjjEEZZNS1_16scan_by_key_implILNS1_25lookback_scan_determinismE0ELb0ES3_N6thrust23THRUST_200600_302600_NS6detail15normal_iteratorINS9_10device_ptrIjEEEESE_SE_jNS9_4plusIvEENS9_8equal_toIvEEjEE10hipError_tPvRmT2_T3_T4_T5_mT6_T7_P12ihipStream_tbENKUlT_T0_E_clISt17integral_constantIbLb0EESZ_EEDaSU_SV_EUlSU_E_NS1_11comp_targetILNS1_3genE9ELNS1_11target_archE1100ELNS1_3gpuE3ELNS1_3repE0EEENS1_30default_config_static_selectorELNS0_4arch9wavefront6targetE1EEEvT1_,comdat
.Lfunc_end1833:
	.size	_ZN7rocprim17ROCPRIM_400000_NS6detail17trampoline_kernelINS0_14default_configENS1_27scan_by_key_config_selectorIjjEEZZNS1_16scan_by_key_implILNS1_25lookback_scan_determinismE0ELb0ES3_N6thrust23THRUST_200600_302600_NS6detail15normal_iteratorINS9_10device_ptrIjEEEESE_SE_jNS9_4plusIvEENS9_8equal_toIvEEjEE10hipError_tPvRmT2_T3_T4_T5_mT6_T7_P12ihipStream_tbENKUlT_T0_E_clISt17integral_constantIbLb0EESZ_EEDaSU_SV_EUlSU_E_NS1_11comp_targetILNS1_3genE9ELNS1_11target_archE1100ELNS1_3gpuE3ELNS1_3repE0EEENS1_30default_config_static_selectorELNS0_4arch9wavefront6targetE1EEEvT1_, .Lfunc_end1833-_ZN7rocprim17ROCPRIM_400000_NS6detail17trampoline_kernelINS0_14default_configENS1_27scan_by_key_config_selectorIjjEEZZNS1_16scan_by_key_implILNS1_25lookback_scan_determinismE0ELb0ES3_N6thrust23THRUST_200600_302600_NS6detail15normal_iteratorINS9_10device_ptrIjEEEESE_SE_jNS9_4plusIvEENS9_8equal_toIvEEjEE10hipError_tPvRmT2_T3_T4_T5_mT6_T7_P12ihipStream_tbENKUlT_T0_E_clISt17integral_constantIbLb0EESZ_EEDaSU_SV_EUlSU_E_NS1_11comp_targetILNS1_3genE9ELNS1_11target_archE1100ELNS1_3gpuE3ELNS1_3repE0EEENS1_30default_config_static_selectorELNS0_4arch9wavefront6targetE1EEEvT1_
                                        ; -- End function
	.section	.AMDGPU.csdata,"",@progbits
; Kernel info:
; codeLenInByte = 0
; NumSgprs: 4
; NumVgprs: 0
; NumAgprs: 0
; TotalNumVgprs: 0
; ScratchSize: 0
; MemoryBound: 0
; FloatMode: 240
; IeeeMode: 1
; LDSByteSize: 0 bytes/workgroup (compile time only)
; SGPRBlocks: 0
; VGPRBlocks: 0
; NumSGPRsForWavesPerEU: 4
; NumVGPRsForWavesPerEU: 1
; AccumOffset: 4
; Occupancy: 8
; WaveLimiterHint : 0
; COMPUTE_PGM_RSRC2:SCRATCH_EN: 0
; COMPUTE_PGM_RSRC2:USER_SGPR: 6
; COMPUTE_PGM_RSRC2:TRAP_HANDLER: 0
; COMPUTE_PGM_RSRC2:TGID_X_EN: 1
; COMPUTE_PGM_RSRC2:TGID_Y_EN: 0
; COMPUTE_PGM_RSRC2:TGID_Z_EN: 0
; COMPUTE_PGM_RSRC2:TIDIG_COMP_CNT: 0
; COMPUTE_PGM_RSRC3_GFX90A:ACCUM_OFFSET: 0
; COMPUTE_PGM_RSRC3_GFX90A:TG_SPLIT: 0
	.section	.text._ZN7rocprim17ROCPRIM_400000_NS6detail17trampoline_kernelINS0_14default_configENS1_27scan_by_key_config_selectorIjjEEZZNS1_16scan_by_key_implILNS1_25lookback_scan_determinismE0ELb0ES3_N6thrust23THRUST_200600_302600_NS6detail15normal_iteratorINS9_10device_ptrIjEEEESE_SE_jNS9_4plusIvEENS9_8equal_toIvEEjEE10hipError_tPvRmT2_T3_T4_T5_mT6_T7_P12ihipStream_tbENKUlT_T0_E_clISt17integral_constantIbLb0EESZ_EEDaSU_SV_EUlSU_E_NS1_11comp_targetILNS1_3genE8ELNS1_11target_archE1030ELNS1_3gpuE2ELNS1_3repE0EEENS1_30default_config_static_selectorELNS0_4arch9wavefront6targetE1EEEvT1_,"axG",@progbits,_ZN7rocprim17ROCPRIM_400000_NS6detail17trampoline_kernelINS0_14default_configENS1_27scan_by_key_config_selectorIjjEEZZNS1_16scan_by_key_implILNS1_25lookback_scan_determinismE0ELb0ES3_N6thrust23THRUST_200600_302600_NS6detail15normal_iteratorINS9_10device_ptrIjEEEESE_SE_jNS9_4plusIvEENS9_8equal_toIvEEjEE10hipError_tPvRmT2_T3_T4_T5_mT6_T7_P12ihipStream_tbENKUlT_T0_E_clISt17integral_constantIbLb0EESZ_EEDaSU_SV_EUlSU_E_NS1_11comp_targetILNS1_3genE8ELNS1_11target_archE1030ELNS1_3gpuE2ELNS1_3repE0EEENS1_30default_config_static_selectorELNS0_4arch9wavefront6targetE1EEEvT1_,comdat
	.protected	_ZN7rocprim17ROCPRIM_400000_NS6detail17trampoline_kernelINS0_14default_configENS1_27scan_by_key_config_selectorIjjEEZZNS1_16scan_by_key_implILNS1_25lookback_scan_determinismE0ELb0ES3_N6thrust23THRUST_200600_302600_NS6detail15normal_iteratorINS9_10device_ptrIjEEEESE_SE_jNS9_4plusIvEENS9_8equal_toIvEEjEE10hipError_tPvRmT2_T3_T4_T5_mT6_T7_P12ihipStream_tbENKUlT_T0_E_clISt17integral_constantIbLb0EESZ_EEDaSU_SV_EUlSU_E_NS1_11comp_targetILNS1_3genE8ELNS1_11target_archE1030ELNS1_3gpuE2ELNS1_3repE0EEENS1_30default_config_static_selectorELNS0_4arch9wavefront6targetE1EEEvT1_ ; -- Begin function _ZN7rocprim17ROCPRIM_400000_NS6detail17trampoline_kernelINS0_14default_configENS1_27scan_by_key_config_selectorIjjEEZZNS1_16scan_by_key_implILNS1_25lookback_scan_determinismE0ELb0ES3_N6thrust23THRUST_200600_302600_NS6detail15normal_iteratorINS9_10device_ptrIjEEEESE_SE_jNS9_4plusIvEENS9_8equal_toIvEEjEE10hipError_tPvRmT2_T3_T4_T5_mT6_T7_P12ihipStream_tbENKUlT_T0_E_clISt17integral_constantIbLb0EESZ_EEDaSU_SV_EUlSU_E_NS1_11comp_targetILNS1_3genE8ELNS1_11target_archE1030ELNS1_3gpuE2ELNS1_3repE0EEENS1_30default_config_static_selectorELNS0_4arch9wavefront6targetE1EEEvT1_
	.globl	_ZN7rocprim17ROCPRIM_400000_NS6detail17trampoline_kernelINS0_14default_configENS1_27scan_by_key_config_selectorIjjEEZZNS1_16scan_by_key_implILNS1_25lookback_scan_determinismE0ELb0ES3_N6thrust23THRUST_200600_302600_NS6detail15normal_iteratorINS9_10device_ptrIjEEEESE_SE_jNS9_4plusIvEENS9_8equal_toIvEEjEE10hipError_tPvRmT2_T3_T4_T5_mT6_T7_P12ihipStream_tbENKUlT_T0_E_clISt17integral_constantIbLb0EESZ_EEDaSU_SV_EUlSU_E_NS1_11comp_targetILNS1_3genE8ELNS1_11target_archE1030ELNS1_3gpuE2ELNS1_3repE0EEENS1_30default_config_static_selectorELNS0_4arch9wavefront6targetE1EEEvT1_
	.p2align	8
	.type	_ZN7rocprim17ROCPRIM_400000_NS6detail17trampoline_kernelINS0_14default_configENS1_27scan_by_key_config_selectorIjjEEZZNS1_16scan_by_key_implILNS1_25lookback_scan_determinismE0ELb0ES3_N6thrust23THRUST_200600_302600_NS6detail15normal_iteratorINS9_10device_ptrIjEEEESE_SE_jNS9_4plusIvEENS9_8equal_toIvEEjEE10hipError_tPvRmT2_T3_T4_T5_mT6_T7_P12ihipStream_tbENKUlT_T0_E_clISt17integral_constantIbLb0EESZ_EEDaSU_SV_EUlSU_E_NS1_11comp_targetILNS1_3genE8ELNS1_11target_archE1030ELNS1_3gpuE2ELNS1_3repE0EEENS1_30default_config_static_selectorELNS0_4arch9wavefront6targetE1EEEvT1_,@function
_ZN7rocprim17ROCPRIM_400000_NS6detail17trampoline_kernelINS0_14default_configENS1_27scan_by_key_config_selectorIjjEEZZNS1_16scan_by_key_implILNS1_25lookback_scan_determinismE0ELb0ES3_N6thrust23THRUST_200600_302600_NS6detail15normal_iteratorINS9_10device_ptrIjEEEESE_SE_jNS9_4plusIvEENS9_8equal_toIvEEjEE10hipError_tPvRmT2_T3_T4_T5_mT6_T7_P12ihipStream_tbENKUlT_T0_E_clISt17integral_constantIbLb0EESZ_EEDaSU_SV_EUlSU_E_NS1_11comp_targetILNS1_3genE8ELNS1_11target_archE1030ELNS1_3gpuE2ELNS1_3repE0EEENS1_30default_config_static_selectorELNS0_4arch9wavefront6targetE1EEEvT1_: ; @_ZN7rocprim17ROCPRIM_400000_NS6detail17trampoline_kernelINS0_14default_configENS1_27scan_by_key_config_selectorIjjEEZZNS1_16scan_by_key_implILNS1_25lookback_scan_determinismE0ELb0ES3_N6thrust23THRUST_200600_302600_NS6detail15normal_iteratorINS9_10device_ptrIjEEEESE_SE_jNS9_4plusIvEENS9_8equal_toIvEEjEE10hipError_tPvRmT2_T3_T4_T5_mT6_T7_P12ihipStream_tbENKUlT_T0_E_clISt17integral_constantIbLb0EESZ_EEDaSU_SV_EUlSU_E_NS1_11comp_targetILNS1_3genE8ELNS1_11target_archE1030ELNS1_3gpuE2ELNS1_3repE0EEENS1_30default_config_static_selectorELNS0_4arch9wavefront6targetE1EEEvT1_
; %bb.0:
	.section	.rodata,"a",@progbits
	.p2align	6, 0x0
	.amdhsa_kernel _ZN7rocprim17ROCPRIM_400000_NS6detail17trampoline_kernelINS0_14default_configENS1_27scan_by_key_config_selectorIjjEEZZNS1_16scan_by_key_implILNS1_25lookback_scan_determinismE0ELb0ES3_N6thrust23THRUST_200600_302600_NS6detail15normal_iteratorINS9_10device_ptrIjEEEESE_SE_jNS9_4plusIvEENS9_8equal_toIvEEjEE10hipError_tPvRmT2_T3_T4_T5_mT6_T7_P12ihipStream_tbENKUlT_T0_E_clISt17integral_constantIbLb0EESZ_EEDaSU_SV_EUlSU_E_NS1_11comp_targetILNS1_3genE8ELNS1_11target_archE1030ELNS1_3gpuE2ELNS1_3repE0EEENS1_30default_config_static_selectorELNS0_4arch9wavefront6targetE1EEEvT1_
		.amdhsa_group_segment_fixed_size 0
		.amdhsa_private_segment_fixed_size 0
		.amdhsa_kernarg_size 112
		.amdhsa_user_sgpr_count 6
		.amdhsa_user_sgpr_private_segment_buffer 1
		.amdhsa_user_sgpr_dispatch_ptr 0
		.amdhsa_user_sgpr_queue_ptr 0
		.amdhsa_user_sgpr_kernarg_segment_ptr 1
		.amdhsa_user_sgpr_dispatch_id 0
		.amdhsa_user_sgpr_flat_scratch_init 0
		.amdhsa_user_sgpr_kernarg_preload_length 0
		.amdhsa_user_sgpr_kernarg_preload_offset 0
		.amdhsa_user_sgpr_private_segment_size 0
		.amdhsa_uses_dynamic_stack 0
		.amdhsa_system_sgpr_private_segment_wavefront_offset 0
		.amdhsa_system_sgpr_workgroup_id_x 1
		.amdhsa_system_sgpr_workgroup_id_y 0
		.amdhsa_system_sgpr_workgroup_id_z 0
		.amdhsa_system_sgpr_workgroup_info 0
		.amdhsa_system_vgpr_workitem_id 0
		.amdhsa_next_free_vgpr 1
		.amdhsa_next_free_sgpr 0
		.amdhsa_accum_offset 4
		.amdhsa_reserve_vcc 0
		.amdhsa_reserve_flat_scratch 0
		.amdhsa_float_round_mode_32 0
		.amdhsa_float_round_mode_16_64 0
		.amdhsa_float_denorm_mode_32 3
		.amdhsa_float_denorm_mode_16_64 3
		.amdhsa_dx10_clamp 1
		.amdhsa_ieee_mode 1
		.amdhsa_fp16_overflow 0
		.amdhsa_tg_split 0
		.amdhsa_exception_fp_ieee_invalid_op 0
		.amdhsa_exception_fp_denorm_src 0
		.amdhsa_exception_fp_ieee_div_zero 0
		.amdhsa_exception_fp_ieee_overflow 0
		.amdhsa_exception_fp_ieee_underflow 0
		.amdhsa_exception_fp_ieee_inexact 0
		.amdhsa_exception_int_div_zero 0
	.end_amdhsa_kernel
	.section	.text._ZN7rocprim17ROCPRIM_400000_NS6detail17trampoline_kernelINS0_14default_configENS1_27scan_by_key_config_selectorIjjEEZZNS1_16scan_by_key_implILNS1_25lookback_scan_determinismE0ELb0ES3_N6thrust23THRUST_200600_302600_NS6detail15normal_iteratorINS9_10device_ptrIjEEEESE_SE_jNS9_4plusIvEENS9_8equal_toIvEEjEE10hipError_tPvRmT2_T3_T4_T5_mT6_T7_P12ihipStream_tbENKUlT_T0_E_clISt17integral_constantIbLb0EESZ_EEDaSU_SV_EUlSU_E_NS1_11comp_targetILNS1_3genE8ELNS1_11target_archE1030ELNS1_3gpuE2ELNS1_3repE0EEENS1_30default_config_static_selectorELNS0_4arch9wavefront6targetE1EEEvT1_,"axG",@progbits,_ZN7rocprim17ROCPRIM_400000_NS6detail17trampoline_kernelINS0_14default_configENS1_27scan_by_key_config_selectorIjjEEZZNS1_16scan_by_key_implILNS1_25lookback_scan_determinismE0ELb0ES3_N6thrust23THRUST_200600_302600_NS6detail15normal_iteratorINS9_10device_ptrIjEEEESE_SE_jNS9_4plusIvEENS9_8equal_toIvEEjEE10hipError_tPvRmT2_T3_T4_T5_mT6_T7_P12ihipStream_tbENKUlT_T0_E_clISt17integral_constantIbLb0EESZ_EEDaSU_SV_EUlSU_E_NS1_11comp_targetILNS1_3genE8ELNS1_11target_archE1030ELNS1_3gpuE2ELNS1_3repE0EEENS1_30default_config_static_selectorELNS0_4arch9wavefront6targetE1EEEvT1_,comdat
.Lfunc_end1834:
	.size	_ZN7rocprim17ROCPRIM_400000_NS6detail17trampoline_kernelINS0_14default_configENS1_27scan_by_key_config_selectorIjjEEZZNS1_16scan_by_key_implILNS1_25lookback_scan_determinismE0ELb0ES3_N6thrust23THRUST_200600_302600_NS6detail15normal_iteratorINS9_10device_ptrIjEEEESE_SE_jNS9_4plusIvEENS9_8equal_toIvEEjEE10hipError_tPvRmT2_T3_T4_T5_mT6_T7_P12ihipStream_tbENKUlT_T0_E_clISt17integral_constantIbLb0EESZ_EEDaSU_SV_EUlSU_E_NS1_11comp_targetILNS1_3genE8ELNS1_11target_archE1030ELNS1_3gpuE2ELNS1_3repE0EEENS1_30default_config_static_selectorELNS0_4arch9wavefront6targetE1EEEvT1_, .Lfunc_end1834-_ZN7rocprim17ROCPRIM_400000_NS6detail17trampoline_kernelINS0_14default_configENS1_27scan_by_key_config_selectorIjjEEZZNS1_16scan_by_key_implILNS1_25lookback_scan_determinismE0ELb0ES3_N6thrust23THRUST_200600_302600_NS6detail15normal_iteratorINS9_10device_ptrIjEEEESE_SE_jNS9_4plusIvEENS9_8equal_toIvEEjEE10hipError_tPvRmT2_T3_T4_T5_mT6_T7_P12ihipStream_tbENKUlT_T0_E_clISt17integral_constantIbLb0EESZ_EEDaSU_SV_EUlSU_E_NS1_11comp_targetILNS1_3genE8ELNS1_11target_archE1030ELNS1_3gpuE2ELNS1_3repE0EEENS1_30default_config_static_selectorELNS0_4arch9wavefront6targetE1EEEvT1_
                                        ; -- End function
	.section	.AMDGPU.csdata,"",@progbits
; Kernel info:
; codeLenInByte = 0
; NumSgprs: 4
; NumVgprs: 0
; NumAgprs: 0
; TotalNumVgprs: 0
; ScratchSize: 0
; MemoryBound: 0
; FloatMode: 240
; IeeeMode: 1
; LDSByteSize: 0 bytes/workgroup (compile time only)
; SGPRBlocks: 0
; VGPRBlocks: 0
; NumSGPRsForWavesPerEU: 4
; NumVGPRsForWavesPerEU: 1
; AccumOffset: 4
; Occupancy: 8
; WaveLimiterHint : 0
; COMPUTE_PGM_RSRC2:SCRATCH_EN: 0
; COMPUTE_PGM_RSRC2:USER_SGPR: 6
; COMPUTE_PGM_RSRC2:TRAP_HANDLER: 0
; COMPUTE_PGM_RSRC2:TGID_X_EN: 1
; COMPUTE_PGM_RSRC2:TGID_Y_EN: 0
; COMPUTE_PGM_RSRC2:TGID_Z_EN: 0
; COMPUTE_PGM_RSRC2:TIDIG_COMP_CNT: 0
; COMPUTE_PGM_RSRC3_GFX90A:ACCUM_OFFSET: 0
; COMPUTE_PGM_RSRC3_GFX90A:TG_SPLIT: 0
	.section	.text._ZN7rocprim17ROCPRIM_400000_NS6detail30init_device_scan_by_key_kernelINS1_19lookback_scan_stateINS0_5tupleIJjbEEELb1ELb1EEEN6thrust23THRUST_200600_302600_NS6detail15normal_iteratorINS8_10device_ptrIjEEEEjNS1_16block_id_wrapperIjLb1EEEEEvT_jjPNSG_10value_typeET0_PNSt15iterator_traitsISJ_E10value_typeEmT1_T2_,"axG",@progbits,_ZN7rocprim17ROCPRIM_400000_NS6detail30init_device_scan_by_key_kernelINS1_19lookback_scan_stateINS0_5tupleIJjbEEELb1ELb1EEEN6thrust23THRUST_200600_302600_NS6detail15normal_iteratorINS8_10device_ptrIjEEEEjNS1_16block_id_wrapperIjLb1EEEEEvT_jjPNSG_10value_typeET0_PNSt15iterator_traitsISJ_E10value_typeEmT1_T2_,comdat
	.protected	_ZN7rocprim17ROCPRIM_400000_NS6detail30init_device_scan_by_key_kernelINS1_19lookback_scan_stateINS0_5tupleIJjbEEELb1ELb1EEEN6thrust23THRUST_200600_302600_NS6detail15normal_iteratorINS8_10device_ptrIjEEEEjNS1_16block_id_wrapperIjLb1EEEEEvT_jjPNSG_10value_typeET0_PNSt15iterator_traitsISJ_E10value_typeEmT1_T2_ ; -- Begin function _ZN7rocprim17ROCPRIM_400000_NS6detail30init_device_scan_by_key_kernelINS1_19lookback_scan_stateINS0_5tupleIJjbEEELb1ELb1EEEN6thrust23THRUST_200600_302600_NS6detail15normal_iteratorINS8_10device_ptrIjEEEEjNS1_16block_id_wrapperIjLb1EEEEEvT_jjPNSG_10value_typeET0_PNSt15iterator_traitsISJ_E10value_typeEmT1_T2_
	.globl	_ZN7rocprim17ROCPRIM_400000_NS6detail30init_device_scan_by_key_kernelINS1_19lookback_scan_stateINS0_5tupleIJjbEEELb1ELb1EEEN6thrust23THRUST_200600_302600_NS6detail15normal_iteratorINS8_10device_ptrIjEEEEjNS1_16block_id_wrapperIjLb1EEEEEvT_jjPNSG_10value_typeET0_PNSt15iterator_traitsISJ_E10value_typeEmT1_T2_
	.p2align	8
	.type	_ZN7rocprim17ROCPRIM_400000_NS6detail30init_device_scan_by_key_kernelINS1_19lookback_scan_stateINS0_5tupleIJjbEEELb1ELb1EEEN6thrust23THRUST_200600_302600_NS6detail15normal_iteratorINS8_10device_ptrIjEEEEjNS1_16block_id_wrapperIjLb1EEEEEvT_jjPNSG_10value_typeET0_PNSt15iterator_traitsISJ_E10value_typeEmT1_T2_,@function
_ZN7rocprim17ROCPRIM_400000_NS6detail30init_device_scan_by_key_kernelINS1_19lookback_scan_stateINS0_5tupleIJjbEEELb1ELb1EEEN6thrust23THRUST_200600_302600_NS6detail15normal_iteratorINS8_10device_ptrIjEEEEjNS1_16block_id_wrapperIjLb1EEEEEvT_jjPNSG_10value_typeET0_PNSt15iterator_traitsISJ_E10value_typeEmT1_T2_: ; @_ZN7rocprim17ROCPRIM_400000_NS6detail30init_device_scan_by_key_kernelINS1_19lookback_scan_stateINS0_5tupleIJjbEEELb1ELb1EEEN6thrust23THRUST_200600_302600_NS6detail15normal_iteratorINS8_10device_ptrIjEEEEjNS1_16block_id_wrapperIjLb1EEEEEvT_jjPNSG_10value_typeET0_PNSt15iterator_traitsISJ_E10value_typeEmT1_T2_
; %bb.0:
	s_load_dword s0, s[4:5], 0x4c
	s_load_dwordx8 s[8:15], s[4:5], 0x0
	s_load_dword s18, s[4:5], 0x40
	s_waitcnt lgkmcnt(0)
	s_and_b32 s19, s0, 0xffff
	s_mul_i32 s6, s6, s19
	s_cmp_eq_u64 s[12:13], 0
	v_add_u32_e32 v4, s6, v0
	s_cbranch_scc1 .LBB1835_10
; %bb.1:
	s_cmp_lt_u32 s11, s10
	s_cselect_b32 s0, s11, 0
	s_mov_b32 s3, 0
	v_cmp_eq_u32_e32 vcc, s0, v4
	s_and_saveexec_b64 s[0:1], vcc
	s_cbranch_execz .LBB1835_9
; %bb.2:
	s_add_i32 s2, s11, 64
	s_lshl_b64 s[2:3], s[2:3], 4
	s_add_u32 s16, s8, s2
	s_addc_u32 s17, s9, s3
	v_pk_mov_b32 v[0:1], s[16:17], s[16:17] op_sel:[0,1]
	;;#ASMSTART
	global_load_dwordx4 v[0:3], v[0:1] off glc	
s_waitcnt vmcnt(0)
	;;#ASMEND
	v_mov_b32_e32 v7, 0
	v_and_b32_e32 v6, 0xff, v2
	s_mov_b64 s[6:7], 0
	v_cmp_eq_u64_e32 vcc, 0, v[6:7]
	s_and_saveexec_b64 s[2:3], vcc
	s_cbranch_execz .LBB1835_8
; %bb.3:
	s_mov_b32 s11, 1
	v_pk_mov_b32 v[8:9], s[16:17], s[16:17] op_sel:[0,1]
.LBB1835_4:                             ; =>This Loop Header: Depth=1
                                        ;     Child Loop BB1835_5 Depth 2
	s_max_u32 s16, s11, 1
.LBB1835_5:                             ;   Parent Loop BB1835_4 Depth=1
                                        ; =>  This Inner Loop Header: Depth=2
	s_add_i32 s16, s16, -1
	s_cmp_eq_u32 s16, 0
	s_sleep 1
	s_cbranch_scc0 .LBB1835_5
; %bb.6:                                ;   in Loop: Header=BB1835_4 Depth=1
	s_cmp_lt_u32 s11, 32
	s_cselect_b64 s[16:17], -1, 0
	s_cmp_lg_u64 s[16:17], 0
	;;#ASMSTART
	global_load_dwordx4 v[0:3], v[8:9] off glc	
s_waitcnt vmcnt(0)
	;;#ASMEND
	v_and_b32_e32 v6, 0xff, v2
	s_addc_u32 s11, s11, 0
	v_cmp_ne_u64_e32 vcc, 0, v[6:7]
	s_or_b64 s[6:7], vcc, s[6:7]
	s_andn2_b64 exec, exec, s[6:7]
	s_cbranch_execnz .LBB1835_4
; %bb.7:
	s_or_b64 exec, exec, s[6:7]
.LBB1835_8:
	s_or_b64 exec, exec, s[2:3]
	v_mov_b32_e32 v2, 0
	global_store_dword v2, v0, s[12:13]
	global_store_byte v2, v1, s[12:13] offset:4
.LBB1835_9:
	s_or_b64 exec, exec, s[0:1]
.LBB1835_10:
	v_cmp_eq_u32_e32 vcc, 0, v4
	s_and_saveexec_b64 s[0:1], vcc
	s_cbranch_execz .LBB1835_12
; %bb.11:
	s_load_dwordx2 s[2:3], s[4:5], 0x38
	v_mov_b32_e32 v0, 0
	s_waitcnt lgkmcnt(0)
	global_store_dword v0, v0, s[2:3]
.LBB1835_12:
	s_or_b64 exec, exec, s[0:1]
	v_cmp_gt_u32_e32 vcc, s10, v4
	s_and_saveexec_b64 s[0:1], vcc
	s_cbranch_execz .LBB1835_14
; %bb.13:
	v_add_u32_e32 v0, 64, v4
	v_mov_b32_e32 v1, 0
	v_lshlrev_b64 v[2:3], 4, v[0:1]
	v_mov_b32_e32 v0, s9
	v_add_co_u32_e32 v6, vcc, s8, v2
	v_addc_co_u32_e32 v7, vcc, v0, v3, vcc
	v_mov_b32_e32 v0, v1
	v_mov_b32_e32 v2, v1
	;; [unrolled: 1-line block ×3, first 2 shown]
	global_store_dwordx4 v[6:7], v[0:3], off
.LBB1835_14:
	s_or_b64 exec, exec, s[0:1]
	v_cmp_gt_u32_e32 vcc, 64, v4
	v_mov_b32_e32 v5, 0
	s_and_saveexec_b64 s[0:1], vcc
	s_cbranch_execz .LBB1835_16
; %bb.15:
	v_lshlrev_b64 v[0:1], 4, v[4:5]
	v_mov_b32_e32 v2, s9
	v_add_co_u32_e32 v6, vcc, s8, v0
	v_addc_co_u32_e32 v7, vcc, v2, v1, vcc
	v_mov_b32_e32 v2, 0xff
	v_mov_b32_e32 v0, v5
	;; [unrolled: 1-line block ×4, first 2 shown]
	global_store_dwordx4 v[6:7], v[0:3], off
.LBB1835_16:
	s_or_b64 exec, exec, s[0:1]
	s_load_dwordx2 s[0:1], s[4:5], 0x28
	s_waitcnt lgkmcnt(0)
	v_cmp_gt_u64_e32 vcc, s[0:1], v[4:5]
	s_and_saveexec_b64 s[2:3], vcc
	s_cbranch_execz .LBB1835_19
; %bb.17:
	s_load_dword s10, s[4:5], 0x30
	s_load_dwordx2 s[6:7], s[4:5], 0x20
	s_mov_b32 s5, 0
	s_mov_b32 s3, s5
	s_mul_i32 s2, s18, s19
	s_waitcnt lgkmcnt(0)
	s_add_i32 s4, s10, -1
	s_lshl_b64 s[4:5], s[4:5], 2
	v_mad_u64_u32 v[0:1], s[8:9], s10, v4, 0
	s_add_u32 s4, s14, s4
	v_lshlrev_b64 v[0:1], 2, v[0:1]
	s_addc_u32 s5, s15, s5
	v_mov_b32_e32 v2, s5
	v_add_co_u32_e32 v0, vcc, s4, v0
	v_addc_co_u32_e32 v1, vcc, v2, v1, vcc
	s_mul_hi_u32 s5, s10, s2
	s_mul_i32 s4, s10, s2
	v_lshlrev_b64 v[2:3], 2, v[4:5]
	s_lshl_b64 s[4:5], s[4:5], 2
	v_mov_b32_e32 v6, s7
	v_add_co_u32_e32 v2, vcc, s6, v2
	s_lshl_b64 s[6:7], s[2:3], 2
	v_addc_co_u32_e32 v3, vcc, v6, v3, vcc
	s_mov_b64 s[8:9], 0
	v_mov_b32_e32 v6, s3
	v_mov_b32_e32 v7, s5
	;; [unrolled: 1-line block ×3, first 2 shown]
.LBB1835_18:                            ; =>This Inner Loop Header: Depth=1
	global_load_dword v9, v[0:1], off
	v_add_co_u32_e32 v4, vcc, s2, v4
	v_addc_co_u32_e32 v5, vcc, v5, v6, vcc
	v_add_co_u32_e32 v0, vcc, s4, v0
	v_addc_co_u32_e32 v1, vcc, v1, v7, vcc
	v_cmp_le_u64_e32 vcc, s[0:1], v[4:5]
	s_or_b64 s[8:9], vcc, s[8:9]
	s_waitcnt vmcnt(0)
	global_store_dword v[2:3], v9, off
	v_add_co_u32_e32 v2, vcc, s6, v2
	v_addc_co_u32_e32 v3, vcc, v3, v8, vcc
	s_andn2_b64 exec, exec, s[8:9]
	s_cbranch_execnz .LBB1835_18
.LBB1835_19:
	s_endpgm
	.section	.rodata,"a",@progbits
	.p2align	6, 0x0
	.amdhsa_kernel _ZN7rocprim17ROCPRIM_400000_NS6detail30init_device_scan_by_key_kernelINS1_19lookback_scan_stateINS0_5tupleIJjbEEELb1ELb1EEEN6thrust23THRUST_200600_302600_NS6detail15normal_iteratorINS8_10device_ptrIjEEEEjNS1_16block_id_wrapperIjLb1EEEEEvT_jjPNSG_10value_typeET0_PNSt15iterator_traitsISJ_E10value_typeEmT1_T2_
		.amdhsa_group_segment_fixed_size 0
		.amdhsa_private_segment_fixed_size 0
		.amdhsa_kernarg_size 320
		.amdhsa_user_sgpr_count 6
		.amdhsa_user_sgpr_private_segment_buffer 1
		.amdhsa_user_sgpr_dispatch_ptr 0
		.amdhsa_user_sgpr_queue_ptr 0
		.amdhsa_user_sgpr_kernarg_segment_ptr 1
		.amdhsa_user_sgpr_dispatch_id 0
		.amdhsa_user_sgpr_flat_scratch_init 0
		.amdhsa_user_sgpr_kernarg_preload_length 0
		.amdhsa_user_sgpr_kernarg_preload_offset 0
		.amdhsa_user_sgpr_private_segment_size 0
		.amdhsa_uses_dynamic_stack 0
		.amdhsa_system_sgpr_private_segment_wavefront_offset 0
		.amdhsa_system_sgpr_workgroup_id_x 1
		.amdhsa_system_sgpr_workgroup_id_y 0
		.amdhsa_system_sgpr_workgroup_id_z 0
		.amdhsa_system_sgpr_workgroup_info 0
		.amdhsa_system_vgpr_workitem_id 0
		.amdhsa_next_free_vgpr 10
		.amdhsa_next_free_sgpr 20
		.amdhsa_accum_offset 12
		.amdhsa_reserve_vcc 1
		.amdhsa_reserve_flat_scratch 0
		.amdhsa_float_round_mode_32 0
		.amdhsa_float_round_mode_16_64 0
		.amdhsa_float_denorm_mode_32 3
		.amdhsa_float_denorm_mode_16_64 3
		.amdhsa_dx10_clamp 1
		.amdhsa_ieee_mode 1
		.amdhsa_fp16_overflow 0
		.amdhsa_tg_split 0
		.amdhsa_exception_fp_ieee_invalid_op 0
		.amdhsa_exception_fp_denorm_src 0
		.amdhsa_exception_fp_ieee_div_zero 0
		.amdhsa_exception_fp_ieee_overflow 0
		.amdhsa_exception_fp_ieee_underflow 0
		.amdhsa_exception_fp_ieee_inexact 0
		.amdhsa_exception_int_div_zero 0
	.end_amdhsa_kernel
	.section	.text._ZN7rocprim17ROCPRIM_400000_NS6detail30init_device_scan_by_key_kernelINS1_19lookback_scan_stateINS0_5tupleIJjbEEELb1ELb1EEEN6thrust23THRUST_200600_302600_NS6detail15normal_iteratorINS8_10device_ptrIjEEEEjNS1_16block_id_wrapperIjLb1EEEEEvT_jjPNSG_10value_typeET0_PNSt15iterator_traitsISJ_E10value_typeEmT1_T2_,"axG",@progbits,_ZN7rocprim17ROCPRIM_400000_NS6detail30init_device_scan_by_key_kernelINS1_19lookback_scan_stateINS0_5tupleIJjbEEELb1ELb1EEEN6thrust23THRUST_200600_302600_NS6detail15normal_iteratorINS8_10device_ptrIjEEEEjNS1_16block_id_wrapperIjLb1EEEEEvT_jjPNSG_10value_typeET0_PNSt15iterator_traitsISJ_E10value_typeEmT1_T2_,comdat
.Lfunc_end1835:
	.size	_ZN7rocprim17ROCPRIM_400000_NS6detail30init_device_scan_by_key_kernelINS1_19lookback_scan_stateINS0_5tupleIJjbEEELb1ELb1EEEN6thrust23THRUST_200600_302600_NS6detail15normal_iteratorINS8_10device_ptrIjEEEEjNS1_16block_id_wrapperIjLb1EEEEEvT_jjPNSG_10value_typeET0_PNSt15iterator_traitsISJ_E10value_typeEmT1_T2_, .Lfunc_end1835-_ZN7rocprim17ROCPRIM_400000_NS6detail30init_device_scan_by_key_kernelINS1_19lookback_scan_stateINS0_5tupleIJjbEEELb1ELb1EEEN6thrust23THRUST_200600_302600_NS6detail15normal_iteratorINS8_10device_ptrIjEEEEjNS1_16block_id_wrapperIjLb1EEEEEvT_jjPNSG_10value_typeET0_PNSt15iterator_traitsISJ_E10value_typeEmT1_T2_
                                        ; -- End function
	.section	.AMDGPU.csdata,"",@progbits
; Kernel info:
; codeLenInByte = 652
; NumSgprs: 24
; NumVgprs: 10
; NumAgprs: 0
; TotalNumVgprs: 10
; ScratchSize: 0
; MemoryBound: 0
; FloatMode: 240
; IeeeMode: 1
; LDSByteSize: 0 bytes/workgroup (compile time only)
; SGPRBlocks: 2
; VGPRBlocks: 1
; NumSGPRsForWavesPerEU: 24
; NumVGPRsForWavesPerEU: 10
; AccumOffset: 12
; Occupancy: 8
; WaveLimiterHint : 0
; COMPUTE_PGM_RSRC2:SCRATCH_EN: 0
; COMPUTE_PGM_RSRC2:USER_SGPR: 6
; COMPUTE_PGM_RSRC2:TRAP_HANDLER: 0
; COMPUTE_PGM_RSRC2:TGID_X_EN: 1
; COMPUTE_PGM_RSRC2:TGID_Y_EN: 0
; COMPUTE_PGM_RSRC2:TGID_Z_EN: 0
; COMPUTE_PGM_RSRC2:TIDIG_COMP_CNT: 0
; COMPUTE_PGM_RSRC3_GFX90A:ACCUM_OFFSET: 2
; COMPUTE_PGM_RSRC3_GFX90A:TG_SPLIT: 0
	.section	.text._ZN7rocprim17ROCPRIM_400000_NS6detail17trampoline_kernelINS0_14default_configENS1_27scan_by_key_config_selectorIjjEEZZNS1_16scan_by_key_implILNS1_25lookback_scan_determinismE0ELb0ES3_N6thrust23THRUST_200600_302600_NS6detail15normal_iteratorINS9_10device_ptrIjEEEESE_SE_jNS9_4plusIvEENS9_8equal_toIvEEjEE10hipError_tPvRmT2_T3_T4_T5_mT6_T7_P12ihipStream_tbENKUlT_T0_E_clISt17integral_constantIbLb1EESZ_EEDaSU_SV_EUlSU_E_NS1_11comp_targetILNS1_3genE0ELNS1_11target_archE4294967295ELNS1_3gpuE0ELNS1_3repE0EEENS1_30default_config_static_selectorELNS0_4arch9wavefront6targetE1EEEvT1_,"axG",@progbits,_ZN7rocprim17ROCPRIM_400000_NS6detail17trampoline_kernelINS0_14default_configENS1_27scan_by_key_config_selectorIjjEEZZNS1_16scan_by_key_implILNS1_25lookback_scan_determinismE0ELb0ES3_N6thrust23THRUST_200600_302600_NS6detail15normal_iteratorINS9_10device_ptrIjEEEESE_SE_jNS9_4plusIvEENS9_8equal_toIvEEjEE10hipError_tPvRmT2_T3_T4_T5_mT6_T7_P12ihipStream_tbENKUlT_T0_E_clISt17integral_constantIbLb1EESZ_EEDaSU_SV_EUlSU_E_NS1_11comp_targetILNS1_3genE0ELNS1_11target_archE4294967295ELNS1_3gpuE0ELNS1_3repE0EEENS1_30default_config_static_selectorELNS0_4arch9wavefront6targetE1EEEvT1_,comdat
	.protected	_ZN7rocprim17ROCPRIM_400000_NS6detail17trampoline_kernelINS0_14default_configENS1_27scan_by_key_config_selectorIjjEEZZNS1_16scan_by_key_implILNS1_25lookback_scan_determinismE0ELb0ES3_N6thrust23THRUST_200600_302600_NS6detail15normal_iteratorINS9_10device_ptrIjEEEESE_SE_jNS9_4plusIvEENS9_8equal_toIvEEjEE10hipError_tPvRmT2_T3_T4_T5_mT6_T7_P12ihipStream_tbENKUlT_T0_E_clISt17integral_constantIbLb1EESZ_EEDaSU_SV_EUlSU_E_NS1_11comp_targetILNS1_3genE0ELNS1_11target_archE4294967295ELNS1_3gpuE0ELNS1_3repE0EEENS1_30default_config_static_selectorELNS0_4arch9wavefront6targetE1EEEvT1_ ; -- Begin function _ZN7rocprim17ROCPRIM_400000_NS6detail17trampoline_kernelINS0_14default_configENS1_27scan_by_key_config_selectorIjjEEZZNS1_16scan_by_key_implILNS1_25lookback_scan_determinismE0ELb0ES3_N6thrust23THRUST_200600_302600_NS6detail15normal_iteratorINS9_10device_ptrIjEEEESE_SE_jNS9_4plusIvEENS9_8equal_toIvEEjEE10hipError_tPvRmT2_T3_T4_T5_mT6_T7_P12ihipStream_tbENKUlT_T0_E_clISt17integral_constantIbLb1EESZ_EEDaSU_SV_EUlSU_E_NS1_11comp_targetILNS1_3genE0ELNS1_11target_archE4294967295ELNS1_3gpuE0ELNS1_3repE0EEENS1_30default_config_static_selectorELNS0_4arch9wavefront6targetE1EEEvT1_
	.globl	_ZN7rocprim17ROCPRIM_400000_NS6detail17trampoline_kernelINS0_14default_configENS1_27scan_by_key_config_selectorIjjEEZZNS1_16scan_by_key_implILNS1_25lookback_scan_determinismE0ELb0ES3_N6thrust23THRUST_200600_302600_NS6detail15normal_iteratorINS9_10device_ptrIjEEEESE_SE_jNS9_4plusIvEENS9_8equal_toIvEEjEE10hipError_tPvRmT2_T3_T4_T5_mT6_T7_P12ihipStream_tbENKUlT_T0_E_clISt17integral_constantIbLb1EESZ_EEDaSU_SV_EUlSU_E_NS1_11comp_targetILNS1_3genE0ELNS1_11target_archE4294967295ELNS1_3gpuE0ELNS1_3repE0EEENS1_30default_config_static_selectorELNS0_4arch9wavefront6targetE1EEEvT1_
	.p2align	8
	.type	_ZN7rocprim17ROCPRIM_400000_NS6detail17trampoline_kernelINS0_14default_configENS1_27scan_by_key_config_selectorIjjEEZZNS1_16scan_by_key_implILNS1_25lookback_scan_determinismE0ELb0ES3_N6thrust23THRUST_200600_302600_NS6detail15normal_iteratorINS9_10device_ptrIjEEEESE_SE_jNS9_4plusIvEENS9_8equal_toIvEEjEE10hipError_tPvRmT2_T3_T4_T5_mT6_T7_P12ihipStream_tbENKUlT_T0_E_clISt17integral_constantIbLb1EESZ_EEDaSU_SV_EUlSU_E_NS1_11comp_targetILNS1_3genE0ELNS1_11target_archE4294967295ELNS1_3gpuE0ELNS1_3repE0EEENS1_30default_config_static_selectorELNS0_4arch9wavefront6targetE1EEEvT1_,@function
_ZN7rocprim17ROCPRIM_400000_NS6detail17trampoline_kernelINS0_14default_configENS1_27scan_by_key_config_selectorIjjEEZZNS1_16scan_by_key_implILNS1_25lookback_scan_determinismE0ELb0ES3_N6thrust23THRUST_200600_302600_NS6detail15normal_iteratorINS9_10device_ptrIjEEEESE_SE_jNS9_4plusIvEENS9_8equal_toIvEEjEE10hipError_tPvRmT2_T3_T4_T5_mT6_T7_P12ihipStream_tbENKUlT_T0_E_clISt17integral_constantIbLb1EESZ_EEDaSU_SV_EUlSU_E_NS1_11comp_targetILNS1_3genE0ELNS1_11target_archE4294967295ELNS1_3gpuE0ELNS1_3repE0EEENS1_30default_config_static_selectorELNS0_4arch9wavefront6targetE1EEEvT1_: ; @_ZN7rocprim17ROCPRIM_400000_NS6detail17trampoline_kernelINS0_14default_configENS1_27scan_by_key_config_selectorIjjEEZZNS1_16scan_by_key_implILNS1_25lookback_scan_determinismE0ELb0ES3_N6thrust23THRUST_200600_302600_NS6detail15normal_iteratorINS9_10device_ptrIjEEEESE_SE_jNS9_4plusIvEENS9_8equal_toIvEEjEE10hipError_tPvRmT2_T3_T4_T5_mT6_T7_P12ihipStream_tbENKUlT_T0_E_clISt17integral_constantIbLb1EESZ_EEDaSU_SV_EUlSU_E_NS1_11comp_targetILNS1_3genE0ELNS1_11target_archE4294967295ELNS1_3gpuE0ELNS1_3repE0EEENS1_30default_config_static_selectorELNS0_4arch9wavefront6targetE1EEEvT1_
; %bb.0:
	.section	.rodata,"a",@progbits
	.p2align	6, 0x0
	.amdhsa_kernel _ZN7rocprim17ROCPRIM_400000_NS6detail17trampoline_kernelINS0_14default_configENS1_27scan_by_key_config_selectorIjjEEZZNS1_16scan_by_key_implILNS1_25lookback_scan_determinismE0ELb0ES3_N6thrust23THRUST_200600_302600_NS6detail15normal_iteratorINS9_10device_ptrIjEEEESE_SE_jNS9_4plusIvEENS9_8equal_toIvEEjEE10hipError_tPvRmT2_T3_T4_T5_mT6_T7_P12ihipStream_tbENKUlT_T0_E_clISt17integral_constantIbLb1EESZ_EEDaSU_SV_EUlSU_E_NS1_11comp_targetILNS1_3genE0ELNS1_11target_archE4294967295ELNS1_3gpuE0ELNS1_3repE0EEENS1_30default_config_static_selectorELNS0_4arch9wavefront6targetE1EEEvT1_
		.amdhsa_group_segment_fixed_size 0
		.amdhsa_private_segment_fixed_size 0
		.amdhsa_kernarg_size 112
		.amdhsa_user_sgpr_count 6
		.amdhsa_user_sgpr_private_segment_buffer 1
		.amdhsa_user_sgpr_dispatch_ptr 0
		.amdhsa_user_sgpr_queue_ptr 0
		.amdhsa_user_sgpr_kernarg_segment_ptr 1
		.amdhsa_user_sgpr_dispatch_id 0
		.amdhsa_user_sgpr_flat_scratch_init 0
		.amdhsa_user_sgpr_kernarg_preload_length 0
		.amdhsa_user_sgpr_kernarg_preload_offset 0
		.amdhsa_user_sgpr_private_segment_size 0
		.amdhsa_uses_dynamic_stack 0
		.amdhsa_system_sgpr_private_segment_wavefront_offset 0
		.amdhsa_system_sgpr_workgroup_id_x 1
		.amdhsa_system_sgpr_workgroup_id_y 0
		.amdhsa_system_sgpr_workgroup_id_z 0
		.amdhsa_system_sgpr_workgroup_info 0
		.amdhsa_system_vgpr_workitem_id 0
		.amdhsa_next_free_vgpr 1
		.amdhsa_next_free_sgpr 0
		.amdhsa_accum_offset 4
		.amdhsa_reserve_vcc 0
		.amdhsa_reserve_flat_scratch 0
		.amdhsa_float_round_mode_32 0
		.amdhsa_float_round_mode_16_64 0
		.amdhsa_float_denorm_mode_32 3
		.amdhsa_float_denorm_mode_16_64 3
		.amdhsa_dx10_clamp 1
		.amdhsa_ieee_mode 1
		.amdhsa_fp16_overflow 0
		.amdhsa_tg_split 0
		.amdhsa_exception_fp_ieee_invalid_op 0
		.amdhsa_exception_fp_denorm_src 0
		.amdhsa_exception_fp_ieee_div_zero 0
		.amdhsa_exception_fp_ieee_overflow 0
		.amdhsa_exception_fp_ieee_underflow 0
		.amdhsa_exception_fp_ieee_inexact 0
		.amdhsa_exception_int_div_zero 0
	.end_amdhsa_kernel
	.section	.text._ZN7rocprim17ROCPRIM_400000_NS6detail17trampoline_kernelINS0_14default_configENS1_27scan_by_key_config_selectorIjjEEZZNS1_16scan_by_key_implILNS1_25lookback_scan_determinismE0ELb0ES3_N6thrust23THRUST_200600_302600_NS6detail15normal_iteratorINS9_10device_ptrIjEEEESE_SE_jNS9_4plusIvEENS9_8equal_toIvEEjEE10hipError_tPvRmT2_T3_T4_T5_mT6_T7_P12ihipStream_tbENKUlT_T0_E_clISt17integral_constantIbLb1EESZ_EEDaSU_SV_EUlSU_E_NS1_11comp_targetILNS1_3genE0ELNS1_11target_archE4294967295ELNS1_3gpuE0ELNS1_3repE0EEENS1_30default_config_static_selectorELNS0_4arch9wavefront6targetE1EEEvT1_,"axG",@progbits,_ZN7rocprim17ROCPRIM_400000_NS6detail17trampoline_kernelINS0_14default_configENS1_27scan_by_key_config_selectorIjjEEZZNS1_16scan_by_key_implILNS1_25lookback_scan_determinismE0ELb0ES3_N6thrust23THRUST_200600_302600_NS6detail15normal_iteratorINS9_10device_ptrIjEEEESE_SE_jNS9_4plusIvEENS9_8equal_toIvEEjEE10hipError_tPvRmT2_T3_T4_T5_mT6_T7_P12ihipStream_tbENKUlT_T0_E_clISt17integral_constantIbLb1EESZ_EEDaSU_SV_EUlSU_E_NS1_11comp_targetILNS1_3genE0ELNS1_11target_archE4294967295ELNS1_3gpuE0ELNS1_3repE0EEENS1_30default_config_static_selectorELNS0_4arch9wavefront6targetE1EEEvT1_,comdat
.Lfunc_end1836:
	.size	_ZN7rocprim17ROCPRIM_400000_NS6detail17trampoline_kernelINS0_14default_configENS1_27scan_by_key_config_selectorIjjEEZZNS1_16scan_by_key_implILNS1_25lookback_scan_determinismE0ELb0ES3_N6thrust23THRUST_200600_302600_NS6detail15normal_iteratorINS9_10device_ptrIjEEEESE_SE_jNS9_4plusIvEENS9_8equal_toIvEEjEE10hipError_tPvRmT2_T3_T4_T5_mT6_T7_P12ihipStream_tbENKUlT_T0_E_clISt17integral_constantIbLb1EESZ_EEDaSU_SV_EUlSU_E_NS1_11comp_targetILNS1_3genE0ELNS1_11target_archE4294967295ELNS1_3gpuE0ELNS1_3repE0EEENS1_30default_config_static_selectorELNS0_4arch9wavefront6targetE1EEEvT1_, .Lfunc_end1836-_ZN7rocprim17ROCPRIM_400000_NS6detail17trampoline_kernelINS0_14default_configENS1_27scan_by_key_config_selectorIjjEEZZNS1_16scan_by_key_implILNS1_25lookback_scan_determinismE0ELb0ES3_N6thrust23THRUST_200600_302600_NS6detail15normal_iteratorINS9_10device_ptrIjEEEESE_SE_jNS9_4plusIvEENS9_8equal_toIvEEjEE10hipError_tPvRmT2_T3_T4_T5_mT6_T7_P12ihipStream_tbENKUlT_T0_E_clISt17integral_constantIbLb1EESZ_EEDaSU_SV_EUlSU_E_NS1_11comp_targetILNS1_3genE0ELNS1_11target_archE4294967295ELNS1_3gpuE0ELNS1_3repE0EEENS1_30default_config_static_selectorELNS0_4arch9wavefront6targetE1EEEvT1_
                                        ; -- End function
	.section	.AMDGPU.csdata,"",@progbits
; Kernel info:
; codeLenInByte = 0
; NumSgprs: 4
; NumVgprs: 0
; NumAgprs: 0
; TotalNumVgprs: 0
; ScratchSize: 0
; MemoryBound: 0
; FloatMode: 240
; IeeeMode: 1
; LDSByteSize: 0 bytes/workgroup (compile time only)
; SGPRBlocks: 0
; VGPRBlocks: 0
; NumSGPRsForWavesPerEU: 4
; NumVGPRsForWavesPerEU: 1
; AccumOffset: 4
; Occupancy: 8
; WaveLimiterHint : 0
; COMPUTE_PGM_RSRC2:SCRATCH_EN: 0
; COMPUTE_PGM_RSRC2:USER_SGPR: 6
; COMPUTE_PGM_RSRC2:TRAP_HANDLER: 0
; COMPUTE_PGM_RSRC2:TGID_X_EN: 1
; COMPUTE_PGM_RSRC2:TGID_Y_EN: 0
; COMPUTE_PGM_RSRC2:TGID_Z_EN: 0
; COMPUTE_PGM_RSRC2:TIDIG_COMP_CNT: 0
; COMPUTE_PGM_RSRC3_GFX90A:ACCUM_OFFSET: 0
; COMPUTE_PGM_RSRC3_GFX90A:TG_SPLIT: 0
	.section	.text._ZN7rocprim17ROCPRIM_400000_NS6detail17trampoline_kernelINS0_14default_configENS1_27scan_by_key_config_selectorIjjEEZZNS1_16scan_by_key_implILNS1_25lookback_scan_determinismE0ELb0ES3_N6thrust23THRUST_200600_302600_NS6detail15normal_iteratorINS9_10device_ptrIjEEEESE_SE_jNS9_4plusIvEENS9_8equal_toIvEEjEE10hipError_tPvRmT2_T3_T4_T5_mT6_T7_P12ihipStream_tbENKUlT_T0_E_clISt17integral_constantIbLb1EESZ_EEDaSU_SV_EUlSU_E_NS1_11comp_targetILNS1_3genE10ELNS1_11target_archE1201ELNS1_3gpuE5ELNS1_3repE0EEENS1_30default_config_static_selectorELNS0_4arch9wavefront6targetE1EEEvT1_,"axG",@progbits,_ZN7rocprim17ROCPRIM_400000_NS6detail17trampoline_kernelINS0_14default_configENS1_27scan_by_key_config_selectorIjjEEZZNS1_16scan_by_key_implILNS1_25lookback_scan_determinismE0ELb0ES3_N6thrust23THRUST_200600_302600_NS6detail15normal_iteratorINS9_10device_ptrIjEEEESE_SE_jNS9_4plusIvEENS9_8equal_toIvEEjEE10hipError_tPvRmT2_T3_T4_T5_mT6_T7_P12ihipStream_tbENKUlT_T0_E_clISt17integral_constantIbLb1EESZ_EEDaSU_SV_EUlSU_E_NS1_11comp_targetILNS1_3genE10ELNS1_11target_archE1201ELNS1_3gpuE5ELNS1_3repE0EEENS1_30default_config_static_selectorELNS0_4arch9wavefront6targetE1EEEvT1_,comdat
	.protected	_ZN7rocprim17ROCPRIM_400000_NS6detail17trampoline_kernelINS0_14default_configENS1_27scan_by_key_config_selectorIjjEEZZNS1_16scan_by_key_implILNS1_25lookback_scan_determinismE0ELb0ES3_N6thrust23THRUST_200600_302600_NS6detail15normal_iteratorINS9_10device_ptrIjEEEESE_SE_jNS9_4plusIvEENS9_8equal_toIvEEjEE10hipError_tPvRmT2_T3_T4_T5_mT6_T7_P12ihipStream_tbENKUlT_T0_E_clISt17integral_constantIbLb1EESZ_EEDaSU_SV_EUlSU_E_NS1_11comp_targetILNS1_3genE10ELNS1_11target_archE1201ELNS1_3gpuE5ELNS1_3repE0EEENS1_30default_config_static_selectorELNS0_4arch9wavefront6targetE1EEEvT1_ ; -- Begin function _ZN7rocprim17ROCPRIM_400000_NS6detail17trampoline_kernelINS0_14default_configENS1_27scan_by_key_config_selectorIjjEEZZNS1_16scan_by_key_implILNS1_25lookback_scan_determinismE0ELb0ES3_N6thrust23THRUST_200600_302600_NS6detail15normal_iteratorINS9_10device_ptrIjEEEESE_SE_jNS9_4plusIvEENS9_8equal_toIvEEjEE10hipError_tPvRmT2_T3_T4_T5_mT6_T7_P12ihipStream_tbENKUlT_T0_E_clISt17integral_constantIbLb1EESZ_EEDaSU_SV_EUlSU_E_NS1_11comp_targetILNS1_3genE10ELNS1_11target_archE1201ELNS1_3gpuE5ELNS1_3repE0EEENS1_30default_config_static_selectorELNS0_4arch9wavefront6targetE1EEEvT1_
	.globl	_ZN7rocprim17ROCPRIM_400000_NS6detail17trampoline_kernelINS0_14default_configENS1_27scan_by_key_config_selectorIjjEEZZNS1_16scan_by_key_implILNS1_25lookback_scan_determinismE0ELb0ES3_N6thrust23THRUST_200600_302600_NS6detail15normal_iteratorINS9_10device_ptrIjEEEESE_SE_jNS9_4plusIvEENS9_8equal_toIvEEjEE10hipError_tPvRmT2_T3_T4_T5_mT6_T7_P12ihipStream_tbENKUlT_T0_E_clISt17integral_constantIbLb1EESZ_EEDaSU_SV_EUlSU_E_NS1_11comp_targetILNS1_3genE10ELNS1_11target_archE1201ELNS1_3gpuE5ELNS1_3repE0EEENS1_30default_config_static_selectorELNS0_4arch9wavefront6targetE1EEEvT1_
	.p2align	8
	.type	_ZN7rocprim17ROCPRIM_400000_NS6detail17trampoline_kernelINS0_14default_configENS1_27scan_by_key_config_selectorIjjEEZZNS1_16scan_by_key_implILNS1_25lookback_scan_determinismE0ELb0ES3_N6thrust23THRUST_200600_302600_NS6detail15normal_iteratorINS9_10device_ptrIjEEEESE_SE_jNS9_4plusIvEENS9_8equal_toIvEEjEE10hipError_tPvRmT2_T3_T4_T5_mT6_T7_P12ihipStream_tbENKUlT_T0_E_clISt17integral_constantIbLb1EESZ_EEDaSU_SV_EUlSU_E_NS1_11comp_targetILNS1_3genE10ELNS1_11target_archE1201ELNS1_3gpuE5ELNS1_3repE0EEENS1_30default_config_static_selectorELNS0_4arch9wavefront6targetE1EEEvT1_,@function
_ZN7rocprim17ROCPRIM_400000_NS6detail17trampoline_kernelINS0_14default_configENS1_27scan_by_key_config_selectorIjjEEZZNS1_16scan_by_key_implILNS1_25lookback_scan_determinismE0ELb0ES3_N6thrust23THRUST_200600_302600_NS6detail15normal_iteratorINS9_10device_ptrIjEEEESE_SE_jNS9_4plusIvEENS9_8equal_toIvEEjEE10hipError_tPvRmT2_T3_T4_T5_mT6_T7_P12ihipStream_tbENKUlT_T0_E_clISt17integral_constantIbLb1EESZ_EEDaSU_SV_EUlSU_E_NS1_11comp_targetILNS1_3genE10ELNS1_11target_archE1201ELNS1_3gpuE5ELNS1_3repE0EEENS1_30default_config_static_selectorELNS0_4arch9wavefront6targetE1EEEvT1_: ; @_ZN7rocprim17ROCPRIM_400000_NS6detail17trampoline_kernelINS0_14default_configENS1_27scan_by_key_config_selectorIjjEEZZNS1_16scan_by_key_implILNS1_25lookback_scan_determinismE0ELb0ES3_N6thrust23THRUST_200600_302600_NS6detail15normal_iteratorINS9_10device_ptrIjEEEESE_SE_jNS9_4plusIvEENS9_8equal_toIvEEjEE10hipError_tPvRmT2_T3_T4_T5_mT6_T7_P12ihipStream_tbENKUlT_T0_E_clISt17integral_constantIbLb1EESZ_EEDaSU_SV_EUlSU_E_NS1_11comp_targetILNS1_3genE10ELNS1_11target_archE1201ELNS1_3gpuE5ELNS1_3repE0EEENS1_30default_config_static_selectorELNS0_4arch9wavefront6targetE1EEEvT1_
; %bb.0:
	.section	.rodata,"a",@progbits
	.p2align	6, 0x0
	.amdhsa_kernel _ZN7rocprim17ROCPRIM_400000_NS6detail17trampoline_kernelINS0_14default_configENS1_27scan_by_key_config_selectorIjjEEZZNS1_16scan_by_key_implILNS1_25lookback_scan_determinismE0ELb0ES3_N6thrust23THRUST_200600_302600_NS6detail15normal_iteratorINS9_10device_ptrIjEEEESE_SE_jNS9_4plusIvEENS9_8equal_toIvEEjEE10hipError_tPvRmT2_T3_T4_T5_mT6_T7_P12ihipStream_tbENKUlT_T0_E_clISt17integral_constantIbLb1EESZ_EEDaSU_SV_EUlSU_E_NS1_11comp_targetILNS1_3genE10ELNS1_11target_archE1201ELNS1_3gpuE5ELNS1_3repE0EEENS1_30default_config_static_selectorELNS0_4arch9wavefront6targetE1EEEvT1_
		.amdhsa_group_segment_fixed_size 0
		.amdhsa_private_segment_fixed_size 0
		.amdhsa_kernarg_size 112
		.amdhsa_user_sgpr_count 6
		.amdhsa_user_sgpr_private_segment_buffer 1
		.amdhsa_user_sgpr_dispatch_ptr 0
		.amdhsa_user_sgpr_queue_ptr 0
		.amdhsa_user_sgpr_kernarg_segment_ptr 1
		.amdhsa_user_sgpr_dispatch_id 0
		.amdhsa_user_sgpr_flat_scratch_init 0
		.amdhsa_user_sgpr_kernarg_preload_length 0
		.amdhsa_user_sgpr_kernarg_preload_offset 0
		.amdhsa_user_sgpr_private_segment_size 0
		.amdhsa_uses_dynamic_stack 0
		.amdhsa_system_sgpr_private_segment_wavefront_offset 0
		.amdhsa_system_sgpr_workgroup_id_x 1
		.amdhsa_system_sgpr_workgroup_id_y 0
		.amdhsa_system_sgpr_workgroup_id_z 0
		.amdhsa_system_sgpr_workgroup_info 0
		.amdhsa_system_vgpr_workitem_id 0
		.amdhsa_next_free_vgpr 1
		.amdhsa_next_free_sgpr 0
		.amdhsa_accum_offset 4
		.amdhsa_reserve_vcc 0
		.amdhsa_reserve_flat_scratch 0
		.amdhsa_float_round_mode_32 0
		.amdhsa_float_round_mode_16_64 0
		.amdhsa_float_denorm_mode_32 3
		.amdhsa_float_denorm_mode_16_64 3
		.amdhsa_dx10_clamp 1
		.amdhsa_ieee_mode 1
		.amdhsa_fp16_overflow 0
		.amdhsa_tg_split 0
		.amdhsa_exception_fp_ieee_invalid_op 0
		.amdhsa_exception_fp_denorm_src 0
		.amdhsa_exception_fp_ieee_div_zero 0
		.amdhsa_exception_fp_ieee_overflow 0
		.amdhsa_exception_fp_ieee_underflow 0
		.amdhsa_exception_fp_ieee_inexact 0
		.amdhsa_exception_int_div_zero 0
	.end_amdhsa_kernel
	.section	.text._ZN7rocprim17ROCPRIM_400000_NS6detail17trampoline_kernelINS0_14default_configENS1_27scan_by_key_config_selectorIjjEEZZNS1_16scan_by_key_implILNS1_25lookback_scan_determinismE0ELb0ES3_N6thrust23THRUST_200600_302600_NS6detail15normal_iteratorINS9_10device_ptrIjEEEESE_SE_jNS9_4plusIvEENS9_8equal_toIvEEjEE10hipError_tPvRmT2_T3_T4_T5_mT6_T7_P12ihipStream_tbENKUlT_T0_E_clISt17integral_constantIbLb1EESZ_EEDaSU_SV_EUlSU_E_NS1_11comp_targetILNS1_3genE10ELNS1_11target_archE1201ELNS1_3gpuE5ELNS1_3repE0EEENS1_30default_config_static_selectorELNS0_4arch9wavefront6targetE1EEEvT1_,"axG",@progbits,_ZN7rocprim17ROCPRIM_400000_NS6detail17trampoline_kernelINS0_14default_configENS1_27scan_by_key_config_selectorIjjEEZZNS1_16scan_by_key_implILNS1_25lookback_scan_determinismE0ELb0ES3_N6thrust23THRUST_200600_302600_NS6detail15normal_iteratorINS9_10device_ptrIjEEEESE_SE_jNS9_4plusIvEENS9_8equal_toIvEEjEE10hipError_tPvRmT2_T3_T4_T5_mT6_T7_P12ihipStream_tbENKUlT_T0_E_clISt17integral_constantIbLb1EESZ_EEDaSU_SV_EUlSU_E_NS1_11comp_targetILNS1_3genE10ELNS1_11target_archE1201ELNS1_3gpuE5ELNS1_3repE0EEENS1_30default_config_static_selectorELNS0_4arch9wavefront6targetE1EEEvT1_,comdat
.Lfunc_end1837:
	.size	_ZN7rocprim17ROCPRIM_400000_NS6detail17trampoline_kernelINS0_14default_configENS1_27scan_by_key_config_selectorIjjEEZZNS1_16scan_by_key_implILNS1_25lookback_scan_determinismE0ELb0ES3_N6thrust23THRUST_200600_302600_NS6detail15normal_iteratorINS9_10device_ptrIjEEEESE_SE_jNS9_4plusIvEENS9_8equal_toIvEEjEE10hipError_tPvRmT2_T3_T4_T5_mT6_T7_P12ihipStream_tbENKUlT_T0_E_clISt17integral_constantIbLb1EESZ_EEDaSU_SV_EUlSU_E_NS1_11comp_targetILNS1_3genE10ELNS1_11target_archE1201ELNS1_3gpuE5ELNS1_3repE0EEENS1_30default_config_static_selectorELNS0_4arch9wavefront6targetE1EEEvT1_, .Lfunc_end1837-_ZN7rocprim17ROCPRIM_400000_NS6detail17trampoline_kernelINS0_14default_configENS1_27scan_by_key_config_selectorIjjEEZZNS1_16scan_by_key_implILNS1_25lookback_scan_determinismE0ELb0ES3_N6thrust23THRUST_200600_302600_NS6detail15normal_iteratorINS9_10device_ptrIjEEEESE_SE_jNS9_4plusIvEENS9_8equal_toIvEEjEE10hipError_tPvRmT2_T3_T4_T5_mT6_T7_P12ihipStream_tbENKUlT_T0_E_clISt17integral_constantIbLb1EESZ_EEDaSU_SV_EUlSU_E_NS1_11comp_targetILNS1_3genE10ELNS1_11target_archE1201ELNS1_3gpuE5ELNS1_3repE0EEENS1_30default_config_static_selectorELNS0_4arch9wavefront6targetE1EEEvT1_
                                        ; -- End function
	.section	.AMDGPU.csdata,"",@progbits
; Kernel info:
; codeLenInByte = 0
; NumSgprs: 4
; NumVgprs: 0
; NumAgprs: 0
; TotalNumVgprs: 0
; ScratchSize: 0
; MemoryBound: 0
; FloatMode: 240
; IeeeMode: 1
; LDSByteSize: 0 bytes/workgroup (compile time only)
; SGPRBlocks: 0
; VGPRBlocks: 0
; NumSGPRsForWavesPerEU: 4
; NumVGPRsForWavesPerEU: 1
; AccumOffset: 4
; Occupancy: 8
; WaveLimiterHint : 0
; COMPUTE_PGM_RSRC2:SCRATCH_EN: 0
; COMPUTE_PGM_RSRC2:USER_SGPR: 6
; COMPUTE_PGM_RSRC2:TRAP_HANDLER: 0
; COMPUTE_PGM_RSRC2:TGID_X_EN: 1
; COMPUTE_PGM_RSRC2:TGID_Y_EN: 0
; COMPUTE_PGM_RSRC2:TGID_Z_EN: 0
; COMPUTE_PGM_RSRC2:TIDIG_COMP_CNT: 0
; COMPUTE_PGM_RSRC3_GFX90A:ACCUM_OFFSET: 0
; COMPUTE_PGM_RSRC3_GFX90A:TG_SPLIT: 0
	.section	.text._ZN7rocprim17ROCPRIM_400000_NS6detail17trampoline_kernelINS0_14default_configENS1_27scan_by_key_config_selectorIjjEEZZNS1_16scan_by_key_implILNS1_25lookback_scan_determinismE0ELb0ES3_N6thrust23THRUST_200600_302600_NS6detail15normal_iteratorINS9_10device_ptrIjEEEESE_SE_jNS9_4plusIvEENS9_8equal_toIvEEjEE10hipError_tPvRmT2_T3_T4_T5_mT6_T7_P12ihipStream_tbENKUlT_T0_E_clISt17integral_constantIbLb1EESZ_EEDaSU_SV_EUlSU_E_NS1_11comp_targetILNS1_3genE5ELNS1_11target_archE942ELNS1_3gpuE9ELNS1_3repE0EEENS1_30default_config_static_selectorELNS0_4arch9wavefront6targetE1EEEvT1_,"axG",@progbits,_ZN7rocprim17ROCPRIM_400000_NS6detail17trampoline_kernelINS0_14default_configENS1_27scan_by_key_config_selectorIjjEEZZNS1_16scan_by_key_implILNS1_25lookback_scan_determinismE0ELb0ES3_N6thrust23THRUST_200600_302600_NS6detail15normal_iteratorINS9_10device_ptrIjEEEESE_SE_jNS9_4plusIvEENS9_8equal_toIvEEjEE10hipError_tPvRmT2_T3_T4_T5_mT6_T7_P12ihipStream_tbENKUlT_T0_E_clISt17integral_constantIbLb1EESZ_EEDaSU_SV_EUlSU_E_NS1_11comp_targetILNS1_3genE5ELNS1_11target_archE942ELNS1_3gpuE9ELNS1_3repE0EEENS1_30default_config_static_selectorELNS0_4arch9wavefront6targetE1EEEvT1_,comdat
	.protected	_ZN7rocprim17ROCPRIM_400000_NS6detail17trampoline_kernelINS0_14default_configENS1_27scan_by_key_config_selectorIjjEEZZNS1_16scan_by_key_implILNS1_25lookback_scan_determinismE0ELb0ES3_N6thrust23THRUST_200600_302600_NS6detail15normal_iteratorINS9_10device_ptrIjEEEESE_SE_jNS9_4plusIvEENS9_8equal_toIvEEjEE10hipError_tPvRmT2_T3_T4_T5_mT6_T7_P12ihipStream_tbENKUlT_T0_E_clISt17integral_constantIbLb1EESZ_EEDaSU_SV_EUlSU_E_NS1_11comp_targetILNS1_3genE5ELNS1_11target_archE942ELNS1_3gpuE9ELNS1_3repE0EEENS1_30default_config_static_selectorELNS0_4arch9wavefront6targetE1EEEvT1_ ; -- Begin function _ZN7rocprim17ROCPRIM_400000_NS6detail17trampoline_kernelINS0_14default_configENS1_27scan_by_key_config_selectorIjjEEZZNS1_16scan_by_key_implILNS1_25lookback_scan_determinismE0ELb0ES3_N6thrust23THRUST_200600_302600_NS6detail15normal_iteratorINS9_10device_ptrIjEEEESE_SE_jNS9_4plusIvEENS9_8equal_toIvEEjEE10hipError_tPvRmT2_T3_T4_T5_mT6_T7_P12ihipStream_tbENKUlT_T0_E_clISt17integral_constantIbLb1EESZ_EEDaSU_SV_EUlSU_E_NS1_11comp_targetILNS1_3genE5ELNS1_11target_archE942ELNS1_3gpuE9ELNS1_3repE0EEENS1_30default_config_static_selectorELNS0_4arch9wavefront6targetE1EEEvT1_
	.globl	_ZN7rocprim17ROCPRIM_400000_NS6detail17trampoline_kernelINS0_14default_configENS1_27scan_by_key_config_selectorIjjEEZZNS1_16scan_by_key_implILNS1_25lookback_scan_determinismE0ELb0ES3_N6thrust23THRUST_200600_302600_NS6detail15normal_iteratorINS9_10device_ptrIjEEEESE_SE_jNS9_4plusIvEENS9_8equal_toIvEEjEE10hipError_tPvRmT2_T3_T4_T5_mT6_T7_P12ihipStream_tbENKUlT_T0_E_clISt17integral_constantIbLb1EESZ_EEDaSU_SV_EUlSU_E_NS1_11comp_targetILNS1_3genE5ELNS1_11target_archE942ELNS1_3gpuE9ELNS1_3repE0EEENS1_30default_config_static_selectorELNS0_4arch9wavefront6targetE1EEEvT1_
	.p2align	8
	.type	_ZN7rocprim17ROCPRIM_400000_NS6detail17trampoline_kernelINS0_14default_configENS1_27scan_by_key_config_selectorIjjEEZZNS1_16scan_by_key_implILNS1_25lookback_scan_determinismE0ELb0ES3_N6thrust23THRUST_200600_302600_NS6detail15normal_iteratorINS9_10device_ptrIjEEEESE_SE_jNS9_4plusIvEENS9_8equal_toIvEEjEE10hipError_tPvRmT2_T3_T4_T5_mT6_T7_P12ihipStream_tbENKUlT_T0_E_clISt17integral_constantIbLb1EESZ_EEDaSU_SV_EUlSU_E_NS1_11comp_targetILNS1_3genE5ELNS1_11target_archE942ELNS1_3gpuE9ELNS1_3repE0EEENS1_30default_config_static_selectorELNS0_4arch9wavefront6targetE1EEEvT1_,@function
_ZN7rocprim17ROCPRIM_400000_NS6detail17trampoline_kernelINS0_14default_configENS1_27scan_by_key_config_selectorIjjEEZZNS1_16scan_by_key_implILNS1_25lookback_scan_determinismE0ELb0ES3_N6thrust23THRUST_200600_302600_NS6detail15normal_iteratorINS9_10device_ptrIjEEEESE_SE_jNS9_4plusIvEENS9_8equal_toIvEEjEE10hipError_tPvRmT2_T3_T4_T5_mT6_T7_P12ihipStream_tbENKUlT_T0_E_clISt17integral_constantIbLb1EESZ_EEDaSU_SV_EUlSU_E_NS1_11comp_targetILNS1_3genE5ELNS1_11target_archE942ELNS1_3gpuE9ELNS1_3repE0EEENS1_30default_config_static_selectorELNS0_4arch9wavefront6targetE1EEEvT1_: ; @_ZN7rocprim17ROCPRIM_400000_NS6detail17trampoline_kernelINS0_14default_configENS1_27scan_by_key_config_selectorIjjEEZZNS1_16scan_by_key_implILNS1_25lookback_scan_determinismE0ELb0ES3_N6thrust23THRUST_200600_302600_NS6detail15normal_iteratorINS9_10device_ptrIjEEEESE_SE_jNS9_4plusIvEENS9_8equal_toIvEEjEE10hipError_tPvRmT2_T3_T4_T5_mT6_T7_P12ihipStream_tbENKUlT_T0_E_clISt17integral_constantIbLb1EESZ_EEDaSU_SV_EUlSU_E_NS1_11comp_targetILNS1_3genE5ELNS1_11target_archE942ELNS1_3gpuE9ELNS1_3repE0EEENS1_30default_config_static_selectorELNS0_4arch9wavefront6targetE1EEEvT1_
; %bb.0:
	.section	.rodata,"a",@progbits
	.p2align	6, 0x0
	.amdhsa_kernel _ZN7rocprim17ROCPRIM_400000_NS6detail17trampoline_kernelINS0_14default_configENS1_27scan_by_key_config_selectorIjjEEZZNS1_16scan_by_key_implILNS1_25lookback_scan_determinismE0ELb0ES3_N6thrust23THRUST_200600_302600_NS6detail15normal_iteratorINS9_10device_ptrIjEEEESE_SE_jNS9_4plusIvEENS9_8equal_toIvEEjEE10hipError_tPvRmT2_T3_T4_T5_mT6_T7_P12ihipStream_tbENKUlT_T0_E_clISt17integral_constantIbLb1EESZ_EEDaSU_SV_EUlSU_E_NS1_11comp_targetILNS1_3genE5ELNS1_11target_archE942ELNS1_3gpuE9ELNS1_3repE0EEENS1_30default_config_static_selectorELNS0_4arch9wavefront6targetE1EEEvT1_
		.amdhsa_group_segment_fixed_size 0
		.amdhsa_private_segment_fixed_size 0
		.amdhsa_kernarg_size 112
		.amdhsa_user_sgpr_count 6
		.amdhsa_user_sgpr_private_segment_buffer 1
		.amdhsa_user_sgpr_dispatch_ptr 0
		.amdhsa_user_sgpr_queue_ptr 0
		.amdhsa_user_sgpr_kernarg_segment_ptr 1
		.amdhsa_user_sgpr_dispatch_id 0
		.amdhsa_user_sgpr_flat_scratch_init 0
		.amdhsa_user_sgpr_kernarg_preload_length 0
		.amdhsa_user_sgpr_kernarg_preload_offset 0
		.amdhsa_user_sgpr_private_segment_size 0
		.amdhsa_uses_dynamic_stack 0
		.amdhsa_system_sgpr_private_segment_wavefront_offset 0
		.amdhsa_system_sgpr_workgroup_id_x 1
		.amdhsa_system_sgpr_workgroup_id_y 0
		.amdhsa_system_sgpr_workgroup_id_z 0
		.amdhsa_system_sgpr_workgroup_info 0
		.amdhsa_system_vgpr_workitem_id 0
		.amdhsa_next_free_vgpr 1
		.amdhsa_next_free_sgpr 0
		.amdhsa_accum_offset 4
		.amdhsa_reserve_vcc 0
		.amdhsa_reserve_flat_scratch 0
		.amdhsa_float_round_mode_32 0
		.amdhsa_float_round_mode_16_64 0
		.amdhsa_float_denorm_mode_32 3
		.amdhsa_float_denorm_mode_16_64 3
		.amdhsa_dx10_clamp 1
		.amdhsa_ieee_mode 1
		.amdhsa_fp16_overflow 0
		.amdhsa_tg_split 0
		.amdhsa_exception_fp_ieee_invalid_op 0
		.amdhsa_exception_fp_denorm_src 0
		.amdhsa_exception_fp_ieee_div_zero 0
		.amdhsa_exception_fp_ieee_overflow 0
		.amdhsa_exception_fp_ieee_underflow 0
		.amdhsa_exception_fp_ieee_inexact 0
		.amdhsa_exception_int_div_zero 0
	.end_amdhsa_kernel
	.section	.text._ZN7rocprim17ROCPRIM_400000_NS6detail17trampoline_kernelINS0_14default_configENS1_27scan_by_key_config_selectorIjjEEZZNS1_16scan_by_key_implILNS1_25lookback_scan_determinismE0ELb0ES3_N6thrust23THRUST_200600_302600_NS6detail15normal_iteratorINS9_10device_ptrIjEEEESE_SE_jNS9_4plusIvEENS9_8equal_toIvEEjEE10hipError_tPvRmT2_T3_T4_T5_mT6_T7_P12ihipStream_tbENKUlT_T0_E_clISt17integral_constantIbLb1EESZ_EEDaSU_SV_EUlSU_E_NS1_11comp_targetILNS1_3genE5ELNS1_11target_archE942ELNS1_3gpuE9ELNS1_3repE0EEENS1_30default_config_static_selectorELNS0_4arch9wavefront6targetE1EEEvT1_,"axG",@progbits,_ZN7rocprim17ROCPRIM_400000_NS6detail17trampoline_kernelINS0_14default_configENS1_27scan_by_key_config_selectorIjjEEZZNS1_16scan_by_key_implILNS1_25lookback_scan_determinismE0ELb0ES3_N6thrust23THRUST_200600_302600_NS6detail15normal_iteratorINS9_10device_ptrIjEEEESE_SE_jNS9_4plusIvEENS9_8equal_toIvEEjEE10hipError_tPvRmT2_T3_T4_T5_mT6_T7_P12ihipStream_tbENKUlT_T0_E_clISt17integral_constantIbLb1EESZ_EEDaSU_SV_EUlSU_E_NS1_11comp_targetILNS1_3genE5ELNS1_11target_archE942ELNS1_3gpuE9ELNS1_3repE0EEENS1_30default_config_static_selectorELNS0_4arch9wavefront6targetE1EEEvT1_,comdat
.Lfunc_end1838:
	.size	_ZN7rocprim17ROCPRIM_400000_NS6detail17trampoline_kernelINS0_14default_configENS1_27scan_by_key_config_selectorIjjEEZZNS1_16scan_by_key_implILNS1_25lookback_scan_determinismE0ELb0ES3_N6thrust23THRUST_200600_302600_NS6detail15normal_iteratorINS9_10device_ptrIjEEEESE_SE_jNS9_4plusIvEENS9_8equal_toIvEEjEE10hipError_tPvRmT2_T3_T4_T5_mT6_T7_P12ihipStream_tbENKUlT_T0_E_clISt17integral_constantIbLb1EESZ_EEDaSU_SV_EUlSU_E_NS1_11comp_targetILNS1_3genE5ELNS1_11target_archE942ELNS1_3gpuE9ELNS1_3repE0EEENS1_30default_config_static_selectorELNS0_4arch9wavefront6targetE1EEEvT1_, .Lfunc_end1838-_ZN7rocprim17ROCPRIM_400000_NS6detail17trampoline_kernelINS0_14default_configENS1_27scan_by_key_config_selectorIjjEEZZNS1_16scan_by_key_implILNS1_25lookback_scan_determinismE0ELb0ES3_N6thrust23THRUST_200600_302600_NS6detail15normal_iteratorINS9_10device_ptrIjEEEESE_SE_jNS9_4plusIvEENS9_8equal_toIvEEjEE10hipError_tPvRmT2_T3_T4_T5_mT6_T7_P12ihipStream_tbENKUlT_T0_E_clISt17integral_constantIbLb1EESZ_EEDaSU_SV_EUlSU_E_NS1_11comp_targetILNS1_3genE5ELNS1_11target_archE942ELNS1_3gpuE9ELNS1_3repE0EEENS1_30default_config_static_selectorELNS0_4arch9wavefront6targetE1EEEvT1_
                                        ; -- End function
	.section	.AMDGPU.csdata,"",@progbits
; Kernel info:
; codeLenInByte = 0
; NumSgprs: 4
; NumVgprs: 0
; NumAgprs: 0
; TotalNumVgprs: 0
; ScratchSize: 0
; MemoryBound: 0
; FloatMode: 240
; IeeeMode: 1
; LDSByteSize: 0 bytes/workgroup (compile time only)
; SGPRBlocks: 0
; VGPRBlocks: 0
; NumSGPRsForWavesPerEU: 4
; NumVGPRsForWavesPerEU: 1
; AccumOffset: 4
; Occupancy: 8
; WaveLimiterHint : 0
; COMPUTE_PGM_RSRC2:SCRATCH_EN: 0
; COMPUTE_PGM_RSRC2:USER_SGPR: 6
; COMPUTE_PGM_RSRC2:TRAP_HANDLER: 0
; COMPUTE_PGM_RSRC2:TGID_X_EN: 1
; COMPUTE_PGM_RSRC2:TGID_Y_EN: 0
; COMPUTE_PGM_RSRC2:TGID_Z_EN: 0
; COMPUTE_PGM_RSRC2:TIDIG_COMP_CNT: 0
; COMPUTE_PGM_RSRC3_GFX90A:ACCUM_OFFSET: 0
; COMPUTE_PGM_RSRC3_GFX90A:TG_SPLIT: 0
	.section	.text._ZN7rocprim17ROCPRIM_400000_NS6detail17trampoline_kernelINS0_14default_configENS1_27scan_by_key_config_selectorIjjEEZZNS1_16scan_by_key_implILNS1_25lookback_scan_determinismE0ELb0ES3_N6thrust23THRUST_200600_302600_NS6detail15normal_iteratorINS9_10device_ptrIjEEEESE_SE_jNS9_4plusIvEENS9_8equal_toIvEEjEE10hipError_tPvRmT2_T3_T4_T5_mT6_T7_P12ihipStream_tbENKUlT_T0_E_clISt17integral_constantIbLb1EESZ_EEDaSU_SV_EUlSU_E_NS1_11comp_targetILNS1_3genE4ELNS1_11target_archE910ELNS1_3gpuE8ELNS1_3repE0EEENS1_30default_config_static_selectorELNS0_4arch9wavefront6targetE1EEEvT1_,"axG",@progbits,_ZN7rocprim17ROCPRIM_400000_NS6detail17trampoline_kernelINS0_14default_configENS1_27scan_by_key_config_selectorIjjEEZZNS1_16scan_by_key_implILNS1_25lookback_scan_determinismE0ELb0ES3_N6thrust23THRUST_200600_302600_NS6detail15normal_iteratorINS9_10device_ptrIjEEEESE_SE_jNS9_4plusIvEENS9_8equal_toIvEEjEE10hipError_tPvRmT2_T3_T4_T5_mT6_T7_P12ihipStream_tbENKUlT_T0_E_clISt17integral_constantIbLb1EESZ_EEDaSU_SV_EUlSU_E_NS1_11comp_targetILNS1_3genE4ELNS1_11target_archE910ELNS1_3gpuE8ELNS1_3repE0EEENS1_30default_config_static_selectorELNS0_4arch9wavefront6targetE1EEEvT1_,comdat
	.protected	_ZN7rocprim17ROCPRIM_400000_NS6detail17trampoline_kernelINS0_14default_configENS1_27scan_by_key_config_selectorIjjEEZZNS1_16scan_by_key_implILNS1_25lookback_scan_determinismE0ELb0ES3_N6thrust23THRUST_200600_302600_NS6detail15normal_iteratorINS9_10device_ptrIjEEEESE_SE_jNS9_4plusIvEENS9_8equal_toIvEEjEE10hipError_tPvRmT2_T3_T4_T5_mT6_T7_P12ihipStream_tbENKUlT_T0_E_clISt17integral_constantIbLb1EESZ_EEDaSU_SV_EUlSU_E_NS1_11comp_targetILNS1_3genE4ELNS1_11target_archE910ELNS1_3gpuE8ELNS1_3repE0EEENS1_30default_config_static_selectorELNS0_4arch9wavefront6targetE1EEEvT1_ ; -- Begin function _ZN7rocprim17ROCPRIM_400000_NS6detail17trampoline_kernelINS0_14default_configENS1_27scan_by_key_config_selectorIjjEEZZNS1_16scan_by_key_implILNS1_25lookback_scan_determinismE0ELb0ES3_N6thrust23THRUST_200600_302600_NS6detail15normal_iteratorINS9_10device_ptrIjEEEESE_SE_jNS9_4plusIvEENS9_8equal_toIvEEjEE10hipError_tPvRmT2_T3_T4_T5_mT6_T7_P12ihipStream_tbENKUlT_T0_E_clISt17integral_constantIbLb1EESZ_EEDaSU_SV_EUlSU_E_NS1_11comp_targetILNS1_3genE4ELNS1_11target_archE910ELNS1_3gpuE8ELNS1_3repE0EEENS1_30default_config_static_selectorELNS0_4arch9wavefront6targetE1EEEvT1_
	.globl	_ZN7rocprim17ROCPRIM_400000_NS6detail17trampoline_kernelINS0_14default_configENS1_27scan_by_key_config_selectorIjjEEZZNS1_16scan_by_key_implILNS1_25lookback_scan_determinismE0ELb0ES3_N6thrust23THRUST_200600_302600_NS6detail15normal_iteratorINS9_10device_ptrIjEEEESE_SE_jNS9_4plusIvEENS9_8equal_toIvEEjEE10hipError_tPvRmT2_T3_T4_T5_mT6_T7_P12ihipStream_tbENKUlT_T0_E_clISt17integral_constantIbLb1EESZ_EEDaSU_SV_EUlSU_E_NS1_11comp_targetILNS1_3genE4ELNS1_11target_archE910ELNS1_3gpuE8ELNS1_3repE0EEENS1_30default_config_static_selectorELNS0_4arch9wavefront6targetE1EEEvT1_
	.p2align	8
	.type	_ZN7rocprim17ROCPRIM_400000_NS6detail17trampoline_kernelINS0_14default_configENS1_27scan_by_key_config_selectorIjjEEZZNS1_16scan_by_key_implILNS1_25lookback_scan_determinismE0ELb0ES3_N6thrust23THRUST_200600_302600_NS6detail15normal_iteratorINS9_10device_ptrIjEEEESE_SE_jNS9_4plusIvEENS9_8equal_toIvEEjEE10hipError_tPvRmT2_T3_T4_T5_mT6_T7_P12ihipStream_tbENKUlT_T0_E_clISt17integral_constantIbLb1EESZ_EEDaSU_SV_EUlSU_E_NS1_11comp_targetILNS1_3genE4ELNS1_11target_archE910ELNS1_3gpuE8ELNS1_3repE0EEENS1_30default_config_static_selectorELNS0_4arch9wavefront6targetE1EEEvT1_,@function
_ZN7rocprim17ROCPRIM_400000_NS6detail17trampoline_kernelINS0_14default_configENS1_27scan_by_key_config_selectorIjjEEZZNS1_16scan_by_key_implILNS1_25lookback_scan_determinismE0ELb0ES3_N6thrust23THRUST_200600_302600_NS6detail15normal_iteratorINS9_10device_ptrIjEEEESE_SE_jNS9_4plusIvEENS9_8equal_toIvEEjEE10hipError_tPvRmT2_T3_T4_T5_mT6_T7_P12ihipStream_tbENKUlT_T0_E_clISt17integral_constantIbLb1EESZ_EEDaSU_SV_EUlSU_E_NS1_11comp_targetILNS1_3genE4ELNS1_11target_archE910ELNS1_3gpuE8ELNS1_3repE0EEENS1_30default_config_static_selectorELNS0_4arch9wavefront6targetE1EEEvT1_: ; @_ZN7rocprim17ROCPRIM_400000_NS6detail17trampoline_kernelINS0_14default_configENS1_27scan_by_key_config_selectorIjjEEZZNS1_16scan_by_key_implILNS1_25lookback_scan_determinismE0ELb0ES3_N6thrust23THRUST_200600_302600_NS6detail15normal_iteratorINS9_10device_ptrIjEEEESE_SE_jNS9_4plusIvEENS9_8equal_toIvEEjEE10hipError_tPvRmT2_T3_T4_T5_mT6_T7_P12ihipStream_tbENKUlT_T0_E_clISt17integral_constantIbLb1EESZ_EEDaSU_SV_EUlSU_E_NS1_11comp_targetILNS1_3genE4ELNS1_11target_archE910ELNS1_3gpuE8ELNS1_3repE0EEENS1_30default_config_static_selectorELNS0_4arch9wavefront6targetE1EEEvT1_
; %bb.0:
	s_load_dwordx4 s[56:59], s[4:5], 0x28
	s_load_dwordx2 s[60:61], s[4:5], 0x38
	v_cmp_ne_u32_e64 s[36:37], 0, v0
	v_cmp_eq_u32_e64 s[0:1], 0, v0
	s_and_saveexec_b64 s[2:3], s[0:1]
	s_cbranch_execz .LBB1839_4
; %bb.1:
	s_mov_b64 s[8:9], exec
	v_mbcnt_lo_u32_b32 v1, s8, 0
	v_mbcnt_hi_u32_b32 v1, s9, v1
	v_cmp_eq_u32_e32 vcc, 0, v1
                                        ; implicit-def: $vgpr2
	s_and_saveexec_b64 s[6:7], vcc
	s_cbranch_execz .LBB1839_3
; %bb.2:
	s_load_dwordx2 s[10:11], s[4:5], 0x68
	s_bcnt1_i32_b64 s8, s[8:9]
	v_mov_b32_e32 v2, 0
	v_mov_b32_e32 v3, s8
	s_waitcnt lgkmcnt(0)
	global_atomic_add v2, v2, v3, s[10:11] glc
.LBB1839_3:
	s_or_b64 exec, exec, s[6:7]
	s_waitcnt vmcnt(0)
	v_readfirstlane_b32 s6, v2
	v_add_u32_e32 v1, s6, v1
	v_mov_b32_e32 v2, 0
	ds_write_b32 v2, v1
.LBB1839_4:
	s_or_b64 exec, exec, s[2:3]
	s_load_dwordx8 s[40:47], s[4:5], 0x0
	s_load_dword s2, s[4:5], 0x40
	s_load_dwordx8 s[48:55], s[4:5], 0x48
	v_mov_b32_e32 v1, 0
	s_waitcnt lgkmcnt(0)
	s_barrier
	ds_read_b32 v1, v1
	s_lshl_b64 s[38:39], s[42:43], 2
	s_add_u32 s4, s40, s38
	s_addc_u32 s5, s41, s39
	s_add_u32 s6, s44, s38
	s_mul_i32 s3, s61, s2
	s_mul_hi_u32 s8, s60, s2
	s_addc_u32 s7, s45, s39
	s_add_i32 s8, s8, s3
	s_waitcnt lgkmcnt(0)
	v_readfirstlane_b32 s59, v1
	s_mul_i32 s9, s60, s2
	s_cmp_lg_u64 s[52:53], 0
	s_mov_b32 s3, 0
	s_mul_i32 s2, s59, 0xe00
	s_cselect_b64 s[44:45], -1, 0
	s_lshl_b64 s[40:41], s[2:3], 2
	s_add_u32 s42, s4, s40
	s_addc_u32 s43, s5, s41
	s_add_u32 s62, s6, s40
	s_addc_u32 s63, s7, s41
	;; [unrolled: 2-line block ×3, first 2 shown]
	s_add_u32 s4, s48, -1
	s_addc_u32 s5, s49, -1
	v_pk_mov_b32 v[2:3], s[4:5], s[4:5] op_sel:[0,1]
	v_cmp_ge_u64_e64 s[2:3], s[52:53], v[2:3]
	s_mov_b64 s[18:19], 0
	s_mov_b64 s[12:13], -1
	s_and_b64 vcc, exec, s[2:3]
	s_mul_i32 s33, s4, 0xfffff200
	s_barrier
	s_barrier
	s_cbranch_vccz .LBB1839_81
; %bb.5:
	v_pk_mov_b32 v[2:3], s[42:43], s[42:43] op_sel:[0,1]
	flat_load_dword v1, v[2:3]
	s_add_i32 s64, s33, s58
	v_cmp_gt_u32_e64 s[6:7], s64, v0
	s_waitcnt vmcnt(0) lgkmcnt(0)
	v_mov_b32_e32 v13, v1
	s_and_saveexec_b64 s[4:5], s[6:7]
	s_cbranch_execz .LBB1839_7
; %bb.6:
	v_lshlrev_b32_e32 v2, 2, v0
	v_mov_b32_e32 v3, s43
	v_add_co_u32_e32 v2, vcc, s42, v2
	v_addc_co_u32_e32 v3, vcc, 0, v3, vcc
	flat_load_dword v13, v[2:3]
.LBB1839_7:
	s_or_b64 exec, exec, s[4:5]
	v_or_b32_e32 v2, 0x100, v0
	v_cmp_gt_u32_e64 s[8:9], s64, v2
	v_mov_b32_e32 v14, v1
	s_and_saveexec_b64 s[4:5], s[8:9]
	s_cbranch_execz .LBB1839_9
; %bb.8:
	v_lshlrev_b32_e32 v2, 2, v0
	v_mov_b32_e32 v3, s43
	v_add_co_u32_e32 v2, vcc, s42, v2
	v_addc_co_u32_e32 v3, vcc, 0, v3, vcc
	flat_load_dword v14, v[2:3] offset:1024
.LBB1839_9:
	s_or_b64 exec, exec, s[4:5]
	v_or_b32_e32 v2, 0x200, v0
	v_cmp_gt_u32_e64 s[10:11], s64, v2
	v_mov_b32_e32 v15, v1
	s_and_saveexec_b64 s[4:5], s[10:11]
	s_cbranch_execz .LBB1839_11
; %bb.10:
	v_lshlrev_b32_e32 v2, 2, v0
	v_mov_b32_e32 v3, s43
	v_add_co_u32_e32 v2, vcc, s42, v2
	v_addc_co_u32_e32 v3, vcc, 0, v3, vcc
	flat_load_dword v15, v[2:3] offset:2048
.LBB1839_11:
	;; [unrolled: 13-line block ×3, first 2 shown]
	s_or_b64 exec, exec, s[4:5]
	v_or_b32_e32 v2, 0x400, v0
	v_cmp_gt_u32_e64 s[14:15], s64, v2
	v_mov_b32_e32 v17, v1
	s_and_saveexec_b64 s[4:5], s[14:15]
	s_cbranch_execz .LBB1839_15
; %bb.14:
	v_lshlrev_b32_e32 v3, 2, v2
	v_mov_b32_e32 v5, s43
	v_add_co_u32_e32 v4, vcc, s42, v3
	v_addc_co_u32_e32 v5, vcc, 0, v5, vcc
	flat_load_dword v17, v[4:5]
.LBB1839_15:
	s_or_b64 exec, exec, s[4:5]
	v_or_b32_e32 v3, 0x500, v0
	v_cmp_gt_u32_e64 s[16:17], s64, v3
	v_mov_b32_e32 v18, v1
	s_and_saveexec_b64 s[4:5], s[16:17]
	s_cbranch_execz .LBB1839_17
; %bb.16:
	v_lshlrev_b32_e32 v4, 2, v3
	v_mov_b32_e32 v5, s43
	v_add_co_u32_e32 v4, vcc, s42, v4
	v_addc_co_u32_e32 v5, vcc, 0, v5, vcc
	flat_load_dword v18, v[4:5]
.LBB1839_17:
	;; [unrolled: 13-line block ×9, first 2 shown]
	s_or_b64 exec, exec, s[4:5]
	v_or_b32_e32 v11, 0xd00, v0
	v_cmp_gt_u32_e64 s[34:35], s64, v11
	s_and_saveexec_b64 s[4:5], s[34:35]
	s_cbranch_execz .LBB1839_33
; %bb.32:
	v_lshlrev_b32_e32 v1, 2, v11
	v_mov_b32_e32 v12, s43
	v_add_co_u32_e32 v26, vcc, s42, v1
	v_addc_co_u32_e32 v27, vcc, 0, v12, vcc
	flat_load_dword v1, v[26:27]
.LBB1839_33:
	s_or_b64 exec, exec, s[4:5]
	v_lshlrev_b32_e32 v12, 2, v0
	s_waitcnt vmcnt(0) lgkmcnt(0)
	ds_write2st64_b32 v12, v13, v14 offset1:4
	ds_write2st64_b32 v12, v15, v16 offset0:8 offset1:12
	ds_write2st64_b32 v12, v17, v18 offset0:16 offset1:20
	;; [unrolled: 1-line block ×6, first 2 shown]
	v_mad_u32_u24 v1, v0, 52, v12
	s_waitcnt lgkmcnt(0)
	s_barrier
	ds_read2_b64 v[34:37], v1 offset1:1
	ds_read2_b64 v[30:33], v1 offset0:2 offset1:3
	ds_read2_b64 v[26:29], v1 offset0:4 offset1:5
	ds_read_b64 v[40:41], v1 offset:48
	s_cmp_eq_u64 s[52:53], 0
	s_mov_b64 s[4:5], s[42:43]
	s_cbranch_scc1 .LBB1839_37
; %bb.34:
	s_andn2_b64 vcc, exec, s[44:45]
	s_cbranch_vccnz .LBB1839_187
; %bb.35:
	s_lshl_b64 s[4:5], s[52:53], 2
	s_add_u32 s4, s54, s4
	s_addc_u32 s5, s55, s5
	s_add_u32 s4, s4, -4
	s_addc_u32 s5, s5, -1
	s_cbranch_execnz .LBB1839_37
.LBB1839_36:
	s_add_u32 s4, s42, -4
	s_addc_u32 s5, s43, -1
.LBB1839_37:
	v_pk_mov_b32 v[14:15], s[4:5], s[4:5] op_sel:[0,1]
	flat_load_dword v44, v[14:15]
	s_movk_i32 s4, 0xffcc
	v_mad_i32_i24 v13, v0, s4, v1
	s_waitcnt lgkmcnt(0)
	ds_write_b32 v13, v41 offset:14336
	s_waitcnt lgkmcnt(0)
	s_barrier
	s_and_saveexec_b64 s[4:5], s[36:37]
	s_cbranch_execz .LBB1839_39
; %bb.38:
	v_mul_i32_i24_e32 v13, 0xffffffcc, v0
	v_add_u32_e32 v13, v1, v13
	s_waitcnt vmcnt(0)
	ds_read_b32 v44, v13 offset:14332
.LBB1839_39:
	s_or_b64 exec, exec, s[4:5]
	s_waitcnt lgkmcnt(0)
	s_barrier
	s_waitcnt lgkmcnt(0)
                                        ; implicit-def: $vgpr13
	s_and_saveexec_b64 s[4:5], s[6:7]
	s_cbranch_execnz .LBB1839_174
; %bb.40:
	s_or_b64 exec, exec, s[4:5]
                                        ; implicit-def: $vgpr14
	s_and_saveexec_b64 s[4:5], s[8:9]
	s_cbranch_execnz .LBB1839_175
.LBB1839_41:
	s_or_b64 exec, exec, s[4:5]
                                        ; implicit-def: $vgpr15
	s_and_saveexec_b64 s[4:5], s[10:11]
	s_cbranch_execnz .LBB1839_176
.LBB1839_42:
	s_or_b64 exec, exec, s[4:5]
                                        ; implicit-def: $vgpr16
	s_and_saveexec_b64 s[4:5], s[12:13]
	s_cbranch_execnz .LBB1839_177
.LBB1839_43:
	s_or_b64 exec, exec, s[4:5]
                                        ; implicit-def: $vgpr17
	s_and_saveexec_b64 s[4:5], s[14:15]
	s_cbranch_execnz .LBB1839_178
.LBB1839_44:
	s_or_b64 exec, exec, s[4:5]
                                        ; implicit-def: $vgpr2
	s_and_saveexec_b64 s[4:5], s[16:17]
	s_cbranch_execnz .LBB1839_179
.LBB1839_45:
	s_or_b64 exec, exec, s[4:5]
                                        ; implicit-def: $vgpr3
	s_and_saveexec_b64 s[4:5], s[18:19]
	s_cbranch_execnz .LBB1839_180
.LBB1839_46:
	s_or_b64 exec, exec, s[4:5]
                                        ; implicit-def: $vgpr4
	s_and_saveexec_b64 s[4:5], s[20:21]
	s_cbranch_execnz .LBB1839_181
.LBB1839_47:
	s_or_b64 exec, exec, s[4:5]
                                        ; implicit-def: $vgpr5
	s_and_saveexec_b64 s[4:5], s[22:23]
	s_cbranch_execnz .LBB1839_182
.LBB1839_48:
	s_or_b64 exec, exec, s[4:5]
                                        ; implicit-def: $vgpr6
	s_and_saveexec_b64 s[4:5], s[24:25]
	s_cbranch_execnz .LBB1839_183
.LBB1839_49:
	s_or_b64 exec, exec, s[4:5]
                                        ; implicit-def: $vgpr7
	s_and_saveexec_b64 s[4:5], s[26:27]
	s_cbranch_execnz .LBB1839_184
.LBB1839_50:
	s_or_b64 exec, exec, s[4:5]
                                        ; implicit-def: $vgpr8
	s_and_saveexec_b64 s[4:5], s[28:29]
	s_cbranch_execnz .LBB1839_185
.LBB1839_51:
	s_or_b64 exec, exec, s[4:5]
                                        ; implicit-def: $vgpr9
	s_and_saveexec_b64 s[4:5], s[30:31]
	s_cbranch_execnz .LBB1839_186
.LBB1839_52:
	s_or_b64 exec, exec, s[4:5]
                                        ; implicit-def: $vgpr10
	s_and_saveexec_b64 s[4:5], s[34:35]
	s_cbranch_execz .LBB1839_54
.LBB1839_53:
	v_lshlrev_b32_e32 v10, 2, v11
	v_mov_b32_e32 v11, s63
	v_add_co_u32_e32 v10, vcc, s62, v10
	v_addc_co_u32_e32 v11, vcc, 0, v11, vcc
	flat_load_dword v10, v[10:11]
.LBB1839_54:
	s_or_b64 exec, exec, s[4:5]
	s_mov_b32 s4, 0
	s_mov_b32 s5, s4
	s_waitcnt vmcnt(0) lgkmcnt(0)
	ds_write2st64_b32 v12, v13, v14 offset1:4
	ds_write2st64_b32 v12, v15, v16 offset0:8 offset1:12
	ds_write2st64_b32 v12, v17, v2 offset0:16 offset1:20
	ds_write2st64_b32 v12, v3, v4 offset0:24 offset1:28
	ds_write2st64_b32 v12, v5, v6 offset0:32 offset1:36
	ds_write2st64_b32 v12, v7, v8 offset0:40 offset1:44
	ds_write2st64_b32 v12, v9, v10 offset0:48 offset1:52
	s_mov_b32 s6, s4
	s_mov_b32 s7, s4
	;; [unrolled: 1-line block ×6, first 2 shown]
	v_pk_mov_b32 v[2:3], s[4:5], s[4:5] op_sel:[0,1]
	v_pk_mov_b32 v[8:9], s[10:11], s[10:11] op_sel:[0,1]
	v_mul_u32_u24_e32 v42, 14, v0
	v_pk_mov_b32 v[4:5], s[6:7], s[6:7] op_sel:[0,1]
	v_pk_mov_b32 v[6:7], s[8:9], s[8:9] op_sel:[0,1]
	;; [unrolled: 1-line block ×4, first 2 shown]
	v_cmp_gt_u32_e32 vcc, s64, v42
	s_mov_b64 s[12:13], 0
	v_pk_mov_b32 v[38:39], 0, 0
	s_mov_b64 s[18:19], 0
	v_pk_mov_b32 v[14:15], v[6:7], v[6:7] op_sel:[0,1]
	v_pk_mov_b32 v[12:13], v[4:5], v[4:5] op_sel:[0,1]
	;; [unrolled: 1-line block ×6, first 2 shown]
	s_waitcnt lgkmcnt(0)
	s_barrier
	s_waitcnt lgkmcnt(0)
                                        ; implicit-def: $sgpr16_sgpr17
                                        ; implicit-def: $vgpr43
	s_and_saveexec_b64 s[14:15], vcc
	s_cbranch_execz .LBB1839_80
; %bb.55:
	v_or_b32_e32 v2, 1, v42
	ds_read_b32 v38, v1
	v_cmp_ne_u32_e32 vcc, v44, v34
	v_cndmask_b32_e64 v39, 0, 1, vcc
	v_cmp_gt_u32_e32 vcc, s64, v2
	v_pk_mov_b32 v[2:3], s[4:5], s[4:5] op_sel:[0,1]
	v_pk_mov_b32 v[8:9], s[10:11], s[10:11] op_sel:[0,1]
	;; [unrolled: 1-line block ×12, first 2 shown]
                                        ; implicit-def: $sgpr4_sgpr5
                                        ; implicit-def: $vgpr43
	s_and_saveexec_b64 s[16:17], vcc
	s_cbranch_execz .LBB1839_79
; %bb.56:
	ds_read2_b32 v[44:45], v1 offset0:1 offset1:2
	s_mov_b32 s4, 0
	s_mov_b32 s10, s4
	;; [unrolled: 1-line block ×8, first 2 shown]
	v_pk_mov_b32 v[16:17], s[10:11], s[10:11] op_sel:[0,1]
	v_add_u32_e32 v2, 2, v42
	v_cmp_ne_u32_e32 vcc, v34, v35
	v_mov_b32_e32 v6, 0
	v_pk_mov_b32 v[14:15], s[8:9], s[8:9] op_sel:[0,1]
	v_pk_mov_b32 v[12:13], s[6:7], s[6:7] op_sel:[0,1]
	;; [unrolled: 1-line block ×4, first 2 shown]
	v_cndmask_b32_e64 v3, 0, 1, vcc
	v_cmp_gt_u32_e32 vcc, s64, v2
	s_waitcnt lgkmcnt(0)
	v_mov_b32_e32 v2, v44
	v_mov_b32_e32 v4, v6
	;; [unrolled: 1-line block ×6, first 2 shown]
	s_mov_b64 s[20:21], 0
	v_pk_mov_b32 v[22:23], v[14:15], v[14:15] op_sel:[0,1]
	v_pk_mov_b32 v[20:21], v[12:13], v[12:13] op_sel:[0,1]
	;; [unrolled: 1-line block ×3, first 2 shown]
                                        ; implicit-def: $sgpr24_sgpr25
                                        ; implicit-def: $vgpr43
	s_and_saveexec_b64 s[18:19], vcc
	s_cbranch_execz .LBB1839_78
; %bb.57:
	v_pk_mov_b32 v[16:17], s[10:11], s[10:11] op_sel:[0,1]
	v_add_u32_e32 v2, 3, v42
	v_cmp_ne_u32_e32 vcc, v35, v36
	v_pk_mov_b32 v[14:15], s[8:9], s[8:9] op_sel:[0,1]
	v_pk_mov_b32 v[12:13], s[6:7], s[6:7] op_sel:[0,1]
	;; [unrolled: 1-line block ×4, first 2 shown]
	v_cndmask_b32_e64 v5, 0, 1, vcc
	v_cmp_gt_u32_e32 vcc, s64, v2
	v_mov_b32_e32 v2, v44
	v_mov_b32_e32 v4, v45
	;; [unrolled: 1-line block ×5, first 2 shown]
	s_mov_b64 s[22:23], 0
	v_pk_mov_b32 v[22:23], v[14:15], v[14:15] op_sel:[0,1]
	v_pk_mov_b32 v[20:21], v[12:13], v[12:13] op_sel:[0,1]
	;; [unrolled: 1-line block ×3, first 2 shown]
                                        ; implicit-def: $sgpr4_sgpr5
                                        ; implicit-def: $vgpr43
	s_and_saveexec_b64 s[20:21], vcc
	s_cbranch_execz .LBB1839_77
; %bb.58:
	ds_read2_b32 v[34:35], v1 offset0:3 offset1:4
	s_mov_b32 s4, 0
	s_mov_b32 s10, s4
	;; [unrolled: 1-line block ×8, first 2 shown]
	v_pk_mov_b32 v[16:17], s[10:11], s[10:11] op_sel:[0,1]
	v_add_u32_e32 v6, 4, v42
	v_cmp_ne_u32_e32 vcc, v36, v37
	v_pk_mov_b32 v[14:15], s[8:9], s[8:9] op_sel:[0,1]
	v_pk_mov_b32 v[12:13], s[6:7], s[6:7] op_sel:[0,1]
	;; [unrolled: 1-line block ×4, first 2 shown]
	v_cndmask_b32_e64 v7, 0, 1, vcc
	v_cmp_gt_u32_e32 vcc, s64, v6
	s_waitcnt lgkmcnt(0)
	v_mov_b32_e32 v6, v34
	v_mov_b32_e32 v8, s4
	;; [unrolled: 1-line block ×3, first 2 shown]
	s_mov_b64 s[24:25], 0
	v_pk_mov_b32 v[22:23], v[14:15], v[14:15] op_sel:[0,1]
	v_pk_mov_b32 v[20:21], v[12:13], v[12:13] op_sel:[0,1]
	;; [unrolled: 1-line block ×3, first 2 shown]
                                        ; implicit-def: $sgpr26_sgpr27
                                        ; implicit-def: $vgpr43
	s_and_saveexec_b64 s[22:23], vcc
	s_cbranch_execz .LBB1839_76
; %bb.59:
	v_pk_mov_b32 v[16:17], s[10:11], s[10:11] op_sel:[0,1]
	v_add_u32_e32 v8, 5, v42
	v_cmp_ne_u32_e32 vcc, v37, v30
	v_pk_mov_b32 v[14:15], s[8:9], s[8:9] op_sel:[0,1]
	v_pk_mov_b32 v[12:13], s[6:7], s[6:7] op_sel:[0,1]
	;; [unrolled: 1-line block ×4, first 2 shown]
	v_cndmask_b32_e64 v9, 0, 1, vcc
	v_cmp_gt_u32_e32 vcc, s64, v8
	v_mov_b32_e32 v8, v35
	s_mov_b64 s[28:29], 0
	v_pk_mov_b32 v[22:23], v[14:15], v[14:15] op_sel:[0,1]
	v_pk_mov_b32 v[20:21], v[12:13], v[12:13] op_sel:[0,1]
	;; [unrolled: 1-line block ×3, first 2 shown]
                                        ; implicit-def: $sgpr4_sgpr5
                                        ; implicit-def: $vgpr43
	s_and_saveexec_b64 s[24:25], vcc
	s_cbranch_execz .LBB1839_75
; %bb.60:
	ds_read2_b32 v[34:35], v1 offset0:5 offset1:6
	s_mov_b32 s4, 0
	s_mov_b32 s10, s4
	;; [unrolled: 1-line block ×3, first 2 shown]
	v_add_u32_e32 v10, 6, v42
	v_cmp_ne_u32_e32 vcc, v30, v31
	v_mov_b32_e32 v14, 0
	s_mov_b32 s5, s4
	s_mov_b32 s6, s4
	;; [unrolled: 1-line block ×5, first 2 shown]
	v_pk_mov_b32 v[24:25], s[10:11], s[10:11] op_sel:[0,1]
	v_cndmask_b32_e64 v11, 0, 1, vcc
	v_cmp_gt_u32_e32 vcc, s64, v10
	s_waitcnt lgkmcnt(0)
	v_mov_b32_e32 v10, v34
	v_mov_b32_e32 v12, v14
	;; [unrolled: 1-line block ×6, first 2 shown]
	v_pk_mov_b32 v[22:23], s[8:9], s[8:9] op_sel:[0,1]
	v_pk_mov_b32 v[20:21], s[6:7], s[6:7] op_sel:[0,1]
	;; [unrolled: 1-line block ×3, first 2 shown]
                                        ; implicit-def: $sgpr34_sgpr35
                                        ; implicit-def: $vgpr43
	s_and_saveexec_b64 s[26:27], vcc
	s_cbranch_execz .LBB1839_74
; %bb.61:
	v_add_u32_e32 v10, 7, v42
	v_cmp_ne_u32_e32 vcc, v31, v32
	v_pk_mov_b32 v[24:25], s[10:11], s[10:11] op_sel:[0,1]
	v_cndmask_b32_e64 v13, 0, 1, vcc
	v_cmp_gt_u32_e32 vcc, s64, v10
	v_mov_b32_e32 v10, v34
	v_mov_b32_e32 v12, v35
	;; [unrolled: 1-line block ×5, first 2 shown]
	s_mov_b64 s[30:31], 0
	v_pk_mov_b32 v[22:23], s[8:9], s[8:9] op_sel:[0,1]
	v_pk_mov_b32 v[20:21], s[6:7], s[6:7] op_sel:[0,1]
	;; [unrolled: 1-line block ×3, first 2 shown]
                                        ; implicit-def: $sgpr4_sgpr5
                                        ; implicit-def: $vgpr43
	s_and_saveexec_b64 s[28:29], vcc
	s_cbranch_execz .LBB1839_73
; %bb.62:
	ds_read2_b32 v[30:31], v1 offset0:7 offset1:8
	s_mov_b32 s4, 0
	s_mov_b32 s10, s4
	;; [unrolled: 1-line block ×3, first 2 shown]
	v_add_u32_e32 v14, 8, v42
	v_cmp_ne_u32_e32 vcc, v32, v33
	s_mov_b32 s5, s4
	s_mov_b32 s6, s4
	;; [unrolled: 1-line block ×5, first 2 shown]
	v_pk_mov_b32 v[24:25], s[10:11], s[10:11] op_sel:[0,1]
	v_cndmask_b32_e64 v15, 0, 1, vcc
	v_cmp_gt_u32_e32 vcc, s64, v14
	s_waitcnt lgkmcnt(0)
	v_mov_b32_e32 v14, v30
	v_mov_b32_e32 v16, s4
	;; [unrolled: 1-line block ×3, first 2 shown]
	s_mov_b64 s[34:35], 0
	v_pk_mov_b32 v[22:23], s[8:9], s[8:9] op_sel:[0,1]
	v_pk_mov_b32 v[20:21], s[6:7], s[6:7] op_sel:[0,1]
	;; [unrolled: 1-line block ×3, first 2 shown]
                                        ; implicit-def: $sgpr48_sgpr49
                                        ; implicit-def: $vgpr43
	s_and_saveexec_b64 s[30:31], vcc
	s_cbranch_execz .LBB1839_72
; %bb.63:
	v_add_u32_e32 v16, 9, v42
	v_cmp_ne_u32_e32 vcc, v33, v26
	v_pk_mov_b32 v[24:25], s[10:11], s[10:11] op_sel:[0,1]
	v_cndmask_b32_e64 v17, 0, 1, vcc
	v_cmp_gt_u32_e32 vcc, s64, v16
	v_mov_b32_e32 v16, v31
	v_pk_mov_b32 v[22:23], s[8:9], s[8:9] op_sel:[0,1]
	v_pk_mov_b32 v[20:21], s[6:7], s[6:7] op_sel:[0,1]
	;; [unrolled: 1-line block ×3, first 2 shown]
                                        ; implicit-def: $sgpr8_sgpr9
                                        ; implicit-def: $vgpr43
	s_and_saveexec_b64 s[6:7], vcc
	s_cbranch_execz .LBB1839_71
; %bb.64:
	ds_read2_b32 v[30:31], v1 offset0:9 offset1:10
	v_add_u32_e32 v18, 10, v42
	v_cmp_ne_u32_e32 vcc, v26, v27
	v_mov_b32_e32 v22, 0
	v_cndmask_b32_e64 v19, 0, 1, vcc
	v_cmp_gt_u32_e32 vcc, s64, v18
	s_waitcnt lgkmcnt(0)
	v_mov_b32_e32 v18, v30
	v_mov_b32_e32 v20, v22
	;; [unrolled: 1-line block ×6, first 2 shown]
	s_mov_b64 s[4:5], 0
                                        ; implicit-def: $sgpr10_sgpr11
                                        ; implicit-def: $vgpr43
	s_and_saveexec_b64 s[8:9], vcc
	s_cbranch_execz .LBB1839_70
; %bb.65:
	v_add_u32_e32 v18, 11, v42
	v_cmp_ne_u32_e32 vcc, v27, v28
	v_cndmask_b32_e64 v21, 0, 1, vcc
	v_cmp_gt_u32_e32 vcc, s64, v18
	s_mov_b32 s48, 0
	v_mov_b32_e32 v18, v30
	v_mov_b32_e32 v20, v31
	;; [unrolled: 1-line block ×5, first 2 shown]
                                        ; implicit-def: $sgpr34_sgpr35
                                        ; implicit-def: $vgpr43
	s_and_saveexec_b64 s[10:11], vcc
	s_cbranch_execz .LBB1839_69
; %bb.66:
	ds_read2_b32 v[26:27], v1 offset0:11 offset1:12
	v_add_u32_e32 v22, 12, v42
	v_cmp_ne_u32_e32 vcc, v28, v29
	v_cndmask_b32_e64 v23, 0, 1, vcc
	v_cmp_gt_u32_e32 vcc, s64, v22
	s_waitcnt lgkmcnt(0)
	v_mov_b32_e32 v22, v26
	v_mov_b32_e32 v24, s48
	;; [unrolled: 1-line block ×3, first 2 shown]
                                        ; implicit-def: $sgpr34_sgpr35
                                        ; implicit-def: $vgpr43
	s_and_saveexec_b64 s[48:49], vcc
	s_xor_b64 s[48:49], exec, s[48:49]
	s_cbranch_execz .LBB1839_68
; %bb.67:
	ds_read_b32 v43, v1 offset:52
	v_add_u32_e32 v1, 13, v42
	v_cmp_ne_u32_e64 s[4:5], v29, v40
	v_cmp_ne_u32_e32 vcc, v40, v41
	v_cndmask_b32_e64 v25, 0, 1, s[4:5]
	v_cmp_gt_u32_e64 s[4:5], s64, v1
	v_mov_b32_e32 v24, v27
	s_and_b64 s[34:35], vcc, exec
	s_and_b64 s[4:5], s[4:5], exec
.LBB1839_68:
	s_or_b64 exec, exec, s[48:49]
	s_and_b64 s[34:35], s[34:35], exec
	s_and_b64 s[4:5], s[4:5], exec
.LBB1839_69:
	s_or_b64 exec, exec, s[10:11]
	s_and_b64 s[10:11], s[34:35], exec
	s_and_b64 s[4:5], s[4:5], exec
.LBB1839_70:
	s_or_b64 exec, exec, s[8:9]
	s_and_b64 s[8:9], s[10:11], exec
	s_and_b64 s[34:35], s[4:5], exec
.LBB1839_71:
	s_or_b64 exec, exec, s[6:7]
	s_and_b64 s[48:49], s[8:9], exec
	s_and_b64 s[34:35], s[34:35], exec
.LBB1839_72:
	s_or_b64 exec, exec, s[30:31]
	s_and_b64 s[4:5], s[48:49], exec
	s_and_b64 s[30:31], s[34:35], exec
.LBB1839_73:
	s_or_b64 exec, exec, s[28:29]
	s_and_b64 s[34:35], s[4:5], exec
	s_and_b64 s[28:29], s[30:31], exec
.LBB1839_74:
	s_or_b64 exec, exec, s[26:27]
	s_and_b64 s[4:5], s[34:35], exec
	s_and_b64 s[28:29], s[28:29], exec
.LBB1839_75:
	s_or_b64 exec, exec, s[24:25]
	s_and_b64 s[26:27], s[4:5], exec
	s_and_b64 s[24:25], s[28:29], exec
.LBB1839_76:
	s_or_b64 exec, exec, s[22:23]
	s_and_b64 s[4:5], s[26:27], exec
	s_and_b64 s[22:23], s[24:25], exec
.LBB1839_77:
	s_or_b64 exec, exec, s[20:21]
	s_and_b64 s[24:25], s[4:5], exec
	s_and_b64 s[20:21], s[22:23], exec
.LBB1839_78:
	s_or_b64 exec, exec, s[18:19]
	s_and_b64 s[4:5], s[24:25], exec
	s_and_b64 s[18:19], s[20:21], exec
.LBB1839_79:
	s_or_b64 exec, exec, s[16:17]
	s_and_b64 s[16:17], s[4:5], exec
	s_and_b64 s[18:19], s[18:19], exec
.LBB1839_80:
	s_or_b64 exec, exec, s[14:15]
	s_and_b64 vcc, exec, s[12:13]
	v_lshlrev_b32_e32 v50, 2, v0
	s_cbranch_vccnz .LBB1839_82
	s_branch .LBB1839_90
.LBB1839_81:
                                        ; implicit-def: $sgpr16_sgpr17
                                        ; implicit-def: $vgpr2_vgpr3_vgpr4_vgpr5_vgpr6_vgpr7_vgpr8_vgpr9
                                        ; implicit-def: $vgpr10_vgpr11_vgpr12_vgpr13_vgpr14_vgpr15_vgpr16_vgpr17
                                        ; implicit-def: $vgpr18_vgpr19_vgpr20_vgpr21_vgpr22_vgpr23_vgpr24_vgpr25
                                        ; implicit-def: $vgpr43
                                        ; implicit-def: $vgpr38_vgpr39
	s_and_b64 vcc, exec, s[12:13]
	v_lshlrev_b32_e32 v50, 2, v0
	s_cbranch_vccz .LBB1839_90
.LBB1839_82:
	v_mov_b32_e32 v1, s43
	v_add_co_u32_e32 v2, vcc, s42, v50
	v_addc_co_u32_e32 v3, vcc, 0, v1, vcc
	v_add_co_u32_e32 v4, vcc, 0x1000, v2
	v_addc_co_u32_e32 v5, vcc, 0, v3, vcc
	flat_load_dword v6, v[2:3]
	flat_load_dword v7, v[2:3] offset:1024
	flat_load_dword v8, v[2:3] offset:2048
	flat_load_dword v9, v[2:3] offset:3072
	flat_load_dword v10, v[4:5]
	flat_load_dword v11, v[4:5] offset:1024
	flat_load_dword v12, v[4:5] offset:2048
	;; [unrolled: 1-line block ×3, first 2 shown]
	v_add_co_u32_e32 v4, vcc, 0x2000, v2
	v_addc_co_u32_e32 v5, vcc, 0, v3, vcc
	v_add_co_u32_e32 v2, vcc, 0x3000, v2
	v_addc_co_u32_e32 v3, vcc, 0, v3, vcc
	flat_load_dword v14, v[4:5]
	flat_load_dword v15, v[4:5] offset:1024
	flat_load_dword v16, v[4:5] offset:2048
	;; [unrolled: 1-line block ×3, first 2 shown]
	flat_load_dword v18, v[2:3]
	flat_load_dword v19, v[2:3] offset:1024
	v_mad_u32_u24 v1, v0, 52, v50
	s_cmp_eq_u64 s[52:53], 0
	s_waitcnt vmcnt(0) lgkmcnt(0)
	ds_write2st64_b32 v50, v6, v7 offset1:4
	ds_write2st64_b32 v50, v8, v9 offset0:8 offset1:12
	ds_write2st64_b32 v50, v10, v11 offset0:16 offset1:20
	;; [unrolled: 1-line block ×6, first 2 shown]
	s_waitcnt lgkmcnt(0)
	s_barrier
	ds_read2_b64 v[2:5], v1 offset1:1
	ds_read2_b64 v[10:13], v1 offset0:2 offset1:3
	ds_read2_b64 v[18:21], v1 offset0:4 offset1:5
	ds_read_b64 v[6:7], v1 offset:48
	s_cbranch_scc1 .LBB1839_87
; %bb.83:
	s_andn2_b64 vcc, exec, s[44:45]
	s_cbranch_vccnz .LBB1839_188
; %bb.84:
	s_lshl_b64 s[4:5], s[52:53], 2
	s_add_u32 s4, s54, s4
	s_addc_u32 s5, s55, s5
	s_add_u32 s4, s4, -4
	s_addc_u32 s5, s5, -1
	s_cbranch_execnz .LBB1839_86
.LBB1839_85:
	s_add_u32 s4, s42, -4
	s_addc_u32 s5, s43, -1
.LBB1839_86:
	s_mov_b64 s[42:43], s[4:5]
.LBB1839_87:
	v_pk_mov_b32 v[8:9], s[42:43], s[42:43] op_sel:[0,1]
	flat_load_dword v8, v[8:9]
	s_movk_i32 s4, 0xffcc
	v_mad_i32_i24 v9, v0, s4, v1
	s_waitcnt lgkmcnt(0)
	ds_write_b32 v9, v7 offset:14336
	s_waitcnt lgkmcnt(0)
	s_barrier
	s_and_saveexec_b64 s[4:5], s[36:37]
	s_cbranch_execz .LBB1839_89
; %bb.88:
	s_waitcnt vmcnt(0)
	v_mul_i32_i24_e32 v8, 0xffffffcc, v0
	v_add_u32_e32 v8, v1, v8
	ds_read_b32 v8, v8 offset:14332
.LBB1839_89:
	s_or_b64 exec, exec, s[4:5]
	v_mov_b32_e32 v9, s63
	v_add_co_u32_e32 v14, vcc, s62, v50
	v_addc_co_u32_e32 v15, vcc, 0, v9, vcc
	s_movk_i32 s4, 0x1000
	v_add_co_u32_e32 v16, vcc, s4, v14
	v_addc_co_u32_e32 v17, vcc, 0, v15, vcc
	s_movk_i32 s4, 0x2000
	s_waitcnt lgkmcnt(0)
	s_barrier
	flat_load_dword v22, v[14:15]
	flat_load_dword v24, v[14:15] offset:1024
	flat_load_dword v26, v[14:15] offset:2048
	;; [unrolled: 1-line block ×3, first 2 shown]
	flat_load_dword v28, v[16:17]
	flat_load_dword v29, v[16:17] offset:1024
	flat_load_dword v30, v[16:17] offset:2048
	;; [unrolled: 1-line block ×3, first 2 shown]
	v_add_co_u32_e32 v16, vcc, s4, v14
	v_addc_co_u32_e32 v17, vcc, 0, v15, vcc
	s_movk_i32 s4, 0x3000
	v_add_co_u32_e32 v14, vcc, s4, v14
	v_addc_co_u32_e32 v15, vcc, 0, v15, vcc
	flat_load_dword v32, v[16:17]
	flat_load_dword v33, v[16:17] offset:1024
	flat_load_dword v34, v[16:17] offset:2048
	;; [unrolled: 1-line block ×3, first 2 shown]
	flat_load_dword v36, v[14:15]
	flat_load_dword v37, v[14:15] offset:1024
	s_waitcnt vmcnt(0)
	v_cmp_ne_u32_e32 vcc, v8, v2
	v_cndmask_b32_e64 v39, 0, 1, vcc
	v_cmp_ne_u32_e32 vcc, v5, v10
	v_cndmask_b32_e64 v9, 0, 1, vcc
	v_cmp_ne_u32_e32 vcc, v4, v5
	v_cmp_ne_u32_e64 s[16:17], v6, v7
	v_cndmask_b32_e64 v7, 0, 1, vcc
	v_cmp_ne_u32_e32 vcc, v3, v4
	v_cndmask_b32_e64 v5, 0, 1, vcc
	v_cmp_ne_u32_e32 vcc, v2, v3
	;; [unrolled: 2-line block ×10, first 2 shown]
	v_cndmask_b32_e64 v19, 0, 1, vcc
	s_mov_b64 s[18:19], -1
                                        ; implicit-def: $sgpr12_sgpr13
	s_waitcnt lgkmcnt(0)
	ds_write2st64_b32 v50, v22, v24 offset1:4
	ds_write2st64_b32 v50, v26, v27 offset0:8 offset1:12
	ds_write2st64_b32 v50, v28, v29 offset0:16 offset1:20
	;; [unrolled: 1-line block ×6, first 2 shown]
	s_waitcnt lgkmcnt(0)
	s_barrier
	ds_read2_b32 v[42:43], v1 offset1:13
	ds_read2_b32 v[26:27], v1 offset0:7 offset1:8
	ds_read2_b32 v[28:29], v1 offset0:5 offset1:6
	;; [unrolled: 1-line block ×6, first 2 shown]
	s_waitcnt lgkmcnt(6)
	v_mov_b32_e32 v38, v42
	s_waitcnt lgkmcnt(4)
	v_mov_b32_e32 v10, v28
	s_waitcnt lgkmcnt(3)
	v_mov_b32_e32 v6, v30
	s_waitcnt lgkmcnt(2)
	v_mov_b32_e32 v2, v32
	v_mov_b32_e32 v4, v33
	v_mov_b32_e32 v8, v31
	;; [unrolled: 1-line block ×5, first 2 shown]
	s_waitcnt lgkmcnt(0)
	v_mov_b32_e32 v18, v36
	v_mov_b32_e32 v20, v37
	;; [unrolled: 1-line block ×4, first 2 shown]
.LBB1839_90:
	v_pk_mov_b32 v[40:41], s[12:13], s[12:13] op_sel:[0,1]
	s_and_saveexec_b64 s[4:5], s[18:19]
	s_cbranch_execz .LBB1839_92
; %bb.91:
	v_cndmask_b32_e64 v41, 0, 1, s[16:17]
	s_waitcnt lgkmcnt(0)
	v_mov_b32_e32 v40, v43
.LBB1839_92:
	s_or_b64 exec, exec, s[4:5]
	s_mov_b32 s4, 0
	s_cmp_lg_u32 s59, 0
	v_mbcnt_lo_u32_b32 v52, -1, 0
	v_lshrrev_b32_e32 v1, 6, v0
	v_or_b32_e32 v51, 63, v0
	s_waitcnt lgkmcnt(0)
	s_barrier
	s_cbranch_scc0 .LBB1839_125
; %bb.93:
	s_mov_b32 s5, 1
	v_cmp_gt_u64_e64 s[6:7], s[4:5], v[2:3]
	v_cndmask_b32_e64 v27, 0, v38, s[6:7]
	v_add_u32_e32 v27, v27, v2
	v_cmp_gt_u64_e64 s[8:9], s[4:5], v[4:5]
	v_cndmask_b32_e64 v27, 0, v27, s[8:9]
	v_add_u32_e32 v27, v27, v4
	;; [unrolled: 3-line block ×13, first 2 shown]
	v_or3_b32 v27, v41, v25, v23
	v_or3_b32 v27, v27, v21, v19
	;; [unrolled: 1-line block ×6, first 2 shown]
	v_mov_b32_e32 v26, 0
	v_and_b32_e32 v27, 1, v27
	v_cmp_eq_u64_e32 vcc, 0, v[26:27]
	v_cndmask_b32_e32 v26, 1, v39, vcc
	v_mbcnt_hi_u32_b32 v46, -1, v52
	v_mov_b32_dpp v29, v28 row_shr:1 row_mask:0xf bank_mask:0xf
	v_mov_b32_dpp v30, v26 row_shr:1 row_mask:0xf bank_mask:0xf
	v_cmp_eq_u32_e32 vcc, 0, v26
	v_and_b32_e32 v31, 1, v26
	v_and_b32_e32 v27, 15, v46
	v_cndmask_b32_e32 v29, 0, v29, vcc
	v_and_b32_e32 v30, 1, v30
	v_cmp_eq_u32_e32 vcc, 1, v31
	v_cndmask_b32_e64 v30, v30, 1, vcc
	v_cmp_eq_u32_e32 vcc, 0, v27
	v_cndmask_b32_e32 v26, v30, v26, vcc
	v_and_b32_e32 v31, 1, v26
	v_cmp_eq_u32_e64 s[4:5], 1, v31
	v_mov_b32_dpp v30, v26 row_shr:2 row_mask:0xf bank_mask:0xf
	v_and_b32_e32 v30, 1, v30
	v_cndmask_b32_e64 v30, v30, 1, s[4:5]
	v_cmp_lt_u32_e64 s[4:5], 1, v27
	v_cndmask_b32_e64 v29, v29, 0, vcc
	v_cmp_eq_u32_e32 vcc, 0, v26
	v_cndmask_b32_e64 v26, v26, v30, s[4:5]
	v_add_u32_e32 v28, v29, v28
	v_and_b32_e32 v31, 1, v26
	v_mov_b32_dpp v30, v26 row_shr:4 row_mask:0xf bank_mask:0xf
	v_mov_b32_dpp v29, v28 row_shr:2 row_mask:0xf bank_mask:0xf
	s_and_b64 vcc, s[4:5], vcc
	v_and_b32_e32 v30, 1, v30
	v_cmp_eq_u32_e64 s[4:5], 1, v31
	v_cndmask_b32_e32 v29, 0, v29, vcc
	v_cndmask_b32_e64 v30, v30, 1, s[4:5]
	v_cmp_lt_u32_e64 s[4:5], 3, v27
	v_add_u32_e32 v28, v29, v28
	v_cmp_eq_u32_e32 vcc, 0, v26
	v_cndmask_b32_e64 v26, v26, v30, s[4:5]
	v_mov_b32_dpp v29, v28 row_shr:4 row_mask:0xf bank_mask:0xf
	s_and_b64 vcc, s[4:5], vcc
	v_mov_b32_dpp v30, v26 row_shr:8 row_mask:0xf bank_mask:0xf
	v_and_b32_e32 v31, 1, v26
	v_cndmask_b32_e32 v29, 0, v29, vcc
	v_and_b32_e32 v30, 1, v30
	v_cmp_eq_u32_e64 s[4:5], 1, v31
	v_add_u32_e32 v28, v29, v28
	v_cmp_eq_u32_e32 vcc, 0, v26
	v_cndmask_b32_e64 v30, v30, 1, s[4:5]
	v_cmp_lt_u32_e64 s[4:5], 7, v27
	v_mov_b32_dpp v29, v28 row_shr:8 row_mask:0xf bank_mask:0xf
	s_and_b64 vcc, s[4:5], vcc
	v_cndmask_b32_e32 v27, 0, v29, vcc
	v_cndmask_b32_e64 v26, v26, v30, s[4:5]
	v_add_u32_e32 v27, v27, v28
	v_cmp_eq_u32_e32 vcc, 0, v26
	v_mov_b32_dpp v29, v26 row_bcast:15 row_mask:0xf bank_mask:0xf
	v_mov_b32_dpp v28, v27 row_bcast:15 row_mask:0xf bank_mask:0xf
	v_and_b32_e32 v32, 1, v26
	v_and_b32_e32 v31, 16, v46
	v_cndmask_b32_e32 v28, 0, v28, vcc
	v_and_b32_e32 v29, 1, v29
	v_cmp_eq_u32_e32 vcc, 1, v32
	v_bfe_i32 v30, v46, 4, 1
	v_cndmask_b32_e64 v29, v29, 1, vcc
	v_cmp_eq_u32_e32 vcc, 0, v31
	v_and_b32_e32 v28, v30, v28
	v_cndmask_b32_e32 v26, v29, v26, vcc
	v_add_u32_e32 v27, v28, v27
	v_and_b32_e32 v30, 1, v26
	v_mov_b32_dpp v28, v26 row_bcast:31 row_mask:0xf bank_mask:0xf
	v_and_b32_e32 v28, 1, v28
	v_cmp_eq_u32_e64 s[4:5], 1, v30
	v_cmp_eq_u32_e32 vcc, 0, v26
	v_cndmask_b32_e64 v28, v28, 1, s[4:5]
	v_cmp_lt_u32_e64 s[4:5], 31, v46
	v_mov_b32_dpp v29, v27 row_bcast:31 row_mask:0xf bank_mask:0xf
	s_and_b64 vcc, s[4:5], vcc
	v_cndmask_b32_e64 v28, v26, v28, s[4:5]
	v_cndmask_b32_e32 v26, 0, v29, vcc
	v_add_u32_e32 v29, v26, v27
	v_cmp_eq_u32_e32 vcc, v51, v0
	s_and_saveexec_b64 s[4:5], vcc
	s_cbranch_execz .LBB1839_95
; %bb.94:
	v_lshlrev_b32_e32 v26, 3, v1
	ds_write_b32 v26, v29
	ds_write_b8 v26, v28 offset:4
.LBB1839_95:
	s_or_b64 exec, exec, s[4:5]
	v_cmp_gt_u32_e32 vcc, 4, v0
	s_waitcnt lgkmcnt(0)
	s_barrier
	s_and_saveexec_b64 s[4:5], vcc
	s_cbranch_execz .LBB1839_99
; %bb.96:
	v_lshlrev_b32_e32 v30, 3, v0
	ds_read_b64 v[26:27], v30
	v_and_b32_e32 v31, 3, v46
	v_cmp_ne_u32_e32 vcc, 0, v31
	s_waitcnt lgkmcnt(0)
	v_mov_b32_dpp v32, v26 row_shr:1 row_mask:0xf bank_mask:0xf
	v_mov_b32_dpp v34, v27 row_shr:1 row_mask:0xf bank_mask:0xf
	v_mov_b32_e32 v33, v27
	s_and_saveexec_b64 s[34:35], vcc
	s_cbranch_execz .LBB1839_98
; %bb.97:
	v_and_b32_e32 v33, 1, v27
	v_and_b32_e32 v34, 1, v34
	v_cmp_eq_u32_e32 vcc, 1, v33
	v_mov_b32_e32 v33, 0
	v_cndmask_b32_e64 v34, v34, 1, vcc
	v_cmp_eq_u16_sdwa vcc, v27, v33 src0_sel:BYTE_0 src1_sel:DWORD
	v_cndmask_b32_e32 v32, 0, v32, vcc
	v_add_u32_e32 v26, v32, v26
	v_and_b32_e32 v32, 0xffff, v34
	s_movk_i32 s42, 0xff00
	v_and_or_b32 v33, v27, s42, v32
	v_mov_b32_e32 v27, v34
.LBB1839_98:
	s_or_b64 exec, exec, s[34:35]
	v_mov_b32_dpp v33, v33 row_shr:2 row_mask:0xf bank_mask:0xf
	v_and_b32_e32 v34, 1, v27
	v_and_b32_e32 v33, 1, v33
	v_cmp_eq_u32_e32 vcc, 1, v34
	v_mov_b32_e32 v34, 0
	v_cndmask_b32_e64 v33, v33, 1, vcc
	v_cmp_eq_u16_sdwa s[34:35], v27, v34 src0_sel:BYTE_0 src1_sel:DWORD
	v_cmp_lt_u32_e32 vcc, 1, v31
	v_mov_b32_dpp v32, v26 row_shr:2 row_mask:0xf bank_mask:0xf
	v_cndmask_b32_e32 v27, v27, v33, vcc
	s_and_b64 vcc, vcc, s[34:35]
	v_cndmask_b32_e32 v31, 0, v32, vcc
	v_add_u32_e32 v26, v31, v26
	ds_write_b32 v30, v26
	ds_write_b8 v30, v27 offset:4
.LBB1839_99:
	s_or_b64 exec, exec, s[4:5]
	v_cmp_gt_u32_e32 vcc, 64, v0
	v_cmp_lt_u32_e64 s[4:5], 63, v0
	v_mov_b32_e32 v42, 0
	v_mov_b32_e32 v43, 0
	s_waitcnt lgkmcnt(0)
	s_barrier
	s_and_saveexec_b64 s[34:35], s[4:5]
	s_cbranch_execz .LBB1839_101
; %bb.100:
	v_lshl_add_u32 v26, v1, 3, -8
	ds_read_b32 v42, v26
	ds_read_u8 v43, v26 offset:4
	v_and_b32_e32 v27, 1, v28
	v_cmp_eq_u32_e64 s[4:5], 0, v28
	s_waitcnt lgkmcnt(1)
	v_cndmask_b32_e64 v26, 0, v42, s[4:5]
	v_cmp_eq_u32_e64 s[4:5], 1, v27
	v_add_u32_e32 v29, v26, v29
	s_waitcnt lgkmcnt(0)
	v_cndmask_b32_e64 v28, v43, 1, s[4:5]
.LBB1839_101:
	s_or_b64 exec, exec, s[34:35]
	v_add_u32_e32 v26, -1, v46
	v_and_b32_e32 v27, 64, v46
	v_cmp_lt_i32_e64 s[4:5], v26, v27
	v_cndmask_b32_e64 v26, v26, v46, s[4:5]
	v_lshlrev_b32_e32 v26, 2, v26
	ds_bpermute_b32 v44, v26, v29
	ds_bpermute_b32 v45, v26, v28
	v_cmp_eq_u32_e64 s[34:35], 0, v46
	s_and_saveexec_b64 s[42:43], vcc
	s_cbranch_execz .LBB1839_124
; %bb.102:
	v_mov_b32_e32 v29, 0
	ds_read_b64 v[26:27], v29 offset:24
	s_waitcnt lgkmcnt(0)
	v_readfirstlane_b32 s52, v27
	s_and_saveexec_b64 s[4:5], s[34:35]
	s_cbranch_execz .LBB1839_104
; %bb.103:
	s_add_i32 s44, s59, 64
	s_mov_b32 s45, 0
	s_lshl_b64 s[48:49], s[44:45], 4
	s_add_u32 s48, s56, s48
	s_addc_u32 s49, s57, s49
	s_and_b32 s55, s52, 0xff000000
	s_mov_b32 s54, s45
	s_and_b32 s63, s52, 0xff0000
	s_mov_b32 s62, s45
	s_or_b64 s[54:55], s[62:63], s[54:55]
	s_and_b32 s63, s52, 0xff00
	s_or_b64 s[54:55], s[54:55], s[62:63]
	s_and_b32 s63, s52, 0xff
	s_or_b64 s[44:45], s[54:55], s[62:63]
	v_mov_b32_e32 v27, s45
	v_mov_b32_e32 v28, 1
	v_pk_mov_b32 v[30:31], s[48:49], s[48:49] op_sel:[0,1]
	;;#ASMSTART
	global_store_dwordx4 v[30:31], v[26:29] off	
s_waitcnt vmcnt(0)
	;;#ASMEND
.LBB1839_104:
	s_or_b64 exec, exec, s[4:5]
	v_xad_u32 v34, v46, -1, s59
	v_add_u32_e32 v28, 64, v34
	v_lshlrev_b64 v[30:31], 4, v[28:29]
	v_mov_b32_e32 v27, s57
	v_add_co_u32_e32 v36, vcc, s56, v30
	v_addc_co_u32_e32 v37, vcc, v27, v31, vcc
	;;#ASMSTART
	global_load_dwordx4 v[30:33], v[36:37] off glc	
s_waitcnt vmcnt(0)
	;;#ASMEND
	v_and_b32_e32 v27, 0xff0000, v30
	v_or_b32_sdwa v27, v30, v27 dst_sel:DWORD dst_unused:UNUSED_PAD src0_sel:WORD_0 src1_sel:DWORD
	v_and_b32_e32 v28, 0xff000000, v30
	v_and_b32_e32 v30, 0xff, v31
	v_or3_b32 v31, 0, 0, v30
	v_or3_b32 v30, v27, v28, 0
	v_cmp_eq_u16_sdwa s[44:45], v32, v29 src0_sel:BYTE_0 src1_sel:DWORD
	s_and_saveexec_b64 s[4:5], s[44:45]
	s_cbranch_execz .LBB1839_110
; %bb.105:
	s_mov_b32 s48, 1
	s_mov_b64 s[44:45], 0
	v_mov_b32_e32 v27, 0
.LBB1839_106:                           ; =>This Loop Header: Depth=1
                                        ;     Child Loop BB1839_107 Depth 2
	s_max_u32 s49, s48, 1
.LBB1839_107:                           ;   Parent Loop BB1839_106 Depth=1
                                        ; =>  This Inner Loop Header: Depth=2
	s_add_i32 s49, s49, -1
	s_cmp_eq_u32 s49, 0
	s_sleep 1
	s_cbranch_scc0 .LBB1839_107
; %bb.108:                              ;   in Loop: Header=BB1839_106 Depth=1
	s_cmp_lt_u32 s48, 32
	s_cselect_b64 s[54:55], -1, 0
	s_cmp_lg_u64 s[54:55], 0
	s_addc_u32 s48, s48, 0
	;;#ASMSTART
	global_load_dwordx4 v[30:33], v[36:37] off glc	
s_waitcnt vmcnt(0)
	;;#ASMEND
	v_cmp_ne_u16_sdwa s[54:55], v32, v27 src0_sel:BYTE_0 src1_sel:DWORD
	s_or_b64 s[44:45], s[54:55], s[44:45]
	s_andn2_b64 exec, exec, s[44:45]
	s_cbranch_execnz .LBB1839_106
; %bb.109:
	s_or_b64 exec, exec, s[44:45]
	v_and_b32_e32 v31, 0xff, v31
.LBB1839_110:
	s_or_b64 exec, exec, s[4:5]
	v_mov_b32_e32 v27, 2
	v_cmp_eq_u16_sdwa s[4:5], v32, v27 src0_sel:BYTE_0 src1_sel:DWORD
	v_lshlrev_b64 v[28:29], v46, -1
	v_and_b32_e32 v33, s5, v29
	v_or_b32_e32 v33, 0x80000000, v33
	v_and_b32_e32 v35, s4, v28
	v_ffbl_b32_e32 v33, v33
	v_and_b32_e32 v47, 63, v46
	v_add_u32_e32 v33, 32, v33
	v_ffbl_b32_e32 v35, v35
	v_cmp_ne_u32_e32 vcc, 63, v47
	v_min_u32_e32 v33, v35, v33
	v_addc_co_u32_e32 v35, vcc, 0, v46, vcc
	v_lshlrev_b32_e32 v48, 2, v35
	ds_bpermute_b32 v35, v48, v31
	ds_bpermute_b32 v36, v48, v30
	s_mov_b32 s44, 0
	v_and_b32_e32 v37, 1, v31
	s_mov_b32 s45, 1
	s_waitcnt lgkmcnt(1)
	v_and_b32_e32 v35, 1, v35
	v_cmp_eq_u32_e32 vcc, 1, v37
	v_cndmask_b32_e64 v35, v35, 1, vcc
	v_cmp_gt_u64_e32 vcc, s[44:45], v[30:31]
	v_cmp_lt_u32_e64 s[4:5], v47, v33
	s_and_b64 vcc, s[4:5], vcc
	v_and_b32_e32 v37, 0xffff, v35
	v_cndmask_b32_e64 v54, v31, v35, s[4:5]
	s_waitcnt lgkmcnt(0)
	v_cndmask_b32_e32 v35, 0, v36, vcc
	v_cmp_gt_u32_e32 vcc, 62, v47
	v_cndmask_b32_e64 v36, 0, 1, vcc
	v_lshlrev_b32_e32 v36, 1, v36
	v_cndmask_b32_e64 v31, v31, v37, s[4:5]
	v_add_lshl_u32 v49, v36, v46, 2
	ds_bpermute_b32 v36, v49, v31
	v_add_u32_e32 v30, v35, v30
	ds_bpermute_b32 v37, v49, v30
	v_and_b32_e32 v35, 1, v54
	v_cmp_eq_u32_e32 vcc, 1, v35
	s_waitcnt lgkmcnt(1)
	v_and_b32_e32 v36, 1, v36
	v_mov_b32_e32 v35, 0
	v_add_u32_e32 v53, 2, v47
	v_cndmask_b32_e64 v36, v36, 1, vcc
	v_cmp_eq_u16_sdwa vcc, v54, v35 src0_sel:BYTE_0 src1_sel:DWORD
	v_and_b32_e32 v55, 0xffff, v36
	s_waitcnt lgkmcnt(0)
	v_cndmask_b32_e32 v37, 0, v37, vcc
	v_cmp_gt_u32_e32 vcc, v53, v33
	v_cndmask_b32_e32 v36, v36, v54, vcc
	v_cndmask_b32_e64 v37, v37, 0, vcc
	v_cndmask_b32_e32 v31, v55, v31, vcc
	v_cmp_gt_u32_e32 vcc, 60, v47
	v_cndmask_b32_e64 v54, 0, 1, vcc
	v_lshlrev_b32_e32 v54, 2, v54
	v_add_lshl_u32 v54, v54, v46, 2
	ds_bpermute_b32 v56, v54, v31
	v_add_u32_e32 v30, v37, v30
	ds_bpermute_b32 v37, v54, v30
	v_and_b32_e32 v57, 1, v36
	v_cmp_eq_u32_e32 vcc, 1, v57
	s_waitcnt lgkmcnt(1)
	v_and_b32_e32 v56, 1, v56
	v_add_u32_e32 v55, 4, v47
	v_cndmask_b32_e64 v56, v56, 1, vcc
	v_cmp_eq_u16_sdwa vcc, v36, v35 src0_sel:BYTE_0 src1_sel:DWORD
	v_and_b32_e32 v57, 0xffff, v56
	s_waitcnt lgkmcnt(0)
	v_cndmask_b32_e32 v37, 0, v37, vcc
	v_cmp_gt_u32_e32 vcc, v55, v33
	v_cndmask_b32_e32 v36, v56, v36, vcc
	v_cndmask_b32_e64 v37, v37, 0, vcc
	v_cndmask_b32_e32 v31, v57, v31, vcc
	v_cmp_gt_u32_e32 vcc, 56, v47
	v_cndmask_b32_e64 v56, 0, 1, vcc
	v_lshlrev_b32_e32 v56, 3, v56
	v_add_lshl_u32 v56, v56, v46, 2
	ds_bpermute_b32 v58, v56, v31
	v_add_u32_e32 v30, v37, v30
	ds_bpermute_b32 v37, v56, v30
	v_and_b32_e32 v59, 1, v36
	v_cmp_eq_u32_e32 vcc, 1, v59
	s_waitcnt lgkmcnt(1)
	v_and_b32_e32 v58, 1, v58
	;; [unrolled: 21-line block ×4, first 2 shown]
	v_add_u32_e32 v62, 32, v47
	v_cndmask_b32_e64 v31, v31, 1, vcc
	v_cmp_eq_u16_sdwa vcc, v36, v35 src0_sel:BYTE_0 src1_sel:DWORD
	s_waitcnt lgkmcnt(0)
	v_cndmask_b32_e32 v37, 0, v37, vcc
	v_cmp_gt_u32_e32 vcc, v62, v33
	v_cndmask_b32_e64 v33, v37, 0, vcc
	v_cndmask_b32_e32 v31, v31, v36, vcc
	v_add_u32_e32 v30, v33, v30
	s_branch .LBB1839_112
.LBB1839_111:                           ;   in Loop: Header=BB1839_112 Depth=1
	s_or_b64 exec, exec, s[4:5]
	v_cmp_eq_u16_sdwa s[4:5], v32, v27 src0_sel:BYTE_0 src1_sel:DWORD
	v_and_b32_e32 v33, s5, v29
	ds_bpermute_b32 v37, v48, v31
	v_or_b32_e32 v33, 0x80000000, v33
	v_and_b32_e32 v36, s4, v28
	v_ffbl_b32_e32 v33, v33
	v_add_u32_e32 v33, 32, v33
	v_ffbl_b32_e32 v36, v36
	v_min_u32_e32 v33, v36, v33
	ds_bpermute_b32 v36, v48, v30
	v_and_b32_e32 v63, 1, v31
	s_waitcnt lgkmcnt(1)
	v_and_b32_e32 v37, 1, v37
	v_cmp_eq_u32_e32 vcc, 1, v63
	v_cndmask_b32_e64 v37, v37, 1, vcc
	v_cmp_gt_u64_e32 vcc, s[44:45], v[30:31]
	v_and_b32_e32 v63, 0xffff, v37
	v_cmp_lt_u32_e64 s[4:5], v47, v33
	v_cndmask_b32_e64 v37, v31, v37, s[4:5]
	v_cndmask_b32_e64 v31, v31, v63, s[4:5]
	s_and_b64 vcc, s[4:5], vcc
	ds_bpermute_b32 v63, v49, v31
	s_waitcnt lgkmcnt(1)
	v_cndmask_b32_e32 v36, 0, v36, vcc
	v_add_u32_e32 v30, v36, v30
	ds_bpermute_b32 v36, v49, v30
	v_and_b32_e32 v64, 1, v37
	s_waitcnt lgkmcnt(1)
	v_and_b32_e32 v63, 1, v63
	v_cmp_eq_u32_e32 vcc, 1, v64
	v_cndmask_b32_e64 v63, v63, 1, vcc
	v_cmp_eq_u16_sdwa vcc, v37, v35 src0_sel:BYTE_0 src1_sel:DWORD
	v_and_b32_e32 v64, 0xffff, v63
	s_waitcnt lgkmcnt(0)
	v_cndmask_b32_e32 v36, 0, v36, vcc
	v_cmp_gt_u32_e32 vcc, v53, v33
	v_cndmask_b32_e32 v31, v64, v31, vcc
	v_cndmask_b32_e32 v37, v63, v37, vcc
	ds_bpermute_b32 v63, v54, v31
	v_cndmask_b32_e64 v36, v36, 0, vcc
	v_add_u32_e32 v30, v36, v30
	ds_bpermute_b32 v36, v54, v30
	v_and_b32_e32 v64, 1, v37
	s_waitcnt lgkmcnt(1)
	v_and_b32_e32 v63, 1, v63
	v_cmp_eq_u32_e32 vcc, 1, v64
	v_cndmask_b32_e64 v63, v63, 1, vcc
	v_cmp_eq_u16_sdwa vcc, v37, v35 src0_sel:BYTE_0 src1_sel:DWORD
	v_and_b32_e32 v64, 0xffff, v63
	s_waitcnt lgkmcnt(0)
	v_cndmask_b32_e32 v36, 0, v36, vcc
	v_cmp_gt_u32_e32 vcc, v55, v33
	v_cndmask_b32_e32 v31, v64, v31, vcc
	v_cndmask_b32_e32 v37, v63, v37, vcc
	ds_bpermute_b32 v63, v56, v31
	v_cndmask_b32_e64 v36, v36, 0, vcc
	;; [unrolled: 16-line block ×3, first 2 shown]
	v_add_u32_e32 v30, v36, v30
	ds_bpermute_b32 v36, v58, v30
	v_and_b32_e32 v64, 1, v37
	s_waitcnt lgkmcnt(1)
	v_and_b32_e32 v63, 1, v63
	v_cmp_eq_u32_e32 vcc, 1, v64
	v_cndmask_b32_e64 v63, v63, 1, vcc
	v_cmp_eq_u16_sdwa vcc, v37, v35 src0_sel:BYTE_0 src1_sel:DWORD
	v_and_b32_e32 v64, 0xffff, v63
	s_waitcnt lgkmcnt(0)
	v_cndmask_b32_e32 v36, 0, v36, vcc
	v_cmp_gt_u32_e32 vcc, v59, v33
	v_cndmask_b32_e64 v36, v36, 0, vcc
	v_cndmask_b32_e32 v31, v64, v31, vcc
	ds_bpermute_b32 v31, v61, v31
	v_add_u32_e32 v30, v36, v30
	ds_bpermute_b32 v36, v61, v30
	v_cndmask_b32_e32 v37, v63, v37, vcc
	v_and_b32_e32 v63, 1, v37
	v_cmp_eq_u32_e32 vcc, 1, v63
	s_waitcnt lgkmcnt(1)
	v_cndmask_b32_e64 v31, v31, 1, vcc
	v_cmp_eq_u16_sdwa vcc, v37, v35 src0_sel:BYTE_0 src1_sel:DWORD
	s_waitcnt lgkmcnt(0)
	v_cndmask_b32_e32 v36, 0, v36, vcc
	v_cmp_gt_u32_e32 vcc, v62, v33
	v_cndmask_b32_e64 v33, v36, 0, vcc
	v_cndmask_b32_e32 v31, v31, v37, vcc
	v_add_u32_e32 v30, v33, v30
	v_cmp_eq_u16_sdwa vcc, v46, v35 src0_sel:BYTE_0 src1_sel:DWORD
	v_and_b32_e32 v33, 1, v46
	v_cndmask_b32_e32 v30, 0, v30, vcc
	v_and_b32_e32 v31, 1, v31
	v_cmp_eq_u32_e32 vcc, 1, v33
	v_subrev_u32_e32 v34, 64, v34
	v_add_u32_e32 v30, v30, v60
	v_cndmask_b32_e64 v31, v31, 1, vcc
.LBB1839_112:                           ; =>This Loop Header: Depth=1
                                        ;     Child Loop BB1839_115 Depth 2
                                        ;       Child Loop BB1839_116 Depth 3
	v_cmp_ne_u16_sdwa s[4:5], v32, v27 src0_sel:BYTE_0 src1_sel:DWORD
	v_mov_b32_e32 v46, v31
	v_cndmask_b32_e64 v31, 0, 1, s[4:5]
	;;#ASMSTART
	;;#ASMEND
	v_cmp_ne_u32_e32 vcc, 0, v31
	s_cmp_lg_u64 vcc, exec
	v_mov_b32_e32 v60, v30
	s_cbranch_scc1 .LBB1839_119
; %bb.113:                              ;   in Loop: Header=BB1839_112 Depth=1
	v_lshlrev_b64 v[30:31], 4, v[34:35]
	v_mov_b32_e32 v32, s57
	v_add_co_u32_e32 v36, vcc, s56, v30
	v_addc_co_u32_e32 v37, vcc, v32, v31, vcc
	;;#ASMSTART
	global_load_dwordx4 v[30:33], v[36:37] off glc	
s_waitcnt vmcnt(0)
	;;#ASMEND
	v_and_b32_e32 v33, 0xff0000, v30
	v_or_b32_sdwa v33, v30, v33 dst_sel:DWORD dst_unused:UNUSED_PAD src0_sel:WORD_0 src1_sel:DWORD
	v_and_b32_e32 v30, 0xff000000, v30
	v_and_b32_e32 v31, 0xff, v31
	v_or3_b32 v31, 0, 0, v31
	v_or3_b32 v30, v33, v30, 0
	v_cmp_eq_u16_sdwa s[48:49], v32, v35 src0_sel:BYTE_0 src1_sel:DWORD
	s_and_saveexec_b64 s[4:5], s[48:49]
	s_cbranch_execz .LBB1839_111
; %bb.114:                              ;   in Loop: Header=BB1839_112 Depth=1
	s_mov_b32 s53, 1
	s_mov_b64 s[48:49], 0
.LBB1839_115:                           ;   Parent Loop BB1839_112 Depth=1
                                        ; =>  This Loop Header: Depth=2
                                        ;       Child Loop BB1839_116 Depth 3
	s_max_u32 s54, s53, 1
.LBB1839_116:                           ;   Parent Loop BB1839_112 Depth=1
                                        ;     Parent Loop BB1839_115 Depth=2
                                        ; =>    This Inner Loop Header: Depth=3
	s_add_i32 s54, s54, -1
	s_cmp_eq_u32 s54, 0
	s_sleep 1
	s_cbranch_scc0 .LBB1839_116
; %bb.117:                              ;   in Loop: Header=BB1839_115 Depth=2
	s_cmp_lt_u32 s53, 32
	s_cselect_b64 s[54:55], -1, 0
	s_cmp_lg_u64 s[54:55], 0
	s_addc_u32 s53, s53, 0
	;;#ASMSTART
	global_load_dwordx4 v[30:33], v[36:37] off glc	
s_waitcnt vmcnt(0)
	;;#ASMEND
	v_cmp_ne_u16_sdwa s[54:55], v32, v35 src0_sel:BYTE_0 src1_sel:DWORD
	s_or_b64 s[48:49], s[54:55], s[48:49]
	s_andn2_b64 exec, exec, s[48:49]
	s_cbranch_execnz .LBB1839_115
; %bb.118:                              ;   in Loop: Header=BB1839_112 Depth=1
	s_or_b64 exec, exec, s[48:49]
	v_and_b32_e32 v31, 0xff, v31
	s_branch .LBB1839_111
.LBB1839_119:                           ;   in Loop: Header=BB1839_112 Depth=1
                                        ; implicit-def: $vgpr31
                                        ; implicit-def: $vgpr30
                                        ; implicit-def: $vgpr32
	s_cbranch_execz .LBB1839_112
; %bb.120:
	s_and_saveexec_b64 s[4:5], s[34:35]
	s_cbranch_execz .LBB1839_122
; %bb.121:
	s_and_b32 s44, s52, 0xff
	s_cmp_eq_u32 s44, 0
	s_cselect_b64 vcc, -1, 0
	s_bitcmp1_b32 s52, 0
	s_mov_b32 s45, 0
	s_cselect_b64 s[48:49], -1, 0
	s_add_i32 s44, s59, 64
	s_lshl_b64 s[44:45], s[44:45], 4
	v_cndmask_b32_e32 v27, 0, v60, vcc
	s_add_u32 s44, s56, s44
	v_add_u32_e32 v26, v27, v26
	v_and_b32_e32 v27, 1, v46
	s_addc_u32 s45, s57, s45
	v_mov_b32_e32 v29, 0
	v_cndmask_b32_e64 v27, v27, 1, s[48:49]
	v_mov_b32_e32 v28, 2
	v_pk_mov_b32 v[30:31], s[44:45], s[44:45] op_sel:[0,1]
	;;#ASMSTART
	global_store_dwordx4 v[30:31], v[26:29] off	
s_waitcnt vmcnt(0)
	;;#ASMEND
.LBB1839_122:
	s_or_b64 exec, exec, s[4:5]
	s_and_b64 exec, exec, s[0:1]
	s_cbranch_execz .LBB1839_124
; %bb.123:
	v_mov_b32_e32 v26, 0
	ds_write_b32 v26, v60 offset:24
	ds_write_b8 v26, v46 offset:28
.LBB1839_124:
	s_or_b64 exec, exec, s[42:43]
	s_mov_b32 s4, 0
	v_mov_b32_e32 v28, 0
	s_mov_b32 s5, 1
	s_waitcnt lgkmcnt(0)
	v_cndmask_b32_e64 v26, v45, v43, s[34:35]
	v_cndmask_b32_e64 v27, v44, v42, s[34:35]
	s_barrier
	ds_read_b32 v29, v28 offset:24
	v_cmp_gt_u64_e32 vcc, s[4:5], v[38:39]
	v_and_b32_e32 v30, 1, v39
	v_cndmask_b32_e32 v27, 0, v27, vcc
	v_and_b32_e32 v26, 1, v26
	v_cmp_eq_u32_e32 vcc, 1, v30
	v_cndmask_b32_e64 v26, v26, 1, vcc
	v_cndmask_b32_e64 v26, v26, v39, s[0:1]
	v_cmp_eq_u16_sdwa vcc, v26, v28 src0_sel:BYTE_0 src1_sel:DWORD
	v_cndmask_b32_e64 v27, v27, 0, s[0:1]
	s_waitcnt lgkmcnt(0)
	v_cndmask_b32_e32 v26, 0, v29, vcc
	v_add3_u32 v26, v27, v38, v26
	v_cndmask_b32_e64 v27, 0, v26, s[6:7]
	v_add_u32_e32 v27, v27, v2
	v_cndmask_b32_e64 v28, 0, v27, s[8:9]
	v_add_u32_e32 v42, v28, v4
	;; [unrolled: 2-line block ×13, first 2 shown]
	s_branch .LBB1839_141
.LBB1839_125:
                                        ; implicit-def: $vgpr49
                                        ; implicit-def: $vgpr47
                                        ; implicit-def: $vgpr45
                                        ; implicit-def: $vgpr43
                                        ; implicit-def: $vgpr34_vgpr35_vgpr36_vgpr37
                                        ; implicit-def: $vgpr30_vgpr31_vgpr32_vgpr33
                                        ; implicit-def: $vgpr26_vgpr27_vgpr28_vgpr29
	s_cbranch_execz .LBB1839_141
; %bb.126:
	s_cmp_lg_u64 s[60:61], 0
	s_cselect_b32 s9, s51, 0
	s_cselect_b32 s8, s50, 0
	s_cmp_lg_u64 s[8:9], 0
	s_cselect_b64 s[6:7], -1, 0
	s_mov_b32 s4, 0
	s_and_b64 s[10:11], s[0:1], s[6:7]
	s_and_saveexec_b64 s[6:7], s[10:11]
	s_cbranch_execz .LBB1839_128
; %bb.127:
	v_mov_b32_e32 v26, 0
	global_load_dword v28, v26, s[8:9]
	global_load_ubyte v29, v26, s[8:9] offset:4
	s_mov_b32 s5, 1
	v_and_b32_e32 v27, 1, v39
	v_cmp_gt_u64_e32 vcc, s[4:5], v[38:39]
	s_waitcnt vmcnt(1)
	v_cndmask_b32_e32 v28, 0, v28, vcc
	s_waitcnt vmcnt(0)
	v_and_b32_e32 v29, 1, v29
	v_cmp_eq_u64_e32 vcc, 0, v[26:27]
	v_add_u32_e32 v38, v28, v38
	v_cndmask_b32_e32 v39, 1, v29, vcc
.LBB1839_128:
	s_or_b64 exec, exec, s[6:7]
	s_mov_b32 s5, 1
	v_cmp_gt_u64_e32 vcc, s[4:5], v[2:3]
	v_cndmask_b32_e32 v26, 0, v38, vcc
	v_add_u32_e32 v27, v26, v2
	v_cmp_gt_u64_e64 s[6:7], s[4:5], v[4:5]
	v_cndmask_b32_e64 v26, 0, v27, s[6:7]
	v_add_u32_e32 v42, v26, v4
	v_cmp_gt_u64_e64 s[8:9], s[4:5], v[6:7]
	v_cndmask_b32_e64 v26, 0, v42, s[8:9]
	;; [unrolled: 3-line block ×6, first 2 shown]
	v_add_u32_e32 v45, v26, v14
	v_cmp_gt_u64_e64 s[18:19], s[4:5], v[16:17]
	v_mov_b32_e32 v28, 0
	v_cndmask_b32_e64 v26, 0, v45, s[18:19]
	v_or3_b32 v7, v23, v15, v7
	v_add_u32_e32 v34, v26, v16
	v_cmp_gt_u64_e64 s[20:21], s[4:5], v[18:19]
	v_or3_b32 v9, v25, v17, v9
	v_and_b32_e32 v55, 1, v7
	v_mov_b32_e32 v54, v28
	v_cndmask_b32_e64 v26, 0, v34, s[20:21]
	v_or3_b32 v3, v19, v11, v3
	v_and_b32_e32 v37, 1, v9
	v_mov_b32_e32 v36, v28
	v_cmp_ne_u64_e64 s[30:31], 0, v[54:55]
	v_add_u32_e32 v35, v26, v18
	v_cmp_gt_u64_e64 s[22:23], s[4:5], v[20:21]
	v_or3_b32 v5, v21, v13, v5
	v_and_b32_e32 v29, 1, v3
	v_cndmask_b32_e64 v3, 0, 1, s[30:31]
	v_cmp_ne_u64_e64 s[30:31], 0, v[36:37]
	v_cndmask_b32_e64 v26, 0, v35, s[22:23]
	v_and_b32_e32 v33, 1, v5
	v_mov_b32_e32 v32, v28
	v_cndmask_b32_e64 v5, 0, 1, s[30:31]
	v_add_u32_e32 v46, v26, v20
	v_cmp_gt_u64_e64 s[24:25], s[4:5], v[22:23]
	v_lshlrev_b16_e32 v3, 2, v3
	v_lshlrev_b16_e32 v5, 3, v5
	v_cmp_ne_u64_e64 s[30:31], 0, v[32:33]
	v_cndmask_b32_e64 v26, 0, v46, s[24:25]
	v_or_b32_e32 v3, v5, v3
	v_cndmask_b32_e64 v5, 0, 1, s[30:31]
	v_cmp_ne_u64_e64 s[30:31], 0, v[28:29]
	v_add_u32_e32 v47, v26, v22
	v_cmp_gt_u64_e64 s[26:27], s[4:5], v[24:25]
	v_lshlrev_b16_e32 v5, 1, v5
	v_cndmask_b32_e64 v7, 0, 1, s[30:31]
	v_cndmask_b32_e64 v26, 0, v47, s[26:27]
	v_or_b32_e32 v5, v7, v5
	v_add_u32_e32 v48, v26, v24
	v_cmp_gt_u64_e64 s[28:29], s[4:5], v[40:41]
	v_and_b32_e32 v5, 3, v5
	v_cndmask_b32_e64 v26, 0, v48, s[28:29]
	v_or_b32_e32 v3, v5, v3
	v_add_u32_e32 v49, v26, v40
	v_and_b32_e32 v26, 1, v41
	v_and_b32_e32 v3, 15, v3
	v_cmp_eq_u32_e64 s[4:5], 1, v26
	v_cmp_ne_u16_e64 s[30:31], 0, v3
	s_or_b64 s[4:5], s[4:5], s[30:31]
	v_cndmask_b32_e64 v5, v39, 1, s[4:5]
	v_mbcnt_hi_u32_b32 v3, -1, v52
	v_mov_b32_dpp v9, v49 row_shr:1 row_mask:0xf bank_mask:0xf
	v_mov_b32_dpp v11, v5 row_shr:1 row_mask:0xf bank_mask:0xf
	v_cmp_eq_u32_e64 s[4:5], 0, v5
	v_and_b32_e32 v13, 1, v5
	v_and_b32_e32 v7, 15, v3
	v_cndmask_b32_e64 v9, 0, v9, s[4:5]
	v_and_b32_e32 v11, 1, v11
	v_cmp_eq_u32_e64 s[4:5], 1, v13
	v_cndmask_b32_e64 v11, v11, 1, s[4:5]
	v_cmp_eq_u32_e64 s[4:5], 0, v7
	v_cndmask_b32_e64 v5, v11, v5, s[4:5]
	v_and_b32_e32 v15, 1, v5
	v_cmp_eq_u32_e64 s[30:31], 1, v15
	v_mov_b32_dpp v13, v5 row_shr:2 row_mask:0xf bank_mask:0xf
	v_and_b32_e32 v13, 1, v13
	v_cndmask_b32_e64 v13, v13, 1, s[30:31]
	v_cmp_lt_u32_e64 s[30:31], 1, v7
	v_cndmask_b32_e64 v9, v9, 0, s[4:5]
	v_cmp_eq_u32_e64 s[4:5], 0, v5
	v_cndmask_b32_e64 v5, v5, v13, s[30:31]
	v_add_u32_e32 v9, v49, v9
	v_and_b32_e32 v15, 1, v5
	v_mov_b32_dpp v13, v5 row_shr:4 row_mask:0xf bank_mask:0xf
	v_mov_b32_dpp v11, v9 row_shr:2 row_mask:0xf bank_mask:0xf
	s_and_b64 s[4:5], s[30:31], s[4:5]
	v_and_b32_e32 v13, 1, v13
	v_cmp_eq_u32_e64 s[30:31], 1, v15
	v_cndmask_b32_e64 v11, 0, v11, s[4:5]
	v_cndmask_b32_e64 v13, v13, 1, s[30:31]
	v_cmp_lt_u32_e64 s[30:31], 3, v7
	v_add_u32_e32 v9, v9, v11
	v_cmp_eq_u32_e64 s[4:5], 0, v5
	v_cndmask_b32_e64 v5, v5, v13, s[30:31]
	v_mov_b32_dpp v11, v9 row_shr:4 row_mask:0xf bank_mask:0xf
	s_and_b64 s[4:5], s[30:31], s[4:5]
	v_mov_b32_dpp v13, v5 row_shr:8 row_mask:0xf bank_mask:0xf
	v_and_b32_e32 v15, 1, v5
	v_cndmask_b32_e64 v11, 0, v11, s[4:5]
	v_and_b32_e32 v13, 1, v13
	v_cmp_eq_u32_e64 s[30:31], 1, v15
	v_add_u32_e32 v9, v9, v11
	v_cmp_eq_u32_e64 s[4:5], 0, v5
	v_cndmask_b32_e64 v13, v13, 1, s[30:31]
	v_cmp_lt_u32_e64 s[30:31], 7, v7
	v_mov_b32_dpp v11, v9 row_shr:8 row_mask:0xf bank_mask:0xf
	s_and_b64 s[4:5], s[30:31], s[4:5]
	v_cndmask_b32_e64 v7, 0, v11, s[4:5]
	v_cndmask_b32_e64 v5, v5, v13, s[30:31]
	v_add_u32_e32 v7, v9, v7
	v_cmp_eq_u32_e64 s[4:5], 0, v5
	v_mov_b32_dpp v11, v5 row_bcast:15 row_mask:0xf bank_mask:0xf
	v_mov_b32_dpp v9, v7 row_bcast:15 row_mask:0xf bank_mask:0xf
	v_and_b32_e32 v17, 1, v5
	v_and_b32_e32 v15, 16, v3
	v_cndmask_b32_e64 v9, 0, v9, s[4:5]
	v_and_b32_e32 v11, 1, v11
	v_cmp_eq_u32_e64 s[4:5], 1, v17
	v_bfe_i32 v13, v3, 4, 1
	v_cndmask_b32_e64 v11, v11, 1, s[4:5]
	v_cmp_eq_u32_e64 s[4:5], 0, v15
	v_and_b32_e32 v9, v13, v9
	v_cndmask_b32_e64 v5, v11, v5, s[4:5]
	v_add_u32_e32 v9, v7, v9
	v_and_b32_e32 v13, 1, v5
	v_mov_b32_dpp v7, v5 row_bcast:31 row_mask:0xf bank_mask:0xf
	v_and_b32_e32 v7, 1, v7
	v_cmp_eq_u32_e64 s[30:31], 1, v13
	v_cmp_eq_u32_e64 s[4:5], 0, v5
	v_cndmask_b32_e64 v7, v7, 1, s[30:31]
	v_cmp_lt_u32_e64 s[30:31], 31, v3
	v_mov_b32_dpp v11, v9 row_bcast:31 row_mask:0xf bank_mask:0xf
	s_and_b64 s[4:5], s[30:31], s[4:5]
	v_cndmask_b32_e64 v7, v5, v7, s[30:31]
	v_cndmask_b32_e64 v5, 0, v11, s[4:5]
	v_add_u32_e32 v5, v9, v5
	v_cmp_eq_u32_e64 s[4:5], v51, v0
	s_and_saveexec_b64 s[30:31], s[4:5]
	s_cbranch_execz .LBB1839_130
; %bb.129:
	v_lshlrev_b32_e32 v9, 3, v1
	ds_write_b32 v9, v5
	ds_write_b8 v9, v7 offset:4
.LBB1839_130:
	s_or_b64 exec, exec, s[30:31]
	v_cmp_gt_u32_e64 s[4:5], 4, v0
	s_waitcnt lgkmcnt(0)
	s_barrier
	s_and_saveexec_b64 s[30:31], s[4:5]
	s_cbranch_execz .LBB1839_134
; %bb.131:
	v_lshlrev_b32_e32 v9, 3, v0
	ds_read_b64 v[28:29], v9
	v_and_b32_e32 v11, 3, v3
	v_cmp_ne_u32_e64 s[4:5], 0, v11
	s_waitcnt lgkmcnt(0)
	v_mov_b32_dpp v13, v28 row_shr:1 row_mask:0xf bank_mask:0xf
	v_mov_b32_dpp v17, v29 row_shr:1 row_mask:0xf bank_mask:0xf
	v_mov_b32_e32 v15, v29
	s_and_saveexec_b64 s[34:35], s[4:5]
	s_cbranch_execz .LBB1839_133
; %bb.132:
	v_and_b32_e32 v15, 1, v29
	v_and_b32_e32 v17, 1, v17
	v_cmp_eq_u32_e64 s[4:5], 1, v15
	v_mov_b32_e32 v15, 0
	v_cndmask_b32_e64 v17, v17, 1, s[4:5]
	v_cmp_eq_u16_sdwa s[4:5], v29, v15 src0_sel:BYTE_0 src1_sel:DWORD
	v_cndmask_b32_e64 v13, 0, v13, s[4:5]
	v_add_u32_e32 v28, v13, v28
	v_and_b32_e32 v13, 0xffff, v17
	s_movk_i32 s4, 0xff00
	v_and_or_b32 v15, v29, s4, v13
	v_mov_b32_e32 v29, v17
.LBB1839_133:
	s_or_b64 exec, exec, s[34:35]
	v_mov_b32_dpp v15, v15 row_shr:2 row_mask:0xf bank_mask:0xf
	v_and_b32_e32 v17, 1, v29
	v_and_b32_e32 v15, 1, v15
	v_cmp_eq_u32_e64 s[4:5], 1, v17
	v_mov_b32_e32 v17, 0
	v_cndmask_b32_e64 v15, v15, 1, s[4:5]
	v_cmp_eq_u16_sdwa s[34:35], v29, v17 src0_sel:BYTE_0 src1_sel:DWORD
	v_cmp_lt_u32_e64 s[4:5], 1, v11
	v_mov_b32_dpp v13, v28 row_shr:2 row_mask:0xf bank_mask:0xf
	v_cndmask_b32_e64 v11, v29, v15, s[4:5]
	s_and_b64 s[4:5], s[4:5], s[34:35]
	v_cndmask_b32_e64 v13, 0, v13, s[4:5]
	v_add_u32_e32 v13, v13, v28
	ds_write_b32 v9, v13
	ds_write_b8 v9, v11 offset:4
.LBB1839_134:
	s_or_b64 exec, exec, s[30:31]
	v_cmp_lt_u32_e64 s[4:5], 63, v0
	v_mov_b32_e32 v9, 0
	s_waitcnt lgkmcnt(0)
	s_barrier
	s_and_saveexec_b64 s[30:31], s[4:5]
	s_cbranch_execz .LBB1839_136
; %bb.135:
	v_lshl_add_u32 v1, v1, 3, -8
	ds_read_b32 v9, v1
	v_cmp_eq_u32_e64 s[4:5], 0, v7
	s_waitcnt lgkmcnt(0)
	v_cndmask_b32_e64 v1, 0, v9, s[4:5]
	v_add_u32_e32 v5, v1, v5
.LBB1839_136:
	s_or_b64 exec, exec, s[30:31]
	v_add_u32_e32 v1, -1, v3
	v_and_b32_e32 v7, 64, v3
	v_cmp_lt_i32_e64 s[4:5], v1, v7
	v_cndmask_b32_e64 v1, v1, v3, s[4:5]
	v_lshlrev_b32_e32 v1, 2, v1
	ds_bpermute_b32 v1, v1, v5
	s_and_saveexec_b64 s[30:31], s[36:37]
	s_cbranch_execz .LBB1839_138
; %bb.137:
	v_and_b32_e32 v27, 0xff, v39
	v_mov_b32_e32 v26, 0
	v_cmp_eq_u32_e64 s[4:5], 0, v3
	s_waitcnt lgkmcnt(0)
	v_cndmask_b32_e64 v1, v1, v9, s[4:5]
	v_cmp_eq_u64_e64 s[4:5], 0, v[26:27]
	v_cndmask_b32_e64 v1, 0, v1, s[4:5]
	v_add_u32_e32 v38, v1, v38
	v_cndmask_b32_e32 v1, 0, v38, vcc
	v_add_u32_e32 v27, v1, v2
	v_cndmask_b32_e64 v1, 0, v27, s[6:7]
	v_add_u32_e32 v42, v1, v4
	v_cndmask_b32_e64 v1, 0, v42, s[8:9]
	;; [unrolled: 2-line block ×12, first 2 shown]
	v_add_u32_e32 v49, v1, v40
	;;#ASMSTART
	;;#ASMEND
.LBB1839_138:
	s_or_b64 exec, exec, s[30:31]
	s_and_saveexec_b64 s[4:5], s[0:1]
	s_cbranch_execz .LBB1839_140
; %bb.139:
	v_mov_b32_e32 v5, 0
	ds_read_b32 v2, v5 offset:24
	ds_read_u8 v3, v5 offset:28
	s_add_u32 s0, s56, 0x400
	s_addc_u32 s1, s57, 0
	v_mov_b32_e32 v4, 2
	v_pk_mov_b32 v[6:7], s[0:1], s[0:1] op_sel:[0,1]
	s_waitcnt lgkmcnt(0)
	;;#ASMSTART
	global_store_dwordx4 v[6:7], v[2:5] off	
s_waitcnt vmcnt(0)
	;;#ASMEND
.LBB1839_140:
	s_or_b64 exec, exec, s[4:5]
	v_mov_b32_e32 v26, v38
.LBB1839_141:
	s_add_u32 s0, s46, s38
	s_addc_u32 s1, s47, s39
	s_add_u32 s4, s0, s40
	s_waitcnt lgkmcnt(0)
	v_mul_u32_u24_e32 v1, 14, v0
	s_addc_u32 s5, s1, s41
	s_and_b64 vcc, exec, s[2:3]
	v_lshlrev_b32_e32 v2, 2, v1
	s_cbranch_vccz .LBB1839_169
; %bb.142:
	s_movk_i32 s0, 0xffcc
	v_mad_i32_i24 v3, v0, s0, v2
	s_barrier
	ds_write2_b64 v2, v[26:27], v[42:43] offset1:1
	ds_write2_b64 v2, v[30:31], v[44:45] offset0:2 offset1:3
	ds_write2_b64 v2, v[34:35], v[46:47] offset0:4 offset1:5
	ds_write_b64 v2, v[48:49] offset:48
	s_waitcnt lgkmcnt(0)
	s_barrier
	ds_read2st64_b32 v[16:17], v3 offset0:4 offset1:8
	ds_read2st64_b32 v[14:15], v3 offset0:12 offset1:16
	;; [unrolled: 1-line block ×6, first 2 shown]
	ds_read_b32 v3, v3 offset:13312
	v_mov_b32_e32 v7, s5
	v_add_co_u32_e32 v6, vcc, s4, v50
	s_add_i32 s33, s33, s58
	v_addc_co_u32_e32 v7, vcc, 0, v7, vcc
	v_mov_b32_e32 v1, 0
	v_cmp_gt_u32_e32 vcc, s33, v0
	s_and_saveexec_b64 s[0:1], vcc
	s_cbranch_execz .LBB1839_144
; %bb.143:
	v_mul_i32_i24_e32 v18, 0xffffffcc, v0
	v_add_u32_e32 v18, v2, v18
	ds_read_b32 v18, v18
	s_waitcnt lgkmcnt(0)
	flat_store_dword v[6:7], v18
.LBB1839_144:
	s_or_b64 exec, exec, s[0:1]
	v_or_b32_e32 v18, 0x100, v0
	v_cmp_gt_u32_e32 vcc, s33, v18
	s_and_saveexec_b64 s[0:1], vcc
	s_cbranch_execz .LBB1839_146
; %bb.145:
	s_waitcnt lgkmcnt(0)
	flat_store_dword v[6:7], v16 offset:1024
.LBB1839_146:
	s_or_b64 exec, exec, s[0:1]
	s_waitcnt lgkmcnt(0)
	v_or_b32_e32 v16, 0x200, v0
	v_cmp_gt_u32_e32 vcc, s33, v16
	s_and_saveexec_b64 s[0:1], vcc
	s_cbranch_execz .LBB1839_148
; %bb.147:
	flat_store_dword v[6:7], v17 offset:2048
.LBB1839_148:
	s_or_b64 exec, exec, s[0:1]
	v_or_b32_e32 v16, 0x300, v0
	v_cmp_gt_u32_e32 vcc, s33, v16
	s_and_saveexec_b64 s[0:1], vcc
	s_cbranch_execz .LBB1839_150
; %bb.149:
	flat_store_dword v[6:7], v14 offset:3072
.LBB1839_150:
	s_or_b64 exec, exec, s[0:1]
	v_or_b32_e32 v14, 0x400, v0
	v_cmp_gt_u32_e32 vcc, s33, v14
	s_and_saveexec_b64 s[0:1], vcc
	s_cbranch_execz .LBB1839_152
; %bb.151:
	v_add_co_u32_e32 v16, vcc, 0x1000, v6
	v_addc_co_u32_e32 v17, vcc, 0, v7, vcc
	flat_store_dword v[16:17], v15
.LBB1839_152:
	s_or_b64 exec, exec, s[0:1]
	v_or_b32_e32 v14, 0x500, v0
	v_cmp_gt_u32_e32 vcc, s33, v14
	s_and_saveexec_b64 s[0:1], vcc
	s_cbranch_execz .LBB1839_154
; %bb.153:
	v_add_co_u32_e32 v14, vcc, 0x1000, v6
	v_addc_co_u32_e32 v15, vcc, 0, v7, vcc
	flat_store_dword v[14:15], v12 offset:1024
.LBB1839_154:
	s_or_b64 exec, exec, s[0:1]
	v_or_b32_e32 v12, 0x600, v0
	v_cmp_gt_u32_e32 vcc, s33, v12
	s_and_saveexec_b64 s[0:1], vcc
	s_cbranch_execz .LBB1839_156
; %bb.155:
	v_add_co_u32_e32 v14, vcc, 0x1000, v6
	v_addc_co_u32_e32 v15, vcc, 0, v7, vcc
	flat_store_dword v[14:15], v13 offset:2048
.LBB1839_156:
	;; [unrolled: 10-line block ×3, first 2 shown]
	s_or_b64 exec, exec, s[0:1]
	v_or_b32_e32 v10, 0x800, v0
	v_cmp_gt_u32_e32 vcc, s33, v10
	s_and_saveexec_b64 s[0:1], vcc
	s_cbranch_execz .LBB1839_160
; %bb.159:
	v_add_co_u32_e32 v12, vcc, 0x2000, v6
	v_addc_co_u32_e32 v13, vcc, 0, v7, vcc
	flat_store_dword v[12:13], v11
.LBB1839_160:
	s_or_b64 exec, exec, s[0:1]
	v_or_b32_e32 v10, 0x900, v0
	v_cmp_gt_u32_e32 vcc, s33, v10
	s_and_saveexec_b64 s[0:1], vcc
	s_cbranch_execz .LBB1839_162
; %bb.161:
	v_add_co_u32_e32 v10, vcc, 0x2000, v6
	v_addc_co_u32_e32 v11, vcc, 0, v7, vcc
	flat_store_dword v[10:11], v8 offset:1024
.LBB1839_162:
	s_or_b64 exec, exec, s[0:1]
	v_or_b32_e32 v8, 0xa00, v0
	v_cmp_gt_u32_e32 vcc, s33, v8
	s_and_saveexec_b64 s[0:1], vcc
	s_cbranch_execz .LBB1839_164
; %bb.163:
	v_add_co_u32_e32 v10, vcc, 0x2000, v6
	v_addc_co_u32_e32 v11, vcc, 0, v7, vcc
	flat_store_dword v[10:11], v9 offset:2048
.LBB1839_164:
	;; [unrolled: 10-line block ×3, first 2 shown]
	s_or_b64 exec, exec, s[0:1]
	v_or_b32_e32 v4, 0xc00, v0
	v_cmp_gt_u32_e32 vcc, s33, v4
	s_and_saveexec_b64 s[0:1], vcc
	s_cbranch_execz .LBB1839_168
; %bb.167:
	v_add_co_u32_e32 v6, vcc, 0x3000, v6
	v_addc_co_u32_e32 v7, vcc, 0, v7, vcc
	flat_store_dword v[6:7], v5
.LBB1839_168:
	s_or_b64 exec, exec, s[0:1]
	v_or_b32_e32 v4, 0xd00, v0
	v_cmp_gt_u32_e64 s[0:1], s33, v4
	s_branch .LBB1839_171
.LBB1839_169:
	s_mov_b64 s[0:1], 0
                                        ; implicit-def: $vgpr3
	s_cbranch_execz .LBB1839_171
; %bb.170:
	s_movk_i32 s2, 0xffcc
	s_waitcnt lgkmcnt(0)
	s_barrier
	ds_write2_b64 v2, v[26:27], v[42:43] offset1:1
	ds_write2_b64 v2, v[30:31], v[44:45] offset0:2 offset1:3
	ds_write2_b64 v2, v[34:35], v[46:47] offset0:4 offset1:5
	ds_write_b64 v2, v[48:49] offset:48
	v_mad_i32_i24 v2, v0, s2, v2
	v_mov_b32_e32 v17, s5
	v_add_co_u32_e32 v16, vcc, s4, v50
	s_waitcnt lgkmcnt(0)
	s_barrier
	ds_read2st64_b32 v[4:5], v2 offset1:4
	ds_read2st64_b32 v[6:7], v2 offset0:8 offset1:12
	ds_read2st64_b32 v[8:9], v2 offset0:16 offset1:20
	;; [unrolled: 1-line block ×6, first 2 shown]
	v_addc_co_u32_e32 v17, vcc, 0, v17, vcc
	s_movk_i32 s2, 0x1000
	s_waitcnt lgkmcnt(0)
	flat_store_dword v[16:17], v4
	flat_store_dword v[16:17], v5 offset:1024
	flat_store_dword v[16:17], v6 offset:2048
	;; [unrolled: 1-line block ×3, first 2 shown]
	v_add_co_u32_e32 v4, vcc, s2, v16
	v_addc_co_u32_e32 v5, vcc, 0, v17, vcc
	flat_store_dword v[4:5], v8
	flat_store_dword v[4:5], v9 offset:1024
	flat_store_dword v[4:5], v10 offset:2048
	;; [unrolled: 1-line block ×3, first 2 shown]
	v_add_co_u32_e32 v4, vcc, 0x2000, v16
	v_addc_co_u32_e32 v5, vcc, 0, v17, vcc
	flat_store_dword v[4:5], v12
	flat_store_dword v[4:5], v13 offset:1024
	flat_store_dword v[4:5], v14 offset:2048
	;; [unrolled: 1-line block ×3, first 2 shown]
	v_add_co_u32_e32 v4, vcc, 0x3000, v16
	v_mov_b32_e32 v1, 0
	v_addc_co_u32_e32 v5, vcc, 0, v17, vcc
	s_or_b64 s[0:1], s[0:1], exec
	flat_store_dword v[4:5], v2
.LBB1839_171:
	s_and_saveexec_b64 s[2:3], s[0:1]
	s_cbranch_execnz .LBB1839_173
; %bb.172:
	s_endpgm
.LBB1839_173:
	v_lshlrev_b64 v[0:1], 2, v[0:1]
	v_mov_b32_e32 v2, s5
	v_add_co_u32_e32 v0, vcc, s4, v0
	v_addc_co_u32_e32 v1, vcc, v2, v1, vcc
	v_add_co_u32_e32 v0, vcc, 0x3000, v0
	v_addc_co_u32_e32 v1, vcc, 0, v1, vcc
	flat_store_dword v[0:1], v3 offset:1024
	s_endpgm
.LBB1839_174:
	v_mov_b32_e32 v13, s63
	v_add_co_u32_e32 v14, vcc, s62, v12
	v_addc_co_u32_e32 v15, vcc, 0, v13, vcc
	flat_load_dword v13, v[14:15]
	s_or_b64 exec, exec, s[4:5]
                                        ; implicit-def: $vgpr14
	s_and_saveexec_b64 s[4:5], s[8:9]
	s_cbranch_execz .LBB1839_41
.LBB1839_175:
	v_mov_b32_e32 v15, s63
	v_add_co_u32_e32 v14, vcc, s62, v12
	v_addc_co_u32_e32 v15, vcc, 0, v15, vcc
	flat_load_dword v14, v[14:15] offset:1024
	s_or_b64 exec, exec, s[4:5]
                                        ; implicit-def: $vgpr15
	s_and_saveexec_b64 s[4:5], s[10:11]
	s_cbranch_execz .LBB1839_42
.LBB1839_176:
	v_mov_b32_e32 v15, s63
	v_add_co_u32_e32 v16, vcc, s62, v12
	v_addc_co_u32_e32 v17, vcc, 0, v15, vcc
	flat_load_dword v15, v[16:17] offset:2048
	s_or_b64 exec, exec, s[4:5]
                                        ; implicit-def: $vgpr16
	s_and_saveexec_b64 s[4:5], s[12:13]
	s_cbranch_execz .LBB1839_43
.LBB1839_177:
	v_mov_b32_e32 v17, s63
	v_add_co_u32_e32 v16, vcc, s62, v12
	v_addc_co_u32_e32 v17, vcc, 0, v17, vcc
	flat_load_dword v16, v[16:17] offset:3072
	s_or_b64 exec, exec, s[4:5]
                                        ; implicit-def: $vgpr17
	s_and_saveexec_b64 s[4:5], s[14:15]
	s_cbranch_execz .LBB1839_44
.LBB1839_178:
	v_lshlrev_b32_e32 v2, 2, v2
	v_mov_b32_e32 v17, s63
	v_add_co_u32_e32 v18, vcc, s62, v2
	v_addc_co_u32_e32 v19, vcc, 0, v17, vcc
	flat_load_dword v17, v[18:19]
	s_or_b64 exec, exec, s[4:5]
                                        ; implicit-def: $vgpr2
	s_and_saveexec_b64 s[4:5], s[16:17]
	s_cbranch_execz .LBB1839_45
.LBB1839_179:
	v_lshlrev_b32_e32 v2, 2, v3
	v_mov_b32_e32 v3, s63
	v_add_co_u32_e32 v2, vcc, s62, v2
	v_addc_co_u32_e32 v3, vcc, 0, v3, vcc
	flat_load_dword v2, v[2:3]
	s_or_b64 exec, exec, s[4:5]
                                        ; implicit-def: $vgpr3
	s_and_saveexec_b64 s[4:5], s[18:19]
	s_cbranch_execz .LBB1839_46
.LBB1839_180:
	v_lshlrev_b32_e32 v3, 2, v4
	v_mov_b32_e32 v4, s63
	v_add_co_u32_e32 v18, vcc, s62, v3
	v_addc_co_u32_e32 v19, vcc, 0, v4, vcc
	flat_load_dword v3, v[18:19]
	s_or_b64 exec, exec, s[4:5]
                                        ; implicit-def: $vgpr4
	s_and_saveexec_b64 s[4:5], s[20:21]
	s_cbranch_execz .LBB1839_47
.LBB1839_181:
	v_lshlrev_b32_e32 v4, 2, v5
	v_mov_b32_e32 v5, s63
	v_add_co_u32_e32 v4, vcc, s62, v4
	v_addc_co_u32_e32 v5, vcc, 0, v5, vcc
	flat_load_dword v4, v[4:5]
	s_or_b64 exec, exec, s[4:5]
                                        ; implicit-def: $vgpr5
	s_and_saveexec_b64 s[4:5], s[22:23]
	s_cbranch_execz .LBB1839_48
.LBB1839_182:
	v_lshlrev_b32_e32 v5, 2, v6
	v_mov_b32_e32 v6, s63
	v_add_co_u32_e32 v18, vcc, s62, v5
	v_addc_co_u32_e32 v19, vcc, 0, v6, vcc
	flat_load_dword v5, v[18:19]
	s_or_b64 exec, exec, s[4:5]
                                        ; implicit-def: $vgpr6
	s_and_saveexec_b64 s[4:5], s[24:25]
	s_cbranch_execz .LBB1839_49
.LBB1839_183:
	v_lshlrev_b32_e32 v6, 2, v7
	v_mov_b32_e32 v7, s63
	v_add_co_u32_e32 v6, vcc, s62, v6
	v_addc_co_u32_e32 v7, vcc, 0, v7, vcc
	flat_load_dword v6, v[6:7]
	s_or_b64 exec, exec, s[4:5]
                                        ; implicit-def: $vgpr7
	s_and_saveexec_b64 s[4:5], s[26:27]
	s_cbranch_execz .LBB1839_50
.LBB1839_184:
	v_lshlrev_b32_e32 v7, 2, v8
	v_mov_b32_e32 v8, s63
	v_add_co_u32_e32 v18, vcc, s62, v7
	v_addc_co_u32_e32 v19, vcc, 0, v8, vcc
	flat_load_dword v7, v[18:19]
	s_or_b64 exec, exec, s[4:5]
                                        ; implicit-def: $vgpr8
	s_and_saveexec_b64 s[4:5], s[28:29]
	s_cbranch_execz .LBB1839_51
.LBB1839_185:
	v_lshlrev_b32_e32 v8, 2, v9
	v_mov_b32_e32 v9, s63
	v_add_co_u32_e32 v8, vcc, s62, v8
	v_addc_co_u32_e32 v9, vcc, 0, v9, vcc
	flat_load_dword v8, v[8:9]
	s_or_b64 exec, exec, s[4:5]
                                        ; implicit-def: $vgpr9
	s_and_saveexec_b64 s[4:5], s[30:31]
	s_cbranch_execz .LBB1839_52
.LBB1839_186:
	v_lshlrev_b32_e32 v9, 2, v10
	v_mov_b32_e32 v10, s63
	v_add_co_u32_e32 v18, vcc, s62, v9
	v_addc_co_u32_e32 v19, vcc, 0, v10, vcc
	flat_load_dword v9, v[18:19]
	s_or_b64 exec, exec, s[4:5]
                                        ; implicit-def: $vgpr10
	s_and_saveexec_b64 s[4:5], s[34:35]
	s_cbranch_execnz .LBB1839_53
	s_branch .LBB1839_54
.LBB1839_187:
                                        ; implicit-def: $sgpr4_sgpr5
	s_branch .LBB1839_36
.LBB1839_188:
                                        ; implicit-def: $sgpr4_sgpr5
	s_branch .LBB1839_85
	.section	.rodata,"a",@progbits
	.p2align	6, 0x0
	.amdhsa_kernel _ZN7rocprim17ROCPRIM_400000_NS6detail17trampoline_kernelINS0_14default_configENS1_27scan_by_key_config_selectorIjjEEZZNS1_16scan_by_key_implILNS1_25lookback_scan_determinismE0ELb0ES3_N6thrust23THRUST_200600_302600_NS6detail15normal_iteratorINS9_10device_ptrIjEEEESE_SE_jNS9_4plusIvEENS9_8equal_toIvEEjEE10hipError_tPvRmT2_T3_T4_T5_mT6_T7_P12ihipStream_tbENKUlT_T0_E_clISt17integral_constantIbLb1EESZ_EEDaSU_SV_EUlSU_E_NS1_11comp_targetILNS1_3genE4ELNS1_11target_archE910ELNS1_3gpuE8ELNS1_3repE0EEENS1_30default_config_static_selectorELNS0_4arch9wavefront6targetE1EEEvT1_
		.amdhsa_group_segment_fixed_size 16384
		.amdhsa_private_segment_fixed_size 0
		.amdhsa_kernarg_size 112
		.amdhsa_user_sgpr_count 6
		.amdhsa_user_sgpr_private_segment_buffer 1
		.amdhsa_user_sgpr_dispatch_ptr 0
		.amdhsa_user_sgpr_queue_ptr 0
		.amdhsa_user_sgpr_kernarg_segment_ptr 1
		.amdhsa_user_sgpr_dispatch_id 0
		.amdhsa_user_sgpr_flat_scratch_init 0
		.amdhsa_user_sgpr_kernarg_preload_length 0
		.amdhsa_user_sgpr_kernarg_preload_offset 0
		.amdhsa_user_sgpr_private_segment_size 0
		.amdhsa_uses_dynamic_stack 0
		.amdhsa_system_sgpr_private_segment_wavefront_offset 0
		.amdhsa_system_sgpr_workgroup_id_x 1
		.amdhsa_system_sgpr_workgroup_id_y 0
		.amdhsa_system_sgpr_workgroup_id_z 0
		.amdhsa_system_sgpr_workgroup_info 0
		.amdhsa_system_vgpr_workitem_id 0
		.amdhsa_next_free_vgpr 65
		.amdhsa_next_free_sgpr 65
		.amdhsa_accum_offset 68
		.amdhsa_reserve_vcc 1
		.amdhsa_reserve_flat_scratch 0
		.amdhsa_float_round_mode_32 0
		.amdhsa_float_round_mode_16_64 0
		.amdhsa_float_denorm_mode_32 3
		.amdhsa_float_denorm_mode_16_64 3
		.amdhsa_dx10_clamp 1
		.amdhsa_ieee_mode 1
		.amdhsa_fp16_overflow 0
		.amdhsa_tg_split 0
		.amdhsa_exception_fp_ieee_invalid_op 0
		.amdhsa_exception_fp_denorm_src 0
		.amdhsa_exception_fp_ieee_div_zero 0
		.amdhsa_exception_fp_ieee_overflow 0
		.amdhsa_exception_fp_ieee_underflow 0
		.amdhsa_exception_fp_ieee_inexact 0
		.amdhsa_exception_int_div_zero 0
	.end_amdhsa_kernel
	.section	.text._ZN7rocprim17ROCPRIM_400000_NS6detail17trampoline_kernelINS0_14default_configENS1_27scan_by_key_config_selectorIjjEEZZNS1_16scan_by_key_implILNS1_25lookback_scan_determinismE0ELb0ES3_N6thrust23THRUST_200600_302600_NS6detail15normal_iteratorINS9_10device_ptrIjEEEESE_SE_jNS9_4plusIvEENS9_8equal_toIvEEjEE10hipError_tPvRmT2_T3_T4_T5_mT6_T7_P12ihipStream_tbENKUlT_T0_E_clISt17integral_constantIbLb1EESZ_EEDaSU_SV_EUlSU_E_NS1_11comp_targetILNS1_3genE4ELNS1_11target_archE910ELNS1_3gpuE8ELNS1_3repE0EEENS1_30default_config_static_selectorELNS0_4arch9wavefront6targetE1EEEvT1_,"axG",@progbits,_ZN7rocprim17ROCPRIM_400000_NS6detail17trampoline_kernelINS0_14default_configENS1_27scan_by_key_config_selectorIjjEEZZNS1_16scan_by_key_implILNS1_25lookback_scan_determinismE0ELb0ES3_N6thrust23THRUST_200600_302600_NS6detail15normal_iteratorINS9_10device_ptrIjEEEESE_SE_jNS9_4plusIvEENS9_8equal_toIvEEjEE10hipError_tPvRmT2_T3_T4_T5_mT6_T7_P12ihipStream_tbENKUlT_T0_E_clISt17integral_constantIbLb1EESZ_EEDaSU_SV_EUlSU_E_NS1_11comp_targetILNS1_3genE4ELNS1_11target_archE910ELNS1_3gpuE8ELNS1_3repE0EEENS1_30default_config_static_selectorELNS0_4arch9wavefront6targetE1EEEvT1_,comdat
.Lfunc_end1839:
	.size	_ZN7rocprim17ROCPRIM_400000_NS6detail17trampoline_kernelINS0_14default_configENS1_27scan_by_key_config_selectorIjjEEZZNS1_16scan_by_key_implILNS1_25lookback_scan_determinismE0ELb0ES3_N6thrust23THRUST_200600_302600_NS6detail15normal_iteratorINS9_10device_ptrIjEEEESE_SE_jNS9_4plusIvEENS9_8equal_toIvEEjEE10hipError_tPvRmT2_T3_T4_T5_mT6_T7_P12ihipStream_tbENKUlT_T0_E_clISt17integral_constantIbLb1EESZ_EEDaSU_SV_EUlSU_E_NS1_11comp_targetILNS1_3genE4ELNS1_11target_archE910ELNS1_3gpuE8ELNS1_3repE0EEENS1_30default_config_static_selectorELNS0_4arch9wavefront6targetE1EEEvT1_, .Lfunc_end1839-_ZN7rocprim17ROCPRIM_400000_NS6detail17trampoline_kernelINS0_14default_configENS1_27scan_by_key_config_selectorIjjEEZZNS1_16scan_by_key_implILNS1_25lookback_scan_determinismE0ELb0ES3_N6thrust23THRUST_200600_302600_NS6detail15normal_iteratorINS9_10device_ptrIjEEEESE_SE_jNS9_4plusIvEENS9_8equal_toIvEEjEE10hipError_tPvRmT2_T3_T4_T5_mT6_T7_P12ihipStream_tbENKUlT_T0_E_clISt17integral_constantIbLb1EESZ_EEDaSU_SV_EUlSU_E_NS1_11comp_targetILNS1_3genE4ELNS1_11target_archE910ELNS1_3gpuE8ELNS1_3repE0EEENS1_30default_config_static_selectorELNS0_4arch9wavefront6targetE1EEEvT1_
                                        ; -- End function
	.section	.AMDGPU.csdata,"",@progbits
; Kernel info:
; codeLenInByte = 11144
; NumSgprs: 69
; NumVgprs: 65
; NumAgprs: 0
; TotalNumVgprs: 65
; ScratchSize: 0
; MemoryBound: 0
; FloatMode: 240
; IeeeMode: 1
; LDSByteSize: 16384 bytes/workgroup (compile time only)
; SGPRBlocks: 8
; VGPRBlocks: 8
; NumSGPRsForWavesPerEU: 69
; NumVGPRsForWavesPerEU: 65
; AccumOffset: 68
; Occupancy: 4
; WaveLimiterHint : 1
; COMPUTE_PGM_RSRC2:SCRATCH_EN: 0
; COMPUTE_PGM_RSRC2:USER_SGPR: 6
; COMPUTE_PGM_RSRC2:TRAP_HANDLER: 0
; COMPUTE_PGM_RSRC2:TGID_X_EN: 1
; COMPUTE_PGM_RSRC2:TGID_Y_EN: 0
; COMPUTE_PGM_RSRC2:TGID_Z_EN: 0
; COMPUTE_PGM_RSRC2:TIDIG_COMP_CNT: 0
; COMPUTE_PGM_RSRC3_GFX90A:ACCUM_OFFSET: 16
; COMPUTE_PGM_RSRC3_GFX90A:TG_SPLIT: 0
	.section	.text._ZN7rocprim17ROCPRIM_400000_NS6detail17trampoline_kernelINS0_14default_configENS1_27scan_by_key_config_selectorIjjEEZZNS1_16scan_by_key_implILNS1_25lookback_scan_determinismE0ELb0ES3_N6thrust23THRUST_200600_302600_NS6detail15normal_iteratorINS9_10device_ptrIjEEEESE_SE_jNS9_4plusIvEENS9_8equal_toIvEEjEE10hipError_tPvRmT2_T3_T4_T5_mT6_T7_P12ihipStream_tbENKUlT_T0_E_clISt17integral_constantIbLb1EESZ_EEDaSU_SV_EUlSU_E_NS1_11comp_targetILNS1_3genE3ELNS1_11target_archE908ELNS1_3gpuE7ELNS1_3repE0EEENS1_30default_config_static_selectorELNS0_4arch9wavefront6targetE1EEEvT1_,"axG",@progbits,_ZN7rocprim17ROCPRIM_400000_NS6detail17trampoline_kernelINS0_14default_configENS1_27scan_by_key_config_selectorIjjEEZZNS1_16scan_by_key_implILNS1_25lookback_scan_determinismE0ELb0ES3_N6thrust23THRUST_200600_302600_NS6detail15normal_iteratorINS9_10device_ptrIjEEEESE_SE_jNS9_4plusIvEENS9_8equal_toIvEEjEE10hipError_tPvRmT2_T3_T4_T5_mT6_T7_P12ihipStream_tbENKUlT_T0_E_clISt17integral_constantIbLb1EESZ_EEDaSU_SV_EUlSU_E_NS1_11comp_targetILNS1_3genE3ELNS1_11target_archE908ELNS1_3gpuE7ELNS1_3repE0EEENS1_30default_config_static_selectorELNS0_4arch9wavefront6targetE1EEEvT1_,comdat
	.protected	_ZN7rocprim17ROCPRIM_400000_NS6detail17trampoline_kernelINS0_14default_configENS1_27scan_by_key_config_selectorIjjEEZZNS1_16scan_by_key_implILNS1_25lookback_scan_determinismE0ELb0ES3_N6thrust23THRUST_200600_302600_NS6detail15normal_iteratorINS9_10device_ptrIjEEEESE_SE_jNS9_4plusIvEENS9_8equal_toIvEEjEE10hipError_tPvRmT2_T3_T4_T5_mT6_T7_P12ihipStream_tbENKUlT_T0_E_clISt17integral_constantIbLb1EESZ_EEDaSU_SV_EUlSU_E_NS1_11comp_targetILNS1_3genE3ELNS1_11target_archE908ELNS1_3gpuE7ELNS1_3repE0EEENS1_30default_config_static_selectorELNS0_4arch9wavefront6targetE1EEEvT1_ ; -- Begin function _ZN7rocprim17ROCPRIM_400000_NS6detail17trampoline_kernelINS0_14default_configENS1_27scan_by_key_config_selectorIjjEEZZNS1_16scan_by_key_implILNS1_25lookback_scan_determinismE0ELb0ES3_N6thrust23THRUST_200600_302600_NS6detail15normal_iteratorINS9_10device_ptrIjEEEESE_SE_jNS9_4plusIvEENS9_8equal_toIvEEjEE10hipError_tPvRmT2_T3_T4_T5_mT6_T7_P12ihipStream_tbENKUlT_T0_E_clISt17integral_constantIbLb1EESZ_EEDaSU_SV_EUlSU_E_NS1_11comp_targetILNS1_3genE3ELNS1_11target_archE908ELNS1_3gpuE7ELNS1_3repE0EEENS1_30default_config_static_selectorELNS0_4arch9wavefront6targetE1EEEvT1_
	.globl	_ZN7rocprim17ROCPRIM_400000_NS6detail17trampoline_kernelINS0_14default_configENS1_27scan_by_key_config_selectorIjjEEZZNS1_16scan_by_key_implILNS1_25lookback_scan_determinismE0ELb0ES3_N6thrust23THRUST_200600_302600_NS6detail15normal_iteratorINS9_10device_ptrIjEEEESE_SE_jNS9_4plusIvEENS9_8equal_toIvEEjEE10hipError_tPvRmT2_T3_T4_T5_mT6_T7_P12ihipStream_tbENKUlT_T0_E_clISt17integral_constantIbLb1EESZ_EEDaSU_SV_EUlSU_E_NS1_11comp_targetILNS1_3genE3ELNS1_11target_archE908ELNS1_3gpuE7ELNS1_3repE0EEENS1_30default_config_static_selectorELNS0_4arch9wavefront6targetE1EEEvT1_
	.p2align	8
	.type	_ZN7rocprim17ROCPRIM_400000_NS6detail17trampoline_kernelINS0_14default_configENS1_27scan_by_key_config_selectorIjjEEZZNS1_16scan_by_key_implILNS1_25lookback_scan_determinismE0ELb0ES3_N6thrust23THRUST_200600_302600_NS6detail15normal_iteratorINS9_10device_ptrIjEEEESE_SE_jNS9_4plusIvEENS9_8equal_toIvEEjEE10hipError_tPvRmT2_T3_T4_T5_mT6_T7_P12ihipStream_tbENKUlT_T0_E_clISt17integral_constantIbLb1EESZ_EEDaSU_SV_EUlSU_E_NS1_11comp_targetILNS1_3genE3ELNS1_11target_archE908ELNS1_3gpuE7ELNS1_3repE0EEENS1_30default_config_static_selectorELNS0_4arch9wavefront6targetE1EEEvT1_,@function
_ZN7rocprim17ROCPRIM_400000_NS6detail17trampoline_kernelINS0_14default_configENS1_27scan_by_key_config_selectorIjjEEZZNS1_16scan_by_key_implILNS1_25lookback_scan_determinismE0ELb0ES3_N6thrust23THRUST_200600_302600_NS6detail15normal_iteratorINS9_10device_ptrIjEEEESE_SE_jNS9_4plusIvEENS9_8equal_toIvEEjEE10hipError_tPvRmT2_T3_T4_T5_mT6_T7_P12ihipStream_tbENKUlT_T0_E_clISt17integral_constantIbLb1EESZ_EEDaSU_SV_EUlSU_E_NS1_11comp_targetILNS1_3genE3ELNS1_11target_archE908ELNS1_3gpuE7ELNS1_3repE0EEENS1_30default_config_static_selectorELNS0_4arch9wavefront6targetE1EEEvT1_: ; @_ZN7rocprim17ROCPRIM_400000_NS6detail17trampoline_kernelINS0_14default_configENS1_27scan_by_key_config_selectorIjjEEZZNS1_16scan_by_key_implILNS1_25lookback_scan_determinismE0ELb0ES3_N6thrust23THRUST_200600_302600_NS6detail15normal_iteratorINS9_10device_ptrIjEEEESE_SE_jNS9_4plusIvEENS9_8equal_toIvEEjEE10hipError_tPvRmT2_T3_T4_T5_mT6_T7_P12ihipStream_tbENKUlT_T0_E_clISt17integral_constantIbLb1EESZ_EEDaSU_SV_EUlSU_E_NS1_11comp_targetILNS1_3genE3ELNS1_11target_archE908ELNS1_3gpuE7ELNS1_3repE0EEENS1_30default_config_static_selectorELNS0_4arch9wavefront6targetE1EEEvT1_
; %bb.0:
	.section	.rodata,"a",@progbits
	.p2align	6, 0x0
	.amdhsa_kernel _ZN7rocprim17ROCPRIM_400000_NS6detail17trampoline_kernelINS0_14default_configENS1_27scan_by_key_config_selectorIjjEEZZNS1_16scan_by_key_implILNS1_25lookback_scan_determinismE0ELb0ES3_N6thrust23THRUST_200600_302600_NS6detail15normal_iteratorINS9_10device_ptrIjEEEESE_SE_jNS9_4plusIvEENS9_8equal_toIvEEjEE10hipError_tPvRmT2_T3_T4_T5_mT6_T7_P12ihipStream_tbENKUlT_T0_E_clISt17integral_constantIbLb1EESZ_EEDaSU_SV_EUlSU_E_NS1_11comp_targetILNS1_3genE3ELNS1_11target_archE908ELNS1_3gpuE7ELNS1_3repE0EEENS1_30default_config_static_selectorELNS0_4arch9wavefront6targetE1EEEvT1_
		.amdhsa_group_segment_fixed_size 0
		.amdhsa_private_segment_fixed_size 0
		.amdhsa_kernarg_size 112
		.amdhsa_user_sgpr_count 6
		.amdhsa_user_sgpr_private_segment_buffer 1
		.amdhsa_user_sgpr_dispatch_ptr 0
		.amdhsa_user_sgpr_queue_ptr 0
		.amdhsa_user_sgpr_kernarg_segment_ptr 1
		.amdhsa_user_sgpr_dispatch_id 0
		.amdhsa_user_sgpr_flat_scratch_init 0
		.amdhsa_user_sgpr_kernarg_preload_length 0
		.amdhsa_user_sgpr_kernarg_preload_offset 0
		.amdhsa_user_sgpr_private_segment_size 0
		.amdhsa_uses_dynamic_stack 0
		.amdhsa_system_sgpr_private_segment_wavefront_offset 0
		.amdhsa_system_sgpr_workgroup_id_x 1
		.amdhsa_system_sgpr_workgroup_id_y 0
		.amdhsa_system_sgpr_workgroup_id_z 0
		.amdhsa_system_sgpr_workgroup_info 0
		.amdhsa_system_vgpr_workitem_id 0
		.amdhsa_next_free_vgpr 1
		.amdhsa_next_free_sgpr 0
		.amdhsa_accum_offset 4
		.amdhsa_reserve_vcc 0
		.amdhsa_reserve_flat_scratch 0
		.amdhsa_float_round_mode_32 0
		.amdhsa_float_round_mode_16_64 0
		.amdhsa_float_denorm_mode_32 3
		.amdhsa_float_denorm_mode_16_64 3
		.amdhsa_dx10_clamp 1
		.amdhsa_ieee_mode 1
		.amdhsa_fp16_overflow 0
		.amdhsa_tg_split 0
		.amdhsa_exception_fp_ieee_invalid_op 0
		.amdhsa_exception_fp_denorm_src 0
		.amdhsa_exception_fp_ieee_div_zero 0
		.amdhsa_exception_fp_ieee_overflow 0
		.amdhsa_exception_fp_ieee_underflow 0
		.amdhsa_exception_fp_ieee_inexact 0
		.amdhsa_exception_int_div_zero 0
	.end_amdhsa_kernel
	.section	.text._ZN7rocprim17ROCPRIM_400000_NS6detail17trampoline_kernelINS0_14default_configENS1_27scan_by_key_config_selectorIjjEEZZNS1_16scan_by_key_implILNS1_25lookback_scan_determinismE0ELb0ES3_N6thrust23THRUST_200600_302600_NS6detail15normal_iteratorINS9_10device_ptrIjEEEESE_SE_jNS9_4plusIvEENS9_8equal_toIvEEjEE10hipError_tPvRmT2_T3_T4_T5_mT6_T7_P12ihipStream_tbENKUlT_T0_E_clISt17integral_constantIbLb1EESZ_EEDaSU_SV_EUlSU_E_NS1_11comp_targetILNS1_3genE3ELNS1_11target_archE908ELNS1_3gpuE7ELNS1_3repE0EEENS1_30default_config_static_selectorELNS0_4arch9wavefront6targetE1EEEvT1_,"axG",@progbits,_ZN7rocprim17ROCPRIM_400000_NS6detail17trampoline_kernelINS0_14default_configENS1_27scan_by_key_config_selectorIjjEEZZNS1_16scan_by_key_implILNS1_25lookback_scan_determinismE0ELb0ES3_N6thrust23THRUST_200600_302600_NS6detail15normal_iteratorINS9_10device_ptrIjEEEESE_SE_jNS9_4plusIvEENS9_8equal_toIvEEjEE10hipError_tPvRmT2_T3_T4_T5_mT6_T7_P12ihipStream_tbENKUlT_T0_E_clISt17integral_constantIbLb1EESZ_EEDaSU_SV_EUlSU_E_NS1_11comp_targetILNS1_3genE3ELNS1_11target_archE908ELNS1_3gpuE7ELNS1_3repE0EEENS1_30default_config_static_selectorELNS0_4arch9wavefront6targetE1EEEvT1_,comdat
.Lfunc_end1840:
	.size	_ZN7rocprim17ROCPRIM_400000_NS6detail17trampoline_kernelINS0_14default_configENS1_27scan_by_key_config_selectorIjjEEZZNS1_16scan_by_key_implILNS1_25lookback_scan_determinismE0ELb0ES3_N6thrust23THRUST_200600_302600_NS6detail15normal_iteratorINS9_10device_ptrIjEEEESE_SE_jNS9_4plusIvEENS9_8equal_toIvEEjEE10hipError_tPvRmT2_T3_T4_T5_mT6_T7_P12ihipStream_tbENKUlT_T0_E_clISt17integral_constantIbLb1EESZ_EEDaSU_SV_EUlSU_E_NS1_11comp_targetILNS1_3genE3ELNS1_11target_archE908ELNS1_3gpuE7ELNS1_3repE0EEENS1_30default_config_static_selectorELNS0_4arch9wavefront6targetE1EEEvT1_, .Lfunc_end1840-_ZN7rocprim17ROCPRIM_400000_NS6detail17trampoline_kernelINS0_14default_configENS1_27scan_by_key_config_selectorIjjEEZZNS1_16scan_by_key_implILNS1_25lookback_scan_determinismE0ELb0ES3_N6thrust23THRUST_200600_302600_NS6detail15normal_iteratorINS9_10device_ptrIjEEEESE_SE_jNS9_4plusIvEENS9_8equal_toIvEEjEE10hipError_tPvRmT2_T3_T4_T5_mT6_T7_P12ihipStream_tbENKUlT_T0_E_clISt17integral_constantIbLb1EESZ_EEDaSU_SV_EUlSU_E_NS1_11comp_targetILNS1_3genE3ELNS1_11target_archE908ELNS1_3gpuE7ELNS1_3repE0EEENS1_30default_config_static_selectorELNS0_4arch9wavefront6targetE1EEEvT1_
                                        ; -- End function
	.section	.AMDGPU.csdata,"",@progbits
; Kernel info:
; codeLenInByte = 0
; NumSgprs: 4
; NumVgprs: 0
; NumAgprs: 0
; TotalNumVgprs: 0
; ScratchSize: 0
; MemoryBound: 0
; FloatMode: 240
; IeeeMode: 1
; LDSByteSize: 0 bytes/workgroup (compile time only)
; SGPRBlocks: 0
; VGPRBlocks: 0
; NumSGPRsForWavesPerEU: 4
; NumVGPRsForWavesPerEU: 1
; AccumOffset: 4
; Occupancy: 8
; WaveLimiterHint : 0
; COMPUTE_PGM_RSRC2:SCRATCH_EN: 0
; COMPUTE_PGM_RSRC2:USER_SGPR: 6
; COMPUTE_PGM_RSRC2:TRAP_HANDLER: 0
; COMPUTE_PGM_RSRC2:TGID_X_EN: 1
; COMPUTE_PGM_RSRC2:TGID_Y_EN: 0
; COMPUTE_PGM_RSRC2:TGID_Z_EN: 0
; COMPUTE_PGM_RSRC2:TIDIG_COMP_CNT: 0
; COMPUTE_PGM_RSRC3_GFX90A:ACCUM_OFFSET: 0
; COMPUTE_PGM_RSRC3_GFX90A:TG_SPLIT: 0
	.section	.text._ZN7rocprim17ROCPRIM_400000_NS6detail17trampoline_kernelINS0_14default_configENS1_27scan_by_key_config_selectorIjjEEZZNS1_16scan_by_key_implILNS1_25lookback_scan_determinismE0ELb0ES3_N6thrust23THRUST_200600_302600_NS6detail15normal_iteratorINS9_10device_ptrIjEEEESE_SE_jNS9_4plusIvEENS9_8equal_toIvEEjEE10hipError_tPvRmT2_T3_T4_T5_mT6_T7_P12ihipStream_tbENKUlT_T0_E_clISt17integral_constantIbLb1EESZ_EEDaSU_SV_EUlSU_E_NS1_11comp_targetILNS1_3genE2ELNS1_11target_archE906ELNS1_3gpuE6ELNS1_3repE0EEENS1_30default_config_static_selectorELNS0_4arch9wavefront6targetE1EEEvT1_,"axG",@progbits,_ZN7rocprim17ROCPRIM_400000_NS6detail17trampoline_kernelINS0_14default_configENS1_27scan_by_key_config_selectorIjjEEZZNS1_16scan_by_key_implILNS1_25lookback_scan_determinismE0ELb0ES3_N6thrust23THRUST_200600_302600_NS6detail15normal_iteratorINS9_10device_ptrIjEEEESE_SE_jNS9_4plusIvEENS9_8equal_toIvEEjEE10hipError_tPvRmT2_T3_T4_T5_mT6_T7_P12ihipStream_tbENKUlT_T0_E_clISt17integral_constantIbLb1EESZ_EEDaSU_SV_EUlSU_E_NS1_11comp_targetILNS1_3genE2ELNS1_11target_archE906ELNS1_3gpuE6ELNS1_3repE0EEENS1_30default_config_static_selectorELNS0_4arch9wavefront6targetE1EEEvT1_,comdat
	.protected	_ZN7rocprim17ROCPRIM_400000_NS6detail17trampoline_kernelINS0_14default_configENS1_27scan_by_key_config_selectorIjjEEZZNS1_16scan_by_key_implILNS1_25lookback_scan_determinismE0ELb0ES3_N6thrust23THRUST_200600_302600_NS6detail15normal_iteratorINS9_10device_ptrIjEEEESE_SE_jNS9_4plusIvEENS9_8equal_toIvEEjEE10hipError_tPvRmT2_T3_T4_T5_mT6_T7_P12ihipStream_tbENKUlT_T0_E_clISt17integral_constantIbLb1EESZ_EEDaSU_SV_EUlSU_E_NS1_11comp_targetILNS1_3genE2ELNS1_11target_archE906ELNS1_3gpuE6ELNS1_3repE0EEENS1_30default_config_static_selectorELNS0_4arch9wavefront6targetE1EEEvT1_ ; -- Begin function _ZN7rocprim17ROCPRIM_400000_NS6detail17trampoline_kernelINS0_14default_configENS1_27scan_by_key_config_selectorIjjEEZZNS1_16scan_by_key_implILNS1_25lookback_scan_determinismE0ELb0ES3_N6thrust23THRUST_200600_302600_NS6detail15normal_iteratorINS9_10device_ptrIjEEEESE_SE_jNS9_4plusIvEENS9_8equal_toIvEEjEE10hipError_tPvRmT2_T3_T4_T5_mT6_T7_P12ihipStream_tbENKUlT_T0_E_clISt17integral_constantIbLb1EESZ_EEDaSU_SV_EUlSU_E_NS1_11comp_targetILNS1_3genE2ELNS1_11target_archE906ELNS1_3gpuE6ELNS1_3repE0EEENS1_30default_config_static_selectorELNS0_4arch9wavefront6targetE1EEEvT1_
	.globl	_ZN7rocprim17ROCPRIM_400000_NS6detail17trampoline_kernelINS0_14default_configENS1_27scan_by_key_config_selectorIjjEEZZNS1_16scan_by_key_implILNS1_25lookback_scan_determinismE0ELb0ES3_N6thrust23THRUST_200600_302600_NS6detail15normal_iteratorINS9_10device_ptrIjEEEESE_SE_jNS9_4plusIvEENS9_8equal_toIvEEjEE10hipError_tPvRmT2_T3_T4_T5_mT6_T7_P12ihipStream_tbENKUlT_T0_E_clISt17integral_constantIbLb1EESZ_EEDaSU_SV_EUlSU_E_NS1_11comp_targetILNS1_3genE2ELNS1_11target_archE906ELNS1_3gpuE6ELNS1_3repE0EEENS1_30default_config_static_selectorELNS0_4arch9wavefront6targetE1EEEvT1_
	.p2align	8
	.type	_ZN7rocprim17ROCPRIM_400000_NS6detail17trampoline_kernelINS0_14default_configENS1_27scan_by_key_config_selectorIjjEEZZNS1_16scan_by_key_implILNS1_25lookback_scan_determinismE0ELb0ES3_N6thrust23THRUST_200600_302600_NS6detail15normal_iteratorINS9_10device_ptrIjEEEESE_SE_jNS9_4plusIvEENS9_8equal_toIvEEjEE10hipError_tPvRmT2_T3_T4_T5_mT6_T7_P12ihipStream_tbENKUlT_T0_E_clISt17integral_constantIbLb1EESZ_EEDaSU_SV_EUlSU_E_NS1_11comp_targetILNS1_3genE2ELNS1_11target_archE906ELNS1_3gpuE6ELNS1_3repE0EEENS1_30default_config_static_selectorELNS0_4arch9wavefront6targetE1EEEvT1_,@function
_ZN7rocprim17ROCPRIM_400000_NS6detail17trampoline_kernelINS0_14default_configENS1_27scan_by_key_config_selectorIjjEEZZNS1_16scan_by_key_implILNS1_25lookback_scan_determinismE0ELb0ES3_N6thrust23THRUST_200600_302600_NS6detail15normal_iteratorINS9_10device_ptrIjEEEESE_SE_jNS9_4plusIvEENS9_8equal_toIvEEjEE10hipError_tPvRmT2_T3_T4_T5_mT6_T7_P12ihipStream_tbENKUlT_T0_E_clISt17integral_constantIbLb1EESZ_EEDaSU_SV_EUlSU_E_NS1_11comp_targetILNS1_3genE2ELNS1_11target_archE906ELNS1_3gpuE6ELNS1_3repE0EEENS1_30default_config_static_selectorELNS0_4arch9wavefront6targetE1EEEvT1_: ; @_ZN7rocprim17ROCPRIM_400000_NS6detail17trampoline_kernelINS0_14default_configENS1_27scan_by_key_config_selectorIjjEEZZNS1_16scan_by_key_implILNS1_25lookback_scan_determinismE0ELb0ES3_N6thrust23THRUST_200600_302600_NS6detail15normal_iteratorINS9_10device_ptrIjEEEESE_SE_jNS9_4plusIvEENS9_8equal_toIvEEjEE10hipError_tPvRmT2_T3_T4_T5_mT6_T7_P12ihipStream_tbENKUlT_T0_E_clISt17integral_constantIbLb1EESZ_EEDaSU_SV_EUlSU_E_NS1_11comp_targetILNS1_3genE2ELNS1_11target_archE906ELNS1_3gpuE6ELNS1_3repE0EEENS1_30default_config_static_selectorELNS0_4arch9wavefront6targetE1EEEvT1_
; %bb.0:
	.section	.rodata,"a",@progbits
	.p2align	6, 0x0
	.amdhsa_kernel _ZN7rocprim17ROCPRIM_400000_NS6detail17trampoline_kernelINS0_14default_configENS1_27scan_by_key_config_selectorIjjEEZZNS1_16scan_by_key_implILNS1_25lookback_scan_determinismE0ELb0ES3_N6thrust23THRUST_200600_302600_NS6detail15normal_iteratorINS9_10device_ptrIjEEEESE_SE_jNS9_4plusIvEENS9_8equal_toIvEEjEE10hipError_tPvRmT2_T3_T4_T5_mT6_T7_P12ihipStream_tbENKUlT_T0_E_clISt17integral_constantIbLb1EESZ_EEDaSU_SV_EUlSU_E_NS1_11comp_targetILNS1_3genE2ELNS1_11target_archE906ELNS1_3gpuE6ELNS1_3repE0EEENS1_30default_config_static_selectorELNS0_4arch9wavefront6targetE1EEEvT1_
		.amdhsa_group_segment_fixed_size 0
		.amdhsa_private_segment_fixed_size 0
		.amdhsa_kernarg_size 112
		.amdhsa_user_sgpr_count 6
		.amdhsa_user_sgpr_private_segment_buffer 1
		.amdhsa_user_sgpr_dispatch_ptr 0
		.amdhsa_user_sgpr_queue_ptr 0
		.amdhsa_user_sgpr_kernarg_segment_ptr 1
		.amdhsa_user_sgpr_dispatch_id 0
		.amdhsa_user_sgpr_flat_scratch_init 0
		.amdhsa_user_sgpr_kernarg_preload_length 0
		.amdhsa_user_sgpr_kernarg_preload_offset 0
		.amdhsa_user_sgpr_private_segment_size 0
		.amdhsa_uses_dynamic_stack 0
		.amdhsa_system_sgpr_private_segment_wavefront_offset 0
		.amdhsa_system_sgpr_workgroup_id_x 1
		.amdhsa_system_sgpr_workgroup_id_y 0
		.amdhsa_system_sgpr_workgroup_id_z 0
		.amdhsa_system_sgpr_workgroup_info 0
		.amdhsa_system_vgpr_workitem_id 0
		.amdhsa_next_free_vgpr 1
		.amdhsa_next_free_sgpr 0
		.amdhsa_accum_offset 4
		.amdhsa_reserve_vcc 0
		.amdhsa_reserve_flat_scratch 0
		.amdhsa_float_round_mode_32 0
		.amdhsa_float_round_mode_16_64 0
		.amdhsa_float_denorm_mode_32 3
		.amdhsa_float_denorm_mode_16_64 3
		.amdhsa_dx10_clamp 1
		.amdhsa_ieee_mode 1
		.amdhsa_fp16_overflow 0
		.amdhsa_tg_split 0
		.amdhsa_exception_fp_ieee_invalid_op 0
		.amdhsa_exception_fp_denorm_src 0
		.amdhsa_exception_fp_ieee_div_zero 0
		.amdhsa_exception_fp_ieee_overflow 0
		.amdhsa_exception_fp_ieee_underflow 0
		.amdhsa_exception_fp_ieee_inexact 0
		.amdhsa_exception_int_div_zero 0
	.end_amdhsa_kernel
	.section	.text._ZN7rocprim17ROCPRIM_400000_NS6detail17trampoline_kernelINS0_14default_configENS1_27scan_by_key_config_selectorIjjEEZZNS1_16scan_by_key_implILNS1_25lookback_scan_determinismE0ELb0ES3_N6thrust23THRUST_200600_302600_NS6detail15normal_iteratorINS9_10device_ptrIjEEEESE_SE_jNS9_4plusIvEENS9_8equal_toIvEEjEE10hipError_tPvRmT2_T3_T4_T5_mT6_T7_P12ihipStream_tbENKUlT_T0_E_clISt17integral_constantIbLb1EESZ_EEDaSU_SV_EUlSU_E_NS1_11comp_targetILNS1_3genE2ELNS1_11target_archE906ELNS1_3gpuE6ELNS1_3repE0EEENS1_30default_config_static_selectorELNS0_4arch9wavefront6targetE1EEEvT1_,"axG",@progbits,_ZN7rocprim17ROCPRIM_400000_NS6detail17trampoline_kernelINS0_14default_configENS1_27scan_by_key_config_selectorIjjEEZZNS1_16scan_by_key_implILNS1_25lookback_scan_determinismE0ELb0ES3_N6thrust23THRUST_200600_302600_NS6detail15normal_iteratorINS9_10device_ptrIjEEEESE_SE_jNS9_4plusIvEENS9_8equal_toIvEEjEE10hipError_tPvRmT2_T3_T4_T5_mT6_T7_P12ihipStream_tbENKUlT_T0_E_clISt17integral_constantIbLb1EESZ_EEDaSU_SV_EUlSU_E_NS1_11comp_targetILNS1_3genE2ELNS1_11target_archE906ELNS1_3gpuE6ELNS1_3repE0EEENS1_30default_config_static_selectorELNS0_4arch9wavefront6targetE1EEEvT1_,comdat
.Lfunc_end1841:
	.size	_ZN7rocprim17ROCPRIM_400000_NS6detail17trampoline_kernelINS0_14default_configENS1_27scan_by_key_config_selectorIjjEEZZNS1_16scan_by_key_implILNS1_25lookback_scan_determinismE0ELb0ES3_N6thrust23THRUST_200600_302600_NS6detail15normal_iteratorINS9_10device_ptrIjEEEESE_SE_jNS9_4plusIvEENS9_8equal_toIvEEjEE10hipError_tPvRmT2_T3_T4_T5_mT6_T7_P12ihipStream_tbENKUlT_T0_E_clISt17integral_constantIbLb1EESZ_EEDaSU_SV_EUlSU_E_NS1_11comp_targetILNS1_3genE2ELNS1_11target_archE906ELNS1_3gpuE6ELNS1_3repE0EEENS1_30default_config_static_selectorELNS0_4arch9wavefront6targetE1EEEvT1_, .Lfunc_end1841-_ZN7rocprim17ROCPRIM_400000_NS6detail17trampoline_kernelINS0_14default_configENS1_27scan_by_key_config_selectorIjjEEZZNS1_16scan_by_key_implILNS1_25lookback_scan_determinismE0ELb0ES3_N6thrust23THRUST_200600_302600_NS6detail15normal_iteratorINS9_10device_ptrIjEEEESE_SE_jNS9_4plusIvEENS9_8equal_toIvEEjEE10hipError_tPvRmT2_T3_T4_T5_mT6_T7_P12ihipStream_tbENKUlT_T0_E_clISt17integral_constantIbLb1EESZ_EEDaSU_SV_EUlSU_E_NS1_11comp_targetILNS1_3genE2ELNS1_11target_archE906ELNS1_3gpuE6ELNS1_3repE0EEENS1_30default_config_static_selectorELNS0_4arch9wavefront6targetE1EEEvT1_
                                        ; -- End function
	.section	.AMDGPU.csdata,"",@progbits
; Kernel info:
; codeLenInByte = 0
; NumSgprs: 4
; NumVgprs: 0
; NumAgprs: 0
; TotalNumVgprs: 0
; ScratchSize: 0
; MemoryBound: 0
; FloatMode: 240
; IeeeMode: 1
; LDSByteSize: 0 bytes/workgroup (compile time only)
; SGPRBlocks: 0
; VGPRBlocks: 0
; NumSGPRsForWavesPerEU: 4
; NumVGPRsForWavesPerEU: 1
; AccumOffset: 4
; Occupancy: 8
; WaveLimiterHint : 0
; COMPUTE_PGM_RSRC2:SCRATCH_EN: 0
; COMPUTE_PGM_RSRC2:USER_SGPR: 6
; COMPUTE_PGM_RSRC2:TRAP_HANDLER: 0
; COMPUTE_PGM_RSRC2:TGID_X_EN: 1
; COMPUTE_PGM_RSRC2:TGID_Y_EN: 0
; COMPUTE_PGM_RSRC2:TGID_Z_EN: 0
; COMPUTE_PGM_RSRC2:TIDIG_COMP_CNT: 0
; COMPUTE_PGM_RSRC3_GFX90A:ACCUM_OFFSET: 0
; COMPUTE_PGM_RSRC3_GFX90A:TG_SPLIT: 0
	.section	.text._ZN7rocprim17ROCPRIM_400000_NS6detail17trampoline_kernelINS0_14default_configENS1_27scan_by_key_config_selectorIjjEEZZNS1_16scan_by_key_implILNS1_25lookback_scan_determinismE0ELb0ES3_N6thrust23THRUST_200600_302600_NS6detail15normal_iteratorINS9_10device_ptrIjEEEESE_SE_jNS9_4plusIvEENS9_8equal_toIvEEjEE10hipError_tPvRmT2_T3_T4_T5_mT6_T7_P12ihipStream_tbENKUlT_T0_E_clISt17integral_constantIbLb1EESZ_EEDaSU_SV_EUlSU_E_NS1_11comp_targetILNS1_3genE10ELNS1_11target_archE1200ELNS1_3gpuE4ELNS1_3repE0EEENS1_30default_config_static_selectorELNS0_4arch9wavefront6targetE1EEEvT1_,"axG",@progbits,_ZN7rocprim17ROCPRIM_400000_NS6detail17trampoline_kernelINS0_14default_configENS1_27scan_by_key_config_selectorIjjEEZZNS1_16scan_by_key_implILNS1_25lookback_scan_determinismE0ELb0ES3_N6thrust23THRUST_200600_302600_NS6detail15normal_iteratorINS9_10device_ptrIjEEEESE_SE_jNS9_4plusIvEENS9_8equal_toIvEEjEE10hipError_tPvRmT2_T3_T4_T5_mT6_T7_P12ihipStream_tbENKUlT_T0_E_clISt17integral_constantIbLb1EESZ_EEDaSU_SV_EUlSU_E_NS1_11comp_targetILNS1_3genE10ELNS1_11target_archE1200ELNS1_3gpuE4ELNS1_3repE0EEENS1_30default_config_static_selectorELNS0_4arch9wavefront6targetE1EEEvT1_,comdat
	.protected	_ZN7rocprim17ROCPRIM_400000_NS6detail17trampoline_kernelINS0_14default_configENS1_27scan_by_key_config_selectorIjjEEZZNS1_16scan_by_key_implILNS1_25lookback_scan_determinismE0ELb0ES3_N6thrust23THRUST_200600_302600_NS6detail15normal_iteratorINS9_10device_ptrIjEEEESE_SE_jNS9_4plusIvEENS9_8equal_toIvEEjEE10hipError_tPvRmT2_T3_T4_T5_mT6_T7_P12ihipStream_tbENKUlT_T0_E_clISt17integral_constantIbLb1EESZ_EEDaSU_SV_EUlSU_E_NS1_11comp_targetILNS1_3genE10ELNS1_11target_archE1200ELNS1_3gpuE4ELNS1_3repE0EEENS1_30default_config_static_selectorELNS0_4arch9wavefront6targetE1EEEvT1_ ; -- Begin function _ZN7rocprim17ROCPRIM_400000_NS6detail17trampoline_kernelINS0_14default_configENS1_27scan_by_key_config_selectorIjjEEZZNS1_16scan_by_key_implILNS1_25lookback_scan_determinismE0ELb0ES3_N6thrust23THRUST_200600_302600_NS6detail15normal_iteratorINS9_10device_ptrIjEEEESE_SE_jNS9_4plusIvEENS9_8equal_toIvEEjEE10hipError_tPvRmT2_T3_T4_T5_mT6_T7_P12ihipStream_tbENKUlT_T0_E_clISt17integral_constantIbLb1EESZ_EEDaSU_SV_EUlSU_E_NS1_11comp_targetILNS1_3genE10ELNS1_11target_archE1200ELNS1_3gpuE4ELNS1_3repE0EEENS1_30default_config_static_selectorELNS0_4arch9wavefront6targetE1EEEvT1_
	.globl	_ZN7rocprim17ROCPRIM_400000_NS6detail17trampoline_kernelINS0_14default_configENS1_27scan_by_key_config_selectorIjjEEZZNS1_16scan_by_key_implILNS1_25lookback_scan_determinismE0ELb0ES3_N6thrust23THRUST_200600_302600_NS6detail15normal_iteratorINS9_10device_ptrIjEEEESE_SE_jNS9_4plusIvEENS9_8equal_toIvEEjEE10hipError_tPvRmT2_T3_T4_T5_mT6_T7_P12ihipStream_tbENKUlT_T0_E_clISt17integral_constantIbLb1EESZ_EEDaSU_SV_EUlSU_E_NS1_11comp_targetILNS1_3genE10ELNS1_11target_archE1200ELNS1_3gpuE4ELNS1_3repE0EEENS1_30default_config_static_selectorELNS0_4arch9wavefront6targetE1EEEvT1_
	.p2align	8
	.type	_ZN7rocprim17ROCPRIM_400000_NS6detail17trampoline_kernelINS0_14default_configENS1_27scan_by_key_config_selectorIjjEEZZNS1_16scan_by_key_implILNS1_25lookback_scan_determinismE0ELb0ES3_N6thrust23THRUST_200600_302600_NS6detail15normal_iteratorINS9_10device_ptrIjEEEESE_SE_jNS9_4plusIvEENS9_8equal_toIvEEjEE10hipError_tPvRmT2_T3_T4_T5_mT6_T7_P12ihipStream_tbENKUlT_T0_E_clISt17integral_constantIbLb1EESZ_EEDaSU_SV_EUlSU_E_NS1_11comp_targetILNS1_3genE10ELNS1_11target_archE1200ELNS1_3gpuE4ELNS1_3repE0EEENS1_30default_config_static_selectorELNS0_4arch9wavefront6targetE1EEEvT1_,@function
_ZN7rocprim17ROCPRIM_400000_NS6detail17trampoline_kernelINS0_14default_configENS1_27scan_by_key_config_selectorIjjEEZZNS1_16scan_by_key_implILNS1_25lookback_scan_determinismE0ELb0ES3_N6thrust23THRUST_200600_302600_NS6detail15normal_iteratorINS9_10device_ptrIjEEEESE_SE_jNS9_4plusIvEENS9_8equal_toIvEEjEE10hipError_tPvRmT2_T3_T4_T5_mT6_T7_P12ihipStream_tbENKUlT_T0_E_clISt17integral_constantIbLb1EESZ_EEDaSU_SV_EUlSU_E_NS1_11comp_targetILNS1_3genE10ELNS1_11target_archE1200ELNS1_3gpuE4ELNS1_3repE0EEENS1_30default_config_static_selectorELNS0_4arch9wavefront6targetE1EEEvT1_: ; @_ZN7rocprim17ROCPRIM_400000_NS6detail17trampoline_kernelINS0_14default_configENS1_27scan_by_key_config_selectorIjjEEZZNS1_16scan_by_key_implILNS1_25lookback_scan_determinismE0ELb0ES3_N6thrust23THRUST_200600_302600_NS6detail15normal_iteratorINS9_10device_ptrIjEEEESE_SE_jNS9_4plusIvEENS9_8equal_toIvEEjEE10hipError_tPvRmT2_T3_T4_T5_mT6_T7_P12ihipStream_tbENKUlT_T0_E_clISt17integral_constantIbLb1EESZ_EEDaSU_SV_EUlSU_E_NS1_11comp_targetILNS1_3genE10ELNS1_11target_archE1200ELNS1_3gpuE4ELNS1_3repE0EEENS1_30default_config_static_selectorELNS0_4arch9wavefront6targetE1EEEvT1_
; %bb.0:
	.section	.rodata,"a",@progbits
	.p2align	6, 0x0
	.amdhsa_kernel _ZN7rocprim17ROCPRIM_400000_NS6detail17trampoline_kernelINS0_14default_configENS1_27scan_by_key_config_selectorIjjEEZZNS1_16scan_by_key_implILNS1_25lookback_scan_determinismE0ELb0ES3_N6thrust23THRUST_200600_302600_NS6detail15normal_iteratorINS9_10device_ptrIjEEEESE_SE_jNS9_4plusIvEENS9_8equal_toIvEEjEE10hipError_tPvRmT2_T3_T4_T5_mT6_T7_P12ihipStream_tbENKUlT_T0_E_clISt17integral_constantIbLb1EESZ_EEDaSU_SV_EUlSU_E_NS1_11comp_targetILNS1_3genE10ELNS1_11target_archE1200ELNS1_3gpuE4ELNS1_3repE0EEENS1_30default_config_static_selectorELNS0_4arch9wavefront6targetE1EEEvT1_
		.amdhsa_group_segment_fixed_size 0
		.amdhsa_private_segment_fixed_size 0
		.amdhsa_kernarg_size 112
		.amdhsa_user_sgpr_count 6
		.amdhsa_user_sgpr_private_segment_buffer 1
		.amdhsa_user_sgpr_dispatch_ptr 0
		.amdhsa_user_sgpr_queue_ptr 0
		.amdhsa_user_sgpr_kernarg_segment_ptr 1
		.amdhsa_user_sgpr_dispatch_id 0
		.amdhsa_user_sgpr_flat_scratch_init 0
		.amdhsa_user_sgpr_kernarg_preload_length 0
		.amdhsa_user_sgpr_kernarg_preload_offset 0
		.amdhsa_user_sgpr_private_segment_size 0
		.amdhsa_uses_dynamic_stack 0
		.amdhsa_system_sgpr_private_segment_wavefront_offset 0
		.amdhsa_system_sgpr_workgroup_id_x 1
		.amdhsa_system_sgpr_workgroup_id_y 0
		.amdhsa_system_sgpr_workgroup_id_z 0
		.amdhsa_system_sgpr_workgroup_info 0
		.amdhsa_system_vgpr_workitem_id 0
		.amdhsa_next_free_vgpr 1
		.amdhsa_next_free_sgpr 0
		.amdhsa_accum_offset 4
		.amdhsa_reserve_vcc 0
		.amdhsa_reserve_flat_scratch 0
		.amdhsa_float_round_mode_32 0
		.amdhsa_float_round_mode_16_64 0
		.amdhsa_float_denorm_mode_32 3
		.amdhsa_float_denorm_mode_16_64 3
		.amdhsa_dx10_clamp 1
		.amdhsa_ieee_mode 1
		.amdhsa_fp16_overflow 0
		.amdhsa_tg_split 0
		.amdhsa_exception_fp_ieee_invalid_op 0
		.amdhsa_exception_fp_denorm_src 0
		.amdhsa_exception_fp_ieee_div_zero 0
		.amdhsa_exception_fp_ieee_overflow 0
		.amdhsa_exception_fp_ieee_underflow 0
		.amdhsa_exception_fp_ieee_inexact 0
		.amdhsa_exception_int_div_zero 0
	.end_amdhsa_kernel
	.section	.text._ZN7rocprim17ROCPRIM_400000_NS6detail17trampoline_kernelINS0_14default_configENS1_27scan_by_key_config_selectorIjjEEZZNS1_16scan_by_key_implILNS1_25lookback_scan_determinismE0ELb0ES3_N6thrust23THRUST_200600_302600_NS6detail15normal_iteratorINS9_10device_ptrIjEEEESE_SE_jNS9_4plusIvEENS9_8equal_toIvEEjEE10hipError_tPvRmT2_T3_T4_T5_mT6_T7_P12ihipStream_tbENKUlT_T0_E_clISt17integral_constantIbLb1EESZ_EEDaSU_SV_EUlSU_E_NS1_11comp_targetILNS1_3genE10ELNS1_11target_archE1200ELNS1_3gpuE4ELNS1_3repE0EEENS1_30default_config_static_selectorELNS0_4arch9wavefront6targetE1EEEvT1_,"axG",@progbits,_ZN7rocprim17ROCPRIM_400000_NS6detail17trampoline_kernelINS0_14default_configENS1_27scan_by_key_config_selectorIjjEEZZNS1_16scan_by_key_implILNS1_25lookback_scan_determinismE0ELb0ES3_N6thrust23THRUST_200600_302600_NS6detail15normal_iteratorINS9_10device_ptrIjEEEESE_SE_jNS9_4plusIvEENS9_8equal_toIvEEjEE10hipError_tPvRmT2_T3_T4_T5_mT6_T7_P12ihipStream_tbENKUlT_T0_E_clISt17integral_constantIbLb1EESZ_EEDaSU_SV_EUlSU_E_NS1_11comp_targetILNS1_3genE10ELNS1_11target_archE1200ELNS1_3gpuE4ELNS1_3repE0EEENS1_30default_config_static_selectorELNS0_4arch9wavefront6targetE1EEEvT1_,comdat
.Lfunc_end1842:
	.size	_ZN7rocprim17ROCPRIM_400000_NS6detail17trampoline_kernelINS0_14default_configENS1_27scan_by_key_config_selectorIjjEEZZNS1_16scan_by_key_implILNS1_25lookback_scan_determinismE0ELb0ES3_N6thrust23THRUST_200600_302600_NS6detail15normal_iteratorINS9_10device_ptrIjEEEESE_SE_jNS9_4plusIvEENS9_8equal_toIvEEjEE10hipError_tPvRmT2_T3_T4_T5_mT6_T7_P12ihipStream_tbENKUlT_T0_E_clISt17integral_constantIbLb1EESZ_EEDaSU_SV_EUlSU_E_NS1_11comp_targetILNS1_3genE10ELNS1_11target_archE1200ELNS1_3gpuE4ELNS1_3repE0EEENS1_30default_config_static_selectorELNS0_4arch9wavefront6targetE1EEEvT1_, .Lfunc_end1842-_ZN7rocprim17ROCPRIM_400000_NS6detail17trampoline_kernelINS0_14default_configENS1_27scan_by_key_config_selectorIjjEEZZNS1_16scan_by_key_implILNS1_25lookback_scan_determinismE0ELb0ES3_N6thrust23THRUST_200600_302600_NS6detail15normal_iteratorINS9_10device_ptrIjEEEESE_SE_jNS9_4plusIvEENS9_8equal_toIvEEjEE10hipError_tPvRmT2_T3_T4_T5_mT6_T7_P12ihipStream_tbENKUlT_T0_E_clISt17integral_constantIbLb1EESZ_EEDaSU_SV_EUlSU_E_NS1_11comp_targetILNS1_3genE10ELNS1_11target_archE1200ELNS1_3gpuE4ELNS1_3repE0EEENS1_30default_config_static_selectorELNS0_4arch9wavefront6targetE1EEEvT1_
                                        ; -- End function
	.section	.AMDGPU.csdata,"",@progbits
; Kernel info:
; codeLenInByte = 0
; NumSgprs: 4
; NumVgprs: 0
; NumAgprs: 0
; TotalNumVgprs: 0
; ScratchSize: 0
; MemoryBound: 0
; FloatMode: 240
; IeeeMode: 1
; LDSByteSize: 0 bytes/workgroup (compile time only)
; SGPRBlocks: 0
; VGPRBlocks: 0
; NumSGPRsForWavesPerEU: 4
; NumVGPRsForWavesPerEU: 1
; AccumOffset: 4
; Occupancy: 8
; WaveLimiterHint : 0
; COMPUTE_PGM_RSRC2:SCRATCH_EN: 0
; COMPUTE_PGM_RSRC2:USER_SGPR: 6
; COMPUTE_PGM_RSRC2:TRAP_HANDLER: 0
; COMPUTE_PGM_RSRC2:TGID_X_EN: 1
; COMPUTE_PGM_RSRC2:TGID_Y_EN: 0
; COMPUTE_PGM_RSRC2:TGID_Z_EN: 0
; COMPUTE_PGM_RSRC2:TIDIG_COMP_CNT: 0
; COMPUTE_PGM_RSRC3_GFX90A:ACCUM_OFFSET: 0
; COMPUTE_PGM_RSRC3_GFX90A:TG_SPLIT: 0
	.section	.text._ZN7rocprim17ROCPRIM_400000_NS6detail17trampoline_kernelINS0_14default_configENS1_27scan_by_key_config_selectorIjjEEZZNS1_16scan_by_key_implILNS1_25lookback_scan_determinismE0ELb0ES3_N6thrust23THRUST_200600_302600_NS6detail15normal_iteratorINS9_10device_ptrIjEEEESE_SE_jNS9_4plusIvEENS9_8equal_toIvEEjEE10hipError_tPvRmT2_T3_T4_T5_mT6_T7_P12ihipStream_tbENKUlT_T0_E_clISt17integral_constantIbLb1EESZ_EEDaSU_SV_EUlSU_E_NS1_11comp_targetILNS1_3genE9ELNS1_11target_archE1100ELNS1_3gpuE3ELNS1_3repE0EEENS1_30default_config_static_selectorELNS0_4arch9wavefront6targetE1EEEvT1_,"axG",@progbits,_ZN7rocprim17ROCPRIM_400000_NS6detail17trampoline_kernelINS0_14default_configENS1_27scan_by_key_config_selectorIjjEEZZNS1_16scan_by_key_implILNS1_25lookback_scan_determinismE0ELb0ES3_N6thrust23THRUST_200600_302600_NS6detail15normal_iteratorINS9_10device_ptrIjEEEESE_SE_jNS9_4plusIvEENS9_8equal_toIvEEjEE10hipError_tPvRmT2_T3_T4_T5_mT6_T7_P12ihipStream_tbENKUlT_T0_E_clISt17integral_constantIbLb1EESZ_EEDaSU_SV_EUlSU_E_NS1_11comp_targetILNS1_3genE9ELNS1_11target_archE1100ELNS1_3gpuE3ELNS1_3repE0EEENS1_30default_config_static_selectorELNS0_4arch9wavefront6targetE1EEEvT1_,comdat
	.protected	_ZN7rocprim17ROCPRIM_400000_NS6detail17trampoline_kernelINS0_14default_configENS1_27scan_by_key_config_selectorIjjEEZZNS1_16scan_by_key_implILNS1_25lookback_scan_determinismE0ELb0ES3_N6thrust23THRUST_200600_302600_NS6detail15normal_iteratorINS9_10device_ptrIjEEEESE_SE_jNS9_4plusIvEENS9_8equal_toIvEEjEE10hipError_tPvRmT2_T3_T4_T5_mT6_T7_P12ihipStream_tbENKUlT_T0_E_clISt17integral_constantIbLb1EESZ_EEDaSU_SV_EUlSU_E_NS1_11comp_targetILNS1_3genE9ELNS1_11target_archE1100ELNS1_3gpuE3ELNS1_3repE0EEENS1_30default_config_static_selectorELNS0_4arch9wavefront6targetE1EEEvT1_ ; -- Begin function _ZN7rocprim17ROCPRIM_400000_NS6detail17trampoline_kernelINS0_14default_configENS1_27scan_by_key_config_selectorIjjEEZZNS1_16scan_by_key_implILNS1_25lookback_scan_determinismE0ELb0ES3_N6thrust23THRUST_200600_302600_NS6detail15normal_iteratorINS9_10device_ptrIjEEEESE_SE_jNS9_4plusIvEENS9_8equal_toIvEEjEE10hipError_tPvRmT2_T3_T4_T5_mT6_T7_P12ihipStream_tbENKUlT_T0_E_clISt17integral_constantIbLb1EESZ_EEDaSU_SV_EUlSU_E_NS1_11comp_targetILNS1_3genE9ELNS1_11target_archE1100ELNS1_3gpuE3ELNS1_3repE0EEENS1_30default_config_static_selectorELNS0_4arch9wavefront6targetE1EEEvT1_
	.globl	_ZN7rocprim17ROCPRIM_400000_NS6detail17trampoline_kernelINS0_14default_configENS1_27scan_by_key_config_selectorIjjEEZZNS1_16scan_by_key_implILNS1_25lookback_scan_determinismE0ELb0ES3_N6thrust23THRUST_200600_302600_NS6detail15normal_iteratorINS9_10device_ptrIjEEEESE_SE_jNS9_4plusIvEENS9_8equal_toIvEEjEE10hipError_tPvRmT2_T3_T4_T5_mT6_T7_P12ihipStream_tbENKUlT_T0_E_clISt17integral_constantIbLb1EESZ_EEDaSU_SV_EUlSU_E_NS1_11comp_targetILNS1_3genE9ELNS1_11target_archE1100ELNS1_3gpuE3ELNS1_3repE0EEENS1_30default_config_static_selectorELNS0_4arch9wavefront6targetE1EEEvT1_
	.p2align	8
	.type	_ZN7rocprim17ROCPRIM_400000_NS6detail17trampoline_kernelINS0_14default_configENS1_27scan_by_key_config_selectorIjjEEZZNS1_16scan_by_key_implILNS1_25lookback_scan_determinismE0ELb0ES3_N6thrust23THRUST_200600_302600_NS6detail15normal_iteratorINS9_10device_ptrIjEEEESE_SE_jNS9_4plusIvEENS9_8equal_toIvEEjEE10hipError_tPvRmT2_T3_T4_T5_mT6_T7_P12ihipStream_tbENKUlT_T0_E_clISt17integral_constantIbLb1EESZ_EEDaSU_SV_EUlSU_E_NS1_11comp_targetILNS1_3genE9ELNS1_11target_archE1100ELNS1_3gpuE3ELNS1_3repE0EEENS1_30default_config_static_selectorELNS0_4arch9wavefront6targetE1EEEvT1_,@function
_ZN7rocprim17ROCPRIM_400000_NS6detail17trampoline_kernelINS0_14default_configENS1_27scan_by_key_config_selectorIjjEEZZNS1_16scan_by_key_implILNS1_25lookback_scan_determinismE0ELb0ES3_N6thrust23THRUST_200600_302600_NS6detail15normal_iteratorINS9_10device_ptrIjEEEESE_SE_jNS9_4plusIvEENS9_8equal_toIvEEjEE10hipError_tPvRmT2_T3_T4_T5_mT6_T7_P12ihipStream_tbENKUlT_T0_E_clISt17integral_constantIbLb1EESZ_EEDaSU_SV_EUlSU_E_NS1_11comp_targetILNS1_3genE9ELNS1_11target_archE1100ELNS1_3gpuE3ELNS1_3repE0EEENS1_30default_config_static_selectorELNS0_4arch9wavefront6targetE1EEEvT1_: ; @_ZN7rocprim17ROCPRIM_400000_NS6detail17trampoline_kernelINS0_14default_configENS1_27scan_by_key_config_selectorIjjEEZZNS1_16scan_by_key_implILNS1_25lookback_scan_determinismE0ELb0ES3_N6thrust23THRUST_200600_302600_NS6detail15normal_iteratorINS9_10device_ptrIjEEEESE_SE_jNS9_4plusIvEENS9_8equal_toIvEEjEE10hipError_tPvRmT2_T3_T4_T5_mT6_T7_P12ihipStream_tbENKUlT_T0_E_clISt17integral_constantIbLb1EESZ_EEDaSU_SV_EUlSU_E_NS1_11comp_targetILNS1_3genE9ELNS1_11target_archE1100ELNS1_3gpuE3ELNS1_3repE0EEENS1_30default_config_static_selectorELNS0_4arch9wavefront6targetE1EEEvT1_
; %bb.0:
	.section	.rodata,"a",@progbits
	.p2align	6, 0x0
	.amdhsa_kernel _ZN7rocprim17ROCPRIM_400000_NS6detail17trampoline_kernelINS0_14default_configENS1_27scan_by_key_config_selectorIjjEEZZNS1_16scan_by_key_implILNS1_25lookback_scan_determinismE0ELb0ES3_N6thrust23THRUST_200600_302600_NS6detail15normal_iteratorINS9_10device_ptrIjEEEESE_SE_jNS9_4plusIvEENS9_8equal_toIvEEjEE10hipError_tPvRmT2_T3_T4_T5_mT6_T7_P12ihipStream_tbENKUlT_T0_E_clISt17integral_constantIbLb1EESZ_EEDaSU_SV_EUlSU_E_NS1_11comp_targetILNS1_3genE9ELNS1_11target_archE1100ELNS1_3gpuE3ELNS1_3repE0EEENS1_30default_config_static_selectorELNS0_4arch9wavefront6targetE1EEEvT1_
		.amdhsa_group_segment_fixed_size 0
		.amdhsa_private_segment_fixed_size 0
		.amdhsa_kernarg_size 112
		.amdhsa_user_sgpr_count 6
		.amdhsa_user_sgpr_private_segment_buffer 1
		.amdhsa_user_sgpr_dispatch_ptr 0
		.amdhsa_user_sgpr_queue_ptr 0
		.amdhsa_user_sgpr_kernarg_segment_ptr 1
		.amdhsa_user_sgpr_dispatch_id 0
		.amdhsa_user_sgpr_flat_scratch_init 0
		.amdhsa_user_sgpr_kernarg_preload_length 0
		.amdhsa_user_sgpr_kernarg_preload_offset 0
		.amdhsa_user_sgpr_private_segment_size 0
		.amdhsa_uses_dynamic_stack 0
		.amdhsa_system_sgpr_private_segment_wavefront_offset 0
		.amdhsa_system_sgpr_workgroup_id_x 1
		.amdhsa_system_sgpr_workgroup_id_y 0
		.amdhsa_system_sgpr_workgroup_id_z 0
		.amdhsa_system_sgpr_workgroup_info 0
		.amdhsa_system_vgpr_workitem_id 0
		.amdhsa_next_free_vgpr 1
		.amdhsa_next_free_sgpr 0
		.amdhsa_accum_offset 4
		.amdhsa_reserve_vcc 0
		.amdhsa_reserve_flat_scratch 0
		.amdhsa_float_round_mode_32 0
		.amdhsa_float_round_mode_16_64 0
		.amdhsa_float_denorm_mode_32 3
		.amdhsa_float_denorm_mode_16_64 3
		.amdhsa_dx10_clamp 1
		.amdhsa_ieee_mode 1
		.amdhsa_fp16_overflow 0
		.amdhsa_tg_split 0
		.amdhsa_exception_fp_ieee_invalid_op 0
		.amdhsa_exception_fp_denorm_src 0
		.amdhsa_exception_fp_ieee_div_zero 0
		.amdhsa_exception_fp_ieee_overflow 0
		.amdhsa_exception_fp_ieee_underflow 0
		.amdhsa_exception_fp_ieee_inexact 0
		.amdhsa_exception_int_div_zero 0
	.end_amdhsa_kernel
	.section	.text._ZN7rocprim17ROCPRIM_400000_NS6detail17trampoline_kernelINS0_14default_configENS1_27scan_by_key_config_selectorIjjEEZZNS1_16scan_by_key_implILNS1_25lookback_scan_determinismE0ELb0ES3_N6thrust23THRUST_200600_302600_NS6detail15normal_iteratorINS9_10device_ptrIjEEEESE_SE_jNS9_4plusIvEENS9_8equal_toIvEEjEE10hipError_tPvRmT2_T3_T4_T5_mT6_T7_P12ihipStream_tbENKUlT_T0_E_clISt17integral_constantIbLb1EESZ_EEDaSU_SV_EUlSU_E_NS1_11comp_targetILNS1_3genE9ELNS1_11target_archE1100ELNS1_3gpuE3ELNS1_3repE0EEENS1_30default_config_static_selectorELNS0_4arch9wavefront6targetE1EEEvT1_,"axG",@progbits,_ZN7rocprim17ROCPRIM_400000_NS6detail17trampoline_kernelINS0_14default_configENS1_27scan_by_key_config_selectorIjjEEZZNS1_16scan_by_key_implILNS1_25lookback_scan_determinismE0ELb0ES3_N6thrust23THRUST_200600_302600_NS6detail15normal_iteratorINS9_10device_ptrIjEEEESE_SE_jNS9_4plusIvEENS9_8equal_toIvEEjEE10hipError_tPvRmT2_T3_T4_T5_mT6_T7_P12ihipStream_tbENKUlT_T0_E_clISt17integral_constantIbLb1EESZ_EEDaSU_SV_EUlSU_E_NS1_11comp_targetILNS1_3genE9ELNS1_11target_archE1100ELNS1_3gpuE3ELNS1_3repE0EEENS1_30default_config_static_selectorELNS0_4arch9wavefront6targetE1EEEvT1_,comdat
.Lfunc_end1843:
	.size	_ZN7rocprim17ROCPRIM_400000_NS6detail17trampoline_kernelINS0_14default_configENS1_27scan_by_key_config_selectorIjjEEZZNS1_16scan_by_key_implILNS1_25lookback_scan_determinismE0ELb0ES3_N6thrust23THRUST_200600_302600_NS6detail15normal_iteratorINS9_10device_ptrIjEEEESE_SE_jNS9_4plusIvEENS9_8equal_toIvEEjEE10hipError_tPvRmT2_T3_T4_T5_mT6_T7_P12ihipStream_tbENKUlT_T0_E_clISt17integral_constantIbLb1EESZ_EEDaSU_SV_EUlSU_E_NS1_11comp_targetILNS1_3genE9ELNS1_11target_archE1100ELNS1_3gpuE3ELNS1_3repE0EEENS1_30default_config_static_selectorELNS0_4arch9wavefront6targetE1EEEvT1_, .Lfunc_end1843-_ZN7rocprim17ROCPRIM_400000_NS6detail17trampoline_kernelINS0_14default_configENS1_27scan_by_key_config_selectorIjjEEZZNS1_16scan_by_key_implILNS1_25lookback_scan_determinismE0ELb0ES3_N6thrust23THRUST_200600_302600_NS6detail15normal_iteratorINS9_10device_ptrIjEEEESE_SE_jNS9_4plusIvEENS9_8equal_toIvEEjEE10hipError_tPvRmT2_T3_T4_T5_mT6_T7_P12ihipStream_tbENKUlT_T0_E_clISt17integral_constantIbLb1EESZ_EEDaSU_SV_EUlSU_E_NS1_11comp_targetILNS1_3genE9ELNS1_11target_archE1100ELNS1_3gpuE3ELNS1_3repE0EEENS1_30default_config_static_selectorELNS0_4arch9wavefront6targetE1EEEvT1_
                                        ; -- End function
	.section	.AMDGPU.csdata,"",@progbits
; Kernel info:
; codeLenInByte = 0
; NumSgprs: 4
; NumVgprs: 0
; NumAgprs: 0
; TotalNumVgprs: 0
; ScratchSize: 0
; MemoryBound: 0
; FloatMode: 240
; IeeeMode: 1
; LDSByteSize: 0 bytes/workgroup (compile time only)
; SGPRBlocks: 0
; VGPRBlocks: 0
; NumSGPRsForWavesPerEU: 4
; NumVGPRsForWavesPerEU: 1
; AccumOffset: 4
; Occupancy: 8
; WaveLimiterHint : 0
; COMPUTE_PGM_RSRC2:SCRATCH_EN: 0
; COMPUTE_PGM_RSRC2:USER_SGPR: 6
; COMPUTE_PGM_RSRC2:TRAP_HANDLER: 0
; COMPUTE_PGM_RSRC2:TGID_X_EN: 1
; COMPUTE_PGM_RSRC2:TGID_Y_EN: 0
; COMPUTE_PGM_RSRC2:TGID_Z_EN: 0
; COMPUTE_PGM_RSRC2:TIDIG_COMP_CNT: 0
; COMPUTE_PGM_RSRC3_GFX90A:ACCUM_OFFSET: 0
; COMPUTE_PGM_RSRC3_GFX90A:TG_SPLIT: 0
	.section	.text._ZN7rocprim17ROCPRIM_400000_NS6detail17trampoline_kernelINS0_14default_configENS1_27scan_by_key_config_selectorIjjEEZZNS1_16scan_by_key_implILNS1_25lookback_scan_determinismE0ELb0ES3_N6thrust23THRUST_200600_302600_NS6detail15normal_iteratorINS9_10device_ptrIjEEEESE_SE_jNS9_4plusIvEENS9_8equal_toIvEEjEE10hipError_tPvRmT2_T3_T4_T5_mT6_T7_P12ihipStream_tbENKUlT_T0_E_clISt17integral_constantIbLb1EESZ_EEDaSU_SV_EUlSU_E_NS1_11comp_targetILNS1_3genE8ELNS1_11target_archE1030ELNS1_3gpuE2ELNS1_3repE0EEENS1_30default_config_static_selectorELNS0_4arch9wavefront6targetE1EEEvT1_,"axG",@progbits,_ZN7rocprim17ROCPRIM_400000_NS6detail17trampoline_kernelINS0_14default_configENS1_27scan_by_key_config_selectorIjjEEZZNS1_16scan_by_key_implILNS1_25lookback_scan_determinismE0ELb0ES3_N6thrust23THRUST_200600_302600_NS6detail15normal_iteratorINS9_10device_ptrIjEEEESE_SE_jNS9_4plusIvEENS9_8equal_toIvEEjEE10hipError_tPvRmT2_T3_T4_T5_mT6_T7_P12ihipStream_tbENKUlT_T0_E_clISt17integral_constantIbLb1EESZ_EEDaSU_SV_EUlSU_E_NS1_11comp_targetILNS1_3genE8ELNS1_11target_archE1030ELNS1_3gpuE2ELNS1_3repE0EEENS1_30default_config_static_selectorELNS0_4arch9wavefront6targetE1EEEvT1_,comdat
	.protected	_ZN7rocprim17ROCPRIM_400000_NS6detail17trampoline_kernelINS0_14default_configENS1_27scan_by_key_config_selectorIjjEEZZNS1_16scan_by_key_implILNS1_25lookback_scan_determinismE0ELb0ES3_N6thrust23THRUST_200600_302600_NS6detail15normal_iteratorINS9_10device_ptrIjEEEESE_SE_jNS9_4plusIvEENS9_8equal_toIvEEjEE10hipError_tPvRmT2_T3_T4_T5_mT6_T7_P12ihipStream_tbENKUlT_T0_E_clISt17integral_constantIbLb1EESZ_EEDaSU_SV_EUlSU_E_NS1_11comp_targetILNS1_3genE8ELNS1_11target_archE1030ELNS1_3gpuE2ELNS1_3repE0EEENS1_30default_config_static_selectorELNS0_4arch9wavefront6targetE1EEEvT1_ ; -- Begin function _ZN7rocprim17ROCPRIM_400000_NS6detail17trampoline_kernelINS0_14default_configENS1_27scan_by_key_config_selectorIjjEEZZNS1_16scan_by_key_implILNS1_25lookback_scan_determinismE0ELb0ES3_N6thrust23THRUST_200600_302600_NS6detail15normal_iteratorINS9_10device_ptrIjEEEESE_SE_jNS9_4plusIvEENS9_8equal_toIvEEjEE10hipError_tPvRmT2_T3_T4_T5_mT6_T7_P12ihipStream_tbENKUlT_T0_E_clISt17integral_constantIbLb1EESZ_EEDaSU_SV_EUlSU_E_NS1_11comp_targetILNS1_3genE8ELNS1_11target_archE1030ELNS1_3gpuE2ELNS1_3repE0EEENS1_30default_config_static_selectorELNS0_4arch9wavefront6targetE1EEEvT1_
	.globl	_ZN7rocprim17ROCPRIM_400000_NS6detail17trampoline_kernelINS0_14default_configENS1_27scan_by_key_config_selectorIjjEEZZNS1_16scan_by_key_implILNS1_25lookback_scan_determinismE0ELb0ES3_N6thrust23THRUST_200600_302600_NS6detail15normal_iteratorINS9_10device_ptrIjEEEESE_SE_jNS9_4plusIvEENS9_8equal_toIvEEjEE10hipError_tPvRmT2_T3_T4_T5_mT6_T7_P12ihipStream_tbENKUlT_T0_E_clISt17integral_constantIbLb1EESZ_EEDaSU_SV_EUlSU_E_NS1_11comp_targetILNS1_3genE8ELNS1_11target_archE1030ELNS1_3gpuE2ELNS1_3repE0EEENS1_30default_config_static_selectorELNS0_4arch9wavefront6targetE1EEEvT1_
	.p2align	8
	.type	_ZN7rocprim17ROCPRIM_400000_NS6detail17trampoline_kernelINS0_14default_configENS1_27scan_by_key_config_selectorIjjEEZZNS1_16scan_by_key_implILNS1_25lookback_scan_determinismE0ELb0ES3_N6thrust23THRUST_200600_302600_NS6detail15normal_iteratorINS9_10device_ptrIjEEEESE_SE_jNS9_4plusIvEENS9_8equal_toIvEEjEE10hipError_tPvRmT2_T3_T4_T5_mT6_T7_P12ihipStream_tbENKUlT_T0_E_clISt17integral_constantIbLb1EESZ_EEDaSU_SV_EUlSU_E_NS1_11comp_targetILNS1_3genE8ELNS1_11target_archE1030ELNS1_3gpuE2ELNS1_3repE0EEENS1_30default_config_static_selectorELNS0_4arch9wavefront6targetE1EEEvT1_,@function
_ZN7rocprim17ROCPRIM_400000_NS6detail17trampoline_kernelINS0_14default_configENS1_27scan_by_key_config_selectorIjjEEZZNS1_16scan_by_key_implILNS1_25lookback_scan_determinismE0ELb0ES3_N6thrust23THRUST_200600_302600_NS6detail15normal_iteratorINS9_10device_ptrIjEEEESE_SE_jNS9_4plusIvEENS9_8equal_toIvEEjEE10hipError_tPvRmT2_T3_T4_T5_mT6_T7_P12ihipStream_tbENKUlT_T0_E_clISt17integral_constantIbLb1EESZ_EEDaSU_SV_EUlSU_E_NS1_11comp_targetILNS1_3genE8ELNS1_11target_archE1030ELNS1_3gpuE2ELNS1_3repE0EEENS1_30default_config_static_selectorELNS0_4arch9wavefront6targetE1EEEvT1_: ; @_ZN7rocprim17ROCPRIM_400000_NS6detail17trampoline_kernelINS0_14default_configENS1_27scan_by_key_config_selectorIjjEEZZNS1_16scan_by_key_implILNS1_25lookback_scan_determinismE0ELb0ES3_N6thrust23THRUST_200600_302600_NS6detail15normal_iteratorINS9_10device_ptrIjEEEESE_SE_jNS9_4plusIvEENS9_8equal_toIvEEjEE10hipError_tPvRmT2_T3_T4_T5_mT6_T7_P12ihipStream_tbENKUlT_T0_E_clISt17integral_constantIbLb1EESZ_EEDaSU_SV_EUlSU_E_NS1_11comp_targetILNS1_3genE8ELNS1_11target_archE1030ELNS1_3gpuE2ELNS1_3repE0EEENS1_30default_config_static_selectorELNS0_4arch9wavefront6targetE1EEEvT1_
; %bb.0:
	.section	.rodata,"a",@progbits
	.p2align	6, 0x0
	.amdhsa_kernel _ZN7rocprim17ROCPRIM_400000_NS6detail17trampoline_kernelINS0_14default_configENS1_27scan_by_key_config_selectorIjjEEZZNS1_16scan_by_key_implILNS1_25lookback_scan_determinismE0ELb0ES3_N6thrust23THRUST_200600_302600_NS6detail15normal_iteratorINS9_10device_ptrIjEEEESE_SE_jNS9_4plusIvEENS9_8equal_toIvEEjEE10hipError_tPvRmT2_T3_T4_T5_mT6_T7_P12ihipStream_tbENKUlT_T0_E_clISt17integral_constantIbLb1EESZ_EEDaSU_SV_EUlSU_E_NS1_11comp_targetILNS1_3genE8ELNS1_11target_archE1030ELNS1_3gpuE2ELNS1_3repE0EEENS1_30default_config_static_selectorELNS0_4arch9wavefront6targetE1EEEvT1_
		.amdhsa_group_segment_fixed_size 0
		.amdhsa_private_segment_fixed_size 0
		.amdhsa_kernarg_size 112
		.amdhsa_user_sgpr_count 6
		.amdhsa_user_sgpr_private_segment_buffer 1
		.amdhsa_user_sgpr_dispatch_ptr 0
		.amdhsa_user_sgpr_queue_ptr 0
		.amdhsa_user_sgpr_kernarg_segment_ptr 1
		.amdhsa_user_sgpr_dispatch_id 0
		.amdhsa_user_sgpr_flat_scratch_init 0
		.amdhsa_user_sgpr_kernarg_preload_length 0
		.amdhsa_user_sgpr_kernarg_preload_offset 0
		.amdhsa_user_sgpr_private_segment_size 0
		.amdhsa_uses_dynamic_stack 0
		.amdhsa_system_sgpr_private_segment_wavefront_offset 0
		.amdhsa_system_sgpr_workgroup_id_x 1
		.amdhsa_system_sgpr_workgroup_id_y 0
		.amdhsa_system_sgpr_workgroup_id_z 0
		.amdhsa_system_sgpr_workgroup_info 0
		.amdhsa_system_vgpr_workitem_id 0
		.amdhsa_next_free_vgpr 1
		.amdhsa_next_free_sgpr 0
		.amdhsa_accum_offset 4
		.amdhsa_reserve_vcc 0
		.amdhsa_reserve_flat_scratch 0
		.amdhsa_float_round_mode_32 0
		.amdhsa_float_round_mode_16_64 0
		.amdhsa_float_denorm_mode_32 3
		.amdhsa_float_denorm_mode_16_64 3
		.amdhsa_dx10_clamp 1
		.amdhsa_ieee_mode 1
		.amdhsa_fp16_overflow 0
		.amdhsa_tg_split 0
		.amdhsa_exception_fp_ieee_invalid_op 0
		.amdhsa_exception_fp_denorm_src 0
		.amdhsa_exception_fp_ieee_div_zero 0
		.amdhsa_exception_fp_ieee_overflow 0
		.amdhsa_exception_fp_ieee_underflow 0
		.amdhsa_exception_fp_ieee_inexact 0
		.amdhsa_exception_int_div_zero 0
	.end_amdhsa_kernel
	.section	.text._ZN7rocprim17ROCPRIM_400000_NS6detail17trampoline_kernelINS0_14default_configENS1_27scan_by_key_config_selectorIjjEEZZNS1_16scan_by_key_implILNS1_25lookback_scan_determinismE0ELb0ES3_N6thrust23THRUST_200600_302600_NS6detail15normal_iteratorINS9_10device_ptrIjEEEESE_SE_jNS9_4plusIvEENS9_8equal_toIvEEjEE10hipError_tPvRmT2_T3_T4_T5_mT6_T7_P12ihipStream_tbENKUlT_T0_E_clISt17integral_constantIbLb1EESZ_EEDaSU_SV_EUlSU_E_NS1_11comp_targetILNS1_3genE8ELNS1_11target_archE1030ELNS1_3gpuE2ELNS1_3repE0EEENS1_30default_config_static_selectorELNS0_4arch9wavefront6targetE1EEEvT1_,"axG",@progbits,_ZN7rocprim17ROCPRIM_400000_NS6detail17trampoline_kernelINS0_14default_configENS1_27scan_by_key_config_selectorIjjEEZZNS1_16scan_by_key_implILNS1_25lookback_scan_determinismE0ELb0ES3_N6thrust23THRUST_200600_302600_NS6detail15normal_iteratorINS9_10device_ptrIjEEEESE_SE_jNS9_4plusIvEENS9_8equal_toIvEEjEE10hipError_tPvRmT2_T3_T4_T5_mT6_T7_P12ihipStream_tbENKUlT_T0_E_clISt17integral_constantIbLb1EESZ_EEDaSU_SV_EUlSU_E_NS1_11comp_targetILNS1_3genE8ELNS1_11target_archE1030ELNS1_3gpuE2ELNS1_3repE0EEENS1_30default_config_static_selectorELNS0_4arch9wavefront6targetE1EEEvT1_,comdat
.Lfunc_end1844:
	.size	_ZN7rocprim17ROCPRIM_400000_NS6detail17trampoline_kernelINS0_14default_configENS1_27scan_by_key_config_selectorIjjEEZZNS1_16scan_by_key_implILNS1_25lookback_scan_determinismE0ELb0ES3_N6thrust23THRUST_200600_302600_NS6detail15normal_iteratorINS9_10device_ptrIjEEEESE_SE_jNS9_4plusIvEENS9_8equal_toIvEEjEE10hipError_tPvRmT2_T3_T4_T5_mT6_T7_P12ihipStream_tbENKUlT_T0_E_clISt17integral_constantIbLb1EESZ_EEDaSU_SV_EUlSU_E_NS1_11comp_targetILNS1_3genE8ELNS1_11target_archE1030ELNS1_3gpuE2ELNS1_3repE0EEENS1_30default_config_static_selectorELNS0_4arch9wavefront6targetE1EEEvT1_, .Lfunc_end1844-_ZN7rocprim17ROCPRIM_400000_NS6detail17trampoline_kernelINS0_14default_configENS1_27scan_by_key_config_selectorIjjEEZZNS1_16scan_by_key_implILNS1_25lookback_scan_determinismE0ELb0ES3_N6thrust23THRUST_200600_302600_NS6detail15normal_iteratorINS9_10device_ptrIjEEEESE_SE_jNS9_4plusIvEENS9_8equal_toIvEEjEE10hipError_tPvRmT2_T3_T4_T5_mT6_T7_P12ihipStream_tbENKUlT_T0_E_clISt17integral_constantIbLb1EESZ_EEDaSU_SV_EUlSU_E_NS1_11comp_targetILNS1_3genE8ELNS1_11target_archE1030ELNS1_3gpuE2ELNS1_3repE0EEENS1_30default_config_static_selectorELNS0_4arch9wavefront6targetE1EEEvT1_
                                        ; -- End function
	.section	.AMDGPU.csdata,"",@progbits
; Kernel info:
; codeLenInByte = 0
; NumSgprs: 4
; NumVgprs: 0
; NumAgprs: 0
; TotalNumVgprs: 0
; ScratchSize: 0
; MemoryBound: 0
; FloatMode: 240
; IeeeMode: 1
; LDSByteSize: 0 bytes/workgroup (compile time only)
; SGPRBlocks: 0
; VGPRBlocks: 0
; NumSGPRsForWavesPerEU: 4
; NumVGPRsForWavesPerEU: 1
; AccumOffset: 4
; Occupancy: 8
; WaveLimiterHint : 0
; COMPUTE_PGM_RSRC2:SCRATCH_EN: 0
; COMPUTE_PGM_RSRC2:USER_SGPR: 6
; COMPUTE_PGM_RSRC2:TRAP_HANDLER: 0
; COMPUTE_PGM_RSRC2:TGID_X_EN: 1
; COMPUTE_PGM_RSRC2:TGID_Y_EN: 0
; COMPUTE_PGM_RSRC2:TGID_Z_EN: 0
; COMPUTE_PGM_RSRC2:TIDIG_COMP_CNT: 0
; COMPUTE_PGM_RSRC3_GFX90A:ACCUM_OFFSET: 0
; COMPUTE_PGM_RSRC3_GFX90A:TG_SPLIT: 0
	.section	.text._ZN7rocprim17ROCPRIM_400000_NS6detail30init_device_scan_by_key_kernelINS1_19lookback_scan_stateINS0_5tupleIJjbEEELb1ELb1EEEN6thrust23THRUST_200600_302600_NS6detail15normal_iteratorINS8_10device_ptrIjEEEEjNS1_16block_id_wrapperIjLb0EEEEEvT_jjPNSG_10value_typeET0_PNSt15iterator_traitsISJ_E10value_typeEmT1_T2_,"axG",@progbits,_ZN7rocprim17ROCPRIM_400000_NS6detail30init_device_scan_by_key_kernelINS1_19lookback_scan_stateINS0_5tupleIJjbEEELb1ELb1EEEN6thrust23THRUST_200600_302600_NS6detail15normal_iteratorINS8_10device_ptrIjEEEEjNS1_16block_id_wrapperIjLb0EEEEEvT_jjPNSG_10value_typeET0_PNSt15iterator_traitsISJ_E10value_typeEmT1_T2_,comdat
	.protected	_ZN7rocprim17ROCPRIM_400000_NS6detail30init_device_scan_by_key_kernelINS1_19lookback_scan_stateINS0_5tupleIJjbEEELb1ELb1EEEN6thrust23THRUST_200600_302600_NS6detail15normal_iteratorINS8_10device_ptrIjEEEEjNS1_16block_id_wrapperIjLb0EEEEEvT_jjPNSG_10value_typeET0_PNSt15iterator_traitsISJ_E10value_typeEmT1_T2_ ; -- Begin function _ZN7rocprim17ROCPRIM_400000_NS6detail30init_device_scan_by_key_kernelINS1_19lookback_scan_stateINS0_5tupleIJjbEEELb1ELb1EEEN6thrust23THRUST_200600_302600_NS6detail15normal_iteratorINS8_10device_ptrIjEEEEjNS1_16block_id_wrapperIjLb0EEEEEvT_jjPNSG_10value_typeET0_PNSt15iterator_traitsISJ_E10value_typeEmT1_T2_
	.globl	_ZN7rocprim17ROCPRIM_400000_NS6detail30init_device_scan_by_key_kernelINS1_19lookback_scan_stateINS0_5tupleIJjbEEELb1ELb1EEEN6thrust23THRUST_200600_302600_NS6detail15normal_iteratorINS8_10device_ptrIjEEEEjNS1_16block_id_wrapperIjLb0EEEEEvT_jjPNSG_10value_typeET0_PNSt15iterator_traitsISJ_E10value_typeEmT1_T2_
	.p2align	8
	.type	_ZN7rocprim17ROCPRIM_400000_NS6detail30init_device_scan_by_key_kernelINS1_19lookback_scan_stateINS0_5tupleIJjbEEELb1ELb1EEEN6thrust23THRUST_200600_302600_NS6detail15normal_iteratorINS8_10device_ptrIjEEEEjNS1_16block_id_wrapperIjLb0EEEEEvT_jjPNSG_10value_typeET0_PNSt15iterator_traitsISJ_E10value_typeEmT1_T2_,@function
_ZN7rocprim17ROCPRIM_400000_NS6detail30init_device_scan_by_key_kernelINS1_19lookback_scan_stateINS0_5tupleIJjbEEELb1ELb1EEEN6thrust23THRUST_200600_302600_NS6detail15normal_iteratorINS8_10device_ptrIjEEEEjNS1_16block_id_wrapperIjLb0EEEEEvT_jjPNSG_10value_typeET0_PNSt15iterator_traitsISJ_E10value_typeEmT1_T2_: ; @_ZN7rocprim17ROCPRIM_400000_NS6detail30init_device_scan_by_key_kernelINS1_19lookback_scan_stateINS0_5tupleIJjbEEELb1ELb1EEEN6thrust23THRUST_200600_302600_NS6detail15normal_iteratorINS8_10device_ptrIjEEEEjNS1_16block_id_wrapperIjLb0EEEEEvT_jjPNSG_10value_typeET0_PNSt15iterator_traitsISJ_E10value_typeEmT1_T2_
; %bb.0:
	s_load_dword s0, s[4:5], 0x44
	s_load_dwordx8 s[8:15], s[4:5], 0x0
	s_load_dword s18, s[4:5], 0x38
	s_waitcnt lgkmcnt(0)
	s_and_b32 s19, s0, 0xffff
	s_mul_i32 s6, s6, s19
	s_cmp_eq_u64 s[12:13], 0
	v_add_u32_e32 v4, s6, v0
	s_cbranch_scc1 .LBB1845_10
; %bb.1:
	s_cmp_lt_u32 s11, s10
	s_cselect_b32 s0, s11, 0
	s_mov_b32 s3, 0
	v_cmp_eq_u32_e32 vcc, s0, v4
	s_and_saveexec_b64 s[0:1], vcc
	s_cbranch_execz .LBB1845_9
; %bb.2:
	s_add_i32 s2, s11, 64
	s_lshl_b64 s[2:3], s[2:3], 4
	s_add_u32 s16, s8, s2
	s_addc_u32 s17, s9, s3
	v_pk_mov_b32 v[0:1], s[16:17], s[16:17] op_sel:[0,1]
	;;#ASMSTART
	global_load_dwordx4 v[0:3], v[0:1] off glc	
s_waitcnt vmcnt(0)
	;;#ASMEND
	v_mov_b32_e32 v7, 0
	v_and_b32_e32 v6, 0xff, v2
	s_mov_b64 s[6:7], 0
	v_cmp_eq_u64_e32 vcc, 0, v[6:7]
	s_and_saveexec_b64 s[2:3], vcc
	s_cbranch_execz .LBB1845_8
; %bb.3:
	s_mov_b32 s11, 1
	v_pk_mov_b32 v[8:9], s[16:17], s[16:17] op_sel:[0,1]
.LBB1845_4:                             ; =>This Loop Header: Depth=1
                                        ;     Child Loop BB1845_5 Depth 2
	s_max_u32 s16, s11, 1
.LBB1845_5:                             ;   Parent Loop BB1845_4 Depth=1
                                        ; =>  This Inner Loop Header: Depth=2
	s_add_i32 s16, s16, -1
	s_cmp_eq_u32 s16, 0
	s_sleep 1
	s_cbranch_scc0 .LBB1845_5
; %bb.6:                                ;   in Loop: Header=BB1845_4 Depth=1
	s_cmp_lt_u32 s11, 32
	s_cselect_b64 s[16:17], -1, 0
	s_cmp_lg_u64 s[16:17], 0
	;;#ASMSTART
	global_load_dwordx4 v[0:3], v[8:9] off glc	
s_waitcnt vmcnt(0)
	;;#ASMEND
	v_and_b32_e32 v6, 0xff, v2
	s_addc_u32 s11, s11, 0
	v_cmp_ne_u64_e32 vcc, 0, v[6:7]
	s_or_b64 s[6:7], vcc, s[6:7]
	s_andn2_b64 exec, exec, s[6:7]
	s_cbranch_execnz .LBB1845_4
; %bb.7:
	s_or_b64 exec, exec, s[6:7]
.LBB1845_8:
	s_or_b64 exec, exec, s[2:3]
	v_mov_b32_e32 v2, 0
	global_store_dword v2, v0, s[12:13]
	global_store_byte v2, v1, s[12:13] offset:4
.LBB1845_9:
	s_or_b64 exec, exec, s[0:1]
.LBB1845_10:
	v_cmp_gt_u32_e32 vcc, s10, v4
	s_and_saveexec_b64 s[0:1], vcc
	s_cbranch_execz .LBB1845_12
; %bb.11:
	v_add_u32_e32 v0, 64, v4
	v_mov_b32_e32 v1, 0
	v_lshlrev_b64 v[2:3], 4, v[0:1]
	v_mov_b32_e32 v0, s9
	v_add_co_u32_e32 v6, vcc, s8, v2
	v_addc_co_u32_e32 v7, vcc, v0, v3, vcc
	v_mov_b32_e32 v0, v1
	v_mov_b32_e32 v2, v1
	;; [unrolled: 1-line block ×3, first 2 shown]
	global_store_dwordx4 v[6:7], v[0:3], off
.LBB1845_12:
	s_or_b64 exec, exec, s[0:1]
	v_cmp_gt_u32_e32 vcc, 64, v4
	v_mov_b32_e32 v5, 0
	s_and_saveexec_b64 s[0:1], vcc
	s_cbranch_execz .LBB1845_14
; %bb.13:
	v_lshlrev_b64 v[0:1], 4, v[4:5]
	v_mov_b32_e32 v2, s9
	v_add_co_u32_e32 v6, vcc, s8, v0
	v_addc_co_u32_e32 v7, vcc, v2, v1, vcc
	v_mov_b32_e32 v2, 0xff
	v_mov_b32_e32 v0, v5
	;; [unrolled: 1-line block ×4, first 2 shown]
	global_store_dwordx4 v[6:7], v[0:3], off
.LBB1845_14:
	s_or_b64 exec, exec, s[0:1]
	s_load_dwordx2 s[0:1], s[4:5], 0x28
	s_waitcnt lgkmcnt(0)
	v_cmp_gt_u64_e32 vcc, s[0:1], v[4:5]
	s_and_saveexec_b64 s[2:3], vcc
	s_cbranch_execz .LBB1845_17
; %bb.15:
	s_load_dword s10, s[4:5], 0x30
	s_load_dwordx2 s[6:7], s[4:5], 0x20
	s_mov_b32 s5, 0
	s_mov_b32 s3, s5
	s_mul_i32 s2, s18, s19
	s_waitcnt lgkmcnt(0)
	s_add_i32 s4, s10, -1
	s_lshl_b64 s[4:5], s[4:5], 2
	v_mad_u64_u32 v[0:1], s[8:9], s10, v4, 0
	s_add_u32 s4, s14, s4
	v_lshlrev_b64 v[0:1], 2, v[0:1]
	s_addc_u32 s5, s15, s5
	v_mov_b32_e32 v2, s5
	v_add_co_u32_e32 v0, vcc, s4, v0
	v_addc_co_u32_e32 v1, vcc, v2, v1, vcc
	s_mul_hi_u32 s5, s10, s2
	s_mul_i32 s4, s10, s2
	v_lshlrev_b64 v[2:3], 2, v[4:5]
	s_lshl_b64 s[4:5], s[4:5], 2
	v_mov_b32_e32 v6, s7
	v_add_co_u32_e32 v2, vcc, s6, v2
	s_lshl_b64 s[6:7], s[2:3], 2
	v_addc_co_u32_e32 v3, vcc, v6, v3, vcc
	s_mov_b64 s[8:9], 0
	v_mov_b32_e32 v6, s3
	v_mov_b32_e32 v7, s5
	;; [unrolled: 1-line block ×3, first 2 shown]
.LBB1845_16:                            ; =>This Inner Loop Header: Depth=1
	global_load_dword v9, v[0:1], off
	v_add_co_u32_e32 v4, vcc, s2, v4
	v_addc_co_u32_e32 v5, vcc, v5, v6, vcc
	v_add_co_u32_e32 v0, vcc, s4, v0
	v_addc_co_u32_e32 v1, vcc, v1, v7, vcc
	v_cmp_le_u64_e32 vcc, s[0:1], v[4:5]
	s_or_b64 s[8:9], vcc, s[8:9]
	s_waitcnt vmcnt(0)
	global_store_dword v[2:3], v9, off
	v_add_co_u32_e32 v2, vcc, s6, v2
	v_addc_co_u32_e32 v3, vcc, v3, v8, vcc
	s_andn2_b64 exec, exec, s[8:9]
	s_cbranch_execnz .LBB1845_16
.LBB1845_17:
	s_endpgm
	.section	.rodata,"a",@progbits
	.p2align	6, 0x0
	.amdhsa_kernel _ZN7rocprim17ROCPRIM_400000_NS6detail30init_device_scan_by_key_kernelINS1_19lookback_scan_stateINS0_5tupleIJjbEEELb1ELb1EEEN6thrust23THRUST_200600_302600_NS6detail15normal_iteratorINS8_10device_ptrIjEEEEjNS1_16block_id_wrapperIjLb0EEEEEvT_jjPNSG_10value_typeET0_PNSt15iterator_traitsISJ_E10value_typeEmT1_T2_
		.amdhsa_group_segment_fixed_size 0
		.amdhsa_private_segment_fixed_size 0
		.amdhsa_kernarg_size 312
		.amdhsa_user_sgpr_count 6
		.amdhsa_user_sgpr_private_segment_buffer 1
		.amdhsa_user_sgpr_dispatch_ptr 0
		.amdhsa_user_sgpr_queue_ptr 0
		.amdhsa_user_sgpr_kernarg_segment_ptr 1
		.amdhsa_user_sgpr_dispatch_id 0
		.amdhsa_user_sgpr_flat_scratch_init 0
		.amdhsa_user_sgpr_kernarg_preload_length 0
		.amdhsa_user_sgpr_kernarg_preload_offset 0
		.amdhsa_user_sgpr_private_segment_size 0
		.amdhsa_uses_dynamic_stack 0
		.amdhsa_system_sgpr_private_segment_wavefront_offset 0
		.amdhsa_system_sgpr_workgroup_id_x 1
		.amdhsa_system_sgpr_workgroup_id_y 0
		.amdhsa_system_sgpr_workgroup_id_z 0
		.amdhsa_system_sgpr_workgroup_info 0
		.amdhsa_system_vgpr_workitem_id 0
		.amdhsa_next_free_vgpr 10
		.amdhsa_next_free_sgpr 20
		.amdhsa_accum_offset 12
		.amdhsa_reserve_vcc 1
		.amdhsa_reserve_flat_scratch 0
		.amdhsa_float_round_mode_32 0
		.amdhsa_float_round_mode_16_64 0
		.amdhsa_float_denorm_mode_32 3
		.amdhsa_float_denorm_mode_16_64 3
		.amdhsa_dx10_clamp 1
		.amdhsa_ieee_mode 1
		.amdhsa_fp16_overflow 0
		.amdhsa_tg_split 0
		.amdhsa_exception_fp_ieee_invalid_op 0
		.amdhsa_exception_fp_denorm_src 0
		.amdhsa_exception_fp_ieee_div_zero 0
		.amdhsa_exception_fp_ieee_overflow 0
		.amdhsa_exception_fp_ieee_underflow 0
		.amdhsa_exception_fp_ieee_inexact 0
		.amdhsa_exception_int_div_zero 0
	.end_amdhsa_kernel
	.section	.text._ZN7rocprim17ROCPRIM_400000_NS6detail30init_device_scan_by_key_kernelINS1_19lookback_scan_stateINS0_5tupleIJjbEEELb1ELb1EEEN6thrust23THRUST_200600_302600_NS6detail15normal_iteratorINS8_10device_ptrIjEEEEjNS1_16block_id_wrapperIjLb0EEEEEvT_jjPNSG_10value_typeET0_PNSt15iterator_traitsISJ_E10value_typeEmT1_T2_,"axG",@progbits,_ZN7rocprim17ROCPRIM_400000_NS6detail30init_device_scan_by_key_kernelINS1_19lookback_scan_stateINS0_5tupleIJjbEEELb1ELb1EEEN6thrust23THRUST_200600_302600_NS6detail15normal_iteratorINS8_10device_ptrIjEEEEjNS1_16block_id_wrapperIjLb0EEEEEvT_jjPNSG_10value_typeET0_PNSt15iterator_traitsISJ_E10value_typeEmT1_T2_,comdat
.Lfunc_end1845:
	.size	_ZN7rocprim17ROCPRIM_400000_NS6detail30init_device_scan_by_key_kernelINS1_19lookback_scan_stateINS0_5tupleIJjbEEELb1ELb1EEEN6thrust23THRUST_200600_302600_NS6detail15normal_iteratorINS8_10device_ptrIjEEEEjNS1_16block_id_wrapperIjLb0EEEEEvT_jjPNSG_10value_typeET0_PNSt15iterator_traitsISJ_E10value_typeEmT1_T2_, .Lfunc_end1845-_ZN7rocprim17ROCPRIM_400000_NS6detail30init_device_scan_by_key_kernelINS1_19lookback_scan_stateINS0_5tupleIJjbEEELb1ELb1EEEN6thrust23THRUST_200600_302600_NS6detail15normal_iteratorINS8_10device_ptrIjEEEEjNS1_16block_id_wrapperIjLb0EEEEEvT_jjPNSG_10value_typeET0_PNSt15iterator_traitsISJ_E10value_typeEmT1_T2_
                                        ; -- End function
	.section	.AMDGPU.csdata,"",@progbits
; Kernel info:
; codeLenInByte = 612
; NumSgprs: 24
; NumVgprs: 10
; NumAgprs: 0
; TotalNumVgprs: 10
; ScratchSize: 0
; MemoryBound: 0
; FloatMode: 240
; IeeeMode: 1
; LDSByteSize: 0 bytes/workgroup (compile time only)
; SGPRBlocks: 2
; VGPRBlocks: 1
; NumSGPRsForWavesPerEU: 24
; NumVGPRsForWavesPerEU: 10
; AccumOffset: 12
; Occupancy: 8
; WaveLimiterHint : 0
; COMPUTE_PGM_RSRC2:SCRATCH_EN: 0
; COMPUTE_PGM_RSRC2:USER_SGPR: 6
; COMPUTE_PGM_RSRC2:TRAP_HANDLER: 0
; COMPUTE_PGM_RSRC2:TGID_X_EN: 1
; COMPUTE_PGM_RSRC2:TGID_Y_EN: 0
; COMPUTE_PGM_RSRC2:TGID_Z_EN: 0
; COMPUTE_PGM_RSRC2:TIDIG_COMP_CNT: 0
; COMPUTE_PGM_RSRC3_GFX90A:ACCUM_OFFSET: 2
; COMPUTE_PGM_RSRC3_GFX90A:TG_SPLIT: 0
	.section	.text._ZN7rocprim17ROCPRIM_400000_NS6detail17trampoline_kernelINS0_14default_configENS1_27scan_by_key_config_selectorIjjEEZZNS1_16scan_by_key_implILNS1_25lookback_scan_determinismE0ELb0ES3_N6thrust23THRUST_200600_302600_NS6detail15normal_iteratorINS9_10device_ptrIjEEEESE_SE_jNS9_4plusIvEENS9_8equal_toIvEEjEE10hipError_tPvRmT2_T3_T4_T5_mT6_T7_P12ihipStream_tbENKUlT_T0_E_clISt17integral_constantIbLb1EESY_IbLb0EEEEDaSU_SV_EUlSU_E_NS1_11comp_targetILNS1_3genE0ELNS1_11target_archE4294967295ELNS1_3gpuE0ELNS1_3repE0EEENS1_30default_config_static_selectorELNS0_4arch9wavefront6targetE1EEEvT1_,"axG",@progbits,_ZN7rocprim17ROCPRIM_400000_NS6detail17trampoline_kernelINS0_14default_configENS1_27scan_by_key_config_selectorIjjEEZZNS1_16scan_by_key_implILNS1_25lookback_scan_determinismE0ELb0ES3_N6thrust23THRUST_200600_302600_NS6detail15normal_iteratorINS9_10device_ptrIjEEEESE_SE_jNS9_4plusIvEENS9_8equal_toIvEEjEE10hipError_tPvRmT2_T3_T4_T5_mT6_T7_P12ihipStream_tbENKUlT_T0_E_clISt17integral_constantIbLb1EESY_IbLb0EEEEDaSU_SV_EUlSU_E_NS1_11comp_targetILNS1_3genE0ELNS1_11target_archE4294967295ELNS1_3gpuE0ELNS1_3repE0EEENS1_30default_config_static_selectorELNS0_4arch9wavefront6targetE1EEEvT1_,comdat
	.protected	_ZN7rocprim17ROCPRIM_400000_NS6detail17trampoline_kernelINS0_14default_configENS1_27scan_by_key_config_selectorIjjEEZZNS1_16scan_by_key_implILNS1_25lookback_scan_determinismE0ELb0ES3_N6thrust23THRUST_200600_302600_NS6detail15normal_iteratorINS9_10device_ptrIjEEEESE_SE_jNS9_4plusIvEENS9_8equal_toIvEEjEE10hipError_tPvRmT2_T3_T4_T5_mT6_T7_P12ihipStream_tbENKUlT_T0_E_clISt17integral_constantIbLb1EESY_IbLb0EEEEDaSU_SV_EUlSU_E_NS1_11comp_targetILNS1_3genE0ELNS1_11target_archE4294967295ELNS1_3gpuE0ELNS1_3repE0EEENS1_30default_config_static_selectorELNS0_4arch9wavefront6targetE1EEEvT1_ ; -- Begin function _ZN7rocprim17ROCPRIM_400000_NS6detail17trampoline_kernelINS0_14default_configENS1_27scan_by_key_config_selectorIjjEEZZNS1_16scan_by_key_implILNS1_25lookback_scan_determinismE0ELb0ES3_N6thrust23THRUST_200600_302600_NS6detail15normal_iteratorINS9_10device_ptrIjEEEESE_SE_jNS9_4plusIvEENS9_8equal_toIvEEjEE10hipError_tPvRmT2_T3_T4_T5_mT6_T7_P12ihipStream_tbENKUlT_T0_E_clISt17integral_constantIbLb1EESY_IbLb0EEEEDaSU_SV_EUlSU_E_NS1_11comp_targetILNS1_3genE0ELNS1_11target_archE4294967295ELNS1_3gpuE0ELNS1_3repE0EEENS1_30default_config_static_selectorELNS0_4arch9wavefront6targetE1EEEvT1_
	.globl	_ZN7rocprim17ROCPRIM_400000_NS6detail17trampoline_kernelINS0_14default_configENS1_27scan_by_key_config_selectorIjjEEZZNS1_16scan_by_key_implILNS1_25lookback_scan_determinismE0ELb0ES3_N6thrust23THRUST_200600_302600_NS6detail15normal_iteratorINS9_10device_ptrIjEEEESE_SE_jNS9_4plusIvEENS9_8equal_toIvEEjEE10hipError_tPvRmT2_T3_T4_T5_mT6_T7_P12ihipStream_tbENKUlT_T0_E_clISt17integral_constantIbLb1EESY_IbLb0EEEEDaSU_SV_EUlSU_E_NS1_11comp_targetILNS1_3genE0ELNS1_11target_archE4294967295ELNS1_3gpuE0ELNS1_3repE0EEENS1_30default_config_static_selectorELNS0_4arch9wavefront6targetE1EEEvT1_
	.p2align	8
	.type	_ZN7rocprim17ROCPRIM_400000_NS6detail17trampoline_kernelINS0_14default_configENS1_27scan_by_key_config_selectorIjjEEZZNS1_16scan_by_key_implILNS1_25lookback_scan_determinismE0ELb0ES3_N6thrust23THRUST_200600_302600_NS6detail15normal_iteratorINS9_10device_ptrIjEEEESE_SE_jNS9_4plusIvEENS9_8equal_toIvEEjEE10hipError_tPvRmT2_T3_T4_T5_mT6_T7_P12ihipStream_tbENKUlT_T0_E_clISt17integral_constantIbLb1EESY_IbLb0EEEEDaSU_SV_EUlSU_E_NS1_11comp_targetILNS1_3genE0ELNS1_11target_archE4294967295ELNS1_3gpuE0ELNS1_3repE0EEENS1_30default_config_static_selectorELNS0_4arch9wavefront6targetE1EEEvT1_,@function
_ZN7rocprim17ROCPRIM_400000_NS6detail17trampoline_kernelINS0_14default_configENS1_27scan_by_key_config_selectorIjjEEZZNS1_16scan_by_key_implILNS1_25lookback_scan_determinismE0ELb0ES3_N6thrust23THRUST_200600_302600_NS6detail15normal_iteratorINS9_10device_ptrIjEEEESE_SE_jNS9_4plusIvEENS9_8equal_toIvEEjEE10hipError_tPvRmT2_T3_T4_T5_mT6_T7_P12ihipStream_tbENKUlT_T0_E_clISt17integral_constantIbLb1EESY_IbLb0EEEEDaSU_SV_EUlSU_E_NS1_11comp_targetILNS1_3genE0ELNS1_11target_archE4294967295ELNS1_3gpuE0ELNS1_3repE0EEENS1_30default_config_static_selectorELNS0_4arch9wavefront6targetE1EEEvT1_: ; @_ZN7rocprim17ROCPRIM_400000_NS6detail17trampoline_kernelINS0_14default_configENS1_27scan_by_key_config_selectorIjjEEZZNS1_16scan_by_key_implILNS1_25lookback_scan_determinismE0ELb0ES3_N6thrust23THRUST_200600_302600_NS6detail15normal_iteratorINS9_10device_ptrIjEEEESE_SE_jNS9_4plusIvEENS9_8equal_toIvEEjEE10hipError_tPvRmT2_T3_T4_T5_mT6_T7_P12ihipStream_tbENKUlT_T0_E_clISt17integral_constantIbLb1EESY_IbLb0EEEEDaSU_SV_EUlSU_E_NS1_11comp_targetILNS1_3genE0ELNS1_11target_archE4294967295ELNS1_3gpuE0ELNS1_3repE0EEENS1_30default_config_static_selectorELNS0_4arch9wavefront6targetE1EEEvT1_
; %bb.0:
	.section	.rodata,"a",@progbits
	.p2align	6, 0x0
	.amdhsa_kernel _ZN7rocprim17ROCPRIM_400000_NS6detail17trampoline_kernelINS0_14default_configENS1_27scan_by_key_config_selectorIjjEEZZNS1_16scan_by_key_implILNS1_25lookback_scan_determinismE0ELb0ES3_N6thrust23THRUST_200600_302600_NS6detail15normal_iteratorINS9_10device_ptrIjEEEESE_SE_jNS9_4plusIvEENS9_8equal_toIvEEjEE10hipError_tPvRmT2_T3_T4_T5_mT6_T7_P12ihipStream_tbENKUlT_T0_E_clISt17integral_constantIbLb1EESY_IbLb0EEEEDaSU_SV_EUlSU_E_NS1_11comp_targetILNS1_3genE0ELNS1_11target_archE4294967295ELNS1_3gpuE0ELNS1_3repE0EEENS1_30default_config_static_selectorELNS0_4arch9wavefront6targetE1EEEvT1_
		.amdhsa_group_segment_fixed_size 0
		.amdhsa_private_segment_fixed_size 0
		.amdhsa_kernarg_size 112
		.amdhsa_user_sgpr_count 6
		.amdhsa_user_sgpr_private_segment_buffer 1
		.amdhsa_user_sgpr_dispatch_ptr 0
		.amdhsa_user_sgpr_queue_ptr 0
		.amdhsa_user_sgpr_kernarg_segment_ptr 1
		.amdhsa_user_sgpr_dispatch_id 0
		.amdhsa_user_sgpr_flat_scratch_init 0
		.amdhsa_user_sgpr_kernarg_preload_length 0
		.amdhsa_user_sgpr_kernarg_preload_offset 0
		.amdhsa_user_sgpr_private_segment_size 0
		.amdhsa_uses_dynamic_stack 0
		.amdhsa_system_sgpr_private_segment_wavefront_offset 0
		.amdhsa_system_sgpr_workgroup_id_x 1
		.amdhsa_system_sgpr_workgroup_id_y 0
		.amdhsa_system_sgpr_workgroup_id_z 0
		.amdhsa_system_sgpr_workgroup_info 0
		.amdhsa_system_vgpr_workitem_id 0
		.amdhsa_next_free_vgpr 1
		.amdhsa_next_free_sgpr 0
		.amdhsa_accum_offset 4
		.amdhsa_reserve_vcc 0
		.amdhsa_reserve_flat_scratch 0
		.amdhsa_float_round_mode_32 0
		.amdhsa_float_round_mode_16_64 0
		.amdhsa_float_denorm_mode_32 3
		.amdhsa_float_denorm_mode_16_64 3
		.amdhsa_dx10_clamp 1
		.amdhsa_ieee_mode 1
		.amdhsa_fp16_overflow 0
		.amdhsa_tg_split 0
		.amdhsa_exception_fp_ieee_invalid_op 0
		.amdhsa_exception_fp_denorm_src 0
		.amdhsa_exception_fp_ieee_div_zero 0
		.amdhsa_exception_fp_ieee_overflow 0
		.amdhsa_exception_fp_ieee_underflow 0
		.amdhsa_exception_fp_ieee_inexact 0
		.amdhsa_exception_int_div_zero 0
	.end_amdhsa_kernel
	.section	.text._ZN7rocprim17ROCPRIM_400000_NS6detail17trampoline_kernelINS0_14default_configENS1_27scan_by_key_config_selectorIjjEEZZNS1_16scan_by_key_implILNS1_25lookback_scan_determinismE0ELb0ES3_N6thrust23THRUST_200600_302600_NS6detail15normal_iteratorINS9_10device_ptrIjEEEESE_SE_jNS9_4plusIvEENS9_8equal_toIvEEjEE10hipError_tPvRmT2_T3_T4_T5_mT6_T7_P12ihipStream_tbENKUlT_T0_E_clISt17integral_constantIbLb1EESY_IbLb0EEEEDaSU_SV_EUlSU_E_NS1_11comp_targetILNS1_3genE0ELNS1_11target_archE4294967295ELNS1_3gpuE0ELNS1_3repE0EEENS1_30default_config_static_selectorELNS0_4arch9wavefront6targetE1EEEvT1_,"axG",@progbits,_ZN7rocprim17ROCPRIM_400000_NS6detail17trampoline_kernelINS0_14default_configENS1_27scan_by_key_config_selectorIjjEEZZNS1_16scan_by_key_implILNS1_25lookback_scan_determinismE0ELb0ES3_N6thrust23THRUST_200600_302600_NS6detail15normal_iteratorINS9_10device_ptrIjEEEESE_SE_jNS9_4plusIvEENS9_8equal_toIvEEjEE10hipError_tPvRmT2_T3_T4_T5_mT6_T7_P12ihipStream_tbENKUlT_T0_E_clISt17integral_constantIbLb1EESY_IbLb0EEEEDaSU_SV_EUlSU_E_NS1_11comp_targetILNS1_3genE0ELNS1_11target_archE4294967295ELNS1_3gpuE0ELNS1_3repE0EEENS1_30default_config_static_selectorELNS0_4arch9wavefront6targetE1EEEvT1_,comdat
.Lfunc_end1846:
	.size	_ZN7rocprim17ROCPRIM_400000_NS6detail17trampoline_kernelINS0_14default_configENS1_27scan_by_key_config_selectorIjjEEZZNS1_16scan_by_key_implILNS1_25lookback_scan_determinismE0ELb0ES3_N6thrust23THRUST_200600_302600_NS6detail15normal_iteratorINS9_10device_ptrIjEEEESE_SE_jNS9_4plusIvEENS9_8equal_toIvEEjEE10hipError_tPvRmT2_T3_T4_T5_mT6_T7_P12ihipStream_tbENKUlT_T0_E_clISt17integral_constantIbLb1EESY_IbLb0EEEEDaSU_SV_EUlSU_E_NS1_11comp_targetILNS1_3genE0ELNS1_11target_archE4294967295ELNS1_3gpuE0ELNS1_3repE0EEENS1_30default_config_static_selectorELNS0_4arch9wavefront6targetE1EEEvT1_, .Lfunc_end1846-_ZN7rocprim17ROCPRIM_400000_NS6detail17trampoline_kernelINS0_14default_configENS1_27scan_by_key_config_selectorIjjEEZZNS1_16scan_by_key_implILNS1_25lookback_scan_determinismE0ELb0ES3_N6thrust23THRUST_200600_302600_NS6detail15normal_iteratorINS9_10device_ptrIjEEEESE_SE_jNS9_4plusIvEENS9_8equal_toIvEEjEE10hipError_tPvRmT2_T3_T4_T5_mT6_T7_P12ihipStream_tbENKUlT_T0_E_clISt17integral_constantIbLb1EESY_IbLb0EEEEDaSU_SV_EUlSU_E_NS1_11comp_targetILNS1_3genE0ELNS1_11target_archE4294967295ELNS1_3gpuE0ELNS1_3repE0EEENS1_30default_config_static_selectorELNS0_4arch9wavefront6targetE1EEEvT1_
                                        ; -- End function
	.section	.AMDGPU.csdata,"",@progbits
; Kernel info:
; codeLenInByte = 0
; NumSgprs: 4
; NumVgprs: 0
; NumAgprs: 0
; TotalNumVgprs: 0
; ScratchSize: 0
; MemoryBound: 0
; FloatMode: 240
; IeeeMode: 1
; LDSByteSize: 0 bytes/workgroup (compile time only)
; SGPRBlocks: 0
; VGPRBlocks: 0
; NumSGPRsForWavesPerEU: 4
; NumVGPRsForWavesPerEU: 1
; AccumOffset: 4
; Occupancy: 8
; WaveLimiterHint : 0
; COMPUTE_PGM_RSRC2:SCRATCH_EN: 0
; COMPUTE_PGM_RSRC2:USER_SGPR: 6
; COMPUTE_PGM_RSRC2:TRAP_HANDLER: 0
; COMPUTE_PGM_RSRC2:TGID_X_EN: 1
; COMPUTE_PGM_RSRC2:TGID_Y_EN: 0
; COMPUTE_PGM_RSRC2:TGID_Z_EN: 0
; COMPUTE_PGM_RSRC2:TIDIG_COMP_CNT: 0
; COMPUTE_PGM_RSRC3_GFX90A:ACCUM_OFFSET: 0
; COMPUTE_PGM_RSRC3_GFX90A:TG_SPLIT: 0
	.section	.text._ZN7rocprim17ROCPRIM_400000_NS6detail17trampoline_kernelINS0_14default_configENS1_27scan_by_key_config_selectorIjjEEZZNS1_16scan_by_key_implILNS1_25lookback_scan_determinismE0ELb0ES3_N6thrust23THRUST_200600_302600_NS6detail15normal_iteratorINS9_10device_ptrIjEEEESE_SE_jNS9_4plusIvEENS9_8equal_toIvEEjEE10hipError_tPvRmT2_T3_T4_T5_mT6_T7_P12ihipStream_tbENKUlT_T0_E_clISt17integral_constantIbLb1EESY_IbLb0EEEEDaSU_SV_EUlSU_E_NS1_11comp_targetILNS1_3genE10ELNS1_11target_archE1201ELNS1_3gpuE5ELNS1_3repE0EEENS1_30default_config_static_selectorELNS0_4arch9wavefront6targetE1EEEvT1_,"axG",@progbits,_ZN7rocprim17ROCPRIM_400000_NS6detail17trampoline_kernelINS0_14default_configENS1_27scan_by_key_config_selectorIjjEEZZNS1_16scan_by_key_implILNS1_25lookback_scan_determinismE0ELb0ES3_N6thrust23THRUST_200600_302600_NS6detail15normal_iteratorINS9_10device_ptrIjEEEESE_SE_jNS9_4plusIvEENS9_8equal_toIvEEjEE10hipError_tPvRmT2_T3_T4_T5_mT6_T7_P12ihipStream_tbENKUlT_T0_E_clISt17integral_constantIbLb1EESY_IbLb0EEEEDaSU_SV_EUlSU_E_NS1_11comp_targetILNS1_3genE10ELNS1_11target_archE1201ELNS1_3gpuE5ELNS1_3repE0EEENS1_30default_config_static_selectorELNS0_4arch9wavefront6targetE1EEEvT1_,comdat
	.protected	_ZN7rocprim17ROCPRIM_400000_NS6detail17trampoline_kernelINS0_14default_configENS1_27scan_by_key_config_selectorIjjEEZZNS1_16scan_by_key_implILNS1_25lookback_scan_determinismE0ELb0ES3_N6thrust23THRUST_200600_302600_NS6detail15normal_iteratorINS9_10device_ptrIjEEEESE_SE_jNS9_4plusIvEENS9_8equal_toIvEEjEE10hipError_tPvRmT2_T3_T4_T5_mT6_T7_P12ihipStream_tbENKUlT_T0_E_clISt17integral_constantIbLb1EESY_IbLb0EEEEDaSU_SV_EUlSU_E_NS1_11comp_targetILNS1_3genE10ELNS1_11target_archE1201ELNS1_3gpuE5ELNS1_3repE0EEENS1_30default_config_static_selectorELNS0_4arch9wavefront6targetE1EEEvT1_ ; -- Begin function _ZN7rocprim17ROCPRIM_400000_NS6detail17trampoline_kernelINS0_14default_configENS1_27scan_by_key_config_selectorIjjEEZZNS1_16scan_by_key_implILNS1_25lookback_scan_determinismE0ELb0ES3_N6thrust23THRUST_200600_302600_NS6detail15normal_iteratorINS9_10device_ptrIjEEEESE_SE_jNS9_4plusIvEENS9_8equal_toIvEEjEE10hipError_tPvRmT2_T3_T4_T5_mT6_T7_P12ihipStream_tbENKUlT_T0_E_clISt17integral_constantIbLb1EESY_IbLb0EEEEDaSU_SV_EUlSU_E_NS1_11comp_targetILNS1_3genE10ELNS1_11target_archE1201ELNS1_3gpuE5ELNS1_3repE0EEENS1_30default_config_static_selectorELNS0_4arch9wavefront6targetE1EEEvT1_
	.globl	_ZN7rocprim17ROCPRIM_400000_NS6detail17trampoline_kernelINS0_14default_configENS1_27scan_by_key_config_selectorIjjEEZZNS1_16scan_by_key_implILNS1_25lookback_scan_determinismE0ELb0ES3_N6thrust23THRUST_200600_302600_NS6detail15normal_iteratorINS9_10device_ptrIjEEEESE_SE_jNS9_4plusIvEENS9_8equal_toIvEEjEE10hipError_tPvRmT2_T3_T4_T5_mT6_T7_P12ihipStream_tbENKUlT_T0_E_clISt17integral_constantIbLb1EESY_IbLb0EEEEDaSU_SV_EUlSU_E_NS1_11comp_targetILNS1_3genE10ELNS1_11target_archE1201ELNS1_3gpuE5ELNS1_3repE0EEENS1_30default_config_static_selectorELNS0_4arch9wavefront6targetE1EEEvT1_
	.p2align	8
	.type	_ZN7rocprim17ROCPRIM_400000_NS6detail17trampoline_kernelINS0_14default_configENS1_27scan_by_key_config_selectorIjjEEZZNS1_16scan_by_key_implILNS1_25lookback_scan_determinismE0ELb0ES3_N6thrust23THRUST_200600_302600_NS6detail15normal_iteratorINS9_10device_ptrIjEEEESE_SE_jNS9_4plusIvEENS9_8equal_toIvEEjEE10hipError_tPvRmT2_T3_T4_T5_mT6_T7_P12ihipStream_tbENKUlT_T0_E_clISt17integral_constantIbLb1EESY_IbLb0EEEEDaSU_SV_EUlSU_E_NS1_11comp_targetILNS1_3genE10ELNS1_11target_archE1201ELNS1_3gpuE5ELNS1_3repE0EEENS1_30default_config_static_selectorELNS0_4arch9wavefront6targetE1EEEvT1_,@function
_ZN7rocprim17ROCPRIM_400000_NS6detail17trampoline_kernelINS0_14default_configENS1_27scan_by_key_config_selectorIjjEEZZNS1_16scan_by_key_implILNS1_25lookback_scan_determinismE0ELb0ES3_N6thrust23THRUST_200600_302600_NS6detail15normal_iteratorINS9_10device_ptrIjEEEESE_SE_jNS9_4plusIvEENS9_8equal_toIvEEjEE10hipError_tPvRmT2_T3_T4_T5_mT6_T7_P12ihipStream_tbENKUlT_T0_E_clISt17integral_constantIbLb1EESY_IbLb0EEEEDaSU_SV_EUlSU_E_NS1_11comp_targetILNS1_3genE10ELNS1_11target_archE1201ELNS1_3gpuE5ELNS1_3repE0EEENS1_30default_config_static_selectorELNS0_4arch9wavefront6targetE1EEEvT1_: ; @_ZN7rocprim17ROCPRIM_400000_NS6detail17trampoline_kernelINS0_14default_configENS1_27scan_by_key_config_selectorIjjEEZZNS1_16scan_by_key_implILNS1_25lookback_scan_determinismE0ELb0ES3_N6thrust23THRUST_200600_302600_NS6detail15normal_iteratorINS9_10device_ptrIjEEEESE_SE_jNS9_4plusIvEENS9_8equal_toIvEEjEE10hipError_tPvRmT2_T3_T4_T5_mT6_T7_P12ihipStream_tbENKUlT_T0_E_clISt17integral_constantIbLb1EESY_IbLb0EEEEDaSU_SV_EUlSU_E_NS1_11comp_targetILNS1_3genE10ELNS1_11target_archE1201ELNS1_3gpuE5ELNS1_3repE0EEENS1_30default_config_static_selectorELNS0_4arch9wavefront6targetE1EEEvT1_
; %bb.0:
	.section	.rodata,"a",@progbits
	.p2align	6, 0x0
	.amdhsa_kernel _ZN7rocprim17ROCPRIM_400000_NS6detail17trampoline_kernelINS0_14default_configENS1_27scan_by_key_config_selectorIjjEEZZNS1_16scan_by_key_implILNS1_25lookback_scan_determinismE0ELb0ES3_N6thrust23THRUST_200600_302600_NS6detail15normal_iteratorINS9_10device_ptrIjEEEESE_SE_jNS9_4plusIvEENS9_8equal_toIvEEjEE10hipError_tPvRmT2_T3_T4_T5_mT6_T7_P12ihipStream_tbENKUlT_T0_E_clISt17integral_constantIbLb1EESY_IbLb0EEEEDaSU_SV_EUlSU_E_NS1_11comp_targetILNS1_3genE10ELNS1_11target_archE1201ELNS1_3gpuE5ELNS1_3repE0EEENS1_30default_config_static_selectorELNS0_4arch9wavefront6targetE1EEEvT1_
		.amdhsa_group_segment_fixed_size 0
		.amdhsa_private_segment_fixed_size 0
		.amdhsa_kernarg_size 112
		.amdhsa_user_sgpr_count 6
		.amdhsa_user_sgpr_private_segment_buffer 1
		.amdhsa_user_sgpr_dispatch_ptr 0
		.amdhsa_user_sgpr_queue_ptr 0
		.amdhsa_user_sgpr_kernarg_segment_ptr 1
		.amdhsa_user_sgpr_dispatch_id 0
		.amdhsa_user_sgpr_flat_scratch_init 0
		.amdhsa_user_sgpr_kernarg_preload_length 0
		.amdhsa_user_sgpr_kernarg_preload_offset 0
		.amdhsa_user_sgpr_private_segment_size 0
		.amdhsa_uses_dynamic_stack 0
		.amdhsa_system_sgpr_private_segment_wavefront_offset 0
		.amdhsa_system_sgpr_workgroup_id_x 1
		.amdhsa_system_sgpr_workgroup_id_y 0
		.amdhsa_system_sgpr_workgroup_id_z 0
		.amdhsa_system_sgpr_workgroup_info 0
		.amdhsa_system_vgpr_workitem_id 0
		.amdhsa_next_free_vgpr 1
		.amdhsa_next_free_sgpr 0
		.amdhsa_accum_offset 4
		.amdhsa_reserve_vcc 0
		.amdhsa_reserve_flat_scratch 0
		.amdhsa_float_round_mode_32 0
		.amdhsa_float_round_mode_16_64 0
		.amdhsa_float_denorm_mode_32 3
		.amdhsa_float_denorm_mode_16_64 3
		.amdhsa_dx10_clamp 1
		.amdhsa_ieee_mode 1
		.amdhsa_fp16_overflow 0
		.amdhsa_tg_split 0
		.amdhsa_exception_fp_ieee_invalid_op 0
		.amdhsa_exception_fp_denorm_src 0
		.amdhsa_exception_fp_ieee_div_zero 0
		.amdhsa_exception_fp_ieee_overflow 0
		.amdhsa_exception_fp_ieee_underflow 0
		.amdhsa_exception_fp_ieee_inexact 0
		.amdhsa_exception_int_div_zero 0
	.end_amdhsa_kernel
	.section	.text._ZN7rocprim17ROCPRIM_400000_NS6detail17trampoline_kernelINS0_14default_configENS1_27scan_by_key_config_selectorIjjEEZZNS1_16scan_by_key_implILNS1_25lookback_scan_determinismE0ELb0ES3_N6thrust23THRUST_200600_302600_NS6detail15normal_iteratorINS9_10device_ptrIjEEEESE_SE_jNS9_4plusIvEENS9_8equal_toIvEEjEE10hipError_tPvRmT2_T3_T4_T5_mT6_T7_P12ihipStream_tbENKUlT_T0_E_clISt17integral_constantIbLb1EESY_IbLb0EEEEDaSU_SV_EUlSU_E_NS1_11comp_targetILNS1_3genE10ELNS1_11target_archE1201ELNS1_3gpuE5ELNS1_3repE0EEENS1_30default_config_static_selectorELNS0_4arch9wavefront6targetE1EEEvT1_,"axG",@progbits,_ZN7rocprim17ROCPRIM_400000_NS6detail17trampoline_kernelINS0_14default_configENS1_27scan_by_key_config_selectorIjjEEZZNS1_16scan_by_key_implILNS1_25lookback_scan_determinismE0ELb0ES3_N6thrust23THRUST_200600_302600_NS6detail15normal_iteratorINS9_10device_ptrIjEEEESE_SE_jNS9_4plusIvEENS9_8equal_toIvEEjEE10hipError_tPvRmT2_T3_T4_T5_mT6_T7_P12ihipStream_tbENKUlT_T0_E_clISt17integral_constantIbLb1EESY_IbLb0EEEEDaSU_SV_EUlSU_E_NS1_11comp_targetILNS1_3genE10ELNS1_11target_archE1201ELNS1_3gpuE5ELNS1_3repE0EEENS1_30default_config_static_selectorELNS0_4arch9wavefront6targetE1EEEvT1_,comdat
.Lfunc_end1847:
	.size	_ZN7rocprim17ROCPRIM_400000_NS6detail17trampoline_kernelINS0_14default_configENS1_27scan_by_key_config_selectorIjjEEZZNS1_16scan_by_key_implILNS1_25lookback_scan_determinismE0ELb0ES3_N6thrust23THRUST_200600_302600_NS6detail15normal_iteratorINS9_10device_ptrIjEEEESE_SE_jNS9_4plusIvEENS9_8equal_toIvEEjEE10hipError_tPvRmT2_T3_T4_T5_mT6_T7_P12ihipStream_tbENKUlT_T0_E_clISt17integral_constantIbLb1EESY_IbLb0EEEEDaSU_SV_EUlSU_E_NS1_11comp_targetILNS1_3genE10ELNS1_11target_archE1201ELNS1_3gpuE5ELNS1_3repE0EEENS1_30default_config_static_selectorELNS0_4arch9wavefront6targetE1EEEvT1_, .Lfunc_end1847-_ZN7rocprim17ROCPRIM_400000_NS6detail17trampoline_kernelINS0_14default_configENS1_27scan_by_key_config_selectorIjjEEZZNS1_16scan_by_key_implILNS1_25lookback_scan_determinismE0ELb0ES3_N6thrust23THRUST_200600_302600_NS6detail15normal_iteratorINS9_10device_ptrIjEEEESE_SE_jNS9_4plusIvEENS9_8equal_toIvEEjEE10hipError_tPvRmT2_T3_T4_T5_mT6_T7_P12ihipStream_tbENKUlT_T0_E_clISt17integral_constantIbLb1EESY_IbLb0EEEEDaSU_SV_EUlSU_E_NS1_11comp_targetILNS1_3genE10ELNS1_11target_archE1201ELNS1_3gpuE5ELNS1_3repE0EEENS1_30default_config_static_selectorELNS0_4arch9wavefront6targetE1EEEvT1_
                                        ; -- End function
	.section	.AMDGPU.csdata,"",@progbits
; Kernel info:
; codeLenInByte = 0
; NumSgprs: 4
; NumVgprs: 0
; NumAgprs: 0
; TotalNumVgprs: 0
; ScratchSize: 0
; MemoryBound: 0
; FloatMode: 240
; IeeeMode: 1
; LDSByteSize: 0 bytes/workgroup (compile time only)
; SGPRBlocks: 0
; VGPRBlocks: 0
; NumSGPRsForWavesPerEU: 4
; NumVGPRsForWavesPerEU: 1
; AccumOffset: 4
; Occupancy: 8
; WaveLimiterHint : 0
; COMPUTE_PGM_RSRC2:SCRATCH_EN: 0
; COMPUTE_PGM_RSRC2:USER_SGPR: 6
; COMPUTE_PGM_RSRC2:TRAP_HANDLER: 0
; COMPUTE_PGM_RSRC2:TGID_X_EN: 1
; COMPUTE_PGM_RSRC2:TGID_Y_EN: 0
; COMPUTE_PGM_RSRC2:TGID_Z_EN: 0
; COMPUTE_PGM_RSRC2:TIDIG_COMP_CNT: 0
; COMPUTE_PGM_RSRC3_GFX90A:ACCUM_OFFSET: 0
; COMPUTE_PGM_RSRC3_GFX90A:TG_SPLIT: 0
	.section	.text._ZN7rocprim17ROCPRIM_400000_NS6detail17trampoline_kernelINS0_14default_configENS1_27scan_by_key_config_selectorIjjEEZZNS1_16scan_by_key_implILNS1_25lookback_scan_determinismE0ELb0ES3_N6thrust23THRUST_200600_302600_NS6detail15normal_iteratorINS9_10device_ptrIjEEEESE_SE_jNS9_4plusIvEENS9_8equal_toIvEEjEE10hipError_tPvRmT2_T3_T4_T5_mT6_T7_P12ihipStream_tbENKUlT_T0_E_clISt17integral_constantIbLb1EESY_IbLb0EEEEDaSU_SV_EUlSU_E_NS1_11comp_targetILNS1_3genE5ELNS1_11target_archE942ELNS1_3gpuE9ELNS1_3repE0EEENS1_30default_config_static_selectorELNS0_4arch9wavefront6targetE1EEEvT1_,"axG",@progbits,_ZN7rocprim17ROCPRIM_400000_NS6detail17trampoline_kernelINS0_14default_configENS1_27scan_by_key_config_selectorIjjEEZZNS1_16scan_by_key_implILNS1_25lookback_scan_determinismE0ELb0ES3_N6thrust23THRUST_200600_302600_NS6detail15normal_iteratorINS9_10device_ptrIjEEEESE_SE_jNS9_4plusIvEENS9_8equal_toIvEEjEE10hipError_tPvRmT2_T3_T4_T5_mT6_T7_P12ihipStream_tbENKUlT_T0_E_clISt17integral_constantIbLb1EESY_IbLb0EEEEDaSU_SV_EUlSU_E_NS1_11comp_targetILNS1_3genE5ELNS1_11target_archE942ELNS1_3gpuE9ELNS1_3repE0EEENS1_30default_config_static_selectorELNS0_4arch9wavefront6targetE1EEEvT1_,comdat
	.protected	_ZN7rocprim17ROCPRIM_400000_NS6detail17trampoline_kernelINS0_14default_configENS1_27scan_by_key_config_selectorIjjEEZZNS1_16scan_by_key_implILNS1_25lookback_scan_determinismE0ELb0ES3_N6thrust23THRUST_200600_302600_NS6detail15normal_iteratorINS9_10device_ptrIjEEEESE_SE_jNS9_4plusIvEENS9_8equal_toIvEEjEE10hipError_tPvRmT2_T3_T4_T5_mT6_T7_P12ihipStream_tbENKUlT_T0_E_clISt17integral_constantIbLb1EESY_IbLb0EEEEDaSU_SV_EUlSU_E_NS1_11comp_targetILNS1_3genE5ELNS1_11target_archE942ELNS1_3gpuE9ELNS1_3repE0EEENS1_30default_config_static_selectorELNS0_4arch9wavefront6targetE1EEEvT1_ ; -- Begin function _ZN7rocprim17ROCPRIM_400000_NS6detail17trampoline_kernelINS0_14default_configENS1_27scan_by_key_config_selectorIjjEEZZNS1_16scan_by_key_implILNS1_25lookback_scan_determinismE0ELb0ES3_N6thrust23THRUST_200600_302600_NS6detail15normal_iteratorINS9_10device_ptrIjEEEESE_SE_jNS9_4plusIvEENS9_8equal_toIvEEjEE10hipError_tPvRmT2_T3_T4_T5_mT6_T7_P12ihipStream_tbENKUlT_T0_E_clISt17integral_constantIbLb1EESY_IbLb0EEEEDaSU_SV_EUlSU_E_NS1_11comp_targetILNS1_3genE5ELNS1_11target_archE942ELNS1_3gpuE9ELNS1_3repE0EEENS1_30default_config_static_selectorELNS0_4arch9wavefront6targetE1EEEvT1_
	.globl	_ZN7rocprim17ROCPRIM_400000_NS6detail17trampoline_kernelINS0_14default_configENS1_27scan_by_key_config_selectorIjjEEZZNS1_16scan_by_key_implILNS1_25lookback_scan_determinismE0ELb0ES3_N6thrust23THRUST_200600_302600_NS6detail15normal_iteratorINS9_10device_ptrIjEEEESE_SE_jNS9_4plusIvEENS9_8equal_toIvEEjEE10hipError_tPvRmT2_T3_T4_T5_mT6_T7_P12ihipStream_tbENKUlT_T0_E_clISt17integral_constantIbLb1EESY_IbLb0EEEEDaSU_SV_EUlSU_E_NS1_11comp_targetILNS1_3genE5ELNS1_11target_archE942ELNS1_3gpuE9ELNS1_3repE0EEENS1_30default_config_static_selectorELNS0_4arch9wavefront6targetE1EEEvT1_
	.p2align	8
	.type	_ZN7rocprim17ROCPRIM_400000_NS6detail17trampoline_kernelINS0_14default_configENS1_27scan_by_key_config_selectorIjjEEZZNS1_16scan_by_key_implILNS1_25lookback_scan_determinismE0ELb0ES3_N6thrust23THRUST_200600_302600_NS6detail15normal_iteratorINS9_10device_ptrIjEEEESE_SE_jNS9_4plusIvEENS9_8equal_toIvEEjEE10hipError_tPvRmT2_T3_T4_T5_mT6_T7_P12ihipStream_tbENKUlT_T0_E_clISt17integral_constantIbLb1EESY_IbLb0EEEEDaSU_SV_EUlSU_E_NS1_11comp_targetILNS1_3genE5ELNS1_11target_archE942ELNS1_3gpuE9ELNS1_3repE0EEENS1_30default_config_static_selectorELNS0_4arch9wavefront6targetE1EEEvT1_,@function
_ZN7rocprim17ROCPRIM_400000_NS6detail17trampoline_kernelINS0_14default_configENS1_27scan_by_key_config_selectorIjjEEZZNS1_16scan_by_key_implILNS1_25lookback_scan_determinismE0ELb0ES3_N6thrust23THRUST_200600_302600_NS6detail15normal_iteratorINS9_10device_ptrIjEEEESE_SE_jNS9_4plusIvEENS9_8equal_toIvEEjEE10hipError_tPvRmT2_T3_T4_T5_mT6_T7_P12ihipStream_tbENKUlT_T0_E_clISt17integral_constantIbLb1EESY_IbLb0EEEEDaSU_SV_EUlSU_E_NS1_11comp_targetILNS1_3genE5ELNS1_11target_archE942ELNS1_3gpuE9ELNS1_3repE0EEENS1_30default_config_static_selectorELNS0_4arch9wavefront6targetE1EEEvT1_: ; @_ZN7rocprim17ROCPRIM_400000_NS6detail17trampoline_kernelINS0_14default_configENS1_27scan_by_key_config_selectorIjjEEZZNS1_16scan_by_key_implILNS1_25lookback_scan_determinismE0ELb0ES3_N6thrust23THRUST_200600_302600_NS6detail15normal_iteratorINS9_10device_ptrIjEEEESE_SE_jNS9_4plusIvEENS9_8equal_toIvEEjEE10hipError_tPvRmT2_T3_T4_T5_mT6_T7_P12ihipStream_tbENKUlT_T0_E_clISt17integral_constantIbLb1EESY_IbLb0EEEEDaSU_SV_EUlSU_E_NS1_11comp_targetILNS1_3genE5ELNS1_11target_archE942ELNS1_3gpuE9ELNS1_3repE0EEENS1_30default_config_static_selectorELNS0_4arch9wavefront6targetE1EEEvT1_
; %bb.0:
	.section	.rodata,"a",@progbits
	.p2align	6, 0x0
	.amdhsa_kernel _ZN7rocprim17ROCPRIM_400000_NS6detail17trampoline_kernelINS0_14default_configENS1_27scan_by_key_config_selectorIjjEEZZNS1_16scan_by_key_implILNS1_25lookback_scan_determinismE0ELb0ES3_N6thrust23THRUST_200600_302600_NS6detail15normal_iteratorINS9_10device_ptrIjEEEESE_SE_jNS9_4plusIvEENS9_8equal_toIvEEjEE10hipError_tPvRmT2_T3_T4_T5_mT6_T7_P12ihipStream_tbENKUlT_T0_E_clISt17integral_constantIbLb1EESY_IbLb0EEEEDaSU_SV_EUlSU_E_NS1_11comp_targetILNS1_3genE5ELNS1_11target_archE942ELNS1_3gpuE9ELNS1_3repE0EEENS1_30default_config_static_selectorELNS0_4arch9wavefront6targetE1EEEvT1_
		.amdhsa_group_segment_fixed_size 0
		.amdhsa_private_segment_fixed_size 0
		.amdhsa_kernarg_size 112
		.amdhsa_user_sgpr_count 6
		.amdhsa_user_sgpr_private_segment_buffer 1
		.amdhsa_user_sgpr_dispatch_ptr 0
		.amdhsa_user_sgpr_queue_ptr 0
		.amdhsa_user_sgpr_kernarg_segment_ptr 1
		.amdhsa_user_sgpr_dispatch_id 0
		.amdhsa_user_sgpr_flat_scratch_init 0
		.amdhsa_user_sgpr_kernarg_preload_length 0
		.amdhsa_user_sgpr_kernarg_preload_offset 0
		.amdhsa_user_sgpr_private_segment_size 0
		.amdhsa_uses_dynamic_stack 0
		.amdhsa_system_sgpr_private_segment_wavefront_offset 0
		.amdhsa_system_sgpr_workgroup_id_x 1
		.amdhsa_system_sgpr_workgroup_id_y 0
		.amdhsa_system_sgpr_workgroup_id_z 0
		.amdhsa_system_sgpr_workgroup_info 0
		.amdhsa_system_vgpr_workitem_id 0
		.amdhsa_next_free_vgpr 1
		.amdhsa_next_free_sgpr 0
		.amdhsa_accum_offset 4
		.amdhsa_reserve_vcc 0
		.amdhsa_reserve_flat_scratch 0
		.amdhsa_float_round_mode_32 0
		.amdhsa_float_round_mode_16_64 0
		.amdhsa_float_denorm_mode_32 3
		.amdhsa_float_denorm_mode_16_64 3
		.amdhsa_dx10_clamp 1
		.amdhsa_ieee_mode 1
		.amdhsa_fp16_overflow 0
		.amdhsa_tg_split 0
		.amdhsa_exception_fp_ieee_invalid_op 0
		.amdhsa_exception_fp_denorm_src 0
		.amdhsa_exception_fp_ieee_div_zero 0
		.amdhsa_exception_fp_ieee_overflow 0
		.amdhsa_exception_fp_ieee_underflow 0
		.amdhsa_exception_fp_ieee_inexact 0
		.amdhsa_exception_int_div_zero 0
	.end_amdhsa_kernel
	.section	.text._ZN7rocprim17ROCPRIM_400000_NS6detail17trampoline_kernelINS0_14default_configENS1_27scan_by_key_config_selectorIjjEEZZNS1_16scan_by_key_implILNS1_25lookback_scan_determinismE0ELb0ES3_N6thrust23THRUST_200600_302600_NS6detail15normal_iteratorINS9_10device_ptrIjEEEESE_SE_jNS9_4plusIvEENS9_8equal_toIvEEjEE10hipError_tPvRmT2_T3_T4_T5_mT6_T7_P12ihipStream_tbENKUlT_T0_E_clISt17integral_constantIbLb1EESY_IbLb0EEEEDaSU_SV_EUlSU_E_NS1_11comp_targetILNS1_3genE5ELNS1_11target_archE942ELNS1_3gpuE9ELNS1_3repE0EEENS1_30default_config_static_selectorELNS0_4arch9wavefront6targetE1EEEvT1_,"axG",@progbits,_ZN7rocprim17ROCPRIM_400000_NS6detail17trampoline_kernelINS0_14default_configENS1_27scan_by_key_config_selectorIjjEEZZNS1_16scan_by_key_implILNS1_25lookback_scan_determinismE0ELb0ES3_N6thrust23THRUST_200600_302600_NS6detail15normal_iteratorINS9_10device_ptrIjEEEESE_SE_jNS9_4plusIvEENS9_8equal_toIvEEjEE10hipError_tPvRmT2_T3_T4_T5_mT6_T7_P12ihipStream_tbENKUlT_T0_E_clISt17integral_constantIbLb1EESY_IbLb0EEEEDaSU_SV_EUlSU_E_NS1_11comp_targetILNS1_3genE5ELNS1_11target_archE942ELNS1_3gpuE9ELNS1_3repE0EEENS1_30default_config_static_selectorELNS0_4arch9wavefront6targetE1EEEvT1_,comdat
.Lfunc_end1848:
	.size	_ZN7rocprim17ROCPRIM_400000_NS6detail17trampoline_kernelINS0_14default_configENS1_27scan_by_key_config_selectorIjjEEZZNS1_16scan_by_key_implILNS1_25lookback_scan_determinismE0ELb0ES3_N6thrust23THRUST_200600_302600_NS6detail15normal_iteratorINS9_10device_ptrIjEEEESE_SE_jNS9_4plusIvEENS9_8equal_toIvEEjEE10hipError_tPvRmT2_T3_T4_T5_mT6_T7_P12ihipStream_tbENKUlT_T0_E_clISt17integral_constantIbLb1EESY_IbLb0EEEEDaSU_SV_EUlSU_E_NS1_11comp_targetILNS1_3genE5ELNS1_11target_archE942ELNS1_3gpuE9ELNS1_3repE0EEENS1_30default_config_static_selectorELNS0_4arch9wavefront6targetE1EEEvT1_, .Lfunc_end1848-_ZN7rocprim17ROCPRIM_400000_NS6detail17trampoline_kernelINS0_14default_configENS1_27scan_by_key_config_selectorIjjEEZZNS1_16scan_by_key_implILNS1_25lookback_scan_determinismE0ELb0ES3_N6thrust23THRUST_200600_302600_NS6detail15normal_iteratorINS9_10device_ptrIjEEEESE_SE_jNS9_4plusIvEENS9_8equal_toIvEEjEE10hipError_tPvRmT2_T3_T4_T5_mT6_T7_P12ihipStream_tbENKUlT_T0_E_clISt17integral_constantIbLb1EESY_IbLb0EEEEDaSU_SV_EUlSU_E_NS1_11comp_targetILNS1_3genE5ELNS1_11target_archE942ELNS1_3gpuE9ELNS1_3repE0EEENS1_30default_config_static_selectorELNS0_4arch9wavefront6targetE1EEEvT1_
                                        ; -- End function
	.section	.AMDGPU.csdata,"",@progbits
; Kernel info:
; codeLenInByte = 0
; NumSgprs: 4
; NumVgprs: 0
; NumAgprs: 0
; TotalNumVgprs: 0
; ScratchSize: 0
; MemoryBound: 0
; FloatMode: 240
; IeeeMode: 1
; LDSByteSize: 0 bytes/workgroup (compile time only)
; SGPRBlocks: 0
; VGPRBlocks: 0
; NumSGPRsForWavesPerEU: 4
; NumVGPRsForWavesPerEU: 1
; AccumOffset: 4
; Occupancy: 8
; WaveLimiterHint : 0
; COMPUTE_PGM_RSRC2:SCRATCH_EN: 0
; COMPUTE_PGM_RSRC2:USER_SGPR: 6
; COMPUTE_PGM_RSRC2:TRAP_HANDLER: 0
; COMPUTE_PGM_RSRC2:TGID_X_EN: 1
; COMPUTE_PGM_RSRC2:TGID_Y_EN: 0
; COMPUTE_PGM_RSRC2:TGID_Z_EN: 0
; COMPUTE_PGM_RSRC2:TIDIG_COMP_CNT: 0
; COMPUTE_PGM_RSRC3_GFX90A:ACCUM_OFFSET: 0
; COMPUTE_PGM_RSRC3_GFX90A:TG_SPLIT: 0
	.section	.text._ZN7rocprim17ROCPRIM_400000_NS6detail17trampoline_kernelINS0_14default_configENS1_27scan_by_key_config_selectorIjjEEZZNS1_16scan_by_key_implILNS1_25lookback_scan_determinismE0ELb0ES3_N6thrust23THRUST_200600_302600_NS6detail15normal_iteratorINS9_10device_ptrIjEEEESE_SE_jNS9_4plusIvEENS9_8equal_toIvEEjEE10hipError_tPvRmT2_T3_T4_T5_mT6_T7_P12ihipStream_tbENKUlT_T0_E_clISt17integral_constantIbLb1EESY_IbLb0EEEEDaSU_SV_EUlSU_E_NS1_11comp_targetILNS1_3genE4ELNS1_11target_archE910ELNS1_3gpuE8ELNS1_3repE0EEENS1_30default_config_static_selectorELNS0_4arch9wavefront6targetE1EEEvT1_,"axG",@progbits,_ZN7rocprim17ROCPRIM_400000_NS6detail17trampoline_kernelINS0_14default_configENS1_27scan_by_key_config_selectorIjjEEZZNS1_16scan_by_key_implILNS1_25lookback_scan_determinismE0ELb0ES3_N6thrust23THRUST_200600_302600_NS6detail15normal_iteratorINS9_10device_ptrIjEEEESE_SE_jNS9_4plusIvEENS9_8equal_toIvEEjEE10hipError_tPvRmT2_T3_T4_T5_mT6_T7_P12ihipStream_tbENKUlT_T0_E_clISt17integral_constantIbLb1EESY_IbLb0EEEEDaSU_SV_EUlSU_E_NS1_11comp_targetILNS1_3genE4ELNS1_11target_archE910ELNS1_3gpuE8ELNS1_3repE0EEENS1_30default_config_static_selectorELNS0_4arch9wavefront6targetE1EEEvT1_,comdat
	.protected	_ZN7rocprim17ROCPRIM_400000_NS6detail17trampoline_kernelINS0_14default_configENS1_27scan_by_key_config_selectorIjjEEZZNS1_16scan_by_key_implILNS1_25lookback_scan_determinismE0ELb0ES3_N6thrust23THRUST_200600_302600_NS6detail15normal_iteratorINS9_10device_ptrIjEEEESE_SE_jNS9_4plusIvEENS9_8equal_toIvEEjEE10hipError_tPvRmT2_T3_T4_T5_mT6_T7_P12ihipStream_tbENKUlT_T0_E_clISt17integral_constantIbLb1EESY_IbLb0EEEEDaSU_SV_EUlSU_E_NS1_11comp_targetILNS1_3genE4ELNS1_11target_archE910ELNS1_3gpuE8ELNS1_3repE0EEENS1_30default_config_static_selectorELNS0_4arch9wavefront6targetE1EEEvT1_ ; -- Begin function _ZN7rocprim17ROCPRIM_400000_NS6detail17trampoline_kernelINS0_14default_configENS1_27scan_by_key_config_selectorIjjEEZZNS1_16scan_by_key_implILNS1_25lookback_scan_determinismE0ELb0ES3_N6thrust23THRUST_200600_302600_NS6detail15normal_iteratorINS9_10device_ptrIjEEEESE_SE_jNS9_4plusIvEENS9_8equal_toIvEEjEE10hipError_tPvRmT2_T3_T4_T5_mT6_T7_P12ihipStream_tbENKUlT_T0_E_clISt17integral_constantIbLb1EESY_IbLb0EEEEDaSU_SV_EUlSU_E_NS1_11comp_targetILNS1_3genE4ELNS1_11target_archE910ELNS1_3gpuE8ELNS1_3repE0EEENS1_30default_config_static_selectorELNS0_4arch9wavefront6targetE1EEEvT1_
	.globl	_ZN7rocprim17ROCPRIM_400000_NS6detail17trampoline_kernelINS0_14default_configENS1_27scan_by_key_config_selectorIjjEEZZNS1_16scan_by_key_implILNS1_25lookback_scan_determinismE0ELb0ES3_N6thrust23THRUST_200600_302600_NS6detail15normal_iteratorINS9_10device_ptrIjEEEESE_SE_jNS9_4plusIvEENS9_8equal_toIvEEjEE10hipError_tPvRmT2_T3_T4_T5_mT6_T7_P12ihipStream_tbENKUlT_T0_E_clISt17integral_constantIbLb1EESY_IbLb0EEEEDaSU_SV_EUlSU_E_NS1_11comp_targetILNS1_3genE4ELNS1_11target_archE910ELNS1_3gpuE8ELNS1_3repE0EEENS1_30default_config_static_selectorELNS0_4arch9wavefront6targetE1EEEvT1_
	.p2align	8
	.type	_ZN7rocprim17ROCPRIM_400000_NS6detail17trampoline_kernelINS0_14default_configENS1_27scan_by_key_config_selectorIjjEEZZNS1_16scan_by_key_implILNS1_25lookback_scan_determinismE0ELb0ES3_N6thrust23THRUST_200600_302600_NS6detail15normal_iteratorINS9_10device_ptrIjEEEESE_SE_jNS9_4plusIvEENS9_8equal_toIvEEjEE10hipError_tPvRmT2_T3_T4_T5_mT6_T7_P12ihipStream_tbENKUlT_T0_E_clISt17integral_constantIbLb1EESY_IbLb0EEEEDaSU_SV_EUlSU_E_NS1_11comp_targetILNS1_3genE4ELNS1_11target_archE910ELNS1_3gpuE8ELNS1_3repE0EEENS1_30default_config_static_selectorELNS0_4arch9wavefront6targetE1EEEvT1_,@function
_ZN7rocprim17ROCPRIM_400000_NS6detail17trampoline_kernelINS0_14default_configENS1_27scan_by_key_config_selectorIjjEEZZNS1_16scan_by_key_implILNS1_25lookback_scan_determinismE0ELb0ES3_N6thrust23THRUST_200600_302600_NS6detail15normal_iteratorINS9_10device_ptrIjEEEESE_SE_jNS9_4plusIvEENS9_8equal_toIvEEjEE10hipError_tPvRmT2_T3_T4_T5_mT6_T7_P12ihipStream_tbENKUlT_T0_E_clISt17integral_constantIbLb1EESY_IbLb0EEEEDaSU_SV_EUlSU_E_NS1_11comp_targetILNS1_3genE4ELNS1_11target_archE910ELNS1_3gpuE8ELNS1_3repE0EEENS1_30default_config_static_selectorELNS0_4arch9wavefront6targetE1EEEvT1_: ; @_ZN7rocprim17ROCPRIM_400000_NS6detail17trampoline_kernelINS0_14default_configENS1_27scan_by_key_config_selectorIjjEEZZNS1_16scan_by_key_implILNS1_25lookback_scan_determinismE0ELb0ES3_N6thrust23THRUST_200600_302600_NS6detail15normal_iteratorINS9_10device_ptrIjEEEESE_SE_jNS9_4plusIvEENS9_8equal_toIvEEjEE10hipError_tPvRmT2_T3_T4_T5_mT6_T7_P12ihipStream_tbENKUlT_T0_E_clISt17integral_constantIbLb1EESY_IbLb0EEEEDaSU_SV_EUlSU_E_NS1_11comp_targetILNS1_3genE4ELNS1_11target_archE910ELNS1_3gpuE8ELNS1_3repE0EEENS1_30default_config_static_selectorELNS0_4arch9wavefront6targetE1EEEvT1_
; %bb.0:
	s_load_dwordx8 s[36:43], s[4:5], 0x0
	s_load_dwordx4 s[52:55], s[4:5], 0x28
	s_load_dwordx2 s[56:57], s[4:5], 0x38
	s_load_dword s0, s[4:5], 0x40
	s_load_dwordx8 s[44:51], s[4:5], 0x48
	s_waitcnt lgkmcnt(0)
	s_lshl_b64 s[38:39], s[38:39], 2
	s_add_u32 s2, s36, s38
	s_addc_u32 s3, s37, s39
	s_add_u32 s4, s40, s38
	s_mul_i32 s1, s57, s0
	s_mul_hi_u32 s7, s56, s0
	s_addc_u32 s5, s41, s39
	s_add_i32 s8, s7, s1
	s_mul_i32 s9, s56, s0
	s_cmp_lg_u64 s[48:49], 0
	s_mul_i32 s0, s6, 0xe00
	s_mov_b32 s1, 0
	s_cselect_b64 s[40:41], -1, 0
	s_lshl_b64 s[36:37], s[0:1], 2
	s_add_u32 s34, s2, s36
	s_addc_u32 s35, s3, s37
	s_add_u32 s7, s4, s36
	s_addc_u32 s55, s5, s37
	;; [unrolled: 2-line block ×3, first 2 shown]
	s_add_u32 s2, s44, -1
	s_addc_u32 s3, s45, -1
	v_pk_mov_b32 v[2:3], s[2:3], s[2:3] op_sel:[0,1]
	v_cmp_ge_u64_e64 s[0:1], s[48:49], v[2:3]
	s_mov_b64 s[18:19], 0
	s_mov_b64 s[4:5], -1
	s_and_b64 vcc, exec, s[0:1]
	s_mul_i32 s33, s2, 0xfffff200
	s_barrier
	s_cbranch_vccz .LBB1849_77
; %bb.1:
	v_pk_mov_b32 v[2:3], s[34:35], s[34:35] op_sel:[0,1]
	flat_load_dword v1, v[2:3]
	s_add_i32 s60, s33, s54
	v_cmp_gt_u32_e64 s[2:3], s60, v0
	s_waitcnt vmcnt(0) lgkmcnt(0)
	v_mov_b32_e32 v13, v1
	s_and_saveexec_b64 s[4:5], s[2:3]
	s_cbranch_execz .LBB1849_3
; %bb.2:
	v_lshlrev_b32_e32 v2, 2, v0
	v_mov_b32_e32 v3, s35
	v_add_co_u32_e32 v2, vcc, s34, v2
	v_addc_co_u32_e32 v3, vcc, 0, v3, vcc
	flat_load_dword v13, v[2:3]
.LBB1849_3:
	s_or_b64 exec, exec, s[4:5]
	v_or_b32_e32 v2, 0x100, v0
	v_cmp_gt_u32_e64 s[4:5], s60, v2
	v_mov_b32_e32 v14, v1
	s_and_saveexec_b64 s[8:9], s[4:5]
	s_cbranch_execz .LBB1849_5
; %bb.4:
	v_lshlrev_b32_e32 v2, 2, v0
	v_mov_b32_e32 v3, s35
	v_add_co_u32_e32 v2, vcc, s34, v2
	v_addc_co_u32_e32 v3, vcc, 0, v3, vcc
	flat_load_dword v14, v[2:3] offset:1024
.LBB1849_5:
	s_or_b64 exec, exec, s[8:9]
	v_or_b32_e32 v2, 0x200, v0
	v_cmp_gt_u32_e64 s[30:31], s60, v2
	v_mov_b32_e32 v15, v1
	s_and_saveexec_b64 s[8:9], s[30:31]
	s_cbranch_execz .LBB1849_7
; %bb.6:
	v_lshlrev_b32_e32 v2, 2, v0
	v_mov_b32_e32 v3, s35
	v_add_co_u32_e32 v2, vcc, s34, v2
	v_addc_co_u32_e32 v3, vcc, 0, v3, vcc
	flat_load_dword v15, v[2:3] offset:2048
.LBB1849_7:
	;; [unrolled: 13-line block ×3, first 2 shown]
	s_or_b64 exec, exec, s[10:11]
	v_or_b32_e32 v2, 0x400, v0
	v_cmp_gt_u32_e64 s[10:11], s60, v2
	v_mov_b32_e32 v17, v1
	s_and_saveexec_b64 s[12:13], s[10:11]
	s_cbranch_execz .LBB1849_11
; %bb.10:
	v_lshlrev_b32_e32 v3, 2, v2
	v_mov_b32_e32 v5, s35
	v_add_co_u32_e32 v4, vcc, s34, v3
	v_addc_co_u32_e32 v5, vcc, 0, v5, vcc
	flat_load_dword v17, v[4:5]
.LBB1849_11:
	s_or_b64 exec, exec, s[12:13]
	v_or_b32_e32 v3, 0x500, v0
	v_cmp_gt_u32_e64 s[12:13], s60, v3
	v_mov_b32_e32 v18, v1
	s_and_saveexec_b64 s[14:15], s[12:13]
	s_cbranch_execz .LBB1849_13
; %bb.12:
	v_lshlrev_b32_e32 v4, 2, v3
	v_mov_b32_e32 v5, s35
	v_add_co_u32_e32 v4, vcc, s34, v4
	v_addc_co_u32_e32 v5, vcc, 0, v5, vcc
	flat_load_dword v18, v[4:5]
.LBB1849_13:
	;; [unrolled: 13-line block ×9, first 2 shown]
	s_or_b64 exec, exec, s[28:29]
	v_or_b32_e32 v11, 0xd00, v0
	v_cmp_gt_u32_e64 s[28:29], s60, v11
	s_and_saveexec_b64 s[44:45], s[28:29]
	s_cbranch_execz .LBB1849_29
; %bb.28:
	v_lshlrev_b32_e32 v1, 2, v11
	v_mov_b32_e32 v12, s35
	v_add_co_u32_e32 v26, vcc, s34, v1
	v_addc_co_u32_e32 v27, vcc, 0, v12, vcc
	flat_load_dword v1, v[26:27]
.LBB1849_29:
	s_or_b64 exec, exec, s[44:45]
	v_lshlrev_b32_e32 v12, 2, v0
	s_waitcnt vmcnt(0) lgkmcnt(0)
	ds_write2st64_b32 v12, v13, v14 offset1:4
	ds_write2st64_b32 v12, v15, v16 offset0:8 offset1:12
	ds_write2st64_b32 v12, v17, v18 offset0:16 offset1:20
	;; [unrolled: 1-line block ×6, first 2 shown]
	v_mad_u32_u24 v1, v0, 52, v12
	s_waitcnt lgkmcnt(0)
	s_barrier
	ds_read2_b64 v[34:37], v1 offset1:1
	ds_read2_b64 v[30:33], v1 offset0:2 offset1:3
	ds_read2_b64 v[26:29], v1 offset0:4 offset1:5
	ds_read_b64 v[40:41], v1 offset:48
	s_cmp_eq_u64 s[48:49], 0
	s_mov_b64 s[44:45], s[34:35]
	s_cbranch_scc1 .LBB1849_33
; %bb.30:
	s_andn2_b64 vcc, exec, s[40:41]
	s_cbranch_vccnz .LBB1849_183
; %bb.31:
	s_lshl_b64 s[44:45], s[48:49], 2
	s_add_u32 s44, s50, s44
	s_addc_u32 s45, s51, s45
	s_add_u32 s44, s44, -4
	s_addc_u32 s45, s45, -1
	s_cbranch_execnz .LBB1849_33
.LBB1849_32:
	s_add_u32 s44, s34, -4
	s_addc_u32 s45, s35, -1
.LBB1849_33:
	v_pk_mov_b32 v[14:15], s[44:45], s[44:45] op_sel:[0,1]
	flat_load_dword v44, v[14:15]
	s_movk_i32 s44, 0xffcc
	v_mad_i32_i24 v13, v0, s44, v1
	v_cmp_ne_u32_e32 vcc, 0, v0
	s_waitcnt lgkmcnt(0)
	ds_write_b32 v13, v41 offset:14336
	s_waitcnt lgkmcnt(0)
	s_barrier
	s_and_saveexec_b64 s[44:45], vcc
	s_cbranch_execz .LBB1849_35
; %bb.34:
	v_mul_i32_i24_e32 v13, 0xffffffcc, v0
	v_add_u32_e32 v13, v1, v13
	s_waitcnt vmcnt(0)
	ds_read_b32 v44, v13 offset:14332
.LBB1849_35:
	s_or_b64 exec, exec, s[44:45]
	s_waitcnt lgkmcnt(0)
	s_barrier
	s_waitcnt lgkmcnt(0)
                                        ; implicit-def: $vgpr13
	s_and_saveexec_b64 s[44:45], s[2:3]
	s_cbranch_execnz .LBB1849_170
; %bb.36:
	s_or_b64 exec, exec, s[44:45]
                                        ; implicit-def: $vgpr14
	s_and_saveexec_b64 s[2:3], s[4:5]
	s_cbranch_execnz .LBB1849_171
.LBB1849_37:
	s_or_b64 exec, exec, s[2:3]
                                        ; implicit-def: $vgpr15
	s_and_saveexec_b64 s[2:3], s[30:31]
	s_cbranch_execnz .LBB1849_172
.LBB1849_38:
	s_or_b64 exec, exec, s[2:3]
                                        ; implicit-def: $vgpr16
	s_and_saveexec_b64 s[2:3], s[8:9]
	s_cbranch_execnz .LBB1849_173
.LBB1849_39:
	s_or_b64 exec, exec, s[2:3]
                                        ; implicit-def: $vgpr17
	s_and_saveexec_b64 s[2:3], s[10:11]
	s_cbranch_execnz .LBB1849_174
.LBB1849_40:
	s_or_b64 exec, exec, s[2:3]
                                        ; implicit-def: $vgpr2
	s_and_saveexec_b64 s[2:3], s[12:13]
	s_cbranch_execnz .LBB1849_175
.LBB1849_41:
	s_or_b64 exec, exec, s[2:3]
                                        ; implicit-def: $vgpr3
	s_and_saveexec_b64 s[2:3], s[14:15]
	s_cbranch_execnz .LBB1849_176
.LBB1849_42:
	s_or_b64 exec, exec, s[2:3]
                                        ; implicit-def: $vgpr4
	s_and_saveexec_b64 s[2:3], s[16:17]
	s_cbranch_execnz .LBB1849_177
.LBB1849_43:
	s_or_b64 exec, exec, s[2:3]
                                        ; implicit-def: $vgpr5
	s_and_saveexec_b64 s[2:3], s[18:19]
	s_cbranch_execnz .LBB1849_178
.LBB1849_44:
	s_or_b64 exec, exec, s[2:3]
                                        ; implicit-def: $vgpr6
	s_and_saveexec_b64 s[2:3], s[20:21]
	s_cbranch_execnz .LBB1849_179
.LBB1849_45:
	s_or_b64 exec, exec, s[2:3]
                                        ; implicit-def: $vgpr7
	s_and_saveexec_b64 s[2:3], s[22:23]
	s_cbranch_execnz .LBB1849_180
.LBB1849_46:
	s_or_b64 exec, exec, s[2:3]
                                        ; implicit-def: $vgpr8
	s_and_saveexec_b64 s[2:3], s[24:25]
	s_cbranch_execnz .LBB1849_181
.LBB1849_47:
	s_or_b64 exec, exec, s[2:3]
                                        ; implicit-def: $vgpr9
	s_and_saveexec_b64 s[2:3], s[26:27]
	s_cbranch_execnz .LBB1849_182
.LBB1849_48:
	s_or_b64 exec, exec, s[2:3]
                                        ; implicit-def: $vgpr10
	s_and_saveexec_b64 s[2:3], s[28:29]
	s_cbranch_execz .LBB1849_50
.LBB1849_49:
	v_lshlrev_b32_e32 v10, 2, v11
	v_mov_b32_e32 v11, s55
	v_add_co_u32_e32 v10, vcc, s7, v10
	v_addc_co_u32_e32 v11, vcc, 0, v11, vcc
	flat_load_dword v10, v[10:11]
.LBB1849_50:
	s_or_b64 exec, exec, s[2:3]
	s_mov_b32 s8, 0
	s_mov_b32 s9, s8
	s_waitcnt vmcnt(0) lgkmcnt(0)
	ds_write2st64_b32 v12, v13, v14 offset1:4
	ds_write2st64_b32 v12, v15, v16 offset0:8 offset1:12
	ds_write2st64_b32 v12, v17, v2 offset0:16 offset1:20
	;; [unrolled: 1-line block ×6, first 2 shown]
	s_mov_b32 s10, s8
	s_mov_b32 s11, s8
	s_mov_b32 s12, s8
	s_mov_b32 s13, s8
	s_mov_b32 s14, s8
	s_mov_b32 s15, s8
	v_pk_mov_b32 v[2:3], s[8:9], s[8:9] op_sel:[0,1]
	v_pk_mov_b32 v[8:9], s[14:15], s[14:15] op_sel:[0,1]
	v_mul_u32_u24_e32 v42, 14, v0
	v_pk_mov_b32 v[4:5], s[10:11], s[10:11] op_sel:[0,1]
	v_pk_mov_b32 v[6:7], s[12:13], s[12:13] op_sel:[0,1]
	;; [unrolled: 1-line block ×4, first 2 shown]
	v_cmp_gt_u32_e32 vcc, s60, v42
	s_mov_b64 s[4:5], 0
	v_pk_mov_b32 v[38:39], 0, 0
	s_mov_b64 s[18:19], 0
	v_pk_mov_b32 v[14:15], v[6:7], v[6:7] op_sel:[0,1]
	v_pk_mov_b32 v[12:13], v[4:5], v[4:5] op_sel:[0,1]
	;; [unrolled: 1-line block ×6, first 2 shown]
	s_waitcnt lgkmcnt(0)
	s_barrier
	s_waitcnt lgkmcnt(0)
                                        ; implicit-def: $sgpr2_sgpr3
                                        ; implicit-def: $vgpr43
	s_and_saveexec_b64 s[16:17], vcc
	s_cbranch_execz .LBB1849_76
; %bb.51:
	v_or_b32_e32 v2, 1, v42
	ds_read_b32 v38, v1
	v_cmp_ne_u32_e32 vcc, v44, v34
	v_cndmask_b32_e64 v39, 0, 1, vcc
	v_cmp_gt_u32_e32 vcc, s60, v2
	v_pk_mov_b32 v[2:3], s[8:9], s[8:9] op_sel:[0,1]
	v_pk_mov_b32 v[8:9], s[14:15], s[14:15] op_sel:[0,1]
	;; [unrolled: 1-line block ×6, first 2 shown]
	s_mov_b64 s[20:21], 0
	v_pk_mov_b32 v[14:15], v[6:7], v[6:7] op_sel:[0,1]
	v_pk_mov_b32 v[12:13], v[4:5], v[4:5] op_sel:[0,1]
	;; [unrolled: 1-line block ×6, first 2 shown]
                                        ; implicit-def: $sgpr8_sgpr9
                                        ; implicit-def: $vgpr43
	s_and_saveexec_b64 s[18:19], vcc
	s_cbranch_execz .LBB1849_75
; %bb.52:
	ds_read2_b32 v[44:45], v1 offset0:1 offset1:2
	s_mov_b32 s8, 0
	s_mov_b32 s14, s8
	;; [unrolled: 1-line block ×8, first 2 shown]
	v_pk_mov_b32 v[16:17], s[14:15], s[14:15] op_sel:[0,1]
	v_add_u32_e32 v2, 2, v42
	v_cmp_ne_u32_e32 vcc, v34, v35
	v_mov_b32_e32 v6, 0
	v_pk_mov_b32 v[14:15], s[12:13], s[12:13] op_sel:[0,1]
	v_pk_mov_b32 v[12:13], s[10:11], s[10:11] op_sel:[0,1]
	;; [unrolled: 1-line block ×4, first 2 shown]
	v_cndmask_b32_e64 v3, 0, 1, vcc
	v_cmp_gt_u32_e32 vcc, s60, v2
	s_waitcnt lgkmcnt(0)
	v_mov_b32_e32 v2, v44
	v_mov_b32_e32 v4, v6
	;; [unrolled: 1-line block ×6, first 2 shown]
	s_mov_b64 s[2:3], 0
	v_pk_mov_b32 v[22:23], v[14:15], v[14:15] op_sel:[0,1]
	v_pk_mov_b32 v[20:21], v[12:13], v[12:13] op_sel:[0,1]
	;; [unrolled: 1-line block ×3, first 2 shown]
                                        ; implicit-def: $sgpr22_sgpr23
                                        ; implicit-def: $vgpr43
	s_and_saveexec_b64 s[20:21], vcc
	s_cbranch_execz .LBB1849_74
; %bb.53:
	v_pk_mov_b32 v[16:17], s[14:15], s[14:15] op_sel:[0,1]
	v_add_u32_e32 v2, 3, v42
	v_cmp_ne_u32_e32 vcc, v35, v36
	v_pk_mov_b32 v[14:15], s[12:13], s[12:13] op_sel:[0,1]
	v_pk_mov_b32 v[12:13], s[10:11], s[10:11] op_sel:[0,1]
	;; [unrolled: 1-line block ×4, first 2 shown]
	v_cndmask_b32_e64 v5, 0, 1, vcc
	v_cmp_gt_u32_e32 vcc, s60, v2
	v_mov_b32_e32 v2, v44
	v_mov_b32_e32 v4, v45
	;; [unrolled: 1-line block ×5, first 2 shown]
	v_pk_mov_b32 v[22:23], v[14:15], v[14:15] op_sel:[0,1]
	v_pk_mov_b32 v[20:21], v[12:13], v[12:13] op_sel:[0,1]
	;; [unrolled: 1-line block ×3, first 2 shown]
                                        ; implicit-def: $sgpr8_sgpr9
                                        ; implicit-def: $vgpr43
	s_and_saveexec_b64 s[22:23], vcc
	s_cbranch_execz .LBB1849_73
; %bb.54:
	ds_read2_b32 v[34:35], v1 offset0:3 offset1:4
	s_mov_b32 s8, 0
	s_mov_b32 s14, s8
	;; [unrolled: 1-line block ×8, first 2 shown]
	v_pk_mov_b32 v[16:17], s[14:15], s[14:15] op_sel:[0,1]
	v_add_u32_e32 v6, 4, v42
	v_cmp_ne_u32_e32 vcc, v36, v37
	v_pk_mov_b32 v[14:15], s[12:13], s[12:13] op_sel:[0,1]
	v_pk_mov_b32 v[12:13], s[10:11], s[10:11] op_sel:[0,1]
	v_pk_mov_b32 v[10:11], s[8:9], s[8:9] op_sel:[0,1]
	v_pk_mov_b32 v[24:25], v[16:17], v[16:17] op_sel:[0,1]
	v_cndmask_b32_e64 v7, 0, 1, vcc
	v_cmp_gt_u32_e32 vcc, s60, v6
	s_waitcnt lgkmcnt(0)
	v_mov_b32_e32 v6, v34
	v_mov_b32_e32 v8, s8
	;; [unrolled: 1-line block ×3, first 2 shown]
	v_pk_mov_b32 v[22:23], v[14:15], v[14:15] op_sel:[0,1]
	v_pk_mov_b32 v[20:21], v[12:13], v[12:13] op_sel:[0,1]
	;; [unrolled: 1-line block ×3, first 2 shown]
                                        ; implicit-def: $sgpr26_sgpr27
                                        ; implicit-def: $vgpr43
	s_and_saveexec_b64 s[24:25], vcc
	s_cbranch_execz .LBB1849_72
; %bb.55:
	v_pk_mov_b32 v[16:17], s[14:15], s[14:15] op_sel:[0,1]
	v_add_u32_e32 v8, 5, v42
	v_cmp_ne_u32_e32 vcc, v37, v30
	v_pk_mov_b32 v[14:15], s[12:13], s[12:13] op_sel:[0,1]
	v_pk_mov_b32 v[12:13], s[10:11], s[10:11] op_sel:[0,1]
	;; [unrolled: 1-line block ×4, first 2 shown]
	v_cndmask_b32_e64 v9, 0, 1, vcc
	v_cmp_gt_u32_e32 vcc, s60, v8
	v_mov_b32_e32 v8, v35
	v_pk_mov_b32 v[22:23], v[14:15], v[14:15] op_sel:[0,1]
	v_pk_mov_b32 v[20:21], v[12:13], v[12:13] op_sel:[0,1]
	;; [unrolled: 1-line block ×3, first 2 shown]
                                        ; implicit-def: $sgpr8_sgpr9
                                        ; implicit-def: $vgpr43
	s_and_saveexec_b64 s[26:27], vcc
	s_cbranch_execz .LBB1849_71
; %bb.56:
	ds_read2_b32 v[34:35], v1 offset0:5 offset1:6
	s_mov_b32 s8, 0
	s_mov_b32 s14, s8
	;; [unrolled: 1-line block ×3, first 2 shown]
	v_add_u32_e32 v10, 6, v42
	v_cmp_ne_u32_e32 vcc, v30, v31
	v_mov_b32_e32 v14, 0
	s_mov_b32 s9, s8
	s_mov_b32 s10, s8
	;; [unrolled: 1-line block ×5, first 2 shown]
	v_pk_mov_b32 v[24:25], s[14:15], s[14:15] op_sel:[0,1]
	v_cndmask_b32_e64 v11, 0, 1, vcc
	v_cmp_gt_u32_e32 vcc, s60, v10
	s_waitcnt lgkmcnt(0)
	v_mov_b32_e32 v10, v34
	v_mov_b32_e32 v12, v14
	;; [unrolled: 1-line block ×6, first 2 shown]
	v_pk_mov_b32 v[22:23], s[12:13], s[12:13] op_sel:[0,1]
	v_pk_mov_b32 v[20:21], s[10:11], s[10:11] op_sel:[0,1]
	;; [unrolled: 1-line block ×3, first 2 shown]
                                        ; implicit-def: $sgpr30_sgpr31
                                        ; implicit-def: $vgpr43
	s_and_saveexec_b64 s[28:29], vcc
	s_cbranch_execz .LBB1849_70
; %bb.57:
	v_add_u32_e32 v10, 7, v42
	v_cmp_ne_u32_e32 vcc, v31, v32
	v_pk_mov_b32 v[24:25], s[14:15], s[14:15] op_sel:[0,1]
	v_cndmask_b32_e64 v13, 0, 1, vcc
	v_cmp_gt_u32_e32 vcc, s60, v10
	v_mov_b32_e32 v10, v34
	v_mov_b32_e32 v12, v35
	;; [unrolled: 1-line block ×5, first 2 shown]
	v_pk_mov_b32 v[22:23], s[12:13], s[12:13] op_sel:[0,1]
	v_pk_mov_b32 v[20:21], s[10:11], s[10:11] op_sel:[0,1]
	;; [unrolled: 1-line block ×3, first 2 shown]
                                        ; implicit-def: $sgpr8_sgpr9
                                        ; implicit-def: $vgpr43
	s_and_saveexec_b64 s[30:31], vcc
	s_cbranch_execz .LBB1849_69
; %bb.58:
	ds_read2_b32 v[30:31], v1 offset0:7 offset1:8
	s_mov_b32 s8, 0
	s_mov_b32 s14, s8
	;; [unrolled: 1-line block ×3, first 2 shown]
	v_add_u32_e32 v14, 8, v42
	v_cmp_ne_u32_e32 vcc, v32, v33
	s_mov_b32 s9, s8
	s_mov_b32 s10, s8
	;; [unrolled: 1-line block ×5, first 2 shown]
	v_pk_mov_b32 v[24:25], s[14:15], s[14:15] op_sel:[0,1]
	v_cndmask_b32_e64 v15, 0, 1, vcc
	v_cmp_gt_u32_e32 vcc, s60, v14
	s_waitcnt lgkmcnt(0)
	v_mov_b32_e32 v14, v30
	v_mov_b32_e32 v16, s8
	;; [unrolled: 1-line block ×3, first 2 shown]
	v_pk_mov_b32 v[22:23], s[12:13], s[12:13] op_sel:[0,1]
	v_pk_mov_b32 v[20:21], s[10:11], s[10:11] op_sel:[0,1]
	;; [unrolled: 1-line block ×3, first 2 shown]
                                        ; implicit-def: $sgpr58_sgpr59
                                        ; implicit-def: $vgpr43
	s_and_saveexec_b64 s[44:45], vcc
	s_cbranch_execz .LBB1849_68
; %bb.59:
	v_add_u32_e32 v16, 9, v42
	v_cmp_ne_u32_e32 vcc, v33, v26
	v_pk_mov_b32 v[24:25], s[14:15], s[14:15] op_sel:[0,1]
	v_cndmask_b32_e64 v17, 0, 1, vcc
	v_cmp_gt_u32_e32 vcc, s60, v16
	v_mov_b32_e32 v16, v31
	v_pk_mov_b32 v[22:23], s[12:13], s[12:13] op_sel:[0,1]
	v_pk_mov_b32 v[20:21], s[10:11], s[10:11] op_sel:[0,1]
	;; [unrolled: 1-line block ×3, first 2 shown]
                                        ; implicit-def: $sgpr10_sgpr11
                                        ; implicit-def: $vgpr43
	s_and_saveexec_b64 s[8:9], vcc
	s_cbranch_execz .LBB1849_67
; %bb.60:
	ds_read2_b32 v[30:31], v1 offset0:9 offset1:10
	v_add_u32_e32 v18, 10, v42
	v_cmp_ne_u32_e32 vcc, v26, v27
	v_mov_b32_e32 v22, 0
	v_cndmask_b32_e64 v19, 0, 1, vcc
	v_cmp_gt_u32_e32 vcc, s60, v18
	s_waitcnt lgkmcnt(0)
	v_mov_b32_e32 v18, v30
	v_mov_b32_e32 v20, v22
	;; [unrolled: 1-line block ×6, first 2 shown]
                                        ; implicit-def: $sgpr12_sgpr13
                                        ; implicit-def: $vgpr43
	s_and_saveexec_b64 s[10:11], vcc
	s_cbranch_execz .LBB1849_66
; %bb.61:
	v_add_u32_e32 v18, 11, v42
	v_cmp_ne_u32_e32 vcc, v27, v28
	v_cndmask_b32_e64 v21, 0, 1, vcc
	v_cmp_gt_u32_e32 vcc, s60, v18
	s_mov_b32 s58, 0
	v_mov_b32_e32 v18, v30
	v_mov_b32_e32 v20, v31
	;; [unrolled: 1-line block ×5, first 2 shown]
                                        ; implicit-def: $sgpr14_sgpr15
                                        ; implicit-def: $vgpr43
	s_and_saveexec_b64 s[12:13], vcc
	s_cbranch_execz .LBB1849_65
; %bb.62:
	ds_read2_b32 v[26:27], v1 offset0:11 offset1:12
	v_add_u32_e32 v22, 12, v42
	v_cmp_ne_u32_e32 vcc, v28, v29
	v_cndmask_b32_e64 v23, 0, 1, vcc
	v_cmp_gt_u32_e32 vcc, s60, v22
	s_waitcnt lgkmcnt(0)
	v_mov_b32_e32 v22, v26
	v_mov_b32_e32 v24, s58
	;; [unrolled: 1-line block ×3, first 2 shown]
                                        ; implicit-def: $sgpr14_sgpr15
                                        ; implicit-def: $vgpr43
	s_and_saveexec_b64 s[58:59], vcc
	s_xor_b64 s[58:59], exec, s[58:59]
	s_cbranch_execz .LBB1849_64
; %bb.63:
	ds_read_b32 v43, v1 offset:52
	v_add_u32_e32 v1, 13, v42
	v_cmp_ne_u32_e64 s[2:3], v29, v40
	v_cmp_ne_u32_e32 vcc, v40, v41
	v_cndmask_b32_e64 v25, 0, 1, s[2:3]
	v_cmp_gt_u32_e64 s[2:3], s60, v1
	v_mov_b32_e32 v24, v27
	s_and_b64 s[14:15], vcc, exec
	s_and_b64 s[2:3], s[2:3], exec
.LBB1849_64:
	s_or_b64 exec, exec, s[58:59]
	s_and_b64 s[14:15], s[14:15], exec
	s_and_b64 s[2:3], s[2:3], exec
.LBB1849_65:
	s_or_b64 exec, exec, s[12:13]
	s_and_b64 s[12:13], s[14:15], exec
	s_and_b64 s[2:3], s[2:3], exec
.LBB1849_66:
	s_or_b64 exec, exec, s[10:11]
	s_and_b64 s[10:11], s[12:13], exec
	s_and_b64 s[2:3], s[2:3], exec
.LBB1849_67:
	s_or_b64 exec, exec, s[8:9]
	s_and_b64 s[58:59], s[10:11], exec
	s_and_b64 s[2:3], s[2:3], exec
.LBB1849_68:
	s_or_b64 exec, exec, s[44:45]
	s_and_b64 s[8:9], s[58:59], exec
	s_and_b64 s[2:3], s[2:3], exec
.LBB1849_69:
	s_or_b64 exec, exec, s[30:31]
	s_and_b64 s[30:31], s[8:9], exec
	s_and_b64 s[2:3], s[2:3], exec
.LBB1849_70:
	s_or_b64 exec, exec, s[28:29]
	s_and_b64 s[8:9], s[30:31], exec
	s_and_b64 s[2:3], s[2:3], exec
.LBB1849_71:
	s_or_b64 exec, exec, s[26:27]
	s_and_b64 s[26:27], s[8:9], exec
	s_and_b64 s[2:3], s[2:3], exec
.LBB1849_72:
	s_or_b64 exec, exec, s[24:25]
	s_and_b64 s[8:9], s[26:27], exec
	s_and_b64 s[2:3], s[2:3], exec
.LBB1849_73:
	s_or_b64 exec, exec, s[22:23]
	s_and_b64 s[22:23], s[8:9], exec
	s_and_b64 s[2:3], s[2:3], exec
.LBB1849_74:
	s_or_b64 exec, exec, s[20:21]
	s_and_b64 s[8:9], s[22:23], exec
	s_and_b64 s[20:21], s[2:3], exec
.LBB1849_75:
	s_or_b64 exec, exec, s[18:19]
	s_and_b64 s[2:3], s[8:9], exec
	s_and_b64 s[18:19], s[20:21], exec
.LBB1849_76:
	s_or_b64 exec, exec, s[16:17]
	s_and_b64 vcc, exec, s[4:5]
	v_lshlrev_b32_e32 v50, 2, v0
	s_cbranch_vccnz .LBB1849_78
	s_branch .LBB1849_86
.LBB1849_77:
                                        ; implicit-def: $sgpr2_sgpr3
                                        ; implicit-def: $vgpr2_vgpr3_vgpr4_vgpr5_vgpr6_vgpr7_vgpr8_vgpr9
                                        ; implicit-def: $vgpr10_vgpr11_vgpr12_vgpr13_vgpr14_vgpr15_vgpr16_vgpr17
                                        ; implicit-def: $vgpr18_vgpr19_vgpr20_vgpr21_vgpr22_vgpr23_vgpr24_vgpr25
                                        ; implicit-def: $vgpr43
                                        ; implicit-def: $vgpr38_vgpr39
	s_and_b64 vcc, exec, s[4:5]
	v_lshlrev_b32_e32 v50, 2, v0
	s_cbranch_vccz .LBB1849_86
.LBB1849_78:
	v_mov_b32_e32 v1, s35
	v_add_co_u32_e32 v2, vcc, s34, v50
	v_addc_co_u32_e32 v3, vcc, 0, v1, vcc
	v_add_co_u32_e32 v4, vcc, 0x1000, v2
	v_addc_co_u32_e32 v5, vcc, 0, v3, vcc
	flat_load_dword v6, v[2:3]
	flat_load_dword v7, v[2:3] offset:1024
	flat_load_dword v8, v[2:3] offset:2048
	;; [unrolled: 1-line block ×3, first 2 shown]
	flat_load_dword v10, v[4:5]
	flat_load_dword v11, v[4:5] offset:1024
	flat_load_dword v12, v[4:5] offset:2048
	;; [unrolled: 1-line block ×3, first 2 shown]
	v_add_co_u32_e32 v4, vcc, 0x2000, v2
	v_addc_co_u32_e32 v5, vcc, 0, v3, vcc
	v_add_co_u32_e32 v2, vcc, 0x3000, v2
	v_addc_co_u32_e32 v3, vcc, 0, v3, vcc
	flat_load_dword v14, v[4:5]
	flat_load_dword v15, v[4:5] offset:1024
	flat_load_dword v16, v[4:5] offset:2048
	;; [unrolled: 1-line block ×3, first 2 shown]
	flat_load_dword v18, v[2:3]
	flat_load_dword v19, v[2:3] offset:1024
	v_mad_u32_u24 v1, v0, 52, v50
	s_cmp_eq_u64 s[48:49], 0
	s_waitcnt vmcnt(0) lgkmcnt(0)
	ds_write2st64_b32 v50, v6, v7 offset1:4
	ds_write2st64_b32 v50, v8, v9 offset0:8 offset1:12
	ds_write2st64_b32 v50, v10, v11 offset0:16 offset1:20
	;; [unrolled: 1-line block ×6, first 2 shown]
	s_waitcnt lgkmcnt(0)
	s_barrier
	ds_read2_b64 v[2:5], v1 offset1:1
	ds_read2_b64 v[10:13], v1 offset0:2 offset1:3
	ds_read2_b64 v[18:21], v1 offset0:4 offset1:5
	ds_read_b64 v[6:7], v1 offset:48
	s_cbranch_scc1 .LBB1849_83
; %bb.79:
	s_andn2_b64 vcc, exec, s[40:41]
	s_cbranch_vccnz .LBB1849_184
; %bb.80:
	s_lshl_b64 s[2:3], s[48:49], 2
	s_add_u32 s2, s50, s2
	s_addc_u32 s3, s51, s3
	s_add_u32 s2, s2, -4
	s_addc_u32 s3, s3, -1
	s_cbranch_execnz .LBB1849_82
.LBB1849_81:
	s_add_u32 s2, s34, -4
	s_addc_u32 s3, s35, -1
.LBB1849_82:
	s_mov_b64 s[34:35], s[2:3]
.LBB1849_83:
	v_pk_mov_b32 v[8:9], s[34:35], s[34:35] op_sel:[0,1]
	flat_load_dword v8, v[8:9]
	s_movk_i32 s2, 0xffcc
	v_mad_i32_i24 v9, v0, s2, v1
	v_cmp_ne_u32_e32 vcc, 0, v0
	s_waitcnt lgkmcnt(0)
	ds_write_b32 v9, v7 offset:14336
	s_waitcnt lgkmcnt(0)
	s_barrier
	s_and_saveexec_b64 s[2:3], vcc
	s_cbranch_execz .LBB1849_85
; %bb.84:
	s_waitcnt vmcnt(0)
	v_mul_i32_i24_e32 v8, 0xffffffcc, v0
	v_add_u32_e32 v8, v1, v8
	ds_read_b32 v8, v8 offset:14332
.LBB1849_85:
	s_or_b64 exec, exec, s[2:3]
	v_mov_b32_e32 v9, s55
	v_add_co_u32_e32 v14, vcc, s7, v50
	v_addc_co_u32_e32 v15, vcc, 0, v9, vcc
	s_movk_i32 s2, 0x1000
	v_add_co_u32_e32 v16, vcc, s2, v14
	v_addc_co_u32_e32 v17, vcc, 0, v15, vcc
	s_movk_i32 s2, 0x2000
	s_waitcnt lgkmcnt(0)
	s_barrier
	flat_load_dword v22, v[14:15]
	flat_load_dword v24, v[14:15] offset:1024
	flat_load_dword v26, v[14:15] offset:2048
	flat_load_dword v27, v[14:15] offset:3072
	flat_load_dword v28, v[16:17]
	flat_load_dword v29, v[16:17] offset:1024
	flat_load_dword v30, v[16:17] offset:2048
	;; [unrolled: 1-line block ×3, first 2 shown]
	v_add_co_u32_e32 v16, vcc, s2, v14
	v_addc_co_u32_e32 v17, vcc, 0, v15, vcc
	s_movk_i32 s2, 0x3000
	v_add_co_u32_e32 v14, vcc, s2, v14
	v_addc_co_u32_e32 v15, vcc, 0, v15, vcc
	flat_load_dword v32, v[16:17]
	flat_load_dword v33, v[16:17] offset:1024
	flat_load_dword v34, v[16:17] offset:2048
	flat_load_dword v35, v[16:17] offset:3072
	flat_load_dword v36, v[14:15]
	flat_load_dword v37, v[14:15] offset:1024
	s_waitcnt vmcnt(0)
	v_cmp_ne_u32_e32 vcc, v8, v2
	v_cndmask_b32_e64 v39, 0, 1, vcc
	v_cmp_ne_u32_e32 vcc, v5, v10
	v_cndmask_b32_e64 v9, 0, 1, vcc
	v_cmp_ne_u32_e32 vcc, v4, v5
	v_cmp_ne_u32_e64 s[2:3], v6, v7
	v_cndmask_b32_e64 v7, 0, 1, vcc
	v_cmp_ne_u32_e32 vcc, v3, v4
	v_cndmask_b32_e64 v5, 0, 1, vcc
	v_cmp_ne_u32_e32 vcc, v2, v3
	;; [unrolled: 2-line block ×10, first 2 shown]
	v_cndmask_b32_e64 v19, 0, 1, vcc
	s_mov_b64 s[18:19], -1
                                        ; implicit-def: $sgpr4_sgpr5
	s_waitcnt lgkmcnt(0)
	ds_write2st64_b32 v50, v22, v24 offset1:4
	ds_write2st64_b32 v50, v26, v27 offset0:8 offset1:12
	ds_write2st64_b32 v50, v28, v29 offset0:16 offset1:20
	;; [unrolled: 1-line block ×6, first 2 shown]
	s_waitcnt lgkmcnt(0)
	s_barrier
	ds_read2_b32 v[42:43], v1 offset1:13
	ds_read2_b32 v[26:27], v1 offset0:7 offset1:8
	ds_read2_b32 v[28:29], v1 offset0:5 offset1:6
	;; [unrolled: 1-line block ×6, first 2 shown]
	s_waitcnt lgkmcnt(6)
	v_mov_b32_e32 v38, v42
	s_waitcnt lgkmcnt(4)
	v_mov_b32_e32 v10, v28
	;; [unrolled: 2-line block ×4, first 2 shown]
	v_mov_b32_e32 v4, v33
	v_mov_b32_e32 v8, v31
	;; [unrolled: 1-line block ×5, first 2 shown]
	s_waitcnt lgkmcnt(0)
	v_mov_b32_e32 v18, v36
	v_mov_b32_e32 v20, v37
	v_mov_b32_e32 v22, v34
	v_mov_b32_e32 v24, v35
.LBB1849_86:
	v_pk_mov_b32 v[40:41], s[4:5], s[4:5] op_sel:[0,1]
	s_and_saveexec_b64 s[4:5], s[18:19]
	s_cbranch_execz .LBB1849_88
; %bb.87:
	v_cndmask_b32_e64 v41, 0, 1, s[2:3]
	s_waitcnt lgkmcnt(0)
	v_mov_b32_e32 v40, v43
.LBB1849_88:
	s_or_b64 exec, exec, s[4:5]
	s_mov_b32 s26, 0
	s_cmp_lg_u32 s6, 0
	v_mbcnt_lo_u32_b32 v52, -1, 0
	v_lshrrev_b32_e32 v1, 6, v0
	v_or_b32_e32 v51, 63, v0
	s_waitcnt lgkmcnt(0)
	s_barrier
	s_cbranch_scc0 .LBB1849_121
; %bb.89:
	s_mov_b32 s27, 1
	v_cmp_gt_u64_e64 s[2:3], s[26:27], v[2:3]
	v_cndmask_b32_e64 v27, 0, v38, s[2:3]
	v_add_u32_e32 v27, v27, v2
	v_cmp_gt_u64_e64 s[4:5], s[26:27], v[4:5]
	v_cndmask_b32_e64 v27, 0, v27, s[4:5]
	v_add_u32_e32 v27, v27, v4
	;; [unrolled: 3-line block ×13, first 2 shown]
	v_or3_b32 v27, v41, v25, v23
	v_or3_b32 v27, v27, v21, v19
	;; [unrolled: 1-line block ×6, first 2 shown]
	v_mov_b32_e32 v26, 0
	v_and_b32_e32 v27, 1, v27
	v_cmp_eq_u64_e32 vcc, 0, v[26:27]
	v_cndmask_b32_e32 v26, 1, v39, vcc
	v_mbcnt_hi_u32_b32 v46, -1, v52
	v_mov_b32_dpp v29, v28 row_shr:1 row_mask:0xf bank_mask:0xf
	v_mov_b32_dpp v30, v26 row_shr:1 row_mask:0xf bank_mask:0xf
	v_cmp_eq_u32_e32 vcc, 0, v26
	v_and_b32_e32 v31, 1, v26
	v_and_b32_e32 v27, 15, v46
	v_cndmask_b32_e32 v29, 0, v29, vcc
	v_and_b32_e32 v30, 1, v30
	v_cmp_eq_u32_e32 vcc, 1, v31
	v_cndmask_b32_e64 v30, v30, 1, vcc
	v_cmp_eq_u32_e32 vcc, 0, v27
	v_cndmask_b32_e32 v26, v30, v26, vcc
	v_and_b32_e32 v31, 1, v26
	v_cmp_eq_u32_e64 s[28:29], 1, v31
	v_mov_b32_dpp v30, v26 row_shr:2 row_mask:0xf bank_mask:0xf
	v_and_b32_e32 v30, 1, v30
	v_cndmask_b32_e64 v30, v30, 1, s[28:29]
	v_cmp_lt_u32_e64 s[28:29], 1, v27
	v_cndmask_b32_e64 v29, v29, 0, vcc
	v_cmp_eq_u32_e32 vcc, 0, v26
	v_cndmask_b32_e64 v26, v26, v30, s[28:29]
	v_add_u32_e32 v28, v29, v28
	v_and_b32_e32 v31, 1, v26
	v_mov_b32_dpp v30, v26 row_shr:4 row_mask:0xf bank_mask:0xf
	v_mov_b32_dpp v29, v28 row_shr:2 row_mask:0xf bank_mask:0xf
	s_and_b64 vcc, s[28:29], vcc
	v_and_b32_e32 v30, 1, v30
	v_cmp_eq_u32_e64 s[28:29], 1, v31
	v_cndmask_b32_e32 v29, 0, v29, vcc
	v_cndmask_b32_e64 v30, v30, 1, s[28:29]
	v_cmp_lt_u32_e64 s[28:29], 3, v27
	v_add_u32_e32 v28, v29, v28
	v_cmp_eq_u32_e32 vcc, 0, v26
	v_cndmask_b32_e64 v26, v26, v30, s[28:29]
	v_mov_b32_dpp v29, v28 row_shr:4 row_mask:0xf bank_mask:0xf
	s_and_b64 vcc, s[28:29], vcc
	v_mov_b32_dpp v30, v26 row_shr:8 row_mask:0xf bank_mask:0xf
	v_and_b32_e32 v31, 1, v26
	v_cndmask_b32_e32 v29, 0, v29, vcc
	v_and_b32_e32 v30, 1, v30
	v_cmp_eq_u32_e64 s[28:29], 1, v31
	v_add_u32_e32 v28, v29, v28
	v_cmp_eq_u32_e32 vcc, 0, v26
	v_cndmask_b32_e64 v30, v30, 1, s[28:29]
	v_cmp_lt_u32_e64 s[28:29], 7, v27
	v_mov_b32_dpp v29, v28 row_shr:8 row_mask:0xf bank_mask:0xf
	s_and_b64 vcc, s[28:29], vcc
	v_cndmask_b32_e32 v27, 0, v29, vcc
	v_cndmask_b32_e64 v26, v26, v30, s[28:29]
	v_add_u32_e32 v27, v27, v28
	v_cmp_eq_u32_e32 vcc, 0, v26
	v_mov_b32_dpp v29, v26 row_bcast:15 row_mask:0xf bank_mask:0xf
	v_mov_b32_dpp v28, v27 row_bcast:15 row_mask:0xf bank_mask:0xf
	v_and_b32_e32 v32, 1, v26
	v_and_b32_e32 v31, 16, v46
	v_cndmask_b32_e32 v28, 0, v28, vcc
	v_and_b32_e32 v29, 1, v29
	v_cmp_eq_u32_e32 vcc, 1, v32
	v_bfe_i32 v30, v46, 4, 1
	v_cndmask_b32_e64 v29, v29, 1, vcc
	v_cmp_eq_u32_e32 vcc, 0, v31
	v_and_b32_e32 v28, v30, v28
	v_cndmask_b32_e32 v26, v29, v26, vcc
	v_add_u32_e32 v27, v28, v27
	v_and_b32_e32 v30, 1, v26
	v_mov_b32_dpp v28, v26 row_bcast:31 row_mask:0xf bank_mask:0xf
	v_and_b32_e32 v28, 1, v28
	v_cmp_eq_u32_e64 s[28:29], 1, v30
	v_cmp_eq_u32_e32 vcc, 0, v26
	v_cndmask_b32_e64 v28, v28, 1, s[28:29]
	v_cmp_lt_u32_e64 s[28:29], 31, v46
	v_mov_b32_dpp v29, v27 row_bcast:31 row_mask:0xf bank_mask:0xf
	s_and_b64 vcc, s[28:29], vcc
	v_cndmask_b32_e64 v28, v26, v28, s[28:29]
	v_cndmask_b32_e32 v26, 0, v29, vcc
	v_add_u32_e32 v29, v26, v27
	v_cmp_eq_u32_e32 vcc, v51, v0
	s_and_saveexec_b64 s[28:29], vcc
	s_cbranch_execz .LBB1849_91
; %bb.90:
	v_lshlrev_b32_e32 v26, 3, v1
	ds_write_b32 v26, v29
	ds_write_b8 v26, v28 offset:4
.LBB1849_91:
	s_or_b64 exec, exec, s[28:29]
	v_cmp_gt_u32_e32 vcc, 4, v0
	s_waitcnt lgkmcnt(0)
	s_barrier
	s_and_saveexec_b64 s[28:29], vcc
	s_cbranch_execz .LBB1849_95
; %bb.92:
	v_lshlrev_b32_e32 v30, 3, v0
	ds_read_b64 v[26:27], v30
	v_and_b32_e32 v31, 3, v46
	v_cmp_ne_u32_e32 vcc, 0, v31
	s_waitcnt lgkmcnt(0)
	v_mov_b32_dpp v32, v26 row_shr:1 row_mask:0xf bank_mask:0xf
	v_mov_b32_dpp v34, v27 row_shr:1 row_mask:0xf bank_mask:0xf
	v_mov_b32_e32 v33, v27
	s_and_saveexec_b64 s[34:35], vcc
	s_cbranch_execz .LBB1849_94
; %bb.93:
	v_and_b32_e32 v33, 1, v27
	v_and_b32_e32 v34, 1, v34
	v_cmp_eq_u32_e32 vcc, 1, v33
	v_mov_b32_e32 v33, 0
	v_cndmask_b32_e64 v34, v34, 1, vcc
	v_cmp_eq_u16_sdwa vcc, v27, v33 src0_sel:BYTE_0 src1_sel:DWORD
	v_cndmask_b32_e32 v32, 0, v32, vcc
	v_add_u32_e32 v26, v32, v26
	v_and_b32_e32 v32, 0xffff, v34
	s_movk_i32 s7, 0xff00
	v_and_or_b32 v33, v27, s7, v32
	v_mov_b32_e32 v27, v34
.LBB1849_94:
	s_or_b64 exec, exec, s[34:35]
	v_mov_b32_dpp v33, v33 row_shr:2 row_mask:0xf bank_mask:0xf
	v_and_b32_e32 v34, 1, v27
	v_and_b32_e32 v33, 1, v33
	v_cmp_eq_u32_e32 vcc, 1, v34
	v_mov_b32_e32 v34, 0
	v_cndmask_b32_e64 v33, v33, 1, vcc
	v_cmp_eq_u16_sdwa s[34:35], v27, v34 src0_sel:BYTE_0 src1_sel:DWORD
	v_cmp_lt_u32_e32 vcc, 1, v31
	v_mov_b32_dpp v32, v26 row_shr:2 row_mask:0xf bank_mask:0xf
	v_cndmask_b32_e32 v27, v27, v33, vcc
	s_and_b64 vcc, vcc, s[34:35]
	v_cndmask_b32_e32 v31, 0, v32, vcc
	v_add_u32_e32 v26, v31, v26
	ds_write_b32 v30, v26
	ds_write_b8 v30, v27 offset:4
.LBB1849_95:
	s_or_b64 exec, exec, s[28:29]
	v_cmp_gt_u32_e32 vcc, 64, v0
	v_cmp_lt_u32_e64 s[28:29], 63, v0
	v_mov_b32_e32 v42, 0
	v_mov_b32_e32 v43, 0
	s_waitcnt lgkmcnt(0)
	s_barrier
	s_and_saveexec_b64 s[34:35], s[28:29]
	s_cbranch_execz .LBB1849_97
; %bb.96:
	v_lshl_add_u32 v26, v1, 3, -8
	ds_read_b32 v42, v26
	ds_read_u8 v43, v26 offset:4
	v_and_b32_e32 v27, 1, v28
	v_cmp_eq_u32_e64 s[28:29], 0, v28
	s_waitcnt lgkmcnt(1)
	v_cndmask_b32_e64 v26, 0, v42, s[28:29]
	v_cmp_eq_u32_e64 s[28:29], 1, v27
	v_add_u32_e32 v29, v26, v29
	s_waitcnt lgkmcnt(0)
	v_cndmask_b32_e64 v28, v43, 1, s[28:29]
.LBB1849_97:
	s_or_b64 exec, exec, s[34:35]
	v_add_u32_e32 v26, -1, v46
	v_and_b32_e32 v27, 64, v46
	v_cmp_lt_i32_e64 s[28:29], v26, v27
	v_cndmask_b32_e64 v26, v26, v46, s[28:29]
	v_lshlrev_b32_e32 v26, 2, v26
	ds_bpermute_b32 v44, v26, v29
	ds_bpermute_b32 v45, v26, v28
	v_cmp_eq_u32_e64 s[28:29], 0, v46
	s_and_saveexec_b64 s[40:41], vcc
	s_cbranch_execz .LBB1849_120
; %bb.98:
	v_mov_b32_e32 v29, 0
	ds_read_b64 v[26:27], v29 offset:24
	s_waitcnt lgkmcnt(0)
	v_readfirstlane_b32 s7, v27
	s_and_saveexec_b64 s[34:35], s[28:29]
	s_cbranch_execz .LBB1849_100
; %bb.99:
	s_add_i32 s44, s6, 64
	s_mov_b32 s45, 0
	s_lshl_b64 s[48:49], s[44:45], 4
	s_add_u32 s48, s52, s48
	s_addc_u32 s49, s53, s49
	s_and_b32 s51, s7, 0xff000000
	s_mov_b32 s50, s45
	s_and_b32 s59, s7, 0xff0000
	s_mov_b32 s58, s45
	s_or_b64 s[50:51], s[58:59], s[50:51]
	s_and_b32 s59, s7, 0xff00
	s_or_b64 s[50:51], s[50:51], s[58:59]
	s_and_b32 s59, s7, 0xff
	s_or_b64 s[44:45], s[50:51], s[58:59]
	v_mov_b32_e32 v27, s45
	v_mov_b32_e32 v28, 1
	v_pk_mov_b32 v[30:31], s[48:49], s[48:49] op_sel:[0,1]
	;;#ASMSTART
	global_store_dwordx4 v[30:31], v[26:29] off	
s_waitcnt vmcnt(0)
	;;#ASMEND
.LBB1849_100:
	s_or_b64 exec, exec, s[34:35]
	v_xad_u32 v34, v46, -1, s6
	v_add_u32_e32 v28, 64, v34
	v_lshlrev_b64 v[30:31], 4, v[28:29]
	v_mov_b32_e32 v27, s53
	v_add_co_u32_e32 v36, vcc, s52, v30
	v_addc_co_u32_e32 v37, vcc, v27, v31, vcc
	;;#ASMSTART
	global_load_dwordx4 v[30:33], v[36:37] off glc	
s_waitcnt vmcnt(0)
	;;#ASMEND
	v_and_b32_e32 v27, 0xff0000, v30
	v_or_b32_sdwa v27, v30, v27 dst_sel:DWORD dst_unused:UNUSED_PAD src0_sel:WORD_0 src1_sel:DWORD
	v_and_b32_e32 v28, 0xff000000, v30
	v_and_b32_e32 v30, 0xff, v31
	v_or3_b32 v31, 0, 0, v30
	v_or3_b32 v30, v27, v28, 0
	v_cmp_eq_u16_sdwa s[44:45], v32, v29 src0_sel:BYTE_0 src1_sel:DWORD
	s_and_saveexec_b64 s[34:35], s[44:45]
	s_cbranch_execz .LBB1849_106
; %bb.101:
	s_mov_b32 s48, 1
	s_mov_b64 s[44:45], 0
	v_mov_b32_e32 v27, 0
.LBB1849_102:                           ; =>This Loop Header: Depth=1
                                        ;     Child Loop BB1849_103 Depth 2
	s_max_u32 s49, s48, 1
.LBB1849_103:                           ;   Parent Loop BB1849_102 Depth=1
                                        ; =>  This Inner Loop Header: Depth=2
	s_add_i32 s49, s49, -1
	s_cmp_eq_u32 s49, 0
	s_sleep 1
	s_cbranch_scc0 .LBB1849_103
; %bb.104:                              ;   in Loop: Header=BB1849_102 Depth=1
	s_cmp_lt_u32 s48, 32
	s_cselect_b64 s[50:51], -1, 0
	s_cmp_lg_u64 s[50:51], 0
	s_addc_u32 s48, s48, 0
	;;#ASMSTART
	global_load_dwordx4 v[30:33], v[36:37] off glc	
s_waitcnt vmcnt(0)
	;;#ASMEND
	v_cmp_ne_u16_sdwa s[50:51], v32, v27 src0_sel:BYTE_0 src1_sel:DWORD
	s_or_b64 s[44:45], s[50:51], s[44:45]
	s_andn2_b64 exec, exec, s[44:45]
	s_cbranch_execnz .LBB1849_102
; %bb.105:
	s_or_b64 exec, exec, s[44:45]
	v_and_b32_e32 v31, 0xff, v31
.LBB1849_106:
	s_or_b64 exec, exec, s[34:35]
	v_mov_b32_e32 v27, 2
	v_cmp_eq_u16_sdwa s[34:35], v32, v27 src0_sel:BYTE_0 src1_sel:DWORD
	v_lshlrev_b64 v[28:29], v46, -1
	v_and_b32_e32 v33, s35, v29
	v_or_b32_e32 v33, 0x80000000, v33
	v_and_b32_e32 v35, s34, v28
	v_ffbl_b32_e32 v33, v33
	v_and_b32_e32 v47, 63, v46
	v_add_u32_e32 v33, 32, v33
	v_ffbl_b32_e32 v35, v35
	v_cmp_ne_u32_e32 vcc, 63, v47
	v_min_u32_e32 v33, v35, v33
	v_addc_co_u32_e32 v35, vcc, 0, v46, vcc
	v_lshlrev_b32_e32 v48, 2, v35
	ds_bpermute_b32 v35, v48, v31
	ds_bpermute_b32 v36, v48, v30
	s_mov_b32 s44, 0
	v_and_b32_e32 v37, 1, v31
	s_mov_b32 s45, 1
	s_waitcnt lgkmcnt(1)
	v_and_b32_e32 v35, 1, v35
	v_cmp_eq_u32_e32 vcc, 1, v37
	v_cndmask_b32_e64 v35, v35, 1, vcc
	v_cmp_gt_u64_e32 vcc, s[44:45], v[30:31]
	v_cmp_lt_u32_e64 s[34:35], v47, v33
	s_and_b64 vcc, s[34:35], vcc
	v_and_b32_e32 v37, 0xffff, v35
	v_cndmask_b32_e64 v54, v31, v35, s[34:35]
	s_waitcnt lgkmcnt(0)
	v_cndmask_b32_e32 v35, 0, v36, vcc
	v_cmp_gt_u32_e32 vcc, 62, v47
	v_cndmask_b32_e64 v36, 0, 1, vcc
	v_lshlrev_b32_e32 v36, 1, v36
	v_cndmask_b32_e64 v31, v31, v37, s[34:35]
	v_add_lshl_u32 v49, v36, v46, 2
	ds_bpermute_b32 v36, v49, v31
	v_add_u32_e32 v30, v35, v30
	ds_bpermute_b32 v37, v49, v30
	v_and_b32_e32 v35, 1, v54
	v_cmp_eq_u32_e32 vcc, 1, v35
	s_waitcnt lgkmcnt(1)
	v_and_b32_e32 v36, 1, v36
	v_mov_b32_e32 v35, 0
	v_add_u32_e32 v53, 2, v47
	v_cndmask_b32_e64 v36, v36, 1, vcc
	v_cmp_eq_u16_sdwa vcc, v54, v35 src0_sel:BYTE_0 src1_sel:DWORD
	v_and_b32_e32 v55, 0xffff, v36
	s_waitcnt lgkmcnt(0)
	v_cndmask_b32_e32 v37, 0, v37, vcc
	v_cmp_gt_u32_e32 vcc, v53, v33
	v_cndmask_b32_e32 v36, v36, v54, vcc
	v_cndmask_b32_e64 v37, v37, 0, vcc
	v_cndmask_b32_e32 v31, v55, v31, vcc
	v_cmp_gt_u32_e32 vcc, 60, v47
	v_cndmask_b32_e64 v54, 0, 1, vcc
	v_lshlrev_b32_e32 v54, 2, v54
	v_add_lshl_u32 v54, v54, v46, 2
	ds_bpermute_b32 v56, v54, v31
	v_add_u32_e32 v30, v37, v30
	ds_bpermute_b32 v37, v54, v30
	v_and_b32_e32 v57, 1, v36
	v_cmp_eq_u32_e32 vcc, 1, v57
	s_waitcnt lgkmcnt(1)
	v_and_b32_e32 v56, 1, v56
	v_add_u32_e32 v55, 4, v47
	v_cndmask_b32_e64 v56, v56, 1, vcc
	v_cmp_eq_u16_sdwa vcc, v36, v35 src0_sel:BYTE_0 src1_sel:DWORD
	v_and_b32_e32 v57, 0xffff, v56
	s_waitcnt lgkmcnt(0)
	v_cndmask_b32_e32 v37, 0, v37, vcc
	v_cmp_gt_u32_e32 vcc, v55, v33
	v_cndmask_b32_e32 v36, v56, v36, vcc
	v_cndmask_b32_e64 v37, v37, 0, vcc
	v_cndmask_b32_e32 v31, v57, v31, vcc
	v_cmp_gt_u32_e32 vcc, 56, v47
	v_cndmask_b32_e64 v56, 0, 1, vcc
	v_lshlrev_b32_e32 v56, 3, v56
	v_add_lshl_u32 v56, v56, v46, 2
	ds_bpermute_b32 v58, v56, v31
	v_add_u32_e32 v30, v37, v30
	ds_bpermute_b32 v37, v56, v30
	v_and_b32_e32 v59, 1, v36
	v_cmp_eq_u32_e32 vcc, 1, v59
	s_waitcnt lgkmcnt(1)
	v_and_b32_e32 v58, 1, v58
	;; [unrolled: 21-line block ×4, first 2 shown]
	v_add_u32_e32 v62, 32, v47
	v_cndmask_b32_e64 v31, v31, 1, vcc
	v_cmp_eq_u16_sdwa vcc, v36, v35 src0_sel:BYTE_0 src1_sel:DWORD
	s_waitcnt lgkmcnt(0)
	v_cndmask_b32_e32 v37, 0, v37, vcc
	v_cmp_gt_u32_e32 vcc, v62, v33
	v_cndmask_b32_e64 v33, v37, 0, vcc
	v_cndmask_b32_e32 v31, v31, v36, vcc
	v_add_u32_e32 v30, v33, v30
	s_branch .LBB1849_108
.LBB1849_107:                           ;   in Loop: Header=BB1849_108 Depth=1
	s_or_b64 exec, exec, s[34:35]
	v_cmp_eq_u16_sdwa s[34:35], v32, v27 src0_sel:BYTE_0 src1_sel:DWORD
	v_and_b32_e32 v33, s35, v29
	ds_bpermute_b32 v37, v48, v31
	v_or_b32_e32 v33, 0x80000000, v33
	v_and_b32_e32 v36, s34, v28
	v_ffbl_b32_e32 v33, v33
	v_add_u32_e32 v33, 32, v33
	v_ffbl_b32_e32 v36, v36
	v_min_u32_e32 v33, v36, v33
	ds_bpermute_b32 v36, v48, v30
	v_and_b32_e32 v63, 1, v31
	s_waitcnt lgkmcnt(1)
	v_and_b32_e32 v37, 1, v37
	v_cmp_eq_u32_e32 vcc, 1, v63
	v_cndmask_b32_e64 v37, v37, 1, vcc
	v_cmp_gt_u64_e32 vcc, s[44:45], v[30:31]
	v_and_b32_e32 v63, 0xffff, v37
	v_cmp_lt_u32_e64 s[34:35], v47, v33
	v_cndmask_b32_e64 v37, v31, v37, s[34:35]
	v_cndmask_b32_e64 v31, v31, v63, s[34:35]
	s_and_b64 vcc, s[34:35], vcc
	ds_bpermute_b32 v63, v49, v31
	s_waitcnt lgkmcnt(1)
	v_cndmask_b32_e32 v36, 0, v36, vcc
	v_add_u32_e32 v30, v36, v30
	ds_bpermute_b32 v36, v49, v30
	v_and_b32_e32 v64, 1, v37
	s_waitcnt lgkmcnt(1)
	v_and_b32_e32 v63, 1, v63
	v_cmp_eq_u32_e32 vcc, 1, v64
	v_cndmask_b32_e64 v63, v63, 1, vcc
	v_cmp_eq_u16_sdwa vcc, v37, v35 src0_sel:BYTE_0 src1_sel:DWORD
	v_and_b32_e32 v64, 0xffff, v63
	s_waitcnt lgkmcnt(0)
	v_cndmask_b32_e32 v36, 0, v36, vcc
	v_cmp_gt_u32_e32 vcc, v53, v33
	v_cndmask_b32_e32 v31, v64, v31, vcc
	v_cndmask_b32_e32 v37, v63, v37, vcc
	ds_bpermute_b32 v63, v54, v31
	v_cndmask_b32_e64 v36, v36, 0, vcc
	v_add_u32_e32 v30, v36, v30
	ds_bpermute_b32 v36, v54, v30
	v_and_b32_e32 v64, 1, v37
	s_waitcnt lgkmcnt(1)
	v_and_b32_e32 v63, 1, v63
	v_cmp_eq_u32_e32 vcc, 1, v64
	v_cndmask_b32_e64 v63, v63, 1, vcc
	v_cmp_eq_u16_sdwa vcc, v37, v35 src0_sel:BYTE_0 src1_sel:DWORD
	v_and_b32_e32 v64, 0xffff, v63
	s_waitcnt lgkmcnt(0)
	v_cndmask_b32_e32 v36, 0, v36, vcc
	v_cmp_gt_u32_e32 vcc, v55, v33
	v_cndmask_b32_e32 v31, v64, v31, vcc
	v_cndmask_b32_e32 v37, v63, v37, vcc
	ds_bpermute_b32 v63, v56, v31
	v_cndmask_b32_e64 v36, v36, 0, vcc
	;; [unrolled: 16-line block ×3, first 2 shown]
	v_add_u32_e32 v30, v36, v30
	ds_bpermute_b32 v36, v58, v30
	v_and_b32_e32 v64, 1, v37
	s_waitcnt lgkmcnt(1)
	v_and_b32_e32 v63, 1, v63
	v_cmp_eq_u32_e32 vcc, 1, v64
	v_cndmask_b32_e64 v63, v63, 1, vcc
	v_cmp_eq_u16_sdwa vcc, v37, v35 src0_sel:BYTE_0 src1_sel:DWORD
	v_and_b32_e32 v64, 0xffff, v63
	s_waitcnt lgkmcnt(0)
	v_cndmask_b32_e32 v36, 0, v36, vcc
	v_cmp_gt_u32_e32 vcc, v59, v33
	v_cndmask_b32_e64 v36, v36, 0, vcc
	v_cndmask_b32_e32 v31, v64, v31, vcc
	ds_bpermute_b32 v31, v61, v31
	v_add_u32_e32 v30, v36, v30
	ds_bpermute_b32 v36, v61, v30
	v_cndmask_b32_e32 v37, v63, v37, vcc
	v_and_b32_e32 v63, 1, v37
	v_cmp_eq_u32_e32 vcc, 1, v63
	s_waitcnt lgkmcnt(1)
	v_cndmask_b32_e64 v31, v31, 1, vcc
	v_cmp_eq_u16_sdwa vcc, v37, v35 src0_sel:BYTE_0 src1_sel:DWORD
	s_waitcnt lgkmcnt(0)
	v_cndmask_b32_e32 v36, 0, v36, vcc
	v_cmp_gt_u32_e32 vcc, v62, v33
	v_cndmask_b32_e64 v33, v36, 0, vcc
	v_cndmask_b32_e32 v31, v31, v37, vcc
	v_add_u32_e32 v30, v33, v30
	v_cmp_eq_u16_sdwa vcc, v46, v35 src0_sel:BYTE_0 src1_sel:DWORD
	v_and_b32_e32 v33, 1, v46
	v_cndmask_b32_e32 v30, 0, v30, vcc
	v_and_b32_e32 v31, 1, v31
	v_cmp_eq_u32_e32 vcc, 1, v33
	v_subrev_u32_e32 v34, 64, v34
	v_add_u32_e32 v30, v30, v60
	v_cndmask_b32_e64 v31, v31, 1, vcc
.LBB1849_108:                           ; =>This Loop Header: Depth=1
                                        ;     Child Loop BB1849_111 Depth 2
                                        ;       Child Loop BB1849_112 Depth 3
	v_cmp_ne_u16_sdwa s[34:35], v32, v27 src0_sel:BYTE_0 src1_sel:DWORD
	v_mov_b32_e32 v46, v31
	v_cndmask_b32_e64 v31, 0, 1, s[34:35]
	;;#ASMSTART
	;;#ASMEND
	v_cmp_ne_u32_e32 vcc, 0, v31
	s_cmp_lg_u64 vcc, exec
	v_mov_b32_e32 v60, v30
	s_cbranch_scc1 .LBB1849_115
; %bb.109:                              ;   in Loop: Header=BB1849_108 Depth=1
	v_lshlrev_b64 v[30:31], 4, v[34:35]
	v_mov_b32_e32 v32, s53
	v_add_co_u32_e32 v36, vcc, s52, v30
	v_addc_co_u32_e32 v37, vcc, v32, v31, vcc
	;;#ASMSTART
	global_load_dwordx4 v[30:33], v[36:37] off glc	
s_waitcnt vmcnt(0)
	;;#ASMEND
	v_and_b32_e32 v33, 0xff0000, v30
	v_or_b32_sdwa v33, v30, v33 dst_sel:DWORD dst_unused:UNUSED_PAD src0_sel:WORD_0 src1_sel:DWORD
	v_and_b32_e32 v30, 0xff000000, v30
	v_and_b32_e32 v31, 0xff, v31
	v_or3_b32 v31, 0, 0, v31
	v_or3_b32 v30, v33, v30, 0
	v_cmp_eq_u16_sdwa s[48:49], v32, v35 src0_sel:BYTE_0 src1_sel:DWORD
	s_and_saveexec_b64 s[34:35], s[48:49]
	s_cbranch_execz .LBB1849_107
; %bb.110:                              ;   in Loop: Header=BB1849_108 Depth=1
	s_mov_b32 s50, 1
	s_mov_b64 s[48:49], 0
.LBB1849_111:                           ;   Parent Loop BB1849_108 Depth=1
                                        ; =>  This Loop Header: Depth=2
                                        ;       Child Loop BB1849_112 Depth 3
	s_max_u32 s51, s50, 1
.LBB1849_112:                           ;   Parent Loop BB1849_108 Depth=1
                                        ;     Parent Loop BB1849_111 Depth=2
                                        ; =>    This Inner Loop Header: Depth=3
	s_add_i32 s51, s51, -1
	s_cmp_eq_u32 s51, 0
	s_sleep 1
	s_cbranch_scc0 .LBB1849_112
; %bb.113:                              ;   in Loop: Header=BB1849_111 Depth=2
	s_cmp_lt_u32 s50, 32
	s_cselect_b64 s[58:59], -1, 0
	s_cmp_lg_u64 s[58:59], 0
	s_addc_u32 s50, s50, 0
	;;#ASMSTART
	global_load_dwordx4 v[30:33], v[36:37] off glc	
s_waitcnt vmcnt(0)
	;;#ASMEND
	v_cmp_ne_u16_sdwa s[58:59], v32, v35 src0_sel:BYTE_0 src1_sel:DWORD
	s_or_b64 s[48:49], s[58:59], s[48:49]
	s_andn2_b64 exec, exec, s[48:49]
	s_cbranch_execnz .LBB1849_111
; %bb.114:                              ;   in Loop: Header=BB1849_108 Depth=1
	s_or_b64 exec, exec, s[48:49]
	v_and_b32_e32 v31, 0xff, v31
	s_branch .LBB1849_107
.LBB1849_115:                           ;   in Loop: Header=BB1849_108 Depth=1
                                        ; implicit-def: $vgpr31
                                        ; implicit-def: $vgpr30
                                        ; implicit-def: $vgpr32
	s_cbranch_execz .LBB1849_108
; %bb.116:
	s_and_saveexec_b64 s[34:35], s[28:29]
	s_cbranch_execz .LBB1849_118
; %bb.117:
	s_and_b32 s44, s7, 0xff
	s_cmp_eq_u32 s44, 0
	s_cselect_b64 vcc, -1, 0
	s_bitcmp1_b32 s7, 0
	s_mov_b32 s45, 0
	s_cselect_b64 s[48:49], -1, 0
	s_add_i32 s44, s6, 64
	s_lshl_b64 s[6:7], s[44:45], 4
	v_cndmask_b32_e32 v27, 0, v60, vcc
	s_add_u32 s6, s52, s6
	v_add_u32_e32 v26, v27, v26
	v_and_b32_e32 v27, 1, v46
	s_addc_u32 s7, s53, s7
	v_mov_b32_e32 v29, 0
	v_cndmask_b32_e64 v27, v27, 1, s[48:49]
	v_mov_b32_e32 v28, 2
	v_pk_mov_b32 v[30:31], s[6:7], s[6:7] op_sel:[0,1]
	;;#ASMSTART
	global_store_dwordx4 v[30:31], v[26:29] off	
s_waitcnt vmcnt(0)
	;;#ASMEND
.LBB1849_118:
	s_or_b64 exec, exec, s[34:35]
	v_cmp_eq_u32_e32 vcc, 0, v0
	s_and_b64 exec, exec, vcc
	s_cbranch_execz .LBB1849_120
; %bb.119:
	v_mov_b32_e32 v26, 0
	ds_write_b32 v26, v60 offset:24
	ds_write_b8 v26, v46 offset:28
.LBB1849_120:
	s_or_b64 exec, exec, s[40:41]
	s_mov_b32 s6, 0
	v_mov_b32_e32 v28, 0
	s_mov_b32 s7, 1
	s_waitcnt lgkmcnt(0)
	v_cndmask_b32_e64 v26, v45, v43, s[28:29]
	v_cndmask_b32_e64 v27, v44, v42, s[28:29]
	s_barrier
	ds_read_b32 v29, v28 offset:24
	v_cmp_gt_u64_e32 vcc, s[6:7], v[38:39]
	v_and_b32_e32 v30, 1, v39
	v_cndmask_b32_e32 v27, 0, v27, vcc
	v_and_b32_e32 v26, 1, v26
	v_cmp_eq_u32_e32 vcc, 1, v30
	v_cndmask_b32_e64 v26, v26, 1, vcc
	v_cmp_eq_u32_e32 vcc, 0, v0
	v_cndmask_b32_e32 v26, v26, v39, vcc
	v_cndmask_b32_e64 v27, v27, 0, vcc
	v_cmp_eq_u16_sdwa vcc, v26, v28 src0_sel:BYTE_0 src1_sel:DWORD
	s_waitcnt lgkmcnt(0)
	v_cndmask_b32_e32 v26, 0, v29, vcc
	v_add3_u32 v26, v27, v38, v26
	v_cndmask_b32_e64 v27, 0, v26, s[2:3]
	v_add_u32_e32 v27, v27, v2
	v_cndmask_b32_e64 v28, 0, v27, s[4:5]
	v_add_u32_e32 v42, v28, v4
	;; [unrolled: 2-line block ×13, first 2 shown]
	s_branch .LBB1849_137
.LBB1849_121:
                                        ; implicit-def: $vgpr49
                                        ; implicit-def: $vgpr47
                                        ; implicit-def: $vgpr45
                                        ; implicit-def: $vgpr43
                                        ; implicit-def: $vgpr34_vgpr35_vgpr36_vgpr37
                                        ; implicit-def: $vgpr30_vgpr31_vgpr32_vgpr33
                                        ; implicit-def: $vgpr26_vgpr27_vgpr28_vgpr29
	s_cbranch_execz .LBB1849_137
; %bb.122:
	s_cmp_lg_u64 s[56:57], 0
	s_cselect_b32 s5, s47, 0
	s_cselect_b32 s4, s46, 0
	s_cmp_lg_u64 s[4:5], 0
	s_cselect_b64 s[6:7], -1, 0
	v_cmp_eq_u32_e32 vcc, 0, v0
	s_mov_b32 s28, 0
	v_cmp_ne_u32_e64 s[2:3], 0, v0
	s_and_b64 s[8:9], vcc, s[6:7]
	s_and_saveexec_b64 s[6:7], s[8:9]
	s_cbranch_execz .LBB1849_124
; %bb.123:
	v_mov_b32_e32 v26, 0
	global_load_dword v28, v26, s[4:5]
	global_load_ubyte v29, v26, s[4:5] offset:4
	s_mov_b32 s29, 1
	v_and_b32_e32 v27, 1, v39
	v_cmp_gt_u64_e64 s[4:5], s[28:29], v[38:39]
	s_waitcnt vmcnt(1)
	v_cndmask_b32_e64 v28, 0, v28, s[4:5]
	s_waitcnt vmcnt(0)
	v_and_b32_e32 v29, 1, v29
	v_cmp_eq_u64_e64 s[4:5], 0, v[26:27]
	v_add_u32_e32 v38, v28, v38
	v_cndmask_b32_e64 v39, 1, v29, s[4:5]
.LBB1849_124:
	s_or_b64 exec, exec, s[6:7]
	s_mov_b32 s29, 1
	v_cmp_gt_u64_e64 s[4:5], s[28:29], v[2:3]
	v_cndmask_b32_e64 v26, 0, v38, s[4:5]
	v_add_u32_e32 v27, v26, v2
	v_cmp_gt_u64_e64 s[6:7], s[28:29], v[4:5]
	v_cndmask_b32_e64 v26, 0, v27, s[6:7]
	v_add_u32_e32 v42, v26, v4
	;; [unrolled: 3-line block ×7, first 2 shown]
	v_cmp_gt_u64_e64 s[18:19], s[28:29], v[16:17]
	v_mov_b32_e32 v28, 0
	v_cndmask_b32_e64 v26, 0, v45, s[18:19]
	v_or3_b32 v7, v23, v15, v7
	v_add_u32_e32 v34, v26, v16
	v_cmp_gt_u64_e64 s[20:21], s[28:29], v[18:19]
	v_or3_b32 v9, v25, v17, v9
	v_and_b32_e32 v55, 1, v7
	v_mov_b32_e32 v54, v28
	v_cndmask_b32_e64 v26, 0, v34, s[20:21]
	v_or3_b32 v3, v19, v11, v3
	v_and_b32_e32 v37, 1, v9
	v_mov_b32_e32 v36, v28
	v_cmp_ne_u64_e64 s[34:35], 0, v[54:55]
	v_add_u32_e32 v35, v26, v18
	v_cmp_gt_u64_e64 s[22:23], s[28:29], v[20:21]
	v_or3_b32 v5, v21, v13, v5
	v_and_b32_e32 v29, 1, v3
	v_cndmask_b32_e64 v3, 0, 1, s[34:35]
	v_cmp_ne_u64_e64 s[34:35], 0, v[36:37]
	v_cndmask_b32_e64 v26, 0, v35, s[22:23]
	v_and_b32_e32 v33, 1, v5
	v_mov_b32_e32 v32, v28
	v_cndmask_b32_e64 v5, 0, 1, s[34:35]
	v_add_u32_e32 v46, v26, v20
	v_cmp_gt_u64_e64 s[24:25], s[28:29], v[22:23]
	v_lshlrev_b16_e32 v3, 2, v3
	v_lshlrev_b16_e32 v5, 3, v5
	v_cmp_ne_u64_e64 s[34:35], 0, v[32:33]
	v_cndmask_b32_e64 v26, 0, v46, s[24:25]
	v_or_b32_e32 v3, v5, v3
	v_cndmask_b32_e64 v5, 0, 1, s[34:35]
	v_cmp_ne_u64_e64 s[34:35], 0, v[28:29]
	v_add_u32_e32 v47, v26, v22
	v_cmp_gt_u64_e64 s[26:27], s[28:29], v[24:25]
	v_lshlrev_b16_e32 v5, 1, v5
	v_cndmask_b32_e64 v7, 0, 1, s[34:35]
	v_cndmask_b32_e64 v26, 0, v47, s[26:27]
	v_or_b32_e32 v5, v7, v5
	v_add_u32_e32 v48, v26, v24
	v_cmp_gt_u64_e64 s[28:29], s[28:29], v[40:41]
	v_and_b32_e32 v5, 3, v5
	v_cndmask_b32_e64 v26, 0, v48, s[28:29]
	v_or_b32_e32 v3, v5, v3
	v_add_u32_e32 v49, v26, v40
	v_and_b32_e32 v26, 1, v41
	v_and_b32_e32 v3, 15, v3
	v_cmp_eq_u32_e64 s[30:31], 1, v26
	v_cmp_ne_u16_e64 s[34:35], 0, v3
	s_or_b64 s[30:31], s[30:31], s[34:35]
	v_cndmask_b32_e64 v5, v39, 1, s[30:31]
	v_mbcnt_hi_u32_b32 v3, -1, v52
	v_mov_b32_dpp v9, v49 row_shr:1 row_mask:0xf bank_mask:0xf
	v_mov_b32_dpp v11, v5 row_shr:1 row_mask:0xf bank_mask:0xf
	v_cmp_eq_u32_e64 s[30:31], 0, v5
	v_and_b32_e32 v13, 1, v5
	v_and_b32_e32 v7, 15, v3
	v_cndmask_b32_e64 v9, 0, v9, s[30:31]
	v_and_b32_e32 v11, 1, v11
	v_cmp_eq_u32_e64 s[30:31], 1, v13
	v_cndmask_b32_e64 v11, v11, 1, s[30:31]
	v_cmp_eq_u32_e64 s[30:31], 0, v7
	v_cndmask_b32_e64 v5, v11, v5, s[30:31]
	v_and_b32_e32 v15, 1, v5
	v_cmp_eq_u32_e64 s[34:35], 1, v15
	v_mov_b32_dpp v13, v5 row_shr:2 row_mask:0xf bank_mask:0xf
	v_and_b32_e32 v13, 1, v13
	v_cndmask_b32_e64 v13, v13, 1, s[34:35]
	v_cmp_lt_u32_e64 s[34:35], 1, v7
	v_cndmask_b32_e64 v9, v9, 0, s[30:31]
	v_cmp_eq_u32_e64 s[30:31], 0, v5
	v_cndmask_b32_e64 v5, v5, v13, s[34:35]
	v_add_u32_e32 v9, v49, v9
	v_and_b32_e32 v15, 1, v5
	v_mov_b32_dpp v13, v5 row_shr:4 row_mask:0xf bank_mask:0xf
	v_mov_b32_dpp v11, v9 row_shr:2 row_mask:0xf bank_mask:0xf
	s_and_b64 s[30:31], s[34:35], s[30:31]
	v_and_b32_e32 v13, 1, v13
	v_cmp_eq_u32_e64 s[34:35], 1, v15
	v_cndmask_b32_e64 v11, 0, v11, s[30:31]
	v_cndmask_b32_e64 v13, v13, 1, s[34:35]
	v_cmp_lt_u32_e64 s[34:35], 3, v7
	v_add_u32_e32 v9, v9, v11
	v_cmp_eq_u32_e64 s[30:31], 0, v5
	v_cndmask_b32_e64 v5, v5, v13, s[34:35]
	v_mov_b32_dpp v11, v9 row_shr:4 row_mask:0xf bank_mask:0xf
	s_and_b64 s[30:31], s[34:35], s[30:31]
	v_mov_b32_dpp v13, v5 row_shr:8 row_mask:0xf bank_mask:0xf
	v_and_b32_e32 v15, 1, v5
	v_cndmask_b32_e64 v11, 0, v11, s[30:31]
	v_and_b32_e32 v13, 1, v13
	v_cmp_eq_u32_e64 s[34:35], 1, v15
	v_add_u32_e32 v9, v9, v11
	v_cmp_eq_u32_e64 s[30:31], 0, v5
	v_cndmask_b32_e64 v13, v13, 1, s[34:35]
	v_cmp_lt_u32_e64 s[34:35], 7, v7
	v_mov_b32_dpp v11, v9 row_shr:8 row_mask:0xf bank_mask:0xf
	s_and_b64 s[30:31], s[34:35], s[30:31]
	v_cndmask_b32_e64 v7, 0, v11, s[30:31]
	v_cndmask_b32_e64 v5, v5, v13, s[34:35]
	v_add_u32_e32 v7, v9, v7
	v_cmp_eq_u32_e64 s[30:31], 0, v5
	v_mov_b32_dpp v11, v5 row_bcast:15 row_mask:0xf bank_mask:0xf
	v_mov_b32_dpp v9, v7 row_bcast:15 row_mask:0xf bank_mask:0xf
	v_and_b32_e32 v17, 1, v5
	v_and_b32_e32 v15, 16, v3
	v_cndmask_b32_e64 v9, 0, v9, s[30:31]
	v_and_b32_e32 v11, 1, v11
	v_cmp_eq_u32_e64 s[30:31], 1, v17
	v_bfe_i32 v13, v3, 4, 1
	v_cndmask_b32_e64 v11, v11, 1, s[30:31]
	v_cmp_eq_u32_e64 s[30:31], 0, v15
	v_and_b32_e32 v9, v13, v9
	v_cndmask_b32_e64 v5, v11, v5, s[30:31]
	v_add_u32_e32 v9, v7, v9
	v_and_b32_e32 v13, 1, v5
	v_mov_b32_dpp v7, v5 row_bcast:31 row_mask:0xf bank_mask:0xf
	v_and_b32_e32 v7, 1, v7
	v_cmp_eq_u32_e64 s[34:35], 1, v13
	v_cmp_eq_u32_e64 s[30:31], 0, v5
	v_cndmask_b32_e64 v7, v7, 1, s[34:35]
	v_cmp_lt_u32_e64 s[34:35], 31, v3
	v_mov_b32_dpp v11, v9 row_bcast:31 row_mask:0xf bank_mask:0xf
	s_and_b64 s[30:31], s[34:35], s[30:31]
	v_cndmask_b32_e64 v7, v5, v7, s[34:35]
	v_cndmask_b32_e64 v5, 0, v11, s[30:31]
	v_add_u32_e32 v5, v9, v5
	v_cmp_eq_u32_e64 s[30:31], v51, v0
	s_and_saveexec_b64 s[34:35], s[30:31]
	s_cbranch_execz .LBB1849_126
; %bb.125:
	v_lshlrev_b32_e32 v9, 3, v1
	ds_write_b32 v9, v5
	ds_write_b8 v9, v7 offset:4
.LBB1849_126:
	s_or_b64 exec, exec, s[34:35]
	v_cmp_gt_u32_e64 s[30:31], 4, v0
	s_waitcnt lgkmcnt(0)
	s_barrier
	s_and_saveexec_b64 s[34:35], s[30:31]
	s_cbranch_execz .LBB1849_130
; %bb.127:
	v_lshlrev_b32_e32 v9, 3, v0
	ds_read_b64 v[28:29], v9
	v_and_b32_e32 v11, 3, v3
	v_cmp_ne_u32_e64 s[30:31], 0, v11
	s_waitcnt lgkmcnt(0)
	v_mov_b32_dpp v13, v28 row_shr:1 row_mask:0xf bank_mask:0xf
	v_mov_b32_dpp v17, v29 row_shr:1 row_mask:0xf bank_mask:0xf
	v_mov_b32_e32 v15, v29
	s_and_saveexec_b64 s[40:41], s[30:31]
	s_cbranch_execz .LBB1849_129
; %bb.128:
	v_and_b32_e32 v15, 1, v29
	v_and_b32_e32 v17, 1, v17
	v_cmp_eq_u32_e64 s[30:31], 1, v15
	v_mov_b32_e32 v15, 0
	v_cndmask_b32_e64 v17, v17, 1, s[30:31]
	v_cmp_eq_u16_sdwa s[30:31], v29, v15 src0_sel:BYTE_0 src1_sel:DWORD
	v_cndmask_b32_e64 v13, 0, v13, s[30:31]
	v_add_u32_e32 v28, v13, v28
	v_and_b32_e32 v13, 0xffff, v17
	s_movk_i32 s30, 0xff00
	v_and_or_b32 v15, v29, s30, v13
	v_mov_b32_e32 v29, v17
.LBB1849_129:
	s_or_b64 exec, exec, s[40:41]
	v_mov_b32_dpp v15, v15 row_shr:2 row_mask:0xf bank_mask:0xf
	v_and_b32_e32 v17, 1, v29
	v_and_b32_e32 v15, 1, v15
	v_cmp_eq_u32_e64 s[30:31], 1, v17
	v_mov_b32_e32 v17, 0
	v_cndmask_b32_e64 v15, v15, 1, s[30:31]
	v_cmp_eq_u16_sdwa s[40:41], v29, v17 src0_sel:BYTE_0 src1_sel:DWORD
	v_cmp_lt_u32_e64 s[30:31], 1, v11
	v_mov_b32_dpp v13, v28 row_shr:2 row_mask:0xf bank_mask:0xf
	v_cndmask_b32_e64 v11, v29, v15, s[30:31]
	s_and_b64 s[30:31], s[30:31], s[40:41]
	v_cndmask_b32_e64 v13, 0, v13, s[30:31]
	v_add_u32_e32 v13, v13, v28
	ds_write_b32 v9, v13
	ds_write_b8 v9, v11 offset:4
.LBB1849_130:
	s_or_b64 exec, exec, s[34:35]
	v_cmp_lt_u32_e64 s[30:31], 63, v0
	v_mov_b32_e32 v9, 0
	s_waitcnt lgkmcnt(0)
	s_barrier
	s_and_saveexec_b64 s[34:35], s[30:31]
	s_cbranch_execz .LBB1849_132
; %bb.131:
	v_lshl_add_u32 v1, v1, 3, -8
	ds_read_b32 v9, v1
	v_cmp_eq_u32_e64 s[30:31], 0, v7
	s_waitcnt lgkmcnt(0)
	v_cndmask_b32_e64 v1, 0, v9, s[30:31]
	v_add_u32_e32 v5, v1, v5
.LBB1849_132:
	s_or_b64 exec, exec, s[34:35]
	v_add_u32_e32 v1, -1, v3
	v_and_b32_e32 v7, 64, v3
	v_cmp_lt_i32_e64 s[30:31], v1, v7
	v_cndmask_b32_e64 v1, v1, v3, s[30:31]
	v_lshlrev_b32_e32 v1, 2, v1
	ds_bpermute_b32 v1, v1, v5
	s_and_saveexec_b64 s[30:31], s[2:3]
	s_cbranch_execz .LBB1849_134
; %bb.133:
	v_and_b32_e32 v27, 0xff, v39
	v_mov_b32_e32 v26, 0
	v_cmp_eq_u32_e64 s[2:3], 0, v3
	s_waitcnt lgkmcnt(0)
	v_cndmask_b32_e64 v1, v1, v9, s[2:3]
	v_cmp_eq_u64_e64 s[2:3], 0, v[26:27]
	v_cndmask_b32_e64 v1, 0, v1, s[2:3]
	v_add_u32_e32 v38, v1, v38
	v_cndmask_b32_e64 v1, 0, v38, s[4:5]
	v_add_u32_e32 v27, v1, v2
	;; [unrolled: 2-line block ×14, first 2 shown]
	;;#ASMSTART
	;;#ASMEND
.LBB1849_134:
	s_or_b64 exec, exec, s[30:31]
	s_and_saveexec_b64 s[2:3], vcc
	s_cbranch_execz .LBB1849_136
; %bb.135:
	v_mov_b32_e32 v5, 0
	ds_read_b32 v2, v5 offset:24
	ds_read_u8 v3, v5 offset:28
	s_add_u32 s4, s52, 0x400
	s_addc_u32 s5, s53, 0
	v_mov_b32_e32 v4, 2
	v_pk_mov_b32 v[6:7], s[4:5], s[4:5] op_sel:[0,1]
	s_waitcnt lgkmcnt(0)
	;;#ASMSTART
	global_store_dwordx4 v[6:7], v[2:5] off	
s_waitcnt vmcnt(0)
	;;#ASMEND
.LBB1849_136:
	s_or_b64 exec, exec, s[2:3]
	v_mov_b32_e32 v26, v38
.LBB1849_137:
	s_add_u32 s2, s42, s38
	s_addc_u32 s3, s43, s39
	s_add_u32 s4, s2, s36
	s_waitcnt lgkmcnt(0)
	v_mul_u32_u24_e32 v1, 14, v0
	s_addc_u32 s5, s3, s37
	s_and_b64 vcc, exec, s[0:1]
	v_lshlrev_b32_e32 v2, 2, v1
	s_cbranch_vccz .LBB1849_165
; %bb.138:
	s_movk_i32 s0, 0xffcc
	v_mad_i32_i24 v3, v0, s0, v2
	s_barrier
	ds_write2_b64 v2, v[26:27], v[42:43] offset1:1
	ds_write2_b64 v2, v[30:31], v[44:45] offset0:2 offset1:3
	ds_write2_b64 v2, v[34:35], v[46:47] offset0:4 offset1:5
	ds_write_b64 v2, v[48:49] offset:48
	s_waitcnt lgkmcnt(0)
	s_barrier
	ds_read2st64_b32 v[16:17], v3 offset0:4 offset1:8
	ds_read2st64_b32 v[14:15], v3 offset0:12 offset1:16
	;; [unrolled: 1-line block ×6, first 2 shown]
	ds_read_b32 v3, v3 offset:13312
	v_mov_b32_e32 v7, s5
	v_add_co_u32_e32 v6, vcc, s4, v50
	s_add_i32 s33, s33, s54
	v_addc_co_u32_e32 v7, vcc, 0, v7, vcc
	v_mov_b32_e32 v1, 0
	v_cmp_gt_u32_e32 vcc, s33, v0
	s_and_saveexec_b64 s[0:1], vcc
	s_cbranch_execz .LBB1849_140
; %bb.139:
	v_mul_i32_i24_e32 v18, 0xffffffcc, v0
	v_add_u32_e32 v18, v2, v18
	ds_read_b32 v18, v18
	s_waitcnt lgkmcnt(0)
	flat_store_dword v[6:7], v18
.LBB1849_140:
	s_or_b64 exec, exec, s[0:1]
	v_or_b32_e32 v18, 0x100, v0
	v_cmp_gt_u32_e32 vcc, s33, v18
	s_and_saveexec_b64 s[0:1], vcc
	s_cbranch_execz .LBB1849_142
; %bb.141:
	s_waitcnt lgkmcnt(0)
	flat_store_dword v[6:7], v16 offset:1024
.LBB1849_142:
	s_or_b64 exec, exec, s[0:1]
	s_waitcnt lgkmcnt(0)
	v_or_b32_e32 v16, 0x200, v0
	v_cmp_gt_u32_e32 vcc, s33, v16
	s_and_saveexec_b64 s[0:1], vcc
	s_cbranch_execz .LBB1849_144
; %bb.143:
	flat_store_dword v[6:7], v17 offset:2048
.LBB1849_144:
	s_or_b64 exec, exec, s[0:1]
	v_or_b32_e32 v16, 0x300, v0
	v_cmp_gt_u32_e32 vcc, s33, v16
	s_and_saveexec_b64 s[0:1], vcc
	s_cbranch_execz .LBB1849_146
; %bb.145:
	flat_store_dword v[6:7], v14 offset:3072
.LBB1849_146:
	s_or_b64 exec, exec, s[0:1]
	v_or_b32_e32 v14, 0x400, v0
	v_cmp_gt_u32_e32 vcc, s33, v14
	s_and_saveexec_b64 s[0:1], vcc
	s_cbranch_execz .LBB1849_148
; %bb.147:
	v_add_co_u32_e32 v16, vcc, 0x1000, v6
	v_addc_co_u32_e32 v17, vcc, 0, v7, vcc
	flat_store_dword v[16:17], v15
.LBB1849_148:
	s_or_b64 exec, exec, s[0:1]
	v_or_b32_e32 v14, 0x500, v0
	v_cmp_gt_u32_e32 vcc, s33, v14
	s_and_saveexec_b64 s[0:1], vcc
	s_cbranch_execz .LBB1849_150
; %bb.149:
	v_add_co_u32_e32 v14, vcc, 0x1000, v6
	v_addc_co_u32_e32 v15, vcc, 0, v7, vcc
	flat_store_dword v[14:15], v12 offset:1024
.LBB1849_150:
	s_or_b64 exec, exec, s[0:1]
	v_or_b32_e32 v12, 0x600, v0
	v_cmp_gt_u32_e32 vcc, s33, v12
	s_and_saveexec_b64 s[0:1], vcc
	s_cbranch_execz .LBB1849_152
; %bb.151:
	v_add_co_u32_e32 v14, vcc, 0x1000, v6
	v_addc_co_u32_e32 v15, vcc, 0, v7, vcc
	flat_store_dword v[14:15], v13 offset:2048
.LBB1849_152:
	;; [unrolled: 10-line block ×3, first 2 shown]
	s_or_b64 exec, exec, s[0:1]
	v_or_b32_e32 v10, 0x800, v0
	v_cmp_gt_u32_e32 vcc, s33, v10
	s_and_saveexec_b64 s[0:1], vcc
	s_cbranch_execz .LBB1849_156
; %bb.155:
	v_add_co_u32_e32 v12, vcc, 0x2000, v6
	v_addc_co_u32_e32 v13, vcc, 0, v7, vcc
	flat_store_dword v[12:13], v11
.LBB1849_156:
	s_or_b64 exec, exec, s[0:1]
	v_or_b32_e32 v10, 0x900, v0
	v_cmp_gt_u32_e32 vcc, s33, v10
	s_and_saveexec_b64 s[0:1], vcc
	s_cbranch_execz .LBB1849_158
; %bb.157:
	v_add_co_u32_e32 v10, vcc, 0x2000, v6
	v_addc_co_u32_e32 v11, vcc, 0, v7, vcc
	flat_store_dword v[10:11], v8 offset:1024
.LBB1849_158:
	s_or_b64 exec, exec, s[0:1]
	v_or_b32_e32 v8, 0xa00, v0
	v_cmp_gt_u32_e32 vcc, s33, v8
	s_and_saveexec_b64 s[0:1], vcc
	s_cbranch_execz .LBB1849_160
; %bb.159:
	v_add_co_u32_e32 v10, vcc, 0x2000, v6
	v_addc_co_u32_e32 v11, vcc, 0, v7, vcc
	flat_store_dword v[10:11], v9 offset:2048
.LBB1849_160:
	;; [unrolled: 10-line block ×3, first 2 shown]
	s_or_b64 exec, exec, s[0:1]
	v_or_b32_e32 v4, 0xc00, v0
	v_cmp_gt_u32_e32 vcc, s33, v4
	s_and_saveexec_b64 s[0:1], vcc
	s_cbranch_execz .LBB1849_164
; %bb.163:
	v_add_co_u32_e32 v6, vcc, 0x3000, v6
	v_addc_co_u32_e32 v7, vcc, 0, v7, vcc
	flat_store_dword v[6:7], v5
.LBB1849_164:
	s_or_b64 exec, exec, s[0:1]
	v_or_b32_e32 v4, 0xd00, v0
	v_cmp_gt_u32_e64 s[0:1], s33, v4
	s_branch .LBB1849_167
.LBB1849_165:
	s_mov_b64 s[0:1], 0
                                        ; implicit-def: $vgpr3
	s_cbranch_execz .LBB1849_167
; %bb.166:
	s_movk_i32 s2, 0xffcc
	s_waitcnt lgkmcnt(0)
	s_barrier
	ds_write2_b64 v2, v[26:27], v[42:43] offset1:1
	ds_write2_b64 v2, v[30:31], v[44:45] offset0:2 offset1:3
	ds_write2_b64 v2, v[34:35], v[46:47] offset0:4 offset1:5
	ds_write_b64 v2, v[48:49] offset:48
	v_mad_i32_i24 v2, v0, s2, v2
	v_mov_b32_e32 v17, s5
	v_add_co_u32_e32 v16, vcc, s4, v50
	s_waitcnt lgkmcnt(0)
	s_barrier
	ds_read2st64_b32 v[4:5], v2 offset1:4
	ds_read2st64_b32 v[6:7], v2 offset0:8 offset1:12
	ds_read2st64_b32 v[8:9], v2 offset0:16 offset1:20
	;; [unrolled: 1-line block ×6, first 2 shown]
	v_addc_co_u32_e32 v17, vcc, 0, v17, vcc
	s_movk_i32 s2, 0x1000
	s_waitcnt lgkmcnt(0)
	flat_store_dword v[16:17], v4
	flat_store_dword v[16:17], v5 offset:1024
	flat_store_dword v[16:17], v6 offset:2048
	;; [unrolled: 1-line block ×3, first 2 shown]
	v_add_co_u32_e32 v4, vcc, s2, v16
	v_addc_co_u32_e32 v5, vcc, 0, v17, vcc
	flat_store_dword v[4:5], v8
	flat_store_dword v[4:5], v9 offset:1024
	flat_store_dword v[4:5], v10 offset:2048
	;; [unrolled: 1-line block ×3, first 2 shown]
	v_add_co_u32_e32 v4, vcc, 0x2000, v16
	v_addc_co_u32_e32 v5, vcc, 0, v17, vcc
	flat_store_dword v[4:5], v12
	flat_store_dword v[4:5], v13 offset:1024
	flat_store_dword v[4:5], v14 offset:2048
	;; [unrolled: 1-line block ×3, first 2 shown]
	v_add_co_u32_e32 v4, vcc, 0x3000, v16
	v_mov_b32_e32 v1, 0
	v_addc_co_u32_e32 v5, vcc, 0, v17, vcc
	s_or_b64 s[0:1], s[0:1], exec
	flat_store_dword v[4:5], v2
.LBB1849_167:
	s_and_saveexec_b64 s[2:3], s[0:1]
	s_cbranch_execnz .LBB1849_169
; %bb.168:
	s_endpgm
.LBB1849_169:
	v_lshlrev_b64 v[0:1], 2, v[0:1]
	v_mov_b32_e32 v2, s5
	v_add_co_u32_e32 v0, vcc, s4, v0
	v_addc_co_u32_e32 v1, vcc, v2, v1, vcc
	v_add_co_u32_e32 v0, vcc, 0x3000, v0
	v_addc_co_u32_e32 v1, vcc, 0, v1, vcc
	flat_store_dword v[0:1], v3 offset:1024
	s_endpgm
.LBB1849_170:
	v_mov_b32_e32 v13, s55
	v_add_co_u32_e32 v14, vcc, s7, v12
	v_addc_co_u32_e32 v15, vcc, 0, v13, vcc
	flat_load_dword v13, v[14:15]
	s_or_b64 exec, exec, s[44:45]
                                        ; implicit-def: $vgpr14
	s_and_saveexec_b64 s[2:3], s[4:5]
	s_cbranch_execz .LBB1849_37
.LBB1849_171:
	v_mov_b32_e32 v15, s55
	v_add_co_u32_e32 v14, vcc, s7, v12
	v_addc_co_u32_e32 v15, vcc, 0, v15, vcc
	flat_load_dword v14, v[14:15] offset:1024
	s_or_b64 exec, exec, s[2:3]
                                        ; implicit-def: $vgpr15
	s_and_saveexec_b64 s[2:3], s[30:31]
	s_cbranch_execz .LBB1849_38
.LBB1849_172:
	v_mov_b32_e32 v15, s55
	v_add_co_u32_e32 v16, vcc, s7, v12
	v_addc_co_u32_e32 v17, vcc, 0, v15, vcc
	flat_load_dword v15, v[16:17] offset:2048
	s_or_b64 exec, exec, s[2:3]
                                        ; implicit-def: $vgpr16
	s_and_saveexec_b64 s[2:3], s[8:9]
	s_cbranch_execz .LBB1849_39
.LBB1849_173:
	v_mov_b32_e32 v17, s55
	v_add_co_u32_e32 v16, vcc, s7, v12
	v_addc_co_u32_e32 v17, vcc, 0, v17, vcc
	flat_load_dword v16, v[16:17] offset:3072
	s_or_b64 exec, exec, s[2:3]
                                        ; implicit-def: $vgpr17
	s_and_saveexec_b64 s[2:3], s[10:11]
	s_cbranch_execz .LBB1849_40
.LBB1849_174:
	v_lshlrev_b32_e32 v2, 2, v2
	v_mov_b32_e32 v17, s55
	v_add_co_u32_e32 v18, vcc, s7, v2
	v_addc_co_u32_e32 v19, vcc, 0, v17, vcc
	flat_load_dword v17, v[18:19]
	s_or_b64 exec, exec, s[2:3]
                                        ; implicit-def: $vgpr2
	s_and_saveexec_b64 s[2:3], s[12:13]
	s_cbranch_execz .LBB1849_41
.LBB1849_175:
	v_lshlrev_b32_e32 v2, 2, v3
	v_mov_b32_e32 v3, s55
	v_add_co_u32_e32 v2, vcc, s7, v2
	v_addc_co_u32_e32 v3, vcc, 0, v3, vcc
	flat_load_dword v2, v[2:3]
	s_or_b64 exec, exec, s[2:3]
                                        ; implicit-def: $vgpr3
	s_and_saveexec_b64 s[2:3], s[14:15]
	s_cbranch_execz .LBB1849_42
.LBB1849_176:
	v_lshlrev_b32_e32 v3, 2, v4
	v_mov_b32_e32 v4, s55
	v_add_co_u32_e32 v18, vcc, s7, v3
	v_addc_co_u32_e32 v19, vcc, 0, v4, vcc
	flat_load_dword v3, v[18:19]
	s_or_b64 exec, exec, s[2:3]
                                        ; implicit-def: $vgpr4
	s_and_saveexec_b64 s[2:3], s[16:17]
	s_cbranch_execz .LBB1849_43
.LBB1849_177:
	v_lshlrev_b32_e32 v4, 2, v5
	v_mov_b32_e32 v5, s55
	v_add_co_u32_e32 v4, vcc, s7, v4
	v_addc_co_u32_e32 v5, vcc, 0, v5, vcc
	flat_load_dword v4, v[4:5]
	s_or_b64 exec, exec, s[2:3]
                                        ; implicit-def: $vgpr5
	s_and_saveexec_b64 s[2:3], s[18:19]
	s_cbranch_execz .LBB1849_44
.LBB1849_178:
	v_lshlrev_b32_e32 v5, 2, v6
	v_mov_b32_e32 v6, s55
	v_add_co_u32_e32 v18, vcc, s7, v5
	v_addc_co_u32_e32 v19, vcc, 0, v6, vcc
	flat_load_dword v5, v[18:19]
	s_or_b64 exec, exec, s[2:3]
                                        ; implicit-def: $vgpr6
	s_and_saveexec_b64 s[2:3], s[20:21]
	s_cbranch_execz .LBB1849_45
.LBB1849_179:
	v_lshlrev_b32_e32 v6, 2, v7
	v_mov_b32_e32 v7, s55
	v_add_co_u32_e32 v6, vcc, s7, v6
	v_addc_co_u32_e32 v7, vcc, 0, v7, vcc
	flat_load_dword v6, v[6:7]
	s_or_b64 exec, exec, s[2:3]
                                        ; implicit-def: $vgpr7
	s_and_saveexec_b64 s[2:3], s[22:23]
	s_cbranch_execz .LBB1849_46
.LBB1849_180:
	v_lshlrev_b32_e32 v7, 2, v8
	v_mov_b32_e32 v8, s55
	v_add_co_u32_e32 v18, vcc, s7, v7
	v_addc_co_u32_e32 v19, vcc, 0, v8, vcc
	flat_load_dword v7, v[18:19]
	s_or_b64 exec, exec, s[2:3]
                                        ; implicit-def: $vgpr8
	s_and_saveexec_b64 s[2:3], s[24:25]
	s_cbranch_execz .LBB1849_47
.LBB1849_181:
	v_lshlrev_b32_e32 v8, 2, v9
	v_mov_b32_e32 v9, s55
	v_add_co_u32_e32 v8, vcc, s7, v8
	v_addc_co_u32_e32 v9, vcc, 0, v9, vcc
	flat_load_dword v8, v[8:9]
	s_or_b64 exec, exec, s[2:3]
                                        ; implicit-def: $vgpr9
	s_and_saveexec_b64 s[2:3], s[26:27]
	s_cbranch_execz .LBB1849_48
.LBB1849_182:
	v_lshlrev_b32_e32 v9, 2, v10
	v_mov_b32_e32 v10, s55
	v_add_co_u32_e32 v18, vcc, s7, v9
	v_addc_co_u32_e32 v19, vcc, 0, v10, vcc
	flat_load_dword v9, v[18:19]
	s_or_b64 exec, exec, s[2:3]
                                        ; implicit-def: $vgpr10
	s_and_saveexec_b64 s[2:3], s[28:29]
	s_cbranch_execnz .LBB1849_49
	s_branch .LBB1849_50
.LBB1849_183:
                                        ; implicit-def: $sgpr44_sgpr45
	s_branch .LBB1849_32
.LBB1849_184:
                                        ; implicit-def: $sgpr2_sgpr3
	s_branch .LBB1849_81
	.section	.rodata,"a",@progbits
	.p2align	6, 0x0
	.amdhsa_kernel _ZN7rocprim17ROCPRIM_400000_NS6detail17trampoline_kernelINS0_14default_configENS1_27scan_by_key_config_selectorIjjEEZZNS1_16scan_by_key_implILNS1_25lookback_scan_determinismE0ELb0ES3_N6thrust23THRUST_200600_302600_NS6detail15normal_iteratorINS9_10device_ptrIjEEEESE_SE_jNS9_4plusIvEENS9_8equal_toIvEEjEE10hipError_tPvRmT2_T3_T4_T5_mT6_T7_P12ihipStream_tbENKUlT_T0_E_clISt17integral_constantIbLb1EESY_IbLb0EEEEDaSU_SV_EUlSU_E_NS1_11comp_targetILNS1_3genE4ELNS1_11target_archE910ELNS1_3gpuE8ELNS1_3repE0EEENS1_30default_config_static_selectorELNS0_4arch9wavefront6targetE1EEEvT1_
		.amdhsa_group_segment_fixed_size 16384
		.amdhsa_private_segment_fixed_size 0
		.amdhsa_kernarg_size 112
		.amdhsa_user_sgpr_count 6
		.amdhsa_user_sgpr_private_segment_buffer 1
		.amdhsa_user_sgpr_dispatch_ptr 0
		.amdhsa_user_sgpr_queue_ptr 0
		.amdhsa_user_sgpr_kernarg_segment_ptr 1
		.amdhsa_user_sgpr_dispatch_id 0
		.amdhsa_user_sgpr_flat_scratch_init 0
		.amdhsa_user_sgpr_kernarg_preload_length 0
		.amdhsa_user_sgpr_kernarg_preload_offset 0
		.amdhsa_user_sgpr_private_segment_size 0
		.amdhsa_uses_dynamic_stack 0
		.amdhsa_system_sgpr_private_segment_wavefront_offset 0
		.amdhsa_system_sgpr_workgroup_id_x 1
		.amdhsa_system_sgpr_workgroup_id_y 0
		.amdhsa_system_sgpr_workgroup_id_z 0
		.amdhsa_system_sgpr_workgroup_info 0
		.amdhsa_system_vgpr_workitem_id 0
		.amdhsa_next_free_vgpr 65
		.amdhsa_next_free_sgpr 61
		.amdhsa_accum_offset 68
		.amdhsa_reserve_vcc 1
		.amdhsa_reserve_flat_scratch 0
		.amdhsa_float_round_mode_32 0
		.amdhsa_float_round_mode_16_64 0
		.amdhsa_float_denorm_mode_32 3
		.amdhsa_float_denorm_mode_16_64 3
		.amdhsa_dx10_clamp 1
		.amdhsa_ieee_mode 1
		.amdhsa_fp16_overflow 0
		.amdhsa_tg_split 0
		.amdhsa_exception_fp_ieee_invalid_op 0
		.amdhsa_exception_fp_denorm_src 0
		.amdhsa_exception_fp_ieee_div_zero 0
		.amdhsa_exception_fp_ieee_overflow 0
		.amdhsa_exception_fp_ieee_underflow 0
		.amdhsa_exception_fp_ieee_inexact 0
		.amdhsa_exception_int_div_zero 0
	.end_amdhsa_kernel
	.section	.text._ZN7rocprim17ROCPRIM_400000_NS6detail17trampoline_kernelINS0_14default_configENS1_27scan_by_key_config_selectorIjjEEZZNS1_16scan_by_key_implILNS1_25lookback_scan_determinismE0ELb0ES3_N6thrust23THRUST_200600_302600_NS6detail15normal_iteratorINS9_10device_ptrIjEEEESE_SE_jNS9_4plusIvEENS9_8equal_toIvEEjEE10hipError_tPvRmT2_T3_T4_T5_mT6_T7_P12ihipStream_tbENKUlT_T0_E_clISt17integral_constantIbLb1EESY_IbLb0EEEEDaSU_SV_EUlSU_E_NS1_11comp_targetILNS1_3genE4ELNS1_11target_archE910ELNS1_3gpuE8ELNS1_3repE0EEENS1_30default_config_static_selectorELNS0_4arch9wavefront6targetE1EEEvT1_,"axG",@progbits,_ZN7rocprim17ROCPRIM_400000_NS6detail17trampoline_kernelINS0_14default_configENS1_27scan_by_key_config_selectorIjjEEZZNS1_16scan_by_key_implILNS1_25lookback_scan_determinismE0ELb0ES3_N6thrust23THRUST_200600_302600_NS6detail15normal_iteratorINS9_10device_ptrIjEEEESE_SE_jNS9_4plusIvEENS9_8equal_toIvEEjEE10hipError_tPvRmT2_T3_T4_T5_mT6_T7_P12ihipStream_tbENKUlT_T0_E_clISt17integral_constantIbLb1EESY_IbLb0EEEEDaSU_SV_EUlSU_E_NS1_11comp_targetILNS1_3genE4ELNS1_11target_archE910ELNS1_3gpuE8ELNS1_3repE0EEENS1_30default_config_static_selectorELNS0_4arch9wavefront6targetE1EEEvT1_,comdat
.Lfunc_end1849:
	.size	_ZN7rocprim17ROCPRIM_400000_NS6detail17trampoline_kernelINS0_14default_configENS1_27scan_by_key_config_selectorIjjEEZZNS1_16scan_by_key_implILNS1_25lookback_scan_determinismE0ELb0ES3_N6thrust23THRUST_200600_302600_NS6detail15normal_iteratorINS9_10device_ptrIjEEEESE_SE_jNS9_4plusIvEENS9_8equal_toIvEEjEE10hipError_tPvRmT2_T3_T4_T5_mT6_T7_P12ihipStream_tbENKUlT_T0_E_clISt17integral_constantIbLb1EESY_IbLb0EEEEDaSU_SV_EUlSU_E_NS1_11comp_targetILNS1_3genE4ELNS1_11target_archE910ELNS1_3gpuE8ELNS1_3repE0EEENS1_30default_config_static_selectorELNS0_4arch9wavefront6targetE1EEEvT1_, .Lfunc_end1849-_ZN7rocprim17ROCPRIM_400000_NS6detail17trampoline_kernelINS0_14default_configENS1_27scan_by_key_config_selectorIjjEEZZNS1_16scan_by_key_implILNS1_25lookback_scan_determinismE0ELb0ES3_N6thrust23THRUST_200600_302600_NS6detail15normal_iteratorINS9_10device_ptrIjEEEESE_SE_jNS9_4plusIvEENS9_8equal_toIvEEjEE10hipError_tPvRmT2_T3_T4_T5_mT6_T7_P12ihipStream_tbENKUlT_T0_E_clISt17integral_constantIbLb1EESY_IbLb0EEEEDaSU_SV_EUlSU_E_NS1_11comp_targetILNS1_3genE4ELNS1_11target_archE910ELNS1_3gpuE8ELNS1_3repE0EEENS1_30default_config_static_selectorELNS0_4arch9wavefront6targetE1EEEvT1_
                                        ; -- End function
	.section	.AMDGPU.csdata,"",@progbits
; Kernel info:
; codeLenInByte = 11028
; NumSgprs: 65
; NumVgprs: 65
; NumAgprs: 0
; TotalNumVgprs: 65
; ScratchSize: 0
; MemoryBound: 0
; FloatMode: 240
; IeeeMode: 1
; LDSByteSize: 16384 bytes/workgroup (compile time only)
; SGPRBlocks: 8
; VGPRBlocks: 8
; NumSGPRsForWavesPerEU: 65
; NumVGPRsForWavesPerEU: 65
; AccumOffset: 68
; Occupancy: 4
; WaveLimiterHint : 1
; COMPUTE_PGM_RSRC2:SCRATCH_EN: 0
; COMPUTE_PGM_RSRC2:USER_SGPR: 6
; COMPUTE_PGM_RSRC2:TRAP_HANDLER: 0
; COMPUTE_PGM_RSRC2:TGID_X_EN: 1
; COMPUTE_PGM_RSRC2:TGID_Y_EN: 0
; COMPUTE_PGM_RSRC2:TGID_Z_EN: 0
; COMPUTE_PGM_RSRC2:TIDIG_COMP_CNT: 0
; COMPUTE_PGM_RSRC3_GFX90A:ACCUM_OFFSET: 16
; COMPUTE_PGM_RSRC3_GFX90A:TG_SPLIT: 0
	.section	.text._ZN7rocprim17ROCPRIM_400000_NS6detail17trampoline_kernelINS0_14default_configENS1_27scan_by_key_config_selectorIjjEEZZNS1_16scan_by_key_implILNS1_25lookback_scan_determinismE0ELb0ES3_N6thrust23THRUST_200600_302600_NS6detail15normal_iteratorINS9_10device_ptrIjEEEESE_SE_jNS9_4plusIvEENS9_8equal_toIvEEjEE10hipError_tPvRmT2_T3_T4_T5_mT6_T7_P12ihipStream_tbENKUlT_T0_E_clISt17integral_constantIbLb1EESY_IbLb0EEEEDaSU_SV_EUlSU_E_NS1_11comp_targetILNS1_3genE3ELNS1_11target_archE908ELNS1_3gpuE7ELNS1_3repE0EEENS1_30default_config_static_selectorELNS0_4arch9wavefront6targetE1EEEvT1_,"axG",@progbits,_ZN7rocprim17ROCPRIM_400000_NS6detail17trampoline_kernelINS0_14default_configENS1_27scan_by_key_config_selectorIjjEEZZNS1_16scan_by_key_implILNS1_25lookback_scan_determinismE0ELb0ES3_N6thrust23THRUST_200600_302600_NS6detail15normal_iteratorINS9_10device_ptrIjEEEESE_SE_jNS9_4plusIvEENS9_8equal_toIvEEjEE10hipError_tPvRmT2_T3_T4_T5_mT6_T7_P12ihipStream_tbENKUlT_T0_E_clISt17integral_constantIbLb1EESY_IbLb0EEEEDaSU_SV_EUlSU_E_NS1_11comp_targetILNS1_3genE3ELNS1_11target_archE908ELNS1_3gpuE7ELNS1_3repE0EEENS1_30default_config_static_selectorELNS0_4arch9wavefront6targetE1EEEvT1_,comdat
	.protected	_ZN7rocprim17ROCPRIM_400000_NS6detail17trampoline_kernelINS0_14default_configENS1_27scan_by_key_config_selectorIjjEEZZNS1_16scan_by_key_implILNS1_25lookback_scan_determinismE0ELb0ES3_N6thrust23THRUST_200600_302600_NS6detail15normal_iteratorINS9_10device_ptrIjEEEESE_SE_jNS9_4plusIvEENS9_8equal_toIvEEjEE10hipError_tPvRmT2_T3_T4_T5_mT6_T7_P12ihipStream_tbENKUlT_T0_E_clISt17integral_constantIbLb1EESY_IbLb0EEEEDaSU_SV_EUlSU_E_NS1_11comp_targetILNS1_3genE3ELNS1_11target_archE908ELNS1_3gpuE7ELNS1_3repE0EEENS1_30default_config_static_selectorELNS0_4arch9wavefront6targetE1EEEvT1_ ; -- Begin function _ZN7rocprim17ROCPRIM_400000_NS6detail17trampoline_kernelINS0_14default_configENS1_27scan_by_key_config_selectorIjjEEZZNS1_16scan_by_key_implILNS1_25lookback_scan_determinismE0ELb0ES3_N6thrust23THRUST_200600_302600_NS6detail15normal_iteratorINS9_10device_ptrIjEEEESE_SE_jNS9_4plusIvEENS9_8equal_toIvEEjEE10hipError_tPvRmT2_T3_T4_T5_mT6_T7_P12ihipStream_tbENKUlT_T0_E_clISt17integral_constantIbLb1EESY_IbLb0EEEEDaSU_SV_EUlSU_E_NS1_11comp_targetILNS1_3genE3ELNS1_11target_archE908ELNS1_3gpuE7ELNS1_3repE0EEENS1_30default_config_static_selectorELNS0_4arch9wavefront6targetE1EEEvT1_
	.globl	_ZN7rocprim17ROCPRIM_400000_NS6detail17trampoline_kernelINS0_14default_configENS1_27scan_by_key_config_selectorIjjEEZZNS1_16scan_by_key_implILNS1_25lookback_scan_determinismE0ELb0ES3_N6thrust23THRUST_200600_302600_NS6detail15normal_iteratorINS9_10device_ptrIjEEEESE_SE_jNS9_4plusIvEENS9_8equal_toIvEEjEE10hipError_tPvRmT2_T3_T4_T5_mT6_T7_P12ihipStream_tbENKUlT_T0_E_clISt17integral_constantIbLb1EESY_IbLb0EEEEDaSU_SV_EUlSU_E_NS1_11comp_targetILNS1_3genE3ELNS1_11target_archE908ELNS1_3gpuE7ELNS1_3repE0EEENS1_30default_config_static_selectorELNS0_4arch9wavefront6targetE1EEEvT1_
	.p2align	8
	.type	_ZN7rocprim17ROCPRIM_400000_NS6detail17trampoline_kernelINS0_14default_configENS1_27scan_by_key_config_selectorIjjEEZZNS1_16scan_by_key_implILNS1_25lookback_scan_determinismE0ELb0ES3_N6thrust23THRUST_200600_302600_NS6detail15normal_iteratorINS9_10device_ptrIjEEEESE_SE_jNS9_4plusIvEENS9_8equal_toIvEEjEE10hipError_tPvRmT2_T3_T4_T5_mT6_T7_P12ihipStream_tbENKUlT_T0_E_clISt17integral_constantIbLb1EESY_IbLb0EEEEDaSU_SV_EUlSU_E_NS1_11comp_targetILNS1_3genE3ELNS1_11target_archE908ELNS1_3gpuE7ELNS1_3repE0EEENS1_30default_config_static_selectorELNS0_4arch9wavefront6targetE1EEEvT1_,@function
_ZN7rocprim17ROCPRIM_400000_NS6detail17trampoline_kernelINS0_14default_configENS1_27scan_by_key_config_selectorIjjEEZZNS1_16scan_by_key_implILNS1_25lookback_scan_determinismE0ELb0ES3_N6thrust23THRUST_200600_302600_NS6detail15normal_iteratorINS9_10device_ptrIjEEEESE_SE_jNS9_4plusIvEENS9_8equal_toIvEEjEE10hipError_tPvRmT2_T3_T4_T5_mT6_T7_P12ihipStream_tbENKUlT_T0_E_clISt17integral_constantIbLb1EESY_IbLb0EEEEDaSU_SV_EUlSU_E_NS1_11comp_targetILNS1_3genE3ELNS1_11target_archE908ELNS1_3gpuE7ELNS1_3repE0EEENS1_30default_config_static_selectorELNS0_4arch9wavefront6targetE1EEEvT1_: ; @_ZN7rocprim17ROCPRIM_400000_NS6detail17trampoline_kernelINS0_14default_configENS1_27scan_by_key_config_selectorIjjEEZZNS1_16scan_by_key_implILNS1_25lookback_scan_determinismE0ELb0ES3_N6thrust23THRUST_200600_302600_NS6detail15normal_iteratorINS9_10device_ptrIjEEEESE_SE_jNS9_4plusIvEENS9_8equal_toIvEEjEE10hipError_tPvRmT2_T3_T4_T5_mT6_T7_P12ihipStream_tbENKUlT_T0_E_clISt17integral_constantIbLb1EESY_IbLb0EEEEDaSU_SV_EUlSU_E_NS1_11comp_targetILNS1_3genE3ELNS1_11target_archE908ELNS1_3gpuE7ELNS1_3repE0EEENS1_30default_config_static_selectorELNS0_4arch9wavefront6targetE1EEEvT1_
; %bb.0:
	.section	.rodata,"a",@progbits
	.p2align	6, 0x0
	.amdhsa_kernel _ZN7rocprim17ROCPRIM_400000_NS6detail17trampoline_kernelINS0_14default_configENS1_27scan_by_key_config_selectorIjjEEZZNS1_16scan_by_key_implILNS1_25lookback_scan_determinismE0ELb0ES3_N6thrust23THRUST_200600_302600_NS6detail15normal_iteratorINS9_10device_ptrIjEEEESE_SE_jNS9_4plusIvEENS9_8equal_toIvEEjEE10hipError_tPvRmT2_T3_T4_T5_mT6_T7_P12ihipStream_tbENKUlT_T0_E_clISt17integral_constantIbLb1EESY_IbLb0EEEEDaSU_SV_EUlSU_E_NS1_11comp_targetILNS1_3genE3ELNS1_11target_archE908ELNS1_3gpuE7ELNS1_3repE0EEENS1_30default_config_static_selectorELNS0_4arch9wavefront6targetE1EEEvT1_
		.amdhsa_group_segment_fixed_size 0
		.amdhsa_private_segment_fixed_size 0
		.amdhsa_kernarg_size 112
		.amdhsa_user_sgpr_count 6
		.amdhsa_user_sgpr_private_segment_buffer 1
		.amdhsa_user_sgpr_dispatch_ptr 0
		.amdhsa_user_sgpr_queue_ptr 0
		.amdhsa_user_sgpr_kernarg_segment_ptr 1
		.amdhsa_user_sgpr_dispatch_id 0
		.amdhsa_user_sgpr_flat_scratch_init 0
		.amdhsa_user_sgpr_kernarg_preload_length 0
		.amdhsa_user_sgpr_kernarg_preload_offset 0
		.amdhsa_user_sgpr_private_segment_size 0
		.amdhsa_uses_dynamic_stack 0
		.amdhsa_system_sgpr_private_segment_wavefront_offset 0
		.amdhsa_system_sgpr_workgroup_id_x 1
		.amdhsa_system_sgpr_workgroup_id_y 0
		.amdhsa_system_sgpr_workgroup_id_z 0
		.amdhsa_system_sgpr_workgroup_info 0
		.amdhsa_system_vgpr_workitem_id 0
		.amdhsa_next_free_vgpr 1
		.amdhsa_next_free_sgpr 0
		.amdhsa_accum_offset 4
		.amdhsa_reserve_vcc 0
		.amdhsa_reserve_flat_scratch 0
		.amdhsa_float_round_mode_32 0
		.amdhsa_float_round_mode_16_64 0
		.amdhsa_float_denorm_mode_32 3
		.amdhsa_float_denorm_mode_16_64 3
		.amdhsa_dx10_clamp 1
		.amdhsa_ieee_mode 1
		.amdhsa_fp16_overflow 0
		.amdhsa_tg_split 0
		.amdhsa_exception_fp_ieee_invalid_op 0
		.amdhsa_exception_fp_denorm_src 0
		.amdhsa_exception_fp_ieee_div_zero 0
		.amdhsa_exception_fp_ieee_overflow 0
		.amdhsa_exception_fp_ieee_underflow 0
		.amdhsa_exception_fp_ieee_inexact 0
		.amdhsa_exception_int_div_zero 0
	.end_amdhsa_kernel
	.section	.text._ZN7rocprim17ROCPRIM_400000_NS6detail17trampoline_kernelINS0_14default_configENS1_27scan_by_key_config_selectorIjjEEZZNS1_16scan_by_key_implILNS1_25lookback_scan_determinismE0ELb0ES3_N6thrust23THRUST_200600_302600_NS6detail15normal_iteratorINS9_10device_ptrIjEEEESE_SE_jNS9_4plusIvEENS9_8equal_toIvEEjEE10hipError_tPvRmT2_T3_T4_T5_mT6_T7_P12ihipStream_tbENKUlT_T0_E_clISt17integral_constantIbLb1EESY_IbLb0EEEEDaSU_SV_EUlSU_E_NS1_11comp_targetILNS1_3genE3ELNS1_11target_archE908ELNS1_3gpuE7ELNS1_3repE0EEENS1_30default_config_static_selectorELNS0_4arch9wavefront6targetE1EEEvT1_,"axG",@progbits,_ZN7rocprim17ROCPRIM_400000_NS6detail17trampoline_kernelINS0_14default_configENS1_27scan_by_key_config_selectorIjjEEZZNS1_16scan_by_key_implILNS1_25lookback_scan_determinismE0ELb0ES3_N6thrust23THRUST_200600_302600_NS6detail15normal_iteratorINS9_10device_ptrIjEEEESE_SE_jNS9_4plusIvEENS9_8equal_toIvEEjEE10hipError_tPvRmT2_T3_T4_T5_mT6_T7_P12ihipStream_tbENKUlT_T0_E_clISt17integral_constantIbLb1EESY_IbLb0EEEEDaSU_SV_EUlSU_E_NS1_11comp_targetILNS1_3genE3ELNS1_11target_archE908ELNS1_3gpuE7ELNS1_3repE0EEENS1_30default_config_static_selectorELNS0_4arch9wavefront6targetE1EEEvT1_,comdat
.Lfunc_end1850:
	.size	_ZN7rocprim17ROCPRIM_400000_NS6detail17trampoline_kernelINS0_14default_configENS1_27scan_by_key_config_selectorIjjEEZZNS1_16scan_by_key_implILNS1_25lookback_scan_determinismE0ELb0ES3_N6thrust23THRUST_200600_302600_NS6detail15normal_iteratorINS9_10device_ptrIjEEEESE_SE_jNS9_4plusIvEENS9_8equal_toIvEEjEE10hipError_tPvRmT2_T3_T4_T5_mT6_T7_P12ihipStream_tbENKUlT_T0_E_clISt17integral_constantIbLb1EESY_IbLb0EEEEDaSU_SV_EUlSU_E_NS1_11comp_targetILNS1_3genE3ELNS1_11target_archE908ELNS1_3gpuE7ELNS1_3repE0EEENS1_30default_config_static_selectorELNS0_4arch9wavefront6targetE1EEEvT1_, .Lfunc_end1850-_ZN7rocprim17ROCPRIM_400000_NS6detail17trampoline_kernelINS0_14default_configENS1_27scan_by_key_config_selectorIjjEEZZNS1_16scan_by_key_implILNS1_25lookback_scan_determinismE0ELb0ES3_N6thrust23THRUST_200600_302600_NS6detail15normal_iteratorINS9_10device_ptrIjEEEESE_SE_jNS9_4plusIvEENS9_8equal_toIvEEjEE10hipError_tPvRmT2_T3_T4_T5_mT6_T7_P12ihipStream_tbENKUlT_T0_E_clISt17integral_constantIbLb1EESY_IbLb0EEEEDaSU_SV_EUlSU_E_NS1_11comp_targetILNS1_3genE3ELNS1_11target_archE908ELNS1_3gpuE7ELNS1_3repE0EEENS1_30default_config_static_selectorELNS0_4arch9wavefront6targetE1EEEvT1_
                                        ; -- End function
	.section	.AMDGPU.csdata,"",@progbits
; Kernel info:
; codeLenInByte = 0
; NumSgprs: 4
; NumVgprs: 0
; NumAgprs: 0
; TotalNumVgprs: 0
; ScratchSize: 0
; MemoryBound: 0
; FloatMode: 240
; IeeeMode: 1
; LDSByteSize: 0 bytes/workgroup (compile time only)
; SGPRBlocks: 0
; VGPRBlocks: 0
; NumSGPRsForWavesPerEU: 4
; NumVGPRsForWavesPerEU: 1
; AccumOffset: 4
; Occupancy: 8
; WaveLimiterHint : 0
; COMPUTE_PGM_RSRC2:SCRATCH_EN: 0
; COMPUTE_PGM_RSRC2:USER_SGPR: 6
; COMPUTE_PGM_RSRC2:TRAP_HANDLER: 0
; COMPUTE_PGM_RSRC2:TGID_X_EN: 1
; COMPUTE_PGM_RSRC2:TGID_Y_EN: 0
; COMPUTE_PGM_RSRC2:TGID_Z_EN: 0
; COMPUTE_PGM_RSRC2:TIDIG_COMP_CNT: 0
; COMPUTE_PGM_RSRC3_GFX90A:ACCUM_OFFSET: 0
; COMPUTE_PGM_RSRC3_GFX90A:TG_SPLIT: 0
	.section	.text._ZN7rocprim17ROCPRIM_400000_NS6detail17trampoline_kernelINS0_14default_configENS1_27scan_by_key_config_selectorIjjEEZZNS1_16scan_by_key_implILNS1_25lookback_scan_determinismE0ELb0ES3_N6thrust23THRUST_200600_302600_NS6detail15normal_iteratorINS9_10device_ptrIjEEEESE_SE_jNS9_4plusIvEENS9_8equal_toIvEEjEE10hipError_tPvRmT2_T3_T4_T5_mT6_T7_P12ihipStream_tbENKUlT_T0_E_clISt17integral_constantIbLb1EESY_IbLb0EEEEDaSU_SV_EUlSU_E_NS1_11comp_targetILNS1_3genE2ELNS1_11target_archE906ELNS1_3gpuE6ELNS1_3repE0EEENS1_30default_config_static_selectorELNS0_4arch9wavefront6targetE1EEEvT1_,"axG",@progbits,_ZN7rocprim17ROCPRIM_400000_NS6detail17trampoline_kernelINS0_14default_configENS1_27scan_by_key_config_selectorIjjEEZZNS1_16scan_by_key_implILNS1_25lookback_scan_determinismE0ELb0ES3_N6thrust23THRUST_200600_302600_NS6detail15normal_iteratorINS9_10device_ptrIjEEEESE_SE_jNS9_4plusIvEENS9_8equal_toIvEEjEE10hipError_tPvRmT2_T3_T4_T5_mT6_T7_P12ihipStream_tbENKUlT_T0_E_clISt17integral_constantIbLb1EESY_IbLb0EEEEDaSU_SV_EUlSU_E_NS1_11comp_targetILNS1_3genE2ELNS1_11target_archE906ELNS1_3gpuE6ELNS1_3repE0EEENS1_30default_config_static_selectorELNS0_4arch9wavefront6targetE1EEEvT1_,comdat
	.protected	_ZN7rocprim17ROCPRIM_400000_NS6detail17trampoline_kernelINS0_14default_configENS1_27scan_by_key_config_selectorIjjEEZZNS1_16scan_by_key_implILNS1_25lookback_scan_determinismE0ELb0ES3_N6thrust23THRUST_200600_302600_NS6detail15normal_iteratorINS9_10device_ptrIjEEEESE_SE_jNS9_4plusIvEENS9_8equal_toIvEEjEE10hipError_tPvRmT2_T3_T4_T5_mT6_T7_P12ihipStream_tbENKUlT_T0_E_clISt17integral_constantIbLb1EESY_IbLb0EEEEDaSU_SV_EUlSU_E_NS1_11comp_targetILNS1_3genE2ELNS1_11target_archE906ELNS1_3gpuE6ELNS1_3repE0EEENS1_30default_config_static_selectorELNS0_4arch9wavefront6targetE1EEEvT1_ ; -- Begin function _ZN7rocprim17ROCPRIM_400000_NS6detail17trampoline_kernelINS0_14default_configENS1_27scan_by_key_config_selectorIjjEEZZNS1_16scan_by_key_implILNS1_25lookback_scan_determinismE0ELb0ES3_N6thrust23THRUST_200600_302600_NS6detail15normal_iteratorINS9_10device_ptrIjEEEESE_SE_jNS9_4plusIvEENS9_8equal_toIvEEjEE10hipError_tPvRmT2_T3_T4_T5_mT6_T7_P12ihipStream_tbENKUlT_T0_E_clISt17integral_constantIbLb1EESY_IbLb0EEEEDaSU_SV_EUlSU_E_NS1_11comp_targetILNS1_3genE2ELNS1_11target_archE906ELNS1_3gpuE6ELNS1_3repE0EEENS1_30default_config_static_selectorELNS0_4arch9wavefront6targetE1EEEvT1_
	.globl	_ZN7rocprim17ROCPRIM_400000_NS6detail17trampoline_kernelINS0_14default_configENS1_27scan_by_key_config_selectorIjjEEZZNS1_16scan_by_key_implILNS1_25lookback_scan_determinismE0ELb0ES3_N6thrust23THRUST_200600_302600_NS6detail15normal_iteratorINS9_10device_ptrIjEEEESE_SE_jNS9_4plusIvEENS9_8equal_toIvEEjEE10hipError_tPvRmT2_T3_T4_T5_mT6_T7_P12ihipStream_tbENKUlT_T0_E_clISt17integral_constantIbLb1EESY_IbLb0EEEEDaSU_SV_EUlSU_E_NS1_11comp_targetILNS1_3genE2ELNS1_11target_archE906ELNS1_3gpuE6ELNS1_3repE0EEENS1_30default_config_static_selectorELNS0_4arch9wavefront6targetE1EEEvT1_
	.p2align	8
	.type	_ZN7rocprim17ROCPRIM_400000_NS6detail17trampoline_kernelINS0_14default_configENS1_27scan_by_key_config_selectorIjjEEZZNS1_16scan_by_key_implILNS1_25lookback_scan_determinismE0ELb0ES3_N6thrust23THRUST_200600_302600_NS6detail15normal_iteratorINS9_10device_ptrIjEEEESE_SE_jNS9_4plusIvEENS9_8equal_toIvEEjEE10hipError_tPvRmT2_T3_T4_T5_mT6_T7_P12ihipStream_tbENKUlT_T0_E_clISt17integral_constantIbLb1EESY_IbLb0EEEEDaSU_SV_EUlSU_E_NS1_11comp_targetILNS1_3genE2ELNS1_11target_archE906ELNS1_3gpuE6ELNS1_3repE0EEENS1_30default_config_static_selectorELNS0_4arch9wavefront6targetE1EEEvT1_,@function
_ZN7rocprim17ROCPRIM_400000_NS6detail17trampoline_kernelINS0_14default_configENS1_27scan_by_key_config_selectorIjjEEZZNS1_16scan_by_key_implILNS1_25lookback_scan_determinismE0ELb0ES3_N6thrust23THRUST_200600_302600_NS6detail15normal_iteratorINS9_10device_ptrIjEEEESE_SE_jNS9_4plusIvEENS9_8equal_toIvEEjEE10hipError_tPvRmT2_T3_T4_T5_mT6_T7_P12ihipStream_tbENKUlT_T0_E_clISt17integral_constantIbLb1EESY_IbLb0EEEEDaSU_SV_EUlSU_E_NS1_11comp_targetILNS1_3genE2ELNS1_11target_archE906ELNS1_3gpuE6ELNS1_3repE0EEENS1_30default_config_static_selectorELNS0_4arch9wavefront6targetE1EEEvT1_: ; @_ZN7rocprim17ROCPRIM_400000_NS6detail17trampoline_kernelINS0_14default_configENS1_27scan_by_key_config_selectorIjjEEZZNS1_16scan_by_key_implILNS1_25lookback_scan_determinismE0ELb0ES3_N6thrust23THRUST_200600_302600_NS6detail15normal_iteratorINS9_10device_ptrIjEEEESE_SE_jNS9_4plusIvEENS9_8equal_toIvEEjEE10hipError_tPvRmT2_T3_T4_T5_mT6_T7_P12ihipStream_tbENKUlT_T0_E_clISt17integral_constantIbLb1EESY_IbLb0EEEEDaSU_SV_EUlSU_E_NS1_11comp_targetILNS1_3genE2ELNS1_11target_archE906ELNS1_3gpuE6ELNS1_3repE0EEENS1_30default_config_static_selectorELNS0_4arch9wavefront6targetE1EEEvT1_
; %bb.0:
	.section	.rodata,"a",@progbits
	.p2align	6, 0x0
	.amdhsa_kernel _ZN7rocprim17ROCPRIM_400000_NS6detail17trampoline_kernelINS0_14default_configENS1_27scan_by_key_config_selectorIjjEEZZNS1_16scan_by_key_implILNS1_25lookback_scan_determinismE0ELb0ES3_N6thrust23THRUST_200600_302600_NS6detail15normal_iteratorINS9_10device_ptrIjEEEESE_SE_jNS9_4plusIvEENS9_8equal_toIvEEjEE10hipError_tPvRmT2_T3_T4_T5_mT6_T7_P12ihipStream_tbENKUlT_T0_E_clISt17integral_constantIbLb1EESY_IbLb0EEEEDaSU_SV_EUlSU_E_NS1_11comp_targetILNS1_3genE2ELNS1_11target_archE906ELNS1_3gpuE6ELNS1_3repE0EEENS1_30default_config_static_selectorELNS0_4arch9wavefront6targetE1EEEvT1_
		.amdhsa_group_segment_fixed_size 0
		.amdhsa_private_segment_fixed_size 0
		.amdhsa_kernarg_size 112
		.amdhsa_user_sgpr_count 6
		.amdhsa_user_sgpr_private_segment_buffer 1
		.amdhsa_user_sgpr_dispatch_ptr 0
		.amdhsa_user_sgpr_queue_ptr 0
		.amdhsa_user_sgpr_kernarg_segment_ptr 1
		.amdhsa_user_sgpr_dispatch_id 0
		.amdhsa_user_sgpr_flat_scratch_init 0
		.amdhsa_user_sgpr_kernarg_preload_length 0
		.amdhsa_user_sgpr_kernarg_preload_offset 0
		.amdhsa_user_sgpr_private_segment_size 0
		.amdhsa_uses_dynamic_stack 0
		.amdhsa_system_sgpr_private_segment_wavefront_offset 0
		.amdhsa_system_sgpr_workgroup_id_x 1
		.amdhsa_system_sgpr_workgroup_id_y 0
		.amdhsa_system_sgpr_workgroup_id_z 0
		.amdhsa_system_sgpr_workgroup_info 0
		.amdhsa_system_vgpr_workitem_id 0
		.amdhsa_next_free_vgpr 1
		.amdhsa_next_free_sgpr 0
		.amdhsa_accum_offset 4
		.amdhsa_reserve_vcc 0
		.amdhsa_reserve_flat_scratch 0
		.amdhsa_float_round_mode_32 0
		.amdhsa_float_round_mode_16_64 0
		.amdhsa_float_denorm_mode_32 3
		.amdhsa_float_denorm_mode_16_64 3
		.amdhsa_dx10_clamp 1
		.amdhsa_ieee_mode 1
		.amdhsa_fp16_overflow 0
		.amdhsa_tg_split 0
		.amdhsa_exception_fp_ieee_invalid_op 0
		.amdhsa_exception_fp_denorm_src 0
		.amdhsa_exception_fp_ieee_div_zero 0
		.amdhsa_exception_fp_ieee_overflow 0
		.amdhsa_exception_fp_ieee_underflow 0
		.amdhsa_exception_fp_ieee_inexact 0
		.amdhsa_exception_int_div_zero 0
	.end_amdhsa_kernel
	.section	.text._ZN7rocprim17ROCPRIM_400000_NS6detail17trampoline_kernelINS0_14default_configENS1_27scan_by_key_config_selectorIjjEEZZNS1_16scan_by_key_implILNS1_25lookback_scan_determinismE0ELb0ES3_N6thrust23THRUST_200600_302600_NS6detail15normal_iteratorINS9_10device_ptrIjEEEESE_SE_jNS9_4plusIvEENS9_8equal_toIvEEjEE10hipError_tPvRmT2_T3_T4_T5_mT6_T7_P12ihipStream_tbENKUlT_T0_E_clISt17integral_constantIbLb1EESY_IbLb0EEEEDaSU_SV_EUlSU_E_NS1_11comp_targetILNS1_3genE2ELNS1_11target_archE906ELNS1_3gpuE6ELNS1_3repE0EEENS1_30default_config_static_selectorELNS0_4arch9wavefront6targetE1EEEvT1_,"axG",@progbits,_ZN7rocprim17ROCPRIM_400000_NS6detail17trampoline_kernelINS0_14default_configENS1_27scan_by_key_config_selectorIjjEEZZNS1_16scan_by_key_implILNS1_25lookback_scan_determinismE0ELb0ES3_N6thrust23THRUST_200600_302600_NS6detail15normal_iteratorINS9_10device_ptrIjEEEESE_SE_jNS9_4plusIvEENS9_8equal_toIvEEjEE10hipError_tPvRmT2_T3_T4_T5_mT6_T7_P12ihipStream_tbENKUlT_T0_E_clISt17integral_constantIbLb1EESY_IbLb0EEEEDaSU_SV_EUlSU_E_NS1_11comp_targetILNS1_3genE2ELNS1_11target_archE906ELNS1_3gpuE6ELNS1_3repE0EEENS1_30default_config_static_selectorELNS0_4arch9wavefront6targetE1EEEvT1_,comdat
.Lfunc_end1851:
	.size	_ZN7rocprim17ROCPRIM_400000_NS6detail17trampoline_kernelINS0_14default_configENS1_27scan_by_key_config_selectorIjjEEZZNS1_16scan_by_key_implILNS1_25lookback_scan_determinismE0ELb0ES3_N6thrust23THRUST_200600_302600_NS6detail15normal_iteratorINS9_10device_ptrIjEEEESE_SE_jNS9_4plusIvEENS9_8equal_toIvEEjEE10hipError_tPvRmT2_T3_T4_T5_mT6_T7_P12ihipStream_tbENKUlT_T0_E_clISt17integral_constantIbLb1EESY_IbLb0EEEEDaSU_SV_EUlSU_E_NS1_11comp_targetILNS1_3genE2ELNS1_11target_archE906ELNS1_3gpuE6ELNS1_3repE0EEENS1_30default_config_static_selectorELNS0_4arch9wavefront6targetE1EEEvT1_, .Lfunc_end1851-_ZN7rocprim17ROCPRIM_400000_NS6detail17trampoline_kernelINS0_14default_configENS1_27scan_by_key_config_selectorIjjEEZZNS1_16scan_by_key_implILNS1_25lookback_scan_determinismE0ELb0ES3_N6thrust23THRUST_200600_302600_NS6detail15normal_iteratorINS9_10device_ptrIjEEEESE_SE_jNS9_4plusIvEENS9_8equal_toIvEEjEE10hipError_tPvRmT2_T3_T4_T5_mT6_T7_P12ihipStream_tbENKUlT_T0_E_clISt17integral_constantIbLb1EESY_IbLb0EEEEDaSU_SV_EUlSU_E_NS1_11comp_targetILNS1_3genE2ELNS1_11target_archE906ELNS1_3gpuE6ELNS1_3repE0EEENS1_30default_config_static_selectorELNS0_4arch9wavefront6targetE1EEEvT1_
                                        ; -- End function
	.section	.AMDGPU.csdata,"",@progbits
; Kernel info:
; codeLenInByte = 0
; NumSgprs: 4
; NumVgprs: 0
; NumAgprs: 0
; TotalNumVgprs: 0
; ScratchSize: 0
; MemoryBound: 0
; FloatMode: 240
; IeeeMode: 1
; LDSByteSize: 0 bytes/workgroup (compile time only)
; SGPRBlocks: 0
; VGPRBlocks: 0
; NumSGPRsForWavesPerEU: 4
; NumVGPRsForWavesPerEU: 1
; AccumOffset: 4
; Occupancy: 8
; WaveLimiterHint : 0
; COMPUTE_PGM_RSRC2:SCRATCH_EN: 0
; COMPUTE_PGM_RSRC2:USER_SGPR: 6
; COMPUTE_PGM_RSRC2:TRAP_HANDLER: 0
; COMPUTE_PGM_RSRC2:TGID_X_EN: 1
; COMPUTE_PGM_RSRC2:TGID_Y_EN: 0
; COMPUTE_PGM_RSRC2:TGID_Z_EN: 0
; COMPUTE_PGM_RSRC2:TIDIG_COMP_CNT: 0
; COMPUTE_PGM_RSRC3_GFX90A:ACCUM_OFFSET: 0
; COMPUTE_PGM_RSRC3_GFX90A:TG_SPLIT: 0
	.section	.text._ZN7rocprim17ROCPRIM_400000_NS6detail17trampoline_kernelINS0_14default_configENS1_27scan_by_key_config_selectorIjjEEZZNS1_16scan_by_key_implILNS1_25lookback_scan_determinismE0ELb0ES3_N6thrust23THRUST_200600_302600_NS6detail15normal_iteratorINS9_10device_ptrIjEEEESE_SE_jNS9_4plusIvEENS9_8equal_toIvEEjEE10hipError_tPvRmT2_T3_T4_T5_mT6_T7_P12ihipStream_tbENKUlT_T0_E_clISt17integral_constantIbLb1EESY_IbLb0EEEEDaSU_SV_EUlSU_E_NS1_11comp_targetILNS1_3genE10ELNS1_11target_archE1200ELNS1_3gpuE4ELNS1_3repE0EEENS1_30default_config_static_selectorELNS0_4arch9wavefront6targetE1EEEvT1_,"axG",@progbits,_ZN7rocprim17ROCPRIM_400000_NS6detail17trampoline_kernelINS0_14default_configENS1_27scan_by_key_config_selectorIjjEEZZNS1_16scan_by_key_implILNS1_25lookback_scan_determinismE0ELb0ES3_N6thrust23THRUST_200600_302600_NS6detail15normal_iteratorINS9_10device_ptrIjEEEESE_SE_jNS9_4plusIvEENS9_8equal_toIvEEjEE10hipError_tPvRmT2_T3_T4_T5_mT6_T7_P12ihipStream_tbENKUlT_T0_E_clISt17integral_constantIbLb1EESY_IbLb0EEEEDaSU_SV_EUlSU_E_NS1_11comp_targetILNS1_3genE10ELNS1_11target_archE1200ELNS1_3gpuE4ELNS1_3repE0EEENS1_30default_config_static_selectorELNS0_4arch9wavefront6targetE1EEEvT1_,comdat
	.protected	_ZN7rocprim17ROCPRIM_400000_NS6detail17trampoline_kernelINS0_14default_configENS1_27scan_by_key_config_selectorIjjEEZZNS1_16scan_by_key_implILNS1_25lookback_scan_determinismE0ELb0ES3_N6thrust23THRUST_200600_302600_NS6detail15normal_iteratorINS9_10device_ptrIjEEEESE_SE_jNS9_4plusIvEENS9_8equal_toIvEEjEE10hipError_tPvRmT2_T3_T4_T5_mT6_T7_P12ihipStream_tbENKUlT_T0_E_clISt17integral_constantIbLb1EESY_IbLb0EEEEDaSU_SV_EUlSU_E_NS1_11comp_targetILNS1_3genE10ELNS1_11target_archE1200ELNS1_3gpuE4ELNS1_3repE0EEENS1_30default_config_static_selectorELNS0_4arch9wavefront6targetE1EEEvT1_ ; -- Begin function _ZN7rocprim17ROCPRIM_400000_NS6detail17trampoline_kernelINS0_14default_configENS1_27scan_by_key_config_selectorIjjEEZZNS1_16scan_by_key_implILNS1_25lookback_scan_determinismE0ELb0ES3_N6thrust23THRUST_200600_302600_NS6detail15normal_iteratorINS9_10device_ptrIjEEEESE_SE_jNS9_4plusIvEENS9_8equal_toIvEEjEE10hipError_tPvRmT2_T3_T4_T5_mT6_T7_P12ihipStream_tbENKUlT_T0_E_clISt17integral_constantIbLb1EESY_IbLb0EEEEDaSU_SV_EUlSU_E_NS1_11comp_targetILNS1_3genE10ELNS1_11target_archE1200ELNS1_3gpuE4ELNS1_3repE0EEENS1_30default_config_static_selectorELNS0_4arch9wavefront6targetE1EEEvT1_
	.globl	_ZN7rocprim17ROCPRIM_400000_NS6detail17trampoline_kernelINS0_14default_configENS1_27scan_by_key_config_selectorIjjEEZZNS1_16scan_by_key_implILNS1_25lookback_scan_determinismE0ELb0ES3_N6thrust23THRUST_200600_302600_NS6detail15normal_iteratorINS9_10device_ptrIjEEEESE_SE_jNS9_4plusIvEENS9_8equal_toIvEEjEE10hipError_tPvRmT2_T3_T4_T5_mT6_T7_P12ihipStream_tbENKUlT_T0_E_clISt17integral_constantIbLb1EESY_IbLb0EEEEDaSU_SV_EUlSU_E_NS1_11comp_targetILNS1_3genE10ELNS1_11target_archE1200ELNS1_3gpuE4ELNS1_3repE0EEENS1_30default_config_static_selectorELNS0_4arch9wavefront6targetE1EEEvT1_
	.p2align	8
	.type	_ZN7rocprim17ROCPRIM_400000_NS6detail17trampoline_kernelINS0_14default_configENS1_27scan_by_key_config_selectorIjjEEZZNS1_16scan_by_key_implILNS1_25lookback_scan_determinismE0ELb0ES3_N6thrust23THRUST_200600_302600_NS6detail15normal_iteratorINS9_10device_ptrIjEEEESE_SE_jNS9_4plusIvEENS9_8equal_toIvEEjEE10hipError_tPvRmT2_T3_T4_T5_mT6_T7_P12ihipStream_tbENKUlT_T0_E_clISt17integral_constantIbLb1EESY_IbLb0EEEEDaSU_SV_EUlSU_E_NS1_11comp_targetILNS1_3genE10ELNS1_11target_archE1200ELNS1_3gpuE4ELNS1_3repE0EEENS1_30default_config_static_selectorELNS0_4arch9wavefront6targetE1EEEvT1_,@function
_ZN7rocprim17ROCPRIM_400000_NS6detail17trampoline_kernelINS0_14default_configENS1_27scan_by_key_config_selectorIjjEEZZNS1_16scan_by_key_implILNS1_25lookback_scan_determinismE0ELb0ES3_N6thrust23THRUST_200600_302600_NS6detail15normal_iteratorINS9_10device_ptrIjEEEESE_SE_jNS9_4plusIvEENS9_8equal_toIvEEjEE10hipError_tPvRmT2_T3_T4_T5_mT6_T7_P12ihipStream_tbENKUlT_T0_E_clISt17integral_constantIbLb1EESY_IbLb0EEEEDaSU_SV_EUlSU_E_NS1_11comp_targetILNS1_3genE10ELNS1_11target_archE1200ELNS1_3gpuE4ELNS1_3repE0EEENS1_30default_config_static_selectorELNS0_4arch9wavefront6targetE1EEEvT1_: ; @_ZN7rocprim17ROCPRIM_400000_NS6detail17trampoline_kernelINS0_14default_configENS1_27scan_by_key_config_selectorIjjEEZZNS1_16scan_by_key_implILNS1_25lookback_scan_determinismE0ELb0ES3_N6thrust23THRUST_200600_302600_NS6detail15normal_iteratorINS9_10device_ptrIjEEEESE_SE_jNS9_4plusIvEENS9_8equal_toIvEEjEE10hipError_tPvRmT2_T3_T4_T5_mT6_T7_P12ihipStream_tbENKUlT_T0_E_clISt17integral_constantIbLb1EESY_IbLb0EEEEDaSU_SV_EUlSU_E_NS1_11comp_targetILNS1_3genE10ELNS1_11target_archE1200ELNS1_3gpuE4ELNS1_3repE0EEENS1_30default_config_static_selectorELNS0_4arch9wavefront6targetE1EEEvT1_
; %bb.0:
	.section	.rodata,"a",@progbits
	.p2align	6, 0x0
	.amdhsa_kernel _ZN7rocprim17ROCPRIM_400000_NS6detail17trampoline_kernelINS0_14default_configENS1_27scan_by_key_config_selectorIjjEEZZNS1_16scan_by_key_implILNS1_25lookback_scan_determinismE0ELb0ES3_N6thrust23THRUST_200600_302600_NS6detail15normal_iteratorINS9_10device_ptrIjEEEESE_SE_jNS9_4plusIvEENS9_8equal_toIvEEjEE10hipError_tPvRmT2_T3_T4_T5_mT6_T7_P12ihipStream_tbENKUlT_T0_E_clISt17integral_constantIbLb1EESY_IbLb0EEEEDaSU_SV_EUlSU_E_NS1_11comp_targetILNS1_3genE10ELNS1_11target_archE1200ELNS1_3gpuE4ELNS1_3repE0EEENS1_30default_config_static_selectorELNS0_4arch9wavefront6targetE1EEEvT1_
		.amdhsa_group_segment_fixed_size 0
		.amdhsa_private_segment_fixed_size 0
		.amdhsa_kernarg_size 112
		.amdhsa_user_sgpr_count 6
		.amdhsa_user_sgpr_private_segment_buffer 1
		.amdhsa_user_sgpr_dispatch_ptr 0
		.amdhsa_user_sgpr_queue_ptr 0
		.amdhsa_user_sgpr_kernarg_segment_ptr 1
		.amdhsa_user_sgpr_dispatch_id 0
		.amdhsa_user_sgpr_flat_scratch_init 0
		.amdhsa_user_sgpr_kernarg_preload_length 0
		.amdhsa_user_sgpr_kernarg_preload_offset 0
		.amdhsa_user_sgpr_private_segment_size 0
		.amdhsa_uses_dynamic_stack 0
		.amdhsa_system_sgpr_private_segment_wavefront_offset 0
		.amdhsa_system_sgpr_workgroup_id_x 1
		.amdhsa_system_sgpr_workgroup_id_y 0
		.amdhsa_system_sgpr_workgroup_id_z 0
		.amdhsa_system_sgpr_workgroup_info 0
		.amdhsa_system_vgpr_workitem_id 0
		.amdhsa_next_free_vgpr 1
		.amdhsa_next_free_sgpr 0
		.amdhsa_accum_offset 4
		.amdhsa_reserve_vcc 0
		.amdhsa_reserve_flat_scratch 0
		.amdhsa_float_round_mode_32 0
		.amdhsa_float_round_mode_16_64 0
		.amdhsa_float_denorm_mode_32 3
		.amdhsa_float_denorm_mode_16_64 3
		.amdhsa_dx10_clamp 1
		.amdhsa_ieee_mode 1
		.amdhsa_fp16_overflow 0
		.amdhsa_tg_split 0
		.amdhsa_exception_fp_ieee_invalid_op 0
		.amdhsa_exception_fp_denorm_src 0
		.amdhsa_exception_fp_ieee_div_zero 0
		.amdhsa_exception_fp_ieee_overflow 0
		.amdhsa_exception_fp_ieee_underflow 0
		.amdhsa_exception_fp_ieee_inexact 0
		.amdhsa_exception_int_div_zero 0
	.end_amdhsa_kernel
	.section	.text._ZN7rocprim17ROCPRIM_400000_NS6detail17trampoline_kernelINS0_14default_configENS1_27scan_by_key_config_selectorIjjEEZZNS1_16scan_by_key_implILNS1_25lookback_scan_determinismE0ELb0ES3_N6thrust23THRUST_200600_302600_NS6detail15normal_iteratorINS9_10device_ptrIjEEEESE_SE_jNS9_4plusIvEENS9_8equal_toIvEEjEE10hipError_tPvRmT2_T3_T4_T5_mT6_T7_P12ihipStream_tbENKUlT_T0_E_clISt17integral_constantIbLb1EESY_IbLb0EEEEDaSU_SV_EUlSU_E_NS1_11comp_targetILNS1_3genE10ELNS1_11target_archE1200ELNS1_3gpuE4ELNS1_3repE0EEENS1_30default_config_static_selectorELNS0_4arch9wavefront6targetE1EEEvT1_,"axG",@progbits,_ZN7rocprim17ROCPRIM_400000_NS6detail17trampoline_kernelINS0_14default_configENS1_27scan_by_key_config_selectorIjjEEZZNS1_16scan_by_key_implILNS1_25lookback_scan_determinismE0ELb0ES3_N6thrust23THRUST_200600_302600_NS6detail15normal_iteratorINS9_10device_ptrIjEEEESE_SE_jNS9_4plusIvEENS9_8equal_toIvEEjEE10hipError_tPvRmT2_T3_T4_T5_mT6_T7_P12ihipStream_tbENKUlT_T0_E_clISt17integral_constantIbLb1EESY_IbLb0EEEEDaSU_SV_EUlSU_E_NS1_11comp_targetILNS1_3genE10ELNS1_11target_archE1200ELNS1_3gpuE4ELNS1_3repE0EEENS1_30default_config_static_selectorELNS0_4arch9wavefront6targetE1EEEvT1_,comdat
.Lfunc_end1852:
	.size	_ZN7rocprim17ROCPRIM_400000_NS6detail17trampoline_kernelINS0_14default_configENS1_27scan_by_key_config_selectorIjjEEZZNS1_16scan_by_key_implILNS1_25lookback_scan_determinismE0ELb0ES3_N6thrust23THRUST_200600_302600_NS6detail15normal_iteratorINS9_10device_ptrIjEEEESE_SE_jNS9_4plusIvEENS9_8equal_toIvEEjEE10hipError_tPvRmT2_T3_T4_T5_mT6_T7_P12ihipStream_tbENKUlT_T0_E_clISt17integral_constantIbLb1EESY_IbLb0EEEEDaSU_SV_EUlSU_E_NS1_11comp_targetILNS1_3genE10ELNS1_11target_archE1200ELNS1_3gpuE4ELNS1_3repE0EEENS1_30default_config_static_selectorELNS0_4arch9wavefront6targetE1EEEvT1_, .Lfunc_end1852-_ZN7rocprim17ROCPRIM_400000_NS6detail17trampoline_kernelINS0_14default_configENS1_27scan_by_key_config_selectorIjjEEZZNS1_16scan_by_key_implILNS1_25lookback_scan_determinismE0ELb0ES3_N6thrust23THRUST_200600_302600_NS6detail15normal_iteratorINS9_10device_ptrIjEEEESE_SE_jNS9_4plusIvEENS9_8equal_toIvEEjEE10hipError_tPvRmT2_T3_T4_T5_mT6_T7_P12ihipStream_tbENKUlT_T0_E_clISt17integral_constantIbLb1EESY_IbLb0EEEEDaSU_SV_EUlSU_E_NS1_11comp_targetILNS1_3genE10ELNS1_11target_archE1200ELNS1_3gpuE4ELNS1_3repE0EEENS1_30default_config_static_selectorELNS0_4arch9wavefront6targetE1EEEvT1_
                                        ; -- End function
	.section	.AMDGPU.csdata,"",@progbits
; Kernel info:
; codeLenInByte = 0
; NumSgprs: 4
; NumVgprs: 0
; NumAgprs: 0
; TotalNumVgprs: 0
; ScratchSize: 0
; MemoryBound: 0
; FloatMode: 240
; IeeeMode: 1
; LDSByteSize: 0 bytes/workgroup (compile time only)
; SGPRBlocks: 0
; VGPRBlocks: 0
; NumSGPRsForWavesPerEU: 4
; NumVGPRsForWavesPerEU: 1
; AccumOffset: 4
; Occupancy: 8
; WaveLimiterHint : 0
; COMPUTE_PGM_RSRC2:SCRATCH_EN: 0
; COMPUTE_PGM_RSRC2:USER_SGPR: 6
; COMPUTE_PGM_RSRC2:TRAP_HANDLER: 0
; COMPUTE_PGM_RSRC2:TGID_X_EN: 1
; COMPUTE_PGM_RSRC2:TGID_Y_EN: 0
; COMPUTE_PGM_RSRC2:TGID_Z_EN: 0
; COMPUTE_PGM_RSRC2:TIDIG_COMP_CNT: 0
; COMPUTE_PGM_RSRC3_GFX90A:ACCUM_OFFSET: 0
; COMPUTE_PGM_RSRC3_GFX90A:TG_SPLIT: 0
	.section	.text._ZN7rocprim17ROCPRIM_400000_NS6detail17trampoline_kernelINS0_14default_configENS1_27scan_by_key_config_selectorIjjEEZZNS1_16scan_by_key_implILNS1_25lookback_scan_determinismE0ELb0ES3_N6thrust23THRUST_200600_302600_NS6detail15normal_iteratorINS9_10device_ptrIjEEEESE_SE_jNS9_4plusIvEENS9_8equal_toIvEEjEE10hipError_tPvRmT2_T3_T4_T5_mT6_T7_P12ihipStream_tbENKUlT_T0_E_clISt17integral_constantIbLb1EESY_IbLb0EEEEDaSU_SV_EUlSU_E_NS1_11comp_targetILNS1_3genE9ELNS1_11target_archE1100ELNS1_3gpuE3ELNS1_3repE0EEENS1_30default_config_static_selectorELNS0_4arch9wavefront6targetE1EEEvT1_,"axG",@progbits,_ZN7rocprim17ROCPRIM_400000_NS6detail17trampoline_kernelINS0_14default_configENS1_27scan_by_key_config_selectorIjjEEZZNS1_16scan_by_key_implILNS1_25lookback_scan_determinismE0ELb0ES3_N6thrust23THRUST_200600_302600_NS6detail15normal_iteratorINS9_10device_ptrIjEEEESE_SE_jNS9_4plusIvEENS9_8equal_toIvEEjEE10hipError_tPvRmT2_T3_T4_T5_mT6_T7_P12ihipStream_tbENKUlT_T0_E_clISt17integral_constantIbLb1EESY_IbLb0EEEEDaSU_SV_EUlSU_E_NS1_11comp_targetILNS1_3genE9ELNS1_11target_archE1100ELNS1_3gpuE3ELNS1_3repE0EEENS1_30default_config_static_selectorELNS0_4arch9wavefront6targetE1EEEvT1_,comdat
	.protected	_ZN7rocprim17ROCPRIM_400000_NS6detail17trampoline_kernelINS0_14default_configENS1_27scan_by_key_config_selectorIjjEEZZNS1_16scan_by_key_implILNS1_25lookback_scan_determinismE0ELb0ES3_N6thrust23THRUST_200600_302600_NS6detail15normal_iteratorINS9_10device_ptrIjEEEESE_SE_jNS9_4plusIvEENS9_8equal_toIvEEjEE10hipError_tPvRmT2_T3_T4_T5_mT6_T7_P12ihipStream_tbENKUlT_T0_E_clISt17integral_constantIbLb1EESY_IbLb0EEEEDaSU_SV_EUlSU_E_NS1_11comp_targetILNS1_3genE9ELNS1_11target_archE1100ELNS1_3gpuE3ELNS1_3repE0EEENS1_30default_config_static_selectorELNS0_4arch9wavefront6targetE1EEEvT1_ ; -- Begin function _ZN7rocprim17ROCPRIM_400000_NS6detail17trampoline_kernelINS0_14default_configENS1_27scan_by_key_config_selectorIjjEEZZNS1_16scan_by_key_implILNS1_25lookback_scan_determinismE0ELb0ES3_N6thrust23THRUST_200600_302600_NS6detail15normal_iteratorINS9_10device_ptrIjEEEESE_SE_jNS9_4plusIvEENS9_8equal_toIvEEjEE10hipError_tPvRmT2_T3_T4_T5_mT6_T7_P12ihipStream_tbENKUlT_T0_E_clISt17integral_constantIbLb1EESY_IbLb0EEEEDaSU_SV_EUlSU_E_NS1_11comp_targetILNS1_3genE9ELNS1_11target_archE1100ELNS1_3gpuE3ELNS1_3repE0EEENS1_30default_config_static_selectorELNS0_4arch9wavefront6targetE1EEEvT1_
	.globl	_ZN7rocprim17ROCPRIM_400000_NS6detail17trampoline_kernelINS0_14default_configENS1_27scan_by_key_config_selectorIjjEEZZNS1_16scan_by_key_implILNS1_25lookback_scan_determinismE0ELb0ES3_N6thrust23THRUST_200600_302600_NS6detail15normal_iteratorINS9_10device_ptrIjEEEESE_SE_jNS9_4plusIvEENS9_8equal_toIvEEjEE10hipError_tPvRmT2_T3_T4_T5_mT6_T7_P12ihipStream_tbENKUlT_T0_E_clISt17integral_constantIbLb1EESY_IbLb0EEEEDaSU_SV_EUlSU_E_NS1_11comp_targetILNS1_3genE9ELNS1_11target_archE1100ELNS1_3gpuE3ELNS1_3repE0EEENS1_30default_config_static_selectorELNS0_4arch9wavefront6targetE1EEEvT1_
	.p2align	8
	.type	_ZN7rocprim17ROCPRIM_400000_NS6detail17trampoline_kernelINS0_14default_configENS1_27scan_by_key_config_selectorIjjEEZZNS1_16scan_by_key_implILNS1_25lookback_scan_determinismE0ELb0ES3_N6thrust23THRUST_200600_302600_NS6detail15normal_iteratorINS9_10device_ptrIjEEEESE_SE_jNS9_4plusIvEENS9_8equal_toIvEEjEE10hipError_tPvRmT2_T3_T4_T5_mT6_T7_P12ihipStream_tbENKUlT_T0_E_clISt17integral_constantIbLb1EESY_IbLb0EEEEDaSU_SV_EUlSU_E_NS1_11comp_targetILNS1_3genE9ELNS1_11target_archE1100ELNS1_3gpuE3ELNS1_3repE0EEENS1_30default_config_static_selectorELNS0_4arch9wavefront6targetE1EEEvT1_,@function
_ZN7rocprim17ROCPRIM_400000_NS6detail17trampoline_kernelINS0_14default_configENS1_27scan_by_key_config_selectorIjjEEZZNS1_16scan_by_key_implILNS1_25lookback_scan_determinismE0ELb0ES3_N6thrust23THRUST_200600_302600_NS6detail15normal_iteratorINS9_10device_ptrIjEEEESE_SE_jNS9_4plusIvEENS9_8equal_toIvEEjEE10hipError_tPvRmT2_T3_T4_T5_mT6_T7_P12ihipStream_tbENKUlT_T0_E_clISt17integral_constantIbLb1EESY_IbLb0EEEEDaSU_SV_EUlSU_E_NS1_11comp_targetILNS1_3genE9ELNS1_11target_archE1100ELNS1_3gpuE3ELNS1_3repE0EEENS1_30default_config_static_selectorELNS0_4arch9wavefront6targetE1EEEvT1_: ; @_ZN7rocprim17ROCPRIM_400000_NS6detail17trampoline_kernelINS0_14default_configENS1_27scan_by_key_config_selectorIjjEEZZNS1_16scan_by_key_implILNS1_25lookback_scan_determinismE0ELb0ES3_N6thrust23THRUST_200600_302600_NS6detail15normal_iteratorINS9_10device_ptrIjEEEESE_SE_jNS9_4plusIvEENS9_8equal_toIvEEjEE10hipError_tPvRmT2_T3_T4_T5_mT6_T7_P12ihipStream_tbENKUlT_T0_E_clISt17integral_constantIbLb1EESY_IbLb0EEEEDaSU_SV_EUlSU_E_NS1_11comp_targetILNS1_3genE9ELNS1_11target_archE1100ELNS1_3gpuE3ELNS1_3repE0EEENS1_30default_config_static_selectorELNS0_4arch9wavefront6targetE1EEEvT1_
; %bb.0:
	.section	.rodata,"a",@progbits
	.p2align	6, 0x0
	.amdhsa_kernel _ZN7rocprim17ROCPRIM_400000_NS6detail17trampoline_kernelINS0_14default_configENS1_27scan_by_key_config_selectorIjjEEZZNS1_16scan_by_key_implILNS1_25lookback_scan_determinismE0ELb0ES3_N6thrust23THRUST_200600_302600_NS6detail15normal_iteratorINS9_10device_ptrIjEEEESE_SE_jNS9_4plusIvEENS9_8equal_toIvEEjEE10hipError_tPvRmT2_T3_T4_T5_mT6_T7_P12ihipStream_tbENKUlT_T0_E_clISt17integral_constantIbLb1EESY_IbLb0EEEEDaSU_SV_EUlSU_E_NS1_11comp_targetILNS1_3genE9ELNS1_11target_archE1100ELNS1_3gpuE3ELNS1_3repE0EEENS1_30default_config_static_selectorELNS0_4arch9wavefront6targetE1EEEvT1_
		.amdhsa_group_segment_fixed_size 0
		.amdhsa_private_segment_fixed_size 0
		.amdhsa_kernarg_size 112
		.amdhsa_user_sgpr_count 6
		.amdhsa_user_sgpr_private_segment_buffer 1
		.amdhsa_user_sgpr_dispatch_ptr 0
		.amdhsa_user_sgpr_queue_ptr 0
		.amdhsa_user_sgpr_kernarg_segment_ptr 1
		.amdhsa_user_sgpr_dispatch_id 0
		.amdhsa_user_sgpr_flat_scratch_init 0
		.amdhsa_user_sgpr_kernarg_preload_length 0
		.amdhsa_user_sgpr_kernarg_preload_offset 0
		.amdhsa_user_sgpr_private_segment_size 0
		.amdhsa_uses_dynamic_stack 0
		.amdhsa_system_sgpr_private_segment_wavefront_offset 0
		.amdhsa_system_sgpr_workgroup_id_x 1
		.amdhsa_system_sgpr_workgroup_id_y 0
		.amdhsa_system_sgpr_workgroup_id_z 0
		.amdhsa_system_sgpr_workgroup_info 0
		.amdhsa_system_vgpr_workitem_id 0
		.amdhsa_next_free_vgpr 1
		.amdhsa_next_free_sgpr 0
		.amdhsa_accum_offset 4
		.amdhsa_reserve_vcc 0
		.amdhsa_reserve_flat_scratch 0
		.amdhsa_float_round_mode_32 0
		.amdhsa_float_round_mode_16_64 0
		.amdhsa_float_denorm_mode_32 3
		.amdhsa_float_denorm_mode_16_64 3
		.amdhsa_dx10_clamp 1
		.amdhsa_ieee_mode 1
		.amdhsa_fp16_overflow 0
		.amdhsa_tg_split 0
		.amdhsa_exception_fp_ieee_invalid_op 0
		.amdhsa_exception_fp_denorm_src 0
		.amdhsa_exception_fp_ieee_div_zero 0
		.amdhsa_exception_fp_ieee_overflow 0
		.amdhsa_exception_fp_ieee_underflow 0
		.amdhsa_exception_fp_ieee_inexact 0
		.amdhsa_exception_int_div_zero 0
	.end_amdhsa_kernel
	.section	.text._ZN7rocprim17ROCPRIM_400000_NS6detail17trampoline_kernelINS0_14default_configENS1_27scan_by_key_config_selectorIjjEEZZNS1_16scan_by_key_implILNS1_25lookback_scan_determinismE0ELb0ES3_N6thrust23THRUST_200600_302600_NS6detail15normal_iteratorINS9_10device_ptrIjEEEESE_SE_jNS9_4plusIvEENS9_8equal_toIvEEjEE10hipError_tPvRmT2_T3_T4_T5_mT6_T7_P12ihipStream_tbENKUlT_T0_E_clISt17integral_constantIbLb1EESY_IbLb0EEEEDaSU_SV_EUlSU_E_NS1_11comp_targetILNS1_3genE9ELNS1_11target_archE1100ELNS1_3gpuE3ELNS1_3repE0EEENS1_30default_config_static_selectorELNS0_4arch9wavefront6targetE1EEEvT1_,"axG",@progbits,_ZN7rocprim17ROCPRIM_400000_NS6detail17trampoline_kernelINS0_14default_configENS1_27scan_by_key_config_selectorIjjEEZZNS1_16scan_by_key_implILNS1_25lookback_scan_determinismE0ELb0ES3_N6thrust23THRUST_200600_302600_NS6detail15normal_iteratorINS9_10device_ptrIjEEEESE_SE_jNS9_4plusIvEENS9_8equal_toIvEEjEE10hipError_tPvRmT2_T3_T4_T5_mT6_T7_P12ihipStream_tbENKUlT_T0_E_clISt17integral_constantIbLb1EESY_IbLb0EEEEDaSU_SV_EUlSU_E_NS1_11comp_targetILNS1_3genE9ELNS1_11target_archE1100ELNS1_3gpuE3ELNS1_3repE0EEENS1_30default_config_static_selectorELNS0_4arch9wavefront6targetE1EEEvT1_,comdat
.Lfunc_end1853:
	.size	_ZN7rocprim17ROCPRIM_400000_NS6detail17trampoline_kernelINS0_14default_configENS1_27scan_by_key_config_selectorIjjEEZZNS1_16scan_by_key_implILNS1_25lookback_scan_determinismE0ELb0ES3_N6thrust23THRUST_200600_302600_NS6detail15normal_iteratorINS9_10device_ptrIjEEEESE_SE_jNS9_4plusIvEENS9_8equal_toIvEEjEE10hipError_tPvRmT2_T3_T4_T5_mT6_T7_P12ihipStream_tbENKUlT_T0_E_clISt17integral_constantIbLb1EESY_IbLb0EEEEDaSU_SV_EUlSU_E_NS1_11comp_targetILNS1_3genE9ELNS1_11target_archE1100ELNS1_3gpuE3ELNS1_3repE0EEENS1_30default_config_static_selectorELNS0_4arch9wavefront6targetE1EEEvT1_, .Lfunc_end1853-_ZN7rocprim17ROCPRIM_400000_NS6detail17trampoline_kernelINS0_14default_configENS1_27scan_by_key_config_selectorIjjEEZZNS1_16scan_by_key_implILNS1_25lookback_scan_determinismE0ELb0ES3_N6thrust23THRUST_200600_302600_NS6detail15normal_iteratorINS9_10device_ptrIjEEEESE_SE_jNS9_4plusIvEENS9_8equal_toIvEEjEE10hipError_tPvRmT2_T3_T4_T5_mT6_T7_P12ihipStream_tbENKUlT_T0_E_clISt17integral_constantIbLb1EESY_IbLb0EEEEDaSU_SV_EUlSU_E_NS1_11comp_targetILNS1_3genE9ELNS1_11target_archE1100ELNS1_3gpuE3ELNS1_3repE0EEENS1_30default_config_static_selectorELNS0_4arch9wavefront6targetE1EEEvT1_
                                        ; -- End function
	.section	.AMDGPU.csdata,"",@progbits
; Kernel info:
; codeLenInByte = 0
; NumSgprs: 4
; NumVgprs: 0
; NumAgprs: 0
; TotalNumVgprs: 0
; ScratchSize: 0
; MemoryBound: 0
; FloatMode: 240
; IeeeMode: 1
; LDSByteSize: 0 bytes/workgroup (compile time only)
; SGPRBlocks: 0
; VGPRBlocks: 0
; NumSGPRsForWavesPerEU: 4
; NumVGPRsForWavesPerEU: 1
; AccumOffset: 4
; Occupancy: 8
; WaveLimiterHint : 0
; COMPUTE_PGM_RSRC2:SCRATCH_EN: 0
; COMPUTE_PGM_RSRC2:USER_SGPR: 6
; COMPUTE_PGM_RSRC2:TRAP_HANDLER: 0
; COMPUTE_PGM_RSRC2:TGID_X_EN: 1
; COMPUTE_PGM_RSRC2:TGID_Y_EN: 0
; COMPUTE_PGM_RSRC2:TGID_Z_EN: 0
; COMPUTE_PGM_RSRC2:TIDIG_COMP_CNT: 0
; COMPUTE_PGM_RSRC3_GFX90A:ACCUM_OFFSET: 0
; COMPUTE_PGM_RSRC3_GFX90A:TG_SPLIT: 0
	.section	.text._ZN7rocprim17ROCPRIM_400000_NS6detail17trampoline_kernelINS0_14default_configENS1_27scan_by_key_config_selectorIjjEEZZNS1_16scan_by_key_implILNS1_25lookback_scan_determinismE0ELb0ES3_N6thrust23THRUST_200600_302600_NS6detail15normal_iteratorINS9_10device_ptrIjEEEESE_SE_jNS9_4plusIvEENS9_8equal_toIvEEjEE10hipError_tPvRmT2_T3_T4_T5_mT6_T7_P12ihipStream_tbENKUlT_T0_E_clISt17integral_constantIbLb1EESY_IbLb0EEEEDaSU_SV_EUlSU_E_NS1_11comp_targetILNS1_3genE8ELNS1_11target_archE1030ELNS1_3gpuE2ELNS1_3repE0EEENS1_30default_config_static_selectorELNS0_4arch9wavefront6targetE1EEEvT1_,"axG",@progbits,_ZN7rocprim17ROCPRIM_400000_NS6detail17trampoline_kernelINS0_14default_configENS1_27scan_by_key_config_selectorIjjEEZZNS1_16scan_by_key_implILNS1_25lookback_scan_determinismE0ELb0ES3_N6thrust23THRUST_200600_302600_NS6detail15normal_iteratorINS9_10device_ptrIjEEEESE_SE_jNS9_4plusIvEENS9_8equal_toIvEEjEE10hipError_tPvRmT2_T3_T4_T5_mT6_T7_P12ihipStream_tbENKUlT_T0_E_clISt17integral_constantIbLb1EESY_IbLb0EEEEDaSU_SV_EUlSU_E_NS1_11comp_targetILNS1_3genE8ELNS1_11target_archE1030ELNS1_3gpuE2ELNS1_3repE0EEENS1_30default_config_static_selectorELNS0_4arch9wavefront6targetE1EEEvT1_,comdat
	.protected	_ZN7rocprim17ROCPRIM_400000_NS6detail17trampoline_kernelINS0_14default_configENS1_27scan_by_key_config_selectorIjjEEZZNS1_16scan_by_key_implILNS1_25lookback_scan_determinismE0ELb0ES3_N6thrust23THRUST_200600_302600_NS6detail15normal_iteratorINS9_10device_ptrIjEEEESE_SE_jNS9_4plusIvEENS9_8equal_toIvEEjEE10hipError_tPvRmT2_T3_T4_T5_mT6_T7_P12ihipStream_tbENKUlT_T0_E_clISt17integral_constantIbLb1EESY_IbLb0EEEEDaSU_SV_EUlSU_E_NS1_11comp_targetILNS1_3genE8ELNS1_11target_archE1030ELNS1_3gpuE2ELNS1_3repE0EEENS1_30default_config_static_selectorELNS0_4arch9wavefront6targetE1EEEvT1_ ; -- Begin function _ZN7rocprim17ROCPRIM_400000_NS6detail17trampoline_kernelINS0_14default_configENS1_27scan_by_key_config_selectorIjjEEZZNS1_16scan_by_key_implILNS1_25lookback_scan_determinismE0ELb0ES3_N6thrust23THRUST_200600_302600_NS6detail15normal_iteratorINS9_10device_ptrIjEEEESE_SE_jNS9_4plusIvEENS9_8equal_toIvEEjEE10hipError_tPvRmT2_T3_T4_T5_mT6_T7_P12ihipStream_tbENKUlT_T0_E_clISt17integral_constantIbLb1EESY_IbLb0EEEEDaSU_SV_EUlSU_E_NS1_11comp_targetILNS1_3genE8ELNS1_11target_archE1030ELNS1_3gpuE2ELNS1_3repE0EEENS1_30default_config_static_selectorELNS0_4arch9wavefront6targetE1EEEvT1_
	.globl	_ZN7rocprim17ROCPRIM_400000_NS6detail17trampoline_kernelINS0_14default_configENS1_27scan_by_key_config_selectorIjjEEZZNS1_16scan_by_key_implILNS1_25lookback_scan_determinismE0ELb0ES3_N6thrust23THRUST_200600_302600_NS6detail15normal_iteratorINS9_10device_ptrIjEEEESE_SE_jNS9_4plusIvEENS9_8equal_toIvEEjEE10hipError_tPvRmT2_T3_T4_T5_mT6_T7_P12ihipStream_tbENKUlT_T0_E_clISt17integral_constantIbLb1EESY_IbLb0EEEEDaSU_SV_EUlSU_E_NS1_11comp_targetILNS1_3genE8ELNS1_11target_archE1030ELNS1_3gpuE2ELNS1_3repE0EEENS1_30default_config_static_selectorELNS0_4arch9wavefront6targetE1EEEvT1_
	.p2align	8
	.type	_ZN7rocprim17ROCPRIM_400000_NS6detail17trampoline_kernelINS0_14default_configENS1_27scan_by_key_config_selectorIjjEEZZNS1_16scan_by_key_implILNS1_25lookback_scan_determinismE0ELb0ES3_N6thrust23THRUST_200600_302600_NS6detail15normal_iteratorINS9_10device_ptrIjEEEESE_SE_jNS9_4plusIvEENS9_8equal_toIvEEjEE10hipError_tPvRmT2_T3_T4_T5_mT6_T7_P12ihipStream_tbENKUlT_T0_E_clISt17integral_constantIbLb1EESY_IbLb0EEEEDaSU_SV_EUlSU_E_NS1_11comp_targetILNS1_3genE8ELNS1_11target_archE1030ELNS1_3gpuE2ELNS1_3repE0EEENS1_30default_config_static_selectorELNS0_4arch9wavefront6targetE1EEEvT1_,@function
_ZN7rocprim17ROCPRIM_400000_NS6detail17trampoline_kernelINS0_14default_configENS1_27scan_by_key_config_selectorIjjEEZZNS1_16scan_by_key_implILNS1_25lookback_scan_determinismE0ELb0ES3_N6thrust23THRUST_200600_302600_NS6detail15normal_iteratorINS9_10device_ptrIjEEEESE_SE_jNS9_4plusIvEENS9_8equal_toIvEEjEE10hipError_tPvRmT2_T3_T4_T5_mT6_T7_P12ihipStream_tbENKUlT_T0_E_clISt17integral_constantIbLb1EESY_IbLb0EEEEDaSU_SV_EUlSU_E_NS1_11comp_targetILNS1_3genE8ELNS1_11target_archE1030ELNS1_3gpuE2ELNS1_3repE0EEENS1_30default_config_static_selectorELNS0_4arch9wavefront6targetE1EEEvT1_: ; @_ZN7rocprim17ROCPRIM_400000_NS6detail17trampoline_kernelINS0_14default_configENS1_27scan_by_key_config_selectorIjjEEZZNS1_16scan_by_key_implILNS1_25lookback_scan_determinismE0ELb0ES3_N6thrust23THRUST_200600_302600_NS6detail15normal_iteratorINS9_10device_ptrIjEEEESE_SE_jNS9_4plusIvEENS9_8equal_toIvEEjEE10hipError_tPvRmT2_T3_T4_T5_mT6_T7_P12ihipStream_tbENKUlT_T0_E_clISt17integral_constantIbLb1EESY_IbLb0EEEEDaSU_SV_EUlSU_E_NS1_11comp_targetILNS1_3genE8ELNS1_11target_archE1030ELNS1_3gpuE2ELNS1_3repE0EEENS1_30default_config_static_selectorELNS0_4arch9wavefront6targetE1EEEvT1_
; %bb.0:
	.section	.rodata,"a",@progbits
	.p2align	6, 0x0
	.amdhsa_kernel _ZN7rocprim17ROCPRIM_400000_NS6detail17trampoline_kernelINS0_14default_configENS1_27scan_by_key_config_selectorIjjEEZZNS1_16scan_by_key_implILNS1_25lookback_scan_determinismE0ELb0ES3_N6thrust23THRUST_200600_302600_NS6detail15normal_iteratorINS9_10device_ptrIjEEEESE_SE_jNS9_4plusIvEENS9_8equal_toIvEEjEE10hipError_tPvRmT2_T3_T4_T5_mT6_T7_P12ihipStream_tbENKUlT_T0_E_clISt17integral_constantIbLb1EESY_IbLb0EEEEDaSU_SV_EUlSU_E_NS1_11comp_targetILNS1_3genE8ELNS1_11target_archE1030ELNS1_3gpuE2ELNS1_3repE0EEENS1_30default_config_static_selectorELNS0_4arch9wavefront6targetE1EEEvT1_
		.amdhsa_group_segment_fixed_size 0
		.amdhsa_private_segment_fixed_size 0
		.amdhsa_kernarg_size 112
		.amdhsa_user_sgpr_count 6
		.amdhsa_user_sgpr_private_segment_buffer 1
		.amdhsa_user_sgpr_dispatch_ptr 0
		.amdhsa_user_sgpr_queue_ptr 0
		.amdhsa_user_sgpr_kernarg_segment_ptr 1
		.amdhsa_user_sgpr_dispatch_id 0
		.amdhsa_user_sgpr_flat_scratch_init 0
		.amdhsa_user_sgpr_kernarg_preload_length 0
		.amdhsa_user_sgpr_kernarg_preload_offset 0
		.amdhsa_user_sgpr_private_segment_size 0
		.amdhsa_uses_dynamic_stack 0
		.amdhsa_system_sgpr_private_segment_wavefront_offset 0
		.amdhsa_system_sgpr_workgroup_id_x 1
		.amdhsa_system_sgpr_workgroup_id_y 0
		.amdhsa_system_sgpr_workgroup_id_z 0
		.amdhsa_system_sgpr_workgroup_info 0
		.amdhsa_system_vgpr_workitem_id 0
		.amdhsa_next_free_vgpr 1
		.amdhsa_next_free_sgpr 0
		.amdhsa_accum_offset 4
		.amdhsa_reserve_vcc 0
		.amdhsa_reserve_flat_scratch 0
		.amdhsa_float_round_mode_32 0
		.amdhsa_float_round_mode_16_64 0
		.amdhsa_float_denorm_mode_32 3
		.amdhsa_float_denorm_mode_16_64 3
		.amdhsa_dx10_clamp 1
		.amdhsa_ieee_mode 1
		.amdhsa_fp16_overflow 0
		.amdhsa_tg_split 0
		.amdhsa_exception_fp_ieee_invalid_op 0
		.amdhsa_exception_fp_denorm_src 0
		.amdhsa_exception_fp_ieee_div_zero 0
		.amdhsa_exception_fp_ieee_overflow 0
		.amdhsa_exception_fp_ieee_underflow 0
		.amdhsa_exception_fp_ieee_inexact 0
		.amdhsa_exception_int_div_zero 0
	.end_amdhsa_kernel
	.section	.text._ZN7rocprim17ROCPRIM_400000_NS6detail17trampoline_kernelINS0_14default_configENS1_27scan_by_key_config_selectorIjjEEZZNS1_16scan_by_key_implILNS1_25lookback_scan_determinismE0ELb0ES3_N6thrust23THRUST_200600_302600_NS6detail15normal_iteratorINS9_10device_ptrIjEEEESE_SE_jNS9_4plusIvEENS9_8equal_toIvEEjEE10hipError_tPvRmT2_T3_T4_T5_mT6_T7_P12ihipStream_tbENKUlT_T0_E_clISt17integral_constantIbLb1EESY_IbLb0EEEEDaSU_SV_EUlSU_E_NS1_11comp_targetILNS1_3genE8ELNS1_11target_archE1030ELNS1_3gpuE2ELNS1_3repE0EEENS1_30default_config_static_selectorELNS0_4arch9wavefront6targetE1EEEvT1_,"axG",@progbits,_ZN7rocprim17ROCPRIM_400000_NS6detail17trampoline_kernelINS0_14default_configENS1_27scan_by_key_config_selectorIjjEEZZNS1_16scan_by_key_implILNS1_25lookback_scan_determinismE0ELb0ES3_N6thrust23THRUST_200600_302600_NS6detail15normal_iteratorINS9_10device_ptrIjEEEESE_SE_jNS9_4plusIvEENS9_8equal_toIvEEjEE10hipError_tPvRmT2_T3_T4_T5_mT6_T7_P12ihipStream_tbENKUlT_T0_E_clISt17integral_constantIbLb1EESY_IbLb0EEEEDaSU_SV_EUlSU_E_NS1_11comp_targetILNS1_3genE8ELNS1_11target_archE1030ELNS1_3gpuE2ELNS1_3repE0EEENS1_30default_config_static_selectorELNS0_4arch9wavefront6targetE1EEEvT1_,comdat
.Lfunc_end1854:
	.size	_ZN7rocprim17ROCPRIM_400000_NS6detail17trampoline_kernelINS0_14default_configENS1_27scan_by_key_config_selectorIjjEEZZNS1_16scan_by_key_implILNS1_25lookback_scan_determinismE0ELb0ES3_N6thrust23THRUST_200600_302600_NS6detail15normal_iteratorINS9_10device_ptrIjEEEESE_SE_jNS9_4plusIvEENS9_8equal_toIvEEjEE10hipError_tPvRmT2_T3_T4_T5_mT6_T7_P12ihipStream_tbENKUlT_T0_E_clISt17integral_constantIbLb1EESY_IbLb0EEEEDaSU_SV_EUlSU_E_NS1_11comp_targetILNS1_3genE8ELNS1_11target_archE1030ELNS1_3gpuE2ELNS1_3repE0EEENS1_30default_config_static_selectorELNS0_4arch9wavefront6targetE1EEEvT1_, .Lfunc_end1854-_ZN7rocprim17ROCPRIM_400000_NS6detail17trampoline_kernelINS0_14default_configENS1_27scan_by_key_config_selectorIjjEEZZNS1_16scan_by_key_implILNS1_25lookback_scan_determinismE0ELb0ES3_N6thrust23THRUST_200600_302600_NS6detail15normal_iteratorINS9_10device_ptrIjEEEESE_SE_jNS9_4plusIvEENS9_8equal_toIvEEjEE10hipError_tPvRmT2_T3_T4_T5_mT6_T7_P12ihipStream_tbENKUlT_T0_E_clISt17integral_constantIbLb1EESY_IbLb0EEEEDaSU_SV_EUlSU_E_NS1_11comp_targetILNS1_3genE8ELNS1_11target_archE1030ELNS1_3gpuE2ELNS1_3repE0EEENS1_30default_config_static_selectorELNS0_4arch9wavefront6targetE1EEEvT1_
                                        ; -- End function
	.section	.AMDGPU.csdata,"",@progbits
; Kernel info:
; codeLenInByte = 0
; NumSgprs: 4
; NumVgprs: 0
; NumAgprs: 0
; TotalNumVgprs: 0
; ScratchSize: 0
; MemoryBound: 0
; FloatMode: 240
; IeeeMode: 1
; LDSByteSize: 0 bytes/workgroup (compile time only)
; SGPRBlocks: 0
; VGPRBlocks: 0
; NumSGPRsForWavesPerEU: 4
; NumVGPRsForWavesPerEU: 1
; AccumOffset: 4
; Occupancy: 8
; WaveLimiterHint : 0
; COMPUTE_PGM_RSRC2:SCRATCH_EN: 0
; COMPUTE_PGM_RSRC2:USER_SGPR: 6
; COMPUTE_PGM_RSRC2:TRAP_HANDLER: 0
; COMPUTE_PGM_RSRC2:TGID_X_EN: 1
; COMPUTE_PGM_RSRC2:TGID_Y_EN: 0
; COMPUTE_PGM_RSRC2:TGID_Z_EN: 0
; COMPUTE_PGM_RSRC2:TIDIG_COMP_CNT: 0
; COMPUTE_PGM_RSRC3_GFX90A:ACCUM_OFFSET: 0
; COMPUTE_PGM_RSRC3_GFX90A:TG_SPLIT: 0
	.section	.text._ZN7rocprim17ROCPRIM_400000_NS6detail30init_device_scan_by_key_kernelINS1_19lookback_scan_stateINS0_5tupleIJjbEEELb0ELb1EEEN6thrust23THRUST_200600_302600_NS6detail15normal_iteratorINS8_10device_ptrIjEEEEjNS1_16block_id_wrapperIjLb1EEEEEvT_jjPNSG_10value_typeET0_PNSt15iterator_traitsISJ_E10value_typeEmT1_T2_,"axG",@progbits,_ZN7rocprim17ROCPRIM_400000_NS6detail30init_device_scan_by_key_kernelINS1_19lookback_scan_stateINS0_5tupleIJjbEEELb0ELb1EEEN6thrust23THRUST_200600_302600_NS6detail15normal_iteratorINS8_10device_ptrIjEEEEjNS1_16block_id_wrapperIjLb1EEEEEvT_jjPNSG_10value_typeET0_PNSt15iterator_traitsISJ_E10value_typeEmT1_T2_,comdat
	.protected	_ZN7rocprim17ROCPRIM_400000_NS6detail30init_device_scan_by_key_kernelINS1_19lookback_scan_stateINS0_5tupleIJjbEEELb0ELb1EEEN6thrust23THRUST_200600_302600_NS6detail15normal_iteratorINS8_10device_ptrIjEEEEjNS1_16block_id_wrapperIjLb1EEEEEvT_jjPNSG_10value_typeET0_PNSt15iterator_traitsISJ_E10value_typeEmT1_T2_ ; -- Begin function _ZN7rocprim17ROCPRIM_400000_NS6detail30init_device_scan_by_key_kernelINS1_19lookback_scan_stateINS0_5tupleIJjbEEELb0ELb1EEEN6thrust23THRUST_200600_302600_NS6detail15normal_iteratorINS8_10device_ptrIjEEEEjNS1_16block_id_wrapperIjLb1EEEEEvT_jjPNSG_10value_typeET0_PNSt15iterator_traitsISJ_E10value_typeEmT1_T2_
	.globl	_ZN7rocprim17ROCPRIM_400000_NS6detail30init_device_scan_by_key_kernelINS1_19lookback_scan_stateINS0_5tupleIJjbEEELb0ELb1EEEN6thrust23THRUST_200600_302600_NS6detail15normal_iteratorINS8_10device_ptrIjEEEEjNS1_16block_id_wrapperIjLb1EEEEEvT_jjPNSG_10value_typeET0_PNSt15iterator_traitsISJ_E10value_typeEmT1_T2_
	.p2align	8
	.type	_ZN7rocprim17ROCPRIM_400000_NS6detail30init_device_scan_by_key_kernelINS1_19lookback_scan_stateINS0_5tupleIJjbEEELb0ELb1EEEN6thrust23THRUST_200600_302600_NS6detail15normal_iteratorINS8_10device_ptrIjEEEEjNS1_16block_id_wrapperIjLb1EEEEEvT_jjPNSG_10value_typeET0_PNSt15iterator_traitsISJ_E10value_typeEmT1_T2_,@function
_ZN7rocprim17ROCPRIM_400000_NS6detail30init_device_scan_by_key_kernelINS1_19lookback_scan_stateINS0_5tupleIJjbEEELb0ELb1EEEN6thrust23THRUST_200600_302600_NS6detail15normal_iteratorINS8_10device_ptrIjEEEEjNS1_16block_id_wrapperIjLb1EEEEEvT_jjPNSG_10value_typeET0_PNSt15iterator_traitsISJ_E10value_typeEmT1_T2_: ; @_ZN7rocprim17ROCPRIM_400000_NS6detail30init_device_scan_by_key_kernelINS1_19lookback_scan_stateINS0_5tupleIJjbEEELb0ELb1EEEN6thrust23THRUST_200600_302600_NS6detail15normal_iteratorINS8_10device_ptrIjEEEEjNS1_16block_id_wrapperIjLb1EEEEEvT_jjPNSG_10value_typeET0_PNSt15iterator_traitsISJ_E10value_typeEmT1_T2_
; %bb.0:
	s_load_dword s0, s[4:5], 0x4c
	s_load_dwordx8 s[8:15], s[4:5], 0x0
	s_load_dword s18, s[4:5], 0x40
	s_waitcnt lgkmcnt(0)
	s_and_b32 s19, s0, 0xffff
	s_mul_i32 s6, s6, s19
	s_cmp_eq_u64 s[12:13], 0
	v_add_u32_e32 v4, s6, v0
	s_cbranch_scc1 .LBB1855_8
; %bb.1:
	s_cmp_lt_u32 s11, s10
	s_cselect_b32 s0, s11, 0
	s_mov_b32 s3, 0
	v_cmp_eq_u32_e32 vcc, s0, v4
	s_and_saveexec_b64 s[0:1], vcc
	s_cbranch_execz .LBB1855_7
; %bb.2:
	s_add_i32 s2, s11, 64
	s_lshl_b64 s[2:3], s[2:3], 4
	s_add_u32 s16, s8, s2
	s_addc_u32 s17, s9, s3
	v_pk_mov_b32 v[0:1], s[16:17], s[16:17] op_sel:[0,1]
	;;#ASMSTART
	global_load_dwordx4 v[0:3], v[0:1] off glc	
s_waitcnt vmcnt(0)
	;;#ASMEND
	v_mov_b32_e32 v7, 0
	v_and_b32_e32 v6, 0xff, v2
	s_mov_b64 s[6:7], 0
	v_cmp_eq_u64_e32 vcc, 0, v[6:7]
	s_and_saveexec_b64 s[2:3], vcc
	s_cbranch_execz .LBB1855_6
; %bb.3:
	v_pk_mov_b32 v[8:9], s[16:17], s[16:17] op_sel:[0,1]
.LBB1855_4:                             ; =>This Inner Loop Header: Depth=1
	;;#ASMSTART
	global_load_dwordx4 v[0:3], v[8:9] off glc	
s_waitcnt vmcnt(0)
	;;#ASMEND
	v_and_b32_e32 v6, 0xff, v2
	v_cmp_ne_u64_e32 vcc, 0, v[6:7]
	s_or_b64 s[6:7], vcc, s[6:7]
	s_andn2_b64 exec, exec, s[6:7]
	s_cbranch_execnz .LBB1855_4
; %bb.5:
	s_or_b64 exec, exec, s[6:7]
.LBB1855_6:
	s_or_b64 exec, exec, s[2:3]
	v_mov_b32_e32 v2, 0
	global_store_dword v2, v0, s[12:13]
	global_store_byte v2, v1, s[12:13] offset:4
.LBB1855_7:
	s_or_b64 exec, exec, s[0:1]
.LBB1855_8:
	v_cmp_eq_u32_e32 vcc, 0, v4
	s_and_saveexec_b64 s[0:1], vcc
	s_cbranch_execz .LBB1855_10
; %bb.9:
	s_load_dwordx2 s[2:3], s[4:5], 0x38
	v_mov_b32_e32 v0, 0
	s_waitcnt lgkmcnt(0)
	global_store_dword v0, v0, s[2:3]
.LBB1855_10:
	s_or_b64 exec, exec, s[0:1]
	v_cmp_gt_u32_e32 vcc, s10, v4
	s_and_saveexec_b64 s[0:1], vcc
	s_cbranch_execz .LBB1855_12
; %bb.11:
	v_add_u32_e32 v0, 64, v4
	v_mov_b32_e32 v1, 0
	v_lshlrev_b64 v[2:3], 4, v[0:1]
	v_mov_b32_e32 v0, s9
	v_add_co_u32_e32 v6, vcc, s8, v2
	v_addc_co_u32_e32 v7, vcc, v0, v3, vcc
	v_mov_b32_e32 v0, v1
	v_mov_b32_e32 v2, v1
	;; [unrolled: 1-line block ×3, first 2 shown]
	global_store_dwordx4 v[6:7], v[0:3], off
.LBB1855_12:
	s_or_b64 exec, exec, s[0:1]
	v_cmp_gt_u32_e32 vcc, 64, v4
	v_mov_b32_e32 v5, 0
	s_and_saveexec_b64 s[0:1], vcc
	s_cbranch_execz .LBB1855_14
; %bb.13:
	v_lshlrev_b64 v[0:1], 4, v[4:5]
	v_mov_b32_e32 v2, s9
	v_add_co_u32_e32 v6, vcc, s8, v0
	v_addc_co_u32_e32 v7, vcc, v2, v1, vcc
	v_mov_b32_e32 v2, 0xff
	v_mov_b32_e32 v0, v5
	;; [unrolled: 1-line block ×4, first 2 shown]
	global_store_dwordx4 v[6:7], v[0:3], off
.LBB1855_14:
	s_or_b64 exec, exec, s[0:1]
	s_load_dwordx2 s[0:1], s[4:5], 0x28
	s_waitcnt lgkmcnt(0)
	v_cmp_gt_u64_e32 vcc, s[0:1], v[4:5]
	s_and_saveexec_b64 s[2:3], vcc
	s_cbranch_execz .LBB1855_17
; %bb.15:
	s_load_dword s10, s[4:5], 0x30
	s_load_dwordx2 s[6:7], s[4:5], 0x20
	s_mov_b32 s5, 0
	s_mov_b32 s3, s5
	s_mul_i32 s2, s18, s19
	s_waitcnt lgkmcnt(0)
	s_add_i32 s4, s10, -1
	s_lshl_b64 s[4:5], s[4:5], 2
	v_mad_u64_u32 v[0:1], s[8:9], s10, v4, 0
	s_add_u32 s4, s14, s4
	v_lshlrev_b64 v[0:1], 2, v[0:1]
	s_addc_u32 s5, s15, s5
	v_mov_b32_e32 v2, s5
	v_add_co_u32_e32 v0, vcc, s4, v0
	v_addc_co_u32_e32 v1, vcc, v2, v1, vcc
	s_mul_hi_u32 s5, s10, s2
	s_mul_i32 s4, s10, s2
	v_lshlrev_b64 v[2:3], 2, v[4:5]
	s_lshl_b64 s[4:5], s[4:5], 2
	v_mov_b32_e32 v6, s7
	v_add_co_u32_e32 v2, vcc, s6, v2
	s_lshl_b64 s[6:7], s[2:3], 2
	v_addc_co_u32_e32 v3, vcc, v6, v3, vcc
	s_mov_b64 s[8:9], 0
	v_mov_b32_e32 v6, s3
	v_mov_b32_e32 v7, s5
	;; [unrolled: 1-line block ×3, first 2 shown]
.LBB1855_16:                            ; =>This Inner Loop Header: Depth=1
	global_load_dword v9, v[0:1], off
	v_add_co_u32_e32 v4, vcc, s2, v4
	v_addc_co_u32_e32 v5, vcc, v5, v6, vcc
	v_add_co_u32_e32 v0, vcc, s4, v0
	v_addc_co_u32_e32 v1, vcc, v1, v7, vcc
	v_cmp_le_u64_e32 vcc, s[0:1], v[4:5]
	s_or_b64 s[8:9], vcc, s[8:9]
	s_waitcnt vmcnt(0)
	global_store_dword v[2:3], v9, off
	v_add_co_u32_e32 v2, vcc, s6, v2
	v_addc_co_u32_e32 v3, vcc, v3, v8, vcc
	s_andn2_b64 exec, exec, s[8:9]
	s_cbranch_execnz .LBB1855_16
.LBB1855_17:
	s_endpgm
	.section	.rodata,"a",@progbits
	.p2align	6, 0x0
	.amdhsa_kernel _ZN7rocprim17ROCPRIM_400000_NS6detail30init_device_scan_by_key_kernelINS1_19lookback_scan_stateINS0_5tupleIJjbEEELb0ELb1EEEN6thrust23THRUST_200600_302600_NS6detail15normal_iteratorINS8_10device_ptrIjEEEEjNS1_16block_id_wrapperIjLb1EEEEEvT_jjPNSG_10value_typeET0_PNSt15iterator_traitsISJ_E10value_typeEmT1_T2_
		.amdhsa_group_segment_fixed_size 0
		.amdhsa_private_segment_fixed_size 0
		.amdhsa_kernarg_size 320
		.amdhsa_user_sgpr_count 6
		.amdhsa_user_sgpr_private_segment_buffer 1
		.amdhsa_user_sgpr_dispatch_ptr 0
		.amdhsa_user_sgpr_queue_ptr 0
		.amdhsa_user_sgpr_kernarg_segment_ptr 1
		.amdhsa_user_sgpr_dispatch_id 0
		.amdhsa_user_sgpr_flat_scratch_init 0
		.amdhsa_user_sgpr_kernarg_preload_length 0
		.amdhsa_user_sgpr_kernarg_preload_offset 0
		.amdhsa_user_sgpr_private_segment_size 0
		.amdhsa_uses_dynamic_stack 0
		.amdhsa_system_sgpr_private_segment_wavefront_offset 0
		.amdhsa_system_sgpr_workgroup_id_x 1
		.amdhsa_system_sgpr_workgroup_id_y 0
		.amdhsa_system_sgpr_workgroup_id_z 0
		.amdhsa_system_sgpr_workgroup_info 0
		.amdhsa_system_vgpr_workitem_id 0
		.amdhsa_next_free_vgpr 10
		.amdhsa_next_free_sgpr 20
		.amdhsa_accum_offset 12
		.amdhsa_reserve_vcc 1
		.amdhsa_reserve_flat_scratch 0
		.amdhsa_float_round_mode_32 0
		.amdhsa_float_round_mode_16_64 0
		.amdhsa_float_denorm_mode_32 3
		.amdhsa_float_denorm_mode_16_64 3
		.amdhsa_dx10_clamp 1
		.amdhsa_ieee_mode 1
		.amdhsa_fp16_overflow 0
		.amdhsa_tg_split 0
		.amdhsa_exception_fp_ieee_invalid_op 0
		.amdhsa_exception_fp_denorm_src 0
		.amdhsa_exception_fp_ieee_div_zero 0
		.amdhsa_exception_fp_ieee_overflow 0
		.amdhsa_exception_fp_ieee_underflow 0
		.amdhsa_exception_fp_ieee_inexact 0
		.amdhsa_exception_int_div_zero 0
	.end_amdhsa_kernel
	.section	.text._ZN7rocprim17ROCPRIM_400000_NS6detail30init_device_scan_by_key_kernelINS1_19lookback_scan_stateINS0_5tupleIJjbEEELb0ELb1EEEN6thrust23THRUST_200600_302600_NS6detail15normal_iteratorINS8_10device_ptrIjEEEEjNS1_16block_id_wrapperIjLb1EEEEEvT_jjPNSG_10value_typeET0_PNSt15iterator_traitsISJ_E10value_typeEmT1_T2_,"axG",@progbits,_ZN7rocprim17ROCPRIM_400000_NS6detail30init_device_scan_by_key_kernelINS1_19lookback_scan_stateINS0_5tupleIJjbEEELb0ELb1EEEN6thrust23THRUST_200600_302600_NS6detail15normal_iteratorINS8_10device_ptrIjEEEEjNS1_16block_id_wrapperIjLb1EEEEEvT_jjPNSG_10value_typeET0_PNSt15iterator_traitsISJ_E10value_typeEmT1_T2_,comdat
.Lfunc_end1855:
	.size	_ZN7rocprim17ROCPRIM_400000_NS6detail30init_device_scan_by_key_kernelINS1_19lookback_scan_stateINS0_5tupleIJjbEEELb0ELb1EEEN6thrust23THRUST_200600_302600_NS6detail15normal_iteratorINS8_10device_ptrIjEEEEjNS1_16block_id_wrapperIjLb1EEEEEvT_jjPNSG_10value_typeET0_PNSt15iterator_traitsISJ_E10value_typeEmT1_T2_, .Lfunc_end1855-_ZN7rocprim17ROCPRIM_400000_NS6detail30init_device_scan_by_key_kernelINS1_19lookback_scan_stateINS0_5tupleIJjbEEELb0ELb1EEEN6thrust23THRUST_200600_302600_NS6detail15normal_iteratorINS8_10device_ptrIjEEEEjNS1_16block_id_wrapperIjLb1EEEEEvT_jjPNSG_10value_typeET0_PNSt15iterator_traitsISJ_E10value_typeEmT1_T2_
                                        ; -- End function
	.section	.AMDGPU.csdata,"",@progbits
; Kernel info:
; codeLenInByte = 612
; NumSgprs: 24
; NumVgprs: 10
; NumAgprs: 0
; TotalNumVgprs: 10
; ScratchSize: 0
; MemoryBound: 0
; FloatMode: 240
; IeeeMode: 1
; LDSByteSize: 0 bytes/workgroup (compile time only)
; SGPRBlocks: 2
; VGPRBlocks: 1
; NumSGPRsForWavesPerEU: 24
; NumVGPRsForWavesPerEU: 10
; AccumOffset: 12
; Occupancy: 8
; WaveLimiterHint : 0
; COMPUTE_PGM_RSRC2:SCRATCH_EN: 0
; COMPUTE_PGM_RSRC2:USER_SGPR: 6
; COMPUTE_PGM_RSRC2:TRAP_HANDLER: 0
; COMPUTE_PGM_RSRC2:TGID_X_EN: 1
; COMPUTE_PGM_RSRC2:TGID_Y_EN: 0
; COMPUTE_PGM_RSRC2:TGID_Z_EN: 0
; COMPUTE_PGM_RSRC2:TIDIG_COMP_CNT: 0
; COMPUTE_PGM_RSRC3_GFX90A:ACCUM_OFFSET: 2
; COMPUTE_PGM_RSRC3_GFX90A:TG_SPLIT: 0
	.section	.text._ZN7rocprim17ROCPRIM_400000_NS6detail17trampoline_kernelINS0_14default_configENS1_27scan_by_key_config_selectorIjjEEZZNS1_16scan_by_key_implILNS1_25lookback_scan_determinismE0ELb0ES3_N6thrust23THRUST_200600_302600_NS6detail15normal_iteratorINS9_10device_ptrIjEEEESE_SE_jNS9_4plusIvEENS9_8equal_toIvEEjEE10hipError_tPvRmT2_T3_T4_T5_mT6_T7_P12ihipStream_tbENKUlT_T0_E_clISt17integral_constantIbLb0EESY_IbLb1EEEEDaSU_SV_EUlSU_E_NS1_11comp_targetILNS1_3genE0ELNS1_11target_archE4294967295ELNS1_3gpuE0ELNS1_3repE0EEENS1_30default_config_static_selectorELNS0_4arch9wavefront6targetE1EEEvT1_,"axG",@progbits,_ZN7rocprim17ROCPRIM_400000_NS6detail17trampoline_kernelINS0_14default_configENS1_27scan_by_key_config_selectorIjjEEZZNS1_16scan_by_key_implILNS1_25lookback_scan_determinismE0ELb0ES3_N6thrust23THRUST_200600_302600_NS6detail15normal_iteratorINS9_10device_ptrIjEEEESE_SE_jNS9_4plusIvEENS9_8equal_toIvEEjEE10hipError_tPvRmT2_T3_T4_T5_mT6_T7_P12ihipStream_tbENKUlT_T0_E_clISt17integral_constantIbLb0EESY_IbLb1EEEEDaSU_SV_EUlSU_E_NS1_11comp_targetILNS1_3genE0ELNS1_11target_archE4294967295ELNS1_3gpuE0ELNS1_3repE0EEENS1_30default_config_static_selectorELNS0_4arch9wavefront6targetE1EEEvT1_,comdat
	.protected	_ZN7rocprim17ROCPRIM_400000_NS6detail17trampoline_kernelINS0_14default_configENS1_27scan_by_key_config_selectorIjjEEZZNS1_16scan_by_key_implILNS1_25lookback_scan_determinismE0ELb0ES3_N6thrust23THRUST_200600_302600_NS6detail15normal_iteratorINS9_10device_ptrIjEEEESE_SE_jNS9_4plusIvEENS9_8equal_toIvEEjEE10hipError_tPvRmT2_T3_T4_T5_mT6_T7_P12ihipStream_tbENKUlT_T0_E_clISt17integral_constantIbLb0EESY_IbLb1EEEEDaSU_SV_EUlSU_E_NS1_11comp_targetILNS1_3genE0ELNS1_11target_archE4294967295ELNS1_3gpuE0ELNS1_3repE0EEENS1_30default_config_static_selectorELNS0_4arch9wavefront6targetE1EEEvT1_ ; -- Begin function _ZN7rocprim17ROCPRIM_400000_NS6detail17trampoline_kernelINS0_14default_configENS1_27scan_by_key_config_selectorIjjEEZZNS1_16scan_by_key_implILNS1_25lookback_scan_determinismE0ELb0ES3_N6thrust23THRUST_200600_302600_NS6detail15normal_iteratorINS9_10device_ptrIjEEEESE_SE_jNS9_4plusIvEENS9_8equal_toIvEEjEE10hipError_tPvRmT2_T3_T4_T5_mT6_T7_P12ihipStream_tbENKUlT_T0_E_clISt17integral_constantIbLb0EESY_IbLb1EEEEDaSU_SV_EUlSU_E_NS1_11comp_targetILNS1_3genE0ELNS1_11target_archE4294967295ELNS1_3gpuE0ELNS1_3repE0EEENS1_30default_config_static_selectorELNS0_4arch9wavefront6targetE1EEEvT1_
	.globl	_ZN7rocprim17ROCPRIM_400000_NS6detail17trampoline_kernelINS0_14default_configENS1_27scan_by_key_config_selectorIjjEEZZNS1_16scan_by_key_implILNS1_25lookback_scan_determinismE0ELb0ES3_N6thrust23THRUST_200600_302600_NS6detail15normal_iteratorINS9_10device_ptrIjEEEESE_SE_jNS9_4plusIvEENS9_8equal_toIvEEjEE10hipError_tPvRmT2_T3_T4_T5_mT6_T7_P12ihipStream_tbENKUlT_T0_E_clISt17integral_constantIbLb0EESY_IbLb1EEEEDaSU_SV_EUlSU_E_NS1_11comp_targetILNS1_3genE0ELNS1_11target_archE4294967295ELNS1_3gpuE0ELNS1_3repE0EEENS1_30default_config_static_selectorELNS0_4arch9wavefront6targetE1EEEvT1_
	.p2align	8
	.type	_ZN7rocprim17ROCPRIM_400000_NS6detail17trampoline_kernelINS0_14default_configENS1_27scan_by_key_config_selectorIjjEEZZNS1_16scan_by_key_implILNS1_25lookback_scan_determinismE0ELb0ES3_N6thrust23THRUST_200600_302600_NS6detail15normal_iteratorINS9_10device_ptrIjEEEESE_SE_jNS9_4plusIvEENS9_8equal_toIvEEjEE10hipError_tPvRmT2_T3_T4_T5_mT6_T7_P12ihipStream_tbENKUlT_T0_E_clISt17integral_constantIbLb0EESY_IbLb1EEEEDaSU_SV_EUlSU_E_NS1_11comp_targetILNS1_3genE0ELNS1_11target_archE4294967295ELNS1_3gpuE0ELNS1_3repE0EEENS1_30default_config_static_selectorELNS0_4arch9wavefront6targetE1EEEvT1_,@function
_ZN7rocprim17ROCPRIM_400000_NS6detail17trampoline_kernelINS0_14default_configENS1_27scan_by_key_config_selectorIjjEEZZNS1_16scan_by_key_implILNS1_25lookback_scan_determinismE0ELb0ES3_N6thrust23THRUST_200600_302600_NS6detail15normal_iteratorINS9_10device_ptrIjEEEESE_SE_jNS9_4plusIvEENS9_8equal_toIvEEjEE10hipError_tPvRmT2_T3_T4_T5_mT6_T7_P12ihipStream_tbENKUlT_T0_E_clISt17integral_constantIbLb0EESY_IbLb1EEEEDaSU_SV_EUlSU_E_NS1_11comp_targetILNS1_3genE0ELNS1_11target_archE4294967295ELNS1_3gpuE0ELNS1_3repE0EEENS1_30default_config_static_selectorELNS0_4arch9wavefront6targetE1EEEvT1_: ; @_ZN7rocprim17ROCPRIM_400000_NS6detail17trampoline_kernelINS0_14default_configENS1_27scan_by_key_config_selectorIjjEEZZNS1_16scan_by_key_implILNS1_25lookback_scan_determinismE0ELb0ES3_N6thrust23THRUST_200600_302600_NS6detail15normal_iteratorINS9_10device_ptrIjEEEESE_SE_jNS9_4plusIvEENS9_8equal_toIvEEjEE10hipError_tPvRmT2_T3_T4_T5_mT6_T7_P12ihipStream_tbENKUlT_T0_E_clISt17integral_constantIbLb0EESY_IbLb1EEEEDaSU_SV_EUlSU_E_NS1_11comp_targetILNS1_3genE0ELNS1_11target_archE4294967295ELNS1_3gpuE0ELNS1_3repE0EEENS1_30default_config_static_selectorELNS0_4arch9wavefront6targetE1EEEvT1_
; %bb.0:
	.section	.rodata,"a",@progbits
	.p2align	6, 0x0
	.amdhsa_kernel _ZN7rocprim17ROCPRIM_400000_NS6detail17trampoline_kernelINS0_14default_configENS1_27scan_by_key_config_selectorIjjEEZZNS1_16scan_by_key_implILNS1_25lookback_scan_determinismE0ELb0ES3_N6thrust23THRUST_200600_302600_NS6detail15normal_iteratorINS9_10device_ptrIjEEEESE_SE_jNS9_4plusIvEENS9_8equal_toIvEEjEE10hipError_tPvRmT2_T3_T4_T5_mT6_T7_P12ihipStream_tbENKUlT_T0_E_clISt17integral_constantIbLb0EESY_IbLb1EEEEDaSU_SV_EUlSU_E_NS1_11comp_targetILNS1_3genE0ELNS1_11target_archE4294967295ELNS1_3gpuE0ELNS1_3repE0EEENS1_30default_config_static_selectorELNS0_4arch9wavefront6targetE1EEEvT1_
		.amdhsa_group_segment_fixed_size 0
		.amdhsa_private_segment_fixed_size 0
		.amdhsa_kernarg_size 112
		.amdhsa_user_sgpr_count 6
		.amdhsa_user_sgpr_private_segment_buffer 1
		.amdhsa_user_sgpr_dispatch_ptr 0
		.amdhsa_user_sgpr_queue_ptr 0
		.amdhsa_user_sgpr_kernarg_segment_ptr 1
		.amdhsa_user_sgpr_dispatch_id 0
		.amdhsa_user_sgpr_flat_scratch_init 0
		.amdhsa_user_sgpr_kernarg_preload_length 0
		.amdhsa_user_sgpr_kernarg_preload_offset 0
		.amdhsa_user_sgpr_private_segment_size 0
		.amdhsa_uses_dynamic_stack 0
		.amdhsa_system_sgpr_private_segment_wavefront_offset 0
		.amdhsa_system_sgpr_workgroup_id_x 1
		.amdhsa_system_sgpr_workgroup_id_y 0
		.amdhsa_system_sgpr_workgroup_id_z 0
		.amdhsa_system_sgpr_workgroup_info 0
		.amdhsa_system_vgpr_workitem_id 0
		.amdhsa_next_free_vgpr 1
		.amdhsa_next_free_sgpr 0
		.amdhsa_accum_offset 4
		.amdhsa_reserve_vcc 0
		.amdhsa_reserve_flat_scratch 0
		.amdhsa_float_round_mode_32 0
		.amdhsa_float_round_mode_16_64 0
		.amdhsa_float_denorm_mode_32 3
		.amdhsa_float_denorm_mode_16_64 3
		.amdhsa_dx10_clamp 1
		.amdhsa_ieee_mode 1
		.amdhsa_fp16_overflow 0
		.amdhsa_tg_split 0
		.amdhsa_exception_fp_ieee_invalid_op 0
		.amdhsa_exception_fp_denorm_src 0
		.amdhsa_exception_fp_ieee_div_zero 0
		.amdhsa_exception_fp_ieee_overflow 0
		.amdhsa_exception_fp_ieee_underflow 0
		.amdhsa_exception_fp_ieee_inexact 0
		.amdhsa_exception_int_div_zero 0
	.end_amdhsa_kernel
	.section	.text._ZN7rocprim17ROCPRIM_400000_NS6detail17trampoline_kernelINS0_14default_configENS1_27scan_by_key_config_selectorIjjEEZZNS1_16scan_by_key_implILNS1_25lookback_scan_determinismE0ELb0ES3_N6thrust23THRUST_200600_302600_NS6detail15normal_iteratorINS9_10device_ptrIjEEEESE_SE_jNS9_4plusIvEENS9_8equal_toIvEEjEE10hipError_tPvRmT2_T3_T4_T5_mT6_T7_P12ihipStream_tbENKUlT_T0_E_clISt17integral_constantIbLb0EESY_IbLb1EEEEDaSU_SV_EUlSU_E_NS1_11comp_targetILNS1_3genE0ELNS1_11target_archE4294967295ELNS1_3gpuE0ELNS1_3repE0EEENS1_30default_config_static_selectorELNS0_4arch9wavefront6targetE1EEEvT1_,"axG",@progbits,_ZN7rocprim17ROCPRIM_400000_NS6detail17trampoline_kernelINS0_14default_configENS1_27scan_by_key_config_selectorIjjEEZZNS1_16scan_by_key_implILNS1_25lookback_scan_determinismE0ELb0ES3_N6thrust23THRUST_200600_302600_NS6detail15normal_iteratorINS9_10device_ptrIjEEEESE_SE_jNS9_4plusIvEENS9_8equal_toIvEEjEE10hipError_tPvRmT2_T3_T4_T5_mT6_T7_P12ihipStream_tbENKUlT_T0_E_clISt17integral_constantIbLb0EESY_IbLb1EEEEDaSU_SV_EUlSU_E_NS1_11comp_targetILNS1_3genE0ELNS1_11target_archE4294967295ELNS1_3gpuE0ELNS1_3repE0EEENS1_30default_config_static_selectorELNS0_4arch9wavefront6targetE1EEEvT1_,comdat
.Lfunc_end1856:
	.size	_ZN7rocprim17ROCPRIM_400000_NS6detail17trampoline_kernelINS0_14default_configENS1_27scan_by_key_config_selectorIjjEEZZNS1_16scan_by_key_implILNS1_25lookback_scan_determinismE0ELb0ES3_N6thrust23THRUST_200600_302600_NS6detail15normal_iteratorINS9_10device_ptrIjEEEESE_SE_jNS9_4plusIvEENS9_8equal_toIvEEjEE10hipError_tPvRmT2_T3_T4_T5_mT6_T7_P12ihipStream_tbENKUlT_T0_E_clISt17integral_constantIbLb0EESY_IbLb1EEEEDaSU_SV_EUlSU_E_NS1_11comp_targetILNS1_3genE0ELNS1_11target_archE4294967295ELNS1_3gpuE0ELNS1_3repE0EEENS1_30default_config_static_selectorELNS0_4arch9wavefront6targetE1EEEvT1_, .Lfunc_end1856-_ZN7rocprim17ROCPRIM_400000_NS6detail17trampoline_kernelINS0_14default_configENS1_27scan_by_key_config_selectorIjjEEZZNS1_16scan_by_key_implILNS1_25lookback_scan_determinismE0ELb0ES3_N6thrust23THRUST_200600_302600_NS6detail15normal_iteratorINS9_10device_ptrIjEEEESE_SE_jNS9_4plusIvEENS9_8equal_toIvEEjEE10hipError_tPvRmT2_T3_T4_T5_mT6_T7_P12ihipStream_tbENKUlT_T0_E_clISt17integral_constantIbLb0EESY_IbLb1EEEEDaSU_SV_EUlSU_E_NS1_11comp_targetILNS1_3genE0ELNS1_11target_archE4294967295ELNS1_3gpuE0ELNS1_3repE0EEENS1_30default_config_static_selectorELNS0_4arch9wavefront6targetE1EEEvT1_
                                        ; -- End function
	.section	.AMDGPU.csdata,"",@progbits
; Kernel info:
; codeLenInByte = 0
; NumSgprs: 4
; NumVgprs: 0
; NumAgprs: 0
; TotalNumVgprs: 0
; ScratchSize: 0
; MemoryBound: 0
; FloatMode: 240
; IeeeMode: 1
; LDSByteSize: 0 bytes/workgroup (compile time only)
; SGPRBlocks: 0
; VGPRBlocks: 0
; NumSGPRsForWavesPerEU: 4
; NumVGPRsForWavesPerEU: 1
; AccumOffset: 4
; Occupancy: 8
; WaveLimiterHint : 0
; COMPUTE_PGM_RSRC2:SCRATCH_EN: 0
; COMPUTE_PGM_RSRC2:USER_SGPR: 6
; COMPUTE_PGM_RSRC2:TRAP_HANDLER: 0
; COMPUTE_PGM_RSRC2:TGID_X_EN: 1
; COMPUTE_PGM_RSRC2:TGID_Y_EN: 0
; COMPUTE_PGM_RSRC2:TGID_Z_EN: 0
; COMPUTE_PGM_RSRC2:TIDIG_COMP_CNT: 0
; COMPUTE_PGM_RSRC3_GFX90A:ACCUM_OFFSET: 0
; COMPUTE_PGM_RSRC3_GFX90A:TG_SPLIT: 0
	.section	.text._ZN7rocprim17ROCPRIM_400000_NS6detail17trampoline_kernelINS0_14default_configENS1_27scan_by_key_config_selectorIjjEEZZNS1_16scan_by_key_implILNS1_25lookback_scan_determinismE0ELb0ES3_N6thrust23THRUST_200600_302600_NS6detail15normal_iteratorINS9_10device_ptrIjEEEESE_SE_jNS9_4plusIvEENS9_8equal_toIvEEjEE10hipError_tPvRmT2_T3_T4_T5_mT6_T7_P12ihipStream_tbENKUlT_T0_E_clISt17integral_constantIbLb0EESY_IbLb1EEEEDaSU_SV_EUlSU_E_NS1_11comp_targetILNS1_3genE10ELNS1_11target_archE1201ELNS1_3gpuE5ELNS1_3repE0EEENS1_30default_config_static_selectorELNS0_4arch9wavefront6targetE1EEEvT1_,"axG",@progbits,_ZN7rocprim17ROCPRIM_400000_NS6detail17trampoline_kernelINS0_14default_configENS1_27scan_by_key_config_selectorIjjEEZZNS1_16scan_by_key_implILNS1_25lookback_scan_determinismE0ELb0ES3_N6thrust23THRUST_200600_302600_NS6detail15normal_iteratorINS9_10device_ptrIjEEEESE_SE_jNS9_4plusIvEENS9_8equal_toIvEEjEE10hipError_tPvRmT2_T3_T4_T5_mT6_T7_P12ihipStream_tbENKUlT_T0_E_clISt17integral_constantIbLb0EESY_IbLb1EEEEDaSU_SV_EUlSU_E_NS1_11comp_targetILNS1_3genE10ELNS1_11target_archE1201ELNS1_3gpuE5ELNS1_3repE0EEENS1_30default_config_static_selectorELNS0_4arch9wavefront6targetE1EEEvT1_,comdat
	.protected	_ZN7rocprim17ROCPRIM_400000_NS6detail17trampoline_kernelINS0_14default_configENS1_27scan_by_key_config_selectorIjjEEZZNS1_16scan_by_key_implILNS1_25lookback_scan_determinismE0ELb0ES3_N6thrust23THRUST_200600_302600_NS6detail15normal_iteratorINS9_10device_ptrIjEEEESE_SE_jNS9_4plusIvEENS9_8equal_toIvEEjEE10hipError_tPvRmT2_T3_T4_T5_mT6_T7_P12ihipStream_tbENKUlT_T0_E_clISt17integral_constantIbLb0EESY_IbLb1EEEEDaSU_SV_EUlSU_E_NS1_11comp_targetILNS1_3genE10ELNS1_11target_archE1201ELNS1_3gpuE5ELNS1_3repE0EEENS1_30default_config_static_selectorELNS0_4arch9wavefront6targetE1EEEvT1_ ; -- Begin function _ZN7rocprim17ROCPRIM_400000_NS6detail17trampoline_kernelINS0_14default_configENS1_27scan_by_key_config_selectorIjjEEZZNS1_16scan_by_key_implILNS1_25lookback_scan_determinismE0ELb0ES3_N6thrust23THRUST_200600_302600_NS6detail15normal_iteratorINS9_10device_ptrIjEEEESE_SE_jNS9_4plusIvEENS9_8equal_toIvEEjEE10hipError_tPvRmT2_T3_T4_T5_mT6_T7_P12ihipStream_tbENKUlT_T0_E_clISt17integral_constantIbLb0EESY_IbLb1EEEEDaSU_SV_EUlSU_E_NS1_11comp_targetILNS1_3genE10ELNS1_11target_archE1201ELNS1_3gpuE5ELNS1_3repE0EEENS1_30default_config_static_selectorELNS0_4arch9wavefront6targetE1EEEvT1_
	.globl	_ZN7rocprim17ROCPRIM_400000_NS6detail17trampoline_kernelINS0_14default_configENS1_27scan_by_key_config_selectorIjjEEZZNS1_16scan_by_key_implILNS1_25lookback_scan_determinismE0ELb0ES3_N6thrust23THRUST_200600_302600_NS6detail15normal_iteratorINS9_10device_ptrIjEEEESE_SE_jNS9_4plusIvEENS9_8equal_toIvEEjEE10hipError_tPvRmT2_T3_T4_T5_mT6_T7_P12ihipStream_tbENKUlT_T0_E_clISt17integral_constantIbLb0EESY_IbLb1EEEEDaSU_SV_EUlSU_E_NS1_11comp_targetILNS1_3genE10ELNS1_11target_archE1201ELNS1_3gpuE5ELNS1_3repE0EEENS1_30default_config_static_selectorELNS0_4arch9wavefront6targetE1EEEvT1_
	.p2align	8
	.type	_ZN7rocprim17ROCPRIM_400000_NS6detail17trampoline_kernelINS0_14default_configENS1_27scan_by_key_config_selectorIjjEEZZNS1_16scan_by_key_implILNS1_25lookback_scan_determinismE0ELb0ES3_N6thrust23THRUST_200600_302600_NS6detail15normal_iteratorINS9_10device_ptrIjEEEESE_SE_jNS9_4plusIvEENS9_8equal_toIvEEjEE10hipError_tPvRmT2_T3_T4_T5_mT6_T7_P12ihipStream_tbENKUlT_T0_E_clISt17integral_constantIbLb0EESY_IbLb1EEEEDaSU_SV_EUlSU_E_NS1_11comp_targetILNS1_3genE10ELNS1_11target_archE1201ELNS1_3gpuE5ELNS1_3repE0EEENS1_30default_config_static_selectorELNS0_4arch9wavefront6targetE1EEEvT1_,@function
_ZN7rocprim17ROCPRIM_400000_NS6detail17trampoline_kernelINS0_14default_configENS1_27scan_by_key_config_selectorIjjEEZZNS1_16scan_by_key_implILNS1_25lookback_scan_determinismE0ELb0ES3_N6thrust23THRUST_200600_302600_NS6detail15normal_iteratorINS9_10device_ptrIjEEEESE_SE_jNS9_4plusIvEENS9_8equal_toIvEEjEE10hipError_tPvRmT2_T3_T4_T5_mT6_T7_P12ihipStream_tbENKUlT_T0_E_clISt17integral_constantIbLb0EESY_IbLb1EEEEDaSU_SV_EUlSU_E_NS1_11comp_targetILNS1_3genE10ELNS1_11target_archE1201ELNS1_3gpuE5ELNS1_3repE0EEENS1_30default_config_static_selectorELNS0_4arch9wavefront6targetE1EEEvT1_: ; @_ZN7rocprim17ROCPRIM_400000_NS6detail17trampoline_kernelINS0_14default_configENS1_27scan_by_key_config_selectorIjjEEZZNS1_16scan_by_key_implILNS1_25lookback_scan_determinismE0ELb0ES3_N6thrust23THRUST_200600_302600_NS6detail15normal_iteratorINS9_10device_ptrIjEEEESE_SE_jNS9_4plusIvEENS9_8equal_toIvEEjEE10hipError_tPvRmT2_T3_T4_T5_mT6_T7_P12ihipStream_tbENKUlT_T0_E_clISt17integral_constantIbLb0EESY_IbLb1EEEEDaSU_SV_EUlSU_E_NS1_11comp_targetILNS1_3genE10ELNS1_11target_archE1201ELNS1_3gpuE5ELNS1_3repE0EEENS1_30default_config_static_selectorELNS0_4arch9wavefront6targetE1EEEvT1_
; %bb.0:
	.section	.rodata,"a",@progbits
	.p2align	6, 0x0
	.amdhsa_kernel _ZN7rocprim17ROCPRIM_400000_NS6detail17trampoline_kernelINS0_14default_configENS1_27scan_by_key_config_selectorIjjEEZZNS1_16scan_by_key_implILNS1_25lookback_scan_determinismE0ELb0ES3_N6thrust23THRUST_200600_302600_NS6detail15normal_iteratorINS9_10device_ptrIjEEEESE_SE_jNS9_4plusIvEENS9_8equal_toIvEEjEE10hipError_tPvRmT2_T3_T4_T5_mT6_T7_P12ihipStream_tbENKUlT_T0_E_clISt17integral_constantIbLb0EESY_IbLb1EEEEDaSU_SV_EUlSU_E_NS1_11comp_targetILNS1_3genE10ELNS1_11target_archE1201ELNS1_3gpuE5ELNS1_3repE0EEENS1_30default_config_static_selectorELNS0_4arch9wavefront6targetE1EEEvT1_
		.amdhsa_group_segment_fixed_size 0
		.amdhsa_private_segment_fixed_size 0
		.amdhsa_kernarg_size 112
		.amdhsa_user_sgpr_count 6
		.amdhsa_user_sgpr_private_segment_buffer 1
		.amdhsa_user_sgpr_dispatch_ptr 0
		.amdhsa_user_sgpr_queue_ptr 0
		.amdhsa_user_sgpr_kernarg_segment_ptr 1
		.amdhsa_user_sgpr_dispatch_id 0
		.amdhsa_user_sgpr_flat_scratch_init 0
		.amdhsa_user_sgpr_kernarg_preload_length 0
		.amdhsa_user_sgpr_kernarg_preload_offset 0
		.amdhsa_user_sgpr_private_segment_size 0
		.amdhsa_uses_dynamic_stack 0
		.amdhsa_system_sgpr_private_segment_wavefront_offset 0
		.amdhsa_system_sgpr_workgroup_id_x 1
		.amdhsa_system_sgpr_workgroup_id_y 0
		.amdhsa_system_sgpr_workgroup_id_z 0
		.amdhsa_system_sgpr_workgroup_info 0
		.amdhsa_system_vgpr_workitem_id 0
		.amdhsa_next_free_vgpr 1
		.amdhsa_next_free_sgpr 0
		.amdhsa_accum_offset 4
		.amdhsa_reserve_vcc 0
		.amdhsa_reserve_flat_scratch 0
		.amdhsa_float_round_mode_32 0
		.amdhsa_float_round_mode_16_64 0
		.amdhsa_float_denorm_mode_32 3
		.amdhsa_float_denorm_mode_16_64 3
		.amdhsa_dx10_clamp 1
		.amdhsa_ieee_mode 1
		.amdhsa_fp16_overflow 0
		.amdhsa_tg_split 0
		.amdhsa_exception_fp_ieee_invalid_op 0
		.amdhsa_exception_fp_denorm_src 0
		.amdhsa_exception_fp_ieee_div_zero 0
		.amdhsa_exception_fp_ieee_overflow 0
		.amdhsa_exception_fp_ieee_underflow 0
		.amdhsa_exception_fp_ieee_inexact 0
		.amdhsa_exception_int_div_zero 0
	.end_amdhsa_kernel
	.section	.text._ZN7rocprim17ROCPRIM_400000_NS6detail17trampoline_kernelINS0_14default_configENS1_27scan_by_key_config_selectorIjjEEZZNS1_16scan_by_key_implILNS1_25lookback_scan_determinismE0ELb0ES3_N6thrust23THRUST_200600_302600_NS6detail15normal_iteratorINS9_10device_ptrIjEEEESE_SE_jNS9_4plusIvEENS9_8equal_toIvEEjEE10hipError_tPvRmT2_T3_T4_T5_mT6_T7_P12ihipStream_tbENKUlT_T0_E_clISt17integral_constantIbLb0EESY_IbLb1EEEEDaSU_SV_EUlSU_E_NS1_11comp_targetILNS1_3genE10ELNS1_11target_archE1201ELNS1_3gpuE5ELNS1_3repE0EEENS1_30default_config_static_selectorELNS0_4arch9wavefront6targetE1EEEvT1_,"axG",@progbits,_ZN7rocprim17ROCPRIM_400000_NS6detail17trampoline_kernelINS0_14default_configENS1_27scan_by_key_config_selectorIjjEEZZNS1_16scan_by_key_implILNS1_25lookback_scan_determinismE0ELb0ES3_N6thrust23THRUST_200600_302600_NS6detail15normal_iteratorINS9_10device_ptrIjEEEESE_SE_jNS9_4plusIvEENS9_8equal_toIvEEjEE10hipError_tPvRmT2_T3_T4_T5_mT6_T7_P12ihipStream_tbENKUlT_T0_E_clISt17integral_constantIbLb0EESY_IbLb1EEEEDaSU_SV_EUlSU_E_NS1_11comp_targetILNS1_3genE10ELNS1_11target_archE1201ELNS1_3gpuE5ELNS1_3repE0EEENS1_30default_config_static_selectorELNS0_4arch9wavefront6targetE1EEEvT1_,comdat
.Lfunc_end1857:
	.size	_ZN7rocprim17ROCPRIM_400000_NS6detail17trampoline_kernelINS0_14default_configENS1_27scan_by_key_config_selectorIjjEEZZNS1_16scan_by_key_implILNS1_25lookback_scan_determinismE0ELb0ES3_N6thrust23THRUST_200600_302600_NS6detail15normal_iteratorINS9_10device_ptrIjEEEESE_SE_jNS9_4plusIvEENS9_8equal_toIvEEjEE10hipError_tPvRmT2_T3_T4_T5_mT6_T7_P12ihipStream_tbENKUlT_T0_E_clISt17integral_constantIbLb0EESY_IbLb1EEEEDaSU_SV_EUlSU_E_NS1_11comp_targetILNS1_3genE10ELNS1_11target_archE1201ELNS1_3gpuE5ELNS1_3repE0EEENS1_30default_config_static_selectorELNS0_4arch9wavefront6targetE1EEEvT1_, .Lfunc_end1857-_ZN7rocprim17ROCPRIM_400000_NS6detail17trampoline_kernelINS0_14default_configENS1_27scan_by_key_config_selectorIjjEEZZNS1_16scan_by_key_implILNS1_25lookback_scan_determinismE0ELb0ES3_N6thrust23THRUST_200600_302600_NS6detail15normal_iteratorINS9_10device_ptrIjEEEESE_SE_jNS9_4plusIvEENS9_8equal_toIvEEjEE10hipError_tPvRmT2_T3_T4_T5_mT6_T7_P12ihipStream_tbENKUlT_T0_E_clISt17integral_constantIbLb0EESY_IbLb1EEEEDaSU_SV_EUlSU_E_NS1_11comp_targetILNS1_3genE10ELNS1_11target_archE1201ELNS1_3gpuE5ELNS1_3repE0EEENS1_30default_config_static_selectorELNS0_4arch9wavefront6targetE1EEEvT1_
                                        ; -- End function
	.section	.AMDGPU.csdata,"",@progbits
; Kernel info:
; codeLenInByte = 0
; NumSgprs: 4
; NumVgprs: 0
; NumAgprs: 0
; TotalNumVgprs: 0
; ScratchSize: 0
; MemoryBound: 0
; FloatMode: 240
; IeeeMode: 1
; LDSByteSize: 0 bytes/workgroup (compile time only)
; SGPRBlocks: 0
; VGPRBlocks: 0
; NumSGPRsForWavesPerEU: 4
; NumVGPRsForWavesPerEU: 1
; AccumOffset: 4
; Occupancy: 8
; WaveLimiterHint : 0
; COMPUTE_PGM_RSRC2:SCRATCH_EN: 0
; COMPUTE_PGM_RSRC2:USER_SGPR: 6
; COMPUTE_PGM_RSRC2:TRAP_HANDLER: 0
; COMPUTE_PGM_RSRC2:TGID_X_EN: 1
; COMPUTE_PGM_RSRC2:TGID_Y_EN: 0
; COMPUTE_PGM_RSRC2:TGID_Z_EN: 0
; COMPUTE_PGM_RSRC2:TIDIG_COMP_CNT: 0
; COMPUTE_PGM_RSRC3_GFX90A:ACCUM_OFFSET: 0
; COMPUTE_PGM_RSRC3_GFX90A:TG_SPLIT: 0
	.section	.text._ZN7rocprim17ROCPRIM_400000_NS6detail17trampoline_kernelINS0_14default_configENS1_27scan_by_key_config_selectorIjjEEZZNS1_16scan_by_key_implILNS1_25lookback_scan_determinismE0ELb0ES3_N6thrust23THRUST_200600_302600_NS6detail15normal_iteratorINS9_10device_ptrIjEEEESE_SE_jNS9_4plusIvEENS9_8equal_toIvEEjEE10hipError_tPvRmT2_T3_T4_T5_mT6_T7_P12ihipStream_tbENKUlT_T0_E_clISt17integral_constantIbLb0EESY_IbLb1EEEEDaSU_SV_EUlSU_E_NS1_11comp_targetILNS1_3genE5ELNS1_11target_archE942ELNS1_3gpuE9ELNS1_3repE0EEENS1_30default_config_static_selectorELNS0_4arch9wavefront6targetE1EEEvT1_,"axG",@progbits,_ZN7rocprim17ROCPRIM_400000_NS6detail17trampoline_kernelINS0_14default_configENS1_27scan_by_key_config_selectorIjjEEZZNS1_16scan_by_key_implILNS1_25lookback_scan_determinismE0ELb0ES3_N6thrust23THRUST_200600_302600_NS6detail15normal_iteratorINS9_10device_ptrIjEEEESE_SE_jNS9_4plusIvEENS9_8equal_toIvEEjEE10hipError_tPvRmT2_T3_T4_T5_mT6_T7_P12ihipStream_tbENKUlT_T0_E_clISt17integral_constantIbLb0EESY_IbLb1EEEEDaSU_SV_EUlSU_E_NS1_11comp_targetILNS1_3genE5ELNS1_11target_archE942ELNS1_3gpuE9ELNS1_3repE0EEENS1_30default_config_static_selectorELNS0_4arch9wavefront6targetE1EEEvT1_,comdat
	.protected	_ZN7rocprim17ROCPRIM_400000_NS6detail17trampoline_kernelINS0_14default_configENS1_27scan_by_key_config_selectorIjjEEZZNS1_16scan_by_key_implILNS1_25lookback_scan_determinismE0ELb0ES3_N6thrust23THRUST_200600_302600_NS6detail15normal_iteratorINS9_10device_ptrIjEEEESE_SE_jNS9_4plusIvEENS9_8equal_toIvEEjEE10hipError_tPvRmT2_T3_T4_T5_mT6_T7_P12ihipStream_tbENKUlT_T0_E_clISt17integral_constantIbLb0EESY_IbLb1EEEEDaSU_SV_EUlSU_E_NS1_11comp_targetILNS1_3genE5ELNS1_11target_archE942ELNS1_3gpuE9ELNS1_3repE0EEENS1_30default_config_static_selectorELNS0_4arch9wavefront6targetE1EEEvT1_ ; -- Begin function _ZN7rocprim17ROCPRIM_400000_NS6detail17trampoline_kernelINS0_14default_configENS1_27scan_by_key_config_selectorIjjEEZZNS1_16scan_by_key_implILNS1_25lookback_scan_determinismE0ELb0ES3_N6thrust23THRUST_200600_302600_NS6detail15normal_iteratorINS9_10device_ptrIjEEEESE_SE_jNS9_4plusIvEENS9_8equal_toIvEEjEE10hipError_tPvRmT2_T3_T4_T5_mT6_T7_P12ihipStream_tbENKUlT_T0_E_clISt17integral_constantIbLb0EESY_IbLb1EEEEDaSU_SV_EUlSU_E_NS1_11comp_targetILNS1_3genE5ELNS1_11target_archE942ELNS1_3gpuE9ELNS1_3repE0EEENS1_30default_config_static_selectorELNS0_4arch9wavefront6targetE1EEEvT1_
	.globl	_ZN7rocprim17ROCPRIM_400000_NS6detail17trampoline_kernelINS0_14default_configENS1_27scan_by_key_config_selectorIjjEEZZNS1_16scan_by_key_implILNS1_25lookback_scan_determinismE0ELb0ES3_N6thrust23THRUST_200600_302600_NS6detail15normal_iteratorINS9_10device_ptrIjEEEESE_SE_jNS9_4plusIvEENS9_8equal_toIvEEjEE10hipError_tPvRmT2_T3_T4_T5_mT6_T7_P12ihipStream_tbENKUlT_T0_E_clISt17integral_constantIbLb0EESY_IbLb1EEEEDaSU_SV_EUlSU_E_NS1_11comp_targetILNS1_3genE5ELNS1_11target_archE942ELNS1_3gpuE9ELNS1_3repE0EEENS1_30default_config_static_selectorELNS0_4arch9wavefront6targetE1EEEvT1_
	.p2align	8
	.type	_ZN7rocprim17ROCPRIM_400000_NS6detail17trampoline_kernelINS0_14default_configENS1_27scan_by_key_config_selectorIjjEEZZNS1_16scan_by_key_implILNS1_25lookback_scan_determinismE0ELb0ES3_N6thrust23THRUST_200600_302600_NS6detail15normal_iteratorINS9_10device_ptrIjEEEESE_SE_jNS9_4plusIvEENS9_8equal_toIvEEjEE10hipError_tPvRmT2_T3_T4_T5_mT6_T7_P12ihipStream_tbENKUlT_T0_E_clISt17integral_constantIbLb0EESY_IbLb1EEEEDaSU_SV_EUlSU_E_NS1_11comp_targetILNS1_3genE5ELNS1_11target_archE942ELNS1_3gpuE9ELNS1_3repE0EEENS1_30default_config_static_selectorELNS0_4arch9wavefront6targetE1EEEvT1_,@function
_ZN7rocprim17ROCPRIM_400000_NS6detail17trampoline_kernelINS0_14default_configENS1_27scan_by_key_config_selectorIjjEEZZNS1_16scan_by_key_implILNS1_25lookback_scan_determinismE0ELb0ES3_N6thrust23THRUST_200600_302600_NS6detail15normal_iteratorINS9_10device_ptrIjEEEESE_SE_jNS9_4plusIvEENS9_8equal_toIvEEjEE10hipError_tPvRmT2_T3_T4_T5_mT6_T7_P12ihipStream_tbENKUlT_T0_E_clISt17integral_constantIbLb0EESY_IbLb1EEEEDaSU_SV_EUlSU_E_NS1_11comp_targetILNS1_3genE5ELNS1_11target_archE942ELNS1_3gpuE9ELNS1_3repE0EEENS1_30default_config_static_selectorELNS0_4arch9wavefront6targetE1EEEvT1_: ; @_ZN7rocprim17ROCPRIM_400000_NS6detail17trampoline_kernelINS0_14default_configENS1_27scan_by_key_config_selectorIjjEEZZNS1_16scan_by_key_implILNS1_25lookback_scan_determinismE0ELb0ES3_N6thrust23THRUST_200600_302600_NS6detail15normal_iteratorINS9_10device_ptrIjEEEESE_SE_jNS9_4plusIvEENS9_8equal_toIvEEjEE10hipError_tPvRmT2_T3_T4_T5_mT6_T7_P12ihipStream_tbENKUlT_T0_E_clISt17integral_constantIbLb0EESY_IbLb1EEEEDaSU_SV_EUlSU_E_NS1_11comp_targetILNS1_3genE5ELNS1_11target_archE942ELNS1_3gpuE9ELNS1_3repE0EEENS1_30default_config_static_selectorELNS0_4arch9wavefront6targetE1EEEvT1_
; %bb.0:
	.section	.rodata,"a",@progbits
	.p2align	6, 0x0
	.amdhsa_kernel _ZN7rocprim17ROCPRIM_400000_NS6detail17trampoline_kernelINS0_14default_configENS1_27scan_by_key_config_selectorIjjEEZZNS1_16scan_by_key_implILNS1_25lookback_scan_determinismE0ELb0ES3_N6thrust23THRUST_200600_302600_NS6detail15normal_iteratorINS9_10device_ptrIjEEEESE_SE_jNS9_4plusIvEENS9_8equal_toIvEEjEE10hipError_tPvRmT2_T3_T4_T5_mT6_T7_P12ihipStream_tbENKUlT_T0_E_clISt17integral_constantIbLb0EESY_IbLb1EEEEDaSU_SV_EUlSU_E_NS1_11comp_targetILNS1_3genE5ELNS1_11target_archE942ELNS1_3gpuE9ELNS1_3repE0EEENS1_30default_config_static_selectorELNS0_4arch9wavefront6targetE1EEEvT1_
		.amdhsa_group_segment_fixed_size 0
		.amdhsa_private_segment_fixed_size 0
		.amdhsa_kernarg_size 112
		.amdhsa_user_sgpr_count 6
		.amdhsa_user_sgpr_private_segment_buffer 1
		.amdhsa_user_sgpr_dispatch_ptr 0
		.amdhsa_user_sgpr_queue_ptr 0
		.amdhsa_user_sgpr_kernarg_segment_ptr 1
		.amdhsa_user_sgpr_dispatch_id 0
		.amdhsa_user_sgpr_flat_scratch_init 0
		.amdhsa_user_sgpr_kernarg_preload_length 0
		.amdhsa_user_sgpr_kernarg_preload_offset 0
		.amdhsa_user_sgpr_private_segment_size 0
		.amdhsa_uses_dynamic_stack 0
		.amdhsa_system_sgpr_private_segment_wavefront_offset 0
		.amdhsa_system_sgpr_workgroup_id_x 1
		.amdhsa_system_sgpr_workgroup_id_y 0
		.amdhsa_system_sgpr_workgroup_id_z 0
		.amdhsa_system_sgpr_workgroup_info 0
		.amdhsa_system_vgpr_workitem_id 0
		.amdhsa_next_free_vgpr 1
		.amdhsa_next_free_sgpr 0
		.amdhsa_accum_offset 4
		.amdhsa_reserve_vcc 0
		.amdhsa_reserve_flat_scratch 0
		.amdhsa_float_round_mode_32 0
		.amdhsa_float_round_mode_16_64 0
		.amdhsa_float_denorm_mode_32 3
		.amdhsa_float_denorm_mode_16_64 3
		.amdhsa_dx10_clamp 1
		.amdhsa_ieee_mode 1
		.amdhsa_fp16_overflow 0
		.amdhsa_tg_split 0
		.amdhsa_exception_fp_ieee_invalid_op 0
		.amdhsa_exception_fp_denorm_src 0
		.amdhsa_exception_fp_ieee_div_zero 0
		.amdhsa_exception_fp_ieee_overflow 0
		.amdhsa_exception_fp_ieee_underflow 0
		.amdhsa_exception_fp_ieee_inexact 0
		.amdhsa_exception_int_div_zero 0
	.end_amdhsa_kernel
	.section	.text._ZN7rocprim17ROCPRIM_400000_NS6detail17trampoline_kernelINS0_14default_configENS1_27scan_by_key_config_selectorIjjEEZZNS1_16scan_by_key_implILNS1_25lookback_scan_determinismE0ELb0ES3_N6thrust23THRUST_200600_302600_NS6detail15normal_iteratorINS9_10device_ptrIjEEEESE_SE_jNS9_4plusIvEENS9_8equal_toIvEEjEE10hipError_tPvRmT2_T3_T4_T5_mT6_T7_P12ihipStream_tbENKUlT_T0_E_clISt17integral_constantIbLb0EESY_IbLb1EEEEDaSU_SV_EUlSU_E_NS1_11comp_targetILNS1_3genE5ELNS1_11target_archE942ELNS1_3gpuE9ELNS1_3repE0EEENS1_30default_config_static_selectorELNS0_4arch9wavefront6targetE1EEEvT1_,"axG",@progbits,_ZN7rocprim17ROCPRIM_400000_NS6detail17trampoline_kernelINS0_14default_configENS1_27scan_by_key_config_selectorIjjEEZZNS1_16scan_by_key_implILNS1_25lookback_scan_determinismE0ELb0ES3_N6thrust23THRUST_200600_302600_NS6detail15normal_iteratorINS9_10device_ptrIjEEEESE_SE_jNS9_4plusIvEENS9_8equal_toIvEEjEE10hipError_tPvRmT2_T3_T4_T5_mT6_T7_P12ihipStream_tbENKUlT_T0_E_clISt17integral_constantIbLb0EESY_IbLb1EEEEDaSU_SV_EUlSU_E_NS1_11comp_targetILNS1_3genE5ELNS1_11target_archE942ELNS1_3gpuE9ELNS1_3repE0EEENS1_30default_config_static_selectorELNS0_4arch9wavefront6targetE1EEEvT1_,comdat
.Lfunc_end1858:
	.size	_ZN7rocprim17ROCPRIM_400000_NS6detail17trampoline_kernelINS0_14default_configENS1_27scan_by_key_config_selectorIjjEEZZNS1_16scan_by_key_implILNS1_25lookback_scan_determinismE0ELb0ES3_N6thrust23THRUST_200600_302600_NS6detail15normal_iteratorINS9_10device_ptrIjEEEESE_SE_jNS9_4plusIvEENS9_8equal_toIvEEjEE10hipError_tPvRmT2_T3_T4_T5_mT6_T7_P12ihipStream_tbENKUlT_T0_E_clISt17integral_constantIbLb0EESY_IbLb1EEEEDaSU_SV_EUlSU_E_NS1_11comp_targetILNS1_3genE5ELNS1_11target_archE942ELNS1_3gpuE9ELNS1_3repE0EEENS1_30default_config_static_selectorELNS0_4arch9wavefront6targetE1EEEvT1_, .Lfunc_end1858-_ZN7rocprim17ROCPRIM_400000_NS6detail17trampoline_kernelINS0_14default_configENS1_27scan_by_key_config_selectorIjjEEZZNS1_16scan_by_key_implILNS1_25lookback_scan_determinismE0ELb0ES3_N6thrust23THRUST_200600_302600_NS6detail15normal_iteratorINS9_10device_ptrIjEEEESE_SE_jNS9_4plusIvEENS9_8equal_toIvEEjEE10hipError_tPvRmT2_T3_T4_T5_mT6_T7_P12ihipStream_tbENKUlT_T0_E_clISt17integral_constantIbLb0EESY_IbLb1EEEEDaSU_SV_EUlSU_E_NS1_11comp_targetILNS1_3genE5ELNS1_11target_archE942ELNS1_3gpuE9ELNS1_3repE0EEENS1_30default_config_static_selectorELNS0_4arch9wavefront6targetE1EEEvT1_
                                        ; -- End function
	.section	.AMDGPU.csdata,"",@progbits
; Kernel info:
; codeLenInByte = 0
; NumSgprs: 4
; NumVgprs: 0
; NumAgprs: 0
; TotalNumVgprs: 0
; ScratchSize: 0
; MemoryBound: 0
; FloatMode: 240
; IeeeMode: 1
; LDSByteSize: 0 bytes/workgroup (compile time only)
; SGPRBlocks: 0
; VGPRBlocks: 0
; NumSGPRsForWavesPerEU: 4
; NumVGPRsForWavesPerEU: 1
; AccumOffset: 4
; Occupancy: 8
; WaveLimiterHint : 0
; COMPUTE_PGM_RSRC2:SCRATCH_EN: 0
; COMPUTE_PGM_RSRC2:USER_SGPR: 6
; COMPUTE_PGM_RSRC2:TRAP_HANDLER: 0
; COMPUTE_PGM_RSRC2:TGID_X_EN: 1
; COMPUTE_PGM_RSRC2:TGID_Y_EN: 0
; COMPUTE_PGM_RSRC2:TGID_Z_EN: 0
; COMPUTE_PGM_RSRC2:TIDIG_COMP_CNT: 0
; COMPUTE_PGM_RSRC3_GFX90A:ACCUM_OFFSET: 0
; COMPUTE_PGM_RSRC3_GFX90A:TG_SPLIT: 0
	.section	.text._ZN7rocprim17ROCPRIM_400000_NS6detail17trampoline_kernelINS0_14default_configENS1_27scan_by_key_config_selectorIjjEEZZNS1_16scan_by_key_implILNS1_25lookback_scan_determinismE0ELb0ES3_N6thrust23THRUST_200600_302600_NS6detail15normal_iteratorINS9_10device_ptrIjEEEESE_SE_jNS9_4plusIvEENS9_8equal_toIvEEjEE10hipError_tPvRmT2_T3_T4_T5_mT6_T7_P12ihipStream_tbENKUlT_T0_E_clISt17integral_constantIbLb0EESY_IbLb1EEEEDaSU_SV_EUlSU_E_NS1_11comp_targetILNS1_3genE4ELNS1_11target_archE910ELNS1_3gpuE8ELNS1_3repE0EEENS1_30default_config_static_selectorELNS0_4arch9wavefront6targetE1EEEvT1_,"axG",@progbits,_ZN7rocprim17ROCPRIM_400000_NS6detail17trampoline_kernelINS0_14default_configENS1_27scan_by_key_config_selectorIjjEEZZNS1_16scan_by_key_implILNS1_25lookback_scan_determinismE0ELb0ES3_N6thrust23THRUST_200600_302600_NS6detail15normal_iteratorINS9_10device_ptrIjEEEESE_SE_jNS9_4plusIvEENS9_8equal_toIvEEjEE10hipError_tPvRmT2_T3_T4_T5_mT6_T7_P12ihipStream_tbENKUlT_T0_E_clISt17integral_constantIbLb0EESY_IbLb1EEEEDaSU_SV_EUlSU_E_NS1_11comp_targetILNS1_3genE4ELNS1_11target_archE910ELNS1_3gpuE8ELNS1_3repE0EEENS1_30default_config_static_selectorELNS0_4arch9wavefront6targetE1EEEvT1_,comdat
	.protected	_ZN7rocprim17ROCPRIM_400000_NS6detail17trampoline_kernelINS0_14default_configENS1_27scan_by_key_config_selectorIjjEEZZNS1_16scan_by_key_implILNS1_25lookback_scan_determinismE0ELb0ES3_N6thrust23THRUST_200600_302600_NS6detail15normal_iteratorINS9_10device_ptrIjEEEESE_SE_jNS9_4plusIvEENS9_8equal_toIvEEjEE10hipError_tPvRmT2_T3_T4_T5_mT6_T7_P12ihipStream_tbENKUlT_T0_E_clISt17integral_constantIbLb0EESY_IbLb1EEEEDaSU_SV_EUlSU_E_NS1_11comp_targetILNS1_3genE4ELNS1_11target_archE910ELNS1_3gpuE8ELNS1_3repE0EEENS1_30default_config_static_selectorELNS0_4arch9wavefront6targetE1EEEvT1_ ; -- Begin function _ZN7rocprim17ROCPRIM_400000_NS6detail17trampoline_kernelINS0_14default_configENS1_27scan_by_key_config_selectorIjjEEZZNS1_16scan_by_key_implILNS1_25lookback_scan_determinismE0ELb0ES3_N6thrust23THRUST_200600_302600_NS6detail15normal_iteratorINS9_10device_ptrIjEEEESE_SE_jNS9_4plusIvEENS9_8equal_toIvEEjEE10hipError_tPvRmT2_T3_T4_T5_mT6_T7_P12ihipStream_tbENKUlT_T0_E_clISt17integral_constantIbLb0EESY_IbLb1EEEEDaSU_SV_EUlSU_E_NS1_11comp_targetILNS1_3genE4ELNS1_11target_archE910ELNS1_3gpuE8ELNS1_3repE0EEENS1_30default_config_static_selectorELNS0_4arch9wavefront6targetE1EEEvT1_
	.globl	_ZN7rocprim17ROCPRIM_400000_NS6detail17trampoline_kernelINS0_14default_configENS1_27scan_by_key_config_selectorIjjEEZZNS1_16scan_by_key_implILNS1_25lookback_scan_determinismE0ELb0ES3_N6thrust23THRUST_200600_302600_NS6detail15normal_iteratorINS9_10device_ptrIjEEEESE_SE_jNS9_4plusIvEENS9_8equal_toIvEEjEE10hipError_tPvRmT2_T3_T4_T5_mT6_T7_P12ihipStream_tbENKUlT_T0_E_clISt17integral_constantIbLb0EESY_IbLb1EEEEDaSU_SV_EUlSU_E_NS1_11comp_targetILNS1_3genE4ELNS1_11target_archE910ELNS1_3gpuE8ELNS1_3repE0EEENS1_30default_config_static_selectorELNS0_4arch9wavefront6targetE1EEEvT1_
	.p2align	8
	.type	_ZN7rocprim17ROCPRIM_400000_NS6detail17trampoline_kernelINS0_14default_configENS1_27scan_by_key_config_selectorIjjEEZZNS1_16scan_by_key_implILNS1_25lookback_scan_determinismE0ELb0ES3_N6thrust23THRUST_200600_302600_NS6detail15normal_iteratorINS9_10device_ptrIjEEEESE_SE_jNS9_4plusIvEENS9_8equal_toIvEEjEE10hipError_tPvRmT2_T3_T4_T5_mT6_T7_P12ihipStream_tbENKUlT_T0_E_clISt17integral_constantIbLb0EESY_IbLb1EEEEDaSU_SV_EUlSU_E_NS1_11comp_targetILNS1_3genE4ELNS1_11target_archE910ELNS1_3gpuE8ELNS1_3repE0EEENS1_30default_config_static_selectorELNS0_4arch9wavefront6targetE1EEEvT1_,@function
_ZN7rocprim17ROCPRIM_400000_NS6detail17trampoline_kernelINS0_14default_configENS1_27scan_by_key_config_selectorIjjEEZZNS1_16scan_by_key_implILNS1_25lookback_scan_determinismE0ELb0ES3_N6thrust23THRUST_200600_302600_NS6detail15normal_iteratorINS9_10device_ptrIjEEEESE_SE_jNS9_4plusIvEENS9_8equal_toIvEEjEE10hipError_tPvRmT2_T3_T4_T5_mT6_T7_P12ihipStream_tbENKUlT_T0_E_clISt17integral_constantIbLb0EESY_IbLb1EEEEDaSU_SV_EUlSU_E_NS1_11comp_targetILNS1_3genE4ELNS1_11target_archE910ELNS1_3gpuE8ELNS1_3repE0EEENS1_30default_config_static_selectorELNS0_4arch9wavefront6targetE1EEEvT1_: ; @_ZN7rocprim17ROCPRIM_400000_NS6detail17trampoline_kernelINS0_14default_configENS1_27scan_by_key_config_selectorIjjEEZZNS1_16scan_by_key_implILNS1_25lookback_scan_determinismE0ELb0ES3_N6thrust23THRUST_200600_302600_NS6detail15normal_iteratorINS9_10device_ptrIjEEEESE_SE_jNS9_4plusIvEENS9_8equal_toIvEEjEE10hipError_tPvRmT2_T3_T4_T5_mT6_T7_P12ihipStream_tbENKUlT_T0_E_clISt17integral_constantIbLb0EESY_IbLb1EEEEDaSU_SV_EUlSU_E_NS1_11comp_targetILNS1_3genE4ELNS1_11target_archE910ELNS1_3gpuE8ELNS1_3repE0EEENS1_30default_config_static_selectorELNS0_4arch9wavefront6targetE1EEEvT1_
; %bb.0:
	s_load_dwordx4 s[56:59], s[4:5], 0x28
	s_load_dwordx2 s[60:61], s[4:5], 0x38
	v_cmp_ne_u32_e64 s[36:37], 0, v0
	v_cmp_eq_u32_e64 s[0:1], 0, v0
	s_and_saveexec_b64 s[2:3], s[0:1]
	s_cbranch_execz .LBB1859_4
; %bb.1:
	s_mov_b64 s[8:9], exec
	v_mbcnt_lo_u32_b32 v1, s8, 0
	v_mbcnt_hi_u32_b32 v1, s9, v1
	v_cmp_eq_u32_e32 vcc, 0, v1
                                        ; implicit-def: $vgpr2
	s_and_saveexec_b64 s[6:7], vcc
	s_cbranch_execz .LBB1859_3
; %bb.2:
	s_load_dwordx2 s[10:11], s[4:5], 0x68
	s_bcnt1_i32_b64 s8, s[8:9]
	v_mov_b32_e32 v2, 0
	v_mov_b32_e32 v3, s8
	s_waitcnt lgkmcnt(0)
	global_atomic_add v2, v2, v3, s[10:11] glc
.LBB1859_3:
	s_or_b64 exec, exec, s[6:7]
	s_waitcnt vmcnt(0)
	v_readfirstlane_b32 s6, v2
	v_add_u32_e32 v1, s6, v1
	v_mov_b32_e32 v2, 0
	ds_write_b32 v2, v1
.LBB1859_4:
	s_or_b64 exec, exec, s[2:3]
	s_load_dwordx8 s[40:47], s[4:5], 0x0
	s_load_dword s2, s[4:5], 0x40
	s_load_dwordx8 s[48:55], s[4:5], 0x48
	v_mov_b32_e32 v1, 0
	s_waitcnt lgkmcnt(0)
	s_barrier
	ds_read_b32 v1, v1
	s_lshl_b64 s[38:39], s[42:43], 2
	s_add_u32 s4, s40, s38
	s_addc_u32 s5, s41, s39
	s_add_u32 s6, s44, s38
	s_mul_i32 s3, s61, s2
	s_mul_hi_u32 s8, s60, s2
	s_addc_u32 s7, s45, s39
	s_add_i32 s8, s8, s3
	s_waitcnt lgkmcnt(0)
	v_readfirstlane_b32 s59, v1
	s_mul_i32 s9, s60, s2
	s_cmp_lg_u64 s[52:53], 0
	s_mov_b32 s3, 0
	s_mul_i32 s2, s59, 0xe00
	s_cselect_b64 s[44:45], -1, 0
	s_lshl_b64 s[40:41], s[2:3], 2
	s_add_u32 s42, s4, s40
	s_addc_u32 s43, s5, s41
	s_add_u32 s62, s6, s40
	s_addc_u32 s63, s7, s41
	;; [unrolled: 2-line block ×3, first 2 shown]
	s_add_u32 s4, s48, -1
	s_addc_u32 s5, s49, -1
	v_pk_mov_b32 v[2:3], s[4:5], s[4:5] op_sel:[0,1]
	v_cmp_ge_u64_e64 s[2:3], s[52:53], v[2:3]
	s_mov_b64 s[18:19], 0
	s_mov_b64 s[12:13], -1
	s_and_b64 vcc, exec, s[2:3]
	s_mul_i32 s33, s4, 0xfffff200
	s_barrier
	s_barrier
	s_cbranch_vccz .LBB1859_81
; %bb.5:
	v_pk_mov_b32 v[2:3], s[42:43], s[42:43] op_sel:[0,1]
	flat_load_dword v1, v[2:3]
	s_add_i32 s64, s33, s58
	v_cmp_gt_u32_e64 s[6:7], s64, v0
	s_waitcnt vmcnt(0) lgkmcnt(0)
	v_mov_b32_e32 v13, v1
	s_and_saveexec_b64 s[4:5], s[6:7]
	s_cbranch_execz .LBB1859_7
; %bb.6:
	v_lshlrev_b32_e32 v2, 2, v0
	v_mov_b32_e32 v3, s43
	v_add_co_u32_e32 v2, vcc, s42, v2
	v_addc_co_u32_e32 v3, vcc, 0, v3, vcc
	flat_load_dword v13, v[2:3]
.LBB1859_7:
	s_or_b64 exec, exec, s[4:5]
	v_or_b32_e32 v2, 0x100, v0
	v_cmp_gt_u32_e64 s[8:9], s64, v2
	v_mov_b32_e32 v14, v1
	s_and_saveexec_b64 s[4:5], s[8:9]
	s_cbranch_execz .LBB1859_9
; %bb.8:
	v_lshlrev_b32_e32 v2, 2, v0
	v_mov_b32_e32 v3, s43
	v_add_co_u32_e32 v2, vcc, s42, v2
	v_addc_co_u32_e32 v3, vcc, 0, v3, vcc
	flat_load_dword v14, v[2:3] offset:1024
.LBB1859_9:
	s_or_b64 exec, exec, s[4:5]
	v_or_b32_e32 v2, 0x200, v0
	v_cmp_gt_u32_e64 s[10:11], s64, v2
	v_mov_b32_e32 v15, v1
	s_and_saveexec_b64 s[4:5], s[10:11]
	s_cbranch_execz .LBB1859_11
; %bb.10:
	v_lshlrev_b32_e32 v2, 2, v0
	v_mov_b32_e32 v3, s43
	v_add_co_u32_e32 v2, vcc, s42, v2
	v_addc_co_u32_e32 v3, vcc, 0, v3, vcc
	flat_load_dword v15, v[2:3] offset:2048
.LBB1859_11:
	;; [unrolled: 13-line block ×3, first 2 shown]
	s_or_b64 exec, exec, s[4:5]
	v_or_b32_e32 v2, 0x400, v0
	v_cmp_gt_u32_e64 s[14:15], s64, v2
	v_lshlrev_b32_e32 v2, 2, v2
	v_mov_b32_e32 v17, v1
	s_and_saveexec_b64 s[4:5], s[14:15]
	s_cbranch_execz .LBB1859_15
; %bb.14:
	v_mov_b32_e32 v3, s43
	v_add_co_u32_e32 v4, vcc, s42, v2
	v_addc_co_u32_e32 v5, vcc, 0, v3, vcc
	flat_load_dword v17, v[4:5]
.LBB1859_15:
	s_or_b64 exec, exec, s[4:5]
	v_or_b32_e32 v3, 0x500, v0
	v_cmp_gt_u32_e64 s[16:17], s64, v3
	v_lshlrev_b32_e32 v3, 2, v3
	v_mov_b32_e32 v18, v1
	s_and_saveexec_b64 s[4:5], s[16:17]
	s_cbranch_execz .LBB1859_17
; %bb.16:
	v_mov_b32_e32 v5, s43
	v_add_co_u32_e32 v4, vcc, s42, v3
	v_addc_co_u32_e32 v5, vcc, 0, v5, vcc
	flat_load_dword v18, v[4:5]
.LBB1859_17:
	;; [unrolled: 13-line block ×9, first 2 shown]
	s_or_b64 exec, exec, s[4:5]
	v_or_b32_e32 v11, 0xd00, v0
	v_cmp_gt_u32_e64 s[34:35], s64, v11
	v_lshlrev_b32_e32 v11, 2, v11
	s_and_saveexec_b64 s[4:5], s[34:35]
	s_cbranch_execz .LBB1859_33
; %bb.32:
	v_mov_b32_e32 v1, s43
	v_add_co_u32_e32 v26, vcc, s42, v11
	v_addc_co_u32_e32 v27, vcc, 0, v1, vcc
	flat_load_dword v1, v[26:27]
.LBB1859_33:
	s_or_b64 exec, exec, s[4:5]
	v_lshlrev_b32_e32 v12, 2, v0
	s_waitcnt vmcnt(0) lgkmcnt(0)
	ds_write2st64_b32 v12, v13, v14 offset1:4
	ds_write2st64_b32 v12, v15, v16 offset0:8 offset1:12
	ds_write2st64_b32 v12, v17, v18 offset0:16 offset1:20
	;; [unrolled: 1-line block ×6, first 2 shown]
	v_mad_u32_u24 v1, v0, 52, v12
	s_waitcnt lgkmcnt(0)
	s_barrier
	ds_read2_b64 v[34:37], v1 offset1:1
	ds_read2_b64 v[30:33], v1 offset0:2 offset1:3
	ds_read2_b64 v[26:29], v1 offset0:4 offset1:5
	ds_read_b64 v[40:41], v1 offset:48
	s_cmp_eq_u64 s[52:53], 0
	s_mov_b64 s[4:5], s[42:43]
	s_cbranch_scc1 .LBB1859_37
; %bb.34:
	s_andn2_b64 vcc, exec, s[44:45]
	s_cbranch_vccnz .LBB1859_183
; %bb.35:
	s_lshl_b64 s[4:5], s[52:53], 2
	s_add_u32 s4, s54, s4
	s_addc_u32 s5, s55, s5
	s_add_u32 s4, s4, -4
	s_addc_u32 s5, s5, -1
	s_cbranch_execnz .LBB1859_37
.LBB1859_36:
	s_add_u32 s4, s42, -4
	s_addc_u32 s5, s43, -1
.LBB1859_37:
	v_pk_mov_b32 v[14:15], s[4:5], s[4:5] op_sel:[0,1]
	flat_load_dword v44, v[14:15]
	s_movk_i32 s4, 0xffcc
	v_mad_i32_i24 v13, v0, s4, v1
	s_waitcnt lgkmcnt(0)
	ds_write_b32 v13, v41 offset:14336
	s_waitcnt lgkmcnt(0)
	s_barrier
	s_and_saveexec_b64 s[4:5], s[36:37]
	s_cbranch_execz .LBB1859_39
; %bb.38:
	v_mul_i32_i24_e32 v13, 0xffffffcc, v0
	v_add_u32_e32 v13, v1, v13
	s_waitcnt vmcnt(0)
	ds_read_b32 v44, v13 offset:14332
.LBB1859_39:
	s_or_b64 exec, exec, s[4:5]
	s_waitcnt lgkmcnt(0)
	s_barrier
	s_waitcnt lgkmcnt(0)
                                        ; implicit-def: $vgpr13
	s_and_saveexec_b64 s[4:5], s[6:7]
	s_cbranch_execnz .LBB1859_170
; %bb.40:
	s_or_b64 exec, exec, s[4:5]
                                        ; implicit-def: $vgpr14
	s_and_saveexec_b64 s[4:5], s[8:9]
	s_cbranch_execnz .LBB1859_171
.LBB1859_41:
	s_or_b64 exec, exec, s[4:5]
                                        ; implicit-def: $vgpr15
	s_and_saveexec_b64 s[4:5], s[10:11]
	s_cbranch_execnz .LBB1859_172
.LBB1859_42:
	s_or_b64 exec, exec, s[4:5]
                                        ; implicit-def: $vgpr16
	s_and_saveexec_b64 s[4:5], s[12:13]
	s_cbranch_execnz .LBB1859_173
.LBB1859_43:
	s_or_b64 exec, exec, s[4:5]
                                        ; implicit-def: $vgpr17
	s_and_saveexec_b64 s[4:5], s[14:15]
	s_cbranch_execnz .LBB1859_174
.LBB1859_44:
	s_or_b64 exec, exec, s[4:5]
                                        ; implicit-def: $vgpr2
	s_and_saveexec_b64 s[4:5], s[16:17]
	s_cbranch_execnz .LBB1859_175
.LBB1859_45:
	s_or_b64 exec, exec, s[4:5]
                                        ; implicit-def: $vgpr3
	s_and_saveexec_b64 s[4:5], s[18:19]
	s_cbranch_execnz .LBB1859_176
.LBB1859_46:
	s_or_b64 exec, exec, s[4:5]
                                        ; implicit-def: $vgpr4
	s_and_saveexec_b64 s[4:5], s[20:21]
	s_cbranch_execnz .LBB1859_177
.LBB1859_47:
	s_or_b64 exec, exec, s[4:5]
                                        ; implicit-def: $vgpr5
	s_and_saveexec_b64 s[4:5], s[22:23]
	s_cbranch_execnz .LBB1859_178
.LBB1859_48:
	s_or_b64 exec, exec, s[4:5]
                                        ; implicit-def: $vgpr6
	s_and_saveexec_b64 s[4:5], s[24:25]
	s_cbranch_execnz .LBB1859_179
.LBB1859_49:
	s_or_b64 exec, exec, s[4:5]
                                        ; implicit-def: $vgpr7
	s_and_saveexec_b64 s[4:5], s[26:27]
	s_cbranch_execnz .LBB1859_180
.LBB1859_50:
	s_or_b64 exec, exec, s[4:5]
                                        ; implicit-def: $vgpr8
	s_and_saveexec_b64 s[4:5], s[28:29]
	s_cbranch_execnz .LBB1859_181
.LBB1859_51:
	s_or_b64 exec, exec, s[4:5]
                                        ; implicit-def: $vgpr9
	s_and_saveexec_b64 s[4:5], s[30:31]
	s_cbranch_execnz .LBB1859_182
.LBB1859_52:
	s_or_b64 exec, exec, s[4:5]
                                        ; implicit-def: $vgpr10
	s_and_saveexec_b64 s[4:5], s[34:35]
	s_cbranch_execz .LBB1859_54
.LBB1859_53:
	v_mov_b32_e32 v18, s63
	v_add_co_u32_e32 v10, vcc, s62, v11
	v_addc_co_u32_e32 v11, vcc, 0, v18, vcc
	flat_load_dword v10, v[10:11]
.LBB1859_54:
	s_or_b64 exec, exec, s[4:5]
	s_mov_b32 s4, 0
	s_mov_b32 s5, s4
	s_waitcnt vmcnt(0) lgkmcnt(0)
	ds_write2st64_b32 v12, v13, v14 offset1:4
	ds_write2st64_b32 v12, v15, v16 offset0:8 offset1:12
	ds_write2st64_b32 v12, v17, v2 offset0:16 offset1:20
	ds_write2st64_b32 v12, v3, v4 offset0:24 offset1:28
	ds_write2st64_b32 v12, v5, v6 offset0:32 offset1:36
	ds_write2st64_b32 v12, v7, v8 offset0:40 offset1:44
	ds_write2st64_b32 v12, v9, v10 offset0:48 offset1:52
	s_mov_b32 s6, s4
	s_mov_b32 s7, s4
	;; [unrolled: 1-line block ×6, first 2 shown]
	v_pk_mov_b32 v[2:3], s[4:5], s[4:5] op_sel:[0,1]
	v_pk_mov_b32 v[8:9], s[10:11], s[10:11] op_sel:[0,1]
	v_mul_u32_u24_e32 v42, 14, v0
	v_pk_mov_b32 v[4:5], s[6:7], s[6:7] op_sel:[0,1]
	v_pk_mov_b32 v[6:7], s[8:9], s[8:9] op_sel:[0,1]
	;; [unrolled: 1-line block ×4, first 2 shown]
	v_cmp_gt_u32_e32 vcc, s64, v42
	s_mov_b64 s[12:13], 0
	v_pk_mov_b32 v[38:39], 0, 0
	s_mov_b64 s[18:19], 0
	v_pk_mov_b32 v[14:15], v[6:7], v[6:7] op_sel:[0,1]
	v_pk_mov_b32 v[12:13], v[4:5], v[4:5] op_sel:[0,1]
	;; [unrolled: 1-line block ×6, first 2 shown]
	s_waitcnt lgkmcnt(0)
	s_barrier
	s_waitcnt lgkmcnt(0)
                                        ; implicit-def: $sgpr16_sgpr17
                                        ; implicit-def: $vgpr43
	s_and_saveexec_b64 s[14:15], vcc
	s_cbranch_execz .LBB1859_80
; %bb.55:
	v_or_b32_e32 v2, 1, v42
	ds_read_b32 v38, v1
	v_cmp_ne_u32_e32 vcc, v44, v34
	v_cndmask_b32_e64 v39, 0, 1, vcc
	v_cmp_gt_u32_e32 vcc, s64, v2
	v_pk_mov_b32 v[2:3], s[4:5], s[4:5] op_sel:[0,1]
	v_pk_mov_b32 v[8:9], s[10:11], s[10:11] op_sel:[0,1]
	;; [unrolled: 1-line block ×12, first 2 shown]
                                        ; implicit-def: $sgpr4_sgpr5
                                        ; implicit-def: $vgpr43
	s_and_saveexec_b64 s[16:17], vcc
	s_cbranch_execz .LBB1859_79
; %bb.56:
	ds_read2_b32 v[44:45], v1 offset0:1 offset1:2
	s_mov_b32 s4, 0
	s_mov_b32 s10, s4
	;; [unrolled: 1-line block ×8, first 2 shown]
	v_pk_mov_b32 v[16:17], s[10:11], s[10:11] op_sel:[0,1]
	v_add_u32_e32 v2, 2, v42
	v_cmp_ne_u32_e32 vcc, v34, v35
	v_mov_b32_e32 v6, 0
	v_pk_mov_b32 v[14:15], s[8:9], s[8:9] op_sel:[0,1]
	v_pk_mov_b32 v[12:13], s[6:7], s[6:7] op_sel:[0,1]
	;; [unrolled: 1-line block ×4, first 2 shown]
	v_cndmask_b32_e64 v3, 0, 1, vcc
	v_cmp_gt_u32_e32 vcc, s64, v2
	s_waitcnt lgkmcnt(0)
	v_mov_b32_e32 v2, v44
	v_mov_b32_e32 v4, v6
	;; [unrolled: 1-line block ×6, first 2 shown]
	s_mov_b64 s[20:21], 0
	v_pk_mov_b32 v[22:23], v[14:15], v[14:15] op_sel:[0,1]
	v_pk_mov_b32 v[20:21], v[12:13], v[12:13] op_sel:[0,1]
	;; [unrolled: 1-line block ×3, first 2 shown]
                                        ; implicit-def: $sgpr24_sgpr25
                                        ; implicit-def: $vgpr43
	s_and_saveexec_b64 s[18:19], vcc
	s_cbranch_execz .LBB1859_78
; %bb.57:
	v_pk_mov_b32 v[16:17], s[10:11], s[10:11] op_sel:[0,1]
	v_add_u32_e32 v2, 3, v42
	v_cmp_ne_u32_e32 vcc, v35, v36
	v_pk_mov_b32 v[14:15], s[8:9], s[8:9] op_sel:[0,1]
	v_pk_mov_b32 v[12:13], s[6:7], s[6:7] op_sel:[0,1]
	v_pk_mov_b32 v[10:11], s[4:5], s[4:5] op_sel:[0,1]
	v_pk_mov_b32 v[24:25], v[16:17], v[16:17] op_sel:[0,1]
	v_cndmask_b32_e64 v5, 0, 1, vcc
	v_cmp_gt_u32_e32 vcc, s64, v2
	v_mov_b32_e32 v2, v44
	v_mov_b32_e32 v4, v45
	;; [unrolled: 1-line block ×5, first 2 shown]
	s_mov_b64 s[22:23], 0
	v_pk_mov_b32 v[22:23], v[14:15], v[14:15] op_sel:[0,1]
	v_pk_mov_b32 v[20:21], v[12:13], v[12:13] op_sel:[0,1]
	;; [unrolled: 1-line block ×3, first 2 shown]
                                        ; implicit-def: $sgpr4_sgpr5
                                        ; implicit-def: $vgpr43
	s_and_saveexec_b64 s[20:21], vcc
	s_cbranch_execz .LBB1859_77
; %bb.58:
	ds_read2_b32 v[34:35], v1 offset0:3 offset1:4
	s_mov_b32 s4, 0
	s_mov_b32 s10, s4
	;; [unrolled: 1-line block ×8, first 2 shown]
	v_pk_mov_b32 v[16:17], s[10:11], s[10:11] op_sel:[0,1]
	v_add_u32_e32 v6, 4, v42
	v_cmp_ne_u32_e32 vcc, v36, v37
	v_pk_mov_b32 v[14:15], s[8:9], s[8:9] op_sel:[0,1]
	v_pk_mov_b32 v[12:13], s[6:7], s[6:7] op_sel:[0,1]
	;; [unrolled: 1-line block ×4, first 2 shown]
	v_cndmask_b32_e64 v7, 0, 1, vcc
	v_cmp_gt_u32_e32 vcc, s64, v6
	s_waitcnt lgkmcnt(0)
	v_mov_b32_e32 v6, v34
	v_mov_b32_e32 v8, s4
	v_mov_b32_e32 v9, s4
	s_mov_b64 s[24:25], 0
	v_pk_mov_b32 v[22:23], v[14:15], v[14:15] op_sel:[0,1]
	v_pk_mov_b32 v[20:21], v[12:13], v[12:13] op_sel:[0,1]
	;; [unrolled: 1-line block ×3, first 2 shown]
                                        ; implicit-def: $sgpr26_sgpr27
                                        ; implicit-def: $vgpr43
	s_and_saveexec_b64 s[22:23], vcc
	s_cbranch_execz .LBB1859_76
; %bb.59:
	v_pk_mov_b32 v[16:17], s[10:11], s[10:11] op_sel:[0,1]
	v_add_u32_e32 v8, 5, v42
	v_cmp_ne_u32_e32 vcc, v37, v30
	v_pk_mov_b32 v[14:15], s[8:9], s[8:9] op_sel:[0,1]
	v_pk_mov_b32 v[12:13], s[6:7], s[6:7] op_sel:[0,1]
	;; [unrolled: 1-line block ×4, first 2 shown]
	v_cndmask_b32_e64 v9, 0, 1, vcc
	v_cmp_gt_u32_e32 vcc, s64, v8
	v_mov_b32_e32 v8, v35
	s_mov_b64 s[28:29], 0
	v_pk_mov_b32 v[22:23], v[14:15], v[14:15] op_sel:[0,1]
	v_pk_mov_b32 v[20:21], v[12:13], v[12:13] op_sel:[0,1]
	;; [unrolled: 1-line block ×3, first 2 shown]
                                        ; implicit-def: $sgpr4_sgpr5
                                        ; implicit-def: $vgpr43
	s_and_saveexec_b64 s[24:25], vcc
	s_cbranch_execz .LBB1859_75
; %bb.60:
	ds_read2_b32 v[34:35], v1 offset0:5 offset1:6
	s_mov_b32 s4, 0
	s_mov_b32 s10, s4
	;; [unrolled: 1-line block ×3, first 2 shown]
	v_add_u32_e32 v10, 6, v42
	v_cmp_ne_u32_e32 vcc, v30, v31
	v_mov_b32_e32 v14, 0
	s_mov_b32 s5, s4
	s_mov_b32 s6, s4
	;; [unrolled: 1-line block ×5, first 2 shown]
	v_pk_mov_b32 v[24:25], s[10:11], s[10:11] op_sel:[0,1]
	v_cndmask_b32_e64 v11, 0, 1, vcc
	v_cmp_gt_u32_e32 vcc, s64, v10
	s_waitcnt lgkmcnt(0)
	v_mov_b32_e32 v10, v34
	v_mov_b32_e32 v12, v14
	v_mov_b32_e32 v13, v14
	v_mov_b32_e32 v15, v14
	v_mov_b32_e32 v16, v14
	v_mov_b32_e32 v17, v14
	v_pk_mov_b32 v[22:23], s[8:9], s[8:9] op_sel:[0,1]
	v_pk_mov_b32 v[20:21], s[6:7], s[6:7] op_sel:[0,1]
	;; [unrolled: 1-line block ×3, first 2 shown]
                                        ; implicit-def: $sgpr34_sgpr35
                                        ; implicit-def: $vgpr43
	s_and_saveexec_b64 s[26:27], vcc
	s_cbranch_execz .LBB1859_74
; %bb.61:
	v_add_u32_e32 v10, 7, v42
	v_cmp_ne_u32_e32 vcc, v31, v32
	v_pk_mov_b32 v[24:25], s[10:11], s[10:11] op_sel:[0,1]
	v_cndmask_b32_e64 v13, 0, 1, vcc
	v_cmp_gt_u32_e32 vcc, s64, v10
	v_mov_b32_e32 v10, v34
	v_mov_b32_e32 v12, v35
	;; [unrolled: 1-line block ×5, first 2 shown]
	s_mov_b64 s[30:31], 0
	v_pk_mov_b32 v[22:23], s[8:9], s[8:9] op_sel:[0,1]
	v_pk_mov_b32 v[20:21], s[6:7], s[6:7] op_sel:[0,1]
	v_pk_mov_b32 v[18:19], s[4:5], s[4:5] op_sel:[0,1]
                                        ; implicit-def: $sgpr4_sgpr5
                                        ; implicit-def: $vgpr43
	s_and_saveexec_b64 s[28:29], vcc
	s_cbranch_execz .LBB1859_73
; %bb.62:
	ds_read2_b32 v[30:31], v1 offset0:7 offset1:8
	s_mov_b32 s4, 0
	s_mov_b32 s10, s4
	;; [unrolled: 1-line block ×3, first 2 shown]
	v_add_u32_e32 v14, 8, v42
	v_cmp_ne_u32_e32 vcc, v32, v33
	s_mov_b32 s5, s4
	s_mov_b32 s6, s4
	;; [unrolled: 1-line block ×5, first 2 shown]
	v_pk_mov_b32 v[24:25], s[10:11], s[10:11] op_sel:[0,1]
	v_cndmask_b32_e64 v15, 0, 1, vcc
	v_cmp_gt_u32_e32 vcc, s64, v14
	s_waitcnt lgkmcnt(0)
	v_mov_b32_e32 v14, v30
	v_mov_b32_e32 v16, s4
	;; [unrolled: 1-line block ×3, first 2 shown]
	s_mov_b64 s[34:35], 0
	v_pk_mov_b32 v[22:23], s[8:9], s[8:9] op_sel:[0,1]
	v_pk_mov_b32 v[20:21], s[6:7], s[6:7] op_sel:[0,1]
	;; [unrolled: 1-line block ×3, first 2 shown]
                                        ; implicit-def: $sgpr48_sgpr49
                                        ; implicit-def: $vgpr43
	s_and_saveexec_b64 s[30:31], vcc
	s_cbranch_execz .LBB1859_72
; %bb.63:
	v_add_u32_e32 v16, 9, v42
	v_cmp_ne_u32_e32 vcc, v33, v26
	v_pk_mov_b32 v[24:25], s[10:11], s[10:11] op_sel:[0,1]
	v_cndmask_b32_e64 v17, 0, 1, vcc
	v_cmp_gt_u32_e32 vcc, s64, v16
	v_mov_b32_e32 v16, v31
	v_pk_mov_b32 v[22:23], s[8:9], s[8:9] op_sel:[0,1]
	v_pk_mov_b32 v[20:21], s[6:7], s[6:7] op_sel:[0,1]
	;; [unrolled: 1-line block ×3, first 2 shown]
                                        ; implicit-def: $sgpr8_sgpr9
                                        ; implicit-def: $vgpr43
	s_and_saveexec_b64 s[6:7], vcc
	s_cbranch_execz .LBB1859_71
; %bb.64:
	ds_read2_b32 v[30:31], v1 offset0:9 offset1:10
	v_add_u32_e32 v18, 10, v42
	v_cmp_ne_u32_e32 vcc, v26, v27
	v_mov_b32_e32 v22, 0
	v_cndmask_b32_e64 v19, 0, 1, vcc
	v_cmp_gt_u32_e32 vcc, s64, v18
	s_waitcnt lgkmcnt(0)
	v_mov_b32_e32 v18, v30
	v_mov_b32_e32 v20, v22
	;; [unrolled: 1-line block ×6, first 2 shown]
	s_mov_b64 s[4:5], 0
                                        ; implicit-def: $sgpr10_sgpr11
                                        ; implicit-def: $vgpr43
	s_and_saveexec_b64 s[8:9], vcc
	s_cbranch_execz .LBB1859_70
; %bb.65:
	v_add_u32_e32 v18, 11, v42
	v_cmp_ne_u32_e32 vcc, v27, v28
	v_cndmask_b32_e64 v21, 0, 1, vcc
	v_cmp_gt_u32_e32 vcc, s64, v18
	s_mov_b32 s48, 0
	v_mov_b32_e32 v18, v30
	v_mov_b32_e32 v20, v31
	;; [unrolled: 1-line block ×5, first 2 shown]
                                        ; implicit-def: $sgpr34_sgpr35
                                        ; implicit-def: $vgpr43
	s_and_saveexec_b64 s[10:11], vcc
	s_cbranch_execz .LBB1859_69
; %bb.66:
	ds_read2_b32 v[26:27], v1 offset0:11 offset1:12
	v_add_u32_e32 v22, 12, v42
	v_cmp_ne_u32_e32 vcc, v28, v29
	v_cndmask_b32_e64 v23, 0, 1, vcc
	v_cmp_gt_u32_e32 vcc, s64, v22
	s_waitcnt lgkmcnt(0)
	v_mov_b32_e32 v22, v26
	v_mov_b32_e32 v24, s48
	v_mov_b32_e32 v25, s48
                                        ; implicit-def: $sgpr34_sgpr35
                                        ; implicit-def: $vgpr43
	s_and_saveexec_b64 s[48:49], vcc
	s_xor_b64 s[48:49], exec, s[48:49]
	s_cbranch_execz .LBB1859_68
; %bb.67:
	ds_read_b32 v43, v1 offset:52
	v_add_u32_e32 v1, 13, v42
	v_cmp_ne_u32_e64 s[4:5], v29, v40
	v_cmp_ne_u32_e32 vcc, v40, v41
	v_cndmask_b32_e64 v25, 0, 1, s[4:5]
	v_cmp_gt_u32_e64 s[4:5], s64, v1
	v_mov_b32_e32 v24, v27
	s_and_b64 s[34:35], vcc, exec
	s_and_b64 s[4:5], s[4:5], exec
.LBB1859_68:
	s_or_b64 exec, exec, s[48:49]
	s_and_b64 s[34:35], s[34:35], exec
	s_and_b64 s[4:5], s[4:5], exec
.LBB1859_69:
	s_or_b64 exec, exec, s[10:11]
	s_and_b64 s[10:11], s[34:35], exec
	s_and_b64 s[4:5], s[4:5], exec
.LBB1859_70:
	s_or_b64 exec, exec, s[8:9]
	s_and_b64 s[8:9], s[10:11], exec
	s_and_b64 s[34:35], s[4:5], exec
.LBB1859_71:
	s_or_b64 exec, exec, s[6:7]
	s_and_b64 s[48:49], s[8:9], exec
	s_and_b64 s[34:35], s[34:35], exec
.LBB1859_72:
	s_or_b64 exec, exec, s[30:31]
	s_and_b64 s[4:5], s[48:49], exec
	s_and_b64 s[30:31], s[34:35], exec
.LBB1859_73:
	s_or_b64 exec, exec, s[28:29]
	s_and_b64 s[34:35], s[4:5], exec
	s_and_b64 s[28:29], s[30:31], exec
.LBB1859_74:
	s_or_b64 exec, exec, s[26:27]
	s_and_b64 s[4:5], s[34:35], exec
	s_and_b64 s[28:29], s[28:29], exec
.LBB1859_75:
	s_or_b64 exec, exec, s[24:25]
	s_and_b64 s[26:27], s[4:5], exec
	s_and_b64 s[24:25], s[28:29], exec
.LBB1859_76:
	s_or_b64 exec, exec, s[22:23]
	s_and_b64 s[4:5], s[26:27], exec
	s_and_b64 s[22:23], s[24:25], exec
.LBB1859_77:
	s_or_b64 exec, exec, s[20:21]
	s_and_b64 s[24:25], s[4:5], exec
	s_and_b64 s[20:21], s[22:23], exec
.LBB1859_78:
	s_or_b64 exec, exec, s[18:19]
	s_and_b64 s[4:5], s[24:25], exec
	s_and_b64 s[18:19], s[20:21], exec
.LBB1859_79:
	s_or_b64 exec, exec, s[16:17]
	s_and_b64 s[16:17], s[4:5], exec
	s_and_b64 s[18:19], s[18:19], exec
.LBB1859_80:
	s_or_b64 exec, exec, s[14:15]
	s_and_b64 vcc, exec, s[12:13]
	v_lshlrev_b32_e32 v50, 2, v0
	s_cbranch_vccnz .LBB1859_82
	s_branch .LBB1859_90
.LBB1859_81:
                                        ; implicit-def: $sgpr16_sgpr17
                                        ; implicit-def: $vgpr2_vgpr3_vgpr4_vgpr5_vgpr6_vgpr7_vgpr8_vgpr9
                                        ; implicit-def: $vgpr10_vgpr11_vgpr12_vgpr13_vgpr14_vgpr15_vgpr16_vgpr17
                                        ; implicit-def: $vgpr18_vgpr19_vgpr20_vgpr21_vgpr22_vgpr23_vgpr24_vgpr25
                                        ; implicit-def: $vgpr43
                                        ; implicit-def: $vgpr38_vgpr39
	s_and_b64 vcc, exec, s[12:13]
	v_lshlrev_b32_e32 v50, 2, v0
	s_cbranch_vccz .LBB1859_90
.LBB1859_82:
	v_mov_b32_e32 v1, s43
	v_add_co_u32_e32 v2, vcc, s42, v50
	v_addc_co_u32_e32 v3, vcc, 0, v1, vcc
	v_add_co_u32_e32 v4, vcc, 0x1000, v2
	v_addc_co_u32_e32 v5, vcc, 0, v3, vcc
	flat_load_dword v6, v[2:3]
	flat_load_dword v7, v[2:3] offset:1024
	flat_load_dword v8, v[2:3] offset:2048
	;; [unrolled: 1-line block ×3, first 2 shown]
	flat_load_dword v10, v[4:5]
	flat_load_dword v11, v[4:5] offset:1024
	flat_load_dword v12, v[4:5] offset:2048
	;; [unrolled: 1-line block ×3, first 2 shown]
	v_add_co_u32_e32 v4, vcc, 0x2000, v2
	v_addc_co_u32_e32 v5, vcc, 0, v3, vcc
	v_add_co_u32_e32 v2, vcc, 0x3000, v2
	v_addc_co_u32_e32 v3, vcc, 0, v3, vcc
	flat_load_dword v14, v[4:5]
	flat_load_dword v15, v[4:5] offset:1024
	flat_load_dword v16, v[4:5] offset:2048
	flat_load_dword v17, v[4:5] offset:3072
	flat_load_dword v18, v[2:3]
	flat_load_dword v19, v[2:3] offset:1024
	v_mad_u32_u24 v1, v0, 52, v50
	s_cmp_eq_u64 s[52:53], 0
	s_waitcnt vmcnt(0) lgkmcnt(0)
	ds_write2st64_b32 v50, v6, v7 offset1:4
	ds_write2st64_b32 v50, v8, v9 offset0:8 offset1:12
	ds_write2st64_b32 v50, v10, v11 offset0:16 offset1:20
	;; [unrolled: 1-line block ×6, first 2 shown]
	s_waitcnt lgkmcnt(0)
	s_barrier
	ds_read2_b64 v[2:5], v1 offset1:1
	ds_read2_b64 v[10:13], v1 offset0:2 offset1:3
	ds_read2_b64 v[18:21], v1 offset0:4 offset1:5
	ds_read_b64 v[6:7], v1 offset:48
	s_cbranch_scc1 .LBB1859_87
; %bb.83:
	s_andn2_b64 vcc, exec, s[44:45]
	s_cbranch_vccnz .LBB1859_184
; %bb.84:
	s_lshl_b64 s[4:5], s[52:53], 2
	s_add_u32 s4, s54, s4
	s_addc_u32 s5, s55, s5
	s_add_u32 s4, s4, -4
	s_addc_u32 s5, s5, -1
	s_cbranch_execnz .LBB1859_86
.LBB1859_85:
	s_add_u32 s4, s42, -4
	s_addc_u32 s5, s43, -1
.LBB1859_86:
	s_mov_b64 s[42:43], s[4:5]
.LBB1859_87:
	v_pk_mov_b32 v[8:9], s[42:43], s[42:43] op_sel:[0,1]
	flat_load_dword v8, v[8:9]
	s_movk_i32 s4, 0xffcc
	v_mad_i32_i24 v9, v0, s4, v1
	s_waitcnt lgkmcnt(0)
	ds_write_b32 v9, v7 offset:14336
	s_waitcnt lgkmcnt(0)
	s_barrier
	s_and_saveexec_b64 s[4:5], s[36:37]
	s_cbranch_execz .LBB1859_89
; %bb.88:
	s_waitcnt vmcnt(0)
	v_mul_i32_i24_e32 v8, 0xffffffcc, v0
	v_add_u32_e32 v8, v1, v8
	ds_read_b32 v8, v8 offset:14332
.LBB1859_89:
	s_or_b64 exec, exec, s[4:5]
	v_mov_b32_e32 v9, s63
	v_add_co_u32_e32 v14, vcc, s62, v50
	v_addc_co_u32_e32 v15, vcc, 0, v9, vcc
	s_movk_i32 s4, 0x1000
	v_add_co_u32_e32 v16, vcc, s4, v14
	v_addc_co_u32_e32 v17, vcc, 0, v15, vcc
	s_movk_i32 s4, 0x2000
	s_waitcnt lgkmcnt(0)
	s_barrier
	flat_load_dword v22, v[14:15]
	flat_load_dword v24, v[14:15] offset:1024
	flat_load_dword v26, v[14:15] offset:2048
	;; [unrolled: 1-line block ×3, first 2 shown]
	flat_load_dword v28, v[16:17]
	flat_load_dword v29, v[16:17] offset:1024
	flat_load_dword v30, v[16:17] offset:2048
	;; [unrolled: 1-line block ×3, first 2 shown]
	v_add_co_u32_e32 v16, vcc, s4, v14
	v_addc_co_u32_e32 v17, vcc, 0, v15, vcc
	s_movk_i32 s4, 0x3000
	v_add_co_u32_e32 v14, vcc, s4, v14
	v_addc_co_u32_e32 v15, vcc, 0, v15, vcc
	flat_load_dword v32, v[16:17]
	flat_load_dword v33, v[16:17] offset:1024
	flat_load_dword v34, v[16:17] offset:2048
	;; [unrolled: 1-line block ×3, first 2 shown]
	flat_load_dword v36, v[14:15]
	flat_load_dword v37, v[14:15] offset:1024
	s_waitcnt vmcnt(0)
	v_cmp_ne_u32_e32 vcc, v8, v2
	v_cndmask_b32_e64 v39, 0, 1, vcc
	v_cmp_ne_u32_e32 vcc, v5, v10
	v_cndmask_b32_e64 v9, 0, 1, vcc
	v_cmp_ne_u32_e32 vcc, v4, v5
	v_cmp_ne_u32_e64 s[16:17], v6, v7
	v_cndmask_b32_e64 v7, 0, 1, vcc
	v_cmp_ne_u32_e32 vcc, v3, v4
	v_cndmask_b32_e64 v5, 0, 1, vcc
	v_cmp_ne_u32_e32 vcc, v2, v3
	;; [unrolled: 2-line block ×10, first 2 shown]
	v_cndmask_b32_e64 v19, 0, 1, vcc
	s_mov_b64 s[18:19], -1
                                        ; implicit-def: $sgpr12_sgpr13
	s_waitcnt lgkmcnt(0)
	ds_write2st64_b32 v50, v22, v24 offset1:4
	ds_write2st64_b32 v50, v26, v27 offset0:8 offset1:12
	ds_write2st64_b32 v50, v28, v29 offset0:16 offset1:20
	;; [unrolled: 1-line block ×6, first 2 shown]
	s_waitcnt lgkmcnt(0)
	s_barrier
	ds_read2_b32 v[42:43], v1 offset1:13
	ds_read2_b32 v[26:27], v1 offset0:7 offset1:8
	ds_read2_b32 v[28:29], v1 offset0:5 offset1:6
	;; [unrolled: 1-line block ×6, first 2 shown]
	s_waitcnt lgkmcnt(6)
	v_mov_b32_e32 v38, v42
	s_waitcnt lgkmcnt(4)
	v_mov_b32_e32 v10, v28
	;; [unrolled: 2-line block ×4, first 2 shown]
	v_mov_b32_e32 v4, v33
	v_mov_b32_e32 v8, v31
	;; [unrolled: 1-line block ×5, first 2 shown]
	s_waitcnt lgkmcnt(0)
	v_mov_b32_e32 v18, v36
	v_mov_b32_e32 v20, v37
	;; [unrolled: 1-line block ×4, first 2 shown]
.LBB1859_90:
	v_pk_mov_b32 v[40:41], s[12:13], s[12:13] op_sel:[0,1]
	s_and_saveexec_b64 s[4:5], s[18:19]
	s_cbranch_execz .LBB1859_92
; %bb.91:
	v_cndmask_b32_e64 v41, 0, 1, s[16:17]
	s_waitcnt lgkmcnt(0)
	v_mov_b32_e32 v40, v43
.LBB1859_92:
	s_or_b64 exec, exec, s[4:5]
	s_mov_b32 s4, 0
	s_cmp_lg_u32 s59, 0
	v_mbcnt_lo_u32_b32 v52, -1, 0
	v_lshrrev_b32_e32 v1, 6, v0
	v_or_b32_e32 v51, 63, v0
	s_waitcnt lgkmcnt(0)
	s_barrier
	s_cbranch_scc0 .LBB1859_121
; %bb.93:
	s_mov_b32 s5, 1
	v_cmp_gt_u64_e64 s[6:7], s[4:5], v[2:3]
	v_cndmask_b32_e64 v27, 0, v38, s[6:7]
	v_add_u32_e32 v27, v27, v2
	v_cmp_gt_u64_e64 s[8:9], s[4:5], v[4:5]
	v_cndmask_b32_e64 v27, 0, v27, s[8:9]
	v_add_u32_e32 v27, v27, v4
	;; [unrolled: 3-line block ×13, first 2 shown]
	v_or3_b32 v27, v41, v25, v23
	v_or3_b32 v27, v27, v21, v19
	;; [unrolled: 1-line block ×6, first 2 shown]
	v_mov_b32_e32 v26, 0
	v_and_b32_e32 v27, 1, v27
	v_cmp_eq_u64_e32 vcc, 0, v[26:27]
	v_cndmask_b32_e32 v26, 1, v39, vcc
	v_mbcnt_hi_u32_b32 v46, -1, v52
	v_mov_b32_dpp v29, v28 row_shr:1 row_mask:0xf bank_mask:0xf
	v_mov_b32_dpp v30, v26 row_shr:1 row_mask:0xf bank_mask:0xf
	v_cmp_eq_u32_e32 vcc, 0, v26
	v_and_b32_e32 v31, 1, v26
	v_and_b32_e32 v27, 15, v46
	v_cndmask_b32_e32 v29, 0, v29, vcc
	v_and_b32_e32 v30, 1, v30
	v_cmp_eq_u32_e32 vcc, 1, v31
	v_cndmask_b32_e64 v30, v30, 1, vcc
	v_cmp_eq_u32_e32 vcc, 0, v27
	v_cndmask_b32_e32 v26, v30, v26, vcc
	v_and_b32_e32 v31, 1, v26
	v_cmp_eq_u32_e64 s[4:5], 1, v31
	v_mov_b32_dpp v30, v26 row_shr:2 row_mask:0xf bank_mask:0xf
	v_and_b32_e32 v30, 1, v30
	v_cndmask_b32_e64 v30, v30, 1, s[4:5]
	v_cmp_lt_u32_e64 s[4:5], 1, v27
	v_cndmask_b32_e64 v29, v29, 0, vcc
	v_cmp_eq_u32_e32 vcc, 0, v26
	v_cndmask_b32_e64 v26, v26, v30, s[4:5]
	v_add_u32_e32 v28, v29, v28
	v_and_b32_e32 v31, 1, v26
	v_mov_b32_dpp v30, v26 row_shr:4 row_mask:0xf bank_mask:0xf
	v_mov_b32_dpp v29, v28 row_shr:2 row_mask:0xf bank_mask:0xf
	s_and_b64 vcc, s[4:5], vcc
	v_and_b32_e32 v30, 1, v30
	v_cmp_eq_u32_e64 s[4:5], 1, v31
	v_cndmask_b32_e32 v29, 0, v29, vcc
	v_cndmask_b32_e64 v30, v30, 1, s[4:5]
	v_cmp_lt_u32_e64 s[4:5], 3, v27
	v_add_u32_e32 v28, v29, v28
	v_cmp_eq_u32_e32 vcc, 0, v26
	v_cndmask_b32_e64 v26, v26, v30, s[4:5]
	v_mov_b32_dpp v29, v28 row_shr:4 row_mask:0xf bank_mask:0xf
	s_and_b64 vcc, s[4:5], vcc
	v_mov_b32_dpp v30, v26 row_shr:8 row_mask:0xf bank_mask:0xf
	v_and_b32_e32 v31, 1, v26
	v_cndmask_b32_e32 v29, 0, v29, vcc
	v_and_b32_e32 v30, 1, v30
	v_cmp_eq_u32_e64 s[4:5], 1, v31
	v_add_u32_e32 v28, v29, v28
	v_cmp_eq_u32_e32 vcc, 0, v26
	v_cndmask_b32_e64 v30, v30, 1, s[4:5]
	v_cmp_lt_u32_e64 s[4:5], 7, v27
	v_mov_b32_dpp v29, v28 row_shr:8 row_mask:0xf bank_mask:0xf
	s_and_b64 vcc, s[4:5], vcc
	v_cndmask_b32_e32 v27, 0, v29, vcc
	v_cndmask_b32_e64 v26, v26, v30, s[4:5]
	v_add_u32_e32 v27, v27, v28
	v_cmp_eq_u32_e32 vcc, 0, v26
	v_mov_b32_dpp v29, v26 row_bcast:15 row_mask:0xf bank_mask:0xf
	v_mov_b32_dpp v28, v27 row_bcast:15 row_mask:0xf bank_mask:0xf
	v_and_b32_e32 v32, 1, v26
	v_and_b32_e32 v31, 16, v46
	v_cndmask_b32_e32 v28, 0, v28, vcc
	v_and_b32_e32 v29, 1, v29
	v_cmp_eq_u32_e32 vcc, 1, v32
	v_bfe_i32 v30, v46, 4, 1
	v_cndmask_b32_e64 v29, v29, 1, vcc
	v_cmp_eq_u32_e32 vcc, 0, v31
	v_and_b32_e32 v28, v30, v28
	v_cndmask_b32_e32 v26, v29, v26, vcc
	v_add_u32_e32 v27, v28, v27
	v_and_b32_e32 v30, 1, v26
	v_mov_b32_dpp v28, v26 row_bcast:31 row_mask:0xf bank_mask:0xf
	v_and_b32_e32 v28, 1, v28
	v_cmp_eq_u32_e64 s[4:5], 1, v30
	v_cmp_eq_u32_e32 vcc, 0, v26
	v_cndmask_b32_e64 v28, v28, 1, s[4:5]
	v_cmp_lt_u32_e64 s[4:5], 31, v46
	v_mov_b32_dpp v29, v27 row_bcast:31 row_mask:0xf bank_mask:0xf
	s_and_b64 vcc, s[4:5], vcc
	v_cndmask_b32_e64 v28, v26, v28, s[4:5]
	v_cndmask_b32_e32 v26, 0, v29, vcc
	v_add_u32_e32 v29, v26, v27
	v_cmp_eq_u32_e32 vcc, v51, v0
	s_and_saveexec_b64 s[4:5], vcc
	s_cbranch_execz .LBB1859_95
; %bb.94:
	v_lshlrev_b32_e32 v26, 3, v1
	ds_write_b32 v26, v29
	ds_write_b8 v26, v28 offset:4
.LBB1859_95:
	s_or_b64 exec, exec, s[4:5]
	v_cmp_gt_u32_e32 vcc, 4, v0
	s_waitcnt lgkmcnt(0)
	s_barrier
	s_and_saveexec_b64 s[4:5], vcc
	s_cbranch_execz .LBB1859_99
; %bb.96:
	v_lshlrev_b32_e32 v30, 3, v0
	ds_read_b64 v[26:27], v30
	v_and_b32_e32 v31, 3, v46
	v_cmp_ne_u32_e32 vcc, 0, v31
	s_waitcnt lgkmcnt(0)
	v_mov_b32_dpp v32, v26 row_shr:1 row_mask:0xf bank_mask:0xf
	v_mov_b32_dpp v34, v27 row_shr:1 row_mask:0xf bank_mask:0xf
	v_mov_b32_e32 v33, v27
	s_and_saveexec_b64 s[34:35], vcc
	s_cbranch_execz .LBB1859_98
; %bb.97:
	v_and_b32_e32 v33, 1, v27
	v_and_b32_e32 v34, 1, v34
	v_cmp_eq_u32_e32 vcc, 1, v33
	v_mov_b32_e32 v33, 0
	v_cndmask_b32_e64 v34, v34, 1, vcc
	v_cmp_eq_u16_sdwa vcc, v27, v33 src0_sel:BYTE_0 src1_sel:DWORD
	v_cndmask_b32_e32 v32, 0, v32, vcc
	v_add_u32_e32 v26, v32, v26
	v_and_b32_e32 v32, 0xffff, v34
	s_movk_i32 s42, 0xff00
	v_and_or_b32 v33, v27, s42, v32
	v_mov_b32_e32 v27, v34
.LBB1859_98:
	s_or_b64 exec, exec, s[34:35]
	v_mov_b32_dpp v33, v33 row_shr:2 row_mask:0xf bank_mask:0xf
	v_and_b32_e32 v34, 1, v27
	v_and_b32_e32 v33, 1, v33
	v_cmp_eq_u32_e32 vcc, 1, v34
	v_mov_b32_e32 v34, 0
	v_cndmask_b32_e64 v33, v33, 1, vcc
	v_cmp_eq_u16_sdwa s[34:35], v27, v34 src0_sel:BYTE_0 src1_sel:DWORD
	v_cmp_lt_u32_e32 vcc, 1, v31
	v_mov_b32_dpp v32, v26 row_shr:2 row_mask:0xf bank_mask:0xf
	v_cndmask_b32_e32 v27, v27, v33, vcc
	s_and_b64 vcc, vcc, s[34:35]
	v_cndmask_b32_e32 v31, 0, v32, vcc
	v_add_u32_e32 v26, v31, v26
	ds_write_b32 v30, v26
	ds_write_b8 v30, v27 offset:4
.LBB1859_99:
	s_or_b64 exec, exec, s[4:5]
	v_cmp_gt_u32_e32 vcc, 64, v0
	v_cmp_lt_u32_e64 s[4:5], 63, v0
	v_mov_b32_e32 v42, 0
	v_mov_b32_e32 v43, 0
	s_waitcnt lgkmcnt(0)
	s_barrier
	s_and_saveexec_b64 s[34:35], s[4:5]
	s_cbranch_execz .LBB1859_101
; %bb.100:
	v_lshl_add_u32 v26, v1, 3, -8
	ds_read_b32 v42, v26
	ds_read_u8 v43, v26 offset:4
	v_and_b32_e32 v27, 1, v28
	v_cmp_eq_u32_e64 s[4:5], 0, v28
	s_waitcnt lgkmcnt(1)
	v_cndmask_b32_e64 v26, 0, v42, s[4:5]
	v_cmp_eq_u32_e64 s[4:5], 1, v27
	v_add_u32_e32 v29, v26, v29
	s_waitcnt lgkmcnt(0)
	v_cndmask_b32_e64 v28, v43, 1, s[4:5]
.LBB1859_101:
	s_or_b64 exec, exec, s[34:35]
	v_add_u32_e32 v26, -1, v46
	v_and_b32_e32 v27, 64, v46
	v_cmp_lt_i32_e64 s[4:5], v26, v27
	v_cndmask_b32_e64 v26, v26, v46, s[4:5]
	v_lshlrev_b32_e32 v26, 2, v26
	ds_bpermute_b32 v44, v26, v29
	ds_bpermute_b32 v45, v26, v28
	v_cmp_eq_u32_e64 s[34:35], 0, v46
	s_and_saveexec_b64 s[42:43], vcc
	s_cbranch_execz .LBB1859_120
; %bb.102:
	v_mov_b32_e32 v29, 0
	ds_read_b64 v[26:27], v29 offset:24
	s_waitcnt lgkmcnt(0)
	v_readfirstlane_b32 s52, v27
	s_and_saveexec_b64 s[4:5], s[34:35]
	s_cbranch_execz .LBB1859_104
; %bb.103:
	s_add_i32 s44, s59, 64
	s_mov_b32 s45, 0
	s_lshl_b64 s[48:49], s[44:45], 4
	s_add_u32 s48, s56, s48
	s_addc_u32 s49, s57, s49
	s_and_b32 s55, s52, 0xff000000
	s_mov_b32 s54, s45
	s_and_b32 s63, s52, 0xff0000
	s_mov_b32 s62, s45
	s_or_b64 s[54:55], s[62:63], s[54:55]
	s_and_b32 s63, s52, 0xff00
	s_or_b64 s[54:55], s[54:55], s[62:63]
	s_and_b32 s63, s52, 0xff
	s_or_b64 s[44:45], s[54:55], s[62:63]
	v_mov_b32_e32 v27, s45
	v_mov_b32_e32 v28, 1
	v_pk_mov_b32 v[30:31], s[48:49], s[48:49] op_sel:[0,1]
	;;#ASMSTART
	global_store_dwordx4 v[30:31], v[26:29] off	
s_waitcnt vmcnt(0)
	;;#ASMEND
.LBB1859_104:
	s_or_b64 exec, exec, s[4:5]
	v_xad_u32 v34, v46, -1, s59
	v_add_u32_e32 v28, 64, v34
	v_lshlrev_b64 v[30:31], 4, v[28:29]
	v_mov_b32_e32 v27, s57
	v_add_co_u32_e32 v36, vcc, s56, v30
	v_addc_co_u32_e32 v37, vcc, v27, v31, vcc
	;;#ASMSTART
	global_load_dwordx4 v[30:33], v[36:37] off glc	
s_waitcnt vmcnt(0)
	;;#ASMEND
	v_and_b32_e32 v27, 0xff0000, v30
	v_or_b32_sdwa v27, v30, v27 dst_sel:DWORD dst_unused:UNUSED_PAD src0_sel:WORD_0 src1_sel:DWORD
	v_and_b32_e32 v28, 0xff000000, v30
	v_and_b32_e32 v30, 0xff, v31
	v_or3_b32 v31, 0, 0, v30
	v_or3_b32 v30, v27, v28, 0
	v_cmp_eq_u16_sdwa s[44:45], v32, v29 src0_sel:BYTE_0 src1_sel:DWORD
	s_and_saveexec_b64 s[4:5], s[44:45]
	s_cbranch_execz .LBB1859_108
; %bb.105:
	s_mov_b64 s[44:45], 0
	v_mov_b32_e32 v27, 0
.LBB1859_106:                           ; =>This Inner Loop Header: Depth=1
	;;#ASMSTART
	global_load_dwordx4 v[30:33], v[36:37] off glc	
s_waitcnt vmcnt(0)
	;;#ASMEND
	v_cmp_ne_u16_sdwa s[48:49], v32, v27 src0_sel:BYTE_0 src1_sel:DWORD
	s_or_b64 s[44:45], s[48:49], s[44:45]
	s_andn2_b64 exec, exec, s[44:45]
	s_cbranch_execnz .LBB1859_106
; %bb.107:
	s_or_b64 exec, exec, s[44:45]
	v_and_b32_e32 v31, 0xff, v31
.LBB1859_108:
	s_or_b64 exec, exec, s[4:5]
	v_mov_b32_e32 v27, 2
	v_cmp_eq_u16_sdwa s[4:5], v32, v27 src0_sel:BYTE_0 src1_sel:DWORD
	v_lshlrev_b64 v[28:29], v46, -1
	v_and_b32_e32 v33, s5, v29
	v_or_b32_e32 v33, 0x80000000, v33
	v_and_b32_e32 v35, s4, v28
	v_ffbl_b32_e32 v33, v33
	v_and_b32_e32 v47, 63, v46
	v_add_u32_e32 v33, 32, v33
	v_ffbl_b32_e32 v35, v35
	v_cmp_ne_u32_e32 vcc, 63, v47
	v_min_u32_e32 v33, v35, v33
	v_addc_co_u32_e32 v35, vcc, 0, v46, vcc
	v_lshlrev_b32_e32 v48, 2, v35
	ds_bpermute_b32 v35, v48, v31
	ds_bpermute_b32 v36, v48, v30
	s_mov_b32 s44, 0
	v_and_b32_e32 v37, 1, v31
	s_mov_b32 s45, 1
	s_waitcnt lgkmcnt(1)
	v_and_b32_e32 v35, 1, v35
	v_cmp_eq_u32_e32 vcc, 1, v37
	v_cndmask_b32_e64 v35, v35, 1, vcc
	v_cmp_gt_u64_e32 vcc, s[44:45], v[30:31]
	v_cmp_lt_u32_e64 s[4:5], v47, v33
	s_and_b64 vcc, s[4:5], vcc
	v_and_b32_e32 v37, 0xffff, v35
	v_cndmask_b32_e64 v54, v31, v35, s[4:5]
	s_waitcnt lgkmcnt(0)
	v_cndmask_b32_e32 v35, 0, v36, vcc
	v_cmp_gt_u32_e32 vcc, 62, v47
	v_cndmask_b32_e64 v36, 0, 1, vcc
	v_lshlrev_b32_e32 v36, 1, v36
	v_cndmask_b32_e64 v31, v31, v37, s[4:5]
	v_add_lshl_u32 v49, v36, v46, 2
	ds_bpermute_b32 v36, v49, v31
	v_add_u32_e32 v30, v35, v30
	ds_bpermute_b32 v37, v49, v30
	v_and_b32_e32 v35, 1, v54
	v_cmp_eq_u32_e32 vcc, 1, v35
	s_waitcnt lgkmcnt(1)
	v_and_b32_e32 v36, 1, v36
	v_mov_b32_e32 v35, 0
	v_add_u32_e32 v53, 2, v47
	v_cndmask_b32_e64 v36, v36, 1, vcc
	v_cmp_eq_u16_sdwa vcc, v54, v35 src0_sel:BYTE_0 src1_sel:DWORD
	v_and_b32_e32 v55, 0xffff, v36
	s_waitcnt lgkmcnt(0)
	v_cndmask_b32_e32 v37, 0, v37, vcc
	v_cmp_gt_u32_e32 vcc, v53, v33
	v_cndmask_b32_e32 v36, v36, v54, vcc
	v_cndmask_b32_e64 v37, v37, 0, vcc
	v_cndmask_b32_e32 v31, v55, v31, vcc
	v_cmp_gt_u32_e32 vcc, 60, v47
	v_cndmask_b32_e64 v54, 0, 1, vcc
	v_lshlrev_b32_e32 v54, 2, v54
	v_add_lshl_u32 v54, v54, v46, 2
	ds_bpermute_b32 v56, v54, v31
	v_add_u32_e32 v30, v37, v30
	ds_bpermute_b32 v37, v54, v30
	v_and_b32_e32 v57, 1, v36
	v_cmp_eq_u32_e32 vcc, 1, v57
	s_waitcnt lgkmcnt(1)
	v_and_b32_e32 v56, 1, v56
	v_add_u32_e32 v55, 4, v47
	v_cndmask_b32_e64 v56, v56, 1, vcc
	v_cmp_eq_u16_sdwa vcc, v36, v35 src0_sel:BYTE_0 src1_sel:DWORD
	v_and_b32_e32 v57, 0xffff, v56
	s_waitcnt lgkmcnt(0)
	v_cndmask_b32_e32 v37, 0, v37, vcc
	v_cmp_gt_u32_e32 vcc, v55, v33
	v_cndmask_b32_e32 v36, v56, v36, vcc
	v_cndmask_b32_e64 v37, v37, 0, vcc
	v_cndmask_b32_e32 v31, v57, v31, vcc
	v_cmp_gt_u32_e32 vcc, 56, v47
	v_cndmask_b32_e64 v56, 0, 1, vcc
	v_lshlrev_b32_e32 v56, 3, v56
	v_add_lshl_u32 v56, v56, v46, 2
	ds_bpermute_b32 v58, v56, v31
	v_add_u32_e32 v30, v37, v30
	ds_bpermute_b32 v37, v56, v30
	v_and_b32_e32 v59, 1, v36
	v_cmp_eq_u32_e32 vcc, 1, v59
	s_waitcnt lgkmcnt(1)
	v_and_b32_e32 v58, 1, v58
	;; [unrolled: 21-line block ×4, first 2 shown]
	v_add_u32_e32 v62, 32, v47
	v_cndmask_b32_e64 v31, v31, 1, vcc
	v_cmp_eq_u16_sdwa vcc, v36, v35 src0_sel:BYTE_0 src1_sel:DWORD
	s_waitcnt lgkmcnt(0)
	v_cndmask_b32_e32 v37, 0, v37, vcc
	v_cmp_gt_u32_e32 vcc, v62, v33
	v_cndmask_b32_e64 v33, v37, 0, vcc
	v_cndmask_b32_e32 v31, v31, v36, vcc
	v_add_u32_e32 v30, v33, v30
	s_branch .LBB1859_110
.LBB1859_109:                           ;   in Loop: Header=BB1859_110 Depth=1
	s_or_b64 exec, exec, s[4:5]
	v_cmp_eq_u16_sdwa s[4:5], v32, v27 src0_sel:BYTE_0 src1_sel:DWORD
	v_and_b32_e32 v33, s5, v29
	ds_bpermute_b32 v37, v48, v31
	v_or_b32_e32 v33, 0x80000000, v33
	v_and_b32_e32 v36, s4, v28
	v_ffbl_b32_e32 v33, v33
	v_add_u32_e32 v33, 32, v33
	v_ffbl_b32_e32 v36, v36
	v_min_u32_e32 v33, v36, v33
	ds_bpermute_b32 v36, v48, v30
	v_and_b32_e32 v63, 1, v31
	s_waitcnt lgkmcnt(1)
	v_and_b32_e32 v37, 1, v37
	v_cmp_eq_u32_e32 vcc, 1, v63
	v_cndmask_b32_e64 v37, v37, 1, vcc
	v_cmp_gt_u64_e32 vcc, s[44:45], v[30:31]
	v_and_b32_e32 v63, 0xffff, v37
	v_cmp_lt_u32_e64 s[4:5], v47, v33
	v_cndmask_b32_e64 v37, v31, v37, s[4:5]
	v_cndmask_b32_e64 v31, v31, v63, s[4:5]
	s_and_b64 vcc, s[4:5], vcc
	ds_bpermute_b32 v63, v49, v31
	s_waitcnt lgkmcnt(1)
	v_cndmask_b32_e32 v36, 0, v36, vcc
	v_add_u32_e32 v30, v36, v30
	ds_bpermute_b32 v36, v49, v30
	v_and_b32_e32 v64, 1, v37
	s_waitcnt lgkmcnt(1)
	v_and_b32_e32 v63, 1, v63
	v_cmp_eq_u32_e32 vcc, 1, v64
	v_cndmask_b32_e64 v63, v63, 1, vcc
	v_cmp_eq_u16_sdwa vcc, v37, v35 src0_sel:BYTE_0 src1_sel:DWORD
	v_and_b32_e32 v64, 0xffff, v63
	s_waitcnt lgkmcnt(0)
	v_cndmask_b32_e32 v36, 0, v36, vcc
	v_cmp_gt_u32_e32 vcc, v53, v33
	v_cndmask_b32_e32 v31, v64, v31, vcc
	v_cndmask_b32_e32 v37, v63, v37, vcc
	ds_bpermute_b32 v63, v54, v31
	v_cndmask_b32_e64 v36, v36, 0, vcc
	v_add_u32_e32 v30, v36, v30
	ds_bpermute_b32 v36, v54, v30
	v_and_b32_e32 v64, 1, v37
	s_waitcnt lgkmcnt(1)
	v_and_b32_e32 v63, 1, v63
	v_cmp_eq_u32_e32 vcc, 1, v64
	v_cndmask_b32_e64 v63, v63, 1, vcc
	v_cmp_eq_u16_sdwa vcc, v37, v35 src0_sel:BYTE_0 src1_sel:DWORD
	v_and_b32_e32 v64, 0xffff, v63
	s_waitcnt lgkmcnt(0)
	v_cndmask_b32_e32 v36, 0, v36, vcc
	v_cmp_gt_u32_e32 vcc, v55, v33
	v_cndmask_b32_e32 v31, v64, v31, vcc
	v_cndmask_b32_e32 v37, v63, v37, vcc
	ds_bpermute_b32 v63, v56, v31
	v_cndmask_b32_e64 v36, v36, 0, vcc
	;; [unrolled: 16-line block ×3, first 2 shown]
	v_add_u32_e32 v30, v36, v30
	ds_bpermute_b32 v36, v58, v30
	v_and_b32_e32 v64, 1, v37
	s_waitcnt lgkmcnt(1)
	v_and_b32_e32 v63, 1, v63
	v_cmp_eq_u32_e32 vcc, 1, v64
	v_cndmask_b32_e64 v63, v63, 1, vcc
	v_cmp_eq_u16_sdwa vcc, v37, v35 src0_sel:BYTE_0 src1_sel:DWORD
	v_and_b32_e32 v64, 0xffff, v63
	s_waitcnt lgkmcnt(0)
	v_cndmask_b32_e32 v36, 0, v36, vcc
	v_cmp_gt_u32_e32 vcc, v59, v33
	v_cndmask_b32_e64 v36, v36, 0, vcc
	v_cndmask_b32_e32 v31, v64, v31, vcc
	ds_bpermute_b32 v31, v61, v31
	v_add_u32_e32 v30, v36, v30
	ds_bpermute_b32 v36, v61, v30
	v_cndmask_b32_e32 v37, v63, v37, vcc
	v_and_b32_e32 v63, 1, v37
	v_cmp_eq_u32_e32 vcc, 1, v63
	s_waitcnt lgkmcnt(1)
	v_cndmask_b32_e64 v31, v31, 1, vcc
	v_cmp_eq_u16_sdwa vcc, v37, v35 src0_sel:BYTE_0 src1_sel:DWORD
	s_waitcnt lgkmcnt(0)
	v_cndmask_b32_e32 v36, 0, v36, vcc
	v_cmp_gt_u32_e32 vcc, v62, v33
	v_cndmask_b32_e64 v33, v36, 0, vcc
	v_cndmask_b32_e32 v31, v31, v37, vcc
	v_add_u32_e32 v30, v33, v30
	v_cmp_eq_u16_sdwa vcc, v46, v35 src0_sel:BYTE_0 src1_sel:DWORD
	v_and_b32_e32 v33, 1, v46
	v_cndmask_b32_e32 v30, 0, v30, vcc
	v_and_b32_e32 v31, 1, v31
	v_cmp_eq_u32_e32 vcc, 1, v33
	v_subrev_u32_e32 v34, 64, v34
	v_add_u32_e32 v30, v30, v60
	v_cndmask_b32_e64 v31, v31, 1, vcc
.LBB1859_110:                           ; =>This Loop Header: Depth=1
                                        ;     Child Loop BB1859_113 Depth 2
	v_cmp_ne_u16_sdwa s[4:5], v32, v27 src0_sel:BYTE_0 src1_sel:DWORD
	v_mov_b32_e32 v46, v31
	v_cndmask_b32_e64 v31, 0, 1, s[4:5]
	;;#ASMSTART
	;;#ASMEND
	v_cmp_ne_u32_e32 vcc, 0, v31
	s_cmp_lg_u64 vcc, exec
	v_mov_b32_e32 v60, v30
	s_cbranch_scc1 .LBB1859_115
; %bb.111:                              ;   in Loop: Header=BB1859_110 Depth=1
	v_lshlrev_b64 v[30:31], 4, v[34:35]
	v_mov_b32_e32 v32, s57
	v_add_co_u32_e32 v36, vcc, s56, v30
	v_addc_co_u32_e32 v37, vcc, v32, v31, vcc
	;;#ASMSTART
	global_load_dwordx4 v[30:33], v[36:37] off glc	
s_waitcnt vmcnt(0)
	;;#ASMEND
	v_and_b32_e32 v33, 0xff0000, v30
	v_or_b32_sdwa v33, v30, v33 dst_sel:DWORD dst_unused:UNUSED_PAD src0_sel:WORD_0 src1_sel:DWORD
	v_and_b32_e32 v30, 0xff000000, v30
	v_and_b32_e32 v31, 0xff, v31
	v_or3_b32 v31, 0, 0, v31
	v_or3_b32 v30, v33, v30, 0
	v_cmp_eq_u16_sdwa s[48:49], v32, v35 src0_sel:BYTE_0 src1_sel:DWORD
	s_and_saveexec_b64 s[4:5], s[48:49]
	s_cbranch_execz .LBB1859_109
; %bb.112:                              ;   in Loop: Header=BB1859_110 Depth=1
	s_mov_b64 s[48:49], 0
.LBB1859_113:                           ;   Parent Loop BB1859_110 Depth=1
                                        ; =>  This Inner Loop Header: Depth=2
	;;#ASMSTART
	global_load_dwordx4 v[30:33], v[36:37] off glc	
s_waitcnt vmcnt(0)
	;;#ASMEND
	v_cmp_ne_u16_sdwa s[54:55], v32, v35 src0_sel:BYTE_0 src1_sel:DWORD
	s_or_b64 s[48:49], s[54:55], s[48:49]
	s_andn2_b64 exec, exec, s[48:49]
	s_cbranch_execnz .LBB1859_113
; %bb.114:                              ;   in Loop: Header=BB1859_110 Depth=1
	s_or_b64 exec, exec, s[48:49]
	v_and_b32_e32 v31, 0xff, v31
	s_branch .LBB1859_109
.LBB1859_115:                           ;   in Loop: Header=BB1859_110 Depth=1
                                        ; implicit-def: $vgpr31
                                        ; implicit-def: $vgpr30
                                        ; implicit-def: $vgpr32
	s_cbranch_execz .LBB1859_110
; %bb.116:
	s_and_saveexec_b64 s[4:5], s[34:35]
	s_cbranch_execz .LBB1859_118
; %bb.117:
	s_and_b32 s44, s52, 0xff
	s_cmp_eq_u32 s44, 0
	s_cselect_b64 vcc, -1, 0
	s_bitcmp1_b32 s52, 0
	s_mov_b32 s45, 0
	s_cselect_b64 s[48:49], -1, 0
	s_add_i32 s44, s59, 64
	s_lshl_b64 s[44:45], s[44:45], 4
	v_cndmask_b32_e32 v27, 0, v60, vcc
	s_add_u32 s44, s56, s44
	v_add_u32_e32 v26, v27, v26
	v_and_b32_e32 v27, 1, v46
	s_addc_u32 s45, s57, s45
	v_mov_b32_e32 v29, 0
	v_cndmask_b32_e64 v27, v27, 1, s[48:49]
	v_mov_b32_e32 v28, 2
	v_pk_mov_b32 v[30:31], s[44:45], s[44:45] op_sel:[0,1]
	;;#ASMSTART
	global_store_dwordx4 v[30:31], v[26:29] off	
s_waitcnt vmcnt(0)
	;;#ASMEND
.LBB1859_118:
	s_or_b64 exec, exec, s[4:5]
	s_and_b64 exec, exec, s[0:1]
	s_cbranch_execz .LBB1859_120
; %bb.119:
	v_mov_b32_e32 v26, 0
	ds_write_b32 v26, v60 offset:24
	ds_write_b8 v26, v46 offset:28
.LBB1859_120:
	s_or_b64 exec, exec, s[42:43]
	s_mov_b32 s4, 0
	v_mov_b32_e32 v28, 0
	s_mov_b32 s5, 1
	s_waitcnt lgkmcnt(0)
	v_cndmask_b32_e64 v26, v45, v43, s[34:35]
	v_cndmask_b32_e64 v27, v44, v42, s[34:35]
	s_barrier
	ds_read_b32 v29, v28 offset:24
	v_cmp_gt_u64_e32 vcc, s[4:5], v[38:39]
	v_and_b32_e32 v30, 1, v39
	v_cndmask_b32_e32 v27, 0, v27, vcc
	v_and_b32_e32 v26, 1, v26
	v_cmp_eq_u32_e32 vcc, 1, v30
	v_cndmask_b32_e64 v26, v26, 1, vcc
	v_cndmask_b32_e64 v26, v26, v39, s[0:1]
	v_cmp_eq_u16_sdwa vcc, v26, v28 src0_sel:BYTE_0 src1_sel:DWORD
	v_cndmask_b32_e64 v27, v27, 0, s[0:1]
	s_waitcnt lgkmcnt(0)
	v_cndmask_b32_e32 v26, 0, v29, vcc
	v_add3_u32 v26, v27, v38, v26
	v_cndmask_b32_e64 v27, 0, v26, s[6:7]
	v_add_u32_e32 v27, v27, v2
	v_cndmask_b32_e64 v28, 0, v27, s[8:9]
	v_add_u32_e32 v42, v28, v4
	;; [unrolled: 2-line block ×13, first 2 shown]
	s_branch .LBB1859_137
.LBB1859_121:
                                        ; implicit-def: $vgpr49
                                        ; implicit-def: $vgpr47
                                        ; implicit-def: $vgpr45
                                        ; implicit-def: $vgpr43
                                        ; implicit-def: $vgpr34_vgpr35_vgpr36_vgpr37
                                        ; implicit-def: $vgpr30_vgpr31_vgpr32_vgpr33
                                        ; implicit-def: $vgpr26_vgpr27_vgpr28_vgpr29
	s_cbranch_execz .LBB1859_137
; %bb.122:
	s_cmp_lg_u64 s[60:61], 0
	s_cselect_b32 s9, s51, 0
	s_cselect_b32 s8, s50, 0
	s_cmp_lg_u64 s[8:9], 0
	s_cselect_b64 s[6:7], -1, 0
	s_mov_b32 s4, 0
	s_and_b64 s[10:11], s[0:1], s[6:7]
	s_and_saveexec_b64 s[6:7], s[10:11]
	s_cbranch_execz .LBB1859_124
; %bb.123:
	v_mov_b32_e32 v26, 0
	global_load_dword v28, v26, s[8:9]
	global_load_ubyte v29, v26, s[8:9] offset:4
	s_mov_b32 s5, 1
	v_and_b32_e32 v27, 1, v39
	v_cmp_gt_u64_e32 vcc, s[4:5], v[38:39]
	s_waitcnt vmcnt(1)
	v_cndmask_b32_e32 v28, 0, v28, vcc
	s_waitcnt vmcnt(0)
	v_and_b32_e32 v29, 1, v29
	v_cmp_eq_u64_e32 vcc, 0, v[26:27]
	v_add_u32_e32 v38, v28, v38
	v_cndmask_b32_e32 v39, 1, v29, vcc
.LBB1859_124:
	s_or_b64 exec, exec, s[6:7]
	s_mov_b32 s5, 1
	v_cmp_gt_u64_e32 vcc, s[4:5], v[2:3]
	v_cndmask_b32_e32 v26, 0, v38, vcc
	v_add_u32_e32 v27, v26, v2
	v_cmp_gt_u64_e64 s[6:7], s[4:5], v[4:5]
	v_cndmask_b32_e64 v26, 0, v27, s[6:7]
	v_add_u32_e32 v42, v26, v4
	v_cmp_gt_u64_e64 s[8:9], s[4:5], v[6:7]
	v_cndmask_b32_e64 v26, 0, v42, s[8:9]
	v_add_u32_e32 v43, v26, v6
	v_cmp_gt_u64_e64 s[10:11], s[4:5], v[8:9]
	v_cndmask_b32_e64 v26, 0, v43, s[10:11]
	v_add_u32_e32 v30, v26, v8
	v_cmp_gt_u64_e64 s[12:13], s[4:5], v[10:11]
	v_cndmask_b32_e64 v26, 0, v30, s[12:13]
	v_add_u32_e32 v31, v26, v10
	v_cmp_gt_u64_e64 s[14:15], s[4:5], v[12:13]
	v_cndmask_b32_e64 v26, 0, v31, s[14:15]
	v_add_u32_e32 v44, v26, v12
	v_cmp_gt_u64_e64 s[16:17], s[4:5], v[14:15]
	v_cndmask_b32_e64 v26, 0, v44, s[16:17]
	v_add_u32_e32 v45, v26, v14
	v_cmp_gt_u64_e64 s[18:19], s[4:5], v[16:17]
	v_mov_b32_e32 v28, 0
	v_cndmask_b32_e64 v26, 0, v45, s[18:19]
	v_or3_b32 v7, v23, v15, v7
	v_add_u32_e32 v34, v26, v16
	v_cmp_gt_u64_e64 s[20:21], s[4:5], v[18:19]
	v_or3_b32 v9, v25, v17, v9
	v_and_b32_e32 v55, 1, v7
	v_mov_b32_e32 v54, v28
	v_cndmask_b32_e64 v26, 0, v34, s[20:21]
	v_or3_b32 v3, v19, v11, v3
	v_and_b32_e32 v37, 1, v9
	v_mov_b32_e32 v36, v28
	v_cmp_ne_u64_e64 s[30:31], 0, v[54:55]
	v_add_u32_e32 v35, v26, v18
	v_cmp_gt_u64_e64 s[22:23], s[4:5], v[20:21]
	v_or3_b32 v5, v21, v13, v5
	v_and_b32_e32 v29, 1, v3
	v_cndmask_b32_e64 v3, 0, 1, s[30:31]
	v_cmp_ne_u64_e64 s[30:31], 0, v[36:37]
	v_cndmask_b32_e64 v26, 0, v35, s[22:23]
	v_and_b32_e32 v33, 1, v5
	v_mov_b32_e32 v32, v28
	v_cndmask_b32_e64 v5, 0, 1, s[30:31]
	v_add_u32_e32 v46, v26, v20
	v_cmp_gt_u64_e64 s[24:25], s[4:5], v[22:23]
	v_lshlrev_b16_e32 v3, 2, v3
	v_lshlrev_b16_e32 v5, 3, v5
	v_cmp_ne_u64_e64 s[30:31], 0, v[32:33]
	v_cndmask_b32_e64 v26, 0, v46, s[24:25]
	v_or_b32_e32 v3, v5, v3
	v_cndmask_b32_e64 v5, 0, 1, s[30:31]
	v_cmp_ne_u64_e64 s[30:31], 0, v[28:29]
	v_add_u32_e32 v47, v26, v22
	v_cmp_gt_u64_e64 s[26:27], s[4:5], v[24:25]
	v_lshlrev_b16_e32 v5, 1, v5
	v_cndmask_b32_e64 v7, 0, 1, s[30:31]
	v_cndmask_b32_e64 v26, 0, v47, s[26:27]
	v_or_b32_e32 v5, v7, v5
	v_add_u32_e32 v48, v26, v24
	v_cmp_gt_u64_e64 s[28:29], s[4:5], v[40:41]
	v_and_b32_e32 v5, 3, v5
	v_cndmask_b32_e64 v26, 0, v48, s[28:29]
	v_or_b32_e32 v3, v5, v3
	v_add_u32_e32 v49, v26, v40
	v_and_b32_e32 v26, 1, v41
	v_and_b32_e32 v3, 15, v3
	v_cmp_eq_u32_e64 s[4:5], 1, v26
	v_cmp_ne_u16_e64 s[30:31], 0, v3
	s_or_b64 s[4:5], s[4:5], s[30:31]
	v_cndmask_b32_e64 v5, v39, 1, s[4:5]
	v_mbcnt_hi_u32_b32 v3, -1, v52
	v_mov_b32_dpp v9, v49 row_shr:1 row_mask:0xf bank_mask:0xf
	v_mov_b32_dpp v11, v5 row_shr:1 row_mask:0xf bank_mask:0xf
	v_cmp_eq_u32_e64 s[4:5], 0, v5
	v_and_b32_e32 v13, 1, v5
	v_and_b32_e32 v7, 15, v3
	v_cndmask_b32_e64 v9, 0, v9, s[4:5]
	v_and_b32_e32 v11, 1, v11
	v_cmp_eq_u32_e64 s[4:5], 1, v13
	v_cndmask_b32_e64 v11, v11, 1, s[4:5]
	v_cmp_eq_u32_e64 s[4:5], 0, v7
	v_cndmask_b32_e64 v5, v11, v5, s[4:5]
	v_and_b32_e32 v15, 1, v5
	v_cmp_eq_u32_e64 s[30:31], 1, v15
	v_mov_b32_dpp v13, v5 row_shr:2 row_mask:0xf bank_mask:0xf
	v_and_b32_e32 v13, 1, v13
	v_cndmask_b32_e64 v13, v13, 1, s[30:31]
	v_cmp_lt_u32_e64 s[30:31], 1, v7
	v_cndmask_b32_e64 v9, v9, 0, s[4:5]
	v_cmp_eq_u32_e64 s[4:5], 0, v5
	v_cndmask_b32_e64 v5, v5, v13, s[30:31]
	v_add_u32_e32 v9, v49, v9
	v_and_b32_e32 v15, 1, v5
	v_mov_b32_dpp v13, v5 row_shr:4 row_mask:0xf bank_mask:0xf
	v_mov_b32_dpp v11, v9 row_shr:2 row_mask:0xf bank_mask:0xf
	s_and_b64 s[4:5], s[30:31], s[4:5]
	v_and_b32_e32 v13, 1, v13
	v_cmp_eq_u32_e64 s[30:31], 1, v15
	v_cndmask_b32_e64 v11, 0, v11, s[4:5]
	v_cndmask_b32_e64 v13, v13, 1, s[30:31]
	v_cmp_lt_u32_e64 s[30:31], 3, v7
	v_add_u32_e32 v9, v9, v11
	v_cmp_eq_u32_e64 s[4:5], 0, v5
	v_cndmask_b32_e64 v5, v5, v13, s[30:31]
	v_mov_b32_dpp v11, v9 row_shr:4 row_mask:0xf bank_mask:0xf
	s_and_b64 s[4:5], s[30:31], s[4:5]
	v_mov_b32_dpp v13, v5 row_shr:8 row_mask:0xf bank_mask:0xf
	v_and_b32_e32 v15, 1, v5
	v_cndmask_b32_e64 v11, 0, v11, s[4:5]
	v_and_b32_e32 v13, 1, v13
	v_cmp_eq_u32_e64 s[30:31], 1, v15
	v_add_u32_e32 v9, v9, v11
	v_cmp_eq_u32_e64 s[4:5], 0, v5
	v_cndmask_b32_e64 v13, v13, 1, s[30:31]
	v_cmp_lt_u32_e64 s[30:31], 7, v7
	v_mov_b32_dpp v11, v9 row_shr:8 row_mask:0xf bank_mask:0xf
	s_and_b64 s[4:5], s[30:31], s[4:5]
	v_cndmask_b32_e64 v7, 0, v11, s[4:5]
	v_cndmask_b32_e64 v5, v5, v13, s[30:31]
	v_add_u32_e32 v7, v9, v7
	v_cmp_eq_u32_e64 s[4:5], 0, v5
	v_mov_b32_dpp v11, v5 row_bcast:15 row_mask:0xf bank_mask:0xf
	v_mov_b32_dpp v9, v7 row_bcast:15 row_mask:0xf bank_mask:0xf
	v_and_b32_e32 v17, 1, v5
	v_and_b32_e32 v15, 16, v3
	v_cndmask_b32_e64 v9, 0, v9, s[4:5]
	v_and_b32_e32 v11, 1, v11
	v_cmp_eq_u32_e64 s[4:5], 1, v17
	v_bfe_i32 v13, v3, 4, 1
	v_cndmask_b32_e64 v11, v11, 1, s[4:5]
	v_cmp_eq_u32_e64 s[4:5], 0, v15
	v_and_b32_e32 v9, v13, v9
	v_cndmask_b32_e64 v5, v11, v5, s[4:5]
	v_add_u32_e32 v9, v7, v9
	v_and_b32_e32 v13, 1, v5
	v_mov_b32_dpp v7, v5 row_bcast:31 row_mask:0xf bank_mask:0xf
	v_and_b32_e32 v7, 1, v7
	v_cmp_eq_u32_e64 s[30:31], 1, v13
	v_cmp_eq_u32_e64 s[4:5], 0, v5
	v_cndmask_b32_e64 v7, v7, 1, s[30:31]
	v_cmp_lt_u32_e64 s[30:31], 31, v3
	v_mov_b32_dpp v11, v9 row_bcast:31 row_mask:0xf bank_mask:0xf
	s_and_b64 s[4:5], s[30:31], s[4:5]
	v_cndmask_b32_e64 v7, v5, v7, s[30:31]
	v_cndmask_b32_e64 v5, 0, v11, s[4:5]
	v_add_u32_e32 v5, v9, v5
	v_cmp_eq_u32_e64 s[4:5], v51, v0
	s_and_saveexec_b64 s[30:31], s[4:5]
	s_cbranch_execz .LBB1859_126
; %bb.125:
	v_lshlrev_b32_e32 v9, 3, v1
	ds_write_b32 v9, v5
	ds_write_b8 v9, v7 offset:4
.LBB1859_126:
	s_or_b64 exec, exec, s[30:31]
	v_cmp_gt_u32_e64 s[4:5], 4, v0
	s_waitcnt lgkmcnt(0)
	s_barrier
	s_and_saveexec_b64 s[30:31], s[4:5]
	s_cbranch_execz .LBB1859_130
; %bb.127:
	v_lshlrev_b32_e32 v9, 3, v0
	ds_read_b64 v[28:29], v9
	v_and_b32_e32 v11, 3, v3
	v_cmp_ne_u32_e64 s[4:5], 0, v11
	s_waitcnt lgkmcnt(0)
	v_mov_b32_dpp v13, v28 row_shr:1 row_mask:0xf bank_mask:0xf
	v_mov_b32_dpp v17, v29 row_shr:1 row_mask:0xf bank_mask:0xf
	v_mov_b32_e32 v15, v29
	s_and_saveexec_b64 s[34:35], s[4:5]
	s_cbranch_execz .LBB1859_129
; %bb.128:
	v_and_b32_e32 v15, 1, v29
	v_and_b32_e32 v17, 1, v17
	v_cmp_eq_u32_e64 s[4:5], 1, v15
	v_mov_b32_e32 v15, 0
	v_cndmask_b32_e64 v17, v17, 1, s[4:5]
	v_cmp_eq_u16_sdwa s[4:5], v29, v15 src0_sel:BYTE_0 src1_sel:DWORD
	v_cndmask_b32_e64 v13, 0, v13, s[4:5]
	v_add_u32_e32 v28, v13, v28
	v_and_b32_e32 v13, 0xffff, v17
	s_movk_i32 s4, 0xff00
	v_and_or_b32 v15, v29, s4, v13
	v_mov_b32_e32 v29, v17
.LBB1859_129:
	s_or_b64 exec, exec, s[34:35]
	v_mov_b32_dpp v15, v15 row_shr:2 row_mask:0xf bank_mask:0xf
	v_and_b32_e32 v17, 1, v29
	v_and_b32_e32 v15, 1, v15
	v_cmp_eq_u32_e64 s[4:5], 1, v17
	v_mov_b32_e32 v17, 0
	v_cndmask_b32_e64 v15, v15, 1, s[4:5]
	v_cmp_eq_u16_sdwa s[34:35], v29, v17 src0_sel:BYTE_0 src1_sel:DWORD
	v_cmp_lt_u32_e64 s[4:5], 1, v11
	v_mov_b32_dpp v13, v28 row_shr:2 row_mask:0xf bank_mask:0xf
	v_cndmask_b32_e64 v11, v29, v15, s[4:5]
	s_and_b64 s[4:5], s[4:5], s[34:35]
	v_cndmask_b32_e64 v13, 0, v13, s[4:5]
	v_add_u32_e32 v13, v13, v28
	ds_write_b32 v9, v13
	ds_write_b8 v9, v11 offset:4
.LBB1859_130:
	s_or_b64 exec, exec, s[30:31]
	v_cmp_lt_u32_e64 s[4:5], 63, v0
	v_mov_b32_e32 v9, 0
	s_waitcnt lgkmcnt(0)
	s_barrier
	s_and_saveexec_b64 s[30:31], s[4:5]
	s_cbranch_execz .LBB1859_132
; %bb.131:
	v_lshl_add_u32 v1, v1, 3, -8
	ds_read_b32 v9, v1
	v_cmp_eq_u32_e64 s[4:5], 0, v7
	s_waitcnt lgkmcnt(0)
	v_cndmask_b32_e64 v1, 0, v9, s[4:5]
	v_add_u32_e32 v5, v1, v5
.LBB1859_132:
	s_or_b64 exec, exec, s[30:31]
	v_add_u32_e32 v1, -1, v3
	v_and_b32_e32 v7, 64, v3
	v_cmp_lt_i32_e64 s[4:5], v1, v7
	v_cndmask_b32_e64 v1, v1, v3, s[4:5]
	v_lshlrev_b32_e32 v1, 2, v1
	ds_bpermute_b32 v1, v1, v5
	s_and_saveexec_b64 s[30:31], s[36:37]
	s_cbranch_execz .LBB1859_134
; %bb.133:
	v_and_b32_e32 v27, 0xff, v39
	v_mov_b32_e32 v26, 0
	v_cmp_eq_u32_e64 s[4:5], 0, v3
	s_waitcnt lgkmcnt(0)
	v_cndmask_b32_e64 v1, v1, v9, s[4:5]
	v_cmp_eq_u64_e64 s[4:5], 0, v[26:27]
	v_cndmask_b32_e64 v1, 0, v1, s[4:5]
	v_add_u32_e32 v38, v1, v38
	v_cndmask_b32_e32 v1, 0, v38, vcc
	v_add_u32_e32 v27, v1, v2
	v_cndmask_b32_e64 v1, 0, v27, s[6:7]
	v_add_u32_e32 v42, v1, v4
	v_cndmask_b32_e64 v1, 0, v42, s[8:9]
	;; [unrolled: 2-line block ×12, first 2 shown]
	v_add_u32_e32 v49, v1, v40
	;;#ASMSTART
	;;#ASMEND
.LBB1859_134:
	s_or_b64 exec, exec, s[30:31]
	s_and_saveexec_b64 s[4:5], s[0:1]
	s_cbranch_execz .LBB1859_136
; %bb.135:
	v_mov_b32_e32 v5, 0
	ds_read_b32 v2, v5 offset:24
	ds_read_u8 v3, v5 offset:28
	s_add_u32 s0, s56, 0x400
	s_addc_u32 s1, s57, 0
	v_mov_b32_e32 v4, 2
	v_pk_mov_b32 v[6:7], s[0:1], s[0:1] op_sel:[0,1]
	s_waitcnt lgkmcnt(0)
	;;#ASMSTART
	global_store_dwordx4 v[6:7], v[2:5] off	
s_waitcnt vmcnt(0)
	;;#ASMEND
.LBB1859_136:
	s_or_b64 exec, exec, s[4:5]
	v_mov_b32_e32 v26, v38
.LBB1859_137:
	s_add_u32 s0, s46, s38
	s_addc_u32 s1, s47, s39
	s_add_u32 s4, s0, s40
	s_waitcnt lgkmcnt(0)
	v_mul_u32_u24_e32 v1, 14, v0
	s_addc_u32 s5, s1, s41
	s_and_b64 vcc, exec, s[2:3]
	v_lshlrev_b32_e32 v2, 2, v1
	s_cbranch_vccz .LBB1859_165
; %bb.138:
	s_movk_i32 s0, 0xffcc
	v_mad_i32_i24 v3, v0, s0, v2
	s_barrier
	ds_write2_b64 v2, v[26:27], v[42:43] offset1:1
	ds_write2_b64 v2, v[30:31], v[44:45] offset0:2 offset1:3
	ds_write2_b64 v2, v[34:35], v[46:47] offset0:4 offset1:5
	ds_write_b64 v2, v[48:49] offset:48
	s_waitcnt lgkmcnt(0)
	s_barrier
	ds_read2st64_b32 v[16:17], v3 offset0:4 offset1:8
	ds_read2st64_b32 v[14:15], v3 offset0:12 offset1:16
	;; [unrolled: 1-line block ×6, first 2 shown]
	ds_read_b32 v3, v3 offset:13312
	v_mov_b32_e32 v7, s5
	v_add_co_u32_e32 v6, vcc, s4, v50
	s_add_i32 s33, s33, s58
	v_addc_co_u32_e32 v7, vcc, 0, v7, vcc
	v_mov_b32_e32 v1, 0
	v_cmp_gt_u32_e32 vcc, s33, v0
	s_and_saveexec_b64 s[0:1], vcc
	s_cbranch_execz .LBB1859_140
; %bb.139:
	v_mul_i32_i24_e32 v18, 0xffffffcc, v0
	v_add_u32_e32 v18, v2, v18
	ds_read_b32 v18, v18
	s_waitcnt lgkmcnt(0)
	flat_store_dword v[6:7], v18
.LBB1859_140:
	s_or_b64 exec, exec, s[0:1]
	v_or_b32_e32 v18, 0x100, v0
	v_cmp_gt_u32_e32 vcc, s33, v18
	s_and_saveexec_b64 s[0:1], vcc
	s_cbranch_execz .LBB1859_142
; %bb.141:
	s_waitcnt lgkmcnt(0)
	flat_store_dword v[6:7], v16 offset:1024
.LBB1859_142:
	s_or_b64 exec, exec, s[0:1]
	s_waitcnt lgkmcnt(0)
	v_or_b32_e32 v16, 0x200, v0
	v_cmp_gt_u32_e32 vcc, s33, v16
	s_and_saveexec_b64 s[0:1], vcc
	s_cbranch_execz .LBB1859_144
; %bb.143:
	flat_store_dword v[6:7], v17 offset:2048
.LBB1859_144:
	s_or_b64 exec, exec, s[0:1]
	v_or_b32_e32 v16, 0x300, v0
	v_cmp_gt_u32_e32 vcc, s33, v16
	s_and_saveexec_b64 s[0:1], vcc
	s_cbranch_execz .LBB1859_146
; %bb.145:
	flat_store_dword v[6:7], v14 offset:3072
.LBB1859_146:
	s_or_b64 exec, exec, s[0:1]
	v_or_b32_e32 v14, 0x400, v0
	v_cmp_gt_u32_e32 vcc, s33, v14
	s_and_saveexec_b64 s[0:1], vcc
	s_cbranch_execz .LBB1859_148
; %bb.147:
	v_add_co_u32_e32 v16, vcc, 0x1000, v6
	v_addc_co_u32_e32 v17, vcc, 0, v7, vcc
	flat_store_dword v[16:17], v15
.LBB1859_148:
	s_or_b64 exec, exec, s[0:1]
	v_or_b32_e32 v14, 0x500, v0
	v_cmp_gt_u32_e32 vcc, s33, v14
	s_and_saveexec_b64 s[0:1], vcc
	s_cbranch_execz .LBB1859_150
; %bb.149:
	v_add_co_u32_e32 v14, vcc, 0x1000, v6
	v_addc_co_u32_e32 v15, vcc, 0, v7, vcc
	flat_store_dword v[14:15], v12 offset:1024
.LBB1859_150:
	s_or_b64 exec, exec, s[0:1]
	v_or_b32_e32 v12, 0x600, v0
	v_cmp_gt_u32_e32 vcc, s33, v12
	s_and_saveexec_b64 s[0:1], vcc
	s_cbranch_execz .LBB1859_152
; %bb.151:
	v_add_co_u32_e32 v14, vcc, 0x1000, v6
	v_addc_co_u32_e32 v15, vcc, 0, v7, vcc
	flat_store_dword v[14:15], v13 offset:2048
.LBB1859_152:
	;; [unrolled: 10-line block ×3, first 2 shown]
	s_or_b64 exec, exec, s[0:1]
	v_or_b32_e32 v10, 0x800, v0
	v_cmp_gt_u32_e32 vcc, s33, v10
	s_and_saveexec_b64 s[0:1], vcc
	s_cbranch_execz .LBB1859_156
; %bb.155:
	v_add_co_u32_e32 v12, vcc, 0x2000, v6
	v_addc_co_u32_e32 v13, vcc, 0, v7, vcc
	flat_store_dword v[12:13], v11
.LBB1859_156:
	s_or_b64 exec, exec, s[0:1]
	v_or_b32_e32 v10, 0x900, v0
	v_cmp_gt_u32_e32 vcc, s33, v10
	s_and_saveexec_b64 s[0:1], vcc
	s_cbranch_execz .LBB1859_158
; %bb.157:
	v_add_co_u32_e32 v10, vcc, 0x2000, v6
	v_addc_co_u32_e32 v11, vcc, 0, v7, vcc
	flat_store_dword v[10:11], v8 offset:1024
.LBB1859_158:
	s_or_b64 exec, exec, s[0:1]
	v_or_b32_e32 v8, 0xa00, v0
	v_cmp_gt_u32_e32 vcc, s33, v8
	s_and_saveexec_b64 s[0:1], vcc
	s_cbranch_execz .LBB1859_160
; %bb.159:
	v_add_co_u32_e32 v10, vcc, 0x2000, v6
	v_addc_co_u32_e32 v11, vcc, 0, v7, vcc
	flat_store_dword v[10:11], v9 offset:2048
.LBB1859_160:
	;; [unrolled: 10-line block ×3, first 2 shown]
	s_or_b64 exec, exec, s[0:1]
	v_or_b32_e32 v4, 0xc00, v0
	v_cmp_gt_u32_e32 vcc, s33, v4
	s_and_saveexec_b64 s[0:1], vcc
	s_cbranch_execz .LBB1859_164
; %bb.163:
	v_add_co_u32_e32 v6, vcc, 0x3000, v6
	v_addc_co_u32_e32 v7, vcc, 0, v7, vcc
	flat_store_dword v[6:7], v5
.LBB1859_164:
	s_or_b64 exec, exec, s[0:1]
	v_or_b32_e32 v4, 0xd00, v0
	v_cmp_gt_u32_e64 s[0:1], s33, v4
	s_branch .LBB1859_167
.LBB1859_165:
	s_mov_b64 s[0:1], 0
                                        ; implicit-def: $vgpr3
	s_cbranch_execz .LBB1859_167
; %bb.166:
	s_movk_i32 s2, 0xffcc
	s_waitcnt lgkmcnt(0)
	s_barrier
	ds_write2_b64 v2, v[26:27], v[42:43] offset1:1
	ds_write2_b64 v2, v[30:31], v[44:45] offset0:2 offset1:3
	ds_write2_b64 v2, v[34:35], v[46:47] offset0:4 offset1:5
	ds_write_b64 v2, v[48:49] offset:48
	v_mad_i32_i24 v2, v0, s2, v2
	v_mov_b32_e32 v17, s5
	v_add_co_u32_e32 v16, vcc, s4, v50
	s_waitcnt lgkmcnt(0)
	s_barrier
	ds_read2st64_b32 v[4:5], v2 offset1:4
	ds_read2st64_b32 v[6:7], v2 offset0:8 offset1:12
	ds_read2st64_b32 v[8:9], v2 offset0:16 offset1:20
	;; [unrolled: 1-line block ×6, first 2 shown]
	v_addc_co_u32_e32 v17, vcc, 0, v17, vcc
	s_movk_i32 s2, 0x1000
	s_waitcnt lgkmcnt(0)
	flat_store_dword v[16:17], v4
	flat_store_dword v[16:17], v5 offset:1024
	flat_store_dword v[16:17], v6 offset:2048
	;; [unrolled: 1-line block ×3, first 2 shown]
	v_add_co_u32_e32 v4, vcc, s2, v16
	v_addc_co_u32_e32 v5, vcc, 0, v17, vcc
	flat_store_dword v[4:5], v8
	flat_store_dword v[4:5], v9 offset:1024
	flat_store_dword v[4:5], v10 offset:2048
	;; [unrolled: 1-line block ×3, first 2 shown]
	v_add_co_u32_e32 v4, vcc, 0x2000, v16
	v_addc_co_u32_e32 v5, vcc, 0, v17, vcc
	flat_store_dword v[4:5], v12
	flat_store_dword v[4:5], v13 offset:1024
	flat_store_dword v[4:5], v14 offset:2048
	;; [unrolled: 1-line block ×3, first 2 shown]
	v_add_co_u32_e32 v4, vcc, 0x3000, v16
	v_mov_b32_e32 v1, 0
	v_addc_co_u32_e32 v5, vcc, 0, v17, vcc
	s_or_b64 s[0:1], s[0:1], exec
	flat_store_dword v[4:5], v2
.LBB1859_167:
	s_and_saveexec_b64 s[2:3], s[0:1]
	s_cbranch_execnz .LBB1859_169
; %bb.168:
	s_endpgm
.LBB1859_169:
	v_lshlrev_b64 v[0:1], 2, v[0:1]
	v_mov_b32_e32 v2, s5
	v_add_co_u32_e32 v0, vcc, s4, v0
	v_addc_co_u32_e32 v1, vcc, v2, v1, vcc
	v_add_co_u32_e32 v0, vcc, 0x3000, v0
	v_addc_co_u32_e32 v1, vcc, 0, v1, vcc
	flat_store_dword v[0:1], v3 offset:1024
	s_endpgm
.LBB1859_170:
	v_mov_b32_e32 v13, s63
	v_add_co_u32_e32 v14, vcc, s62, v12
	v_addc_co_u32_e32 v15, vcc, 0, v13, vcc
	flat_load_dword v13, v[14:15]
	s_or_b64 exec, exec, s[4:5]
                                        ; implicit-def: $vgpr14
	s_and_saveexec_b64 s[4:5], s[8:9]
	s_cbranch_execz .LBB1859_41
.LBB1859_171:
	v_mov_b32_e32 v15, s63
	v_add_co_u32_e32 v14, vcc, s62, v12
	v_addc_co_u32_e32 v15, vcc, 0, v15, vcc
	flat_load_dword v14, v[14:15] offset:1024
	s_or_b64 exec, exec, s[4:5]
                                        ; implicit-def: $vgpr15
	s_and_saveexec_b64 s[4:5], s[10:11]
	s_cbranch_execz .LBB1859_42
.LBB1859_172:
	v_mov_b32_e32 v15, s63
	v_add_co_u32_e32 v16, vcc, s62, v12
	v_addc_co_u32_e32 v17, vcc, 0, v15, vcc
	flat_load_dword v15, v[16:17] offset:2048
	s_or_b64 exec, exec, s[4:5]
                                        ; implicit-def: $vgpr16
	s_and_saveexec_b64 s[4:5], s[12:13]
	s_cbranch_execz .LBB1859_43
.LBB1859_173:
	v_mov_b32_e32 v17, s63
	v_add_co_u32_e32 v16, vcc, s62, v12
	v_addc_co_u32_e32 v17, vcc, 0, v17, vcc
	flat_load_dword v16, v[16:17] offset:3072
	s_or_b64 exec, exec, s[4:5]
                                        ; implicit-def: $vgpr17
	s_and_saveexec_b64 s[4:5], s[14:15]
	s_cbranch_execz .LBB1859_44
.LBB1859_174:
	v_mov_b32_e32 v17, s63
	v_add_co_u32_e32 v18, vcc, s62, v2
	v_addc_co_u32_e32 v19, vcc, 0, v17, vcc
	flat_load_dword v17, v[18:19]
	s_or_b64 exec, exec, s[4:5]
                                        ; implicit-def: $vgpr2
	s_and_saveexec_b64 s[4:5], s[16:17]
	s_cbranch_execz .LBB1859_45
.LBB1859_175:
	v_mov_b32_e32 v18, s63
	v_add_co_u32_e32 v2, vcc, s62, v3
	v_addc_co_u32_e32 v3, vcc, 0, v18, vcc
	flat_load_dword v2, v[2:3]
	s_or_b64 exec, exec, s[4:5]
                                        ; implicit-def: $vgpr3
	s_and_saveexec_b64 s[4:5], s[18:19]
	s_cbranch_execz .LBB1859_46
.LBB1859_176:
	v_mov_b32_e32 v3, s63
	v_add_co_u32_e32 v18, vcc, s62, v4
	v_addc_co_u32_e32 v19, vcc, 0, v3, vcc
	flat_load_dword v3, v[18:19]
	s_or_b64 exec, exec, s[4:5]
                                        ; implicit-def: $vgpr4
	s_and_saveexec_b64 s[4:5], s[20:21]
	s_cbranch_execz .LBB1859_47
.LBB1859_177:
	v_mov_b32_e32 v18, s63
	v_add_co_u32_e32 v4, vcc, s62, v5
	v_addc_co_u32_e32 v5, vcc, 0, v18, vcc
	flat_load_dword v4, v[4:5]
	s_or_b64 exec, exec, s[4:5]
                                        ; implicit-def: $vgpr5
	s_and_saveexec_b64 s[4:5], s[22:23]
	s_cbranch_execz .LBB1859_48
.LBB1859_178:
	v_mov_b32_e32 v5, s63
	v_add_co_u32_e32 v18, vcc, s62, v6
	v_addc_co_u32_e32 v19, vcc, 0, v5, vcc
	flat_load_dword v5, v[18:19]
	s_or_b64 exec, exec, s[4:5]
                                        ; implicit-def: $vgpr6
	s_and_saveexec_b64 s[4:5], s[24:25]
	s_cbranch_execz .LBB1859_49
.LBB1859_179:
	v_mov_b32_e32 v18, s63
	v_add_co_u32_e32 v6, vcc, s62, v7
	v_addc_co_u32_e32 v7, vcc, 0, v18, vcc
	flat_load_dword v6, v[6:7]
	s_or_b64 exec, exec, s[4:5]
                                        ; implicit-def: $vgpr7
	s_and_saveexec_b64 s[4:5], s[26:27]
	s_cbranch_execz .LBB1859_50
.LBB1859_180:
	v_mov_b32_e32 v7, s63
	v_add_co_u32_e32 v18, vcc, s62, v8
	v_addc_co_u32_e32 v19, vcc, 0, v7, vcc
	flat_load_dword v7, v[18:19]
	s_or_b64 exec, exec, s[4:5]
                                        ; implicit-def: $vgpr8
	s_and_saveexec_b64 s[4:5], s[28:29]
	s_cbranch_execz .LBB1859_51
.LBB1859_181:
	v_mov_b32_e32 v18, s63
	v_add_co_u32_e32 v8, vcc, s62, v9
	v_addc_co_u32_e32 v9, vcc, 0, v18, vcc
	flat_load_dword v8, v[8:9]
	s_or_b64 exec, exec, s[4:5]
                                        ; implicit-def: $vgpr9
	s_and_saveexec_b64 s[4:5], s[30:31]
	s_cbranch_execz .LBB1859_52
.LBB1859_182:
	v_mov_b32_e32 v9, s63
	v_add_co_u32_e32 v18, vcc, s62, v10
	v_addc_co_u32_e32 v19, vcc, 0, v9, vcc
	flat_load_dword v9, v[18:19]
	s_or_b64 exec, exec, s[4:5]
                                        ; implicit-def: $vgpr10
	s_and_saveexec_b64 s[4:5], s[34:35]
	s_cbranch_execnz .LBB1859_53
	s_branch .LBB1859_54
.LBB1859_183:
                                        ; implicit-def: $sgpr4_sgpr5
	s_branch .LBB1859_36
.LBB1859_184:
                                        ; implicit-def: $sgpr4_sgpr5
	s_branch .LBB1859_85
	.section	.rodata,"a",@progbits
	.p2align	6, 0x0
	.amdhsa_kernel _ZN7rocprim17ROCPRIM_400000_NS6detail17trampoline_kernelINS0_14default_configENS1_27scan_by_key_config_selectorIjjEEZZNS1_16scan_by_key_implILNS1_25lookback_scan_determinismE0ELb0ES3_N6thrust23THRUST_200600_302600_NS6detail15normal_iteratorINS9_10device_ptrIjEEEESE_SE_jNS9_4plusIvEENS9_8equal_toIvEEjEE10hipError_tPvRmT2_T3_T4_T5_mT6_T7_P12ihipStream_tbENKUlT_T0_E_clISt17integral_constantIbLb0EESY_IbLb1EEEEDaSU_SV_EUlSU_E_NS1_11comp_targetILNS1_3genE4ELNS1_11target_archE910ELNS1_3gpuE8ELNS1_3repE0EEENS1_30default_config_static_selectorELNS0_4arch9wavefront6targetE1EEEvT1_
		.amdhsa_group_segment_fixed_size 16384
		.amdhsa_private_segment_fixed_size 0
		.amdhsa_kernarg_size 112
		.amdhsa_user_sgpr_count 6
		.amdhsa_user_sgpr_private_segment_buffer 1
		.amdhsa_user_sgpr_dispatch_ptr 0
		.amdhsa_user_sgpr_queue_ptr 0
		.amdhsa_user_sgpr_kernarg_segment_ptr 1
		.amdhsa_user_sgpr_dispatch_id 0
		.amdhsa_user_sgpr_flat_scratch_init 0
		.amdhsa_user_sgpr_kernarg_preload_length 0
		.amdhsa_user_sgpr_kernarg_preload_offset 0
		.amdhsa_user_sgpr_private_segment_size 0
		.amdhsa_uses_dynamic_stack 0
		.amdhsa_system_sgpr_private_segment_wavefront_offset 0
		.amdhsa_system_sgpr_workgroup_id_x 1
		.amdhsa_system_sgpr_workgroup_id_y 0
		.amdhsa_system_sgpr_workgroup_id_z 0
		.amdhsa_system_sgpr_workgroup_info 0
		.amdhsa_system_vgpr_workitem_id 0
		.amdhsa_next_free_vgpr 65
		.amdhsa_next_free_sgpr 65
		.amdhsa_accum_offset 68
		.amdhsa_reserve_vcc 1
		.amdhsa_reserve_flat_scratch 0
		.amdhsa_float_round_mode_32 0
		.amdhsa_float_round_mode_16_64 0
		.amdhsa_float_denorm_mode_32 3
		.amdhsa_float_denorm_mode_16_64 3
		.amdhsa_dx10_clamp 1
		.amdhsa_ieee_mode 1
		.amdhsa_fp16_overflow 0
		.amdhsa_tg_split 0
		.amdhsa_exception_fp_ieee_invalid_op 0
		.amdhsa_exception_fp_denorm_src 0
		.amdhsa_exception_fp_ieee_div_zero 0
		.amdhsa_exception_fp_ieee_overflow 0
		.amdhsa_exception_fp_ieee_underflow 0
		.amdhsa_exception_fp_ieee_inexact 0
		.amdhsa_exception_int_div_zero 0
	.end_amdhsa_kernel
	.section	.text._ZN7rocprim17ROCPRIM_400000_NS6detail17trampoline_kernelINS0_14default_configENS1_27scan_by_key_config_selectorIjjEEZZNS1_16scan_by_key_implILNS1_25lookback_scan_determinismE0ELb0ES3_N6thrust23THRUST_200600_302600_NS6detail15normal_iteratorINS9_10device_ptrIjEEEESE_SE_jNS9_4plusIvEENS9_8equal_toIvEEjEE10hipError_tPvRmT2_T3_T4_T5_mT6_T7_P12ihipStream_tbENKUlT_T0_E_clISt17integral_constantIbLb0EESY_IbLb1EEEEDaSU_SV_EUlSU_E_NS1_11comp_targetILNS1_3genE4ELNS1_11target_archE910ELNS1_3gpuE8ELNS1_3repE0EEENS1_30default_config_static_selectorELNS0_4arch9wavefront6targetE1EEEvT1_,"axG",@progbits,_ZN7rocprim17ROCPRIM_400000_NS6detail17trampoline_kernelINS0_14default_configENS1_27scan_by_key_config_selectorIjjEEZZNS1_16scan_by_key_implILNS1_25lookback_scan_determinismE0ELb0ES3_N6thrust23THRUST_200600_302600_NS6detail15normal_iteratorINS9_10device_ptrIjEEEESE_SE_jNS9_4plusIvEENS9_8equal_toIvEEjEE10hipError_tPvRmT2_T3_T4_T5_mT6_T7_P12ihipStream_tbENKUlT_T0_E_clISt17integral_constantIbLb0EESY_IbLb1EEEEDaSU_SV_EUlSU_E_NS1_11comp_targetILNS1_3genE4ELNS1_11target_archE910ELNS1_3gpuE8ELNS1_3repE0EEENS1_30default_config_static_selectorELNS0_4arch9wavefront6targetE1EEEvT1_,comdat
.Lfunc_end1859:
	.size	_ZN7rocprim17ROCPRIM_400000_NS6detail17trampoline_kernelINS0_14default_configENS1_27scan_by_key_config_selectorIjjEEZZNS1_16scan_by_key_implILNS1_25lookback_scan_determinismE0ELb0ES3_N6thrust23THRUST_200600_302600_NS6detail15normal_iteratorINS9_10device_ptrIjEEEESE_SE_jNS9_4plusIvEENS9_8equal_toIvEEjEE10hipError_tPvRmT2_T3_T4_T5_mT6_T7_P12ihipStream_tbENKUlT_T0_E_clISt17integral_constantIbLb0EESY_IbLb1EEEEDaSU_SV_EUlSU_E_NS1_11comp_targetILNS1_3genE4ELNS1_11target_archE910ELNS1_3gpuE8ELNS1_3repE0EEENS1_30default_config_static_selectorELNS0_4arch9wavefront6targetE1EEEvT1_, .Lfunc_end1859-_ZN7rocprim17ROCPRIM_400000_NS6detail17trampoline_kernelINS0_14default_configENS1_27scan_by_key_config_selectorIjjEEZZNS1_16scan_by_key_implILNS1_25lookback_scan_determinismE0ELb0ES3_N6thrust23THRUST_200600_302600_NS6detail15normal_iteratorINS9_10device_ptrIjEEEESE_SE_jNS9_4plusIvEENS9_8equal_toIvEEjEE10hipError_tPvRmT2_T3_T4_T5_mT6_T7_P12ihipStream_tbENKUlT_T0_E_clISt17integral_constantIbLb0EESY_IbLb1EEEEDaSU_SV_EUlSU_E_NS1_11comp_targetILNS1_3genE4ELNS1_11target_archE910ELNS1_3gpuE8ELNS1_3repE0EEENS1_30default_config_static_selectorELNS0_4arch9wavefront6targetE1EEEvT1_
                                        ; -- End function
	.section	.AMDGPU.csdata,"",@progbits
; Kernel info:
; codeLenInByte = 11024
; NumSgprs: 69
; NumVgprs: 65
; NumAgprs: 0
; TotalNumVgprs: 65
; ScratchSize: 0
; MemoryBound: 0
; FloatMode: 240
; IeeeMode: 1
; LDSByteSize: 16384 bytes/workgroup (compile time only)
; SGPRBlocks: 8
; VGPRBlocks: 8
; NumSGPRsForWavesPerEU: 69
; NumVGPRsForWavesPerEU: 65
; AccumOffset: 68
; Occupancy: 4
; WaveLimiterHint : 1
; COMPUTE_PGM_RSRC2:SCRATCH_EN: 0
; COMPUTE_PGM_RSRC2:USER_SGPR: 6
; COMPUTE_PGM_RSRC2:TRAP_HANDLER: 0
; COMPUTE_PGM_RSRC2:TGID_X_EN: 1
; COMPUTE_PGM_RSRC2:TGID_Y_EN: 0
; COMPUTE_PGM_RSRC2:TGID_Z_EN: 0
; COMPUTE_PGM_RSRC2:TIDIG_COMP_CNT: 0
; COMPUTE_PGM_RSRC3_GFX90A:ACCUM_OFFSET: 16
; COMPUTE_PGM_RSRC3_GFX90A:TG_SPLIT: 0
	.section	.text._ZN7rocprim17ROCPRIM_400000_NS6detail17trampoline_kernelINS0_14default_configENS1_27scan_by_key_config_selectorIjjEEZZNS1_16scan_by_key_implILNS1_25lookback_scan_determinismE0ELb0ES3_N6thrust23THRUST_200600_302600_NS6detail15normal_iteratorINS9_10device_ptrIjEEEESE_SE_jNS9_4plusIvEENS9_8equal_toIvEEjEE10hipError_tPvRmT2_T3_T4_T5_mT6_T7_P12ihipStream_tbENKUlT_T0_E_clISt17integral_constantIbLb0EESY_IbLb1EEEEDaSU_SV_EUlSU_E_NS1_11comp_targetILNS1_3genE3ELNS1_11target_archE908ELNS1_3gpuE7ELNS1_3repE0EEENS1_30default_config_static_selectorELNS0_4arch9wavefront6targetE1EEEvT1_,"axG",@progbits,_ZN7rocprim17ROCPRIM_400000_NS6detail17trampoline_kernelINS0_14default_configENS1_27scan_by_key_config_selectorIjjEEZZNS1_16scan_by_key_implILNS1_25lookback_scan_determinismE0ELb0ES3_N6thrust23THRUST_200600_302600_NS6detail15normal_iteratorINS9_10device_ptrIjEEEESE_SE_jNS9_4plusIvEENS9_8equal_toIvEEjEE10hipError_tPvRmT2_T3_T4_T5_mT6_T7_P12ihipStream_tbENKUlT_T0_E_clISt17integral_constantIbLb0EESY_IbLb1EEEEDaSU_SV_EUlSU_E_NS1_11comp_targetILNS1_3genE3ELNS1_11target_archE908ELNS1_3gpuE7ELNS1_3repE0EEENS1_30default_config_static_selectorELNS0_4arch9wavefront6targetE1EEEvT1_,comdat
	.protected	_ZN7rocprim17ROCPRIM_400000_NS6detail17trampoline_kernelINS0_14default_configENS1_27scan_by_key_config_selectorIjjEEZZNS1_16scan_by_key_implILNS1_25lookback_scan_determinismE0ELb0ES3_N6thrust23THRUST_200600_302600_NS6detail15normal_iteratorINS9_10device_ptrIjEEEESE_SE_jNS9_4plusIvEENS9_8equal_toIvEEjEE10hipError_tPvRmT2_T3_T4_T5_mT6_T7_P12ihipStream_tbENKUlT_T0_E_clISt17integral_constantIbLb0EESY_IbLb1EEEEDaSU_SV_EUlSU_E_NS1_11comp_targetILNS1_3genE3ELNS1_11target_archE908ELNS1_3gpuE7ELNS1_3repE0EEENS1_30default_config_static_selectorELNS0_4arch9wavefront6targetE1EEEvT1_ ; -- Begin function _ZN7rocprim17ROCPRIM_400000_NS6detail17trampoline_kernelINS0_14default_configENS1_27scan_by_key_config_selectorIjjEEZZNS1_16scan_by_key_implILNS1_25lookback_scan_determinismE0ELb0ES3_N6thrust23THRUST_200600_302600_NS6detail15normal_iteratorINS9_10device_ptrIjEEEESE_SE_jNS9_4plusIvEENS9_8equal_toIvEEjEE10hipError_tPvRmT2_T3_T4_T5_mT6_T7_P12ihipStream_tbENKUlT_T0_E_clISt17integral_constantIbLb0EESY_IbLb1EEEEDaSU_SV_EUlSU_E_NS1_11comp_targetILNS1_3genE3ELNS1_11target_archE908ELNS1_3gpuE7ELNS1_3repE0EEENS1_30default_config_static_selectorELNS0_4arch9wavefront6targetE1EEEvT1_
	.globl	_ZN7rocprim17ROCPRIM_400000_NS6detail17trampoline_kernelINS0_14default_configENS1_27scan_by_key_config_selectorIjjEEZZNS1_16scan_by_key_implILNS1_25lookback_scan_determinismE0ELb0ES3_N6thrust23THRUST_200600_302600_NS6detail15normal_iteratorINS9_10device_ptrIjEEEESE_SE_jNS9_4plusIvEENS9_8equal_toIvEEjEE10hipError_tPvRmT2_T3_T4_T5_mT6_T7_P12ihipStream_tbENKUlT_T0_E_clISt17integral_constantIbLb0EESY_IbLb1EEEEDaSU_SV_EUlSU_E_NS1_11comp_targetILNS1_3genE3ELNS1_11target_archE908ELNS1_3gpuE7ELNS1_3repE0EEENS1_30default_config_static_selectorELNS0_4arch9wavefront6targetE1EEEvT1_
	.p2align	8
	.type	_ZN7rocprim17ROCPRIM_400000_NS6detail17trampoline_kernelINS0_14default_configENS1_27scan_by_key_config_selectorIjjEEZZNS1_16scan_by_key_implILNS1_25lookback_scan_determinismE0ELb0ES3_N6thrust23THRUST_200600_302600_NS6detail15normal_iteratorINS9_10device_ptrIjEEEESE_SE_jNS9_4plusIvEENS9_8equal_toIvEEjEE10hipError_tPvRmT2_T3_T4_T5_mT6_T7_P12ihipStream_tbENKUlT_T0_E_clISt17integral_constantIbLb0EESY_IbLb1EEEEDaSU_SV_EUlSU_E_NS1_11comp_targetILNS1_3genE3ELNS1_11target_archE908ELNS1_3gpuE7ELNS1_3repE0EEENS1_30default_config_static_selectorELNS0_4arch9wavefront6targetE1EEEvT1_,@function
_ZN7rocprim17ROCPRIM_400000_NS6detail17trampoline_kernelINS0_14default_configENS1_27scan_by_key_config_selectorIjjEEZZNS1_16scan_by_key_implILNS1_25lookback_scan_determinismE0ELb0ES3_N6thrust23THRUST_200600_302600_NS6detail15normal_iteratorINS9_10device_ptrIjEEEESE_SE_jNS9_4plusIvEENS9_8equal_toIvEEjEE10hipError_tPvRmT2_T3_T4_T5_mT6_T7_P12ihipStream_tbENKUlT_T0_E_clISt17integral_constantIbLb0EESY_IbLb1EEEEDaSU_SV_EUlSU_E_NS1_11comp_targetILNS1_3genE3ELNS1_11target_archE908ELNS1_3gpuE7ELNS1_3repE0EEENS1_30default_config_static_selectorELNS0_4arch9wavefront6targetE1EEEvT1_: ; @_ZN7rocprim17ROCPRIM_400000_NS6detail17trampoline_kernelINS0_14default_configENS1_27scan_by_key_config_selectorIjjEEZZNS1_16scan_by_key_implILNS1_25lookback_scan_determinismE0ELb0ES3_N6thrust23THRUST_200600_302600_NS6detail15normal_iteratorINS9_10device_ptrIjEEEESE_SE_jNS9_4plusIvEENS9_8equal_toIvEEjEE10hipError_tPvRmT2_T3_T4_T5_mT6_T7_P12ihipStream_tbENKUlT_T0_E_clISt17integral_constantIbLb0EESY_IbLb1EEEEDaSU_SV_EUlSU_E_NS1_11comp_targetILNS1_3genE3ELNS1_11target_archE908ELNS1_3gpuE7ELNS1_3repE0EEENS1_30default_config_static_selectorELNS0_4arch9wavefront6targetE1EEEvT1_
; %bb.0:
	.section	.rodata,"a",@progbits
	.p2align	6, 0x0
	.amdhsa_kernel _ZN7rocprim17ROCPRIM_400000_NS6detail17trampoline_kernelINS0_14default_configENS1_27scan_by_key_config_selectorIjjEEZZNS1_16scan_by_key_implILNS1_25lookback_scan_determinismE0ELb0ES3_N6thrust23THRUST_200600_302600_NS6detail15normal_iteratorINS9_10device_ptrIjEEEESE_SE_jNS9_4plusIvEENS9_8equal_toIvEEjEE10hipError_tPvRmT2_T3_T4_T5_mT6_T7_P12ihipStream_tbENKUlT_T0_E_clISt17integral_constantIbLb0EESY_IbLb1EEEEDaSU_SV_EUlSU_E_NS1_11comp_targetILNS1_3genE3ELNS1_11target_archE908ELNS1_3gpuE7ELNS1_3repE0EEENS1_30default_config_static_selectorELNS0_4arch9wavefront6targetE1EEEvT1_
		.amdhsa_group_segment_fixed_size 0
		.amdhsa_private_segment_fixed_size 0
		.amdhsa_kernarg_size 112
		.amdhsa_user_sgpr_count 6
		.amdhsa_user_sgpr_private_segment_buffer 1
		.amdhsa_user_sgpr_dispatch_ptr 0
		.amdhsa_user_sgpr_queue_ptr 0
		.amdhsa_user_sgpr_kernarg_segment_ptr 1
		.amdhsa_user_sgpr_dispatch_id 0
		.amdhsa_user_sgpr_flat_scratch_init 0
		.amdhsa_user_sgpr_kernarg_preload_length 0
		.amdhsa_user_sgpr_kernarg_preload_offset 0
		.amdhsa_user_sgpr_private_segment_size 0
		.amdhsa_uses_dynamic_stack 0
		.amdhsa_system_sgpr_private_segment_wavefront_offset 0
		.amdhsa_system_sgpr_workgroup_id_x 1
		.amdhsa_system_sgpr_workgroup_id_y 0
		.amdhsa_system_sgpr_workgroup_id_z 0
		.amdhsa_system_sgpr_workgroup_info 0
		.amdhsa_system_vgpr_workitem_id 0
		.amdhsa_next_free_vgpr 1
		.amdhsa_next_free_sgpr 0
		.amdhsa_accum_offset 4
		.amdhsa_reserve_vcc 0
		.amdhsa_reserve_flat_scratch 0
		.amdhsa_float_round_mode_32 0
		.amdhsa_float_round_mode_16_64 0
		.amdhsa_float_denorm_mode_32 3
		.amdhsa_float_denorm_mode_16_64 3
		.amdhsa_dx10_clamp 1
		.amdhsa_ieee_mode 1
		.amdhsa_fp16_overflow 0
		.amdhsa_tg_split 0
		.amdhsa_exception_fp_ieee_invalid_op 0
		.amdhsa_exception_fp_denorm_src 0
		.amdhsa_exception_fp_ieee_div_zero 0
		.amdhsa_exception_fp_ieee_overflow 0
		.amdhsa_exception_fp_ieee_underflow 0
		.amdhsa_exception_fp_ieee_inexact 0
		.amdhsa_exception_int_div_zero 0
	.end_amdhsa_kernel
	.section	.text._ZN7rocprim17ROCPRIM_400000_NS6detail17trampoline_kernelINS0_14default_configENS1_27scan_by_key_config_selectorIjjEEZZNS1_16scan_by_key_implILNS1_25lookback_scan_determinismE0ELb0ES3_N6thrust23THRUST_200600_302600_NS6detail15normal_iteratorINS9_10device_ptrIjEEEESE_SE_jNS9_4plusIvEENS9_8equal_toIvEEjEE10hipError_tPvRmT2_T3_T4_T5_mT6_T7_P12ihipStream_tbENKUlT_T0_E_clISt17integral_constantIbLb0EESY_IbLb1EEEEDaSU_SV_EUlSU_E_NS1_11comp_targetILNS1_3genE3ELNS1_11target_archE908ELNS1_3gpuE7ELNS1_3repE0EEENS1_30default_config_static_selectorELNS0_4arch9wavefront6targetE1EEEvT1_,"axG",@progbits,_ZN7rocprim17ROCPRIM_400000_NS6detail17trampoline_kernelINS0_14default_configENS1_27scan_by_key_config_selectorIjjEEZZNS1_16scan_by_key_implILNS1_25lookback_scan_determinismE0ELb0ES3_N6thrust23THRUST_200600_302600_NS6detail15normal_iteratorINS9_10device_ptrIjEEEESE_SE_jNS9_4plusIvEENS9_8equal_toIvEEjEE10hipError_tPvRmT2_T3_T4_T5_mT6_T7_P12ihipStream_tbENKUlT_T0_E_clISt17integral_constantIbLb0EESY_IbLb1EEEEDaSU_SV_EUlSU_E_NS1_11comp_targetILNS1_3genE3ELNS1_11target_archE908ELNS1_3gpuE7ELNS1_3repE0EEENS1_30default_config_static_selectorELNS0_4arch9wavefront6targetE1EEEvT1_,comdat
.Lfunc_end1860:
	.size	_ZN7rocprim17ROCPRIM_400000_NS6detail17trampoline_kernelINS0_14default_configENS1_27scan_by_key_config_selectorIjjEEZZNS1_16scan_by_key_implILNS1_25lookback_scan_determinismE0ELb0ES3_N6thrust23THRUST_200600_302600_NS6detail15normal_iteratorINS9_10device_ptrIjEEEESE_SE_jNS9_4plusIvEENS9_8equal_toIvEEjEE10hipError_tPvRmT2_T3_T4_T5_mT6_T7_P12ihipStream_tbENKUlT_T0_E_clISt17integral_constantIbLb0EESY_IbLb1EEEEDaSU_SV_EUlSU_E_NS1_11comp_targetILNS1_3genE3ELNS1_11target_archE908ELNS1_3gpuE7ELNS1_3repE0EEENS1_30default_config_static_selectorELNS0_4arch9wavefront6targetE1EEEvT1_, .Lfunc_end1860-_ZN7rocprim17ROCPRIM_400000_NS6detail17trampoline_kernelINS0_14default_configENS1_27scan_by_key_config_selectorIjjEEZZNS1_16scan_by_key_implILNS1_25lookback_scan_determinismE0ELb0ES3_N6thrust23THRUST_200600_302600_NS6detail15normal_iteratorINS9_10device_ptrIjEEEESE_SE_jNS9_4plusIvEENS9_8equal_toIvEEjEE10hipError_tPvRmT2_T3_T4_T5_mT6_T7_P12ihipStream_tbENKUlT_T0_E_clISt17integral_constantIbLb0EESY_IbLb1EEEEDaSU_SV_EUlSU_E_NS1_11comp_targetILNS1_3genE3ELNS1_11target_archE908ELNS1_3gpuE7ELNS1_3repE0EEENS1_30default_config_static_selectorELNS0_4arch9wavefront6targetE1EEEvT1_
                                        ; -- End function
	.section	.AMDGPU.csdata,"",@progbits
; Kernel info:
; codeLenInByte = 0
; NumSgprs: 4
; NumVgprs: 0
; NumAgprs: 0
; TotalNumVgprs: 0
; ScratchSize: 0
; MemoryBound: 0
; FloatMode: 240
; IeeeMode: 1
; LDSByteSize: 0 bytes/workgroup (compile time only)
; SGPRBlocks: 0
; VGPRBlocks: 0
; NumSGPRsForWavesPerEU: 4
; NumVGPRsForWavesPerEU: 1
; AccumOffset: 4
; Occupancy: 8
; WaveLimiterHint : 0
; COMPUTE_PGM_RSRC2:SCRATCH_EN: 0
; COMPUTE_PGM_RSRC2:USER_SGPR: 6
; COMPUTE_PGM_RSRC2:TRAP_HANDLER: 0
; COMPUTE_PGM_RSRC2:TGID_X_EN: 1
; COMPUTE_PGM_RSRC2:TGID_Y_EN: 0
; COMPUTE_PGM_RSRC2:TGID_Z_EN: 0
; COMPUTE_PGM_RSRC2:TIDIG_COMP_CNT: 0
; COMPUTE_PGM_RSRC3_GFX90A:ACCUM_OFFSET: 0
; COMPUTE_PGM_RSRC3_GFX90A:TG_SPLIT: 0
	.section	.text._ZN7rocprim17ROCPRIM_400000_NS6detail17trampoline_kernelINS0_14default_configENS1_27scan_by_key_config_selectorIjjEEZZNS1_16scan_by_key_implILNS1_25lookback_scan_determinismE0ELb0ES3_N6thrust23THRUST_200600_302600_NS6detail15normal_iteratorINS9_10device_ptrIjEEEESE_SE_jNS9_4plusIvEENS9_8equal_toIvEEjEE10hipError_tPvRmT2_T3_T4_T5_mT6_T7_P12ihipStream_tbENKUlT_T0_E_clISt17integral_constantIbLb0EESY_IbLb1EEEEDaSU_SV_EUlSU_E_NS1_11comp_targetILNS1_3genE2ELNS1_11target_archE906ELNS1_3gpuE6ELNS1_3repE0EEENS1_30default_config_static_selectorELNS0_4arch9wavefront6targetE1EEEvT1_,"axG",@progbits,_ZN7rocprim17ROCPRIM_400000_NS6detail17trampoline_kernelINS0_14default_configENS1_27scan_by_key_config_selectorIjjEEZZNS1_16scan_by_key_implILNS1_25lookback_scan_determinismE0ELb0ES3_N6thrust23THRUST_200600_302600_NS6detail15normal_iteratorINS9_10device_ptrIjEEEESE_SE_jNS9_4plusIvEENS9_8equal_toIvEEjEE10hipError_tPvRmT2_T3_T4_T5_mT6_T7_P12ihipStream_tbENKUlT_T0_E_clISt17integral_constantIbLb0EESY_IbLb1EEEEDaSU_SV_EUlSU_E_NS1_11comp_targetILNS1_3genE2ELNS1_11target_archE906ELNS1_3gpuE6ELNS1_3repE0EEENS1_30default_config_static_selectorELNS0_4arch9wavefront6targetE1EEEvT1_,comdat
	.protected	_ZN7rocprim17ROCPRIM_400000_NS6detail17trampoline_kernelINS0_14default_configENS1_27scan_by_key_config_selectorIjjEEZZNS1_16scan_by_key_implILNS1_25lookback_scan_determinismE0ELb0ES3_N6thrust23THRUST_200600_302600_NS6detail15normal_iteratorINS9_10device_ptrIjEEEESE_SE_jNS9_4plusIvEENS9_8equal_toIvEEjEE10hipError_tPvRmT2_T3_T4_T5_mT6_T7_P12ihipStream_tbENKUlT_T0_E_clISt17integral_constantIbLb0EESY_IbLb1EEEEDaSU_SV_EUlSU_E_NS1_11comp_targetILNS1_3genE2ELNS1_11target_archE906ELNS1_3gpuE6ELNS1_3repE0EEENS1_30default_config_static_selectorELNS0_4arch9wavefront6targetE1EEEvT1_ ; -- Begin function _ZN7rocprim17ROCPRIM_400000_NS6detail17trampoline_kernelINS0_14default_configENS1_27scan_by_key_config_selectorIjjEEZZNS1_16scan_by_key_implILNS1_25lookback_scan_determinismE0ELb0ES3_N6thrust23THRUST_200600_302600_NS6detail15normal_iteratorINS9_10device_ptrIjEEEESE_SE_jNS9_4plusIvEENS9_8equal_toIvEEjEE10hipError_tPvRmT2_T3_T4_T5_mT6_T7_P12ihipStream_tbENKUlT_T0_E_clISt17integral_constantIbLb0EESY_IbLb1EEEEDaSU_SV_EUlSU_E_NS1_11comp_targetILNS1_3genE2ELNS1_11target_archE906ELNS1_3gpuE6ELNS1_3repE0EEENS1_30default_config_static_selectorELNS0_4arch9wavefront6targetE1EEEvT1_
	.globl	_ZN7rocprim17ROCPRIM_400000_NS6detail17trampoline_kernelINS0_14default_configENS1_27scan_by_key_config_selectorIjjEEZZNS1_16scan_by_key_implILNS1_25lookback_scan_determinismE0ELb0ES3_N6thrust23THRUST_200600_302600_NS6detail15normal_iteratorINS9_10device_ptrIjEEEESE_SE_jNS9_4plusIvEENS9_8equal_toIvEEjEE10hipError_tPvRmT2_T3_T4_T5_mT6_T7_P12ihipStream_tbENKUlT_T0_E_clISt17integral_constantIbLb0EESY_IbLb1EEEEDaSU_SV_EUlSU_E_NS1_11comp_targetILNS1_3genE2ELNS1_11target_archE906ELNS1_3gpuE6ELNS1_3repE0EEENS1_30default_config_static_selectorELNS0_4arch9wavefront6targetE1EEEvT1_
	.p2align	8
	.type	_ZN7rocprim17ROCPRIM_400000_NS6detail17trampoline_kernelINS0_14default_configENS1_27scan_by_key_config_selectorIjjEEZZNS1_16scan_by_key_implILNS1_25lookback_scan_determinismE0ELb0ES3_N6thrust23THRUST_200600_302600_NS6detail15normal_iteratorINS9_10device_ptrIjEEEESE_SE_jNS9_4plusIvEENS9_8equal_toIvEEjEE10hipError_tPvRmT2_T3_T4_T5_mT6_T7_P12ihipStream_tbENKUlT_T0_E_clISt17integral_constantIbLb0EESY_IbLb1EEEEDaSU_SV_EUlSU_E_NS1_11comp_targetILNS1_3genE2ELNS1_11target_archE906ELNS1_3gpuE6ELNS1_3repE0EEENS1_30default_config_static_selectorELNS0_4arch9wavefront6targetE1EEEvT1_,@function
_ZN7rocprim17ROCPRIM_400000_NS6detail17trampoline_kernelINS0_14default_configENS1_27scan_by_key_config_selectorIjjEEZZNS1_16scan_by_key_implILNS1_25lookback_scan_determinismE0ELb0ES3_N6thrust23THRUST_200600_302600_NS6detail15normal_iteratorINS9_10device_ptrIjEEEESE_SE_jNS9_4plusIvEENS9_8equal_toIvEEjEE10hipError_tPvRmT2_T3_T4_T5_mT6_T7_P12ihipStream_tbENKUlT_T0_E_clISt17integral_constantIbLb0EESY_IbLb1EEEEDaSU_SV_EUlSU_E_NS1_11comp_targetILNS1_3genE2ELNS1_11target_archE906ELNS1_3gpuE6ELNS1_3repE0EEENS1_30default_config_static_selectorELNS0_4arch9wavefront6targetE1EEEvT1_: ; @_ZN7rocprim17ROCPRIM_400000_NS6detail17trampoline_kernelINS0_14default_configENS1_27scan_by_key_config_selectorIjjEEZZNS1_16scan_by_key_implILNS1_25lookback_scan_determinismE0ELb0ES3_N6thrust23THRUST_200600_302600_NS6detail15normal_iteratorINS9_10device_ptrIjEEEESE_SE_jNS9_4plusIvEENS9_8equal_toIvEEjEE10hipError_tPvRmT2_T3_T4_T5_mT6_T7_P12ihipStream_tbENKUlT_T0_E_clISt17integral_constantIbLb0EESY_IbLb1EEEEDaSU_SV_EUlSU_E_NS1_11comp_targetILNS1_3genE2ELNS1_11target_archE906ELNS1_3gpuE6ELNS1_3repE0EEENS1_30default_config_static_selectorELNS0_4arch9wavefront6targetE1EEEvT1_
; %bb.0:
	.section	.rodata,"a",@progbits
	.p2align	6, 0x0
	.amdhsa_kernel _ZN7rocprim17ROCPRIM_400000_NS6detail17trampoline_kernelINS0_14default_configENS1_27scan_by_key_config_selectorIjjEEZZNS1_16scan_by_key_implILNS1_25lookback_scan_determinismE0ELb0ES3_N6thrust23THRUST_200600_302600_NS6detail15normal_iteratorINS9_10device_ptrIjEEEESE_SE_jNS9_4plusIvEENS9_8equal_toIvEEjEE10hipError_tPvRmT2_T3_T4_T5_mT6_T7_P12ihipStream_tbENKUlT_T0_E_clISt17integral_constantIbLb0EESY_IbLb1EEEEDaSU_SV_EUlSU_E_NS1_11comp_targetILNS1_3genE2ELNS1_11target_archE906ELNS1_3gpuE6ELNS1_3repE0EEENS1_30default_config_static_selectorELNS0_4arch9wavefront6targetE1EEEvT1_
		.amdhsa_group_segment_fixed_size 0
		.amdhsa_private_segment_fixed_size 0
		.amdhsa_kernarg_size 112
		.amdhsa_user_sgpr_count 6
		.amdhsa_user_sgpr_private_segment_buffer 1
		.amdhsa_user_sgpr_dispatch_ptr 0
		.amdhsa_user_sgpr_queue_ptr 0
		.amdhsa_user_sgpr_kernarg_segment_ptr 1
		.amdhsa_user_sgpr_dispatch_id 0
		.amdhsa_user_sgpr_flat_scratch_init 0
		.amdhsa_user_sgpr_kernarg_preload_length 0
		.amdhsa_user_sgpr_kernarg_preload_offset 0
		.amdhsa_user_sgpr_private_segment_size 0
		.amdhsa_uses_dynamic_stack 0
		.amdhsa_system_sgpr_private_segment_wavefront_offset 0
		.amdhsa_system_sgpr_workgroup_id_x 1
		.amdhsa_system_sgpr_workgroup_id_y 0
		.amdhsa_system_sgpr_workgroup_id_z 0
		.amdhsa_system_sgpr_workgroup_info 0
		.amdhsa_system_vgpr_workitem_id 0
		.amdhsa_next_free_vgpr 1
		.amdhsa_next_free_sgpr 0
		.amdhsa_accum_offset 4
		.amdhsa_reserve_vcc 0
		.amdhsa_reserve_flat_scratch 0
		.amdhsa_float_round_mode_32 0
		.amdhsa_float_round_mode_16_64 0
		.amdhsa_float_denorm_mode_32 3
		.amdhsa_float_denorm_mode_16_64 3
		.amdhsa_dx10_clamp 1
		.amdhsa_ieee_mode 1
		.amdhsa_fp16_overflow 0
		.amdhsa_tg_split 0
		.amdhsa_exception_fp_ieee_invalid_op 0
		.amdhsa_exception_fp_denorm_src 0
		.amdhsa_exception_fp_ieee_div_zero 0
		.amdhsa_exception_fp_ieee_overflow 0
		.amdhsa_exception_fp_ieee_underflow 0
		.amdhsa_exception_fp_ieee_inexact 0
		.amdhsa_exception_int_div_zero 0
	.end_amdhsa_kernel
	.section	.text._ZN7rocprim17ROCPRIM_400000_NS6detail17trampoline_kernelINS0_14default_configENS1_27scan_by_key_config_selectorIjjEEZZNS1_16scan_by_key_implILNS1_25lookback_scan_determinismE0ELb0ES3_N6thrust23THRUST_200600_302600_NS6detail15normal_iteratorINS9_10device_ptrIjEEEESE_SE_jNS9_4plusIvEENS9_8equal_toIvEEjEE10hipError_tPvRmT2_T3_T4_T5_mT6_T7_P12ihipStream_tbENKUlT_T0_E_clISt17integral_constantIbLb0EESY_IbLb1EEEEDaSU_SV_EUlSU_E_NS1_11comp_targetILNS1_3genE2ELNS1_11target_archE906ELNS1_3gpuE6ELNS1_3repE0EEENS1_30default_config_static_selectorELNS0_4arch9wavefront6targetE1EEEvT1_,"axG",@progbits,_ZN7rocprim17ROCPRIM_400000_NS6detail17trampoline_kernelINS0_14default_configENS1_27scan_by_key_config_selectorIjjEEZZNS1_16scan_by_key_implILNS1_25lookback_scan_determinismE0ELb0ES3_N6thrust23THRUST_200600_302600_NS6detail15normal_iteratorINS9_10device_ptrIjEEEESE_SE_jNS9_4plusIvEENS9_8equal_toIvEEjEE10hipError_tPvRmT2_T3_T4_T5_mT6_T7_P12ihipStream_tbENKUlT_T0_E_clISt17integral_constantIbLb0EESY_IbLb1EEEEDaSU_SV_EUlSU_E_NS1_11comp_targetILNS1_3genE2ELNS1_11target_archE906ELNS1_3gpuE6ELNS1_3repE0EEENS1_30default_config_static_selectorELNS0_4arch9wavefront6targetE1EEEvT1_,comdat
.Lfunc_end1861:
	.size	_ZN7rocprim17ROCPRIM_400000_NS6detail17trampoline_kernelINS0_14default_configENS1_27scan_by_key_config_selectorIjjEEZZNS1_16scan_by_key_implILNS1_25lookback_scan_determinismE0ELb0ES3_N6thrust23THRUST_200600_302600_NS6detail15normal_iteratorINS9_10device_ptrIjEEEESE_SE_jNS9_4plusIvEENS9_8equal_toIvEEjEE10hipError_tPvRmT2_T3_T4_T5_mT6_T7_P12ihipStream_tbENKUlT_T0_E_clISt17integral_constantIbLb0EESY_IbLb1EEEEDaSU_SV_EUlSU_E_NS1_11comp_targetILNS1_3genE2ELNS1_11target_archE906ELNS1_3gpuE6ELNS1_3repE0EEENS1_30default_config_static_selectorELNS0_4arch9wavefront6targetE1EEEvT1_, .Lfunc_end1861-_ZN7rocprim17ROCPRIM_400000_NS6detail17trampoline_kernelINS0_14default_configENS1_27scan_by_key_config_selectorIjjEEZZNS1_16scan_by_key_implILNS1_25lookback_scan_determinismE0ELb0ES3_N6thrust23THRUST_200600_302600_NS6detail15normal_iteratorINS9_10device_ptrIjEEEESE_SE_jNS9_4plusIvEENS9_8equal_toIvEEjEE10hipError_tPvRmT2_T3_T4_T5_mT6_T7_P12ihipStream_tbENKUlT_T0_E_clISt17integral_constantIbLb0EESY_IbLb1EEEEDaSU_SV_EUlSU_E_NS1_11comp_targetILNS1_3genE2ELNS1_11target_archE906ELNS1_3gpuE6ELNS1_3repE0EEENS1_30default_config_static_selectorELNS0_4arch9wavefront6targetE1EEEvT1_
                                        ; -- End function
	.section	.AMDGPU.csdata,"",@progbits
; Kernel info:
; codeLenInByte = 0
; NumSgprs: 4
; NumVgprs: 0
; NumAgprs: 0
; TotalNumVgprs: 0
; ScratchSize: 0
; MemoryBound: 0
; FloatMode: 240
; IeeeMode: 1
; LDSByteSize: 0 bytes/workgroup (compile time only)
; SGPRBlocks: 0
; VGPRBlocks: 0
; NumSGPRsForWavesPerEU: 4
; NumVGPRsForWavesPerEU: 1
; AccumOffset: 4
; Occupancy: 8
; WaveLimiterHint : 0
; COMPUTE_PGM_RSRC2:SCRATCH_EN: 0
; COMPUTE_PGM_RSRC2:USER_SGPR: 6
; COMPUTE_PGM_RSRC2:TRAP_HANDLER: 0
; COMPUTE_PGM_RSRC2:TGID_X_EN: 1
; COMPUTE_PGM_RSRC2:TGID_Y_EN: 0
; COMPUTE_PGM_RSRC2:TGID_Z_EN: 0
; COMPUTE_PGM_RSRC2:TIDIG_COMP_CNT: 0
; COMPUTE_PGM_RSRC3_GFX90A:ACCUM_OFFSET: 0
; COMPUTE_PGM_RSRC3_GFX90A:TG_SPLIT: 0
	.section	.text._ZN7rocprim17ROCPRIM_400000_NS6detail17trampoline_kernelINS0_14default_configENS1_27scan_by_key_config_selectorIjjEEZZNS1_16scan_by_key_implILNS1_25lookback_scan_determinismE0ELb0ES3_N6thrust23THRUST_200600_302600_NS6detail15normal_iteratorINS9_10device_ptrIjEEEESE_SE_jNS9_4plusIvEENS9_8equal_toIvEEjEE10hipError_tPvRmT2_T3_T4_T5_mT6_T7_P12ihipStream_tbENKUlT_T0_E_clISt17integral_constantIbLb0EESY_IbLb1EEEEDaSU_SV_EUlSU_E_NS1_11comp_targetILNS1_3genE10ELNS1_11target_archE1200ELNS1_3gpuE4ELNS1_3repE0EEENS1_30default_config_static_selectorELNS0_4arch9wavefront6targetE1EEEvT1_,"axG",@progbits,_ZN7rocprim17ROCPRIM_400000_NS6detail17trampoline_kernelINS0_14default_configENS1_27scan_by_key_config_selectorIjjEEZZNS1_16scan_by_key_implILNS1_25lookback_scan_determinismE0ELb0ES3_N6thrust23THRUST_200600_302600_NS6detail15normal_iteratorINS9_10device_ptrIjEEEESE_SE_jNS9_4plusIvEENS9_8equal_toIvEEjEE10hipError_tPvRmT2_T3_T4_T5_mT6_T7_P12ihipStream_tbENKUlT_T0_E_clISt17integral_constantIbLb0EESY_IbLb1EEEEDaSU_SV_EUlSU_E_NS1_11comp_targetILNS1_3genE10ELNS1_11target_archE1200ELNS1_3gpuE4ELNS1_3repE0EEENS1_30default_config_static_selectorELNS0_4arch9wavefront6targetE1EEEvT1_,comdat
	.protected	_ZN7rocprim17ROCPRIM_400000_NS6detail17trampoline_kernelINS0_14default_configENS1_27scan_by_key_config_selectorIjjEEZZNS1_16scan_by_key_implILNS1_25lookback_scan_determinismE0ELb0ES3_N6thrust23THRUST_200600_302600_NS6detail15normal_iteratorINS9_10device_ptrIjEEEESE_SE_jNS9_4plusIvEENS9_8equal_toIvEEjEE10hipError_tPvRmT2_T3_T4_T5_mT6_T7_P12ihipStream_tbENKUlT_T0_E_clISt17integral_constantIbLb0EESY_IbLb1EEEEDaSU_SV_EUlSU_E_NS1_11comp_targetILNS1_3genE10ELNS1_11target_archE1200ELNS1_3gpuE4ELNS1_3repE0EEENS1_30default_config_static_selectorELNS0_4arch9wavefront6targetE1EEEvT1_ ; -- Begin function _ZN7rocprim17ROCPRIM_400000_NS6detail17trampoline_kernelINS0_14default_configENS1_27scan_by_key_config_selectorIjjEEZZNS1_16scan_by_key_implILNS1_25lookback_scan_determinismE0ELb0ES3_N6thrust23THRUST_200600_302600_NS6detail15normal_iteratorINS9_10device_ptrIjEEEESE_SE_jNS9_4plusIvEENS9_8equal_toIvEEjEE10hipError_tPvRmT2_T3_T4_T5_mT6_T7_P12ihipStream_tbENKUlT_T0_E_clISt17integral_constantIbLb0EESY_IbLb1EEEEDaSU_SV_EUlSU_E_NS1_11comp_targetILNS1_3genE10ELNS1_11target_archE1200ELNS1_3gpuE4ELNS1_3repE0EEENS1_30default_config_static_selectorELNS0_4arch9wavefront6targetE1EEEvT1_
	.globl	_ZN7rocprim17ROCPRIM_400000_NS6detail17trampoline_kernelINS0_14default_configENS1_27scan_by_key_config_selectorIjjEEZZNS1_16scan_by_key_implILNS1_25lookback_scan_determinismE0ELb0ES3_N6thrust23THRUST_200600_302600_NS6detail15normal_iteratorINS9_10device_ptrIjEEEESE_SE_jNS9_4plusIvEENS9_8equal_toIvEEjEE10hipError_tPvRmT2_T3_T4_T5_mT6_T7_P12ihipStream_tbENKUlT_T0_E_clISt17integral_constantIbLb0EESY_IbLb1EEEEDaSU_SV_EUlSU_E_NS1_11comp_targetILNS1_3genE10ELNS1_11target_archE1200ELNS1_3gpuE4ELNS1_3repE0EEENS1_30default_config_static_selectorELNS0_4arch9wavefront6targetE1EEEvT1_
	.p2align	8
	.type	_ZN7rocprim17ROCPRIM_400000_NS6detail17trampoline_kernelINS0_14default_configENS1_27scan_by_key_config_selectorIjjEEZZNS1_16scan_by_key_implILNS1_25lookback_scan_determinismE0ELb0ES3_N6thrust23THRUST_200600_302600_NS6detail15normal_iteratorINS9_10device_ptrIjEEEESE_SE_jNS9_4plusIvEENS9_8equal_toIvEEjEE10hipError_tPvRmT2_T3_T4_T5_mT6_T7_P12ihipStream_tbENKUlT_T0_E_clISt17integral_constantIbLb0EESY_IbLb1EEEEDaSU_SV_EUlSU_E_NS1_11comp_targetILNS1_3genE10ELNS1_11target_archE1200ELNS1_3gpuE4ELNS1_3repE0EEENS1_30default_config_static_selectorELNS0_4arch9wavefront6targetE1EEEvT1_,@function
_ZN7rocprim17ROCPRIM_400000_NS6detail17trampoline_kernelINS0_14default_configENS1_27scan_by_key_config_selectorIjjEEZZNS1_16scan_by_key_implILNS1_25lookback_scan_determinismE0ELb0ES3_N6thrust23THRUST_200600_302600_NS6detail15normal_iteratorINS9_10device_ptrIjEEEESE_SE_jNS9_4plusIvEENS9_8equal_toIvEEjEE10hipError_tPvRmT2_T3_T4_T5_mT6_T7_P12ihipStream_tbENKUlT_T0_E_clISt17integral_constantIbLb0EESY_IbLb1EEEEDaSU_SV_EUlSU_E_NS1_11comp_targetILNS1_3genE10ELNS1_11target_archE1200ELNS1_3gpuE4ELNS1_3repE0EEENS1_30default_config_static_selectorELNS0_4arch9wavefront6targetE1EEEvT1_: ; @_ZN7rocprim17ROCPRIM_400000_NS6detail17trampoline_kernelINS0_14default_configENS1_27scan_by_key_config_selectorIjjEEZZNS1_16scan_by_key_implILNS1_25lookback_scan_determinismE0ELb0ES3_N6thrust23THRUST_200600_302600_NS6detail15normal_iteratorINS9_10device_ptrIjEEEESE_SE_jNS9_4plusIvEENS9_8equal_toIvEEjEE10hipError_tPvRmT2_T3_T4_T5_mT6_T7_P12ihipStream_tbENKUlT_T0_E_clISt17integral_constantIbLb0EESY_IbLb1EEEEDaSU_SV_EUlSU_E_NS1_11comp_targetILNS1_3genE10ELNS1_11target_archE1200ELNS1_3gpuE4ELNS1_3repE0EEENS1_30default_config_static_selectorELNS0_4arch9wavefront6targetE1EEEvT1_
; %bb.0:
	.section	.rodata,"a",@progbits
	.p2align	6, 0x0
	.amdhsa_kernel _ZN7rocprim17ROCPRIM_400000_NS6detail17trampoline_kernelINS0_14default_configENS1_27scan_by_key_config_selectorIjjEEZZNS1_16scan_by_key_implILNS1_25lookback_scan_determinismE0ELb0ES3_N6thrust23THRUST_200600_302600_NS6detail15normal_iteratorINS9_10device_ptrIjEEEESE_SE_jNS9_4plusIvEENS9_8equal_toIvEEjEE10hipError_tPvRmT2_T3_T4_T5_mT6_T7_P12ihipStream_tbENKUlT_T0_E_clISt17integral_constantIbLb0EESY_IbLb1EEEEDaSU_SV_EUlSU_E_NS1_11comp_targetILNS1_3genE10ELNS1_11target_archE1200ELNS1_3gpuE4ELNS1_3repE0EEENS1_30default_config_static_selectorELNS0_4arch9wavefront6targetE1EEEvT1_
		.amdhsa_group_segment_fixed_size 0
		.amdhsa_private_segment_fixed_size 0
		.amdhsa_kernarg_size 112
		.amdhsa_user_sgpr_count 6
		.amdhsa_user_sgpr_private_segment_buffer 1
		.amdhsa_user_sgpr_dispatch_ptr 0
		.amdhsa_user_sgpr_queue_ptr 0
		.amdhsa_user_sgpr_kernarg_segment_ptr 1
		.amdhsa_user_sgpr_dispatch_id 0
		.amdhsa_user_sgpr_flat_scratch_init 0
		.amdhsa_user_sgpr_kernarg_preload_length 0
		.amdhsa_user_sgpr_kernarg_preload_offset 0
		.amdhsa_user_sgpr_private_segment_size 0
		.amdhsa_uses_dynamic_stack 0
		.amdhsa_system_sgpr_private_segment_wavefront_offset 0
		.amdhsa_system_sgpr_workgroup_id_x 1
		.amdhsa_system_sgpr_workgroup_id_y 0
		.amdhsa_system_sgpr_workgroup_id_z 0
		.amdhsa_system_sgpr_workgroup_info 0
		.amdhsa_system_vgpr_workitem_id 0
		.amdhsa_next_free_vgpr 1
		.amdhsa_next_free_sgpr 0
		.amdhsa_accum_offset 4
		.amdhsa_reserve_vcc 0
		.amdhsa_reserve_flat_scratch 0
		.amdhsa_float_round_mode_32 0
		.amdhsa_float_round_mode_16_64 0
		.amdhsa_float_denorm_mode_32 3
		.amdhsa_float_denorm_mode_16_64 3
		.amdhsa_dx10_clamp 1
		.amdhsa_ieee_mode 1
		.amdhsa_fp16_overflow 0
		.amdhsa_tg_split 0
		.amdhsa_exception_fp_ieee_invalid_op 0
		.amdhsa_exception_fp_denorm_src 0
		.amdhsa_exception_fp_ieee_div_zero 0
		.amdhsa_exception_fp_ieee_overflow 0
		.amdhsa_exception_fp_ieee_underflow 0
		.amdhsa_exception_fp_ieee_inexact 0
		.amdhsa_exception_int_div_zero 0
	.end_amdhsa_kernel
	.section	.text._ZN7rocprim17ROCPRIM_400000_NS6detail17trampoline_kernelINS0_14default_configENS1_27scan_by_key_config_selectorIjjEEZZNS1_16scan_by_key_implILNS1_25lookback_scan_determinismE0ELb0ES3_N6thrust23THRUST_200600_302600_NS6detail15normal_iteratorINS9_10device_ptrIjEEEESE_SE_jNS9_4plusIvEENS9_8equal_toIvEEjEE10hipError_tPvRmT2_T3_T4_T5_mT6_T7_P12ihipStream_tbENKUlT_T0_E_clISt17integral_constantIbLb0EESY_IbLb1EEEEDaSU_SV_EUlSU_E_NS1_11comp_targetILNS1_3genE10ELNS1_11target_archE1200ELNS1_3gpuE4ELNS1_3repE0EEENS1_30default_config_static_selectorELNS0_4arch9wavefront6targetE1EEEvT1_,"axG",@progbits,_ZN7rocprim17ROCPRIM_400000_NS6detail17trampoline_kernelINS0_14default_configENS1_27scan_by_key_config_selectorIjjEEZZNS1_16scan_by_key_implILNS1_25lookback_scan_determinismE0ELb0ES3_N6thrust23THRUST_200600_302600_NS6detail15normal_iteratorINS9_10device_ptrIjEEEESE_SE_jNS9_4plusIvEENS9_8equal_toIvEEjEE10hipError_tPvRmT2_T3_T4_T5_mT6_T7_P12ihipStream_tbENKUlT_T0_E_clISt17integral_constantIbLb0EESY_IbLb1EEEEDaSU_SV_EUlSU_E_NS1_11comp_targetILNS1_3genE10ELNS1_11target_archE1200ELNS1_3gpuE4ELNS1_3repE0EEENS1_30default_config_static_selectorELNS0_4arch9wavefront6targetE1EEEvT1_,comdat
.Lfunc_end1862:
	.size	_ZN7rocprim17ROCPRIM_400000_NS6detail17trampoline_kernelINS0_14default_configENS1_27scan_by_key_config_selectorIjjEEZZNS1_16scan_by_key_implILNS1_25lookback_scan_determinismE0ELb0ES3_N6thrust23THRUST_200600_302600_NS6detail15normal_iteratorINS9_10device_ptrIjEEEESE_SE_jNS9_4plusIvEENS9_8equal_toIvEEjEE10hipError_tPvRmT2_T3_T4_T5_mT6_T7_P12ihipStream_tbENKUlT_T0_E_clISt17integral_constantIbLb0EESY_IbLb1EEEEDaSU_SV_EUlSU_E_NS1_11comp_targetILNS1_3genE10ELNS1_11target_archE1200ELNS1_3gpuE4ELNS1_3repE0EEENS1_30default_config_static_selectorELNS0_4arch9wavefront6targetE1EEEvT1_, .Lfunc_end1862-_ZN7rocprim17ROCPRIM_400000_NS6detail17trampoline_kernelINS0_14default_configENS1_27scan_by_key_config_selectorIjjEEZZNS1_16scan_by_key_implILNS1_25lookback_scan_determinismE0ELb0ES3_N6thrust23THRUST_200600_302600_NS6detail15normal_iteratorINS9_10device_ptrIjEEEESE_SE_jNS9_4plusIvEENS9_8equal_toIvEEjEE10hipError_tPvRmT2_T3_T4_T5_mT6_T7_P12ihipStream_tbENKUlT_T0_E_clISt17integral_constantIbLb0EESY_IbLb1EEEEDaSU_SV_EUlSU_E_NS1_11comp_targetILNS1_3genE10ELNS1_11target_archE1200ELNS1_3gpuE4ELNS1_3repE0EEENS1_30default_config_static_selectorELNS0_4arch9wavefront6targetE1EEEvT1_
                                        ; -- End function
	.section	.AMDGPU.csdata,"",@progbits
; Kernel info:
; codeLenInByte = 0
; NumSgprs: 4
; NumVgprs: 0
; NumAgprs: 0
; TotalNumVgprs: 0
; ScratchSize: 0
; MemoryBound: 0
; FloatMode: 240
; IeeeMode: 1
; LDSByteSize: 0 bytes/workgroup (compile time only)
; SGPRBlocks: 0
; VGPRBlocks: 0
; NumSGPRsForWavesPerEU: 4
; NumVGPRsForWavesPerEU: 1
; AccumOffset: 4
; Occupancy: 8
; WaveLimiterHint : 0
; COMPUTE_PGM_RSRC2:SCRATCH_EN: 0
; COMPUTE_PGM_RSRC2:USER_SGPR: 6
; COMPUTE_PGM_RSRC2:TRAP_HANDLER: 0
; COMPUTE_PGM_RSRC2:TGID_X_EN: 1
; COMPUTE_PGM_RSRC2:TGID_Y_EN: 0
; COMPUTE_PGM_RSRC2:TGID_Z_EN: 0
; COMPUTE_PGM_RSRC2:TIDIG_COMP_CNT: 0
; COMPUTE_PGM_RSRC3_GFX90A:ACCUM_OFFSET: 0
; COMPUTE_PGM_RSRC3_GFX90A:TG_SPLIT: 0
	.section	.text._ZN7rocprim17ROCPRIM_400000_NS6detail17trampoline_kernelINS0_14default_configENS1_27scan_by_key_config_selectorIjjEEZZNS1_16scan_by_key_implILNS1_25lookback_scan_determinismE0ELb0ES3_N6thrust23THRUST_200600_302600_NS6detail15normal_iteratorINS9_10device_ptrIjEEEESE_SE_jNS9_4plusIvEENS9_8equal_toIvEEjEE10hipError_tPvRmT2_T3_T4_T5_mT6_T7_P12ihipStream_tbENKUlT_T0_E_clISt17integral_constantIbLb0EESY_IbLb1EEEEDaSU_SV_EUlSU_E_NS1_11comp_targetILNS1_3genE9ELNS1_11target_archE1100ELNS1_3gpuE3ELNS1_3repE0EEENS1_30default_config_static_selectorELNS0_4arch9wavefront6targetE1EEEvT1_,"axG",@progbits,_ZN7rocprim17ROCPRIM_400000_NS6detail17trampoline_kernelINS0_14default_configENS1_27scan_by_key_config_selectorIjjEEZZNS1_16scan_by_key_implILNS1_25lookback_scan_determinismE0ELb0ES3_N6thrust23THRUST_200600_302600_NS6detail15normal_iteratorINS9_10device_ptrIjEEEESE_SE_jNS9_4plusIvEENS9_8equal_toIvEEjEE10hipError_tPvRmT2_T3_T4_T5_mT6_T7_P12ihipStream_tbENKUlT_T0_E_clISt17integral_constantIbLb0EESY_IbLb1EEEEDaSU_SV_EUlSU_E_NS1_11comp_targetILNS1_3genE9ELNS1_11target_archE1100ELNS1_3gpuE3ELNS1_3repE0EEENS1_30default_config_static_selectorELNS0_4arch9wavefront6targetE1EEEvT1_,comdat
	.protected	_ZN7rocprim17ROCPRIM_400000_NS6detail17trampoline_kernelINS0_14default_configENS1_27scan_by_key_config_selectorIjjEEZZNS1_16scan_by_key_implILNS1_25lookback_scan_determinismE0ELb0ES3_N6thrust23THRUST_200600_302600_NS6detail15normal_iteratorINS9_10device_ptrIjEEEESE_SE_jNS9_4plusIvEENS9_8equal_toIvEEjEE10hipError_tPvRmT2_T3_T4_T5_mT6_T7_P12ihipStream_tbENKUlT_T0_E_clISt17integral_constantIbLb0EESY_IbLb1EEEEDaSU_SV_EUlSU_E_NS1_11comp_targetILNS1_3genE9ELNS1_11target_archE1100ELNS1_3gpuE3ELNS1_3repE0EEENS1_30default_config_static_selectorELNS0_4arch9wavefront6targetE1EEEvT1_ ; -- Begin function _ZN7rocprim17ROCPRIM_400000_NS6detail17trampoline_kernelINS0_14default_configENS1_27scan_by_key_config_selectorIjjEEZZNS1_16scan_by_key_implILNS1_25lookback_scan_determinismE0ELb0ES3_N6thrust23THRUST_200600_302600_NS6detail15normal_iteratorINS9_10device_ptrIjEEEESE_SE_jNS9_4plusIvEENS9_8equal_toIvEEjEE10hipError_tPvRmT2_T3_T4_T5_mT6_T7_P12ihipStream_tbENKUlT_T0_E_clISt17integral_constantIbLb0EESY_IbLb1EEEEDaSU_SV_EUlSU_E_NS1_11comp_targetILNS1_3genE9ELNS1_11target_archE1100ELNS1_3gpuE3ELNS1_3repE0EEENS1_30default_config_static_selectorELNS0_4arch9wavefront6targetE1EEEvT1_
	.globl	_ZN7rocprim17ROCPRIM_400000_NS6detail17trampoline_kernelINS0_14default_configENS1_27scan_by_key_config_selectorIjjEEZZNS1_16scan_by_key_implILNS1_25lookback_scan_determinismE0ELb0ES3_N6thrust23THRUST_200600_302600_NS6detail15normal_iteratorINS9_10device_ptrIjEEEESE_SE_jNS9_4plusIvEENS9_8equal_toIvEEjEE10hipError_tPvRmT2_T3_T4_T5_mT6_T7_P12ihipStream_tbENKUlT_T0_E_clISt17integral_constantIbLb0EESY_IbLb1EEEEDaSU_SV_EUlSU_E_NS1_11comp_targetILNS1_3genE9ELNS1_11target_archE1100ELNS1_3gpuE3ELNS1_3repE0EEENS1_30default_config_static_selectorELNS0_4arch9wavefront6targetE1EEEvT1_
	.p2align	8
	.type	_ZN7rocprim17ROCPRIM_400000_NS6detail17trampoline_kernelINS0_14default_configENS1_27scan_by_key_config_selectorIjjEEZZNS1_16scan_by_key_implILNS1_25lookback_scan_determinismE0ELb0ES3_N6thrust23THRUST_200600_302600_NS6detail15normal_iteratorINS9_10device_ptrIjEEEESE_SE_jNS9_4plusIvEENS9_8equal_toIvEEjEE10hipError_tPvRmT2_T3_T4_T5_mT6_T7_P12ihipStream_tbENKUlT_T0_E_clISt17integral_constantIbLb0EESY_IbLb1EEEEDaSU_SV_EUlSU_E_NS1_11comp_targetILNS1_3genE9ELNS1_11target_archE1100ELNS1_3gpuE3ELNS1_3repE0EEENS1_30default_config_static_selectorELNS0_4arch9wavefront6targetE1EEEvT1_,@function
_ZN7rocprim17ROCPRIM_400000_NS6detail17trampoline_kernelINS0_14default_configENS1_27scan_by_key_config_selectorIjjEEZZNS1_16scan_by_key_implILNS1_25lookback_scan_determinismE0ELb0ES3_N6thrust23THRUST_200600_302600_NS6detail15normal_iteratorINS9_10device_ptrIjEEEESE_SE_jNS9_4plusIvEENS9_8equal_toIvEEjEE10hipError_tPvRmT2_T3_T4_T5_mT6_T7_P12ihipStream_tbENKUlT_T0_E_clISt17integral_constantIbLb0EESY_IbLb1EEEEDaSU_SV_EUlSU_E_NS1_11comp_targetILNS1_3genE9ELNS1_11target_archE1100ELNS1_3gpuE3ELNS1_3repE0EEENS1_30default_config_static_selectorELNS0_4arch9wavefront6targetE1EEEvT1_: ; @_ZN7rocprim17ROCPRIM_400000_NS6detail17trampoline_kernelINS0_14default_configENS1_27scan_by_key_config_selectorIjjEEZZNS1_16scan_by_key_implILNS1_25lookback_scan_determinismE0ELb0ES3_N6thrust23THRUST_200600_302600_NS6detail15normal_iteratorINS9_10device_ptrIjEEEESE_SE_jNS9_4plusIvEENS9_8equal_toIvEEjEE10hipError_tPvRmT2_T3_T4_T5_mT6_T7_P12ihipStream_tbENKUlT_T0_E_clISt17integral_constantIbLb0EESY_IbLb1EEEEDaSU_SV_EUlSU_E_NS1_11comp_targetILNS1_3genE9ELNS1_11target_archE1100ELNS1_3gpuE3ELNS1_3repE0EEENS1_30default_config_static_selectorELNS0_4arch9wavefront6targetE1EEEvT1_
; %bb.0:
	.section	.rodata,"a",@progbits
	.p2align	6, 0x0
	.amdhsa_kernel _ZN7rocprim17ROCPRIM_400000_NS6detail17trampoline_kernelINS0_14default_configENS1_27scan_by_key_config_selectorIjjEEZZNS1_16scan_by_key_implILNS1_25lookback_scan_determinismE0ELb0ES3_N6thrust23THRUST_200600_302600_NS6detail15normal_iteratorINS9_10device_ptrIjEEEESE_SE_jNS9_4plusIvEENS9_8equal_toIvEEjEE10hipError_tPvRmT2_T3_T4_T5_mT6_T7_P12ihipStream_tbENKUlT_T0_E_clISt17integral_constantIbLb0EESY_IbLb1EEEEDaSU_SV_EUlSU_E_NS1_11comp_targetILNS1_3genE9ELNS1_11target_archE1100ELNS1_3gpuE3ELNS1_3repE0EEENS1_30default_config_static_selectorELNS0_4arch9wavefront6targetE1EEEvT1_
		.amdhsa_group_segment_fixed_size 0
		.amdhsa_private_segment_fixed_size 0
		.amdhsa_kernarg_size 112
		.amdhsa_user_sgpr_count 6
		.amdhsa_user_sgpr_private_segment_buffer 1
		.amdhsa_user_sgpr_dispatch_ptr 0
		.amdhsa_user_sgpr_queue_ptr 0
		.amdhsa_user_sgpr_kernarg_segment_ptr 1
		.amdhsa_user_sgpr_dispatch_id 0
		.amdhsa_user_sgpr_flat_scratch_init 0
		.amdhsa_user_sgpr_kernarg_preload_length 0
		.amdhsa_user_sgpr_kernarg_preload_offset 0
		.amdhsa_user_sgpr_private_segment_size 0
		.amdhsa_uses_dynamic_stack 0
		.amdhsa_system_sgpr_private_segment_wavefront_offset 0
		.amdhsa_system_sgpr_workgroup_id_x 1
		.amdhsa_system_sgpr_workgroup_id_y 0
		.amdhsa_system_sgpr_workgroup_id_z 0
		.amdhsa_system_sgpr_workgroup_info 0
		.amdhsa_system_vgpr_workitem_id 0
		.amdhsa_next_free_vgpr 1
		.amdhsa_next_free_sgpr 0
		.amdhsa_accum_offset 4
		.amdhsa_reserve_vcc 0
		.amdhsa_reserve_flat_scratch 0
		.amdhsa_float_round_mode_32 0
		.amdhsa_float_round_mode_16_64 0
		.amdhsa_float_denorm_mode_32 3
		.amdhsa_float_denorm_mode_16_64 3
		.amdhsa_dx10_clamp 1
		.amdhsa_ieee_mode 1
		.amdhsa_fp16_overflow 0
		.amdhsa_tg_split 0
		.amdhsa_exception_fp_ieee_invalid_op 0
		.amdhsa_exception_fp_denorm_src 0
		.amdhsa_exception_fp_ieee_div_zero 0
		.amdhsa_exception_fp_ieee_overflow 0
		.amdhsa_exception_fp_ieee_underflow 0
		.amdhsa_exception_fp_ieee_inexact 0
		.amdhsa_exception_int_div_zero 0
	.end_amdhsa_kernel
	.section	.text._ZN7rocprim17ROCPRIM_400000_NS6detail17trampoline_kernelINS0_14default_configENS1_27scan_by_key_config_selectorIjjEEZZNS1_16scan_by_key_implILNS1_25lookback_scan_determinismE0ELb0ES3_N6thrust23THRUST_200600_302600_NS6detail15normal_iteratorINS9_10device_ptrIjEEEESE_SE_jNS9_4plusIvEENS9_8equal_toIvEEjEE10hipError_tPvRmT2_T3_T4_T5_mT6_T7_P12ihipStream_tbENKUlT_T0_E_clISt17integral_constantIbLb0EESY_IbLb1EEEEDaSU_SV_EUlSU_E_NS1_11comp_targetILNS1_3genE9ELNS1_11target_archE1100ELNS1_3gpuE3ELNS1_3repE0EEENS1_30default_config_static_selectorELNS0_4arch9wavefront6targetE1EEEvT1_,"axG",@progbits,_ZN7rocprim17ROCPRIM_400000_NS6detail17trampoline_kernelINS0_14default_configENS1_27scan_by_key_config_selectorIjjEEZZNS1_16scan_by_key_implILNS1_25lookback_scan_determinismE0ELb0ES3_N6thrust23THRUST_200600_302600_NS6detail15normal_iteratorINS9_10device_ptrIjEEEESE_SE_jNS9_4plusIvEENS9_8equal_toIvEEjEE10hipError_tPvRmT2_T3_T4_T5_mT6_T7_P12ihipStream_tbENKUlT_T0_E_clISt17integral_constantIbLb0EESY_IbLb1EEEEDaSU_SV_EUlSU_E_NS1_11comp_targetILNS1_3genE9ELNS1_11target_archE1100ELNS1_3gpuE3ELNS1_3repE0EEENS1_30default_config_static_selectorELNS0_4arch9wavefront6targetE1EEEvT1_,comdat
.Lfunc_end1863:
	.size	_ZN7rocprim17ROCPRIM_400000_NS6detail17trampoline_kernelINS0_14default_configENS1_27scan_by_key_config_selectorIjjEEZZNS1_16scan_by_key_implILNS1_25lookback_scan_determinismE0ELb0ES3_N6thrust23THRUST_200600_302600_NS6detail15normal_iteratorINS9_10device_ptrIjEEEESE_SE_jNS9_4plusIvEENS9_8equal_toIvEEjEE10hipError_tPvRmT2_T3_T4_T5_mT6_T7_P12ihipStream_tbENKUlT_T0_E_clISt17integral_constantIbLb0EESY_IbLb1EEEEDaSU_SV_EUlSU_E_NS1_11comp_targetILNS1_3genE9ELNS1_11target_archE1100ELNS1_3gpuE3ELNS1_3repE0EEENS1_30default_config_static_selectorELNS0_4arch9wavefront6targetE1EEEvT1_, .Lfunc_end1863-_ZN7rocprim17ROCPRIM_400000_NS6detail17trampoline_kernelINS0_14default_configENS1_27scan_by_key_config_selectorIjjEEZZNS1_16scan_by_key_implILNS1_25lookback_scan_determinismE0ELb0ES3_N6thrust23THRUST_200600_302600_NS6detail15normal_iteratorINS9_10device_ptrIjEEEESE_SE_jNS9_4plusIvEENS9_8equal_toIvEEjEE10hipError_tPvRmT2_T3_T4_T5_mT6_T7_P12ihipStream_tbENKUlT_T0_E_clISt17integral_constantIbLb0EESY_IbLb1EEEEDaSU_SV_EUlSU_E_NS1_11comp_targetILNS1_3genE9ELNS1_11target_archE1100ELNS1_3gpuE3ELNS1_3repE0EEENS1_30default_config_static_selectorELNS0_4arch9wavefront6targetE1EEEvT1_
                                        ; -- End function
	.section	.AMDGPU.csdata,"",@progbits
; Kernel info:
; codeLenInByte = 0
; NumSgprs: 4
; NumVgprs: 0
; NumAgprs: 0
; TotalNumVgprs: 0
; ScratchSize: 0
; MemoryBound: 0
; FloatMode: 240
; IeeeMode: 1
; LDSByteSize: 0 bytes/workgroup (compile time only)
; SGPRBlocks: 0
; VGPRBlocks: 0
; NumSGPRsForWavesPerEU: 4
; NumVGPRsForWavesPerEU: 1
; AccumOffset: 4
; Occupancy: 8
; WaveLimiterHint : 0
; COMPUTE_PGM_RSRC2:SCRATCH_EN: 0
; COMPUTE_PGM_RSRC2:USER_SGPR: 6
; COMPUTE_PGM_RSRC2:TRAP_HANDLER: 0
; COMPUTE_PGM_RSRC2:TGID_X_EN: 1
; COMPUTE_PGM_RSRC2:TGID_Y_EN: 0
; COMPUTE_PGM_RSRC2:TGID_Z_EN: 0
; COMPUTE_PGM_RSRC2:TIDIG_COMP_CNT: 0
; COMPUTE_PGM_RSRC3_GFX90A:ACCUM_OFFSET: 0
; COMPUTE_PGM_RSRC3_GFX90A:TG_SPLIT: 0
	.section	.text._ZN7rocprim17ROCPRIM_400000_NS6detail17trampoline_kernelINS0_14default_configENS1_27scan_by_key_config_selectorIjjEEZZNS1_16scan_by_key_implILNS1_25lookback_scan_determinismE0ELb0ES3_N6thrust23THRUST_200600_302600_NS6detail15normal_iteratorINS9_10device_ptrIjEEEESE_SE_jNS9_4plusIvEENS9_8equal_toIvEEjEE10hipError_tPvRmT2_T3_T4_T5_mT6_T7_P12ihipStream_tbENKUlT_T0_E_clISt17integral_constantIbLb0EESY_IbLb1EEEEDaSU_SV_EUlSU_E_NS1_11comp_targetILNS1_3genE8ELNS1_11target_archE1030ELNS1_3gpuE2ELNS1_3repE0EEENS1_30default_config_static_selectorELNS0_4arch9wavefront6targetE1EEEvT1_,"axG",@progbits,_ZN7rocprim17ROCPRIM_400000_NS6detail17trampoline_kernelINS0_14default_configENS1_27scan_by_key_config_selectorIjjEEZZNS1_16scan_by_key_implILNS1_25lookback_scan_determinismE0ELb0ES3_N6thrust23THRUST_200600_302600_NS6detail15normal_iteratorINS9_10device_ptrIjEEEESE_SE_jNS9_4plusIvEENS9_8equal_toIvEEjEE10hipError_tPvRmT2_T3_T4_T5_mT6_T7_P12ihipStream_tbENKUlT_T0_E_clISt17integral_constantIbLb0EESY_IbLb1EEEEDaSU_SV_EUlSU_E_NS1_11comp_targetILNS1_3genE8ELNS1_11target_archE1030ELNS1_3gpuE2ELNS1_3repE0EEENS1_30default_config_static_selectorELNS0_4arch9wavefront6targetE1EEEvT1_,comdat
	.protected	_ZN7rocprim17ROCPRIM_400000_NS6detail17trampoline_kernelINS0_14default_configENS1_27scan_by_key_config_selectorIjjEEZZNS1_16scan_by_key_implILNS1_25lookback_scan_determinismE0ELb0ES3_N6thrust23THRUST_200600_302600_NS6detail15normal_iteratorINS9_10device_ptrIjEEEESE_SE_jNS9_4plusIvEENS9_8equal_toIvEEjEE10hipError_tPvRmT2_T3_T4_T5_mT6_T7_P12ihipStream_tbENKUlT_T0_E_clISt17integral_constantIbLb0EESY_IbLb1EEEEDaSU_SV_EUlSU_E_NS1_11comp_targetILNS1_3genE8ELNS1_11target_archE1030ELNS1_3gpuE2ELNS1_3repE0EEENS1_30default_config_static_selectorELNS0_4arch9wavefront6targetE1EEEvT1_ ; -- Begin function _ZN7rocprim17ROCPRIM_400000_NS6detail17trampoline_kernelINS0_14default_configENS1_27scan_by_key_config_selectorIjjEEZZNS1_16scan_by_key_implILNS1_25lookback_scan_determinismE0ELb0ES3_N6thrust23THRUST_200600_302600_NS6detail15normal_iteratorINS9_10device_ptrIjEEEESE_SE_jNS9_4plusIvEENS9_8equal_toIvEEjEE10hipError_tPvRmT2_T3_T4_T5_mT6_T7_P12ihipStream_tbENKUlT_T0_E_clISt17integral_constantIbLb0EESY_IbLb1EEEEDaSU_SV_EUlSU_E_NS1_11comp_targetILNS1_3genE8ELNS1_11target_archE1030ELNS1_3gpuE2ELNS1_3repE0EEENS1_30default_config_static_selectorELNS0_4arch9wavefront6targetE1EEEvT1_
	.globl	_ZN7rocprim17ROCPRIM_400000_NS6detail17trampoline_kernelINS0_14default_configENS1_27scan_by_key_config_selectorIjjEEZZNS1_16scan_by_key_implILNS1_25lookback_scan_determinismE0ELb0ES3_N6thrust23THRUST_200600_302600_NS6detail15normal_iteratorINS9_10device_ptrIjEEEESE_SE_jNS9_4plusIvEENS9_8equal_toIvEEjEE10hipError_tPvRmT2_T3_T4_T5_mT6_T7_P12ihipStream_tbENKUlT_T0_E_clISt17integral_constantIbLb0EESY_IbLb1EEEEDaSU_SV_EUlSU_E_NS1_11comp_targetILNS1_3genE8ELNS1_11target_archE1030ELNS1_3gpuE2ELNS1_3repE0EEENS1_30default_config_static_selectorELNS0_4arch9wavefront6targetE1EEEvT1_
	.p2align	8
	.type	_ZN7rocprim17ROCPRIM_400000_NS6detail17trampoline_kernelINS0_14default_configENS1_27scan_by_key_config_selectorIjjEEZZNS1_16scan_by_key_implILNS1_25lookback_scan_determinismE0ELb0ES3_N6thrust23THRUST_200600_302600_NS6detail15normal_iteratorINS9_10device_ptrIjEEEESE_SE_jNS9_4plusIvEENS9_8equal_toIvEEjEE10hipError_tPvRmT2_T3_T4_T5_mT6_T7_P12ihipStream_tbENKUlT_T0_E_clISt17integral_constantIbLb0EESY_IbLb1EEEEDaSU_SV_EUlSU_E_NS1_11comp_targetILNS1_3genE8ELNS1_11target_archE1030ELNS1_3gpuE2ELNS1_3repE0EEENS1_30default_config_static_selectorELNS0_4arch9wavefront6targetE1EEEvT1_,@function
_ZN7rocprim17ROCPRIM_400000_NS6detail17trampoline_kernelINS0_14default_configENS1_27scan_by_key_config_selectorIjjEEZZNS1_16scan_by_key_implILNS1_25lookback_scan_determinismE0ELb0ES3_N6thrust23THRUST_200600_302600_NS6detail15normal_iteratorINS9_10device_ptrIjEEEESE_SE_jNS9_4plusIvEENS9_8equal_toIvEEjEE10hipError_tPvRmT2_T3_T4_T5_mT6_T7_P12ihipStream_tbENKUlT_T0_E_clISt17integral_constantIbLb0EESY_IbLb1EEEEDaSU_SV_EUlSU_E_NS1_11comp_targetILNS1_3genE8ELNS1_11target_archE1030ELNS1_3gpuE2ELNS1_3repE0EEENS1_30default_config_static_selectorELNS0_4arch9wavefront6targetE1EEEvT1_: ; @_ZN7rocprim17ROCPRIM_400000_NS6detail17trampoline_kernelINS0_14default_configENS1_27scan_by_key_config_selectorIjjEEZZNS1_16scan_by_key_implILNS1_25lookback_scan_determinismE0ELb0ES3_N6thrust23THRUST_200600_302600_NS6detail15normal_iteratorINS9_10device_ptrIjEEEESE_SE_jNS9_4plusIvEENS9_8equal_toIvEEjEE10hipError_tPvRmT2_T3_T4_T5_mT6_T7_P12ihipStream_tbENKUlT_T0_E_clISt17integral_constantIbLb0EESY_IbLb1EEEEDaSU_SV_EUlSU_E_NS1_11comp_targetILNS1_3genE8ELNS1_11target_archE1030ELNS1_3gpuE2ELNS1_3repE0EEENS1_30default_config_static_selectorELNS0_4arch9wavefront6targetE1EEEvT1_
; %bb.0:
	.section	.rodata,"a",@progbits
	.p2align	6, 0x0
	.amdhsa_kernel _ZN7rocprim17ROCPRIM_400000_NS6detail17trampoline_kernelINS0_14default_configENS1_27scan_by_key_config_selectorIjjEEZZNS1_16scan_by_key_implILNS1_25lookback_scan_determinismE0ELb0ES3_N6thrust23THRUST_200600_302600_NS6detail15normal_iteratorINS9_10device_ptrIjEEEESE_SE_jNS9_4plusIvEENS9_8equal_toIvEEjEE10hipError_tPvRmT2_T3_T4_T5_mT6_T7_P12ihipStream_tbENKUlT_T0_E_clISt17integral_constantIbLb0EESY_IbLb1EEEEDaSU_SV_EUlSU_E_NS1_11comp_targetILNS1_3genE8ELNS1_11target_archE1030ELNS1_3gpuE2ELNS1_3repE0EEENS1_30default_config_static_selectorELNS0_4arch9wavefront6targetE1EEEvT1_
		.amdhsa_group_segment_fixed_size 0
		.amdhsa_private_segment_fixed_size 0
		.amdhsa_kernarg_size 112
		.amdhsa_user_sgpr_count 6
		.amdhsa_user_sgpr_private_segment_buffer 1
		.amdhsa_user_sgpr_dispatch_ptr 0
		.amdhsa_user_sgpr_queue_ptr 0
		.amdhsa_user_sgpr_kernarg_segment_ptr 1
		.amdhsa_user_sgpr_dispatch_id 0
		.amdhsa_user_sgpr_flat_scratch_init 0
		.amdhsa_user_sgpr_kernarg_preload_length 0
		.amdhsa_user_sgpr_kernarg_preload_offset 0
		.amdhsa_user_sgpr_private_segment_size 0
		.amdhsa_uses_dynamic_stack 0
		.amdhsa_system_sgpr_private_segment_wavefront_offset 0
		.amdhsa_system_sgpr_workgroup_id_x 1
		.amdhsa_system_sgpr_workgroup_id_y 0
		.amdhsa_system_sgpr_workgroup_id_z 0
		.amdhsa_system_sgpr_workgroup_info 0
		.amdhsa_system_vgpr_workitem_id 0
		.amdhsa_next_free_vgpr 1
		.amdhsa_next_free_sgpr 0
		.amdhsa_accum_offset 4
		.amdhsa_reserve_vcc 0
		.amdhsa_reserve_flat_scratch 0
		.amdhsa_float_round_mode_32 0
		.amdhsa_float_round_mode_16_64 0
		.amdhsa_float_denorm_mode_32 3
		.amdhsa_float_denorm_mode_16_64 3
		.amdhsa_dx10_clamp 1
		.amdhsa_ieee_mode 1
		.amdhsa_fp16_overflow 0
		.amdhsa_tg_split 0
		.amdhsa_exception_fp_ieee_invalid_op 0
		.amdhsa_exception_fp_denorm_src 0
		.amdhsa_exception_fp_ieee_div_zero 0
		.amdhsa_exception_fp_ieee_overflow 0
		.amdhsa_exception_fp_ieee_underflow 0
		.amdhsa_exception_fp_ieee_inexact 0
		.amdhsa_exception_int_div_zero 0
	.end_amdhsa_kernel
	.section	.text._ZN7rocprim17ROCPRIM_400000_NS6detail17trampoline_kernelINS0_14default_configENS1_27scan_by_key_config_selectorIjjEEZZNS1_16scan_by_key_implILNS1_25lookback_scan_determinismE0ELb0ES3_N6thrust23THRUST_200600_302600_NS6detail15normal_iteratorINS9_10device_ptrIjEEEESE_SE_jNS9_4plusIvEENS9_8equal_toIvEEjEE10hipError_tPvRmT2_T3_T4_T5_mT6_T7_P12ihipStream_tbENKUlT_T0_E_clISt17integral_constantIbLb0EESY_IbLb1EEEEDaSU_SV_EUlSU_E_NS1_11comp_targetILNS1_3genE8ELNS1_11target_archE1030ELNS1_3gpuE2ELNS1_3repE0EEENS1_30default_config_static_selectorELNS0_4arch9wavefront6targetE1EEEvT1_,"axG",@progbits,_ZN7rocprim17ROCPRIM_400000_NS6detail17trampoline_kernelINS0_14default_configENS1_27scan_by_key_config_selectorIjjEEZZNS1_16scan_by_key_implILNS1_25lookback_scan_determinismE0ELb0ES3_N6thrust23THRUST_200600_302600_NS6detail15normal_iteratorINS9_10device_ptrIjEEEESE_SE_jNS9_4plusIvEENS9_8equal_toIvEEjEE10hipError_tPvRmT2_T3_T4_T5_mT6_T7_P12ihipStream_tbENKUlT_T0_E_clISt17integral_constantIbLb0EESY_IbLb1EEEEDaSU_SV_EUlSU_E_NS1_11comp_targetILNS1_3genE8ELNS1_11target_archE1030ELNS1_3gpuE2ELNS1_3repE0EEENS1_30default_config_static_selectorELNS0_4arch9wavefront6targetE1EEEvT1_,comdat
.Lfunc_end1864:
	.size	_ZN7rocprim17ROCPRIM_400000_NS6detail17trampoline_kernelINS0_14default_configENS1_27scan_by_key_config_selectorIjjEEZZNS1_16scan_by_key_implILNS1_25lookback_scan_determinismE0ELb0ES3_N6thrust23THRUST_200600_302600_NS6detail15normal_iteratorINS9_10device_ptrIjEEEESE_SE_jNS9_4plusIvEENS9_8equal_toIvEEjEE10hipError_tPvRmT2_T3_T4_T5_mT6_T7_P12ihipStream_tbENKUlT_T0_E_clISt17integral_constantIbLb0EESY_IbLb1EEEEDaSU_SV_EUlSU_E_NS1_11comp_targetILNS1_3genE8ELNS1_11target_archE1030ELNS1_3gpuE2ELNS1_3repE0EEENS1_30default_config_static_selectorELNS0_4arch9wavefront6targetE1EEEvT1_, .Lfunc_end1864-_ZN7rocprim17ROCPRIM_400000_NS6detail17trampoline_kernelINS0_14default_configENS1_27scan_by_key_config_selectorIjjEEZZNS1_16scan_by_key_implILNS1_25lookback_scan_determinismE0ELb0ES3_N6thrust23THRUST_200600_302600_NS6detail15normal_iteratorINS9_10device_ptrIjEEEESE_SE_jNS9_4plusIvEENS9_8equal_toIvEEjEE10hipError_tPvRmT2_T3_T4_T5_mT6_T7_P12ihipStream_tbENKUlT_T0_E_clISt17integral_constantIbLb0EESY_IbLb1EEEEDaSU_SV_EUlSU_E_NS1_11comp_targetILNS1_3genE8ELNS1_11target_archE1030ELNS1_3gpuE2ELNS1_3repE0EEENS1_30default_config_static_selectorELNS0_4arch9wavefront6targetE1EEEvT1_
                                        ; -- End function
	.section	.AMDGPU.csdata,"",@progbits
; Kernel info:
; codeLenInByte = 0
; NumSgprs: 4
; NumVgprs: 0
; NumAgprs: 0
; TotalNumVgprs: 0
; ScratchSize: 0
; MemoryBound: 0
; FloatMode: 240
; IeeeMode: 1
; LDSByteSize: 0 bytes/workgroup (compile time only)
; SGPRBlocks: 0
; VGPRBlocks: 0
; NumSGPRsForWavesPerEU: 4
; NumVGPRsForWavesPerEU: 1
; AccumOffset: 4
; Occupancy: 8
; WaveLimiterHint : 0
; COMPUTE_PGM_RSRC2:SCRATCH_EN: 0
; COMPUTE_PGM_RSRC2:USER_SGPR: 6
; COMPUTE_PGM_RSRC2:TRAP_HANDLER: 0
; COMPUTE_PGM_RSRC2:TGID_X_EN: 1
; COMPUTE_PGM_RSRC2:TGID_Y_EN: 0
; COMPUTE_PGM_RSRC2:TGID_Z_EN: 0
; COMPUTE_PGM_RSRC2:TIDIG_COMP_CNT: 0
; COMPUTE_PGM_RSRC3_GFX90A:ACCUM_OFFSET: 0
; COMPUTE_PGM_RSRC3_GFX90A:TG_SPLIT: 0
	.section	.text._ZN6thrust23THRUST_200600_302600_NS11hip_rocprim14__parallel_for6kernelILj256ENS1_10for_each_fINS0_10device_ptrI11FixedVectorIiLj1EEEENS0_6detail16wrapped_functionINS9_23allocator_traits_detail5gozerEvEEEElLj1EEEvT0_T1_SG_,"axG",@progbits,_ZN6thrust23THRUST_200600_302600_NS11hip_rocprim14__parallel_for6kernelILj256ENS1_10for_each_fINS0_10device_ptrI11FixedVectorIiLj1EEEENS0_6detail16wrapped_functionINS9_23allocator_traits_detail5gozerEvEEEElLj1EEEvT0_T1_SG_,comdat
	.protected	_ZN6thrust23THRUST_200600_302600_NS11hip_rocprim14__parallel_for6kernelILj256ENS1_10for_each_fINS0_10device_ptrI11FixedVectorIiLj1EEEENS0_6detail16wrapped_functionINS9_23allocator_traits_detail5gozerEvEEEElLj1EEEvT0_T1_SG_ ; -- Begin function _ZN6thrust23THRUST_200600_302600_NS11hip_rocprim14__parallel_for6kernelILj256ENS1_10for_each_fINS0_10device_ptrI11FixedVectorIiLj1EEEENS0_6detail16wrapped_functionINS9_23allocator_traits_detail5gozerEvEEEElLj1EEEvT0_T1_SG_
	.globl	_ZN6thrust23THRUST_200600_302600_NS11hip_rocprim14__parallel_for6kernelILj256ENS1_10for_each_fINS0_10device_ptrI11FixedVectorIiLj1EEEENS0_6detail16wrapped_functionINS9_23allocator_traits_detail5gozerEvEEEElLj1EEEvT0_T1_SG_
	.p2align	8
	.type	_ZN6thrust23THRUST_200600_302600_NS11hip_rocprim14__parallel_for6kernelILj256ENS1_10for_each_fINS0_10device_ptrI11FixedVectorIiLj1EEEENS0_6detail16wrapped_functionINS9_23allocator_traits_detail5gozerEvEEEElLj1EEEvT0_T1_SG_,@function
_ZN6thrust23THRUST_200600_302600_NS11hip_rocprim14__parallel_for6kernelILj256ENS1_10for_each_fINS0_10device_ptrI11FixedVectorIiLj1EEEENS0_6detail16wrapped_functionINS9_23allocator_traits_detail5gozerEvEEEElLj1EEEvT0_T1_SG_: ; @_ZN6thrust23THRUST_200600_302600_NS11hip_rocprim14__parallel_for6kernelILj256ENS1_10for_each_fINS0_10device_ptrI11FixedVectorIiLj1EEEENS0_6detail16wrapped_functionINS9_23allocator_traits_detail5gozerEvEEEElLj1EEEvT0_T1_SG_
; %bb.0:
	s_endpgm
	.section	.rodata,"a",@progbits
	.p2align	6, 0x0
	.amdhsa_kernel _ZN6thrust23THRUST_200600_302600_NS11hip_rocprim14__parallel_for6kernelILj256ENS1_10for_each_fINS0_10device_ptrI11FixedVectorIiLj1EEEENS0_6detail16wrapped_functionINS9_23allocator_traits_detail5gozerEvEEEElLj1EEEvT0_T1_SG_
		.amdhsa_group_segment_fixed_size 0
		.amdhsa_private_segment_fixed_size 0
		.amdhsa_kernarg_size 32
		.amdhsa_user_sgpr_count 6
		.amdhsa_user_sgpr_private_segment_buffer 1
		.amdhsa_user_sgpr_dispatch_ptr 0
		.amdhsa_user_sgpr_queue_ptr 0
		.amdhsa_user_sgpr_kernarg_segment_ptr 1
		.amdhsa_user_sgpr_dispatch_id 0
		.amdhsa_user_sgpr_flat_scratch_init 0
		.amdhsa_user_sgpr_kernarg_preload_length 0
		.amdhsa_user_sgpr_kernarg_preload_offset 0
		.amdhsa_user_sgpr_private_segment_size 0
		.amdhsa_uses_dynamic_stack 0
		.amdhsa_system_sgpr_private_segment_wavefront_offset 0
		.amdhsa_system_sgpr_workgroup_id_x 1
		.amdhsa_system_sgpr_workgroup_id_y 0
		.amdhsa_system_sgpr_workgroup_id_z 0
		.amdhsa_system_sgpr_workgroup_info 0
		.amdhsa_system_vgpr_workitem_id 0
		.amdhsa_next_free_vgpr 1
		.amdhsa_next_free_sgpr 0
		.amdhsa_accum_offset 4
		.amdhsa_reserve_vcc 0
		.amdhsa_reserve_flat_scratch 0
		.amdhsa_float_round_mode_32 0
		.amdhsa_float_round_mode_16_64 0
		.amdhsa_float_denorm_mode_32 3
		.amdhsa_float_denorm_mode_16_64 3
		.amdhsa_dx10_clamp 1
		.amdhsa_ieee_mode 1
		.amdhsa_fp16_overflow 0
		.amdhsa_tg_split 0
		.amdhsa_exception_fp_ieee_invalid_op 0
		.amdhsa_exception_fp_denorm_src 0
		.amdhsa_exception_fp_ieee_div_zero 0
		.amdhsa_exception_fp_ieee_overflow 0
		.amdhsa_exception_fp_ieee_underflow 0
		.amdhsa_exception_fp_ieee_inexact 0
		.amdhsa_exception_int_div_zero 0
	.end_amdhsa_kernel
	.section	.text._ZN6thrust23THRUST_200600_302600_NS11hip_rocprim14__parallel_for6kernelILj256ENS1_10for_each_fINS0_10device_ptrI11FixedVectorIiLj1EEEENS0_6detail16wrapped_functionINS9_23allocator_traits_detail5gozerEvEEEElLj1EEEvT0_T1_SG_,"axG",@progbits,_ZN6thrust23THRUST_200600_302600_NS11hip_rocprim14__parallel_for6kernelILj256ENS1_10for_each_fINS0_10device_ptrI11FixedVectorIiLj1EEEENS0_6detail16wrapped_functionINS9_23allocator_traits_detail5gozerEvEEEElLj1EEEvT0_T1_SG_,comdat
.Lfunc_end1865:
	.size	_ZN6thrust23THRUST_200600_302600_NS11hip_rocprim14__parallel_for6kernelILj256ENS1_10for_each_fINS0_10device_ptrI11FixedVectorIiLj1EEEENS0_6detail16wrapped_functionINS9_23allocator_traits_detail5gozerEvEEEElLj1EEEvT0_T1_SG_, .Lfunc_end1865-_ZN6thrust23THRUST_200600_302600_NS11hip_rocprim14__parallel_for6kernelILj256ENS1_10for_each_fINS0_10device_ptrI11FixedVectorIiLj1EEEENS0_6detail16wrapped_functionINS9_23allocator_traits_detail5gozerEvEEEElLj1EEEvT0_T1_SG_
                                        ; -- End function
	.section	.AMDGPU.csdata,"",@progbits
; Kernel info:
; codeLenInByte = 4
; NumSgprs: 4
; NumVgprs: 0
; NumAgprs: 0
; TotalNumVgprs: 0
; ScratchSize: 0
; MemoryBound: 0
; FloatMode: 240
; IeeeMode: 1
; LDSByteSize: 0 bytes/workgroup (compile time only)
; SGPRBlocks: 0
; VGPRBlocks: 0
; NumSGPRsForWavesPerEU: 4
; NumVGPRsForWavesPerEU: 1
; AccumOffset: 4
; Occupancy: 8
; WaveLimiterHint : 0
; COMPUTE_PGM_RSRC2:SCRATCH_EN: 0
; COMPUTE_PGM_RSRC2:USER_SGPR: 6
; COMPUTE_PGM_RSRC2:TRAP_HANDLER: 0
; COMPUTE_PGM_RSRC2:TGID_X_EN: 1
; COMPUTE_PGM_RSRC2:TGID_Y_EN: 0
; COMPUTE_PGM_RSRC2:TGID_Z_EN: 0
; COMPUTE_PGM_RSRC2:TIDIG_COMP_CNT: 0
; COMPUTE_PGM_RSRC3_GFX90A:ACCUM_OFFSET: 0
; COMPUTE_PGM_RSRC3_GFX90A:TG_SPLIT: 0
	.section	.text._ZN6thrust23THRUST_200600_302600_NS11hip_rocprim14__parallel_for6kernelILj256ENS1_10for_each_fINS0_10device_ptrI11FixedVectorIiLj1EEEENS0_6detail16wrapped_functionINS9_23allocator_traits_detail24construct1_via_allocatorINS0_16device_allocatorIS7_EEEEvEEEEmLj1EEEvT0_T1_SJ_,"axG",@progbits,_ZN6thrust23THRUST_200600_302600_NS11hip_rocprim14__parallel_for6kernelILj256ENS1_10for_each_fINS0_10device_ptrI11FixedVectorIiLj1EEEENS0_6detail16wrapped_functionINS9_23allocator_traits_detail24construct1_via_allocatorINS0_16device_allocatorIS7_EEEEvEEEEmLj1EEEvT0_T1_SJ_,comdat
	.protected	_ZN6thrust23THRUST_200600_302600_NS11hip_rocprim14__parallel_for6kernelILj256ENS1_10for_each_fINS0_10device_ptrI11FixedVectorIiLj1EEEENS0_6detail16wrapped_functionINS9_23allocator_traits_detail24construct1_via_allocatorINS0_16device_allocatorIS7_EEEEvEEEEmLj1EEEvT0_T1_SJ_ ; -- Begin function _ZN6thrust23THRUST_200600_302600_NS11hip_rocprim14__parallel_for6kernelILj256ENS1_10for_each_fINS0_10device_ptrI11FixedVectorIiLj1EEEENS0_6detail16wrapped_functionINS9_23allocator_traits_detail24construct1_via_allocatorINS0_16device_allocatorIS7_EEEEvEEEEmLj1EEEvT0_T1_SJ_
	.globl	_ZN6thrust23THRUST_200600_302600_NS11hip_rocprim14__parallel_for6kernelILj256ENS1_10for_each_fINS0_10device_ptrI11FixedVectorIiLj1EEEENS0_6detail16wrapped_functionINS9_23allocator_traits_detail24construct1_via_allocatorINS0_16device_allocatorIS7_EEEEvEEEEmLj1EEEvT0_T1_SJ_
	.p2align	8
	.type	_ZN6thrust23THRUST_200600_302600_NS11hip_rocprim14__parallel_for6kernelILj256ENS1_10for_each_fINS0_10device_ptrI11FixedVectorIiLj1EEEENS0_6detail16wrapped_functionINS9_23allocator_traits_detail24construct1_via_allocatorINS0_16device_allocatorIS7_EEEEvEEEEmLj1EEEvT0_T1_SJ_,@function
_ZN6thrust23THRUST_200600_302600_NS11hip_rocprim14__parallel_for6kernelILj256ENS1_10for_each_fINS0_10device_ptrI11FixedVectorIiLj1EEEENS0_6detail16wrapped_functionINS9_23allocator_traits_detail24construct1_via_allocatorINS0_16device_allocatorIS7_EEEEvEEEEmLj1EEEvT0_T1_SJ_: ; @_ZN6thrust23THRUST_200600_302600_NS11hip_rocprim14__parallel_for6kernelILj256ENS1_10for_each_fINS0_10device_ptrI11FixedVectorIiLj1EEEENS0_6detail16wrapped_functionINS9_23allocator_traits_detail24construct1_via_allocatorINS0_16device_allocatorIS7_EEEEvEEEEmLj1EEEvT0_T1_SJ_
; %bb.0:
	s_load_dwordx4 s[8:11], s[4:5], 0x10
	s_lshl_b32 s0, s6, 8
	v_mov_b32_e32 v2, 0x100
	v_mov_b32_e32 v3, 0
	s_waitcnt lgkmcnt(0)
	s_add_u32 s0, s0, s10
	s_addc_u32 s1, 0, s11
	s_sub_u32 s2, s8, s0
	s_subb_u32 s3, s9, s1
	v_cmp_lt_u64_e32 vcc, s[2:3], v[2:3]
	s_cbranch_vccz .LBB1866_2
; %bb.1:
	v_cmp_gt_u32_e32 vcc, s2, v0
	s_and_b64 s[2:3], vcc, exec
	s_cbranch_execz .LBB1866_3
	s_branch .LBB1866_4
.LBB1866_2:
	s_mov_b64 s[2:3], 0
.LBB1866_3:
	s_or_b64 s[2:3], s[2:3], exec
.LBB1866_4:
	s_and_saveexec_b64 s[6:7], s[2:3]
	s_cbranch_execnz .LBB1866_6
; %bb.5:
	s_endpgm
.LBB1866_6:
	s_load_dwordx2 s[2:3], s[4:5], 0x0
	s_lshl_b64 s[0:1], s[0:1], 2
	v_mov_b32_e32 v1, 0
	v_lshlrev_b64 v[2:3], 2, v[0:1]
	s_waitcnt lgkmcnt(0)
	s_add_u32 s0, s2, s0
	s_addc_u32 s1, s3, s1
	v_mov_b32_e32 v0, s1
	v_add_co_u32_e32 v2, vcc, s0, v2
	v_addc_co_u32_e32 v3, vcc, v0, v3, vcc
	flat_store_dword v[2:3], v1
	s_endpgm
	.section	.rodata,"a",@progbits
	.p2align	6, 0x0
	.amdhsa_kernel _ZN6thrust23THRUST_200600_302600_NS11hip_rocprim14__parallel_for6kernelILj256ENS1_10for_each_fINS0_10device_ptrI11FixedVectorIiLj1EEEENS0_6detail16wrapped_functionINS9_23allocator_traits_detail24construct1_via_allocatorINS0_16device_allocatorIS7_EEEEvEEEEmLj1EEEvT0_T1_SJ_
		.amdhsa_group_segment_fixed_size 0
		.amdhsa_private_segment_fixed_size 0
		.amdhsa_kernarg_size 32
		.amdhsa_user_sgpr_count 6
		.amdhsa_user_sgpr_private_segment_buffer 1
		.amdhsa_user_sgpr_dispatch_ptr 0
		.amdhsa_user_sgpr_queue_ptr 0
		.amdhsa_user_sgpr_kernarg_segment_ptr 1
		.amdhsa_user_sgpr_dispatch_id 0
		.amdhsa_user_sgpr_flat_scratch_init 0
		.amdhsa_user_sgpr_kernarg_preload_length 0
		.amdhsa_user_sgpr_kernarg_preload_offset 0
		.amdhsa_user_sgpr_private_segment_size 0
		.amdhsa_uses_dynamic_stack 0
		.amdhsa_system_sgpr_private_segment_wavefront_offset 0
		.amdhsa_system_sgpr_workgroup_id_x 1
		.amdhsa_system_sgpr_workgroup_id_y 0
		.amdhsa_system_sgpr_workgroup_id_z 0
		.amdhsa_system_sgpr_workgroup_info 0
		.amdhsa_system_vgpr_workitem_id 0
		.amdhsa_next_free_vgpr 4
		.amdhsa_next_free_sgpr 12
		.amdhsa_accum_offset 4
		.amdhsa_reserve_vcc 1
		.amdhsa_reserve_flat_scratch 0
		.amdhsa_float_round_mode_32 0
		.amdhsa_float_round_mode_16_64 0
		.amdhsa_float_denorm_mode_32 3
		.amdhsa_float_denorm_mode_16_64 3
		.amdhsa_dx10_clamp 1
		.amdhsa_ieee_mode 1
		.amdhsa_fp16_overflow 0
		.amdhsa_tg_split 0
		.amdhsa_exception_fp_ieee_invalid_op 0
		.amdhsa_exception_fp_denorm_src 0
		.amdhsa_exception_fp_ieee_div_zero 0
		.amdhsa_exception_fp_ieee_overflow 0
		.amdhsa_exception_fp_ieee_underflow 0
		.amdhsa_exception_fp_ieee_inexact 0
		.amdhsa_exception_int_div_zero 0
	.end_amdhsa_kernel
	.section	.text._ZN6thrust23THRUST_200600_302600_NS11hip_rocprim14__parallel_for6kernelILj256ENS1_10for_each_fINS0_10device_ptrI11FixedVectorIiLj1EEEENS0_6detail16wrapped_functionINS9_23allocator_traits_detail24construct1_via_allocatorINS0_16device_allocatorIS7_EEEEvEEEEmLj1EEEvT0_T1_SJ_,"axG",@progbits,_ZN6thrust23THRUST_200600_302600_NS11hip_rocprim14__parallel_for6kernelILj256ENS1_10for_each_fINS0_10device_ptrI11FixedVectorIiLj1EEEENS0_6detail16wrapped_functionINS9_23allocator_traits_detail24construct1_via_allocatorINS0_16device_allocatorIS7_EEEEvEEEEmLj1EEEvT0_T1_SJ_,comdat
.Lfunc_end1866:
	.size	_ZN6thrust23THRUST_200600_302600_NS11hip_rocprim14__parallel_for6kernelILj256ENS1_10for_each_fINS0_10device_ptrI11FixedVectorIiLj1EEEENS0_6detail16wrapped_functionINS9_23allocator_traits_detail24construct1_via_allocatorINS0_16device_allocatorIS7_EEEEvEEEEmLj1EEEvT0_T1_SJ_, .Lfunc_end1866-_ZN6thrust23THRUST_200600_302600_NS11hip_rocprim14__parallel_for6kernelILj256ENS1_10for_each_fINS0_10device_ptrI11FixedVectorIiLj1EEEENS0_6detail16wrapped_functionINS9_23allocator_traits_detail24construct1_via_allocatorINS0_16device_allocatorIS7_EEEEvEEEEmLj1EEEvT0_T1_SJ_
                                        ; -- End function
	.section	.AMDGPU.csdata,"",@progbits
; Kernel info:
; codeLenInByte = 148
; NumSgprs: 16
; NumVgprs: 4
; NumAgprs: 0
; TotalNumVgprs: 4
; ScratchSize: 0
; MemoryBound: 0
; FloatMode: 240
; IeeeMode: 1
; LDSByteSize: 0 bytes/workgroup (compile time only)
; SGPRBlocks: 1
; VGPRBlocks: 0
; NumSGPRsForWavesPerEU: 16
; NumVGPRsForWavesPerEU: 4
; AccumOffset: 4
; Occupancy: 8
; WaveLimiterHint : 0
; COMPUTE_PGM_RSRC2:SCRATCH_EN: 0
; COMPUTE_PGM_RSRC2:USER_SGPR: 6
; COMPUTE_PGM_RSRC2:TRAP_HANDLER: 0
; COMPUTE_PGM_RSRC2:TGID_X_EN: 1
; COMPUTE_PGM_RSRC2:TGID_Y_EN: 0
; COMPUTE_PGM_RSRC2:TGID_Z_EN: 0
; COMPUTE_PGM_RSRC2:TIDIG_COMP_CNT: 0
; COMPUTE_PGM_RSRC3_GFX90A:ACCUM_OFFSET: 0
; COMPUTE_PGM_RSRC3_GFX90A:TG_SPLIT: 0
	.section	.text._ZN7rocprim17ROCPRIM_400000_NS6detail30init_device_scan_by_key_kernelINS1_19lookback_scan_stateINS0_5tupleIJ11FixedVectorIiLj1EEbEEELb0ELb1EEEN6thrust23THRUST_200600_302600_NS6detail15normal_iteratorINSA_10device_ptrIjEEEEjNS1_16block_id_wrapperIjLb0EEEEEvT_jjPNSI_10value_typeET0_PNSt15iterator_traitsISL_E10value_typeEmT1_T2_,"axG",@progbits,_ZN7rocprim17ROCPRIM_400000_NS6detail30init_device_scan_by_key_kernelINS1_19lookback_scan_stateINS0_5tupleIJ11FixedVectorIiLj1EEbEEELb0ELb1EEEN6thrust23THRUST_200600_302600_NS6detail15normal_iteratorINSA_10device_ptrIjEEEEjNS1_16block_id_wrapperIjLb0EEEEEvT_jjPNSI_10value_typeET0_PNSt15iterator_traitsISL_E10value_typeEmT1_T2_,comdat
	.protected	_ZN7rocprim17ROCPRIM_400000_NS6detail30init_device_scan_by_key_kernelINS1_19lookback_scan_stateINS0_5tupleIJ11FixedVectorIiLj1EEbEEELb0ELb1EEEN6thrust23THRUST_200600_302600_NS6detail15normal_iteratorINSA_10device_ptrIjEEEEjNS1_16block_id_wrapperIjLb0EEEEEvT_jjPNSI_10value_typeET0_PNSt15iterator_traitsISL_E10value_typeEmT1_T2_ ; -- Begin function _ZN7rocprim17ROCPRIM_400000_NS6detail30init_device_scan_by_key_kernelINS1_19lookback_scan_stateINS0_5tupleIJ11FixedVectorIiLj1EEbEEELb0ELb1EEEN6thrust23THRUST_200600_302600_NS6detail15normal_iteratorINSA_10device_ptrIjEEEEjNS1_16block_id_wrapperIjLb0EEEEEvT_jjPNSI_10value_typeET0_PNSt15iterator_traitsISL_E10value_typeEmT1_T2_
	.globl	_ZN7rocprim17ROCPRIM_400000_NS6detail30init_device_scan_by_key_kernelINS1_19lookback_scan_stateINS0_5tupleIJ11FixedVectorIiLj1EEbEEELb0ELb1EEEN6thrust23THRUST_200600_302600_NS6detail15normal_iteratorINSA_10device_ptrIjEEEEjNS1_16block_id_wrapperIjLb0EEEEEvT_jjPNSI_10value_typeET0_PNSt15iterator_traitsISL_E10value_typeEmT1_T2_
	.p2align	8
	.type	_ZN7rocprim17ROCPRIM_400000_NS6detail30init_device_scan_by_key_kernelINS1_19lookback_scan_stateINS0_5tupleIJ11FixedVectorIiLj1EEbEEELb0ELb1EEEN6thrust23THRUST_200600_302600_NS6detail15normal_iteratorINSA_10device_ptrIjEEEEjNS1_16block_id_wrapperIjLb0EEEEEvT_jjPNSI_10value_typeET0_PNSt15iterator_traitsISL_E10value_typeEmT1_T2_,@function
_ZN7rocprim17ROCPRIM_400000_NS6detail30init_device_scan_by_key_kernelINS1_19lookback_scan_stateINS0_5tupleIJ11FixedVectorIiLj1EEbEEELb0ELb1EEEN6thrust23THRUST_200600_302600_NS6detail15normal_iteratorINSA_10device_ptrIjEEEEjNS1_16block_id_wrapperIjLb0EEEEEvT_jjPNSI_10value_typeET0_PNSt15iterator_traitsISL_E10value_typeEmT1_T2_: ; @_ZN7rocprim17ROCPRIM_400000_NS6detail30init_device_scan_by_key_kernelINS1_19lookback_scan_stateINS0_5tupleIJ11FixedVectorIiLj1EEbEEELb0ELb1EEEN6thrust23THRUST_200600_302600_NS6detail15normal_iteratorINSA_10device_ptrIjEEEEjNS1_16block_id_wrapperIjLb0EEEEEvT_jjPNSI_10value_typeET0_PNSt15iterator_traitsISL_E10value_typeEmT1_T2_
; %bb.0:
	s_load_dword s0, s[4:5], 0x44
	s_load_dwordx8 s[8:15], s[4:5], 0x0
	s_load_dword s18, s[4:5], 0x38
	s_waitcnt lgkmcnt(0)
	s_and_b32 s19, s0, 0xffff
	s_mul_i32 s6, s6, s19
	s_cmp_eq_u64 s[12:13], 0
	v_add_u32_e32 v4, s6, v0
	s_cbranch_scc1 .LBB1867_8
; %bb.1:
	s_cmp_lt_u32 s11, s10
	s_cselect_b32 s0, s11, 0
	s_mov_b32 s3, 0
	v_cmp_eq_u32_e32 vcc, s0, v4
	s_and_saveexec_b64 s[0:1], vcc
	s_cbranch_execz .LBB1867_7
; %bb.2:
	s_add_i32 s2, s11, 64
	s_lshl_b64 s[2:3], s[2:3], 4
	s_add_u32 s16, s8, s2
	s_addc_u32 s17, s9, s3
	v_pk_mov_b32 v[0:1], s[16:17], s[16:17] op_sel:[0,1]
	;;#ASMSTART
	global_load_dwordx4 v[0:3], v[0:1] off glc	
s_waitcnt vmcnt(0)
	;;#ASMEND
	v_mov_b32_e32 v7, 0
	v_and_b32_e32 v6, 0xff, v2
	s_mov_b64 s[6:7], 0
	v_cmp_eq_u64_e32 vcc, 0, v[6:7]
	s_and_saveexec_b64 s[2:3], vcc
	s_cbranch_execz .LBB1867_6
; %bb.3:
	v_pk_mov_b32 v[8:9], s[16:17], s[16:17] op_sel:[0,1]
.LBB1867_4:                             ; =>This Inner Loop Header: Depth=1
	;;#ASMSTART
	global_load_dwordx4 v[0:3], v[8:9] off glc	
s_waitcnt vmcnt(0)
	;;#ASMEND
	v_and_b32_e32 v6, 0xff, v2
	v_cmp_ne_u64_e32 vcc, 0, v[6:7]
	s_or_b64 s[6:7], vcc, s[6:7]
	s_andn2_b64 exec, exec, s[6:7]
	s_cbranch_execnz .LBB1867_4
; %bb.5:
	s_or_b64 exec, exec, s[6:7]
.LBB1867_6:
	s_or_b64 exec, exec, s[2:3]
	v_mov_b32_e32 v2, 0
	global_store_dword v2, v0, s[12:13]
	global_store_byte v2, v1, s[12:13] offset:4
.LBB1867_7:
	s_or_b64 exec, exec, s[0:1]
.LBB1867_8:
	v_cmp_gt_u32_e32 vcc, s10, v4
	s_and_saveexec_b64 s[0:1], vcc
	s_cbranch_execz .LBB1867_10
; %bb.9:
	v_add_u32_e32 v0, 64, v4
	v_mov_b32_e32 v1, 0
	v_lshlrev_b64 v[2:3], 4, v[0:1]
	v_mov_b32_e32 v0, s9
	v_add_co_u32_e32 v6, vcc, s8, v2
	v_addc_co_u32_e32 v7, vcc, v0, v3, vcc
	v_mov_b32_e32 v0, v1
	v_mov_b32_e32 v2, v1
	;; [unrolled: 1-line block ×3, first 2 shown]
	global_store_dwordx4 v[6:7], v[0:3], off
.LBB1867_10:
	s_or_b64 exec, exec, s[0:1]
	v_cmp_gt_u32_e32 vcc, 64, v4
	v_mov_b32_e32 v5, 0
	s_and_saveexec_b64 s[0:1], vcc
	s_cbranch_execz .LBB1867_12
; %bb.11:
	v_lshlrev_b64 v[0:1], 4, v[4:5]
	v_mov_b32_e32 v2, s9
	v_add_co_u32_e32 v6, vcc, s8, v0
	v_addc_co_u32_e32 v7, vcc, v2, v1, vcc
	v_mov_b32_e32 v2, 0xff
	v_mov_b32_e32 v0, v5
	;; [unrolled: 1-line block ×4, first 2 shown]
	global_store_dwordx4 v[6:7], v[0:3], off
.LBB1867_12:
	s_or_b64 exec, exec, s[0:1]
	s_load_dwordx2 s[0:1], s[4:5], 0x28
	s_waitcnt lgkmcnt(0)
	v_cmp_gt_u64_e32 vcc, s[0:1], v[4:5]
	s_and_saveexec_b64 s[2:3], vcc
	s_cbranch_execz .LBB1867_15
; %bb.13:
	s_load_dword s10, s[4:5], 0x30
	s_load_dwordx2 s[6:7], s[4:5], 0x20
	s_mov_b32 s5, 0
	s_mov_b32 s3, s5
	s_mul_i32 s2, s18, s19
	s_waitcnt lgkmcnt(0)
	s_add_i32 s4, s10, -1
	s_lshl_b64 s[4:5], s[4:5], 2
	v_mad_u64_u32 v[0:1], s[8:9], s10, v4, 0
	s_add_u32 s4, s14, s4
	v_lshlrev_b64 v[0:1], 2, v[0:1]
	s_addc_u32 s5, s15, s5
	v_mov_b32_e32 v2, s5
	v_add_co_u32_e32 v0, vcc, s4, v0
	v_addc_co_u32_e32 v1, vcc, v2, v1, vcc
	s_mul_hi_u32 s5, s10, s2
	s_mul_i32 s4, s10, s2
	v_lshlrev_b64 v[2:3], 2, v[4:5]
	s_lshl_b64 s[4:5], s[4:5], 2
	v_mov_b32_e32 v6, s7
	v_add_co_u32_e32 v2, vcc, s6, v2
	s_lshl_b64 s[6:7], s[2:3], 2
	v_addc_co_u32_e32 v3, vcc, v6, v3, vcc
	s_mov_b64 s[8:9], 0
	v_mov_b32_e32 v6, s3
	v_mov_b32_e32 v7, s5
	;; [unrolled: 1-line block ×3, first 2 shown]
.LBB1867_14:                            ; =>This Inner Loop Header: Depth=1
	global_load_dword v9, v[0:1], off
	v_add_co_u32_e32 v4, vcc, s2, v4
	v_addc_co_u32_e32 v5, vcc, v5, v6, vcc
	v_add_co_u32_e32 v0, vcc, s4, v0
	v_addc_co_u32_e32 v1, vcc, v1, v7, vcc
	v_cmp_le_u64_e32 vcc, s[0:1], v[4:5]
	s_or_b64 s[8:9], vcc, s[8:9]
	s_waitcnt vmcnt(0)
	global_store_dword v[2:3], v9, off
	v_add_co_u32_e32 v2, vcc, s6, v2
	v_addc_co_u32_e32 v3, vcc, v3, v8, vcc
	s_andn2_b64 exec, exec, s[8:9]
	s_cbranch_execnz .LBB1867_14
.LBB1867_15:
	s_endpgm
	.section	.rodata,"a",@progbits
	.p2align	6, 0x0
	.amdhsa_kernel _ZN7rocprim17ROCPRIM_400000_NS6detail30init_device_scan_by_key_kernelINS1_19lookback_scan_stateINS0_5tupleIJ11FixedVectorIiLj1EEbEEELb0ELb1EEEN6thrust23THRUST_200600_302600_NS6detail15normal_iteratorINSA_10device_ptrIjEEEEjNS1_16block_id_wrapperIjLb0EEEEEvT_jjPNSI_10value_typeET0_PNSt15iterator_traitsISL_E10value_typeEmT1_T2_
		.amdhsa_group_segment_fixed_size 0
		.amdhsa_private_segment_fixed_size 0
		.amdhsa_kernarg_size 312
		.amdhsa_user_sgpr_count 6
		.amdhsa_user_sgpr_private_segment_buffer 1
		.amdhsa_user_sgpr_dispatch_ptr 0
		.amdhsa_user_sgpr_queue_ptr 0
		.amdhsa_user_sgpr_kernarg_segment_ptr 1
		.amdhsa_user_sgpr_dispatch_id 0
		.amdhsa_user_sgpr_flat_scratch_init 0
		.amdhsa_user_sgpr_kernarg_preload_length 0
		.amdhsa_user_sgpr_kernarg_preload_offset 0
		.amdhsa_user_sgpr_private_segment_size 0
		.amdhsa_uses_dynamic_stack 0
		.amdhsa_system_sgpr_private_segment_wavefront_offset 0
		.amdhsa_system_sgpr_workgroup_id_x 1
		.amdhsa_system_sgpr_workgroup_id_y 0
		.amdhsa_system_sgpr_workgroup_id_z 0
		.amdhsa_system_sgpr_workgroup_info 0
		.amdhsa_system_vgpr_workitem_id 0
		.amdhsa_next_free_vgpr 10
		.amdhsa_next_free_sgpr 20
		.amdhsa_accum_offset 12
		.amdhsa_reserve_vcc 1
		.amdhsa_reserve_flat_scratch 0
		.amdhsa_float_round_mode_32 0
		.amdhsa_float_round_mode_16_64 0
		.amdhsa_float_denorm_mode_32 3
		.amdhsa_float_denorm_mode_16_64 3
		.amdhsa_dx10_clamp 1
		.amdhsa_ieee_mode 1
		.amdhsa_fp16_overflow 0
		.amdhsa_tg_split 0
		.amdhsa_exception_fp_ieee_invalid_op 0
		.amdhsa_exception_fp_denorm_src 0
		.amdhsa_exception_fp_ieee_div_zero 0
		.amdhsa_exception_fp_ieee_overflow 0
		.amdhsa_exception_fp_ieee_underflow 0
		.amdhsa_exception_fp_ieee_inexact 0
		.amdhsa_exception_int_div_zero 0
	.end_amdhsa_kernel
	.section	.text._ZN7rocprim17ROCPRIM_400000_NS6detail30init_device_scan_by_key_kernelINS1_19lookback_scan_stateINS0_5tupleIJ11FixedVectorIiLj1EEbEEELb0ELb1EEEN6thrust23THRUST_200600_302600_NS6detail15normal_iteratorINSA_10device_ptrIjEEEEjNS1_16block_id_wrapperIjLb0EEEEEvT_jjPNSI_10value_typeET0_PNSt15iterator_traitsISL_E10value_typeEmT1_T2_,"axG",@progbits,_ZN7rocprim17ROCPRIM_400000_NS6detail30init_device_scan_by_key_kernelINS1_19lookback_scan_stateINS0_5tupleIJ11FixedVectorIiLj1EEbEEELb0ELb1EEEN6thrust23THRUST_200600_302600_NS6detail15normal_iteratorINSA_10device_ptrIjEEEEjNS1_16block_id_wrapperIjLb0EEEEEvT_jjPNSI_10value_typeET0_PNSt15iterator_traitsISL_E10value_typeEmT1_T2_,comdat
.Lfunc_end1867:
	.size	_ZN7rocprim17ROCPRIM_400000_NS6detail30init_device_scan_by_key_kernelINS1_19lookback_scan_stateINS0_5tupleIJ11FixedVectorIiLj1EEbEEELb0ELb1EEEN6thrust23THRUST_200600_302600_NS6detail15normal_iteratorINSA_10device_ptrIjEEEEjNS1_16block_id_wrapperIjLb0EEEEEvT_jjPNSI_10value_typeET0_PNSt15iterator_traitsISL_E10value_typeEmT1_T2_, .Lfunc_end1867-_ZN7rocprim17ROCPRIM_400000_NS6detail30init_device_scan_by_key_kernelINS1_19lookback_scan_stateINS0_5tupleIJ11FixedVectorIiLj1EEbEEELb0ELb1EEEN6thrust23THRUST_200600_302600_NS6detail15normal_iteratorINSA_10device_ptrIjEEEEjNS1_16block_id_wrapperIjLb0EEEEEvT_jjPNSI_10value_typeET0_PNSt15iterator_traitsISL_E10value_typeEmT1_T2_
                                        ; -- End function
	.section	.AMDGPU.csdata,"",@progbits
; Kernel info:
; codeLenInByte = 572
; NumSgprs: 24
; NumVgprs: 10
; NumAgprs: 0
; TotalNumVgprs: 10
; ScratchSize: 0
; MemoryBound: 0
; FloatMode: 240
; IeeeMode: 1
; LDSByteSize: 0 bytes/workgroup (compile time only)
; SGPRBlocks: 2
; VGPRBlocks: 1
; NumSGPRsForWavesPerEU: 24
; NumVGPRsForWavesPerEU: 10
; AccumOffset: 12
; Occupancy: 8
; WaveLimiterHint : 0
; COMPUTE_PGM_RSRC2:SCRATCH_EN: 0
; COMPUTE_PGM_RSRC2:USER_SGPR: 6
; COMPUTE_PGM_RSRC2:TRAP_HANDLER: 0
; COMPUTE_PGM_RSRC2:TGID_X_EN: 1
; COMPUTE_PGM_RSRC2:TGID_Y_EN: 0
; COMPUTE_PGM_RSRC2:TGID_Z_EN: 0
; COMPUTE_PGM_RSRC2:TIDIG_COMP_CNT: 0
; COMPUTE_PGM_RSRC3_GFX90A:ACCUM_OFFSET: 2
; COMPUTE_PGM_RSRC3_GFX90A:TG_SPLIT: 0
	.section	.text._ZN7rocprim17ROCPRIM_400000_NS6detail30init_device_scan_by_key_kernelINS1_19lookback_scan_stateINS0_5tupleIJ11FixedVectorIiLj1EEbEEELb0ELb1EEENS1_16block_id_wrapperIjLb0EEEEEvT_jjPNSB_10value_typeET0_,"axG",@progbits,_ZN7rocprim17ROCPRIM_400000_NS6detail30init_device_scan_by_key_kernelINS1_19lookback_scan_stateINS0_5tupleIJ11FixedVectorIiLj1EEbEEELb0ELb1EEENS1_16block_id_wrapperIjLb0EEEEEvT_jjPNSB_10value_typeET0_,comdat
	.protected	_ZN7rocprim17ROCPRIM_400000_NS6detail30init_device_scan_by_key_kernelINS1_19lookback_scan_stateINS0_5tupleIJ11FixedVectorIiLj1EEbEEELb0ELb1EEENS1_16block_id_wrapperIjLb0EEEEEvT_jjPNSB_10value_typeET0_ ; -- Begin function _ZN7rocprim17ROCPRIM_400000_NS6detail30init_device_scan_by_key_kernelINS1_19lookback_scan_stateINS0_5tupleIJ11FixedVectorIiLj1EEbEEELb0ELb1EEENS1_16block_id_wrapperIjLb0EEEEEvT_jjPNSB_10value_typeET0_
	.globl	_ZN7rocprim17ROCPRIM_400000_NS6detail30init_device_scan_by_key_kernelINS1_19lookback_scan_stateINS0_5tupleIJ11FixedVectorIiLj1EEbEEELb0ELb1EEENS1_16block_id_wrapperIjLb0EEEEEvT_jjPNSB_10value_typeET0_
	.p2align	8
	.type	_ZN7rocprim17ROCPRIM_400000_NS6detail30init_device_scan_by_key_kernelINS1_19lookback_scan_stateINS0_5tupleIJ11FixedVectorIiLj1EEbEEELb0ELb1EEENS1_16block_id_wrapperIjLb0EEEEEvT_jjPNSB_10value_typeET0_,@function
_ZN7rocprim17ROCPRIM_400000_NS6detail30init_device_scan_by_key_kernelINS1_19lookback_scan_stateINS0_5tupleIJ11FixedVectorIiLj1EEbEEELb0ELb1EEENS1_16block_id_wrapperIjLb0EEEEEvT_jjPNSB_10value_typeET0_: ; @_ZN7rocprim17ROCPRIM_400000_NS6detail30init_device_scan_by_key_kernelINS1_19lookback_scan_stateINS0_5tupleIJ11FixedVectorIiLj1EEbEEELb0ELb1EEENS1_16block_id_wrapperIjLb0EEEEEvT_jjPNSB_10value_typeET0_
; %bb.0:
	s_load_dword s7, s[4:5], 0x2c
	s_load_dwordx2 s[8:9], s[4:5], 0x10
	s_load_dwordx4 s[0:3], s[4:5], 0x0
	s_waitcnt lgkmcnt(0)
	s_and_b32 s4, s7, 0xffff
	s_mul_i32 s6, s6, s4
	s_cmp_eq_u64 s[8:9], 0
	v_add_u32_e32 v0, s6, v0
	s_cbranch_scc1 .LBB1868_8
; %bb.1:
	s_cmp_lt_u32 s3, s2
	s_cselect_b32 s4, s3, 0
	s_mov_b32 s7, 0
	v_cmp_eq_u32_e32 vcc, s4, v0
	s_and_saveexec_b64 s[4:5], vcc
	s_cbranch_execz .LBB1868_7
; %bb.2:
	s_add_i32 s6, s3, 64
	s_lshl_b64 s[6:7], s[6:7], 4
	s_add_u32 s12, s0, s6
	s_addc_u32 s13, s1, s7
	v_pk_mov_b32 v[2:3], s[12:13], s[12:13] op_sel:[0,1]
	;;#ASMSTART
	global_load_dwordx4 v[2:5], v[2:3] off glc	
s_waitcnt vmcnt(0)
	;;#ASMEND
	v_mov_b32_e32 v7, 0
	v_and_b32_e32 v6, 0xff, v4
	s_mov_b64 s[10:11], 0
	v_cmp_eq_u64_e32 vcc, 0, v[6:7]
	s_and_saveexec_b64 s[6:7], vcc
	s_cbranch_execz .LBB1868_6
; %bb.3:
	v_pk_mov_b32 v[8:9], s[12:13], s[12:13] op_sel:[0,1]
.LBB1868_4:                             ; =>This Inner Loop Header: Depth=1
	;;#ASMSTART
	global_load_dwordx4 v[2:5], v[8:9] off glc	
s_waitcnt vmcnt(0)
	;;#ASMEND
	v_and_b32_e32 v6, 0xff, v4
	v_cmp_ne_u64_e32 vcc, 0, v[6:7]
	s_or_b64 s[10:11], vcc, s[10:11]
	s_andn2_b64 exec, exec, s[10:11]
	s_cbranch_execnz .LBB1868_4
; %bb.5:
	s_or_b64 exec, exec, s[10:11]
.LBB1868_6:
	s_or_b64 exec, exec, s[6:7]
	v_mov_b32_e32 v1, 0
	global_store_dword v1, v2, s[8:9]
	global_store_byte v1, v3, s[8:9] offset:4
.LBB1868_7:
	s_or_b64 exec, exec, s[4:5]
.LBB1868_8:
	v_cmp_gt_u32_e32 vcc, s2, v0
	s_and_saveexec_b64 s[2:3], vcc
	s_cbranch_execnz .LBB1868_11
; %bb.9:
	s_or_b64 exec, exec, s[2:3]
	v_cmp_gt_u32_e32 vcc, 64, v0
	s_and_saveexec_b64 s[2:3], vcc
	s_cbranch_execnz .LBB1868_12
.LBB1868_10:
	s_endpgm
.LBB1868_11:
	v_add_u32_e32 v2, 64, v0
	v_mov_b32_e32 v3, 0
	v_lshlrev_b64 v[4:5], 4, v[2:3]
	v_mov_b32_e32 v1, s1
	v_add_co_u32_e32 v6, vcc, s0, v4
	v_addc_co_u32_e32 v7, vcc, v1, v5, vcc
	v_mov_b32_e32 v2, v3
	v_mov_b32_e32 v4, v3
	;; [unrolled: 1-line block ×3, first 2 shown]
	global_store_dwordx4 v[6:7], v[2:5], off
	s_or_b64 exec, exec, s[2:3]
	v_cmp_gt_u32_e32 vcc, 64, v0
	s_and_saveexec_b64 s[2:3], vcc
	s_cbranch_execz .LBB1868_10
.LBB1868_12:
	v_mov_b32_e32 v1, 0
	v_lshlrev_b64 v[2:3], 4, v[0:1]
	v_mov_b32_e32 v0, s1
	v_add_co_u32_e32 v4, vcc, s0, v2
	v_addc_co_u32_e32 v5, vcc, v0, v3, vcc
	v_mov_b32_e32 v2, 0xff
	v_mov_b32_e32 v0, v1
	v_mov_b32_e32 v3, v1
	global_store_dwordx4 v[4:5], v[0:3], off
	s_endpgm
	.section	.rodata,"a",@progbits
	.p2align	6, 0x0
	.amdhsa_kernel _ZN7rocprim17ROCPRIM_400000_NS6detail30init_device_scan_by_key_kernelINS1_19lookback_scan_stateINS0_5tupleIJ11FixedVectorIiLj1EEbEEELb0ELb1EEENS1_16block_id_wrapperIjLb0EEEEEvT_jjPNSB_10value_typeET0_
		.amdhsa_group_segment_fixed_size 0
		.amdhsa_private_segment_fixed_size 0
		.amdhsa_kernarg_size 288
		.amdhsa_user_sgpr_count 6
		.amdhsa_user_sgpr_private_segment_buffer 1
		.amdhsa_user_sgpr_dispatch_ptr 0
		.amdhsa_user_sgpr_queue_ptr 0
		.amdhsa_user_sgpr_kernarg_segment_ptr 1
		.amdhsa_user_sgpr_dispatch_id 0
		.amdhsa_user_sgpr_flat_scratch_init 0
		.amdhsa_user_sgpr_kernarg_preload_length 0
		.amdhsa_user_sgpr_kernarg_preload_offset 0
		.amdhsa_user_sgpr_private_segment_size 0
		.amdhsa_uses_dynamic_stack 0
		.amdhsa_system_sgpr_private_segment_wavefront_offset 0
		.amdhsa_system_sgpr_workgroup_id_x 1
		.amdhsa_system_sgpr_workgroup_id_y 0
		.amdhsa_system_sgpr_workgroup_id_z 0
		.amdhsa_system_sgpr_workgroup_info 0
		.amdhsa_system_vgpr_workitem_id 0
		.amdhsa_next_free_vgpr 10
		.amdhsa_next_free_sgpr 14
		.amdhsa_accum_offset 12
		.amdhsa_reserve_vcc 1
		.amdhsa_reserve_flat_scratch 0
		.amdhsa_float_round_mode_32 0
		.amdhsa_float_round_mode_16_64 0
		.amdhsa_float_denorm_mode_32 3
		.amdhsa_float_denorm_mode_16_64 3
		.amdhsa_dx10_clamp 1
		.amdhsa_ieee_mode 1
		.amdhsa_fp16_overflow 0
		.amdhsa_tg_split 0
		.amdhsa_exception_fp_ieee_invalid_op 0
		.amdhsa_exception_fp_denorm_src 0
		.amdhsa_exception_fp_ieee_div_zero 0
		.amdhsa_exception_fp_ieee_overflow 0
		.amdhsa_exception_fp_ieee_underflow 0
		.amdhsa_exception_fp_ieee_inexact 0
		.amdhsa_exception_int_div_zero 0
	.end_amdhsa_kernel
	.section	.text._ZN7rocprim17ROCPRIM_400000_NS6detail30init_device_scan_by_key_kernelINS1_19lookback_scan_stateINS0_5tupleIJ11FixedVectorIiLj1EEbEEELb0ELb1EEENS1_16block_id_wrapperIjLb0EEEEEvT_jjPNSB_10value_typeET0_,"axG",@progbits,_ZN7rocprim17ROCPRIM_400000_NS6detail30init_device_scan_by_key_kernelINS1_19lookback_scan_stateINS0_5tupleIJ11FixedVectorIiLj1EEbEEELb0ELb1EEENS1_16block_id_wrapperIjLb0EEEEEvT_jjPNSB_10value_typeET0_,comdat
.Lfunc_end1868:
	.size	_ZN7rocprim17ROCPRIM_400000_NS6detail30init_device_scan_by_key_kernelINS1_19lookback_scan_stateINS0_5tupleIJ11FixedVectorIiLj1EEbEEELb0ELb1EEENS1_16block_id_wrapperIjLb0EEEEEvT_jjPNSB_10value_typeET0_, .Lfunc_end1868-_ZN7rocprim17ROCPRIM_400000_NS6detail30init_device_scan_by_key_kernelINS1_19lookback_scan_stateINS0_5tupleIJ11FixedVectorIiLj1EEbEEELb0ELb1EEENS1_16block_id_wrapperIjLb0EEEEEvT_jjPNSB_10value_typeET0_
                                        ; -- End function
	.section	.AMDGPU.csdata,"",@progbits
; Kernel info:
; codeLenInByte = 372
; NumSgprs: 18
; NumVgprs: 10
; NumAgprs: 0
; TotalNumVgprs: 10
; ScratchSize: 0
; MemoryBound: 0
; FloatMode: 240
; IeeeMode: 1
; LDSByteSize: 0 bytes/workgroup (compile time only)
; SGPRBlocks: 2
; VGPRBlocks: 1
; NumSGPRsForWavesPerEU: 18
; NumVGPRsForWavesPerEU: 10
; AccumOffset: 12
; Occupancy: 8
; WaveLimiterHint : 0
; COMPUTE_PGM_RSRC2:SCRATCH_EN: 0
; COMPUTE_PGM_RSRC2:USER_SGPR: 6
; COMPUTE_PGM_RSRC2:TRAP_HANDLER: 0
; COMPUTE_PGM_RSRC2:TGID_X_EN: 1
; COMPUTE_PGM_RSRC2:TGID_Y_EN: 0
; COMPUTE_PGM_RSRC2:TGID_Z_EN: 0
; COMPUTE_PGM_RSRC2:TIDIG_COMP_CNT: 0
; COMPUTE_PGM_RSRC3_GFX90A:ACCUM_OFFSET: 2
; COMPUTE_PGM_RSRC3_GFX90A:TG_SPLIT: 0
	.section	.text._ZN7rocprim17ROCPRIM_400000_NS6detail17trampoline_kernelINS0_14default_configENS1_27scan_by_key_config_selectorIj11FixedVectorIiLj1EEEEZZNS1_16scan_by_key_implILNS1_25lookback_scan_determinismE0ELb0ES3_N6thrust23THRUST_200600_302600_NS6detail15normal_iteratorINSB_10device_ptrIjEEEENSD_INSE_IS6_EEEESI_S6_NSB_4plusIvEENSB_8equal_toIvEES6_EE10hipError_tPvRmT2_T3_T4_T5_mT6_T7_P12ihipStream_tbENKUlT_T0_E_clISt17integral_constantIbLb0EES13_EEDaSY_SZ_EUlSY_E_NS1_11comp_targetILNS1_3genE0ELNS1_11target_archE4294967295ELNS1_3gpuE0ELNS1_3repE0EEENS1_30default_config_static_selectorELNS0_4arch9wavefront6targetE1EEEvT1_,"axG",@progbits,_ZN7rocprim17ROCPRIM_400000_NS6detail17trampoline_kernelINS0_14default_configENS1_27scan_by_key_config_selectorIj11FixedVectorIiLj1EEEEZZNS1_16scan_by_key_implILNS1_25lookback_scan_determinismE0ELb0ES3_N6thrust23THRUST_200600_302600_NS6detail15normal_iteratorINSB_10device_ptrIjEEEENSD_INSE_IS6_EEEESI_S6_NSB_4plusIvEENSB_8equal_toIvEES6_EE10hipError_tPvRmT2_T3_T4_T5_mT6_T7_P12ihipStream_tbENKUlT_T0_E_clISt17integral_constantIbLb0EES13_EEDaSY_SZ_EUlSY_E_NS1_11comp_targetILNS1_3genE0ELNS1_11target_archE4294967295ELNS1_3gpuE0ELNS1_3repE0EEENS1_30default_config_static_selectorELNS0_4arch9wavefront6targetE1EEEvT1_,comdat
	.protected	_ZN7rocprim17ROCPRIM_400000_NS6detail17trampoline_kernelINS0_14default_configENS1_27scan_by_key_config_selectorIj11FixedVectorIiLj1EEEEZZNS1_16scan_by_key_implILNS1_25lookback_scan_determinismE0ELb0ES3_N6thrust23THRUST_200600_302600_NS6detail15normal_iteratorINSB_10device_ptrIjEEEENSD_INSE_IS6_EEEESI_S6_NSB_4plusIvEENSB_8equal_toIvEES6_EE10hipError_tPvRmT2_T3_T4_T5_mT6_T7_P12ihipStream_tbENKUlT_T0_E_clISt17integral_constantIbLb0EES13_EEDaSY_SZ_EUlSY_E_NS1_11comp_targetILNS1_3genE0ELNS1_11target_archE4294967295ELNS1_3gpuE0ELNS1_3repE0EEENS1_30default_config_static_selectorELNS0_4arch9wavefront6targetE1EEEvT1_ ; -- Begin function _ZN7rocprim17ROCPRIM_400000_NS6detail17trampoline_kernelINS0_14default_configENS1_27scan_by_key_config_selectorIj11FixedVectorIiLj1EEEEZZNS1_16scan_by_key_implILNS1_25lookback_scan_determinismE0ELb0ES3_N6thrust23THRUST_200600_302600_NS6detail15normal_iteratorINSB_10device_ptrIjEEEENSD_INSE_IS6_EEEESI_S6_NSB_4plusIvEENSB_8equal_toIvEES6_EE10hipError_tPvRmT2_T3_T4_T5_mT6_T7_P12ihipStream_tbENKUlT_T0_E_clISt17integral_constantIbLb0EES13_EEDaSY_SZ_EUlSY_E_NS1_11comp_targetILNS1_3genE0ELNS1_11target_archE4294967295ELNS1_3gpuE0ELNS1_3repE0EEENS1_30default_config_static_selectorELNS0_4arch9wavefront6targetE1EEEvT1_
	.globl	_ZN7rocprim17ROCPRIM_400000_NS6detail17trampoline_kernelINS0_14default_configENS1_27scan_by_key_config_selectorIj11FixedVectorIiLj1EEEEZZNS1_16scan_by_key_implILNS1_25lookback_scan_determinismE0ELb0ES3_N6thrust23THRUST_200600_302600_NS6detail15normal_iteratorINSB_10device_ptrIjEEEENSD_INSE_IS6_EEEESI_S6_NSB_4plusIvEENSB_8equal_toIvEES6_EE10hipError_tPvRmT2_T3_T4_T5_mT6_T7_P12ihipStream_tbENKUlT_T0_E_clISt17integral_constantIbLb0EES13_EEDaSY_SZ_EUlSY_E_NS1_11comp_targetILNS1_3genE0ELNS1_11target_archE4294967295ELNS1_3gpuE0ELNS1_3repE0EEENS1_30default_config_static_selectorELNS0_4arch9wavefront6targetE1EEEvT1_
	.p2align	8
	.type	_ZN7rocprim17ROCPRIM_400000_NS6detail17trampoline_kernelINS0_14default_configENS1_27scan_by_key_config_selectorIj11FixedVectorIiLj1EEEEZZNS1_16scan_by_key_implILNS1_25lookback_scan_determinismE0ELb0ES3_N6thrust23THRUST_200600_302600_NS6detail15normal_iteratorINSB_10device_ptrIjEEEENSD_INSE_IS6_EEEESI_S6_NSB_4plusIvEENSB_8equal_toIvEES6_EE10hipError_tPvRmT2_T3_T4_T5_mT6_T7_P12ihipStream_tbENKUlT_T0_E_clISt17integral_constantIbLb0EES13_EEDaSY_SZ_EUlSY_E_NS1_11comp_targetILNS1_3genE0ELNS1_11target_archE4294967295ELNS1_3gpuE0ELNS1_3repE0EEENS1_30default_config_static_selectorELNS0_4arch9wavefront6targetE1EEEvT1_,@function
_ZN7rocprim17ROCPRIM_400000_NS6detail17trampoline_kernelINS0_14default_configENS1_27scan_by_key_config_selectorIj11FixedVectorIiLj1EEEEZZNS1_16scan_by_key_implILNS1_25lookback_scan_determinismE0ELb0ES3_N6thrust23THRUST_200600_302600_NS6detail15normal_iteratorINSB_10device_ptrIjEEEENSD_INSE_IS6_EEEESI_S6_NSB_4plusIvEENSB_8equal_toIvEES6_EE10hipError_tPvRmT2_T3_T4_T5_mT6_T7_P12ihipStream_tbENKUlT_T0_E_clISt17integral_constantIbLb0EES13_EEDaSY_SZ_EUlSY_E_NS1_11comp_targetILNS1_3genE0ELNS1_11target_archE4294967295ELNS1_3gpuE0ELNS1_3repE0EEENS1_30default_config_static_selectorELNS0_4arch9wavefront6targetE1EEEvT1_: ; @_ZN7rocprim17ROCPRIM_400000_NS6detail17trampoline_kernelINS0_14default_configENS1_27scan_by_key_config_selectorIj11FixedVectorIiLj1EEEEZZNS1_16scan_by_key_implILNS1_25lookback_scan_determinismE0ELb0ES3_N6thrust23THRUST_200600_302600_NS6detail15normal_iteratorINSB_10device_ptrIjEEEENSD_INSE_IS6_EEEESI_S6_NSB_4plusIvEENSB_8equal_toIvEES6_EE10hipError_tPvRmT2_T3_T4_T5_mT6_T7_P12ihipStream_tbENKUlT_T0_E_clISt17integral_constantIbLb0EES13_EEDaSY_SZ_EUlSY_E_NS1_11comp_targetILNS1_3genE0ELNS1_11target_archE4294967295ELNS1_3gpuE0ELNS1_3repE0EEENS1_30default_config_static_selectorELNS0_4arch9wavefront6targetE1EEEvT1_
; %bb.0:
	.section	.rodata,"a",@progbits
	.p2align	6, 0x0
	.amdhsa_kernel _ZN7rocprim17ROCPRIM_400000_NS6detail17trampoline_kernelINS0_14default_configENS1_27scan_by_key_config_selectorIj11FixedVectorIiLj1EEEEZZNS1_16scan_by_key_implILNS1_25lookback_scan_determinismE0ELb0ES3_N6thrust23THRUST_200600_302600_NS6detail15normal_iteratorINSB_10device_ptrIjEEEENSD_INSE_IS6_EEEESI_S6_NSB_4plusIvEENSB_8equal_toIvEES6_EE10hipError_tPvRmT2_T3_T4_T5_mT6_T7_P12ihipStream_tbENKUlT_T0_E_clISt17integral_constantIbLb0EES13_EEDaSY_SZ_EUlSY_E_NS1_11comp_targetILNS1_3genE0ELNS1_11target_archE4294967295ELNS1_3gpuE0ELNS1_3repE0EEENS1_30default_config_static_selectorELNS0_4arch9wavefront6targetE1EEEvT1_
		.amdhsa_group_segment_fixed_size 0
		.amdhsa_private_segment_fixed_size 0
		.amdhsa_kernarg_size 112
		.amdhsa_user_sgpr_count 6
		.amdhsa_user_sgpr_private_segment_buffer 1
		.amdhsa_user_sgpr_dispatch_ptr 0
		.amdhsa_user_sgpr_queue_ptr 0
		.amdhsa_user_sgpr_kernarg_segment_ptr 1
		.amdhsa_user_sgpr_dispatch_id 0
		.amdhsa_user_sgpr_flat_scratch_init 0
		.amdhsa_user_sgpr_kernarg_preload_length 0
		.amdhsa_user_sgpr_kernarg_preload_offset 0
		.amdhsa_user_sgpr_private_segment_size 0
		.amdhsa_uses_dynamic_stack 0
		.amdhsa_system_sgpr_private_segment_wavefront_offset 0
		.amdhsa_system_sgpr_workgroup_id_x 1
		.amdhsa_system_sgpr_workgroup_id_y 0
		.amdhsa_system_sgpr_workgroup_id_z 0
		.amdhsa_system_sgpr_workgroup_info 0
		.amdhsa_system_vgpr_workitem_id 0
		.amdhsa_next_free_vgpr 1
		.amdhsa_next_free_sgpr 0
		.amdhsa_accum_offset 4
		.amdhsa_reserve_vcc 0
		.amdhsa_reserve_flat_scratch 0
		.amdhsa_float_round_mode_32 0
		.amdhsa_float_round_mode_16_64 0
		.amdhsa_float_denorm_mode_32 3
		.amdhsa_float_denorm_mode_16_64 3
		.amdhsa_dx10_clamp 1
		.amdhsa_ieee_mode 1
		.amdhsa_fp16_overflow 0
		.amdhsa_tg_split 0
		.amdhsa_exception_fp_ieee_invalid_op 0
		.amdhsa_exception_fp_denorm_src 0
		.amdhsa_exception_fp_ieee_div_zero 0
		.amdhsa_exception_fp_ieee_overflow 0
		.amdhsa_exception_fp_ieee_underflow 0
		.amdhsa_exception_fp_ieee_inexact 0
		.amdhsa_exception_int_div_zero 0
	.end_amdhsa_kernel
	.section	.text._ZN7rocprim17ROCPRIM_400000_NS6detail17trampoline_kernelINS0_14default_configENS1_27scan_by_key_config_selectorIj11FixedVectorIiLj1EEEEZZNS1_16scan_by_key_implILNS1_25lookback_scan_determinismE0ELb0ES3_N6thrust23THRUST_200600_302600_NS6detail15normal_iteratorINSB_10device_ptrIjEEEENSD_INSE_IS6_EEEESI_S6_NSB_4plusIvEENSB_8equal_toIvEES6_EE10hipError_tPvRmT2_T3_T4_T5_mT6_T7_P12ihipStream_tbENKUlT_T0_E_clISt17integral_constantIbLb0EES13_EEDaSY_SZ_EUlSY_E_NS1_11comp_targetILNS1_3genE0ELNS1_11target_archE4294967295ELNS1_3gpuE0ELNS1_3repE0EEENS1_30default_config_static_selectorELNS0_4arch9wavefront6targetE1EEEvT1_,"axG",@progbits,_ZN7rocprim17ROCPRIM_400000_NS6detail17trampoline_kernelINS0_14default_configENS1_27scan_by_key_config_selectorIj11FixedVectorIiLj1EEEEZZNS1_16scan_by_key_implILNS1_25lookback_scan_determinismE0ELb0ES3_N6thrust23THRUST_200600_302600_NS6detail15normal_iteratorINSB_10device_ptrIjEEEENSD_INSE_IS6_EEEESI_S6_NSB_4plusIvEENSB_8equal_toIvEES6_EE10hipError_tPvRmT2_T3_T4_T5_mT6_T7_P12ihipStream_tbENKUlT_T0_E_clISt17integral_constantIbLb0EES13_EEDaSY_SZ_EUlSY_E_NS1_11comp_targetILNS1_3genE0ELNS1_11target_archE4294967295ELNS1_3gpuE0ELNS1_3repE0EEENS1_30default_config_static_selectorELNS0_4arch9wavefront6targetE1EEEvT1_,comdat
.Lfunc_end1869:
	.size	_ZN7rocprim17ROCPRIM_400000_NS6detail17trampoline_kernelINS0_14default_configENS1_27scan_by_key_config_selectorIj11FixedVectorIiLj1EEEEZZNS1_16scan_by_key_implILNS1_25lookback_scan_determinismE0ELb0ES3_N6thrust23THRUST_200600_302600_NS6detail15normal_iteratorINSB_10device_ptrIjEEEENSD_INSE_IS6_EEEESI_S6_NSB_4plusIvEENSB_8equal_toIvEES6_EE10hipError_tPvRmT2_T3_T4_T5_mT6_T7_P12ihipStream_tbENKUlT_T0_E_clISt17integral_constantIbLb0EES13_EEDaSY_SZ_EUlSY_E_NS1_11comp_targetILNS1_3genE0ELNS1_11target_archE4294967295ELNS1_3gpuE0ELNS1_3repE0EEENS1_30default_config_static_selectorELNS0_4arch9wavefront6targetE1EEEvT1_, .Lfunc_end1869-_ZN7rocprim17ROCPRIM_400000_NS6detail17trampoline_kernelINS0_14default_configENS1_27scan_by_key_config_selectorIj11FixedVectorIiLj1EEEEZZNS1_16scan_by_key_implILNS1_25lookback_scan_determinismE0ELb0ES3_N6thrust23THRUST_200600_302600_NS6detail15normal_iteratorINSB_10device_ptrIjEEEENSD_INSE_IS6_EEEESI_S6_NSB_4plusIvEENSB_8equal_toIvEES6_EE10hipError_tPvRmT2_T3_T4_T5_mT6_T7_P12ihipStream_tbENKUlT_T0_E_clISt17integral_constantIbLb0EES13_EEDaSY_SZ_EUlSY_E_NS1_11comp_targetILNS1_3genE0ELNS1_11target_archE4294967295ELNS1_3gpuE0ELNS1_3repE0EEENS1_30default_config_static_selectorELNS0_4arch9wavefront6targetE1EEEvT1_
                                        ; -- End function
	.section	.AMDGPU.csdata,"",@progbits
; Kernel info:
; codeLenInByte = 0
; NumSgprs: 4
; NumVgprs: 0
; NumAgprs: 0
; TotalNumVgprs: 0
; ScratchSize: 0
; MemoryBound: 0
; FloatMode: 240
; IeeeMode: 1
; LDSByteSize: 0 bytes/workgroup (compile time only)
; SGPRBlocks: 0
; VGPRBlocks: 0
; NumSGPRsForWavesPerEU: 4
; NumVGPRsForWavesPerEU: 1
; AccumOffset: 4
; Occupancy: 8
; WaveLimiterHint : 0
; COMPUTE_PGM_RSRC2:SCRATCH_EN: 0
; COMPUTE_PGM_RSRC2:USER_SGPR: 6
; COMPUTE_PGM_RSRC2:TRAP_HANDLER: 0
; COMPUTE_PGM_RSRC2:TGID_X_EN: 1
; COMPUTE_PGM_RSRC2:TGID_Y_EN: 0
; COMPUTE_PGM_RSRC2:TGID_Z_EN: 0
; COMPUTE_PGM_RSRC2:TIDIG_COMP_CNT: 0
; COMPUTE_PGM_RSRC3_GFX90A:ACCUM_OFFSET: 0
; COMPUTE_PGM_RSRC3_GFX90A:TG_SPLIT: 0
	.section	.text._ZN7rocprim17ROCPRIM_400000_NS6detail17trampoline_kernelINS0_14default_configENS1_27scan_by_key_config_selectorIj11FixedVectorIiLj1EEEEZZNS1_16scan_by_key_implILNS1_25lookback_scan_determinismE0ELb0ES3_N6thrust23THRUST_200600_302600_NS6detail15normal_iteratorINSB_10device_ptrIjEEEENSD_INSE_IS6_EEEESI_S6_NSB_4plusIvEENSB_8equal_toIvEES6_EE10hipError_tPvRmT2_T3_T4_T5_mT6_T7_P12ihipStream_tbENKUlT_T0_E_clISt17integral_constantIbLb0EES13_EEDaSY_SZ_EUlSY_E_NS1_11comp_targetILNS1_3genE10ELNS1_11target_archE1201ELNS1_3gpuE5ELNS1_3repE0EEENS1_30default_config_static_selectorELNS0_4arch9wavefront6targetE1EEEvT1_,"axG",@progbits,_ZN7rocprim17ROCPRIM_400000_NS6detail17trampoline_kernelINS0_14default_configENS1_27scan_by_key_config_selectorIj11FixedVectorIiLj1EEEEZZNS1_16scan_by_key_implILNS1_25lookback_scan_determinismE0ELb0ES3_N6thrust23THRUST_200600_302600_NS6detail15normal_iteratorINSB_10device_ptrIjEEEENSD_INSE_IS6_EEEESI_S6_NSB_4plusIvEENSB_8equal_toIvEES6_EE10hipError_tPvRmT2_T3_T4_T5_mT6_T7_P12ihipStream_tbENKUlT_T0_E_clISt17integral_constantIbLb0EES13_EEDaSY_SZ_EUlSY_E_NS1_11comp_targetILNS1_3genE10ELNS1_11target_archE1201ELNS1_3gpuE5ELNS1_3repE0EEENS1_30default_config_static_selectorELNS0_4arch9wavefront6targetE1EEEvT1_,comdat
	.protected	_ZN7rocprim17ROCPRIM_400000_NS6detail17trampoline_kernelINS0_14default_configENS1_27scan_by_key_config_selectorIj11FixedVectorIiLj1EEEEZZNS1_16scan_by_key_implILNS1_25lookback_scan_determinismE0ELb0ES3_N6thrust23THRUST_200600_302600_NS6detail15normal_iteratorINSB_10device_ptrIjEEEENSD_INSE_IS6_EEEESI_S6_NSB_4plusIvEENSB_8equal_toIvEES6_EE10hipError_tPvRmT2_T3_T4_T5_mT6_T7_P12ihipStream_tbENKUlT_T0_E_clISt17integral_constantIbLb0EES13_EEDaSY_SZ_EUlSY_E_NS1_11comp_targetILNS1_3genE10ELNS1_11target_archE1201ELNS1_3gpuE5ELNS1_3repE0EEENS1_30default_config_static_selectorELNS0_4arch9wavefront6targetE1EEEvT1_ ; -- Begin function _ZN7rocprim17ROCPRIM_400000_NS6detail17trampoline_kernelINS0_14default_configENS1_27scan_by_key_config_selectorIj11FixedVectorIiLj1EEEEZZNS1_16scan_by_key_implILNS1_25lookback_scan_determinismE0ELb0ES3_N6thrust23THRUST_200600_302600_NS6detail15normal_iteratorINSB_10device_ptrIjEEEENSD_INSE_IS6_EEEESI_S6_NSB_4plusIvEENSB_8equal_toIvEES6_EE10hipError_tPvRmT2_T3_T4_T5_mT6_T7_P12ihipStream_tbENKUlT_T0_E_clISt17integral_constantIbLb0EES13_EEDaSY_SZ_EUlSY_E_NS1_11comp_targetILNS1_3genE10ELNS1_11target_archE1201ELNS1_3gpuE5ELNS1_3repE0EEENS1_30default_config_static_selectorELNS0_4arch9wavefront6targetE1EEEvT1_
	.globl	_ZN7rocprim17ROCPRIM_400000_NS6detail17trampoline_kernelINS0_14default_configENS1_27scan_by_key_config_selectorIj11FixedVectorIiLj1EEEEZZNS1_16scan_by_key_implILNS1_25lookback_scan_determinismE0ELb0ES3_N6thrust23THRUST_200600_302600_NS6detail15normal_iteratorINSB_10device_ptrIjEEEENSD_INSE_IS6_EEEESI_S6_NSB_4plusIvEENSB_8equal_toIvEES6_EE10hipError_tPvRmT2_T3_T4_T5_mT6_T7_P12ihipStream_tbENKUlT_T0_E_clISt17integral_constantIbLb0EES13_EEDaSY_SZ_EUlSY_E_NS1_11comp_targetILNS1_3genE10ELNS1_11target_archE1201ELNS1_3gpuE5ELNS1_3repE0EEENS1_30default_config_static_selectorELNS0_4arch9wavefront6targetE1EEEvT1_
	.p2align	8
	.type	_ZN7rocprim17ROCPRIM_400000_NS6detail17trampoline_kernelINS0_14default_configENS1_27scan_by_key_config_selectorIj11FixedVectorIiLj1EEEEZZNS1_16scan_by_key_implILNS1_25lookback_scan_determinismE0ELb0ES3_N6thrust23THRUST_200600_302600_NS6detail15normal_iteratorINSB_10device_ptrIjEEEENSD_INSE_IS6_EEEESI_S6_NSB_4plusIvEENSB_8equal_toIvEES6_EE10hipError_tPvRmT2_T3_T4_T5_mT6_T7_P12ihipStream_tbENKUlT_T0_E_clISt17integral_constantIbLb0EES13_EEDaSY_SZ_EUlSY_E_NS1_11comp_targetILNS1_3genE10ELNS1_11target_archE1201ELNS1_3gpuE5ELNS1_3repE0EEENS1_30default_config_static_selectorELNS0_4arch9wavefront6targetE1EEEvT1_,@function
_ZN7rocprim17ROCPRIM_400000_NS6detail17trampoline_kernelINS0_14default_configENS1_27scan_by_key_config_selectorIj11FixedVectorIiLj1EEEEZZNS1_16scan_by_key_implILNS1_25lookback_scan_determinismE0ELb0ES3_N6thrust23THRUST_200600_302600_NS6detail15normal_iteratorINSB_10device_ptrIjEEEENSD_INSE_IS6_EEEESI_S6_NSB_4plusIvEENSB_8equal_toIvEES6_EE10hipError_tPvRmT2_T3_T4_T5_mT6_T7_P12ihipStream_tbENKUlT_T0_E_clISt17integral_constantIbLb0EES13_EEDaSY_SZ_EUlSY_E_NS1_11comp_targetILNS1_3genE10ELNS1_11target_archE1201ELNS1_3gpuE5ELNS1_3repE0EEENS1_30default_config_static_selectorELNS0_4arch9wavefront6targetE1EEEvT1_: ; @_ZN7rocprim17ROCPRIM_400000_NS6detail17trampoline_kernelINS0_14default_configENS1_27scan_by_key_config_selectorIj11FixedVectorIiLj1EEEEZZNS1_16scan_by_key_implILNS1_25lookback_scan_determinismE0ELb0ES3_N6thrust23THRUST_200600_302600_NS6detail15normal_iteratorINSB_10device_ptrIjEEEENSD_INSE_IS6_EEEESI_S6_NSB_4plusIvEENSB_8equal_toIvEES6_EE10hipError_tPvRmT2_T3_T4_T5_mT6_T7_P12ihipStream_tbENKUlT_T0_E_clISt17integral_constantIbLb0EES13_EEDaSY_SZ_EUlSY_E_NS1_11comp_targetILNS1_3genE10ELNS1_11target_archE1201ELNS1_3gpuE5ELNS1_3repE0EEENS1_30default_config_static_selectorELNS0_4arch9wavefront6targetE1EEEvT1_
; %bb.0:
	.section	.rodata,"a",@progbits
	.p2align	6, 0x0
	.amdhsa_kernel _ZN7rocprim17ROCPRIM_400000_NS6detail17trampoline_kernelINS0_14default_configENS1_27scan_by_key_config_selectorIj11FixedVectorIiLj1EEEEZZNS1_16scan_by_key_implILNS1_25lookback_scan_determinismE0ELb0ES3_N6thrust23THRUST_200600_302600_NS6detail15normal_iteratorINSB_10device_ptrIjEEEENSD_INSE_IS6_EEEESI_S6_NSB_4plusIvEENSB_8equal_toIvEES6_EE10hipError_tPvRmT2_T3_T4_T5_mT6_T7_P12ihipStream_tbENKUlT_T0_E_clISt17integral_constantIbLb0EES13_EEDaSY_SZ_EUlSY_E_NS1_11comp_targetILNS1_3genE10ELNS1_11target_archE1201ELNS1_3gpuE5ELNS1_3repE0EEENS1_30default_config_static_selectorELNS0_4arch9wavefront6targetE1EEEvT1_
		.amdhsa_group_segment_fixed_size 0
		.amdhsa_private_segment_fixed_size 0
		.amdhsa_kernarg_size 112
		.amdhsa_user_sgpr_count 6
		.amdhsa_user_sgpr_private_segment_buffer 1
		.amdhsa_user_sgpr_dispatch_ptr 0
		.amdhsa_user_sgpr_queue_ptr 0
		.amdhsa_user_sgpr_kernarg_segment_ptr 1
		.amdhsa_user_sgpr_dispatch_id 0
		.amdhsa_user_sgpr_flat_scratch_init 0
		.amdhsa_user_sgpr_kernarg_preload_length 0
		.amdhsa_user_sgpr_kernarg_preload_offset 0
		.amdhsa_user_sgpr_private_segment_size 0
		.amdhsa_uses_dynamic_stack 0
		.amdhsa_system_sgpr_private_segment_wavefront_offset 0
		.amdhsa_system_sgpr_workgroup_id_x 1
		.amdhsa_system_sgpr_workgroup_id_y 0
		.amdhsa_system_sgpr_workgroup_id_z 0
		.amdhsa_system_sgpr_workgroup_info 0
		.amdhsa_system_vgpr_workitem_id 0
		.amdhsa_next_free_vgpr 1
		.amdhsa_next_free_sgpr 0
		.amdhsa_accum_offset 4
		.amdhsa_reserve_vcc 0
		.amdhsa_reserve_flat_scratch 0
		.amdhsa_float_round_mode_32 0
		.amdhsa_float_round_mode_16_64 0
		.amdhsa_float_denorm_mode_32 3
		.amdhsa_float_denorm_mode_16_64 3
		.amdhsa_dx10_clamp 1
		.amdhsa_ieee_mode 1
		.amdhsa_fp16_overflow 0
		.amdhsa_tg_split 0
		.amdhsa_exception_fp_ieee_invalid_op 0
		.amdhsa_exception_fp_denorm_src 0
		.amdhsa_exception_fp_ieee_div_zero 0
		.amdhsa_exception_fp_ieee_overflow 0
		.amdhsa_exception_fp_ieee_underflow 0
		.amdhsa_exception_fp_ieee_inexact 0
		.amdhsa_exception_int_div_zero 0
	.end_amdhsa_kernel
	.section	.text._ZN7rocprim17ROCPRIM_400000_NS6detail17trampoline_kernelINS0_14default_configENS1_27scan_by_key_config_selectorIj11FixedVectorIiLj1EEEEZZNS1_16scan_by_key_implILNS1_25lookback_scan_determinismE0ELb0ES3_N6thrust23THRUST_200600_302600_NS6detail15normal_iteratorINSB_10device_ptrIjEEEENSD_INSE_IS6_EEEESI_S6_NSB_4plusIvEENSB_8equal_toIvEES6_EE10hipError_tPvRmT2_T3_T4_T5_mT6_T7_P12ihipStream_tbENKUlT_T0_E_clISt17integral_constantIbLb0EES13_EEDaSY_SZ_EUlSY_E_NS1_11comp_targetILNS1_3genE10ELNS1_11target_archE1201ELNS1_3gpuE5ELNS1_3repE0EEENS1_30default_config_static_selectorELNS0_4arch9wavefront6targetE1EEEvT1_,"axG",@progbits,_ZN7rocprim17ROCPRIM_400000_NS6detail17trampoline_kernelINS0_14default_configENS1_27scan_by_key_config_selectorIj11FixedVectorIiLj1EEEEZZNS1_16scan_by_key_implILNS1_25lookback_scan_determinismE0ELb0ES3_N6thrust23THRUST_200600_302600_NS6detail15normal_iteratorINSB_10device_ptrIjEEEENSD_INSE_IS6_EEEESI_S6_NSB_4plusIvEENSB_8equal_toIvEES6_EE10hipError_tPvRmT2_T3_T4_T5_mT6_T7_P12ihipStream_tbENKUlT_T0_E_clISt17integral_constantIbLb0EES13_EEDaSY_SZ_EUlSY_E_NS1_11comp_targetILNS1_3genE10ELNS1_11target_archE1201ELNS1_3gpuE5ELNS1_3repE0EEENS1_30default_config_static_selectorELNS0_4arch9wavefront6targetE1EEEvT1_,comdat
.Lfunc_end1870:
	.size	_ZN7rocprim17ROCPRIM_400000_NS6detail17trampoline_kernelINS0_14default_configENS1_27scan_by_key_config_selectorIj11FixedVectorIiLj1EEEEZZNS1_16scan_by_key_implILNS1_25lookback_scan_determinismE0ELb0ES3_N6thrust23THRUST_200600_302600_NS6detail15normal_iteratorINSB_10device_ptrIjEEEENSD_INSE_IS6_EEEESI_S6_NSB_4plusIvEENSB_8equal_toIvEES6_EE10hipError_tPvRmT2_T3_T4_T5_mT6_T7_P12ihipStream_tbENKUlT_T0_E_clISt17integral_constantIbLb0EES13_EEDaSY_SZ_EUlSY_E_NS1_11comp_targetILNS1_3genE10ELNS1_11target_archE1201ELNS1_3gpuE5ELNS1_3repE0EEENS1_30default_config_static_selectorELNS0_4arch9wavefront6targetE1EEEvT1_, .Lfunc_end1870-_ZN7rocprim17ROCPRIM_400000_NS6detail17trampoline_kernelINS0_14default_configENS1_27scan_by_key_config_selectorIj11FixedVectorIiLj1EEEEZZNS1_16scan_by_key_implILNS1_25lookback_scan_determinismE0ELb0ES3_N6thrust23THRUST_200600_302600_NS6detail15normal_iteratorINSB_10device_ptrIjEEEENSD_INSE_IS6_EEEESI_S6_NSB_4plusIvEENSB_8equal_toIvEES6_EE10hipError_tPvRmT2_T3_T4_T5_mT6_T7_P12ihipStream_tbENKUlT_T0_E_clISt17integral_constantIbLb0EES13_EEDaSY_SZ_EUlSY_E_NS1_11comp_targetILNS1_3genE10ELNS1_11target_archE1201ELNS1_3gpuE5ELNS1_3repE0EEENS1_30default_config_static_selectorELNS0_4arch9wavefront6targetE1EEEvT1_
                                        ; -- End function
	.section	.AMDGPU.csdata,"",@progbits
; Kernel info:
; codeLenInByte = 0
; NumSgprs: 4
; NumVgprs: 0
; NumAgprs: 0
; TotalNumVgprs: 0
; ScratchSize: 0
; MemoryBound: 0
; FloatMode: 240
; IeeeMode: 1
; LDSByteSize: 0 bytes/workgroup (compile time only)
; SGPRBlocks: 0
; VGPRBlocks: 0
; NumSGPRsForWavesPerEU: 4
; NumVGPRsForWavesPerEU: 1
; AccumOffset: 4
; Occupancy: 8
; WaveLimiterHint : 0
; COMPUTE_PGM_RSRC2:SCRATCH_EN: 0
; COMPUTE_PGM_RSRC2:USER_SGPR: 6
; COMPUTE_PGM_RSRC2:TRAP_HANDLER: 0
; COMPUTE_PGM_RSRC2:TGID_X_EN: 1
; COMPUTE_PGM_RSRC2:TGID_Y_EN: 0
; COMPUTE_PGM_RSRC2:TGID_Z_EN: 0
; COMPUTE_PGM_RSRC2:TIDIG_COMP_CNT: 0
; COMPUTE_PGM_RSRC3_GFX90A:ACCUM_OFFSET: 0
; COMPUTE_PGM_RSRC3_GFX90A:TG_SPLIT: 0
	.section	.text._ZN7rocprim17ROCPRIM_400000_NS6detail17trampoline_kernelINS0_14default_configENS1_27scan_by_key_config_selectorIj11FixedVectorIiLj1EEEEZZNS1_16scan_by_key_implILNS1_25lookback_scan_determinismE0ELb0ES3_N6thrust23THRUST_200600_302600_NS6detail15normal_iteratorINSB_10device_ptrIjEEEENSD_INSE_IS6_EEEESI_S6_NSB_4plusIvEENSB_8equal_toIvEES6_EE10hipError_tPvRmT2_T3_T4_T5_mT6_T7_P12ihipStream_tbENKUlT_T0_E_clISt17integral_constantIbLb0EES13_EEDaSY_SZ_EUlSY_E_NS1_11comp_targetILNS1_3genE5ELNS1_11target_archE942ELNS1_3gpuE9ELNS1_3repE0EEENS1_30default_config_static_selectorELNS0_4arch9wavefront6targetE1EEEvT1_,"axG",@progbits,_ZN7rocprim17ROCPRIM_400000_NS6detail17trampoline_kernelINS0_14default_configENS1_27scan_by_key_config_selectorIj11FixedVectorIiLj1EEEEZZNS1_16scan_by_key_implILNS1_25lookback_scan_determinismE0ELb0ES3_N6thrust23THRUST_200600_302600_NS6detail15normal_iteratorINSB_10device_ptrIjEEEENSD_INSE_IS6_EEEESI_S6_NSB_4plusIvEENSB_8equal_toIvEES6_EE10hipError_tPvRmT2_T3_T4_T5_mT6_T7_P12ihipStream_tbENKUlT_T0_E_clISt17integral_constantIbLb0EES13_EEDaSY_SZ_EUlSY_E_NS1_11comp_targetILNS1_3genE5ELNS1_11target_archE942ELNS1_3gpuE9ELNS1_3repE0EEENS1_30default_config_static_selectorELNS0_4arch9wavefront6targetE1EEEvT1_,comdat
	.protected	_ZN7rocprim17ROCPRIM_400000_NS6detail17trampoline_kernelINS0_14default_configENS1_27scan_by_key_config_selectorIj11FixedVectorIiLj1EEEEZZNS1_16scan_by_key_implILNS1_25lookback_scan_determinismE0ELb0ES3_N6thrust23THRUST_200600_302600_NS6detail15normal_iteratorINSB_10device_ptrIjEEEENSD_INSE_IS6_EEEESI_S6_NSB_4plusIvEENSB_8equal_toIvEES6_EE10hipError_tPvRmT2_T3_T4_T5_mT6_T7_P12ihipStream_tbENKUlT_T0_E_clISt17integral_constantIbLb0EES13_EEDaSY_SZ_EUlSY_E_NS1_11comp_targetILNS1_3genE5ELNS1_11target_archE942ELNS1_3gpuE9ELNS1_3repE0EEENS1_30default_config_static_selectorELNS0_4arch9wavefront6targetE1EEEvT1_ ; -- Begin function _ZN7rocprim17ROCPRIM_400000_NS6detail17trampoline_kernelINS0_14default_configENS1_27scan_by_key_config_selectorIj11FixedVectorIiLj1EEEEZZNS1_16scan_by_key_implILNS1_25lookback_scan_determinismE0ELb0ES3_N6thrust23THRUST_200600_302600_NS6detail15normal_iteratorINSB_10device_ptrIjEEEENSD_INSE_IS6_EEEESI_S6_NSB_4plusIvEENSB_8equal_toIvEES6_EE10hipError_tPvRmT2_T3_T4_T5_mT6_T7_P12ihipStream_tbENKUlT_T0_E_clISt17integral_constantIbLb0EES13_EEDaSY_SZ_EUlSY_E_NS1_11comp_targetILNS1_3genE5ELNS1_11target_archE942ELNS1_3gpuE9ELNS1_3repE0EEENS1_30default_config_static_selectorELNS0_4arch9wavefront6targetE1EEEvT1_
	.globl	_ZN7rocprim17ROCPRIM_400000_NS6detail17trampoline_kernelINS0_14default_configENS1_27scan_by_key_config_selectorIj11FixedVectorIiLj1EEEEZZNS1_16scan_by_key_implILNS1_25lookback_scan_determinismE0ELb0ES3_N6thrust23THRUST_200600_302600_NS6detail15normal_iteratorINSB_10device_ptrIjEEEENSD_INSE_IS6_EEEESI_S6_NSB_4plusIvEENSB_8equal_toIvEES6_EE10hipError_tPvRmT2_T3_T4_T5_mT6_T7_P12ihipStream_tbENKUlT_T0_E_clISt17integral_constantIbLb0EES13_EEDaSY_SZ_EUlSY_E_NS1_11comp_targetILNS1_3genE5ELNS1_11target_archE942ELNS1_3gpuE9ELNS1_3repE0EEENS1_30default_config_static_selectorELNS0_4arch9wavefront6targetE1EEEvT1_
	.p2align	8
	.type	_ZN7rocprim17ROCPRIM_400000_NS6detail17trampoline_kernelINS0_14default_configENS1_27scan_by_key_config_selectorIj11FixedVectorIiLj1EEEEZZNS1_16scan_by_key_implILNS1_25lookback_scan_determinismE0ELb0ES3_N6thrust23THRUST_200600_302600_NS6detail15normal_iteratorINSB_10device_ptrIjEEEENSD_INSE_IS6_EEEESI_S6_NSB_4plusIvEENSB_8equal_toIvEES6_EE10hipError_tPvRmT2_T3_T4_T5_mT6_T7_P12ihipStream_tbENKUlT_T0_E_clISt17integral_constantIbLb0EES13_EEDaSY_SZ_EUlSY_E_NS1_11comp_targetILNS1_3genE5ELNS1_11target_archE942ELNS1_3gpuE9ELNS1_3repE0EEENS1_30default_config_static_selectorELNS0_4arch9wavefront6targetE1EEEvT1_,@function
_ZN7rocprim17ROCPRIM_400000_NS6detail17trampoline_kernelINS0_14default_configENS1_27scan_by_key_config_selectorIj11FixedVectorIiLj1EEEEZZNS1_16scan_by_key_implILNS1_25lookback_scan_determinismE0ELb0ES3_N6thrust23THRUST_200600_302600_NS6detail15normal_iteratorINSB_10device_ptrIjEEEENSD_INSE_IS6_EEEESI_S6_NSB_4plusIvEENSB_8equal_toIvEES6_EE10hipError_tPvRmT2_T3_T4_T5_mT6_T7_P12ihipStream_tbENKUlT_T0_E_clISt17integral_constantIbLb0EES13_EEDaSY_SZ_EUlSY_E_NS1_11comp_targetILNS1_3genE5ELNS1_11target_archE942ELNS1_3gpuE9ELNS1_3repE0EEENS1_30default_config_static_selectorELNS0_4arch9wavefront6targetE1EEEvT1_: ; @_ZN7rocprim17ROCPRIM_400000_NS6detail17trampoline_kernelINS0_14default_configENS1_27scan_by_key_config_selectorIj11FixedVectorIiLj1EEEEZZNS1_16scan_by_key_implILNS1_25lookback_scan_determinismE0ELb0ES3_N6thrust23THRUST_200600_302600_NS6detail15normal_iteratorINSB_10device_ptrIjEEEENSD_INSE_IS6_EEEESI_S6_NSB_4plusIvEENSB_8equal_toIvEES6_EE10hipError_tPvRmT2_T3_T4_T5_mT6_T7_P12ihipStream_tbENKUlT_T0_E_clISt17integral_constantIbLb0EES13_EEDaSY_SZ_EUlSY_E_NS1_11comp_targetILNS1_3genE5ELNS1_11target_archE942ELNS1_3gpuE9ELNS1_3repE0EEENS1_30default_config_static_selectorELNS0_4arch9wavefront6targetE1EEEvT1_
; %bb.0:
	.section	.rodata,"a",@progbits
	.p2align	6, 0x0
	.amdhsa_kernel _ZN7rocprim17ROCPRIM_400000_NS6detail17trampoline_kernelINS0_14default_configENS1_27scan_by_key_config_selectorIj11FixedVectorIiLj1EEEEZZNS1_16scan_by_key_implILNS1_25lookback_scan_determinismE0ELb0ES3_N6thrust23THRUST_200600_302600_NS6detail15normal_iteratorINSB_10device_ptrIjEEEENSD_INSE_IS6_EEEESI_S6_NSB_4plusIvEENSB_8equal_toIvEES6_EE10hipError_tPvRmT2_T3_T4_T5_mT6_T7_P12ihipStream_tbENKUlT_T0_E_clISt17integral_constantIbLb0EES13_EEDaSY_SZ_EUlSY_E_NS1_11comp_targetILNS1_3genE5ELNS1_11target_archE942ELNS1_3gpuE9ELNS1_3repE0EEENS1_30default_config_static_selectorELNS0_4arch9wavefront6targetE1EEEvT1_
		.amdhsa_group_segment_fixed_size 0
		.amdhsa_private_segment_fixed_size 0
		.amdhsa_kernarg_size 112
		.amdhsa_user_sgpr_count 6
		.amdhsa_user_sgpr_private_segment_buffer 1
		.amdhsa_user_sgpr_dispatch_ptr 0
		.amdhsa_user_sgpr_queue_ptr 0
		.amdhsa_user_sgpr_kernarg_segment_ptr 1
		.amdhsa_user_sgpr_dispatch_id 0
		.amdhsa_user_sgpr_flat_scratch_init 0
		.amdhsa_user_sgpr_kernarg_preload_length 0
		.amdhsa_user_sgpr_kernarg_preload_offset 0
		.amdhsa_user_sgpr_private_segment_size 0
		.amdhsa_uses_dynamic_stack 0
		.amdhsa_system_sgpr_private_segment_wavefront_offset 0
		.amdhsa_system_sgpr_workgroup_id_x 1
		.amdhsa_system_sgpr_workgroup_id_y 0
		.amdhsa_system_sgpr_workgroup_id_z 0
		.amdhsa_system_sgpr_workgroup_info 0
		.amdhsa_system_vgpr_workitem_id 0
		.amdhsa_next_free_vgpr 1
		.amdhsa_next_free_sgpr 0
		.amdhsa_accum_offset 4
		.amdhsa_reserve_vcc 0
		.amdhsa_reserve_flat_scratch 0
		.amdhsa_float_round_mode_32 0
		.amdhsa_float_round_mode_16_64 0
		.amdhsa_float_denorm_mode_32 3
		.amdhsa_float_denorm_mode_16_64 3
		.amdhsa_dx10_clamp 1
		.amdhsa_ieee_mode 1
		.amdhsa_fp16_overflow 0
		.amdhsa_tg_split 0
		.amdhsa_exception_fp_ieee_invalid_op 0
		.amdhsa_exception_fp_denorm_src 0
		.amdhsa_exception_fp_ieee_div_zero 0
		.amdhsa_exception_fp_ieee_overflow 0
		.amdhsa_exception_fp_ieee_underflow 0
		.amdhsa_exception_fp_ieee_inexact 0
		.amdhsa_exception_int_div_zero 0
	.end_amdhsa_kernel
	.section	.text._ZN7rocprim17ROCPRIM_400000_NS6detail17trampoline_kernelINS0_14default_configENS1_27scan_by_key_config_selectorIj11FixedVectorIiLj1EEEEZZNS1_16scan_by_key_implILNS1_25lookback_scan_determinismE0ELb0ES3_N6thrust23THRUST_200600_302600_NS6detail15normal_iteratorINSB_10device_ptrIjEEEENSD_INSE_IS6_EEEESI_S6_NSB_4plusIvEENSB_8equal_toIvEES6_EE10hipError_tPvRmT2_T3_T4_T5_mT6_T7_P12ihipStream_tbENKUlT_T0_E_clISt17integral_constantIbLb0EES13_EEDaSY_SZ_EUlSY_E_NS1_11comp_targetILNS1_3genE5ELNS1_11target_archE942ELNS1_3gpuE9ELNS1_3repE0EEENS1_30default_config_static_selectorELNS0_4arch9wavefront6targetE1EEEvT1_,"axG",@progbits,_ZN7rocprim17ROCPRIM_400000_NS6detail17trampoline_kernelINS0_14default_configENS1_27scan_by_key_config_selectorIj11FixedVectorIiLj1EEEEZZNS1_16scan_by_key_implILNS1_25lookback_scan_determinismE0ELb0ES3_N6thrust23THRUST_200600_302600_NS6detail15normal_iteratorINSB_10device_ptrIjEEEENSD_INSE_IS6_EEEESI_S6_NSB_4plusIvEENSB_8equal_toIvEES6_EE10hipError_tPvRmT2_T3_T4_T5_mT6_T7_P12ihipStream_tbENKUlT_T0_E_clISt17integral_constantIbLb0EES13_EEDaSY_SZ_EUlSY_E_NS1_11comp_targetILNS1_3genE5ELNS1_11target_archE942ELNS1_3gpuE9ELNS1_3repE0EEENS1_30default_config_static_selectorELNS0_4arch9wavefront6targetE1EEEvT1_,comdat
.Lfunc_end1871:
	.size	_ZN7rocprim17ROCPRIM_400000_NS6detail17trampoline_kernelINS0_14default_configENS1_27scan_by_key_config_selectorIj11FixedVectorIiLj1EEEEZZNS1_16scan_by_key_implILNS1_25lookback_scan_determinismE0ELb0ES3_N6thrust23THRUST_200600_302600_NS6detail15normal_iteratorINSB_10device_ptrIjEEEENSD_INSE_IS6_EEEESI_S6_NSB_4plusIvEENSB_8equal_toIvEES6_EE10hipError_tPvRmT2_T3_T4_T5_mT6_T7_P12ihipStream_tbENKUlT_T0_E_clISt17integral_constantIbLb0EES13_EEDaSY_SZ_EUlSY_E_NS1_11comp_targetILNS1_3genE5ELNS1_11target_archE942ELNS1_3gpuE9ELNS1_3repE0EEENS1_30default_config_static_selectorELNS0_4arch9wavefront6targetE1EEEvT1_, .Lfunc_end1871-_ZN7rocprim17ROCPRIM_400000_NS6detail17trampoline_kernelINS0_14default_configENS1_27scan_by_key_config_selectorIj11FixedVectorIiLj1EEEEZZNS1_16scan_by_key_implILNS1_25lookback_scan_determinismE0ELb0ES3_N6thrust23THRUST_200600_302600_NS6detail15normal_iteratorINSB_10device_ptrIjEEEENSD_INSE_IS6_EEEESI_S6_NSB_4plusIvEENSB_8equal_toIvEES6_EE10hipError_tPvRmT2_T3_T4_T5_mT6_T7_P12ihipStream_tbENKUlT_T0_E_clISt17integral_constantIbLb0EES13_EEDaSY_SZ_EUlSY_E_NS1_11comp_targetILNS1_3genE5ELNS1_11target_archE942ELNS1_3gpuE9ELNS1_3repE0EEENS1_30default_config_static_selectorELNS0_4arch9wavefront6targetE1EEEvT1_
                                        ; -- End function
	.section	.AMDGPU.csdata,"",@progbits
; Kernel info:
; codeLenInByte = 0
; NumSgprs: 4
; NumVgprs: 0
; NumAgprs: 0
; TotalNumVgprs: 0
; ScratchSize: 0
; MemoryBound: 0
; FloatMode: 240
; IeeeMode: 1
; LDSByteSize: 0 bytes/workgroup (compile time only)
; SGPRBlocks: 0
; VGPRBlocks: 0
; NumSGPRsForWavesPerEU: 4
; NumVGPRsForWavesPerEU: 1
; AccumOffset: 4
; Occupancy: 8
; WaveLimiterHint : 0
; COMPUTE_PGM_RSRC2:SCRATCH_EN: 0
; COMPUTE_PGM_RSRC2:USER_SGPR: 6
; COMPUTE_PGM_RSRC2:TRAP_HANDLER: 0
; COMPUTE_PGM_RSRC2:TGID_X_EN: 1
; COMPUTE_PGM_RSRC2:TGID_Y_EN: 0
; COMPUTE_PGM_RSRC2:TGID_Z_EN: 0
; COMPUTE_PGM_RSRC2:TIDIG_COMP_CNT: 0
; COMPUTE_PGM_RSRC3_GFX90A:ACCUM_OFFSET: 0
; COMPUTE_PGM_RSRC3_GFX90A:TG_SPLIT: 0
	.section	.text._ZN7rocprim17ROCPRIM_400000_NS6detail17trampoline_kernelINS0_14default_configENS1_27scan_by_key_config_selectorIj11FixedVectorIiLj1EEEEZZNS1_16scan_by_key_implILNS1_25lookback_scan_determinismE0ELb0ES3_N6thrust23THRUST_200600_302600_NS6detail15normal_iteratorINSB_10device_ptrIjEEEENSD_INSE_IS6_EEEESI_S6_NSB_4plusIvEENSB_8equal_toIvEES6_EE10hipError_tPvRmT2_T3_T4_T5_mT6_T7_P12ihipStream_tbENKUlT_T0_E_clISt17integral_constantIbLb0EES13_EEDaSY_SZ_EUlSY_E_NS1_11comp_targetILNS1_3genE4ELNS1_11target_archE910ELNS1_3gpuE8ELNS1_3repE0EEENS1_30default_config_static_selectorELNS0_4arch9wavefront6targetE1EEEvT1_,"axG",@progbits,_ZN7rocprim17ROCPRIM_400000_NS6detail17trampoline_kernelINS0_14default_configENS1_27scan_by_key_config_selectorIj11FixedVectorIiLj1EEEEZZNS1_16scan_by_key_implILNS1_25lookback_scan_determinismE0ELb0ES3_N6thrust23THRUST_200600_302600_NS6detail15normal_iteratorINSB_10device_ptrIjEEEENSD_INSE_IS6_EEEESI_S6_NSB_4plusIvEENSB_8equal_toIvEES6_EE10hipError_tPvRmT2_T3_T4_T5_mT6_T7_P12ihipStream_tbENKUlT_T0_E_clISt17integral_constantIbLb0EES13_EEDaSY_SZ_EUlSY_E_NS1_11comp_targetILNS1_3genE4ELNS1_11target_archE910ELNS1_3gpuE8ELNS1_3repE0EEENS1_30default_config_static_selectorELNS0_4arch9wavefront6targetE1EEEvT1_,comdat
	.protected	_ZN7rocprim17ROCPRIM_400000_NS6detail17trampoline_kernelINS0_14default_configENS1_27scan_by_key_config_selectorIj11FixedVectorIiLj1EEEEZZNS1_16scan_by_key_implILNS1_25lookback_scan_determinismE0ELb0ES3_N6thrust23THRUST_200600_302600_NS6detail15normal_iteratorINSB_10device_ptrIjEEEENSD_INSE_IS6_EEEESI_S6_NSB_4plusIvEENSB_8equal_toIvEES6_EE10hipError_tPvRmT2_T3_T4_T5_mT6_T7_P12ihipStream_tbENKUlT_T0_E_clISt17integral_constantIbLb0EES13_EEDaSY_SZ_EUlSY_E_NS1_11comp_targetILNS1_3genE4ELNS1_11target_archE910ELNS1_3gpuE8ELNS1_3repE0EEENS1_30default_config_static_selectorELNS0_4arch9wavefront6targetE1EEEvT1_ ; -- Begin function _ZN7rocprim17ROCPRIM_400000_NS6detail17trampoline_kernelINS0_14default_configENS1_27scan_by_key_config_selectorIj11FixedVectorIiLj1EEEEZZNS1_16scan_by_key_implILNS1_25lookback_scan_determinismE0ELb0ES3_N6thrust23THRUST_200600_302600_NS6detail15normal_iteratorINSB_10device_ptrIjEEEENSD_INSE_IS6_EEEESI_S6_NSB_4plusIvEENSB_8equal_toIvEES6_EE10hipError_tPvRmT2_T3_T4_T5_mT6_T7_P12ihipStream_tbENKUlT_T0_E_clISt17integral_constantIbLb0EES13_EEDaSY_SZ_EUlSY_E_NS1_11comp_targetILNS1_3genE4ELNS1_11target_archE910ELNS1_3gpuE8ELNS1_3repE0EEENS1_30default_config_static_selectorELNS0_4arch9wavefront6targetE1EEEvT1_
	.globl	_ZN7rocprim17ROCPRIM_400000_NS6detail17trampoline_kernelINS0_14default_configENS1_27scan_by_key_config_selectorIj11FixedVectorIiLj1EEEEZZNS1_16scan_by_key_implILNS1_25lookback_scan_determinismE0ELb0ES3_N6thrust23THRUST_200600_302600_NS6detail15normal_iteratorINSB_10device_ptrIjEEEENSD_INSE_IS6_EEEESI_S6_NSB_4plusIvEENSB_8equal_toIvEES6_EE10hipError_tPvRmT2_T3_T4_T5_mT6_T7_P12ihipStream_tbENKUlT_T0_E_clISt17integral_constantIbLb0EES13_EEDaSY_SZ_EUlSY_E_NS1_11comp_targetILNS1_3genE4ELNS1_11target_archE910ELNS1_3gpuE8ELNS1_3repE0EEENS1_30default_config_static_selectorELNS0_4arch9wavefront6targetE1EEEvT1_
	.p2align	8
	.type	_ZN7rocprim17ROCPRIM_400000_NS6detail17trampoline_kernelINS0_14default_configENS1_27scan_by_key_config_selectorIj11FixedVectorIiLj1EEEEZZNS1_16scan_by_key_implILNS1_25lookback_scan_determinismE0ELb0ES3_N6thrust23THRUST_200600_302600_NS6detail15normal_iteratorINSB_10device_ptrIjEEEENSD_INSE_IS6_EEEESI_S6_NSB_4plusIvEENSB_8equal_toIvEES6_EE10hipError_tPvRmT2_T3_T4_T5_mT6_T7_P12ihipStream_tbENKUlT_T0_E_clISt17integral_constantIbLb0EES13_EEDaSY_SZ_EUlSY_E_NS1_11comp_targetILNS1_3genE4ELNS1_11target_archE910ELNS1_3gpuE8ELNS1_3repE0EEENS1_30default_config_static_selectorELNS0_4arch9wavefront6targetE1EEEvT1_,@function
_ZN7rocprim17ROCPRIM_400000_NS6detail17trampoline_kernelINS0_14default_configENS1_27scan_by_key_config_selectorIj11FixedVectorIiLj1EEEEZZNS1_16scan_by_key_implILNS1_25lookback_scan_determinismE0ELb0ES3_N6thrust23THRUST_200600_302600_NS6detail15normal_iteratorINSB_10device_ptrIjEEEENSD_INSE_IS6_EEEESI_S6_NSB_4plusIvEENSB_8equal_toIvEES6_EE10hipError_tPvRmT2_T3_T4_T5_mT6_T7_P12ihipStream_tbENKUlT_T0_E_clISt17integral_constantIbLb0EES13_EEDaSY_SZ_EUlSY_E_NS1_11comp_targetILNS1_3genE4ELNS1_11target_archE910ELNS1_3gpuE8ELNS1_3repE0EEENS1_30default_config_static_selectorELNS0_4arch9wavefront6targetE1EEEvT1_: ; @_ZN7rocprim17ROCPRIM_400000_NS6detail17trampoline_kernelINS0_14default_configENS1_27scan_by_key_config_selectorIj11FixedVectorIiLj1EEEEZZNS1_16scan_by_key_implILNS1_25lookback_scan_determinismE0ELb0ES3_N6thrust23THRUST_200600_302600_NS6detail15normal_iteratorINSB_10device_ptrIjEEEENSD_INSE_IS6_EEEESI_S6_NSB_4plusIvEENSB_8equal_toIvEES6_EE10hipError_tPvRmT2_T3_T4_T5_mT6_T7_P12ihipStream_tbENKUlT_T0_E_clISt17integral_constantIbLb0EES13_EEDaSY_SZ_EUlSY_E_NS1_11comp_targetILNS1_3genE4ELNS1_11target_archE910ELNS1_3gpuE8ELNS1_3repE0EEENS1_30default_config_static_selectorELNS0_4arch9wavefront6targetE1EEEvT1_
; %bb.0:
	s_load_dwordx8 s[36:43], s[4:5], 0x0
	s_load_dwordx4 s[52:55], s[4:5], 0x28
	s_load_dwordx2 s[56:57], s[4:5], 0x38
	s_load_dword s0, s[4:5], 0x40
	s_load_dwordx8 s[44:51], s[4:5], 0x48
	s_waitcnt lgkmcnt(0)
	s_lshl_b64 s[38:39], s[38:39], 2
	s_add_u32 s2, s36, s38
	s_addc_u32 s3, s37, s39
	s_add_u32 s4, s40, s38
	s_mul_i32 s1, s57, s0
	s_mul_hi_u32 s7, s56, s0
	s_addc_u32 s5, s41, s39
	s_add_i32 s8, s7, s1
	s_mul_i32 s9, s56, s0
	s_cmp_lg_u64 s[48:49], 0
	s_mul_i32 s0, s6, 0xe00
	s_mov_b32 s1, 0
	s_cselect_b64 s[40:41], -1, 0
	s_lshl_b64 s[36:37], s[0:1], 2
	s_add_u32 s34, s2, s36
	s_addc_u32 s35, s3, s37
	s_add_u32 s7, s4, s36
	s_addc_u32 s55, s5, s37
	;; [unrolled: 2-line block ×3, first 2 shown]
	s_add_u32 s2, s44, -1
	s_addc_u32 s3, s45, -1
	v_pk_mov_b32 v[2:3], s[2:3], s[2:3] op_sel:[0,1]
	v_cmp_ge_u64_e64 s[0:1], s[48:49], v[2:3]
	s_mov_b64 s[18:19], 0
	s_mov_b64 s[4:5], -1
	s_and_b64 vcc, exec, s[0:1]
	s_mul_i32 s33, s2, 0xfffff200
	s_barrier
	s_cbranch_vccz .LBB1872_90
; %bb.1:
	v_pk_mov_b32 v[2:3], s[34:35], s[34:35] op_sel:[0,1]
	flat_load_dword v1, v[2:3]
	s_add_i32 s60, s33, s54
	v_cmp_gt_u32_e64 s[2:3], s60, v0
	s_waitcnt vmcnt(0) lgkmcnt(0)
	v_mov_b32_e32 v13, v1
	s_and_saveexec_b64 s[4:5], s[2:3]
	s_cbranch_execz .LBB1872_3
; %bb.2:
	v_lshlrev_b32_e32 v2, 2, v0
	v_mov_b32_e32 v3, s35
	v_add_co_u32_e32 v2, vcc, s34, v2
	v_addc_co_u32_e32 v3, vcc, 0, v3, vcc
	flat_load_dword v13, v[2:3]
.LBB1872_3:
	s_or_b64 exec, exec, s[4:5]
	v_or_b32_e32 v2, 0x100, v0
	v_cmp_gt_u32_e64 s[4:5], s60, v2
	v_mov_b32_e32 v14, v1
	s_and_saveexec_b64 s[8:9], s[4:5]
	s_cbranch_execz .LBB1872_5
; %bb.4:
	v_lshlrev_b32_e32 v2, 2, v0
	v_mov_b32_e32 v3, s35
	v_add_co_u32_e32 v2, vcc, s34, v2
	v_addc_co_u32_e32 v3, vcc, 0, v3, vcc
	flat_load_dword v14, v[2:3] offset:1024
.LBB1872_5:
	s_or_b64 exec, exec, s[8:9]
	v_or_b32_e32 v2, 0x200, v0
	v_cmp_gt_u32_e64 s[30:31], s60, v2
	v_mov_b32_e32 v15, v1
	s_and_saveexec_b64 s[8:9], s[30:31]
	s_cbranch_execz .LBB1872_7
; %bb.6:
	v_lshlrev_b32_e32 v2, 2, v0
	v_mov_b32_e32 v3, s35
	v_add_co_u32_e32 v2, vcc, s34, v2
	v_addc_co_u32_e32 v3, vcc, 0, v3, vcc
	flat_load_dword v15, v[2:3] offset:2048
.LBB1872_7:
	;; [unrolled: 13-line block ×3, first 2 shown]
	s_or_b64 exec, exec, s[10:11]
	v_or_b32_e32 v2, 0x400, v0
	v_cmp_gt_u32_e64 s[10:11], s60, v2
	v_lshlrev_b32_e32 v2, 2, v2
	v_mov_b32_e32 v17, v1
	s_and_saveexec_b64 s[12:13], s[10:11]
	s_cbranch_execz .LBB1872_11
; %bb.10:
	v_mov_b32_e32 v3, s35
	v_add_co_u32_e32 v4, vcc, s34, v2
	v_addc_co_u32_e32 v5, vcc, 0, v3, vcc
	flat_load_dword v17, v[4:5]
.LBB1872_11:
	s_or_b64 exec, exec, s[12:13]
	v_or_b32_e32 v3, 0x500, v0
	v_cmp_gt_u32_e64 s[12:13], s60, v3
	v_lshlrev_b32_e32 v3, 2, v3
	v_mov_b32_e32 v18, v1
	s_and_saveexec_b64 s[14:15], s[12:13]
	s_cbranch_execz .LBB1872_13
; %bb.12:
	v_mov_b32_e32 v5, s35
	v_add_co_u32_e32 v4, vcc, s34, v3
	v_addc_co_u32_e32 v5, vcc, 0, v5, vcc
	flat_load_dword v18, v[4:5]
.LBB1872_13:
	;; [unrolled: 13-line block ×9, first 2 shown]
	s_or_b64 exec, exec, s[28:29]
	v_or_b32_e32 v11, 0xd00, v0
	v_cmp_gt_u32_e64 s[28:29], s60, v11
	v_lshlrev_b32_e32 v11, 2, v11
	s_and_saveexec_b64 s[44:45], s[28:29]
	s_cbranch_execz .LBB1872_29
; %bb.28:
	v_mov_b32_e32 v1, s35
	v_add_co_u32_e32 v26, vcc, s34, v11
	v_addc_co_u32_e32 v27, vcc, 0, v1, vcc
	flat_load_dword v1, v[26:27]
.LBB1872_29:
	s_or_b64 exec, exec, s[44:45]
	v_lshlrev_b32_e32 v12, 2, v0
	s_waitcnt vmcnt(0) lgkmcnt(0)
	ds_write2st64_b32 v12, v13, v14 offset1:4
	ds_write2st64_b32 v12, v15, v16 offset0:8 offset1:12
	ds_write2st64_b32 v12, v17, v18 offset0:16 offset1:20
	;; [unrolled: 1-line block ×6, first 2 shown]
	v_mad_u32_u24 v1, v0, 52, v12
	s_waitcnt lgkmcnt(0)
	s_barrier
	ds_read2_b64 v[34:37], v1 offset1:1
	ds_read2_b64 v[30:33], v1 offset0:2 offset1:3
	ds_read2_b64 v[26:29], v1 offset0:4 offset1:5
	ds_read_b64 v[40:41], v1 offset:48
	s_cmp_eq_u64 s[48:49], 0
	s_mov_b64 s[44:45], s[34:35]
	s_cbranch_scc1 .LBB1872_33
; %bb.30:
	s_andn2_b64 vcc, exec, s[40:41]
	s_cbranch_vccnz .LBB1872_203
; %bb.31:
	s_lshl_b64 s[44:45], s[48:49], 2
	s_add_u32 s44, s50, s44
	s_addc_u32 s45, s51, s45
	s_add_u32 s44, s44, -4
	s_addc_u32 s45, s45, -1
	s_cbranch_execnz .LBB1872_33
.LBB1872_32:
	s_add_u32 s44, s34, -4
	s_addc_u32 s45, s35, -1
.LBB1872_33:
	v_pk_mov_b32 v[14:15], s[44:45], s[44:45] op_sel:[0,1]
	flat_load_dword v44, v[14:15]
	s_movk_i32 s44, 0xffcc
	v_mad_i32_i24 v13, v0, s44, v1
	v_cmp_ne_u32_e32 vcc, 0, v0
	s_waitcnt lgkmcnt(0)
	ds_write_b32 v13, v41 offset:14336
	s_waitcnt lgkmcnt(0)
	s_barrier
	s_and_saveexec_b64 s[44:45], vcc
	s_cbranch_execz .LBB1872_35
; %bb.34:
	v_mul_i32_i24_e32 v13, 0xffffffcc, v0
	v_add_u32_e32 v13, v1, v13
	s_waitcnt vmcnt(0)
	ds_read_b32 v44, v13 offset:14332
.LBB1872_35:
	s_or_b64 exec, exec, s[44:45]
	v_mov_b32_e32 v13, 0
	v_mov_b32_e32 v14, 0
	s_waitcnt lgkmcnt(0)
	s_barrier
	s_and_saveexec_b64 s[44:45], s[2:3]
	s_cbranch_execz .LBB1872_37
; %bb.36:
	v_mov_b32_e32 v15, s55
	v_add_co_u32_e32 v14, vcc, s7, v12
	v_addc_co_u32_e32 v15, vcc, 0, v15, vcc
	flat_load_dword v14, v[14:15]
.LBB1872_37:
	s_or_b64 exec, exec, s[44:45]
	s_and_saveexec_b64 s[2:3], s[4:5]
	s_cbranch_execz .LBB1872_39
; %bb.38:
	v_mov_b32_e32 v13, s55
	v_add_co_u32_e32 v16, vcc, s7, v12
	v_addc_co_u32_e32 v17, vcc, 0, v13, vcc
	flat_load_dword v13, v[16:17] offset:1024
.LBB1872_39:
	s_or_b64 exec, exec, s[2:3]
	v_mov_b32_e32 v15, 0
	v_mov_b32_e32 v16, 0
	s_and_saveexec_b64 s[2:3], s[30:31]
	s_cbranch_execz .LBB1872_41
; %bb.40:
	v_mov_b32_e32 v17, s55
	v_add_co_u32_e32 v16, vcc, s7, v12
	v_addc_co_u32_e32 v17, vcc, 0, v17, vcc
	flat_load_dword v16, v[16:17] offset:2048
.LBB1872_41:
	s_or_b64 exec, exec, s[2:3]
	s_and_saveexec_b64 s[2:3], s[8:9]
	s_cbranch_execz .LBB1872_43
; %bb.42:
	v_mov_b32_e32 v15, s55
	v_add_co_u32_e32 v18, vcc, s7, v12
	v_addc_co_u32_e32 v19, vcc, 0, v15, vcc
	flat_load_dword v15, v[18:19] offset:3072
.LBB1872_43:
	s_or_b64 exec, exec, s[2:3]
	v_mov_b32_e32 v17, 0
	v_mov_b32_e32 v18, 0
	s_and_saveexec_b64 s[2:3], s[10:11]
	s_cbranch_execz .LBB1872_45
; %bb.44:
	v_mov_b32_e32 v19, s55
	v_add_co_u32_e32 v18, vcc, s7, v2
	v_addc_co_u32_e32 v19, vcc, 0, v19, vcc
	flat_load_dword v18, v[18:19]
.LBB1872_45:
	s_or_b64 exec, exec, s[2:3]
	s_and_saveexec_b64 s[2:3], s[12:13]
	s_cbranch_execz .LBB1872_47
; %bb.46:
	v_mov_b32_e32 v17, s55
	v_add_co_u32_e32 v2, vcc, s7, v3
	v_addc_co_u32_e32 v3, vcc, 0, v17, vcc
	flat_load_dword v17, v[2:3]
.LBB1872_47:
	s_or_b64 exec, exec, s[2:3]
	v_mov_b32_e32 v2, 0
	v_mov_b32_e32 v3, 0
	s_and_saveexec_b64 s[2:3], s[14:15]
	s_cbranch_execz .LBB1872_49
; %bb.48:
	v_mov_b32_e32 v3, s55
	v_add_co_u32_e32 v20, vcc, s7, v4
	v_addc_co_u32_e32 v21, vcc, 0, v3, vcc
	flat_load_dword v3, v[20:21]
.LBB1872_49:
	s_or_b64 exec, exec, s[2:3]
	s_and_saveexec_b64 s[2:3], s[16:17]
	s_cbranch_execz .LBB1872_51
; %bb.50:
	v_mov_b32_e32 v2, s55
	v_add_co_u32_e32 v4, vcc, s7, v5
	v_addc_co_u32_e32 v5, vcc, 0, v2, vcc
	flat_load_dword v2, v[4:5]
.LBB1872_51:
	;; [unrolled: 20-line block ×5, first 2 shown]
	s_or_b64 exec, exec, s[2:3]
	s_mov_b32 s8, 0
	s_mov_b32 s9, s8
	s_waitcnt vmcnt(0) lgkmcnt(0)
	ds_write2st64_b32 v12, v14, v13 offset1:4
	ds_write2st64_b32 v12, v16, v15 offset0:8 offset1:12
	ds_write2st64_b32 v12, v18, v17 offset0:16 offset1:20
	;; [unrolled: 1-line block ×6, first 2 shown]
	s_mov_b32 s10, s8
	s_mov_b32 s11, s8
	;; [unrolled: 1-line block ×6, first 2 shown]
	v_pk_mov_b32 v[2:3], s[8:9], s[8:9] op_sel:[0,1]
	v_pk_mov_b32 v[8:9], s[14:15], s[14:15] op_sel:[0,1]
	v_mul_u32_u24_e32 v42, 14, v0
	v_pk_mov_b32 v[4:5], s[10:11], s[10:11] op_sel:[0,1]
	v_pk_mov_b32 v[6:7], s[12:13], s[12:13] op_sel:[0,1]
	;; [unrolled: 1-line block ×4, first 2 shown]
	v_cmp_gt_u32_e32 vcc, s60, v42
	s_mov_b64 s[4:5], 0
	v_pk_mov_b32 v[38:39], 0, 0
	s_mov_b64 s[18:19], 0
	v_pk_mov_b32 v[14:15], v[6:7], v[6:7] op_sel:[0,1]
	v_pk_mov_b32 v[12:13], v[4:5], v[4:5] op_sel:[0,1]
	;; [unrolled: 1-line block ×6, first 2 shown]
	s_waitcnt lgkmcnt(0)
	s_barrier
	s_waitcnt lgkmcnt(0)
                                        ; implicit-def: $sgpr2_sgpr3
                                        ; implicit-def: $vgpr43
	s_and_saveexec_b64 s[16:17], vcc
	s_cbranch_execz .LBB1872_89
; %bb.64:
	v_or_b32_e32 v2, 1, v42
	ds_read_b32 v38, v1
	v_cmp_ne_u32_e32 vcc, v44, v34
	v_cndmask_b32_e64 v39, 0, 1, vcc
	v_cmp_gt_u32_e32 vcc, s60, v2
	v_pk_mov_b32 v[2:3], s[8:9], s[8:9] op_sel:[0,1]
	v_pk_mov_b32 v[8:9], s[14:15], s[14:15] op_sel:[0,1]
	;; [unrolled: 1-line block ×6, first 2 shown]
	s_mov_b64 s[20:21], 0
	v_pk_mov_b32 v[14:15], v[6:7], v[6:7] op_sel:[0,1]
	v_pk_mov_b32 v[12:13], v[4:5], v[4:5] op_sel:[0,1]
	;; [unrolled: 1-line block ×6, first 2 shown]
                                        ; implicit-def: $sgpr8_sgpr9
                                        ; implicit-def: $vgpr43
	s_and_saveexec_b64 s[18:19], vcc
	s_cbranch_execz .LBB1872_88
; %bb.65:
	ds_read2_b32 v[44:45], v1 offset0:1 offset1:2
	s_mov_b32 s8, 0
	s_mov_b32 s14, s8
	;; [unrolled: 1-line block ×8, first 2 shown]
	v_pk_mov_b32 v[16:17], s[14:15], s[14:15] op_sel:[0,1]
	v_add_u32_e32 v2, 2, v42
	v_cmp_ne_u32_e32 vcc, v34, v35
	v_mov_b32_e32 v6, 0
	v_pk_mov_b32 v[14:15], s[12:13], s[12:13] op_sel:[0,1]
	v_pk_mov_b32 v[12:13], s[10:11], s[10:11] op_sel:[0,1]
	;; [unrolled: 1-line block ×4, first 2 shown]
	v_cndmask_b32_e64 v3, 0, 1, vcc
	v_cmp_gt_u32_e32 vcc, s60, v2
	s_waitcnt lgkmcnt(0)
	v_mov_b32_e32 v2, v44
	v_mov_b32_e32 v4, v6
	;; [unrolled: 1-line block ×6, first 2 shown]
	s_mov_b64 s[2:3], 0
	v_pk_mov_b32 v[22:23], v[14:15], v[14:15] op_sel:[0,1]
	v_pk_mov_b32 v[20:21], v[12:13], v[12:13] op_sel:[0,1]
	;; [unrolled: 1-line block ×3, first 2 shown]
                                        ; implicit-def: $sgpr22_sgpr23
                                        ; implicit-def: $vgpr43
	s_and_saveexec_b64 s[20:21], vcc
	s_cbranch_execz .LBB1872_87
; %bb.66:
	v_pk_mov_b32 v[16:17], s[14:15], s[14:15] op_sel:[0,1]
	v_add_u32_e32 v2, 3, v42
	v_cmp_ne_u32_e32 vcc, v35, v36
	v_pk_mov_b32 v[14:15], s[12:13], s[12:13] op_sel:[0,1]
	v_pk_mov_b32 v[12:13], s[10:11], s[10:11] op_sel:[0,1]
	v_pk_mov_b32 v[10:11], s[8:9], s[8:9] op_sel:[0,1]
	v_pk_mov_b32 v[24:25], v[16:17], v[16:17] op_sel:[0,1]
	v_cndmask_b32_e64 v5, 0, 1, vcc
	v_cmp_gt_u32_e32 vcc, s60, v2
	v_mov_b32_e32 v2, v44
	v_mov_b32_e32 v4, v45
	;; [unrolled: 1-line block ×5, first 2 shown]
	v_pk_mov_b32 v[22:23], v[14:15], v[14:15] op_sel:[0,1]
	v_pk_mov_b32 v[20:21], v[12:13], v[12:13] op_sel:[0,1]
	;; [unrolled: 1-line block ×3, first 2 shown]
                                        ; implicit-def: $sgpr8_sgpr9
                                        ; implicit-def: $vgpr43
	s_and_saveexec_b64 s[22:23], vcc
	s_cbranch_execz .LBB1872_86
; %bb.67:
	ds_read2_b32 v[34:35], v1 offset0:3 offset1:4
	s_mov_b32 s8, 0
	s_mov_b32 s14, s8
	;; [unrolled: 1-line block ×8, first 2 shown]
	v_pk_mov_b32 v[16:17], s[14:15], s[14:15] op_sel:[0,1]
	v_add_u32_e32 v6, 4, v42
	v_cmp_ne_u32_e32 vcc, v36, v37
	v_pk_mov_b32 v[14:15], s[12:13], s[12:13] op_sel:[0,1]
	v_pk_mov_b32 v[12:13], s[10:11], s[10:11] op_sel:[0,1]
	v_pk_mov_b32 v[10:11], s[8:9], s[8:9] op_sel:[0,1]
	v_pk_mov_b32 v[24:25], v[16:17], v[16:17] op_sel:[0,1]
	v_cndmask_b32_e64 v7, 0, 1, vcc
	v_cmp_gt_u32_e32 vcc, s60, v6
	s_waitcnt lgkmcnt(0)
	v_mov_b32_e32 v6, v34
	v_mov_b32_e32 v8, s8
	;; [unrolled: 1-line block ×3, first 2 shown]
	v_pk_mov_b32 v[22:23], v[14:15], v[14:15] op_sel:[0,1]
	v_pk_mov_b32 v[20:21], v[12:13], v[12:13] op_sel:[0,1]
	;; [unrolled: 1-line block ×3, first 2 shown]
                                        ; implicit-def: $sgpr26_sgpr27
                                        ; implicit-def: $vgpr43
	s_and_saveexec_b64 s[24:25], vcc
	s_cbranch_execz .LBB1872_85
; %bb.68:
	v_pk_mov_b32 v[16:17], s[14:15], s[14:15] op_sel:[0,1]
	v_add_u32_e32 v8, 5, v42
	v_cmp_ne_u32_e32 vcc, v37, v30
	v_pk_mov_b32 v[14:15], s[12:13], s[12:13] op_sel:[0,1]
	v_pk_mov_b32 v[12:13], s[10:11], s[10:11] op_sel:[0,1]
	;; [unrolled: 1-line block ×4, first 2 shown]
	v_cndmask_b32_e64 v9, 0, 1, vcc
	v_cmp_gt_u32_e32 vcc, s60, v8
	v_mov_b32_e32 v8, v35
	v_pk_mov_b32 v[22:23], v[14:15], v[14:15] op_sel:[0,1]
	v_pk_mov_b32 v[20:21], v[12:13], v[12:13] op_sel:[0,1]
	;; [unrolled: 1-line block ×3, first 2 shown]
                                        ; implicit-def: $sgpr8_sgpr9
                                        ; implicit-def: $vgpr43
	s_and_saveexec_b64 s[26:27], vcc
	s_cbranch_execz .LBB1872_84
; %bb.69:
	ds_read2_b32 v[34:35], v1 offset0:5 offset1:6
	s_mov_b32 s8, 0
	s_mov_b32 s14, s8
	;; [unrolled: 1-line block ×3, first 2 shown]
	v_add_u32_e32 v10, 6, v42
	v_cmp_ne_u32_e32 vcc, v30, v31
	v_mov_b32_e32 v14, 0
	s_mov_b32 s9, s8
	s_mov_b32 s10, s8
	;; [unrolled: 1-line block ×5, first 2 shown]
	v_pk_mov_b32 v[24:25], s[14:15], s[14:15] op_sel:[0,1]
	v_cndmask_b32_e64 v11, 0, 1, vcc
	v_cmp_gt_u32_e32 vcc, s60, v10
	s_waitcnt lgkmcnt(0)
	v_mov_b32_e32 v10, v34
	v_mov_b32_e32 v12, v14
	;; [unrolled: 1-line block ×6, first 2 shown]
	v_pk_mov_b32 v[22:23], s[12:13], s[12:13] op_sel:[0,1]
	v_pk_mov_b32 v[20:21], s[10:11], s[10:11] op_sel:[0,1]
	;; [unrolled: 1-line block ×3, first 2 shown]
                                        ; implicit-def: $sgpr30_sgpr31
                                        ; implicit-def: $vgpr43
	s_and_saveexec_b64 s[28:29], vcc
	s_cbranch_execz .LBB1872_83
; %bb.70:
	v_add_u32_e32 v10, 7, v42
	v_cmp_ne_u32_e32 vcc, v31, v32
	v_pk_mov_b32 v[24:25], s[14:15], s[14:15] op_sel:[0,1]
	v_cndmask_b32_e64 v13, 0, 1, vcc
	v_cmp_gt_u32_e32 vcc, s60, v10
	v_mov_b32_e32 v10, v34
	v_mov_b32_e32 v12, v35
	;; [unrolled: 1-line block ×5, first 2 shown]
	v_pk_mov_b32 v[22:23], s[12:13], s[12:13] op_sel:[0,1]
	v_pk_mov_b32 v[20:21], s[10:11], s[10:11] op_sel:[0,1]
	;; [unrolled: 1-line block ×3, first 2 shown]
                                        ; implicit-def: $sgpr8_sgpr9
                                        ; implicit-def: $vgpr43
	s_and_saveexec_b64 s[30:31], vcc
	s_cbranch_execz .LBB1872_82
; %bb.71:
	ds_read2_b32 v[30:31], v1 offset0:7 offset1:8
	s_mov_b32 s8, 0
	s_mov_b32 s14, s8
	;; [unrolled: 1-line block ×3, first 2 shown]
	v_add_u32_e32 v14, 8, v42
	v_cmp_ne_u32_e32 vcc, v32, v33
	s_mov_b32 s9, s8
	s_mov_b32 s10, s8
	;; [unrolled: 1-line block ×5, first 2 shown]
	v_pk_mov_b32 v[24:25], s[14:15], s[14:15] op_sel:[0,1]
	v_cndmask_b32_e64 v15, 0, 1, vcc
	v_cmp_gt_u32_e32 vcc, s60, v14
	s_waitcnt lgkmcnt(0)
	v_mov_b32_e32 v14, v30
	v_mov_b32_e32 v16, s8
	;; [unrolled: 1-line block ×3, first 2 shown]
	v_pk_mov_b32 v[22:23], s[12:13], s[12:13] op_sel:[0,1]
	v_pk_mov_b32 v[20:21], s[10:11], s[10:11] op_sel:[0,1]
	;; [unrolled: 1-line block ×3, first 2 shown]
                                        ; implicit-def: $sgpr58_sgpr59
                                        ; implicit-def: $vgpr43
	s_and_saveexec_b64 s[44:45], vcc
	s_cbranch_execz .LBB1872_81
; %bb.72:
	v_add_u32_e32 v16, 9, v42
	v_cmp_ne_u32_e32 vcc, v33, v26
	v_pk_mov_b32 v[24:25], s[14:15], s[14:15] op_sel:[0,1]
	v_cndmask_b32_e64 v17, 0, 1, vcc
	v_cmp_gt_u32_e32 vcc, s60, v16
	v_mov_b32_e32 v16, v31
	v_pk_mov_b32 v[22:23], s[12:13], s[12:13] op_sel:[0,1]
	v_pk_mov_b32 v[20:21], s[10:11], s[10:11] op_sel:[0,1]
	;; [unrolled: 1-line block ×3, first 2 shown]
                                        ; implicit-def: $sgpr10_sgpr11
                                        ; implicit-def: $vgpr43
	s_and_saveexec_b64 s[8:9], vcc
	s_cbranch_execz .LBB1872_80
; %bb.73:
	ds_read2_b32 v[30:31], v1 offset0:9 offset1:10
	v_add_u32_e32 v18, 10, v42
	v_cmp_ne_u32_e32 vcc, v26, v27
	v_mov_b32_e32 v22, 0
	v_cndmask_b32_e64 v19, 0, 1, vcc
	v_cmp_gt_u32_e32 vcc, s60, v18
	s_waitcnt lgkmcnt(0)
	v_mov_b32_e32 v18, v30
	v_mov_b32_e32 v20, v22
	;; [unrolled: 1-line block ×6, first 2 shown]
                                        ; implicit-def: $sgpr12_sgpr13
                                        ; implicit-def: $vgpr43
	s_and_saveexec_b64 s[10:11], vcc
	s_cbranch_execz .LBB1872_79
; %bb.74:
	v_add_u32_e32 v18, 11, v42
	v_cmp_ne_u32_e32 vcc, v27, v28
	v_cndmask_b32_e64 v21, 0, 1, vcc
	v_cmp_gt_u32_e32 vcc, s60, v18
	s_mov_b32 s58, 0
	v_mov_b32_e32 v18, v30
	v_mov_b32_e32 v20, v31
	;; [unrolled: 1-line block ×5, first 2 shown]
                                        ; implicit-def: $sgpr14_sgpr15
                                        ; implicit-def: $vgpr43
	s_and_saveexec_b64 s[12:13], vcc
	s_cbranch_execz .LBB1872_78
; %bb.75:
	ds_read2_b32 v[26:27], v1 offset0:11 offset1:12
	v_add_u32_e32 v22, 12, v42
	v_cmp_ne_u32_e32 vcc, v28, v29
	v_cndmask_b32_e64 v23, 0, 1, vcc
	v_cmp_gt_u32_e32 vcc, s60, v22
	s_waitcnt lgkmcnt(0)
	v_mov_b32_e32 v22, v26
	v_mov_b32_e32 v24, s58
	;; [unrolled: 1-line block ×3, first 2 shown]
                                        ; implicit-def: $sgpr14_sgpr15
                                        ; implicit-def: $vgpr43
	s_and_saveexec_b64 s[58:59], vcc
	s_xor_b64 s[58:59], exec, s[58:59]
	s_cbranch_execz .LBB1872_77
; %bb.76:
	ds_read_b32 v43, v1 offset:52
	v_add_u32_e32 v1, 13, v42
	v_cmp_ne_u32_e64 s[2:3], v29, v40
	v_cmp_ne_u32_e32 vcc, v40, v41
	v_cndmask_b32_e64 v25, 0, 1, s[2:3]
	v_cmp_gt_u32_e64 s[2:3], s60, v1
	v_mov_b32_e32 v24, v27
	s_and_b64 s[14:15], vcc, exec
	s_and_b64 s[2:3], s[2:3], exec
.LBB1872_77:
	s_or_b64 exec, exec, s[58:59]
	s_and_b64 s[14:15], s[14:15], exec
	s_and_b64 s[2:3], s[2:3], exec
.LBB1872_78:
	s_or_b64 exec, exec, s[12:13]
	s_and_b64 s[12:13], s[14:15], exec
	s_and_b64 s[2:3], s[2:3], exec
.LBB1872_79:
	s_or_b64 exec, exec, s[10:11]
	s_and_b64 s[10:11], s[12:13], exec
	s_and_b64 s[2:3], s[2:3], exec
.LBB1872_80:
	s_or_b64 exec, exec, s[8:9]
	s_and_b64 s[58:59], s[10:11], exec
	s_and_b64 s[2:3], s[2:3], exec
.LBB1872_81:
	s_or_b64 exec, exec, s[44:45]
	s_and_b64 s[8:9], s[58:59], exec
	s_and_b64 s[2:3], s[2:3], exec
.LBB1872_82:
	s_or_b64 exec, exec, s[30:31]
	s_and_b64 s[30:31], s[8:9], exec
	s_and_b64 s[2:3], s[2:3], exec
.LBB1872_83:
	s_or_b64 exec, exec, s[28:29]
	s_and_b64 s[8:9], s[30:31], exec
	s_and_b64 s[2:3], s[2:3], exec
.LBB1872_84:
	s_or_b64 exec, exec, s[26:27]
	s_and_b64 s[26:27], s[8:9], exec
	s_and_b64 s[2:3], s[2:3], exec
.LBB1872_85:
	s_or_b64 exec, exec, s[24:25]
	s_and_b64 s[8:9], s[26:27], exec
	s_and_b64 s[2:3], s[2:3], exec
.LBB1872_86:
	s_or_b64 exec, exec, s[22:23]
	s_and_b64 s[22:23], s[8:9], exec
	s_and_b64 s[2:3], s[2:3], exec
.LBB1872_87:
	s_or_b64 exec, exec, s[20:21]
	s_and_b64 s[8:9], s[22:23], exec
	s_and_b64 s[20:21], s[2:3], exec
.LBB1872_88:
	s_or_b64 exec, exec, s[18:19]
	s_and_b64 s[2:3], s[8:9], exec
	s_and_b64 s[18:19], s[20:21], exec
.LBB1872_89:
	s_or_b64 exec, exec, s[16:17]
	s_and_b64 vcc, exec, s[4:5]
	v_lshlrev_b32_e32 v50, 2, v0
	s_cbranch_vccnz .LBB1872_91
	s_branch .LBB1872_99
.LBB1872_90:
                                        ; implicit-def: $sgpr2_sgpr3
                                        ; implicit-def: $vgpr2_vgpr3_vgpr4_vgpr5_vgpr6_vgpr7_vgpr8_vgpr9
                                        ; implicit-def: $vgpr10_vgpr11_vgpr12_vgpr13_vgpr14_vgpr15_vgpr16_vgpr17
                                        ; implicit-def: $vgpr18_vgpr19_vgpr20_vgpr21_vgpr22_vgpr23_vgpr24_vgpr25
                                        ; implicit-def: $vgpr43
                                        ; implicit-def: $vgpr38_vgpr39
	s_and_b64 vcc, exec, s[4:5]
	v_lshlrev_b32_e32 v50, 2, v0
	s_cbranch_vccz .LBB1872_99
.LBB1872_91:
	v_mov_b32_e32 v1, s35
	v_add_co_u32_e32 v2, vcc, s34, v50
	v_addc_co_u32_e32 v3, vcc, 0, v1, vcc
	v_add_co_u32_e32 v4, vcc, 0x1000, v2
	v_addc_co_u32_e32 v5, vcc, 0, v3, vcc
	flat_load_dword v6, v[2:3]
	flat_load_dword v7, v[2:3] offset:1024
	flat_load_dword v8, v[2:3] offset:2048
	;; [unrolled: 1-line block ×3, first 2 shown]
	flat_load_dword v10, v[4:5]
	flat_load_dword v11, v[4:5] offset:1024
	flat_load_dword v12, v[4:5] offset:2048
	;; [unrolled: 1-line block ×3, first 2 shown]
	v_add_co_u32_e32 v4, vcc, 0x2000, v2
	v_addc_co_u32_e32 v5, vcc, 0, v3, vcc
	v_add_co_u32_e32 v2, vcc, 0x3000, v2
	v_addc_co_u32_e32 v3, vcc, 0, v3, vcc
	flat_load_dword v14, v[4:5]
	flat_load_dword v15, v[4:5] offset:1024
	flat_load_dword v16, v[4:5] offset:2048
	;; [unrolled: 1-line block ×3, first 2 shown]
	flat_load_dword v18, v[2:3]
	flat_load_dword v19, v[2:3] offset:1024
	v_mad_u32_u24 v1, v0, 52, v50
	s_cmp_eq_u64 s[48:49], 0
	s_waitcnt vmcnt(0) lgkmcnt(0)
	ds_write2st64_b32 v50, v6, v7 offset1:4
	ds_write2st64_b32 v50, v8, v9 offset0:8 offset1:12
	ds_write2st64_b32 v50, v10, v11 offset0:16 offset1:20
	;; [unrolled: 1-line block ×6, first 2 shown]
	s_waitcnt lgkmcnt(0)
	s_barrier
	ds_read2_b64 v[2:5], v1 offset1:1
	ds_read2_b64 v[10:13], v1 offset0:2 offset1:3
	ds_read2_b64 v[18:21], v1 offset0:4 offset1:5
	ds_read_b64 v[6:7], v1 offset:48
	s_cbranch_scc1 .LBB1872_96
; %bb.92:
	s_andn2_b64 vcc, exec, s[40:41]
	s_cbranch_vccnz .LBB1872_204
; %bb.93:
	s_lshl_b64 s[2:3], s[48:49], 2
	s_add_u32 s2, s50, s2
	s_addc_u32 s3, s51, s3
	s_add_u32 s2, s2, -4
	s_addc_u32 s3, s3, -1
	s_cbranch_execnz .LBB1872_95
.LBB1872_94:
	s_add_u32 s2, s34, -4
	s_addc_u32 s3, s35, -1
.LBB1872_95:
	s_mov_b64 s[34:35], s[2:3]
.LBB1872_96:
	v_pk_mov_b32 v[8:9], s[34:35], s[34:35] op_sel:[0,1]
	flat_load_dword v8, v[8:9]
	s_movk_i32 s2, 0xffcc
	v_mad_i32_i24 v9, v0, s2, v1
	v_cmp_ne_u32_e32 vcc, 0, v0
	s_waitcnt lgkmcnt(0)
	ds_write_b32 v9, v7 offset:14336
	s_waitcnt lgkmcnt(0)
	s_barrier
	s_and_saveexec_b64 s[2:3], vcc
	s_cbranch_execz .LBB1872_98
; %bb.97:
	s_waitcnt vmcnt(0)
	v_mul_i32_i24_e32 v8, 0xffffffcc, v0
	v_add_u32_e32 v8, v1, v8
	ds_read_b32 v8, v8 offset:14332
.LBB1872_98:
	s_or_b64 exec, exec, s[2:3]
	v_mov_b32_e32 v9, s55
	v_add_co_u32_e32 v14, vcc, s7, v50
	v_addc_co_u32_e32 v15, vcc, 0, v9, vcc
	s_movk_i32 s2, 0x1000
	v_add_co_u32_e32 v16, vcc, s2, v14
	v_addc_co_u32_e32 v17, vcc, 0, v15, vcc
	s_movk_i32 s2, 0x2000
	s_waitcnt lgkmcnt(0)
	s_barrier
	flat_load_dword v22, v[14:15]
	flat_load_dword v24, v[14:15] offset:1024
	flat_load_dword v26, v[14:15] offset:2048
	;; [unrolled: 1-line block ×3, first 2 shown]
	flat_load_dword v28, v[16:17]
	flat_load_dword v29, v[16:17] offset:1024
	flat_load_dword v30, v[16:17] offset:2048
	;; [unrolled: 1-line block ×3, first 2 shown]
	v_add_co_u32_e32 v16, vcc, s2, v14
	v_addc_co_u32_e32 v17, vcc, 0, v15, vcc
	s_movk_i32 s2, 0x3000
	v_add_co_u32_e32 v14, vcc, s2, v14
	v_addc_co_u32_e32 v15, vcc, 0, v15, vcc
	flat_load_dword v32, v[16:17]
	flat_load_dword v33, v[16:17] offset:1024
	flat_load_dword v34, v[16:17] offset:2048
	;; [unrolled: 1-line block ×3, first 2 shown]
	flat_load_dword v36, v[14:15]
	flat_load_dword v37, v[14:15] offset:1024
	s_waitcnt vmcnt(0)
	v_cmp_ne_u32_e32 vcc, v8, v2
	v_cndmask_b32_e64 v39, 0, 1, vcc
	v_cmp_ne_u32_e32 vcc, v5, v10
	v_cndmask_b32_e64 v9, 0, 1, vcc
	v_cmp_ne_u32_e32 vcc, v4, v5
	v_cmp_ne_u32_e64 s[2:3], v6, v7
	v_cndmask_b32_e64 v7, 0, 1, vcc
	v_cmp_ne_u32_e32 vcc, v3, v4
	v_cndmask_b32_e64 v5, 0, 1, vcc
	v_cmp_ne_u32_e32 vcc, v2, v3
	;; [unrolled: 2-line block ×10, first 2 shown]
	v_cndmask_b32_e64 v19, 0, 1, vcc
	s_mov_b64 s[18:19], -1
                                        ; implicit-def: $sgpr4_sgpr5
	s_waitcnt lgkmcnt(0)
	ds_write2st64_b32 v50, v22, v24 offset1:4
	ds_write2st64_b32 v50, v26, v27 offset0:8 offset1:12
	ds_write2st64_b32 v50, v28, v29 offset0:16 offset1:20
	ds_write2st64_b32 v50, v30, v31 offset0:24 offset1:28
	ds_write2st64_b32 v50, v32, v33 offset0:32 offset1:36
	ds_write2st64_b32 v50, v34, v35 offset0:40 offset1:44
	ds_write2st64_b32 v50, v36, v37 offset0:48 offset1:52
	s_waitcnt lgkmcnt(0)
	s_barrier
	ds_read2_b32 v[42:43], v1 offset1:13
	ds_read2_b32 v[26:27], v1 offset0:7 offset1:8
	ds_read2_b32 v[28:29], v1 offset0:5 offset1:6
	;; [unrolled: 1-line block ×6, first 2 shown]
	s_waitcnt lgkmcnt(6)
	v_mov_b32_e32 v38, v42
	s_waitcnt lgkmcnt(4)
	v_mov_b32_e32 v10, v28
	;; [unrolled: 2-line block ×4, first 2 shown]
	v_mov_b32_e32 v4, v33
	v_mov_b32_e32 v8, v31
	;; [unrolled: 1-line block ×5, first 2 shown]
	s_waitcnt lgkmcnt(0)
	v_mov_b32_e32 v18, v36
	v_mov_b32_e32 v20, v37
	;; [unrolled: 1-line block ×4, first 2 shown]
.LBB1872_99:
	v_pk_mov_b32 v[40:41], s[4:5], s[4:5] op_sel:[0,1]
	s_and_saveexec_b64 s[4:5], s[18:19]
	s_cbranch_execz .LBB1872_101
; %bb.100:
	v_cndmask_b32_e64 v41, 0, 1, s[2:3]
	s_waitcnt lgkmcnt(0)
	v_mov_b32_e32 v40, v43
.LBB1872_101:
	s_or_b64 exec, exec, s[4:5]
	s_mov_b32 s26, 0
	s_cmp_lg_u32 s6, 0
	v_mbcnt_lo_u32_b32 v52, -1, 0
	v_lshrrev_b32_e32 v1, 6, v0
	v_or_b32_e32 v51, 63, v0
	s_waitcnt lgkmcnt(0)
	s_barrier
	s_cbranch_scc0 .LBB1872_130
; %bb.102:
	s_mov_b32 s27, 1
	v_cmp_gt_u64_e64 s[2:3], s[26:27], v[2:3]
	v_cndmask_b32_e64 v27, 0, v38, s[2:3]
	v_add_u32_e32 v27, v27, v2
	v_cmp_gt_u64_e64 s[4:5], s[26:27], v[4:5]
	v_cndmask_b32_e64 v27, 0, v27, s[4:5]
	v_add_u32_e32 v27, v27, v4
	v_cmp_gt_u64_e64 s[30:31], s[26:27], v[6:7]
	v_cndmask_b32_e64 v27, 0, v27, s[30:31]
	v_add_u32_e32 v27, v27, v6
	v_cmp_gt_u64_e64 s[8:9], s[26:27], v[8:9]
	v_cndmask_b32_e64 v27, 0, v27, s[8:9]
	v_add_u32_e32 v27, v27, v8
	v_cmp_gt_u64_e64 s[10:11], s[26:27], v[10:11]
	v_cndmask_b32_e64 v27, 0, v27, s[10:11]
	v_add_u32_e32 v27, v27, v10
	v_cmp_gt_u64_e64 s[12:13], s[26:27], v[12:13]
	v_cndmask_b32_e64 v27, 0, v27, s[12:13]
	v_add_u32_e32 v27, v27, v12
	v_cmp_gt_u64_e64 s[14:15], s[26:27], v[14:15]
	v_cndmask_b32_e64 v27, 0, v27, s[14:15]
	v_add_u32_e32 v27, v27, v14
	v_cmp_gt_u64_e64 s[16:17], s[26:27], v[16:17]
	v_cndmask_b32_e64 v27, 0, v27, s[16:17]
	v_add_u32_e32 v27, v27, v16
	v_cmp_gt_u64_e64 s[18:19], s[26:27], v[18:19]
	v_cndmask_b32_e64 v27, 0, v27, s[18:19]
	v_add_u32_e32 v27, v27, v18
	v_cmp_gt_u64_e64 s[20:21], s[26:27], v[20:21]
	v_cndmask_b32_e64 v27, 0, v27, s[20:21]
	v_add_u32_e32 v27, v27, v20
	v_cmp_gt_u64_e64 s[22:23], s[26:27], v[22:23]
	v_cndmask_b32_e64 v27, 0, v27, s[22:23]
	v_add_u32_e32 v27, v27, v22
	v_cmp_gt_u64_e64 s[24:25], s[26:27], v[24:25]
	v_cndmask_b32_e64 v27, 0, v27, s[24:25]
	v_add_u32_e32 v27, v27, v24
	v_cmp_gt_u64_e64 s[26:27], s[26:27], v[40:41]
	v_cndmask_b32_e64 v27, 0, v27, s[26:27]
	v_add_u32_e32 v28, v27, v40
	v_or3_b32 v27, v41, v25, v23
	v_or3_b32 v27, v27, v21, v19
	;; [unrolled: 1-line block ×6, first 2 shown]
	v_mov_b32_e32 v26, 0
	v_and_b32_e32 v27, 1, v27
	v_cmp_eq_u64_e32 vcc, 0, v[26:27]
	v_cndmask_b32_e32 v26, 1, v39, vcc
	v_mbcnt_hi_u32_b32 v46, -1, v52
	v_mov_b32_dpp v29, v28 row_shr:1 row_mask:0xf bank_mask:0xf
	v_mov_b32_dpp v30, v26 row_shr:1 row_mask:0xf bank_mask:0xf
	v_cmp_eq_u32_e32 vcc, 0, v26
	v_and_b32_e32 v31, 1, v26
	v_and_b32_e32 v27, 15, v46
	v_cndmask_b32_e32 v29, 0, v29, vcc
	v_and_b32_e32 v30, 1, v30
	v_cmp_eq_u32_e32 vcc, 1, v31
	v_cndmask_b32_e64 v30, v30, 1, vcc
	v_cmp_eq_u32_e32 vcc, 0, v27
	v_cndmask_b32_e32 v26, v30, v26, vcc
	v_and_b32_e32 v31, 1, v26
	v_cmp_eq_u32_e64 s[28:29], 1, v31
	v_mov_b32_dpp v30, v26 row_shr:2 row_mask:0xf bank_mask:0xf
	v_and_b32_e32 v30, 1, v30
	v_cndmask_b32_e64 v30, v30, 1, s[28:29]
	v_cmp_lt_u32_e64 s[28:29], 1, v27
	v_cndmask_b32_e64 v29, v29, 0, vcc
	v_cmp_eq_u32_e32 vcc, 0, v26
	v_cndmask_b32_e64 v26, v26, v30, s[28:29]
	v_add_u32_e32 v28, v29, v28
	v_and_b32_e32 v31, 1, v26
	v_mov_b32_dpp v30, v26 row_shr:4 row_mask:0xf bank_mask:0xf
	v_mov_b32_dpp v29, v28 row_shr:2 row_mask:0xf bank_mask:0xf
	s_and_b64 vcc, s[28:29], vcc
	v_and_b32_e32 v30, 1, v30
	v_cmp_eq_u32_e64 s[28:29], 1, v31
	v_cndmask_b32_e32 v29, 0, v29, vcc
	v_cndmask_b32_e64 v30, v30, 1, s[28:29]
	v_cmp_lt_u32_e64 s[28:29], 3, v27
	v_add_u32_e32 v28, v29, v28
	v_cmp_eq_u32_e32 vcc, 0, v26
	v_cndmask_b32_e64 v26, v26, v30, s[28:29]
	v_mov_b32_dpp v29, v28 row_shr:4 row_mask:0xf bank_mask:0xf
	s_and_b64 vcc, s[28:29], vcc
	v_mov_b32_dpp v30, v26 row_shr:8 row_mask:0xf bank_mask:0xf
	v_and_b32_e32 v31, 1, v26
	v_cndmask_b32_e32 v29, 0, v29, vcc
	v_and_b32_e32 v30, 1, v30
	v_cmp_eq_u32_e64 s[28:29], 1, v31
	v_add_u32_e32 v28, v29, v28
	v_cmp_eq_u32_e32 vcc, 0, v26
	v_cndmask_b32_e64 v30, v30, 1, s[28:29]
	v_cmp_lt_u32_e64 s[28:29], 7, v27
	v_mov_b32_dpp v29, v28 row_shr:8 row_mask:0xf bank_mask:0xf
	s_and_b64 vcc, s[28:29], vcc
	v_cndmask_b32_e32 v27, 0, v29, vcc
	v_cndmask_b32_e64 v26, v26, v30, s[28:29]
	v_add_u32_e32 v27, v27, v28
	v_cmp_eq_u32_e32 vcc, 0, v26
	v_mov_b32_dpp v29, v26 row_bcast:15 row_mask:0xf bank_mask:0xf
	v_mov_b32_dpp v28, v27 row_bcast:15 row_mask:0xf bank_mask:0xf
	v_and_b32_e32 v32, 1, v26
	v_and_b32_e32 v31, 16, v46
	v_cndmask_b32_e32 v28, 0, v28, vcc
	v_and_b32_e32 v29, 1, v29
	v_cmp_eq_u32_e32 vcc, 1, v32
	v_bfe_i32 v30, v46, 4, 1
	v_cndmask_b32_e64 v29, v29, 1, vcc
	v_cmp_eq_u32_e32 vcc, 0, v31
	v_and_b32_e32 v28, v30, v28
	v_cndmask_b32_e32 v26, v29, v26, vcc
	v_add_u32_e32 v27, v28, v27
	v_and_b32_e32 v30, 1, v26
	v_mov_b32_dpp v28, v26 row_bcast:31 row_mask:0xf bank_mask:0xf
	v_and_b32_e32 v28, 1, v28
	v_cmp_eq_u32_e64 s[28:29], 1, v30
	v_cmp_eq_u32_e32 vcc, 0, v26
	v_cndmask_b32_e64 v28, v28, 1, s[28:29]
	v_cmp_lt_u32_e64 s[28:29], 31, v46
	v_mov_b32_dpp v29, v27 row_bcast:31 row_mask:0xf bank_mask:0xf
	s_and_b64 vcc, s[28:29], vcc
	v_cndmask_b32_e64 v28, v26, v28, s[28:29]
	v_cndmask_b32_e32 v26, 0, v29, vcc
	v_add_u32_e32 v29, v26, v27
	v_cmp_eq_u32_e32 vcc, v51, v0
	s_and_saveexec_b64 s[28:29], vcc
	s_cbranch_execz .LBB1872_104
; %bb.103:
	v_lshlrev_b32_e32 v26, 3, v1
	ds_write_b32 v26, v29
	ds_write_b8 v26, v28 offset:4
.LBB1872_104:
	s_or_b64 exec, exec, s[28:29]
	v_cmp_gt_u32_e32 vcc, 4, v0
	s_waitcnt lgkmcnt(0)
	s_barrier
	s_and_saveexec_b64 s[28:29], vcc
	s_cbranch_execz .LBB1872_108
; %bb.105:
	v_lshlrev_b32_e32 v30, 3, v0
	ds_read_b64 v[26:27], v30
	v_and_b32_e32 v31, 3, v46
	v_cmp_ne_u32_e32 vcc, 0, v31
	s_waitcnt lgkmcnt(0)
	v_mov_b32_dpp v32, v26 row_shr:1 row_mask:0xf bank_mask:0xf
	v_mov_b32_dpp v34, v27 row_shr:1 row_mask:0xf bank_mask:0xf
	v_mov_b32_e32 v33, v27
	s_and_saveexec_b64 s[34:35], vcc
	s_cbranch_execz .LBB1872_107
; %bb.106:
	v_and_b32_e32 v33, 1, v27
	v_and_b32_e32 v34, 1, v34
	v_cmp_eq_u32_e32 vcc, 1, v33
	v_mov_b32_e32 v33, 0
	v_cndmask_b32_e64 v34, v34, 1, vcc
	v_cmp_eq_u16_sdwa vcc, v27, v33 src0_sel:BYTE_0 src1_sel:DWORD
	v_cndmask_b32_e32 v32, 0, v32, vcc
	v_add_u32_e32 v26, v32, v26
	v_and_b32_e32 v32, 0xffff, v34
	s_movk_i32 s7, 0xff00
	v_and_or_b32 v33, v27, s7, v32
	v_mov_b32_e32 v27, v34
.LBB1872_107:
	s_or_b64 exec, exec, s[34:35]
	v_mov_b32_dpp v33, v33 row_shr:2 row_mask:0xf bank_mask:0xf
	v_and_b32_e32 v34, 1, v27
	v_and_b32_e32 v33, 1, v33
	v_cmp_eq_u32_e32 vcc, 1, v34
	v_mov_b32_e32 v34, 0
	v_cndmask_b32_e64 v33, v33, 1, vcc
	v_cmp_eq_u16_sdwa s[34:35], v27, v34 src0_sel:BYTE_0 src1_sel:DWORD
	v_cmp_lt_u32_e32 vcc, 1, v31
	v_mov_b32_dpp v32, v26 row_shr:2 row_mask:0xf bank_mask:0xf
	v_cndmask_b32_e32 v27, v27, v33, vcc
	s_and_b64 vcc, vcc, s[34:35]
	v_cndmask_b32_e32 v31, 0, v32, vcc
	v_add_u32_e32 v26, v31, v26
	ds_write_b32 v30, v26
	ds_write_b8 v30, v27 offset:4
.LBB1872_108:
	s_or_b64 exec, exec, s[28:29]
	v_cmp_gt_u32_e32 vcc, 64, v0
	v_cmp_lt_u32_e64 s[28:29], 63, v0
	v_mov_b32_e32 v42, 0
	v_mov_b32_e32 v43, 0
	s_waitcnt lgkmcnt(0)
	s_barrier
	s_and_saveexec_b64 s[34:35], s[28:29]
	s_cbranch_execz .LBB1872_110
; %bb.109:
	v_lshl_add_u32 v26, v1, 3, -8
	ds_read_b32 v42, v26
	ds_read_u8 v43, v26 offset:4
	v_and_b32_e32 v27, 1, v28
	v_cmp_eq_u32_e64 s[28:29], 0, v28
	s_waitcnt lgkmcnt(1)
	v_cndmask_b32_e64 v26, 0, v42, s[28:29]
	v_cmp_eq_u32_e64 s[28:29], 1, v27
	v_add_u32_e32 v29, v26, v29
	s_waitcnt lgkmcnt(0)
	v_cndmask_b32_e64 v28, v43, 1, s[28:29]
.LBB1872_110:
	s_or_b64 exec, exec, s[34:35]
	v_add_u32_e32 v26, -1, v46
	v_and_b32_e32 v27, 64, v46
	v_cmp_lt_i32_e64 s[28:29], v26, v27
	v_cndmask_b32_e64 v26, v26, v46, s[28:29]
	v_lshlrev_b32_e32 v26, 2, v26
	ds_bpermute_b32 v44, v26, v29
	ds_bpermute_b32 v45, v26, v28
	v_cmp_eq_u32_e64 s[28:29], 0, v46
	s_and_saveexec_b64 s[40:41], vcc
	s_cbranch_execz .LBB1872_129
; %bb.111:
	v_mov_b32_e32 v29, 0
	ds_read_b64 v[26:27], v29 offset:24
	s_waitcnt lgkmcnt(0)
	v_readfirstlane_b32 s7, v27
	s_and_saveexec_b64 s[34:35], s[28:29]
	s_cbranch_execz .LBB1872_113
; %bb.112:
	s_add_i32 s44, s6, 64
	s_mov_b32 s45, 0
	s_lshl_b64 s[48:49], s[44:45], 4
	s_add_u32 s48, s52, s48
	s_addc_u32 s49, s53, s49
	s_and_b32 s51, s7, 0xff000000
	s_mov_b32 s50, s45
	s_and_b32 s59, s7, 0xff0000
	s_mov_b32 s58, s45
	s_or_b64 s[50:51], s[58:59], s[50:51]
	s_and_b32 s59, s7, 0xff00
	s_or_b64 s[50:51], s[50:51], s[58:59]
	s_and_b32 s59, s7, 0xff
	s_or_b64 s[44:45], s[50:51], s[58:59]
	v_mov_b32_e32 v27, s45
	v_mov_b32_e32 v28, 1
	v_pk_mov_b32 v[30:31], s[48:49], s[48:49] op_sel:[0,1]
	;;#ASMSTART
	global_store_dwordx4 v[30:31], v[26:29] off	
s_waitcnt vmcnt(0)
	;;#ASMEND
.LBB1872_113:
	s_or_b64 exec, exec, s[34:35]
	v_xad_u32 v34, v46, -1, s6
	v_add_u32_e32 v28, 64, v34
	v_lshlrev_b64 v[30:31], 4, v[28:29]
	v_mov_b32_e32 v27, s53
	v_add_co_u32_e32 v36, vcc, s52, v30
	v_addc_co_u32_e32 v37, vcc, v27, v31, vcc
	;;#ASMSTART
	global_load_dwordx4 v[30:33], v[36:37] off glc	
s_waitcnt vmcnt(0)
	;;#ASMEND
	v_and_b32_e32 v27, 0xff0000, v30
	v_or_b32_sdwa v27, v30, v27 dst_sel:DWORD dst_unused:UNUSED_PAD src0_sel:WORD_0 src1_sel:DWORD
	v_and_b32_e32 v28, 0xff000000, v30
	v_and_b32_e32 v30, 0xff, v31
	v_or3_b32 v31, 0, 0, v30
	v_or3_b32 v30, v27, v28, 0
	v_cmp_eq_u16_sdwa s[44:45], v32, v29 src0_sel:BYTE_0 src1_sel:DWORD
	s_and_saveexec_b64 s[34:35], s[44:45]
	s_cbranch_execz .LBB1872_117
; %bb.114:
	s_mov_b64 s[44:45], 0
	v_mov_b32_e32 v27, 0
.LBB1872_115:                           ; =>This Inner Loop Header: Depth=1
	;;#ASMSTART
	global_load_dwordx4 v[30:33], v[36:37] off glc	
s_waitcnt vmcnt(0)
	;;#ASMEND
	v_cmp_ne_u16_sdwa s[48:49], v32, v27 src0_sel:BYTE_0 src1_sel:DWORD
	s_or_b64 s[44:45], s[48:49], s[44:45]
	s_andn2_b64 exec, exec, s[44:45]
	s_cbranch_execnz .LBB1872_115
; %bb.116:
	s_or_b64 exec, exec, s[44:45]
	v_and_b32_e32 v31, 0xff, v31
.LBB1872_117:
	s_or_b64 exec, exec, s[34:35]
	v_mov_b32_e32 v27, 2
	v_cmp_eq_u16_sdwa s[34:35], v32, v27 src0_sel:BYTE_0 src1_sel:DWORD
	v_lshlrev_b64 v[28:29], v46, -1
	v_and_b32_e32 v33, s35, v29
	v_or_b32_e32 v33, 0x80000000, v33
	v_and_b32_e32 v35, s34, v28
	v_ffbl_b32_e32 v33, v33
	v_and_b32_e32 v47, 63, v46
	v_add_u32_e32 v33, 32, v33
	v_ffbl_b32_e32 v35, v35
	v_cmp_ne_u32_e32 vcc, 63, v47
	v_min_u32_e32 v33, v35, v33
	v_addc_co_u32_e32 v35, vcc, 0, v46, vcc
	v_lshlrev_b32_e32 v48, 2, v35
	ds_bpermute_b32 v35, v48, v31
	ds_bpermute_b32 v36, v48, v30
	s_mov_b32 s44, 0
	v_and_b32_e32 v37, 1, v31
	s_mov_b32 s45, 1
	s_waitcnt lgkmcnt(1)
	v_and_b32_e32 v35, 1, v35
	v_cmp_eq_u32_e32 vcc, 1, v37
	v_cndmask_b32_e64 v35, v35, 1, vcc
	v_cmp_gt_u64_e32 vcc, s[44:45], v[30:31]
	v_cmp_lt_u32_e64 s[34:35], v47, v33
	s_and_b64 vcc, s[34:35], vcc
	v_and_b32_e32 v37, 0xffff, v35
	v_cndmask_b32_e64 v54, v31, v35, s[34:35]
	s_waitcnt lgkmcnt(0)
	v_cndmask_b32_e32 v35, 0, v36, vcc
	v_cmp_gt_u32_e32 vcc, 62, v47
	v_cndmask_b32_e64 v36, 0, 1, vcc
	v_lshlrev_b32_e32 v36, 1, v36
	v_cndmask_b32_e64 v31, v31, v37, s[34:35]
	v_add_lshl_u32 v49, v36, v46, 2
	ds_bpermute_b32 v36, v49, v31
	v_add_u32_e32 v30, v35, v30
	ds_bpermute_b32 v37, v49, v30
	v_and_b32_e32 v35, 1, v54
	v_cmp_eq_u32_e32 vcc, 1, v35
	s_waitcnt lgkmcnt(1)
	v_and_b32_e32 v36, 1, v36
	v_mov_b32_e32 v35, 0
	v_add_u32_e32 v53, 2, v47
	v_cndmask_b32_e64 v36, v36, 1, vcc
	v_cmp_eq_u16_sdwa vcc, v54, v35 src0_sel:BYTE_0 src1_sel:DWORD
	v_and_b32_e32 v55, 0xffff, v36
	s_waitcnt lgkmcnt(0)
	v_cndmask_b32_e32 v37, 0, v37, vcc
	v_cmp_gt_u32_e32 vcc, v53, v33
	v_cndmask_b32_e32 v36, v36, v54, vcc
	v_cndmask_b32_e64 v37, v37, 0, vcc
	v_cndmask_b32_e32 v31, v55, v31, vcc
	v_cmp_gt_u32_e32 vcc, 60, v47
	v_cndmask_b32_e64 v54, 0, 1, vcc
	v_lshlrev_b32_e32 v54, 2, v54
	v_add_lshl_u32 v54, v54, v46, 2
	ds_bpermute_b32 v56, v54, v31
	v_add_u32_e32 v30, v37, v30
	ds_bpermute_b32 v37, v54, v30
	v_and_b32_e32 v57, 1, v36
	v_cmp_eq_u32_e32 vcc, 1, v57
	s_waitcnt lgkmcnt(1)
	v_and_b32_e32 v56, 1, v56
	v_add_u32_e32 v55, 4, v47
	v_cndmask_b32_e64 v56, v56, 1, vcc
	v_cmp_eq_u16_sdwa vcc, v36, v35 src0_sel:BYTE_0 src1_sel:DWORD
	v_and_b32_e32 v57, 0xffff, v56
	s_waitcnt lgkmcnt(0)
	v_cndmask_b32_e32 v37, 0, v37, vcc
	v_cmp_gt_u32_e32 vcc, v55, v33
	v_cndmask_b32_e32 v36, v56, v36, vcc
	v_cndmask_b32_e64 v37, v37, 0, vcc
	v_cndmask_b32_e32 v31, v57, v31, vcc
	v_cmp_gt_u32_e32 vcc, 56, v47
	v_cndmask_b32_e64 v56, 0, 1, vcc
	v_lshlrev_b32_e32 v56, 3, v56
	v_add_lshl_u32 v56, v56, v46, 2
	ds_bpermute_b32 v58, v56, v31
	v_add_u32_e32 v30, v37, v30
	ds_bpermute_b32 v37, v56, v30
	v_and_b32_e32 v59, 1, v36
	v_cmp_eq_u32_e32 vcc, 1, v59
	s_waitcnt lgkmcnt(1)
	v_and_b32_e32 v58, 1, v58
	;; [unrolled: 21-line block ×4, first 2 shown]
	v_add_u32_e32 v62, 32, v47
	v_cndmask_b32_e64 v31, v31, 1, vcc
	v_cmp_eq_u16_sdwa vcc, v36, v35 src0_sel:BYTE_0 src1_sel:DWORD
	s_waitcnt lgkmcnt(0)
	v_cndmask_b32_e32 v37, 0, v37, vcc
	v_cmp_gt_u32_e32 vcc, v62, v33
	v_cndmask_b32_e64 v33, v37, 0, vcc
	v_cndmask_b32_e32 v31, v31, v36, vcc
	v_add_u32_e32 v30, v33, v30
	s_branch .LBB1872_119
.LBB1872_118:                           ;   in Loop: Header=BB1872_119 Depth=1
	s_or_b64 exec, exec, s[34:35]
	v_cmp_eq_u16_sdwa s[34:35], v32, v27 src0_sel:BYTE_0 src1_sel:DWORD
	v_and_b32_e32 v33, s35, v29
	ds_bpermute_b32 v37, v48, v31
	v_or_b32_e32 v33, 0x80000000, v33
	v_and_b32_e32 v36, s34, v28
	v_ffbl_b32_e32 v33, v33
	v_add_u32_e32 v33, 32, v33
	v_ffbl_b32_e32 v36, v36
	v_min_u32_e32 v33, v36, v33
	ds_bpermute_b32 v36, v48, v30
	v_and_b32_e32 v63, 1, v31
	s_waitcnt lgkmcnt(1)
	v_and_b32_e32 v37, 1, v37
	v_cmp_eq_u32_e32 vcc, 1, v63
	v_cndmask_b32_e64 v37, v37, 1, vcc
	v_cmp_gt_u64_e32 vcc, s[44:45], v[30:31]
	v_and_b32_e32 v63, 0xffff, v37
	v_cmp_lt_u32_e64 s[34:35], v47, v33
	v_cndmask_b32_e64 v37, v31, v37, s[34:35]
	v_cndmask_b32_e64 v31, v31, v63, s[34:35]
	s_and_b64 vcc, s[34:35], vcc
	ds_bpermute_b32 v63, v49, v31
	s_waitcnt lgkmcnt(1)
	v_cndmask_b32_e32 v36, 0, v36, vcc
	v_add_u32_e32 v30, v36, v30
	ds_bpermute_b32 v36, v49, v30
	v_and_b32_e32 v64, 1, v37
	s_waitcnt lgkmcnt(1)
	v_and_b32_e32 v63, 1, v63
	v_cmp_eq_u32_e32 vcc, 1, v64
	v_cndmask_b32_e64 v63, v63, 1, vcc
	v_cmp_eq_u16_sdwa vcc, v37, v35 src0_sel:BYTE_0 src1_sel:DWORD
	v_and_b32_e32 v64, 0xffff, v63
	s_waitcnt lgkmcnt(0)
	v_cndmask_b32_e32 v36, 0, v36, vcc
	v_cmp_gt_u32_e32 vcc, v53, v33
	v_cndmask_b32_e32 v31, v64, v31, vcc
	v_cndmask_b32_e32 v37, v63, v37, vcc
	ds_bpermute_b32 v63, v54, v31
	v_cndmask_b32_e64 v36, v36, 0, vcc
	v_add_u32_e32 v30, v36, v30
	ds_bpermute_b32 v36, v54, v30
	v_and_b32_e32 v64, 1, v37
	s_waitcnt lgkmcnt(1)
	v_and_b32_e32 v63, 1, v63
	v_cmp_eq_u32_e32 vcc, 1, v64
	v_cndmask_b32_e64 v63, v63, 1, vcc
	v_cmp_eq_u16_sdwa vcc, v37, v35 src0_sel:BYTE_0 src1_sel:DWORD
	v_and_b32_e32 v64, 0xffff, v63
	s_waitcnt lgkmcnt(0)
	v_cndmask_b32_e32 v36, 0, v36, vcc
	v_cmp_gt_u32_e32 vcc, v55, v33
	v_cndmask_b32_e32 v31, v64, v31, vcc
	v_cndmask_b32_e32 v37, v63, v37, vcc
	ds_bpermute_b32 v63, v56, v31
	v_cndmask_b32_e64 v36, v36, 0, vcc
	;; [unrolled: 16-line block ×3, first 2 shown]
	v_add_u32_e32 v30, v36, v30
	ds_bpermute_b32 v36, v58, v30
	v_and_b32_e32 v64, 1, v37
	s_waitcnt lgkmcnt(1)
	v_and_b32_e32 v63, 1, v63
	v_cmp_eq_u32_e32 vcc, 1, v64
	v_cndmask_b32_e64 v63, v63, 1, vcc
	v_cmp_eq_u16_sdwa vcc, v37, v35 src0_sel:BYTE_0 src1_sel:DWORD
	v_and_b32_e32 v64, 0xffff, v63
	s_waitcnt lgkmcnt(0)
	v_cndmask_b32_e32 v36, 0, v36, vcc
	v_cmp_gt_u32_e32 vcc, v59, v33
	v_cndmask_b32_e64 v36, v36, 0, vcc
	v_cndmask_b32_e32 v31, v64, v31, vcc
	ds_bpermute_b32 v31, v61, v31
	v_add_u32_e32 v30, v36, v30
	ds_bpermute_b32 v36, v61, v30
	v_cndmask_b32_e32 v37, v63, v37, vcc
	v_and_b32_e32 v63, 1, v37
	v_cmp_eq_u32_e32 vcc, 1, v63
	s_waitcnt lgkmcnt(1)
	v_cndmask_b32_e64 v31, v31, 1, vcc
	v_cmp_eq_u16_sdwa vcc, v37, v35 src0_sel:BYTE_0 src1_sel:DWORD
	s_waitcnt lgkmcnt(0)
	v_cndmask_b32_e32 v36, 0, v36, vcc
	v_cmp_gt_u32_e32 vcc, v62, v33
	v_cndmask_b32_e64 v33, v36, 0, vcc
	v_cndmask_b32_e32 v31, v31, v37, vcc
	v_add_u32_e32 v30, v33, v30
	v_cmp_eq_u16_sdwa vcc, v46, v35 src0_sel:BYTE_0 src1_sel:DWORD
	v_and_b32_e32 v33, 1, v46
	v_cndmask_b32_e32 v30, 0, v30, vcc
	v_and_b32_e32 v31, 1, v31
	v_cmp_eq_u32_e32 vcc, 1, v33
	v_subrev_u32_e32 v34, 64, v34
	v_add_u32_e32 v30, v30, v60
	v_cndmask_b32_e64 v31, v31, 1, vcc
.LBB1872_119:                           ; =>This Loop Header: Depth=1
                                        ;     Child Loop BB1872_122 Depth 2
	v_cmp_ne_u16_sdwa s[34:35], v32, v27 src0_sel:BYTE_0 src1_sel:DWORD
	v_mov_b32_e32 v46, v31
	v_cndmask_b32_e64 v31, 0, 1, s[34:35]
	;;#ASMSTART
	;;#ASMEND
	v_cmp_ne_u32_e32 vcc, 0, v31
	s_cmp_lg_u64 vcc, exec
	v_mov_b32_e32 v60, v30
	s_cbranch_scc1 .LBB1872_124
; %bb.120:                              ;   in Loop: Header=BB1872_119 Depth=1
	v_lshlrev_b64 v[30:31], 4, v[34:35]
	v_mov_b32_e32 v32, s53
	v_add_co_u32_e32 v36, vcc, s52, v30
	v_addc_co_u32_e32 v37, vcc, v32, v31, vcc
	;;#ASMSTART
	global_load_dwordx4 v[30:33], v[36:37] off glc	
s_waitcnt vmcnt(0)
	;;#ASMEND
	v_and_b32_e32 v33, 0xff0000, v30
	v_or_b32_sdwa v33, v30, v33 dst_sel:DWORD dst_unused:UNUSED_PAD src0_sel:WORD_0 src1_sel:DWORD
	v_and_b32_e32 v30, 0xff000000, v30
	v_and_b32_e32 v31, 0xff, v31
	v_or3_b32 v31, 0, 0, v31
	v_or3_b32 v30, v33, v30, 0
	v_cmp_eq_u16_sdwa s[48:49], v32, v35 src0_sel:BYTE_0 src1_sel:DWORD
	s_and_saveexec_b64 s[34:35], s[48:49]
	s_cbranch_execz .LBB1872_118
; %bb.121:                              ;   in Loop: Header=BB1872_119 Depth=1
	s_mov_b64 s[48:49], 0
.LBB1872_122:                           ;   Parent Loop BB1872_119 Depth=1
                                        ; =>  This Inner Loop Header: Depth=2
	;;#ASMSTART
	global_load_dwordx4 v[30:33], v[36:37] off glc	
s_waitcnt vmcnt(0)
	;;#ASMEND
	v_cmp_ne_u16_sdwa s[50:51], v32, v35 src0_sel:BYTE_0 src1_sel:DWORD
	s_or_b64 s[48:49], s[50:51], s[48:49]
	s_andn2_b64 exec, exec, s[48:49]
	s_cbranch_execnz .LBB1872_122
; %bb.123:                              ;   in Loop: Header=BB1872_119 Depth=1
	s_or_b64 exec, exec, s[48:49]
	v_and_b32_e32 v31, 0xff, v31
	s_branch .LBB1872_118
.LBB1872_124:                           ;   in Loop: Header=BB1872_119 Depth=1
                                        ; implicit-def: $vgpr31
                                        ; implicit-def: $vgpr30
                                        ; implicit-def: $vgpr32
	s_cbranch_execz .LBB1872_119
; %bb.125:
	s_and_saveexec_b64 s[34:35], s[28:29]
	s_cbranch_execz .LBB1872_127
; %bb.126:
	s_and_b32 s44, s7, 0xff
	s_cmp_eq_u32 s44, 0
	s_cselect_b64 vcc, -1, 0
	s_bitcmp1_b32 s7, 0
	s_mov_b32 s45, 0
	s_cselect_b64 s[48:49], -1, 0
	s_add_i32 s44, s6, 64
	s_lshl_b64 s[6:7], s[44:45], 4
	v_cndmask_b32_e32 v27, 0, v60, vcc
	s_add_u32 s6, s52, s6
	v_add_u32_e32 v26, v27, v26
	v_and_b32_e32 v27, 1, v46
	s_addc_u32 s7, s53, s7
	v_mov_b32_e32 v29, 0
	v_cndmask_b32_e64 v27, v27, 1, s[48:49]
	v_mov_b32_e32 v28, 2
	v_pk_mov_b32 v[30:31], s[6:7], s[6:7] op_sel:[0,1]
	;;#ASMSTART
	global_store_dwordx4 v[30:31], v[26:29] off	
s_waitcnt vmcnt(0)
	;;#ASMEND
.LBB1872_127:
	s_or_b64 exec, exec, s[34:35]
	v_cmp_eq_u32_e32 vcc, 0, v0
	s_and_b64 exec, exec, vcc
	s_cbranch_execz .LBB1872_129
; %bb.128:
	v_mov_b32_e32 v26, 0
	ds_write_b32 v26, v60 offset:24
	ds_write_b8 v26, v46 offset:28
.LBB1872_129:
	s_or_b64 exec, exec, s[40:41]
	s_mov_b32 s6, 0
	v_mov_b32_e32 v28, 0
	s_mov_b32 s7, 1
	s_waitcnt lgkmcnt(0)
	v_cndmask_b32_e64 v26, v45, v43, s[28:29]
	v_cndmask_b32_e64 v27, v44, v42, s[28:29]
	s_barrier
	ds_read_b32 v29, v28 offset:24
	v_cmp_gt_u64_e32 vcc, s[6:7], v[38:39]
	v_and_b32_e32 v30, 1, v39
	v_cndmask_b32_e32 v27, 0, v27, vcc
	v_and_b32_e32 v26, 1, v26
	v_cmp_eq_u32_e32 vcc, 1, v30
	v_cndmask_b32_e64 v26, v26, 1, vcc
	v_cmp_eq_u32_e32 vcc, 0, v0
	v_cndmask_b32_e32 v26, v26, v39, vcc
	v_cndmask_b32_e64 v27, v27, 0, vcc
	v_cmp_eq_u16_sdwa vcc, v26, v28 src0_sel:BYTE_0 src1_sel:DWORD
	s_waitcnt lgkmcnt(0)
	v_cndmask_b32_e32 v26, 0, v29, vcc
	v_add3_u32 v26, v27, v38, v26
	v_cndmask_b32_e64 v27, 0, v26, s[2:3]
	v_add_u32_e32 v27, v27, v2
	v_cndmask_b32_e64 v28, 0, v27, s[4:5]
	v_add_u32_e32 v42, v28, v4
	;; [unrolled: 2-line block ×13, first 2 shown]
	s_branch .LBB1872_146
.LBB1872_130:
                                        ; implicit-def: $vgpr49
                                        ; implicit-def: $vgpr47
                                        ; implicit-def: $vgpr45
                                        ; implicit-def: $vgpr43
                                        ; implicit-def: $vgpr34_vgpr35_vgpr36_vgpr37
                                        ; implicit-def: $vgpr30_vgpr31_vgpr32_vgpr33
                                        ; implicit-def: $vgpr26_vgpr27_vgpr28_vgpr29
	s_cbranch_execz .LBB1872_146
; %bb.131:
	s_cmp_lg_u64 s[56:57], 0
	s_cselect_b32 s5, s47, 0
	s_cselect_b32 s4, s46, 0
	s_cmp_lg_u64 s[4:5], 0
	s_cselect_b64 s[6:7], -1, 0
	v_cmp_eq_u32_e32 vcc, 0, v0
	s_mov_b32 s28, 0
	v_cmp_ne_u32_e64 s[2:3], 0, v0
	s_and_b64 s[8:9], vcc, s[6:7]
	s_and_saveexec_b64 s[6:7], s[8:9]
	s_cbranch_execz .LBB1872_133
; %bb.132:
	v_mov_b32_e32 v26, 0
	global_load_dword v28, v26, s[4:5]
	global_load_ubyte v29, v26, s[4:5] offset:4
	s_mov_b32 s29, 1
	v_and_b32_e32 v27, 1, v39
	v_cmp_gt_u64_e64 s[4:5], s[28:29], v[38:39]
	s_waitcnt vmcnt(1)
	v_cndmask_b32_e64 v28, 0, v28, s[4:5]
	s_waitcnt vmcnt(0)
	v_and_b32_e32 v29, 1, v29
	v_cmp_eq_u64_e64 s[4:5], 0, v[26:27]
	v_add_u32_e32 v38, v28, v38
	v_cndmask_b32_e64 v39, 1, v29, s[4:5]
.LBB1872_133:
	s_or_b64 exec, exec, s[6:7]
	s_mov_b32 s29, 1
	v_cmp_gt_u64_e64 s[4:5], s[28:29], v[2:3]
	v_cndmask_b32_e64 v26, 0, v38, s[4:5]
	v_add_u32_e32 v27, v26, v2
	v_cmp_gt_u64_e64 s[6:7], s[28:29], v[4:5]
	v_cndmask_b32_e64 v26, 0, v27, s[6:7]
	v_add_u32_e32 v42, v26, v4
	;; [unrolled: 3-line block ×7, first 2 shown]
	v_cmp_gt_u64_e64 s[18:19], s[28:29], v[16:17]
	v_mov_b32_e32 v28, 0
	v_cndmask_b32_e64 v26, 0, v45, s[18:19]
	v_or3_b32 v7, v23, v15, v7
	v_add_u32_e32 v34, v26, v16
	v_cmp_gt_u64_e64 s[20:21], s[28:29], v[18:19]
	v_or3_b32 v9, v25, v17, v9
	v_and_b32_e32 v55, 1, v7
	v_mov_b32_e32 v54, v28
	v_cndmask_b32_e64 v26, 0, v34, s[20:21]
	v_or3_b32 v3, v19, v11, v3
	v_and_b32_e32 v37, 1, v9
	v_mov_b32_e32 v36, v28
	v_cmp_ne_u64_e64 s[34:35], 0, v[54:55]
	v_add_u32_e32 v35, v26, v18
	v_cmp_gt_u64_e64 s[22:23], s[28:29], v[20:21]
	v_or3_b32 v5, v21, v13, v5
	v_and_b32_e32 v29, 1, v3
	v_cndmask_b32_e64 v3, 0, 1, s[34:35]
	v_cmp_ne_u64_e64 s[34:35], 0, v[36:37]
	v_cndmask_b32_e64 v26, 0, v35, s[22:23]
	v_and_b32_e32 v33, 1, v5
	v_mov_b32_e32 v32, v28
	v_cndmask_b32_e64 v5, 0, 1, s[34:35]
	v_add_u32_e32 v46, v26, v20
	v_cmp_gt_u64_e64 s[24:25], s[28:29], v[22:23]
	v_lshlrev_b16_e32 v3, 2, v3
	v_lshlrev_b16_e32 v5, 3, v5
	v_cmp_ne_u64_e64 s[34:35], 0, v[32:33]
	v_cndmask_b32_e64 v26, 0, v46, s[24:25]
	v_or_b32_e32 v3, v5, v3
	v_cndmask_b32_e64 v5, 0, 1, s[34:35]
	v_cmp_ne_u64_e64 s[34:35], 0, v[28:29]
	v_add_u32_e32 v47, v26, v22
	v_cmp_gt_u64_e64 s[26:27], s[28:29], v[24:25]
	v_lshlrev_b16_e32 v5, 1, v5
	v_cndmask_b32_e64 v7, 0, 1, s[34:35]
	v_cndmask_b32_e64 v26, 0, v47, s[26:27]
	v_or_b32_e32 v5, v7, v5
	v_add_u32_e32 v48, v26, v24
	v_cmp_gt_u64_e64 s[28:29], s[28:29], v[40:41]
	v_and_b32_e32 v5, 3, v5
	v_cndmask_b32_e64 v26, 0, v48, s[28:29]
	v_or_b32_e32 v3, v5, v3
	v_add_u32_e32 v49, v26, v40
	v_and_b32_e32 v26, 1, v41
	v_and_b32_e32 v3, 15, v3
	v_cmp_eq_u32_e64 s[30:31], 1, v26
	v_cmp_ne_u16_e64 s[34:35], 0, v3
	s_or_b64 s[30:31], s[30:31], s[34:35]
	v_cndmask_b32_e64 v5, v39, 1, s[30:31]
	v_mbcnt_hi_u32_b32 v3, -1, v52
	v_mov_b32_dpp v9, v49 row_shr:1 row_mask:0xf bank_mask:0xf
	v_mov_b32_dpp v11, v5 row_shr:1 row_mask:0xf bank_mask:0xf
	v_cmp_eq_u32_e64 s[30:31], 0, v5
	v_and_b32_e32 v13, 1, v5
	v_and_b32_e32 v7, 15, v3
	v_cndmask_b32_e64 v9, 0, v9, s[30:31]
	v_and_b32_e32 v11, 1, v11
	v_cmp_eq_u32_e64 s[30:31], 1, v13
	v_cndmask_b32_e64 v11, v11, 1, s[30:31]
	v_cmp_eq_u32_e64 s[30:31], 0, v7
	v_cndmask_b32_e64 v5, v11, v5, s[30:31]
	v_and_b32_e32 v15, 1, v5
	v_cmp_eq_u32_e64 s[34:35], 1, v15
	v_mov_b32_dpp v13, v5 row_shr:2 row_mask:0xf bank_mask:0xf
	v_and_b32_e32 v13, 1, v13
	v_cndmask_b32_e64 v13, v13, 1, s[34:35]
	v_cmp_lt_u32_e64 s[34:35], 1, v7
	v_cndmask_b32_e64 v9, v9, 0, s[30:31]
	v_cmp_eq_u32_e64 s[30:31], 0, v5
	v_cndmask_b32_e64 v5, v5, v13, s[34:35]
	v_add_u32_e32 v9, v49, v9
	v_and_b32_e32 v15, 1, v5
	v_mov_b32_dpp v13, v5 row_shr:4 row_mask:0xf bank_mask:0xf
	v_mov_b32_dpp v11, v9 row_shr:2 row_mask:0xf bank_mask:0xf
	s_and_b64 s[30:31], s[34:35], s[30:31]
	v_and_b32_e32 v13, 1, v13
	v_cmp_eq_u32_e64 s[34:35], 1, v15
	v_cndmask_b32_e64 v11, 0, v11, s[30:31]
	v_cndmask_b32_e64 v13, v13, 1, s[34:35]
	v_cmp_lt_u32_e64 s[34:35], 3, v7
	v_add_u32_e32 v9, v9, v11
	v_cmp_eq_u32_e64 s[30:31], 0, v5
	v_cndmask_b32_e64 v5, v5, v13, s[34:35]
	v_mov_b32_dpp v11, v9 row_shr:4 row_mask:0xf bank_mask:0xf
	s_and_b64 s[30:31], s[34:35], s[30:31]
	v_mov_b32_dpp v13, v5 row_shr:8 row_mask:0xf bank_mask:0xf
	v_and_b32_e32 v15, 1, v5
	v_cndmask_b32_e64 v11, 0, v11, s[30:31]
	v_and_b32_e32 v13, 1, v13
	v_cmp_eq_u32_e64 s[34:35], 1, v15
	v_add_u32_e32 v9, v9, v11
	v_cmp_eq_u32_e64 s[30:31], 0, v5
	v_cndmask_b32_e64 v13, v13, 1, s[34:35]
	v_cmp_lt_u32_e64 s[34:35], 7, v7
	v_mov_b32_dpp v11, v9 row_shr:8 row_mask:0xf bank_mask:0xf
	s_and_b64 s[30:31], s[34:35], s[30:31]
	v_cndmask_b32_e64 v7, 0, v11, s[30:31]
	v_cndmask_b32_e64 v5, v5, v13, s[34:35]
	v_add_u32_e32 v7, v9, v7
	v_cmp_eq_u32_e64 s[30:31], 0, v5
	v_mov_b32_dpp v11, v5 row_bcast:15 row_mask:0xf bank_mask:0xf
	v_mov_b32_dpp v9, v7 row_bcast:15 row_mask:0xf bank_mask:0xf
	v_and_b32_e32 v17, 1, v5
	v_and_b32_e32 v15, 16, v3
	v_cndmask_b32_e64 v9, 0, v9, s[30:31]
	v_and_b32_e32 v11, 1, v11
	v_cmp_eq_u32_e64 s[30:31], 1, v17
	v_bfe_i32 v13, v3, 4, 1
	v_cndmask_b32_e64 v11, v11, 1, s[30:31]
	v_cmp_eq_u32_e64 s[30:31], 0, v15
	v_and_b32_e32 v9, v13, v9
	v_cndmask_b32_e64 v5, v11, v5, s[30:31]
	v_add_u32_e32 v9, v7, v9
	v_and_b32_e32 v13, 1, v5
	v_mov_b32_dpp v7, v5 row_bcast:31 row_mask:0xf bank_mask:0xf
	v_and_b32_e32 v7, 1, v7
	v_cmp_eq_u32_e64 s[34:35], 1, v13
	v_cmp_eq_u32_e64 s[30:31], 0, v5
	v_cndmask_b32_e64 v7, v7, 1, s[34:35]
	v_cmp_lt_u32_e64 s[34:35], 31, v3
	v_mov_b32_dpp v11, v9 row_bcast:31 row_mask:0xf bank_mask:0xf
	s_and_b64 s[30:31], s[34:35], s[30:31]
	v_cndmask_b32_e64 v7, v5, v7, s[34:35]
	v_cndmask_b32_e64 v5, 0, v11, s[30:31]
	v_add_u32_e32 v5, v9, v5
	v_cmp_eq_u32_e64 s[30:31], v51, v0
	s_and_saveexec_b64 s[34:35], s[30:31]
	s_cbranch_execz .LBB1872_135
; %bb.134:
	v_lshlrev_b32_e32 v9, 3, v1
	ds_write_b32 v9, v5
	ds_write_b8 v9, v7 offset:4
.LBB1872_135:
	s_or_b64 exec, exec, s[34:35]
	v_cmp_gt_u32_e64 s[30:31], 4, v0
	s_waitcnt lgkmcnt(0)
	s_barrier
	s_and_saveexec_b64 s[34:35], s[30:31]
	s_cbranch_execz .LBB1872_139
; %bb.136:
	v_lshlrev_b32_e32 v9, 3, v0
	ds_read_b64 v[28:29], v9
	v_and_b32_e32 v11, 3, v3
	v_cmp_ne_u32_e64 s[30:31], 0, v11
	s_waitcnt lgkmcnt(0)
	v_mov_b32_dpp v13, v28 row_shr:1 row_mask:0xf bank_mask:0xf
	v_mov_b32_dpp v17, v29 row_shr:1 row_mask:0xf bank_mask:0xf
	v_mov_b32_e32 v15, v29
	s_and_saveexec_b64 s[40:41], s[30:31]
	s_cbranch_execz .LBB1872_138
; %bb.137:
	v_and_b32_e32 v15, 1, v29
	v_and_b32_e32 v17, 1, v17
	v_cmp_eq_u32_e64 s[30:31], 1, v15
	v_mov_b32_e32 v15, 0
	v_cndmask_b32_e64 v17, v17, 1, s[30:31]
	v_cmp_eq_u16_sdwa s[30:31], v29, v15 src0_sel:BYTE_0 src1_sel:DWORD
	v_cndmask_b32_e64 v13, 0, v13, s[30:31]
	v_add_u32_e32 v28, v13, v28
	v_and_b32_e32 v13, 0xffff, v17
	s_movk_i32 s30, 0xff00
	v_and_or_b32 v15, v29, s30, v13
	v_mov_b32_e32 v29, v17
.LBB1872_138:
	s_or_b64 exec, exec, s[40:41]
	v_mov_b32_dpp v15, v15 row_shr:2 row_mask:0xf bank_mask:0xf
	v_and_b32_e32 v17, 1, v29
	v_and_b32_e32 v15, 1, v15
	v_cmp_eq_u32_e64 s[30:31], 1, v17
	v_mov_b32_e32 v17, 0
	v_cndmask_b32_e64 v15, v15, 1, s[30:31]
	v_cmp_eq_u16_sdwa s[40:41], v29, v17 src0_sel:BYTE_0 src1_sel:DWORD
	v_cmp_lt_u32_e64 s[30:31], 1, v11
	v_mov_b32_dpp v13, v28 row_shr:2 row_mask:0xf bank_mask:0xf
	v_cndmask_b32_e64 v11, v29, v15, s[30:31]
	s_and_b64 s[30:31], s[30:31], s[40:41]
	v_cndmask_b32_e64 v13, 0, v13, s[30:31]
	v_add_u32_e32 v13, v13, v28
	ds_write_b32 v9, v13
	ds_write_b8 v9, v11 offset:4
.LBB1872_139:
	s_or_b64 exec, exec, s[34:35]
	v_cmp_lt_u32_e64 s[30:31], 63, v0
	v_mov_b32_e32 v9, 0
	s_waitcnt lgkmcnt(0)
	s_barrier
	s_and_saveexec_b64 s[34:35], s[30:31]
	s_cbranch_execz .LBB1872_141
; %bb.140:
	v_lshl_add_u32 v1, v1, 3, -8
	ds_read_b32 v9, v1
	v_cmp_eq_u32_e64 s[30:31], 0, v7
	s_waitcnt lgkmcnt(0)
	v_cndmask_b32_e64 v1, 0, v9, s[30:31]
	v_add_u32_e32 v5, v1, v5
.LBB1872_141:
	s_or_b64 exec, exec, s[34:35]
	v_add_u32_e32 v1, -1, v3
	v_and_b32_e32 v7, 64, v3
	v_cmp_lt_i32_e64 s[30:31], v1, v7
	v_cndmask_b32_e64 v1, v1, v3, s[30:31]
	v_lshlrev_b32_e32 v1, 2, v1
	ds_bpermute_b32 v1, v1, v5
	s_and_saveexec_b64 s[30:31], s[2:3]
	s_cbranch_execz .LBB1872_143
; %bb.142:
	v_and_b32_e32 v27, 0xff, v39
	v_mov_b32_e32 v26, 0
	v_cmp_eq_u32_e64 s[2:3], 0, v3
	s_waitcnt lgkmcnt(0)
	v_cndmask_b32_e64 v1, v1, v9, s[2:3]
	v_cmp_eq_u64_e64 s[2:3], 0, v[26:27]
	v_cndmask_b32_e64 v1, 0, v1, s[2:3]
	v_add_u32_e32 v38, v1, v38
	v_cndmask_b32_e64 v1, 0, v38, s[4:5]
	v_add_u32_e32 v27, v1, v2
	;; [unrolled: 2-line block ×14, first 2 shown]
	;;#ASMSTART
	;;#ASMEND
.LBB1872_143:
	s_or_b64 exec, exec, s[30:31]
	s_and_saveexec_b64 s[2:3], vcc
	s_cbranch_execz .LBB1872_145
; %bb.144:
	v_mov_b32_e32 v5, 0
	ds_read_b32 v2, v5 offset:24
	ds_read_u8 v3, v5 offset:28
	s_add_u32 s4, s52, 0x400
	s_addc_u32 s5, s53, 0
	v_mov_b32_e32 v4, 2
	v_pk_mov_b32 v[6:7], s[4:5], s[4:5] op_sel:[0,1]
	s_waitcnt lgkmcnt(0)
	;;#ASMSTART
	global_store_dwordx4 v[6:7], v[2:5] off	
s_waitcnt vmcnt(0)
	;;#ASMEND
.LBB1872_145:
	s_or_b64 exec, exec, s[2:3]
	v_mov_b32_e32 v26, v38
.LBB1872_146:
	s_add_u32 s2, s42, s38
	s_addc_u32 s3, s43, s39
	s_add_u32 s26, s2, s36
	s_addc_u32 s27, s3, s37
	v_mul_u32_u24_e32 v18, 14, v0
	s_and_b64 vcc, exec, s[0:1]
	s_cbranch_vccz .LBB1872_198
; %bb.147:
	s_add_i32 s33, s33, s54
	v_cmp_gt_u32_e32 vcc, s33, v18
	s_waitcnt lgkmcnt(0)
	v_mov_b32_e32 v1, 0
	v_mov_b32_e32 v5, 0
	;; [unrolled: 1-line block ×15, first 2 shown]
	s_and_saveexec_b64 s[2:3], vcc
	s_cbranch_execz .LBB1872_171
; %bb.148:
	v_or_b32_e32 v2, 1, v18
	v_cmp_gt_u32_e32 vcc, s33, v2
	v_mov_b32_e32 v3, 0
	v_mov_b32_e32 v2, 0
	;; [unrolled: 1-line block ×13, first 2 shown]
	s_and_saveexec_b64 s[4:5], vcc
	s_cbranch_execz .LBB1872_170
; %bb.149:
	v_add_u32_e32 v2, 2, v18
	v_cmp_gt_u32_e32 vcc, s33, v2
	v_mov_b32_e32 v3, 0
	v_mov_b32_e32 v2, 0
	;; [unrolled: 1-line block ×12, first 2 shown]
	s_and_saveexec_b64 s[6:7], vcc
	s_cbranch_execz .LBB1872_169
; %bb.150:
	v_add_u32_e32 v2, 3, v18
	v_cmp_gt_u32_e32 vcc, s33, v2
	v_mov_b32_e32 v3, 0
	v_mov_b32_e32 v2, 0
	;; [unrolled: 1-line block ×11, first 2 shown]
	s_and_saveexec_b64 s[8:9], vcc
	s_cbranch_execz .LBB1872_168
; %bb.151:
	v_add_u32_e32 v2, 4, v18
	v_cmp_gt_u32_e32 vcc, s33, v2
	v_mov_b32_e32 v3, 0
	v_mov_b32_e32 v2, 0
	;; [unrolled: 1-line block ×10, first 2 shown]
	s_and_saveexec_b64 s[10:11], vcc
	s_cbranch_execz .LBB1872_167
; %bb.152:
	v_add_u32_e32 v2, 5, v18
	v_cmp_gt_u32_e32 vcc, s33, v2
	v_mov_b32_e32 v3, 0
	v_mov_b32_e32 v2, 0
	;; [unrolled: 1-line block ×9, first 2 shown]
	s_and_saveexec_b64 s[12:13], vcc
	s_cbranch_execz .LBB1872_166
; %bb.153:
	v_add_u32_e32 v2, 6, v18
	v_cmp_gt_u32_e32 vcc, s33, v2
	v_mov_b32_e32 v3, 0
	v_mov_b32_e32 v2, 0
	;; [unrolled: 1-line block ×8, first 2 shown]
	s_and_saveexec_b64 s[14:15], vcc
	s_cbranch_execz .LBB1872_165
; %bb.154:
	v_add_u32_e32 v2, 7, v18
	v_cmp_gt_u32_e32 vcc, s33, v2
	v_mov_b32_e32 v3, 0
	v_mov_b32_e32 v2, 0
	;; [unrolled: 1-line block ×7, first 2 shown]
	s_and_saveexec_b64 s[16:17], vcc
	s_cbranch_execz .LBB1872_164
; %bb.155:
	v_add_u32_e32 v2, 8, v18
	v_cmp_gt_u32_e32 vcc, s33, v2
	v_mov_b32_e32 v3, 0
	v_mov_b32_e32 v2, 0
	;; [unrolled: 1-line block ×6, first 2 shown]
	s_and_saveexec_b64 s[18:19], vcc
	s_cbranch_execz .LBB1872_163
; %bb.156:
	v_add_u32_e32 v2, 9, v18
	v_cmp_gt_u32_e32 vcc, s33, v2
	v_mov_b32_e32 v3, 0
	v_mov_b32_e32 v2, 0
	;; [unrolled: 1-line block ×5, first 2 shown]
	s_and_saveexec_b64 s[20:21], vcc
	s_cbranch_execz .LBB1872_162
; %bb.157:
	v_add_u32_e32 v2, 10, v18
	v_cmp_gt_u32_e32 vcc, s33, v2
	v_mov_b32_e32 v3, 0
	v_mov_b32_e32 v2, 0
	;; [unrolled: 1-line block ×4, first 2 shown]
	s_and_saveexec_b64 s[22:23], vcc
	s_cbranch_execz .LBB1872_161
; %bb.158:
	v_add_u32_e32 v2, 11, v18
	v_cmp_gt_u32_e32 vcc, s33, v2
	v_mov_b32_e32 v3, 0
	v_mov_b32_e32 v4, 0
	;; [unrolled: 1-line block ×3, first 2 shown]
	s_and_saveexec_b64 s[24:25], vcc
; %bb.159:
	v_add_u32_e32 v2, 12, v18
	v_cmp_gt_u32_e32 vcc, s33, v2
	v_add_u32_e32 v2, 13, v18
	v_cmp_gt_u32_e64 s[0:1], s33, v2
	v_cndmask_b32_e32 v4, 0, v48, vcc
	s_and_b64 vcc, vcc, s[0:1]
	v_cndmask_b32_e32 v5, 0, v49, vcc
	v_mov_b32_e32 v3, v47
; %bb.160:
	s_or_b64 exec, exec, s[24:25]
	v_mov_b32_e32 v2, v46
.LBB1872_161:
	s_or_b64 exec, exec, s[22:23]
	v_mov_b32_e32 v7, v35
.LBB1872_162:
	s_or_b64 exec, exec, s[20:21]
	v_mov_b32_e32 v6, v34
.LBB1872_163:
	s_or_b64 exec, exec, s[18:19]
	v_mov_b32_e32 v9, v45
.LBB1872_164:
	s_or_b64 exec, exec, s[16:17]
	v_mov_b32_e32 v8, v44
.LBB1872_165:
	s_or_b64 exec, exec, s[14:15]
	v_mov_b32_e32 v11, v31
.LBB1872_166:
	s_or_b64 exec, exec, s[12:13]
	v_mov_b32_e32 v10, v30
.LBB1872_167:
	s_or_b64 exec, exec, s[10:11]
	v_mov_b32_e32 v13, v43
.LBB1872_168:
	s_or_b64 exec, exec, s[8:9]
	v_mov_b32_e32 v12, v42
.LBB1872_169:
	s_or_b64 exec, exec, s[6:7]
	v_mov_b32_e32 v15, v27
.LBB1872_170:
	s_or_b64 exec, exec, s[4:5]
	v_mov_b32_e32 v14, v26
.LBB1872_171:
	s_or_b64 exec, exec, s[2:3]
	v_lshlrev_b32_e32 v19, 2, v18
	s_movk_i32 s0, 0xffcc
	s_barrier
	ds_write2_b64 v19, v[14:15], v[12:13] offset1:1
	ds_write2_b64 v19, v[10:11], v[8:9] offset0:2 offset1:3
	ds_write2_b64 v19, v[6:7], v[2:3] offset0:4 offset1:5
	ds_write_b64 v19, v[4:5] offset:48
	v_mad_i32_i24 v2, v0, s0, v19
	s_waitcnt lgkmcnt(0)
	s_barrier
	ds_read2st64_b32 v[16:17], v2 offset0:4 offset1:8
	ds_read2st64_b32 v[14:15], v2 offset0:12 offset1:16
	;; [unrolled: 1-line block ×6, first 2 shown]
	ds_read_b32 v3, v2 offset:13312
	v_mov_b32_e32 v2, s27
	v_add_co_u32_e32 v6, vcc, s26, v50
	v_addc_co_u32_e32 v7, vcc, 0, v2, vcc
	v_cmp_gt_u32_e32 vcc, s33, v0
	s_and_saveexec_b64 s[0:1], vcc
	s_cbranch_execz .LBB1872_173
; %bb.172:
	v_mul_i32_i24_e32 v2, 0xffffffcc, v0
	v_add_u32_e32 v2, v19, v2
	ds_read_b32 v2, v2
	s_waitcnt lgkmcnt(0)
	flat_store_dword v[6:7], v2
.LBB1872_173:
	s_or_b64 exec, exec, s[0:1]
	v_or_b32_e32 v2, 0x100, v0
	v_cmp_gt_u32_e32 vcc, s33, v2
	s_and_saveexec_b64 s[0:1], vcc
	s_cbranch_execz .LBB1872_175
; %bb.174:
	s_waitcnt lgkmcnt(0)
	flat_store_dword v[6:7], v16 offset:1024
.LBB1872_175:
	s_or_b64 exec, exec, s[0:1]
	v_or_b32_e32 v2, 0x200, v0
	v_cmp_gt_u32_e32 vcc, s33, v2
	s_and_saveexec_b64 s[0:1], vcc
	s_cbranch_execz .LBB1872_177
; %bb.176:
	s_waitcnt lgkmcnt(0)
	flat_store_dword v[6:7], v17 offset:2048
.LBB1872_177:
	;; [unrolled: 9-line block ×3, first 2 shown]
	s_or_b64 exec, exec, s[0:1]
	v_or_b32_e32 v2, 0x400, v0
	v_cmp_gt_u32_e32 vcc, s33, v2
	s_and_saveexec_b64 s[0:1], vcc
	s_cbranch_execz .LBB1872_181
; %bb.180:
	s_waitcnt lgkmcnt(0)
	v_add_co_u32_e32 v16, vcc, 0x1000, v6
	v_addc_co_u32_e32 v17, vcc, 0, v7, vcc
	flat_store_dword v[16:17], v15
.LBB1872_181:
	s_or_b64 exec, exec, s[0:1]
	v_or_b32_e32 v2, 0x500, v0
	v_cmp_gt_u32_e32 vcc, s33, v2
	s_and_saveexec_b64 s[0:1], vcc
	s_cbranch_execz .LBB1872_183
; %bb.182:
	s_waitcnt lgkmcnt(0)
	v_add_co_u32_e32 v14, vcc, 0x1000, v6
	v_addc_co_u32_e32 v15, vcc, 0, v7, vcc
	flat_store_dword v[14:15], v12 offset:1024
.LBB1872_183:
	s_or_b64 exec, exec, s[0:1]
	v_or_b32_e32 v2, 0x600, v0
	v_cmp_gt_u32_e32 vcc, s33, v2
	s_and_saveexec_b64 s[0:1], vcc
	s_cbranch_execz .LBB1872_185
; %bb.184:
	s_waitcnt lgkmcnt(0)
	v_add_co_u32_e32 v14, vcc, 0x1000, v6
	v_addc_co_u32_e32 v15, vcc, 0, v7, vcc
	flat_store_dword v[14:15], v13 offset:2048
.LBB1872_185:
	;; [unrolled: 11-line block ×3, first 2 shown]
	s_or_b64 exec, exec, s[0:1]
	v_or_b32_e32 v2, 0x800, v0
	v_cmp_gt_u32_e32 vcc, s33, v2
	s_and_saveexec_b64 s[0:1], vcc
	s_cbranch_execz .LBB1872_189
; %bb.188:
	s_waitcnt lgkmcnt(0)
	v_add_co_u32_e32 v12, vcc, 0x2000, v6
	v_addc_co_u32_e32 v13, vcc, 0, v7, vcc
	flat_store_dword v[12:13], v11
.LBB1872_189:
	s_or_b64 exec, exec, s[0:1]
	v_or_b32_e32 v2, 0x900, v0
	v_cmp_gt_u32_e32 vcc, s33, v2
	s_and_saveexec_b64 s[0:1], vcc
	s_cbranch_execz .LBB1872_191
; %bb.190:
	s_waitcnt lgkmcnt(0)
	v_add_co_u32_e32 v10, vcc, 0x2000, v6
	v_addc_co_u32_e32 v11, vcc, 0, v7, vcc
	flat_store_dword v[10:11], v8 offset:1024
.LBB1872_191:
	s_or_b64 exec, exec, s[0:1]
	v_or_b32_e32 v2, 0xa00, v0
	v_cmp_gt_u32_e32 vcc, s33, v2
	s_and_saveexec_b64 s[0:1], vcc
	s_cbranch_execz .LBB1872_193
; %bb.192:
	s_waitcnt lgkmcnt(0)
	v_add_co_u32_e32 v10, vcc, 0x2000, v6
	v_addc_co_u32_e32 v11, vcc, 0, v7, vcc
	flat_store_dword v[10:11], v9 offset:2048
.LBB1872_193:
	;; [unrolled: 11-line block ×3, first 2 shown]
	s_or_b64 exec, exec, s[0:1]
	v_or_b32_e32 v2, 0xc00, v0
	v_cmp_gt_u32_e32 vcc, s33, v2
	s_and_saveexec_b64 s[0:1], vcc
	s_cbranch_execz .LBB1872_197
; %bb.196:
	v_add_co_u32_e32 v6, vcc, 0x3000, v6
	v_addc_co_u32_e32 v7, vcc, 0, v7, vcc
	s_waitcnt lgkmcnt(0)
	flat_store_dword v[6:7], v5
.LBB1872_197:
	s_or_b64 exec, exec, s[0:1]
	v_or_b32_e32 v2, 0xd00, v0
	v_cmp_gt_u32_e64 s[0:1], s33, v2
	s_branch .LBB1872_200
.LBB1872_198:
	s_mov_b64 s[0:1], 0
                                        ; implicit-def: $vgpr3
	s_cbranch_execz .LBB1872_200
; %bb.199:
	v_lshlrev_b32_e32 v2, 2, v18
	s_movk_i32 s2, 0xffcc
	s_waitcnt lgkmcnt(0)
	s_barrier
	ds_write2_b64 v2, v[26:27], v[42:43] offset1:1
	ds_write2_b64 v2, v[30:31], v[44:45] offset0:2 offset1:3
	ds_write2_b64 v2, v[34:35], v[46:47] offset0:4 offset1:5
	ds_write_b64 v2, v[48:49] offset:48
	v_mad_i32_i24 v2, v0, s2, v2
	v_mov_b32_e32 v17, s27
	v_add_co_u32_e32 v16, vcc, s26, v50
	s_waitcnt lgkmcnt(0)
	s_barrier
	ds_read2st64_b32 v[4:5], v2 offset1:4
	ds_read2st64_b32 v[6:7], v2 offset0:8 offset1:12
	ds_read2st64_b32 v[8:9], v2 offset0:16 offset1:20
	;; [unrolled: 1-line block ×6, first 2 shown]
	v_addc_co_u32_e32 v17, vcc, 0, v17, vcc
	s_movk_i32 s2, 0x1000
	s_waitcnt lgkmcnt(0)
	flat_store_dword v[16:17], v4
	flat_store_dword v[16:17], v5 offset:1024
	flat_store_dword v[16:17], v6 offset:2048
	flat_store_dword v[16:17], v7 offset:3072
	v_add_co_u32_e32 v4, vcc, s2, v16
	v_addc_co_u32_e32 v5, vcc, 0, v17, vcc
	flat_store_dword v[4:5], v8
	flat_store_dword v[4:5], v9 offset:1024
	flat_store_dword v[4:5], v10 offset:2048
	;; [unrolled: 1-line block ×3, first 2 shown]
	v_add_co_u32_e32 v4, vcc, 0x2000, v16
	v_addc_co_u32_e32 v5, vcc, 0, v17, vcc
	flat_store_dword v[4:5], v12
	flat_store_dword v[4:5], v13 offset:1024
	flat_store_dword v[4:5], v14 offset:2048
	;; [unrolled: 1-line block ×3, first 2 shown]
	v_add_co_u32_e32 v4, vcc, 0x3000, v16
	v_mov_b32_e32 v1, 0
	v_addc_co_u32_e32 v5, vcc, 0, v17, vcc
	s_or_b64 s[0:1], s[0:1], exec
	flat_store_dword v[4:5], v2
.LBB1872_200:
	s_and_saveexec_b64 s[2:3], s[0:1]
	s_cbranch_execnz .LBB1872_202
; %bb.201:
	s_endpgm
.LBB1872_202:
	s_waitcnt lgkmcnt(0)
	v_lshlrev_b64 v[0:1], 2, v[0:1]
	v_mov_b32_e32 v2, s27
	v_add_co_u32_e32 v0, vcc, s26, v0
	v_addc_co_u32_e32 v1, vcc, v2, v1, vcc
	v_add_co_u32_e32 v0, vcc, 0x3000, v0
	v_addc_co_u32_e32 v1, vcc, 0, v1, vcc
	flat_store_dword v[0:1], v3 offset:1024
	s_endpgm
.LBB1872_203:
                                        ; implicit-def: $sgpr44_sgpr45
	s_branch .LBB1872_32
.LBB1872_204:
                                        ; implicit-def: $sgpr2_sgpr3
	s_branch .LBB1872_94
	.section	.rodata,"a",@progbits
	.p2align	6, 0x0
	.amdhsa_kernel _ZN7rocprim17ROCPRIM_400000_NS6detail17trampoline_kernelINS0_14default_configENS1_27scan_by_key_config_selectorIj11FixedVectorIiLj1EEEEZZNS1_16scan_by_key_implILNS1_25lookback_scan_determinismE0ELb0ES3_N6thrust23THRUST_200600_302600_NS6detail15normal_iteratorINSB_10device_ptrIjEEEENSD_INSE_IS6_EEEESI_S6_NSB_4plusIvEENSB_8equal_toIvEES6_EE10hipError_tPvRmT2_T3_T4_T5_mT6_T7_P12ihipStream_tbENKUlT_T0_E_clISt17integral_constantIbLb0EES13_EEDaSY_SZ_EUlSY_E_NS1_11comp_targetILNS1_3genE4ELNS1_11target_archE910ELNS1_3gpuE8ELNS1_3repE0EEENS1_30default_config_static_selectorELNS0_4arch9wavefront6targetE1EEEvT1_
		.amdhsa_group_segment_fixed_size 16384
		.amdhsa_private_segment_fixed_size 0
		.amdhsa_kernarg_size 112
		.amdhsa_user_sgpr_count 6
		.amdhsa_user_sgpr_private_segment_buffer 1
		.amdhsa_user_sgpr_dispatch_ptr 0
		.amdhsa_user_sgpr_queue_ptr 0
		.amdhsa_user_sgpr_kernarg_segment_ptr 1
		.amdhsa_user_sgpr_dispatch_id 0
		.amdhsa_user_sgpr_flat_scratch_init 0
		.amdhsa_user_sgpr_kernarg_preload_length 0
		.amdhsa_user_sgpr_kernarg_preload_offset 0
		.amdhsa_user_sgpr_private_segment_size 0
		.amdhsa_uses_dynamic_stack 0
		.amdhsa_system_sgpr_private_segment_wavefront_offset 0
		.amdhsa_system_sgpr_workgroup_id_x 1
		.amdhsa_system_sgpr_workgroup_id_y 0
		.amdhsa_system_sgpr_workgroup_id_z 0
		.amdhsa_system_sgpr_workgroup_info 0
		.amdhsa_system_vgpr_workitem_id 0
		.amdhsa_next_free_vgpr 65
		.amdhsa_next_free_sgpr 61
		.amdhsa_accum_offset 68
		.amdhsa_reserve_vcc 1
		.amdhsa_reserve_flat_scratch 0
		.amdhsa_float_round_mode_32 0
		.amdhsa_float_round_mode_16_64 0
		.amdhsa_float_denorm_mode_32 3
		.amdhsa_float_denorm_mode_16_64 3
		.amdhsa_dx10_clamp 1
		.amdhsa_ieee_mode 1
		.amdhsa_fp16_overflow 0
		.amdhsa_tg_split 0
		.amdhsa_exception_fp_ieee_invalid_op 0
		.amdhsa_exception_fp_denorm_src 0
		.amdhsa_exception_fp_ieee_div_zero 0
		.amdhsa_exception_fp_ieee_overflow 0
		.amdhsa_exception_fp_ieee_underflow 0
		.amdhsa_exception_fp_ieee_inexact 0
		.amdhsa_exception_int_div_zero 0
	.end_amdhsa_kernel
	.section	.text._ZN7rocprim17ROCPRIM_400000_NS6detail17trampoline_kernelINS0_14default_configENS1_27scan_by_key_config_selectorIj11FixedVectorIiLj1EEEEZZNS1_16scan_by_key_implILNS1_25lookback_scan_determinismE0ELb0ES3_N6thrust23THRUST_200600_302600_NS6detail15normal_iteratorINSB_10device_ptrIjEEEENSD_INSE_IS6_EEEESI_S6_NSB_4plusIvEENSB_8equal_toIvEES6_EE10hipError_tPvRmT2_T3_T4_T5_mT6_T7_P12ihipStream_tbENKUlT_T0_E_clISt17integral_constantIbLb0EES13_EEDaSY_SZ_EUlSY_E_NS1_11comp_targetILNS1_3genE4ELNS1_11target_archE910ELNS1_3gpuE8ELNS1_3repE0EEENS1_30default_config_static_selectorELNS0_4arch9wavefront6targetE1EEEvT1_,"axG",@progbits,_ZN7rocprim17ROCPRIM_400000_NS6detail17trampoline_kernelINS0_14default_configENS1_27scan_by_key_config_selectorIj11FixedVectorIiLj1EEEEZZNS1_16scan_by_key_implILNS1_25lookback_scan_determinismE0ELb0ES3_N6thrust23THRUST_200600_302600_NS6detail15normal_iteratorINSB_10device_ptrIjEEEENSD_INSE_IS6_EEEESI_S6_NSB_4plusIvEENSB_8equal_toIvEES6_EE10hipError_tPvRmT2_T3_T4_T5_mT6_T7_P12ihipStream_tbENKUlT_T0_E_clISt17integral_constantIbLb0EES13_EEDaSY_SZ_EUlSY_E_NS1_11comp_targetILNS1_3genE4ELNS1_11target_archE910ELNS1_3gpuE8ELNS1_3repE0EEENS1_30default_config_static_selectorELNS0_4arch9wavefront6targetE1EEEvT1_,comdat
.Lfunc_end1872:
	.size	_ZN7rocprim17ROCPRIM_400000_NS6detail17trampoline_kernelINS0_14default_configENS1_27scan_by_key_config_selectorIj11FixedVectorIiLj1EEEEZZNS1_16scan_by_key_implILNS1_25lookback_scan_determinismE0ELb0ES3_N6thrust23THRUST_200600_302600_NS6detail15normal_iteratorINSB_10device_ptrIjEEEENSD_INSE_IS6_EEEESI_S6_NSB_4plusIvEENSB_8equal_toIvEES6_EE10hipError_tPvRmT2_T3_T4_T5_mT6_T7_P12ihipStream_tbENKUlT_T0_E_clISt17integral_constantIbLb0EES13_EEDaSY_SZ_EUlSY_E_NS1_11comp_targetILNS1_3genE4ELNS1_11target_archE910ELNS1_3gpuE8ELNS1_3repE0EEENS1_30default_config_static_selectorELNS0_4arch9wavefront6targetE1EEEvT1_, .Lfunc_end1872-_ZN7rocprim17ROCPRIM_400000_NS6detail17trampoline_kernelINS0_14default_configENS1_27scan_by_key_config_selectorIj11FixedVectorIiLj1EEEEZZNS1_16scan_by_key_implILNS1_25lookback_scan_determinismE0ELb0ES3_N6thrust23THRUST_200600_302600_NS6detail15normal_iteratorINSB_10device_ptrIjEEEENSD_INSE_IS6_EEEESI_S6_NSB_4plusIvEENSB_8equal_toIvEES6_EE10hipError_tPvRmT2_T3_T4_T5_mT6_T7_P12ihipStream_tbENKUlT_T0_E_clISt17integral_constantIbLb0EES13_EEDaSY_SZ_EUlSY_E_NS1_11comp_targetILNS1_3genE4ELNS1_11target_archE910ELNS1_3gpuE8ELNS1_3repE0EEENS1_30default_config_static_selectorELNS0_4arch9wavefront6targetE1EEEvT1_
                                        ; -- End function
	.section	.AMDGPU.csdata,"",@progbits
; Kernel info:
; codeLenInByte = 11568
; NumSgprs: 65
; NumVgprs: 65
; NumAgprs: 0
; TotalNumVgprs: 65
; ScratchSize: 0
; MemoryBound: 0
; FloatMode: 240
; IeeeMode: 1
; LDSByteSize: 16384 bytes/workgroup (compile time only)
; SGPRBlocks: 8
; VGPRBlocks: 8
; NumSGPRsForWavesPerEU: 65
; NumVGPRsForWavesPerEU: 65
; AccumOffset: 68
; Occupancy: 4
; WaveLimiterHint : 1
; COMPUTE_PGM_RSRC2:SCRATCH_EN: 0
; COMPUTE_PGM_RSRC2:USER_SGPR: 6
; COMPUTE_PGM_RSRC2:TRAP_HANDLER: 0
; COMPUTE_PGM_RSRC2:TGID_X_EN: 1
; COMPUTE_PGM_RSRC2:TGID_Y_EN: 0
; COMPUTE_PGM_RSRC2:TGID_Z_EN: 0
; COMPUTE_PGM_RSRC2:TIDIG_COMP_CNT: 0
; COMPUTE_PGM_RSRC3_GFX90A:ACCUM_OFFSET: 16
; COMPUTE_PGM_RSRC3_GFX90A:TG_SPLIT: 0
	.section	.text._ZN7rocprim17ROCPRIM_400000_NS6detail17trampoline_kernelINS0_14default_configENS1_27scan_by_key_config_selectorIj11FixedVectorIiLj1EEEEZZNS1_16scan_by_key_implILNS1_25lookback_scan_determinismE0ELb0ES3_N6thrust23THRUST_200600_302600_NS6detail15normal_iteratorINSB_10device_ptrIjEEEENSD_INSE_IS6_EEEESI_S6_NSB_4plusIvEENSB_8equal_toIvEES6_EE10hipError_tPvRmT2_T3_T4_T5_mT6_T7_P12ihipStream_tbENKUlT_T0_E_clISt17integral_constantIbLb0EES13_EEDaSY_SZ_EUlSY_E_NS1_11comp_targetILNS1_3genE3ELNS1_11target_archE908ELNS1_3gpuE7ELNS1_3repE0EEENS1_30default_config_static_selectorELNS0_4arch9wavefront6targetE1EEEvT1_,"axG",@progbits,_ZN7rocprim17ROCPRIM_400000_NS6detail17trampoline_kernelINS0_14default_configENS1_27scan_by_key_config_selectorIj11FixedVectorIiLj1EEEEZZNS1_16scan_by_key_implILNS1_25lookback_scan_determinismE0ELb0ES3_N6thrust23THRUST_200600_302600_NS6detail15normal_iteratorINSB_10device_ptrIjEEEENSD_INSE_IS6_EEEESI_S6_NSB_4plusIvEENSB_8equal_toIvEES6_EE10hipError_tPvRmT2_T3_T4_T5_mT6_T7_P12ihipStream_tbENKUlT_T0_E_clISt17integral_constantIbLb0EES13_EEDaSY_SZ_EUlSY_E_NS1_11comp_targetILNS1_3genE3ELNS1_11target_archE908ELNS1_3gpuE7ELNS1_3repE0EEENS1_30default_config_static_selectorELNS0_4arch9wavefront6targetE1EEEvT1_,comdat
	.protected	_ZN7rocprim17ROCPRIM_400000_NS6detail17trampoline_kernelINS0_14default_configENS1_27scan_by_key_config_selectorIj11FixedVectorIiLj1EEEEZZNS1_16scan_by_key_implILNS1_25lookback_scan_determinismE0ELb0ES3_N6thrust23THRUST_200600_302600_NS6detail15normal_iteratorINSB_10device_ptrIjEEEENSD_INSE_IS6_EEEESI_S6_NSB_4plusIvEENSB_8equal_toIvEES6_EE10hipError_tPvRmT2_T3_T4_T5_mT6_T7_P12ihipStream_tbENKUlT_T0_E_clISt17integral_constantIbLb0EES13_EEDaSY_SZ_EUlSY_E_NS1_11comp_targetILNS1_3genE3ELNS1_11target_archE908ELNS1_3gpuE7ELNS1_3repE0EEENS1_30default_config_static_selectorELNS0_4arch9wavefront6targetE1EEEvT1_ ; -- Begin function _ZN7rocprim17ROCPRIM_400000_NS6detail17trampoline_kernelINS0_14default_configENS1_27scan_by_key_config_selectorIj11FixedVectorIiLj1EEEEZZNS1_16scan_by_key_implILNS1_25lookback_scan_determinismE0ELb0ES3_N6thrust23THRUST_200600_302600_NS6detail15normal_iteratorINSB_10device_ptrIjEEEENSD_INSE_IS6_EEEESI_S6_NSB_4plusIvEENSB_8equal_toIvEES6_EE10hipError_tPvRmT2_T3_T4_T5_mT6_T7_P12ihipStream_tbENKUlT_T0_E_clISt17integral_constantIbLb0EES13_EEDaSY_SZ_EUlSY_E_NS1_11comp_targetILNS1_3genE3ELNS1_11target_archE908ELNS1_3gpuE7ELNS1_3repE0EEENS1_30default_config_static_selectorELNS0_4arch9wavefront6targetE1EEEvT1_
	.globl	_ZN7rocprim17ROCPRIM_400000_NS6detail17trampoline_kernelINS0_14default_configENS1_27scan_by_key_config_selectorIj11FixedVectorIiLj1EEEEZZNS1_16scan_by_key_implILNS1_25lookback_scan_determinismE0ELb0ES3_N6thrust23THRUST_200600_302600_NS6detail15normal_iteratorINSB_10device_ptrIjEEEENSD_INSE_IS6_EEEESI_S6_NSB_4plusIvEENSB_8equal_toIvEES6_EE10hipError_tPvRmT2_T3_T4_T5_mT6_T7_P12ihipStream_tbENKUlT_T0_E_clISt17integral_constantIbLb0EES13_EEDaSY_SZ_EUlSY_E_NS1_11comp_targetILNS1_3genE3ELNS1_11target_archE908ELNS1_3gpuE7ELNS1_3repE0EEENS1_30default_config_static_selectorELNS0_4arch9wavefront6targetE1EEEvT1_
	.p2align	8
	.type	_ZN7rocprim17ROCPRIM_400000_NS6detail17trampoline_kernelINS0_14default_configENS1_27scan_by_key_config_selectorIj11FixedVectorIiLj1EEEEZZNS1_16scan_by_key_implILNS1_25lookback_scan_determinismE0ELb0ES3_N6thrust23THRUST_200600_302600_NS6detail15normal_iteratorINSB_10device_ptrIjEEEENSD_INSE_IS6_EEEESI_S6_NSB_4plusIvEENSB_8equal_toIvEES6_EE10hipError_tPvRmT2_T3_T4_T5_mT6_T7_P12ihipStream_tbENKUlT_T0_E_clISt17integral_constantIbLb0EES13_EEDaSY_SZ_EUlSY_E_NS1_11comp_targetILNS1_3genE3ELNS1_11target_archE908ELNS1_3gpuE7ELNS1_3repE0EEENS1_30default_config_static_selectorELNS0_4arch9wavefront6targetE1EEEvT1_,@function
_ZN7rocprim17ROCPRIM_400000_NS6detail17trampoline_kernelINS0_14default_configENS1_27scan_by_key_config_selectorIj11FixedVectorIiLj1EEEEZZNS1_16scan_by_key_implILNS1_25lookback_scan_determinismE0ELb0ES3_N6thrust23THRUST_200600_302600_NS6detail15normal_iteratorINSB_10device_ptrIjEEEENSD_INSE_IS6_EEEESI_S6_NSB_4plusIvEENSB_8equal_toIvEES6_EE10hipError_tPvRmT2_T3_T4_T5_mT6_T7_P12ihipStream_tbENKUlT_T0_E_clISt17integral_constantIbLb0EES13_EEDaSY_SZ_EUlSY_E_NS1_11comp_targetILNS1_3genE3ELNS1_11target_archE908ELNS1_3gpuE7ELNS1_3repE0EEENS1_30default_config_static_selectorELNS0_4arch9wavefront6targetE1EEEvT1_: ; @_ZN7rocprim17ROCPRIM_400000_NS6detail17trampoline_kernelINS0_14default_configENS1_27scan_by_key_config_selectorIj11FixedVectorIiLj1EEEEZZNS1_16scan_by_key_implILNS1_25lookback_scan_determinismE0ELb0ES3_N6thrust23THRUST_200600_302600_NS6detail15normal_iteratorINSB_10device_ptrIjEEEENSD_INSE_IS6_EEEESI_S6_NSB_4plusIvEENSB_8equal_toIvEES6_EE10hipError_tPvRmT2_T3_T4_T5_mT6_T7_P12ihipStream_tbENKUlT_T0_E_clISt17integral_constantIbLb0EES13_EEDaSY_SZ_EUlSY_E_NS1_11comp_targetILNS1_3genE3ELNS1_11target_archE908ELNS1_3gpuE7ELNS1_3repE0EEENS1_30default_config_static_selectorELNS0_4arch9wavefront6targetE1EEEvT1_
; %bb.0:
	.section	.rodata,"a",@progbits
	.p2align	6, 0x0
	.amdhsa_kernel _ZN7rocprim17ROCPRIM_400000_NS6detail17trampoline_kernelINS0_14default_configENS1_27scan_by_key_config_selectorIj11FixedVectorIiLj1EEEEZZNS1_16scan_by_key_implILNS1_25lookback_scan_determinismE0ELb0ES3_N6thrust23THRUST_200600_302600_NS6detail15normal_iteratorINSB_10device_ptrIjEEEENSD_INSE_IS6_EEEESI_S6_NSB_4plusIvEENSB_8equal_toIvEES6_EE10hipError_tPvRmT2_T3_T4_T5_mT6_T7_P12ihipStream_tbENKUlT_T0_E_clISt17integral_constantIbLb0EES13_EEDaSY_SZ_EUlSY_E_NS1_11comp_targetILNS1_3genE3ELNS1_11target_archE908ELNS1_3gpuE7ELNS1_3repE0EEENS1_30default_config_static_selectorELNS0_4arch9wavefront6targetE1EEEvT1_
		.amdhsa_group_segment_fixed_size 0
		.amdhsa_private_segment_fixed_size 0
		.amdhsa_kernarg_size 112
		.amdhsa_user_sgpr_count 6
		.amdhsa_user_sgpr_private_segment_buffer 1
		.amdhsa_user_sgpr_dispatch_ptr 0
		.amdhsa_user_sgpr_queue_ptr 0
		.amdhsa_user_sgpr_kernarg_segment_ptr 1
		.amdhsa_user_sgpr_dispatch_id 0
		.amdhsa_user_sgpr_flat_scratch_init 0
		.amdhsa_user_sgpr_kernarg_preload_length 0
		.amdhsa_user_sgpr_kernarg_preload_offset 0
		.amdhsa_user_sgpr_private_segment_size 0
		.amdhsa_uses_dynamic_stack 0
		.amdhsa_system_sgpr_private_segment_wavefront_offset 0
		.amdhsa_system_sgpr_workgroup_id_x 1
		.amdhsa_system_sgpr_workgroup_id_y 0
		.amdhsa_system_sgpr_workgroup_id_z 0
		.amdhsa_system_sgpr_workgroup_info 0
		.amdhsa_system_vgpr_workitem_id 0
		.amdhsa_next_free_vgpr 1
		.amdhsa_next_free_sgpr 0
		.amdhsa_accum_offset 4
		.amdhsa_reserve_vcc 0
		.amdhsa_reserve_flat_scratch 0
		.amdhsa_float_round_mode_32 0
		.amdhsa_float_round_mode_16_64 0
		.amdhsa_float_denorm_mode_32 3
		.amdhsa_float_denorm_mode_16_64 3
		.amdhsa_dx10_clamp 1
		.amdhsa_ieee_mode 1
		.amdhsa_fp16_overflow 0
		.amdhsa_tg_split 0
		.amdhsa_exception_fp_ieee_invalid_op 0
		.amdhsa_exception_fp_denorm_src 0
		.amdhsa_exception_fp_ieee_div_zero 0
		.amdhsa_exception_fp_ieee_overflow 0
		.amdhsa_exception_fp_ieee_underflow 0
		.amdhsa_exception_fp_ieee_inexact 0
		.amdhsa_exception_int_div_zero 0
	.end_amdhsa_kernel
	.section	.text._ZN7rocprim17ROCPRIM_400000_NS6detail17trampoline_kernelINS0_14default_configENS1_27scan_by_key_config_selectorIj11FixedVectorIiLj1EEEEZZNS1_16scan_by_key_implILNS1_25lookback_scan_determinismE0ELb0ES3_N6thrust23THRUST_200600_302600_NS6detail15normal_iteratorINSB_10device_ptrIjEEEENSD_INSE_IS6_EEEESI_S6_NSB_4plusIvEENSB_8equal_toIvEES6_EE10hipError_tPvRmT2_T3_T4_T5_mT6_T7_P12ihipStream_tbENKUlT_T0_E_clISt17integral_constantIbLb0EES13_EEDaSY_SZ_EUlSY_E_NS1_11comp_targetILNS1_3genE3ELNS1_11target_archE908ELNS1_3gpuE7ELNS1_3repE0EEENS1_30default_config_static_selectorELNS0_4arch9wavefront6targetE1EEEvT1_,"axG",@progbits,_ZN7rocprim17ROCPRIM_400000_NS6detail17trampoline_kernelINS0_14default_configENS1_27scan_by_key_config_selectorIj11FixedVectorIiLj1EEEEZZNS1_16scan_by_key_implILNS1_25lookback_scan_determinismE0ELb0ES3_N6thrust23THRUST_200600_302600_NS6detail15normal_iteratorINSB_10device_ptrIjEEEENSD_INSE_IS6_EEEESI_S6_NSB_4plusIvEENSB_8equal_toIvEES6_EE10hipError_tPvRmT2_T3_T4_T5_mT6_T7_P12ihipStream_tbENKUlT_T0_E_clISt17integral_constantIbLb0EES13_EEDaSY_SZ_EUlSY_E_NS1_11comp_targetILNS1_3genE3ELNS1_11target_archE908ELNS1_3gpuE7ELNS1_3repE0EEENS1_30default_config_static_selectorELNS0_4arch9wavefront6targetE1EEEvT1_,comdat
.Lfunc_end1873:
	.size	_ZN7rocprim17ROCPRIM_400000_NS6detail17trampoline_kernelINS0_14default_configENS1_27scan_by_key_config_selectorIj11FixedVectorIiLj1EEEEZZNS1_16scan_by_key_implILNS1_25lookback_scan_determinismE0ELb0ES3_N6thrust23THRUST_200600_302600_NS6detail15normal_iteratorINSB_10device_ptrIjEEEENSD_INSE_IS6_EEEESI_S6_NSB_4plusIvEENSB_8equal_toIvEES6_EE10hipError_tPvRmT2_T3_T4_T5_mT6_T7_P12ihipStream_tbENKUlT_T0_E_clISt17integral_constantIbLb0EES13_EEDaSY_SZ_EUlSY_E_NS1_11comp_targetILNS1_3genE3ELNS1_11target_archE908ELNS1_3gpuE7ELNS1_3repE0EEENS1_30default_config_static_selectorELNS0_4arch9wavefront6targetE1EEEvT1_, .Lfunc_end1873-_ZN7rocprim17ROCPRIM_400000_NS6detail17trampoline_kernelINS0_14default_configENS1_27scan_by_key_config_selectorIj11FixedVectorIiLj1EEEEZZNS1_16scan_by_key_implILNS1_25lookback_scan_determinismE0ELb0ES3_N6thrust23THRUST_200600_302600_NS6detail15normal_iteratorINSB_10device_ptrIjEEEENSD_INSE_IS6_EEEESI_S6_NSB_4plusIvEENSB_8equal_toIvEES6_EE10hipError_tPvRmT2_T3_T4_T5_mT6_T7_P12ihipStream_tbENKUlT_T0_E_clISt17integral_constantIbLb0EES13_EEDaSY_SZ_EUlSY_E_NS1_11comp_targetILNS1_3genE3ELNS1_11target_archE908ELNS1_3gpuE7ELNS1_3repE0EEENS1_30default_config_static_selectorELNS0_4arch9wavefront6targetE1EEEvT1_
                                        ; -- End function
	.section	.AMDGPU.csdata,"",@progbits
; Kernel info:
; codeLenInByte = 0
; NumSgprs: 4
; NumVgprs: 0
; NumAgprs: 0
; TotalNumVgprs: 0
; ScratchSize: 0
; MemoryBound: 0
; FloatMode: 240
; IeeeMode: 1
; LDSByteSize: 0 bytes/workgroup (compile time only)
; SGPRBlocks: 0
; VGPRBlocks: 0
; NumSGPRsForWavesPerEU: 4
; NumVGPRsForWavesPerEU: 1
; AccumOffset: 4
; Occupancy: 8
; WaveLimiterHint : 0
; COMPUTE_PGM_RSRC2:SCRATCH_EN: 0
; COMPUTE_PGM_RSRC2:USER_SGPR: 6
; COMPUTE_PGM_RSRC2:TRAP_HANDLER: 0
; COMPUTE_PGM_RSRC2:TGID_X_EN: 1
; COMPUTE_PGM_RSRC2:TGID_Y_EN: 0
; COMPUTE_PGM_RSRC2:TGID_Z_EN: 0
; COMPUTE_PGM_RSRC2:TIDIG_COMP_CNT: 0
; COMPUTE_PGM_RSRC3_GFX90A:ACCUM_OFFSET: 0
; COMPUTE_PGM_RSRC3_GFX90A:TG_SPLIT: 0
	.section	.text._ZN7rocprim17ROCPRIM_400000_NS6detail17trampoline_kernelINS0_14default_configENS1_27scan_by_key_config_selectorIj11FixedVectorIiLj1EEEEZZNS1_16scan_by_key_implILNS1_25lookback_scan_determinismE0ELb0ES3_N6thrust23THRUST_200600_302600_NS6detail15normal_iteratorINSB_10device_ptrIjEEEENSD_INSE_IS6_EEEESI_S6_NSB_4plusIvEENSB_8equal_toIvEES6_EE10hipError_tPvRmT2_T3_T4_T5_mT6_T7_P12ihipStream_tbENKUlT_T0_E_clISt17integral_constantIbLb0EES13_EEDaSY_SZ_EUlSY_E_NS1_11comp_targetILNS1_3genE2ELNS1_11target_archE906ELNS1_3gpuE6ELNS1_3repE0EEENS1_30default_config_static_selectorELNS0_4arch9wavefront6targetE1EEEvT1_,"axG",@progbits,_ZN7rocprim17ROCPRIM_400000_NS6detail17trampoline_kernelINS0_14default_configENS1_27scan_by_key_config_selectorIj11FixedVectorIiLj1EEEEZZNS1_16scan_by_key_implILNS1_25lookback_scan_determinismE0ELb0ES3_N6thrust23THRUST_200600_302600_NS6detail15normal_iteratorINSB_10device_ptrIjEEEENSD_INSE_IS6_EEEESI_S6_NSB_4plusIvEENSB_8equal_toIvEES6_EE10hipError_tPvRmT2_T3_T4_T5_mT6_T7_P12ihipStream_tbENKUlT_T0_E_clISt17integral_constantIbLb0EES13_EEDaSY_SZ_EUlSY_E_NS1_11comp_targetILNS1_3genE2ELNS1_11target_archE906ELNS1_3gpuE6ELNS1_3repE0EEENS1_30default_config_static_selectorELNS0_4arch9wavefront6targetE1EEEvT1_,comdat
	.protected	_ZN7rocprim17ROCPRIM_400000_NS6detail17trampoline_kernelINS0_14default_configENS1_27scan_by_key_config_selectorIj11FixedVectorIiLj1EEEEZZNS1_16scan_by_key_implILNS1_25lookback_scan_determinismE0ELb0ES3_N6thrust23THRUST_200600_302600_NS6detail15normal_iteratorINSB_10device_ptrIjEEEENSD_INSE_IS6_EEEESI_S6_NSB_4plusIvEENSB_8equal_toIvEES6_EE10hipError_tPvRmT2_T3_T4_T5_mT6_T7_P12ihipStream_tbENKUlT_T0_E_clISt17integral_constantIbLb0EES13_EEDaSY_SZ_EUlSY_E_NS1_11comp_targetILNS1_3genE2ELNS1_11target_archE906ELNS1_3gpuE6ELNS1_3repE0EEENS1_30default_config_static_selectorELNS0_4arch9wavefront6targetE1EEEvT1_ ; -- Begin function _ZN7rocprim17ROCPRIM_400000_NS6detail17trampoline_kernelINS0_14default_configENS1_27scan_by_key_config_selectorIj11FixedVectorIiLj1EEEEZZNS1_16scan_by_key_implILNS1_25lookback_scan_determinismE0ELb0ES3_N6thrust23THRUST_200600_302600_NS6detail15normal_iteratorINSB_10device_ptrIjEEEENSD_INSE_IS6_EEEESI_S6_NSB_4plusIvEENSB_8equal_toIvEES6_EE10hipError_tPvRmT2_T3_T4_T5_mT6_T7_P12ihipStream_tbENKUlT_T0_E_clISt17integral_constantIbLb0EES13_EEDaSY_SZ_EUlSY_E_NS1_11comp_targetILNS1_3genE2ELNS1_11target_archE906ELNS1_3gpuE6ELNS1_3repE0EEENS1_30default_config_static_selectorELNS0_4arch9wavefront6targetE1EEEvT1_
	.globl	_ZN7rocprim17ROCPRIM_400000_NS6detail17trampoline_kernelINS0_14default_configENS1_27scan_by_key_config_selectorIj11FixedVectorIiLj1EEEEZZNS1_16scan_by_key_implILNS1_25lookback_scan_determinismE0ELb0ES3_N6thrust23THRUST_200600_302600_NS6detail15normal_iteratorINSB_10device_ptrIjEEEENSD_INSE_IS6_EEEESI_S6_NSB_4plusIvEENSB_8equal_toIvEES6_EE10hipError_tPvRmT2_T3_T4_T5_mT6_T7_P12ihipStream_tbENKUlT_T0_E_clISt17integral_constantIbLb0EES13_EEDaSY_SZ_EUlSY_E_NS1_11comp_targetILNS1_3genE2ELNS1_11target_archE906ELNS1_3gpuE6ELNS1_3repE0EEENS1_30default_config_static_selectorELNS0_4arch9wavefront6targetE1EEEvT1_
	.p2align	8
	.type	_ZN7rocprim17ROCPRIM_400000_NS6detail17trampoline_kernelINS0_14default_configENS1_27scan_by_key_config_selectorIj11FixedVectorIiLj1EEEEZZNS1_16scan_by_key_implILNS1_25lookback_scan_determinismE0ELb0ES3_N6thrust23THRUST_200600_302600_NS6detail15normal_iteratorINSB_10device_ptrIjEEEENSD_INSE_IS6_EEEESI_S6_NSB_4plusIvEENSB_8equal_toIvEES6_EE10hipError_tPvRmT2_T3_T4_T5_mT6_T7_P12ihipStream_tbENKUlT_T0_E_clISt17integral_constantIbLb0EES13_EEDaSY_SZ_EUlSY_E_NS1_11comp_targetILNS1_3genE2ELNS1_11target_archE906ELNS1_3gpuE6ELNS1_3repE0EEENS1_30default_config_static_selectorELNS0_4arch9wavefront6targetE1EEEvT1_,@function
_ZN7rocprim17ROCPRIM_400000_NS6detail17trampoline_kernelINS0_14default_configENS1_27scan_by_key_config_selectorIj11FixedVectorIiLj1EEEEZZNS1_16scan_by_key_implILNS1_25lookback_scan_determinismE0ELb0ES3_N6thrust23THRUST_200600_302600_NS6detail15normal_iteratorINSB_10device_ptrIjEEEENSD_INSE_IS6_EEEESI_S6_NSB_4plusIvEENSB_8equal_toIvEES6_EE10hipError_tPvRmT2_T3_T4_T5_mT6_T7_P12ihipStream_tbENKUlT_T0_E_clISt17integral_constantIbLb0EES13_EEDaSY_SZ_EUlSY_E_NS1_11comp_targetILNS1_3genE2ELNS1_11target_archE906ELNS1_3gpuE6ELNS1_3repE0EEENS1_30default_config_static_selectorELNS0_4arch9wavefront6targetE1EEEvT1_: ; @_ZN7rocprim17ROCPRIM_400000_NS6detail17trampoline_kernelINS0_14default_configENS1_27scan_by_key_config_selectorIj11FixedVectorIiLj1EEEEZZNS1_16scan_by_key_implILNS1_25lookback_scan_determinismE0ELb0ES3_N6thrust23THRUST_200600_302600_NS6detail15normal_iteratorINSB_10device_ptrIjEEEENSD_INSE_IS6_EEEESI_S6_NSB_4plusIvEENSB_8equal_toIvEES6_EE10hipError_tPvRmT2_T3_T4_T5_mT6_T7_P12ihipStream_tbENKUlT_T0_E_clISt17integral_constantIbLb0EES13_EEDaSY_SZ_EUlSY_E_NS1_11comp_targetILNS1_3genE2ELNS1_11target_archE906ELNS1_3gpuE6ELNS1_3repE0EEENS1_30default_config_static_selectorELNS0_4arch9wavefront6targetE1EEEvT1_
; %bb.0:
	.section	.rodata,"a",@progbits
	.p2align	6, 0x0
	.amdhsa_kernel _ZN7rocprim17ROCPRIM_400000_NS6detail17trampoline_kernelINS0_14default_configENS1_27scan_by_key_config_selectorIj11FixedVectorIiLj1EEEEZZNS1_16scan_by_key_implILNS1_25lookback_scan_determinismE0ELb0ES3_N6thrust23THRUST_200600_302600_NS6detail15normal_iteratorINSB_10device_ptrIjEEEENSD_INSE_IS6_EEEESI_S6_NSB_4plusIvEENSB_8equal_toIvEES6_EE10hipError_tPvRmT2_T3_T4_T5_mT6_T7_P12ihipStream_tbENKUlT_T0_E_clISt17integral_constantIbLb0EES13_EEDaSY_SZ_EUlSY_E_NS1_11comp_targetILNS1_3genE2ELNS1_11target_archE906ELNS1_3gpuE6ELNS1_3repE0EEENS1_30default_config_static_selectorELNS0_4arch9wavefront6targetE1EEEvT1_
		.amdhsa_group_segment_fixed_size 0
		.amdhsa_private_segment_fixed_size 0
		.amdhsa_kernarg_size 112
		.amdhsa_user_sgpr_count 6
		.amdhsa_user_sgpr_private_segment_buffer 1
		.amdhsa_user_sgpr_dispatch_ptr 0
		.amdhsa_user_sgpr_queue_ptr 0
		.amdhsa_user_sgpr_kernarg_segment_ptr 1
		.amdhsa_user_sgpr_dispatch_id 0
		.amdhsa_user_sgpr_flat_scratch_init 0
		.amdhsa_user_sgpr_kernarg_preload_length 0
		.amdhsa_user_sgpr_kernarg_preload_offset 0
		.amdhsa_user_sgpr_private_segment_size 0
		.amdhsa_uses_dynamic_stack 0
		.amdhsa_system_sgpr_private_segment_wavefront_offset 0
		.amdhsa_system_sgpr_workgroup_id_x 1
		.amdhsa_system_sgpr_workgroup_id_y 0
		.amdhsa_system_sgpr_workgroup_id_z 0
		.amdhsa_system_sgpr_workgroup_info 0
		.amdhsa_system_vgpr_workitem_id 0
		.amdhsa_next_free_vgpr 1
		.amdhsa_next_free_sgpr 0
		.amdhsa_accum_offset 4
		.amdhsa_reserve_vcc 0
		.amdhsa_reserve_flat_scratch 0
		.amdhsa_float_round_mode_32 0
		.amdhsa_float_round_mode_16_64 0
		.amdhsa_float_denorm_mode_32 3
		.amdhsa_float_denorm_mode_16_64 3
		.amdhsa_dx10_clamp 1
		.amdhsa_ieee_mode 1
		.amdhsa_fp16_overflow 0
		.amdhsa_tg_split 0
		.amdhsa_exception_fp_ieee_invalid_op 0
		.amdhsa_exception_fp_denorm_src 0
		.amdhsa_exception_fp_ieee_div_zero 0
		.amdhsa_exception_fp_ieee_overflow 0
		.amdhsa_exception_fp_ieee_underflow 0
		.amdhsa_exception_fp_ieee_inexact 0
		.amdhsa_exception_int_div_zero 0
	.end_amdhsa_kernel
	.section	.text._ZN7rocprim17ROCPRIM_400000_NS6detail17trampoline_kernelINS0_14default_configENS1_27scan_by_key_config_selectorIj11FixedVectorIiLj1EEEEZZNS1_16scan_by_key_implILNS1_25lookback_scan_determinismE0ELb0ES3_N6thrust23THRUST_200600_302600_NS6detail15normal_iteratorINSB_10device_ptrIjEEEENSD_INSE_IS6_EEEESI_S6_NSB_4plusIvEENSB_8equal_toIvEES6_EE10hipError_tPvRmT2_T3_T4_T5_mT6_T7_P12ihipStream_tbENKUlT_T0_E_clISt17integral_constantIbLb0EES13_EEDaSY_SZ_EUlSY_E_NS1_11comp_targetILNS1_3genE2ELNS1_11target_archE906ELNS1_3gpuE6ELNS1_3repE0EEENS1_30default_config_static_selectorELNS0_4arch9wavefront6targetE1EEEvT1_,"axG",@progbits,_ZN7rocprim17ROCPRIM_400000_NS6detail17trampoline_kernelINS0_14default_configENS1_27scan_by_key_config_selectorIj11FixedVectorIiLj1EEEEZZNS1_16scan_by_key_implILNS1_25lookback_scan_determinismE0ELb0ES3_N6thrust23THRUST_200600_302600_NS6detail15normal_iteratorINSB_10device_ptrIjEEEENSD_INSE_IS6_EEEESI_S6_NSB_4plusIvEENSB_8equal_toIvEES6_EE10hipError_tPvRmT2_T3_T4_T5_mT6_T7_P12ihipStream_tbENKUlT_T0_E_clISt17integral_constantIbLb0EES13_EEDaSY_SZ_EUlSY_E_NS1_11comp_targetILNS1_3genE2ELNS1_11target_archE906ELNS1_3gpuE6ELNS1_3repE0EEENS1_30default_config_static_selectorELNS0_4arch9wavefront6targetE1EEEvT1_,comdat
.Lfunc_end1874:
	.size	_ZN7rocprim17ROCPRIM_400000_NS6detail17trampoline_kernelINS0_14default_configENS1_27scan_by_key_config_selectorIj11FixedVectorIiLj1EEEEZZNS1_16scan_by_key_implILNS1_25lookback_scan_determinismE0ELb0ES3_N6thrust23THRUST_200600_302600_NS6detail15normal_iteratorINSB_10device_ptrIjEEEENSD_INSE_IS6_EEEESI_S6_NSB_4plusIvEENSB_8equal_toIvEES6_EE10hipError_tPvRmT2_T3_T4_T5_mT6_T7_P12ihipStream_tbENKUlT_T0_E_clISt17integral_constantIbLb0EES13_EEDaSY_SZ_EUlSY_E_NS1_11comp_targetILNS1_3genE2ELNS1_11target_archE906ELNS1_3gpuE6ELNS1_3repE0EEENS1_30default_config_static_selectorELNS0_4arch9wavefront6targetE1EEEvT1_, .Lfunc_end1874-_ZN7rocprim17ROCPRIM_400000_NS6detail17trampoline_kernelINS0_14default_configENS1_27scan_by_key_config_selectorIj11FixedVectorIiLj1EEEEZZNS1_16scan_by_key_implILNS1_25lookback_scan_determinismE0ELb0ES3_N6thrust23THRUST_200600_302600_NS6detail15normal_iteratorINSB_10device_ptrIjEEEENSD_INSE_IS6_EEEESI_S6_NSB_4plusIvEENSB_8equal_toIvEES6_EE10hipError_tPvRmT2_T3_T4_T5_mT6_T7_P12ihipStream_tbENKUlT_T0_E_clISt17integral_constantIbLb0EES13_EEDaSY_SZ_EUlSY_E_NS1_11comp_targetILNS1_3genE2ELNS1_11target_archE906ELNS1_3gpuE6ELNS1_3repE0EEENS1_30default_config_static_selectorELNS0_4arch9wavefront6targetE1EEEvT1_
                                        ; -- End function
	.section	.AMDGPU.csdata,"",@progbits
; Kernel info:
; codeLenInByte = 0
; NumSgprs: 4
; NumVgprs: 0
; NumAgprs: 0
; TotalNumVgprs: 0
; ScratchSize: 0
; MemoryBound: 0
; FloatMode: 240
; IeeeMode: 1
; LDSByteSize: 0 bytes/workgroup (compile time only)
; SGPRBlocks: 0
; VGPRBlocks: 0
; NumSGPRsForWavesPerEU: 4
; NumVGPRsForWavesPerEU: 1
; AccumOffset: 4
; Occupancy: 8
; WaveLimiterHint : 0
; COMPUTE_PGM_RSRC2:SCRATCH_EN: 0
; COMPUTE_PGM_RSRC2:USER_SGPR: 6
; COMPUTE_PGM_RSRC2:TRAP_HANDLER: 0
; COMPUTE_PGM_RSRC2:TGID_X_EN: 1
; COMPUTE_PGM_RSRC2:TGID_Y_EN: 0
; COMPUTE_PGM_RSRC2:TGID_Z_EN: 0
; COMPUTE_PGM_RSRC2:TIDIG_COMP_CNT: 0
; COMPUTE_PGM_RSRC3_GFX90A:ACCUM_OFFSET: 0
; COMPUTE_PGM_RSRC3_GFX90A:TG_SPLIT: 0
	.section	.text._ZN7rocprim17ROCPRIM_400000_NS6detail17trampoline_kernelINS0_14default_configENS1_27scan_by_key_config_selectorIj11FixedVectorIiLj1EEEEZZNS1_16scan_by_key_implILNS1_25lookback_scan_determinismE0ELb0ES3_N6thrust23THRUST_200600_302600_NS6detail15normal_iteratorINSB_10device_ptrIjEEEENSD_INSE_IS6_EEEESI_S6_NSB_4plusIvEENSB_8equal_toIvEES6_EE10hipError_tPvRmT2_T3_T4_T5_mT6_T7_P12ihipStream_tbENKUlT_T0_E_clISt17integral_constantIbLb0EES13_EEDaSY_SZ_EUlSY_E_NS1_11comp_targetILNS1_3genE10ELNS1_11target_archE1200ELNS1_3gpuE4ELNS1_3repE0EEENS1_30default_config_static_selectorELNS0_4arch9wavefront6targetE1EEEvT1_,"axG",@progbits,_ZN7rocprim17ROCPRIM_400000_NS6detail17trampoline_kernelINS0_14default_configENS1_27scan_by_key_config_selectorIj11FixedVectorIiLj1EEEEZZNS1_16scan_by_key_implILNS1_25lookback_scan_determinismE0ELb0ES3_N6thrust23THRUST_200600_302600_NS6detail15normal_iteratorINSB_10device_ptrIjEEEENSD_INSE_IS6_EEEESI_S6_NSB_4plusIvEENSB_8equal_toIvEES6_EE10hipError_tPvRmT2_T3_T4_T5_mT6_T7_P12ihipStream_tbENKUlT_T0_E_clISt17integral_constantIbLb0EES13_EEDaSY_SZ_EUlSY_E_NS1_11comp_targetILNS1_3genE10ELNS1_11target_archE1200ELNS1_3gpuE4ELNS1_3repE0EEENS1_30default_config_static_selectorELNS0_4arch9wavefront6targetE1EEEvT1_,comdat
	.protected	_ZN7rocprim17ROCPRIM_400000_NS6detail17trampoline_kernelINS0_14default_configENS1_27scan_by_key_config_selectorIj11FixedVectorIiLj1EEEEZZNS1_16scan_by_key_implILNS1_25lookback_scan_determinismE0ELb0ES3_N6thrust23THRUST_200600_302600_NS6detail15normal_iteratorINSB_10device_ptrIjEEEENSD_INSE_IS6_EEEESI_S6_NSB_4plusIvEENSB_8equal_toIvEES6_EE10hipError_tPvRmT2_T3_T4_T5_mT6_T7_P12ihipStream_tbENKUlT_T0_E_clISt17integral_constantIbLb0EES13_EEDaSY_SZ_EUlSY_E_NS1_11comp_targetILNS1_3genE10ELNS1_11target_archE1200ELNS1_3gpuE4ELNS1_3repE0EEENS1_30default_config_static_selectorELNS0_4arch9wavefront6targetE1EEEvT1_ ; -- Begin function _ZN7rocprim17ROCPRIM_400000_NS6detail17trampoline_kernelINS0_14default_configENS1_27scan_by_key_config_selectorIj11FixedVectorIiLj1EEEEZZNS1_16scan_by_key_implILNS1_25lookback_scan_determinismE0ELb0ES3_N6thrust23THRUST_200600_302600_NS6detail15normal_iteratorINSB_10device_ptrIjEEEENSD_INSE_IS6_EEEESI_S6_NSB_4plusIvEENSB_8equal_toIvEES6_EE10hipError_tPvRmT2_T3_T4_T5_mT6_T7_P12ihipStream_tbENKUlT_T0_E_clISt17integral_constantIbLb0EES13_EEDaSY_SZ_EUlSY_E_NS1_11comp_targetILNS1_3genE10ELNS1_11target_archE1200ELNS1_3gpuE4ELNS1_3repE0EEENS1_30default_config_static_selectorELNS0_4arch9wavefront6targetE1EEEvT1_
	.globl	_ZN7rocprim17ROCPRIM_400000_NS6detail17trampoline_kernelINS0_14default_configENS1_27scan_by_key_config_selectorIj11FixedVectorIiLj1EEEEZZNS1_16scan_by_key_implILNS1_25lookback_scan_determinismE0ELb0ES3_N6thrust23THRUST_200600_302600_NS6detail15normal_iteratorINSB_10device_ptrIjEEEENSD_INSE_IS6_EEEESI_S6_NSB_4plusIvEENSB_8equal_toIvEES6_EE10hipError_tPvRmT2_T3_T4_T5_mT6_T7_P12ihipStream_tbENKUlT_T0_E_clISt17integral_constantIbLb0EES13_EEDaSY_SZ_EUlSY_E_NS1_11comp_targetILNS1_3genE10ELNS1_11target_archE1200ELNS1_3gpuE4ELNS1_3repE0EEENS1_30default_config_static_selectorELNS0_4arch9wavefront6targetE1EEEvT1_
	.p2align	8
	.type	_ZN7rocprim17ROCPRIM_400000_NS6detail17trampoline_kernelINS0_14default_configENS1_27scan_by_key_config_selectorIj11FixedVectorIiLj1EEEEZZNS1_16scan_by_key_implILNS1_25lookback_scan_determinismE0ELb0ES3_N6thrust23THRUST_200600_302600_NS6detail15normal_iteratorINSB_10device_ptrIjEEEENSD_INSE_IS6_EEEESI_S6_NSB_4plusIvEENSB_8equal_toIvEES6_EE10hipError_tPvRmT2_T3_T4_T5_mT6_T7_P12ihipStream_tbENKUlT_T0_E_clISt17integral_constantIbLb0EES13_EEDaSY_SZ_EUlSY_E_NS1_11comp_targetILNS1_3genE10ELNS1_11target_archE1200ELNS1_3gpuE4ELNS1_3repE0EEENS1_30default_config_static_selectorELNS0_4arch9wavefront6targetE1EEEvT1_,@function
_ZN7rocprim17ROCPRIM_400000_NS6detail17trampoline_kernelINS0_14default_configENS1_27scan_by_key_config_selectorIj11FixedVectorIiLj1EEEEZZNS1_16scan_by_key_implILNS1_25lookback_scan_determinismE0ELb0ES3_N6thrust23THRUST_200600_302600_NS6detail15normal_iteratorINSB_10device_ptrIjEEEENSD_INSE_IS6_EEEESI_S6_NSB_4plusIvEENSB_8equal_toIvEES6_EE10hipError_tPvRmT2_T3_T4_T5_mT6_T7_P12ihipStream_tbENKUlT_T0_E_clISt17integral_constantIbLb0EES13_EEDaSY_SZ_EUlSY_E_NS1_11comp_targetILNS1_3genE10ELNS1_11target_archE1200ELNS1_3gpuE4ELNS1_3repE0EEENS1_30default_config_static_selectorELNS0_4arch9wavefront6targetE1EEEvT1_: ; @_ZN7rocprim17ROCPRIM_400000_NS6detail17trampoline_kernelINS0_14default_configENS1_27scan_by_key_config_selectorIj11FixedVectorIiLj1EEEEZZNS1_16scan_by_key_implILNS1_25lookback_scan_determinismE0ELb0ES3_N6thrust23THRUST_200600_302600_NS6detail15normal_iteratorINSB_10device_ptrIjEEEENSD_INSE_IS6_EEEESI_S6_NSB_4plusIvEENSB_8equal_toIvEES6_EE10hipError_tPvRmT2_T3_T4_T5_mT6_T7_P12ihipStream_tbENKUlT_T0_E_clISt17integral_constantIbLb0EES13_EEDaSY_SZ_EUlSY_E_NS1_11comp_targetILNS1_3genE10ELNS1_11target_archE1200ELNS1_3gpuE4ELNS1_3repE0EEENS1_30default_config_static_selectorELNS0_4arch9wavefront6targetE1EEEvT1_
; %bb.0:
	.section	.rodata,"a",@progbits
	.p2align	6, 0x0
	.amdhsa_kernel _ZN7rocprim17ROCPRIM_400000_NS6detail17trampoline_kernelINS0_14default_configENS1_27scan_by_key_config_selectorIj11FixedVectorIiLj1EEEEZZNS1_16scan_by_key_implILNS1_25lookback_scan_determinismE0ELb0ES3_N6thrust23THRUST_200600_302600_NS6detail15normal_iteratorINSB_10device_ptrIjEEEENSD_INSE_IS6_EEEESI_S6_NSB_4plusIvEENSB_8equal_toIvEES6_EE10hipError_tPvRmT2_T3_T4_T5_mT6_T7_P12ihipStream_tbENKUlT_T0_E_clISt17integral_constantIbLb0EES13_EEDaSY_SZ_EUlSY_E_NS1_11comp_targetILNS1_3genE10ELNS1_11target_archE1200ELNS1_3gpuE4ELNS1_3repE0EEENS1_30default_config_static_selectorELNS0_4arch9wavefront6targetE1EEEvT1_
		.amdhsa_group_segment_fixed_size 0
		.amdhsa_private_segment_fixed_size 0
		.amdhsa_kernarg_size 112
		.amdhsa_user_sgpr_count 6
		.amdhsa_user_sgpr_private_segment_buffer 1
		.amdhsa_user_sgpr_dispatch_ptr 0
		.amdhsa_user_sgpr_queue_ptr 0
		.amdhsa_user_sgpr_kernarg_segment_ptr 1
		.amdhsa_user_sgpr_dispatch_id 0
		.amdhsa_user_sgpr_flat_scratch_init 0
		.amdhsa_user_sgpr_kernarg_preload_length 0
		.amdhsa_user_sgpr_kernarg_preload_offset 0
		.amdhsa_user_sgpr_private_segment_size 0
		.amdhsa_uses_dynamic_stack 0
		.amdhsa_system_sgpr_private_segment_wavefront_offset 0
		.amdhsa_system_sgpr_workgroup_id_x 1
		.amdhsa_system_sgpr_workgroup_id_y 0
		.amdhsa_system_sgpr_workgroup_id_z 0
		.amdhsa_system_sgpr_workgroup_info 0
		.amdhsa_system_vgpr_workitem_id 0
		.amdhsa_next_free_vgpr 1
		.amdhsa_next_free_sgpr 0
		.amdhsa_accum_offset 4
		.amdhsa_reserve_vcc 0
		.amdhsa_reserve_flat_scratch 0
		.amdhsa_float_round_mode_32 0
		.amdhsa_float_round_mode_16_64 0
		.amdhsa_float_denorm_mode_32 3
		.amdhsa_float_denorm_mode_16_64 3
		.amdhsa_dx10_clamp 1
		.amdhsa_ieee_mode 1
		.amdhsa_fp16_overflow 0
		.amdhsa_tg_split 0
		.amdhsa_exception_fp_ieee_invalid_op 0
		.amdhsa_exception_fp_denorm_src 0
		.amdhsa_exception_fp_ieee_div_zero 0
		.amdhsa_exception_fp_ieee_overflow 0
		.amdhsa_exception_fp_ieee_underflow 0
		.amdhsa_exception_fp_ieee_inexact 0
		.amdhsa_exception_int_div_zero 0
	.end_amdhsa_kernel
	.section	.text._ZN7rocprim17ROCPRIM_400000_NS6detail17trampoline_kernelINS0_14default_configENS1_27scan_by_key_config_selectorIj11FixedVectorIiLj1EEEEZZNS1_16scan_by_key_implILNS1_25lookback_scan_determinismE0ELb0ES3_N6thrust23THRUST_200600_302600_NS6detail15normal_iteratorINSB_10device_ptrIjEEEENSD_INSE_IS6_EEEESI_S6_NSB_4plusIvEENSB_8equal_toIvEES6_EE10hipError_tPvRmT2_T3_T4_T5_mT6_T7_P12ihipStream_tbENKUlT_T0_E_clISt17integral_constantIbLb0EES13_EEDaSY_SZ_EUlSY_E_NS1_11comp_targetILNS1_3genE10ELNS1_11target_archE1200ELNS1_3gpuE4ELNS1_3repE0EEENS1_30default_config_static_selectorELNS0_4arch9wavefront6targetE1EEEvT1_,"axG",@progbits,_ZN7rocprim17ROCPRIM_400000_NS6detail17trampoline_kernelINS0_14default_configENS1_27scan_by_key_config_selectorIj11FixedVectorIiLj1EEEEZZNS1_16scan_by_key_implILNS1_25lookback_scan_determinismE0ELb0ES3_N6thrust23THRUST_200600_302600_NS6detail15normal_iteratorINSB_10device_ptrIjEEEENSD_INSE_IS6_EEEESI_S6_NSB_4plusIvEENSB_8equal_toIvEES6_EE10hipError_tPvRmT2_T3_T4_T5_mT6_T7_P12ihipStream_tbENKUlT_T0_E_clISt17integral_constantIbLb0EES13_EEDaSY_SZ_EUlSY_E_NS1_11comp_targetILNS1_3genE10ELNS1_11target_archE1200ELNS1_3gpuE4ELNS1_3repE0EEENS1_30default_config_static_selectorELNS0_4arch9wavefront6targetE1EEEvT1_,comdat
.Lfunc_end1875:
	.size	_ZN7rocprim17ROCPRIM_400000_NS6detail17trampoline_kernelINS0_14default_configENS1_27scan_by_key_config_selectorIj11FixedVectorIiLj1EEEEZZNS1_16scan_by_key_implILNS1_25lookback_scan_determinismE0ELb0ES3_N6thrust23THRUST_200600_302600_NS6detail15normal_iteratorINSB_10device_ptrIjEEEENSD_INSE_IS6_EEEESI_S6_NSB_4plusIvEENSB_8equal_toIvEES6_EE10hipError_tPvRmT2_T3_T4_T5_mT6_T7_P12ihipStream_tbENKUlT_T0_E_clISt17integral_constantIbLb0EES13_EEDaSY_SZ_EUlSY_E_NS1_11comp_targetILNS1_3genE10ELNS1_11target_archE1200ELNS1_3gpuE4ELNS1_3repE0EEENS1_30default_config_static_selectorELNS0_4arch9wavefront6targetE1EEEvT1_, .Lfunc_end1875-_ZN7rocprim17ROCPRIM_400000_NS6detail17trampoline_kernelINS0_14default_configENS1_27scan_by_key_config_selectorIj11FixedVectorIiLj1EEEEZZNS1_16scan_by_key_implILNS1_25lookback_scan_determinismE0ELb0ES3_N6thrust23THRUST_200600_302600_NS6detail15normal_iteratorINSB_10device_ptrIjEEEENSD_INSE_IS6_EEEESI_S6_NSB_4plusIvEENSB_8equal_toIvEES6_EE10hipError_tPvRmT2_T3_T4_T5_mT6_T7_P12ihipStream_tbENKUlT_T0_E_clISt17integral_constantIbLb0EES13_EEDaSY_SZ_EUlSY_E_NS1_11comp_targetILNS1_3genE10ELNS1_11target_archE1200ELNS1_3gpuE4ELNS1_3repE0EEENS1_30default_config_static_selectorELNS0_4arch9wavefront6targetE1EEEvT1_
                                        ; -- End function
	.section	.AMDGPU.csdata,"",@progbits
; Kernel info:
; codeLenInByte = 0
; NumSgprs: 4
; NumVgprs: 0
; NumAgprs: 0
; TotalNumVgprs: 0
; ScratchSize: 0
; MemoryBound: 0
; FloatMode: 240
; IeeeMode: 1
; LDSByteSize: 0 bytes/workgroup (compile time only)
; SGPRBlocks: 0
; VGPRBlocks: 0
; NumSGPRsForWavesPerEU: 4
; NumVGPRsForWavesPerEU: 1
; AccumOffset: 4
; Occupancy: 8
; WaveLimiterHint : 0
; COMPUTE_PGM_RSRC2:SCRATCH_EN: 0
; COMPUTE_PGM_RSRC2:USER_SGPR: 6
; COMPUTE_PGM_RSRC2:TRAP_HANDLER: 0
; COMPUTE_PGM_RSRC2:TGID_X_EN: 1
; COMPUTE_PGM_RSRC2:TGID_Y_EN: 0
; COMPUTE_PGM_RSRC2:TGID_Z_EN: 0
; COMPUTE_PGM_RSRC2:TIDIG_COMP_CNT: 0
; COMPUTE_PGM_RSRC3_GFX90A:ACCUM_OFFSET: 0
; COMPUTE_PGM_RSRC3_GFX90A:TG_SPLIT: 0
	.section	.text._ZN7rocprim17ROCPRIM_400000_NS6detail17trampoline_kernelINS0_14default_configENS1_27scan_by_key_config_selectorIj11FixedVectorIiLj1EEEEZZNS1_16scan_by_key_implILNS1_25lookback_scan_determinismE0ELb0ES3_N6thrust23THRUST_200600_302600_NS6detail15normal_iteratorINSB_10device_ptrIjEEEENSD_INSE_IS6_EEEESI_S6_NSB_4plusIvEENSB_8equal_toIvEES6_EE10hipError_tPvRmT2_T3_T4_T5_mT6_T7_P12ihipStream_tbENKUlT_T0_E_clISt17integral_constantIbLb0EES13_EEDaSY_SZ_EUlSY_E_NS1_11comp_targetILNS1_3genE9ELNS1_11target_archE1100ELNS1_3gpuE3ELNS1_3repE0EEENS1_30default_config_static_selectorELNS0_4arch9wavefront6targetE1EEEvT1_,"axG",@progbits,_ZN7rocprim17ROCPRIM_400000_NS6detail17trampoline_kernelINS0_14default_configENS1_27scan_by_key_config_selectorIj11FixedVectorIiLj1EEEEZZNS1_16scan_by_key_implILNS1_25lookback_scan_determinismE0ELb0ES3_N6thrust23THRUST_200600_302600_NS6detail15normal_iteratorINSB_10device_ptrIjEEEENSD_INSE_IS6_EEEESI_S6_NSB_4plusIvEENSB_8equal_toIvEES6_EE10hipError_tPvRmT2_T3_T4_T5_mT6_T7_P12ihipStream_tbENKUlT_T0_E_clISt17integral_constantIbLb0EES13_EEDaSY_SZ_EUlSY_E_NS1_11comp_targetILNS1_3genE9ELNS1_11target_archE1100ELNS1_3gpuE3ELNS1_3repE0EEENS1_30default_config_static_selectorELNS0_4arch9wavefront6targetE1EEEvT1_,comdat
	.protected	_ZN7rocprim17ROCPRIM_400000_NS6detail17trampoline_kernelINS0_14default_configENS1_27scan_by_key_config_selectorIj11FixedVectorIiLj1EEEEZZNS1_16scan_by_key_implILNS1_25lookback_scan_determinismE0ELb0ES3_N6thrust23THRUST_200600_302600_NS6detail15normal_iteratorINSB_10device_ptrIjEEEENSD_INSE_IS6_EEEESI_S6_NSB_4plusIvEENSB_8equal_toIvEES6_EE10hipError_tPvRmT2_T3_T4_T5_mT6_T7_P12ihipStream_tbENKUlT_T0_E_clISt17integral_constantIbLb0EES13_EEDaSY_SZ_EUlSY_E_NS1_11comp_targetILNS1_3genE9ELNS1_11target_archE1100ELNS1_3gpuE3ELNS1_3repE0EEENS1_30default_config_static_selectorELNS0_4arch9wavefront6targetE1EEEvT1_ ; -- Begin function _ZN7rocprim17ROCPRIM_400000_NS6detail17trampoline_kernelINS0_14default_configENS1_27scan_by_key_config_selectorIj11FixedVectorIiLj1EEEEZZNS1_16scan_by_key_implILNS1_25lookback_scan_determinismE0ELb0ES3_N6thrust23THRUST_200600_302600_NS6detail15normal_iteratorINSB_10device_ptrIjEEEENSD_INSE_IS6_EEEESI_S6_NSB_4plusIvEENSB_8equal_toIvEES6_EE10hipError_tPvRmT2_T3_T4_T5_mT6_T7_P12ihipStream_tbENKUlT_T0_E_clISt17integral_constantIbLb0EES13_EEDaSY_SZ_EUlSY_E_NS1_11comp_targetILNS1_3genE9ELNS1_11target_archE1100ELNS1_3gpuE3ELNS1_3repE0EEENS1_30default_config_static_selectorELNS0_4arch9wavefront6targetE1EEEvT1_
	.globl	_ZN7rocprim17ROCPRIM_400000_NS6detail17trampoline_kernelINS0_14default_configENS1_27scan_by_key_config_selectorIj11FixedVectorIiLj1EEEEZZNS1_16scan_by_key_implILNS1_25lookback_scan_determinismE0ELb0ES3_N6thrust23THRUST_200600_302600_NS6detail15normal_iteratorINSB_10device_ptrIjEEEENSD_INSE_IS6_EEEESI_S6_NSB_4plusIvEENSB_8equal_toIvEES6_EE10hipError_tPvRmT2_T3_T4_T5_mT6_T7_P12ihipStream_tbENKUlT_T0_E_clISt17integral_constantIbLb0EES13_EEDaSY_SZ_EUlSY_E_NS1_11comp_targetILNS1_3genE9ELNS1_11target_archE1100ELNS1_3gpuE3ELNS1_3repE0EEENS1_30default_config_static_selectorELNS0_4arch9wavefront6targetE1EEEvT1_
	.p2align	8
	.type	_ZN7rocprim17ROCPRIM_400000_NS6detail17trampoline_kernelINS0_14default_configENS1_27scan_by_key_config_selectorIj11FixedVectorIiLj1EEEEZZNS1_16scan_by_key_implILNS1_25lookback_scan_determinismE0ELb0ES3_N6thrust23THRUST_200600_302600_NS6detail15normal_iteratorINSB_10device_ptrIjEEEENSD_INSE_IS6_EEEESI_S6_NSB_4plusIvEENSB_8equal_toIvEES6_EE10hipError_tPvRmT2_T3_T4_T5_mT6_T7_P12ihipStream_tbENKUlT_T0_E_clISt17integral_constantIbLb0EES13_EEDaSY_SZ_EUlSY_E_NS1_11comp_targetILNS1_3genE9ELNS1_11target_archE1100ELNS1_3gpuE3ELNS1_3repE0EEENS1_30default_config_static_selectorELNS0_4arch9wavefront6targetE1EEEvT1_,@function
_ZN7rocprim17ROCPRIM_400000_NS6detail17trampoline_kernelINS0_14default_configENS1_27scan_by_key_config_selectorIj11FixedVectorIiLj1EEEEZZNS1_16scan_by_key_implILNS1_25lookback_scan_determinismE0ELb0ES3_N6thrust23THRUST_200600_302600_NS6detail15normal_iteratorINSB_10device_ptrIjEEEENSD_INSE_IS6_EEEESI_S6_NSB_4plusIvEENSB_8equal_toIvEES6_EE10hipError_tPvRmT2_T3_T4_T5_mT6_T7_P12ihipStream_tbENKUlT_T0_E_clISt17integral_constantIbLb0EES13_EEDaSY_SZ_EUlSY_E_NS1_11comp_targetILNS1_3genE9ELNS1_11target_archE1100ELNS1_3gpuE3ELNS1_3repE0EEENS1_30default_config_static_selectorELNS0_4arch9wavefront6targetE1EEEvT1_: ; @_ZN7rocprim17ROCPRIM_400000_NS6detail17trampoline_kernelINS0_14default_configENS1_27scan_by_key_config_selectorIj11FixedVectorIiLj1EEEEZZNS1_16scan_by_key_implILNS1_25lookback_scan_determinismE0ELb0ES3_N6thrust23THRUST_200600_302600_NS6detail15normal_iteratorINSB_10device_ptrIjEEEENSD_INSE_IS6_EEEESI_S6_NSB_4plusIvEENSB_8equal_toIvEES6_EE10hipError_tPvRmT2_T3_T4_T5_mT6_T7_P12ihipStream_tbENKUlT_T0_E_clISt17integral_constantIbLb0EES13_EEDaSY_SZ_EUlSY_E_NS1_11comp_targetILNS1_3genE9ELNS1_11target_archE1100ELNS1_3gpuE3ELNS1_3repE0EEENS1_30default_config_static_selectorELNS0_4arch9wavefront6targetE1EEEvT1_
; %bb.0:
	.section	.rodata,"a",@progbits
	.p2align	6, 0x0
	.amdhsa_kernel _ZN7rocprim17ROCPRIM_400000_NS6detail17trampoline_kernelINS0_14default_configENS1_27scan_by_key_config_selectorIj11FixedVectorIiLj1EEEEZZNS1_16scan_by_key_implILNS1_25lookback_scan_determinismE0ELb0ES3_N6thrust23THRUST_200600_302600_NS6detail15normal_iteratorINSB_10device_ptrIjEEEENSD_INSE_IS6_EEEESI_S6_NSB_4plusIvEENSB_8equal_toIvEES6_EE10hipError_tPvRmT2_T3_T4_T5_mT6_T7_P12ihipStream_tbENKUlT_T0_E_clISt17integral_constantIbLb0EES13_EEDaSY_SZ_EUlSY_E_NS1_11comp_targetILNS1_3genE9ELNS1_11target_archE1100ELNS1_3gpuE3ELNS1_3repE0EEENS1_30default_config_static_selectorELNS0_4arch9wavefront6targetE1EEEvT1_
		.amdhsa_group_segment_fixed_size 0
		.amdhsa_private_segment_fixed_size 0
		.amdhsa_kernarg_size 112
		.amdhsa_user_sgpr_count 6
		.amdhsa_user_sgpr_private_segment_buffer 1
		.amdhsa_user_sgpr_dispatch_ptr 0
		.amdhsa_user_sgpr_queue_ptr 0
		.amdhsa_user_sgpr_kernarg_segment_ptr 1
		.amdhsa_user_sgpr_dispatch_id 0
		.amdhsa_user_sgpr_flat_scratch_init 0
		.amdhsa_user_sgpr_kernarg_preload_length 0
		.amdhsa_user_sgpr_kernarg_preload_offset 0
		.amdhsa_user_sgpr_private_segment_size 0
		.amdhsa_uses_dynamic_stack 0
		.amdhsa_system_sgpr_private_segment_wavefront_offset 0
		.amdhsa_system_sgpr_workgroup_id_x 1
		.amdhsa_system_sgpr_workgroup_id_y 0
		.amdhsa_system_sgpr_workgroup_id_z 0
		.amdhsa_system_sgpr_workgroup_info 0
		.amdhsa_system_vgpr_workitem_id 0
		.amdhsa_next_free_vgpr 1
		.amdhsa_next_free_sgpr 0
		.amdhsa_accum_offset 4
		.amdhsa_reserve_vcc 0
		.amdhsa_reserve_flat_scratch 0
		.amdhsa_float_round_mode_32 0
		.amdhsa_float_round_mode_16_64 0
		.amdhsa_float_denorm_mode_32 3
		.amdhsa_float_denorm_mode_16_64 3
		.amdhsa_dx10_clamp 1
		.amdhsa_ieee_mode 1
		.amdhsa_fp16_overflow 0
		.amdhsa_tg_split 0
		.amdhsa_exception_fp_ieee_invalid_op 0
		.amdhsa_exception_fp_denorm_src 0
		.amdhsa_exception_fp_ieee_div_zero 0
		.amdhsa_exception_fp_ieee_overflow 0
		.amdhsa_exception_fp_ieee_underflow 0
		.amdhsa_exception_fp_ieee_inexact 0
		.amdhsa_exception_int_div_zero 0
	.end_amdhsa_kernel
	.section	.text._ZN7rocprim17ROCPRIM_400000_NS6detail17trampoline_kernelINS0_14default_configENS1_27scan_by_key_config_selectorIj11FixedVectorIiLj1EEEEZZNS1_16scan_by_key_implILNS1_25lookback_scan_determinismE0ELb0ES3_N6thrust23THRUST_200600_302600_NS6detail15normal_iteratorINSB_10device_ptrIjEEEENSD_INSE_IS6_EEEESI_S6_NSB_4plusIvEENSB_8equal_toIvEES6_EE10hipError_tPvRmT2_T3_T4_T5_mT6_T7_P12ihipStream_tbENKUlT_T0_E_clISt17integral_constantIbLb0EES13_EEDaSY_SZ_EUlSY_E_NS1_11comp_targetILNS1_3genE9ELNS1_11target_archE1100ELNS1_3gpuE3ELNS1_3repE0EEENS1_30default_config_static_selectorELNS0_4arch9wavefront6targetE1EEEvT1_,"axG",@progbits,_ZN7rocprim17ROCPRIM_400000_NS6detail17trampoline_kernelINS0_14default_configENS1_27scan_by_key_config_selectorIj11FixedVectorIiLj1EEEEZZNS1_16scan_by_key_implILNS1_25lookback_scan_determinismE0ELb0ES3_N6thrust23THRUST_200600_302600_NS6detail15normal_iteratorINSB_10device_ptrIjEEEENSD_INSE_IS6_EEEESI_S6_NSB_4plusIvEENSB_8equal_toIvEES6_EE10hipError_tPvRmT2_T3_T4_T5_mT6_T7_P12ihipStream_tbENKUlT_T0_E_clISt17integral_constantIbLb0EES13_EEDaSY_SZ_EUlSY_E_NS1_11comp_targetILNS1_3genE9ELNS1_11target_archE1100ELNS1_3gpuE3ELNS1_3repE0EEENS1_30default_config_static_selectorELNS0_4arch9wavefront6targetE1EEEvT1_,comdat
.Lfunc_end1876:
	.size	_ZN7rocprim17ROCPRIM_400000_NS6detail17trampoline_kernelINS0_14default_configENS1_27scan_by_key_config_selectorIj11FixedVectorIiLj1EEEEZZNS1_16scan_by_key_implILNS1_25lookback_scan_determinismE0ELb0ES3_N6thrust23THRUST_200600_302600_NS6detail15normal_iteratorINSB_10device_ptrIjEEEENSD_INSE_IS6_EEEESI_S6_NSB_4plusIvEENSB_8equal_toIvEES6_EE10hipError_tPvRmT2_T3_T4_T5_mT6_T7_P12ihipStream_tbENKUlT_T0_E_clISt17integral_constantIbLb0EES13_EEDaSY_SZ_EUlSY_E_NS1_11comp_targetILNS1_3genE9ELNS1_11target_archE1100ELNS1_3gpuE3ELNS1_3repE0EEENS1_30default_config_static_selectorELNS0_4arch9wavefront6targetE1EEEvT1_, .Lfunc_end1876-_ZN7rocprim17ROCPRIM_400000_NS6detail17trampoline_kernelINS0_14default_configENS1_27scan_by_key_config_selectorIj11FixedVectorIiLj1EEEEZZNS1_16scan_by_key_implILNS1_25lookback_scan_determinismE0ELb0ES3_N6thrust23THRUST_200600_302600_NS6detail15normal_iteratorINSB_10device_ptrIjEEEENSD_INSE_IS6_EEEESI_S6_NSB_4plusIvEENSB_8equal_toIvEES6_EE10hipError_tPvRmT2_T3_T4_T5_mT6_T7_P12ihipStream_tbENKUlT_T0_E_clISt17integral_constantIbLb0EES13_EEDaSY_SZ_EUlSY_E_NS1_11comp_targetILNS1_3genE9ELNS1_11target_archE1100ELNS1_3gpuE3ELNS1_3repE0EEENS1_30default_config_static_selectorELNS0_4arch9wavefront6targetE1EEEvT1_
                                        ; -- End function
	.section	.AMDGPU.csdata,"",@progbits
; Kernel info:
; codeLenInByte = 0
; NumSgprs: 4
; NumVgprs: 0
; NumAgprs: 0
; TotalNumVgprs: 0
; ScratchSize: 0
; MemoryBound: 0
; FloatMode: 240
; IeeeMode: 1
; LDSByteSize: 0 bytes/workgroup (compile time only)
; SGPRBlocks: 0
; VGPRBlocks: 0
; NumSGPRsForWavesPerEU: 4
; NumVGPRsForWavesPerEU: 1
; AccumOffset: 4
; Occupancy: 8
; WaveLimiterHint : 0
; COMPUTE_PGM_RSRC2:SCRATCH_EN: 0
; COMPUTE_PGM_RSRC2:USER_SGPR: 6
; COMPUTE_PGM_RSRC2:TRAP_HANDLER: 0
; COMPUTE_PGM_RSRC2:TGID_X_EN: 1
; COMPUTE_PGM_RSRC2:TGID_Y_EN: 0
; COMPUTE_PGM_RSRC2:TGID_Z_EN: 0
; COMPUTE_PGM_RSRC2:TIDIG_COMP_CNT: 0
; COMPUTE_PGM_RSRC3_GFX90A:ACCUM_OFFSET: 0
; COMPUTE_PGM_RSRC3_GFX90A:TG_SPLIT: 0
	.section	.text._ZN7rocprim17ROCPRIM_400000_NS6detail17trampoline_kernelINS0_14default_configENS1_27scan_by_key_config_selectorIj11FixedVectorIiLj1EEEEZZNS1_16scan_by_key_implILNS1_25lookback_scan_determinismE0ELb0ES3_N6thrust23THRUST_200600_302600_NS6detail15normal_iteratorINSB_10device_ptrIjEEEENSD_INSE_IS6_EEEESI_S6_NSB_4plusIvEENSB_8equal_toIvEES6_EE10hipError_tPvRmT2_T3_T4_T5_mT6_T7_P12ihipStream_tbENKUlT_T0_E_clISt17integral_constantIbLb0EES13_EEDaSY_SZ_EUlSY_E_NS1_11comp_targetILNS1_3genE8ELNS1_11target_archE1030ELNS1_3gpuE2ELNS1_3repE0EEENS1_30default_config_static_selectorELNS0_4arch9wavefront6targetE1EEEvT1_,"axG",@progbits,_ZN7rocprim17ROCPRIM_400000_NS6detail17trampoline_kernelINS0_14default_configENS1_27scan_by_key_config_selectorIj11FixedVectorIiLj1EEEEZZNS1_16scan_by_key_implILNS1_25lookback_scan_determinismE0ELb0ES3_N6thrust23THRUST_200600_302600_NS6detail15normal_iteratorINSB_10device_ptrIjEEEENSD_INSE_IS6_EEEESI_S6_NSB_4plusIvEENSB_8equal_toIvEES6_EE10hipError_tPvRmT2_T3_T4_T5_mT6_T7_P12ihipStream_tbENKUlT_T0_E_clISt17integral_constantIbLb0EES13_EEDaSY_SZ_EUlSY_E_NS1_11comp_targetILNS1_3genE8ELNS1_11target_archE1030ELNS1_3gpuE2ELNS1_3repE0EEENS1_30default_config_static_selectorELNS0_4arch9wavefront6targetE1EEEvT1_,comdat
	.protected	_ZN7rocprim17ROCPRIM_400000_NS6detail17trampoline_kernelINS0_14default_configENS1_27scan_by_key_config_selectorIj11FixedVectorIiLj1EEEEZZNS1_16scan_by_key_implILNS1_25lookback_scan_determinismE0ELb0ES3_N6thrust23THRUST_200600_302600_NS6detail15normal_iteratorINSB_10device_ptrIjEEEENSD_INSE_IS6_EEEESI_S6_NSB_4plusIvEENSB_8equal_toIvEES6_EE10hipError_tPvRmT2_T3_T4_T5_mT6_T7_P12ihipStream_tbENKUlT_T0_E_clISt17integral_constantIbLb0EES13_EEDaSY_SZ_EUlSY_E_NS1_11comp_targetILNS1_3genE8ELNS1_11target_archE1030ELNS1_3gpuE2ELNS1_3repE0EEENS1_30default_config_static_selectorELNS0_4arch9wavefront6targetE1EEEvT1_ ; -- Begin function _ZN7rocprim17ROCPRIM_400000_NS6detail17trampoline_kernelINS0_14default_configENS1_27scan_by_key_config_selectorIj11FixedVectorIiLj1EEEEZZNS1_16scan_by_key_implILNS1_25lookback_scan_determinismE0ELb0ES3_N6thrust23THRUST_200600_302600_NS6detail15normal_iteratorINSB_10device_ptrIjEEEENSD_INSE_IS6_EEEESI_S6_NSB_4plusIvEENSB_8equal_toIvEES6_EE10hipError_tPvRmT2_T3_T4_T5_mT6_T7_P12ihipStream_tbENKUlT_T0_E_clISt17integral_constantIbLb0EES13_EEDaSY_SZ_EUlSY_E_NS1_11comp_targetILNS1_3genE8ELNS1_11target_archE1030ELNS1_3gpuE2ELNS1_3repE0EEENS1_30default_config_static_selectorELNS0_4arch9wavefront6targetE1EEEvT1_
	.globl	_ZN7rocprim17ROCPRIM_400000_NS6detail17trampoline_kernelINS0_14default_configENS1_27scan_by_key_config_selectorIj11FixedVectorIiLj1EEEEZZNS1_16scan_by_key_implILNS1_25lookback_scan_determinismE0ELb0ES3_N6thrust23THRUST_200600_302600_NS6detail15normal_iteratorINSB_10device_ptrIjEEEENSD_INSE_IS6_EEEESI_S6_NSB_4plusIvEENSB_8equal_toIvEES6_EE10hipError_tPvRmT2_T3_T4_T5_mT6_T7_P12ihipStream_tbENKUlT_T0_E_clISt17integral_constantIbLb0EES13_EEDaSY_SZ_EUlSY_E_NS1_11comp_targetILNS1_3genE8ELNS1_11target_archE1030ELNS1_3gpuE2ELNS1_3repE0EEENS1_30default_config_static_selectorELNS0_4arch9wavefront6targetE1EEEvT1_
	.p2align	8
	.type	_ZN7rocprim17ROCPRIM_400000_NS6detail17trampoline_kernelINS0_14default_configENS1_27scan_by_key_config_selectorIj11FixedVectorIiLj1EEEEZZNS1_16scan_by_key_implILNS1_25lookback_scan_determinismE0ELb0ES3_N6thrust23THRUST_200600_302600_NS6detail15normal_iteratorINSB_10device_ptrIjEEEENSD_INSE_IS6_EEEESI_S6_NSB_4plusIvEENSB_8equal_toIvEES6_EE10hipError_tPvRmT2_T3_T4_T5_mT6_T7_P12ihipStream_tbENKUlT_T0_E_clISt17integral_constantIbLb0EES13_EEDaSY_SZ_EUlSY_E_NS1_11comp_targetILNS1_3genE8ELNS1_11target_archE1030ELNS1_3gpuE2ELNS1_3repE0EEENS1_30default_config_static_selectorELNS0_4arch9wavefront6targetE1EEEvT1_,@function
_ZN7rocprim17ROCPRIM_400000_NS6detail17trampoline_kernelINS0_14default_configENS1_27scan_by_key_config_selectorIj11FixedVectorIiLj1EEEEZZNS1_16scan_by_key_implILNS1_25lookback_scan_determinismE0ELb0ES3_N6thrust23THRUST_200600_302600_NS6detail15normal_iteratorINSB_10device_ptrIjEEEENSD_INSE_IS6_EEEESI_S6_NSB_4plusIvEENSB_8equal_toIvEES6_EE10hipError_tPvRmT2_T3_T4_T5_mT6_T7_P12ihipStream_tbENKUlT_T0_E_clISt17integral_constantIbLb0EES13_EEDaSY_SZ_EUlSY_E_NS1_11comp_targetILNS1_3genE8ELNS1_11target_archE1030ELNS1_3gpuE2ELNS1_3repE0EEENS1_30default_config_static_selectorELNS0_4arch9wavefront6targetE1EEEvT1_: ; @_ZN7rocprim17ROCPRIM_400000_NS6detail17trampoline_kernelINS0_14default_configENS1_27scan_by_key_config_selectorIj11FixedVectorIiLj1EEEEZZNS1_16scan_by_key_implILNS1_25lookback_scan_determinismE0ELb0ES3_N6thrust23THRUST_200600_302600_NS6detail15normal_iteratorINSB_10device_ptrIjEEEENSD_INSE_IS6_EEEESI_S6_NSB_4plusIvEENSB_8equal_toIvEES6_EE10hipError_tPvRmT2_T3_T4_T5_mT6_T7_P12ihipStream_tbENKUlT_T0_E_clISt17integral_constantIbLb0EES13_EEDaSY_SZ_EUlSY_E_NS1_11comp_targetILNS1_3genE8ELNS1_11target_archE1030ELNS1_3gpuE2ELNS1_3repE0EEENS1_30default_config_static_selectorELNS0_4arch9wavefront6targetE1EEEvT1_
; %bb.0:
	.section	.rodata,"a",@progbits
	.p2align	6, 0x0
	.amdhsa_kernel _ZN7rocprim17ROCPRIM_400000_NS6detail17trampoline_kernelINS0_14default_configENS1_27scan_by_key_config_selectorIj11FixedVectorIiLj1EEEEZZNS1_16scan_by_key_implILNS1_25lookback_scan_determinismE0ELb0ES3_N6thrust23THRUST_200600_302600_NS6detail15normal_iteratorINSB_10device_ptrIjEEEENSD_INSE_IS6_EEEESI_S6_NSB_4plusIvEENSB_8equal_toIvEES6_EE10hipError_tPvRmT2_T3_T4_T5_mT6_T7_P12ihipStream_tbENKUlT_T0_E_clISt17integral_constantIbLb0EES13_EEDaSY_SZ_EUlSY_E_NS1_11comp_targetILNS1_3genE8ELNS1_11target_archE1030ELNS1_3gpuE2ELNS1_3repE0EEENS1_30default_config_static_selectorELNS0_4arch9wavefront6targetE1EEEvT1_
		.amdhsa_group_segment_fixed_size 0
		.amdhsa_private_segment_fixed_size 0
		.amdhsa_kernarg_size 112
		.amdhsa_user_sgpr_count 6
		.amdhsa_user_sgpr_private_segment_buffer 1
		.amdhsa_user_sgpr_dispatch_ptr 0
		.amdhsa_user_sgpr_queue_ptr 0
		.amdhsa_user_sgpr_kernarg_segment_ptr 1
		.amdhsa_user_sgpr_dispatch_id 0
		.amdhsa_user_sgpr_flat_scratch_init 0
		.amdhsa_user_sgpr_kernarg_preload_length 0
		.amdhsa_user_sgpr_kernarg_preload_offset 0
		.amdhsa_user_sgpr_private_segment_size 0
		.amdhsa_uses_dynamic_stack 0
		.amdhsa_system_sgpr_private_segment_wavefront_offset 0
		.amdhsa_system_sgpr_workgroup_id_x 1
		.amdhsa_system_sgpr_workgroup_id_y 0
		.amdhsa_system_sgpr_workgroup_id_z 0
		.amdhsa_system_sgpr_workgroup_info 0
		.amdhsa_system_vgpr_workitem_id 0
		.amdhsa_next_free_vgpr 1
		.amdhsa_next_free_sgpr 0
		.amdhsa_accum_offset 4
		.amdhsa_reserve_vcc 0
		.amdhsa_reserve_flat_scratch 0
		.amdhsa_float_round_mode_32 0
		.amdhsa_float_round_mode_16_64 0
		.amdhsa_float_denorm_mode_32 3
		.amdhsa_float_denorm_mode_16_64 3
		.amdhsa_dx10_clamp 1
		.amdhsa_ieee_mode 1
		.amdhsa_fp16_overflow 0
		.amdhsa_tg_split 0
		.amdhsa_exception_fp_ieee_invalid_op 0
		.amdhsa_exception_fp_denorm_src 0
		.amdhsa_exception_fp_ieee_div_zero 0
		.amdhsa_exception_fp_ieee_overflow 0
		.amdhsa_exception_fp_ieee_underflow 0
		.amdhsa_exception_fp_ieee_inexact 0
		.amdhsa_exception_int_div_zero 0
	.end_amdhsa_kernel
	.section	.text._ZN7rocprim17ROCPRIM_400000_NS6detail17trampoline_kernelINS0_14default_configENS1_27scan_by_key_config_selectorIj11FixedVectorIiLj1EEEEZZNS1_16scan_by_key_implILNS1_25lookback_scan_determinismE0ELb0ES3_N6thrust23THRUST_200600_302600_NS6detail15normal_iteratorINSB_10device_ptrIjEEEENSD_INSE_IS6_EEEESI_S6_NSB_4plusIvEENSB_8equal_toIvEES6_EE10hipError_tPvRmT2_T3_T4_T5_mT6_T7_P12ihipStream_tbENKUlT_T0_E_clISt17integral_constantIbLb0EES13_EEDaSY_SZ_EUlSY_E_NS1_11comp_targetILNS1_3genE8ELNS1_11target_archE1030ELNS1_3gpuE2ELNS1_3repE0EEENS1_30default_config_static_selectorELNS0_4arch9wavefront6targetE1EEEvT1_,"axG",@progbits,_ZN7rocprim17ROCPRIM_400000_NS6detail17trampoline_kernelINS0_14default_configENS1_27scan_by_key_config_selectorIj11FixedVectorIiLj1EEEEZZNS1_16scan_by_key_implILNS1_25lookback_scan_determinismE0ELb0ES3_N6thrust23THRUST_200600_302600_NS6detail15normal_iteratorINSB_10device_ptrIjEEEENSD_INSE_IS6_EEEESI_S6_NSB_4plusIvEENSB_8equal_toIvEES6_EE10hipError_tPvRmT2_T3_T4_T5_mT6_T7_P12ihipStream_tbENKUlT_T0_E_clISt17integral_constantIbLb0EES13_EEDaSY_SZ_EUlSY_E_NS1_11comp_targetILNS1_3genE8ELNS1_11target_archE1030ELNS1_3gpuE2ELNS1_3repE0EEENS1_30default_config_static_selectorELNS0_4arch9wavefront6targetE1EEEvT1_,comdat
.Lfunc_end1877:
	.size	_ZN7rocprim17ROCPRIM_400000_NS6detail17trampoline_kernelINS0_14default_configENS1_27scan_by_key_config_selectorIj11FixedVectorIiLj1EEEEZZNS1_16scan_by_key_implILNS1_25lookback_scan_determinismE0ELb0ES3_N6thrust23THRUST_200600_302600_NS6detail15normal_iteratorINSB_10device_ptrIjEEEENSD_INSE_IS6_EEEESI_S6_NSB_4plusIvEENSB_8equal_toIvEES6_EE10hipError_tPvRmT2_T3_T4_T5_mT6_T7_P12ihipStream_tbENKUlT_T0_E_clISt17integral_constantIbLb0EES13_EEDaSY_SZ_EUlSY_E_NS1_11comp_targetILNS1_3genE8ELNS1_11target_archE1030ELNS1_3gpuE2ELNS1_3repE0EEENS1_30default_config_static_selectorELNS0_4arch9wavefront6targetE1EEEvT1_, .Lfunc_end1877-_ZN7rocprim17ROCPRIM_400000_NS6detail17trampoline_kernelINS0_14default_configENS1_27scan_by_key_config_selectorIj11FixedVectorIiLj1EEEEZZNS1_16scan_by_key_implILNS1_25lookback_scan_determinismE0ELb0ES3_N6thrust23THRUST_200600_302600_NS6detail15normal_iteratorINSB_10device_ptrIjEEEENSD_INSE_IS6_EEEESI_S6_NSB_4plusIvEENSB_8equal_toIvEES6_EE10hipError_tPvRmT2_T3_T4_T5_mT6_T7_P12ihipStream_tbENKUlT_T0_E_clISt17integral_constantIbLb0EES13_EEDaSY_SZ_EUlSY_E_NS1_11comp_targetILNS1_3genE8ELNS1_11target_archE1030ELNS1_3gpuE2ELNS1_3repE0EEENS1_30default_config_static_selectorELNS0_4arch9wavefront6targetE1EEEvT1_
                                        ; -- End function
	.section	.AMDGPU.csdata,"",@progbits
; Kernel info:
; codeLenInByte = 0
; NumSgprs: 4
; NumVgprs: 0
; NumAgprs: 0
; TotalNumVgprs: 0
; ScratchSize: 0
; MemoryBound: 0
; FloatMode: 240
; IeeeMode: 1
; LDSByteSize: 0 bytes/workgroup (compile time only)
; SGPRBlocks: 0
; VGPRBlocks: 0
; NumSGPRsForWavesPerEU: 4
; NumVGPRsForWavesPerEU: 1
; AccumOffset: 4
; Occupancy: 8
; WaveLimiterHint : 0
; COMPUTE_PGM_RSRC2:SCRATCH_EN: 0
; COMPUTE_PGM_RSRC2:USER_SGPR: 6
; COMPUTE_PGM_RSRC2:TRAP_HANDLER: 0
; COMPUTE_PGM_RSRC2:TGID_X_EN: 1
; COMPUTE_PGM_RSRC2:TGID_Y_EN: 0
; COMPUTE_PGM_RSRC2:TGID_Z_EN: 0
; COMPUTE_PGM_RSRC2:TIDIG_COMP_CNT: 0
; COMPUTE_PGM_RSRC3_GFX90A:ACCUM_OFFSET: 0
; COMPUTE_PGM_RSRC3_GFX90A:TG_SPLIT: 0
	.section	.text._ZN7rocprim17ROCPRIM_400000_NS6detail30init_device_scan_by_key_kernelINS1_19lookback_scan_stateINS0_5tupleIJ11FixedVectorIiLj1EEbEEELb1ELb1EEEN6thrust23THRUST_200600_302600_NS6detail15normal_iteratorINSA_10device_ptrIjEEEEjNS1_16block_id_wrapperIjLb1EEEEEvT_jjPNSI_10value_typeET0_PNSt15iterator_traitsISL_E10value_typeEmT1_T2_,"axG",@progbits,_ZN7rocprim17ROCPRIM_400000_NS6detail30init_device_scan_by_key_kernelINS1_19lookback_scan_stateINS0_5tupleIJ11FixedVectorIiLj1EEbEEELb1ELb1EEEN6thrust23THRUST_200600_302600_NS6detail15normal_iteratorINSA_10device_ptrIjEEEEjNS1_16block_id_wrapperIjLb1EEEEEvT_jjPNSI_10value_typeET0_PNSt15iterator_traitsISL_E10value_typeEmT1_T2_,comdat
	.protected	_ZN7rocprim17ROCPRIM_400000_NS6detail30init_device_scan_by_key_kernelINS1_19lookback_scan_stateINS0_5tupleIJ11FixedVectorIiLj1EEbEEELb1ELb1EEEN6thrust23THRUST_200600_302600_NS6detail15normal_iteratorINSA_10device_ptrIjEEEEjNS1_16block_id_wrapperIjLb1EEEEEvT_jjPNSI_10value_typeET0_PNSt15iterator_traitsISL_E10value_typeEmT1_T2_ ; -- Begin function _ZN7rocprim17ROCPRIM_400000_NS6detail30init_device_scan_by_key_kernelINS1_19lookback_scan_stateINS0_5tupleIJ11FixedVectorIiLj1EEbEEELb1ELb1EEEN6thrust23THRUST_200600_302600_NS6detail15normal_iteratorINSA_10device_ptrIjEEEEjNS1_16block_id_wrapperIjLb1EEEEEvT_jjPNSI_10value_typeET0_PNSt15iterator_traitsISL_E10value_typeEmT1_T2_
	.globl	_ZN7rocprim17ROCPRIM_400000_NS6detail30init_device_scan_by_key_kernelINS1_19lookback_scan_stateINS0_5tupleIJ11FixedVectorIiLj1EEbEEELb1ELb1EEEN6thrust23THRUST_200600_302600_NS6detail15normal_iteratorINSA_10device_ptrIjEEEEjNS1_16block_id_wrapperIjLb1EEEEEvT_jjPNSI_10value_typeET0_PNSt15iterator_traitsISL_E10value_typeEmT1_T2_
	.p2align	8
	.type	_ZN7rocprim17ROCPRIM_400000_NS6detail30init_device_scan_by_key_kernelINS1_19lookback_scan_stateINS0_5tupleIJ11FixedVectorIiLj1EEbEEELb1ELb1EEEN6thrust23THRUST_200600_302600_NS6detail15normal_iteratorINSA_10device_ptrIjEEEEjNS1_16block_id_wrapperIjLb1EEEEEvT_jjPNSI_10value_typeET0_PNSt15iterator_traitsISL_E10value_typeEmT1_T2_,@function
_ZN7rocprim17ROCPRIM_400000_NS6detail30init_device_scan_by_key_kernelINS1_19lookback_scan_stateINS0_5tupleIJ11FixedVectorIiLj1EEbEEELb1ELb1EEEN6thrust23THRUST_200600_302600_NS6detail15normal_iteratorINSA_10device_ptrIjEEEEjNS1_16block_id_wrapperIjLb1EEEEEvT_jjPNSI_10value_typeET0_PNSt15iterator_traitsISL_E10value_typeEmT1_T2_: ; @_ZN7rocprim17ROCPRIM_400000_NS6detail30init_device_scan_by_key_kernelINS1_19lookback_scan_stateINS0_5tupleIJ11FixedVectorIiLj1EEbEEELb1ELb1EEEN6thrust23THRUST_200600_302600_NS6detail15normal_iteratorINSA_10device_ptrIjEEEEjNS1_16block_id_wrapperIjLb1EEEEEvT_jjPNSI_10value_typeET0_PNSt15iterator_traitsISL_E10value_typeEmT1_T2_
; %bb.0:
	s_load_dword s0, s[4:5], 0x4c
	s_load_dwordx8 s[8:15], s[4:5], 0x0
	s_load_dword s18, s[4:5], 0x40
	s_waitcnt lgkmcnt(0)
	s_and_b32 s19, s0, 0xffff
	s_mul_i32 s6, s6, s19
	s_cmp_eq_u64 s[12:13], 0
	v_add_u32_e32 v4, s6, v0
	s_cbranch_scc1 .LBB1878_10
; %bb.1:
	s_cmp_lt_u32 s11, s10
	s_cselect_b32 s0, s11, 0
	s_mov_b32 s3, 0
	v_cmp_eq_u32_e32 vcc, s0, v4
	s_and_saveexec_b64 s[0:1], vcc
	s_cbranch_execz .LBB1878_9
; %bb.2:
	s_add_i32 s2, s11, 64
	s_lshl_b64 s[2:3], s[2:3], 4
	s_add_u32 s16, s8, s2
	s_addc_u32 s17, s9, s3
	v_pk_mov_b32 v[0:1], s[16:17], s[16:17] op_sel:[0,1]
	;;#ASMSTART
	global_load_dwordx4 v[0:3], v[0:1] off glc	
s_waitcnt vmcnt(0)
	;;#ASMEND
	v_mov_b32_e32 v7, 0
	v_and_b32_e32 v6, 0xff, v2
	s_mov_b64 s[6:7], 0
	v_cmp_eq_u64_e32 vcc, 0, v[6:7]
	s_and_saveexec_b64 s[2:3], vcc
	s_cbranch_execz .LBB1878_8
; %bb.3:
	s_mov_b32 s11, 1
	v_pk_mov_b32 v[8:9], s[16:17], s[16:17] op_sel:[0,1]
.LBB1878_4:                             ; =>This Loop Header: Depth=1
                                        ;     Child Loop BB1878_5 Depth 2
	s_max_u32 s16, s11, 1
.LBB1878_5:                             ;   Parent Loop BB1878_4 Depth=1
                                        ; =>  This Inner Loop Header: Depth=2
	s_add_i32 s16, s16, -1
	s_cmp_eq_u32 s16, 0
	s_sleep 1
	s_cbranch_scc0 .LBB1878_5
; %bb.6:                                ;   in Loop: Header=BB1878_4 Depth=1
	s_cmp_lt_u32 s11, 32
	s_cselect_b64 s[16:17], -1, 0
	s_cmp_lg_u64 s[16:17], 0
	;;#ASMSTART
	global_load_dwordx4 v[0:3], v[8:9] off glc	
s_waitcnt vmcnt(0)
	;;#ASMEND
	v_and_b32_e32 v6, 0xff, v2
	s_addc_u32 s11, s11, 0
	v_cmp_ne_u64_e32 vcc, 0, v[6:7]
	s_or_b64 s[6:7], vcc, s[6:7]
	s_andn2_b64 exec, exec, s[6:7]
	s_cbranch_execnz .LBB1878_4
; %bb.7:
	s_or_b64 exec, exec, s[6:7]
.LBB1878_8:
	s_or_b64 exec, exec, s[2:3]
	v_mov_b32_e32 v2, 0
	global_store_dword v2, v0, s[12:13]
	global_store_byte v2, v1, s[12:13] offset:4
.LBB1878_9:
	s_or_b64 exec, exec, s[0:1]
.LBB1878_10:
	v_cmp_eq_u32_e32 vcc, 0, v4
	s_and_saveexec_b64 s[0:1], vcc
	s_cbranch_execz .LBB1878_12
; %bb.11:
	s_load_dwordx2 s[2:3], s[4:5], 0x38
	v_mov_b32_e32 v0, 0
	s_waitcnt lgkmcnt(0)
	global_store_dword v0, v0, s[2:3]
.LBB1878_12:
	s_or_b64 exec, exec, s[0:1]
	v_cmp_gt_u32_e32 vcc, s10, v4
	s_and_saveexec_b64 s[0:1], vcc
	s_cbranch_execz .LBB1878_14
; %bb.13:
	v_add_u32_e32 v0, 64, v4
	v_mov_b32_e32 v1, 0
	v_lshlrev_b64 v[2:3], 4, v[0:1]
	v_mov_b32_e32 v0, s9
	v_add_co_u32_e32 v6, vcc, s8, v2
	v_addc_co_u32_e32 v7, vcc, v0, v3, vcc
	v_mov_b32_e32 v0, v1
	v_mov_b32_e32 v2, v1
	;; [unrolled: 1-line block ×3, first 2 shown]
	global_store_dwordx4 v[6:7], v[0:3], off
.LBB1878_14:
	s_or_b64 exec, exec, s[0:1]
	v_cmp_gt_u32_e32 vcc, 64, v4
	v_mov_b32_e32 v5, 0
	s_and_saveexec_b64 s[0:1], vcc
	s_cbranch_execz .LBB1878_16
; %bb.15:
	v_lshlrev_b64 v[0:1], 4, v[4:5]
	v_mov_b32_e32 v2, s9
	v_add_co_u32_e32 v6, vcc, s8, v0
	v_addc_co_u32_e32 v7, vcc, v2, v1, vcc
	v_mov_b32_e32 v2, 0xff
	v_mov_b32_e32 v0, v5
	;; [unrolled: 1-line block ×4, first 2 shown]
	global_store_dwordx4 v[6:7], v[0:3], off
.LBB1878_16:
	s_or_b64 exec, exec, s[0:1]
	s_load_dwordx2 s[0:1], s[4:5], 0x28
	s_waitcnt lgkmcnt(0)
	v_cmp_gt_u64_e32 vcc, s[0:1], v[4:5]
	s_and_saveexec_b64 s[2:3], vcc
	s_cbranch_execz .LBB1878_19
; %bb.17:
	s_load_dword s10, s[4:5], 0x30
	s_load_dwordx2 s[6:7], s[4:5], 0x20
	s_mov_b32 s5, 0
	s_mov_b32 s3, s5
	s_mul_i32 s2, s18, s19
	s_waitcnt lgkmcnt(0)
	s_add_i32 s4, s10, -1
	s_lshl_b64 s[4:5], s[4:5], 2
	v_mad_u64_u32 v[0:1], s[8:9], s10, v4, 0
	s_add_u32 s4, s14, s4
	v_lshlrev_b64 v[0:1], 2, v[0:1]
	s_addc_u32 s5, s15, s5
	v_mov_b32_e32 v2, s5
	v_add_co_u32_e32 v0, vcc, s4, v0
	v_addc_co_u32_e32 v1, vcc, v2, v1, vcc
	s_mul_hi_u32 s5, s10, s2
	s_mul_i32 s4, s10, s2
	v_lshlrev_b64 v[2:3], 2, v[4:5]
	s_lshl_b64 s[4:5], s[4:5], 2
	v_mov_b32_e32 v6, s7
	v_add_co_u32_e32 v2, vcc, s6, v2
	s_lshl_b64 s[6:7], s[2:3], 2
	v_addc_co_u32_e32 v3, vcc, v6, v3, vcc
	s_mov_b64 s[8:9], 0
	v_mov_b32_e32 v6, s3
	v_mov_b32_e32 v7, s5
	;; [unrolled: 1-line block ×3, first 2 shown]
.LBB1878_18:                            ; =>This Inner Loop Header: Depth=1
	global_load_dword v9, v[0:1], off
	v_add_co_u32_e32 v4, vcc, s2, v4
	v_addc_co_u32_e32 v5, vcc, v5, v6, vcc
	v_add_co_u32_e32 v0, vcc, s4, v0
	v_addc_co_u32_e32 v1, vcc, v1, v7, vcc
	v_cmp_le_u64_e32 vcc, s[0:1], v[4:5]
	s_or_b64 s[8:9], vcc, s[8:9]
	s_waitcnt vmcnt(0)
	global_store_dword v[2:3], v9, off
	v_add_co_u32_e32 v2, vcc, s6, v2
	v_addc_co_u32_e32 v3, vcc, v3, v8, vcc
	s_andn2_b64 exec, exec, s[8:9]
	s_cbranch_execnz .LBB1878_18
.LBB1878_19:
	s_endpgm
	.section	.rodata,"a",@progbits
	.p2align	6, 0x0
	.amdhsa_kernel _ZN7rocprim17ROCPRIM_400000_NS6detail30init_device_scan_by_key_kernelINS1_19lookback_scan_stateINS0_5tupleIJ11FixedVectorIiLj1EEbEEELb1ELb1EEEN6thrust23THRUST_200600_302600_NS6detail15normal_iteratorINSA_10device_ptrIjEEEEjNS1_16block_id_wrapperIjLb1EEEEEvT_jjPNSI_10value_typeET0_PNSt15iterator_traitsISL_E10value_typeEmT1_T2_
		.amdhsa_group_segment_fixed_size 0
		.amdhsa_private_segment_fixed_size 0
		.amdhsa_kernarg_size 320
		.amdhsa_user_sgpr_count 6
		.amdhsa_user_sgpr_private_segment_buffer 1
		.amdhsa_user_sgpr_dispatch_ptr 0
		.amdhsa_user_sgpr_queue_ptr 0
		.amdhsa_user_sgpr_kernarg_segment_ptr 1
		.amdhsa_user_sgpr_dispatch_id 0
		.amdhsa_user_sgpr_flat_scratch_init 0
		.amdhsa_user_sgpr_kernarg_preload_length 0
		.amdhsa_user_sgpr_kernarg_preload_offset 0
		.amdhsa_user_sgpr_private_segment_size 0
		.amdhsa_uses_dynamic_stack 0
		.amdhsa_system_sgpr_private_segment_wavefront_offset 0
		.amdhsa_system_sgpr_workgroup_id_x 1
		.amdhsa_system_sgpr_workgroup_id_y 0
		.amdhsa_system_sgpr_workgroup_id_z 0
		.amdhsa_system_sgpr_workgroup_info 0
		.amdhsa_system_vgpr_workitem_id 0
		.amdhsa_next_free_vgpr 10
		.amdhsa_next_free_sgpr 20
		.amdhsa_accum_offset 12
		.amdhsa_reserve_vcc 1
		.amdhsa_reserve_flat_scratch 0
		.amdhsa_float_round_mode_32 0
		.amdhsa_float_round_mode_16_64 0
		.amdhsa_float_denorm_mode_32 3
		.amdhsa_float_denorm_mode_16_64 3
		.amdhsa_dx10_clamp 1
		.amdhsa_ieee_mode 1
		.amdhsa_fp16_overflow 0
		.amdhsa_tg_split 0
		.amdhsa_exception_fp_ieee_invalid_op 0
		.amdhsa_exception_fp_denorm_src 0
		.amdhsa_exception_fp_ieee_div_zero 0
		.amdhsa_exception_fp_ieee_overflow 0
		.amdhsa_exception_fp_ieee_underflow 0
		.amdhsa_exception_fp_ieee_inexact 0
		.amdhsa_exception_int_div_zero 0
	.end_amdhsa_kernel
	.section	.text._ZN7rocprim17ROCPRIM_400000_NS6detail30init_device_scan_by_key_kernelINS1_19lookback_scan_stateINS0_5tupleIJ11FixedVectorIiLj1EEbEEELb1ELb1EEEN6thrust23THRUST_200600_302600_NS6detail15normal_iteratorINSA_10device_ptrIjEEEEjNS1_16block_id_wrapperIjLb1EEEEEvT_jjPNSI_10value_typeET0_PNSt15iterator_traitsISL_E10value_typeEmT1_T2_,"axG",@progbits,_ZN7rocprim17ROCPRIM_400000_NS6detail30init_device_scan_by_key_kernelINS1_19lookback_scan_stateINS0_5tupleIJ11FixedVectorIiLj1EEbEEELb1ELb1EEEN6thrust23THRUST_200600_302600_NS6detail15normal_iteratorINSA_10device_ptrIjEEEEjNS1_16block_id_wrapperIjLb1EEEEEvT_jjPNSI_10value_typeET0_PNSt15iterator_traitsISL_E10value_typeEmT1_T2_,comdat
.Lfunc_end1878:
	.size	_ZN7rocprim17ROCPRIM_400000_NS6detail30init_device_scan_by_key_kernelINS1_19lookback_scan_stateINS0_5tupleIJ11FixedVectorIiLj1EEbEEELb1ELb1EEEN6thrust23THRUST_200600_302600_NS6detail15normal_iteratorINSA_10device_ptrIjEEEEjNS1_16block_id_wrapperIjLb1EEEEEvT_jjPNSI_10value_typeET0_PNSt15iterator_traitsISL_E10value_typeEmT1_T2_, .Lfunc_end1878-_ZN7rocprim17ROCPRIM_400000_NS6detail30init_device_scan_by_key_kernelINS1_19lookback_scan_stateINS0_5tupleIJ11FixedVectorIiLj1EEbEEELb1ELb1EEEN6thrust23THRUST_200600_302600_NS6detail15normal_iteratorINSA_10device_ptrIjEEEEjNS1_16block_id_wrapperIjLb1EEEEEvT_jjPNSI_10value_typeET0_PNSt15iterator_traitsISL_E10value_typeEmT1_T2_
                                        ; -- End function
	.section	.AMDGPU.csdata,"",@progbits
; Kernel info:
; codeLenInByte = 652
; NumSgprs: 24
; NumVgprs: 10
; NumAgprs: 0
; TotalNumVgprs: 10
; ScratchSize: 0
; MemoryBound: 0
; FloatMode: 240
; IeeeMode: 1
; LDSByteSize: 0 bytes/workgroup (compile time only)
; SGPRBlocks: 2
; VGPRBlocks: 1
; NumSGPRsForWavesPerEU: 24
; NumVGPRsForWavesPerEU: 10
; AccumOffset: 12
; Occupancy: 8
; WaveLimiterHint : 0
; COMPUTE_PGM_RSRC2:SCRATCH_EN: 0
; COMPUTE_PGM_RSRC2:USER_SGPR: 6
; COMPUTE_PGM_RSRC2:TRAP_HANDLER: 0
; COMPUTE_PGM_RSRC2:TGID_X_EN: 1
; COMPUTE_PGM_RSRC2:TGID_Y_EN: 0
; COMPUTE_PGM_RSRC2:TGID_Z_EN: 0
; COMPUTE_PGM_RSRC2:TIDIG_COMP_CNT: 0
; COMPUTE_PGM_RSRC3_GFX90A:ACCUM_OFFSET: 2
; COMPUTE_PGM_RSRC3_GFX90A:TG_SPLIT: 0
	.section	.text._ZN7rocprim17ROCPRIM_400000_NS6detail30init_device_scan_by_key_kernelINS1_19lookback_scan_stateINS0_5tupleIJ11FixedVectorIiLj1EEbEEELb1ELb1EEENS1_16block_id_wrapperIjLb1EEEEEvT_jjPNSB_10value_typeET0_,"axG",@progbits,_ZN7rocprim17ROCPRIM_400000_NS6detail30init_device_scan_by_key_kernelINS1_19lookback_scan_stateINS0_5tupleIJ11FixedVectorIiLj1EEbEEELb1ELb1EEENS1_16block_id_wrapperIjLb1EEEEEvT_jjPNSB_10value_typeET0_,comdat
	.protected	_ZN7rocprim17ROCPRIM_400000_NS6detail30init_device_scan_by_key_kernelINS1_19lookback_scan_stateINS0_5tupleIJ11FixedVectorIiLj1EEbEEELb1ELb1EEENS1_16block_id_wrapperIjLb1EEEEEvT_jjPNSB_10value_typeET0_ ; -- Begin function _ZN7rocprim17ROCPRIM_400000_NS6detail30init_device_scan_by_key_kernelINS1_19lookback_scan_stateINS0_5tupleIJ11FixedVectorIiLj1EEbEEELb1ELb1EEENS1_16block_id_wrapperIjLb1EEEEEvT_jjPNSB_10value_typeET0_
	.globl	_ZN7rocprim17ROCPRIM_400000_NS6detail30init_device_scan_by_key_kernelINS1_19lookback_scan_stateINS0_5tupleIJ11FixedVectorIiLj1EEbEEELb1ELb1EEENS1_16block_id_wrapperIjLb1EEEEEvT_jjPNSB_10value_typeET0_
	.p2align	8
	.type	_ZN7rocprim17ROCPRIM_400000_NS6detail30init_device_scan_by_key_kernelINS1_19lookback_scan_stateINS0_5tupleIJ11FixedVectorIiLj1EEbEEELb1ELb1EEENS1_16block_id_wrapperIjLb1EEEEEvT_jjPNSB_10value_typeET0_,@function
_ZN7rocprim17ROCPRIM_400000_NS6detail30init_device_scan_by_key_kernelINS1_19lookback_scan_stateINS0_5tupleIJ11FixedVectorIiLj1EEbEEELb1ELb1EEENS1_16block_id_wrapperIjLb1EEEEEvT_jjPNSB_10value_typeET0_: ; @_ZN7rocprim17ROCPRIM_400000_NS6detail30init_device_scan_by_key_kernelINS1_19lookback_scan_stateINS0_5tupleIJ11FixedVectorIiLj1EEbEEELb1ELb1EEENS1_16block_id_wrapperIjLb1EEEEEvT_jjPNSB_10value_typeET0_
; %bb.0:
	s_load_dword s0, s[4:5], 0x2c
	s_load_dwordx8 s[8:15], s[4:5], 0x0
	s_waitcnt lgkmcnt(0)
	s_and_b32 s0, s0, 0xffff
	s_mul_i32 s6, s6, s0
	s_cmp_eq_u64 s[12:13], 0
	v_add_u32_e32 v0, s6, v0
	s_cbranch_scc1 .LBB1879_10
; %bb.1:
	s_cmp_lt_u32 s11, s10
	s_cselect_b32 s0, s11, 0
	s_mov_b32 s3, 0
	v_cmp_eq_u32_e32 vcc, s0, v0
	s_and_saveexec_b64 s[0:1], vcc
	s_cbranch_execz .LBB1879_9
; %bb.2:
	s_add_i32 s2, s11, 64
	s_lshl_b64 s[2:3], s[2:3], 4
	s_add_u32 s6, s8, s2
	s_addc_u32 s7, s9, s3
	v_pk_mov_b32 v[2:3], s[6:7], s[6:7] op_sel:[0,1]
	;;#ASMSTART
	global_load_dwordx4 v[2:5], v[2:3] off glc	
s_waitcnt vmcnt(0)
	;;#ASMEND
	v_mov_b32_e32 v7, 0
	v_and_b32_e32 v6, 0xff, v4
	s_mov_b64 s[4:5], 0
	v_cmp_eq_u64_e32 vcc, 0, v[6:7]
	s_and_saveexec_b64 s[2:3], vcc
	s_cbranch_execz .LBB1879_8
; %bb.3:
	s_mov_b32 s11, 1
	v_pk_mov_b32 v[8:9], s[6:7], s[6:7] op_sel:[0,1]
.LBB1879_4:                             ; =>This Loop Header: Depth=1
                                        ;     Child Loop BB1879_5 Depth 2
	s_max_u32 s6, s11, 1
.LBB1879_5:                             ;   Parent Loop BB1879_4 Depth=1
                                        ; =>  This Inner Loop Header: Depth=2
	s_add_i32 s6, s6, -1
	s_cmp_eq_u32 s6, 0
	s_sleep 1
	s_cbranch_scc0 .LBB1879_5
; %bb.6:                                ;   in Loop: Header=BB1879_4 Depth=1
	s_cmp_lt_u32 s11, 32
	s_cselect_b64 s[6:7], -1, 0
	s_cmp_lg_u64 s[6:7], 0
	;;#ASMSTART
	global_load_dwordx4 v[2:5], v[8:9] off glc	
s_waitcnt vmcnt(0)
	;;#ASMEND
	v_and_b32_e32 v6, 0xff, v4
	s_addc_u32 s11, s11, 0
	v_cmp_ne_u64_e32 vcc, 0, v[6:7]
	s_or_b64 s[4:5], vcc, s[4:5]
	s_andn2_b64 exec, exec, s[4:5]
	s_cbranch_execnz .LBB1879_4
; %bb.7:
	s_or_b64 exec, exec, s[4:5]
.LBB1879_8:
	s_or_b64 exec, exec, s[2:3]
	v_mov_b32_e32 v1, 0
	global_store_dword v1, v2, s[12:13]
	global_store_byte v1, v3, s[12:13] offset:4
.LBB1879_9:
	s_or_b64 exec, exec, s[0:1]
.LBB1879_10:
	v_cmp_eq_u32_e32 vcc, 0, v0
	s_and_saveexec_b64 s[0:1], vcc
	s_cbranch_execnz .LBB1879_14
; %bb.11:
	s_or_b64 exec, exec, s[0:1]
	v_cmp_gt_u32_e32 vcc, s10, v0
	s_and_saveexec_b64 s[0:1], vcc
	s_cbranch_execnz .LBB1879_15
.LBB1879_12:
	s_or_b64 exec, exec, s[0:1]
	v_cmp_gt_u32_e32 vcc, 64, v0
	s_and_saveexec_b64 s[0:1], vcc
	s_cbranch_execnz .LBB1879_16
.LBB1879_13:
	s_endpgm
.LBB1879_14:
	v_mov_b32_e32 v1, 0
	global_store_dword v1, v1, s[14:15]
	s_or_b64 exec, exec, s[0:1]
	v_cmp_gt_u32_e32 vcc, s10, v0
	s_and_saveexec_b64 s[0:1], vcc
	s_cbranch_execz .LBB1879_12
.LBB1879_15:
	v_add_u32_e32 v2, 64, v0
	v_mov_b32_e32 v3, 0
	v_lshlrev_b64 v[4:5], 4, v[2:3]
	v_mov_b32_e32 v1, s9
	v_add_co_u32_e32 v6, vcc, s8, v4
	v_addc_co_u32_e32 v7, vcc, v1, v5, vcc
	v_mov_b32_e32 v2, v3
	v_mov_b32_e32 v4, v3
	;; [unrolled: 1-line block ×3, first 2 shown]
	global_store_dwordx4 v[6:7], v[2:5], off
	s_or_b64 exec, exec, s[0:1]
	v_cmp_gt_u32_e32 vcc, 64, v0
	s_and_saveexec_b64 s[0:1], vcc
	s_cbranch_execz .LBB1879_13
.LBB1879_16:
	v_mov_b32_e32 v1, 0
	v_lshlrev_b64 v[2:3], 4, v[0:1]
	v_mov_b32_e32 v0, s9
	v_add_co_u32_e32 v4, vcc, s8, v2
	v_addc_co_u32_e32 v5, vcc, v0, v3, vcc
	v_mov_b32_e32 v2, 0xff
	v_mov_b32_e32 v0, v1
	;; [unrolled: 1-line block ×3, first 2 shown]
	global_store_dwordx4 v[4:5], v[0:3], off
	s_endpgm
	.section	.rodata,"a",@progbits
	.p2align	6, 0x0
	.amdhsa_kernel _ZN7rocprim17ROCPRIM_400000_NS6detail30init_device_scan_by_key_kernelINS1_19lookback_scan_stateINS0_5tupleIJ11FixedVectorIiLj1EEbEEELb1ELb1EEENS1_16block_id_wrapperIjLb1EEEEEvT_jjPNSB_10value_typeET0_
		.amdhsa_group_segment_fixed_size 0
		.amdhsa_private_segment_fixed_size 0
		.amdhsa_kernarg_size 288
		.amdhsa_user_sgpr_count 6
		.amdhsa_user_sgpr_private_segment_buffer 1
		.amdhsa_user_sgpr_dispatch_ptr 0
		.amdhsa_user_sgpr_queue_ptr 0
		.amdhsa_user_sgpr_kernarg_segment_ptr 1
		.amdhsa_user_sgpr_dispatch_id 0
		.amdhsa_user_sgpr_flat_scratch_init 0
		.amdhsa_user_sgpr_kernarg_preload_length 0
		.amdhsa_user_sgpr_kernarg_preload_offset 0
		.amdhsa_user_sgpr_private_segment_size 0
		.amdhsa_uses_dynamic_stack 0
		.amdhsa_system_sgpr_private_segment_wavefront_offset 0
		.amdhsa_system_sgpr_workgroup_id_x 1
		.amdhsa_system_sgpr_workgroup_id_y 0
		.amdhsa_system_sgpr_workgroup_id_z 0
		.amdhsa_system_sgpr_workgroup_info 0
		.amdhsa_system_vgpr_workitem_id 0
		.amdhsa_next_free_vgpr 10
		.amdhsa_next_free_sgpr 16
		.amdhsa_accum_offset 12
		.amdhsa_reserve_vcc 1
		.amdhsa_reserve_flat_scratch 0
		.amdhsa_float_round_mode_32 0
		.amdhsa_float_round_mode_16_64 0
		.amdhsa_float_denorm_mode_32 3
		.amdhsa_float_denorm_mode_16_64 3
		.amdhsa_dx10_clamp 1
		.amdhsa_ieee_mode 1
		.amdhsa_fp16_overflow 0
		.amdhsa_tg_split 0
		.amdhsa_exception_fp_ieee_invalid_op 0
		.amdhsa_exception_fp_denorm_src 0
		.amdhsa_exception_fp_ieee_div_zero 0
		.amdhsa_exception_fp_ieee_overflow 0
		.amdhsa_exception_fp_ieee_underflow 0
		.amdhsa_exception_fp_ieee_inexact 0
		.amdhsa_exception_int_div_zero 0
	.end_amdhsa_kernel
	.section	.text._ZN7rocprim17ROCPRIM_400000_NS6detail30init_device_scan_by_key_kernelINS1_19lookback_scan_stateINS0_5tupleIJ11FixedVectorIiLj1EEbEEELb1ELb1EEENS1_16block_id_wrapperIjLb1EEEEEvT_jjPNSB_10value_typeET0_,"axG",@progbits,_ZN7rocprim17ROCPRIM_400000_NS6detail30init_device_scan_by_key_kernelINS1_19lookback_scan_stateINS0_5tupleIJ11FixedVectorIiLj1EEbEEELb1ELb1EEENS1_16block_id_wrapperIjLb1EEEEEvT_jjPNSB_10value_typeET0_,comdat
.Lfunc_end1879:
	.size	_ZN7rocprim17ROCPRIM_400000_NS6detail30init_device_scan_by_key_kernelINS1_19lookback_scan_stateINS0_5tupleIJ11FixedVectorIiLj1EEbEEELb1ELb1EEENS1_16block_id_wrapperIjLb1EEEEEvT_jjPNSB_10value_typeET0_, .Lfunc_end1879-_ZN7rocprim17ROCPRIM_400000_NS6detail30init_device_scan_by_key_kernelINS1_19lookback_scan_stateINS0_5tupleIJ11FixedVectorIiLj1EEbEEELb1ELb1EEENS1_16block_id_wrapperIjLb1EEEEEvT_jjPNSB_10value_typeET0_
                                        ; -- End function
	.section	.AMDGPU.csdata,"",@progbits
; Kernel info:
; codeLenInByte = 448
; NumSgprs: 20
; NumVgprs: 10
; NumAgprs: 0
; TotalNumVgprs: 10
; ScratchSize: 0
; MemoryBound: 0
; FloatMode: 240
; IeeeMode: 1
; LDSByteSize: 0 bytes/workgroup (compile time only)
; SGPRBlocks: 2
; VGPRBlocks: 1
; NumSGPRsForWavesPerEU: 20
; NumVGPRsForWavesPerEU: 10
; AccumOffset: 12
; Occupancy: 8
; WaveLimiterHint : 0
; COMPUTE_PGM_RSRC2:SCRATCH_EN: 0
; COMPUTE_PGM_RSRC2:USER_SGPR: 6
; COMPUTE_PGM_RSRC2:TRAP_HANDLER: 0
; COMPUTE_PGM_RSRC2:TGID_X_EN: 1
; COMPUTE_PGM_RSRC2:TGID_Y_EN: 0
; COMPUTE_PGM_RSRC2:TGID_Z_EN: 0
; COMPUTE_PGM_RSRC2:TIDIG_COMP_CNT: 0
; COMPUTE_PGM_RSRC3_GFX90A:ACCUM_OFFSET: 2
; COMPUTE_PGM_RSRC3_GFX90A:TG_SPLIT: 0
	.section	.text._ZN7rocprim17ROCPRIM_400000_NS6detail17trampoline_kernelINS0_14default_configENS1_27scan_by_key_config_selectorIj11FixedVectorIiLj1EEEEZZNS1_16scan_by_key_implILNS1_25lookback_scan_determinismE0ELb0ES3_N6thrust23THRUST_200600_302600_NS6detail15normal_iteratorINSB_10device_ptrIjEEEENSD_INSE_IS6_EEEESI_S6_NSB_4plusIvEENSB_8equal_toIvEES6_EE10hipError_tPvRmT2_T3_T4_T5_mT6_T7_P12ihipStream_tbENKUlT_T0_E_clISt17integral_constantIbLb1EES13_EEDaSY_SZ_EUlSY_E_NS1_11comp_targetILNS1_3genE0ELNS1_11target_archE4294967295ELNS1_3gpuE0ELNS1_3repE0EEENS1_30default_config_static_selectorELNS0_4arch9wavefront6targetE1EEEvT1_,"axG",@progbits,_ZN7rocprim17ROCPRIM_400000_NS6detail17trampoline_kernelINS0_14default_configENS1_27scan_by_key_config_selectorIj11FixedVectorIiLj1EEEEZZNS1_16scan_by_key_implILNS1_25lookback_scan_determinismE0ELb0ES3_N6thrust23THRUST_200600_302600_NS6detail15normal_iteratorINSB_10device_ptrIjEEEENSD_INSE_IS6_EEEESI_S6_NSB_4plusIvEENSB_8equal_toIvEES6_EE10hipError_tPvRmT2_T3_T4_T5_mT6_T7_P12ihipStream_tbENKUlT_T0_E_clISt17integral_constantIbLb1EES13_EEDaSY_SZ_EUlSY_E_NS1_11comp_targetILNS1_3genE0ELNS1_11target_archE4294967295ELNS1_3gpuE0ELNS1_3repE0EEENS1_30default_config_static_selectorELNS0_4arch9wavefront6targetE1EEEvT1_,comdat
	.protected	_ZN7rocprim17ROCPRIM_400000_NS6detail17trampoline_kernelINS0_14default_configENS1_27scan_by_key_config_selectorIj11FixedVectorIiLj1EEEEZZNS1_16scan_by_key_implILNS1_25lookback_scan_determinismE0ELb0ES3_N6thrust23THRUST_200600_302600_NS6detail15normal_iteratorINSB_10device_ptrIjEEEENSD_INSE_IS6_EEEESI_S6_NSB_4plusIvEENSB_8equal_toIvEES6_EE10hipError_tPvRmT2_T3_T4_T5_mT6_T7_P12ihipStream_tbENKUlT_T0_E_clISt17integral_constantIbLb1EES13_EEDaSY_SZ_EUlSY_E_NS1_11comp_targetILNS1_3genE0ELNS1_11target_archE4294967295ELNS1_3gpuE0ELNS1_3repE0EEENS1_30default_config_static_selectorELNS0_4arch9wavefront6targetE1EEEvT1_ ; -- Begin function _ZN7rocprim17ROCPRIM_400000_NS6detail17trampoline_kernelINS0_14default_configENS1_27scan_by_key_config_selectorIj11FixedVectorIiLj1EEEEZZNS1_16scan_by_key_implILNS1_25lookback_scan_determinismE0ELb0ES3_N6thrust23THRUST_200600_302600_NS6detail15normal_iteratorINSB_10device_ptrIjEEEENSD_INSE_IS6_EEEESI_S6_NSB_4plusIvEENSB_8equal_toIvEES6_EE10hipError_tPvRmT2_T3_T4_T5_mT6_T7_P12ihipStream_tbENKUlT_T0_E_clISt17integral_constantIbLb1EES13_EEDaSY_SZ_EUlSY_E_NS1_11comp_targetILNS1_3genE0ELNS1_11target_archE4294967295ELNS1_3gpuE0ELNS1_3repE0EEENS1_30default_config_static_selectorELNS0_4arch9wavefront6targetE1EEEvT1_
	.globl	_ZN7rocprim17ROCPRIM_400000_NS6detail17trampoline_kernelINS0_14default_configENS1_27scan_by_key_config_selectorIj11FixedVectorIiLj1EEEEZZNS1_16scan_by_key_implILNS1_25lookback_scan_determinismE0ELb0ES3_N6thrust23THRUST_200600_302600_NS6detail15normal_iteratorINSB_10device_ptrIjEEEENSD_INSE_IS6_EEEESI_S6_NSB_4plusIvEENSB_8equal_toIvEES6_EE10hipError_tPvRmT2_T3_T4_T5_mT6_T7_P12ihipStream_tbENKUlT_T0_E_clISt17integral_constantIbLb1EES13_EEDaSY_SZ_EUlSY_E_NS1_11comp_targetILNS1_3genE0ELNS1_11target_archE4294967295ELNS1_3gpuE0ELNS1_3repE0EEENS1_30default_config_static_selectorELNS0_4arch9wavefront6targetE1EEEvT1_
	.p2align	8
	.type	_ZN7rocprim17ROCPRIM_400000_NS6detail17trampoline_kernelINS0_14default_configENS1_27scan_by_key_config_selectorIj11FixedVectorIiLj1EEEEZZNS1_16scan_by_key_implILNS1_25lookback_scan_determinismE0ELb0ES3_N6thrust23THRUST_200600_302600_NS6detail15normal_iteratorINSB_10device_ptrIjEEEENSD_INSE_IS6_EEEESI_S6_NSB_4plusIvEENSB_8equal_toIvEES6_EE10hipError_tPvRmT2_T3_T4_T5_mT6_T7_P12ihipStream_tbENKUlT_T0_E_clISt17integral_constantIbLb1EES13_EEDaSY_SZ_EUlSY_E_NS1_11comp_targetILNS1_3genE0ELNS1_11target_archE4294967295ELNS1_3gpuE0ELNS1_3repE0EEENS1_30default_config_static_selectorELNS0_4arch9wavefront6targetE1EEEvT1_,@function
_ZN7rocprim17ROCPRIM_400000_NS6detail17trampoline_kernelINS0_14default_configENS1_27scan_by_key_config_selectorIj11FixedVectorIiLj1EEEEZZNS1_16scan_by_key_implILNS1_25lookback_scan_determinismE0ELb0ES3_N6thrust23THRUST_200600_302600_NS6detail15normal_iteratorINSB_10device_ptrIjEEEENSD_INSE_IS6_EEEESI_S6_NSB_4plusIvEENSB_8equal_toIvEES6_EE10hipError_tPvRmT2_T3_T4_T5_mT6_T7_P12ihipStream_tbENKUlT_T0_E_clISt17integral_constantIbLb1EES13_EEDaSY_SZ_EUlSY_E_NS1_11comp_targetILNS1_3genE0ELNS1_11target_archE4294967295ELNS1_3gpuE0ELNS1_3repE0EEENS1_30default_config_static_selectorELNS0_4arch9wavefront6targetE1EEEvT1_: ; @_ZN7rocprim17ROCPRIM_400000_NS6detail17trampoline_kernelINS0_14default_configENS1_27scan_by_key_config_selectorIj11FixedVectorIiLj1EEEEZZNS1_16scan_by_key_implILNS1_25lookback_scan_determinismE0ELb0ES3_N6thrust23THRUST_200600_302600_NS6detail15normal_iteratorINSB_10device_ptrIjEEEENSD_INSE_IS6_EEEESI_S6_NSB_4plusIvEENSB_8equal_toIvEES6_EE10hipError_tPvRmT2_T3_T4_T5_mT6_T7_P12ihipStream_tbENKUlT_T0_E_clISt17integral_constantIbLb1EES13_EEDaSY_SZ_EUlSY_E_NS1_11comp_targetILNS1_3genE0ELNS1_11target_archE4294967295ELNS1_3gpuE0ELNS1_3repE0EEENS1_30default_config_static_selectorELNS0_4arch9wavefront6targetE1EEEvT1_
; %bb.0:
	.section	.rodata,"a",@progbits
	.p2align	6, 0x0
	.amdhsa_kernel _ZN7rocprim17ROCPRIM_400000_NS6detail17trampoline_kernelINS0_14default_configENS1_27scan_by_key_config_selectorIj11FixedVectorIiLj1EEEEZZNS1_16scan_by_key_implILNS1_25lookback_scan_determinismE0ELb0ES3_N6thrust23THRUST_200600_302600_NS6detail15normal_iteratorINSB_10device_ptrIjEEEENSD_INSE_IS6_EEEESI_S6_NSB_4plusIvEENSB_8equal_toIvEES6_EE10hipError_tPvRmT2_T3_T4_T5_mT6_T7_P12ihipStream_tbENKUlT_T0_E_clISt17integral_constantIbLb1EES13_EEDaSY_SZ_EUlSY_E_NS1_11comp_targetILNS1_3genE0ELNS1_11target_archE4294967295ELNS1_3gpuE0ELNS1_3repE0EEENS1_30default_config_static_selectorELNS0_4arch9wavefront6targetE1EEEvT1_
		.amdhsa_group_segment_fixed_size 0
		.amdhsa_private_segment_fixed_size 0
		.amdhsa_kernarg_size 112
		.amdhsa_user_sgpr_count 6
		.amdhsa_user_sgpr_private_segment_buffer 1
		.amdhsa_user_sgpr_dispatch_ptr 0
		.amdhsa_user_sgpr_queue_ptr 0
		.amdhsa_user_sgpr_kernarg_segment_ptr 1
		.amdhsa_user_sgpr_dispatch_id 0
		.amdhsa_user_sgpr_flat_scratch_init 0
		.amdhsa_user_sgpr_kernarg_preload_length 0
		.amdhsa_user_sgpr_kernarg_preload_offset 0
		.amdhsa_user_sgpr_private_segment_size 0
		.amdhsa_uses_dynamic_stack 0
		.amdhsa_system_sgpr_private_segment_wavefront_offset 0
		.amdhsa_system_sgpr_workgroup_id_x 1
		.amdhsa_system_sgpr_workgroup_id_y 0
		.amdhsa_system_sgpr_workgroup_id_z 0
		.amdhsa_system_sgpr_workgroup_info 0
		.amdhsa_system_vgpr_workitem_id 0
		.amdhsa_next_free_vgpr 1
		.amdhsa_next_free_sgpr 0
		.amdhsa_accum_offset 4
		.amdhsa_reserve_vcc 0
		.amdhsa_reserve_flat_scratch 0
		.amdhsa_float_round_mode_32 0
		.amdhsa_float_round_mode_16_64 0
		.amdhsa_float_denorm_mode_32 3
		.amdhsa_float_denorm_mode_16_64 3
		.amdhsa_dx10_clamp 1
		.amdhsa_ieee_mode 1
		.amdhsa_fp16_overflow 0
		.amdhsa_tg_split 0
		.amdhsa_exception_fp_ieee_invalid_op 0
		.amdhsa_exception_fp_denorm_src 0
		.amdhsa_exception_fp_ieee_div_zero 0
		.amdhsa_exception_fp_ieee_overflow 0
		.amdhsa_exception_fp_ieee_underflow 0
		.amdhsa_exception_fp_ieee_inexact 0
		.amdhsa_exception_int_div_zero 0
	.end_amdhsa_kernel
	.section	.text._ZN7rocprim17ROCPRIM_400000_NS6detail17trampoline_kernelINS0_14default_configENS1_27scan_by_key_config_selectorIj11FixedVectorIiLj1EEEEZZNS1_16scan_by_key_implILNS1_25lookback_scan_determinismE0ELb0ES3_N6thrust23THRUST_200600_302600_NS6detail15normal_iteratorINSB_10device_ptrIjEEEENSD_INSE_IS6_EEEESI_S6_NSB_4plusIvEENSB_8equal_toIvEES6_EE10hipError_tPvRmT2_T3_T4_T5_mT6_T7_P12ihipStream_tbENKUlT_T0_E_clISt17integral_constantIbLb1EES13_EEDaSY_SZ_EUlSY_E_NS1_11comp_targetILNS1_3genE0ELNS1_11target_archE4294967295ELNS1_3gpuE0ELNS1_3repE0EEENS1_30default_config_static_selectorELNS0_4arch9wavefront6targetE1EEEvT1_,"axG",@progbits,_ZN7rocprim17ROCPRIM_400000_NS6detail17trampoline_kernelINS0_14default_configENS1_27scan_by_key_config_selectorIj11FixedVectorIiLj1EEEEZZNS1_16scan_by_key_implILNS1_25lookback_scan_determinismE0ELb0ES3_N6thrust23THRUST_200600_302600_NS6detail15normal_iteratorINSB_10device_ptrIjEEEENSD_INSE_IS6_EEEESI_S6_NSB_4plusIvEENSB_8equal_toIvEES6_EE10hipError_tPvRmT2_T3_T4_T5_mT6_T7_P12ihipStream_tbENKUlT_T0_E_clISt17integral_constantIbLb1EES13_EEDaSY_SZ_EUlSY_E_NS1_11comp_targetILNS1_3genE0ELNS1_11target_archE4294967295ELNS1_3gpuE0ELNS1_3repE0EEENS1_30default_config_static_selectorELNS0_4arch9wavefront6targetE1EEEvT1_,comdat
.Lfunc_end1880:
	.size	_ZN7rocprim17ROCPRIM_400000_NS6detail17trampoline_kernelINS0_14default_configENS1_27scan_by_key_config_selectorIj11FixedVectorIiLj1EEEEZZNS1_16scan_by_key_implILNS1_25lookback_scan_determinismE0ELb0ES3_N6thrust23THRUST_200600_302600_NS6detail15normal_iteratorINSB_10device_ptrIjEEEENSD_INSE_IS6_EEEESI_S6_NSB_4plusIvEENSB_8equal_toIvEES6_EE10hipError_tPvRmT2_T3_T4_T5_mT6_T7_P12ihipStream_tbENKUlT_T0_E_clISt17integral_constantIbLb1EES13_EEDaSY_SZ_EUlSY_E_NS1_11comp_targetILNS1_3genE0ELNS1_11target_archE4294967295ELNS1_3gpuE0ELNS1_3repE0EEENS1_30default_config_static_selectorELNS0_4arch9wavefront6targetE1EEEvT1_, .Lfunc_end1880-_ZN7rocprim17ROCPRIM_400000_NS6detail17trampoline_kernelINS0_14default_configENS1_27scan_by_key_config_selectorIj11FixedVectorIiLj1EEEEZZNS1_16scan_by_key_implILNS1_25lookback_scan_determinismE0ELb0ES3_N6thrust23THRUST_200600_302600_NS6detail15normal_iteratorINSB_10device_ptrIjEEEENSD_INSE_IS6_EEEESI_S6_NSB_4plusIvEENSB_8equal_toIvEES6_EE10hipError_tPvRmT2_T3_T4_T5_mT6_T7_P12ihipStream_tbENKUlT_T0_E_clISt17integral_constantIbLb1EES13_EEDaSY_SZ_EUlSY_E_NS1_11comp_targetILNS1_3genE0ELNS1_11target_archE4294967295ELNS1_3gpuE0ELNS1_3repE0EEENS1_30default_config_static_selectorELNS0_4arch9wavefront6targetE1EEEvT1_
                                        ; -- End function
	.section	.AMDGPU.csdata,"",@progbits
; Kernel info:
; codeLenInByte = 0
; NumSgprs: 4
; NumVgprs: 0
; NumAgprs: 0
; TotalNumVgprs: 0
; ScratchSize: 0
; MemoryBound: 0
; FloatMode: 240
; IeeeMode: 1
; LDSByteSize: 0 bytes/workgroup (compile time only)
; SGPRBlocks: 0
; VGPRBlocks: 0
; NumSGPRsForWavesPerEU: 4
; NumVGPRsForWavesPerEU: 1
; AccumOffset: 4
; Occupancy: 8
; WaveLimiterHint : 0
; COMPUTE_PGM_RSRC2:SCRATCH_EN: 0
; COMPUTE_PGM_RSRC2:USER_SGPR: 6
; COMPUTE_PGM_RSRC2:TRAP_HANDLER: 0
; COMPUTE_PGM_RSRC2:TGID_X_EN: 1
; COMPUTE_PGM_RSRC2:TGID_Y_EN: 0
; COMPUTE_PGM_RSRC2:TGID_Z_EN: 0
; COMPUTE_PGM_RSRC2:TIDIG_COMP_CNT: 0
; COMPUTE_PGM_RSRC3_GFX90A:ACCUM_OFFSET: 0
; COMPUTE_PGM_RSRC3_GFX90A:TG_SPLIT: 0
	.section	.text._ZN7rocprim17ROCPRIM_400000_NS6detail17trampoline_kernelINS0_14default_configENS1_27scan_by_key_config_selectorIj11FixedVectorIiLj1EEEEZZNS1_16scan_by_key_implILNS1_25lookback_scan_determinismE0ELb0ES3_N6thrust23THRUST_200600_302600_NS6detail15normal_iteratorINSB_10device_ptrIjEEEENSD_INSE_IS6_EEEESI_S6_NSB_4plusIvEENSB_8equal_toIvEES6_EE10hipError_tPvRmT2_T3_T4_T5_mT6_T7_P12ihipStream_tbENKUlT_T0_E_clISt17integral_constantIbLb1EES13_EEDaSY_SZ_EUlSY_E_NS1_11comp_targetILNS1_3genE10ELNS1_11target_archE1201ELNS1_3gpuE5ELNS1_3repE0EEENS1_30default_config_static_selectorELNS0_4arch9wavefront6targetE1EEEvT1_,"axG",@progbits,_ZN7rocprim17ROCPRIM_400000_NS6detail17trampoline_kernelINS0_14default_configENS1_27scan_by_key_config_selectorIj11FixedVectorIiLj1EEEEZZNS1_16scan_by_key_implILNS1_25lookback_scan_determinismE0ELb0ES3_N6thrust23THRUST_200600_302600_NS6detail15normal_iteratorINSB_10device_ptrIjEEEENSD_INSE_IS6_EEEESI_S6_NSB_4plusIvEENSB_8equal_toIvEES6_EE10hipError_tPvRmT2_T3_T4_T5_mT6_T7_P12ihipStream_tbENKUlT_T0_E_clISt17integral_constantIbLb1EES13_EEDaSY_SZ_EUlSY_E_NS1_11comp_targetILNS1_3genE10ELNS1_11target_archE1201ELNS1_3gpuE5ELNS1_3repE0EEENS1_30default_config_static_selectorELNS0_4arch9wavefront6targetE1EEEvT1_,comdat
	.protected	_ZN7rocprim17ROCPRIM_400000_NS6detail17trampoline_kernelINS0_14default_configENS1_27scan_by_key_config_selectorIj11FixedVectorIiLj1EEEEZZNS1_16scan_by_key_implILNS1_25lookback_scan_determinismE0ELb0ES3_N6thrust23THRUST_200600_302600_NS6detail15normal_iteratorINSB_10device_ptrIjEEEENSD_INSE_IS6_EEEESI_S6_NSB_4plusIvEENSB_8equal_toIvEES6_EE10hipError_tPvRmT2_T3_T4_T5_mT6_T7_P12ihipStream_tbENKUlT_T0_E_clISt17integral_constantIbLb1EES13_EEDaSY_SZ_EUlSY_E_NS1_11comp_targetILNS1_3genE10ELNS1_11target_archE1201ELNS1_3gpuE5ELNS1_3repE0EEENS1_30default_config_static_selectorELNS0_4arch9wavefront6targetE1EEEvT1_ ; -- Begin function _ZN7rocprim17ROCPRIM_400000_NS6detail17trampoline_kernelINS0_14default_configENS1_27scan_by_key_config_selectorIj11FixedVectorIiLj1EEEEZZNS1_16scan_by_key_implILNS1_25lookback_scan_determinismE0ELb0ES3_N6thrust23THRUST_200600_302600_NS6detail15normal_iteratorINSB_10device_ptrIjEEEENSD_INSE_IS6_EEEESI_S6_NSB_4plusIvEENSB_8equal_toIvEES6_EE10hipError_tPvRmT2_T3_T4_T5_mT6_T7_P12ihipStream_tbENKUlT_T0_E_clISt17integral_constantIbLb1EES13_EEDaSY_SZ_EUlSY_E_NS1_11comp_targetILNS1_3genE10ELNS1_11target_archE1201ELNS1_3gpuE5ELNS1_3repE0EEENS1_30default_config_static_selectorELNS0_4arch9wavefront6targetE1EEEvT1_
	.globl	_ZN7rocprim17ROCPRIM_400000_NS6detail17trampoline_kernelINS0_14default_configENS1_27scan_by_key_config_selectorIj11FixedVectorIiLj1EEEEZZNS1_16scan_by_key_implILNS1_25lookback_scan_determinismE0ELb0ES3_N6thrust23THRUST_200600_302600_NS6detail15normal_iteratorINSB_10device_ptrIjEEEENSD_INSE_IS6_EEEESI_S6_NSB_4plusIvEENSB_8equal_toIvEES6_EE10hipError_tPvRmT2_T3_T4_T5_mT6_T7_P12ihipStream_tbENKUlT_T0_E_clISt17integral_constantIbLb1EES13_EEDaSY_SZ_EUlSY_E_NS1_11comp_targetILNS1_3genE10ELNS1_11target_archE1201ELNS1_3gpuE5ELNS1_3repE0EEENS1_30default_config_static_selectorELNS0_4arch9wavefront6targetE1EEEvT1_
	.p2align	8
	.type	_ZN7rocprim17ROCPRIM_400000_NS6detail17trampoline_kernelINS0_14default_configENS1_27scan_by_key_config_selectorIj11FixedVectorIiLj1EEEEZZNS1_16scan_by_key_implILNS1_25lookback_scan_determinismE0ELb0ES3_N6thrust23THRUST_200600_302600_NS6detail15normal_iteratorINSB_10device_ptrIjEEEENSD_INSE_IS6_EEEESI_S6_NSB_4plusIvEENSB_8equal_toIvEES6_EE10hipError_tPvRmT2_T3_T4_T5_mT6_T7_P12ihipStream_tbENKUlT_T0_E_clISt17integral_constantIbLb1EES13_EEDaSY_SZ_EUlSY_E_NS1_11comp_targetILNS1_3genE10ELNS1_11target_archE1201ELNS1_3gpuE5ELNS1_3repE0EEENS1_30default_config_static_selectorELNS0_4arch9wavefront6targetE1EEEvT1_,@function
_ZN7rocprim17ROCPRIM_400000_NS6detail17trampoline_kernelINS0_14default_configENS1_27scan_by_key_config_selectorIj11FixedVectorIiLj1EEEEZZNS1_16scan_by_key_implILNS1_25lookback_scan_determinismE0ELb0ES3_N6thrust23THRUST_200600_302600_NS6detail15normal_iteratorINSB_10device_ptrIjEEEENSD_INSE_IS6_EEEESI_S6_NSB_4plusIvEENSB_8equal_toIvEES6_EE10hipError_tPvRmT2_T3_T4_T5_mT6_T7_P12ihipStream_tbENKUlT_T0_E_clISt17integral_constantIbLb1EES13_EEDaSY_SZ_EUlSY_E_NS1_11comp_targetILNS1_3genE10ELNS1_11target_archE1201ELNS1_3gpuE5ELNS1_3repE0EEENS1_30default_config_static_selectorELNS0_4arch9wavefront6targetE1EEEvT1_: ; @_ZN7rocprim17ROCPRIM_400000_NS6detail17trampoline_kernelINS0_14default_configENS1_27scan_by_key_config_selectorIj11FixedVectorIiLj1EEEEZZNS1_16scan_by_key_implILNS1_25lookback_scan_determinismE0ELb0ES3_N6thrust23THRUST_200600_302600_NS6detail15normal_iteratorINSB_10device_ptrIjEEEENSD_INSE_IS6_EEEESI_S6_NSB_4plusIvEENSB_8equal_toIvEES6_EE10hipError_tPvRmT2_T3_T4_T5_mT6_T7_P12ihipStream_tbENKUlT_T0_E_clISt17integral_constantIbLb1EES13_EEDaSY_SZ_EUlSY_E_NS1_11comp_targetILNS1_3genE10ELNS1_11target_archE1201ELNS1_3gpuE5ELNS1_3repE0EEENS1_30default_config_static_selectorELNS0_4arch9wavefront6targetE1EEEvT1_
; %bb.0:
	.section	.rodata,"a",@progbits
	.p2align	6, 0x0
	.amdhsa_kernel _ZN7rocprim17ROCPRIM_400000_NS6detail17trampoline_kernelINS0_14default_configENS1_27scan_by_key_config_selectorIj11FixedVectorIiLj1EEEEZZNS1_16scan_by_key_implILNS1_25lookback_scan_determinismE0ELb0ES3_N6thrust23THRUST_200600_302600_NS6detail15normal_iteratorINSB_10device_ptrIjEEEENSD_INSE_IS6_EEEESI_S6_NSB_4plusIvEENSB_8equal_toIvEES6_EE10hipError_tPvRmT2_T3_T4_T5_mT6_T7_P12ihipStream_tbENKUlT_T0_E_clISt17integral_constantIbLb1EES13_EEDaSY_SZ_EUlSY_E_NS1_11comp_targetILNS1_3genE10ELNS1_11target_archE1201ELNS1_3gpuE5ELNS1_3repE0EEENS1_30default_config_static_selectorELNS0_4arch9wavefront6targetE1EEEvT1_
		.amdhsa_group_segment_fixed_size 0
		.amdhsa_private_segment_fixed_size 0
		.amdhsa_kernarg_size 112
		.amdhsa_user_sgpr_count 6
		.amdhsa_user_sgpr_private_segment_buffer 1
		.amdhsa_user_sgpr_dispatch_ptr 0
		.amdhsa_user_sgpr_queue_ptr 0
		.amdhsa_user_sgpr_kernarg_segment_ptr 1
		.amdhsa_user_sgpr_dispatch_id 0
		.amdhsa_user_sgpr_flat_scratch_init 0
		.amdhsa_user_sgpr_kernarg_preload_length 0
		.amdhsa_user_sgpr_kernarg_preload_offset 0
		.amdhsa_user_sgpr_private_segment_size 0
		.amdhsa_uses_dynamic_stack 0
		.amdhsa_system_sgpr_private_segment_wavefront_offset 0
		.amdhsa_system_sgpr_workgroup_id_x 1
		.amdhsa_system_sgpr_workgroup_id_y 0
		.amdhsa_system_sgpr_workgroup_id_z 0
		.amdhsa_system_sgpr_workgroup_info 0
		.amdhsa_system_vgpr_workitem_id 0
		.amdhsa_next_free_vgpr 1
		.amdhsa_next_free_sgpr 0
		.amdhsa_accum_offset 4
		.amdhsa_reserve_vcc 0
		.amdhsa_reserve_flat_scratch 0
		.amdhsa_float_round_mode_32 0
		.amdhsa_float_round_mode_16_64 0
		.amdhsa_float_denorm_mode_32 3
		.amdhsa_float_denorm_mode_16_64 3
		.amdhsa_dx10_clamp 1
		.amdhsa_ieee_mode 1
		.amdhsa_fp16_overflow 0
		.amdhsa_tg_split 0
		.amdhsa_exception_fp_ieee_invalid_op 0
		.amdhsa_exception_fp_denorm_src 0
		.amdhsa_exception_fp_ieee_div_zero 0
		.amdhsa_exception_fp_ieee_overflow 0
		.amdhsa_exception_fp_ieee_underflow 0
		.amdhsa_exception_fp_ieee_inexact 0
		.amdhsa_exception_int_div_zero 0
	.end_amdhsa_kernel
	.section	.text._ZN7rocprim17ROCPRIM_400000_NS6detail17trampoline_kernelINS0_14default_configENS1_27scan_by_key_config_selectorIj11FixedVectorIiLj1EEEEZZNS1_16scan_by_key_implILNS1_25lookback_scan_determinismE0ELb0ES3_N6thrust23THRUST_200600_302600_NS6detail15normal_iteratorINSB_10device_ptrIjEEEENSD_INSE_IS6_EEEESI_S6_NSB_4plusIvEENSB_8equal_toIvEES6_EE10hipError_tPvRmT2_T3_T4_T5_mT6_T7_P12ihipStream_tbENKUlT_T0_E_clISt17integral_constantIbLb1EES13_EEDaSY_SZ_EUlSY_E_NS1_11comp_targetILNS1_3genE10ELNS1_11target_archE1201ELNS1_3gpuE5ELNS1_3repE0EEENS1_30default_config_static_selectorELNS0_4arch9wavefront6targetE1EEEvT1_,"axG",@progbits,_ZN7rocprim17ROCPRIM_400000_NS6detail17trampoline_kernelINS0_14default_configENS1_27scan_by_key_config_selectorIj11FixedVectorIiLj1EEEEZZNS1_16scan_by_key_implILNS1_25lookback_scan_determinismE0ELb0ES3_N6thrust23THRUST_200600_302600_NS6detail15normal_iteratorINSB_10device_ptrIjEEEENSD_INSE_IS6_EEEESI_S6_NSB_4plusIvEENSB_8equal_toIvEES6_EE10hipError_tPvRmT2_T3_T4_T5_mT6_T7_P12ihipStream_tbENKUlT_T0_E_clISt17integral_constantIbLb1EES13_EEDaSY_SZ_EUlSY_E_NS1_11comp_targetILNS1_3genE10ELNS1_11target_archE1201ELNS1_3gpuE5ELNS1_3repE0EEENS1_30default_config_static_selectorELNS0_4arch9wavefront6targetE1EEEvT1_,comdat
.Lfunc_end1881:
	.size	_ZN7rocprim17ROCPRIM_400000_NS6detail17trampoline_kernelINS0_14default_configENS1_27scan_by_key_config_selectorIj11FixedVectorIiLj1EEEEZZNS1_16scan_by_key_implILNS1_25lookback_scan_determinismE0ELb0ES3_N6thrust23THRUST_200600_302600_NS6detail15normal_iteratorINSB_10device_ptrIjEEEENSD_INSE_IS6_EEEESI_S6_NSB_4plusIvEENSB_8equal_toIvEES6_EE10hipError_tPvRmT2_T3_T4_T5_mT6_T7_P12ihipStream_tbENKUlT_T0_E_clISt17integral_constantIbLb1EES13_EEDaSY_SZ_EUlSY_E_NS1_11comp_targetILNS1_3genE10ELNS1_11target_archE1201ELNS1_3gpuE5ELNS1_3repE0EEENS1_30default_config_static_selectorELNS0_4arch9wavefront6targetE1EEEvT1_, .Lfunc_end1881-_ZN7rocprim17ROCPRIM_400000_NS6detail17trampoline_kernelINS0_14default_configENS1_27scan_by_key_config_selectorIj11FixedVectorIiLj1EEEEZZNS1_16scan_by_key_implILNS1_25lookback_scan_determinismE0ELb0ES3_N6thrust23THRUST_200600_302600_NS6detail15normal_iteratorINSB_10device_ptrIjEEEENSD_INSE_IS6_EEEESI_S6_NSB_4plusIvEENSB_8equal_toIvEES6_EE10hipError_tPvRmT2_T3_T4_T5_mT6_T7_P12ihipStream_tbENKUlT_T0_E_clISt17integral_constantIbLb1EES13_EEDaSY_SZ_EUlSY_E_NS1_11comp_targetILNS1_3genE10ELNS1_11target_archE1201ELNS1_3gpuE5ELNS1_3repE0EEENS1_30default_config_static_selectorELNS0_4arch9wavefront6targetE1EEEvT1_
                                        ; -- End function
	.section	.AMDGPU.csdata,"",@progbits
; Kernel info:
; codeLenInByte = 0
; NumSgprs: 4
; NumVgprs: 0
; NumAgprs: 0
; TotalNumVgprs: 0
; ScratchSize: 0
; MemoryBound: 0
; FloatMode: 240
; IeeeMode: 1
; LDSByteSize: 0 bytes/workgroup (compile time only)
; SGPRBlocks: 0
; VGPRBlocks: 0
; NumSGPRsForWavesPerEU: 4
; NumVGPRsForWavesPerEU: 1
; AccumOffset: 4
; Occupancy: 8
; WaveLimiterHint : 0
; COMPUTE_PGM_RSRC2:SCRATCH_EN: 0
; COMPUTE_PGM_RSRC2:USER_SGPR: 6
; COMPUTE_PGM_RSRC2:TRAP_HANDLER: 0
; COMPUTE_PGM_RSRC2:TGID_X_EN: 1
; COMPUTE_PGM_RSRC2:TGID_Y_EN: 0
; COMPUTE_PGM_RSRC2:TGID_Z_EN: 0
; COMPUTE_PGM_RSRC2:TIDIG_COMP_CNT: 0
; COMPUTE_PGM_RSRC3_GFX90A:ACCUM_OFFSET: 0
; COMPUTE_PGM_RSRC3_GFX90A:TG_SPLIT: 0
	.section	.text._ZN7rocprim17ROCPRIM_400000_NS6detail17trampoline_kernelINS0_14default_configENS1_27scan_by_key_config_selectorIj11FixedVectorIiLj1EEEEZZNS1_16scan_by_key_implILNS1_25lookback_scan_determinismE0ELb0ES3_N6thrust23THRUST_200600_302600_NS6detail15normal_iteratorINSB_10device_ptrIjEEEENSD_INSE_IS6_EEEESI_S6_NSB_4plusIvEENSB_8equal_toIvEES6_EE10hipError_tPvRmT2_T3_T4_T5_mT6_T7_P12ihipStream_tbENKUlT_T0_E_clISt17integral_constantIbLb1EES13_EEDaSY_SZ_EUlSY_E_NS1_11comp_targetILNS1_3genE5ELNS1_11target_archE942ELNS1_3gpuE9ELNS1_3repE0EEENS1_30default_config_static_selectorELNS0_4arch9wavefront6targetE1EEEvT1_,"axG",@progbits,_ZN7rocprim17ROCPRIM_400000_NS6detail17trampoline_kernelINS0_14default_configENS1_27scan_by_key_config_selectorIj11FixedVectorIiLj1EEEEZZNS1_16scan_by_key_implILNS1_25lookback_scan_determinismE0ELb0ES3_N6thrust23THRUST_200600_302600_NS6detail15normal_iteratorINSB_10device_ptrIjEEEENSD_INSE_IS6_EEEESI_S6_NSB_4plusIvEENSB_8equal_toIvEES6_EE10hipError_tPvRmT2_T3_T4_T5_mT6_T7_P12ihipStream_tbENKUlT_T0_E_clISt17integral_constantIbLb1EES13_EEDaSY_SZ_EUlSY_E_NS1_11comp_targetILNS1_3genE5ELNS1_11target_archE942ELNS1_3gpuE9ELNS1_3repE0EEENS1_30default_config_static_selectorELNS0_4arch9wavefront6targetE1EEEvT1_,comdat
	.protected	_ZN7rocprim17ROCPRIM_400000_NS6detail17trampoline_kernelINS0_14default_configENS1_27scan_by_key_config_selectorIj11FixedVectorIiLj1EEEEZZNS1_16scan_by_key_implILNS1_25lookback_scan_determinismE0ELb0ES3_N6thrust23THRUST_200600_302600_NS6detail15normal_iteratorINSB_10device_ptrIjEEEENSD_INSE_IS6_EEEESI_S6_NSB_4plusIvEENSB_8equal_toIvEES6_EE10hipError_tPvRmT2_T3_T4_T5_mT6_T7_P12ihipStream_tbENKUlT_T0_E_clISt17integral_constantIbLb1EES13_EEDaSY_SZ_EUlSY_E_NS1_11comp_targetILNS1_3genE5ELNS1_11target_archE942ELNS1_3gpuE9ELNS1_3repE0EEENS1_30default_config_static_selectorELNS0_4arch9wavefront6targetE1EEEvT1_ ; -- Begin function _ZN7rocprim17ROCPRIM_400000_NS6detail17trampoline_kernelINS0_14default_configENS1_27scan_by_key_config_selectorIj11FixedVectorIiLj1EEEEZZNS1_16scan_by_key_implILNS1_25lookback_scan_determinismE0ELb0ES3_N6thrust23THRUST_200600_302600_NS6detail15normal_iteratorINSB_10device_ptrIjEEEENSD_INSE_IS6_EEEESI_S6_NSB_4plusIvEENSB_8equal_toIvEES6_EE10hipError_tPvRmT2_T3_T4_T5_mT6_T7_P12ihipStream_tbENKUlT_T0_E_clISt17integral_constantIbLb1EES13_EEDaSY_SZ_EUlSY_E_NS1_11comp_targetILNS1_3genE5ELNS1_11target_archE942ELNS1_3gpuE9ELNS1_3repE0EEENS1_30default_config_static_selectorELNS0_4arch9wavefront6targetE1EEEvT1_
	.globl	_ZN7rocprim17ROCPRIM_400000_NS6detail17trampoline_kernelINS0_14default_configENS1_27scan_by_key_config_selectorIj11FixedVectorIiLj1EEEEZZNS1_16scan_by_key_implILNS1_25lookback_scan_determinismE0ELb0ES3_N6thrust23THRUST_200600_302600_NS6detail15normal_iteratorINSB_10device_ptrIjEEEENSD_INSE_IS6_EEEESI_S6_NSB_4plusIvEENSB_8equal_toIvEES6_EE10hipError_tPvRmT2_T3_T4_T5_mT6_T7_P12ihipStream_tbENKUlT_T0_E_clISt17integral_constantIbLb1EES13_EEDaSY_SZ_EUlSY_E_NS1_11comp_targetILNS1_3genE5ELNS1_11target_archE942ELNS1_3gpuE9ELNS1_3repE0EEENS1_30default_config_static_selectorELNS0_4arch9wavefront6targetE1EEEvT1_
	.p2align	8
	.type	_ZN7rocprim17ROCPRIM_400000_NS6detail17trampoline_kernelINS0_14default_configENS1_27scan_by_key_config_selectorIj11FixedVectorIiLj1EEEEZZNS1_16scan_by_key_implILNS1_25lookback_scan_determinismE0ELb0ES3_N6thrust23THRUST_200600_302600_NS6detail15normal_iteratorINSB_10device_ptrIjEEEENSD_INSE_IS6_EEEESI_S6_NSB_4plusIvEENSB_8equal_toIvEES6_EE10hipError_tPvRmT2_T3_T4_T5_mT6_T7_P12ihipStream_tbENKUlT_T0_E_clISt17integral_constantIbLb1EES13_EEDaSY_SZ_EUlSY_E_NS1_11comp_targetILNS1_3genE5ELNS1_11target_archE942ELNS1_3gpuE9ELNS1_3repE0EEENS1_30default_config_static_selectorELNS0_4arch9wavefront6targetE1EEEvT1_,@function
_ZN7rocprim17ROCPRIM_400000_NS6detail17trampoline_kernelINS0_14default_configENS1_27scan_by_key_config_selectorIj11FixedVectorIiLj1EEEEZZNS1_16scan_by_key_implILNS1_25lookback_scan_determinismE0ELb0ES3_N6thrust23THRUST_200600_302600_NS6detail15normal_iteratorINSB_10device_ptrIjEEEENSD_INSE_IS6_EEEESI_S6_NSB_4plusIvEENSB_8equal_toIvEES6_EE10hipError_tPvRmT2_T3_T4_T5_mT6_T7_P12ihipStream_tbENKUlT_T0_E_clISt17integral_constantIbLb1EES13_EEDaSY_SZ_EUlSY_E_NS1_11comp_targetILNS1_3genE5ELNS1_11target_archE942ELNS1_3gpuE9ELNS1_3repE0EEENS1_30default_config_static_selectorELNS0_4arch9wavefront6targetE1EEEvT1_: ; @_ZN7rocprim17ROCPRIM_400000_NS6detail17trampoline_kernelINS0_14default_configENS1_27scan_by_key_config_selectorIj11FixedVectorIiLj1EEEEZZNS1_16scan_by_key_implILNS1_25lookback_scan_determinismE0ELb0ES3_N6thrust23THRUST_200600_302600_NS6detail15normal_iteratorINSB_10device_ptrIjEEEENSD_INSE_IS6_EEEESI_S6_NSB_4plusIvEENSB_8equal_toIvEES6_EE10hipError_tPvRmT2_T3_T4_T5_mT6_T7_P12ihipStream_tbENKUlT_T0_E_clISt17integral_constantIbLb1EES13_EEDaSY_SZ_EUlSY_E_NS1_11comp_targetILNS1_3genE5ELNS1_11target_archE942ELNS1_3gpuE9ELNS1_3repE0EEENS1_30default_config_static_selectorELNS0_4arch9wavefront6targetE1EEEvT1_
; %bb.0:
	.section	.rodata,"a",@progbits
	.p2align	6, 0x0
	.amdhsa_kernel _ZN7rocprim17ROCPRIM_400000_NS6detail17trampoline_kernelINS0_14default_configENS1_27scan_by_key_config_selectorIj11FixedVectorIiLj1EEEEZZNS1_16scan_by_key_implILNS1_25lookback_scan_determinismE0ELb0ES3_N6thrust23THRUST_200600_302600_NS6detail15normal_iteratorINSB_10device_ptrIjEEEENSD_INSE_IS6_EEEESI_S6_NSB_4plusIvEENSB_8equal_toIvEES6_EE10hipError_tPvRmT2_T3_T4_T5_mT6_T7_P12ihipStream_tbENKUlT_T0_E_clISt17integral_constantIbLb1EES13_EEDaSY_SZ_EUlSY_E_NS1_11comp_targetILNS1_3genE5ELNS1_11target_archE942ELNS1_3gpuE9ELNS1_3repE0EEENS1_30default_config_static_selectorELNS0_4arch9wavefront6targetE1EEEvT1_
		.amdhsa_group_segment_fixed_size 0
		.amdhsa_private_segment_fixed_size 0
		.amdhsa_kernarg_size 112
		.amdhsa_user_sgpr_count 6
		.amdhsa_user_sgpr_private_segment_buffer 1
		.amdhsa_user_sgpr_dispatch_ptr 0
		.amdhsa_user_sgpr_queue_ptr 0
		.amdhsa_user_sgpr_kernarg_segment_ptr 1
		.amdhsa_user_sgpr_dispatch_id 0
		.amdhsa_user_sgpr_flat_scratch_init 0
		.amdhsa_user_sgpr_kernarg_preload_length 0
		.amdhsa_user_sgpr_kernarg_preload_offset 0
		.amdhsa_user_sgpr_private_segment_size 0
		.amdhsa_uses_dynamic_stack 0
		.amdhsa_system_sgpr_private_segment_wavefront_offset 0
		.amdhsa_system_sgpr_workgroup_id_x 1
		.amdhsa_system_sgpr_workgroup_id_y 0
		.amdhsa_system_sgpr_workgroup_id_z 0
		.amdhsa_system_sgpr_workgroup_info 0
		.amdhsa_system_vgpr_workitem_id 0
		.amdhsa_next_free_vgpr 1
		.amdhsa_next_free_sgpr 0
		.amdhsa_accum_offset 4
		.amdhsa_reserve_vcc 0
		.amdhsa_reserve_flat_scratch 0
		.amdhsa_float_round_mode_32 0
		.amdhsa_float_round_mode_16_64 0
		.amdhsa_float_denorm_mode_32 3
		.amdhsa_float_denorm_mode_16_64 3
		.amdhsa_dx10_clamp 1
		.amdhsa_ieee_mode 1
		.amdhsa_fp16_overflow 0
		.amdhsa_tg_split 0
		.amdhsa_exception_fp_ieee_invalid_op 0
		.amdhsa_exception_fp_denorm_src 0
		.amdhsa_exception_fp_ieee_div_zero 0
		.amdhsa_exception_fp_ieee_overflow 0
		.amdhsa_exception_fp_ieee_underflow 0
		.amdhsa_exception_fp_ieee_inexact 0
		.amdhsa_exception_int_div_zero 0
	.end_amdhsa_kernel
	.section	.text._ZN7rocprim17ROCPRIM_400000_NS6detail17trampoline_kernelINS0_14default_configENS1_27scan_by_key_config_selectorIj11FixedVectorIiLj1EEEEZZNS1_16scan_by_key_implILNS1_25lookback_scan_determinismE0ELb0ES3_N6thrust23THRUST_200600_302600_NS6detail15normal_iteratorINSB_10device_ptrIjEEEENSD_INSE_IS6_EEEESI_S6_NSB_4plusIvEENSB_8equal_toIvEES6_EE10hipError_tPvRmT2_T3_T4_T5_mT6_T7_P12ihipStream_tbENKUlT_T0_E_clISt17integral_constantIbLb1EES13_EEDaSY_SZ_EUlSY_E_NS1_11comp_targetILNS1_3genE5ELNS1_11target_archE942ELNS1_3gpuE9ELNS1_3repE0EEENS1_30default_config_static_selectorELNS0_4arch9wavefront6targetE1EEEvT1_,"axG",@progbits,_ZN7rocprim17ROCPRIM_400000_NS6detail17trampoline_kernelINS0_14default_configENS1_27scan_by_key_config_selectorIj11FixedVectorIiLj1EEEEZZNS1_16scan_by_key_implILNS1_25lookback_scan_determinismE0ELb0ES3_N6thrust23THRUST_200600_302600_NS6detail15normal_iteratorINSB_10device_ptrIjEEEENSD_INSE_IS6_EEEESI_S6_NSB_4plusIvEENSB_8equal_toIvEES6_EE10hipError_tPvRmT2_T3_T4_T5_mT6_T7_P12ihipStream_tbENKUlT_T0_E_clISt17integral_constantIbLb1EES13_EEDaSY_SZ_EUlSY_E_NS1_11comp_targetILNS1_3genE5ELNS1_11target_archE942ELNS1_3gpuE9ELNS1_3repE0EEENS1_30default_config_static_selectorELNS0_4arch9wavefront6targetE1EEEvT1_,comdat
.Lfunc_end1882:
	.size	_ZN7rocprim17ROCPRIM_400000_NS6detail17trampoline_kernelINS0_14default_configENS1_27scan_by_key_config_selectorIj11FixedVectorIiLj1EEEEZZNS1_16scan_by_key_implILNS1_25lookback_scan_determinismE0ELb0ES3_N6thrust23THRUST_200600_302600_NS6detail15normal_iteratorINSB_10device_ptrIjEEEENSD_INSE_IS6_EEEESI_S6_NSB_4plusIvEENSB_8equal_toIvEES6_EE10hipError_tPvRmT2_T3_T4_T5_mT6_T7_P12ihipStream_tbENKUlT_T0_E_clISt17integral_constantIbLb1EES13_EEDaSY_SZ_EUlSY_E_NS1_11comp_targetILNS1_3genE5ELNS1_11target_archE942ELNS1_3gpuE9ELNS1_3repE0EEENS1_30default_config_static_selectorELNS0_4arch9wavefront6targetE1EEEvT1_, .Lfunc_end1882-_ZN7rocprim17ROCPRIM_400000_NS6detail17trampoline_kernelINS0_14default_configENS1_27scan_by_key_config_selectorIj11FixedVectorIiLj1EEEEZZNS1_16scan_by_key_implILNS1_25lookback_scan_determinismE0ELb0ES3_N6thrust23THRUST_200600_302600_NS6detail15normal_iteratorINSB_10device_ptrIjEEEENSD_INSE_IS6_EEEESI_S6_NSB_4plusIvEENSB_8equal_toIvEES6_EE10hipError_tPvRmT2_T3_T4_T5_mT6_T7_P12ihipStream_tbENKUlT_T0_E_clISt17integral_constantIbLb1EES13_EEDaSY_SZ_EUlSY_E_NS1_11comp_targetILNS1_3genE5ELNS1_11target_archE942ELNS1_3gpuE9ELNS1_3repE0EEENS1_30default_config_static_selectorELNS0_4arch9wavefront6targetE1EEEvT1_
                                        ; -- End function
	.section	.AMDGPU.csdata,"",@progbits
; Kernel info:
; codeLenInByte = 0
; NumSgprs: 4
; NumVgprs: 0
; NumAgprs: 0
; TotalNumVgprs: 0
; ScratchSize: 0
; MemoryBound: 0
; FloatMode: 240
; IeeeMode: 1
; LDSByteSize: 0 bytes/workgroup (compile time only)
; SGPRBlocks: 0
; VGPRBlocks: 0
; NumSGPRsForWavesPerEU: 4
; NumVGPRsForWavesPerEU: 1
; AccumOffset: 4
; Occupancy: 8
; WaveLimiterHint : 0
; COMPUTE_PGM_RSRC2:SCRATCH_EN: 0
; COMPUTE_PGM_RSRC2:USER_SGPR: 6
; COMPUTE_PGM_RSRC2:TRAP_HANDLER: 0
; COMPUTE_PGM_RSRC2:TGID_X_EN: 1
; COMPUTE_PGM_RSRC2:TGID_Y_EN: 0
; COMPUTE_PGM_RSRC2:TGID_Z_EN: 0
; COMPUTE_PGM_RSRC2:TIDIG_COMP_CNT: 0
; COMPUTE_PGM_RSRC3_GFX90A:ACCUM_OFFSET: 0
; COMPUTE_PGM_RSRC3_GFX90A:TG_SPLIT: 0
	.section	.text._ZN7rocprim17ROCPRIM_400000_NS6detail17trampoline_kernelINS0_14default_configENS1_27scan_by_key_config_selectorIj11FixedVectorIiLj1EEEEZZNS1_16scan_by_key_implILNS1_25lookback_scan_determinismE0ELb0ES3_N6thrust23THRUST_200600_302600_NS6detail15normal_iteratorINSB_10device_ptrIjEEEENSD_INSE_IS6_EEEESI_S6_NSB_4plusIvEENSB_8equal_toIvEES6_EE10hipError_tPvRmT2_T3_T4_T5_mT6_T7_P12ihipStream_tbENKUlT_T0_E_clISt17integral_constantIbLb1EES13_EEDaSY_SZ_EUlSY_E_NS1_11comp_targetILNS1_3genE4ELNS1_11target_archE910ELNS1_3gpuE8ELNS1_3repE0EEENS1_30default_config_static_selectorELNS0_4arch9wavefront6targetE1EEEvT1_,"axG",@progbits,_ZN7rocprim17ROCPRIM_400000_NS6detail17trampoline_kernelINS0_14default_configENS1_27scan_by_key_config_selectorIj11FixedVectorIiLj1EEEEZZNS1_16scan_by_key_implILNS1_25lookback_scan_determinismE0ELb0ES3_N6thrust23THRUST_200600_302600_NS6detail15normal_iteratorINSB_10device_ptrIjEEEENSD_INSE_IS6_EEEESI_S6_NSB_4plusIvEENSB_8equal_toIvEES6_EE10hipError_tPvRmT2_T3_T4_T5_mT6_T7_P12ihipStream_tbENKUlT_T0_E_clISt17integral_constantIbLb1EES13_EEDaSY_SZ_EUlSY_E_NS1_11comp_targetILNS1_3genE4ELNS1_11target_archE910ELNS1_3gpuE8ELNS1_3repE0EEENS1_30default_config_static_selectorELNS0_4arch9wavefront6targetE1EEEvT1_,comdat
	.protected	_ZN7rocprim17ROCPRIM_400000_NS6detail17trampoline_kernelINS0_14default_configENS1_27scan_by_key_config_selectorIj11FixedVectorIiLj1EEEEZZNS1_16scan_by_key_implILNS1_25lookback_scan_determinismE0ELb0ES3_N6thrust23THRUST_200600_302600_NS6detail15normal_iteratorINSB_10device_ptrIjEEEENSD_INSE_IS6_EEEESI_S6_NSB_4plusIvEENSB_8equal_toIvEES6_EE10hipError_tPvRmT2_T3_T4_T5_mT6_T7_P12ihipStream_tbENKUlT_T0_E_clISt17integral_constantIbLb1EES13_EEDaSY_SZ_EUlSY_E_NS1_11comp_targetILNS1_3genE4ELNS1_11target_archE910ELNS1_3gpuE8ELNS1_3repE0EEENS1_30default_config_static_selectorELNS0_4arch9wavefront6targetE1EEEvT1_ ; -- Begin function _ZN7rocprim17ROCPRIM_400000_NS6detail17trampoline_kernelINS0_14default_configENS1_27scan_by_key_config_selectorIj11FixedVectorIiLj1EEEEZZNS1_16scan_by_key_implILNS1_25lookback_scan_determinismE0ELb0ES3_N6thrust23THRUST_200600_302600_NS6detail15normal_iteratorINSB_10device_ptrIjEEEENSD_INSE_IS6_EEEESI_S6_NSB_4plusIvEENSB_8equal_toIvEES6_EE10hipError_tPvRmT2_T3_T4_T5_mT6_T7_P12ihipStream_tbENKUlT_T0_E_clISt17integral_constantIbLb1EES13_EEDaSY_SZ_EUlSY_E_NS1_11comp_targetILNS1_3genE4ELNS1_11target_archE910ELNS1_3gpuE8ELNS1_3repE0EEENS1_30default_config_static_selectorELNS0_4arch9wavefront6targetE1EEEvT1_
	.globl	_ZN7rocprim17ROCPRIM_400000_NS6detail17trampoline_kernelINS0_14default_configENS1_27scan_by_key_config_selectorIj11FixedVectorIiLj1EEEEZZNS1_16scan_by_key_implILNS1_25lookback_scan_determinismE0ELb0ES3_N6thrust23THRUST_200600_302600_NS6detail15normal_iteratorINSB_10device_ptrIjEEEENSD_INSE_IS6_EEEESI_S6_NSB_4plusIvEENSB_8equal_toIvEES6_EE10hipError_tPvRmT2_T3_T4_T5_mT6_T7_P12ihipStream_tbENKUlT_T0_E_clISt17integral_constantIbLb1EES13_EEDaSY_SZ_EUlSY_E_NS1_11comp_targetILNS1_3genE4ELNS1_11target_archE910ELNS1_3gpuE8ELNS1_3repE0EEENS1_30default_config_static_selectorELNS0_4arch9wavefront6targetE1EEEvT1_
	.p2align	8
	.type	_ZN7rocprim17ROCPRIM_400000_NS6detail17trampoline_kernelINS0_14default_configENS1_27scan_by_key_config_selectorIj11FixedVectorIiLj1EEEEZZNS1_16scan_by_key_implILNS1_25lookback_scan_determinismE0ELb0ES3_N6thrust23THRUST_200600_302600_NS6detail15normal_iteratorINSB_10device_ptrIjEEEENSD_INSE_IS6_EEEESI_S6_NSB_4plusIvEENSB_8equal_toIvEES6_EE10hipError_tPvRmT2_T3_T4_T5_mT6_T7_P12ihipStream_tbENKUlT_T0_E_clISt17integral_constantIbLb1EES13_EEDaSY_SZ_EUlSY_E_NS1_11comp_targetILNS1_3genE4ELNS1_11target_archE910ELNS1_3gpuE8ELNS1_3repE0EEENS1_30default_config_static_selectorELNS0_4arch9wavefront6targetE1EEEvT1_,@function
_ZN7rocprim17ROCPRIM_400000_NS6detail17trampoline_kernelINS0_14default_configENS1_27scan_by_key_config_selectorIj11FixedVectorIiLj1EEEEZZNS1_16scan_by_key_implILNS1_25lookback_scan_determinismE0ELb0ES3_N6thrust23THRUST_200600_302600_NS6detail15normal_iteratorINSB_10device_ptrIjEEEENSD_INSE_IS6_EEEESI_S6_NSB_4plusIvEENSB_8equal_toIvEES6_EE10hipError_tPvRmT2_T3_T4_T5_mT6_T7_P12ihipStream_tbENKUlT_T0_E_clISt17integral_constantIbLb1EES13_EEDaSY_SZ_EUlSY_E_NS1_11comp_targetILNS1_3genE4ELNS1_11target_archE910ELNS1_3gpuE8ELNS1_3repE0EEENS1_30default_config_static_selectorELNS0_4arch9wavefront6targetE1EEEvT1_: ; @_ZN7rocprim17ROCPRIM_400000_NS6detail17trampoline_kernelINS0_14default_configENS1_27scan_by_key_config_selectorIj11FixedVectorIiLj1EEEEZZNS1_16scan_by_key_implILNS1_25lookback_scan_determinismE0ELb0ES3_N6thrust23THRUST_200600_302600_NS6detail15normal_iteratorINSB_10device_ptrIjEEEENSD_INSE_IS6_EEEESI_S6_NSB_4plusIvEENSB_8equal_toIvEES6_EE10hipError_tPvRmT2_T3_T4_T5_mT6_T7_P12ihipStream_tbENKUlT_T0_E_clISt17integral_constantIbLb1EES13_EEDaSY_SZ_EUlSY_E_NS1_11comp_targetILNS1_3genE4ELNS1_11target_archE910ELNS1_3gpuE8ELNS1_3repE0EEENS1_30default_config_static_selectorELNS0_4arch9wavefront6targetE1EEEvT1_
; %bb.0:
	s_load_dwordx4 s[56:59], s[4:5], 0x28
	s_load_dwordx2 s[60:61], s[4:5], 0x38
	v_cmp_ne_u32_e64 s[36:37], 0, v0
	v_cmp_eq_u32_e64 s[0:1], 0, v0
	s_and_saveexec_b64 s[2:3], s[0:1]
	s_cbranch_execz .LBB1883_4
; %bb.1:
	s_mov_b64 s[8:9], exec
	v_mbcnt_lo_u32_b32 v1, s8, 0
	v_mbcnt_hi_u32_b32 v1, s9, v1
	v_cmp_eq_u32_e32 vcc, 0, v1
                                        ; implicit-def: $vgpr2
	s_and_saveexec_b64 s[6:7], vcc
	s_cbranch_execz .LBB1883_3
; %bb.2:
	s_load_dwordx2 s[10:11], s[4:5], 0x68
	s_bcnt1_i32_b64 s8, s[8:9]
	v_mov_b32_e32 v2, 0
	v_mov_b32_e32 v3, s8
	s_waitcnt lgkmcnt(0)
	global_atomic_add v2, v2, v3, s[10:11] glc
.LBB1883_3:
	s_or_b64 exec, exec, s[6:7]
	s_waitcnt vmcnt(0)
	v_readfirstlane_b32 s6, v2
	v_add_u32_e32 v1, s6, v1
	v_mov_b32_e32 v2, 0
	ds_write_b32 v2, v1
.LBB1883_4:
	s_or_b64 exec, exec, s[2:3]
	s_load_dwordx8 s[40:47], s[4:5], 0x0
	s_load_dword s2, s[4:5], 0x40
	s_load_dwordx8 s[48:55], s[4:5], 0x48
	v_mov_b32_e32 v1, 0
	s_waitcnt lgkmcnt(0)
	s_barrier
	ds_read_b32 v1, v1
	s_lshl_b64 s[38:39], s[42:43], 2
	s_add_u32 s4, s40, s38
	s_addc_u32 s5, s41, s39
	s_add_u32 s6, s44, s38
	s_mul_i32 s3, s61, s2
	s_mul_hi_u32 s8, s60, s2
	s_addc_u32 s7, s45, s39
	s_add_i32 s8, s8, s3
	s_waitcnt lgkmcnt(0)
	v_readfirstlane_b32 s59, v1
	s_mul_i32 s9, s60, s2
	s_cmp_lg_u64 s[52:53], 0
	s_mov_b32 s3, 0
	s_mul_i32 s2, s59, 0xe00
	s_cselect_b64 s[44:45], -1, 0
	s_lshl_b64 s[40:41], s[2:3], 2
	s_add_u32 s42, s4, s40
	s_addc_u32 s43, s5, s41
	s_add_u32 s62, s6, s40
	s_addc_u32 s63, s7, s41
	;; [unrolled: 2-line block ×3, first 2 shown]
	s_add_u32 s4, s48, -1
	s_addc_u32 s5, s49, -1
	v_pk_mov_b32 v[2:3], s[4:5], s[4:5] op_sel:[0,1]
	v_cmp_ge_u64_e64 s[2:3], s[52:53], v[2:3]
	s_mov_b64 s[18:19], 0
	s_mov_b64 s[12:13], -1
	s_and_b64 vcc, exec, s[2:3]
	s_mul_i32 s33, s4, 0xfffff200
	s_barrier
	s_barrier
	s_cbranch_vccz .LBB1883_94
; %bb.5:
	v_pk_mov_b32 v[2:3], s[42:43], s[42:43] op_sel:[0,1]
	flat_load_dword v1, v[2:3]
	s_add_i32 s64, s33, s58
	v_cmp_gt_u32_e64 s[6:7], s64, v0
	s_waitcnt vmcnt(0) lgkmcnt(0)
	v_mov_b32_e32 v13, v1
	s_and_saveexec_b64 s[4:5], s[6:7]
	s_cbranch_execz .LBB1883_7
; %bb.6:
	v_lshlrev_b32_e32 v2, 2, v0
	v_mov_b32_e32 v3, s43
	v_add_co_u32_e32 v2, vcc, s42, v2
	v_addc_co_u32_e32 v3, vcc, 0, v3, vcc
	flat_load_dword v13, v[2:3]
.LBB1883_7:
	s_or_b64 exec, exec, s[4:5]
	v_or_b32_e32 v2, 0x100, v0
	v_cmp_gt_u32_e64 s[8:9], s64, v2
	v_mov_b32_e32 v14, v1
	s_and_saveexec_b64 s[4:5], s[8:9]
	s_cbranch_execz .LBB1883_9
; %bb.8:
	v_lshlrev_b32_e32 v2, 2, v0
	v_mov_b32_e32 v3, s43
	v_add_co_u32_e32 v2, vcc, s42, v2
	v_addc_co_u32_e32 v3, vcc, 0, v3, vcc
	flat_load_dword v14, v[2:3] offset:1024
.LBB1883_9:
	s_or_b64 exec, exec, s[4:5]
	v_or_b32_e32 v2, 0x200, v0
	v_cmp_gt_u32_e64 s[10:11], s64, v2
	v_mov_b32_e32 v15, v1
	s_and_saveexec_b64 s[4:5], s[10:11]
	s_cbranch_execz .LBB1883_11
; %bb.10:
	v_lshlrev_b32_e32 v2, 2, v0
	v_mov_b32_e32 v3, s43
	v_add_co_u32_e32 v2, vcc, s42, v2
	v_addc_co_u32_e32 v3, vcc, 0, v3, vcc
	flat_load_dword v15, v[2:3] offset:2048
.LBB1883_11:
	;; [unrolled: 13-line block ×3, first 2 shown]
	s_or_b64 exec, exec, s[4:5]
	v_or_b32_e32 v2, 0x400, v0
	v_cmp_gt_u32_e64 s[14:15], s64, v2
	v_mov_b32_e32 v17, v1
	s_and_saveexec_b64 s[4:5], s[14:15]
	s_cbranch_execz .LBB1883_15
; %bb.14:
	v_lshlrev_b32_e32 v3, 2, v2
	v_mov_b32_e32 v5, s43
	v_add_co_u32_e32 v4, vcc, s42, v3
	v_addc_co_u32_e32 v5, vcc, 0, v5, vcc
	flat_load_dword v17, v[4:5]
.LBB1883_15:
	s_or_b64 exec, exec, s[4:5]
	v_or_b32_e32 v3, 0x500, v0
	v_cmp_gt_u32_e64 s[16:17], s64, v3
	v_mov_b32_e32 v18, v1
	s_and_saveexec_b64 s[4:5], s[16:17]
	s_cbranch_execz .LBB1883_17
; %bb.16:
	v_lshlrev_b32_e32 v4, 2, v3
	v_mov_b32_e32 v5, s43
	v_add_co_u32_e32 v4, vcc, s42, v4
	v_addc_co_u32_e32 v5, vcc, 0, v5, vcc
	flat_load_dword v18, v[4:5]
.LBB1883_17:
	;; [unrolled: 13-line block ×9, first 2 shown]
	s_or_b64 exec, exec, s[4:5]
	v_or_b32_e32 v11, 0xd00, v0
	v_cmp_gt_u32_e64 s[34:35], s64, v11
	s_and_saveexec_b64 s[4:5], s[34:35]
	s_cbranch_execz .LBB1883_33
; %bb.32:
	v_lshlrev_b32_e32 v1, 2, v11
	v_mov_b32_e32 v12, s43
	v_add_co_u32_e32 v26, vcc, s42, v1
	v_addc_co_u32_e32 v27, vcc, 0, v12, vcc
	flat_load_dword v1, v[26:27]
.LBB1883_33:
	s_or_b64 exec, exec, s[4:5]
	v_lshlrev_b32_e32 v12, 2, v0
	s_waitcnt vmcnt(0) lgkmcnt(0)
	ds_write2st64_b32 v12, v13, v14 offset1:4
	ds_write2st64_b32 v12, v15, v16 offset0:8 offset1:12
	ds_write2st64_b32 v12, v17, v18 offset0:16 offset1:20
	;; [unrolled: 1-line block ×6, first 2 shown]
	v_mad_u32_u24 v1, v0, 52, v12
	s_waitcnt lgkmcnt(0)
	s_barrier
	ds_read2_b64 v[34:37], v1 offset1:1
	ds_read2_b64 v[30:33], v1 offset0:2 offset1:3
	ds_read2_b64 v[26:29], v1 offset0:4 offset1:5
	ds_read_b64 v[40:41], v1 offset:48
	s_cmp_eq_u64 s[52:53], 0
	s_mov_b64 s[4:5], s[42:43]
	s_cbranch_scc1 .LBB1883_37
; %bb.34:
	s_andn2_b64 vcc, exec, s[44:45]
	s_cbranch_vccnz .LBB1883_211
; %bb.35:
	s_lshl_b64 s[4:5], s[52:53], 2
	s_add_u32 s4, s54, s4
	s_addc_u32 s5, s55, s5
	s_add_u32 s4, s4, -4
	s_addc_u32 s5, s5, -1
	s_cbranch_execnz .LBB1883_37
.LBB1883_36:
	s_add_u32 s4, s42, -4
	s_addc_u32 s5, s43, -1
.LBB1883_37:
	v_pk_mov_b32 v[14:15], s[4:5], s[4:5] op_sel:[0,1]
	flat_load_dword v44, v[14:15]
	s_movk_i32 s4, 0xffcc
	v_mad_i32_i24 v13, v0, s4, v1
	s_waitcnt lgkmcnt(0)
	ds_write_b32 v13, v41 offset:14336
	s_waitcnt lgkmcnt(0)
	s_barrier
	s_and_saveexec_b64 s[4:5], s[36:37]
	s_cbranch_execz .LBB1883_39
; %bb.38:
	v_mul_i32_i24_e32 v13, 0xffffffcc, v0
	v_add_u32_e32 v13, v1, v13
	s_waitcnt vmcnt(0)
	ds_read_b32 v44, v13 offset:14332
.LBB1883_39:
	s_or_b64 exec, exec, s[4:5]
	v_mov_b32_e32 v13, 0
	v_mov_b32_e32 v14, 0
	s_waitcnt lgkmcnt(0)
	s_barrier
	s_and_saveexec_b64 s[4:5], s[6:7]
	s_cbranch_execz .LBB1883_41
; %bb.40:
	v_mov_b32_e32 v15, s63
	v_add_co_u32_e32 v14, vcc, s62, v12
	v_addc_co_u32_e32 v15, vcc, 0, v15, vcc
	flat_load_dword v14, v[14:15]
.LBB1883_41:
	s_or_b64 exec, exec, s[4:5]
	s_and_saveexec_b64 s[4:5], s[8:9]
	s_cbranch_execz .LBB1883_43
; %bb.42:
	v_mov_b32_e32 v13, s63
	v_add_co_u32_e32 v16, vcc, s62, v12
	v_addc_co_u32_e32 v17, vcc, 0, v13, vcc
	flat_load_dword v13, v[16:17] offset:1024
.LBB1883_43:
	s_or_b64 exec, exec, s[4:5]
	v_mov_b32_e32 v15, 0
	v_mov_b32_e32 v16, 0
	s_and_saveexec_b64 s[4:5], s[10:11]
	s_cbranch_execz .LBB1883_45
; %bb.44:
	v_mov_b32_e32 v17, s63
	v_add_co_u32_e32 v16, vcc, s62, v12
	v_addc_co_u32_e32 v17, vcc, 0, v17, vcc
	flat_load_dword v16, v[16:17] offset:2048
.LBB1883_45:
	s_or_b64 exec, exec, s[4:5]
	s_and_saveexec_b64 s[4:5], s[12:13]
	s_cbranch_execz .LBB1883_47
; %bb.46:
	v_mov_b32_e32 v15, s63
	v_add_co_u32_e32 v18, vcc, s62, v12
	v_addc_co_u32_e32 v19, vcc, 0, v15, vcc
	flat_load_dword v15, v[18:19] offset:3072
.LBB1883_47:
	s_or_b64 exec, exec, s[4:5]
	v_mov_b32_e32 v17, 0
	v_mov_b32_e32 v18, 0
	s_and_saveexec_b64 s[4:5], s[14:15]
	s_cbranch_execz .LBB1883_49
; %bb.48:
	v_lshlrev_b32_e32 v2, 2, v2
	v_mov_b32_e32 v19, s63
	v_add_co_u32_e32 v18, vcc, s62, v2
	v_addc_co_u32_e32 v19, vcc, 0, v19, vcc
	flat_load_dword v18, v[18:19]
.LBB1883_49:
	s_or_b64 exec, exec, s[4:5]
	s_and_saveexec_b64 s[4:5], s[16:17]
	s_cbranch_execz .LBB1883_51
; %bb.50:
	v_lshlrev_b32_e32 v2, 2, v3
	v_mov_b32_e32 v3, s63
	v_add_co_u32_e32 v2, vcc, s62, v2
	v_addc_co_u32_e32 v3, vcc, 0, v3, vcc
	flat_load_dword v17, v[2:3]
.LBB1883_51:
	s_or_b64 exec, exec, s[4:5]
	v_mov_b32_e32 v2, 0
	v_mov_b32_e32 v3, 0
	s_and_saveexec_b64 s[4:5], s[18:19]
	s_cbranch_execz .LBB1883_53
; %bb.52:
	v_lshlrev_b32_e32 v3, 2, v4
	v_mov_b32_e32 v4, s63
	v_add_co_u32_e32 v20, vcc, s62, v3
	v_addc_co_u32_e32 v21, vcc, 0, v4, vcc
	flat_load_dword v3, v[20:21]
.LBB1883_53:
	s_or_b64 exec, exec, s[4:5]
	s_and_saveexec_b64 s[4:5], s[20:21]
	s_cbranch_execz .LBB1883_55
; %bb.54:
	v_lshlrev_b32_e32 v2, 2, v5
	v_mov_b32_e32 v5, s63
	v_add_co_u32_e32 v4, vcc, s62, v2
	v_addc_co_u32_e32 v5, vcc, 0, v5, vcc
	flat_load_dword v2, v[4:5]
.LBB1883_55:
	s_or_b64 exec, exec, s[4:5]
	v_mov_b32_e32 v4, 0
	v_mov_b32_e32 v5, 0
	s_and_saveexec_b64 s[4:5], s[22:23]
	s_cbranch_execz .LBB1883_57
; %bb.56:
	v_lshlrev_b32_e32 v5, 2, v6
	v_mov_b32_e32 v6, s63
	v_add_co_u32_e32 v20, vcc, s62, v5
	v_addc_co_u32_e32 v21, vcc, 0, v6, vcc
	flat_load_dword v5, v[20:21]
.LBB1883_57:
	s_or_b64 exec, exec, s[4:5]
	s_and_saveexec_b64 s[4:5], s[24:25]
	s_cbranch_execz .LBB1883_59
; %bb.58:
	v_lshlrev_b32_e32 v4, 2, v7
	v_mov_b32_e32 v7, s63
	v_add_co_u32_e32 v6, vcc, s62, v4
	v_addc_co_u32_e32 v7, vcc, 0, v7, vcc
	flat_load_dword v4, v[6:7]
.LBB1883_59:
	s_or_b64 exec, exec, s[4:5]
	v_mov_b32_e32 v6, 0
	v_mov_b32_e32 v7, 0
	s_and_saveexec_b64 s[4:5], s[26:27]
	s_cbranch_execz .LBB1883_61
; %bb.60:
	v_lshlrev_b32_e32 v7, 2, v8
	v_mov_b32_e32 v8, s63
	v_add_co_u32_e32 v20, vcc, s62, v7
	v_addc_co_u32_e32 v21, vcc, 0, v8, vcc
	flat_load_dword v7, v[20:21]
.LBB1883_61:
	s_or_b64 exec, exec, s[4:5]
	s_and_saveexec_b64 s[4:5], s[28:29]
	s_cbranch_execz .LBB1883_63
; %bb.62:
	v_lshlrev_b32_e32 v6, 2, v9
	v_mov_b32_e32 v9, s63
	v_add_co_u32_e32 v8, vcc, s62, v6
	v_addc_co_u32_e32 v9, vcc, 0, v9, vcc
	flat_load_dword v6, v[8:9]
.LBB1883_63:
	s_or_b64 exec, exec, s[4:5]
	v_mov_b32_e32 v8, 0
	v_mov_b32_e32 v9, 0
	s_and_saveexec_b64 s[4:5], s[30:31]
	s_cbranch_execz .LBB1883_65
; %bb.64:
	v_lshlrev_b32_e32 v9, 2, v10
	v_mov_b32_e32 v10, s63
	v_add_co_u32_e32 v20, vcc, s62, v9
	v_addc_co_u32_e32 v21, vcc, 0, v10, vcc
	flat_load_dword v9, v[20:21]
.LBB1883_65:
	s_or_b64 exec, exec, s[4:5]
	s_and_saveexec_b64 s[4:5], s[34:35]
	s_cbranch_execz .LBB1883_67
; %bb.66:
	v_lshlrev_b32_e32 v8, 2, v11
	v_mov_b32_e32 v11, s63
	v_add_co_u32_e32 v10, vcc, s62, v8
	v_addc_co_u32_e32 v11, vcc, 0, v11, vcc
	flat_load_dword v8, v[10:11]
.LBB1883_67:
	s_or_b64 exec, exec, s[4:5]
	s_mov_b32 s4, 0
	s_mov_b32 s5, s4
	s_waitcnt vmcnt(0) lgkmcnt(0)
	ds_write2st64_b32 v12, v14, v13 offset1:4
	ds_write2st64_b32 v12, v16, v15 offset0:8 offset1:12
	ds_write2st64_b32 v12, v18, v17 offset0:16 offset1:20
	;; [unrolled: 1-line block ×6, first 2 shown]
	s_mov_b32 s6, s4
	s_mov_b32 s7, s4
	;; [unrolled: 1-line block ×6, first 2 shown]
	v_pk_mov_b32 v[2:3], s[4:5], s[4:5] op_sel:[0,1]
	v_pk_mov_b32 v[8:9], s[10:11], s[10:11] op_sel:[0,1]
	v_mul_u32_u24_e32 v42, 14, v0
	v_pk_mov_b32 v[4:5], s[6:7], s[6:7] op_sel:[0,1]
	v_pk_mov_b32 v[6:7], s[8:9], s[8:9] op_sel:[0,1]
	;; [unrolled: 1-line block ×4, first 2 shown]
	v_cmp_gt_u32_e32 vcc, s64, v42
	s_mov_b64 s[12:13], 0
	v_pk_mov_b32 v[38:39], 0, 0
	s_mov_b64 s[18:19], 0
	v_pk_mov_b32 v[14:15], v[6:7], v[6:7] op_sel:[0,1]
	v_pk_mov_b32 v[12:13], v[4:5], v[4:5] op_sel:[0,1]
	;; [unrolled: 1-line block ×6, first 2 shown]
	s_waitcnt lgkmcnt(0)
	s_barrier
	s_waitcnt lgkmcnt(0)
                                        ; implicit-def: $sgpr16_sgpr17
                                        ; implicit-def: $vgpr43
	s_and_saveexec_b64 s[14:15], vcc
	s_cbranch_execz .LBB1883_93
; %bb.68:
	v_or_b32_e32 v2, 1, v42
	ds_read_b32 v38, v1
	v_cmp_ne_u32_e32 vcc, v44, v34
	v_cndmask_b32_e64 v39, 0, 1, vcc
	v_cmp_gt_u32_e32 vcc, s64, v2
	v_pk_mov_b32 v[2:3], s[4:5], s[4:5] op_sel:[0,1]
	v_pk_mov_b32 v[8:9], s[10:11], s[10:11] op_sel:[0,1]
	;; [unrolled: 1-line block ×12, first 2 shown]
                                        ; implicit-def: $sgpr4_sgpr5
                                        ; implicit-def: $vgpr43
	s_and_saveexec_b64 s[16:17], vcc
	s_cbranch_execz .LBB1883_92
; %bb.69:
	ds_read2_b32 v[44:45], v1 offset0:1 offset1:2
	s_mov_b32 s4, 0
	s_mov_b32 s10, s4
	;; [unrolled: 1-line block ×8, first 2 shown]
	v_pk_mov_b32 v[16:17], s[10:11], s[10:11] op_sel:[0,1]
	v_add_u32_e32 v2, 2, v42
	v_cmp_ne_u32_e32 vcc, v34, v35
	v_mov_b32_e32 v6, 0
	v_pk_mov_b32 v[14:15], s[8:9], s[8:9] op_sel:[0,1]
	v_pk_mov_b32 v[12:13], s[6:7], s[6:7] op_sel:[0,1]
	;; [unrolled: 1-line block ×4, first 2 shown]
	v_cndmask_b32_e64 v3, 0, 1, vcc
	v_cmp_gt_u32_e32 vcc, s64, v2
	s_waitcnt lgkmcnt(0)
	v_mov_b32_e32 v2, v44
	v_mov_b32_e32 v4, v6
	;; [unrolled: 1-line block ×6, first 2 shown]
	s_mov_b64 s[20:21], 0
	v_pk_mov_b32 v[22:23], v[14:15], v[14:15] op_sel:[0,1]
	v_pk_mov_b32 v[20:21], v[12:13], v[12:13] op_sel:[0,1]
	;; [unrolled: 1-line block ×3, first 2 shown]
                                        ; implicit-def: $sgpr24_sgpr25
                                        ; implicit-def: $vgpr43
	s_and_saveexec_b64 s[18:19], vcc
	s_cbranch_execz .LBB1883_91
; %bb.70:
	v_pk_mov_b32 v[16:17], s[10:11], s[10:11] op_sel:[0,1]
	v_add_u32_e32 v2, 3, v42
	v_cmp_ne_u32_e32 vcc, v35, v36
	v_pk_mov_b32 v[14:15], s[8:9], s[8:9] op_sel:[0,1]
	v_pk_mov_b32 v[12:13], s[6:7], s[6:7] op_sel:[0,1]
	;; [unrolled: 1-line block ×4, first 2 shown]
	v_cndmask_b32_e64 v5, 0, 1, vcc
	v_cmp_gt_u32_e32 vcc, s64, v2
	v_mov_b32_e32 v2, v44
	v_mov_b32_e32 v4, v45
	;; [unrolled: 1-line block ×5, first 2 shown]
	s_mov_b64 s[22:23], 0
	v_pk_mov_b32 v[22:23], v[14:15], v[14:15] op_sel:[0,1]
	v_pk_mov_b32 v[20:21], v[12:13], v[12:13] op_sel:[0,1]
	;; [unrolled: 1-line block ×3, first 2 shown]
                                        ; implicit-def: $sgpr4_sgpr5
                                        ; implicit-def: $vgpr43
	s_and_saveexec_b64 s[20:21], vcc
	s_cbranch_execz .LBB1883_90
; %bb.71:
	ds_read2_b32 v[34:35], v1 offset0:3 offset1:4
	s_mov_b32 s4, 0
	s_mov_b32 s10, s4
	;; [unrolled: 1-line block ×8, first 2 shown]
	v_pk_mov_b32 v[16:17], s[10:11], s[10:11] op_sel:[0,1]
	v_add_u32_e32 v6, 4, v42
	v_cmp_ne_u32_e32 vcc, v36, v37
	v_pk_mov_b32 v[14:15], s[8:9], s[8:9] op_sel:[0,1]
	v_pk_mov_b32 v[12:13], s[6:7], s[6:7] op_sel:[0,1]
	;; [unrolled: 1-line block ×4, first 2 shown]
	v_cndmask_b32_e64 v7, 0, 1, vcc
	v_cmp_gt_u32_e32 vcc, s64, v6
	s_waitcnt lgkmcnt(0)
	v_mov_b32_e32 v6, v34
	v_mov_b32_e32 v8, s4
	;; [unrolled: 1-line block ×3, first 2 shown]
	s_mov_b64 s[24:25], 0
	v_pk_mov_b32 v[22:23], v[14:15], v[14:15] op_sel:[0,1]
	v_pk_mov_b32 v[20:21], v[12:13], v[12:13] op_sel:[0,1]
	;; [unrolled: 1-line block ×3, first 2 shown]
                                        ; implicit-def: $sgpr26_sgpr27
                                        ; implicit-def: $vgpr43
	s_and_saveexec_b64 s[22:23], vcc
	s_cbranch_execz .LBB1883_89
; %bb.72:
	v_pk_mov_b32 v[16:17], s[10:11], s[10:11] op_sel:[0,1]
	v_add_u32_e32 v8, 5, v42
	v_cmp_ne_u32_e32 vcc, v37, v30
	v_pk_mov_b32 v[14:15], s[8:9], s[8:9] op_sel:[0,1]
	v_pk_mov_b32 v[12:13], s[6:7], s[6:7] op_sel:[0,1]
	v_pk_mov_b32 v[10:11], s[4:5], s[4:5] op_sel:[0,1]
	v_pk_mov_b32 v[24:25], v[16:17], v[16:17] op_sel:[0,1]
	v_cndmask_b32_e64 v9, 0, 1, vcc
	v_cmp_gt_u32_e32 vcc, s64, v8
	v_mov_b32_e32 v8, v35
	s_mov_b64 s[28:29], 0
	v_pk_mov_b32 v[22:23], v[14:15], v[14:15] op_sel:[0,1]
	v_pk_mov_b32 v[20:21], v[12:13], v[12:13] op_sel:[0,1]
	;; [unrolled: 1-line block ×3, first 2 shown]
                                        ; implicit-def: $sgpr4_sgpr5
                                        ; implicit-def: $vgpr43
	s_and_saveexec_b64 s[24:25], vcc
	s_cbranch_execz .LBB1883_88
; %bb.73:
	ds_read2_b32 v[34:35], v1 offset0:5 offset1:6
	s_mov_b32 s4, 0
	s_mov_b32 s10, s4
	s_mov_b32 s11, s4
	v_add_u32_e32 v10, 6, v42
	v_cmp_ne_u32_e32 vcc, v30, v31
	v_mov_b32_e32 v14, 0
	s_mov_b32 s5, s4
	s_mov_b32 s6, s4
	;; [unrolled: 1-line block ×5, first 2 shown]
	v_pk_mov_b32 v[24:25], s[10:11], s[10:11] op_sel:[0,1]
	v_cndmask_b32_e64 v11, 0, 1, vcc
	v_cmp_gt_u32_e32 vcc, s64, v10
	s_waitcnt lgkmcnt(0)
	v_mov_b32_e32 v10, v34
	v_mov_b32_e32 v12, v14
	v_mov_b32_e32 v13, v14
	v_mov_b32_e32 v15, v14
	v_mov_b32_e32 v16, v14
	v_mov_b32_e32 v17, v14
	v_pk_mov_b32 v[22:23], s[8:9], s[8:9] op_sel:[0,1]
	v_pk_mov_b32 v[20:21], s[6:7], s[6:7] op_sel:[0,1]
	;; [unrolled: 1-line block ×3, first 2 shown]
                                        ; implicit-def: $sgpr34_sgpr35
                                        ; implicit-def: $vgpr43
	s_and_saveexec_b64 s[26:27], vcc
	s_cbranch_execz .LBB1883_87
; %bb.74:
	v_add_u32_e32 v10, 7, v42
	v_cmp_ne_u32_e32 vcc, v31, v32
	v_pk_mov_b32 v[24:25], s[10:11], s[10:11] op_sel:[0,1]
	v_cndmask_b32_e64 v13, 0, 1, vcc
	v_cmp_gt_u32_e32 vcc, s64, v10
	v_mov_b32_e32 v10, v34
	v_mov_b32_e32 v12, v35
	;; [unrolled: 1-line block ×5, first 2 shown]
	s_mov_b64 s[30:31], 0
	v_pk_mov_b32 v[22:23], s[8:9], s[8:9] op_sel:[0,1]
	v_pk_mov_b32 v[20:21], s[6:7], s[6:7] op_sel:[0,1]
	;; [unrolled: 1-line block ×3, first 2 shown]
                                        ; implicit-def: $sgpr4_sgpr5
                                        ; implicit-def: $vgpr43
	s_and_saveexec_b64 s[28:29], vcc
	s_cbranch_execz .LBB1883_86
; %bb.75:
	ds_read2_b32 v[30:31], v1 offset0:7 offset1:8
	s_mov_b32 s4, 0
	s_mov_b32 s10, s4
	s_mov_b32 s11, s4
	v_add_u32_e32 v14, 8, v42
	v_cmp_ne_u32_e32 vcc, v32, v33
	s_mov_b32 s5, s4
	s_mov_b32 s6, s4
	;; [unrolled: 1-line block ×5, first 2 shown]
	v_pk_mov_b32 v[24:25], s[10:11], s[10:11] op_sel:[0,1]
	v_cndmask_b32_e64 v15, 0, 1, vcc
	v_cmp_gt_u32_e32 vcc, s64, v14
	s_waitcnt lgkmcnt(0)
	v_mov_b32_e32 v14, v30
	v_mov_b32_e32 v16, s4
	;; [unrolled: 1-line block ×3, first 2 shown]
	s_mov_b64 s[34:35], 0
	v_pk_mov_b32 v[22:23], s[8:9], s[8:9] op_sel:[0,1]
	v_pk_mov_b32 v[20:21], s[6:7], s[6:7] op_sel:[0,1]
	;; [unrolled: 1-line block ×3, first 2 shown]
                                        ; implicit-def: $sgpr48_sgpr49
                                        ; implicit-def: $vgpr43
	s_and_saveexec_b64 s[30:31], vcc
	s_cbranch_execz .LBB1883_85
; %bb.76:
	v_add_u32_e32 v16, 9, v42
	v_cmp_ne_u32_e32 vcc, v33, v26
	v_pk_mov_b32 v[24:25], s[10:11], s[10:11] op_sel:[0,1]
	v_cndmask_b32_e64 v17, 0, 1, vcc
	v_cmp_gt_u32_e32 vcc, s64, v16
	v_mov_b32_e32 v16, v31
	v_pk_mov_b32 v[22:23], s[8:9], s[8:9] op_sel:[0,1]
	v_pk_mov_b32 v[20:21], s[6:7], s[6:7] op_sel:[0,1]
	;; [unrolled: 1-line block ×3, first 2 shown]
                                        ; implicit-def: $sgpr8_sgpr9
                                        ; implicit-def: $vgpr43
	s_and_saveexec_b64 s[6:7], vcc
	s_cbranch_execz .LBB1883_84
; %bb.77:
	ds_read2_b32 v[30:31], v1 offset0:9 offset1:10
	v_add_u32_e32 v18, 10, v42
	v_cmp_ne_u32_e32 vcc, v26, v27
	v_mov_b32_e32 v22, 0
	v_cndmask_b32_e64 v19, 0, 1, vcc
	v_cmp_gt_u32_e32 vcc, s64, v18
	s_waitcnt lgkmcnt(0)
	v_mov_b32_e32 v18, v30
	v_mov_b32_e32 v20, v22
	;; [unrolled: 1-line block ×6, first 2 shown]
	s_mov_b64 s[4:5], 0
                                        ; implicit-def: $sgpr10_sgpr11
                                        ; implicit-def: $vgpr43
	s_and_saveexec_b64 s[8:9], vcc
	s_cbranch_execz .LBB1883_83
; %bb.78:
	v_add_u32_e32 v18, 11, v42
	v_cmp_ne_u32_e32 vcc, v27, v28
	v_cndmask_b32_e64 v21, 0, 1, vcc
	v_cmp_gt_u32_e32 vcc, s64, v18
	s_mov_b32 s48, 0
	v_mov_b32_e32 v18, v30
	v_mov_b32_e32 v20, v31
	;; [unrolled: 1-line block ×5, first 2 shown]
                                        ; implicit-def: $sgpr34_sgpr35
                                        ; implicit-def: $vgpr43
	s_and_saveexec_b64 s[10:11], vcc
	s_cbranch_execz .LBB1883_82
; %bb.79:
	ds_read2_b32 v[26:27], v1 offset0:11 offset1:12
	v_add_u32_e32 v22, 12, v42
	v_cmp_ne_u32_e32 vcc, v28, v29
	v_cndmask_b32_e64 v23, 0, 1, vcc
	v_cmp_gt_u32_e32 vcc, s64, v22
	s_waitcnt lgkmcnt(0)
	v_mov_b32_e32 v22, v26
	v_mov_b32_e32 v24, s48
	;; [unrolled: 1-line block ×3, first 2 shown]
                                        ; implicit-def: $sgpr34_sgpr35
                                        ; implicit-def: $vgpr43
	s_and_saveexec_b64 s[48:49], vcc
	s_xor_b64 s[48:49], exec, s[48:49]
	s_cbranch_execz .LBB1883_81
; %bb.80:
	ds_read_b32 v43, v1 offset:52
	v_add_u32_e32 v1, 13, v42
	v_cmp_ne_u32_e64 s[4:5], v29, v40
	v_cmp_ne_u32_e32 vcc, v40, v41
	v_cndmask_b32_e64 v25, 0, 1, s[4:5]
	v_cmp_gt_u32_e64 s[4:5], s64, v1
	v_mov_b32_e32 v24, v27
	s_and_b64 s[34:35], vcc, exec
	s_and_b64 s[4:5], s[4:5], exec
.LBB1883_81:
	s_or_b64 exec, exec, s[48:49]
	s_and_b64 s[34:35], s[34:35], exec
	s_and_b64 s[4:5], s[4:5], exec
.LBB1883_82:
	s_or_b64 exec, exec, s[10:11]
	s_and_b64 s[10:11], s[34:35], exec
	s_and_b64 s[4:5], s[4:5], exec
.LBB1883_83:
	s_or_b64 exec, exec, s[8:9]
	s_and_b64 s[8:9], s[10:11], exec
	s_and_b64 s[34:35], s[4:5], exec
.LBB1883_84:
	s_or_b64 exec, exec, s[6:7]
	s_and_b64 s[48:49], s[8:9], exec
	s_and_b64 s[34:35], s[34:35], exec
.LBB1883_85:
	s_or_b64 exec, exec, s[30:31]
	s_and_b64 s[4:5], s[48:49], exec
	s_and_b64 s[30:31], s[34:35], exec
.LBB1883_86:
	s_or_b64 exec, exec, s[28:29]
	s_and_b64 s[34:35], s[4:5], exec
	s_and_b64 s[28:29], s[30:31], exec
.LBB1883_87:
	s_or_b64 exec, exec, s[26:27]
	s_and_b64 s[4:5], s[34:35], exec
	s_and_b64 s[28:29], s[28:29], exec
.LBB1883_88:
	s_or_b64 exec, exec, s[24:25]
	s_and_b64 s[26:27], s[4:5], exec
	s_and_b64 s[24:25], s[28:29], exec
.LBB1883_89:
	s_or_b64 exec, exec, s[22:23]
	s_and_b64 s[4:5], s[26:27], exec
	s_and_b64 s[22:23], s[24:25], exec
.LBB1883_90:
	s_or_b64 exec, exec, s[20:21]
	s_and_b64 s[24:25], s[4:5], exec
	s_and_b64 s[20:21], s[22:23], exec
.LBB1883_91:
	s_or_b64 exec, exec, s[18:19]
	s_and_b64 s[4:5], s[24:25], exec
	s_and_b64 s[18:19], s[20:21], exec
.LBB1883_92:
	s_or_b64 exec, exec, s[16:17]
	s_and_b64 s[16:17], s[4:5], exec
	s_and_b64 s[18:19], s[18:19], exec
.LBB1883_93:
	s_or_b64 exec, exec, s[14:15]
	s_and_b64 vcc, exec, s[12:13]
	v_lshlrev_b32_e32 v50, 2, v0
	s_cbranch_vccnz .LBB1883_95
	s_branch .LBB1883_103
.LBB1883_94:
                                        ; implicit-def: $sgpr16_sgpr17
                                        ; implicit-def: $vgpr2_vgpr3_vgpr4_vgpr5_vgpr6_vgpr7_vgpr8_vgpr9
                                        ; implicit-def: $vgpr10_vgpr11_vgpr12_vgpr13_vgpr14_vgpr15_vgpr16_vgpr17
                                        ; implicit-def: $vgpr18_vgpr19_vgpr20_vgpr21_vgpr22_vgpr23_vgpr24_vgpr25
                                        ; implicit-def: $vgpr43
                                        ; implicit-def: $vgpr38_vgpr39
	s_and_b64 vcc, exec, s[12:13]
	v_lshlrev_b32_e32 v50, 2, v0
	s_cbranch_vccz .LBB1883_103
.LBB1883_95:
	v_mov_b32_e32 v1, s43
	v_add_co_u32_e32 v2, vcc, s42, v50
	v_addc_co_u32_e32 v3, vcc, 0, v1, vcc
	v_add_co_u32_e32 v4, vcc, 0x1000, v2
	v_addc_co_u32_e32 v5, vcc, 0, v3, vcc
	flat_load_dword v6, v[2:3]
	flat_load_dword v7, v[2:3] offset:1024
	flat_load_dword v8, v[2:3] offset:2048
	flat_load_dword v9, v[2:3] offset:3072
	flat_load_dword v10, v[4:5]
	flat_load_dword v11, v[4:5] offset:1024
	flat_load_dword v12, v[4:5] offset:2048
	;; [unrolled: 1-line block ×3, first 2 shown]
	v_add_co_u32_e32 v4, vcc, 0x2000, v2
	v_addc_co_u32_e32 v5, vcc, 0, v3, vcc
	v_add_co_u32_e32 v2, vcc, 0x3000, v2
	v_addc_co_u32_e32 v3, vcc, 0, v3, vcc
	flat_load_dword v14, v[4:5]
	flat_load_dword v15, v[4:5] offset:1024
	flat_load_dword v16, v[4:5] offset:2048
	;; [unrolled: 1-line block ×3, first 2 shown]
	flat_load_dword v18, v[2:3]
	flat_load_dword v19, v[2:3] offset:1024
	v_mad_u32_u24 v1, v0, 52, v50
	s_cmp_eq_u64 s[52:53], 0
	s_waitcnt vmcnt(0) lgkmcnt(0)
	ds_write2st64_b32 v50, v6, v7 offset1:4
	ds_write2st64_b32 v50, v8, v9 offset0:8 offset1:12
	ds_write2st64_b32 v50, v10, v11 offset0:16 offset1:20
	;; [unrolled: 1-line block ×6, first 2 shown]
	s_waitcnt lgkmcnt(0)
	s_barrier
	ds_read2_b64 v[2:5], v1 offset1:1
	ds_read2_b64 v[10:13], v1 offset0:2 offset1:3
	ds_read2_b64 v[18:21], v1 offset0:4 offset1:5
	ds_read_b64 v[6:7], v1 offset:48
	s_cbranch_scc1 .LBB1883_100
; %bb.96:
	s_andn2_b64 vcc, exec, s[44:45]
	s_cbranch_vccnz .LBB1883_212
; %bb.97:
	s_lshl_b64 s[4:5], s[52:53], 2
	s_add_u32 s4, s54, s4
	s_addc_u32 s5, s55, s5
	s_add_u32 s4, s4, -4
	s_addc_u32 s5, s5, -1
	s_cbranch_execnz .LBB1883_99
.LBB1883_98:
	s_add_u32 s4, s42, -4
	s_addc_u32 s5, s43, -1
.LBB1883_99:
	s_mov_b64 s[42:43], s[4:5]
.LBB1883_100:
	v_pk_mov_b32 v[8:9], s[42:43], s[42:43] op_sel:[0,1]
	flat_load_dword v8, v[8:9]
	s_movk_i32 s4, 0xffcc
	v_mad_i32_i24 v9, v0, s4, v1
	s_waitcnt lgkmcnt(0)
	ds_write_b32 v9, v7 offset:14336
	s_waitcnt lgkmcnt(0)
	s_barrier
	s_and_saveexec_b64 s[4:5], s[36:37]
	s_cbranch_execz .LBB1883_102
; %bb.101:
	s_waitcnt vmcnt(0)
	v_mul_i32_i24_e32 v8, 0xffffffcc, v0
	v_add_u32_e32 v8, v1, v8
	ds_read_b32 v8, v8 offset:14332
.LBB1883_102:
	s_or_b64 exec, exec, s[4:5]
	v_mov_b32_e32 v9, s63
	v_add_co_u32_e32 v14, vcc, s62, v50
	v_addc_co_u32_e32 v15, vcc, 0, v9, vcc
	s_movk_i32 s4, 0x1000
	v_add_co_u32_e32 v16, vcc, s4, v14
	v_addc_co_u32_e32 v17, vcc, 0, v15, vcc
	s_movk_i32 s4, 0x2000
	s_waitcnt lgkmcnt(0)
	s_barrier
	flat_load_dword v22, v[14:15]
	flat_load_dword v24, v[14:15] offset:1024
	flat_load_dword v26, v[14:15] offset:2048
	;; [unrolled: 1-line block ×3, first 2 shown]
	flat_load_dword v28, v[16:17]
	flat_load_dword v29, v[16:17] offset:1024
	flat_load_dword v30, v[16:17] offset:2048
	;; [unrolled: 1-line block ×3, first 2 shown]
	v_add_co_u32_e32 v16, vcc, s4, v14
	v_addc_co_u32_e32 v17, vcc, 0, v15, vcc
	s_movk_i32 s4, 0x3000
	v_add_co_u32_e32 v14, vcc, s4, v14
	v_addc_co_u32_e32 v15, vcc, 0, v15, vcc
	flat_load_dword v32, v[16:17]
	flat_load_dword v33, v[16:17] offset:1024
	flat_load_dword v34, v[16:17] offset:2048
	;; [unrolled: 1-line block ×3, first 2 shown]
	flat_load_dword v36, v[14:15]
	flat_load_dword v37, v[14:15] offset:1024
	s_waitcnt vmcnt(0)
	v_cmp_ne_u32_e32 vcc, v8, v2
	v_cndmask_b32_e64 v39, 0, 1, vcc
	v_cmp_ne_u32_e32 vcc, v5, v10
	v_cndmask_b32_e64 v9, 0, 1, vcc
	v_cmp_ne_u32_e32 vcc, v4, v5
	v_cmp_ne_u32_e64 s[16:17], v6, v7
	v_cndmask_b32_e64 v7, 0, 1, vcc
	v_cmp_ne_u32_e32 vcc, v3, v4
	v_cndmask_b32_e64 v5, 0, 1, vcc
	v_cmp_ne_u32_e32 vcc, v2, v3
	;; [unrolled: 2-line block ×10, first 2 shown]
	v_cndmask_b32_e64 v19, 0, 1, vcc
	s_mov_b64 s[18:19], -1
                                        ; implicit-def: $sgpr12_sgpr13
	s_waitcnt lgkmcnt(0)
	ds_write2st64_b32 v50, v22, v24 offset1:4
	ds_write2st64_b32 v50, v26, v27 offset0:8 offset1:12
	ds_write2st64_b32 v50, v28, v29 offset0:16 offset1:20
	;; [unrolled: 1-line block ×6, first 2 shown]
	s_waitcnt lgkmcnt(0)
	s_barrier
	ds_read2_b32 v[42:43], v1 offset1:13
	ds_read2_b32 v[26:27], v1 offset0:7 offset1:8
	ds_read2_b32 v[28:29], v1 offset0:5 offset1:6
	;; [unrolled: 1-line block ×6, first 2 shown]
	s_waitcnt lgkmcnt(6)
	v_mov_b32_e32 v38, v42
	s_waitcnt lgkmcnt(4)
	v_mov_b32_e32 v10, v28
	;; [unrolled: 2-line block ×4, first 2 shown]
	v_mov_b32_e32 v4, v33
	v_mov_b32_e32 v8, v31
	;; [unrolled: 1-line block ×5, first 2 shown]
	s_waitcnt lgkmcnt(0)
	v_mov_b32_e32 v18, v36
	v_mov_b32_e32 v20, v37
	;; [unrolled: 1-line block ×4, first 2 shown]
.LBB1883_103:
	v_pk_mov_b32 v[40:41], s[12:13], s[12:13] op_sel:[0,1]
	s_and_saveexec_b64 s[4:5], s[18:19]
	s_cbranch_execz .LBB1883_105
; %bb.104:
	v_cndmask_b32_e64 v41, 0, 1, s[16:17]
	s_waitcnt lgkmcnt(0)
	v_mov_b32_e32 v40, v43
.LBB1883_105:
	s_or_b64 exec, exec, s[4:5]
	s_mov_b32 s4, 0
	s_cmp_lg_u32 s59, 0
	v_mbcnt_lo_u32_b32 v52, -1, 0
	v_lshrrev_b32_e32 v1, 6, v0
	v_or_b32_e32 v51, 63, v0
	s_waitcnt lgkmcnt(0)
	s_barrier
	s_cbranch_scc0 .LBB1883_138
; %bb.106:
	s_mov_b32 s5, 1
	v_cmp_gt_u64_e64 s[6:7], s[4:5], v[2:3]
	v_cndmask_b32_e64 v27, 0, v38, s[6:7]
	v_add_u32_e32 v27, v27, v2
	v_cmp_gt_u64_e64 s[8:9], s[4:5], v[4:5]
	v_cndmask_b32_e64 v27, 0, v27, s[8:9]
	v_add_u32_e32 v27, v27, v4
	;; [unrolled: 3-line block ×13, first 2 shown]
	v_or3_b32 v27, v41, v25, v23
	v_or3_b32 v27, v27, v21, v19
	;; [unrolled: 1-line block ×6, first 2 shown]
	v_mov_b32_e32 v26, 0
	v_and_b32_e32 v27, 1, v27
	v_cmp_eq_u64_e32 vcc, 0, v[26:27]
	v_cndmask_b32_e32 v26, 1, v39, vcc
	v_mbcnt_hi_u32_b32 v46, -1, v52
	v_mov_b32_dpp v29, v28 row_shr:1 row_mask:0xf bank_mask:0xf
	v_mov_b32_dpp v30, v26 row_shr:1 row_mask:0xf bank_mask:0xf
	v_cmp_eq_u32_e32 vcc, 0, v26
	v_and_b32_e32 v31, 1, v26
	v_and_b32_e32 v27, 15, v46
	v_cndmask_b32_e32 v29, 0, v29, vcc
	v_and_b32_e32 v30, 1, v30
	v_cmp_eq_u32_e32 vcc, 1, v31
	v_cndmask_b32_e64 v30, v30, 1, vcc
	v_cmp_eq_u32_e32 vcc, 0, v27
	v_cndmask_b32_e32 v26, v30, v26, vcc
	v_and_b32_e32 v31, 1, v26
	v_cmp_eq_u32_e64 s[4:5], 1, v31
	v_mov_b32_dpp v30, v26 row_shr:2 row_mask:0xf bank_mask:0xf
	v_and_b32_e32 v30, 1, v30
	v_cndmask_b32_e64 v30, v30, 1, s[4:5]
	v_cmp_lt_u32_e64 s[4:5], 1, v27
	v_cndmask_b32_e64 v29, v29, 0, vcc
	v_cmp_eq_u32_e32 vcc, 0, v26
	v_cndmask_b32_e64 v26, v26, v30, s[4:5]
	v_add_u32_e32 v28, v29, v28
	v_and_b32_e32 v31, 1, v26
	v_mov_b32_dpp v30, v26 row_shr:4 row_mask:0xf bank_mask:0xf
	v_mov_b32_dpp v29, v28 row_shr:2 row_mask:0xf bank_mask:0xf
	s_and_b64 vcc, s[4:5], vcc
	v_and_b32_e32 v30, 1, v30
	v_cmp_eq_u32_e64 s[4:5], 1, v31
	v_cndmask_b32_e32 v29, 0, v29, vcc
	v_cndmask_b32_e64 v30, v30, 1, s[4:5]
	v_cmp_lt_u32_e64 s[4:5], 3, v27
	v_add_u32_e32 v28, v29, v28
	v_cmp_eq_u32_e32 vcc, 0, v26
	v_cndmask_b32_e64 v26, v26, v30, s[4:5]
	v_mov_b32_dpp v29, v28 row_shr:4 row_mask:0xf bank_mask:0xf
	s_and_b64 vcc, s[4:5], vcc
	v_mov_b32_dpp v30, v26 row_shr:8 row_mask:0xf bank_mask:0xf
	v_and_b32_e32 v31, 1, v26
	v_cndmask_b32_e32 v29, 0, v29, vcc
	v_and_b32_e32 v30, 1, v30
	v_cmp_eq_u32_e64 s[4:5], 1, v31
	v_add_u32_e32 v28, v29, v28
	v_cmp_eq_u32_e32 vcc, 0, v26
	v_cndmask_b32_e64 v30, v30, 1, s[4:5]
	v_cmp_lt_u32_e64 s[4:5], 7, v27
	v_mov_b32_dpp v29, v28 row_shr:8 row_mask:0xf bank_mask:0xf
	s_and_b64 vcc, s[4:5], vcc
	v_cndmask_b32_e32 v27, 0, v29, vcc
	v_cndmask_b32_e64 v26, v26, v30, s[4:5]
	v_add_u32_e32 v27, v27, v28
	v_cmp_eq_u32_e32 vcc, 0, v26
	v_mov_b32_dpp v29, v26 row_bcast:15 row_mask:0xf bank_mask:0xf
	v_mov_b32_dpp v28, v27 row_bcast:15 row_mask:0xf bank_mask:0xf
	v_and_b32_e32 v32, 1, v26
	v_and_b32_e32 v31, 16, v46
	v_cndmask_b32_e32 v28, 0, v28, vcc
	v_and_b32_e32 v29, 1, v29
	v_cmp_eq_u32_e32 vcc, 1, v32
	v_bfe_i32 v30, v46, 4, 1
	v_cndmask_b32_e64 v29, v29, 1, vcc
	v_cmp_eq_u32_e32 vcc, 0, v31
	v_and_b32_e32 v28, v30, v28
	v_cndmask_b32_e32 v26, v29, v26, vcc
	v_add_u32_e32 v27, v28, v27
	v_and_b32_e32 v30, 1, v26
	v_mov_b32_dpp v28, v26 row_bcast:31 row_mask:0xf bank_mask:0xf
	v_and_b32_e32 v28, 1, v28
	v_cmp_eq_u32_e64 s[4:5], 1, v30
	v_cmp_eq_u32_e32 vcc, 0, v26
	v_cndmask_b32_e64 v28, v28, 1, s[4:5]
	v_cmp_lt_u32_e64 s[4:5], 31, v46
	v_mov_b32_dpp v29, v27 row_bcast:31 row_mask:0xf bank_mask:0xf
	s_and_b64 vcc, s[4:5], vcc
	v_cndmask_b32_e64 v28, v26, v28, s[4:5]
	v_cndmask_b32_e32 v26, 0, v29, vcc
	v_add_u32_e32 v29, v26, v27
	v_cmp_eq_u32_e32 vcc, v51, v0
	s_and_saveexec_b64 s[4:5], vcc
	s_cbranch_execz .LBB1883_108
; %bb.107:
	v_lshlrev_b32_e32 v26, 3, v1
	ds_write_b32 v26, v29
	ds_write_b8 v26, v28 offset:4
.LBB1883_108:
	s_or_b64 exec, exec, s[4:5]
	v_cmp_gt_u32_e32 vcc, 4, v0
	s_waitcnt lgkmcnt(0)
	s_barrier
	s_and_saveexec_b64 s[4:5], vcc
	s_cbranch_execz .LBB1883_112
; %bb.109:
	v_lshlrev_b32_e32 v30, 3, v0
	ds_read_b64 v[26:27], v30
	v_and_b32_e32 v31, 3, v46
	v_cmp_ne_u32_e32 vcc, 0, v31
	s_waitcnt lgkmcnt(0)
	v_mov_b32_dpp v32, v26 row_shr:1 row_mask:0xf bank_mask:0xf
	v_mov_b32_dpp v34, v27 row_shr:1 row_mask:0xf bank_mask:0xf
	v_mov_b32_e32 v33, v27
	s_and_saveexec_b64 s[34:35], vcc
	s_cbranch_execz .LBB1883_111
; %bb.110:
	v_and_b32_e32 v33, 1, v27
	v_and_b32_e32 v34, 1, v34
	v_cmp_eq_u32_e32 vcc, 1, v33
	v_mov_b32_e32 v33, 0
	v_cndmask_b32_e64 v34, v34, 1, vcc
	v_cmp_eq_u16_sdwa vcc, v27, v33 src0_sel:BYTE_0 src1_sel:DWORD
	v_cndmask_b32_e32 v32, 0, v32, vcc
	v_add_u32_e32 v26, v32, v26
	v_and_b32_e32 v32, 0xffff, v34
	s_movk_i32 s42, 0xff00
	v_and_or_b32 v33, v27, s42, v32
	v_mov_b32_e32 v27, v34
.LBB1883_111:
	s_or_b64 exec, exec, s[34:35]
	v_mov_b32_dpp v33, v33 row_shr:2 row_mask:0xf bank_mask:0xf
	v_and_b32_e32 v34, 1, v27
	v_and_b32_e32 v33, 1, v33
	v_cmp_eq_u32_e32 vcc, 1, v34
	v_mov_b32_e32 v34, 0
	v_cndmask_b32_e64 v33, v33, 1, vcc
	v_cmp_eq_u16_sdwa s[34:35], v27, v34 src0_sel:BYTE_0 src1_sel:DWORD
	v_cmp_lt_u32_e32 vcc, 1, v31
	v_mov_b32_dpp v32, v26 row_shr:2 row_mask:0xf bank_mask:0xf
	v_cndmask_b32_e32 v27, v27, v33, vcc
	s_and_b64 vcc, vcc, s[34:35]
	v_cndmask_b32_e32 v31, 0, v32, vcc
	v_add_u32_e32 v26, v31, v26
	ds_write_b32 v30, v26
	ds_write_b8 v30, v27 offset:4
.LBB1883_112:
	s_or_b64 exec, exec, s[4:5]
	v_cmp_gt_u32_e32 vcc, 64, v0
	v_cmp_lt_u32_e64 s[4:5], 63, v0
	v_mov_b32_e32 v42, 0
	v_mov_b32_e32 v43, 0
	s_waitcnt lgkmcnt(0)
	s_barrier
	s_and_saveexec_b64 s[34:35], s[4:5]
	s_cbranch_execz .LBB1883_114
; %bb.113:
	v_lshl_add_u32 v26, v1, 3, -8
	ds_read_b32 v42, v26
	ds_read_u8 v43, v26 offset:4
	v_and_b32_e32 v27, 1, v28
	v_cmp_eq_u32_e64 s[4:5], 0, v28
	s_waitcnt lgkmcnt(1)
	v_cndmask_b32_e64 v26, 0, v42, s[4:5]
	v_cmp_eq_u32_e64 s[4:5], 1, v27
	v_add_u32_e32 v29, v26, v29
	s_waitcnt lgkmcnt(0)
	v_cndmask_b32_e64 v28, v43, 1, s[4:5]
.LBB1883_114:
	s_or_b64 exec, exec, s[34:35]
	v_add_u32_e32 v26, -1, v46
	v_and_b32_e32 v27, 64, v46
	v_cmp_lt_i32_e64 s[4:5], v26, v27
	v_cndmask_b32_e64 v26, v26, v46, s[4:5]
	v_lshlrev_b32_e32 v26, 2, v26
	ds_bpermute_b32 v44, v26, v29
	ds_bpermute_b32 v45, v26, v28
	v_cmp_eq_u32_e64 s[34:35], 0, v46
	s_and_saveexec_b64 s[42:43], vcc
	s_cbranch_execz .LBB1883_137
; %bb.115:
	v_mov_b32_e32 v29, 0
	ds_read_b64 v[26:27], v29 offset:24
	s_waitcnt lgkmcnt(0)
	v_readfirstlane_b32 s52, v27
	s_and_saveexec_b64 s[4:5], s[34:35]
	s_cbranch_execz .LBB1883_117
; %bb.116:
	s_add_i32 s44, s59, 64
	s_mov_b32 s45, 0
	s_lshl_b64 s[48:49], s[44:45], 4
	s_add_u32 s48, s56, s48
	s_addc_u32 s49, s57, s49
	s_and_b32 s55, s52, 0xff000000
	s_mov_b32 s54, s45
	s_and_b32 s63, s52, 0xff0000
	s_mov_b32 s62, s45
	s_or_b64 s[54:55], s[62:63], s[54:55]
	s_and_b32 s63, s52, 0xff00
	s_or_b64 s[54:55], s[54:55], s[62:63]
	s_and_b32 s63, s52, 0xff
	s_or_b64 s[44:45], s[54:55], s[62:63]
	v_mov_b32_e32 v27, s45
	v_mov_b32_e32 v28, 1
	v_pk_mov_b32 v[30:31], s[48:49], s[48:49] op_sel:[0,1]
	;;#ASMSTART
	global_store_dwordx4 v[30:31], v[26:29] off	
s_waitcnt vmcnt(0)
	;;#ASMEND
.LBB1883_117:
	s_or_b64 exec, exec, s[4:5]
	v_xad_u32 v34, v46, -1, s59
	v_add_u32_e32 v28, 64, v34
	v_lshlrev_b64 v[30:31], 4, v[28:29]
	v_mov_b32_e32 v27, s57
	v_add_co_u32_e32 v36, vcc, s56, v30
	v_addc_co_u32_e32 v37, vcc, v27, v31, vcc
	;;#ASMSTART
	global_load_dwordx4 v[30:33], v[36:37] off glc	
s_waitcnt vmcnt(0)
	;;#ASMEND
	v_and_b32_e32 v27, 0xff0000, v30
	v_or_b32_sdwa v27, v30, v27 dst_sel:DWORD dst_unused:UNUSED_PAD src0_sel:WORD_0 src1_sel:DWORD
	v_and_b32_e32 v28, 0xff000000, v30
	v_and_b32_e32 v30, 0xff, v31
	v_or3_b32 v31, 0, 0, v30
	v_or3_b32 v30, v27, v28, 0
	v_cmp_eq_u16_sdwa s[44:45], v32, v29 src0_sel:BYTE_0 src1_sel:DWORD
	s_and_saveexec_b64 s[4:5], s[44:45]
	s_cbranch_execz .LBB1883_123
; %bb.118:
	s_mov_b32 s48, 1
	s_mov_b64 s[44:45], 0
	v_mov_b32_e32 v27, 0
.LBB1883_119:                           ; =>This Loop Header: Depth=1
                                        ;     Child Loop BB1883_120 Depth 2
	s_max_u32 s49, s48, 1
.LBB1883_120:                           ;   Parent Loop BB1883_119 Depth=1
                                        ; =>  This Inner Loop Header: Depth=2
	s_add_i32 s49, s49, -1
	s_cmp_eq_u32 s49, 0
	s_sleep 1
	s_cbranch_scc0 .LBB1883_120
; %bb.121:                              ;   in Loop: Header=BB1883_119 Depth=1
	s_cmp_lt_u32 s48, 32
	s_cselect_b64 s[54:55], -1, 0
	s_cmp_lg_u64 s[54:55], 0
	s_addc_u32 s48, s48, 0
	;;#ASMSTART
	global_load_dwordx4 v[30:33], v[36:37] off glc	
s_waitcnt vmcnt(0)
	;;#ASMEND
	v_cmp_ne_u16_sdwa s[54:55], v32, v27 src0_sel:BYTE_0 src1_sel:DWORD
	s_or_b64 s[44:45], s[54:55], s[44:45]
	s_andn2_b64 exec, exec, s[44:45]
	s_cbranch_execnz .LBB1883_119
; %bb.122:
	s_or_b64 exec, exec, s[44:45]
	v_and_b32_e32 v31, 0xff, v31
.LBB1883_123:
	s_or_b64 exec, exec, s[4:5]
	v_mov_b32_e32 v27, 2
	v_cmp_eq_u16_sdwa s[4:5], v32, v27 src0_sel:BYTE_0 src1_sel:DWORD
	v_lshlrev_b64 v[28:29], v46, -1
	v_and_b32_e32 v33, s5, v29
	v_or_b32_e32 v33, 0x80000000, v33
	v_and_b32_e32 v35, s4, v28
	v_ffbl_b32_e32 v33, v33
	v_and_b32_e32 v47, 63, v46
	v_add_u32_e32 v33, 32, v33
	v_ffbl_b32_e32 v35, v35
	v_cmp_ne_u32_e32 vcc, 63, v47
	v_min_u32_e32 v33, v35, v33
	v_addc_co_u32_e32 v35, vcc, 0, v46, vcc
	v_lshlrev_b32_e32 v48, 2, v35
	ds_bpermute_b32 v35, v48, v31
	ds_bpermute_b32 v36, v48, v30
	s_mov_b32 s44, 0
	v_and_b32_e32 v37, 1, v31
	s_mov_b32 s45, 1
	s_waitcnt lgkmcnt(1)
	v_and_b32_e32 v35, 1, v35
	v_cmp_eq_u32_e32 vcc, 1, v37
	v_cndmask_b32_e64 v35, v35, 1, vcc
	v_cmp_gt_u64_e32 vcc, s[44:45], v[30:31]
	v_cmp_lt_u32_e64 s[4:5], v47, v33
	s_and_b64 vcc, s[4:5], vcc
	v_and_b32_e32 v37, 0xffff, v35
	v_cndmask_b32_e64 v54, v31, v35, s[4:5]
	s_waitcnt lgkmcnt(0)
	v_cndmask_b32_e32 v35, 0, v36, vcc
	v_cmp_gt_u32_e32 vcc, 62, v47
	v_cndmask_b32_e64 v36, 0, 1, vcc
	v_lshlrev_b32_e32 v36, 1, v36
	v_cndmask_b32_e64 v31, v31, v37, s[4:5]
	v_add_lshl_u32 v49, v36, v46, 2
	ds_bpermute_b32 v36, v49, v31
	v_add_u32_e32 v30, v35, v30
	ds_bpermute_b32 v37, v49, v30
	v_and_b32_e32 v35, 1, v54
	v_cmp_eq_u32_e32 vcc, 1, v35
	s_waitcnt lgkmcnt(1)
	v_and_b32_e32 v36, 1, v36
	v_mov_b32_e32 v35, 0
	v_add_u32_e32 v53, 2, v47
	v_cndmask_b32_e64 v36, v36, 1, vcc
	v_cmp_eq_u16_sdwa vcc, v54, v35 src0_sel:BYTE_0 src1_sel:DWORD
	v_and_b32_e32 v55, 0xffff, v36
	s_waitcnt lgkmcnt(0)
	v_cndmask_b32_e32 v37, 0, v37, vcc
	v_cmp_gt_u32_e32 vcc, v53, v33
	v_cndmask_b32_e32 v36, v36, v54, vcc
	v_cndmask_b32_e64 v37, v37, 0, vcc
	v_cndmask_b32_e32 v31, v55, v31, vcc
	v_cmp_gt_u32_e32 vcc, 60, v47
	v_cndmask_b32_e64 v54, 0, 1, vcc
	v_lshlrev_b32_e32 v54, 2, v54
	v_add_lshl_u32 v54, v54, v46, 2
	ds_bpermute_b32 v56, v54, v31
	v_add_u32_e32 v30, v37, v30
	ds_bpermute_b32 v37, v54, v30
	v_and_b32_e32 v57, 1, v36
	v_cmp_eq_u32_e32 vcc, 1, v57
	s_waitcnt lgkmcnt(1)
	v_and_b32_e32 v56, 1, v56
	v_add_u32_e32 v55, 4, v47
	v_cndmask_b32_e64 v56, v56, 1, vcc
	v_cmp_eq_u16_sdwa vcc, v36, v35 src0_sel:BYTE_0 src1_sel:DWORD
	v_and_b32_e32 v57, 0xffff, v56
	s_waitcnt lgkmcnt(0)
	v_cndmask_b32_e32 v37, 0, v37, vcc
	v_cmp_gt_u32_e32 vcc, v55, v33
	v_cndmask_b32_e32 v36, v56, v36, vcc
	v_cndmask_b32_e64 v37, v37, 0, vcc
	v_cndmask_b32_e32 v31, v57, v31, vcc
	v_cmp_gt_u32_e32 vcc, 56, v47
	v_cndmask_b32_e64 v56, 0, 1, vcc
	v_lshlrev_b32_e32 v56, 3, v56
	v_add_lshl_u32 v56, v56, v46, 2
	ds_bpermute_b32 v58, v56, v31
	v_add_u32_e32 v30, v37, v30
	ds_bpermute_b32 v37, v56, v30
	v_and_b32_e32 v59, 1, v36
	v_cmp_eq_u32_e32 vcc, 1, v59
	s_waitcnt lgkmcnt(1)
	v_and_b32_e32 v58, 1, v58
	;; [unrolled: 21-line block ×4, first 2 shown]
	v_add_u32_e32 v62, 32, v47
	v_cndmask_b32_e64 v31, v31, 1, vcc
	v_cmp_eq_u16_sdwa vcc, v36, v35 src0_sel:BYTE_0 src1_sel:DWORD
	s_waitcnt lgkmcnt(0)
	v_cndmask_b32_e32 v37, 0, v37, vcc
	v_cmp_gt_u32_e32 vcc, v62, v33
	v_cndmask_b32_e64 v33, v37, 0, vcc
	v_cndmask_b32_e32 v31, v31, v36, vcc
	v_add_u32_e32 v30, v33, v30
	s_branch .LBB1883_125
.LBB1883_124:                           ;   in Loop: Header=BB1883_125 Depth=1
	s_or_b64 exec, exec, s[4:5]
	v_cmp_eq_u16_sdwa s[4:5], v32, v27 src0_sel:BYTE_0 src1_sel:DWORD
	v_and_b32_e32 v33, s5, v29
	ds_bpermute_b32 v37, v48, v31
	v_or_b32_e32 v33, 0x80000000, v33
	v_and_b32_e32 v36, s4, v28
	v_ffbl_b32_e32 v33, v33
	v_add_u32_e32 v33, 32, v33
	v_ffbl_b32_e32 v36, v36
	v_min_u32_e32 v33, v36, v33
	ds_bpermute_b32 v36, v48, v30
	v_and_b32_e32 v63, 1, v31
	s_waitcnt lgkmcnt(1)
	v_and_b32_e32 v37, 1, v37
	v_cmp_eq_u32_e32 vcc, 1, v63
	v_cndmask_b32_e64 v37, v37, 1, vcc
	v_cmp_gt_u64_e32 vcc, s[44:45], v[30:31]
	v_and_b32_e32 v63, 0xffff, v37
	v_cmp_lt_u32_e64 s[4:5], v47, v33
	v_cndmask_b32_e64 v37, v31, v37, s[4:5]
	v_cndmask_b32_e64 v31, v31, v63, s[4:5]
	s_and_b64 vcc, s[4:5], vcc
	ds_bpermute_b32 v63, v49, v31
	s_waitcnt lgkmcnt(1)
	v_cndmask_b32_e32 v36, 0, v36, vcc
	v_add_u32_e32 v30, v36, v30
	ds_bpermute_b32 v36, v49, v30
	v_and_b32_e32 v64, 1, v37
	s_waitcnt lgkmcnt(1)
	v_and_b32_e32 v63, 1, v63
	v_cmp_eq_u32_e32 vcc, 1, v64
	v_cndmask_b32_e64 v63, v63, 1, vcc
	v_cmp_eq_u16_sdwa vcc, v37, v35 src0_sel:BYTE_0 src1_sel:DWORD
	v_and_b32_e32 v64, 0xffff, v63
	s_waitcnt lgkmcnt(0)
	v_cndmask_b32_e32 v36, 0, v36, vcc
	v_cmp_gt_u32_e32 vcc, v53, v33
	v_cndmask_b32_e32 v31, v64, v31, vcc
	v_cndmask_b32_e32 v37, v63, v37, vcc
	ds_bpermute_b32 v63, v54, v31
	v_cndmask_b32_e64 v36, v36, 0, vcc
	v_add_u32_e32 v30, v36, v30
	ds_bpermute_b32 v36, v54, v30
	v_and_b32_e32 v64, 1, v37
	s_waitcnt lgkmcnt(1)
	v_and_b32_e32 v63, 1, v63
	v_cmp_eq_u32_e32 vcc, 1, v64
	v_cndmask_b32_e64 v63, v63, 1, vcc
	v_cmp_eq_u16_sdwa vcc, v37, v35 src0_sel:BYTE_0 src1_sel:DWORD
	v_and_b32_e32 v64, 0xffff, v63
	s_waitcnt lgkmcnt(0)
	v_cndmask_b32_e32 v36, 0, v36, vcc
	v_cmp_gt_u32_e32 vcc, v55, v33
	v_cndmask_b32_e32 v31, v64, v31, vcc
	v_cndmask_b32_e32 v37, v63, v37, vcc
	ds_bpermute_b32 v63, v56, v31
	v_cndmask_b32_e64 v36, v36, 0, vcc
	;; [unrolled: 16-line block ×3, first 2 shown]
	v_add_u32_e32 v30, v36, v30
	ds_bpermute_b32 v36, v58, v30
	v_and_b32_e32 v64, 1, v37
	s_waitcnt lgkmcnt(1)
	v_and_b32_e32 v63, 1, v63
	v_cmp_eq_u32_e32 vcc, 1, v64
	v_cndmask_b32_e64 v63, v63, 1, vcc
	v_cmp_eq_u16_sdwa vcc, v37, v35 src0_sel:BYTE_0 src1_sel:DWORD
	v_and_b32_e32 v64, 0xffff, v63
	s_waitcnt lgkmcnt(0)
	v_cndmask_b32_e32 v36, 0, v36, vcc
	v_cmp_gt_u32_e32 vcc, v59, v33
	v_cndmask_b32_e64 v36, v36, 0, vcc
	v_cndmask_b32_e32 v31, v64, v31, vcc
	ds_bpermute_b32 v31, v61, v31
	v_add_u32_e32 v30, v36, v30
	ds_bpermute_b32 v36, v61, v30
	v_cndmask_b32_e32 v37, v63, v37, vcc
	v_and_b32_e32 v63, 1, v37
	v_cmp_eq_u32_e32 vcc, 1, v63
	s_waitcnt lgkmcnt(1)
	v_cndmask_b32_e64 v31, v31, 1, vcc
	v_cmp_eq_u16_sdwa vcc, v37, v35 src0_sel:BYTE_0 src1_sel:DWORD
	s_waitcnt lgkmcnt(0)
	v_cndmask_b32_e32 v36, 0, v36, vcc
	v_cmp_gt_u32_e32 vcc, v62, v33
	v_cndmask_b32_e64 v33, v36, 0, vcc
	v_cndmask_b32_e32 v31, v31, v37, vcc
	v_add_u32_e32 v30, v33, v30
	v_cmp_eq_u16_sdwa vcc, v46, v35 src0_sel:BYTE_0 src1_sel:DWORD
	v_and_b32_e32 v33, 1, v46
	v_cndmask_b32_e32 v30, 0, v30, vcc
	v_and_b32_e32 v31, 1, v31
	v_cmp_eq_u32_e32 vcc, 1, v33
	v_subrev_u32_e32 v34, 64, v34
	v_add_u32_e32 v30, v30, v60
	v_cndmask_b32_e64 v31, v31, 1, vcc
.LBB1883_125:                           ; =>This Loop Header: Depth=1
                                        ;     Child Loop BB1883_128 Depth 2
                                        ;       Child Loop BB1883_129 Depth 3
	v_cmp_ne_u16_sdwa s[4:5], v32, v27 src0_sel:BYTE_0 src1_sel:DWORD
	v_mov_b32_e32 v46, v31
	v_cndmask_b32_e64 v31, 0, 1, s[4:5]
	;;#ASMSTART
	;;#ASMEND
	v_cmp_ne_u32_e32 vcc, 0, v31
	s_cmp_lg_u64 vcc, exec
	v_mov_b32_e32 v60, v30
	s_cbranch_scc1 .LBB1883_132
; %bb.126:                              ;   in Loop: Header=BB1883_125 Depth=1
	v_lshlrev_b64 v[30:31], 4, v[34:35]
	v_mov_b32_e32 v32, s57
	v_add_co_u32_e32 v36, vcc, s56, v30
	v_addc_co_u32_e32 v37, vcc, v32, v31, vcc
	;;#ASMSTART
	global_load_dwordx4 v[30:33], v[36:37] off glc	
s_waitcnt vmcnt(0)
	;;#ASMEND
	v_and_b32_e32 v33, 0xff0000, v30
	v_or_b32_sdwa v33, v30, v33 dst_sel:DWORD dst_unused:UNUSED_PAD src0_sel:WORD_0 src1_sel:DWORD
	v_and_b32_e32 v30, 0xff000000, v30
	v_and_b32_e32 v31, 0xff, v31
	v_or3_b32 v31, 0, 0, v31
	v_or3_b32 v30, v33, v30, 0
	v_cmp_eq_u16_sdwa s[48:49], v32, v35 src0_sel:BYTE_0 src1_sel:DWORD
	s_and_saveexec_b64 s[4:5], s[48:49]
	s_cbranch_execz .LBB1883_124
; %bb.127:                              ;   in Loop: Header=BB1883_125 Depth=1
	s_mov_b32 s53, 1
	s_mov_b64 s[48:49], 0
.LBB1883_128:                           ;   Parent Loop BB1883_125 Depth=1
                                        ; =>  This Loop Header: Depth=2
                                        ;       Child Loop BB1883_129 Depth 3
	s_max_u32 s54, s53, 1
.LBB1883_129:                           ;   Parent Loop BB1883_125 Depth=1
                                        ;     Parent Loop BB1883_128 Depth=2
                                        ; =>    This Inner Loop Header: Depth=3
	s_add_i32 s54, s54, -1
	s_cmp_eq_u32 s54, 0
	s_sleep 1
	s_cbranch_scc0 .LBB1883_129
; %bb.130:                              ;   in Loop: Header=BB1883_128 Depth=2
	s_cmp_lt_u32 s53, 32
	s_cselect_b64 s[54:55], -1, 0
	s_cmp_lg_u64 s[54:55], 0
	s_addc_u32 s53, s53, 0
	;;#ASMSTART
	global_load_dwordx4 v[30:33], v[36:37] off glc	
s_waitcnt vmcnt(0)
	;;#ASMEND
	v_cmp_ne_u16_sdwa s[54:55], v32, v35 src0_sel:BYTE_0 src1_sel:DWORD
	s_or_b64 s[48:49], s[54:55], s[48:49]
	s_andn2_b64 exec, exec, s[48:49]
	s_cbranch_execnz .LBB1883_128
; %bb.131:                              ;   in Loop: Header=BB1883_125 Depth=1
	s_or_b64 exec, exec, s[48:49]
	v_and_b32_e32 v31, 0xff, v31
	s_branch .LBB1883_124
.LBB1883_132:                           ;   in Loop: Header=BB1883_125 Depth=1
                                        ; implicit-def: $vgpr31
                                        ; implicit-def: $vgpr30
                                        ; implicit-def: $vgpr32
	s_cbranch_execz .LBB1883_125
; %bb.133:
	s_and_saveexec_b64 s[4:5], s[34:35]
	s_cbranch_execz .LBB1883_135
; %bb.134:
	s_and_b32 s44, s52, 0xff
	s_cmp_eq_u32 s44, 0
	s_cselect_b64 vcc, -1, 0
	s_bitcmp1_b32 s52, 0
	s_mov_b32 s45, 0
	s_cselect_b64 s[48:49], -1, 0
	s_add_i32 s44, s59, 64
	s_lshl_b64 s[44:45], s[44:45], 4
	v_cndmask_b32_e32 v27, 0, v60, vcc
	s_add_u32 s44, s56, s44
	v_add_u32_e32 v26, v27, v26
	v_and_b32_e32 v27, 1, v46
	s_addc_u32 s45, s57, s45
	v_mov_b32_e32 v29, 0
	v_cndmask_b32_e64 v27, v27, 1, s[48:49]
	v_mov_b32_e32 v28, 2
	v_pk_mov_b32 v[30:31], s[44:45], s[44:45] op_sel:[0,1]
	;;#ASMSTART
	global_store_dwordx4 v[30:31], v[26:29] off	
s_waitcnt vmcnt(0)
	;;#ASMEND
.LBB1883_135:
	s_or_b64 exec, exec, s[4:5]
	s_and_b64 exec, exec, s[0:1]
	s_cbranch_execz .LBB1883_137
; %bb.136:
	v_mov_b32_e32 v26, 0
	ds_write_b32 v26, v60 offset:24
	ds_write_b8 v26, v46 offset:28
.LBB1883_137:
	s_or_b64 exec, exec, s[42:43]
	s_mov_b32 s4, 0
	v_mov_b32_e32 v28, 0
	s_mov_b32 s5, 1
	s_waitcnt lgkmcnt(0)
	v_cndmask_b32_e64 v26, v45, v43, s[34:35]
	v_cndmask_b32_e64 v27, v44, v42, s[34:35]
	s_barrier
	ds_read_b32 v29, v28 offset:24
	v_cmp_gt_u64_e32 vcc, s[4:5], v[38:39]
	v_and_b32_e32 v30, 1, v39
	v_cndmask_b32_e32 v27, 0, v27, vcc
	v_and_b32_e32 v26, 1, v26
	v_cmp_eq_u32_e32 vcc, 1, v30
	v_cndmask_b32_e64 v26, v26, 1, vcc
	v_cndmask_b32_e64 v26, v26, v39, s[0:1]
	v_cmp_eq_u16_sdwa vcc, v26, v28 src0_sel:BYTE_0 src1_sel:DWORD
	v_cndmask_b32_e64 v27, v27, 0, s[0:1]
	s_waitcnt lgkmcnt(0)
	v_cndmask_b32_e32 v26, 0, v29, vcc
	v_add3_u32 v26, v27, v38, v26
	v_cndmask_b32_e64 v27, 0, v26, s[6:7]
	v_add_u32_e32 v27, v27, v2
	v_cndmask_b32_e64 v28, 0, v27, s[8:9]
	v_add_u32_e32 v42, v28, v4
	;; [unrolled: 2-line block ×13, first 2 shown]
	s_branch .LBB1883_154
.LBB1883_138:
                                        ; implicit-def: $vgpr49
                                        ; implicit-def: $vgpr47
                                        ; implicit-def: $vgpr45
                                        ; implicit-def: $vgpr43
                                        ; implicit-def: $vgpr34_vgpr35_vgpr36_vgpr37
                                        ; implicit-def: $vgpr30_vgpr31_vgpr32_vgpr33
                                        ; implicit-def: $vgpr26_vgpr27_vgpr28_vgpr29
	s_cbranch_execz .LBB1883_154
; %bb.139:
	s_cmp_lg_u64 s[60:61], 0
	s_cselect_b32 s9, s51, 0
	s_cselect_b32 s8, s50, 0
	s_cmp_lg_u64 s[8:9], 0
	s_cselect_b64 s[6:7], -1, 0
	s_mov_b32 s4, 0
	s_and_b64 s[10:11], s[0:1], s[6:7]
	s_and_saveexec_b64 s[6:7], s[10:11]
	s_cbranch_execz .LBB1883_141
; %bb.140:
	v_mov_b32_e32 v26, 0
	global_load_dword v28, v26, s[8:9]
	global_load_ubyte v29, v26, s[8:9] offset:4
	s_mov_b32 s5, 1
	v_and_b32_e32 v27, 1, v39
	v_cmp_gt_u64_e32 vcc, s[4:5], v[38:39]
	s_waitcnt vmcnt(1)
	v_cndmask_b32_e32 v28, 0, v28, vcc
	s_waitcnt vmcnt(0)
	v_and_b32_e32 v29, 1, v29
	v_cmp_eq_u64_e32 vcc, 0, v[26:27]
	v_add_u32_e32 v38, v28, v38
	v_cndmask_b32_e32 v39, 1, v29, vcc
.LBB1883_141:
	s_or_b64 exec, exec, s[6:7]
	s_mov_b32 s5, 1
	v_cmp_gt_u64_e32 vcc, s[4:5], v[2:3]
	v_cndmask_b32_e32 v26, 0, v38, vcc
	v_add_u32_e32 v27, v26, v2
	v_cmp_gt_u64_e64 s[6:7], s[4:5], v[4:5]
	v_cndmask_b32_e64 v26, 0, v27, s[6:7]
	v_add_u32_e32 v42, v26, v4
	v_cmp_gt_u64_e64 s[8:9], s[4:5], v[6:7]
	v_cndmask_b32_e64 v26, 0, v42, s[8:9]
	;; [unrolled: 3-line block ×6, first 2 shown]
	v_add_u32_e32 v45, v26, v14
	v_cmp_gt_u64_e64 s[18:19], s[4:5], v[16:17]
	v_mov_b32_e32 v28, 0
	v_cndmask_b32_e64 v26, 0, v45, s[18:19]
	v_or3_b32 v7, v23, v15, v7
	v_add_u32_e32 v34, v26, v16
	v_cmp_gt_u64_e64 s[20:21], s[4:5], v[18:19]
	v_or3_b32 v9, v25, v17, v9
	v_and_b32_e32 v55, 1, v7
	v_mov_b32_e32 v54, v28
	v_cndmask_b32_e64 v26, 0, v34, s[20:21]
	v_or3_b32 v3, v19, v11, v3
	v_and_b32_e32 v37, 1, v9
	v_mov_b32_e32 v36, v28
	v_cmp_ne_u64_e64 s[30:31], 0, v[54:55]
	v_add_u32_e32 v35, v26, v18
	v_cmp_gt_u64_e64 s[22:23], s[4:5], v[20:21]
	v_or3_b32 v5, v21, v13, v5
	v_and_b32_e32 v29, 1, v3
	v_cndmask_b32_e64 v3, 0, 1, s[30:31]
	v_cmp_ne_u64_e64 s[30:31], 0, v[36:37]
	v_cndmask_b32_e64 v26, 0, v35, s[22:23]
	v_and_b32_e32 v33, 1, v5
	v_mov_b32_e32 v32, v28
	v_cndmask_b32_e64 v5, 0, 1, s[30:31]
	v_add_u32_e32 v46, v26, v20
	v_cmp_gt_u64_e64 s[24:25], s[4:5], v[22:23]
	v_lshlrev_b16_e32 v3, 2, v3
	v_lshlrev_b16_e32 v5, 3, v5
	v_cmp_ne_u64_e64 s[30:31], 0, v[32:33]
	v_cndmask_b32_e64 v26, 0, v46, s[24:25]
	v_or_b32_e32 v3, v5, v3
	v_cndmask_b32_e64 v5, 0, 1, s[30:31]
	v_cmp_ne_u64_e64 s[30:31], 0, v[28:29]
	v_add_u32_e32 v47, v26, v22
	v_cmp_gt_u64_e64 s[26:27], s[4:5], v[24:25]
	v_lshlrev_b16_e32 v5, 1, v5
	v_cndmask_b32_e64 v7, 0, 1, s[30:31]
	v_cndmask_b32_e64 v26, 0, v47, s[26:27]
	v_or_b32_e32 v5, v7, v5
	v_add_u32_e32 v48, v26, v24
	v_cmp_gt_u64_e64 s[28:29], s[4:5], v[40:41]
	v_and_b32_e32 v5, 3, v5
	v_cndmask_b32_e64 v26, 0, v48, s[28:29]
	v_or_b32_e32 v3, v5, v3
	v_add_u32_e32 v49, v26, v40
	v_and_b32_e32 v26, 1, v41
	v_and_b32_e32 v3, 15, v3
	v_cmp_eq_u32_e64 s[4:5], 1, v26
	v_cmp_ne_u16_e64 s[30:31], 0, v3
	s_or_b64 s[4:5], s[4:5], s[30:31]
	v_cndmask_b32_e64 v5, v39, 1, s[4:5]
	v_mbcnt_hi_u32_b32 v3, -1, v52
	v_mov_b32_dpp v9, v49 row_shr:1 row_mask:0xf bank_mask:0xf
	v_mov_b32_dpp v11, v5 row_shr:1 row_mask:0xf bank_mask:0xf
	v_cmp_eq_u32_e64 s[4:5], 0, v5
	v_and_b32_e32 v13, 1, v5
	v_and_b32_e32 v7, 15, v3
	v_cndmask_b32_e64 v9, 0, v9, s[4:5]
	v_and_b32_e32 v11, 1, v11
	v_cmp_eq_u32_e64 s[4:5], 1, v13
	v_cndmask_b32_e64 v11, v11, 1, s[4:5]
	v_cmp_eq_u32_e64 s[4:5], 0, v7
	v_cndmask_b32_e64 v5, v11, v5, s[4:5]
	v_and_b32_e32 v15, 1, v5
	v_cmp_eq_u32_e64 s[30:31], 1, v15
	v_mov_b32_dpp v13, v5 row_shr:2 row_mask:0xf bank_mask:0xf
	v_and_b32_e32 v13, 1, v13
	v_cndmask_b32_e64 v13, v13, 1, s[30:31]
	v_cmp_lt_u32_e64 s[30:31], 1, v7
	v_cndmask_b32_e64 v9, v9, 0, s[4:5]
	v_cmp_eq_u32_e64 s[4:5], 0, v5
	v_cndmask_b32_e64 v5, v5, v13, s[30:31]
	v_add_u32_e32 v9, v49, v9
	v_and_b32_e32 v15, 1, v5
	v_mov_b32_dpp v13, v5 row_shr:4 row_mask:0xf bank_mask:0xf
	v_mov_b32_dpp v11, v9 row_shr:2 row_mask:0xf bank_mask:0xf
	s_and_b64 s[4:5], s[30:31], s[4:5]
	v_and_b32_e32 v13, 1, v13
	v_cmp_eq_u32_e64 s[30:31], 1, v15
	v_cndmask_b32_e64 v11, 0, v11, s[4:5]
	v_cndmask_b32_e64 v13, v13, 1, s[30:31]
	v_cmp_lt_u32_e64 s[30:31], 3, v7
	v_add_u32_e32 v9, v9, v11
	v_cmp_eq_u32_e64 s[4:5], 0, v5
	v_cndmask_b32_e64 v5, v5, v13, s[30:31]
	v_mov_b32_dpp v11, v9 row_shr:4 row_mask:0xf bank_mask:0xf
	s_and_b64 s[4:5], s[30:31], s[4:5]
	v_mov_b32_dpp v13, v5 row_shr:8 row_mask:0xf bank_mask:0xf
	v_and_b32_e32 v15, 1, v5
	v_cndmask_b32_e64 v11, 0, v11, s[4:5]
	v_and_b32_e32 v13, 1, v13
	v_cmp_eq_u32_e64 s[30:31], 1, v15
	v_add_u32_e32 v9, v9, v11
	v_cmp_eq_u32_e64 s[4:5], 0, v5
	v_cndmask_b32_e64 v13, v13, 1, s[30:31]
	v_cmp_lt_u32_e64 s[30:31], 7, v7
	v_mov_b32_dpp v11, v9 row_shr:8 row_mask:0xf bank_mask:0xf
	s_and_b64 s[4:5], s[30:31], s[4:5]
	v_cndmask_b32_e64 v7, 0, v11, s[4:5]
	v_cndmask_b32_e64 v5, v5, v13, s[30:31]
	v_add_u32_e32 v7, v9, v7
	v_cmp_eq_u32_e64 s[4:5], 0, v5
	v_mov_b32_dpp v11, v5 row_bcast:15 row_mask:0xf bank_mask:0xf
	v_mov_b32_dpp v9, v7 row_bcast:15 row_mask:0xf bank_mask:0xf
	v_and_b32_e32 v17, 1, v5
	v_and_b32_e32 v15, 16, v3
	v_cndmask_b32_e64 v9, 0, v9, s[4:5]
	v_and_b32_e32 v11, 1, v11
	v_cmp_eq_u32_e64 s[4:5], 1, v17
	v_bfe_i32 v13, v3, 4, 1
	v_cndmask_b32_e64 v11, v11, 1, s[4:5]
	v_cmp_eq_u32_e64 s[4:5], 0, v15
	v_and_b32_e32 v9, v13, v9
	v_cndmask_b32_e64 v5, v11, v5, s[4:5]
	v_add_u32_e32 v9, v7, v9
	v_and_b32_e32 v13, 1, v5
	v_mov_b32_dpp v7, v5 row_bcast:31 row_mask:0xf bank_mask:0xf
	v_and_b32_e32 v7, 1, v7
	v_cmp_eq_u32_e64 s[30:31], 1, v13
	v_cmp_eq_u32_e64 s[4:5], 0, v5
	v_cndmask_b32_e64 v7, v7, 1, s[30:31]
	v_cmp_lt_u32_e64 s[30:31], 31, v3
	v_mov_b32_dpp v11, v9 row_bcast:31 row_mask:0xf bank_mask:0xf
	s_and_b64 s[4:5], s[30:31], s[4:5]
	v_cndmask_b32_e64 v7, v5, v7, s[30:31]
	v_cndmask_b32_e64 v5, 0, v11, s[4:5]
	v_add_u32_e32 v5, v9, v5
	v_cmp_eq_u32_e64 s[4:5], v51, v0
	s_and_saveexec_b64 s[30:31], s[4:5]
	s_cbranch_execz .LBB1883_143
; %bb.142:
	v_lshlrev_b32_e32 v9, 3, v1
	ds_write_b32 v9, v5
	ds_write_b8 v9, v7 offset:4
.LBB1883_143:
	s_or_b64 exec, exec, s[30:31]
	v_cmp_gt_u32_e64 s[4:5], 4, v0
	s_waitcnt lgkmcnt(0)
	s_barrier
	s_and_saveexec_b64 s[30:31], s[4:5]
	s_cbranch_execz .LBB1883_147
; %bb.144:
	v_lshlrev_b32_e32 v9, 3, v0
	ds_read_b64 v[28:29], v9
	v_and_b32_e32 v11, 3, v3
	v_cmp_ne_u32_e64 s[4:5], 0, v11
	s_waitcnt lgkmcnt(0)
	v_mov_b32_dpp v13, v28 row_shr:1 row_mask:0xf bank_mask:0xf
	v_mov_b32_dpp v17, v29 row_shr:1 row_mask:0xf bank_mask:0xf
	v_mov_b32_e32 v15, v29
	s_and_saveexec_b64 s[34:35], s[4:5]
	s_cbranch_execz .LBB1883_146
; %bb.145:
	v_and_b32_e32 v15, 1, v29
	v_and_b32_e32 v17, 1, v17
	v_cmp_eq_u32_e64 s[4:5], 1, v15
	v_mov_b32_e32 v15, 0
	v_cndmask_b32_e64 v17, v17, 1, s[4:5]
	v_cmp_eq_u16_sdwa s[4:5], v29, v15 src0_sel:BYTE_0 src1_sel:DWORD
	v_cndmask_b32_e64 v13, 0, v13, s[4:5]
	v_add_u32_e32 v28, v13, v28
	v_and_b32_e32 v13, 0xffff, v17
	s_movk_i32 s4, 0xff00
	v_and_or_b32 v15, v29, s4, v13
	v_mov_b32_e32 v29, v17
.LBB1883_146:
	s_or_b64 exec, exec, s[34:35]
	v_mov_b32_dpp v15, v15 row_shr:2 row_mask:0xf bank_mask:0xf
	v_and_b32_e32 v17, 1, v29
	v_and_b32_e32 v15, 1, v15
	v_cmp_eq_u32_e64 s[4:5], 1, v17
	v_mov_b32_e32 v17, 0
	v_cndmask_b32_e64 v15, v15, 1, s[4:5]
	v_cmp_eq_u16_sdwa s[34:35], v29, v17 src0_sel:BYTE_0 src1_sel:DWORD
	v_cmp_lt_u32_e64 s[4:5], 1, v11
	v_mov_b32_dpp v13, v28 row_shr:2 row_mask:0xf bank_mask:0xf
	v_cndmask_b32_e64 v11, v29, v15, s[4:5]
	s_and_b64 s[4:5], s[4:5], s[34:35]
	v_cndmask_b32_e64 v13, 0, v13, s[4:5]
	v_add_u32_e32 v13, v13, v28
	ds_write_b32 v9, v13
	ds_write_b8 v9, v11 offset:4
.LBB1883_147:
	s_or_b64 exec, exec, s[30:31]
	v_cmp_lt_u32_e64 s[4:5], 63, v0
	v_mov_b32_e32 v9, 0
	s_waitcnt lgkmcnt(0)
	s_barrier
	s_and_saveexec_b64 s[30:31], s[4:5]
	s_cbranch_execz .LBB1883_149
; %bb.148:
	v_lshl_add_u32 v1, v1, 3, -8
	ds_read_b32 v9, v1
	v_cmp_eq_u32_e64 s[4:5], 0, v7
	s_waitcnt lgkmcnt(0)
	v_cndmask_b32_e64 v1, 0, v9, s[4:5]
	v_add_u32_e32 v5, v1, v5
.LBB1883_149:
	s_or_b64 exec, exec, s[30:31]
	v_add_u32_e32 v1, -1, v3
	v_and_b32_e32 v7, 64, v3
	v_cmp_lt_i32_e64 s[4:5], v1, v7
	v_cndmask_b32_e64 v1, v1, v3, s[4:5]
	v_lshlrev_b32_e32 v1, 2, v1
	ds_bpermute_b32 v1, v1, v5
	s_and_saveexec_b64 s[30:31], s[36:37]
	s_cbranch_execz .LBB1883_151
; %bb.150:
	v_and_b32_e32 v27, 0xff, v39
	v_mov_b32_e32 v26, 0
	v_cmp_eq_u32_e64 s[4:5], 0, v3
	s_waitcnt lgkmcnt(0)
	v_cndmask_b32_e64 v1, v1, v9, s[4:5]
	v_cmp_eq_u64_e64 s[4:5], 0, v[26:27]
	v_cndmask_b32_e64 v1, 0, v1, s[4:5]
	v_add_u32_e32 v38, v1, v38
	v_cndmask_b32_e32 v1, 0, v38, vcc
	v_add_u32_e32 v27, v1, v2
	v_cndmask_b32_e64 v1, 0, v27, s[6:7]
	v_add_u32_e32 v42, v1, v4
	v_cndmask_b32_e64 v1, 0, v42, s[8:9]
	;; [unrolled: 2-line block ×12, first 2 shown]
	v_add_u32_e32 v49, v1, v40
	;;#ASMSTART
	;;#ASMEND
.LBB1883_151:
	s_or_b64 exec, exec, s[30:31]
	s_and_saveexec_b64 s[4:5], s[0:1]
	s_cbranch_execz .LBB1883_153
; %bb.152:
	v_mov_b32_e32 v5, 0
	ds_read_b32 v2, v5 offset:24
	ds_read_u8 v3, v5 offset:28
	s_add_u32 s0, s56, 0x400
	s_addc_u32 s1, s57, 0
	v_mov_b32_e32 v4, 2
	v_pk_mov_b32 v[6:7], s[0:1], s[0:1] op_sel:[0,1]
	s_waitcnt lgkmcnt(0)
	;;#ASMSTART
	global_store_dwordx4 v[6:7], v[2:5] off	
s_waitcnt vmcnt(0)
	;;#ASMEND
.LBB1883_153:
	s_or_b64 exec, exec, s[4:5]
	v_mov_b32_e32 v26, v38
.LBB1883_154:
	s_add_u32 s0, s46, s38
	s_addc_u32 s1, s47, s39
	s_add_u32 s26, s0, s40
	s_addc_u32 s27, s1, s41
	v_mul_u32_u24_e32 v18, 14, v0
	s_and_b64 vcc, exec, s[2:3]
	s_cbranch_vccz .LBB1883_206
; %bb.155:
	s_add_i32 s33, s33, s58
	v_cmp_gt_u32_e32 vcc, s33, v18
	s_waitcnt lgkmcnt(0)
	v_mov_b32_e32 v1, 0
	v_mov_b32_e32 v5, 0
	;; [unrolled: 1-line block ×15, first 2 shown]
	s_and_saveexec_b64 s[2:3], vcc
	s_cbranch_execz .LBB1883_179
; %bb.156:
	v_or_b32_e32 v2, 1, v18
	v_cmp_gt_u32_e32 vcc, s33, v2
	v_mov_b32_e32 v3, 0
	v_mov_b32_e32 v2, 0
	;; [unrolled: 1-line block ×13, first 2 shown]
	s_and_saveexec_b64 s[4:5], vcc
	s_cbranch_execz .LBB1883_178
; %bb.157:
	v_add_u32_e32 v2, 2, v18
	v_cmp_gt_u32_e32 vcc, s33, v2
	v_mov_b32_e32 v3, 0
	v_mov_b32_e32 v2, 0
	v_mov_b32_e32 v7, 0
	v_mov_b32_e32 v6, 0
	v_mov_b32_e32 v9, 0
	v_mov_b32_e32 v8, 0
	v_mov_b32_e32 v11, 0
	v_mov_b32_e32 v10, 0
	v_mov_b32_e32 v13, 0
	v_mov_b32_e32 v12, 0
	v_mov_b32_e32 v4, 0
	v_mov_b32_e32 v5, 0
	s_and_saveexec_b64 s[6:7], vcc
	s_cbranch_execz .LBB1883_177
; %bb.158:
	v_add_u32_e32 v2, 3, v18
	v_cmp_gt_u32_e32 vcc, s33, v2
	v_mov_b32_e32 v3, 0
	v_mov_b32_e32 v2, 0
	;; [unrolled: 1-line block ×11, first 2 shown]
	s_and_saveexec_b64 s[8:9], vcc
	s_cbranch_execz .LBB1883_176
; %bb.159:
	v_add_u32_e32 v2, 4, v18
	v_cmp_gt_u32_e32 vcc, s33, v2
	v_mov_b32_e32 v3, 0
	v_mov_b32_e32 v2, 0
	;; [unrolled: 1-line block ×10, first 2 shown]
	s_and_saveexec_b64 s[10:11], vcc
	s_cbranch_execz .LBB1883_175
; %bb.160:
	v_add_u32_e32 v2, 5, v18
	v_cmp_gt_u32_e32 vcc, s33, v2
	v_mov_b32_e32 v3, 0
	v_mov_b32_e32 v2, 0
	;; [unrolled: 1-line block ×9, first 2 shown]
	s_and_saveexec_b64 s[12:13], vcc
	s_cbranch_execz .LBB1883_174
; %bb.161:
	v_add_u32_e32 v2, 6, v18
	v_cmp_gt_u32_e32 vcc, s33, v2
	v_mov_b32_e32 v3, 0
	v_mov_b32_e32 v2, 0
	v_mov_b32_e32 v7, 0
	v_mov_b32_e32 v6, 0
	v_mov_b32_e32 v9, 0
	v_mov_b32_e32 v8, 0
	v_mov_b32_e32 v4, 0
	v_mov_b32_e32 v5, 0
	s_and_saveexec_b64 s[14:15], vcc
	s_cbranch_execz .LBB1883_173
; %bb.162:
	v_add_u32_e32 v2, 7, v18
	v_cmp_gt_u32_e32 vcc, s33, v2
	v_mov_b32_e32 v3, 0
	v_mov_b32_e32 v2, 0
	;; [unrolled: 1-line block ×7, first 2 shown]
	s_and_saveexec_b64 s[16:17], vcc
	s_cbranch_execz .LBB1883_172
; %bb.163:
	v_add_u32_e32 v2, 8, v18
	v_cmp_gt_u32_e32 vcc, s33, v2
	v_mov_b32_e32 v3, 0
	v_mov_b32_e32 v2, 0
	;; [unrolled: 1-line block ×6, first 2 shown]
	s_and_saveexec_b64 s[18:19], vcc
	s_cbranch_execz .LBB1883_171
; %bb.164:
	v_add_u32_e32 v2, 9, v18
	v_cmp_gt_u32_e32 vcc, s33, v2
	v_mov_b32_e32 v3, 0
	v_mov_b32_e32 v2, 0
	;; [unrolled: 1-line block ×5, first 2 shown]
	s_and_saveexec_b64 s[20:21], vcc
	s_cbranch_execz .LBB1883_170
; %bb.165:
	v_add_u32_e32 v2, 10, v18
	v_cmp_gt_u32_e32 vcc, s33, v2
	v_mov_b32_e32 v3, 0
	v_mov_b32_e32 v2, 0
	;; [unrolled: 1-line block ×4, first 2 shown]
	s_and_saveexec_b64 s[22:23], vcc
	s_cbranch_execz .LBB1883_169
; %bb.166:
	v_add_u32_e32 v2, 11, v18
	v_cmp_gt_u32_e32 vcc, s33, v2
	v_mov_b32_e32 v3, 0
	v_mov_b32_e32 v4, 0
	;; [unrolled: 1-line block ×3, first 2 shown]
	s_and_saveexec_b64 s[24:25], vcc
; %bb.167:
	v_add_u32_e32 v2, 12, v18
	v_cmp_gt_u32_e32 vcc, s33, v2
	v_add_u32_e32 v2, 13, v18
	v_cmp_gt_u32_e64 s[0:1], s33, v2
	v_cndmask_b32_e32 v4, 0, v48, vcc
	s_and_b64 vcc, vcc, s[0:1]
	v_cndmask_b32_e32 v5, 0, v49, vcc
	v_mov_b32_e32 v3, v47
; %bb.168:
	s_or_b64 exec, exec, s[24:25]
	v_mov_b32_e32 v2, v46
.LBB1883_169:
	s_or_b64 exec, exec, s[22:23]
	v_mov_b32_e32 v7, v35
.LBB1883_170:
	s_or_b64 exec, exec, s[20:21]
	v_mov_b32_e32 v6, v34
.LBB1883_171:
	s_or_b64 exec, exec, s[18:19]
	v_mov_b32_e32 v9, v45
.LBB1883_172:
	s_or_b64 exec, exec, s[16:17]
	v_mov_b32_e32 v8, v44
.LBB1883_173:
	s_or_b64 exec, exec, s[14:15]
	v_mov_b32_e32 v11, v31
.LBB1883_174:
	s_or_b64 exec, exec, s[12:13]
	v_mov_b32_e32 v10, v30
.LBB1883_175:
	s_or_b64 exec, exec, s[10:11]
	v_mov_b32_e32 v13, v43
.LBB1883_176:
	s_or_b64 exec, exec, s[8:9]
	v_mov_b32_e32 v12, v42
.LBB1883_177:
	s_or_b64 exec, exec, s[6:7]
	v_mov_b32_e32 v15, v27
.LBB1883_178:
	s_or_b64 exec, exec, s[4:5]
	v_mov_b32_e32 v14, v26
.LBB1883_179:
	s_or_b64 exec, exec, s[2:3]
	v_lshlrev_b32_e32 v19, 2, v18
	s_movk_i32 s0, 0xffcc
	s_barrier
	ds_write2_b64 v19, v[14:15], v[12:13] offset1:1
	ds_write2_b64 v19, v[10:11], v[8:9] offset0:2 offset1:3
	ds_write2_b64 v19, v[6:7], v[2:3] offset0:4 offset1:5
	ds_write_b64 v19, v[4:5] offset:48
	v_mad_i32_i24 v2, v0, s0, v19
	s_waitcnt lgkmcnt(0)
	s_barrier
	ds_read2st64_b32 v[16:17], v2 offset0:4 offset1:8
	ds_read2st64_b32 v[14:15], v2 offset0:12 offset1:16
	;; [unrolled: 1-line block ×6, first 2 shown]
	ds_read_b32 v3, v2 offset:13312
	v_mov_b32_e32 v2, s27
	v_add_co_u32_e32 v6, vcc, s26, v50
	v_addc_co_u32_e32 v7, vcc, 0, v2, vcc
	v_cmp_gt_u32_e32 vcc, s33, v0
	s_and_saveexec_b64 s[0:1], vcc
	s_cbranch_execz .LBB1883_181
; %bb.180:
	v_mul_i32_i24_e32 v2, 0xffffffcc, v0
	v_add_u32_e32 v2, v19, v2
	ds_read_b32 v2, v2
	s_waitcnt lgkmcnt(0)
	flat_store_dword v[6:7], v2
.LBB1883_181:
	s_or_b64 exec, exec, s[0:1]
	v_or_b32_e32 v2, 0x100, v0
	v_cmp_gt_u32_e32 vcc, s33, v2
	s_and_saveexec_b64 s[0:1], vcc
	s_cbranch_execz .LBB1883_183
; %bb.182:
	s_waitcnt lgkmcnt(0)
	flat_store_dword v[6:7], v16 offset:1024
.LBB1883_183:
	s_or_b64 exec, exec, s[0:1]
	v_or_b32_e32 v2, 0x200, v0
	v_cmp_gt_u32_e32 vcc, s33, v2
	s_and_saveexec_b64 s[0:1], vcc
	s_cbranch_execz .LBB1883_185
; %bb.184:
	s_waitcnt lgkmcnt(0)
	flat_store_dword v[6:7], v17 offset:2048
.LBB1883_185:
	;; [unrolled: 9-line block ×3, first 2 shown]
	s_or_b64 exec, exec, s[0:1]
	v_or_b32_e32 v2, 0x400, v0
	v_cmp_gt_u32_e32 vcc, s33, v2
	s_and_saveexec_b64 s[0:1], vcc
	s_cbranch_execz .LBB1883_189
; %bb.188:
	s_waitcnt lgkmcnt(0)
	v_add_co_u32_e32 v16, vcc, 0x1000, v6
	v_addc_co_u32_e32 v17, vcc, 0, v7, vcc
	flat_store_dword v[16:17], v15
.LBB1883_189:
	s_or_b64 exec, exec, s[0:1]
	v_or_b32_e32 v2, 0x500, v0
	v_cmp_gt_u32_e32 vcc, s33, v2
	s_and_saveexec_b64 s[0:1], vcc
	s_cbranch_execz .LBB1883_191
; %bb.190:
	s_waitcnt lgkmcnt(0)
	v_add_co_u32_e32 v14, vcc, 0x1000, v6
	v_addc_co_u32_e32 v15, vcc, 0, v7, vcc
	flat_store_dword v[14:15], v12 offset:1024
.LBB1883_191:
	s_or_b64 exec, exec, s[0:1]
	v_or_b32_e32 v2, 0x600, v0
	v_cmp_gt_u32_e32 vcc, s33, v2
	s_and_saveexec_b64 s[0:1], vcc
	s_cbranch_execz .LBB1883_193
; %bb.192:
	s_waitcnt lgkmcnt(0)
	v_add_co_u32_e32 v14, vcc, 0x1000, v6
	v_addc_co_u32_e32 v15, vcc, 0, v7, vcc
	flat_store_dword v[14:15], v13 offset:2048
.LBB1883_193:
	;; [unrolled: 11-line block ×3, first 2 shown]
	s_or_b64 exec, exec, s[0:1]
	v_or_b32_e32 v2, 0x800, v0
	v_cmp_gt_u32_e32 vcc, s33, v2
	s_and_saveexec_b64 s[0:1], vcc
	s_cbranch_execz .LBB1883_197
; %bb.196:
	s_waitcnt lgkmcnt(0)
	v_add_co_u32_e32 v12, vcc, 0x2000, v6
	v_addc_co_u32_e32 v13, vcc, 0, v7, vcc
	flat_store_dword v[12:13], v11
.LBB1883_197:
	s_or_b64 exec, exec, s[0:1]
	v_or_b32_e32 v2, 0x900, v0
	v_cmp_gt_u32_e32 vcc, s33, v2
	s_and_saveexec_b64 s[0:1], vcc
	s_cbranch_execz .LBB1883_199
; %bb.198:
	s_waitcnt lgkmcnt(0)
	v_add_co_u32_e32 v10, vcc, 0x2000, v6
	v_addc_co_u32_e32 v11, vcc, 0, v7, vcc
	flat_store_dword v[10:11], v8 offset:1024
.LBB1883_199:
	s_or_b64 exec, exec, s[0:1]
	v_or_b32_e32 v2, 0xa00, v0
	v_cmp_gt_u32_e32 vcc, s33, v2
	s_and_saveexec_b64 s[0:1], vcc
	s_cbranch_execz .LBB1883_201
; %bb.200:
	s_waitcnt lgkmcnt(0)
	v_add_co_u32_e32 v10, vcc, 0x2000, v6
	v_addc_co_u32_e32 v11, vcc, 0, v7, vcc
	flat_store_dword v[10:11], v9 offset:2048
.LBB1883_201:
	s_or_b64 exec, exec, s[0:1]
	v_or_b32_e32 v2, 0xb00, v0
	v_cmp_gt_u32_e32 vcc, s33, v2
	s_and_saveexec_b64 s[0:1], vcc
	s_cbranch_execz .LBB1883_203
; %bb.202:
	s_waitcnt lgkmcnt(0)
	v_add_co_u32_e32 v8, vcc, 0x2000, v6
	v_addc_co_u32_e32 v9, vcc, 0, v7, vcc
	flat_store_dword v[8:9], v4 offset:3072
.LBB1883_203:
	s_or_b64 exec, exec, s[0:1]
	v_or_b32_e32 v2, 0xc00, v0
	v_cmp_gt_u32_e32 vcc, s33, v2
	s_and_saveexec_b64 s[0:1], vcc
	s_cbranch_execz .LBB1883_205
; %bb.204:
	v_add_co_u32_e32 v6, vcc, 0x3000, v6
	v_addc_co_u32_e32 v7, vcc, 0, v7, vcc
	s_waitcnt lgkmcnt(0)
	flat_store_dword v[6:7], v5
.LBB1883_205:
	s_or_b64 exec, exec, s[0:1]
	v_or_b32_e32 v2, 0xd00, v0
	v_cmp_gt_u32_e64 s[0:1], s33, v2
	s_branch .LBB1883_208
.LBB1883_206:
	s_mov_b64 s[0:1], 0
                                        ; implicit-def: $vgpr3
	s_cbranch_execz .LBB1883_208
; %bb.207:
	v_lshlrev_b32_e32 v2, 2, v18
	s_movk_i32 s2, 0xffcc
	s_waitcnt lgkmcnt(0)
	s_barrier
	ds_write2_b64 v2, v[26:27], v[42:43] offset1:1
	ds_write2_b64 v2, v[30:31], v[44:45] offset0:2 offset1:3
	ds_write2_b64 v2, v[34:35], v[46:47] offset0:4 offset1:5
	ds_write_b64 v2, v[48:49] offset:48
	v_mad_i32_i24 v2, v0, s2, v2
	v_mov_b32_e32 v17, s27
	v_add_co_u32_e32 v16, vcc, s26, v50
	s_waitcnt lgkmcnt(0)
	s_barrier
	ds_read2st64_b32 v[4:5], v2 offset1:4
	ds_read2st64_b32 v[6:7], v2 offset0:8 offset1:12
	ds_read2st64_b32 v[8:9], v2 offset0:16 offset1:20
	;; [unrolled: 1-line block ×6, first 2 shown]
	v_addc_co_u32_e32 v17, vcc, 0, v17, vcc
	s_movk_i32 s2, 0x1000
	s_waitcnt lgkmcnt(0)
	flat_store_dword v[16:17], v4
	flat_store_dword v[16:17], v5 offset:1024
	flat_store_dword v[16:17], v6 offset:2048
	;; [unrolled: 1-line block ×3, first 2 shown]
	v_add_co_u32_e32 v4, vcc, s2, v16
	v_addc_co_u32_e32 v5, vcc, 0, v17, vcc
	flat_store_dword v[4:5], v8
	flat_store_dword v[4:5], v9 offset:1024
	flat_store_dword v[4:5], v10 offset:2048
	;; [unrolled: 1-line block ×3, first 2 shown]
	v_add_co_u32_e32 v4, vcc, 0x2000, v16
	v_addc_co_u32_e32 v5, vcc, 0, v17, vcc
	flat_store_dword v[4:5], v12
	flat_store_dword v[4:5], v13 offset:1024
	flat_store_dword v[4:5], v14 offset:2048
	;; [unrolled: 1-line block ×3, first 2 shown]
	v_add_co_u32_e32 v4, vcc, 0x3000, v16
	v_mov_b32_e32 v1, 0
	v_addc_co_u32_e32 v5, vcc, 0, v17, vcc
	s_or_b64 s[0:1], s[0:1], exec
	flat_store_dword v[4:5], v2
.LBB1883_208:
	s_and_saveexec_b64 s[2:3], s[0:1]
	s_cbranch_execnz .LBB1883_210
; %bb.209:
	s_endpgm
.LBB1883_210:
	s_waitcnt lgkmcnt(0)
	v_lshlrev_b64 v[0:1], 2, v[0:1]
	v_mov_b32_e32 v2, s27
	v_add_co_u32_e32 v0, vcc, s26, v0
	v_addc_co_u32_e32 v1, vcc, v2, v1, vcc
	v_add_co_u32_e32 v0, vcc, 0x3000, v0
	v_addc_co_u32_e32 v1, vcc, 0, v1, vcc
	flat_store_dword v[0:1], v3 offset:1024
	s_endpgm
.LBB1883_211:
                                        ; implicit-def: $sgpr4_sgpr5
	s_branch .LBB1883_36
.LBB1883_212:
                                        ; implicit-def: $sgpr4_sgpr5
	s_branch .LBB1883_98
	.section	.rodata,"a",@progbits
	.p2align	6, 0x0
	.amdhsa_kernel _ZN7rocprim17ROCPRIM_400000_NS6detail17trampoline_kernelINS0_14default_configENS1_27scan_by_key_config_selectorIj11FixedVectorIiLj1EEEEZZNS1_16scan_by_key_implILNS1_25lookback_scan_determinismE0ELb0ES3_N6thrust23THRUST_200600_302600_NS6detail15normal_iteratorINSB_10device_ptrIjEEEENSD_INSE_IS6_EEEESI_S6_NSB_4plusIvEENSB_8equal_toIvEES6_EE10hipError_tPvRmT2_T3_T4_T5_mT6_T7_P12ihipStream_tbENKUlT_T0_E_clISt17integral_constantIbLb1EES13_EEDaSY_SZ_EUlSY_E_NS1_11comp_targetILNS1_3genE4ELNS1_11target_archE910ELNS1_3gpuE8ELNS1_3repE0EEENS1_30default_config_static_selectorELNS0_4arch9wavefront6targetE1EEEvT1_
		.amdhsa_group_segment_fixed_size 16384
		.amdhsa_private_segment_fixed_size 0
		.amdhsa_kernarg_size 112
		.amdhsa_user_sgpr_count 6
		.amdhsa_user_sgpr_private_segment_buffer 1
		.amdhsa_user_sgpr_dispatch_ptr 0
		.amdhsa_user_sgpr_queue_ptr 0
		.amdhsa_user_sgpr_kernarg_segment_ptr 1
		.amdhsa_user_sgpr_dispatch_id 0
		.amdhsa_user_sgpr_flat_scratch_init 0
		.amdhsa_user_sgpr_kernarg_preload_length 0
		.amdhsa_user_sgpr_kernarg_preload_offset 0
		.amdhsa_user_sgpr_private_segment_size 0
		.amdhsa_uses_dynamic_stack 0
		.amdhsa_system_sgpr_private_segment_wavefront_offset 0
		.amdhsa_system_sgpr_workgroup_id_x 1
		.amdhsa_system_sgpr_workgroup_id_y 0
		.amdhsa_system_sgpr_workgroup_id_z 0
		.amdhsa_system_sgpr_workgroup_info 0
		.amdhsa_system_vgpr_workitem_id 0
		.amdhsa_next_free_vgpr 65
		.amdhsa_next_free_sgpr 65
		.amdhsa_accum_offset 68
		.amdhsa_reserve_vcc 1
		.amdhsa_reserve_flat_scratch 0
		.amdhsa_float_round_mode_32 0
		.amdhsa_float_round_mode_16_64 0
		.amdhsa_float_denorm_mode_32 3
		.amdhsa_float_denorm_mode_16_64 3
		.amdhsa_dx10_clamp 1
		.amdhsa_ieee_mode 1
		.amdhsa_fp16_overflow 0
		.amdhsa_tg_split 0
		.amdhsa_exception_fp_ieee_invalid_op 0
		.amdhsa_exception_fp_denorm_src 0
		.amdhsa_exception_fp_ieee_div_zero 0
		.amdhsa_exception_fp_ieee_overflow 0
		.amdhsa_exception_fp_ieee_underflow 0
		.amdhsa_exception_fp_ieee_inexact 0
		.amdhsa_exception_int_div_zero 0
	.end_amdhsa_kernel
	.section	.text._ZN7rocprim17ROCPRIM_400000_NS6detail17trampoline_kernelINS0_14default_configENS1_27scan_by_key_config_selectorIj11FixedVectorIiLj1EEEEZZNS1_16scan_by_key_implILNS1_25lookback_scan_determinismE0ELb0ES3_N6thrust23THRUST_200600_302600_NS6detail15normal_iteratorINSB_10device_ptrIjEEEENSD_INSE_IS6_EEEESI_S6_NSB_4plusIvEENSB_8equal_toIvEES6_EE10hipError_tPvRmT2_T3_T4_T5_mT6_T7_P12ihipStream_tbENKUlT_T0_E_clISt17integral_constantIbLb1EES13_EEDaSY_SZ_EUlSY_E_NS1_11comp_targetILNS1_3genE4ELNS1_11target_archE910ELNS1_3gpuE8ELNS1_3repE0EEENS1_30default_config_static_selectorELNS0_4arch9wavefront6targetE1EEEvT1_,"axG",@progbits,_ZN7rocprim17ROCPRIM_400000_NS6detail17trampoline_kernelINS0_14default_configENS1_27scan_by_key_config_selectorIj11FixedVectorIiLj1EEEEZZNS1_16scan_by_key_implILNS1_25lookback_scan_determinismE0ELb0ES3_N6thrust23THRUST_200600_302600_NS6detail15normal_iteratorINSB_10device_ptrIjEEEENSD_INSE_IS6_EEEESI_S6_NSB_4plusIvEENSB_8equal_toIvEES6_EE10hipError_tPvRmT2_T3_T4_T5_mT6_T7_P12ihipStream_tbENKUlT_T0_E_clISt17integral_constantIbLb1EES13_EEDaSY_SZ_EUlSY_E_NS1_11comp_targetILNS1_3genE4ELNS1_11target_archE910ELNS1_3gpuE8ELNS1_3repE0EEENS1_30default_config_static_selectorELNS0_4arch9wavefront6targetE1EEEvT1_,comdat
.Lfunc_end1883:
	.size	_ZN7rocprim17ROCPRIM_400000_NS6detail17trampoline_kernelINS0_14default_configENS1_27scan_by_key_config_selectorIj11FixedVectorIiLj1EEEEZZNS1_16scan_by_key_implILNS1_25lookback_scan_determinismE0ELb0ES3_N6thrust23THRUST_200600_302600_NS6detail15normal_iteratorINSB_10device_ptrIjEEEENSD_INSE_IS6_EEEESI_S6_NSB_4plusIvEENSB_8equal_toIvEES6_EE10hipError_tPvRmT2_T3_T4_T5_mT6_T7_P12ihipStream_tbENKUlT_T0_E_clISt17integral_constantIbLb1EES13_EEDaSY_SZ_EUlSY_E_NS1_11comp_targetILNS1_3genE4ELNS1_11target_archE910ELNS1_3gpuE8ELNS1_3repE0EEENS1_30default_config_static_selectorELNS0_4arch9wavefront6targetE1EEEvT1_, .Lfunc_end1883-_ZN7rocprim17ROCPRIM_400000_NS6detail17trampoline_kernelINS0_14default_configENS1_27scan_by_key_config_selectorIj11FixedVectorIiLj1EEEEZZNS1_16scan_by_key_implILNS1_25lookback_scan_determinismE0ELb0ES3_N6thrust23THRUST_200600_302600_NS6detail15normal_iteratorINSB_10device_ptrIjEEEENSD_INSE_IS6_EEEESI_S6_NSB_4plusIvEENSB_8equal_toIvEES6_EE10hipError_tPvRmT2_T3_T4_T5_mT6_T7_P12ihipStream_tbENKUlT_T0_E_clISt17integral_constantIbLb1EES13_EEDaSY_SZ_EUlSY_E_NS1_11comp_targetILNS1_3genE4ELNS1_11target_archE910ELNS1_3gpuE8ELNS1_3repE0EEENS1_30default_config_static_selectorELNS0_4arch9wavefront6targetE1EEEvT1_
                                        ; -- End function
	.section	.AMDGPU.csdata,"",@progbits
; Kernel info:
; codeLenInByte = 11804
; NumSgprs: 69
; NumVgprs: 65
; NumAgprs: 0
; TotalNumVgprs: 65
; ScratchSize: 0
; MemoryBound: 0
; FloatMode: 240
; IeeeMode: 1
; LDSByteSize: 16384 bytes/workgroup (compile time only)
; SGPRBlocks: 8
; VGPRBlocks: 8
; NumSGPRsForWavesPerEU: 69
; NumVGPRsForWavesPerEU: 65
; AccumOffset: 68
; Occupancy: 4
; WaveLimiterHint : 1
; COMPUTE_PGM_RSRC2:SCRATCH_EN: 0
; COMPUTE_PGM_RSRC2:USER_SGPR: 6
; COMPUTE_PGM_RSRC2:TRAP_HANDLER: 0
; COMPUTE_PGM_RSRC2:TGID_X_EN: 1
; COMPUTE_PGM_RSRC2:TGID_Y_EN: 0
; COMPUTE_PGM_RSRC2:TGID_Z_EN: 0
; COMPUTE_PGM_RSRC2:TIDIG_COMP_CNT: 0
; COMPUTE_PGM_RSRC3_GFX90A:ACCUM_OFFSET: 16
; COMPUTE_PGM_RSRC3_GFX90A:TG_SPLIT: 0
	.section	.text._ZN7rocprim17ROCPRIM_400000_NS6detail17trampoline_kernelINS0_14default_configENS1_27scan_by_key_config_selectorIj11FixedVectorIiLj1EEEEZZNS1_16scan_by_key_implILNS1_25lookback_scan_determinismE0ELb0ES3_N6thrust23THRUST_200600_302600_NS6detail15normal_iteratorINSB_10device_ptrIjEEEENSD_INSE_IS6_EEEESI_S6_NSB_4plusIvEENSB_8equal_toIvEES6_EE10hipError_tPvRmT2_T3_T4_T5_mT6_T7_P12ihipStream_tbENKUlT_T0_E_clISt17integral_constantIbLb1EES13_EEDaSY_SZ_EUlSY_E_NS1_11comp_targetILNS1_3genE3ELNS1_11target_archE908ELNS1_3gpuE7ELNS1_3repE0EEENS1_30default_config_static_selectorELNS0_4arch9wavefront6targetE1EEEvT1_,"axG",@progbits,_ZN7rocprim17ROCPRIM_400000_NS6detail17trampoline_kernelINS0_14default_configENS1_27scan_by_key_config_selectorIj11FixedVectorIiLj1EEEEZZNS1_16scan_by_key_implILNS1_25lookback_scan_determinismE0ELb0ES3_N6thrust23THRUST_200600_302600_NS6detail15normal_iteratorINSB_10device_ptrIjEEEENSD_INSE_IS6_EEEESI_S6_NSB_4plusIvEENSB_8equal_toIvEES6_EE10hipError_tPvRmT2_T3_T4_T5_mT6_T7_P12ihipStream_tbENKUlT_T0_E_clISt17integral_constantIbLb1EES13_EEDaSY_SZ_EUlSY_E_NS1_11comp_targetILNS1_3genE3ELNS1_11target_archE908ELNS1_3gpuE7ELNS1_3repE0EEENS1_30default_config_static_selectorELNS0_4arch9wavefront6targetE1EEEvT1_,comdat
	.protected	_ZN7rocprim17ROCPRIM_400000_NS6detail17trampoline_kernelINS0_14default_configENS1_27scan_by_key_config_selectorIj11FixedVectorIiLj1EEEEZZNS1_16scan_by_key_implILNS1_25lookback_scan_determinismE0ELb0ES3_N6thrust23THRUST_200600_302600_NS6detail15normal_iteratorINSB_10device_ptrIjEEEENSD_INSE_IS6_EEEESI_S6_NSB_4plusIvEENSB_8equal_toIvEES6_EE10hipError_tPvRmT2_T3_T4_T5_mT6_T7_P12ihipStream_tbENKUlT_T0_E_clISt17integral_constantIbLb1EES13_EEDaSY_SZ_EUlSY_E_NS1_11comp_targetILNS1_3genE3ELNS1_11target_archE908ELNS1_3gpuE7ELNS1_3repE0EEENS1_30default_config_static_selectorELNS0_4arch9wavefront6targetE1EEEvT1_ ; -- Begin function _ZN7rocprim17ROCPRIM_400000_NS6detail17trampoline_kernelINS0_14default_configENS1_27scan_by_key_config_selectorIj11FixedVectorIiLj1EEEEZZNS1_16scan_by_key_implILNS1_25lookback_scan_determinismE0ELb0ES3_N6thrust23THRUST_200600_302600_NS6detail15normal_iteratorINSB_10device_ptrIjEEEENSD_INSE_IS6_EEEESI_S6_NSB_4plusIvEENSB_8equal_toIvEES6_EE10hipError_tPvRmT2_T3_T4_T5_mT6_T7_P12ihipStream_tbENKUlT_T0_E_clISt17integral_constantIbLb1EES13_EEDaSY_SZ_EUlSY_E_NS1_11comp_targetILNS1_3genE3ELNS1_11target_archE908ELNS1_3gpuE7ELNS1_3repE0EEENS1_30default_config_static_selectorELNS0_4arch9wavefront6targetE1EEEvT1_
	.globl	_ZN7rocprim17ROCPRIM_400000_NS6detail17trampoline_kernelINS0_14default_configENS1_27scan_by_key_config_selectorIj11FixedVectorIiLj1EEEEZZNS1_16scan_by_key_implILNS1_25lookback_scan_determinismE0ELb0ES3_N6thrust23THRUST_200600_302600_NS6detail15normal_iteratorINSB_10device_ptrIjEEEENSD_INSE_IS6_EEEESI_S6_NSB_4plusIvEENSB_8equal_toIvEES6_EE10hipError_tPvRmT2_T3_T4_T5_mT6_T7_P12ihipStream_tbENKUlT_T0_E_clISt17integral_constantIbLb1EES13_EEDaSY_SZ_EUlSY_E_NS1_11comp_targetILNS1_3genE3ELNS1_11target_archE908ELNS1_3gpuE7ELNS1_3repE0EEENS1_30default_config_static_selectorELNS0_4arch9wavefront6targetE1EEEvT1_
	.p2align	8
	.type	_ZN7rocprim17ROCPRIM_400000_NS6detail17trampoline_kernelINS0_14default_configENS1_27scan_by_key_config_selectorIj11FixedVectorIiLj1EEEEZZNS1_16scan_by_key_implILNS1_25lookback_scan_determinismE0ELb0ES3_N6thrust23THRUST_200600_302600_NS6detail15normal_iteratorINSB_10device_ptrIjEEEENSD_INSE_IS6_EEEESI_S6_NSB_4plusIvEENSB_8equal_toIvEES6_EE10hipError_tPvRmT2_T3_T4_T5_mT6_T7_P12ihipStream_tbENKUlT_T0_E_clISt17integral_constantIbLb1EES13_EEDaSY_SZ_EUlSY_E_NS1_11comp_targetILNS1_3genE3ELNS1_11target_archE908ELNS1_3gpuE7ELNS1_3repE0EEENS1_30default_config_static_selectorELNS0_4arch9wavefront6targetE1EEEvT1_,@function
_ZN7rocprim17ROCPRIM_400000_NS6detail17trampoline_kernelINS0_14default_configENS1_27scan_by_key_config_selectorIj11FixedVectorIiLj1EEEEZZNS1_16scan_by_key_implILNS1_25lookback_scan_determinismE0ELb0ES3_N6thrust23THRUST_200600_302600_NS6detail15normal_iteratorINSB_10device_ptrIjEEEENSD_INSE_IS6_EEEESI_S6_NSB_4plusIvEENSB_8equal_toIvEES6_EE10hipError_tPvRmT2_T3_T4_T5_mT6_T7_P12ihipStream_tbENKUlT_T0_E_clISt17integral_constantIbLb1EES13_EEDaSY_SZ_EUlSY_E_NS1_11comp_targetILNS1_3genE3ELNS1_11target_archE908ELNS1_3gpuE7ELNS1_3repE0EEENS1_30default_config_static_selectorELNS0_4arch9wavefront6targetE1EEEvT1_: ; @_ZN7rocprim17ROCPRIM_400000_NS6detail17trampoline_kernelINS0_14default_configENS1_27scan_by_key_config_selectorIj11FixedVectorIiLj1EEEEZZNS1_16scan_by_key_implILNS1_25lookback_scan_determinismE0ELb0ES3_N6thrust23THRUST_200600_302600_NS6detail15normal_iteratorINSB_10device_ptrIjEEEENSD_INSE_IS6_EEEESI_S6_NSB_4plusIvEENSB_8equal_toIvEES6_EE10hipError_tPvRmT2_T3_T4_T5_mT6_T7_P12ihipStream_tbENKUlT_T0_E_clISt17integral_constantIbLb1EES13_EEDaSY_SZ_EUlSY_E_NS1_11comp_targetILNS1_3genE3ELNS1_11target_archE908ELNS1_3gpuE7ELNS1_3repE0EEENS1_30default_config_static_selectorELNS0_4arch9wavefront6targetE1EEEvT1_
; %bb.0:
	.section	.rodata,"a",@progbits
	.p2align	6, 0x0
	.amdhsa_kernel _ZN7rocprim17ROCPRIM_400000_NS6detail17trampoline_kernelINS0_14default_configENS1_27scan_by_key_config_selectorIj11FixedVectorIiLj1EEEEZZNS1_16scan_by_key_implILNS1_25lookback_scan_determinismE0ELb0ES3_N6thrust23THRUST_200600_302600_NS6detail15normal_iteratorINSB_10device_ptrIjEEEENSD_INSE_IS6_EEEESI_S6_NSB_4plusIvEENSB_8equal_toIvEES6_EE10hipError_tPvRmT2_T3_T4_T5_mT6_T7_P12ihipStream_tbENKUlT_T0_E_clISt17integral_constantIbLb1EES13_EEDaSY_SZ_EUlSY_E_NS1_11comp_targetILNS1_3genE3ELNS1_11target_archE908ELNS1_3gpuE7ELNS1_3repE0EEENS1_30default_config_static_selectorELNS0_4arch9wavefront6targetE1EEEvT1_
		.amdhsa_group_segment_fixed_size 0
		.amdhsa_private_segment_fixed_size 0
		.amdhsa_kernarg_size 112
		.amdhsa_user_sgpr_count 6
		.amdhsa_user_sgpr_private_segment_buffer 1
		.amdhsa_user_sgpr_dispatch_ptr 0
		.amdhsa_user_sgpr_queue_ptr 0
		.amdhsa_user_sgpr_kernarg_segment_ptr 1
		.amdhsa_user_sgpr_dispatch_id 0
		.amdhsa_user_sgpr_flat_scratch_init 0
		.amdhsa_user_sgpr_kernarg_preload_length 0
		.amdhsa_user_sgpr_kernarg_preload_offset 0
		.amdhsa_user_sgpr_private_segment_size 0
		.amdhsa_uses_dynamic_stack 0
		.amdhsa_system_sgpr_private_segment_wavefront_offset 0
		.amdhsa_system_sgpr_workgroup_id_x 1
		.amdhsa_system_sgpr_workgroup_id_y 0
		.amdhsa_system_sgpr_workgroup_id_z 0
		.amdhsa_system_sgpr_workgroup_info 0
		.amdhsa_system_vgpr_workitem_id 0
		.amdhsa_next_free_vgpr 1
		.amdhsa_next_free_sgpr 0
		.amdhsa_accum_offset 4
		.amdhsa_reserve_vcc 0
		.amdhsa_reserve_flat_scratch 0
		.amdhsa_float_round_mode_32 0
		.amdhsa_float_round_mode_16_64 0
		.amdhsa_float_denorm_mode_32 3
		.amdhsa_float_denorm_mode_16_64 3
		.amdhsa_dx10_clamp 1
		.amdhsa_ieee_mode 1
		.amdhsa_fp16_overflow 0
		.amdhsa_tg_split 0
		.amdhsa_exception_fp_ieee_invalid_op 0
		.amdhsa_exception_fp_denorm_src 0
		.amdhsa_exception_fp_ieee_div_zero 0
		.amdhsa_exception_fp_ieee_overflow 0
		.amdhsa_exception_fp_ieee_underflow 0
		.amdhsa_exception_fp_ieee_inexact 0
		.amdhsa_exception_int_div_zero 0
	.end_amdhsa_kernel
	.section	.text._ZN7rocprim17ROCPRIM_400000_NS6detail17trampoline_kernelINS0_14default_configENS1_27scan_by_key_config_selectorIj11FixedVectorIiLj1EEEEZZNS1_16scan_by_key_implILNS1_25lookback_scan_determinismE0ELb0ES3_N6thrust23THRUST_200600_302600_NS6detail15normal_iteratorINSB_10device_ptrIjEEEENSD_INSE_IS6_EEEESI_S6_NSB_4plusIvEENSB_8equal_toIvEES6_EE10hipError_tPvRmT2_T3_T4_T5_mT6_T7_P12ihipStream_tbENKUlT_T0_E_clISt17integral_constantIbLb1EES13_EEDaSY_SZ_EUlSY_E_NS1_11comp_targetILNS1_3genE3ELNS1_11target_archE908ELNS1_3gpuE7ELNS1_3repE0EEENS1_30default_config_static_selectorELNS0_4arch9wavefront6targetE1EEEvT1_,"axG",@progbits,_ZN7rocprim17ROCPRIM_400000_NS6detail17trampoline_kernelINS0_14default_configENS1_27scan_by_key_config_selectorIj11FixedVectorIiLj1EEEEZZNS1_16scan_by_key_implILNS1_25lookback_scan_determinismE0ELb0ES3_N6thrust23THRUST_200600_302600_NS6detail15normal_iteratorINSB_10device_ptrIjEEEENSD_INSE_IS6_EEEESI_S6_NSB_4plusIvEENSB_8equal_toIvEES6_EE10hipError_tPvRmT2_T3_T4_T5_mT6_T7_P12ihipStream_tbENKUlT_T0_E_clISt17integral_constantIbLb1EES13_EEDaSY_SZ_EUlSY_E_NS1_11comp_targetILNS1_3genE3ELNS1_11target_archE908ELNS1_3gpuE7ELNS1_3repE0EEENS1_30default_config_static_selectorELNS0_4arch9wavefront6targetE1EEEvT1_,comdat
.Lfunc_end1884:
	.size	_ZN7rocprim17ROCPRIM_400000_NS6detail17trampoline_kernelINS0_14default_configENS1_27scan_by_key_config_selectorIj11FixedVectorIiLj1EEEEZZNS1_16scan_by_key_implILNS1_25lookback_scan_determinismE0ELb0ES3_N6thrust23THRUST_200600_302600_NS6detail15normal_iteratorINSB_10device_ptrIjEEEENSD_INSE_IS6_EEEESI_S6_NSB_4plusIvEENSB_8equal_toIvEES6_EE10hipError_tPvRmT2_T3_T4_T5_mT6_T7_P12ihipStream_tbENKUlT_T0_E_clISt17integral_constantIbLb1EES13_EEDaSY_SZ_EUlSY_E_NS1_11comp_targetILNS1_3genE3ELNS1_11target_archE908ELNS1_3gpuE7ELNS1_3repE0EEENS1_30default_config_static_selectorELNS0_4arch9wavefront6targetE1EEEvT1_, .Lfunc_end1884-_ZN7rocprim17ROCPRIM_400000_NS6detail17trampoline_kernelINS0_14default_configENS1_27scan_by_key_config_selectorIj11FixedVectorIiLj1EEEEZZNS1_16scan_by_key_implILNS1_25lookback_scan_determinismE0ELb0ES3_N6thrust23THRUST_200600_302600_NS6detail15normal_iteratorINSB_10device_ptrIjEEEENSD_INSE_IS6_EEEESI_S6_NSB_4plusIvEENSB_8equal_toIvEES6_EE10hipError_tPvRmT2_T3_T4_T5_mT6_T7_P12ihipStream_tbENKUlT_T0_E_clISt17integral_constantIbLb1EES13_EEDaSY_SZ_EUlSY_E_NS1_11comp_targetILNS1_3genE3ELNS1_11target_archE908ELNS1_3gpuE7ELNS1_3repE0EEENS1_30default_config_static_selectorELNS0_4arch9wavefront6targetE1EEEvT1_
                                        ; -- End function
	.section	.AMDGPU.csdata,"",@progbits
; Kernel info:
; codeLenInByte = 0
; NumSgprs: 4
; NumVgprs: 0
; NumAgprs: 0
; TotalNumVgprs: 0
; ScratchSize: 0
; MemoryBound: 0
; FloatMode: 240
; IeeeMode: 1
; LDSByteSize: 0 bytes/workgroup (compile time only)
; SGPRBlocks: 0
; VGPRBlocks: 0
; NumSGPRsForWavesPerEU: 4
; NumVGPRsForWavesPerEU: 1
; AccumOffset: 4
; Occupancy: 8
; WaveLimiterHint : 0
; COMPUTE_PGM_RSRC2:SCRATCH_EN: 0
; COMPUTE_PGM_RSRC2:USER_SGPR: 6
; COMPUTE_PGM_RSRC2:TRAP_HANDLER: 0
; COMPUTE_PGM_RSRC2:TGID_X_EN: 1
; COMPUTE_PGM_RSRC2:TGID_Y_EN: 0
; COMPUTE_PGM_RSRC2:TGID_Z_EN: 0
; COMPUTE_PGM_RSRC2:TIDIG_COMP_CNT: 0
; COMPUTE_PGM_RSRC3_GFX90A:ACCUM_OFFSET: 0
; COMPUTE_PGM_RSRC3_GFX90A:TG_SPLIT: 0
	.section	.text._ZN7rocprim17ROCPRIM_400000_NS6detail17trampoline_kernelINS0_14default_configENS1_27scan_by_key_config_selectorIj11FixedVectorIiLj1EEEEZZNS1_16scan_by_key_implILNS1_25lookback_scan_determinismE0ELb0ES3_N6thrust23THRUST_200600_302600_NS6detail15normal_iteratorINSB_10device_ptrIjEEEENSD_INSE_IS6_EEEESI_S6_NSB_4plusIvEENSB_8equal_toIvEES6_EE10hipError_tPvRmT2_T3_T4_T5_mT6_T7_P12ihipStream_tbENKUlT_T0_E_clISt17integral_constantIbLb1EES13_EEDaSY_SZ_EUlSY_E_NS1_11comp_targetILNS1_3genE2ELNS1_11target_archE906ELNS1_3gpuE6ELNS1_3repE0EEENS1_30default_config_static_selectorELNS0_4arch9wavefront6targetE1EEEvT1_,"axG",@progbits,_ZN7rocprim17ROCPRIM_400000_NS6detail17trampoline_kernelINS0_14default_configENS1_27scan_by_key_config_selectorIj11FixedVectorIiLj1EEEEZZNS1_16scan_by_key_implILNS1_25lookback_scan_determinismE0ELb0ES3_N6thrust23THRUST_200600_302600_NS6detail15normal_iteratorINSB_10device_ptrIjEEEENSD_INSE_IS6_EEEESI_S6_NSB_4plusIvEENSB_8equal_toIvEES6_EE10hipError_tPvRmT2_T3_T4_T5_mT6_T7_P12ihipStream_tbENKUlT_T0_E_clISt17integral_constantIbLb1EES13_EEDaSY_SZ_EUlSY_E_NS1_11comp_targetILNS1_3genE2ELNS1_11target_archE906ELNS1_3gpuE6ELNS1_3repE0EEENS1_30default_config_static_selectorELNS0_4arch9wavefront6targetE1EEEvT1_,comdat
	.protected	_ZN7rocprim17ROCPRIM_400000_NS6detail17trampoline_kernelINS0_14default_configENS1_27scan_by_key_config_selectorIj11FixedVectorIiLj1EEEEZZNS1_16scan_by_key_implILNS1_25lookback_scan_determinismE0ELb0ES3_N6thrust23THRUST_200600_302600_NS6detail15normal_iteratorINSB_10device_ptrIjEEEENSD_INSE_IS6_EEEESI_S6_NSB_4plusIvEENSB_8equal_toIvEES6_EE10hipError_tPvRmT2_T3_T4_T5_mT6_T7_P12ihipStream_tbENKUlT_T0_E_clISt17integral_constantIbLb1EES13_EEDaSY_SZ_EUlSY_E_NS1_11comp_targetILNS1_3genE2ELNS1_11target_archE906ELNS1_3gpuE6ELNS1_3repE0EEENS1_30default_config_static_selectorELNS0_4arch9wavefront6targetE1EEEvT1_ ; -- Begin function _ZN7rocprim17ROCPRIM_400000_NS6detail17trampoline_kernelINS0_14default_configENS1_27scan_by_key_config_selectorIj11FixedVectorIiLj1EEEEZZNS1_16scan_by_key_implILNS1_25lookback_scan_determinismE0ELb0ES3_N6thrust23THRUST_200600_302600_NS6detail15normal_iteratorINSB_10device_ptrIjEEEENSD_INSE_IS6_EEEESI_S6_NSB_4plusIvEENSB_8equal_toIvEES6_EE10hipError_tPvRmT2_T3_T4_T5_mT6_T7_P12ihipStream_tbENKUlT_T0_E_clISt17integral_constantIbLb1EES13_EEDaSY_SZ_EUlSY_E_NS1_11comp_targetILNS1_3genE2ELNS1_11target_archE906ELNS1_3gpuE6ELNS1_3repE0EEENS1_30default_config_static_selectorELNS0_4arch9wavefront6targetE1EEEvT1_
	.globl	_ZN7rocprim17ROCPRIM_400000_NS6detail17trampoline_kernelINS0_14default_configENS1_27scan_by_key_config_selectorIj11FixedVectorIiLj1EEEEZZNS1_16scan_by_key_implILNS1_25lookback_scan_determinismE0ELb0ES3_N6thrust23THRUST_200600_302600_NS6detail15normal_iteratorINSB_10device_ptrIjEEEENSD_INSE_IS6_EEEESI_S6_NSB_4plusIvEENSB_8equal_toIvEES6_EE10hipError_tPvRmT2_T3_T4_T5_mT6_T7_P12ihipStream_tbENKUlT_T0_E_clISt17integral_constantIbLb1EES13_EEDaSY_SZ_EUlSY_E_NS1_11comp_targetILNS1_3genE2ELNS1_11target_archE906ELNS1_3gpuE6ELNS1_3repE0EEENS1_30default_config_static_selectorELNS0_4arch9wavefront6targetE1EEEvT1_
	.p2align	8
	.type	_ZN7rocprim17ROCPRIM_400000_NS6detail17trampoline_kernelINS0_14default_configENS1_27scan_by_key_config_selectorIj11FixedVectorIiLj1EEEEZZNS1_16scan_by_key_implILNS1_25lookback_scan_determinismE0ELb0ES3_N6thrust23THRUST_200600_302600_NS6detail15normal_iteratorINSB_10device_ptrIjEEEENSD_INSE_IS6_EEEESI_S6_NSB_4plusIvEENSB_8equal_toIvEES6_EE10hipError_tPvRmT2_T3_T4_T5_mT6_T7_P12ihipStream_tbENKUlT_T0_E_clISt17integral_constantIbLb1EES13_EEDaSY_SZ_EUlSY_E_NS1_11comp_targetILNS1_3genE2ELNS1_11target_archE906ELNS1_3gpuE6ELNS1_3repE0EEENS1_30default_config_static_selectorELNS0_4arch9wavefront6targetE1EEEvT1_,@function
_ZN7rocprim17ROCPRIM_400000_NS6detail17trampoline_kernelINS0_14default_configENS1_27scan_by_key_config_selectorIj11FixedVectorIiLj1EEEEZZNS1_16scan_by_key_implILNS1_25lookback_scan_determinismE0ELb0ES3_N6thrust23THRUST_200600_302600_NS6detail15normal_iteratorINSB_10device_ptrIjEEEENSD_INSE_IS6_EEEESI_S6_NSB_4plusIvEENSB_8equal_toIvEES6_EE10hipError_tPvRmT2_T3_T4_T5_mT6_T7_P12ihipStream_tbENKUlT_T0_E_clISt17integral_constantIbLb1EES13_EEDaSY_SZ_EUlSY_E_NS1_11comp_targetILNS1_3genE2ELNS1_11target_archE906ELNS1_3gpuE6ELNS1_3repE0EEENS1_30default_config_static_selectorELNS0_4arch9wavefront6targetE1EEEvT1_: ; @_ZN7rocprim17ROCPRIM_400000_NS6detail17trampoline_kernelINS0_14default_configENS1_27scan_by_key_config_selectorIj11FixedVectorIiLj1EEEEZZNS1_16scan_by_key_implILNS1_25lookback_scan_determinismE0ELb0ES3_N6thrust23THRUST_200600_302600_NS6detail15normal_iteratorINSB_10device_ptrIjEEEENSD_INSE_IS6_EEEESI_S6_NSB_4plusIvEENSB_8equal_toIvEES6_EE10hipError_tPvRmT2_T3_T4_T5_mT6_T7_P12ihipStream_tbENKUlT_T0_E_clISt17integral_constantIbLb1EES13_EEDaSY_SZ_EUlSY_E_NS1_11comp_targetILNS1_3genE2ELNS1_11target_archE906ELNS1_3gpuE6ELNS1_3repE0EEENS1_30default_config_static_selectorELNS0_4arch9wavefront6targetE1EEEvT1_
; %bb.0:
	.section	.rodata,"a",@progbits
	.p2align	6, 0x0
	.amdhsa_kernel _ZN7rocprim17ROCPRIM_400000_NS6detail17trampoline_kernelINS0_14default_configENS1_27scan_by_key_config_selectorIj11FixedVectorIiLj1EEEEZZNS1_16scan_by_key_implILNS1_25lookback_scan_determinismE0ELb0ES3_N6thrust23THRUST_200600_302600_NS6detail15normal_iteratorINSB_10device_ptrIjEEEENSD_INSE_IS6_EEEESI_S6_NSB_4plusIvEENSB_8equal_toIvEES6_EE10hipError_tPvRmT2_T3_T4_T5_mT6_T7_P12ihipStream_tbENKUlT_T0_E_clISt17integral_constantIbLb1EES13_EEDaSY_SZ_EUlSY_E_NS1_11comp_targetILNS1_3genE2ELNS1_11target_archE906ELNS1_3gpuE6ELNS1_3repE0EEENS1_30default_config_static_selectorELNS0_4arch9wavefront6targetE1EEEvT1_
		.amdhsa_group_segment_fixed_size 0
		.amdhsa_private_segment_fixed_size 0
		.amdhsa_kernarg_size 112
		.amdhsa_user_sgpr_count 6
		.amdhsa_user_sgpr_private_segment_buffer 1
		.amdhsa_user_sgpr_dispatch_ptr 0
		.amdhsa_user_sgpr_queue_ptr 0
		.amdhsa_user_sgpr_kernarg_segment_ptr 1
		.amdhsa_user_sgpr_dispatch_id 0
		.amdhsa_user_sgpr_flat_scratch_init 0
		.amdhsa_user_sgpr_kernarg_preload_length 0
		.amdhsa_user_sgpr_kernarg_preload_offset 0
		.amdhsa_user_sgpr_private_segment_size 0
		.amdhsa_uses_dynamic_stack 0
		.amdhsa_system_sgpr_private_segment_wavefront_offset 0
		.amdhsa_system_sgpr_workgroup_id_x 1
		.amdhsa_system_sgpr_workgroup_id_y 0
		.amdhsa_system_sgpr_workgroup_id_z 0
		.amdhsa_system_sgpr_workgroup_info 0
		.amdhsa_system_vgpr_workitem_id 0
		.amdhsa_next_free_vgpr 1
		.amdhsa_next_free_sgpr 0
		.amdhsa_accum_offset 4
		.amdhsa_reserve_vcc 0
		.amdhsa_reserve_flat_scratch 0
		.amdhsa_float_round_mode_32 0
		.amdhsa_float_round_mode_16_64 0
		.amdhsa_float_denorm_mode_32 3
		.amdhsa_float_denorm_mode_16_64 3
		.amdhsa_dx10_clamp 1
		.amdhsa_ieee_mode 1
		.amdhsa_fp16_overflow 0
		.amdhsa_tg_split 0
		.amdhsa_exception_fp_ieee_invalid_op 0
		.amdhsa_exception_fp_denorm_src 0
		.amdhsa_exception_fp_ieee_div_zero 0
		.amdhsa_exception_fp_ieee_overflow 0
		.amdhsa_exception_fp_ieee_underflow 0
		.amdhsa_exception_fp_ieee_inexact 0
		.amdhsa_exception_int_div_zero 0
	.end_amdhsa_kernel
	.section	.text._ZN7rocprim17ROCPRIM_400000_NS6detail17trampoline_kernelINS0_14default_configENS1_27scan_by_key_config_selectorIj11FixedVectorIiLj1EEEEZZNS1_16scan_by_key_implILNS1_25lookback_scan_determinismE0ELb0ES3_N6thrust23THRUST_200600_302600_NS6detail15normal_iteratorINSB_10device_ptrIjEEEENSD_INSE_IS6_EEEESI_S6_NSB_4plusIvEENSB_8equal_toIvEES6_EE10hipError_tPvRmT2_T3_T4_T5_mT6_T7_P12ihipStream_tbENKUlT_T0_E_clISt17integral_constantIbLb1EES13_EEDaSY_SZ_EUlSY_E_NS1_11comp_targetILNS1_3genE2ELNS1_11target_archE906ELNS1_3gpuE6ELNS1_3repE0EEENS1_30default_config_static_selectorELNS0_4arch9wavefront6targetE1EEEvT1_,"axG",@progbits,_ZN7rocprim17ROCPRIM_400000_NS6detail17trampoline_kernelINS0_14default_configENS1_27scan_by_key_config_selectorIj11FixedVectorIiLj1EEEEZZNS1_16scan_by_key_implILNS1_25lookback_scan_determinismE0ELb0ES3_N6thrust23THRUST_200600_302600_NS6detail15normal_iteratorINSB_10device_ptrIjEEEENSD_INSE_IS6_EEEESI_S6_NSB_4plusIvEENSB_8equal_toIvEES6_EE10hipError_tPvRmT2_T3_T4_T5_mT6_T7_P12ihipStream_tbENKUlT_T0_E_clISt17integral_constantIbLb1EES13_EEDaSY_SZ_EUlSY_E_NS1_11comp_targetILNS1_3genE2ELNS1_11target_archE906ELNS1_3gpuE6ELNS1_3repE0EEENS1_30default_config_static_selectorELNS0_4arch9wavefront6targetE1EEEvT1_,comdat
.Lfunc_end1885:
	.size	_ZN7rocprim17ROCPRIM_400000_NS6detail17trampoline_kernelINS0_14default_configENS1_27scan_by_key_config_selectorIj11FixedVectorIiLj1EEEEZZNS1_16scan_by_key_implILNS1_25lookback_scan_determinismE0ELb0ES3_N6thrust23THRUST_200600_302600_NS6detail15normal_iteratorINSB_10device_ptrIjEEEENSD_INSE_IS6_EEEESI_S6_NSB_4plusIvEENSB_8equal_toIvEES6_EE10hipError_tPvRmT2_T3_T4_T5_mT6_T7_P12ihipStream_tbENKUlT_T0_E_clISt17integral_constantIbLb1EES13_EEDaSY_SZ_EUlSY_E_NS1_11comp_targetILNS1_3genE2ELNS1_11target_archE906ELNS1_3gpuE6ELNS1_3repE0EEENS1_30default_config_static_selectorELNS0_4arch9wavefront6targetE1EEEvT1_, .Lfunc_end1885-_ZN7rocprim17ROCPRIM_400000_NS6detail17trampoline_kernelINS0_14default_configENS1_27scan_by_key_config_selectorIj11FixedVectorIiLj1EEEEZZNS1_16scan_by_key_implILNS1_25lookback_scan_determinismE0ELb0ES3_N6thrust23THRUST_200600_302600_NS6detail15normal_iteratorINSB_10device_ptrIjEEEENSD_INSE_IS6_EEEESI_S6_NSB_4plusIvEENSB_8equal_toIvEES6_EE10hipError_tPvRmT2_T3_T4_T5_mT6_T7_P12ihipStream_tbENKUlT_T0_E_clISt17integral_constantIbLb1EES13_EEDaSY_SZ_EUlSY_E_NS1_11comp_targetILNS1_3genE2ELNS1_11target_archE906ELNS1_3gpuE6ELNS1_3repE0EEENS1_30default_config_static_selectorELNS0_4arch9wavefront6targetE1EEEvT1_
                                        ; -- End function
	.section	.AMDGPU.csdata,"",@progbits
; Kernel info:
; codeLenInByte = 0
; NumSgprs: 4
; NumVgprs: 0
; NumAgprs: 0
; TotalNumVgprs: 0
; ScratchSize: 0
; MemoryBound: 0
; FloatMode: 240
; IeeeMode: 1
; LDSByteSize: 0 bytes/workgroup (compile time only)
; SGPRBlocks: 0
; VGPRBlocks: 0
; NumSGPRsForWavesPerEU: 4
; NumVGPRsForWavesPerEU: 1
; AccumOffset: 4
; Occupancy: 8
; WaveLimiterHint : 0
; COMPUTE_PGM_RSRC2:SCRATCH_EN: 0
; COMPUTE_PGM_RSRC2:USER_SGPR: 6
; COMPUTE_PGM_RSRC2:TRAP_HANDLER: 0
; COMPUTE_PGM_RSRC2:TGID_X_EN: 1
; COMPUTE_PGM_RSRC2:TGID_Y_EN: 0
; COMPUTE_PGM_RSRC2:TGID_Z_EN: 0
; COMPUTE_PGM_RSRC2:TIDIG_COMP_CNT: 0
; COMPUTE_PGM_RSRC3_GFX90A:ACCUM_OFFSET: 0
; COMPUTE_PGM_RSRC3_GFX90A:TG_SPLIT: 0
	.section	.text._ZN7rocprim17ROCPRIM_400000_NS6detail17trampoline_kernelINS0_14default_configENS1_27scan_by_key_config_selectorIj11FixedVectorIiLj1EEEEZZNS1_16scan_by_key_implILNS1_25lookback_scan_determinismE0ELb0ES3_N6thrust23THRUST_200600_302600_NS6detail15normal_iteratorINSB_10device_ptrIjEEEENSD_INSE_IS6_EEEESI_S6_NSB_4plusIvEENSB_8equal_toIvEES6_EE10hipError_tPvRmT2_T3_T4_T5_mT6_T7_P12ihipStream_tbENKUlT_T0_E_clISt17integral_constantIbLb1EES13_EEDaSY_SZ_EUlSY_E_NS1_11comp_targetILNS1_3genE10ELNS1_11target_archE1200ELNS1_3gpuE4ELNS1_3repE0EEENS1_30default_config_static_selectorELNS0_4arch9wavefront6targetE1EEEvT1_,"axG",@progbits,_ZN7rocprim17ROCPRIM_400000_NS6detail17trampoline_kernelINS0_14default_configENS1_27scan_by_key_config_selectorIj11FixedVectorIiLj1EEEEZZNS1_16scan_by_key_implILNS1_25lookback_scan_determinismE0ELb0ES3_N6thrust23THRUST_200600_302600_NS6detail15normal_iteratorINSB_10device_ptrIjEEEENSD_INSE_IS6_EEEESI_S6_NSB_4plusIvEENSB_8equal_toIvEES6_EE10hipError_tPvRmT2_T3_T4_T5_mT6_T7_P12ihipStream_tbENKUlT_T0_E_clISt17integral_constantIbLb1EES13_EEDaSY_SZ_EUlSY_E_NS1_11comp_targetILNS1_3genE10ELNS1_11target_archE1200ELNS1_3gpuE4ELNS1_3repE0EEENS1_30default_config_static_selectorELNS0_4arch9wavefront6targetE1EEEvT1_,comdat
	.protected	_ZN7rocprim17ROCPRIM_400000_NS6detail17trampoline_kernelINS0_14default_configENS1_27scan_by_key_config_selectorIj11FixedVectorIiLj1EEEEZZNS1_16scan_by_key_implILNS1_25lookback_scan_determinismE0ELb0ES3_N6thrust23THRUST_200600_302600_NS6detail15normal_iteratorINSB_10device_ptrIjEEEENSD_INSE_IS6_EEEESI_S6_NSB_4plusIvEENSB_8equal_toIvEES6_EE10hipError_tPvRmT2_T3_T4_T5_mT6_T7_P12ihipStream_tbENKUlT_T0_E_clISt17integral_constantIbLb1EES13_EEDaSY_SZ_EUlSY_E_NS1_11comp_targetILNS1_3genE10ELNS1_11target_archE1200ELNS1_3gpuE4ELNS1_3repE0EEENS1_30default_config_static_selectorELNS0_4arch9wavefront6targetE1EEEvT1_ ; -- Begin function _ZN7rocprim17ROCPRIM_400000_NS6detail17trampoline_kernelINS0_14default_configENS1_27scan_by_key_config_selectorIj11FixedVectorIiLj1EEEEZZNS1_16scan_by_key_implILNS1_25lookback_scan_determinismE0ELb0ES3_N6thrust23THRUST_200600_302600_NS6detail15normal_iteratorINSB_10device_ptrIjEEEENSD_INSE_IS6_EEEESI_S6_NSB_4plusIvEENSB_8equal_toIvEES6_EE10hipError_tPvRmT2_T3_T4_T5_mT6_T7_P12ihipStream_tbENKUlT_T0_E_clISt17integral_constantIbLb1EES13_EEDaSY_SZ_EUlSY_E_NS1_11comp_targetILNS1_3genE10ELNS1_11target_archE1200ELNS1_3gpuE4ELNS1_3repE0EEENS1_30default_config_static_selectorELNS0_4arch9wavefront6targetE1EEEvT1_
	.globl	_ZN7rocprim17ROCPRIM_400000_NS6detail17trampoline_kernelINS0_14default_configENS1_27scan_by_key_config_selectorIj11FixedVectorIiLj1EEEEZZNS1_16scan_by_key_implILNS1_25lookback_scan_determinismE0ELb0ES3_N6thrust23THRUST_200600_302600_NS6detail15normal_iteratorINSB_10device_ptrIjEEEENSD_INSE_IS6_EEEESI_S6_NSB_4plusIvEENSB_8equal_toIvEES6_EE10hipError_tPvRmT2_T3_T4_T5_mT6_T7_P12ihipStream_tbENKUlT_T0_E_clISt17integral_constantIbLb1EES13_EEDaSY_SZ_EUlSY_E_NS1_11comp_targetILNS1_3genE10ELNS1_11target_archE1200ELNS1_3gpuE4ELNS1_3repE0EEENS1_30default_config_static_selectorELNS0_4arch9wavefront6targetE1EEEvT1_
	.p2align	8
	.type	_ZN7rocprim17ROCPRIM_400000_NS6detail17trampoline_kernelINS0_14default_configENS1_27scan_by_key_config_selectorIj11FixedVectorIiLj1EEEEZZNS1_16scan_by_key_implILNS1_25lookback_scan_determinismE0ELb0ES3_N6thrust23THRUST_200600_302600_NS6detail15normal_iteratorINSB_10device_ptrIjEEEENSD_INSE_IS6_EEEESI_S6_NSB_4plusIvEENSB_8equal_toIvEES6_EE10hipError_tPvRmT2_T3_T4_T5_mT6_T7_P12ihipStream_tbENKUlT_T0_E_clISt17integral_constantIbLb1EES13_EEDaSY_SZ_EUlSY_E_NS1_11comp_targetILNS1_3genE10ELNS1_11target_archE1200ELNS1_3gpuE4ELNS1_3repE0EEENS1_30default_config_static_selectorELNS0_4arch9wavefront6targetE1EEEvT1_,@function
_ZN7rocprim17ROCPRIM_400000_NS6detail17trampoline_kernelINS0_14default_configENS1_27scan_by_key_config_selectorIj11FixedVectorIiLj1EEEEZZNS1_16scan_by_key_implILNS1_25lookback_scan_determinismE0ELb0ES3_N6thrust23THRUST_200600_302600_NS6detail15normal_iteratorINSB_10device_ptrIjEEEENSD_INSE_IS6_EEEESI_S6_NSB_4plusIvEENSB_8equal_toIvEES6_EE10hipError_tPvRmT2_T3_T4_T5_mT6_T7_P12ihipStream_tbENKUlT_T0_E_clISt17integral_constantIbLb1EES13_EEDaSY_SZ_EUlSY_E_NS1_11comp_targetILNS1_3genE10ELNS1_11target_archE1200ELNS1_3gpuE4ELNS1_3repE0EEENS1_30default_config_static_selectorELNS0_4arch9wavefront6targetE1EEEvT1_: ; @_ZN7rocprim17ROCPRIM_400000_NS6detail17trampoline_kernelINS0_14default_configENS1_27scan_by_key_config_selectorIj11FixedVectorIiLj1EEEEZZNS1_16scan_by_key_implILNS1_25lookback_scan_determinismE0ELb0ES3_N6thrust23THRUST_200600_302600_NS6detail15normal_iteratorINSB_10device_ptrIjEEEENSD_INSE_IS6_EEEESI_S6_NSB_4plusIvEENSB_8equal_toIvEES6_EE10hipError_tPvRmT2_T3_T4_T5_mT6_T7_P12ihipStream_tbENKUlT_T0_E_clISt17integral_constantIbLb1EES13_EEDaSY_SZ_EUlSY_E_NS1_11comp_targetILNS1_3genE10ELNS1_11target_archE1200ELNS1_3gpuE4ELNS1_3repE0EEENS1_30default_config_static_selectorELNS0_4arch9wavefront6targetE1EEEvT1_
; %bb.0:
	.section	.rodata,"a",@progbits
	.p2align	6, 0x0
	.amdhsa_kernel _ZN7rocprim17ROCPRIM_400000_NS6detail17trampoline_kernelINS0_14default_configENS1_27scan_by_key_config_selectorIj11FixedVectorIiLj1EEEEZZNS1_16scan_by_key_implILNS1_25lookback_scan_determinismE0ELb0ES3_N6thrust23THRUST_200600_302600_NS6detail15normal_iteratorINSB_10device_ptrIjEEEENSD_INSE_IS6_EEEESI_S6_NSB_4plusIvEENSB_8equal_toIvEES6_EE10hipError_tPvRmT2_T3_T4_T5_mT6_T7_P12ihipStream_tbENKUlT_T0_E_clISt17integral_constantIbLb1EES13_EEDaSY_SZ_EUlSY_E_NS1_11comp_targetILNS1_3genE10ELNS1_11target_archE1200ELNS1_3gpuE4ELNS1_3repE0EEENS1_30default_config_static_selectorELNS0_4arch9wavefront6targetE1EEEvT1_
		.amdhsa_group_segment_fixed_size 0
		.amdhsa_private_segment_fixed_size 0
		.amdhsa_kernarg_size 112
		.amdhsa_user_sgpr_count 6
		.amdhsa_user_sgpr_private_segment_buffer 1
		.amdhsa_user_sgpr_dispatch_ptr 0
		.amdhsa_user_sgpr_queue_ptr 0
		.amdhsa_user_sgpr_kernarg_segment_ptr 1
		.amdhsa_user_sgpr_dispatch_id 0
		.amdhsa_user_sgpr_flat_scratch_init 0
		.amdhsa_user_sgpr_kernarg_preload_length 0
		.amdhsa_user_sgpr_kernarg_preload_offset 0
		.amdhsa_user_sgpr_private_segment_size 0
		.amdhsa_uses_dynamic_stack 0
		.amdhsa_system_sgpr_private_segment_wavefront_offset 0
		.amdhsa_system_sgpr_workgroup_id_x 1
		.amdhsa_system_sgpr_workgroup_id_y 0
		.amdhsa_system_sgpr_workgroup_id_z 0
		.amdhsa_system_sgpr_workgroup_info 0
		.amdhsa_system_vgpr_workitem_id 0
		.amdhsa_next_free_vgpr 1
		.amdhsa_next_free_sgpr 0
		.amdhsa_accum_offset 4
		.amdhsa_reserve_vcc 0
		.amdhsa_reserve_flat_scratch 0
		.amdhsa_float_round_mode_32 0
		.amdhsa_float_round_mode_16_64 0
		.amdhsa_float_denorm_mode_32 3
		.amdhsa_float_denorm_mode_16_64 3
		.amdhsa_dx10_clamp 1
		.amdhsa_ieee_mode 1
		.amdhsa_fp16_overflow 0
		.amdhsa_tg_split 0
		.amdhsa_exception_fp_ieee_invalid_op 0
		.amdhsa_exception_fp_denorm_src 0
		.amdhsa_exception_fp_ieee_div_zero 0
		.amdhsa_exception_fp_ieee_overflow 0
		.amdhsa_exception_fp_ieee_underflow 0
		.amdhsa_exception_fp_ieee_inexact 0
		.amdhsa_exception_int_div_zero 0
	.end_amdhsa_kernel
	.section	.text._ZN7rocprim17ROCPRIM_400000_NS6detail17trampoline_kernelINS0_14default_configENS1_27scan_by_key_config_selectorIj11FixedVectorIiLj1EEEEZZNS1_16scan_by_key_implILNS1_25lookback_scan_determinismE0ELb0ES3_N6thrust23THRUST_200600_302600_NS6detail15normal_iteratorINSB_10device_ptrIjEEEENSD_INSE_IS6_EEEESI_S6_NSB_4plusIvEENSB_8equal_toIvEES6_EE10hipError_tPvRmT2_T3_T4_T5_mT6_T7_P12ihipStream_tbENKUlT_T0_E_clISt17integral_constantIbLb1EES13_EEDaSY_SZ_EUlSY_E_NS1_11comp_targetILNS1_3genE10ELNS1_11target_archE1200ELNS1_3gpuE4ELNS1_3repE0EEENS1_30default_config_static_selectorELNS0_4arch9wavefront6targetE1EEEvT1_,"axG",@progbits,_ZN7rocprim17ROCPRIM_400000_NS6detail17trampoline_kernelINS0_14default_configENS1_27scan_by_key_config_selectorIj11FixedVectorIiLj1EEEEZZNS1_16scan_by_key_implILNS1_25lookback_scan_determinismE0ELb0ES3_N6thrust23THRUST_200600_302600_NS6detail15normal_iteratorINSB_10device_ptrIjEEEENSD_INSE_IS6_EEEESI_S6_NSB_4plusIvEENSB_8equal_toIvEES6_EE10hipError_tPvRmT2_T3_T4_T5_mT6_T7_P12ihipStream_tbENKUlT_T0_E_clISt17integral_constantIbLb1EES13_EEDaSY_SZ_EUlSY_E_NS1_11comp_targetILNS1_3genE10ELNS1_11target_archE1200ELNS1_3gpuE4ELNS1_3repE0EEENS1_30default_config_static_selectorELNS0_4arch9wavefront6targetE1EEEvT1_,comdat
.Lfunc_end1886:
	.size	_ZN7rocprim17ROCPRIM_400000_NS6detail17trampoline_kernelINS0_14default_configENS1_27scan_by_key_config_selectorIj11FixedVectorIiLj1EEEEZZNS1_16scan_by_key_implILNS1_25lookback_scan_determinismE0ELb0ES3_N6thrust23THRUST_200600_302600_NS6detail15normal_iteratorINSB_10device_ptrIjEEEENSD_INSE_IS6_EEEESI_S6_NSB_4plusIvEENSB_8equal_toIvEES6_EE10hipError_tPvRmT2_T3_T4_T5_mT6_T7_P12ihipStream_tbENKUlT_T0_E_clISt17integral_constantIbLb1EES13_EEDaSY_SZ_EUlSY_E_NS1_11comp_targetILNS1_3genE10ELNS1_11target_archE1200ELNS1_3gpuE4ELNS1_3repE0EEENS1_30default_config_static_selectorELNS0_4arch9wavefront6targetE1EEEvT1_, .Lfunc_end1886-_ZN7rocprim17ROCPRIM_400000_NS6detail17trampoline_kernelINS0_14default_configENS1_27scan_by_key_config_selectorIj11FixedVectorIiLj1EEEEZZNS1_16scan_by_key_implILNS1_25lookback_scan_determinismE0ELb0ES3_N6thrust23THRUST_200600_302600_NS6detail15normal_iteratorINSB_10device_ptrIjEEEENSD_INSE_IS6_EEEESI_S6_NSB_4plusIvEENSB_8equal_toIvEES6_EE10hipError_tPvRmT2_T3_T4_T5_mT6_T7_P12ihipStream_tbENKUlT_T0_E_clISt17integral_constantIbLb1EES13_EEDaSY_SZ_EUlSY_E_NS1_11comp_targetILNS1_3genE10ELNS1_11target_archE1200ELNS1_3gpuE4ELNS1_3repE0EEENS1_30default_config_static_selectorELNS0_4arch9wavefront6targetE1EEEvT1_
                                        ; -- End function
	.section	.AMDGPU.csdata,"",@progbits
; Kernel info:
; codeLenInByte = 0
; NumSgprs: 4
; NumVgprs: 0
; NumAgprs: 0
; TotalNumVgprs: 0
; ScratchSize: 0
; MemoryBound: 0
; FloatMode: 240
; IeeeMode: 1
; LDSByteSize: 0 bytes/workgroup (compile time only)
; SGPRBlocks: 0
; VGPRBlocks: 0
; NumSGPRsForWavesPerEU: 4
; NumVGPRsForWavesPerEU: 1
; AccumOffset: 4
; Occupancy: 8
; WaveLimiterHint : 0
; COMPUTE_PGM_RSRC2:SCRATCH_EN: 0
; COMPUTE_PGM_RSRC2:USER_SGPR: 6
; COMPUTE_PGM_RSRC2:TRAP_HANDLER: 0
; COMPUTE_PGM_RSRC2:TGID_X_EN: 1
; COMPUTE_PGM_RSRC2:TGID_Y_EN: 0
; COMPUTE_PGM_RSRC2:TGID_Z_EN: 0
; COMPUTE_PGM_RSRC2:TIDIG_COMP_CNT: 0
; COMPUTE_PGM_RSRC3_GFX90A:ACCUM_OFFSET: 0
; COMPUTE_PGM_RSRC3_GFX90A:TG_SPLIT: 0
	.section	.text._ZN7rocprim17ROCPRIM_400000_NS6detail17trampoline_kernelINS0_14default_configENS1_27scan_by_key_config_selectorIj11FixedVectorIiLj1EEEEZZNS1_16scan_by_key_implILNS1_25lookback_scan_determinismE0ELb0ES3_N6thrust23THRUST_200600_302600_NS6detail15normal_iteratorINSB_10device_ptrIjEEEENSD_INSE_IS6_EEEESI_S6_NSB_4plusIvEENSB_8equal_toIvEES6_EE10hipError_tPvRmT2_T3_T4_T5_mT6_T7_P12ihipStream_tbENKUlT_T0_E_clISt17integral_constantIbLb1EES13_EEDaSY_SZ_EUlSY_E_NS1_11comp_targetILNS1_3genE9ELNS1_11target_archE1100ELNS1_3gpuE3ELNS1_3repE0EEENS1_30default_config_static_selectorELNS0_4arch9wavefront6targetE1EEEvT1_,"axG",@progbits,_ZN7rocprim17ROCPRIM_400000_NS6detail17trampoline_kernelINS0_14default_configENS1_27scan_by_key_config_selectorIj11FixedVectorIiLj1EEEEZZNS1_16scan_by_key_implILNS1_25lookback_scan_determinismE0ELb0ES3_N6thrust23THRUST_200600_302600_NS6detail15normal_iteratorINSB_10device_ptrIjEEEENSD_INSE_IS6_EEEESI_S6_NSB_4plusIvEENSB_8equal_toIvEES6_EE10hipError_tPvRmT2_T3_T4_T5_mT6_T7_P12ihipStream_tbENKUlT_T0_E_clISt17integral_constantIbLb1EES13_EEDaSY_SZ_EUlSY_E_NS1_11comp_targetILNS1_3genE9ELNS1_11target_archE1100ELNS1_3gpuE3ELNS1_3repE0EEENS1_30default_config_static_selectorELNS0_4arch9wavefront6targetE1EEEvT1_,comdat
	.protected	_ZN7rocprim17ROCPRIM_400000_NS6detail17trampoline_kernelINS0_14default_configENS1_27scan_by_key_config_selectorIj11FixedVectorIiLj1EEEEZZNS1_16scan_by_key_implILNS1_25lookback_scan_determinismE0ELb0ES3_N6thrust23THRUST_200600_302600_NS6detail15normal_iteratorINSB_10device_ptrIjEEEENSD_INSE_IS6_EEEESI_S6_NSB_4plusIvEENSB_8equal_toIvEES6_EE10hipError_tPvRmT2_T3_T4_T5_mT6_T7_P12ihipStream_tbENKUlT_T0_E_clISt17integral_constantIbLb1EES13_EEDaSY_SZ_EUlSY_E_NS1_11comp_targetILNS1_3genE9ELNS1_11target_archE1100ELNS1_3gpuE3ELNS1_3repE0EEENS1_30default_config_static_selectorELNS0_4arch9wavefront6targetE1EEEvT1_ ; -- Begin function _ZN7rocprim17ROCPRIM_400000_NS6detail17trampoline_kernelINS0_14default_configENS1_27scan_by_key_config_selectorIj11FixedVectorIiLj1EEEEZZNS1_16scan_by_key_implILNS1_25lookback_scan_determinismE0ELb0ES3_N6thrust23THRUST_200600_302600_NS6detail15normal_iteratorINSB_10device_ptrIjEEEENSD_INSE_IS6_EEEESI_S6_NSB_4plusIvEENSB_8equal_toIvEES6_EE10hipError_tPvRmT2_T3_T4_T5_mT6_T7_P12ihipStream_tbENKUlT_T0_E_clISt17integral_constantIbLb1EES13_EEDaSY_SZ_EUlSY_E_NS1_11comp_targetILNS1_3genE9ELNS1_11target_archE1100ELNS1_3gpuE3ELNS1_3repE0EEENS1_30default_config_static_selectorELNS0_4arch9wavefront6targetE1EEEvT1_
	.globl	_ZN7rocprim17ROCPRIM_400000_NS6detail17trampoline_kernelINS0_14default_configENS1_27scan_by_key_config_selectorIj11FixedVectorIiLj1EEEEZZNS1_16scan_by_key_implILNS1_25lookback_scan_determinismE0ELb0ES3_N6thrust23THRUST_200600_302600_NS6detail15normal_iteratorINSB_10device_ptrIjEEEENSD_INSE_IS6_EEEESI_S6_NSB_4plusIvEENSB_8equal_toIvEES6_EE10hipError_tPvRmT2_T3_T4_T5_mT6_T7_P12ihipStream_tbENKUlT_T0_E_clISt17integral_constantIbLb1EES13_EEDaSY_SZ_EUlSY_E_NS1_11comp_targetILNS1_3genE9ELNS1_11target_archE1100ELNS1_3gpuE3ELNS1_3repE0EEENS1_30default_config_static_selectorELNS0_4arch9wavefront6targetE1EEEvT1_
	.p2align	8
	.type	_ZN7rocprim17ROCPRIM_400000_NS6detail17trampoline_kernelINS0_14default_configENS1_27scan_by_key_config_selectorIj11FixedVectorIiLj1EEEEZZNS1_16scan_by_key_implILNS1_25lookback_scan_determinismE0ELb0ES3_N6thrust23THRUST_200600_302600_NS6detail15normal_iteratorINSB_10device_ptrIjEEEENSD_INSE_IS6_EEEESI_S6_NSB_4plusIvEENSB_8equal_toIvEES6_EE10hipError_tPvRmT2_T3_T4_T5_mT6_T7_P12ihipStream_tbENKUlT_T0_E_clISt17integral_constantIbLb1EES13_EEDaSY_SZ_EUlSY_E_NS1_11comp_targetILNS1_3genE9ELNS1_11target_archE1100ELNS1_3gpuE3ELNS1_3repE0EEENS1_30default_config_static_selectorELNS0_4arch9wavefront6targetE1EEEvT1_,@function
_ZN7rocprim17ROCPRIM_400000_NS6detail17trampoline_kernelINS0_14default_configENS1_27scan_by_key_config_selectorIj11FixedVectorIiLj1EEEEZZNS1_16scan_by_key_implILNS1_25lookback_scan_determinismE0ELb0ES3_N6thrust23THRUST_200600_302600_NS6detail15normal_iteratorINSB_10device_ptrIjEEEENSD_INSE_IS6_EEEESI_S6_NSB_4plusIvEENSB_8equal_toIvEES6_EE10hipError_tPvRmT2_T3_T4_T5_mT6_T7_P12ihipStream_tbENKUlT_T0_E_clISt17integral_constantIbLb1EES13_EEDaSY_SZ_EUlSY_E_NS1_11comp_targetILNS1_3genE9ELNS1_11target_archE1100ELNS1_3gpuE3ELNS1_3repE0EEENS1_30default_config_static_selectorELNS0_4arch9wavefront6targetE1EEEvT1_: ; @_ZN7rocprim17ROCPRIM_400000_NS6detail17trampoline_kernelINS0_14default_configENS1_27scan_by_key_config_selectorIj11FixedVectorIiLj1EEEEZZNS1_16scan_by_key_implILNS1_25lookback_scan_determinismE0ELb0ES3_N6thrust23THRUST_200600_302600_NS6detail15normal_iteratorINSB_10device_ptrIjEEEENSD_INSE_IS6_EEEESI_S6_NSB_4plusIvEENSB_8equal_toIvEES6_EE10hipError_tPvRmT2_T3_T4_T5_mT6_T7_P12ihipStream_tbENKUlT_T0_E_clISt17integral_constantIbLb1EES13_EEDaSY_SZ_EUlSY_E_NS1_11comp_targetILNS1_3genE9ELNS1_11target_archE1100ELNS1_3gpuE3ELNS1_3repE0EEENS1_30default_config_static_selectorELNS0_4arch9wavefront6targetE1EEEvT1_
; %bb.0:
	.section	.rodata,"a",@progbits
	.p2align	6, 0x0
	.amdhsa_kernel _ZN7rocprim17ROCPRIM_400000_NS6detail17trampoline_kernelINS0_14default_configENS1_27scan_by_key_config_selectorIj11FixedVectorIiLj1EEEEZZNS1_16scan_by_key_implILNS1_25lookback_scan_determinismE0ELb0ES3_N6thrust23THRUST_200600_302600_NS6detail15normal_iteratorINSB_10device_ptrIjEEEENSD_INSE_IS6_EEEESI_S6_NSB_4plusIvEENSB_8equal_toIvEES6_EE10hipError_tPvRmT2_T3_T4_T5_mT6_T7_P12ihipStream_tbENKUlT_T0_E_clISt17integral_constantIbLb1EES13_EEDaSY_SZ_EUlSY_E_NS1_11comp_targetILNS1_3genE9ELNS1_11target_archE1100ELNS1_3gpuE3ELNS1_3repE0EEENS1_30default_config_static_selectorELNS0_4arch9wavefront6targetE1EEEvT1_
		.amdhsa_group_segment_fixed_size 0
		.amdhsa_private_segment_fixed_size 0
		.amdhsa_kernarg_size 112
		.amdhsa_user_sgpr_count 6
		.amdhsa_user_sgpr_private_segment_buffer 1
		.amdhsa_user_sgpr_dispatch_ptr 0
		.amdhsa_user_sgpr_queue_ptr 0
		.amdhsa_user_sgpr_kernarg_segment_ptr 1
		.amdhsa_user_sgpr_dispatch_id 0
		.amdhsa_user_sgpr_flat_scratch_init 0
		.amdhsa_user_sgpr_kernarg_preload_length 0
		.amdhsa_user_sgpr_kernarg_preload_offset 0
		.amdhsa_user_sgpr_private_segment_size 0
		.amdhsa_uses_dynamic_stack 0
		.amdhsa_system_sgpr_private_segment_wavefront_offset 0
		.amdhsa_system_sgpr_workgroup_id_x 1
		.amdhsa_system_sgpr_workgroup_id_y 0
		.amdhsa_system_sgpr_workgroup_id_z 0
		.amdhsa_system_sgpr_workgroup_info 0
		.amdhsa_system_vgpr_workitem_id 0
		.amdhsa_next_free_vgpr 1
		.amdhsa_next_free_sgpr 0
		.amdhsa_accum_offset 4
		.amdhsa_reserve_vcc 0
		.amdhsa_reserve_flat_scratch 0
		.amdhsa_float_round_mode_32 0
		.amdhsa_float_round_mode_16_64 0
		.amdhsa_float_denorm_mode_32 3
		.amdhsa_float_denorm_mode_16_64 3
		.amdhsa_dx10_clamp 1
		.amdhsa_ieee_mode 1
		.amdhsa_fp16_overflow 0
		.amdhsa_tg_split 0
		.amdhsa_exception_fp_ieee_invalid_op 0
		.amdhsa_exception_fp_denorm_src 0
		.amdhsa_exception_fp_ieee_div_zero 0
		.amdhsa_exception_fp_ieee_overflow 0
		.amdhsa_exception_fp_ieee_underflow 0
		.amdhsa_exception_fp_ieee_inexact 0
		.amdhsa_exception_int_div_zero 0
	.end_amdhsa_kernel
	.section	.text._ZN7rocprim17ROCPRIM_400000_NS6detail17trampoline_kernelINS0_14default_configENS1_27scan_by_key_config_selectorIj11FixedVectorIiLj1EEEEZZNS1_16scan_by_key_implILNS1_25lookback_scan_determinismE0ELb0ES3_N6thrust23THRUST_200600_302600_NS6detail15normal_iteratorINSB_10device_ptrIjEEEENSD_INSE_IS6_EEEESI_S6_NSB_4plusIvEENSB_8equal_toIvEES6_EE10hipError_tPvRmT2_T3_T4_T5_mT6_T7_P12ihipStream_tbENKUlT_T0_E_clISt17integral_constantIbLb1EES13_EEDaSY_SZ_EUlSY_E_NS1_11comp_targetILNS1_3genE9ELNS1_11target_archE1100ELNS1_3gpuE3ELNS1_3repE0EEENS1_30default_config_static_selectorELNS0_4arch9wavefront6targetE1EEEvT1_,"axG",@progbits,_ZN7rocprim17ROCPRIM_400000_NS6detail17trampoline_kernelINS0_14default_configENS1_27scan_by_key_config_selectorIj11FixedVectorIiLj1EEEEZZNS1_16scan_by_key_implILNS1_25lookback_scan_determinismE0ELb0ES3_N6thrust23THRUST_200600_302600_NS6detail15normal_iteratorINSB_10device_ptrIjEEEENSD_INSE_IS6_EEEESI_S6_NSB_4plusIvEENSB_8equal_toIvEES6_EE10hipError_tPvRmT2_T3_T4_T5_mT6_T7_P12ihipStream_tbENKUlT_T0_E_clISt17integral_constantIbLb1EES13_EEDaSY_SZ_EUlSY_E_NS1_11comp_targetILNS1_3genE9ELNS1_11target_archE1100ELNS1_3gpuE3ELNS1_3repE0EEENS1_30default_config_static_selectorELNS0_4arch9wavefront6targetE1EEEvT1_,comdat
.Lfunc_end1887:
	.size	_ZN7rocprim17ROCPRIM_400000_NS6detail17trampoline_kernelINS0_14default_configENS1_27scan_by_key_config_selectorIj11FixedVectorIiLj1EEEEZZNS1_16scan_by_key_implILNS1_25lookback_scan_determinismE0ELb0ES3_N6thrust23THRUST_200600_302600_NS6detail15normal_iteratorINSB_10device_ptrIjEEEENSD_INSE_IS6_EEEESI_S6_NSB_4plusIvEENSB_8equal_toIvEES6_EE10hipError_tPvRmT2_T3_T4_T5_mT6_T7_P12ihipStream_tbENKUlT_T0_E_clISt17integral_constantIbLb1EES13_EEDaSY_SZ_EUlSY_E_NS1_11comp_targetILNS1_3genE9ELNS1_11target_archE1100ELNS1_3gpuE3ELNS1_3repE0EEENS1_30default_config_static_selectorELNS0_4arch9wavefront6targetE1EEEvT1_, .Lfunc_end1887-_ZN7rocprim17ROCPRIM_400000_NS6detail17trampoline_kernelINS0_14default_configENS1_27scan_by_key_config_selectorIj11FixedVectorIiLj1EEEEZZNS1_16scan_by_key_implILNS1_25lookback_scan_determinismE0ELb0ES3_N6thrust23THRUST_200600_302600_NS6detail15normal_iteratorINSB_10device_ptrIjEEEENSD_INSE_IS6_EEEESI_S6_NSB_4plusIvEENSB_8equal_toIvEES6_EE10hipError_tPvRmT2_T3_T4_T5_mT6_T7_P12ihipStream_tbENKUlT_T0_E_clISt17integral_constantIbLb1EES13_EEDaSY_SZ_EUlSY_E_NS1_11comp_targetILNS1_3genE9ELNS1_11target_archE1100ELNS1_3gpuE3ELNS1_3repE0EEENS1_30default_config_static_selectorELNS0_4arch9wavefront6targetE1EEEvT1_
                                        ; -- End function
	.section	.AMDGPU.csdata,"",@progbits
; Kernel info:
; codeLenInByte = 0
; NumSgprs: 4
; NumVgprs: 0
; NumAgprs: 0
; TotalNumVgprs: 0
; ScratchSize: 0
; MemoryBound: 0
; FloatMode: 240
; IeeeMode: 1
; LDSByteSize: 0 bytes/workgroup (compile time only)
; SGPRBlocks: 0
; VGPRBlocks: 0
; NumSGPRsForWavesPerEU: 4
; NumVGPRsForWavesPerEU: 1
; AccumOffset: 4
; Occupancy: 8
; WaveLimiterHint : 0
; COMPUTE_PGM_RSRC2:SCRATCH_EN: 0
; COMPUTE_PGM_RSRC2:USER_SGPR: 6
; COMPUTE_PGM_RSRC2:TRAP_HANDLER: 0
; COMPUTE_PGM_RSRC2:TGID_X_EN: 1
; COMPUTE_PGM_RSRC2:TGID_Y_EN: 0
; COMPUTE_PGM_RSRC2:TGID_Z_EN: 0
; COMPUTE_PGM_RSRC2:TIDIG_COMP_CNT: 0
; COMPUTE_PGM_RSRC3_GFX90A:ACCUM_OFFSET: 0
; COMPUTE_PGM_RSRC3_GFX90A:TG_SPLIT: 0
	.section	.text._ZN7rocprim17ROCPRIM_400000_NS6detail17trampoline_kernelINS0_14default_configENS1_27scan_by_key_config_selectorIj11FixedVectorIiLj1EEEEZZNS1_16scan_by_key_implILNS1_25lookback_scan_determinismE0ELb0ES3_N6thrust23THRUST_200600_302600_NS6detail15normal_iteratorINSB_10device_ptrIjEEEENSD_INSE_IS6_EEEESI_S6_NSB_4plusIvEENSB_8equal_toIvEES6_EE10hipError_tPvRmT2_T3_T4_T5_mT6_T7_P12ihipStream_tbENKUlT_T0_E_clISt17integral_constantIbLb1EES13_EEDaSY_SZ_EUlSY_E_NS1_11comp_targetILNS1_3genE8ELNS1_11target_archE1030ELNS1_3gpuE2ELNS1_3repE0EEENS1_30default_config_static_selectorELNS0_4arch9wavefront6targetE1EEEvT1_,"axG",@progbits,_ZN7rocprim17ROCPRIM_400000_NS6detail17trampoline_kernelINS0_14default_configENS1_27scan_by_key_config_selectorIj11FixedVectorIiLj1EEEEZZNS1_16scan_by_key_implILNS1_25lookback_scan_determinismE0ELb0ES3_N6thrust23THRUST_200600_302600_NS6detail15normal_iteratorINSB_10device_ptrIjEEEENSD_INSE_IS6_EEEESI_S6_NSB_4plusIvEENSB_8equal_toIvEES6_EE10hipError_tPvRmT2_T3_T4_T5_mT6_T7_P12ihipStream_tbENKUlT_T0_E_clISt17integral_constantIbLb1EES13_EEDaSY_SZ_EUlSY_E_NS1_11comp_targetILNS1_3genE8ELNS1_11target_archE1030ELNS1_3gpuE2ELNS1_3repE0EEENS1_30default_config_static_selectorELNS0_4arch9wavefront6targetE1EEEvT1_,comdat
	.protected	_ZN7rocprim17ROCPRIM_400000_NS6detail17trampoline_kernelINS0_14default_configENS1_27scan_by_key_config_selectorIj11FixedVectorIiLj1EEEEZZNS1_16scan_by_key_implILNS1_25lookback_scan_determinismE0ELb0ES3_N6thrust23THRUST_200600_302600_NS6detail15normal_iteratorINSB_10device_ptrIjEEEENSD_INSE_IS6_EEEESI_S6_NSB_4plusIvEENSB_8equal_toIvEES6_EE10hipError_tPvRmT2_T3_T4_T5_mT6_T7_P12ihipStream_tbENKUlT_T0_E_clISt17integral_constantIbLb1EES13_EEDaSY_SZ_EUlSY_E_NS1_11comp_targetILNS1_3genE8ELNS1_11target_archE1030ELNS1_3gpuE2ELNS1_3repE0EEENS1_30default_config_static_selectorELNS0_4arch9wavefront6targetE1EEEvT1_ ; -- Begin function _ZN7rocprim17ROCPRIM_400000_NS6detail17trampoline_kernelINS0_14default_configENS1_27scan_by_key_config_selectorIj11FixedVectorIiLj1EEEEZZNS1_16scan_by_key_implILNS1_25lookback_scan_determinismE0ELb0ES3_N6thrust23THRUST_200600_302600_NS6detail15normal_iteratorINSB_10device_ptrIjEEEENSD_INSE_IS6_EEEESI_S6_NSB_4plusIvEENSB_8equal_toIvEES6_EE10hipError_tPvRmT2_T3_T4_T5_mT6_T7_P12ihipStream_tbENKUlT_T0_E_clISt17integral_constantIbLb1EES13_EEDaSY_SZ_EUlSY_E_NS1_11comp_targetILNS1_3genE8ELNS1_11target_archE1030ELNS1_3gpuE2ELNS1_3repE0EEENS1_30default_config_static_selectorELNS0_4arch9wavefront6targetE1EEEvT1_
	.globl	_ZN7rocprim17ROCPRIM_400000_NS6detail17trampoline_kernelINS0_14default_configENS1_27scan_by_key_config_selectorIj11FixedVectorIiLj1EEEEZZNS1_16scan_by_key_implILNS1_25lookback_scan_determinismE0ELb0ES3_N6thrust23THRUST_200600_302600_NS6detail15normal_iteratorINSB_10device_ptrIjEEEENSD_INSE_IS6_EEEESI_S6_NSB_4plusIvEENSB_8equal_toIvEES6_EE10hipError_tPvRmT2_T3_T4_T5_mT6_T7_P12ihipStream_tbENKUlT_T0_E_clISt17integral_constantIbLb1EES13_EEDaSY_SZ_EUlSY_E_NS1_11comp_targetILNS1_3genE8ELNS1_11target_archE1030ELNS1_3gpuE2ELNS1_3repE0EEENS1_30default_config_static_selectorELNS0_4arch9wavefront6targetE1EEEvT1_
	.p2align	8
	.type	_ZN7rocprim17ROCPRIM_400000_NS6detail17trampoline_kernelINS0_14default_configENS1_27scan_by_key_config_selectorIj11FixedVectorIiLj1EEEEZZNS1_16scan_by_key_implILNS1_25lookback_scan_determinismE0ELb0ES3_N6thrust23THRUST_200600_302600_NS6detail15normal_iteratorINSB_10device_ptrIjEEEENSD_INSE_IS6_EEEESI_S6_NSB_4plusIvEENSB_8equal_toIvEES6_EE10hipError_tPvRmT2_T3_T4_T5_mT6_T7_P12ihipStream_tbENKUlT_T0_E_clISt17integral_constantIbLb1EES13_EEDaSY_SZ_EUlSY_E_NS1_11comp_targetILNS1_3genE8ELNS1_11target_archE1030ELNS1_3gpuE2ELNS1_3repE0EEENS1_30default_config_static_selectorELNS0_4arch9wavefront6targetE1EEEvT1_,@function
_ZN7rocprim17ROCPRIM_400000_NS6detail17trampoline_kernelINS0_14default_configENS1_27scan_by_key_config_selectorIj11FixedVectorIiLj1EEEEZZNS1_16scan_by_key_implILNS1_25lookback_scan_determinismE0ELb0ES3_N6thrust23THRUST_200600_302600_NS6detail15normal_iteratorINSB_10device_ptrIjEEEENSD_INSE_IS6_EEEESI_S6_NSB_4plusIvEENSB_8equal_toIvEES6_EE10hipError_tPvRmT2_T3_T4_T5_mT6_T7_P12ihipStream_tbENKUlT_T0_E_clISt17integral_constantIbLb1EES13_EEDaSY_SZ_EUlSY_E_NS1_11comp_targetILNS1_3genE8ELNS1_11target_archE1030ELNS1_3gpuE2ELNS1_3repE0EEENS1_30default_config_static_selectorELNS0_4arch9wavefront6targetE1EEEvT1_: ; @_ZN7rocprim17ROCPRIM_400000_NS6detail17trampoline_kernelINS0_14default_configENS1_27scan_by_key_config_selectorIj11FixedVectorIiLj1EEEEZZNS1_16scan_by_key_implILNS1_25lookback_scan_determinismE0ELb0ES3_N6thrust23THRUST_200600_302600_NS6detail15normal_iteratorINSB_10device_ptrIjEEEENSD_INSE_IS6_EEEESI_S6_NSB_4plusIvEENSB_8equal_toIvEES6_EE10hipError_tPvRmT2_T3_T4_T5_mT6_T7_P12ihipStream_tbENKUlT_T0_E_clISt17integral_constantIbLb1EES13_EEDaSY_SZ_EUlSY_E_NS1_11comp_targetILNS1_3genE8ELNS1_11target_archE1030ELNS1_3gpuE2ELNS1_3repE0EEENS1_30default_config_static_selectorELNS0_4arch9wavefront6targetE1EEEvT1_
; %bb.0:
	.section	.rodata,"a",@progbits
	.p2align	6, 0x0
	.amdhsa_kernel _ZN7rocprim17ROCPRIM_400000_NS6detail17trampoline_kernelINS0_14default_configENS1_27scan_by_key_config_selectorIj11FixedVectorIiLj1EEEEZZNS1_16scan_by_key_implILNS1_25lookback_scan_determinismE0ELb0ES3_N6thrust23THRUST_200600_302600_NS6detail15normal_iteratorINSB_10device_ptrIjEEEENSD_INSE_IS6_EEEESI_S6_NSB_4plusIvEENSB_8equal_toIvEES6_EE10hipError_tPvRmT2_T3_T4_T5_mT6_T7_P12ihipStream_tbENKUlT_T0_E_clISt17integral_constantIbLb1EES13_EEDaSY_SZ_EUlSY_E_NS1_11comp_targetILNS1_3genE8ELNS1_11target_archE1030ELNS1_3gpuE2ELNS1_3repE0EEENS1_30default_config_static_selectorELNS0_4arch9wavefront6targetE1EEEvT1_
		.amdhsa_group_segment_fixed_size 0
		.amdhsa_private_segment_fixed_size 0
		.amdhsa_kernarg_size 112
		.amdhsa_user_sgpr_count 6
		.amdhsa_user_sgpr_private_segment_buffer 1
		.amdhsa_user_sgpr_dispatch_ptr 0
		.amdhsa_user_sgpr_queue_ptr 0
		.amdhsa_user_sgpr_kernarg_segment_ptr 1
		.amdhsa_user_sgpr_dispatch_id 0
		.amdhsa_user_sgpr_flat_scratch_init 0
		.amdhsa_user_sgpr_kernarg_preload_length 0
		.amdhsa_user_sgpr_kernarg_preload_offset 0
		.amdhsa_user_sgpr_private_segment_size 0
		.amdhsa_uses_dynamic_stack 0
		.amdhsa_system_sgpr_private_segment_wavefront_offset 0
		.amdhsa_system_sgpr_workgroup_id_x 1
		.amdhsa_system_sgpr_workgroup_id_y 0
		.amdhsa_system_sgpr_workgroup_id_z 0
		.amdhsa_system_sgpr_workgroup_info 0
		.amdhsa_system_vgpr_workitem_id 0
		.amdhsa_next_free_vgpr 1
		.amdhsa_next_free_sgpr 0
		.amdhsa_accum_offset 4
		.amdhsa_reserve_vcc 0
		.amdhsa_reserve_flat_scratch 0
		.amdhsa_float_round_mode_32 0
		.amdhsa_float_round_mode_16_64 0
		.amdhsa_float_denorm_mode_32 3
		.amdhsa_float_denorm_mode_16_64 3
		.amdhsa_dx10_clamp 1
		.amdhsa_ieee_mode 1
		.amdhsa_fp16_overflow 0
		.amdhsa_tg_split 0
		.amdhsa_exception_fp_ieee_invalid_op 0
		.amdhsa_exception_fp_denorm_src 0
		.amdhsa_exception_fp_ieee_div_zero 0
		.amdhsa_exception_fp_ieee_overflow 0
		.amdhsa_exception_fp_ieee_underflow 0
		.amdhsa_exception_fp_ieee_inexact 0
		.amdhsa_exception_int_div_zero 0
	.end_amdhsa_kernel
	.section	.text._ZN7rocprim17ROCPRIM_400000_NS6detail17trampoline_kernelINS0_14default_configENS1_27scan_by_key_config_selectorIj11FixedVectorIiLj1EEEEZZNS1_16scan_by_key_implILNS1_25lookback_scan_determinismE0ELb0ES3_N6thrust23THRUST_200600_302600_NS6detail15normal_iteratorINSB_10device_ptrIjEEEENSD_INSE_IS6_EEEESI_S6_NSB_4plusIvEENSB_8equal_toIvEES6_EE10hipError_tPvRmT2_T3_T4_T5_mT6_T7_P12ihipStream_tbENKUlT_T0_E_clISt17integral_constantIbLb1EES13_EEDaSY_SZ_EUlSY_E_NS1_11comp_targetILNS1_3genE8ELNS1_11target_archE1030ELNS1_3gpuE2ELNS1_3repE0EEENS1_30default_config_static_selectorELNS0_4arch9wavefront6targetE1EEEvT1_,"axG",@progbits,_ZN7rocprim17ROCPRIM_400000_NS6detail17trampoline_kernelINS0_14default_configENS1_27scan_by_key_config_selectorIj11FixedVectorIiLj1EEEEZZNS1_16scan_by_key_implILNS1_25lookback_scan_determinismE0ELb0ES3_N6thrust23THRUST_200600_302600_NS6detail15normal_iteratorINSB_10device_ptrIjEEEENSD_INSE_IS6_EEEESI_S6_NSB_4plusIvEENSB_8equal_toIvEES6_EE10hipError_tPvRmT2_T3_T4_T5_mT6_T7_P12ihipStream_tbENKUlT_T0_E_clISt17integral_constantIbLb1EES13_EEDaSY_SZ_EUlSY_E_NS1_11comp_targetILNS1_3genE8ELNS1_11target_archE1030ELNS1_3gpuE2ELNS1_3repE0EEENS1_30default_config_static_selectorELNS0_4arch9wavefront6targetE1EEEvT1_,comdat
.Lfunc_end1888:
	.size	_ZN7rocprim17ROCPRIM_400000_NS6detail17trampoline_kernelINS0_14default_configENS1_27scan_by_key_config_selectorIj11FixedVectorIiLj1EEEEZZNS1_16scan_by_key_implILNS1_25lookback_scan_determinismE0ELb0ES3_N6thrust23THRUST_200600_302600_NS6detail15normal_iteratorINSB_10device_ptrIjEEEENSD_INSE_IS6_EEEESI_S6_NSB_4plusIvEENSB_8equal_toIvEES6_EE10hipError_tPvRmT2_T3_T4_T5_mT6_T7_P12ihipStream_tbENKUlT_T0_E_clISt17integral_constantIbLb1EES13_EEDaSY_SZ_EUlSY_E_NS1_11comp_targetILNS1_3genE8ELNS1_11target_archE1030ELNS1_3gpuE2ELNS1_3repE0EEENS1_30default_config_static_selectorELNS0_4arch9wavefront6targetE1EEEvT1_, .Lfunc_end1888-_ZN7rocprim17ROCPRIM_400000_NS6detail17trampoline_kernelINS0_14default_configENS1_27scan_by_key_config_selectorIj11FixedVectorIiLj1EEEEZZNS1_16scan_by_key_implILNS1_25lookback_scan_determinismE0ELb0ES3_N6thrust23THRUST_200600_302600_NS6detail15normal_iteratorINSB_10device_ptrIjEEEENSD_INSE_IS6_EEEESI_S6_NSB_4plusIvEENSB_8equal_toIvEES6_EE10hipError_tPvRmT2_T3_T4_T5_mT6_T7_P12ihipStream_tbENKUlT_T0_E_clISt17integral_constantIbLb1EES13_EEDaSY_SZ_EUlSY_E_NS1_11comp_targetILNS1_3genE8ELNS1_11target_archE1030ELNS1_3gpuE2ELNS1_3repE0EEENS1_30default_config_static_selectorELNS0_4arch9wavefront6targetE1EEEvT1_
                                        ; -- End function
	.section	.AMDGPU.csdata,"",@progbits
; Kernel info:
; codeLenInByte = 0
; NumSgprs: 4
; NumVgprs: 0
; NumAgprs: 0
; TotalNumVgprs: 0
; ScratchSize: 0
; MemoryBound: 0
; FloatMode: 240
; IeeeMode: 1
; LDSByteSize: 0 bytes/workgroup (compile time only)
; SGPRBlocks: 0
; VGPRBlocks: 0
; NumSGPRsForWavesPerEU: 4
; NumVGPRsForWavesPerEU: 1
; AccumOffset: 4
; Occupancy: 8
; WaveLimiterHint : 0
; COMPUTE_PGM_RSRC2:SCRATCH_EN: 0
; COMPUTE_PGM_RSRC2:USER_SGPR: 6
; COMPUTE_PGM_RSRC2:TRAP_HANDLER: 0
; COMPUTE_PGM_RSRC2:TGID_X_EN: 1
; COMPUTE_PGM_RSRC2:TGID_Y_EN: 0
; COMPUTE_PGM_RSRC2:TGID_Z_EN: 0
; COMPUTE_PGM_RSRC2:TIDIG_COMP_CNT: 0
; COMPUTE_PGM_RSRC3_GFX90A:ACCUM_OFFSET: 0
; COMPUTE_PGM_RSRC3_GFX90A:TG_SPLIT: 0
	.section	.text._ZN7rocprim17ROCPRIM_400000_NS6detail30init_device_scan_by_key_kernelINS1_19lookback_scan_stateINS0_5tupleIJ11FixedVectorIiLj1EEbEEELb1ELb1EEEN6thrust23THRUST_200600_302600_NS6detail15normal_iteratorINSA_10device_ptrIjEEEEjNS1_16block_id_wrapperIjLb0EEEEEvT_jjPNSI_10value_typeET0_PNSt15iterator_traitsISL_E10value_typeEmT1_T2_,"axG",@progbits,_ZN7rocprim17ROCPRIM_400000_NS6detail30init_device_scan_by_key_kernelINS1_19lookback_scan_stateINS0_5tupleIJ11FixedVectorIiLj1EEbEEELb1ELb1EEEN6thrust23THRUST_200600_302600_NS6detail15normal_iteratorINSA_10device_ptrIjEEEEjNS1_16block_id_wrapperIjLb0EEEEEvT_jjPNSI_10value_typeET0_PNSt15iterator_traitsISL_E10value_typeEmT1_T2_,comdat
	.protected	_ZN7rocprim17ROCPRIM_400000_NS6detail30init_device_scan_by_key_kernelINS1_19lookback_scan_stateINS0_5tupleIJ11FixedVectorIiLj1EEbEEELb1ELb1EEEN6thrust23THRUST_200600_302600_NS6detail15normal_iteratorINSA_10device_ptrIjEEEEjNS1_16block_id_wrapperIjLb0EEEEEvT_jjPNSI_10value_typeET0_PNSt15iterator_traitsISL_E10value_typeEmT1_T2_ ; -- Begin function _ZN7rocprim17ROCPRIM_400000_NS6detail30init_device_scan_by_key_kernelINS1_19lookback_scan_stateINS0_5tupleIJ11FixedVectorIiLj1EEbEEELb1ELb1EEEN6thrust23THRUST_200600_302600_NS6detail15normal_iteratorINSA_10device_ptrIjEEEEjNS1_16block_id_wrapperIjLb0EEEEEvT_jjPNSI_10value_typeET0_PNSt15iterator_traitsISL_E10value_typeEmT1_T2_
	.globl	_ZN7rocprim17ROCPRIM_400000_NS6detail30init_device_scan_by_key_kernelINS1_19lookback_scan_stateINS0_5tupleIJ11FixedVectorIiLj1EEbEEELb1ELb1EEEN6thrust23THRUST_200600_302600_NS6detail15normal_iteratorINSA_10device_ptrIjEEEEjNS1_16block_id_wrapperIjLb0EEEEEvT_jjPNSI_10value_typeET0_PNSt15iterator_traitsISL_E10value_typeEmT1_T2_
	.p2align	8
	.type	_ZN7rocprim17ROCPRIM_400000_NS6detail30init_device_scan_by_key_kernelINS1_19lookback_scan_stateINS0_5tupleIJ11FixedVectorIiLj1EEbEEELb1ELb1EEEN6thrust23THRUST_200600_302600_NS6detail15normal_iteratorINSA_10device_ptrIjEEEEjNS1_16block_id_wrapperIjLb0EEEEEvT_jjPNSI_10value_typeET0_PNSt15iterator_traitsISL_E10value_typeEmT1_T2_,@function
_ZN7rocprim17ROCPRIM_400000_NS6detail30init_device_scan_by_key_kernelINS1_19lookback_scan_stateINS0_5tupleIJ11FixedVectorIiLj1EEbEEELb1ELb1EEEN6thrust23THRUST_200600_302600_NS6detail15normal_iteratorINSA_10device_ptrIjEEEEjNS1_16block_id_wrapperIjLb0EEEEEvT_jjPNSI_10value_typeET0_PNSt15iterator_traitsISL_E10value_typeEmT1_T2_: ; @_ZN7rocprim17ROCPRIM_400000_NS6detail30init_device_scan_by_key_kernelINS1_19lookback_scan_stateINS0_5tupleIJ11FixedVectorIiLj1EEbEEELb1ELb1EEEN6thrust23THRUST_200600_302600_NS6detail15normal_iteratorINSA_10device_ptrIjEEEEjNS1_16block_id_wrapperIjLb0EEEEEvT_jjPNSI_10value_typeET0_PNSt15iterator_traitsISL_E10value_typeEmT1_T2_
; %bb.0:
	s_load_dword s0, s[4:5], 0x44
	s_load_dwordx8 s[8:15], s[4:5], 0x0
	s_load_dword s18, s[4:5], 0x38
	s_waitcnt lgkmcnt(0)
	s_and_b32 s19, s0, 0xffff
	s_mul_i32 s6, s6, s19
	s_cmp_eq_u64 s[12:13], 0
	v_add_u32_e32 v4, s6, v0
	s_cbranch_scc1 .LBB1889_10
; %bb.1:
	s_cmp_lt_u32 s11, s10
	s_cselect_b32 s0, s11, 0
	s_mov_b32 s3, 0
	v_cmp_eq_u32_e32 vcc, s0, v4
	s_and_saveexec_b64 s[0:1], vcc
	s_cbranch_execz .LBB1889_9
; %bb.2:
	s_add_i32 s2, s11, 64
	s_lshl_b64 s[2:3], s[2:3], 4
	s_add_u32 s16, s8, s2
	s_addc_u32 s17, s9, s3
	v_pk_mov_b32 v[0:1], s[16:17], s[16:17] op_sel:[0,1]
	;;#ASMSTART
	global_load_dwordx4 v[0:3], v[0:1] off glc	
s_waitcnt vmcnt(0)
	;;#ASMEND
	v_mov_b32_e32 v7, 0
	v_and_b32_e32 v6, 0xff, v2
	s_mov_b64 s[6:7], 0
	v_cmp_eq_u64_e32 vcc, 0, v[6:7]
	s_and_saveexec_b64 s[2:3], vcc
	s_cbranch_execz .LBB1889_8
; %bb.3:
	s_mov_b32 s11, 1
	v_pk_mov_b32 v[8:9], s[16:17], s[16:17] op_sel:[0,1]
.LBB1889_4:                             ; =>This Loop Header: Depth=1
                                        ;     Child Loop BB1889_5 Depth 2
	s_max_u32 s16, s11, 1
.LBB1889_5:                             ;   Parent Loop BB1889_4 Depth=1
                                        ; =>  This Inner Loop Header: Depth=2
	s_add_i32 s16, s16, -1
	s_cmp_eq_u32 s16, 0
	s_sleep 1
	s_cbranch_scc0 .LBB1889_5
; %bb.6:                                ;   in Loop: Header=BB1889_4 Depth=1
	s_cmp_lt_u32 s11, 32
	s_cselect_b64 s[16:17], -1, 0
	s_cmp_lg_u64 s[16:17], 0
	;;#ASMSTART
	global_load_dwordx4 v[0:3], v[8:9] off glc	
s_waitcnt vmcnt(0)
	;;#ASMEND
	v_and_b32_e32 v6, 0xff, v2
	s_addc_u32 s11, s11, 0
	v_cmp_ne_u64_e32 vcc, 0, v[6:7]
	s_or_b64 s[6:7], vcc, s[6:7]
	s_andn2_b64 exec, exec, s[6:7]
	s_cbranch_execnz .LBB1889_4
; %bb.7:
	s_or_b64 exec, exec, s[6:7]
.LBB1889_8:
	s_or_b64 exec, exec, s[2:3]
	v_mov_b32_e32 v2, 0
	global_store_dword v2, v0, s[12:13]
	global_store_byte v2, v1, s[12:13] offset:4
.LBB1889_9:
	s_or_b64 exec, exec, s[0:1]
.LBB1889_10:
	v_cmp_gt_u32_e32 vcc, s10, v4
	s_and_saveexec_b64 s[0:1], vcc
	s_cbranch_execz .LBB1889_12
; %bb.11:
	v_add_u32_e32 v0, 64, v4
	v_mov_b32_e32 v1, 0
	v_lshlrev_b64 v[2:3], 4, v[0:1]
	v_mov_b32_e32 v0, s9
	v_add_co_u32_e32 v6, vcc, s8, v2
	v_addc_co_u32_e32 v7, vcc, v0, v3, vcc
	v_mov_b32_e32 v0, v1
	v_mov_b32_e32 v2, v1
	;; [unrolled: 1-line block ×3, first 2 shown]
	global_store_dwordx4 v[6:7], v[0:3], off
.LBB1889_12:
	s_or_b64 exec, exec, s[0:1]
	v_cmp_gt_u32_e32 vcc, 64, v4
	v_mov_b32_e32 v5, 0
	s_and_saveexec_b64 s[0:1], vcc
	s_cbranch_execz .LBB1889_14
; %bb.13:
	v_lshlrev_b64 v[0:1], 4, v[4:5]
	v_mov_b32_e32 v2, s9
	v_add_co_u32_e32 v6, vcc, s8, v0
	v_addc_co_u32_e32 v7, vcc, v2, v1, vcc
	v_mov_b32_e32 v2, 0xff
	v_mov_b32_e32 v0, v5
	;; [unrolled: 1-line block ×4, first 2 shown]
	global_store_dwordx4 v[6:7], v[0:3], off
.LBB1889_14:
	s_or_b64 exec, exec, s[0:1]
	s_load_dwordx2 s[0:1], s[4:5], 0x28
	s_waitcnt lgkmcnt(0)
	v_cmp_gt_u64_e32 vcc, s[0:1], v[4:5]
	s_and_saveexec_b64 s[2:3], vcc
	s_cbranch_execz .LBB1889_17
; %bb.15:
	s_load_dword s10, s[4:5], 0x30
	s_load_dwordx2 s[6:7], s[4:5], 0x20
	s_mov_b32 s5, 0
	s_mov_b32 s3, s5
	s_mul_i32 s2, s18, s19
	s_waitcnt lgkmcnt(0)
	s_add_i32 s4, s10, -1
	s_lshl_b64 s[4:5], s[4:5], 2
	v_mad_u64_u32 v[0:1], s[8:9], s10, v4, 0
	s_add_u32 s4, s14, s4
	v_lshlrev_b64 v[0:1], 2, v[0:1]
	s_addc_u32 s5, s15, s5
	v_mov_b32_e32 v2, s5
	v_add_co_u32_e32 v0, vcc, s4, v0
	v_addc_co_u32_e32 v1, vcc, v2, v1, vcc
	s_mul_hi_u32 s5, s10, s2
	s_mul_i32 s4, s10, s2
	v_lshlrev_b64 v[2:3], 2, v[4:5]
	s_lshl_b64 s[4:5], s[4:5], 2
	v_mov_b32_e32 v6, s7
	v_add_co_u32_e32 v2, vcc, s6, v2
	s_lshl_b64 s[6:7], s[2:3], 2
	v_addc_co_u32_e32 v3, vcc, v6, v3, vcc
	s_mov_b64 s[8:9], 0
	v_mov_b32_e32 v6, s3
	v_mov_b32_e32 v7, s5
	;; [unrolled: 1-line block ×3, first 2 shown]
.LBB1889_16:                            ; =>This Inner Loop Header: Depth=1
	global_load_dword v9, v[0:1], off
	v_add_co_u32_e32 v4, vcc, s2, v4
	v_addc_co_u32_e32 v5, vcc, v5, v6, vcc
	v_add_co_u32_e32 v0, vcc, s4, v0
	v_addc_co_u32_e32 v1, vcc, v1, v7, vcc
	v_cmp_le_u64_e32 vcc, s[0:1], v[4:5]
	s_or_b64 s[8:9], vcc, s[8:9]
	s_waitcnt vmcnt(0)
	global_store_dword v[2:3], v9, off
	v_add_co_u32_e32 v2, vcc, s6, v2
	v_addc_co_u32_e32 v3, vcc, v3, v8, vcc
	s_andn2_b64 exec, exec, s[8:9]
	s_cbranch_execnz .LBB1889_16
.LBB1889_17:
	s_endpgm
	.section	.rodata,"a",@progbits
	.p2align	6, 0x0
	.amdhsa_kernel _ZN7rocprim17ROCPRIM_400000_NS6detail30init_device_scan_by_key_kernelINS1_19lookback_scan_stateINS0_5tupleIJ11FixedVectorIiLj1EEbEEELb1ELb1EEEN6thrust23THRUST_200600_302600_NS6detail15normal_iteratorINSA_10device_ptrIjEEEEjNS1_16block_id_wrapperIjLb0EEEEEvT_jjPNSI_10value_typeET0_PNSt15iterator_traitsISL_E10value_typeEmT1_T2_
		.amdhsa_group_segment_fixed_size 0
		.amdhsa_private_segment_fixed_size 0
		.amdhsa_kernarg_size 312
		.amdhsa_user_sgpr_count 6
		.amdhsa_user_sgpr_private_segment_buffer 1
		.amdhsa_user_sgpr_dispatch_ptr 0
		.amdhsa_user_sgpr_queue_ptr 0
		.amdhsa_user_sgpr_kernarg_segment_ptr 1
		.amdhsa_user_sgpr_dispatch_id 0
		.amdhsa_user_sgpr_flat_scratch_init 0
		.amdhsa_user_sgpr_kernarg_preload_length 0
		.amdhsa_user_sgpr_kernarg_preload_offset 0
		.amdhsa_user_sgpr_private_segment_size 0
		.amdhsa_uses_dynamic_stack 0
		.amdhsa_system_sgpr_private_segment_wavefront_offset 0
		.amdhsa_system_sgpr_workgroup_id_x 1
		.amdhsa_system_sgpr_workgroup_id_y 0
		.amdhsa_system_sgpr_workgroup_id_z 0
		.amdhsa_system_sgpr_workgroup_info 0
		.amdhsa_system_vgpr_workitem_id 0
		.amdhsa_next_free_vgpr 10
		.amdhsa_next_free_sgpr 20
		.amdhsa_accum_offset 12
		.amdhsa_reserve_vcc 1
		.amdhsa_reserve_flat_scratch 0
		.amdhsa_float_round_mode_32 0
		.amdhsa_float_round_mode_16_64 0
		.amdhsa_float_denorm_mode_32 3
		.amdhsa_float_denorm_mode_16_64 3
		.amdhsa_dx10_clamp 1
		.amdhsa_ieee_mode 1
		.amdhsa_fp16_overflow 0
		.amdhsa_tg_split 0
		.amdhsa_exception_fp_ieee_invalid_op 0
		.amdhsa_exception_fp_denorm_src 0
		.amdhsa_exception_fp_ieee_div_zero 0
		.amdhsa_exception_fp_ieee_overflow 0
		.amdhsa_exception_fp_ieee_underflow 0
		.amdhsa_exception_fp_ieee_inexact 0
		.amdhsa_exception_int_div_zero 0
	.end_amdhsa_kernel
	.section	.text._ZN7rocprim17ROCPRIM_400000_NS6detail30init_device_scan_by_key_kernelINS1_19lookback_scan_stateINS0_5tupleIJ11FixedVectorIiLj1EEbEEELb1ELb1EEEN6thrust23THRUST_200600_302600_NS6detail15normal_iteratorINSA_10device_ptrIjEEEEjNS1_16block_id_wrapperIjLb0EEEEEvT_jjPNSI_10value_typeET0_PNSt15iterator_traitsISL_E10value_typeEmT1_T2_,"axG",@progbits,_ZN7rocprim17ROCPRIM_400000_NS6detail30init_device_scan_by_key_kernelINS1_19lookback_scan_stateINS0_5tupleIJ11FixedVectorIiLj1EEbEEELb1ELb1EEEN6thrust23THRUST_200600_302600_NS6detail15normal_iteratorINSA_10device_ptrIjEEEEjNS1_16block_id_wrapperIjLb0EEEEEvT_jjPNSI_10value_typeET0_PNSt15iterator_traitsISL_E10value_typeEmT1_T2_,comdat
.Lfunc_end1889:
	.size	_ZN7rocprim17ROCPRIM_400000_NS6detail30init_device_scan_by_key_kernelINS1_19lookback_scan_stateINS0_5tupleIJ11FixedVectorIiLj1EEbEEELb1ELb1EEEN6thrust23THRUST_200600_302600_NS6detail15normal_iteratorINSA_10device_ptrIjEEEEjNS1_16block_id_wrapperIjLb0EEEEEvT_jjPNSI_10value_typeET0_PNSt15iterator_traitsISL_E10value_typeEmT1_T2_, .Lfunc_end1889-_ZN7rocprim17ROCPRIM_400000_NS6detail30init_device_scan_by_key_kernelINS1_19lookback_scan_stateINS0_5tupleIJ11FixedVectorIiLj1EEbEEELb1ELb1EEEN6thrust23THRUST_200600_302600_NS6detail15normal_iteratorINSA_10device_ptrIjEEEEjNS1_16block_id_wrapperIjLb0EEEEEvT_jjPNSI_10value_typeET0_PNSt15iterator_traitsISL_E10value_typeEmT1_T2_
                                        ; -- End function
	.section	.AMDGPU.csdata,"",@progbits
; Kernel info:
; codeLenInByte = 612
; NumSgprs: 24
; NumVgprs: 10
; NumAgprs: 0
; TotalNumVgprs: 10
; ScratchSize: 0
; MemoryBound: 0
; FloatMode: 240
; IeeeMode: 1
; LDSByteSize: 0 bytes/workgroup (compile time only)
; SGPRBlocks: 2
; VGPRBlocks: 1
; NumSGPRsForWavesPerEU: 24
; NumVGPRsForWavesPerEU: 10
; AccumOffset: 12
; Occupancy: 8
; WaveLimiterHint : 0
; COMPUTE_PGM_RSRC2:SCRATCH_EN: 0
; COMPUTE_PGM_RSRC2:USER_SGPR: 6
; COMPUTE_PGM_RSRC2:TRAP_HANDLER: 0
; COMPUTE_PGM_RSRC2:TGID_X_EN: 1
; COMPUTE_PGM_RSRC2:TGID_Y_EN: 0
; COMPUTE_PGM_RSRC2:TGID_Z_EN: 0
; COMPUTE_PGM_RSRC2:TIDIG_COMP_CNT: 0
; COMPUTE_PGM_RSRC3_GFX90A:ACCUM_OFFSET: 2
; COMPUTE_PGM_RSRC3_GFX90A:TG_SPLIT: 0
	.section	.text._ZN7rocprim17ROCPRIM_400000_NS6detail30init_device_scan_by_key_kernelINS1_19lookback_scan_stateINS0_5tupleIJ11FixedVectorIiLj1EEbEEELb1ELb1EEENS1_16block_id_wrapperIjLb0EEEEEvT_jjPNSB_10value_typeET0_,"axG",@progbits,_ZN7rocprim17ROCPRIM_400000_NS6detail30init_device_scan_by_key_kernelINS1_19lookback_scan_stateINS0_5tupleIJ11FixedVectorIiLj1EEbEEELb1ELb1EEENS1_16block_id_wrapperIjLb0EEEEEvT_jjPNSB_10value_typeET0_,comdat
	.protected	_ZN7rocprim17ROCPRIM_400000_NS6detail30init_device_scan_by_key_kernelINS1_19lookback_scan_stateINS0_5tupleIJ11FixedVectorIiLj1EEbEEELb1ELb1EEENS1_16block_id_wrapperIjLb0EEEEEvT_jjPNSB_10value_typeET0_ ; -- Begin function _ZN7rocprim17ROCPRIM_400000_NS6detail30init_device_scan_by_key_kernelINS1_19lookback_scan_stateINS0_5tupleIJ11FixedVectorIiLj1EEbEEELb1ELb1EEENS1_16block_id_wrapperIjLb0EEEEEvT_jjPNSB_10value_typeET0_
	.globl	_ZN7rocprim17ROCPRIM_400000_NS6detail30init_device_scan_by_key_kernelINS1_19lookback_scan_stateINS0_5tupleIJ11FixedVectorIiLj1EEbEEELb1ELb1EEENS1_16block_id_wrapperIjLb0EEEEEvT_jjPNSB_10value_typeET0_
	.p2align	8
	.type	_ZN7rocprim17ROCPRIM_400000_NS6detail30init_device_scan_by_key_kernelINS1_19lookback_scan_stateINS0_5tupleIJ11FixedVectorIiLj1EEbEEELb1ELb1EEENS1_16block_id_wrapperIjLb0EEEEEvT_jjPNSB_10value_typeET0_,@function
_ZN7rocprim17ROCPRIM_400000_NS6detail30init_device_scan_by_key_kernelINS1_19lookback_scan_stateINS0_5tupleIJ11FixedVectorIiLj1EEbEEELb1ELb1EEENS1_16block_id_wrapperIjLb0EEEEEvT_jjPNSB_10value_typeET0_: ; @_ZN7rocprim17ROCPRIM_400000_NS6detail30init_device_scan_by_key_kernelINS1_19lookback_scan_stateINS0_5tupleIJ11FixedVectorIiLj1EEbEEELb1ELb1EEENS1_16block_id_wrapperIjLb0EEEEEvT_jjPNSB_10value_typeET0_
; %bb.0:
	s_load_dword s7, s[4:5], 0x2c
	s_load_dwordx2 s[8:9], s[4:5], 0x10
	s_load_dwordx4 s[0:3], s[4:5], 0x0
	s_waitcnt lgkmcnt(0)
	s_and_b32 s4, s7, 0xffff
	s_mul_i32 s6, s6, s4
	s_cmp_eq_u64 s[8:9], 0
	v_add_u32_e32 v0, s6, v0
	s_cbranch_scc1 .LBB1890_10
; %bb.1:
	s_cmp_lt_u32 s3, s2
	s_cselect_b32 s4, s3, 0
	s_mov_b32 s7, 0
	v_cmp_eq_u32_e32 vcc, s4, v0
	s_and_saveexec_b64 s[4:5], vcc
	s_cbranch_execz .LBB1890_9
; %bb.2:
	s_add_i32 s6, s3, 64
	s_lshl_b64 s[6:7], s[6:7], 4
	s_add_u32 s12, s0, s6
	s_addc_u32 s13, s1, s7
	v_pk_mov_b32 v[2:3], s[12:13], s[12:13] op_sel:[0,1]
	;;#ASMSTART
	global_load_dwordx4 v[2:5], v[2:3] off glc	
s_waitcnt vmcnt(0)
	;;#ASMEND
	v_mov_b32_e32 v7, 0
	v_and_b32_e32 v6, 0xff, v4
	s_mov_b64 s[10:11], 0
	v_cmp_eq_u64_e32 vcc, 0, v[6:7]
	s_and_saveexec_b64 s[6:7], vcc
	s_cbranch_execz .LBB1890_8
; %bb.3:
	s_mov_b32 s3, 1
	v_pk_mov_b32 v[8:9], s[12:13], s[12:13] op_sel:[0,1]
.LBB1890_4:                             ; =>This Loop Header: Depth=1
                                        ;     Child Loop BB1890_5 Depth 2
	s_max_u32 s12, s3, 1
.LBB1890_5:                             ;   Parent Loop BB1890_4 Depth=1
                                        ; =>  This Inner Loop Header: Depth=2
	s_add_i32 s12, s12, -1
	s_cmp_eq_u32 s12, 0
	s_sleep 1
	s_cbranch_scc0 .LBB1890_5
; %bb.6:                                ;   in Loop: Header=BB1890_4 Depth=1
	s_cmp_lt_u32 s3, 32
	s_cselect_b64 s[12:13], -1, 0
	s_cmp_lg_u64 s[12:13], 0
	;;#ASMSTART
	global_load_dwordx4 v[2:5], v[8:9] off glc	
s_waitcnt vmcnt(0)
	;;#ASMEND
	v_and_b32_e32 v6, 0xff, v4
	s_addc_u32 s3, s3, 0
	v_cmp_ne_u64_e32 vcc, 0, v[6:7]
	s_or_b64 s[10:11], vcc, s[10:11]
	s_andn2_b64 exec, exec, s[10:11]
	s_cbranch_execnz .LBB1890_4
; %bb.7:
	s_or_b64 exec, exec, s[10:11]
.LBB1890_8:
	s_or_b64 exec, exec, s[6:7]
	v_mov_b32_e32 v1, 0
	global_store_dword v1, v2, s[8:9]
	global_store_byte v1, v3, s[8:9] offset:4
.LBB1890_9:
	s_or_b64 exec, exec, s[4:5]
.LBB1890_10:
	v_cmp_gt_u32_e32 vcc, s2, v0
	s_and_saveexec_b64 s[2:3], vcc
	s_cbranch_execnz .LBB1890_13
; %bb.11:
	s_or_b64 exec, exec, s[2:3]
	v_cmp_gt_u32_e32 vcc, 64, v0
	s_and_saveexec_b64 s[2:3], vcc
	s_cbranch_execnz .LBB1890_14
.LBB1890_12:
	s_endpgm
.LBB1890_13:
	v_add_u32_e32 v2, 64, v0
	v_mov_b32_e32 v3, 0
	v_lshlrev_b64 v[4:5], 4, v[2:3]
	v_mov_b32_e32 v1, s1
	v_add_co_u32_e32 v6, vcc, s0, v4
	v_addc_co_u32_e32 v7, vcc, v1, v5, vcc
	v_mov_b32_e32 v2, v3
	v_mov_b32_e32 v4, v3
	;; [unrolled: 1-line block ×3, first 2 shown]
	global_store_dwordx4 v[6:7], v[2:5], off
	s_or_b64 exec, exec, s[2:3]
	v_cmp_gt_u32_e32 vcc, 64, v0
	s_and_saveexec_b64 s[2:3], vcc
	s_cbranch_execz .LBB1890_12
.LBB1890_14:
	v_mov_b32_e32 v1, 0
	v_lshlrev_b64 v[2:3], 4, v[0:1]
	v_mov_b32_e32 v0, s1
	v_add_co_u32_e32 v4, vcc, s0, v2
	v_addc_co_u32_e32 v5, vcc, v0, v3, vcc
	v_mov_b32_e32 v2, 0xff
	v_mov_b32_e32 v0, v1
	;; [unrolled: 1-line block ×3, first 2 shown]
	global_store_dwordx4 v[4:5], v[0:3], off
	s_endpgm
	.section	.rodata,"a",@progbits
	.p2align	6, 0x0
	.amdhsa_kernel _ZN7rocprim17ROCPRIM_400000_NS6detail30init_device_scan_by_key_kernelINS1_19lookback_scan_stateINS0_5tupleIJ11FixedVectorIiLj1EEbEEELb1ELb1EEENS1_16block_id_wrapperIjLb0EEEEEvT_jjPNSB_10value_typeET0_
		.amdhsa_group_segment_fixed_size 0
		.amdhsa_private_segment_fixed_size 0
		.amdhsa_kernarg_size 288
		.amdhsa_user_sgpr_count 6
		.amdhsa_user_sgpr_private_segment_buffer 1
		.amdhsa_user_sgpr_dispatch_ptr 0
		.amdhsa_user_sgpr_queue_ptr 0
		.amdhsa_user_sgpr_kernarg_segment_ptr 1
		.amdhsa_user_sgpr_dispatch_id 0
		.amdhsa_user_sgpr_flat_scratch_init 0
		.amdhsa_user_sgpr_kernarg_preload_length 0
		.amdhsa_user_sgpr_kernarg_preload_offset 0
		.amdhsa_user_sgpr_private_segment_size 0
		.amdhsa_uses_dynamic_stack 0
		.amdhsa_system_sgpr_private_segment_wavefront_offset 0
		.amdhsa_system_sgpr_workgroup_id_x 1
		.amdhsa_system_sgpr_workgroup_id_y 0
		.amdhsa_system_sgpr_workgroup_id_z 0
		.amdhsa_system_sgpr_workgroup_info 0
		.amdhsa_system_vgpr_workitem_id 0
		.amdhsa_next_free_vgpr 10
		.amdhsa_next_free_sgpr 14
		.amdhsa_accum_offset 12
		.amdhsa_reserve_vcc 1
		.amdhsa_reserve_flat_scratch 0
		.amdhsa_float_round_mode_32 0
		.amdhsa_float_round_mode_16_64 0
		.amdhsa_float_denorm_mode_32 3
		.amdhsa_float_denorm_mode_16_64 3
		.amdhsa_dx10_clamp 1
		.amdhsa_ieee_mode 1
		.amdhsa_fp16_overflow 0
		.amdhsa_tg_split 0
		.amdhsa_exception_fp_ieee_invalid_op 0
		.amdhsa_exception_fp_denorm_src 0
		.amdhsa_exception_fp_ieee_div_zero 0
		.amdhsa_exception_fp_ieee_overflow 0
		.amdhsa_exception_fp_ieee_underflow 0
		.amdhsa_exception_fp_ieee_inexact 0
		.amdhsa_exception_int_div_zero 0
	.end_amdhsa_kernel
	.section	.text._ZN7rocprim17ROCPRIM_400000_NS6detail30init_device_scan_by_key_kernelINS1_19lookback_scan_stateINS0_5tupleIJ11FixedVectorIiLj1EEbEEELb1ELb1EEENS1_16block_id_wrapperIjLb0EEEEEvT_jjPNSB_10value_typeET0_,"axG",@progbits,_ZN7rocprim17ROCPRIM_400000_NS6detail30init_device_scan_by_key_kernelINS1_19lookback_scan_stateINS0_5tupleIJ11FixedVectorIiLj1EEbEEELb1ELb1EEENS1_16block_id_wrapperIjLb0EEEEEvT_jjPNSB_10value_typeET0_,comdat
.Lfunc_end1890:
	.size	_ZN7rocprim17ROCPRIM_400000_NS6detail30init_device_scan_by_key_kernelINS1_19lookback_scan_stateINS0_5tupleIJ11FixedVectorIiLj1EEbEEELb1ELb1EEENS1_16block_id_wrapperIjLb0EEEEEvT_jjPNSB_10value_typeET0_, .Lfunc_end1890-_ZN7rocprim17ROCPRIM_400000_NS6detail30init_device_scan_by_key_kernelINS1_19lookback_scan_stateINS0_5tupleIJ11FixedVectorIiLj1EEbEEELb1ELb1EEENS1_16block_id_wrapperIjLb0EEEEEvT_jjPNSB_10value_typeET0_
                                        ; -- End function
	.section	.AMDGPU.csdata,"",@progbits
; Kernel info:
; codeLenInByte = 412
; NumSgprs: 18
; NumVgprs: 10
; NumAgprs: 0
; TotalNumVgprs: 10
; ScratchSize: 0
; MemoryBound: 0
; FloatMode: 240
; IeeeMode: 1
; LDSByteSize: 0 bytes/workgroup (compile time only)
; SGPRBlocks: 2
; VGPRBlocks: 1
; NumSGPRsForWavesPerEU: 18
; NumVGPRsForWavesPerEU: 10
; AccumOffset: 12
; Occupancy: 8
; WaveLimiterHint : 0
; COMPUTE_PGM_RSRC2:SCRATCH_EN: 0
; COMPUTE_PGM_RSRC2:USER_SGPR: 6
; COMPUTE_PGM_RSRC2:TRAP_HANDLER: 0
; COMPUTE_PGM_RSRC2:TGID_X_EN: 1
; COMPUTE_PGM_RSRC2:TGID_Y_EN: 0
; COMPUTE_PGM_RSRC2:TGID_Z_EN: 0
; COMPUTE_PGM_RSRC2:TIDIG_COMP_CNT: 0
; COMPUTE_PGM_RSRC3_GFX90A:ACCUM_OFFSET: 2
; COMPUTE_PGM_RSRC3_GFX90A:TG_SPLIT: 0
	.section	.text._ZN7rocprim17ROCPRIM_400000_NS6detail17trampoline_kernelINS0_14default_configENS1_27scan_by_key_config_selectorIj11FixedVectorIiLj1EEEEZZNS1_16scan_by_key_implILNS1_25lookback_scan_determinismE0ELb0ES3_N6thrust23THRUST_200600_302600_NS6detail15normal_iteratorINSB_10device_ptrIjEEEENSD_INSE_IS6_EEEESI_S6_NSB_4plusIvEENSB_8equal_toIvEES6_EE10hipError_tPvRmT2_T3_T4_T5_mT6_T7_P12ihipStream_tbENKUlT_T0_E_clISt17integral_constantIbLb1EES12_IbLb0EEEEDaSY_SZ_EUlSY_E_NS1_11comp_targetILNS1_3genE0ELNS1_11target_archE4294967295ELNS1_3gpuE0ELNS1_3repE0EEENS1_30default_config_static_selectorELNS0_4arch9wavefront6targetE1EEEvT1_,"axG",@progbits,_ZN7rocprim17ROCPRIM_400000_NS6detail17trampoline_kernelINS0_14default_configENS1_27scan_by_key_config_selectorIj11FixedVectorIiLj1EEEEZZNS1_16scan_by_key_implILNS1_25lookback_scan_determinismE0ELb0ES3_N6thrust23THRUST_200600_302600_NS6detail15normal_iteratorINSB_10device_ptrIjEEEENSD_INSE_IS6_EEEESI_S6_NSB_4plusIvEENSB_8equal_toIvEES6_EE10hipError_tPvRmT2_T3_T4_T5_mT6_T7_P12ihipStream_tbENKUlT_T0_E_clISt17integral_constantIbLb1EES12_IbLb0EEEEDaSY_SZ_EUlSY_E_NS1_11comp_targetILNS1_3genE0ELNS1_11target_archE4294967295ELNS1_3gpuE0ELNS1_3repE0EEENS1_30default_config_static_selectorELNS0_4arch9wavefront6targetE1EEEvT1_,comdat
	.protected	_ZN7rocprim17ROCPRIM_400000_NS6detail17trampoline_kernelINS0_14default_configENS1_27scan_by_key_config_selectorIj11FixedVectorIiLj1EEEEZZNS1_16scan_by_key_implILNS1_25lookback_scan_determinismE0ELb0ES3_N6thrust23THRUST_200600_302600_NS6detail15normal_iteratorINSB_10device_ptrIjEEEENSD_INSE_IS6_EEEESI_S6_NSB_4plusIvEENSB_8equal_toIvEES6_EE10hipError_tPvRmT2_T3_T4_T5_mT6_T7_P12ihipStream_tbENKUlT_T0_E_clISt17integral_constantIbLb1EES12_IbLb0EEEEDaSY_SZ_EUlSY_E_NS1_11comp_targetILNS1_3genE0ELNS1_11target_archE4294967295ELNS1_3gpuE0ELNS1_3repE0EEENS1_30default_config_static_selectorELNS0_4arch9wavefront6targetE1EEEvT1_ ; -- Begin function _ZN7rocprim17ROCPRIM_400000_NS6detail17trampoline_kernelINS0_14default_configENS1_27scan_by_key_config_selectorIj11FixedVectorIiLj1EEEEZZNS1_16scan_by_key_implILNS1_25lookback_scan_determinismE0ELb0ES3_N6thrust23THRUST_200600_302600_NS6detail15normal_iteratorINSB_10device_ptrIjEEEENSD_INSE_IS6_EEEESI_S6_NSB_4plusIvEENSB_8equal_toIvEES6_EE10hipError_tPvRmT2_T3_T4_T5_mT6_T7_P12ihipStream_tbENKUlT_T0_E_clISt17integral_constantIbLb1EES12_IbLb0EEEEDaSY_SZ_EUlSY_E_NS1_11comp_targetILNS1_3genE0ELNS1_11target_archE4294967295ELNS1_3gpuE0ELNS1_3repE0EEENS1_30default_config_static_selectorELNS0_4arch9wavefront6targetE1EEEvT1_
	.globl	_ZN7rocprim17ROCPRIM_400000_NS6detail17trampoline_kernelINS0_14default_configENS1_27scan_by_key_config_selectorIj11FixedVectorIiLj1EEEEZZNS1_16scan_by_key_implILNS1_25lookback_scan_determinismE0ELb0ES3_N6thrust23THRUST_200600_302600_NS6detail15normal_iteratorINSB_10device_ptrIjEEEENSD_INSE_IS6_EEEESI_S6_NSB_4plusIvEENSB_8equal_toIvEES6_EE10hipError_tPvRmT2_T3_T4_T5_mT6_T7_P12ihipStream_tbENKUlT_T0_E_clISt17integral_constantIbLb1EES12_IbLb0EEEEDaSY_SZ_EUlSY_E_NS1_11comp_targetILNS1_3genE0ELNS1_11target_archE4294967295ELNS1_3gpuE0ELNS1_3repE0EEENS1_30default_config_static_selectorELNS0_4arch9wavefront6targetE1EEEvT1_
	.p2align	8
	.type	_ZN7rocprim17ROCPRIM_400000_NS6detail17trampoline_kernelINS0_14default_configENS1_27scan_by_key_config_selectorIj11FixedVectorIiLj1EEEEZZNS1_16scan_by_key_implILNS1_25lookback_scan_determinismE0ELb0ES3_N6thrust23THRUST_200600_302600_NS6detail15normal_iteratorINSB_10device_ptrIjEEEENSD_INSE_IS6_EEEESI_S6_NSB_4plusIvEENSB_8equal_toIvEES6_EE10hipError_tPvRmT2_T3_T4_T5_mT6_T7_P12ihipStream_tbENKUlT_T0_E_clISt17integral_constantIbLb1EES12_IbLb0EEEEDaSY_SZ_EUlSY_E_NS1_11comp_targetILNS1_3genE0ELNS1_11target_archE4294967295ELNS1_3gpuE0ELNS1_3repE0EEENS1_30default_config_static_selectorELNS0_4arch9wavefront6targetE1EEEvT1_,@function
_ZN7rocprim17ROCPRIM_400000_NS6detail17trampoline_kernelINS0_14default_configENS1_27scan_by_key_config_selectorIj11FixedVectorIiLj1EEEEZZNS1_16scan_by_key_implILNS1_25lookback_scan_determinismE0ELb0ES3_N6thrust23THRUST_200600_302600_NS6detail15normal_iteratorINSB_10device_ptrIjEEEENSD_INSE_IS6_EEEESI_S6_NSB_4plusIvEENSB_8equal_toIvEES6_EE10hipError_tPvRmT2_T3_T4_T5_mT6_T7_P12ihipStream_tbENKUlT_T0_E_clISt17integral_constantIbLb1EES12_IbLb0EEEEDaSY_SZ_EUlSY_E_NS1_11comp_targetILNS1_3genE0ELNS1_11target_archE4294967295ELNS1_3gpuE0ELNS1_3repE0EEENS1_30default_config_static_selectorELNS0_4arch9wavefront6targetE1EEEvT1_: ; @_ZN7rocprim17ROCPRIM_400000_NS6detail17trampoline_kernelINS0_14default_configENS1_27scan_by_key_config_selectorIj11FixedVectorIiLj1EEEEZZNS1_16scan_by_key_implILNS1_25lookback_scan_determinismE0ELb0ES3_N6thrust23THRUST_200600_302600_NS6detail15normal_iteratorINSB_10device_ptrIjEEEENSD_INSE_IS6_EEEESI_S6_NSB_4plusIvEENSB_8equal_toIvEES6_EE10hipError_tPvRmT2_T3_T4_T5_mT6_T7_P12ihipStream_tbENKUlT_T0_E_clISt17integral_constantIbLb1EES12_IbLb0EEEEDaSY_SZ_EUlSY_E_NS1_11comp_targetILNS1_3genE0ELNS1_11target_archE4294967295ELNS1_3gpuE0ELNS1_3repE0EEENS1_30default_config_static_selectorELNS0_4arch9wavefront6targetE1EEEvT1_
; %bb.0:
	.section	.rodata,"a",@progbits
	.p2align	6, 0x0
	.amdhsa_kernel _ZN7rocprim17ROCPRIM_400000_NS6detail17trampoline_kernelINS0_14default_configENS1_27scan_by_key_config_selectorIj11FixedVectorIiLj1EEEEZZNS1_16scan_by_key_implILNS1_25lookback_scan_determinismE0ELb0ES3_N6thrust23THRUST_200600_302600_NS6detail15normal_iteratorINSB_10device_ptrIjEEEENSD_INSE_IS6_EEEESI_S6_NSB_4plusIvEENSB_8equal_toIvEES6_EE10hipError_tPvRmT2_T3_T4_T5_mT6_T7_P12ihipStream_tbENKUlT_T0_E_clISt17integral_constantIbLb1EES12_IbLb0EEEEDaSY_SZ_EUlSY_E_NS1_11comp_targetILNS1_3genE0ELNS1_11target_archE4294967295ELNS1_3gpuE0ELNS1_3repE0EEENS1_30default_config_static_selectorELNS0_4arch9wavefront6targetE1EEEvT1_
		.amdhsa_group_segment_fixed_size 0
		.amdhsa_private_segment_fixed_size 0
		.amdhsa_kernarg_size 112
		.amdhsa_user_sgpr_count 6
		.amdhsa_user_sgpr_private_segment_buffer 1
		.amdhsa_user_sgpr_dispatch_ptr 0
		.amdhsa_user_sgpr_queue_ptr 0
		.amdhsa_user_sgpr_kernarg_segment_ptr 1
		.amdhsa_user_sgpr_dispatch_id 0
		.amdhsa_user_sgpr_flat_scratch_init 0
		.amdhsa_user_sgpr_kernarg_preload_length 0
		.amdhsa_user_sgpr_kernarg_preload_offset 0
		.amdhsa_user_sgpr_private_segment_size 0
		.amdhsa_uses_dynamic_stack 0
		.amdhsa_system_sgpr_private_segment_wavefront_offset 0
		.amdhsa_system_sgpr_workgroup_id_x 1
		.amdhsa_system_sgpr_workgroup_id_y 0
		.amdhsa_system_sgpr_workgroup_id_z 0
		.amdhsa_system_sgpr_workgroup_info 0
		.amdhsa_system_vgpr_workitem_id 0
		.amdhsa_next_free_vgpr 1
		.amdhsa_next_free_sgpr 0
		.amdhsa_accum_offset 4
		.amdhsa_reserve_vcc 0
		.amdhsa_reserve_flat_scratch 0
		.amdhsa_float_round_mode_32 0
		.amdhsa_float_round_mode_16_64 0
		.amdhsa_float_denorm_mode_32 3
		.amdhsa_float_denorm_mode_16_64 3
		.amdhsa_dx10_clamp 1
		.amdhsa_ieee_mode 1
		.amdhsa_fp16_overflow 0
		.amdhsa_tg_split 0
		.amdhsa_exception_fp_ieee_invalid_op 0
		.amdhsa_exception_fp_denorm_src 0
		.amdhsa_exception_fp_ieee_div_zero 0
		.amdhsa_exception_fp_ieee_overflow 0
		.amdhsa_exception_fp_ieee_underflow 0
		.amdhsa_exception_fp_ieee_inexact 0
		.amdhsa_exception_int_div_zero 0
	.end_amdhsa_kernel
	.section	.text._ZN7rocprim17ROCPRIM_400000_NS6detail17trampoline_kernelINS0_14default_configENS1_27scan_by_key_config_selectorIj11FixedVectorIiLj1EEEEZZNS1_16scan_by_key_implILNS1_25lookback_scan_determinismE0ELb0ES3_N6thrust23THRUST_200600_302600_NS6detail15normal_iteratorINSB_10device_ptrIjEEEENSD_INSE_IS6_EEEESI_S6_NSB_4plusIvEENSB_8equal_toIvEES6_EE10hipError_tPvRmT2_T3_T4_T5_mT6_T7_P12ihipStream_tbENKUlT_T0_E_clISt17integral_constantIbLb1EES12_IbLb0EEEEDaSY_SZ_EUlSY_E_NS1_11comp_targetILNS1_3genE0ELNS1_11target_archE4294967295ELNS1_3gpuE0ELNS1_3repE0EEENS1_30default_config_static_selectorELNS0_4arch9wavefront6targetE1EEEvT1_,"axG",@progbits,_ZN7rocprim17ROCPRIM_400000_NS6detail17trampoline_kernelINS0_14default_configENS1_27scan_by_key_config_selectorIj11FixedVectorIiLj1EEEEZZNS1_16scan_by_key_implILNS1_25lookback_scan_determinismE0ELb0ES3_N6thrust23THRUST_200600_302600_NS6detail15normal_iteratorINSB_10device_ptrIjEEEENSD_INSE_IS6_EEEESI_S6_NSB_4plusIvEENSB_8equal_toIvEES6_EE10hipError_tPvRmT2_T3_T4_T5_mT6_T7_P12ihipStream_tbENKUlT_T0_E_clISt17integral_constantIbLb1EES12_IbLb0EEEEDaSY_SZ_EUlSY_E_NS1_11comp_targetILNS1_3genE0ELNS1_11target_archE4294967295ELNS1_3gpuE0ELNS1_3repE0EEENS1_30default_config_static_selectorELNS0_4arch9wavefront6targetE1EEEvT1_,comdat
.Lfunc_end1891:
	.size	_ZN7rocprim17ROCPRIM_400000_NS6detail17trampoline_kernelINS0_14default_configENS1_27scan_by_key_config_selectorIj11FixedVectorIiLj1EEEEZZNS1_16scan_by_key_implILNS1_25lookback_scan_determinismE0ELb0ES3_N6thrust23THRUST_200600_302600_NS6detail15normal_iteratorINSB_10device_ptrIjEEEENSD_INSE_IS6_EEEESI_S6_NSB_4plusIvEENSB_8equal_toIvEES6_EE10hipError_tPvRmT2_T3_T4_T5_mT6_T7_P12ihipStream_tbENKUlT_T0_E_clISt17integral_constantIbLb1EES12_IbLb0EEEEDaSY_SZ_EUlSY_E_NS1_11comp_targetILNS1_3genE0ELNS1_11target_archE4294967295ELNS1_3gpuE0ELNS1_3repE0EEENS1_30default_config_static_selectorELNS0_4arch9wavefront6targetE1EEEvT1_, .Lfunc_end1891-_ZN7rocprim17ROCPRIM_400000_NS6detail17trampoline_kernelINS0_14default_configENS1_27scan_by_key_config_selectorIj11FixedVectorIiLj1EEEEZZNS1_16scan_by_key_implILNS1_25lookback_scan_determinismE0ELb0ES3_N6thrust23THRUST_200600_302600_NS6detail15normal_iteratorINSB_10device_ptrIjEEEENSD_INSE_IS6_EEEESI_S6_NSB_4plusIvEENSB_8equal_toIvEES6_EE10hipError_tPvRmT2_T3_T4_T5_mT6_T7_P12ihipStream_tbENKUlT_T0_E_clISt17integral_constantIbLb1EES12_IbLb0EEEEDaSY_SZ_EUlSY_E_NS1_11comp_targetILNS1_3genE0ELNS1_11target_archE4294967295ELNS1_3gpuE0ELNS1_3repE0EEENS1_30default_config_static_selectorELNS0_4arch9wavefront6targetE1EEEvT1_
                                        ; -- End function
	.section	.AMDGPU.csdata,"",@progbits
; Kernel info:
; codeLenInByte = 0
; NumSgprs: 4
; NumVgprs: 0
; NumAgprs: 0
; TotalNumVgprs: 0
; ScratchSize: 0
; MemoryBound: 0
; FloatMode: 240
; IeeeMode: 1
; LDSByteSize: 0 bytes/workgroup (compile time only)
; SGPRBlocks: 0
; VGPRBlocks: 0
; NumSGPRsForWavesPerEU: 4
; NumVGPRsForWavesPerEU: 1
; AccumOffset: 4
; Occupancy: 8
; WaveLimiterHint : 0
; COMPUTE_PGM_RSRC2:SCRATCH_EN: 0
; COMPUTE_PGM_RSRC2:USER_SGPR: 6
; COMPUTE_PGM_RSRC2:TRAP_HANDLER: 0
; COMPUTE_PGM_RSRC2:TGID_X_EN: 1
; COMPUTE_PGM_RSRC2:TGID_Y_EN: 0
; COMPUTE_PGM_RSRC2:TGID_Z_EN: 0
; COMPUTE_PGM_RSRC2:TIDIG_COMP_CNT: 0
; COMPUTE_PGM_RSRC3_GFX90A:ACCUM_OFFSET: 0
; COMPUTE_PGM_RSRC3_GFX90A:TG_SPLIT: 0
	.section	.text._ZN7rocprim17ROCPRIM_400000_NS6detail17trampoline_kernelINS0_14default_configENS1_27scan_by_key_config_selectorIj11FixedVectorIiLj1EEEEZZNS1_16scan_by_key_implILNS1_25lookback_scan_determinismE0ELb0ES3_N6thrust23THRUST_200600_302600_NS6detail15normal_iteratorINSB_10device_ptrIjEEEENSD_INSE_IS6_EEEESI_S6_NSB_4plusIvEENSB_8equal_toIvEES6_EE10hipError_tPvRmT2_T3_T4_T5_mT6_T7_P12ihipStream_tbENKUlT_T0_E_clISt17integral_constantIbLb1EES12_IbLb0EEEEDaSY_SZ_EUlSY_E_NS1_11comp_targetILNS1_3genE10ELNS1_11target_archE1201ELNS1_3gpuE5ELNS1_3repE0EEENS1_30default_config_static_selectorELNS0_4arch9wavefront6targetE1EEEvT1_,"axG",@progbits,_ZN7rocprim17ROCPRIM_400000_NS6detail17trampoline_kernelINS0_14default_configENS1_27scan_by_key_config_selectorIj11FixedVectorIiLj1EEEEZZNS1_16scan_by_key_implILNS1_25lookback_scan_determinismE0ELb0ES3_N6thrust23THRUST_200600_302600_NS6detail15normal_iteratorINSB_10device_ptrIjEEEENSD_INSE_IS6_EEEESI_S6_NSB_4plusIvEENSB_8equal_toIvEES6_EE10hipError_tPvRmT2_T3_T4_T5_mT6_T7_P12ihipStream_tbENKUlT_T0_E_clISt17integral_constantIbLb1EES12_IbLb0EEEEDaSY_SZ_EUlSY_E_NS1_11comp_targetILNS1_3genE10ELNS1_11target_archE1201ELNS1_3gpuE5ELNS1_3repE0EEENS1_30default_config_static_selectorELNS0_4arch9wavefront6targetE1EEEvT1_,comdat
	.protected	_ZN7rocprim17ROCPRIM_400000_NS6detail17trampoline_kernelINS0_14default_configENS1_27scan_by_key_config_selectorIj11FixedVectorIiLj1EEEEZZNS1_16scan_by_key_implILNS1_25lookback_scan_determinismE0ELb0ES3_N6thrust23THRUST_200600_302600_NS6detail15normal_iteratorINSB_10device_ptrIjEEEENSD_INSE_IS6_EEEESI_S6_NSB_4plusIvEENSB_8equal_toIvEES6_EE10hipError_tPvRmT2_T3_T4_T5_mT6_T7_P12ihipStream_tbENKUlT_T0_E_clISt17integral_constantIbLb1EES12_IbLb0EEEEDaSY_SZ_EUlSY_E_NS1_11comp_targetILNS1_3genE10ELNS1_11target_archE1201ELNS1_3gpuE5ELNS1_3repE0EEENS1_30default_config_static_selectorELNS0_4arch9wavefront6targetE1EEEvT1_ ; -- Begin function _ZN7rocprim17ROCPRIM_400000_NS6detail17trampoline_kernelINS0_14default_configENS1_27scan_by_key_config_selectorIj11FixedVectorIiLj1EEEEZZNS1_16scan_by_key_implILNS1_25lookback_scan_determinismE0ELb0ES3_N6thrust23THRUST_200600_302600_NS6detail15normal_iteratorINSB_10device_ptrIjEEEENSD_INSE_IS6_EEEESI_S6_NSB_4plusIvEENSB_8equal_toIvEES6_EE10hipError_tPvRmT2_T3_T4_T5_mT6_T7_P12ihipStream_tbENKUlT_T0_E_clISt17integral_constantIbLb1EES12_IbLb0EEEEDaSY_SZ_EUlSY_E_NS1_11comp_targetILNS1_3genE10ELNS1_11target_archE1201ELNS1_3gpuE5ELNS1_3repE0EEENS1_30default_config_static_selectorELNS0_4arch9wavefront6targetE1EEEvT1_
	.globl	_ZN7rocprim17ROCPRIM_400000_NS6detail17trampoline_kernelINS0_14default_configENS1_27scan_by_key_config_selectorIj11FixedVectorIiLj1EEEEZZNS1_16scan_by_key_implILNS1_25lookback_scan_determinismE0ELb0ES3_N6thrust23THRUST_200600_302600_NS6detail15normal_iteratorINSB_10device_ptrIjEEEENSD_INSE_IS6_EEEESI_S6_NSB_4plusIvEENSB_8equal_toIvEES6_EE10hipError_tPvRmT2_T3_T4_T5_mT6_T7_P12ihipStream_tbENKUlT_T0_E_clISt17integral_constantIbLb1EES12_IbLb0EEEEDaSY_SZ_EUlSY_E_NS1_11comp_targetILNS1_3genE10ELNS1_11target_archE1201ELNS1_3gpuE5ELNS1_3repE0EEENS1_30default_config_static_selectorELNS0_4arch9wavefront6targetE1EEEvT1_
	.p2align	8
	.type	_ZN7rocprim17ROCPRIM_400000_NS6detail17trampoline_kernelINS0_14default_configENS1_27scan_by_key_config_selectorIj11FixedVectorIiLj1EEEEZZNS1_16scan_by_key_implILNS1_25lookback_scan_determinismE0ELb0ES3_N6thrust23THRUST_200600_302600_NS6detail15normal_iteratorINSB_10device_ptrIjEEEENSD_INSE_IS6_EEEESI_S6_NSB_4plusIvEENSB_8equal_toIvEES6_EE10hipError_tPvRmT2_T3_T4_T5_mT6_T7_P12ihipStream_tbENKUlT_T0_E_clISt17integral_constantIbLb1EES12_IbLb0EEEEDaSY_SZ_EUlSY_E_NS1_11comp_targetILNS1_3genE10ELNS1_11target_archE1201ELNS1_3gpuE5ELNS1_3repE0EEENS1_30default_config_static_selectorELNS0_4arch9wavefront6targetE1EEEvT1_,@function
_ZN7rocprim17ROCPRIM_400000_NS6detail17trampoline_kernelINS0_14default_configENS1_27scan_by_key_config_selectorIj11FixedVectorIiLj1EEEEZZNS1_16scan_by_key_implILNS1_25lookback_scan_determinismE0ELb0ES3_N6thrust23THRUST_200600_302600_NS6detail15normal_iteratorINSB_10device_ptrIjEEEENSD_INSE_IS6_EEEESI_S6_NSB_4plusIvEENSB_8equal_toIvEES6_EE10hipError_tPvRmT2_T3_T4_T5_mT6_T7_P12ihipStream_tbENKUlT_T0_E_clISt17integral_constantIbLb1EES12_IbLb0EEEEDaSY_SZ_EUlSY_E_NS1_11comp_targetILNS1_3genE10ELNS1_11target_archE1201ELNS1_3gpuE5ELNS1_3repE0EEENS1_30default_config_static_selectorELNS0_4arch9wavefront6targetE1EEEvT1_: ; @_ZN7rocprim17ROCPRIM_400000_NS6detail17trampoline_kernelINS0_14default_configENS1_27scan_by_key_config_selectorIj11FixedVectorIiLj1EEEEZZNS1_16scan_by_key_implILNS1_25lookback_scan_determinismE0ELb0ES3_N6thrust23THRUST_200600_302600_NS6detail15normal_iteratorINSB_10device_ptrIjEEEENSD_INSE_IS6_EEEESI_S6_NSB_4plusIvEENSB_8equal_toIvEES6_EE10hipError_tPvRmT2_T3_T4_T5_mT6_T7_P12ihipStream_tbENKUlT_T0_E_clISt17integral_constantIbLb1EES12_IbLb0EEEEDaSY_SZ_EUlSY_E_NS1_11comp_targetILNS1_3genE10ELNS1_11target_archE1201ELNS1_3gpuE5ELNS1_3repE0EEENS1_30default_config_static_selectorELNS0_4arch9wavefront6targetE1EEEvT1_
; %bb.0:
	.section	.rodata,"a",@progbits
	.p2align	6, 0x0
	.amdhsa_kernel _ZN7rocprim17ROCPRIM_400000_NS6detail17trampoline_kernelINS0_14default_configENS1_27scan_by_key_config_selectorIj11FixedVectorIiLj1EEEEZZNS1_16scan_by_key_implILNS1_25lookback_scan_determinismE0ELb0ES3_N6thrust23THRUST_200600_302600_NS6detail15normal_iteratorINSB_10device_ptrIjEEEENSD_INSE_IS6_EEEESI_S6_NSB_4plusIvEENSB_8equal_toIvEES6_EE10hipError_tPvRmT2_T3_T4_T5_mT6_T7_P12ihipStream_tbENKUlT_T0_E_clISt17integral_constantIbLb1EES12_IbLb0EEEEDaSY_SZ_EUlSY_E_NS1_11comp_targetILNS1_3genE10ELNS1_11target_archE1201ELNS1_3gpuE5ELNS1_3repE0EEENS1_30default_config_static_selectorELNS0_4arch9wavefront6targetE1EEEvT1_
		.amdhsa_group_segment_fixed_size 0
		.amdhsa_private_segment_fixed_size 0
		.amdhsa_kernarg_size 112
		.amdhsa_user_sgpr_count 6
		.amdhsa_user_sgpr_private_segment_buffer 1
		.amdhsa_user_sgpr_dispatch_ptr 0
		.amdhsa_user_sgpr_queue_ptr 0
		.amdhsa_user_sgpr_kernarg_segment_ptr 1
		.amdhsa_user_sgpr_dispatch_id 0
		.amdhsa_user_sgpr_flat_scratch_init 0
		.amdhsa_user_sgpr_kernarg_preload_length 0
		.amdhsa_user_sgpr_kernarg_preload_offset 0
		.amdhsa_user_sgpr_private_segment_size 0
		.amdhsa_uses_dynamic_stack 0
		.amdhsa_system_sgpr_private_segment_wavefront_offset 0
		.amdhsa_system_sgpr_workgroup_id_x 1
		.amdhsa_system_sgpr_workgroup_id_y 0
		.amdhsa_system_sgpr_workgroup_id_z 0
		.amdhsa_system_sgpr_workgroup_info 0
		.amdhsa_system_vgpr_workitem_id 0
		.amdhsa_next_free_vgpr 1
		.amdhsa_next_free_sgpr 0
		.amdhsa_accum_offset 4
		.amdhsa_reserve_vcc 0
		.amdhsa_reserve_flat_scratch 0
		.amdhsa_float_round_mode_32 0
		.amdhsa_float_round_mode_16_64 0
		.amdhsa_float_denorm_mode_32 3
		.amdhsa_float_denorm_mode_16_64 3
		.amdhsa_dx10_clamp 1
		.amdhsa_ieee_mode 1
		.amdhsa_fp16_overflow 0
		.amdhsa_tg_split 0
		.amdhsa_exception_fp_ieee_invalid_op 0
		.amdhsa_exception_fp_denorm_src 0
		.amdhsa_exception_fp_ieee_div_zero 0
		.amdhsa_exception_fp_ieee_overflow 0
		.amdhsa_exception_fp_ieee_underflow 0
		.amdhsa_exception_fp_ieee_inexact 0
		.amdhsa_exception_int_div_zero 0
	.end_amdhsa_kernel
	.section	.text._ZN7rocprim17ROCPRIM_400000_NS6detail17trampoline_kernelINS0_14default_configENS1_27scan_by_key_config_selectorIj11FixedVectorIiLj1EEEEZZNS1_16scan_by_key_implILNS1_25lookback_scan_determinismE0ELb0ES3_N6thrust23THRUST_200600_302600_NS6detail15normal_iteratorINSB_10device_ptrIjEEEENSD_INSE_IS6_EEEESI_S6_NSB_4plusIvEENSB_8equal_toIvEES6_EE10hipError_tPvRmT2_T3_T4_T5_mT6_T7_P12ihipStream_tbENKUlT_T0_E_clISt17integral_constantIbLb1EES12_IbLb0EEEEDaSY_SZ_EUlSY_E_NS1_11comp_targetILNS1_3genE10ELNS1_11target_archE1201ELNS1_3gpuE5ELNS1_3repE0EEENS1_30default_config_static_selectorELNS0_4arch9wavefront6targetE1EEEvT1_,"axG",@progbits,_ZN7rocprim17ROCPRIM_400000_NS6detail17trampoline_kernelINS0_14default_configENS1_27scan_by_key_config_selectorIj11FixedVectorIiLj1EEEEZZNS1_16scan_by_key_implILNS1_25lookback_scan_determinismE0ELb0ES3_N6thrust23THRUST_200600_302600_NS6detail15normal_iteratorINSB_10device_ptrIjEEEENSD_INSE_IS6_EEEESI_S6_NSB_4plusIvEENSB_8equal_toIvEES6_EE10hipError_tPvRmT2_T3_T4_T5_mT6_T7_P12ihipStream_tbENKUlT_T0_E_clISt17integral_constantIbLb1EES12_IbLb0EEEEDaSY_SZ_EUlSY_E_NS1_11comp_targetILNS1_3genE10ELNS1_11target_archE1201ELNS1_3gpuE5ELNS1_3repE0EEENS1_30default_config_static_selectorELNS0_4arch9wavefront6targetE1EEEvT1_,comdat
.Lfunc_end1892:
	.size	_ZN7rocprim17ROCPRIM_400000_NS6detail17trampoline_kernelINS0_14default_configENS1_27scan_by_key_config_selectorIj11FixedVectorIiLj1EEEEZZNS1_16scan_by_key_implILNS1_25lookback_scan_determinismE0ELb0ES3_N6thrust23THRUST_200600_302600_NS6detail15normal_iteratorINSB_10device_ptrIjEEEENSD_INSE_IS6_EEEESI_S6_NSB_4plusIvEENSB_8equal_toIvEES6_EE10hipError_tPvRmT2_T3_T4_T5_mT6_T7_P12ihipStream_tbENKUlT_T0_E_clISt17integral_constantIbLb1EES12_IbLb0EEEEDaSY_SZ_EUlSY_E_NS1_11comp_targetILNS1_3genE10ELNS1_11target_archE1201ELNS1_3gpuE5ELNS1_3repE0EEENS1_30default_config_static_selectorELNS0_4arch9wavefront6targetE1EEEvT1_, .Lfunc_end1892-_ZN7rocprim17ROCPRIM_400000_NS6detail17trampoline_kernelINS0_14default_configENS1_27scan_by_key_config_selectorIj11FixedVectorIiLj1EEEEZZNS1_16scan_by_key_implILNS1_25lookback_scan_determinismE0ELb0ES3_N6thrust23THRUST_200600_302600_NS6detail15normal_iteratorINSB_10device_ptrIjEEEENSD_INSE_IS6_EEEESI_S6_NSB_4plusIvEENSB_8equal_toIvEES6_EE10hipError_tPvRmT2_T3_T4_T5_mT6_T7_P12ihipStream_tbENKUlT_T0_E_clISt17integral_constantIbLb1EES12_IbLb0EEEEDaSY_SZ_EUlSY_E_NS1_11comp_targetILNS1_3genE10ELNS1_11target_archE1201ELNS1_3gpuE5ELNS1_3repE0EEENS1_30default_config_static_selectorELNS0_4arch9wavefront6targetE1EEEvT1_
                                        ; -- End function
	.section	.AMDGPU.csdata,"",@progbits
; Kernel info:
; codeLenInByte = 0
; NumSgprs: 4
; NumVgprs: 0
; NumAgprs: 0
; TotalNumVgprs: 0
; ScratchSize: 0
; MemoryBound: 0
; FloatMode: 240
; IeeeMode: 1
; LDSByteSize: 0 bytes/workgroup (compile time only)
; SGPRBlocks: 0
; VGPRBlocks: 0
; NumSGPRsForWavesPerEU: 4
; NumVGPRsForWavesPerEU: 1
; AccumOffset: 4
; Occupancy: 8
; WaveLimiterHint : 0
; COMPUTE_PGM_RSRC2:SCRATCH_EN: 0
; COMPUTE_PGM_RSRC2:USER_SGPR: 6
; COMPUTE_PGM_RSRC2:TRAP_HANDLER: 0
; COMPUTE_PGM_RSRC2:TGID_X_EN: 1
; COMPUTE_PGM_RSRC2:TGID_Y_EN: 0
; COMPUTE_PGM_RSRC2:TGID_Z_EN: 0
; COMPUTE_PGM_RSRC2:TIDIG_COMP_CNT: 0
; COMPUTE_PGM_RSRC3_GFX90A:ACCUM_OFFSET: 0
; COMPUTE_PGM_RSRC3_GFX90A:TG_SPLIT: 0
	.section	.text._ZN7rocprim17ROCPRIM_400000_NS6detail17trampoline_kernelINS0_14default_configENS1_27scan_by_key_config_selectorIj11FixedVectorIiLj1EEEEZZNS1_16scan_by_key_implILNS1_25lookback_scan_determinismE0ELb0ES3_N6thrust23THRUST_200600_302600_NS6detail15normal_iteratorINSB_10device_ptrIjEEEENSD_INSE_IS6_EEEESI_S6_NSB_4plusIvEENSB_8equal_toIvEES6_EE10hipError_tPvRmT2_T3_T4_T5_mT6_T7_P12ihipStream_tbENKUlT_T0_E_clISt17integral_constantIbLb1EES12_IbLb0EEEEDaSY_SZ_EUlSY_E_NS1_11comp_targetILNS1_3genE5ELNS1_11target_archE942ELNS1_3gpuE9ELNS1_3repE0EEENS1_30default_config_static_selectorELNS0_4arch9wavefront6targetE1EEEvT1_,"axG",@progbits,_ZN7rocprim17ROCPRIM_400000_NS6detail17trampoline_kernelINS0_14default_configENS1_27scan_by_key_config_selectorIj11FixedVectorIiLj1EEEEZZNS1_16scan_by_key_implILNS1_25lookback_scan_determinismE0ELb0ES3_N6thrust23THRUST_200600_302600_NS6detail15normal_iteratorINSB_10device_ptrIjEEEENSD_INSE_IS6_EEEESI_S6_NSB_4plusIvEENSB_8equal_toIvEES6_EE10hipError_tPvRmT2_T3_T4_T5_mT6_T7_P12ihipStream_tbENKUlT_T0_E_clISt17integral_constantIbLb1EES12_IbLb0EEEEDaSY_SZ_EUlSY_E_NS1_11comp_targetILNS1_3genE5ELNS1_11target_archE942ELNS1_3gpuE9ELNS1_3repE0EEENS1_30default_config_static_selectorELNS0_4arch9wavefront6targetE1EEEvT1_,comdat
	.protected	_ZN7rocprim17ROCPRIM_400000_NS6detail17trampoline_kernelINS0_14default_configENS1_27scan_by_key_config_selectorIj11FixedVectorIiLj1EEEEZZNS1_16scan_by_key_implILNS1_25lookback_scan_determinismE0ELb0ES3_N6thrust23THRUST_200600_302600_NS6detail15normal_iteratorINSB_10device_ptrIjEEEENSD_INSE_IS6_EEEESI_S6_NSB_4plusIvEENSB_8equal_toIvEES6_EE10hipError_tPvRmT2_T3_T4_T5_mT6_T7_P12ihipStream_tbENKUlT_T0_E_clISt17integral_constantIbLb1EES12_IbLb0EEEEDaSY_SZ_EUlSY_E_NS1_11comp_targetILNS1_3genE5ELNS1_11target_archE942ELNS1_3gpuE9ELNS1_3repE0EEENS1_30default_config_static_selectorELNS0_4arch9wavefront6targetE1EEEvT1_ ; -- Begin function _ZN7rocprim17ROCPRIM_400000_NS6detail17trampoline_kernelINS0_14default_configENS1_27scan_by_key_config_selectorIj11FixedVectorIiLj1EEEEZZNS1_16scan_by_key_implILNS1_25lookback_scan_determinismE0ELb0ES3_N6thrust23THRUST_200600_302600_NS6detail15normal_iteratorINSB_10device_ptrIjEEEENSD_INSE_IS6_EEEESI_S6_NSB_4plusIvEENSB_8equal_toIvEES6_EE10hipError_tPvRmT2_T3_T4_T5_mT6_T7_P12ihipStream_tbENKUlT_T0_E_clISt17integral_constantIbLb1EES12_IbLb0EEEEDaSY_SZ_EUlSY_E_NS1_11comp_targetILNS1_3genE5ELNS1_11target_archE942ELNS1_3gpuE9ELNS1_3repE0EEENS1_30default_config_static_selectorELNS0_4arch9wavefront6targetE1EEEvT1_
	.globl	_ZN7rocprim17ROCPRIM_400000_NS6detail17trampoline_kernelINS0_14default_configENS1_27scan_by_key_config_selectorIj11FixedVectorIiLj1EEEEZZNS1_16scan_by_key_implILNS1_25lookback_scan_determinismE0ELb0ES3_N6thrust23THRUST_200600_302600_NS6detail15normal_iteratorINSB_10device_ptrIjEEEENSD_INSE_IS6_EEEESI_S6_NSB_4plusIvEENSB_8equal_toIvEES6_EE10hipError_tPvRmT2_T3_T4_T5_mT6_T7_P12ihipStream_tbENKUlT_T0_E_clISt17integral_constantIbLb1EES12_IbLb0EEEEDaSY_SZ_EUlSY_E_NS1_11comp_targetILNS1_3genE5ELNS1_11target_archE942ELNS1_3gpuE9ELNS1_3repE0EEENS1_30default_config_static_selectorELNS0_4arch9wavefront6targetE1EEEvT1_
	.p2align	8
	.type	_ZN7rocprim17ROCPRIM_400000_NS6detail17trampoline_kernelINS0_14default_configENS1_27scan_by_key_config_selectorIj11FixedVectorIiLj1EEEEZZNS1_16scan_by_key_implILNS1_25lookback_scan_determinismE0ELb0ES3_N6thrust23THRUST_200600_302600_NS6detail15normal_iteratorINSB_10device_ptrIjEEEENSD_INSE_IS6_EEEESI_S6_NSB_4plusIvEENSB_8equal_toIvEES6_EE10hipError_tPvRmT2_T3_T4_T5_mT6_T7_P12ihipStream_tbENKUlT_T0_E_clISt17integral_constantIbLb1EES12_IbLb0EEEEDaSY_SZ_EUlSY_E_NS1_11comp_targetILNS1_3genE5ELNS1_11target_archE942ELNS1_3gpuE9ELNS1_3repE0EEENS1_30default_config_static_selectorELNS0_4arch9wavefront6targetE1EEEvT1_,@function
_ZN7rocprim17ROCPRIM_400000_NS6detail17trampoline_kernelINS0_14default_configENS1_27scan_by_key_config_selectorIj11FixedVectorIiLj1EEEEZZNS1_16scan_by_key_implILNS1_25lookback_scan_determinismE0ELb0ES3_N6thrust23THRUST_200600_302600_NS6detail15normal_iteratorINSB_10device_ptrIjEEEENSD_INSE_IS6_EEEESI_S6_NSB_4plusIvEENSB_8equal_toIvEES6_EE10hipError_tPvRmT2_T3_T4_T5_mT6_T7_P12ihipStream_tbENKUlT_T0_E_clISt17integral_constantIbLb1EES12_IbLb0EEEEDaSY_SZ_EUlSY_E_NS1_11comp_targetILNS1_3genE5ELNS1_11target_archE942ELNS1_3gpuE9ELNS1_3repE0EEENS1_30default_config_static_selectorELNS0_4arch9wavefront6targetE1EEEvT1_: ; @_ZN7rocprim17ROCPRIM_400000_NS6detail17trampoline_kernelINS0_14default_configENS1_27scan_by_key_config_selectorIj11FixedVectorIiLj1EEEEZZNS1_16scan_by_key_implILNS1_25lookback_scan_determinismE0ELb0ES3_N6thrust23THRUST_200600_302600_NS6detail15normal_iteratorINSB_10device_ptrIjEEEENSD_INSE_IS6_EEEESI_S6_NSB_4plusIvEENSB_8equal_toIvEES6_EE10hipError_tPvRmT2_T3_T4_T5_mT6_T7_P12ihipStream_tbENKUlT_T0_E_clISt17integral_constantIbLb1EES12_IbLb0EEEEDaSY_SZ_EUlSY_E_NS1_11comp_targetILNS1_3genE5ELNS1_11target_archE942ELNS1_3gpuE9ELNS1_3repE0EEENS1_30default_config_static_selectorELNS0_4arch9wavefront6targetE1EEEvT1_
; %bb.0:
	.section	.rodata,"a",@progbits
	.p2align	6, 0x0
	.amdhsa_kernel _ZN7rocprim17ROCPRIM_400000_NS6detail17trampoline_kernelINS0_14default_configENS1_27scan_by_key_config_selectorIj11FixedVectorIiLj1EEEEZZNS1_16scan_by_key_implILNS1_25lookback_scan_determinismE0ELb0ES3_N6thrust23THRUST_200600_302600_NS6detail15normal_iteratorINSB_10device_ptrIjEEEENSD_INSE_IS6_EEEESI_S6_NSB_4plusIvEENSB_8equal_toIvEES6_EE10hipError_tPvRmT2_T3_T4_T5_mT6_T7_P12ihipStream_tbENKUlT_T0_E_clISt17integral_constantIbLb1EES12_IbLb0EEEEDaSY_SZ_EUlSY_E_NS1_11comp_targetILNS1_3genE5ELNS1_11target_archE942ELNS1_3gpuE9ELNS1_3repE0EEENS1_30default_config_static_selectorELNS0_4arch9wavefront6targetE1EEEvT1_
		.amdhsa_group_segment_fixed_size 0
		.amdhsa_private_segment_fixed_size 0
		.amdhsa_kernarg_size 112
		.amdhsa_user_sgpr_count 6
		.amdhsa_user_sgpr_private_segment_buffer 1
		.amdhsa_user_sgpr_dispatch_ptr 0
		.amdhsa_user_sgpr_queue_ptr 0
		.amdhsa_user_sgpr_kernarg_segment_ptr 1
		.amdhsa_user_sgpr_dispatch_id 0
		.amdhsa_user_sgpr_flat_scratch_init 0
		.amdhsa_user_sgpr_kernarg_preload_length 0
		.amdhsa_user_sgpr_kernarg_preload_offset 0
		.amdhsa_user_sgpr_private_segment_size 0
		.amdhsa_uses_dynamic_stack 0
		.amdhsa_system_sgpr_private_segment_wavefront_offset 0
		.amdhsa_system_sgpr_workgroup_id_x 1
		.amdhsa_system_sgpr_workgroup_id_y 0
		.amdhsa_system_sgpr_workgroup_id_z 0
		.amdhsa_system_sgpr_workgroup_info 0
		.amdhsa_system_vgpr_workitem_id 0
		.amdhsa_next_free_vgpr 1
		.amdhsa_next_free_sgpr 0
		.amdhsa_accum_offset 4
		.amdhsa_reserve_vcc 0
		.amdhsa_reserve_flat_scratch 0
		.amdhsa_float_round_mode_32 0
		.amdhsa_float_round_mode_16_64 0
		.amdhsa_float_denorm_mode_32 3
		.amdhsa_float_denorm_mode_16_64 3
		.amdhsa_dx10_clamp 1
		.amdhsa_ieee_mode 1
		.amdhsa_fp16_overflow 0
		.amdhsa_tg_split 0
		.amdhsa_exception_fp_ieee_invalid_op 0
		.amdhsa_exception_fp_denorm_src 0
		.amdhsa_exception_fp_ieee_div_zero 0
		.amdhsa_exception_fp_ieee_overflow 0
		.amdhsa_exception_fp_ieee_underflow 0
		.amdhsa_exception_fp_ieee_inexact 0
		.amdhsa_exception_int_div_zero 0
	.end_amdhsa_kernel
	.section	.text._ZN7rocprim17ROCPRIM_400000_NS6detail17trampoline_kernelINS0_14default_configENS1_27scan_by_key_config_selectorIj11FixedVectorIiLj1EEEEZZNS1_16scan_by_key_implILNS1_25lookback_scan_determinismE0ELb0ES3_N6thrust23THRUST_200600_302600_NS6detail15normal_iteratorINSB_10device_ptrIjEEEENSD_INSE_IS6_EEEESI_S6_NSB_4plusIvEENSB_8equal_toIvEES6_EE10hipError_tPvRmT2_T3_T4_T5_mT6_T7_P12ihipStream_tbENKUlT_T0_E_clISt17integral_constantIbLb1EES12_IbLb0EEEEDaSY_SZ_EUlSY_E_NS1_11comp_targetILNS1_3genE5ELNS1_11target_archE942ELNS1_3gpuE9ELNS1_3repE0EEENS1_30default_config_static_selectorELNS0_4arch9wavefront6targetE1EEEvT1_,"axG",@progbits,_ZN7rocprim17ROCPRIM_400000_NS6detail17trampoline_kernelINS0_14default_configENS1_27scan_by_key_config_selectorIj11FixedVectorIiLj1EEEEZZNS1_16scan_by_key_implILNS1_25lookback_scan_determinismE0ELb0ES3_N6thrust23THRUST_200600_302600_NS6detail15normal_iteratorINSB_10device_ptrIjEEEENSD_INSE_IS6_EEEESI_S6_NSB_4plusIvEENSB_8equal_toIvEES6_EE10hipError_tPvRmT2_T3_T4_T5_mT6_T7_P12ihipStream_tbENKUlT_T0_E_clISt17integral_constantIbLb1EES12_IbLb0EEEEDaSY_SZ_EUlSY_E_NS1_11comp_targetILNS1_3genE5ELNS1_11target_archE942ELNS1_3gpuE9ELNS1_3repE0EEENS1_30default_config_static_selectorELNS0_4arch9wavefront6targetE1EEEvT1_,comdat
.Lfunc_end1893:
	.size	_ZN7rocprim17ROCPRIM_400000_NS6detail17trampoline_kernelINS0_14default_configENS1_27scan_by_key_config_selectorIj11FixedVectorIiLj1EEEEZZNS1_16scan_by_key_implILNS1_25lookback_scan_determinismE0ELb0ES3_N6thrust23THRUST_200600_302600_NS6detail15normal_iteratorINSB_10device_ptrIjEEEENSD_INSE_IS6_EEEESI_S6_NSB_4plusIvEENSB_8equal_toIvEES6_EE10hipError_tPvRmT2_T3_T4_T5_mT6_T7_P12ihipStream_tbENKUlT_T0_E_clISt17integral_constantIbLb1EES12_IbLb0EEEEDaSY_SZ_EUlSY_E_NS1_11comp_targetILNS1_3genE5ELNS1_11target_archE942ELNS1_3gpuE9ELNS1_3repE0EEENS1_30default_config_static_selectorELNS0_4arch9wavefront6targetE1EEEvT1_, .Lfunc_end1893-_ZN7rocprim17ROCPRIM_400000_NS6detail17trampoline_kernelINS0_14default_configENS1_27scan_by_key_config_selectorIj11FixedVectorIiLj1EEEEZZNS1_16scan_by_key_implILNS1_25lookback_scan_determinismE0ELb0ES3_N6thrust23THRUST_200600_302600_NS6detail15normal_iteratorINSB_10device_ptrIjEEEENSD_INSE_IS6_EEEESI_S6_NSB_4plusIvEENSB_8equal_toIvEES6_EE10hipError_tPvRmT2_T3_T4_T5_mT6_T7_P12ihipStream_tbENKUlT_T0_E_clISt17integral_constantIbLb1EES12_IbLb0EEEEDaSY_SZ_EUlSY_E_NS1_11comp_targetILNS1_3genE5ELNS1_11target_archE942ELNS1_3gpuE9ELNS1_3repE0EEENS1_30default_config_static_selectorELNS0_4arch9wavefront6targetE1EEEvT1_
                                        ; -- End function
	.section	.AMDGPU.csdata,"",@progbits
; Kernel info:
; codeLenInByte = 0
; NumSgprs: 4
; NumVgprs: 0
; NumAgprs: 0
; TotalNumVgprs: 0
; ScratchSize: 0
; MemoryBound: 0
; FloatMode: 240
; IeeeMode: 1
; LDSByteSize: 0 bytes/workgroup (compile time only)
; SGPRBlocks: 0
; VGPRBlocks: 0
; NumSGPRsForWavesPerEU: 4
; NumVGPRsForWavesPerEU: 1
; AccumOffset: 4
; Occupancy: 8
; WaveLimiterHint : 0
; COMPUTE_PGM_RSRC2:SCRATCH_EN: 0
; COMPUTE_PGM_RSRC2:USER_SGPR: 6
; COMPUTE_PGM_RSRC2:TRAP_HANDLER: 0
; COMPUTE_PGM_RSRC2:TGID_X_EN: 1
; COMPUTE_PGM_RSRC2:TGID_Y_EN: 0
; COMPUTE_PGM_RSRC2:TGID_Z_EN: 0
; COMPUTE_PGM_RSRC2:TIDIG_COMP_CNT: 0
; COMPUTE_PGM_RSRC3_GFX90A:ACCUM_OFFSET: 0
; COMPUTE_PGM_RSRC3_GFX90A:TG_SPLIT: 0
	.section	.text._ZN7rocprim17ROCPRIM_400000_NS6detail17trampoline_kernelINS0_14default_configENS1_27scan_by_key_config_selectorIj11FixedVectorIiLj1EEEEZZNS1_16scan_by_key_implILNS1_25lookback_scan_determinismE0ELb0ES3_N6thrust23THRUST_200600_302600_NS6detail15normal_iteratorINSB_10device_ptrIjEEEENSD_INSE_IS6_EEEESI_S6_NSB_4plusIvEENSB_8equal_toIvEES6_EE10hipError_tPvRmT2_T3_T4_T5_mT6_T7_P12ihipStream_tbENKUlT_T0_E_clISt17integral_constantIbLb1EES12_IbLb0EEEEDaSY_SZ_EUlSY_E_NS1_11comp_targetILNS1_3genE4ELNS1_11target_archE910ELNS1_3gpuE8ELNS1_3repE0EEENS1_30default_config_static_selectorELNS0_4arch9wavefront6targetE1EEEvT1_,"axG",@progbits,_ZN7rocprim17ROCPRIM_400000_NS6detail17trampoline_kernelINS0_14default_configENS1_27scan_by_key_config_selectorIj11FixedVectorIiLj1EEEEZZNS1_16scan_by_key_implILNS1_25lookback_scan_determinismE0ELb0ES3_N6thrust23THRUST_200600_302600_NS6detail15normal_iteratorINSB_10device_ptrIjEEEENSD_INSE_IS6_EEEESI_S6_NSB_4plusIvEENSB_8equal_toIvEES6_EE10hipError_tPvRmT2_T3_T4_T5_mT6_T7_P12ihipStream_tbENKUlT_T0_E_clISt17integral_constantIbLb1EES12_IbLb0EEEEDaSY_SZ_EUlSY_E_NS1_11comp_targetILNS1_3genE4ELNS1_11target_archE910ELNS1_3gpuE8ELNS1_3repE0EEENS1_30default_config_static_selectorELNS0_4arch9wavefront6targetE1EEEvT1_,comdat
	.protected	_ZN7rocprim17ROCPRIM_400000_NS6detail17trampoline_kernelINS0_14default_configENS1_27scan_by_key_config_selectorIj11FixedVectorIiLj1EEEEZZNS1_16scan_by_key_implILNS1_25lookback_scan_determinismE0ELb0ES3_N6thrust23THRUST_200600_302600_NS6detail15normal_iteratorINSB_10device_ptrIjEEEENSD_INSE_IS6_EEEESI_S6_NSB_4plusIvEENSB_8equal_toIvEES6_EE10hipError_tPvRmT2_T3_T4_T5_mT6_T7_P12ihipStream_tbENKUlT_T0_E_clISt17integral_constantIbLb1EES12_IbLb0EEEEDaSY_SZ_EUlSY_E_NS1_11comp_targetILNS1_3genE4ELNS1_11target_archE910ELNS1_3gpuE8ELNS1_3repE0EEENS1_30default_config_static_selectorELNS0_4arch9wavefront6targetE1EEEvT1_ ; -- Begin function _ZN7rocprim17ROCPRIM_400000_NS6detail17trampoline_kernelINS0_14default_configENS1_27scan_by_key_config_selectorIj11FixedVectorIiLj1EEEEZZNS1_16scan_by_key_implILNS1_25lookback_scan_determinismE0ELb0ES3_N6thrust23THRUST_200600_302600_NS6detail15normal_iteratorINSB_10device_ptrIjEEEENSD_INSE_IS6_EEEESI_S6_NSB_4plusIvEENSB_8equal_toIvEES6_EE10hipError_tPvRmT2_T3_T4_T5_mT6_T7_P12ihipStream_tbENKUlT_T0_E_clISt17integral_constantIbLb1EES12_IbLb0EEEEDaSY_SZ_EUlSY_E_NS1_11comp_targetILNS1_3genE4ELNS1_11target_archE910ELNS1_3gpuE8ELNS1_3repE0EEENS1_30default_config_static_selectorELNS0_4arch9wavefront6targetE1EEEvT1_
	.globl	_ZN7rocprim17ROCPRIM_400000_NS6detail17trampoline_kernelINS0_14default_configENS1_27scan_by_key_config_selectorIj11FixedVectorIiLj1EEEEZZNS1_16scan_by_key_implILNS1_25lookback_scan_determinismE0ELb0ES3_N6thrust23THRUST_200600_302600_NS6detail15normal_iteratorINSB_10device_ptrIjEEEENSD_INSE_IS6_EEEESI_S6_NSB_4plusIvEENSB_8equal_toIvEES6_EE10hipError_tPvRmT2_T3_T4_T5_mT6_T7_P12ihipStream_tbENKUlT_T0_E_clISt17integral_constantIbLb1EES12_IbLb0EEEEDaSY_SZ_EUlSY_E_NS1_11comp_targetILNS1_3genE4ELNS1_11target_archE910ELNS1_3gpuE8ELNS1_3repE0EEENS1_30default_config_static_selectorELNS0_4arch9wavefront6targetE1EEEvT1_
	.p2align	8
	.type	_ZN7rocprim17ROCPRIM_400000_NS6detail17trampoline_kernelINS0_14default_configENS1_27scan_by_key_config_selectorIj11FixedVectorIiLj1EEEEZZNS1_16scan_by_key_implILNS1_25lookback_scan_determinismE0ELb0ES3_N6thrust23THRUST_200600_302600_NS6detail15normal_iteratorINSB_10device_ptrIjEEEENSD_INSE_IS6_EEEESI_S6_NSB_4plusIvEENSB_8equal_toIvEES6_EE10hipError_tPvRmT2_T3_T4_T5_mT6_T7_P12ihipStream_tbENKUlT_T0_E_clISt17integral_constantIbLb1EES12_IbLb0EEEEDaSY_SZ_EUlSY_E_NS1_11comp_targetILNS1_3genE4ELNS1_11target_archE910ELNS1_3gpuE8ELNS1_3repE0EEENS1_30default_config_static_selectorELNS0_4arch9wavefront6targetE1EEEvT1_,@function
_ZN7rocprim17ROCPRIM_400000_NS6detail17trampoline_kernelINS0_14default_configENS1_27scan_by_key_config_selectorIj11FixedVectorIiLj1EEEEZZNS1_16scan_by_key_implILNS1_25lookback_scan_determinismE0ELb0ES3_N6thrust23THRUST_200600_302600_NS6detail15normal_iteratorINSB_10device_ptrIjEEEENSD_INSE_IS6_EEEESI_S6_NSB_4plusIvEENSB_8equal_toIvEES6_EE10hipError_tPvRmT2_T3_T4_T5_mT6_T7_P12ihipStream_tbENKUlT_T0_E_clISt17integral_constantIbLb1EES12_IbLb0EEEEDaSY_SZ_EUlSY_E_NS1_11comp_targetILNS1_3genE4ELNS1_11target_archE910ELNS1_3gpuE8ELNS1_3repE0EEENS1_30default_config_static_selectorELNS0_4arch9wavefront6targetE1EEEvT1_: ; @_ZN7rocprim17ROCPRIM_400000_NS6detail17trampoline_kernelINS0_14default_configENS1_27scan_by_key_config_selectorIj11FixedVectorIiLj1EEEEZZNS1_16scan_by_key_implILNS1_25lookback_scan_determinismE0ELb0ES3_N6thrust23THRUST_200600_302600_NS6detail15normal_iteratorINSB_10device_ptrIjEEEENSD_INSE_IS6_EEEESI_S6_NSB_4plusIvEENSB_8equal_toIvEES6_EE10hipError_tPvRmT2_T3_T4_T5_mT6_T7_P12ihipStream_tbENKUlT_T0_E_clISt17integral_constantIbLb1EES12_IbLb0EEEEDaSY_SZ_EUlSY_E_NS1_11comp_targetILNS1_3genE4ELNS1_11target_archE910ELNS1_3gpuE8ELNS1_3repE0EEENS1_30default_config_static_selectorELNS0_4arch9wavefront6targetE1EEEvT1_
; %bb.0:
	s_load_dwordx8 s[36:43], s[4:5], 0x0
	s_load_dwordx4 s[52:55], s[4:5], 0x28
	s_load_dwordx2 s[56:57], s[4:5], 0x38
	s_load_dword s0, s[4:5], 0x40
	s_load_dwordx8 s[44:51], s[4:5], 0x48
	s_waitcnt lgkmcnt(0)
	s_lshl_b64 s[38:39], s[38:39], 2
	s_add_u32 s2, s36, s38
	s_addc_u32 s3, s37, s39
	s_add_u32 s4, s40, s38
	s_mul_i32 s1, s57, s0
	s_mul_hi_u32 s7, s56, s0
	s_addc_u32 s5, s41, s39
	s_add_i32 s8, s7, s1
	s_mul_i32 s9, s56, s0
	s_cmp_lg_u64 s[48:49], 0
	s_mul_i32 s0, s6, 0xe00
	s_mov_b32 s1, 0
	s_cselect_b64 s[40:41], -1, 0
	s_lshl_b64 s[36:37], s[0:1], 2
	s_add_u32 s34, s2, s36
	s_addc_u32 s35, s3, s37
	s_add_u32 s7, s4, s36
	s_addc_u32 s55, s5, s37
	;; [unrolled: 2-line block ×3, first 2 shown]
	s_add_u32 s2, s44, -1
	s_addc_u32 s3, s45, -1
	v_pk_mov_b32 v[2:3], s[2:3], s[2:3] op_sel:[0,1]
	v_cmp_ge_u64_e64 s[0:1], s[48:49], v[2:3]
	s_mov_b64 s[18:19], 0
	s_mov_b64 s[4:5], -1
	s_and_b64 vcc, exec, s[0:1]
	s_mul_i32 s33, s2, 0xfffff200
	s_barrier
	s_cbranch_vccz .LBB1894_90
; %bb.1:
	v_pk_mov_b32 v[2:3], s[34:35], s[34:35] op_sel:[0,1]
	flat_load_dword v1, v[2:3]
	s_add_i32 s60, s33, s54
	v_cmp_gt_u32_e64 s[2:3], s60, v0
	s_waitcnt vmcnt(0) lgkmcnt(0)
	v_mov_b32_e32 v13, v1
	s_and_saveexec_b64 s[4:5], s[2:3]
	s_cbranch_execz .LBB1894_3
; %bb.2:
	v_lshlrev_b32_e32 v2, 2, v0
	v_mov_b32_e32 v3, s35
	v_add_co_u32_e32 v2, vcc, s34, v2
	v_addc_co_u32_e32 v3, vcc, 0, v3, vcc
	flat_load_dword v13, v[2:3]
.LBB1894_3:
	s_or_b64 exec, exec, s[4:5]
	v_or_b32_e32 v2, 0x100, v0
	v_cmp_gt_u32_e64 s[4:5], s60, v2
	v_mov_b32_e32 v14, v1
	s_and_saveexec_b64 s[8:9], s[4:5]
	s_cbranch_execz .LBB1894_5
; %bb.4:
	v_lshlrev_b32_e32 v2, 2, v0
	v_mov_b32_e32 v3, s35
	v_add_co_u32_e32 v2, vcc, s34, v2
	v_addc_co_u32_e32 v3, vcc, 0, v3, vcc
	flat_load_dword v14, v[2:3] offset:1024
.LBB1894_5:
	s_or_b64 exec, exec, s[8:9]
	v_or_b32_e32 v2, 0x200, v0
	v_cmp_gt_u32_e64 s[30:31], s60, v2
	v_mov_b32_e32 v15, v1
	s_and_saveexec_b64 s[8:9], s[30:31]
	s_cbranch_execz .LBB1894_7
; %bb.6:
	v_lshlrev_b32_e32 v2, 2, v0
	v_mov_b32_e32 v3, s35
	v_add_co_u32_e32 v2, vcc, s34, v2
	v_addc_co_u32_e32 v3, vcc, 0, v3, vcc
	flat_load_dword v15, v[2:3] offset:2048
.LBB1894_7:
	;; [unrolled: 13-line block ×3, first 2 shown]
	s_or_b64 exec, exec, s[10:11]
	v_or_b32_e32 v2, 0x400, v0
	v_cmp_gt_u32_e64 s[10:11], s60, v2
	v_mov_b32_e32 v17, v1
	s_and_saveexec_b64 s[12:13], s[10:11]
	s_cbranch_execz .LBB1894_11
; %bb.10:
	v_lshlrev_b32_e32 v3, 2, v2
	v_mov_b32_e32 v5, s35
	v_add_co_u32_e32 v4, vcc, s34, v3
	v_addc_co_u32_e32 v5, vcc, 0, v5, vcc
	flat_load_dword v17, v[4:5]
.LBB1894_11:
	s_or_b64 exec, exec, s[12:13]
	v_or_b32_e32 v3, 0x500, v0
	v_cmp_gt_u32_e64 s[12:13], s60, v3
	v_mov_b32_e32 v18, v1
	s_and_saveexec_b64 s[14:15], s[12:13]
	s_cbranch_execz .LBB1894_13
; %bb.12:
	v_lshlrev_b32_e32 v4, 2, v3
	v_mov_b32_e32 v5, s35
	v_add_co_u32_e32 v4, vcc, s34, v4
	v_addc_co_u32_e32 v5, vcc, 0, v5, vcc
	flat_load_dword v18, v[4:5]
.LBB1894_13:
	;; [unrolled: 13-line block ×9, first 2 shown]
	s_or_b64 exec, exec, s[28:29]
	v_or_b32_e32 v11, 0xd00, v0
	v_cmp_gt_u32_e64 s[28:29], s60, v11
	s_and_saveexec_b64 s[44:45], s[28:29]
	s_cbranch_execz .LBB1894_29
; %bb.28:
	v_lshlrev_b32_e32 v1, 2, v11
	v_mov_b32_e32 v12, s35
	v_add_co_u32_e32 v26, vcc, s34, v1
	v_addc_co_u32_e32 v27, vcc, 0, v12, vcc
	flat_load_dword v1, v[26:27]
.LBB1894_29:
	s_or_b64 exec, exec, s[44:45]
	v_lshlrev_b32_e32 v12, 2, v0
	s_waitcnt vmcnt(0) lgkmcnt(0)
	ds_write2st64_b32 v12, v13, v14 offset1:4
	ds_write2st64_b32 v12, v15, v16 offset0:8 offset1:12
	ds_write2st64_b32 v12, v17, v18 offset0:16 offset1:20
	;; [unrolled: 1-line block ×6, first 2 shown]
	v_mad_u32_u24 v1, v0, 52, v12
	s_waitcnt lgkmcnt(0)
	s_barrier
	ds_read2_b64 v[34:37], v1 offset1:1
	ds_read2_b64 v[30:33], v1 offset0:2 offset1:3
	ds_read2_b64 v[26:29], v1 offset0:4 offset1:5
	ds_read_b64 v[40:41], v1 offset:48
	s_cmp_eq_u64 s[48:49], 0
	s_mov_b64 s[44:45], s[34:35]
	s_cbranch_scc1 .LBB1894_33
; %bb.30:
	s_andn2_b64 vcc, exec, s[40:41]
	s_cbranch_vccnz .LBB1894_207
; %bb.31:
	s_lshl_b64 s[44:45], s[48:49], 2
	s_add_u32 s44, s50, s44
	s_addc_u32 s45, s51, s45
	s_add_u32 s44, s44, -4
	s_addc_u32 s45, s45, -1
	s_cbranch_execnz .LBB1894_33
.LBB1894_32:
	s_add_u32 s44, s34, -4
	s_addc_u32 s45, s35, -1
.LBB1894_33:
	v_pk_mov_b32 v[14:15], s[44:45], s[44:45] op_sel:[0,1]
	flat_load_dword v44, v[14:15]
	s_movk_i32 s44, 0xffcc
	v_mad_i32_i24 v13, v0, s44, v1
	v_cmp_ne_u32_e32 vcc, 0, v0
	s_waitcnt lgkmcnt(0)
	ds_write_b32 v13, v41 offset:14336
	s_waitcnt lgkmcnt(0)
	s_barrier
	s_and_saveexec_b64 s[44:45], vcc
	s_cbranch_execz .LBB1894_35
; %bb.34:
	v_mul_i32_i24_e32 v13, 0xffffffcc, v0
	v_add_u32_e32 v13, v1, v13
	s_waitcnt vmcnt(0)
	ds_read_b32 v44, v13 offset:14332
.LBB1894_35:
	s_or_b64 exec, exec, s[44:45]
	v_mov_b32_e32 v13, 0
	v_mov_b32_e32 v14, 0
	s_waitcnt lgkmcnt(0)
	s_barrier
	s_and_saveexec_b64 s[44:45], s[2:3]
	s_cbranch_execz .LBB1894_37
; %bb.36:
	v_mov_b32_e32 v15, s55
	v_add_co_u32_e32 v14, vcc, s7, v12
	v_addc_co_u32_e32 v15, vcc, 0, v15, vcc
	flat_load_dword v14, v[14:15]
.LBB1894_37:
	s_or_b64 exec, exec, s[44:45]
	s_and_saveexec_b64 s[2:3], s[4:5]
	s_cbranch_execz .LBB1894_39
; %bb.38:
	v_mov_b32_e32 v13, s55
	v_add_co_u32_e32 v16, vcc, s7, v12
	v_addc_co_u32_e32 v17, vcc, 0, v13, vcc
	flat_load_dword v13, v[16:17] offset:1024
.LBB1894_39:
	s_or_b64 exec, exec, s[2:3]
	v_mov_b32_e32 v15, 0
	v_mov_b32_e32 v16, 0
	s_and_saveexec_b64 s[2:3], s[30:31]
	s_cbranch_execz .LBB1894_41
; %bb.40:
	v_mov_b32_e32 v17, s55
	v_add_co_u32_e32 v16, vcc, s7, v12
	v_addc_co_u32_e32 v17, vcc, 0, v17, vcc
	flat_load_dword v16, v[16:17] offset:2048
.LBB1894_41:
	s_or_b64 exec, exec, s[2:3]
	s_and_saveexec_b64 s[2:3], s[8:9]
	s_cbranch_execz .LBB1894_43
; %bb.42:
	v_mov_b32_e32 v15, s55
	v_add_co_u32_e32 v18, vcc, s7, v12
	v_addc_co_u32_e32 v19, vcc, 0, v15, vcc
	flat_load_dword v15, v[18:19] offset:3072
.LBB1894_43:
	s_or_b64 exec, exec, s[2:3]
	v_mov_b32_e32 v17, 0
	v_mov_b32_e32 v18, 0
	s_and_saveexec_b64 s[2:3], s[10:11]
	s_cbranch_execz .LBB1894_45
; %bb.44:
	v_lshlrev_b32_e32 v2, 2, v2
	v_mov_b32_e32 v19, s55
	v_add_co_u32_e32 v18, vcc, s7, v2
	v_addc_co_u32_e32 v19, vcc, 0, v19, vcc
	flat_load_dword v18, v[18:19]
.LBB1894_45:
	s_or_b64 exec, exec, s[2:3]
	s_and_saveexec_b64 s[2:3], s[12:13]
	s_cbranch_execz .LBB1894_47
; %bb.46:
	v_lshlrev_b32_e32 v2, 2, v3
	v_mov_b32_e32 v3, s55
	v_add_co_u32_e32 v2, vcc, s7, v2
	v_addc_co_u32_e32 v3, vcc, 0, v3, vcc
	flat_load_dword v17, v[2:3]
.LBB1894_47:
	s_or_b64 exec, exec, s[2:3]
	v_mov_b32_e32 v2, 0
	v_mov_b32_e32 v3, 0
	s_and_saveexec_b64 s[2:3], s[14:15]
	s_cbranch_execz .LBB1894_49
; %bb.48:
	v_lshlrev_b32_e32 v3, 2, v4
	v_mov_b32_e32 v4, s55
	v_add_co_u32_e32 v20, vcc, s7, v3
	v_addc_co_u32_e32 v21, vcc, 0, v4, vcc
	flat_load_dword v3, v[20:21]
.LBB1894_49:
	s_or_b64 exec, exec, s[2:3]
	s_and_saveexec_b64 s[2:3], s[16:17]
	s_cbranch_execz .LBB1894_51
; %bb.50:
	v_lshlrev_b32_e32 v2, 2, v5
	v_mov_b32_e32 v5, s55
	v_add_co_u32_e32 v4, vcc, s7, v2
	v_addc_co_u32_e32 v5, vcc, 0, v5, vcc
	flat_load_dword v2, v[4:5]
.LBB1894_51:
	s_or_b64 exec, exec, s[2:3]
	v_mov_b32_e32 v4, 0
	v_mov_b32_e32 v5, 0
	s_and_saveexec_b64 s[2:3], s[18:19]
	s_cbranch_execz .LBB1894_53
; %bb.52:
	v_lshlrev_b32_e32 v5, 2, v6
	v_mov_b32_e32 v6, s55
	v_add_co_u32_e32 v20, vcc, s7, v5
	v_addc_co_u32_e32 v21, vcc, 0, v6, vcc
	flat_load_dword v5, v[20:21]
.LBB1894_53:
	s_or_b64 exec, exec, s[2:3]
	s_and_saveexec_b64 s[2:3], s[20:21]
	s_cbranch_execz .LBB1894_55
; %bb.54:
	v_lshlrev_b32_e32 v4, 2, v7
	v_mov_b32_e32 v7, s55
	v_add_co_u32_e32 v6, vcc, s7, v4
	v_addc_co_u32_e32 v7, vcc, 0, v7, vcc
	flat_load_dword v4, v[6:7]
.LBB1894_55:
	s_or_b64 exec, exec, s[2:3]
	v_mov_b32_e32 v6, 0
	v_mov_b32_e32 v7, 0
	s_and_saveexec_b64 s[2:3], s[22:23]
	s_cbranch_execz .LBB1894_57
; %bb.56:
	v_lshlrev_b32_e32 v7, 2, v8
	v_mov_b32_e32 v8, s55
	v_add_co_u32_e32 v20, vcc, s7, v7
	v_addc_co_u32_e32 v21, vcc, 0, v8, vcc
	flat_load_dword v7, v[20:21]
.LBB1894_57:
	s_or_b64 exec, exec, s[2:3]
	s_and_saveexec_b64 s[2:3], s[24:25]
	s_cbranch_execz .LBB1894_59
; %bb.58:
	v_lshlrev_b32_e32 v6, 2, v9
	v_mov_b32_e32 v9, s55
	v_add_co_u32_e32 v8, vcc, s7, v6
	v_addc_co_u32_e32 v9, vcc, 0, v9, vcc
	flat_load_dword v6, v[8:9]
.LBB1894_59:
	s_or_b64 exec, exec, s[2:3]
	v_mov_b32_e32 v8, 0
	v_mov_b32_e32 v9, 0
	s_and_saveexec_b64 s[2:3], s[26:27]
	s_cbranch_execz .LBB1894_61
; %bb.60:
	v_lshlrev_b32_e32 v9, 2, v10
	v_mov_b32_e32 v10, s55
	v_add_co_u32_e32 v20, vcc, s7, v9
	v_addc_co_u32_e32 v21, vcc, 0, v10, vcc
	flat_load_dword v9, v[20:21]
.LBB1894_61:
	s_or_b64 exec, exec, s[2:3]
	s_and_saveexec_b64 s[2:3], s[28:29]
	s_cbranch_execz .LBB1894_63
; %bb.62:
	v_lshlrev_b32_e32 v8, 2, v11
	v_mov_b32_e32 v11, s55
	v_add_co_u32_e32 v10, vcc, s7, v8
	v_addc_co_u32_e32 v11, vcc, 0, v11, vcc
	flat_load_dword v8, v[10:11]
.LBB1894_63:
	s_or_b64 exec, exec, s[2:3]
	s_mov_b32 s8, 0
	s_mov_b32 s9, s8
	s_waitcnt vmcnt(0) lgkmcnt(0)
	ds_write2st64_b32 v12, v14, v13 offset1:4
	ds_write2st64_b32 v12, v16, v15 offset0:8 offset1:12
	ds_write2st64_b32 v12, v18, v17 offset0:16 offset1:20
	;; [unrolled: 1-line block ×6, first 2 shown]
	s_mov_b32 s10, s8
	s_mov_b32 s11, s8
	s_mov_b32 s12, s8
	s_mov_b32 s13, s8
	s_mov_b32 s14, s8
	s_mov_b32 s15, s8
	v_pk_mov_b32 v[2:3], s[8:9], s[8:9] op_sel:[0,1]
	v_pk_mov_b32 v[8:9], s[14:15], s[14:15] op_sel:[0,1]
	v_mul_u32_u24_e32 v42, 14, v0
	v_pk_mov_b32 v[4:5], s[10:11], s[10:11] op_sel:[0,1]
	v_pk_mov_b32 v[6:7], s[12:13], s[12:13] op_sel:[0,1]
	;; [unrolled: 1-line block ×4, first 2 shown]
	v_cmp_gt_u32_e32 vcc, s60, v42
	s_mov_b64 s[4:5], 0
	v_pk_mov_b32 v[38:39], 0, 0
	s_mov_b64 s[18:19], 0
	v_pk_mov_b32 v[14:15], v[6:7], v[6:7] op_sel:[0,1]
	v_pk_mov_b32 v[12:13], v[4:5], v[4:5] op_sel:[0,1]
	v_pk_mov_b32 v[10:11], v[2:3], v[2:3] op_sel:[0,1]
	v_pk_mov_b32 v[22:23], v[6:7], v[6:7] op_sel:[0,1]
	v_pk_mov_b32 v[20:21], v[4:5], v[4:5] op_sel:[0,1]
	v_pk_mov_b32 v[18:19], v[2:3], v[2:3] op_sel:[0,1]
	s_waitcnt lgkmcnt(0)
	s_barrier
	s_waitcnt lgkmcnt(0)
                                        ; implicit-def: $sgpr2_sgpr3
                                        ; implicit-def: $vgpr43
	s_and_saveexec_b64 s[16:17], vcc
	s_cbranch_execz .LBB1894_89
; %bb.64:
	v_or_b32_e32 v2, 1, v42
	ds_read_b32 v38, v1
	v_cmp_ne_u32_e32 vcc, v44, v34
	v_cndmask_b32_e64 v39, 0, 1, vcc
	v_cmp_gt_u32_e32 vcc, s60, v2
	v_pk_mov_b32 v[2:3], s[8:9], s[8:9] op_sel:[0,1]
	v_pk_mov_b32 v[8:9], s[14:15], s[14:15] op_sel:[0,1]
	;; [unrolled: 1-line block ×6, first 2 shown]
	s_mov_b64 s[20:21], 0
	v_pk_mov_b32 v[14:15], v[6:7], v[6:7] op_sel:[0,1]
	v_pk_mov_b32 v[12:13], v[4:5], v[4:5] op_sel:[0,1]
	;; [unrolled: 1-line block ×6, first 2 shown]
                                        ; implicit-def: $sgpr8_sgpr9
                                        ; implicit-def: $vgpr43
	s_and_saveexec_b64 s[18:19], vcc
	s_cbranch_execz .LBB1894_88
; %bb.65:
	ds_read2_b32 v[44:45], v1 offset0:1 offset1:2
	s_mov_b32 s8, 0
	s_mov_b32 s14, s8
	;; [unrolled: 1-line block ×8, first 2 shown]
	v_pk_mov_b32 v[16:17], s[14:15], s[14:15] op_sel:[0,1]
	v_add_u32_e32 v2, 2, v42
	v_cmp_ne_u32_e32 vcc, v34, v35
	v_mov_b32_e32 v6, 0
	v_pk_mov_b32 v[14:15], s[12:13], s[12:13] op_sel:[0,1]
	v_pk_mov_b32 v[12:13], s[10:11], s[10:11] op_sel:[0,1]
	;; [unrolled: 1-line block ×4, first 2 shown]
	v_cndmask_b32_e64 v3, 0, 1, vcc
	v_cmp_gt_u32_e32 vcc, s60, v2
	s_waitcnt lgkmcnt(0)
	v_mov_b32_e32 v2, v44
	v_mov_b32_e32 v4, v6
	;; [unrolled: 1-line block ×6, first 2 shown]
	s_mov_b64 s[2:3], 0
	v_pk_mov_b32 v[22:23], v[14:15], v[14:15] op_sel:[0,1]
	v_pk_mov_b32 v[20:21], v[12:13], v[12:13] op_sel:[0,1]
	;; [unrolled: 1-line block ×3, first 2 shown]
                                        ; implicit-def: $sgpr22_sgpr23
                                        ; implicit-def: $vgpr43
	s_and_saveexec_b64 s[20:21], vcc
	s_cbranch_execz .LBB1894_87
; %bb.66:
	v_pk_mov_b32 v[16:17], s[14:15], s[14:15] op_sel:[0,1]
	v_add_u32_e32 v2, 3, v42
	v_cmp_ne_u32_e32 vcc, v35, v36
	v_pk_mov_b32 v[14:15], s[12:13], s[12:13] op_sel:[0,1]
	v_pk_mov_b32 v[12:13], s[10:11], s[10:11] op_sel:[0,1]
	;; [unrolled: 1-line block ×4, first 2 shown]
	v_cndmask_b32_e64 v5, 0, 1, vcc
	v_cmp_gt_u32_e32 vcc, s60, v2
	v_mov_b32_e32 v2, v44
	v_mov_b32_e32 v4, v45
	;; [unrolled: 1-line block ×5, first 2 shown]
	v_pk_mov_b32 v[22:23], v[14:15], v[14:15] op_sel:[0,1]
	v_pk_mov_b32 v[20:21], v[12:13], v[12:13] op_sel:[0,1]
	;; [unrolled: 1-line block ×3, first 2 shown]
                                        ; implicit-def: $sgpr8_sgpr9
                                        ; implicit-def: $vgpr43
	s_and_saveexec_b64 s[22:23], vcc
	s_cbranch_execz .LBB1894_86
; %bb.67:
	ds_read2_b32 v[34:35], v1 offset0:3 offset1:4
	s_mov_b32 s8, 0
	s_mov_b32 s14, s8
	s_mov_b32 s15, s8
	s_mov_b32 s9, s8
	s_mov_b32 s10, s8
	s_mov_b32 s11, s8
	s_mov_b32 s12, s8
	s_mov_b32 s13, s8
	v_pk_mov_b32 v[16:17], s[14:15], s[14:15] op_sel:[0,1]
	v_add_u32_e32 v6, 4, v42
	v_cmp_ne_u32_e32 vcc, v36, v37
	v_pk_mov_b32 v[14:15], s[12:13], s[12:13] op_sel:[0,1]
	v_pk_mov_b32 v[12:13], s[10:11], s[10:11] op_sel:[0,1]
	;; [unrolled: 1-line block ×4, first 2 shown]
	v_cndmask_b32_e64 v7, 0, 1, vcc
	v_cmp_gt_u32_e32 vcc, s60, v6
	s_waitcnt lgkmcnt(0)
	v_mov_b32_e32 v6, v34
	v_mov_b32_e32 v8, s8
	;; [unrolled: 1-line block ×3, first 2 shown]
	v_pk_mov_b32 v[22:23], v[14:15], v[14:15] op_sel:[0,1]
	v_pk_mov_b32 v[20:21], v[12:13], v[12:13] op_sel:[0,1]
	;; [unrolled: 1-line block ×3, first 2 shown]
                                        ; implicit-def: $sgpr26_sgpr27
                                        ; implicit-def: $vgpr43
	s_and_saveexec_b64 s[24:25], vcc
	s_cbranch_execz .LBB1894_85
; %bb.68:
	v_pk_mov_b32 v[16:17], s[14:15], s[14:15] op_sel:[0,1]
	v_add_u32_e32 v8, 5, v42
	v_cmp_ne_u32_e32 vcc, v37, v30
	v_pk_mov_b32 v[14:15], s[12:13], s[12:13] op_sel:[0,1]
	v_pk_mov_b32 v[12:13], s[10:11], s[10:11] op_sel:[0,1]
	v_pk_mov_b32 v[10:11], s[8:9], s[8:9] op_sel:[0,1]
	v_pk_mov_b32 v[24:25], v[16:17], v[16:17] op_sel:[0,1]
	v_cndmask_b32_e64 v9, 0, 1, vcc
	v_cmp_gt_u32_e32 vcc, s60, v8
	v_mov_b32_e32 v8, v35
	v_pk_mov_b32 v[22:23], v[14:15], v[14:15] op_sel:[0,1]
	v_pk_mov_b32 v[20:21], v[12:13], v[12:13] op_sel:[0,1]
	;; [unrolled: 1-line block ×3, first 2 shown]
                                        ; implicit-def: $sgpr8_sgpr9
                                        ; implicit-def: $vgpr43
	s_and_saveexec_b64 s[26:27], vcc
	s_cbranch_execz .LBB1894_84
; %bb.69:
	ds_read2_b32 v[34:35], v1 offset0:5 offset1:6
	s_mov_b32 s8, 0
	s_mov_b32 s14, s8
	;; [unrolled: 1-line block ×3, first 2 shown]
	v_add_u32_e32 v10, 6, v42
	v_cmp_ne_u32_e32 vcc, v30, v31
	v_mov_b32_e32 v14, 0
	s_mov_b32 s9, s8
	s_mov_b32 s10, s8
	;; [unrolled: 1-line block ×5, first 2 shown]
	v_pk_mov_b32 v[24:25], s[14:15], s[14:15] op_sel:[0,1]
	v_cndmask_b32_e64 v11, 0, 1, vcc
	v_cmp_gt_u32_e32 vcc, s60, v10
	s_waitcnt lgkmcnt(0)
	v_mov_b32_e32 v10, v34
	v_mov_b32_e32 v12, v14
	;; [unrolled: 1-line block ×6, first 2 shown]
	v_pk_mov_b32 v[22:23], s[12:13], s[12:13] op_sel:[0,1]
	v_pk_mov_b32 v[20:21], s[10:11], s[10:11] op_sel:[0,1]
	;; [unrolled: 1-line block ×3, first 2 shown]
                                        ; implicit-def: $sgpr30_sgpr31
                                        ; implicit-def: $vgpr43
	s_and_saveexec_b64 s[28:29], vcc
	s_cbranch_execz .LBB1894_83
; %bb.70:
	v_add_u32_e32 v10, 7, v42
	v_cmp_ne_u32_e32 vcc, v31, v32
	v_pk_mov_b32 v[24:25], s[14:15], s[14:15] op_sel:[0,1]
	v_cndmask_b32_e64 v13, 0, 1, vcc
	v_cmp_gt_u32_e32 vcc, s60, v10
	v_mov_b32_e32 v10, v34
	v_mov_b32_e32 v12, v35
	;; [unrolled: 1-line block ×5, first 2 shown]
	v_pk_mov_b32 v[22:23], s[12:13], s[12:13] op_sel:[0,1]
	v_pk_mov_b32 v[20:21], s[10:11], s[10:11] op_sel:[0,1]
	;; [unrolled: 1-line block ×3, first 2 shown]
                                        ; implicit-def: $sgpr8_sgpr9
                                        ; implicit-def: $vgpr43
	s_and_saveexec_b64 s[30:31], vcc
	s_cbranch_execz .LBB1894_82
; %bb.71:
	ds_read2_b32 v[30:31], v1 offset0:7 offset1:8
	s_mov_b32 s8, 0
	s_mov_b32 s14, s8
	;; [unrolled: 1-line block ×3, first 2 shown]
	v_add_u32_e32 v14, 8, v42
	v_cmp_ne_u32_e32 vcc, v32, v33
	s_mov_b32 s9, s8
	s_mov_b32 s10, s8
	;; [unrolled: 1-line block ×5, first 2 shown]
	v_pk_mov_b32 v[24:25], s[14:15], s[14:15] op_sel:[0,1]
	v_cndmask_b32_e64 v15, 0, 1, vcc
	v_cmp_gt_u32_e32 vcc, s60, v14
	s_waitcnt lgkmcnt(0)
	v_mov_b32_e32 v14, v30
	v_mov_b32_e32 v16, s8
	;; [unrolled: 1-line block ×3, first 2 shown]
	v_pk_mov_b32 v[22:23], s[12:13], s[12:13] op_sel:[0,1]
	v_pk_mov_b32 v[20:21], s[10:11], s[10:11] op_sel:[0,1]
	;; [unrolled: 1-line block ×3, first 2 shown]
                                        ; implicit-def: $sgpr58_sgpr59
                                        ; implicit-def: $vgpr43
	s_and_saveexec_b64 s[44:45], vcc
	s_cbranch_execz .LBB1894_81
; %bb.72:
	v_add_u32_e32 v16, 9, v42
	v_cmp_ne_u32_e32 vcc, v33, v26
	v_pk_mov_b32 v[24:25], s[14:15], s[14:15] op_sel:[0,1]
	v_cndmask_b32_e64 v17, 0, 1, vcc
	v_cmp_gt_u32_e32 vcc, s60, v16
	v_mov_b32_e32 v16, v31
	v_pk_mov_b32 v[22:23], s[12:13], s[12:13] op_sel:[0,1]
	v_pk_mov_b32 v[20:21], s[10:11], s[10:11] op_sel:[0,1]
	;; [unrolled: 1-line block ×3, first 2 shown]
                                        ; implicit-def: $sgpr10_sgpr11
                                        ; implicit-def: $vgpr43
	s_and_saveexec_b64 s[8:9], vcc
	s_cbranch_execz .LBB1894_80
; %bb.73:
	ds_read2_b32 v[30:31], v1 offset0:9 offset1:10
	v_add_u32_e32 v18, 10, v42
	v_cmp_ne_u32_e32 vcc, v26, v27
	v_mov_b32_e32 v22, 0
	v_cndmask_b32_e64 v19, 0, 1, vcc
	v_cmp_gt_u32_e32 vcc, s60, v18
	s_waitcnt lgkmcnt(0)
	v_mov_b32_e32 v18, v30
	v_mov_b32_e32 v20, v22
	;; [unrolled: 1-line block ×6, first 2 shown]
                                        ; implicit-def: $sgpr12_sgpr13
                                        ; implicit-def: $vgpr43
	s_and_saveexec_b64 s[10:11], vcc
	s_cbranch_execz .LBB1894_79
; %bb.74:
	v_add_u32_e32 v18, 11, v42
	v_cmp_ne_u32_e32 vcc, v27, v28
	v_cndmask_b32_e64 v21, 0, 1, vcc
	v_cmp_gt_u32_e32 vcc, s60, v18
	s_mov_b32 s58, 0
	v_mov_b32_e32 v18, v30
	v_mov_b32_e32 v20, v31
	;; [unrolled: 1-line block ×5, first 2 shown]
                                        ; implicit-def: $sgpr14_sgpr15
                                        ; implicit-def: $vgpr43
	s_and_saveexec_b64 s[12:13], vcc
	s_cbranch_execz .LBB1894_78
; %bb.75:
	ds_read2_b32 v[26:27], v1 offset0:11 offset1:12
	v_add_u32_e32 v22, 12, v42
	v_cmp_ne_u32_e32 vcc, v28, v29
	v_cndmask_b32_e64 v23, 0, 1, vcc
	v_cmp_gt_u32_e32 vcc, s60, v22
	s_waitcnt lgkmcnt(0)
	v_mov_b32_e32 v22, v26
	v_mov_b32_e32 v24, s58
	;; [unrolled: 1-line block ×3, first 2 shown]
                                        ; implicit-def: $sgpr14_sgpr15
                                        ; implicit-def: $vgpr43
	s_and_saveexec_b64 s[58:59], vcc
	s_xor_b64 s[58:59], exec, s[58:59]
	s_cbranch_execz .LBB1894_77
; %bb.76:
	ds_read_b32 v43, v1 offset:52
	v_add_u32_e32 v1, 13, v42
	v_cmp_ne_u32_e64 s[2:3], v29, v40
	v_cmp_ne_u32_e32 vcc, v40, v41
	v_cndmask_b32_e64 v25, 0, 1, s[2:3]
	v_cmp_gt_u32_e64 s[2:3], s60, v1
	v_mov_b32_e32 v24, v27
	s_and_b64 s[14:15], vcc, exec
	s_and_b64 s[2:3], s[2:3], exec
.LBB1894_77:
	s_or_b64 exec, exec, s[58:59]
	s_and_b64 s[14:15], s[14:15], exec
	s_and_b64 s[2:3], s[2:3], exec
.LBB1894_78:
	s_or_b64 exec, exec, s[12:13]
	s_and_b64 s[12:13], s[14:15], exec
	s_and_b64 s[2:3], s[2:3], exec
.LBB1894_79:
	s_or_b64 exec, exec, s[10:11]
	s_and_b64 s[10:11], s[12:13], exec
	s_and_b64 s[2:3], s[2:3], exec
.LBB1894_80:
	s_or_b64 exec, exec, s[8:9]
	s_and_b64 s[58:59], s[10:11], exec
	s_and_b64 s[2:3], s[2:3], exec
.LBB1894_81:
	s_or_b64 exec, exec, s[44:45]
	s_and_b64 s[8:9], s[58:59], exec
	s_and_b64 s[2:3], s[2:3], exec
.LBB1894_82:
	s_or_b64 exec, exec, s[30:31]
	s_and_b64 s[30:31], s[8:9], exec
	s_and_b64 s[2:3], s[2:3], exec
.LBB1894_83:
	s_or_b64 exec, exec, s[28:29]
	s_and_b64 s[8:9], s[30:31], exec
	s_and_b64 s[2:3], s[2:3], exec
.LBB1894_84:
	s_or_b64 exec, exec, s[26:27]
	s_and_b64 s[26:27], s[8:9], exec
	s_and_b64 s[2:3], s[2:3], exec
.LBB1894_85:
	s_or_b64 exec, exec, s[24:25]
	s_and_b64 s[8:9], s[26:27], exec
	s_and_b64 s[2:3], s[2:3], exec
.LBB1894_86:
	s_or_b64 exec, exec, s[22:23]
	s_and_b64 s[22:23], s[8:9], exec
	s_and_b64 s[2:3], s[2:3], exec
.LBB1894_87:
	s_or_b64 exec, exec, s[20:21]
	s_and_b64 s[8:9], s[22:23], exec
	s_and_b64 s[20:21], s[2:3], exec
.LBB1894_88:
	s_or_b64 exec, exec, s[18:19]
	s_and_b64 s[2:3], s[8:9], exec
	s_and_b64 s[18:19], s[20:21], exec
.LBB1894_89:
	s_or_b64 exec, exec, s[16:17]
	s_and_b64 vcc, exec, s[4:5]
	v_lshlrev_b32_e32 v50, 2, v0
	s_cbranch_vccnz .LBB1894_91
	s_branch .LBB1894_99
.LBB1894_90:
                                        ; implicit-def: $sgpr2_sgpr3
                                        ; implicit-def: $vgpr2_vgpr3_vgpr4_vgpr5_vgpr6_vgpr7_vgpr8_vgpr9
                                        ; implicit-def: $vgpr10_vgpr11_vgpr12_vgpr13_vgpr14_vgpr15_vgpr16_vgpr17
                                        ; implicit-def: $vgpr18_vgpr19_vgpr20_vgpr21_vgpr22_vgpr23_vgpr24_vgpr25
                                        ; implicit-def: $vgpr43
                                        ; implicit-def: $vgpr38_vgpr39
	s_and_b64 vcc, exec, s[4:5]
	v_lshlrev_b32_e32 v50, 2, v0
	s_cbranch_vccz .LBB1894_99
.LBB1894_91:
	v_mov_b32_e32 v1, s35
	v_add_co_u32_e32 v2, vcc, s34, v50
	v_addc_co_u32_e32 v3, vcc, 0, v1, vcc
	v_add_co_u32_e32 v4, vcc, 0x1000, v2
	v_addc_co_u32_e32 v5, vcc, 0, v3, vcc
	flat_load_dword v6, v[2:3]
	flat_load_dword v7, v[2:3] offset:1024
	flat_load_dword v8, v[2:3] offset:2048
	;; [unrolled: 1-line block ×3, first 2 shown]
	flat_load_dword v10, v[4:5]
	flat_load_dword v11, v[4:5] offset:1024
	flat_load_dword v12, v[4:5] offset:2048
	;; [unrolled: 1-line block ×3, first 2 shown]
	v_add_co_u32_e32 v4, vcc, 0x2000, v2
	v_addc_co_u32_e32 v5, vcc, 0, v3, vcc
	v_add_co_u32_e32 v2, vcc, 0x3000, v2
	v_addc_co_u32_e32 v3, vcc, 0, v3, vcc
	flat_load_dword v14, v[4:5]
	flat_load_dword v15, v[4:5] offset:1024
	flat_load_dword v16, v[4:5] offset:2048
	;; [unrolled: 1-line block ×3, first 2 shown]
	flat_load_dword v18, v[2:3]
	flat_load_dword v19, v[2:3] offset:1024
	v_mad_u32_u24 v1, v0, 52, v50
	s_cmp_eq_u64 s[48:49], 0
	s_waitcnt vmcnt(0) lgkmcnt(0)
	ds_write2st64_b32 v50, v6, v7 offset1:4
	ds_write2st64_b32 v50, v8, v9 offset0:8 offset1:12
	ds_write2st64_b32 v50, v10, v11 offset0:16 offset1:20
	;; [unrolled: 1-line block ×6, first 2 shown]
	s_waitcnt lgkmcnt(0)
	s_barrier
	ds_read2_b64 v[2:5], v1 offset1:1
	ds_read2_b64 v[10:13], v1 offset0:2 offset1:3
	ds_read2_b64 v[18:21], v1 offset0:4 offset1:5
	ds_read_b64 v[6:7], v1 offset:48
	s_cbranch_scc1 .LBB1894_96
; %bb.92:
	s_andn2_b64 vcc, exec, s[40:41]
	s_cbranch_vccnz .LBB1894_208
; %bb.93:
	s_lshl_b64 s[2:3], s[48:49], 2
	s_add_u32 s2, s50, s2
	s_addc_u32 s3, s51, s3
	s_add_u32 s2, s2, -4
	s_addc_u32 s3, s3, -1
	s_cbranch_execnz .LBB1894_95
.LBB1894_94:
	s_add_u32 s2, s34, -4
	s_addc_u32 s3, s35, -1
.LBB1894_95:
	s_mov_b64 s[34:35], s[2:3]
.LBB1894_96:
	v_pk_mov_b32 v[8:9], s[34:35], s[34:35] op_sel:[0,1]
	flat_load_dword v8, v[8:9]
	s_movk_i32 s2, 0xffcc
	v_mad_i32_i24 v9, v0, s2, v1
	v_cmp_ne_u32_e32 vcc, 0, v0
	s_waitcnt lgkmcnt(0)
	ds_write_b32 v9, v7 offset:14336
	s_waitcnt lgkmcnt(0)
	s_barrier
	s_and_saveexec_b64 s[2:3], vcc
	s_cbranch_execz .LBB1894_98
; %bb.97:
	s_waitcnt vmcnt(0)
	v_mul_i32_i24_e32 v8, 0xffffffcc, v0
	v_add_u32_e32 v8, v1, v8
	ds_read_b32 v8, v8 offset:14332
.LBB1894_98:
	s_or_b64 exec, exec, s[2:3]
	v_mov_b32_e32 v9, s55
	v_add_co_u32_e32 v14, vcc, s7, v50
	v_addc_co_u32_e32 v15, vcc, 0, v9, vcc
	s_movk_i32 s2, 0x1000
	v_add_co_u32_e32 v16, vcc, s2, v14
	v_addc_co_u32_e32 v17, vcc, 0, v15, vcc
	s_movk_i32 s2, 0x2000
	s_waitcnt lgkmcnt(0)
	s_barrier
	flat_load_dword v22, v[14:15]
	flat_load_dword v24, v[14:15] offset:1024
	flat_load_dword v26, v[14:15] offset:2048
	flat_load_dword v27, v[14:15] offset:3072
	flat_load_dword v28, v[16:17]
	flat_load_dword v29, v[16:17] offset:1024
	flat_load_dword v30, v[16:17] offset:2048
	;; [unrolled: 1-line block ×3, first 2 shown]
	v_add_co_u32_e32 v16, vcc, s2, v14
	v_addc_co_u32_e32 v17, vcc, 0, v15, vcc
	s_movk_i32 s2, 0x3000
	v_add_co_u32_e32 v14, vcc, s2, v14
	v_addc_co_u32_e32 v15, vcc, 0, v15, vcc
	flat_load_dword v32, v[16:17]
	flat_load_dword v33, v[16:17] offset:1024
	flat_load_dword v34, v[16:17] offset:2048
	flat_load_dword v35, v[16:17] offset:3072
	flat_load_dword v36, v[14:15]
	flat_load_dword v37, v[14:15] offset:1024
	s_waitcnt vmcnt(0)
	v_cmp_ne_u32_e32 vcc, v8, v2
	v_cndmask_b32_e64 v39, 0, 1, vcc
	v_cmp_ne_u32_e32 vcc, v5, v10
	v_cndmask_b32_e64 v9, 0, 1, vcc
	v_cmp_ne_u32_e32 vcc, v4, v5
	v_cmp_ne_u32_e64 s[2:3], v6, v7
	v_cndmask_b32_e64 v7, 0, 1, vcc
	v_cmp_ne_u32_e32 vcc, v3, v4
	v_cndmask_b32_e64 v5, 0, 1, vcc
	v_cmp_ne_u32_e32 vcc, v2, v3
	;; [unrolled: 2-line block ×10, first 2 shown]
	v_cndmask_b32_e64 v19, 0, 1, vcc
	s_mov_b64 s[18:19], -1
                                        ; implicit-def: $sgpr4_sgpr5
	s_waitcnt lgkmcnt(0)
	ds_write2st64_b32 v50, v22, v24 offset1:4
	ds_write2st64_b32 v50, v26, v27 offset0:8 offset1:12
	ds_write2st64_b32 v50, v28, v29 offset0:16 offset1:20
	;; [unrolled: 1-line block ×6, first 2 shown]
	s_waitcnt lgkmcnt(0)
	s_barrier
	ds_read2_b32 v[42:43], v1 offset1:13
	ds_read2_b32 v[26:27], v1 offset0:7 offset1:8
	ds_read2_b32 v[28:29], v1 offset0:5 offset1:6
	ds_read2_b32 v[30:31], v1 offset0:3 offset1:4
	ds_read2_b32 v[32:33], v1 offset0:1 offset1:2
	ds_read2_b32 v[34:35], v1 offset0:11 offset1:12
	ds_read2_b32 v[36:37], v1 offset0:9 offset1:10
	s_waitcnt lgkmcnt(6)
	v_mov_b32_e32 v38, v42
	s_waitcnt lgkmcnt(4)
	v_mov_b32_e32 v10, v28
	;; [unrolled: 2-line block ×4, first 2 shown]
	v_mov_b32_e32 v4, v33
	v_mov_b32_e32 v8, v31
	;; [unrolled: 1-line block ×5, first 2 shown]
	s_waitcnt lgkmcnt(0)
	v_mov_b32_e32 v18, v36
	v_mov_b32_e32 v20, v37
	;; [unrolled: 1-line block ×4, first 2 shown]
.LBB1894_99:
	v_pk_mov_b32 v[40:41], s[4:5], s[4:5] op_sel:[0,1]
	s_and_saveexec_b64 s[4:5], s[18:19]
	s_cbranch_execz .LBB1894_101
; %bb.100:
	v_cndmask_b32_e64 v41, 0, 1, s[2:3]
	s_waitcnt lgkmcnt(0)
	v_mov_b32_e32 v40, v43
.LBB1894_101:
	s_or_b64 exec, exec, s[4:5]
	s_mov_b32 s26, 0
	s_cmp_lg_u32 s6, 0
	v_mbcnt_lo_u32_b32 v52, -1, 0
	v_lshrrev_b32_e32 v1, 6, v0
	v_or_b32_e32 v51, 63, v0
	s_waitcnt lgkmcnt(0)
	s_barrier
	s_cbranch_scc0 .LBB1894_134
; %bb.102:
	s_mov_b32 s27, 1
	v_cmp_gt_u64_e64 s[2:3], s[26:27], v[2:3]
	v_cndmask_b32_e64 v27, 0, v38, s[2:3]
	v_add_u32_e32 v27, v27, v2
	v_cmp_gt_u64_e64 s[4:5], s[26:27], v[4:5]
	v_cndmask_b32_e64 v27, 0, v27, s[4:5]
	v_add_u32_e32 v27, v27, v4
	;; [unrolled: 3-line block ×13, first 2 shown]
	v_or3_b32 v27, v41, v25, v23
	v_or3_b32 v27, v27, v21, v19
	;; [unrolled: 1-line block ×6, first 2 shown]
	v_mov_b32_e32 v26, 0
	v_and_b32_e32 v27, 1, v27
	v_cmp_eq_u64_e32 vcc, 0, v[26:27]
	v_cndmask_b32_e32 v26, 1, v39, vcc
	v_mbcnt_hi_u32_b32 v46, -1, v52
	v_mov_b32_dpp v29, v28 row_shr:1 row_mask:0xf bank_mask:0xf
	v_mov_b32_dpp v30, v26 row_shr:1 row_mask:0xf bank_mask:0xf
	v_cmp_eq_u32_e32 vcc, 0, v26
	v_and_b32_e32 v31, 1, v26
	v_and_b32_e32 v27, 15, v46
	v_cndmask_b32_e32 v29, 0, v29, vcc
	v_and_b32_e32 v30, 1, v30
	v_cmp_eq_u32_e32 vcc, 1, v31
	v_cndmask_b32_e64 v30, v30, 1, vcc
	v_cmp_eq_u32_e32 vcc, 0, v27
	v_cndmask_b32_e32 v26, v30, v26, vcc
	v_and_b32_e32 v31, 1, v26
	v_cmp_eq_u32_e64 s[28:29], 1, v31
	v_mov_b32_dpp v30, v26 row_shr:2 row_mask:0xf bank_mask:0xf
	v_and_b32_e32 v30, 1, v30
	v_cndmask_b32_e64 v30, v30, 1, s[28:29]
	v_cmp_lt_u32_e64 s[28:29], 1, v27
	v_cndmask_b32_e64 v29, v29, 0, vcc
	v_cmp_eq_u32_e32 vcc, 0, v26
	v_cndmask_b32_e64 v26, v26, v30, s[28:29]
	v_add_u32_e32 v28, v29, v28
	v_and_b32_e32 v31, 1, v26
	v_mov_b32_dpp v30, v26 row_shr:4 row_mask:0xf bank_mask:0xf
	v_mov_b32_dpp v29, v28 row_shr:2 row_mask:0xf bank_mask:0xf
	s_and_b64 vcc, s[28:29], vcc
	v_and_b32_e32 v30, 1, v30
	v_cmp_eq_u32_e64 s[28:29], 1, v31
	v_cndmask_b32_e32 v29, 0, v29, vcc
	v_cndmask_b32_e64 v30, v30, 1, s[28:29]
	v_cmp_lt_u32_e64 s[28:29], 3, v27
	v_add_u32_e32 v28, v29, v28
	v_cmp_eq_u32_e32 vcc, 0, v26
	v_cndmask_b32_e64 v26, v26, v30, s[28:29]
	v_mov_b32_dpp v29, v28 row_shr:4 row_mask:0xf bank_mask:0xf
	s_and_b64 vcc, s[28:29], vcc
	v_mov_b32_dpp v30, v26 row_shr:8 row_mask:0xf bank_mask:0xf
	v_and_b32_e32 v31, 1, v26
	v_cndmask_b32_e32 v29, 0, v29, vcc
	v_and_b32_e32 v30, 1, v30
	v_cmp_eq_u32_e64 s[28:29], 1, v31
	v_add_u32_e32 v28, v29, v28
	v_cmp_eq_u32_e32 vcc, 0, v26
	v_cndmask_b32_e64 v30, v30, 1, s[28:29]
	v_cmp_lt_u32_e64 s[28:29], 7, v27
	v_mov_b32_dpp v29, v28 row_shr:8 row_mask:0xf bank_mask:0xf
	s_and_b64 vcc, s[28:29], vcc
	v_cndmask_b32_e32 v27, 0, v29, vcc
	v_cndmask_b32_e64 v26, v26, v30, s[28:29]
	v_add_u32_e32 v27, v27, v28
	v_cmp_eq_u32_e32 vcc, 0, v26
	v_mov_b32_dpp v29, v26 row_bcast:15 row_mask:0xf bank_mask:0xf
	v_mov_b32_dpp v28, v27 row_bcast:15 row_mask:0xf bank_mask:0xf
	v_and_b32_e32 v32, 1, v26
	v_and_b32_e32 v31, 16, v46
	v_cndmask_b32_e32 v28, 0, v28, vcc
	v_and_b32_e32 v29, 1, v29
	v_cmp_eq_u32_e32 vcc, 1, v32
	v_bfe_i32 v30, v46, 4, 1
	v_cndmask_b32_e64 v29, v29, 1, vcc
	v_cmp_eq_u32_e32 vcc, 0, v31
	v_and_b32_e32 v28, v30, v28
	v_cndmask_b32_e32 v26, v29, v26, vcc
	v_add_u32_e32 v27, v28, v27
	v_and_b32_e32 v30, 1, v26
	v_mov_b32_dpp v28, v26 row_bcast:31 row_mask:0xf bank_mask:0xf
	v_and_b32_e32 v28, 1, v28
	v_cmp_eq_u32_e64 s[28:29], 1, v30
	v_cmp_eq_u32_e32 vcc, 0, v26
	v_cndmask_b32_e64 v28, v28, 1, s[28:29]
	v_cmp_lt_u32_e64 s[28:29], 31, v46
	v_mov_b32_dpp v29, v27 row_bcast:31 row_mask:0xf bank_mask:0xf
	s_and_b64 vcc, s[28:29], vcc
	v_cndmask_b32_e64 v28, v26, v28, s[28:29]
	v_cndmask_b32_e32 v26, 0, v29, vcc
	v_add_u32_e32 v29, v26, v27
	v_cmp_eq_u32_e32 vcc, v51, v0
	s_and_saveexec_b64 s[28:29], vcc
	s_cbranch_execz .LBB1894_104
; %bb.103:
	v_lshlrev_b32_e32 v26, 3, v1
	ds_write_b32 v26, v29
	ds_write_b8 v26, v28 offset:4
.LBB1894_104:
	s_or_b64 exec, exec, s[28:29]
	v_cmp_gt_u32_e32 vcc, 4, v0
	s_waitcnt lgkmcnt(0)
	s_barrier
	s_and_saveexec_b64 s[28:29], vcc
	s_cbranch_execz .LBB1894_108
; %bb.105:
	v_lshlrev_b32_e32 v30, 3, v0
	ds_read_b64 v[26:27], v30
	v_and_b32_e32 v31, 3, v46
	v_cmp_ne_u32_e32 vcc, 0, v31
	s_waitcnt lgkmcnt(0)
	v_mov_b32_dpp v32, v26 row_shr:1 row_mask:0xf bank_mask:0xf
	v_mov_b32_dpp v34, v27 row_shr:1 row_mask:0xf bank_mask:0xf
	v_mov_b32_e32 v33, v27
	s_and_saveexec_b64 s[34:35], vcc
	s_cbranch_execz .LBB1894_107
; %bb.106:
	v_and_b32_e32 v33, 1, v27
	v_and_b32_e32 v34, 1, v34
	v_cmp_eq_u32_e32 vcc, 1, v33
	v_mov_b32_e32 v33, 0
	v_cndmask_b32_e64 v34, v34, 1, vcc
	v_cmp_eq_u16_sdwa vcc, v27, v33 src0_sel:BYTE_0 src1_sel:DWORD
	v_cndmask_b32_e32 v32, 0, v32, vcc
	v_add_u32_e32 v26, v32, v26
	v_and_b32_e32 v32, 0xffff, v34
	s_movk_i32 s7, 0xff00
	v_and_or_b32 v33, v27, s7, v32
	v_mov_b32_e32 v27, v34
.LBB1894_107:
	s_or_b64 exec, exec, s[34:35]
	v_mov_b32_dpp v33, v33 row_shr:2 row_mask:0xf bank_mask:0xf
	v_and_b32_e32 v34, 1, v27
	v_and_b32_e32 v33, 1, v33
	v_cmp_eq_u32_e32 vcc, 1, v34
	v_mov_b32_e32 v34, 0
	v_cndmask_b32_e64 v33, v33, 1, vcc
	v_cmp_eq_u16_sdwa s[34:35], v27, v34 src0_sel:BYTE_0 src1_sel:DWORD
	v_cmp_lt_u32_e32 vcc, 1, v31
	v_mov_b32_dpp v32, v26 row_shr:2 row_mask:0xf bank_mask:0xf
	v_cndmask_b32_e32 v27, v27, v33, vcc
	s_and_b64 vcc, vcc, s[34:35]
	v_cndmask_b32_e32 v31, 0, v32, vcc
	v_add_u32_e32 v26, v31, v26
	ds_write_b32 v30, v26
	ds_write_b8 v30, v27 offset:4
.LBB1894_108:
	s_or_b64 exec, exec, s[28:29]
	v_cmp_gt_u32_e32 vcc, 64, v0
	v_cmp_lt_u32_e64 s[28:29], 63, v0
	v_mov_b32_e32 v42, 0
	v_mov_b32_e32 v43, 0
	s_waitcnt lgkmcnt(0)
	s_barrier
	s_and_saveexec_b64 s[34:35], s[28:29]
	s_cbranch_execz .LBB1894_110
; %bb.109:
	v_lshl_add_u32 v26, v1, 3, -8
	ds_read_b32 v42, v26
	ds_read_u8 v43, v26 offset:4
	v_and_b32_e32 v27, 1, v28
	v_cmp_eq_u32_e64 s[28:29], 0, v28
	s_waitcnt lgkmcnt(1)
	v_cndmask_b32_e64 v26, 0, v42, s[28:29]
	v_cmp_eq_u32_e64 s[28:29], 1, v27
	v_add_u32_e32 v29, v26, v29
	s_waitcnt lgkmcnt(0)
	v_cndmask_b32_e64 v28, v43, 1, s[28:29]
.LBB1894_110:
	s_or_b64 exec, exec, s[34:35]
	v_add_u32_e32 v26, -1, v46
	v_and_b32_e32 v27, 64, v46
	v_cmp_lt_i32_e64 s[28:29], v26, v27
	v_cndmask_b32_e64 v26, v26, v46, s[28:29]
	v_lshlrev_b32_e32 v26, 2, v26
	ds_bpermute_b32 v44, v26, v29
	ds_bpermute_b32 v45, v26, v28
	v_cmp_eq_u32_e64 s[28:29], 0, v46
	s_and_saveexec_b64 s[40:41], vcc
	s_cbranch_execz .LBB1894_133
; %bb.111:
	v_mov_b32_e32 v29, 0
	ds_read_b64 v[26:27], v29 offset:24
	s_waitcnt lgkmcnt(0)
	v_readfirstlane_b32 s7, v27
	s_and_saveexec_b64 s[34:35], s[28:29]
	s_cbranch_execz .LBB1894_113
; %bb.112:
	s_add_i32 s44, s6, 64
	s_mov_b32 s45, 0
	s_lshl_b64 s[48:49], s[44:45], 4
	s_add_u32 s48, s52, s48
	s_addc_u32 s49, s53, s49
	s_and_b32 s51, s7, 0xff000000
	s_mov_b32 s50, s45
	s_and_b32 s59, s7, 0xff0000
	s_mov_b32 s58, s45
	s_or_b64 s[50:51], s[58:59], s[50:51]
	s_and_b32 s59, s7, 0xff00
	s_or_b64 s[50:51], s[50:51], s[58:59]
	s_and_b32 s59, s7, 0xff
	s_or_b64 s[44:45], s[50:51], s[58:59]
	v_mov_b32_e32 v27, s45
	v_mov_b32_e32 v28, 1
	v_pk_mov_b32 v[30:31], s[48:49], s[48:49] op_sel:[0,1]
	;;#ASMSTART
	global_store_dwordx4 v[30:31], v[26:29] off	
s_waitcnt vmcnt(0)
	;;#ASMEND
.LBB1894_113:
	s_or_b64 exec, exec, s[34:35]
	v_xad_u32 v34, v46, -1, s6
	v_add_u32_e32 v28, 64, v34
	v_lshlrev_b64 v[30:31], 4, v[28:29]
	v_mov_b32_e32 v27, s53
	v_add_co_u32_e32 v36, vcc, s52, v30
	v_addc_co_u32_e32 v37, vcc, v27, v31, vcc
	;;#ASMSTART
	global_load_dwordx4 v[30:33], v[36:37] off glc	
s_waitcnt vmcnt(0)
	;;#ASMEND
	v_and_b32_e32 v27, 0xff0000, v30
	v_or_b32_sdwa v27, v30, v27 dst_sel:DWORD dst_unused:UNUSED_PAD src0_sel:WORD_0 src1_sel:DWORD
	v_and_b32_e32 v28, 0xff000000, v30
	v_and_b32_e32 v30, 0xff, v31
	v_or3_b32 v31, 0, 0, v30
	v_or3_b32 v30, v27, v28, 0
	v_cmp_eq_u16_sdwa s[44:45], v32, v29 src0_sel:BYTE_0 src1_sel:DWORD
	s_and_saveexec_b64 s[34:35], s[44:45]
	s_cbranch_execz .LBB1894_119
; %bb.114:
	s_mov_b32 s48, 1
	s_mov_b64 s[44:45], 0
	v_mov_b32_e32 v27, 0
.LBB1894_115:                           ; =>This Loop Header: Depth=1
                                        ;     Child Loop BB1894_116 Depth 2
	s_max_u32 s49, s48, 1
.LBB1894_116:                           ;   Parent Loop BB1894_115 Depth=1
                                        ; =>  This Inner Loop Header: Depth=2
	s_add_i32 s49, s49, -1
	s_cmp_eq_u32 s49, 0
	s_sleep 1
	s_cbranch_scc0 .LBB1894_116
; %bb.117:                              ;   in Loop: Header=BB1894_115 Depth=1
	s_cmp_lt_u32 s48, 32
	s_cselect_b64 s[50:51], -1, 0
	s_cmp_lg_u64 s[50:51], 0
	s_addc_u32 s48, s48, 0
	;;#ASMSTART
	global_load_dwordx4 v[30:33], v[36:37] off glc	
s_waitcnt vmcnt(0)
	;;#ASMEND
	v_cmp_ne_u16_sdwa s[50:51], v32, v27 src0_sel:BYTE_0 src1_sel:DWORD
	s_or_b64 s[44:45], s[50:51], s[44:45]
	s_andn2_b64 exec, exec, s[44:45]
	s_cbranch_execnz .LBB1894_115
; %bb.118:
	s_or_b64 exec, exec, s[44:45]
	v_and_b32_e32 v31, 0xff, v31
.LBB1894_119:
	s_or_b64 exec, exec, s[34:35]
	v_mov_b32_e32 v27, 2
	v_cmp_eq_u16_sdwa s[34:35], v32, v27 src0_sel:BYTE_0 src1_sel:DWORD
	v_lshlrev_b64 v[28:29], v46, -1
	v_and_b32_e32 v33, s35, v29
	v_or_b32_e32 v33, 0x80000000, v33
	v_and_b32_e32 v35, s34, v28
	v_ffbl_b32_e32 v33, v33
	v_and_b32_e32 v47, 63, v46
	v_add_u32_e32 v33, 32, v33
	v_ffbl_b32_e32 v35, v35
	v_cmp_ne_u32_e32 vcc, 63, v47
	v_min_u32_e32 v33, v35, v33
	v_addc_co_u32_e32 v35, vcc, 0, v46, vcc
	v_lshlrev_b32_e32 v48, 2, v35
	ds_bpermute_b32 v35, v48, v31
	ds_bpermute_b32 v36, v48, v30
	s_mov_b32 s44, 0
	v_and_b32_e32 v37, 1, v31
	s_mov_b32 s45, 1
	s_waitcnt lgkmcnt(1)
	v_and_b32_e32 v35, 1, v35
	v_cmp_eq_u32_e32 vcc, 1, v37
	v_cndmask_b32_e64 v35, v35, 1, vcc
	v_cmp_gt_u64_e32 vcc, s[44:45], v[30:31]
	v_cmp_lt_u32_e64 s[34:35], v47, v33
	s_and_b64 vcc, s[34:35], vcc
	v_and_b32_e32 v37, 0xffff, v35
	v_cndmask_b32_e64 v54, v31, v35, s[34:35]
	s_waitcnt lgkmcnt(0)
	v_cndmask_b32_e32 v35, 0, v36, vcc
	v_cmp_gt_u32_e32 vcc, 62, v47
	v_cndmask_b32_e64 v36, 0, 1, vcc
	v_lshlrev_b32_e32 v36, 1, v36
	v_cndmask_b32_e64 v31, v31, v37, s[34:35]
	v_add_lshl_u32 v49, v36, v46, 2
	ds_bpermute_b32 v36, v49, v31
	v_add_u32_e32 v30, v35, v30
	ds_bpermute_b32 v37, v49, v30
	v_and_b32_e32 v35, 1, v54
	v_cmp_eq_u32_e32 vcc, 1, v35
	s_waitcnt lgkmcnt(1)
	v_and_b32_e32 v36, 1, v36
	v_mov_b32_e32 v35, 0
	v_add_u32_e32 v53, 2, v47
	v_cndmask_b32_e64 v36, v36, 1, vcc
	v_cmp_eq_u16_sdwa vcc, v54, v35 src0_sel:BYTE_0 src1_sel:DWORD
	v_and_b32_e32 v55, 0xffff, v36
	s_waitcnt lgkmcnt(0)
	v_cndmask_b32_e32 v37, 0, v37, vcc
	v_cmp_gt_u32_e32 vcc, v53, v33
	v_cndmask_b32_e32 v36, v36, v54, vcc
	v_cndmask_b32_e64 v37, v37, 0, vcc
	v_cndmask_b32_e32 v31, v55, v31, vcc
	v_cmp_gt_u32_e32 vcc, 60, v47
	v_cndmask_b32_e64 v54, 0, 1, vcc
	v_lshlrev_b32_e32 v54, 2, v54
	v_add_lshl_u32 v54, v54, v46, 2
	ds_bpermute_b32 v56, v54, v31
	v_add_u32_e32 v30, v37, v30
	ds_bpermute_b32 v37, v54, v30
	v_and_b32_e32 v57, 1, v36
	v_cmp_eq_u32_e32 vcc, 1, v57
	s_waitcnt lgkmcnt(1)
	v_and_b32_e32 v56, 1, v56
	v_add_u32_e32 v55, 4, v47
	v_cndmask_b32_e64 v56, v56, 1, vcc
	v_cmp_eq_u16_sdwa vcc, v36, v35 src0_sel:BYTE_0 src1_sel:DWORD
	v_and_b32_e32 v57, 0xffff, v56
	s_waitcnt lgkmcnt(0)
	v_cndmask_b32_e32 v37, 0, v37, vcc
	v_cmp_gt_u32_e32 vcc, v55, v33
	v_cndmask_b32_e32 v36, v56, v36, vcc
	v_cndmask_b32_e64 v37, v37, 0, vcc
	v_cndmask_b32_e32 v31, v57, v31, vcc
	v_cmp_gt_u32_e32 vcc, 56, v47
	v_cndmask_b32_e64 v56, 0, 1, vcc
	v_lshlrev_b32_e32 v56, 3, v56
	v_add_lshl_u32 v56, v56, v46, 2
	ds_bpermute_b32 v58, v56, v31
	v_add_u32_e32 v30, v37, v30
	ds_bpermute_b32 v37, v56, v30
	v_and_b32_e32 v59, 1, v36
	v_cmp_eq_u32_e32 vcc, 1, v59
	s_waitcnt lgkmcnt(1)
	v_and_b32_e32 v58, 1, v58
	;; [unrolled: 21-line block ×4, first 2 shown]
	v_add_u32_e32 v62, 32, v47
	v_cndmask_b32_e64 v31, v31, 1, vcc
	v_cmp_eq_u16_sdwa vcc, v36, v35 src0_sel:BYTE_0 src1_sel:DWORD
	s_waitcnt lgkmcnt(0)
	v_cndmask_b32_e32 v37, 0, v37, vcc
	v_cmp_gt_u32_e32 vcc, v62, v33
	v_cndmask_b32_e64 v33, v37, 0, vcc
	v_cndmask_b32_e32 v31, v31, v36, vcc
	v_add_u32_e32 v30, v33, v30
	s_branch .LBB1894_121
.LBB1894_120:                           ;   in Loop: Header=BB1894_121 Depth=1
	s_or_b64 exec, exec, s[34:35]
	v_cmp_eq_u16_sdwa s[34:35], v32, v27 src0_sel:BYTE_0 src1_sel:DWORD
	v_and_b32_e32 v33, s35, v29
	ds_bpermute_b32 v37, v48, v31
	v_or_b32_e32 v33, 0x80000000, v33
	v_and_b32_e32 v36, s34, v28
	v_ffbl_b32_e32 v33, v33
	v_add_u32_e32 v33, 32, v33
	v_ffbl_b32_e32 v36, v36
	v_min_u32_e32 v33, v36, v33
	ds_bpermute_b32 v36, v48, v30
	v_and_b32_e32 v63, 1, v31
	s_waitcnt lgkmcnt(1)
	v_and_b32_e32 v37, 1, v37
	v_cmp_eq_u32_e32 vcc, 1, v63
	v_cndmask_b32_e64 v37, v37, 1, vcc
	v_cmp_gt_u64_e32 vcc, s[44:45], v[30:31]
	v_and_b32_e32 v63, 0xffff, v37
	v_cmp_lt_u32_e64 s[34:35], v47, v33
	v_cndmask_b32_e64 v37, v31, v37, s[34:35]
	v_cndmask_b32_e64 v31, v31, v63, s[34:35]
	s_and_b64 vcc, s[34:35], vcc
	ds_bpermute_b32 v63, v49, v31
	s_waitcnt lgkmcnt(1)
	v_cndmask_b32_e32 v36, 0, v36, vcc
	v_add_u32_e32 v30, v36, v30
	ds_bpermute_b32 v36, v49, v30
	v_and_b32_e32 v64, 1, v37
	s_waitcnt lgkmcnt(1)
	v_and_b32_e32 v63, 1, v63
	v_cmp_eq_u32_e32 vcc, 1, v64
	v_cndmask_b32_e64 v63, v63, 1, vcc
	v_cmp_eq_u16_sdwa vcc, v37, v35 src0_sel:BYTE_0 src1_sel:DWORD
	v_and_b32_e32 v64, 0xffff, v63
	s_waitcnt lgkmcnt(0)
	v_cndmask_b32_e32 v36, 0, v36, vcc
	v_cmp_gt_u32_e32 vcc, v53, v33
	v_cndmask_b32_e32 v31, v64, v31, vcc
	v_cndmask_b32_e32 v37, v63, v37, vcc
	ds_bpermute_b32 v63, v54, v31
	v_cndmask_b32_e64 v36, v36, 0, vcc
	v_add_u32_e32 v30, v36, v30
	ds_bpermute_b32 v36, v54, v30
	v_and_b32_e32 v64, 1, v37
	s_waitcnt lgkmcnt(1)
	v_and_b32_e32 v63, 1, v63
	v_cmp_eq_u32_e32 vcc, 1, v64
	v_cndmask_b32_e64 v63, v63, 1, vcc
	v_cmp_eq_u16_sdwa vcc, v37, v35 src0_sel:BYTE_0 src1_sel:DWORD
	v_and_b32_e32 v64, 0xffff, v63
	s_waitcnt lgkmcnt(0)
	v_cndmask_b32_e32 v36, 0, v36, vcc
	v_cmp_gt_u32_e32 vcc, v55, v33
	v_cndmask_b32_e32 v31, v64, v31, vcc
	v_cndmask_b32_e32 v37, v63, v37, vcc
	ds_bpermute_b32 v63, v56, v31
	v_cndmask_b32_e64 v36, v36, 0, vcc
	;; [unrolled: 16-line block ×3, first 2 shown]
	v_add_u32_e32 v30, v36, v30
	ds_bpermute_b32 v36, v58, v30
	v_and_b32_e32 v64, 1, v37
	s_waitcnt lgkmcnt(1)
	v_and_b32_e32 v63, 1, v63
	v_cmp_eq_u32_e32 vcc, 1, v64
	v_cndmask_b32_e64 v63, v63, 1, vcc
	v_cmp_eq_u16_sdwa vcc, v37, v35 src0_sel:BYTE_0 src1_sel:DWORD
	v_and_b32_e32 v64, 0xffff, v63
	s_waitcnt lgkmcnt(0)
	v_cndmask_b32_e32 v36, 0, v36, vcc
	v_cmp_gt_u32_e32 vcc, v59, v33
	v_cndmask_b32_e64 v36, v36, 0, vcc
	v_cndmask_b32_e32 v31, v64, v31, vcc
	ds_bpermute_b32 v31, v61, v31
	v_add_u32_e32 v30, v36, v30
	ds_bpermute_b32 v36, v61, v30
	v_cndmask_b32_e32 v37, v63, v37, vcc
	v_and_b32_e32 v63, 1, v37
	v_cmp_eq_u32_e32 vcc, 1, v63
	s_waitcnt lgkmcnt(1)
	v_cndmask_b32_e64 v31, v31, 1, vcc
	v_cmp_eq_u16_sdwa vcc, v37, v35 src0_sel:BYTE_0 src1_sel:DWORD
	s_waitcnt lgkmcnt(0)
	v_cndmask_b32_e32 v36, 0, v36, vcc
	v_cmp_gt_u32_e32 vcc, v62, v33
	v_cndmask_b32_e64 v33, v36, 0, vcc
	v_cndmask_b32_e32 v31, v31, v37, vcc
	v_add_u32_e32 v30, v33, v30
	v_cmp_eq_u16_sdwa vcc, v46, v35 src0_sel:BYTE_0 src1_sel:DWORD
	v_and_b32_e32 v33, 1, v46
	v_cndmask_b32_e32 v30, 0, v30, vcc
	v_and_b32_e32 v31, 1, v31
	v_cmp_eq_u32_e32 vcc, 1, v33
	v_subrev_u32_e32 v34, 64, v34
	v_add_u32_e32 v30, v30, v60
	v_cndmask_b32_e64 v31, v31, 1, vcc
.LBB1894_121:                           ; =>This Loop Header: Depth=1
                                        ;     Child Loop BB1894_124 Depth 2
                                        ;       Child Loop BB1894_125 Depth 3
	v_cmp_ne_u16_sdwa s[34:35], v32, v27 src0_sel:BYTE_0 src1_sel:DWORD
	v_mov_b32_e32 v46, v31
	v_cndmask_b32_e64 v31, 0, 1, s[34:35]
	;;#ASMSTART
	;;#ASMEND
	v_cmp_ne_u32_e32 vcc, 0, v31
	s_cmp_lg_u64 vcc, exec
	v_mov_b32_e32 v60, v30
	s_cbranch_scc1 .LBB1894_128
; %bb.122:                              ;   in Loop: Header=BB1894_121 Depth=1
	v_lshlrev_b64 v[30:31], 4, v[34:35]
	v_mov_b32_e32 v32, s53
	v_add_co_u32_e32 v36, vcc, s52, v30
	v_addc_co_u32_e32 v37, vcc, v32, v31, vcc
	;;#ASMSTART
	global_load_dwordx4 v[30:33], v[36:37] off glc	
s_waitcnt vmcnt(0)
	;;#ASMEND
	v_and_b32_e32 v33, 0xff0000, v30
	v_or_b32_sdwa v33, v30, v33 dst_sel:DWORD dst_unused:UNUSED_PAD src0_sel:WORD_0 src1_sel:DWORD
	v_and_b32_e32 v30, 0xff000000, v30
	v_and_b32_e32 v31, 0xff, v31
	v_or3_b32 v31, 0, 0, v31
	v_or3_b32 v30, v33, v30, 0
	v_cmp_eq_u16_sdwa s[48:49], v32, v35 src0_sel:BYTE_0 src1_sel:DWORD
	s_and_saveexec_b64 s[34:35], s[48:49]
	s_cbranch_execz .LBB1894_120
; %bb.123:                              ;   in Loop: Header=BB1894_121 Depth=1
	s_mov_b32 s50, 1
	s_mov_b64 s[48:49], 0
.LBB1894_124:                           ;   Parent Loop BB1894_121 Depth=1
                                        ; =>  This Loop Header: Depth=2
                                        ;       Child Loop BB1894_125 Depth 3
	s_max_u32 s51, s50, 1
.LBB1894_125:                           ;   Parent Loop BB1894_121 Depth=1
                                        ;     Parent Loop BB1894_124 Depth=2
                                        ; =>    This Inner Loop Header: Depth=3
	s_add_i32 s51, s51, -1
	s_cmp_eq_u32 s51, 0
	s_sleep 1
	s_cbranch_scc0 .LBB1894_125
; %bb.126:                              ;   in Loop: Header=BB1894_124 Depth=2
	s_cmp_lt_u32 s50, 32
	s_cselect_b64 s[58:59], -1, 0
	s_cmp_lg_u64 s[58:59], 0
	s_addc_u32 s50, s50, 0
	;;#ASMSTART
	global_load_dwordx4 v[30:33], v[36:37] off glc	
s_waitcnt vmcnt(0)
	;;#ASMEND
	v_cmp_ne_u16_sdwa s[58:59], v32, v35 src0_sel:BYTE_0 src1_sel:DWORD
	s_or_b64 s[48:49], s[58:59], s[48:49]
	s_andn2_b64 exec, exec, s[48:49]
	s_cbranch_execnz .LBB1894_124
; %bb.127:                              ;   in Loop: Header=BB1894_121 Depth=1
	s_or_b64 exec, exec, s[48:49]
	v_and_b32_e32 v31, 0xff, v31
	s_branch .LBB1894_120
.LBB1894_128:                           ;   in Loop: Header=BB1894_121 Depth=1
                                        ; implicit-def: $vgpr31
                                        ; implicit-def: $vgpr30
                                        ; implicit-def: $vgpr32
	s_cbranch_execz .LBB1894_121
; %bb.129:
	s_and_saveexec_b64 s[34:35], s[28:29]
	s_cbranch_execz .LBB1894_131
; %bb.130:
	s_and_b32 s44, s7, 0xff
	s_cmp_eq_u32 s44, 0
	s_cselect_b64 vcc, -1, 0
	s_bitcmp1_b32 s7, 0
	s_mov_b32 s45, 0
	s_cselect_b64 s[48:49], -1, 0
	s_add_i32 s44, s6, 64
	s_lshl_b64 s[6:7], s[44:45], 4
	v_cndmask_b32_e32 v27, 0, v60, vcc
	s_add_u32 s6, s52, s6
	v_add_u32_e32 v26, v27, v26
	v_and_b32_e32 v27, 1, v46
	s_addc_u32 s7, s53, s7
	v_mov_b32_e32 v29, 0
	v_cndmask_b32_e64 v27, v27, 1, s[48:49]
	v_mov_b32_e32 v28, 2
	v_pk_mov_b32 v[30:31], s[6:7], s[6:7] op_sel:[0,1]
	;;#ASMSTART
	global_store_dwordx4 v[30:31], v[26:29] off	
s_waitcnt vmcnt(0)
	;;#ASMEND
.LBB1894_131:
	s_or_b64 exec, exec, s[34:35]
	v_cmp_eq_u32_e32 vcc, 0, v0
	s_and_b64 exec, exec, vcc
	s_cbranch_execz .LBB1894_133
; %bb.132:
	v_mov_b32_e32 v26, 0
	ds_write_b32 v26, v60 offset:24
	ds_write_b8 v26, v46 offset:28
.LBB1894_133:
	s_or_b64 exec, exec, s[40:41]
	s_mov_b32 s6, 0
	v_mov_b32_e32 v28, 0
	s_mov_b32 s7, 1
	s_waitcnt lgkmcnt(0)
	v_cndmask_b32_e64 v26, v45, v43, s[28:29]
	v_cndmask_b32_e64 v27, v44, v42, s[28:29]
	s_barrier
	ds_read_b32 v29, v28 offset:24
	v_cmp_gt_u64_e32 vcc, s[6:7], v[38:39]
	v_and_b32_e32 v30, 1, v39
	v_cndmask_b32_e32 v27, 0, v27, vcc
	v_and_b32_e32 v26, 1, v26
	v_cmp_eq_u32_e32 vcc, 1, v30
	v_cndmask_b32_e64 v26, v26, 1, vcc
	v_cmp_eq_u32_e32 vcc, 0, v0
	v_cndmask_b32_e32 v26, v26, v39, vcc
	v_cndmask_b32_e64 v27, v27, 0, vcc
	v_cmp_eq_u16_sdwa vcc, v26, v28 src0_sel:BYTE_0 src1_sel:DWORD
	s_waitcnt lgkmcnt(0)
	v_cndmask_b32_e32 v26, 0, v29, vcc
	v_add3_u32 v26, v27, v38, v26
	v_cndmask_b32_e64 v27, 0, v26, s[2:3]
	v_add_u32_e32 v27, v27, v2
	v_cndmask_b32_e64 v28, 0, v27, s[4:5]
	v_add_u32_e32 v42, v28, v4
	;; [unrolled: 2-line block ×13, first 2 shown]
	s_branch .LBB1894_150
.LBB1894_134:
                                        ; implicit-def: $vgpr49
                                        ; implicit-def: $vgpr47
                                        ; implicit-def: $vgpr45
                                        ; implicit-def: $vgpr43
                                        ; implicit-def: $vgpr34_vgpr35_vgpr36_vgpr37
                                        ; implicit-def: $vgpr30_vgpr31_vgpr32_vgpr33
                                        ; implicit-def: $vgpr26_vgpr27_vgpr28_vgpr29
	s_cbranch_execz .LBB1894_150
; %bb.135:
	s_cmp_lg_u64 s[56:57], 0
	s_cselect_b32 s5, s47, 0
	s_cselect_b32 s4, s46, 0
	s_cmp_lg_u64 s[4:5], 0
	s_cselect_b64 s[6:7], -1, 0
	v_cmp_eq_u32_e32 vcc, 0, v0
	s_mov_b32 s28, 0
	v_cmp_ne_u32_e64 s[2:3], 0, v0
	s_and_b64 s[8:9], vcc, s[6:7]
	s_and_saveexec_b64 s[6:7], s[8:9]
	s_cbranch_execz .LBB1894_137
; %bb.136:
	v_mov_b32_e32 v26, 0
	global_load_dword v28, v26, s[4:5]
	global_load_ubyte v29, v26, s[4:5] offset:4
	s_mov_b32 s29, 1
	v_and_b32_e32 v27, 1, v39
	v_cmp_gt_u64_e64 s[4:5], s[28:29], v[38:39]
	s_waitcnt vmcnt(1)
	v_cndmask_b32_e64 v28, 0, v28, s[4:5]
	s_waitcnt vmcnt(0)
	v_and_b32_e32 v29, 1, v29
	v_cmp_eq_u64_e64 s[4:5], 0, v[26:27]
	v_add_u32_e32 v38, v28, v38
	v_cndmask_b32_e64 v39, 1, v29, s[4:5]
.LBB1894_137:
	s_or_b64 exec, exec, s[6:7]
	s_mov_b32 s29, 1
	v_cmp_gt_u64_e64 s[4:5], s[28:29], v[2:3]
	v_cndmask_b32_e64 v26, 0, v38, s[4:5]
	v_add_u32_e32 v27, v26, v2
	v_cmp_gt_u64_e64 s[6:7], s[28:29], v[4:5]
	v_cndmask_b32_e64 v26, 0, v27, s[6:7]
	v_add_u32_e32 v42, v26, v4
	v_cmp_gt_u64_e64 s[8:9], s[28:29], v[6:7]
	v_cndmask_b32_e64 v26, 0, v42, s[8:9]
	v_add_u32_e32 v43, v26, v6
	v_cmp_gt_u64_e64 s[10:11], s[28:29], v[8:9]
	v_cndmask_b32_e64 v26, 0, v43, s[10:11]
	v_add_u32_e32 v30, v26, v8
	v_cmp_gt_u64_e64 s[12:13], s[28:29], v[10:11]
	v_cndmask_b32_e64 v26, 0, v30, s[12:13]
	v_add_u32_e32 v31, v26, v10
	v_cmp_gt_u64_e64 s[14:15], s[28:29], v[12:13]
	v_cndmask_b32_e64 v26, 0, v31, s[14:15]
	v_add_u32_e32 v44, v26, v12
	v_cmp_gt_u64_e64 s[16:17], s[28:29], v[14:15]
	v_cndmask_b32_e64 v26, 0, v44, s[16:17]
	v_add_u32_e32 v45, v26, v14
	v_cmp_gt_u64_e64 s[18:19], s[28:29], v[16:17]
	v_mov_b32_e32 v28, 0
	v_cndmask_b32_e64 v26, 0, v45, s[18:19]
	v_or3_b32 v7, v23, v15, v7
	v_add_u32_e32 v34, v26, v16
	v_cmp_gt_u64_e64 s[20:21], s[28:29], v[18:19]
	v_or3_b32 v9, v25, v17, v9
	v_and_b32_e32 v55, 1, v7
	v_mov_b32_e32 v54, v28
	v_cndmask_b32_e64 v26, 0, v34, s[20:21]
	v_or3_b32 v3, v19, v11, v3
	v_and_b32_e32 v37, 1, v9
	v_mov_b32_e32 v36, v28
	v_cmp_ne_u64_e64 s[34:35], 0, v[54:55]
	v_add_u32_e32 v35, v26, v18
	v_cmp_gt_u64_e64 s[22:23], s[28:29], v[20:21]
	v_or3_b32 v5, v21, v13, v5
	v_and_b32_e32 v29, 1, v3
	v_cndmask_b32_e64 v3, 0, 1, s[34:35]
	v_cmp_ne_u64_e64 s[34:35], 0, v[36:37]
	v_cndmask_b32_e64 v26, 0, v35, s[22:23]
	v_and_b32_e32 v33, 1, v5
	v_mov_b32_e32 v32, v28
	v_cndmask_b32_e64 v5, 0, 1, s[34:35]
	v_add_u32_e32 v46, v26, v20
	v_cmp_gt_u64_e64 s[24:25], s[28:29], v[22:23]
	v_lshlrev_b16_e32 v3, 2, v3
	v_lshlrev_b16_e32 v5, 3, v5
	v_cmp_ne_u64_e64 s[34:35], 0, v[32:33]
	v_cndmask_b32_e64 v26, 0, v46, s[24:25]
	v_or_b32_e32 v3, v5, v3
	v_cndmask_b32_e64 v5, 0, 1, s[34:35]
	v_cmp_ne_u64_e64 s[34:35], 0, v[28:29]
	v_add_u32_e32 v47, v26, v22
	v_cmp_gt_u64_e64 s[26:27], s[28:29], v[24:25]
	v_lshlrev_b16_e32 v5, 1, v5
	v_cndmask_b32_e64 v7, 0, 1, s[34:35]
	v_cndmask_b32_e64 v26, 0, v47, s[26:27]
	v_or_b32_e32 v5, v7, v5
	v_add_u32_e32 v48, v26, v24
	v_cmp_gt_u64_e64 s[28:29], s[28:29], v[40:41]
	v_and_b32_e32 v5, 3, v5
	v_cndmask_b32_e64 v26, 0, v48, s[28:29]
	v_or_b32_e32 v3, v5, v3
	v_add_u32_e32 v49, v26, v40
	v_and_b32_e32 v26, 1, v41
	v_and_b32_e32 v3, 15, v3
	v_cmp_eq_u32_e64 s[30:31], 1, v26
	v_cmp_ne_u16_e64 s[34:35], 0, v3
	s_or_b64 s[30:31], s[30:31], s[34:35]
	v_cndmask_b32_e64 v5, v39, 1, s[30:31]
	v_mbcnt_hi_u32_b32 v3, -1, v52
	v_mov_b32_dpp v9, v49 row_shr:1 row_mask:0xf bank_mask:0xf
	v_mov_b32_dpp v11, v5 row_shr:1 row_mask:0xf bank_mask:0xf
	v_cmp_eq_u32_e64 s[30:31], 0, v5
	v_and_b32_e32 v13, 1, v5
	v_and_b32_e32 v7, 15, v3
	v_cndmask_b32_e64 v9, 0, v9, s[30:31]
	v_and_b32_e32 v11, 1, v11
	v_cmp_eq_u32_e64 s[30:31], 1, v13
	v_cndmask_b32_e64 v11, v11, 1, s[30:31]
	v_cmp_eq_u32_e64 s[30:31], 0, v7
	v_cndmask_b32_e64 v5, v11, v5, s[30:31]
	v_and_b32_e32 v15, 1, v5
	v_cmp_eq_u32_e64 s[34:35], 1, v15
	v_mov_b32_dpp v13, v5 row_shr:2 row_mask:0xf bank_mask:0xf
	v_and_b32_e32 v13, 1, v13
	v_cndmask_b32_e64 v13, v13, 1, s[34:35]
	v_cmp_lt_u32_e64 s[34:35], 1, v7
	v_cndmask_b32_e64 v9, v9, 0, s[30:31]
	v_cmp_eq_u32_e64 s[30:31], 0, v5
	v_cndmask_b32_e64 v5, v5, v13, s[34:35]
	v_add_u32_e32 v9, v49, v9
	v_and_b32_e32 v15, 1, v5
	v_mov_b32_dpp v13, v5 row_shr:4 row_mask:0xf bank_mask:0xf
	v_mov_b32_dpp v11, v9 row_shr:2 row_mask:0xf bank_mask:0xf
	s_and_b64 s[30:31], s[34:35], s[30:31]
	v_and_b32_e32 v13, 1, v13
	v_cmp_eq_u32_e64 s[34:35], 1, v15
	v_cndmask_b32_e64 v11, 0, v11, s[30:31]
	v_cndmask_b32_e64 v13, v13, 1, s[34:35]
	v_cmp_lt_u32_e64 s[34:35], 3, v7
	v_add_u32_e32 v9, v9, v11
	v_cmp_eq_u32_e64 s[30:31], 0, v5
	v_cndmask_b32_e64 v5, v5, v13, s[34:35]
	v_mov_b32_dpp v11, v9 row_shr:4 row_mask:0xf bank_mask:0xf
	s_and_b64 s[30:31], s[34:35], s[30:31]
	v_mov_b32_dpp v13, v5 row_shr:8 row_mask:0xf bank_mask:0xf
	v_and_b32_e32 v15, 1, v5
	v_cndmask_b32_e64 v11, 0, v11, s[30:31]
	v_and_b32_e32 v13, 1, v13
	v_cmp_eq_u32_e64 s[34:35], 1, v15
	v_add_u32_e32 v9, v9, v11
	v_cmp_eq_u32_e64 s[30:31], 0, v5
	v_cndmask_b32_e64 v13, v13, 1, s[34:35]
	v_cmp_lt_u32_e64 s[34:35], 7, v7
	v_mov_b32_dpp v11, v9 row_shr:8 row_mask:0xf bank_mask:0xf
	s_and_b64 s[30:31], s[34:35], s[30:31]
	v_cndmask_b32_e64 v7, 0, v11, s[30:31]
	v_cndmask_b32_e64 v5, v5, v13, s[34:35]
	v_add_u32_e32 v7, v9, v7
	v_cmp_eq_u32_e64 s[30:31], 0, v5
	v_mov_b32_dpp v11, v5 row_bcast:15 row_mask:0xf bank_mask:0xf
	v_mov_b32_dpp v9, v7 row_bcast:15 row_mask:0xf bank_mask:0xf
	v_and_b32_e32 v17, 1, v5
	v_and_b32_e32 v15, 16, v3
	v_cndmask_b32_e64 v9, 0, v9, s[30:31]
	v_and_b32_e32 v11, 1, v11
	v_cmp_eq_u32_e64 s[30:31], 1, v17
	v_bfe_i32 v13, v3, 4, 1
	v_cndmask_b32_e64 v11, v11, 1, s[30:31]
	v_cmp_eq_u32_e64 s[30:31], 0, v15
	v_and_b32_e32 v9, v13, v9
	v_cndmask_b32_e64 v5, v11, v5, s[30:31]
	v_add_u32_e32 v9, v7, v9
	v_and_b32_e32 v13, 1, v5
	v_mov_b32_dpp v7, v5 row_bcast:31 row_mask:0xf bank_mask:0xf
	v_and_b32_e32 v7, 1, v7
	v_cmp_eq_u32_e64 s[34:35], 1, v13
	v_cmp_eq_u32_e64 s[30:31], 0, v5
	v_cndmask_b32_e64 v7, v7, 1, s[34:35]
	v_cmp_lt_u32_e64 s[34:35], 31, v3
	v_mov_b32_dpp v11, v9 row_bcast:31 row_mask:0xf bank_mask:0xf
	s_and_b64 s[30:31], s[34:35], s[30:31]
	v_cndmask_b32_e64 v7, v5, v7, s[34:35]
	v_cndmask_b32_e64 v5, 0, v11, s[30:31]
	v_add_u32_e32 v5, v9, v5
	v_cmp_eq_u32_e64 s[30:31], v51, v0
	s_and_saveexec_b64 s[34:35], s[30:31]
	s_cbranch_execz .LBB1894_139
; %bb.138:
	v_lshlrev_b32_e32 v9, 3, v1
	ds_write_b32 v9, v5
	ds_write_b8 v9, v7 offset:4
.LBB1894_139:
	s_or_b64 exec, exec, s[34:35]
	v_cmp_gt_u32_e64 s[30:31], 4, v0
	s_waitcnt lgkmcnt(0)
	s_barrier
	s_and_saveexec_b64 s[34:35], s[30:31]
	s_cbranch_execz .LBB1894_143
; %bb.140:
	v_lshlrev_b32_e32 v9, 3, v0
	ds_read_b64 v[28:29], v9
	v_and_b32_e32 v11, 3, v3
	v_cmp_ne_u32_e64 s[30:31], 0, v11
	s_waitcnt lgkmcnt(0)
	v_mov_b32_dpp v13, v28 row_shr:1 row_mask:0xf bank_mask:0xf
	v_mov_b32_dpp v17, v29 row_shr:1 row_mask:0xf bank_mask:0xf
	v_mov_b32_e32 v15, v29
	s_and_saveexec_b64 s[40:41], s[30:31]
	s_cbranch_execz .LBB1894_142
; %bb.141:
	v_and_b32_e32 v15, 1, v29
	v_and_b32_e32 v17, 1, v17
	v_cmp_eq_u32_e64 s[30:31], 1, v15
	v_mov_b32_e32 v15, 0
	v_cndmask_b32_e64 v17, v17, 1, s[30:31]
	v_cmp_eq_u16_sdwa s[30:31], v29, v15 src0_sel:BYTE_0 src1_sel:DWORD
	v_cndmask_b32_e64 v13, 0, v13, s[30:31]
	v_add_u32_e32 v28, v13, v28
	v_and_b32_e32 v13, 0xffff, v17
	s_movk_i32 s30, 0xff00
	v_and_or_b32 v15, v29, s30, v13
	v_mov_b32_e32 v29, v17
.LBB1894_142:
	s_or_b64 exec, exec, s[40:41]
	v_mov_b32_dpp v15, v15 row_shr:2 row_mask:0xf bank_mask:0xf
	v_and_b32_e32 v17, 1, v29
	v_and_b32_e32 v15, 1, v15
	v_cmp_eq_u32_e64 s[30:31], 1, v17
	v_mov_b32_e32 v17, 0
	v_cndmask_b32_e64 v15, v15, 1, s[30:31]
	v_cmp_eq_u16_sdwa s[40:41], v29, v17 src0_sel:BYTE_0 src1_sel:DWORD
	v_cmp_lt_u32_e64 s[30:31], 1, v11
	v_mov_b32_dpp v13, v28 row_shr:2 row_mask:0xf bank_mask:0xf
	v_cndmask_b32_e64 v11, v29, v15, s[30:31]
	s_and_b64 s[30:31], s[30:31], s[40:41]
	v_cndmask_b32_e64 v13, 0, v13, s[30:31]
	v_add_u32_e32 v13, v13, v28
	ds_write_b32 v9, v13
	ds_write_b8 v9, v11 offset:4
.LBB1894_143:
	s_or_b64 exec, exec, s[34:35]
	v_cmp_lt_u32_e64 s[30:31], 63, v0
	v_mov_b32_e32 v9, 0
	s_waitcnt lgkmcnt(0)
	s_barrier
	s_and_saveexec_b64 s[34:35], s[30:31]
	s_cbranch_execz .LBB1894_145
; %bb.144:
	v_lshl_add_u32 v1, v1, 3, -8
	ds_read_b32 v9, v1
	v_cmp_eq_u32_e64 s[30:31], 0, v7
	s_waitcnt lgkmcnt(0)
	v_cndmask_b32_e64 v1, 0, v9, s[30:31]
	v_add_u32_e32 v5, v1, v5
.LBB1894_145:
	s_or_b64 exec, exec, s[34:35]
	v_add_u32_e32 v1, -1, v3
	v_and_b32_e32 v7, 64, v3
	v_cmp_lt_i32_e64 s[30:31], v1, v7
	v_cndmask_b32_e64 v1, v1, v3, s[30:31]
	v_lshlrev_b32_e32 v1, 2, v1
	ds_bpermute_b32 v1, v1, v5
	s_and_saveexec_b64 s[30:31], s[2:3]
	s_cbranch_execz .LBB1894_147
; %bb.146:
	v_and_b32_e32 v27, 0xff, v39
	v_mov_b32_e32 v26, 0
	v_cmp_eq_u32_e64 s[2:3], 0, v3
	s_waitcnt lgkmcnt(0)
	v_cndmask_b32_e64 v1, v1, v9, s[2:3]
	v_cmp_eq_u64_e64 s[2:3], 0, v[26:27]
	v_cndmask_b32_e64 v1, 0, v1, s[2:3]
	v_add_u32_e32 v38, v1, v38
	v_cndmask_b32_e64 v1, 0, v38, s[4:5]
	v_add_u32_e32 v27, v1, v2
	;; [unrolled: 2-line block ×14, first 2 shown]
	;;#ASMSTART
	;;#ASMEND
.LBB1894_147:
	s_or_b64 exec, exec, s[30:31]
	s_and_saveexec_b64 s[2:3], vcc
	s_cbranch_execz .LBB1894_149
; %bb.148:
	v_mov_b32_e32 v5, 0
	ds_read_b32 v2, v5 offset:24
	ds_read_u8 v3, v5 offset:28
	s_add_u32 s4, s52, 0x400
	s_addc_u32 s5, s53, 0
	v_mov_b32_e32 v4, 2
	v_pk_mov_b32 v[6:7], s[4:5], s[4:5] op_sel:[0,1]
	s_waitcnt lgkmcnt(0)
	;;#ASMSTART
	global_store_dwordx4 v[6:7], v[2:5] off	
s_waitcnt vmcnt(0)
	;;#ASMEND
.LBB1894_149:
	s_or_b64 exec, exec, s[2:3]
	v_mov_b32_e32 v26, v38
.LBB1894_150:
	s_add_u32 s2, s42, s38
	s_addc_u32 s3, s43, s39
	s_add_u32 s26, s2, s36
	s_addc_u32 s27, s3, s37
	v_mul_u32_u24_e32 v18, 14, v0
	s_and_b64 vcc, exec, s[0:1]
	s_cbranch_vccz .LBB1894_202
; %bb.151:
	s_add_i32 s33, s33, s54
	v_cmp_gt_u32_e32 vcc, s33, v18
	s_waitcnt lgkmcnt(0)
	v_mov_b32_e32 v1, 0
	v_mov_b32_e32 v5, 0
	;; [unrolled: 1-line block ×15, first 2 shown]
	s_and_saveexec_b64 s[2:3], vcc
	s_cbranch_execz .LBB1894_175
; %bb.152:
	v_or_b32_e32 v2, 1, v18
	v_cmp_gt_u32_e32 vcc, s33, v2
	v_mov_b32_e32 v3, 0
	v_mov_b32_e32 v2, 0
	;; [unrolled: 1-line block ×13, first 2 shown]
	s_and_saveexec_b64 s[4:5], vcc
	s_cbranch_execz .LBB1894_174
; %bb.153:
	v_add_u32_e32 v2, 2, v18
	v_cmp_gt_u32_e32 vcc, s33, v2
	v_mov_b32_e32 v3, 0
	v_mov_b32_e32 v2, 0
	;; [unrolled: 1-line block ×12, first 2 shown]
	s_and_saveexec_b64 s[6:7], vcc
	s_cbranch_execz .LBB1894_173
; %bb.154:
	v_add_u32_e32 v2, 3, v18
	v_cmp_gt_u32_e32 vcc, s33, v2
	v_mov_b32_e32 v3, 0
	v_mov_b32_e32 v2, 0
	;; [unrolled: 1-line block ×11, first 2 shown]
	s_and_saveexec_b64 s[8:9], vcc
	s_cbranch_execz .LBB1894_172
; %bb.155:
	v_add_u32_e32 v2, 4, v18
	v_cmp_gt_u32_e32 vcc, s33, v2
	v_mov_b32_e32 v3, 0
	v_mov_b32_e32 v2, 0
	;; [unrolled: 1-line block ×10, first 2 shown]
	s_and_saveexec_b64 s[10:11], vcc
	s_cbranch_execz .LBB1894_171
; %bb.156:
	v_add_u32_e32 v2, 5, v18
	v_cmp_gt_u32_e32 vcc, s33, v2
	v_mov_b32_e32 v3, 0
	v_mov_b32_e32 v2, 0
	;; [unrolled: 1-line block ×9, first 2 shown]
	s_and_saveexec_b64 s[12:13], vcc
	s_cbranch_execz .LBB1894_170
; %bb.157:
	v_add_u32_e32 v2, 6, v18
	v_cmp_gt_u32_e32 vcc, s33, v2
	v_mov_b32_e32 v3, 0
	v_mov_b32_e32 v2, 0
	;; [unrolled: 1-line block ×8, first 2 shown]
	s_and_saveexec_b64 s[14:15], vcc
	s_cbranch_execz .LBB1894_169
; %bb.158:
	v_add_u32_e32 v2, 7, v18
	v_cmp_gt_u32_e32 vcc, s33, v2
	v_mov_b32_e32 v3, 0
	v_mov_b32_e32 v2, 0
	;; [unrolled: 1-line block ×7, first 2 shown]
	s_and_saveexec_b64 s[16:17], vcc
	s_cbranch_execz .LBB1894_168
; %bb.159:
	v_add_u32_e32 v2, 8, v18
	v_cmp_gt_u32_e32 vcc, s33, v2
	v_mov_b32_e32 v3, 0
	v_mov_b32_e32 v2, 0
	;; [unrolled: 1-line block ×6, first 2 shown]
	s_and_saveexec_b64 s[18:19], vcc
	s_cbranch_execz .LBB1894_167
; %bb.160:
	v_add_u32_e32 v2, 9, v18
	v_cmp_gt_u32_e32 vcc, s33, v2
	v_mov_b32_e32 v3, 0
	v_mov_b32_e32 v2, 0
	;; [unrolled: 1-line block ×5, first 2 shown]
	s_and_saveexec_b64 s[20:21], vcc
	s_cbranch_execz .LBB1894_166
; %bb.161:
	v_add_u32_e32 v2, 10, v18
	v_cmp_gt_u32_e32 vcc, s33, v2
	v_mov_b32_e32 v3, 0
	v_mov_b32_e32 v2, 0
	;; [unrolled: 1-line block ×4, first 2 shown]
	s_and_saveexec_b64 s[22:23], vcc
	s_cbranch_execz .LBB1894_165
; %bb.162:
	v_add_u32_e32 v2, 11, v18
	v_cmp_gt_u32_e32 vcc, s33, v2
	v_mov_b32_e32 v3, 0
	v_mov_b32_e32 v4, 0
	;; [unrolled: 1-line block ×3, first 2 shown]
	s_and_saveexec_b64 s[24:25], vcc
; %bb.163:
	v_add_u32_e32 v2, 12, v18
	v_cmp_gt_u32_e32 vcc, s33, v2
	v_add_u32_e32 v2, 13, v18
	v_cmp_gt_u32_e64 s[0:1], s33, v2
	v_cndmask_b32_e32 v4, 0, v48, vcc
	s_and_b64 vcc, vcc, s[0:1]
	v_cndmask_b32_e32 v5, 0, v49, vcc
	v_mov_b32_e32 v3, v47
; %bb.164:
	s_or_b64 exec, exec, s[24:25]
	v_mov_b32_e32 v2, v46
.LBB1894_165:
	s_or_b64 exec, exec, s[22:23]
	v_mov_b32_e32 v7, v35
.LBB1894_166:
	s_or_b64 exec, exec, s[20:21]
	v_mov_b32_e32 v6, v34
.LBB1894_167:
	s_or_b64 exec, exec, s[18:19]
	v_mov_b32_e32 v9, v45
.LBB1894_168:
	s_or_b64 exec, exec, s[16:17]
	v_mov_b32_e32 v8, v44
.LBB1894_169:
	s_or_b64 exec, exec, s[14:15]
	v_mov_b32_e32 v11, v31
.LBB1894_170:
	s_or_b64 exec, exec, s[12:13]
	v_mov_b32_e32 v10, v30
.LBB1894_171:
	s_or_b64 exec, exec, s[10:11]
	v_mov_b32_e32 v13, v43
.LBB1894_172:
	s_or_b64 exec, exec, s[8:9]
	v_mov_b32_e32 v12, v42
.LBB1894_173:
	s_or_b64 exec, exec, s[6:7]
	v_mov_b32_e32 v15, v27
.LBB1894_174:
	s_or_b64 exec, exec, s[4:5]
	v_mov_b32_e32 v14, v26
.LBB1894_175:
	s_or_b64 exec, exec, s[2:3]
	v_lshlrev_b32_e32 v19, 2, v18
	s_movk_i32 s0, 0xffcc
	s_barrier
	ds_write2_b64 v19, v[14:15], v[12:13] offset1:1
	ds_write2_b64 v19, v[10:11], v[8:9] offset0:2 offset1:3
	ds_write2_b64 v19, v[6:7], v[2:3] offset0:4 offset1:5
	ds_write_b64 v19, v[4:5] offset:48
	v_mad_i32_i24 v2, v0, s0, v19
	s_waitcnt lgkmcnt(0)
	s_barrier
	ds_read2st64_b32 v[16:17], v2 offset0:4 offset1:8
	ds_read2st64_b32 v[14:15], v2 offset0:12 offset1:16
	;; [unrolled: 1-line block ×6, first 2 shown]
	ds_read_b32 v3, v2 offset:13312
	v_mov_b32_e32 v2, s27
	v_add_co_u32_e32 v6, vcc, s26, v50
	v_addc_co_u32_e32 v7, vcc, 0, v2, vcc
	v_cmp_gt_u32_e32 vcc, s33, v0
	s_and_saveexec_b64 s[0:1], vcc
	s_cbranch_execz .LBB1894_177
; %bb.176:
	v_mul_i32_i24_e32 v2, 0xffffffcc, v0
	v_add_u32_e32 v2, v19, v2
	ds_read_b32 v2, v2
	s_waitcnt lgkmcnt(0)
	flat_store_dword v[6:7], v2
.LBB1894_177:
	s_or_b64 exec, exec, s[0:1]
	v_or_b32_e32 v2, 0x100, v0
	v_cmp_gt_u32_e32 vcc, s33, v2
	s_and_saveexec_b64 s[0:1], vcc
	s_cbranch_execz .LBB1894_179
; %bb.178:
	s_waitcnt lgkmcnt(0)
	flat_store_dword v[6:7], v16 offset:1024
.LBB1894_179:
	s_or_b64 exec, exec, s[0:1]
	v_or_b32_e32 v2, 0x200, v0
	v_cmp_gt_u32_e32 vcc, s33, v2
	s_and_saveexec_b64 s[0:1], vcc
	s_cbranch_execz .LBB1894_181
; %bb.180:
	s_waitcnt lgkmcnt(0)
	flat_store_dword v[6:7], v17 offset:2048
.LBB1894_181:
	;; [unrolled: 9-line block ×3, first 2 shown]
	s_or_b64 exec, exec, s[0:1]
	v_or_b32_e32 v2, 0x400, v0
	v_cmp_gt_u32_e32 vcc, s33, v2
	s_and_saveexec_b64 s[0:1], vcc
	s_cbranch_execz .LBB1894_185
; %bb.184:
	s_waitcnt lgkmcnt(0)
	v_add_co_u32_e32 v16, vcc, 0x1000, v6
	v_addc_co_u32_e32 v17, vcc, 0, v7, vcc
	flat_store_dword v[16:17], v15
.LBB1894_185:
	s_or_b64 exec, exec, s[0:1]
	v_or_b32_e32 v2, 0x500, v0
	v_cmp_gt_u32_e32 vcc, s33, v2
	s_and_saveexec_b64 s[0:1], vcc
	s_cbranch_execz .LBB1894_187
; %bb.186:
	s_waitcnt lgkmcnt(0)
	v_add_co_u32_e32 v14, vcc, 0x1000, v6
	v_addc_co_u32_e32 v15, vcc, 0, v7, vcc
	flat_store_dword v[14:15], v12 offset:1024
.LBB1894_187:
	s_or_b64 exec, exec, s[0:1]
	v_or_b32_e32 v2, 0x600, v0
	v_cmp_gt_u32_e32 vcc, s33, v2
	s_and_saveexec_b64 s[0:1], vcc
	s_cbranch_execz .LBB1894_189
; %bb.188:
	s_waitcnt lgkmcnt(0)
	v_add_co_u32_e32 v14, vcc, 0x1000, v6
	v_addc_co_u32_e32 v15, vcc, 0, v7, vcc
	flat_store_dword v[14:15], v13 offset:2048
.LBB1894_189:
	;; [unrolled: 11-line block ×3, first 2 shown]
	s_or_b64 exec, exec, s[0:1]
	v_or_b32_e32 v2, 0x800, v0
	v_cmp_gt_u32_e32 vcc, s33, v2
	s_and_saveexec_b64 s[0:1], vcc
	s_cbranch_execz .LBB1894_193
; %bb.192:
	s_waitcnt lgkmcnt(0)
	v_add_co_u32_e32 v12, vcc, 0x2000, v6
	v_addc_co_u32_e32 v13, vcc, 0, v7, vcc
	flat_store_dword v[12:13], v11
.LBB1894_193:
	s_or_b64 exec, exec, s[0:1]
	v_or_b32_e32 v2, 0x900, v0
	v_cmp_gt_u32_e32 vcc, s33, v2
	s_and_saveexec_b64 s[0:1], vcc
	s_cbranch_execz .LBB1894_195
; %bb.194:
	s_waitcnt lgkmcnt(0)
	v_add_co_u32_e32 v10, vcc, 0x2000, v6
	v_addc_co_u32_e32 v11, vcc, 0, v7, vcc
	flat_store_dword v[10:11], v8 offset:1024
.LBB1894_195:
	s_or_b64 exec, exec, s[0:1]
	v_or_b32_e32 v2, 0xa00, v0
	v_cmp_gt_u32_e32 vcc, s33, v2
	s_and_saveexec_b64 s[0:1], vcc
	s_cbranch_execz .LBB1894_197
; %bb.196:
	s_waitcnt lgkmcnt(0)
	v_add_co_u32_e32 v10, vcc, 0x2000, v6
	v_addc_co_u32_e32 v11, vcc, 0, v7, vcc
	flat_store_dword v[10:11], v9 offset:2048
.LBB1894_197:
	;; [unrolled: 11-line block ×3, first 2 shown]
	s_or_b64 exec, exec, s[0:1]
	v_or_b32_e32 v2, 0xc00, v0
	v_cmp_gt_u32_e32 vcc, s33, v2
	s_and_saveexec_b64 s[0:1], vcc
	s_cbranch_execz .LBB1894_201
; %bb.200:
	v_add_co_u32_e32 v6, vcc, 0x3000, v6
	v_addc_co_u32_e32 v7, vcc, 0, v7, vcc
	s_waitcnt lgkmcnt(0)
	flat_store_dword v[6:7], v5
.LBB1894_201:
	s_or_b64 exec, exec, s[0:1]
	v_or_b32_e32 v2, 0xd00, v0
	v_cmp_gt_u32_e64 s[0:1], s33, v2
	s_branch .LBB1894_204
.LBB1894_202:
	s_mov_b64 s[0:1], 0
                                        ; implicit-def: $vgpr3
	s_cbranch_execz .LBB1894_204
; %bb.203:
	v_lshlrev_b32_e32 v2, 2, v18
	s_movk_i32 s2, 0xffcc
	s_waitcnt lgkmcnt(0)
	s_barrier
	ds_write2_b64 v2, v[26:27], v[42:43] offset1:1
	ds_write2_b64 v2, v[30:31], v[44:45] offset0:2 offset1:3
	ds_write2_b64 v2, v[34:35], v[46:47] offset0:4 offset1:5
	ds_write_b64 v2, v[48:49] offset:48
	v_mad_i32_i24 v2, v0, s2, v2
	v_mov_b32_e32 v17, s27
	v_add_co_u32_e32 v16, vcc, s26, v50
	s_waitcnt lgkmcnt(0)
	s_barrier
	ds_read2st64_b32 v[4:5], v2 offset1:4
	ds_read2st64_b32 v[6:7], v2 offset0:8 offset1:12
	ds_read2st64_b32 v[8:9], v2 offset0:16 offset1:20
	;; [unrolled: 1-line block ×6, first 2 shown]
	v_addc_co_u32_e32 v17, vcc, 0, v17, vcc
	s_movk_i32 s2, 0x1000
	s_waitcnt lgkmcnt(0)
	flat_store_dword v[16:17], v4
	flat_store_dword v[16:17], v5 offset:1024
	flat_store_dword v[16:17], v6 offset:2048
	;; [unrolled: 1-line block ×3, first 2 shown]
	v_add_co_u32_e32 v4, vcc, s2, v16
	v_addc_co_u32_e32 v5, vcc, 0, v17, vcc
	flat_store_dword v[4:5], v8
	flat_store_dword v[4:5], v9 offset:1024
	flat_store_dword v[4:5], v10 offset:2048
	;; [unrolled: 1-line block ×3, first 2 shown]
	v_add_co_u32_e32 v4, vcc, 0x2000, v16
	v_addc_co_u32_e32 v5, vcc, 0, v17, vcc
	flat_store_dword v[4:5], v12
	flat_store_dword v[4:5], v13 offset:1024
	flat_store_dword v[4:5], v14 offset:2048
	;; [unrolled: 1-line block ×3, first 2 shown]
	v_add_co_u32_e32 v4, vcc, 0x3000, v16
	v_mov_b32_e32 v1, 0
	v_addc_co_u32_e32 v5, vcc, 0, v17, vcc
	s_or_b64 s[0:1], s[0:1], exec
	flat_store_dword v[4:5], v2
.LBB1894_204:
	s_and_saveexec_b64 s[2:3], s[0:1]
	s_cbranch_execnz .LBB1894_206
; %bb.205:
	s_endpgm
.LBB1894_206:
	s_waitcnt lgkmcnt(0)
	v_lshlrev_b64 v[0:1], 2, v[0:1]
	v_mov_b32_e32 v2, s27
	v_add_co_u32_e32 v0, vcc, s26, v0
	v_addc_co_u32_e32 v1, vcc, v2, v1, vcc
	v_add_co_u32_e32 v0, vcc, 0x3000, v0
	v_addc_co_u32_e32 v1, vcc, 0, v1, vcc
	flat_store_dword v[0:1], v3 offset:1024
	s_endpgm
.LBB1894_207:
                                        ; implicit-def: $sgpr44_sgpr45
	s_branch .LBB1894_32
.LBB1894_208:
                                        ; implicit-def: $sgpr2_sgpr3
	s_branch .LBB1894_94
	.section	.rodata,"a",@progbits
	.p2align	6, 0x0
	.amdhsa_kernel _ZN7rocprim17ROCPRIM_400000_NS6detail17trampoline_kernelINS0_14default_configENS1_27scan_by_key_config_selectorIj11FixedVectorIiLj1EEEEZZNS1_16scan_by_key_implILNS1_25lookback_scan_determinismE0ELb0ES3_N6thrust23THRUST_200600_302600_NS6detail15normal_iteratorINSB_10device_ptrIjEEEENSD_INSE_IS6_EEEESI_S6_NSB_4plusIvEENSB_8equal_toIvEES6_EE10hipError_tPvRmT2_T3_T4_T5_mT6_T7_P12ihipStream_tbENKUlT_T0_E_clISt17integral_constantIbLb1EES12_IbLb0EEEEDaSY_SZ_EUlSY_E_NS1_11comp_targetILNS1_3genE4ELNS1_11target_archE910ELNS1_3gpuE8ELNS1_3repE0EEENS1_30default_config_static_selectorELNS0_4arch9wavefront6targetE1EEEvT1_
		.amdhsa_group_segment_fixed_size 16384
		.amdhsa_private_segment_fixed_size 0
		.amdhsa_kernarg_size 112
		.amdhsa_user_sgpr_count 6
		.amdhsa_user_sgpr_private_segment_buffer 1
		.amdhsa_user_sgpr_dispatch_ptr 0
		.amdhsa_user_sgpr_queue_ptr 0
		.amdhsa_user_sgpr_kernarg_segment_ptr 1
		.amdhsa_user_sgpr_dispatch_id 0
		.amdhsa_user_sgpr_flat_scratch_init 0
		.amdhsa_user_sgpr_kernarg_preload_length 0
		.amdhsa_user_sgpr_kernarg_preload_offset 0
		.amdhsa_user_sgpr_private_segment_size 0
		.amdhsa_uses_dynamic_stack 0
		.amdhsa_system_sgpr_private_segment_wavefront_offset 0
		.amdhsa_system_sgpr_workgroup_id_x 1
		.amdhsa_system_sgpr_workgroup_id_y 0
		.amdhsa_system_sgpr_workgroup_id_z 0
		.amdhsa_system_sgpr_workgroup_info 0
		.amdhsa_system_vgpr_workitem_id 0
		.amdhsa_next_free_vgpr 65
		.amdhsa_next_free_sgpr 61
		.amdhsa_accum_offset 68
		.amdhsa_reserve_vcc 1
		.amdhsa_reserve_flat_scratch 0
		.amdhsa_float_round_mode_32 0
		.amdhsa_float_round_mode_16_64 0
		.amdhsa_float_denorm_mode_32 3
		.amdhsa_float_denorm_mode_16_64 3
		.amdhsa_dx10_clamp 1
		.amdhsa_ieee_mode 1
		.amdhsa_fp16_overflow 0
		.amdhsa_tg_split 0
		.amdhsa_exception_fp_ieee_invalid_op 0
		.amdhsa_exception_fp_denorm_src 0
		.amdhsa_exception_fp_ieee_div_zero 0
		.amdhsa_exception_fp_ieee_overflow 0
		.amdhsa_exception_fp_ieee_underflow 0
		.amdhsa_exception_fp_ieee_inexact 0
		.amdhsa_exception_int_div_zero 0
	.end_amdhsa_kernel
	.section	.text._ZN7rocprim17ROCPRIM_400000_NS6detail17trampoline_kernelINS0_14default_configENS1_27scan_by_key_config_selectorIj11FixedVectorIiLj1EEEEZZNS1_16scan_by_key_implILNS1_25lookback_scan_determinismE0ELb0ES3_N6thrust23THRUST_200600_302600_NS6detail15normal_iteratorINSB_10device_ptrIjEEEENSD_INSE_IS6_EEEESI_S6_NSB_4plusIvEENSB_8equal_toIvEES6_EE10hipError_tPvRmT2_T3_T4_T5_mT6_T7_P12ihipStream_tbENKUlT_T0_E_clISt17integral_constantIbLb1EES12_IbLb0EEEEDaSY_SZ_EUlSY_E_NS1_11comp_targetILNS1_3genE4ELNS1_11target_archE910ELNS1_3gpuE8ELNS1_3repE0EEENS1_30default_config_static_selectorELNS0_4arch9wavefront6targetE1EEEvT1_,"axG",@progbits,_ZN7rocprim17ROCPRIM_400000_NS6detail17trampoline_kernelINS0_14default_configENS1_27scan_by_key_config_selectorIj11FixedVectorIiLj1EEEEZZNS1_16scan_by_key_implILNS1_25lookback_scan_determinismE0ELb0ES3_N6thrust23THRUST_200600_302600_NS6detail15normal_iteratorINSB_10device_ptrIjEEEENSD_INSE_IS6_EEEESI_S6_NSB_4plusIvEENSB_8equal_toIvEES6_EE10hipError_tPvRmT2_T3_T4_T5_mT6_T7_P12ihipStream_tbENKUlT_T0_E_clISt17integral_constantIbLb1EES12_IbLb0EEEEDaSY_SZ_EUlSY_E_NS1_11comp_targetILNS1_3genE4ELNS1_11target_archE910ELNS1_3gpuE8ELNS1_3repE0EEENS1_30default_config_static_selectorELNS0_4arch9wavefront6targetE1EEEvT1_,comdat
.Lfunc_end1894:
	.size	_ZN7rocprim17ROCPRIM_400000_NS6detail17trampoline_kernelINS0_14default_configENS1_27scan_by_key_config_selectorIj11FixedVectorIiLj1EEEEZZNS1_16scan_by_key_implILNS1_25lookback_scan_determinismE0ELb0ES3_N6thrust23THRUST_200600_302600_NS6detail15normal_iteratorINSB_10device_ptrIjEEEENSD_INSE_IS6_EEEESI_S6_NSB_4plusIvEENSB_8equal_toIvEES6_EE10hipError_tPvRmT2_T3_T4_T5_mT6_T7_P12ihipStream_tbENKUlT_T0_E_clISt17integral_constantIbLb1EES12_IbLb0EEEEDaSY_SZ_EUlSY_E_NS1_11comp_targetILNS1_3genE4ELNS1_11target_archE910ELNS1_3gpuE8ELNS1_3repE0EEENS1_30default_config_static_selectorELNS0_4arch9wavefront6targetE1EEEvT1_, .Lfunc_end1894-_ZN7rocprim17ROCPRIM_400000_NS6detail17trampoline_kernelINS0_14default_configENS1_27scan_by_key_config_selectorIj11FixedVectorIiLj1EEEEZZNS1_16scan_by_key_implILNS1_25lookback_scan_determinismE0ELb0ES3_N6thrust23THRUST_200600_302600_NS6detail15normal_iteratorINSB_10device_ptrIjEEEENSD_INSE_IS6_EEEESI_S6_NSB_4plusIvEENSB_8equal_toIvEES6_EE10hipError_tPvRmT2_T3_T4_T5_mT6_T7_P12ihipStream_tbENKUlT_T0_E_clISt17integral_constantIbLb1EES12_IbLb0EEEEDaSY_SZ_EUlSY_E_NS1_11comp_targetILNS1_3genE4ELNS1_11target_archE910ELNS1_3gpuE8ELNS1_3repE0EEENS1_30default_config_static_selectorELNS0_4arch9wavefront6targetE1EEEvT1_
                                        ; -- End function
	.section	.AMDGPU.csdata,"",@progbits
; Kernel info:
; codeLenInByte = 11688
; NumSgprs: 65
; NumVgprs: 65
; NumAgprs: 0
; TotalNumVgprs: 65
; ScratchSize: 0
; MemoryBound: 0
; FloatMode: 240
; IeeeMode: 1
; LDSByteSize: 16384 bytes/workgroup (compile time only)
; SGPRBlocks: 8
; VGPRBlocks: 8
; NumSGPRsForWavesPerEU: 65
; NumVGPRsForWavesPerEU: 65
; AccumOffset: 68
; Occupancy: 4
; WaveLimiterHint : 1
; COMPUTE_PGM_RSRC2:SCRATCH_EN: 0
; COMPUTE_PGM_RSRC2:USER_SGPR: 6
; COMPUTE_PGM_RSRC2:TRAP_HANDLER: 0
; COMPUTE_PGM_RSRC2:TGID_X_EN: 1
; COMPUTE_PGM_RSRC2:TGID_Y_EN: 0
; COMPUTE_PGM_RSRC2:TGID_Z_EN: 0
; COMPUTE_PGM_RSRC2:TIDIG_COMP_CNT: 0
; COMPUTE_PGM_RSRC3_GFX90A:ACCUM_OFFSET: 16
; COMPUTE_PGM_RSRC3_GFX90A:TG_SPLIT: 0
	.section	.text._ZN7rocprim17ROCPRIM_400000_NS6detail17trampoline_kernelINS0_14default_configENS1_27scan_by_key_config_selectorIj11FixedVectorIiLj1EEEEZZNS1_16scan_by_key_implILNS1_25lookback_scan_determinismE0ELb0ES3_N6thrust23THRUST_200600_302600_NS6detail15normal_iteratorINSB_10device_ptrIjEEEENSD_INSE_IS6_EEEESI_S6_NSB_4plusIvEENSB_8equal_toIvEES6_EE10hipError_tPvRmT2_T3_T4_T5_mT6_T7_P12ihipStream_tbENKUlT_T0_E_clISt17integral_constantIbLb1EES12_IbLb0EEEEDaSY_SZ_EUlSY_E_NS1_11comp_targetILNS1_3genE3ELNS1_11target_archE908ELNS1_3gpuE7ELNS1_3repE0EEENS1_30default_config_static_selectorELNS0_4arch9wavefront6targetE1EEEvT1_,"axG",@progbits,_ZN7rocprim17ROCPRIM_400000_NS6detail17trampoline_kernelINS0_14default_configENS1_27scan_by_key_config_selectorIj11FixedVectorIiLj1EEEEZZNS1_16scan_by_key_implILNS1_25lookback_scan_determinismE0ELb0ES3_N6thrust23THRUST_200600_302600_NS6detail15normal_iteratorINSB_10device_ptrIjEEEENSD_INSE_IS6_EEEESI_S6_NSB_4plusIvEENSB_8equal_toIvEES6_EE10hipError_tPvRmT2_T3_T4_T5_mT6_T7_P12ihipStream_tbENKUlT_T0_E_clISt17integral_constantIbLb1EES12_IbLb0EEEEDaSY_SZ_EUlSY_E_NS1_11comp_targetILNS1_3genE3ELNS1_11target_archE908ELNS1_3gpuE7ELNS1_3repE0EEENS1_30default_config_static_selectorELNS0_4arch9wavefront6targetE1EEEvT1_,comdat
	.protected	_ZN7rocprim17ROCPRIM_400000_NS6detail17trampoline_kernelINS0_14default_configENS1_27scan_by_key_config_selectorIj11FixedVectorIiLj1EEEEZZNS1_16scan_by_key_implILNS1_25lookback_scan_determinismE0ELb0ES3_N6thrust23THRUST_200600_302600_NS6detail15normal_iteratorINSB_10device_ptrIjEEEENSD_INSE_IS6_EEEESI_S6_NSB_4plusIvEENSB_8equal_toIvEES6_EE10hipError_tPvRmT2_T3_T4_T5_mT6_T7_P12ihipStream_tbENKUlT_T0_E_clISt17integral_constantIbLb1EES12_IbLb0EEEEDaSY_SZ_EUlSY_E_NS1_11comp_targetILNS1_3genE3ELNS1_11target_archE908ELNS1_3gpuE7ELNS1_3repE0EEENS1_30default_config_static_selectorELNS0_4arch9wavefront6targetE1EEEvT1_ ; -- Begin function _ZN7rocprim17ROCPRIM_400000_NS6detail17trampoline_kernelINS0_14default_configENS1_27scan_by_key_config_selectorIj11FixedVectorIiLj1EEEEZZNS1_16scan_by_key_implILNS1_25lookback_scan_determinismE0ELb0ES3_N6thrust23THRUST_200600_302600_NS6detail15normal_iteratorINSB_10device_ptrIjEEEENSD_INSE_IS6_EEEESI_S6_NSB_4plusIvEENSB_8equal_toIvEES6_EE10hipError_tPvRmT2_T3_T4_T5_mT6_T7_P12ihipStream_tbENKUlT_T0_E_clISt17integral_constantIbLb1EES12_IbLb0EEEEDaSY_SZ_EUlSY_E_NS1_11comp_targetILNS1_3genE3ELNS1_11target_archE908ELNS1_3gpuE7ELNS1_3repE0EEENS1_30default_config_static_selectorELNS0_4arch9wavefront6targetE1EEEvT1_
	.globl	_ZN7rocprim17ROCPRIM_400000_NS6detail17trampoline_kernelINS0_14default_configENS1_27scan_by_key_config_selectorIj11FixedVectorIiLj1EEEEZZNS1_16scan_by_key_implILNS1_25lookback_scan_determinismE0ELb0ES3_N6thrust23THRUST_200600_302600_NS6detail15normal_iteratorINSB_10device_ptrIjEEEENSD_INSE_IS6_EEEESI_S6_NSB_4plusIvEENSB_8equal_toIvEES6_EE10hipError_tPvRmT2_T3_T4_T5_mT6_T7_P12ihipStream_tbENKUlT_T0_E_clISt17integral_constantIbLb1EES12_IbLb0EEEEDaSY_SZ_EUlSY_E_NS1_11comp_targetILNS1_3genE3ELNS1_11target_archE908ELNS1_3gpuE7ELNS1_3repE0EEENS1_30default_config_static_selectorELNS0_4arch9wavefront6targetE1EEEvT1_
	.p2align	8
	.type	_ZN7rocprim17ROCPRIM_400000_NS6detail17trampoline_kernelINS0_14default_configENS1_27scan_by_key_config_selectorIj11FixedVectorIiLj1EEEEZZNS1_16scan_by_key_implILNS1_25lookback_scan_determinismE0ELb0ES3_N6thrust23THRUST_200600_302600_NS6detail15normal_iteratorINSB_10device_ptrIjEEEENSD_INSE_IS6_EEEESI_S6_NSB_4plusIvEENSB_8equal_toIvEES6_EE10hipError_tPvRmT2_T3_T4_T5_mT6_T7_P12ihipStream_tbENKUlT_T0_E_clISt17integral_constantIbLb1EES12_IbLb0EEEEDaSY_SZ_EUlSY_E_NS1_11comp_targetILNS1_3genE3ELNS1_11target_archE908ELNS1_3gpuE7ELNS1_3repE0EEENS1_30default_config_static_selectorELNS0_4arch9wavefront6targetE1EEEvT1_,@function
_ZN7rocprim17ROCPRIM_400000_NS6detail17trampoline_kernelINS0_14default_configENS1_27scan_by_key_config_selectorIj11FixedVectorIiLj1EEEEZZNS1_16scan_by_key_implILNS1_25lookback_scan_determinismE0ELb0ES3_N6thrust23THRUST_200600_302600_NS6detail15normal_iteratorINSB_10device_ptrIjEEEENSD_INSE_IS6_EEEESI_S6_NSB_4plusIvEENSB_8equal_toIvEES6_EE10hipError_tPvRmT2_T3_T4_T5_mT6_T7_P12ihipStream_tbENKUlT_T0_E_clISt17integral_constantIbLb1EES12_IbLb0EEEEDaSY_SZ_EUlSY_E_NS1_11comp_targetILNS1_3genE3ELNS1_11target_archE908ELNS1_3gpuE7ELNS1_3repE0EEENS1_30default_config_static_selectorELNS0_4arch9wavefront6targetE1EEEvT1_: ; @_ZN7rocprim17ROCPRIM_400000_NS6detail17trampoline_kernelINS0_14default_configENS1_27scan_by_key_config_selectorIj11FixedVectorIiLj1EEEEZZNS1_16scan_by_key_implILNS1_25lookback_scan_determinismE0ELb0ES3_N6thrust23THRUST_200600_302600_NS6detail15normal_iteratorINSB_10device_ptrIjEEEENSD_INSE_IS6_EEEESI_S6_NSB_4plusIvEENSB_8equal_toIvEES6_EE10hipError_tPvRmT2_T3_T4_T5_mT6_T7_P12ihipStream_tbENKUlT_T0_E_clISt17integral_constantIbLb1EES12_IbLb0EEEEDaSY_SZ_EUlSY_E_NS1_11comp_targetILNS1_3genE3ELNS1_11target_archE908ELNS1_3gpuE7ELNS1_3repE0EEENS1_30default_config_static_selectorELNS0_4arch9wavefront6targetE1EEEvT1_
; %bb.0:
	.section	.rodata,"a",@progbits
	.p2align	6, 0x0
	.amdhsa_kernel _ZN7rocprim17ROCPRIM_400000_NS6detail17trampoline_kernelINS0_14default_configENS1_27scan_by_key_config_selectorIj11FixedVectorIiLj1EEEEZZNS1_16scan_by_key_implILNS1_25lookback_scan_determinismE0ELb0ES3_N6thrust23THRUST_200600_302600_NS6detail15normal_iteratorINSB_10device_ptrIjEEEENSD_INSE_IS6_EEEESI_S6_NSB_4plusIvEENSB_8equal_toIvEES6_EE10hipError_tPvRmT2_T3_T4_T5_mT6_T7_P12ihipStream_tbENKUlT_T0_E_clISt17integral_constantIbLb1EES12_IbLb0EEEEDaSY_SZ_EUlSY_E_NS1_11comp_targetILNS1_3genE3ELNS1_11target_archE908ELNS1_3gpuE7ELNS1_3repE0EEENS1_30default_config_static_selectorELNS0_4arch9wavefront6targetE1EEEvT1_
		.amdhsa_group_segment_fixed_size 0
		.amdhsa_private_segment_fixed_size 0
		.amdhsa_kernarg_size 112
		.amdhsa_user_sgpr_count 6
		.amdhsa_user_sgpr_private_segment_buffer 1
		.amdhsa_user_sgpr_dispatch_ptr 0
		.amdhsa_user_sgpr_queue_ptr 0
		.amdhsa_user_sgpr_kernarg_segment_ptr 1
		.amdhsa_user_sgpr_dispatch_id 0
		.amdhsa_user_sgpr_flat_scratch_init 0
		.amdhsa_user_sgpr_kernarg_preload_length 0
		.amdhsa_user_sgpr_kernarg_preload_offset 0
		.amdhsa_user_sgpr_private_segment_size 0
		.amdhsa_uses_dynamic_stack 0
		.amdhsa_system_sgpr_private_segment_wavefront_offset 0
		.amdhsa_system_sgpr_workgroup_id_x 1
		.amdhsa_system_sgpr_workgroup_id_y 0
		.amdhsa_system_sgpr_workgroup_id_z 0
		.amdhsa_system_sgpr_workgroup_info 0
		.amdhsa_system_vgpr_workitem_id 0
		.amdhsa_next_free_vgpr 1
		.amdhsa_next_free_sgpr 0
		.amdhsa_accum_offset 4
		.amdhsa_reserve_vcc 0
		.amdhsa_reserve_flat_scratch 0
		.amdhsa_float_round_mode_32 0
		.amdhsa_float_round_mode_16_64 0
		.amdhsa_float_denorm_mode_32 3
		.amdhsa_float_denorm_mode_16_64 3
		.amdhsa_dx10_clamp 1
		.amdhsa_ieee_mode 1
		.amdhsa_fp16_overflow 0
		.amdhsa_tg_split 0
		.amdhsa_exception_fp_ieee_invalid_op 0
		.amdhsa_exception_fp_denorm_src 0
		.amdhsa_exception_fp_ieee_div_zero 0
		.amdhsa_exception_fp_ieee_overflow 0
		.amdhsa_exception_fp_ieee_underflow 0
		.amdhsa_exception_fp_ieee_inexact 0
		.amdhsa_exception_int_div_zero 0
	.end_amdhsa_kernel
	.section	.text._ZN7rocprim17ROCPRIM_400000_NS6detail17trampoline_kernelINS0_14default_configENS1_27scan_by_key_config_selectorIj11FixedVectorIiLj1EEEEZZNS1_16scan_by_key_implILNS1_25lookback_scan_determinismE0ELb0ES3_N6thrust23THRUST_200600_302600_NS6detail15normal_iteratorINSB_10device_ptrIjEEEENSD_INSE_IS6_EEEESI_S6_NSB_4plusIvEENSB_8equal_toIvEES6_EE10hipError_tPvRmT2_T3_T4_T5_mT6_T7_P12ihipStream_tbENKUlT_T0_E_clISt17integral_constantIbLb1EES12_IbLb0EEEEDaSY_SZ_EUlSY_E_NS1_11comp_targetILNS1_3genE3ELNS1_11target_archE908ELNS1_3gpuE7ELNS1_3repE0EEENS1_30default_config_static_selectorELNS0_4arch9wavefront6targetE1EEEvT1_,"axG",@progbits,_ZN7rocprim17ROCPRIM_400000_NS6detail17trampoline_kernelINS0_14default_configENS1_27scan_by_key_config_selectorIj11FixedVectorIiLj1EEEEZZNS1_16scan_by_key_implILNS1_25lookback_scan_determinismE0ELb0ES3_N6thrust23THRUST_200600_302600_NS6detail15normal_iteratorINSB_10device_ptrIjEEEENSD_INSE_IS6_EEEESI_S6_NSB_4plusIvEENSB_8equal_toIvEES6_EE10hipError_tPvRmT2_T3_T4_T5_mT6_T7_P12ihipStream_tbENKUlT_T0_E_clISt17integral_constantIbLb1EES12_IbLb0EEEEDaSY_SZ_EUlSY_E_NS1_11comp_targetILNS1_3genE3ELNS1_11target_archE908ELNS1_3gpuE7ELNS1_3repE0EEENS1_30default_config_static_selectorELNS0_4arch9wavefront6targetE1EEEvT1_,comdat
.Lfunc_end1895:
	.size	_ZN7rocprim17ROCPRIM_400000_NS6detail17trampoline_kernelINS0_14default_configENS1_27scan_by_key_config_selectorIj11FixedVectorIiLj1EEEEZZNS1_16scan_by_key_implILNS1_25lookback_scan_determinismE0ELb0ES3_N6thrust23THRUST_200600_302600_NS6detail15normal_iteratorINSB_10device_ptrIjEEEENSD_INSE_IS6_EEEESI_S6_NSB_4plusIvEENSB_8equal_toIvEES6_EE10hipError_tPvRmT2_T3_T4_T5_mT6_T7_P12ihipStream_tbENKUlT_T0_E_clISt17integral_constantIbLb1EES12_IbLb0EEEEDaSY_SZ_EUlSY_E_NS1_11comp_targetILNS1_3genE3ELNS1_11target_archE908ELNS1_3gpuE7ELNS1_3repE0EEENS1_30default_config_static_selectorELNS0_4arch9wavefront6targetE1EEEvT1_, .Lfunc_end1895-_ZN7rocprim17ROCPRIM_400000_NS6detail17trampoline_kernelINS0_14default_configENS1_27scan_by_key_config_selectorIj11FixedVectorIiLj1EEEEZZNS1_16scan_by_key_implILNS1_25lookback_scan_determinismE0ELb0ES3_N6thrust23THRUST_200600_302600_NS6detail15normal_iteratorINSB_10device_ptrIjEEEENSD_INSE_IS6_EEEESI_S6_NSB_4plusIvEENSB_8equal_toIvEES6_EE10hipError_tPvRmT2_T3_T4_T5_mT6_T7_P12ihipStream_tbENKUlT_T0_E_clISt17integral_constantIbLb1EES12_IbLb0EEEEDaSY_SZ_EUlSY_E_NS1_11comp_targetILNS1_3genE3ELNS1_11target_archE908ELNS1_3gpuE7ELNS1_3repE0EEENS1_30default_config_static_selectorELNS0_4arch9wavefront6targetE1EEEvT1_
                                        ; -- End function
	.section	.AMDGPU.csdata,"",@progbits
; Kernel info:
; codeLenInByte = 0
; NumSgprs: 4
; NumVgprs: 0
; NumAgprs: 0
; TotalNumVgprs: 0
; ScratchSize: 0
; MemoryBound: 0
; FloatMode: 240
; IeeeMode: 1
; LDSByteSize: 0 bytes/workgroup (compile time only)
; SGPRBlocks: 0
; VGPRBlocks: 0
; NumSGPRsForWavesPerEU: 4
; NumVGPRsForWavesPerEU: 1
; AccumOffset: 4
; Occupancy: 8
; WaveLimiterHint : 0
; COMPUTE_PGM_RSRC2:SCRATCH_EN: 0
; COMPUTE_PGM_RSRC2:USER_SGPR: 6
; COMPUTE_PGM_RSRC2:TRAP_HANDLER: 0
; COMPUTE_PGM_RSRC2:TGID_X_EN: 1
; COMPUTE_PGM_RSRC2:TGID_Y_EN: 0
; COMPUTE_PGM_RSRC2:TGID_Z_EN: 0
; COMPUTE_PGM_RSRC2:TIDIG_COMP_CNT: 0
; COMPUTE_PGM_RSRC3_GFX90A:ACCUM_OFFSET: 0
; COMPUTE_PGM_RSRC3_GFX90A:TG_SPLIT: 0
	.section	.text._ZN7rocprim17ROCPRIM_400000_NS6detail17trampoline_kernelINS0_14default_configENS1_27scan_by_key_config_selectorIj11FixedVectorIiLj1EEEEZZNS1_16scan_by_key_implILNS1_25lookback_scan_determinismE0ELb0ES3_N6thrust23THRUST_200600_302600_NS6detail15normal_iteratorINSB_10device_ptrIjEEEENSD_INSE_IS6_EEEESI_S6_NSB_4plusIvEENSB_8equal_toIvEES6_EE10hipError_tPvRmT2_T3_T4_T5_mT6_T7_P12ihipStream_tbENKUlT_T0_E_clISt17integral_constantIbLb1EES12_IbLb0EEEEDaSY_SZ_EUlSY_E_NS1_11comp_targetILNS1_3genE2ELNS1_11target_archE906ELNS1_3gpuE6ELNS1_3repE0EEENS1_30default_config_static_selectorELNS0_4arch9wavefront6targetE1EEEvT1_,"axG",@progbits,_ZN7rocprim17ROCPRIM_400000_NS6detail17trampoline_kernelINS0_14default_configENS1_27scan_by_key_config_selectorIj11FixedVectorIiLj1EEEEZZNS1_16scan_by_key_implILNS1_25lookback_scan_determinismE0ELb0ES3_N6thrust23THRUST_200600_302600_NS6detail15normal_iteratorINSB_10device_ptrIjEEEENSD_INSE_IS6_EEEESI_S6_NSB_4plusIvEENSB_8equal_toIvEES6_EE10hipError_tPvRmT2_T3_T4_T5_mT6_T7_P12ihipStream_tbENKUlT_T0_E_clISt17integral_constantIbLb1EES12_IbLb0EEEEDaSY_SZ_EUlSY_E_NS1_11comp_targetILNS1_3genE2ELNS1_11target_archE906ELNS1_3gpuE6ELNS1_3repE0EEENS1_30default_config_static_selectorELNS0_4arch9wavefront6targetE1EEEvT1_,comdat
	.protected	_ZN7rocprim17ROCPRIM_400000_NS6detail17trampoline_kernelINS0_14default_configENS1_27scan_by_key_config_selectorIj11FixedVectorIiLj1EEEEZZNS1_16scan_by_key_implILNS1_25lookback_scan_determinismE0ELb0ES3_N6thrust23THRUST_200600_302600_NS6detail15normal_iteratorINSB_10device_ptrIjEEEENSD_INSE_IS6_EEEESI_S6_NSB_4plusIvEENSB_8equal_toIvEES6_EE10hipError_tPvRmT2_T3_T4_T5_mT6_T7_P12ihipStream_tbENKUlT_T0_E_clISt17integral_constantIbLb1EES12_IbLb0EEEEDaSY_SZ_EUlSY_E_NS1_11comp_targetILNS1_3genE2ELNS1_11target_archE906ELNS1_3gpuE6ELNS1_3repE0EEENS1_30default_config_static_selectorELNS0_4arch9wavefront6targetE1EEEvT1_ ; -- Begin function _ZN7rocprim17ROCPRIM_400000_NS6detail17trampoline_kernelINS0_14default_configENS1_27scan_by_key_config_selectorIj11FixedVectorIiLj1EEEEZZNS1_16scan_by_key_implILNS1_25lookback_scan_determinismE0ELb0ES3_N6thrust23THRUST_200600_302600_NS6detail15normal_iteratorINSB_10device_ptrIjEEEENSD_INSE_IS6_EEEESI_S6_NSB_4plusIvEENSB_8equal_toIvEES6_EE10hipError_tPvRmT2_T3_T4_T5_mT6_T7_P12ihipStream_tbENKUlT_T0_E_clISt17integral_constantIbLb1EES12_IbLb0EEEEDaSY_SZ_EUlSY_E_NS1_11comp_targetILNS1_3genE2ELNS1_11target_archE906ELNS1_3gpuE6ELNS1_3repE0EEENS1_30default_config_static_selectorELNS0_4arch9wavefront6targetE1EEEvT1_
	.globl	_ZN7rocprim17ROCPRIM_400000_NS6detail17trampoline_kernelINS0_14default_configENS1_27scan_by_key_config_selectorIj11FixedVectorIiLj1EEEEZZNS1_16scan_by_key_implILNS1_25lookback_scan_determinismE0ELb0ES3_N6thrust23THRUST_200600_302600_NS6detail15normal_iteratorINSB_10device_ptrIjEEEENSD_INSE_IS6_EEEESI_S6_NSB_4plusIvEENSB_8equal_toIvEES6_EE10hipError_tPvRmT2_T3_T4_T5_mT6_T7_P12ihipStream_tbENKUlT_T0_E_clISt17integral_constantIbLb1EES12_IbLb0EEEEDaSY_SZ_EUlSY_E_NS1_11comp_targetILNS1_3genE2ELNS1_11target_archE906ELNS1_3gpuE6ELNS1_3repE0EEENS1_30default_config_static_selectorELNS0_4arch9wavefront6targetE1EEEvT1_
	.p2align	8
	.type	_ZN7rocprim17ROCPRIM_400000_NS6detail17trampoline_kernelINS0_14default_configENS1_27scan_by_key_config_selectorIj11FixedVectorIiLj1EEEEZZNS1_16scan_by_key_implILNS1_25lookback_scan_determinismE0ELb0ES3_N6thrust23THRUST_200600_302600_NS6detail15normal_iteratorINSB_10device_ptrIjEEEENSD_INSE_IS6_EEEESI_S6_NSB_4plusIvEENSB_8equal_toIvEES6_EE10hipError_tPvRmT2_T3_T4_T5_mT6_T7_P12ihipStream_tbENKUlT_T0_E_clISt17integral_constantIbLb1EES12_IbLb0EEEEDaSY_SZ_EUlSY_E_NS1_11comp_targetILNS1_3genE2ELNS1_11target_archE906ELNS1_3gpuE6ELNS1_3repE0EEENS1_30default_config_static_selectorELNS0_4arch9wavefront6targetE1EEEvT1_,@function
_ZN7rocprim17ROCPRIM_400000_NS6detail17trampoline_kernelINS0_14default_configENS1_27scan_by_key_config_selectorIj11FixedVectorIiLj1EEEEZZNS1_16scan_by_key_implILNS1_25lookback_scan_determinismE0ELb0ES3_N6thrust23THRUST_200600_302600_NS6detail15normal_iteratorINSB_10device_ptrIjEEEENSD_INSE_IS6_EEEESI_S6_NSB_4plusIvEENSB_8equal_toIvEES6_EE10hipError_tPvRmT2_T3_T4_T5_mT6_T7_P12ihipStream_tbENKUlT_T0_E_clISt17integral_constantIbLb1EES12_IbLb0EEEEDaSY_SZ_EUlSY_E_NS1_11comp_targetILNS1_3genE2ELNS1_11target_archE906ELNS1_3gpuE6ELNS1_3repE0EEENS1_30default_config_static_selectorELNS0_4arch9wavefront6targetE1EEEvT1_: ; @_ZN7rocprim17ROCPRIM_400000_NS6detail17trampoline_kernelINS0_14default_configENS1_27scan_by_key_config_selectorIj11FixedVectorIiLj1EEEEZZNS1_16scan_by_key_implILNS1_25lookback_scan_determinismE0ELb0ES3_N6thrust23THRUST_200600_302600_NS6detail15normal_iteratorINSB_10device_ptrIjEEEENSD_INSE_IS6_EEEESI_S6_NSB_4plusIvEENSB_8equal_toIvEES6_EE10hipError_tPvRmT2_T3_T4_T5_mT6_T7_P12ihipStream_tbENKUlT_T0_E_clISt17integral_constantIbLb1EES12_IbLb0EEEEDaSY_SZ_EUlSY_E_NS1_11comp_targetILNS1_3genE2ELNS1_11target_archE906ELNS1_3gpuE6ELNS1_3repE0EEENS1_30default_config_static_selectorELNS0_4arch9wavefront6targetE1EEEvT1_
; %bb.0:
	.section	.rodata,"a",@progbits
	.p2align	6, 0x0
	.amdhsa_kernel _ZN7rocprim17ROCPRIM_400000_NS6detail17trampoline_kernelINS0_14default_configENS1_27scan_by_key_config_selectorIj11FixedVectorIiLj1EEEEZZNS1_16scan_by_key_implILNS1_25lookback_scan_determinismE0ELb0ES3_N6thrust23THRUST_200600_302600_NS6detail15normal_iteratorINSB_10device_ptrIjEEEENSD_INSE_IS6_EEEESI_S6_NSB_4plusIvEENSB_8equal_toIvEES6_EE10hipError_tPvRmT2_T3_T4_T5_mT6_T7_P12ihipStream_tbENKUlT_T0_E_clISt17integral_constantIbLb1EES12_IbLb0EEEEDaSY_SZ_EUlSY_E_NS1_11comp_targetILNS1_3genE2ELNS1_11target_archE906ELNS1_3gpuE6ELNS1_3repE0EEENS1_30default_config_static_selectorELNS0_4arch9wavefront6targetE1EEEvT1_
		.amdhsa_group_segment_fixed_size 0
		.amdhsa_private_segment_fixed_size 0
		.amdhsa_kernarg_size 112
		.amdhsa_user_sgpr_count 6
		.amdhsa_user_sgpr_private_segment_buffer 1
		.amdhsa_user_sgpr_dispatch_ptr 0
		.amdhsa_user_sgpr_queue_ptr 0
		.amdhsa_user_sgpr_kernarg_segment_ptr 1
		.amdhsa_user_sgpr_dispatch_id 0
		.amdhsa_user_sgpr_flat_scratch_init 0
		.amdhsa_user_sgpr_kernarg_preload_length 0
		.amdhsa_user_sgpr_kernarg_preload_offset 0
		.amdhsa_user_sgpr_private_segment_size 0
		.amdhsa_uses_dynamic_stack 0
		.amdhsa_system_sgpr_private_segment_wavefront_offset 0
		.amdhsa_system_sgpr_workgroup_id_x 1
		.amdhsa_system_sgpr_workgroup_id_y 0
		.amdhsa_system_sgpr_workgroup_id_z 0
		.amdhsa_system_sgpr_workgroup_info 0
		.amdhsa_system_vgpr_workitem_id 0
		.amdhsa_next_free_vgpr 1
		.amdhsa_next_free_sgpr 0
		.amdhsa_accum_offset 4
		.amdhsa_reserve_vcc 0
		.amdhsa_reserve_flat_scratch 0
		.amdhsa_float_round_mode_32 0
		.amdhsa_float_round_mode_16_64 0
		.amdhsa_float_denorm_mode_32 3
		.amdhsa_float_denorm_mode_16_64 3
		.amdhsa_dx10_clamp 1
		.amdhsa_ieee_mode 1
		.amdhsa_fp16_overflow 0
		.amdhsa_tg_split 0
		.amdhsa_exception_fp_ieee_invalid_op 0
		.amdhsa_exception_fp_denorm_src 0
		.amdhsa_exception_fp_ieee_div_zero 0
		.amdhsa_exception_fp_ieee_overflow 0
		.amdhsa_exception_fp_ieee_underflow 0
		.amdhsa_exception_fp_ieee_inexact 0
		.amdhsa_exception_int_div_zero 0
	.end_amdhsa_kernel
	.section	.text._ZN7rocprim17ROCPRIM_400000_NS6detail17trampoline_kernelINS0_14default_configENS1_27scan_by_key_config_selectorIj11FixedVectorIiLj1EEEEZZNS1_16scan_by_key_implILNS1_25lookback_scan_determinismE0ELb0ES3_N6thrust23THRUST_200600_302600_NS6detail15normal_iteratorINSB_10device_ptrIjEEEENSD_INSE_IS6_EEEESI_S6_NSB_4plusIvEENSB_8equal_toIvEES6_EE10hipError_tPvRmT2_T3_T4_T5_mT6_T7_P12ihipStream_tbENKUlT_T0_E_clISt17integral_constantIbLb1EES12_IbLb0EEEEDaSY_SZ_EUlSY_E_NS1_11comp_targetILNS1_3genE2ELNS1_11target_archE906ELNS1_3gpuE6ELNS1_3repE0EEENS1_30default_config_static_selectorELNS0_4arch9wavefront6targetE1EEEvT1_,"axG",@progbits,_ZN7rocprim17ROCPRIM_400000_NS6detail17trampoline_kernelINS0_14default_configENS1_27scan_by_key_config_selectorIj11FixedVectorIiLj1EEEEZZNS1_16scan_by_key_implILNS1_25lookback_scan_determinismE0ELb0ES3_N6thrust23THRUST_200600_302600_NS6detail15normal_iteratorINSB_10device_ptrIjEEEENSD_INSE_IS6_EEEESI_S6_NSB_4plusIvEENSB_8equal_toIvEES6_EE10hipError_tPvRmT2_T3_T4_T5_mT6_T7_P12ihipStream_tbENKUlT_T0_E_clISt17integral_constantIbLb1EES12_IbLb0EEEEDaSY_SZ_EUlSY_E_NS1_11comp_targetILNS1_3genE2ELNS1_11target_archE906ELNS1_3gpuE6ELNS1_3repE0EEENS1_30default_config_static_selectorELNS0_4arch9wavefront6targetE1EEEvT1_,comdat
.Lfunc_end1896:
	.size	_ZN7rocprim17ROCPRIM_400000_NS6detail17trampoline_kernelINS0_14default_configENS1_27scan_by_key_config_selectorIj11FixedVectorIiLj1EEEEZZNS1_16scan_by_key_implILNS1_25lookback_scan_determinismE0ELb0ES3_N6thrust23THRUST_200600_302600_NS6detail15normal_iteratorINSB_10device_ptrIjEEEENSD_INSE_IS6_EEEESI_S6_NSB_4plusIvEENSB_8equal_toIvEES6_EE10hipError_tPvRmT2_T3_T4_T5_mT6_T7_P12ihipStream_tbENKUlT_T0_E_clISt17integral_constantIbLb1EES12_IbLb0EEEEDaSY_SZ_EUlSY_E_NS1_11comp_targetILNS1_3genE2ELNS1_11target_archE906ELNS1_3gpuE6ELNS1_3repE0EEENS1_30default_config_static_selectorELNS0_4arch9wavefront6targetE1EEEvT1_, .Lfunc_end1896-_ZN7rocprim17ROCPRIM_400000_NS6detail17trampoline_kernelINS0_14default_configENS1_27scan_by_key_config_selectorIj11FixedVectorIiLj1EEEEZZNS1_16scan_by_key_implILNS1_25lookback_scan_determinismE0ELb0ES3_N6thrust23THRUST_200600_302600_NS6detail15normal_iteratorINSB_10device_ptrIjEEEENSD_INSE_IS6_EEEESI_S6_NSB_4plusIvEENSB_8equal_toIvEES6_EE10hipError_tPvRmT2_T3_T4_T5_mT6_T7_P12ihipStream_tbENKUlT_T0_E_clISt17integral_constantIbLb1EES12_IbLb0EEEEDaSY_SZ_EUlSY_E_NS1_11comp_targetILNS1_3genE2ELNS1_11target_archE906ELNS1_3gpuE6ELNS1_3repE0EEENS1_30default_config_static_selectorELNS0_4arch9wavefront6targetE1EEEvT1_
                                        ; -- End function
	.section	.AMDGPU.csdata,"",@progbits
; Kernel info:
; codeLenInByte = 0
; NumSgprs: 4
; NumVgprs: 0
; NumAgprs: 0
; TotalNumVgprs: 0
; ScratchSize: 0
; MemoryBound: 0
; FloatMode: 240
; IeeeMode: 1
; LDSByteSize: 0 bytes/workgroup (compile time only)
; SGPRBlocks: 0
; VGPRBlocks: 0
; NumSGPRsForWavesPerEU: 4
; NumVGPRsForWavesPerEU: 1
; AccumOffset: 4
; Occupancy: 8
; WaveLimiterHint : 0
; COMPUTE_PGM_RSRC2:SCRATCH_EN: 0
; COMPUTE_PGM_RSRC2:USER_SGPR: 6
; COMPUTE_PGM_RSRC2:TRAP_HANDLER: 0
; COMPUTE_PGM_RSRC2:TGID_X_EN: 1
; COMPUTE_PGM_RSRC2:TGID_Y_EN: 0
; COMPUTE_PGM_RSRC2:TGID_Z_EN: 0
; COMPUTE_PGM_RSRC2:TIDIG_COMP_CNT: 0
; COMPUTE_PGM_RSRC3_GFX90A:ACCUM_OFFSET: 0
; COMPUTE_PGM_RSRC3_GFX90A:TG_SPLIT: 0
	.section	.text._ZN7rocprim17ROCPRIM_400000_NS6detail17trampoline_kernelINS0_14default_configENS1_27scan_by_key_config_selectorIj11FixedVectorIiLj1EEEEZZNS1_16scan_by_key_implILNS1_25lookback_scan_determinismE0ELb0ES3_N6thrust23THRUST_200600_302600_NS6detail15normal_iteratorINSB_10device_ptrIjEEEENSD_INSE_IS6_EEEESI_S6_NSB_4plusIvEENSB_8equal_toIvEES6_EE10hipError_tPvRmT2_T3_T4_T5_mT6_T7_P12ihipStream_tbENKUlT_T0_E_clISt17integral_constantIbLb1EES12_IbLb0EEEEDaSY_SZ_EUlSY_E_NS1_11comp_targetILNS1_3genE10ELNS1_11target_archE1200ELNS1_3gpuE4ELNS1_3repE0EEENS1_30default_config_static_selectorELNS0_4arch9wavefront6targetE1EEEvT1_,"axG",@progbits,_ZN7rocprim17ROCPRIM_400000_NS6detail17trampoline_kernelINS0_14default_configENS1_27scan_by_key_config_selectorIj11FixedVectorIiLj1EEEEZZNS1_16scan_by_key_implILNS1_25lookback_scan_determinismE0ELb0ES3_N6thrust23THRUST_200600_302600_NS6detail15normal_iteratorINSB_10device_ptrIjEEEENSD_INSE_IS6_EEEESI_S6_NSB_4plusIvEENSB_8equal_toIvEES6_EE10hipError_tPvRmT2_T3_T4_T5_mT6_T7_P12ihipStream_tbENKUlT_T0_E_clISt17integral_constantIbLb1EES12_IbLb0EEEEDaSY_SZ_EUlSY_E_NS1_11comp_targetILNS1_3genE10ELNS1_11target_archE1200ELNS1_3gpuE4ELNS1_3repE0EEENS1_30default_config_static_selectorELNS0_4arch9wavefront6targetE1EEEvT1_,comdat
	.protected	_ZN7rocprim17ROCPRIM_400000_NS6detail17trampoline_kernelINS0_14default_configENS1_27scan_by_key_config_selectorIj11FixedVectorIiLj1EEEEZZNS1_16scan_by_key_implILNS1_25lookback_scan_determinismE0ELb0ES3_N6thrust23THRUST_200600_302600_NS6detail15normal_iteratorINSB_10device_ptrIjEEEENSD_INSE_IS6_EEEESI_S6_NSB_4plusIvEENSB_8equal_toIvEES6_EE10hipError_tPvRmT2_T3_T4_T5_mT6_T7_P12ihipStream_tbENKUlT_T0_E_clISt17integral_constantIbLb1EES12_IbLb0EEEEDaSY_SZ_EUlSY_E_NS1_11comp_targetILNS1_3genE10ELNS1_11target_archE1200ELNS1_3gpuE4ELNS1_3repE0EEENS1_30default_config_static_selectorELNS0_4arch9wavefront6targetE1EEEvT1_ ; -- Begin function _ZN7rocprim17ROCPRIM_400000_NS6detail17trampoline_kernelINS0_14default_configENS1_27scan_by_key_config_selectorIj11FixedVectorIiLj1EEEEZZNS1_16scan_by_key_implILNS1_25lookback_scan_determinismE0ELb0ES3_N6thrust23THRUST_200600_302600_NS6detail15normal_iteratorINSB_10device_ptrIjEEEENSD_INSE_IS6_EEEESI_S6_NSB_4plusIvEENSB_8equal_toIvEES6_EE10hipError_tPvRmT2_T3_T4_T5_mT6_T7_P12ihipStream_tbENKUlT_T0_E_clISt17integral_constantIbLb1EES12_IbLb0EEEEDaSY_SZ_EUlSY_E_NS1_11comp_targetILNS1_3genE10ELNS1_11target_archE1200ELNS1_3gpuE4ELNS1_3repE0EEENS1_30default_config_static_selectorELNS0_4arch9wavefront6targetE1EEEvT1_
	.globl	_ZN7rocprim17ROCPRIM_400000_NS6detail17trampoline_kernelINS0_14default_configENS1_27scan_by_key_config_selectorIj11FixedVectorIiLj1EEEEZZNS1_16scan_by_key_implILNS1_25lookback_scan_determinismE0ELb0ES3_N6thrust23THRUST_200600_302600_NS6detail15normal_iteratorINSB_10device_ptrIjEEEENSD_INSE_IS6_EEEESI_S6_NSB_4plusIvEENSB_8equal_toIvEES6_EE10hipError_tPvRmT2_T3_T4_T5_mT6_T7_P12ihipStream_tbENKUlT_T0_E_clISt17integral_constantIbLb1EES12_IbLb0EEEEDaSY_SZ_EUlSY_E_NS1_11comp_targetILNS1_3genE10ELNS1_11target_archE1200ELNS1_3gpuE4ELNS1_3repE0EEENS1_30default_config_static_selectorELNS0_4arch9wavefront6targetE1EEEvT1_
	.p2align	8
	.type	_ZN7rocprim17ROCPRIM_400000_NS6detail17trampoline_kernelINS0_14default_configENS1_27scan_by_key_config_selectorIj11FixedVectorIiLj1EEEEZZNS1_16scan_by_key_implILNS1_25lookback_scan_determinismE0ELb0ES3_N6thrust23THRUST_200600_302600_NS6detail15normal_iteratorINSB_10device_ptrIjEEEENSD_INSE_IS6_EEEESI_S6_NSB_4plusIvEENSB_8equal_toIvEES6_EE10hipError_tPvRmT2_T3_T4_T5_mT6_T7_P12ihipStream_tbENKUlT_T0_E_clISt17integral_constantIbLb1EES12_IbLb0EEEEDaSY_SZ_EUlSY_E_NS1_11comp_targetILNS1_3genE10ELNS1_11target_archE1200ELNS1_3gpuE4ELNS1_3repE0EEENS1_30default_config_static_selectorELNS0_4arch9wavefront6targetE1EEEvT1_,@function
_ZN7rocprim17ROCPRIM_400000_NS6detail17trampoline_kernelINS0_14default_configENS1_27scan_by_key_config_selectorIj11FixedVectorIiLj1EEEEZZNS1_16scan_by_key_implILNS1_25lookback_scan_determinismE0ELb0ES3_N6thrust23THRUST_200600_302600_NS6detail15normal_iteratorINSB_10device_ptrIjEEEENSD_INSE_IS6_EEEESI_S6_NSB_4plusIvEENSB_8equal_toIvEES6_EE10hipError_tPvRmT2_T3_T4_T5_mT6_T7_P12ihipStream_tbENKUlT_T0_E_clISt17integral_constantIbLb1EES12_IbLb0EEEEDaSY_SZ_EUlSY_E_NS1_11comp_targetILNS1_3genE10ELNS1_11target_archE1200ELNS1_3gpuE4ELNS1_3repE0EEENS1_30default_config_static_selectorELNS0_4arch9wavefront6targetE1EEEvT1_: ; @_ZN7rocprim17ROCPRIM_400000_NS6detail17trampoline_kernelINS0_14default_configENS1_27scan_by_key_config_selectorIj11FixedVectorIiLj1EEEEZZNS1_16scan_by_key_implILNS1_25lookback_scan_determinismE0ELb0ES3_N6thrust23THRUST_200600_302600_NS6detail15normal_iteratorINSB_10device_ptrIjEEEENSD_INSE_IS6_EEEESI_S6_NSB_4plusIvEENSB_8equal_toIvEES6_EE10hipError_tPvRmT2_T3_T4_T5_mT6_T7_P12ihipStream_tbENKUlT_T0_E_clISt17integral_constantIbLb1EES12_IbLb0EEEEDaSY_SZ_EUlSY_E_NS1_11comp_targetILNS1_3genE10ELNS1_11target_archE1200ELNS1_3gpuE4ELNS1_3repE0EEENS1_30default_config_static_selectorELNS0_4arch9wavefront6targetE1EEEvT1_
; %bb.0:
	.section	.rodata,"a",@progbits
	.p2align	6, 0x0
	.amdhsa_kernel _ZN7rocprim17ROCPRIM_400000_NS6detail17trampoline_kernelINS0_14default_configENS1_27scan_by_key_config_selectorIj11FixedVectorIiLj1EEEEZZNS1_16scan_by_key_implILNS1_25lookback_scan_determinismE0ELb0ES3_N6thrust23THRUST_200600_302600_NS6detail15normal_iteratorINSB_10device_ptrIjEEEENSD_INSE_IS6_EEEESI_S6_NSB_4plusIvEENSB_8equal_toIvEES6_EE10hipError_tPvRmT2_T3_T4_T5_mT6_T7_P12ihipStream_tbENKUlT_T0_E_clISt17integral_constantIbLb1EES12_IbLb0EEEEDaSY_SZ_EUlSY_E_NS1_11comp_targetILNS1_3genE10ELNS1_11target_archE1200ELNS1_3gpuE4ELNS1_3repE0EEENS1_30default_config_static_selectorELNS0_4arch9wavefront6targetE1EEEvT1_
		.amdhsa_group_segment_fixed_size 0
		.amdhsa_private_segment_fixed_size 0
		.amdhsa_kernarg_size 112
		.amdhsa_user_sgpr_count 6
		.amdhsa_user_sgpr_private_segment_buffer 1
		.amdhsa_user_sgpr_dispatch_ptr 0
		.amdhsa_user_sgpr_queue_ptr 0
		.amdhsa_user_sgpr_kernarg_segment_ptr 1
		.amdhsa_user_sgpr_dispatch_id 0
		.amdhsa_user_sgpr_flat_scratch_init 0
		.amdhsa_user_sgpr_kernarg_preload_length 0
		.amdhsa_user_sgpr_kernarg_preload_offset 0
		.amdhsa_user_sgpr_private_segment_size 0
		.amdhsa_uses_dynamic_stack 0
		.amdhsa_system_sgpr_private_segment_wavefront_offset 0
		.amdhsa_system_sgpr_workgroup_id_x 1
		.amdhsa_system_sgpr_workgroup_id_y 0
		.amdhsa_system_sgpr_workgroup_id_z 0
		.amdhsa_system_sgpr_workgroup_info 0
		.amdhsa_system_vgpr_workitem_id 0
		.amdhsa_next_free_vgpr 1
		.amdhsa_next_free_sgpr 0
		.amdhsa_accum_offset 4
		.amdhsa_reserve_vcc 0
		.amdhsa_reserve_flat_scratch 0
		.amdhsa_float_round_mode_32 0
		.amdhsa_float_round_mode_16_64 0
		.amdhsa_float_denorm_mode_32 3
		.amdhsa_float_denorm_mode_16_64 3
		.amdhsa_dx10_clamp 1
		.amdhsa_ieee_mode 1
		.amdhsa_fp16_overflow 0
		.amdhsa_tg_split 0
		.amdhsa_exception_fp_ieee_invalid_op 0
		.amdhsa_exception_fp_denorm_src 0
		.amdhsa_exception_fp_ieee_div_zero 0
		.amdhsa_exception_fp_ieee_overflow 0
		.amdhsa_exception_fp_ieee_underflow 0
		.amdhsa_exception_fp_ieee_inexact 0
		.amdhsa_exception_int_div_zero 0
	.end_amdhsa_kernel
	.section	.text._ZN7rocprim17ROCPRIM_400000_NS6detail17trampoline_kernelINS0_14default_configENS1_27scan_by_key_config_selectorIj11FixedVectorIiLj1EEEEZZNS1_16scan_by_key_implILNS1_25lookback_scan_determinismE0ELb0ES3_N6thrust23THRUST_200600_302600_NS6detail15normal_iteratorINSB_10device_ptrIjEEEENSD_INSE_IS6_EEEESI_S6_NSB_4plusIvEENSB_8equal_toIvEES6_EE10hipError_tPvRmT2_T3_T4_T5_mT6_T7_P12ihipStream_tbENKUlT_T0_E_clISt17integral_constantIbLb1EES12_IbLb0EEEEDaSY_SZ_EUlSY_E_NS1_11comp_targetILNS1_3genE10ELNS1_11target_archE1200ELNS1_3gpuE4ELNS1_3repE0EEENS1_30default_config_static_selectorELNS0_4arch9wavefront6targetE1EEEvT1_,"axG",@progbits,_ZN7rocprim17ROCPRIM_400000_NS6detail17trampoline_kernelINS0_14default_configENS1_27scan_by_key_config_selectorIj11FixedVectorIiLj1EEEEZZNS1_16scan_by_key_implILNS1_25lookback_scan_determinismE0ELb0ES3_N6thrust23THRUST_200600_302600_NS6detail15normal_iteratorINSB_10device_ptrIjEEEENSD_INSE_IS6_EEEESI_S6_NSB_4plusIvEENSB_8equal_toIvEES6_EE10hipError_tPvRmT2_T3_T4_T5_mT6_T7_P12ihipStream_tbENKUlT_T0_E_clISt17integral_constantIbLb1EES12_IbLb0EEEEDaSY_SZ_EUlSY_E_NS1_11comp_targetILNS1_3genE10ELNS1_11target_archE1200ELNS1_3gpuE4ELNS1_3repE0EEENS1_30default_config_static_selectorELNS0_4arch9wavefront6targetE1EEEvT1_,comdat
.Lfunc_end1897:
	.size	_ZN7rocprim17ROCPRIM_400000_NS6detail17trampoline_kernelINS0_14default_configENS1_27scan_by_key_config_selectorIj11FixedVectorIiLj1EEEEZZNS1_16scan_by_key_implILNS1_25lookback_scan_determinismE0ELb0ES3_N6thrust23THRUST_200600_302600_NS6detail15normal_iteratorINSB_10device_ptrIjEEEENSD_INSE_IS6_EEEESI_S6_NSB_4plusIvEENSB_8equal_toIvEES6_EE10hipError_tPvRmT2_T3_T4_T5_mT6_T7_P12ihipStream_tbENKUlT_T0_E_clISt17integral_constantIbLb1EES12_IbLb0EEEEDaSY_SZ_EUlSY_E_NS1_11comp_targetILNS1_3genE10ELNS1_11target_archE1200ELNS1_3gpuE4ELNS1_3repE0EEENS1_30default_config_static_selectorELNS0_4arch9wavefront6targetE1EEEvT1_, .Lfunc_end1897-_ZN7rocprim17ROCPRIM_400000_NS6detail17trampoline_kernelINS0_14default_configENS1_27scan_by_key_config_selectorIj11FixedVectorIiLj1EEEEZZNS1_16scan_by_key_implILNS1_25lookback_scan_determinismE0ELb0ES3_N6thrust23THRUST_200600_302600_NS6detail15normal_iteratorINSB_10device_ptrIjEEEENSD_INSE_IS6_EEEESI_S6_NSB_4plusIvEENSB_8equal_toIvEES6_EE10hipError_tPvRmT2_T3_T4_T5_mT6_T7_P12ihipStream_tbENKUlT_T0_E_clISt17integral_constantIbLb1EES12_IbLb0EEEEDaSY_SZ_EUlSY_E_NS1_11comp_targetILNS1_3genE10ELNS1_11target_archE1200ELNS1_3gpuE4ELNS1_3repE0EEENS1_30default_config_static_selectorELNS0_4arch9wavefront6targetE1EEEvT1_
                                        ; -- End function
	.section	.AMDGPU.csdata,"",@progbits
; Kernel info:
; codeLenInByte = 0
; NumSgprs: 4
; NumVgprs: 0
; NumAgprs: 0
; TotalNumVgprs: 0
; ScratchSize: 0
; MemoryBound: 0
; FloatMode: 240
; IeeeMode: 1
; LDSByteSize: 0 bytes/workgroup (compile time only)
; SGPRBlocks: 0
; VGPRBlocks: 0
; NumSGPRsForWavesPerEU: 4
; NumVGPRsForWavesPerEU: 1
; AccumOffset: 4
; Occupancy: 8
; WaveLimiterHint : 0
; COMPUTE_PGM_RSRC2:SCRATCH_EN: 0
; COMPUTE_PGM_RSRC2:USER_SGPR: 6
; COMPUTE_PGM_RSRC2:TRAP_HANDLER: 0
; COMPUTE_PGM_RSRC2:TGID_X_EN: 1
; COMPUTE_PGM_RSRC2:TGID_Y_EN: 0
; COMPUTE_PGM_RSRC2:TGID_Z_EN: 0
; COMPUTE_PGM_RSRC2:TIDIG_COMP_CNT: 0
; COMPUTE_PGM_RSRC3_GFX90A:ACCUM_OFFSET: 0
; COMPUTE_PGM_RSRC3_GFX90A:TG_SPLIT: 0
	.section	.text._ZN7rocprim17ROCPRIM_400000_NS6detail17trampoline_kernelINS0_14default_configENS1_27scan_by_key_config_selectorIj11FixedVectorIiLj1EEEEZZNS1_16scan_by_key_implILNS1_25lookback_scan_determinismE0ELb0ES3_N6thrust23THRUST_200600_302600_NS6detail15normal_iteratorINSB_10device_ptrIjEEEENSD_INSE_IS6_EEEESI_S6_NSB_4plusIvEENSB_8equal_toIvEES6_EE10hipError_tPvRmT2_T3_T4_T5_mT6_T7_P12ihipStream_tbENKUlT_T0_E_clISt17integral_constantIbLb1EES12_IbLb0EEEEDaSY_SZ_EUlSY_E_NS1_11comp_targetILNS1_3genE9ELNS1_11target_archE1100ELNS1_3gpuE3ELNS1_3repE0EEENS1_30default_config_static_selectorELNS0_4arch9wavefront6targetE1EEEvT1_,"axG",@progbits,_ZN7rocprim17ROCPRIM_400000_NS6detail17trampoline_kernelINS0_14default_configENS1_27scan_by_key_config_selectorIj11FixedVectorIiLj1EEEEZZNS1_16scan_by_key_implILNS1_25lookback_scan_determinismE0ELb0ES3_N6thrust23THRUST_200600_302600_NS6detail15normal_iteratorINSB_10device_ptrIjEEEENSD_INSE_IS6_EEEESI_S6_NSB_4plusIvEENSB_8equal_toIvEES6_EE10hipError_tPvRmT2_T3_T4_T5_mT6_T7_P12ihipStream_tbENKUlT_T0_E_clISt17integral_constantIbLb1EES12_IbLb0EEEEDaSY_SZ_EUlSY_E_NS1_11comp_targetILNS1_3genE9ELNS1_11target_archE1100ELNS1_3gpuE3ELNS1_3repE0EEENS1_30default_config_static_selectorELNS0_4arch9wavefront6targetE1EEEvT1_,comdat
	.protected	_ZN7rocprim17ROCPRIM_400000_NS6detail17trampoline_kernelINS0_14default_configENS1_27scan_by_key_config_selectorIj11FixedVectorIiLj1EEEEZZNS1_16scan_by_key_implILNS1_25lookback_scan_determinismE0ELb0ES3_N6thrust23THRUST_200600_302600_NS6detail15normal_iteratorINSB_10device_ptrIjEEEENSD_INSE_IS6_EEEESI_S6_NSB_4plusIvEENSB_8equal_toIvEES6_EE10hipError_tPvRmT2_T3_T4_T5_mT6_T7_P12ihipStream_tbENKUlT_T0_E_clISt17integral_constantIbLb1EES12_IbLb0EEEEDaSY_SZ_EUlSY_E_NS1_11comp_targetILNS1_3genE9ELNS1_11target_archE1100ELNS1_3gpuE3ELNS1_3repE0EEENS1_30default_config_static_selectorELNS0_4arch9wavefront6targetE1EEEvT1_ ; -- Begin function _ZN7rocprim17ROCPRIM_400000_NS6detail17trampoline_kernelINS0_14default_configENS1_27scan_by_key_config_selectorIj11FixedVectorIiLj1EEEEZZNS1_16scan_by_key_implILNS1_25lookback_scan_determinismE0ELb0ES3_N6thrust23THRUST_200600_302600_NS6detail15normal_iteratorINSB_10device_ptrIjEEEENSD_INSE_IS6_EEEESI_S6_NSB_4plusIvEENSB_8equal_toIvEES6_EE10hipError_tPvRmT2_T3_T4_T5_mT6_T7_P12ihipStream_tbENKUlT_T0_E_clISt17integral_constantIbLb1EES12_IbLb0EEEEDaSY_SZ_EUlSY_E_NS1_11comp_targetILNS1_3genE9ELNS1_11target_archE1100ELNS1_3gpuE3ELNS1_3repE0EEENS1_30default_config_static_selectorELNS0_4arch9wavefront6targetE1EEEvT1_
	.globl	_ZN7rocprim17ROCPRIM_400000_NS6detail17trampoline_kernelINS0_14default_configENS1_27scan_by_key_config_selectorIj11FixedVectorIiLj1EEEEZZNS1_16scan_by_key_implILNS1_25lookback_scan_determinismE0ELb0ES3_N6thrust23THRUST_200600_302600_NS6detail15normal_iteratorINSB_10device_ptrIjEEEENSD_INSE_IS6_EEEESI_S6_NSB_4plusIvEENSB_8equal_toIvEES6_EE10hipError_tPvRmT2_T3_T4_T5_mT6_T7_P12ihipStream_tbENKUlT_T0_E_clISt17integral_constantIbLb1EES12_IbLb0EEEEDaSY_SZ_EUlSY_E_NS1_11comp_targetILNS1_3genE9ELNS1_11target_archE1100ELNS1_3gpuE3ELNS1_3repE0EEENS1_30default_config_static_selectorELNS0_4arch9wavefront6targetE1EEEvT1_
	.p2align	8
	.type	_ZN7rocprim17ROCPRIM_400000_NS6detail17trampoline_kernelINS0_14default_configENS1_27scan_by_key_config_selectorIj11FixedVectorIiLj1EEEEZZNS1_16scan_by_key_implILNS1_25lookback_scan_determinismE0ELb0ES3_N6thrust23THRUST_200600_302600_NS6detail15normal_iteratorINSB_10device_ptrIjEEEENSD_INSE_IS6_EEEESI_S6_NSB_4plusIvEENSB_8equal_toIvEES6_EE10hipError_tPvRmT2_T3_T4_T5_mT6_T7_P12ihipStream_tbENKUlT_T0_E_clISt17integral_constantIbLb1EES12_IbLb0EEEEDaSY_SZ_EUlSY_E_NS1_11comp_targetILNS1_3genE9ELNS1_11target_archE1100ELNS1_3gpuE3ELNS1_3repE0EEENS1_30default_config_static_selectorELNS0_4arch9wavefront6targetE1EEEvT1_,@function
_ZN7rocprim17ROCPRIM_400000_NS6detail17trampoline_kernelINS0_14default_configENS1_27scan_by_key_config_selectorIj11FixedVectorIiLj1EEEEZZNS1_16scan_by_key_implILNS1_25lookback_scan_determinismE0ELb0ES3_N6thrust23THRUST_200600_302600_NS6detail15normal_iteratorINSB_10device_ptrIjEEEENSD_INSE_IS6_EEEESI_S6_NSB_4plusIvEENSB_8equal_toIvEES6_EE10hipError_tPvRmT2_T3_T4_T5_mT6_T7_P12ihipStream_tbENKUlT_T0_E_clISt17integral_constantIbLb1EES12_IbLb0EEEEDaSY_SZ_EUlSY_E_NS1_11comp_targetILNS1_3genE9ELNS1_11target_archE1100ELNS1_3gpuE3ELNS1_3repE0EEENS1_30default_config_static_selectorELNS0_4arch9wavefront6targetE1EEEvT1_: ; @_ZN7rocprim17ROCPRIM_400000_NS6detail17trampoline_kernelINS0_14default_configENS1_27scan_by_key_config_selectorIj11FixedVectorIiLj1EEEEZZNS1_16scan_by_key_implILNS1_25lookback_scan_determinismE0ELb0ES3_N6thrust23THRUST_200600_302600_NS6detail15normal_iteratorINSB_10device_ptrIjEEEENSD_INSE_IS6_EEEESI_S6_NSB_4plusIvEENSB_8equal_toIvEES6_EE10hipError_tPvRmT2_T3_T4_T5_mT6_T7_P12ihipStream_tbENKUlT_T0_E_clISt17integral_constantIbLb1EES12_IbLb0EEEEDaSY_SZ_EUlSY_E_NS1_11comp_targetILNS1_3genE9ELNS1_11target_archE1100ELNS1_3gpuE3ELNS1_3repE0EEENS1_30default_config_static_selectorELNS0_4arch9wavefront6targetE1EEEvT1_
; %bb.0:
	.section	.rodata,"a",@progbits
	.p2align	6, 0x0
	.amdhsa_kernel _ZN7rocprim17ROCPRIM_400000_NS6detail17trampoline_kernelINS0_14default_configENS1_27scan_by_key_config_selectorIj11FixedVectorIiLj1EEEEZZNS1_16scan_by_key_implILNS1_25lookback_scan_determinismE0ELb0ES3_N6thrust23THRUST_200600_302600_NS6detail15normal_iteratorINSB_10device_ptrIjEEEENSD_INSE_IS6_EEEESI_S6_NSB_4plusIvEENSB_8equal_toIvEES6_EE10hipError_tPvRmT2_T3_T4_T5_mT6_T7_P12ihipStream_tbENKUlT_T0_E_clISt17integral_constantIbLb1EES12_IbLb0EEEEDaSY_SZ_EUlSY_E_NS1_11comp_targetILNS1_3genE9ELNS1_11target_archE1100ELNS1_3gpuE3ELNS1_3repE0EEENS1_30default_config_static_selectorELNS0_4arch9wavefront6targetE1EEEvT1_
		.amdhsa_group_segment_fixed_size 0
		.amdhsa_private_segment_fixed_size 0
		.amdhsa_kernarg_size 112
		.amdhsa_user_sgpr_count 6
		.amdhsa_user_sgpr_private_segment_buffer 1
		.amdhsa_user_sgpr_dispatch_ptr 0
		.amdhsa_user_sgpr_queue_ptr 0
		.amdhsa_user_sgpr_kernarg_segment_ptr 1
		.amdhsa_user_sgpr_dispatch_id 0
		.amdhsa_user_sgpr_flat_scratch_init 0
		.amdhsa_user_sgpr_kernarg_preload_length 0
		.amdhsa_user_sgpr_kernarg_preload_offset 0
		.amdhsa_user_sgpr_private_segment_size 0
		.amdhsa_uses_dynamic_stack 0
		.amdhsa_system_sgpr_private_segment_wavefront_offset 0
		.amdhsa_system_sgpr_workgroup_id_x 1
		.amdhsa_system_sgpr_workgroup_id_y 0
		.amdhsa_system_sgpr_workgroup_id_z 0
		.amdhsa_system_sgpr_workgroup_info 0
		.amdhsa_system_vgpr_workitem_id 0
		.amdhsa_next_free_vgpr 1
		.amdhsa_next_free_sgpr 0
		.amdhsa_accum_offset 4
		.amdhsa_reserve_vcc 0
		.amdhsa_reserve_flat_scratch 0
		.amdhsa_float_round_mode_32 0
		.amdhsa_float_round_mode_16_64 0
		.amdhsa_float_denorm_mode_32 3
		.amdhsa_float_denorm_mode_16_64 3
		.amdhsa_dx10_clamp 1
		.amdhsa_ieee_mode 1
		.amdhsa_fp16_overflow 0
		.amdhsa_tg_split 0
		.amdhsa_exception_fp_ieee_invalid_op 0
		.amdhsa_exception_fp_denorm_src 0
		.amdhsa_exception_fp_ieee_div_zero 0
		.amdhsa_exception_fp_ieee_overflow 0
		.amdhsa_exception_fp_ieee_underflow 0
		.amdhsa_exception_fp_ieee_inexact 0
		.amdhsa_exception_int_div_zero 0
	.end_amdhsa_kernel
	.section	.text._ZN7rocprim17ROCPRIM_400000_NS6detail17trampoline_kernelINS0_14default_configENS1_27scan_by_key_config_selectorIj11FixedVectorIiLj1EEEEZZNS1_16scan_by_key_implILNS1_25lookback_scan_determinismE0ELb0ES3_N6thrust23THRUST_200600_302600_NS6detail15normal_iteratorINSB_10device_ptrIjEEEENSD_INSE_IS6_EEEESI_S6_NSB_4plusIvEENSB_8equal_toIvEES6_EE10hipError_tPvRmT2_T3_T4_T5_mT6_T7_P12ihipStream_tbENKUlT_T0_E_clISt17integral_constantIbLb1EES12_IbLb0EEEEDaSY_SZ_EUlSY_E_NS1_11comp_targetILNS1_3genE9ELNS1_11target_archE1100ELNS1_3gpuE3ELNS1_3repE0EEENS1_30default_config_static_selectorELNS0_4arch9wavefront6targetE1EEEvT1_,"axG",@progbits,_ZN7rocprim17ROCPRIM_400000_NS6detail17trampoline_kernelINS0_14default_configENS1_27scan_by_key_config_selectorIj11FixedVectorIiLj1EEEEZZNS1_16scan_by_key_implILNS1_25lookback_scan_determinismE0ELb0ES3_N6thrust23THRUST_200600_302600_NS6detail15normal_iteratorINSB_10device_ptrIjEEEENSD_INSE_IS6_EEEESI_S6_NSB_4plusIvEENSB_8equal_toIvEES6_EE10hipError_tPvRmT2_T3_T4_T5_mT6_T7_P12ihipStream_tbENKUlT_T0_E_clISt17integral_constantIbLb1EES12_IbLb0EEEEDaSY_SZ_EUlSY_E_NS1_11comp_targetILNS1_3genE9ELNS1_11target_archE1100ELNS1_3gpuE3ELNS1_3repE0EEENS1_30default_config_static_selectorELNS0_4arch9wavefront6targetE1EEEvT1_,comdat
.Lfunc_end1898:
	.size	_ZN7rocprim17ROCPRIM_400000_NS6detail17trampoline_kernelINS0_14default_configENS1_27scan_by_key_config_selectorIj11FixedVectorIiLj1EEEEZZNS1_16scan_by_key_implILNS1_25lookback_scan_determinismE0ELb0ES3_N6thrust23THRUST_200600_302600_NS6detail15normal_iteratorINSB_10device_ptrIjEEEENSD_INSE_IS6_EEEESI_S6_NSB_4plusIvEENSB_8equal_toIvEES6_EE10hipError_tPvRmT2_T3_T4_T5_mT6_T7_P12ihipStream_tbENKUlT_T0_E_clISt17integral_constantIbLb1EES12_IbLb0EEEEDaSY_SZ_EUlSY_E_NS1_11comp_targetILNS1_3genE9ELNS1_11target_archE1100ELNS1_3gpuE3ELNS1_3repE0EEENS1_30default_config_static_selectorELNS0_4arch9wavefront6targetE1EEEvT1_, .Lfunc_end1898-_ZN7rocprim17ROCPRIM_400000_NS6detail17trampoline_kernelINS0_14default_configENS1_27scan_by_key_config_selectorIj11FixedVectorIiLj1EEEEZZNS1_16scan_by_key_implILNS1_25lookback_scan_determinismE0ELb0ES3_N6thrust23THRUST_200600_302600_NS6detail15normal_iteratorINSB_10device_ptrIjEEEENSD_INSE_IS6_EEEESI_S6_NSB_4plusIvEENSB_8equal_toIvEES6_EE10hipError_tPvRmT2_T3_T4_T5_mT6_T7_P12ihipStream_tbENKUlT_T0_E_clISt17integral_constantIbLb1EES12_IbLb0EEEEDaSY_SZ_EUlSY_E_NS1_11comp_targetILNS1_3genE9ELNS1_11target_archE1100ELNS1_3gpuE3ELNS1_3repE0EEENS1_30default_config_static_selectorELNS0_4arch9wavefront6targetE1EEEvT1_
                                        ; -- End function
	.section	.AMDGPU.csdata,"",@progbits
; Kernel info:
; codeLenInByte = 0
; NumSgprs: 4
; NumVgprs: 0
; NumAgprs: 0
; TotalNumVgprs: 0
; ScratchSize: 0
; MemoryBound: 0
; FloatMode: 240
; IeeeMode: 1
; LDSByteSize: 0 bytes/workgroup (compile time only)
; SGPRBlocks: 0
; VGPRBlocks: 0
; NumSGPRsForWavesPerEU: 4
; NumVGPRsForWavesPerEU: 1
; AccumOffset: 4
; Occupancy: 8
; WaveLimiterHint : 0
; COMPUTE_PGM_RSRC2:SCRATCH_EN: 0
; COMPUTE_PGM_RSRC2:USER_SGPR: 6
; COMPUTE_PGM_RSRC2:TRAP_HANDLER: 0
; COMPUTE_PGM_RSRC2:TGID_X_EN: 1
; COMPUTE_PGM_RSRC2:TGID_Y_EN: 0
; COMPUTE_PGM_RSRC2:TGID_Z_EN: 0
; COMPUTE_PGM_RSRC2:TIDIG_COMP_CNT: 0
; COMPUTE_PGM_RSRC3_GFX90A:ACCUM_OFFSET: 0
; COMPUTE_PGM_RSRC3_GFX90A:TG_SPLIT: 0
	.section	.text._ZN7rocprim17ROCPRIM_400000_NS6detail17trampoline_kernelINS0_14default_configENS1_27scan_by_key_config_selectorIj11FixedVectorIiLj1EEEEZZNS1_16scan_by_key_implILNS1_25lookback_scan_determinismE0ELb0ES3_N6thrust23THRUST_200600_302600_NS6detail15normal_iteratorINSB_10device_ptrIjEEEENSD_INSE_IS6_EEEESI_S6_NSB_4plusIvEENSB_8equal_toIvEES6_EE10hipError_tPvRmT2_T3_T4_T5_mT6_T7_P12ihipStream_tbENKUlT_T0_E_clISt17integral_constantIbLb1EES12_IbLb0EEEEDaSY_SZ_EUlSY_E_NS1_11comp_targetILNS1_3genE8ELNS1_11target_archE1030ELNS1_3gpuE2ELNS1_3repE0EEENS1_30default_config_static_selectorELNS0_4arch9wavefront6targetE1EEEvT1_,"axG",@progbits,_ZN7rocprim17ROCPRIM_400000_NS6detail17trampoline_kernelINS0_14default_configENS1_27scan_by_key_config_selectorIj11FixedVectorIiLj1EEEEZZNS1_16scan_by_key_implILNS1_25lookback_scan_determinismE0ELb0ES3_N6thrust23THRUST_200600_302600_NS6detail15normal_iteratorINSB_10device_ptrIjEEEENSD_INSE_IS6_EEEESI_S6_NSB_4plusIvEENSB_8equal_toIvEES6_EE10hipError_tPvRmT2_T3_T4_T5_mT6_T7_P12ihipStream_tbENKUlT_T0_E_clISt17integral_constantIbLb1EES12_IbLb0EEEEDaSY_SZ_EUlSY_E_NS1_11comp_targetILNS1_3genE8ELNS1_11target_archE1030ELNS1_3gpuE2ELNS1_3repE0EEENS1_30default_config_static_selectorELNS0_4arch9wavefront6targetE1EEEvT1_,comdat
	.protected	_ZN7rocprim17ROCPRIM_400000_NS6detail17trampoline_kernelINS0_14default_configENS1_27scan_by_key_config_selectorIj11FixedVectorIiLj1EEEEZZNS1_16scan_by_key_implILNS1_25lookback_scan_determinismE0ELb0ES3_N6thrust23THRUST_200600_302600_NS6detail15normal_iteratorINSB_10device_ptrIjEEEENSD_INSE_IS6_EEEESI_S6_NSB_4plusIvEENSB_8equal_toIvEES6_EE10hipError_tPvRmT2_T3_T4_T5_mT6_T7_P12ihipStream_tbENKUlT_T0_E_clISt17integral_constantIbLb1EES12_IbLb0EEEEDaSY_SZ_EUlSY_E_NS1_11comp_targetILNS1_3genE8ELNS1_11target_archE1030ELNS1_3gpuE2ELNS1_3repE0EEENS1_30default_config_static_selectorELNS0_4arch9wavefront6targetE1EEEvT1_ ; -- Begin function _ZN7rocprim17ROCPRIM_400000_NS6detail17trampoline_kernelINS0_14default_configENS1_27scan_by_key_config_selectorIj11FixedVectorIiLj1EEEEZZNS1_16scan_by_key_implILNS1_25lookback_scan_determinismE0ELb0ES3_N6thrust23THRUST_200600_302600_NS6detail15normal_iteratorINSB_10device_ptrIjEEEENSD_INSE_IS6_EEEESI_S6_NSB_4plusIvEENSB_8equal_toIvEES6_EE10hipError_tPvRmT2_T3_T4_T5_mT6_T7_P12ihipStream_tbENKUlT_T0_E_clISt17integral_constantIbLb1EES12_IbLb0EEEEDaSY_SZ_EUlSY_E_NS1_11comp_targetILNS1_3genE8ELNS1_11target_archE1030ELNS1_3gpuE2ELNS1_3repE0EEENS1_30default_config_static_selectorELNS0_4arch9wavefront6targetE1EEEvT1_
	.globl	_ZN7rocprim17ROCPRIM_400000_NS6detail17trampoline_kernelINS0_14default_configENS1_27scan_by_key_config_selectorIj11FixedVectorIiLj1EEEEZZNS1_16scan_by_key_implILNS1_25lookback_scan_determinismE0ELb0ES3_N6thrust23THRUST_200600_302600_NS6detail15normal_iteratorINSB_10device_ptrIjEEEENSD_INSE_IS6_EEEESI_S6_NSB_4plusIvEENSB_8equal_toIvEES6_EE10hipError_tPvRmT2_T3_T4_T5_mT6_T7_P12ihipStream_tbENKUlT_T0_E_clISt17integral_constantIbLb1EES12_IbLb0EEEEDaSY_SZ_EUlSY_E_NS1_11comp_targetILNS1_3genE8ELNS1_11target_archE1030ELNS1_3gpuE2ELNS1_3repE0EEENS1_30default_config_static_selectorELNS0_4arch9wavefront6targetE1EEEvT1_
	.p2align	8
	.type	_ZN7rocprim17ROCPRIM_400000_NS6detail17trampoline_kernelINS0_14default_configENS1_27scan_by_key_config_selectorIj11FixedVectorIiLj1EEEEZZNS1_16scan_by_key_implILNS1_25lookback_scan_determinismE0ELb0ES3_N6thrust23THRUST_200600_302600_NS6detail15normal_iteratorINSB_10device_ptrIjEEEENSD_INSE_IS6_EEEESI_S6_NSB_4plusIvEENSB_8equal_toIvEES6_EE10hipError_tPvRmT2_T3_T4_T5_mT6_T7_P12ihipStream_tbENKUlT_T0_E_clISt17integral_constantIbLb1EES12_IbLb0EEEEDaSY_SZ_EUlSY_E_NS1_11comp_targetILNS1_3genE8ELNS1_11target_archE1030ELNS1_3gpuE2ELNS1_3repE0EEENS1_30default_config_static_selectorELNS0_4arch9wavefront6targetE1EEEvT1_,@function
_ZN7rocprim17ROCPRIM_400000_NS6detail17trampoline_kernelINS0_14default_configENS1_27scan_by_key_config_selectorIj11FixedVectorIiLj1EEEEZZNS1_16scan_by_key_implILNS1_25lookback_scan_determinismE0ELb0ES3_N6thrust23THRUST_200600_302600_NS6detail15normal_iteratorINSB_10device_ptrIjEEEENSD_INSE_IS6_EEEESI_S6_NSB_4plusIvEENSB_8equal_toIvEES6_EE10hipError_tPvRmT2_T3_T4_T5_mT6_T7_P12ihipStream_tbENKUlT_T0_E_clISt17integral_constantIbLb1EES12_IbLb0EEEEDaSY_SZ_EUlSY_E_NS1_11comp_targetILNS1_3genE8ELNS1_11target_archE1030ELNS1_3gpuE2ELNS1_3repE0EEENS1_30default_config_static_selectorELNS0_4arch9wavefront6targetE1EEEvT1_: ; @_ZN7rocprim17ROCPRIM_400000_NS6detail17trampoline_kernelINS0_14default_configENS1_27scan_by_key_config_selectorIj11FixedVectorIiLj1EEEEZZNS1_16scan_by_key_implILNS1_25lookback_scan_determinismE0ELb0ES3_N6thrust23THRUST_200600_302600_NS6detail15normal_iteratorINSB_10device_ptrIjEEEENSD_INSE_IS6_EEEESI_S6_NSB_4plusIvEENSB_8equal_toIvEES6_EE10hipError_tPvRmT2_T3_T4_T5_mT6_T7_P12ihipStream_tbENKUlT_T0_E_clISt17integral_constantIbLb1EES12_IbLb0EEEEDaSY_SZ_EUlSY_E_NS1_11comp_targetILNS1_3genE8ELNS1_11target_archE1030ELNS1_3gpuE2ELNS1_3repE0EEENS1_30default_config_static_selectorELNS0_4arch9wavefront6targetE1EEEvT1_
; %bb.0:
	.section	.rodata,"a",@progbits
	.p2align	6, 0x0
	.amdhsa_kernel _ZN7rocprim17ROCPRIM_400000_NS6detail17trampoline_kernelINS0_14default_configENS1_27scan_by_key_config_selectorIj11FixedVectorIiLj1EEEEZZNS1_16scan_by_key_implILNS1_25lookback_scan_determinismE0ELb0ES3_N6thrust23THRUST_200600_302600_NS6detail15normal_iteratorINSB_10device_ptrIjEEEENSD_INSE_IS6_EEEESI_S6_NSB_4plusIvEENSB_8equal_toIvEES6_EE10hipError_tPvRmT2_T3_T4_T5_mT6_T7_P12ihipStream_tbENKUlT_T0_E_clISt17integral_constantIbLb1EES12_IbLb0EEEEDaSY_SZ_EUlSY_E_NS1_11comp_targetILNS1_3genE8ELNS1_11target_archE1030ELNS1_3gpuE2ELNS1_3repE0EEENS1_30default_config_static_selectorELNS0_4arch9wavefront6targetE1EEEvT1_
		.amdhsa_group_segment_fixed_size 0
		.amdhsa_private_segment_fixed_size 0
		.amdhsa_kernarg_size 112
		.amdhsa_user_sgpr_count 6
		.amdhsa_user_sgpr_private_segment_buffer 1
		.amdhsa_user_sgpr_dispatch_ptr 0
		.amdhsa_user_sgpr_queue_ptr 0
		.amdhsa_user_sgpr_kernarg_segment_ptr 1
		.amdhsa_user_sgpr_dispatch_id 0
		.amdhsa_user_sgpr_flat_scratch_init 0
		.amdhsa_user_sgpr_kernarg_preload_length 0
		.amdhsa_user_sgpr_kernarg_preload_offset 0
		.amdhsa_user_sgpr_private_segment_size 0
		.amdhsa_uses_dynamic_stack 0
		.amdhsa_system_sgpr_private_segment_wavefront_offset 0
		.amdhsa_system_sgpr_workgroup_id_x 1
		.amdhsa_system_sgpr_workgroup_id_y 0
		.amdhsa_system_sgpr_workgroup_id_z 0
		.amdhsa_system_sgpr_workgroup_info 0
		.amdhsa_system_vgpr_workitem_id 0
		.amdhsa_next_free_vgpr 1
		.amdhsa_next_free_sgpr 0
		.amdhsa_accum_offset 4
		.amdhsa_reserve_vcc 0
		.amdhsa_reserve_flat_scratch 0
		.amdhsa_float_round_mode_32 0
		.amdhsa_float_round_mode_16_64 0
		.amdhsa_float_denorm_mode_32 3
		.amdhsa_float_denorm_mode_16_64 3
		.amdhsa_dx10_clamp 1
		.amdhsa_ieee_mode 1
		.amdhsa_fp16_overflow 0
		.amdhsa_tg_split 0
		.amdhsa_exception_fp_ieee_invalid_op 0
		.amdhsa_exception_fp_denorm_src 0
		.amdhsa_exception_fp_ieee_div_zero 0
		.amdhsa_exception_fp_ieee_overflow 0
		.amdhsa_exception_fp_ieee_underflow 0
		.amdhsa_exception_fp_ieee_inexact 0
		.amdhsa_exception_int_div_zero 0
	.end_amdhsa_kernel
	.section	.text._ZN7rocprim17ROCPRIM_400000_NS6detail17trampoline_kernelINS0_14default_configENS1_27scan_by_key_config_selectorIj11FixedVectorIiLj1EEEEZZNS1_16scan_by_key_implILNS1_25lookback_scan_determinismE0ELb0ES3_N6thrust23THRUST_200600_302600_NS6detail15normal_iteratorINSB_10device_ptrIjEEEENSD_INSE_IS6_EEEESI_S6_NSB_4plusIvEENSB_8equal_toIvEES6_EE10hipError_tPvRmT2_T3_T4_T5_mT6_T7_P12ihipStream_tbENKUlT_T0_E_clISt17integral_constantIbLb1EES12_IbLb0EEEEDaSY_SZ_EUlSY_E_NS1_11comp_targetILNS1_3genE8ELNS1_11target_archE1030ELNS1_3gpuE2ELNS1_3repE0EEENS1_30default_config_static_selectorELNS0_4arch9wavefront6targetE1EEEvT1_,"axG",@progbits,_ZN7rocprim17ROCPRIM_400000_NS6detail17trampoline_kernelINS0_14default_configENS1_27scan_by_key_config_selectorIj11FixedVectorIiLj1EEEEZZNS1_16scan_by_key_implILNS1_25lookback_scan_determinismE0ELb0ES3_N6thrust23THRUST_200600_302600_NS6detail15normal_iteratorINSB_10device_ptrIjEEEENSD_INSE_IS6_EEEESI_S6_NSB_4plusIvEENSB_8equal_toIvEES6_EE10hipError_tPvRmT2_T3_T4_T5_mT6_T7_P12ihipStream_tbENKUlT_T0_E_clISt17integral_constantIbLb1EES12_IbLb0EEEEDaSY_SZ_EUlSY_E_NS1_11comp_targetILNS1_3genE8ELNS1_11target_archE1030ELNS1_3gpuE2ELNS1_3repE0EEENS1_30default_config_static_selectorELNS0_4arch9wavefront6targetE1EEEvT1_,comdat
.Lfunc_end1899:
	.size	_ZN7rocprim17ROCPRIM_400000_NS6detail17trampoline_kernelINS0_14default_configENS1_27scan_by_key_config_selectorIj11FixedVectorIiLj1EEEEZZNS1_16scan_by_key_implILNS1_25lookback_scan_determinismE0ELb0ES3_N6thrust23THRUST_200600_302600_NS6detail15normal_iteratorINSB_10device_ptrIjEEEENSD_INSE_IS6_EEEESI_S6_NSB_4plusIvEENSB_8equal_toIvEES6_EE10hipError_tPvRmT2_T3_T4_T5_mT6_T7_P12ihipStream_tbENKUlT_T0_E_clISt17integral_constantIbLb1EES12_IbLb0EEEEDaSY_SZ_EUlSY_E_NS1_11comp_targetILNS1_3genE8ELNS1_11target_archE1030ELNS1_3gpuE2ELNS1_3repE0EEENS1_30default_config_static_selectorELNS0_4arch9wavefront6targetE1EEEvT1_, .Lfunc_end1899-_ZN7rocprim17ROCPRIM_400000_NS6detail17trampoline_kernelINS0_14default_configENS1_27scan_by_key_config_selectorIj11FixedVectorIiLj1EEEEZZNS1_16scan_by_key_implILNS1_25lookback_scan_determinismE0ELb0ES3_N6thrust23THRUST_200600_302600_NS6detail15normal_iteratorINSB_10device_ptrIjEEEENSD_INSE_IS6_EEEESI_S6_NSB_4plusIvEENSB_8equal_toIvEES6_EE10hipError_tPvRmT2_T3_T4_T5_mT6_T7_P12ihipStream_tbENKUlT_T0_E_clISt17integral_constantIbLb1EES12_IbLb0EEEEDaSY_SZ_EUlSY_E_NS1_11comp_targetILNS1_3genE8ELNS1_11target_archE1030ELNS1_3gpuE2ELNS1_3repE0EEENS1_30default_config_static_selectorELNS0_4arch9wavefront6targetE1EEEvT1_
                                        ; -- End function
	.section	.AMDGPU.csdata,"",@progbits
; Kernel info:
; codeLenInByte = 0
; NumSgprs: 4
; NumVgprs: 0
; NumAgprs: 0
; TotalNumVgprs: 0
; ScratchSize: 0
; MemoryBound: 0
; FloatMode: 240
; IeeeMode: 1
; LDSByteSize: 0 bytes/workgroup (compile time only)
; SGPRBlocks: 0
; VGPRBlocks: 0
; NumSGPRsForWavesPerEU: 4
; NumVGPRsForWavesPerEU: 1
; AccumOffset: 4
; Occupancy: 8
; WaveLimiterHint : 0
; COMPUTE_PGM_RSRC2:SCRATCH_EN: 0
; COMPUTE_PGM_RSRC2:USER_SGPR: 6
; COMPUTE_PGM_RSRC2:TRAP_HANDLER: 0
; COMPUTE_PGM_RSRC2:TGID_X_EN: 1
; COMPUTE_PGM_RSRC2:TGID_Y_EN: 0
; COMPUTE_PGM_RSRC2:TGID_Z_EN: 0
; COMPUTE_PGM_RSRC2:TIDIG_COMP_CNT: 0
; COMPUTE_PGM_RSRC3_GFX90A:ACCUM_OFFSET: 0
; COMPUTE_PGM_RSRC3_GFX90A:TG_SPLIT: 0
	.section	.text._ZN7rocprim17ROCPRIM_400000_NS6detail30init_device_scan_by_key_kernelINS1_19lookback_scan_stateINS0_5tupleIJ11FixedVectorIiLj1EEbEEELb0ELb1EEEN6thrust23THRUST_200600_302600_NS6detail15normal_iteratorINSA_10device_ptrIjEEEEjNS1_16block_id_wrapperIjLb1EEEEEvT_jjPNSI_10value_typeET0_PNSt15iterator_traitsISL_E10value_typeEmT1_T2_,"axG",@progbits,_ZN7rocprim17ROCPRIM_400000_NS6detail30init_device_scan_by_key_kernelINS1_19lookback_scan_stateINS0_5tupleIJ11FixedVectorIiLj1EEbEEELb0ELb1EEEN6thrust23THRUST_200600_302600_NS6detail15normal_iteratorINSA_10device_ptrIjEEEEjNS1_16block_id_wrapperIjLb1EEEEEvT_jjPNSI_10value_typeET0_PNSt15iterator_traitsISL_E10value_typeEmT1_T2_,comdat
	.protected	_ZN7rocprim17ROCPRIM_400000_NS6detail30init_device_scan_by_key_kernelINS1_19lookback_scan_stateINS0_5tupleIJ11FixedVectorIiLj1EEbEEELb0ELb1EEEN6thrust23THRUST_200600_302600_NS6detail15normal_iteratorINSA_10device_ptrIjEEEEjNS1_16block_id_wrapperIjLb1EEEEEvT_jjPNSI_10value_typeET0_PNSt15iterator_traitsISL_E10value_typeEmT1_T2_ ; -- Begin function _ZN7rocprim17ROCPRIM_400000_NS6detail30init_device_scan_by_key_kernelINS1_19lookback_scan_stateINS0_5tupleIJ11FixedVectorIiLj1EEbEEELb0ELb1EEEN6thrust23THRUST_200600_302600_NS6detail15normal_iteratorINSA_10device_ptrIjEEEEjNS1_16block_id_wrapperIjLb1EEEEEvT_jjPNSI_10value_typeET0_PNSt15iterator_traitsISL_E10value_typeEmT1_T2_
	.globl	_ZN7rocprim17ROCPRIM_400000_NS6detail30init_device_scan_by_key_kernelINS1_19lookback_scan_stateINS0_5tupleIJ11FixedVectorIiLj1EEbEEELb0ELb1EEEN6thrust23THRUST_200600_302600_NS6detail15normal_iteratorINSA_10device_ptrIjEEEEjNS1_16block_id_wrapperIjLb1EEEEEvT_jjPNSI_10value_typeET0_PNSt15iterator_traitsISL_E10value_typeEmT1_T2_
	.p2align	8
	.type	_ZN7rocprim17ROCPRIM_400000_NS6detail30init_device_scan_by_key_kernelINS1_19lookback_scan_stateINS0_5tupleIJ11FixedVectorIiLj1EEbEEELb0ELb1EEEN6thrust23THRUST_200600_302600_NS6detail15normal_iteratorINSA_10device_ptrIjEEEEjNS1_16block_id_wrapperIjLb1EEEEEvT_jjPNSI_10value_typeET0_PNSt15iterator_traitsISL_E10value_typeEmT1_T2_,@function
_ZN7rocprim17ROCPRIM_400000_NS6detail30init_device_scan_by_key_kernelINS1_19lookback_scan_stateINS0_5tupleIJ11FixedVectorIiLj1EEbEEELb0ELb1EEEN6thrust23THRUST_200600_302600_NS6detail15normal_iteratorINSA_10device_ptrIjEEEEjNS1_16block_id_wrapperIjLb1EEEEEvT_jjPNSI_10value_typeET0_PNSt15iterator_traitsISL_E10value_typeEmT1_T2_: ; @_ZN7rocprim17ROCPRIM_400000_NS6detail30init_device_scan_by_key_kernelINS1_19lookback_scan_stateINS0_5tupleIJ11FixedVectorIiLj1EEbEEELb0ELb1EEEN6thrust23THRUST_200600_302600_NS6detail15normal_iteratorINSA_10device_ptrIjEEEEjNS1_16block_id_wrapperIjLb1EEEEEvT_jjPNSI_10value_typeET0_PNSt15iterator_traitsISL_E10value_typeEmT1_T2_
; %bb.0:
	s_load_dword s0, s[4:5], 0x4c
	s_load_dwordx8 s[8:15], s[4:5], 0x0
	s_load_dword s18, s[4:5], 0x40
	s_waitcnt lgkmcnt(0)
	s_and_b32 s19, s0, 0xffff
	s_mul_i32 s6, s6, s19
	s_cmp_eq_u64 s[12:13], 0
	v_add_u32_e32 v4, s6, v0
	s_cbranch_scc1 .LBB1900_8
; %bb.1:
	s_cmp_lt_u32 s11, s10
	s_cselect_b32 s0, s11, 0
	s_mov_b32 s3, 0
	v_cmp_eq_u32_e32 vcc, s0, v4
	s_and_saveexec_b64 s[0:1], vcc
	s_cbranch_execz .LBB1900_7
; %bb.2:
	s_add_i32 s2, s11, 64
	s_lshl_b64 s[2:3], s[2:3], 4
	s_add_u32 s16, s8, s2
	s_addc_u32 s17, s9, s3
	v_pk_mov_b32 v[0:1], s[16:17], s[16:17] op_sel:[0,1]
	;;#ASMSTART
	global_load_dwordx4 v[0:3], v[0:1] off glc	
s_waitcnt vmcnt(0)
	;;#ASMEND
	v_mov_b32_e32 v7, 0
	v_and_b32_e32 v6, 0xff, v2
	s_mov_b64 s[6:7], 0
	v_cmp_eq_u64_e32 vcc, 0, v[6:7]
	s_and_saveexec_b64 s[2:3], vcc
	s_cbranch_execz .LBB1900_6
; %bb.3:
	v_pk_mov_b32 v[8:9], s[16:17], s[16:17] op_sel:[0,1]
.LBB1900_4:                             ; =>This Inner Loop Header: Depth=1
	;;#ASMSTART
	global_load_dwordx4 v[0:3], v[8:9] off glc	
s_waitcnt vmcnt(0)
	;;#ASMEND
	v_and_b32_e32 v6, 0xff, v2
	v_cmp_ne_u64_e32 vcc, 0, v[6:7]
	s_or_b64 s[6:7], vcc, s[6:7]
	s_andn2_b64 exec, exec, s[6:7]
	s_cbranch_execnz .LBB1900_4
; %bb.5:
	s_or_b64 exec, exec, s[6:7]
.LBB1900_6:
	s_or_b64 exec, exec, s[2:3]
	v_mov_b32_e32 v2, 0
	global_store_dword v2, v0, s[12:13]
	global_store_byte v2, v1, s[12:13] offset:4
.LBB1900_7:
	s_or_b64 exec, exec, s[0:1]
.LBB1900_8:
	v_cmp_eq_u32_e32 vcc, 0, v4
	s_and_saveexec_b64 s[0:1], vcc
	s_cbranch_execz .LBB1900_10
; %bb.9:
	s_load_dwordx2 s[2:3], s[4:5], 0x38
	v_mov_b32_e32 v0, 0
	s_waitcnt lgkmcnt(0)
	global_store_dword v0, v0, s[2:3]
.LBB1900_10:
	s_or_b64 exec, exec, s[0:1]
	v_cmp_gt_u32_e32 vcc, s10, v4
	s_and_saveexec_b64 s[0:1], vcc
	s_cbranch_execz .LBB1900_12
; %bb.11:
	v_add_u32_e32 v0, 64, v4
	v_mov_b32_e32 v1, 0
	v_lshlrev_b64 v[2:3], 4, v[0:1]
	v_mov_b32_e32 v0, s9
	v_add_co_u32_e32 v6, vcc, s8, v2
	v_addc_co_u32_e32 v7, vcc, v0, v3, vcc
	v_mov_b32_e32 v0, v1
	v_mov_b32_e32 v2, v1
	;; [unrolled: 1-line block ×3, first 2 shown]
	global_store_dwordx4 v[6:7], v[0:3], off
.LBB1900_12:
	s_or_b64 exec, exec, s[0:1]
	v_cmp_gt_u32_e32 vcc, 64, v4
	v_mov_b32_e32 v5, 0
	s_and_saveexec_b64 s[0:1], vcc
	s_cbranch_execz .LBB1900_14
; %bb.13:
	v_lshlrev_b64 v[0:1], 4, v[4:5]
	v_mov_b32_e32 v2, s9
	v_add_co_u32_e32 v6, vcc, s8, v0
	v_addc_co_u32_e32 v7, vcc, v2, v1, vcc
	v_mov_b32_e32 v2, 0xff
	v_mov_b32_e32 v0, v5
	;; [unrolled: 1-line block ×4, first 2 shown]
	global_store_dwordx4 v[6:7], v[0:3], off
.LBB1900_14:
	s_or_b64 exec, exec, s[0:1]
	s_load_dwordx2 s[0:1], s[4:5], 0x28
	s_waitcnt lgkmcnt(0)
	v_cmp_gt_u64_e32 vcc, s[0:1], v[4:5]
	s_and_saveexec_b64 s[2:3], vcc
	s_cbranch_execz .LBB1900_17
; %bb.15:
	s_load_dword s10, s[4:5], 0x30
	s_load_dwordx2 s[6:7], s[4:5], 0x20
	s_mov_b32 s5, 0
	s_mov_b32 s3, s5
	s_mul_i32 s2, s18, s19
	s_waitcnt lgkmcnt(0)
	s_add_i32 s4, s10, -1
	s_lshl_b64 s[4:5], s[4:5], 2
	v_mad_u64_u32 v[0:1], s[8:9], s10, v4, 0
	s_add_u32 s4, s14, s4
	v_lshlrev_b64 v[0:1], 2, v[0:1]
	s_addc_u32 s5, s15, s5
	v_mov_b32_e32 v2, s5
	v_add_co_u32_e32 v0, vcc, s4, v0
	v_addc_co_u32_e32 v1, vcc, v2, v1, vcc
	s_mul_hi_u32 s5, s10, s2
	s_mul_i32 s4, s10, s2
	v_lshlrev_b64 v[2:3], 2, v[4:5]
	s_lshl_b64 s[4:5], s[4:5], 2
	v_mov_b32_e32 v6, s7
	v_add_co_u32_e32 v2, vcc, s6, v2
	s_lshl_b64 s[6:7], s[2:3], 2
	v_addc_co_u32_e32 v3, vcc, v6, v3, vcc
	s_mov_b64 s[8:9], 0
	v_mov_b32_e32 v6, s3
	v_mov_b32_e32 v7, s5
	;; [unrolled: 1-line block ×3, first 2 shown]
.LBB1900_16:                            ; =>This Inner Loop Header: Depth=1
	global_load_dword v9, v[0:1], off
	v_add_co_u32_e32 v4, vcc, s2, v4
	v_addc_co_u32_e32 v5, vcc, v5, v6, vcc
	v_add_co_u32_e32 v0, vcc, s4, v0
	v_addc_co_u32_e32 v1, vcc, v1, v7, vcc
	v_cmp_le_u64_e32 vcc, s[0:1], v[4:5]
	s_or_b64 s[8:9], vcc, s[8:9]
	s_waitcnt vmcnt(0)
	global_store_dword v[2:3], v9, off
	v_add_co_u32_e32 v2, vcc, s6, v2
	v_addc_co_u32_e32 v3, vcc, v3, v8, vcc
	s_andn2_b64 exec, exec, s[8:9]
	s_cbranch_execnz .LBB1900_16
.LBB1900_17:
	s_endpgm
	.section	.rodata,"a",@progbits
	.p2align	6, 0x0
	.amdhsa_kernel _ZN7rocprim17ROCPRIM_400000_NS6detail30init_device_scan_by_key_kernelINS1_19lookback_scan_stateINS0_5tupleIJ11FixedVectorIiLj1EEbEEELb0ELb1EEEN6thrust23THRUST_200600_302600_NS6detail15normal_iteratorINSA_10device_ptrIjEEEEjNS1_16block_id_wrapperIjLb1EEEEEvT_jjPNSI_10value_typeET0_PNSt15iterator_traitsISL_E10value_typeEmT1_T2_
		.amdhsa_group_segment_fixed_size 0
		.amdhsa_private_segment_fixed_size 0
		.amdhsa_kernarg_size 320
		.amdhsa_user_sgpr_count 6
		.amdhsa_user_sgpr_private_segment_buffer 1
		.amdhsa_user_sgpr_dispatch_ptr 0
		.amdhsa_user_sgpr_queue_ptr 0
		.amdhsa_user_sgpr_kernarg_segment_ptr 1
		.amdhsa_user_sgpr_dispatch_id 0
		.amdhsa_user_sgpr_flat_scratch_init 0
		.amdhsa_user_sgpr_kernarg_preload_length 0
		.amdhsa_user_sgpr_kernarg_preload_offset 0
		.amdhsa_user_sgpr_private_segment_size 0
		.amdhsa_uses_dynamic_stack 0
		.amdhsa_system_sgpr_private_segment_wavefront_offset 0
		.amdhsa_system_sgpr_workgroup_id_x 1
		.amdhsa_system_sgpr_workgroup_id_y 0
		.amdhsa_system_sgpr_workgroup_id_z 0
		.amdhsa_system_sgpr_workgroup_info 0
		.amdhsa_system_vgpr_workitem_id 0
		.amdhsa_next_free_vgpr 10
		.amdhsa_next_free_sgpr 20
		.amdhsa_accum_offset 12
		.amdhsa_reserve_vcc 1
		.amdhsa_reserve_flat_scratch 0
		.amdhsa_float_round_mode_32 0
		.amdhsa_float_round_mode_16_64 0
		.amdhsa_float_denorm_mode_32 3
		.amdhsa_float_denorm_mode_16_64 3
		.amdhsa_dx10_clamp 1
		.amdhsa_ieee_mode 1
		.amdhsa_fp16_overflow 0
		.amdhsa_tg_split 0
		.amdhsa_exception_fp_ieee_invalid_op 0
		.amdhsa_exception_fp_denorm_src 0
		.amdhsa_exception_fp_ieee_div_zero 0
		.amdhsa_exception_fp_ieee_overflow 0
		.amdhsa_exception_fp_ieee_underflow 0
		.amdhsa_exception_fp_ieee_inexact 0
		.amdhsa_exception_int_div_zero 0
	.end_amdhsa_kernel
	.section	.text._ZN7rocprim17ROCPRIM_400000_NS6detail30init_device_scan_by_key_kernelINS1_19lookback_scan_stateINS0_5tupleIJ11FixedVectorIiLj1EEbEEELb0ELb1EEEN6thrust23THRUST_200600_302600_NS6detail15normal_iteratorINSA_10device_ptrIjEEEEjNS1_16block_id_wrapperIjLb1EEEEEvT_jjPNSI_10value_typeET0_PNSt15iterator_traitsISL_E10value_typeEmT1_T2_,"axG",@progbits,_ZN7rocprim17ROCPRIM_400000_NS6detail30init_device_scan_by_key_kernelINS1_19lookback_scan_stateINS0_5tupleIJ11FixedVectorIiLj1EEbEEELb0ELb1EEEN6thrust23THRUST_200600_302600_NS6detail15normal_iteratorINSA_10device_ptrIjEEEEjNS1_16block_id_wrapperIjLb1EEEEEvT_jjPNSI_10value_typeET0_PNSt15iterator_traitsISL_E10value_typeEmT1_T2_,comdat
.Lfunc_end1900:
	.size	_ZN7rocprim17ROCPRIM_400000_NS6detail30init_device_scan_by_key_kernelINS1_19lookback_scan_stateINS0_5tupleIJ11FixedVectorIiLj1EEbEEELb0ELb1EEEN6thrust23THRUST_200600_302600_NS6detail15normal_iteratorINSA_10device_ptrIjEEEEjNS1_16block_id_wrapperIjLb1EEEEEvT_jjPNSI_10value_typeET0_PNSt15iterator_traitsISL_E10value_typeEmT1_T2_, .Lfunc_end1900-_ZN7rocprim17ROCPRIM_400000_NS6detail30init_device_scan_by_key_kernelINS1_19lookback_scan_stateINS0_5tupleIJ11FixedVectorIiLj1EEbEEELb0ELb1EEEN6thrust23THRUST_200600_302600_NS6detail15normal_iteratorINSA_10device_ptrIjEEEEjNS1_16block_id_wrapperIjLb1EEEEEvT_jjPNSI_10value_typeET0_PNSt15iterator_traitsISL_E10value_typeEmT1_T2_
                                        ; -- End function
	.section	.AMDGPU.csdata,"",@progbits
; Kernel info:
; codeLenInByte = 612
; NumSgprs: 24
; NumVgprs: 10
; NumAgprs: 0
; TotalNumVgprs: 10
; ScratchSize: 0
; MemoryBound: 0
; FloatMode: 240
; IeeeMode: 1
; LDSByteSize: 0 bytes/workgroup (compile time only)
; SGPRBlocks: 2
; VGPRBlocks: 1
; NumSGPRsForWavesPerEU: 24
; NumVGPRsForWavesPerEU: 10
; AccumOffset: 12
; Occupancy: 8
; WaveLimiterHint : 0
; COMPUTE_PGM_RSRC2:SCRATCH_EN: 0
; COMPUTE_PGM_RSRC2:USER_SGPR: 6
; COMPUTE_PGM_RSRC2:TRAP_HANDLER: 0
; COMPUTE_PGM_RSRC2:TGID_X_EN: 1
; COMPUTE_PGM_RSRC2:TGID_Y_EN: 0
; COMPUTE_PGM_RSRC2:TGID_Z_EN: 0
; COMPUTE_PGM_RSRC2:TIDIG_COMP_CNT: 0
; COMPUTE_PGM_RSRC3_GFX90A:ACCUM_OFFSET: 2
; COMPUTE_PGM_RSRC3_GFX90A:TG_SPLIT: 0
	.section	.text._ZN7rocprim17ROCPRIM_400000_NS6detail30init_device_scan_by_key_kernelINS1_19lookback_scan_stateINS0_5tupleIJ11FixedVectorIiLj1EEbEEELb0ELb1EEENS1_16block_id_wrapperIjLb1EEEEEvT_jjPNSB_10value_typeET0_,"axG",@progbits,_ZN7rocprim17ROCPRIM_400000_NS6detail30init_device_scan_by_key_kernelINS1_19lookback_scan_stateINS0_5tupleIJ11FixedVectorIiLj1EEbEEELb0ELb1EEENS1_16block_id_wrapperIjLb1EEEEEvT_jjPNSB_10value_typeET0_,comdat
	.protected	_ZN7rocprim17ROCPRIM_400000_NS6detail30init_device_scan_by_key_kernelINS1_19lookback_scan_stateINS0_5tupleIJ11FixedVectorIiLj1EEbEEELb0ELb1EEENS1_16block_id_wrapperIjLb1EEEEEvT_jjPNSB_10value_typeET0_ ; -- Begin function _ZN7rocprim17ROCPRIM_400000_NS6detail30init_device_scan_by_key_kernelINS1_19lookback_scan_stateINS0_5tupleIJ11FixedVectorIiLj1EEbEEELb0ELb1EEENS1_16block_id_wrapperIjLb1EEEEEvT_jjPNSB_10value_typeET0_
	.globl	_ZN7rocprim17ROCPRIM_400000_NS6detail30init_device_scan_by_key_kernelINS1_19lookback_scan_stateINS0_5tupleIJ11FixedVectorIiLj1EEbEEELb0ELb1EEENS1_16block_id_wrapperIjLb1EEEEEvT_jjPNSB_10value_typeET0_
	.p2align	8
	.type	_ZN7rocprim17ROCPRIM_400000_NS6detail30init_device_scan_by_key_kernelINS1_19lookback_scan_stateINS0_5tupleIJ11FixedVectorIiLj1EEbEEELb0ELb1EEENS1_16block_id_wrapperIjLb1EEEEEvT_jjPNSB_10value_typeET0_,@function
_ZN7rocprim17ROCPRIM_400000_NS6detail30init_device_scan_by_key_kernelINS1_19lookback_scan_stateINS0_5tupleIJ11FixedVectorIiLj1EEbEEELb0ELb1EEENS1_16block_id_wrapperIjLb1EEEEEvT_jjPNSB_10value_typeET0_: ; @_ZN7rocprim17ROCPRIM_400000_NS6detail30init_device_scan_by_key_kernelINS1_19lookback_scan_stateINS0_5tupleIJ11FixedVectorIiLj1EEbEEELb0ELb1EEENS1_16block_id_wrapperIjLb1EEEEEvT_jjPNSB_10value_typeET0_
; %bb.0:
	s_load_dword s0, s[4:5], 0x2c
	s_load_dwordx8 s[8:15], s[4:5], 0x0
	s_waitcnt lgkmcnt(0)
	s_and_b32 s0, s0, 0xffff
	s_mul_i32 s6, s6, s0
	s_cmp_eq_u64 s[12:13], 0
	v_add_u32_e32 v0, s6, v0
	s_cbranch_scc1 .LBB1901_8
; %bb.1:
	s_cmp_lt_u32 s11, s10
	s_cselect_b32 s0, s11, 0
	s_mov_b32 s3, 0
	v_cmp_eq_u32_e32 vcc, s0, v0
	s_and_saveexec_b64 s[0:1], vcc
	s_cbranch_execz .LBB1901_7
; %bb.2:
	s_add_i32 s2, s11, 64
	s_lshl_b64 s[2:3], s[2:3], 4
	s_add_u32 s6, s8, s2
	s_addc_u32 s7, s9, s3
	v_pk_mov_b32 v[2:3], s[6:7], s[6:7] op_sel:[0,1]
	;;#ASMSTART
	global_load_dwordx4 v[2:5], v[2:3] off glc	
s_waitcnt vmcnt(0)
	;;#ASMEND
	v_mov_b32_e32 v7, 0
	v_and_b32_e32 v6, 0xff, v4
	s_mov_b64 s[4:5], 0
	v_cmp_eq_u64_e32 vcc, 0, v[6:7]
	s_and_saveexec_b64 s[2:3], vcc
	s_cbranch_execz .LBB1901_6
; %bb.3:
	v_pk_mov_b32 v[8:9], s[6:7], s[6:7] op_sel:[0,1]
.LBB1901_4:                             ; =>This Inner Loop Header: Depth=1
	;;#ASMSTART
	global_load_dwordx4 v[2:5], v[8:9] off glc	
s_waitcnt vmcnt(0)
	;;#ASMEND
	v_and_b32_e32 v6, 0xff, v4
	v_cmp_ne_u64_e32 vcc, 0, v[6:7]
	s_or_b64 s[4:5], vcc, s[4:5]
	s_andn2_b64 exec, exec, s[4:5]
	s_cbranch_execnz .LBB1901_4
; %bb.5:
	s_or_b64 exec, exec, s[4:5]
.LBB1901_6:
	s_or_b64 exec, exec, s[2:3]
	v_mov_b32_e32 v1, 0
	global_store_dword v1, v2, s[12:13]
	global_store_byte v1, v3, s[12:13] offset:4
.LBB1901_7:
	s_or_b64 exec, exec, s[0:1]
.LBB1901_8:
	v_cmp_eq_u32_e32 vcc, 0, v0
	s_and_saveexec_b64 s[0:1], vcc
	s_cbranch_execnz .LBB1901_12
; %bb.9:
	s_or_b64 exec, exec, s[0:1]
	v_cmp_gt_u32_e32 vcc, s10, v0
	s_and_saveexec_b64 s[0:1], vcc
	s_cbranch_execnz .LBB1901_13
.LBB1901_10:
	s_or_b64 exec, exec, s[0:1]
	v_cmp_gt_u32_e32 vcc, 64, v0
	s_and_saveexec_b64 s[0:1], vcc
	s_cbranch_execnz .LBB1901_14
.LBB1901_11:
	s_endpgm
.LBB1901_12:
	v_mov_b32_e32 v1, 0
	global_store_dword v1, v1, s[14:15]
	s_or_b64 exec, exec, s[0:1]
	v_cmp_gt_u32_e32 vcc, s10, v0
	s_and_saveexec_b64 s[0:1], vcc
	s_cbranch_execz .LBB1901_10
.LBB1901_13:
	v_add_u32_e32 v2, 64, v0
	v_mov_b32_e32 v3, 0
	v_lshlrev_b64 v[4:5], 4, v[2:3]
	v_mov_b32_e32 v1, s9
	v_add_co_u32_e32 v6, vcc, s8, v4
	v_addc_co_u32_e32 v7, vcc, v1, v5, vcc
	v_mov_b32_e32 v2, v3
	v_mov_b32_e32 v4, v3
	;; [unrolled: 1-line block ×3, first 2 shown]
	global_store_dwordx4 v[6:7], v[2:5], off
	s_or_b64 exec, exec, s[0:1]
	v_cmp_gt_u32_e32 vcc, 64, v0
	s_and_saveexec_b64 s[0:1], vcc
	s_cbranch_execz .LBB1901_11
.LBB1901_14:
	v_mov_b32_e32 v1, 0
	v_lshlrev_b64 v[2:3], 4, v[0:1]
	v_mov_b32_e32 v0, s9
	v_add_co_u32_e32 v4, vcc, s8, v2
	v_addc_co_u32_e32 v5, vcc, v0, v3, vcc
	v_mov_b32_e32 v2, 0xff
	v_mov_b32_e32 v0, v1
	;; [unrolled: 1-line block ×3, first 2 shown]
	global_store_dwordx4 v[4:5], v[0:3], off
	s_endpgm
	.section	.rodata,"a",@progbits
	.p2align	6, 0x0
	.amdhsa_kernel _ZN7rocprim17ROCPRIM_400000_NS6detail30init_device_scan_by_key_kernelINS1_19lookback_scan_stateINS0_5tupleIJ11FixedVectorIiLj1EEbEEELb0ELb1EEENS1_16block_id_wrapperIjLb1EEEEEvT_jjPNSB_10value_typeET0_
		.amdhsa_group_segment_fixed_size 0
		.amdhsa_private_segment_fixed_size 0
		.amdhsa_kernarg_size 288
		.amdhsa_user_sgpr_count 6
		.amdhsa_user_sgpr_private_segment_buffer 1
		.amdhsa_user_sgpr_dispatch_ptr 0
		.amdhsa_user_sgpr_queue_ptr 0
		.amdhsa_user_sgpr_kernarg_segment_ptr 1
		.amdhsa_user_sgpr_dispatch_id 0
		.amdhsa_user_sgpr_flat_scratch_init 0
		.amdhsa_user_sgpr_kernarg_preload_length 0
		.amdhsa_user_sgpr_kernarg_preload_offset 0
		.amdhsa_user_sgpr_private_segment_size 0
		.amdhsa_uses_dynamic_stack 0
		.amdhsa_system_sgpr_private_segment_wavefront_offset 0
		.amdhsa_system_sgpr_workgroup_id_x 1
		.amdhsa_system_sgpr_workgroup_id_y 0
		.amdhsa_system_sgpr_workgroup_id_z 0
		.amdhsa_system_sgpr_workgroup_info 0
		.amdhsa_system_vgpr_workitem_id 0
		.amdhsa_next_free_vgpr 10
		.amdhsa_next_free_sgpr 16
		.amdhsa_accum_offset 12
		.amdhsa_reserve_vcc 1
		.amdhsa_reserve_flat_scratch 0
		.amdhsa_float_round_mode_32 0
		.amdhsa_float_round_mode_16_64 0
		.amdhsa_float_denorm_mode_32 3
		.amdhsa_float_denorm_mode_16_64 3
		.amdhsa_dx10_clamp 1
		.amdhsa_ieee_mode 1
		.amdhsa_fp16_overflow 0
		.amdhsa_tg_split 0
		.amdhsa_exception_fp_ieee_invalid_op 0
		.amdhsa_exception_fp_denorm_src 0
		.amdhsa_exception_fp_ieee_div_zero 0
		.amdhsa_exception_fp_ieee_overflow 0
		.amdhsa_exception_fp_ieee_underflow 0
		.amdhsa_exception_fp_ieee_inexact 0
		.amdhsa_exception_int_div_zero 0
	.end_amdhsa_kernel
	.section	.text._ZN7rocprim17ROCPRIM_400000_NS6detail30init_device_scan_by_key_kernelINS1_19lookback_scan_stateINS0_5tupleIJ11FixedVectorIiLj1EEbEEELb0ELb1EEENS1_16block_id_wrapperIjLb1EEEEEvT_jjPNSB_10value_typeET0_,"axG",@progbits,_ZN7rocprim17ROCPRIM_400000_NS6detail30init_device_scan_by_key_kernelINS1_19lookback_scan_stateINS0_5tupleIJ11FixedVectorIiLj1EEbEEELb0ELb1EEENS1_16block_id_wrapperIjLb1EEEEEvT_jjPNSB_10value_typeET0_,comdat
.Lfunc_end1901:
	.size	_ZN7rocprim17ROCPRIM_400000_NS6detail30init_device_scan_by_key_kernelINS1_19lookback_scan_stateINS0_5tupleIJ11FixedVectorIiLj1EEbEEELb0ELb1EEENS1_16block_id_wrapperIjLb1EEEEEvT_jjPNSB_10value_typeET0_, .Lfunc_end1901-_ZN7rocprim17ROCPRIM_400000_NS6detail30init_device_scan_by_key_kernelINS1_19lookback_scan_stateINS0_5tupleIJ11FixedVectorIiLj1EEbEEELb0ELb1EEENS1_16block_id_wrapperIjLb1EEEEEvT_jjPNSB_10value_typeET0_
                                        ; -- End function
	.section	.AMDGPU.csdata,"",@progbits
; Kernel info:
; codeLenInByte = 408
; NumSgprs: 20
; NumVgprs: 10
; NumAgprs: 0
; TotalNumVgprs: 10
; ScratchSize: 0
; MemoryBound: 0
; FloatMode: 240
; IeeeMode: 1
; LDSByteSize: 0 bytes/workgroup (compile time only)
; SGPRBlocks: 2
; VGPRBlocks: 1
; NumSGPRsForWavesPerEU: 20
; NumVGPRsForWavesPerEU: 10
; AccumOffset: 12
; Occupancy: 8
; WaveLimiterHint : 0
; COMPUTE_PGM_RSRC2:SCRATCH_EN: 0
; COMPUTE_PGM_RSRC2:USER_SGPR: 6
; COMPUTE_PGM_RSRC2:TRAP_HANDLER: 0
; COMPUTE_PGM_RSRC2:TGID_X_EN: 1
; COMPUTE_PGM_RSRC2:TGID_Y_EN: 0
; COMPUTE_PGM_RSRC2:TGID_Z_EN: 0
; COMPUTE_PGM_RSRC2:TIDIG_COMP_CNT: 0
; COMPUTE_PGM_RSRC3_GFX90A:ACCUM_OFFSET: 2
; COMPUTE_PGM_RSRC3_GFX90A:TG_SPLIT: 0
	.section	.text._ZN7rocprim17ROCPRIM_400000_NS6detail17trampoline_kernelINS0_14default_configENS1_27scan_by_key_config_selectorIj11FixedVectorIiLj1EEEEZZNS1_16scan_by_key_implILNS1_25lookback_scan_determinismE0ELb0ES3_N6thrust23THRUST_200600_302600_NS6detail15normal_iteratorINSB_10device_ptrIjEEEENSD_INSE_IS6_EEEESI_S6_NSB_4plusIvEENSB_8equal_toIvEES6_EE10hipError_tPvRmT2_T3_T4_T5_mT6_T7_P12ihipStream_tbENKUlT_T0_E_clISt17integral_constantIbLb0EES12_IbLb1EEEEDaSY_SZ_EUlSY_E_NS1_11comp_targetILNS1_3genE0ELNS1_11target_archE4294967295ELNS1_3gpuE0ELNS1_3repE0EEENS1_30default_config_static_selectorELNS0_4arch9wavefront6targetE1EEEvT1_,"axG",@progbits,_ZN7rocprim17ROCPRIM_400000_NS6detail17trampoline_kernelINS0_14default_configENS1_27scan_by_key_config_selectorIj11FixedVectorIiLj1EEEEZZNS1_16scan_by_key_implILNS1_25lookback_scan_determinismE0ELb0ES3_N6thrust23THRUST_200600_302600_NS6detail15normal_iteratorINSB_10device_ptrIjEEEENSD_INSE_IS6_EEEESI_S6_NSB_4plusIvEENSB_8equal_toIvEES6_EE10hipError_tPvRmT2_T3_T4_T5_mT6_T7_P12ihipStream_tbENKUlT_T0_E_clISt17integral_constantIbLb0EES12_IbLb1EEEEDaSY_SZ_EUlSY_E_NS1_11comp_targetILNS1_3genE0ELNS1_11target_archE4294967295ELNS1_3gpuE0ELNS1_3repE0EEENS1_30default_config_static_selectorELNS0_4arch9wavefront6targetE1EEEvT1_,comdat
	.protected	_ZN7rocprim17ROCPRIM_400000_NS6detail17trampoline_kernelINS0_14default_configENS1_27scan_by_key_config_selectorIj11FixedVectorIiLj1EEEEZZNS1_16scan_by_key_implILNS1_25lookback_scan_determinismE0ELb0ES3_N6thrust23THRUST_200600_302600_NS6detail15normal_iteratorINSB_10device_ptrIjEEEENSD_INSE_IS6_EEEESI_S6_NSB_4plusIvEENSB_8equal_toIvEES6_EE10hipError_tPvRmT2_T3_T4_T5_mT6_T7_P12ihipStream_tbENKUlT_T0_E_clISt17integral_constantIbLb0EES12_IbLb1EEEEDaSY_SZ_EUlSY_E_NS1_11comp_targetILNS1_3genE0ELNS1_11target_archE4294967295ELNS1_3gpuE0ELNS1_3repE0EEENS1_30default_config_static_selectorELNS0_4arch9wavefront6targetE1EEEvT1_ ; -- Begin function _ZN7rocprim17ROCPRIM_400000_NS6detail17trampoline_kernelINS0_14default_configENS1_27scan_by_key_config_selectorIj11FixedVectorIiLj1EEEEZZNS1_16scan_by_key_implILNS1_25lookback_scan_determinismE0ELb0ES3_N6thrust23THRUST_200600_302600_NS6detail15normal_iteratorINSB_10device_ptrIjEEEENSD_INSE_IS6_EEEESI_S6_NSB_4plusIvEENSB_8equal_toIvEES6_EE10hipError_tPvRmT2_T3_T4_T5_mT6_T7_P12ihipStream_tbENKUlT_T0_E_clISt17integral_constantIbLb0EES12_IbLb1EEEEDaSY_SZ_EUlSY_E_NS1_11comp_targetILNS1_3genE0ELNS1_11target_archE4294967295ELNS1_3gpuE0ELNS1_3repE0EEENS1_30default_config_static_selectorELNS0_4arch9wavefront6targetE1EEEvT1_
	.globl	_ZN7rocprim17ROCPRIM_400000_NS6detail17trampoline_kernelINS0_14default_configENS1_27scan_by_key_config_selectorIj11FixedVectorIiLj1EEEEZZNS1_16scan_by_key_implILNS1_25lookback_scan_determinismE0ELb0ES3_N6thrust23THRUST_200600_302600_NS6detail15normal_iteratorINSB_10device_ptrIjEEEENSD_INSE_IS6_EEEESI_S6_NSB_4plusIvEENSB_8equal_toIvEES6_EE10hipError_tPvRmT2_T3_T4_T5_mT6_T7_P12ihipStream_tbENKUlT_T0_E_clISt17integral_constantIbLb0EES12_IbLb1EEEEDaSY_SZ_EUlSY_E_NS1_11comp_targetILNS1_3genE0ELNS1_11target_archE4294967295ELNS1_3gpuE0ELNS1_3repE0EEENS1_30default_config_static_selectorELNS0_4arch9wavefront6targetE1EEEvT1_
	.p2align	8
	.type	_ZN7rocprim17ROCPRIM_400000_NS6detail17trampoline_kernelINS0_14default_configENS1_27scan_by_key_config_selectorIj11FixedVectorIiLj1EEEEZZNS1_16scan_by_key_implILNS1_25lookback_scan_determinismE0ELb0ES3_N6thrust23THRUST_200600_302600_NS6detail15normal_iteratorINSB_10device_ptrIjEEEENSD_INSE_IS6_EEEESI_S6_NSB_4plusIvEENSB_8equal_toIvEES6_EE10hipError_tPvRmT2_T3_T4_T5_mT6_T7_P12ihipStream_tbENKUlT_T0_E_clISt17integral_constantIbLb0EES12_IbLb1EEEEDaSY_SZ_EUlSY_E_NS1_11comp_targetILNS1_3genE0ELNS1_11target_archE4294967295ELNS1_3gpuE0ELNS1_3repE0EEENS1_30default_config_static_selectorELNS0_4arch9wavefront6targetE1EEEvT1_,@function
_ZN7rocprim17ROCPRIM_400000_NS6detail17trampoline_kernelINS0_14default_configENS1_27scan_by_key_config_selectorIj11FixedVectorIiLj1EEEEZZNS1_16scan_by_key_implILNS1_25lookback_scan_determinismE0ELb0ES3_N6thrust23THRUST_200600_302600_NS6detail15normal_iteratorINSB_10device_ptrIjEEEENSD_INSE_IS6_EEEESI_S6_NSB_4plusIvEENSB_8equal_toIvEES6_EE10hipError_tPvRmT2_T3_T4_T5_mT6_T7_P12ihipStream_tbENKUlT_T0_E_clISt17integral_constantIbLb0EES12_IbLb1EEEEDaSY_SZ_EUlSY_E_NS1_11comp_targetILNS1_3genE0ELNS1_11target_archE4294967295ELNS1_3gpuE0ELNS1_3repE0EEENS1_30default_config_static_selectorELNS0_4arch9wavefront6targetE1EEEvT1_: ; @_ZN7rocprim17ROCPRIM_400000_NS6detail17trampoline_kernelINS0_14default_configENS1_27scan_by_key_config_selectorIj11FixedVectorIiLj1EEEEZZNS1_16scan_by_key_implILNS1_25lookback_scan_determinismE0ELb0ES3_N6thrust23THRUST_200600_302600_NS6detail15normal_iteratorINSB_10device_ptrIjEEEENSD_INSE_IS6_EEEESI_S6_NSB_4plusIvEENSB_8equal_toIvEES6_EE10hipError_tPvRmT2_T3_T4_T5_mT6_T7_P12ihipStream_tbENKUlT_T0_E_clISt17integral_constantIbLb0EES12_IbLb1EEEEDaSY_SZ_EUlSY_E_NS1_11comp_targetILNS1_3genE0ELNS1_11target_archE4294967295ELNS1_3gpuE0ELNS1_3repE0EEENS1_30default_config_static_selectorELNS0_4arch9wavefront6targetE1EEEvT1_
; %bb.0:
	.section	.rodata,"a",@progbits
	.p2align	6, 0x0
	.amdhsa_kernel _ZN7rocprim17ROCPRIM_400000_NS6detail17trampoline_kernelINS0_14default_configENS1_27scan_by_key_config_selectorIj11FixedVectorIiLj1EEEEZZNS1_16scan_by_key_implILNS1_25lookback_scan_determinismE0ELb0ES3_N6thrust23THRUST_200600_302600_NS6detail15normal_iteratorINSB_10device_ptrIjEEEENSD_INSE_IS6_EEEESI_S6_NSB_4plusIvEENSB_8equal_toIvEES6_EE10hipError_tPvRmT2_T3_T4_T5_mT6_T7_P12ihipStream_tbENKUlT_T0_E_clISt17integral_constantIbLb0EES12_IbLb1EEEEDaSY_SZ_EUlSY_E_NS1_11comp_targetILNS1_3genE0ELNS1_11target_archE4294967295ELNS1_3gpuE0ELNS1_3repE0EEENS1_30default_config_static_selectorELNS0_4arch9wavefront6targetE1EEEvT1_
		.amdhsa_group_segment_fixed_size 0
		.amdhsa_private_segment_fixed_size 0
		.amdhsa_kernarg_size 112
		.amdhsa_user_sgpr_count 6
		.amdhsa_user_sgpr_private_segment_buffer 1
		.amdhsa_user_sgpr_dispatch_ptr 0
		.amdhsa_user_sgpr_queue_ptr 0
		.amdhsa_user_sgpr_kernarg_segment_ptr 1
		.amdhsa_user_sgpr_dispatch_id 0
		.amdhsa_user_sgpr_flat_scratch_init 0
		.amdhsa_user_sgpr_kernarg_preload_length 0
		.amdhsa_user_sgpr_kernarg_preload_offset 0
		.amdhsa_user_sgpr_private_segment_size 0
		.amdhsa_uses_dynamic_stack 0
		.amdhsa_system_sgpr_private_segment_wavefront_offset 0
		.amdhsa_system_sgpr_workgroup_id_x 1
		.amdhsa_system_sgpr_workgroup_id_y 0
		.amdhsa_system_sgpr_workgroup_id_z 0
		.amdhsa_system_sgpr_workgroup_info 0
		.amdhsa_system_vgpr_workitem_id 0
		.amdhsa_next_free_vgpr 1
		.amdhsa_next_free_sgpr 0
		.amdhsa_accum_offset 4
		.amdhsa_reserve_vcc 0
		.amdhsa_reserve_flat_scratch 0
		.amdhsa_float_round_mode_32 0
		.amdhsa_float_round_mode_16_64 0
		.amdhsa_float_denorm_mode_32 3
		.amdhsa_float_denorm_mode_16_64 3
		.amdhsa_dx10_clamp 1
		.amdhsa_ieee_mode 1
		.amdhsa_fp16_overflow 0
		.amdhsa_tg_split 0
		.amdhsa_exception_fp_ieee_invalid_op 0
		.amdhsa_exception_fp_denorm_src 0
		.amdhsa_exception_fp_ieee_div_zero 0
		.amdhsa_exception_fp_ieee_overflow 0
		.amdhsa_exception_fp_ieee_underflow 0
		.amdhsa_exception_fp_ieee_inexact 0
		.amdhsa_exception_int_div_zero 0
	.end_amdhsa_kernel
	.section	.text._ZN7rocprim17ROCPRIM_400000_NS6detail17trampoline_kernelINS0_14default_configENS1_27scan_by_key_config_selectorIj11FixedVectorIiLj1EEEEZZNS1_16scan_by_key_implILNS1_25lookback_scan_determinismE0ELb0ES3_N6thrust23THRUST_200600_302600_NS6detail15normal_iteratorINSB_10device_ptrIjEEEENSD_INSE_IS6_EEEESI_S6_NSB_4plusIvEENSB_8equal_toIvEES6_EE10hipError_tPvRmT2_T3_T4_T5_mT6_T7_P12ihipStream_tbENKUlT_T0_E_clISt17integral_constantIbLb0EES12_IbLb1EEEEDaSY_SZ_EUlSY_E_NS1_11comp_targetILNS1_3genE0ELNS1_11target_archE4294967295ELNS1_3gpuE0ELNS1_3repE0EEENS1_30default_config_static_selectorELNS0_4arch9wavefront6targetE1EEEvT1_,"axG",@progbits,_ZN7rocprim17ROCPRIM_400000_NS6detail17trampoline_kernelINS0_14default_configENS1_27scan_by_key_config_selectorIj11FixedVectorIiLj1EEEEZZNS1_16scan_by_key_implILNS1_25lookback_scan_determinismE0ELb0ES3_N6thrust23THRUST_200600_302600_NS6detail15normal_iteratorINSB_10device_ptrIjEEEENSD_INSE_IS6_EEEESI_S6_NSB_4plusIvEENSB_8equal_toIvEES6_EE10hipError_tPvRmT2_T3_T4_T5_mT6_T7_P12ihipStream_tbENKUlT_T0_E_clISt17integral_constantIbLb0EES12_IbLb1EEEEDaSY_SZ_EUlSY_E_NS1_11comp_targetILNS1_3genE0ELNS1_11target_archE4294967295ELNS1_3gpuE0ELNS1_3repE0EEENS1_30default_config_static_selectorELNS0_4arch9wavefront6targetE1EEEvT1_,comdat
.Lfunc_end1902:
	.size	_ZN7rocprim17ROCPRIM_400000_NS6detail17trampoline_kernelINS0_14default_configENS1_27scan_by_key_config_selectorIj11FixedVectorIiLj1EEEEZZNS1_16scan_by_key_implILNS1_25lookback_scan_determinismE0ELb0ES3_N6thrust23THRUST_200600_302600_NS6detail15normal_iteratorINSB_10device_ptrIjEEEENSD_INSE_IS6_EEEESI_S6_NSB_4plusIvEENSB_8equal_toIvEES6_EE10hipError_tPvRmT2_T3_T4_T5_mT6_T7_P12ihipStream_tbENKUlT_T0_E_clISt17integral_constantIbLb0EES12_IbLb1EEEEDaSY_SZ_EUlSY_E_NS1_11comp_targetILNS1_3genE0ELNS1_11target_archE4294967295ELNS1_3gpuE0ELNS1_3repE0EEENS1_30default_config_static_selectorELNS0_4arch9wavefront6targetE1EEEvT1_, .Lfunc_end1902-_ZN7rocprim17ROCPRIM_400000_NS6detail17trampoline_kernelINS0_14default_configENS1_27scan_by_key_config_selectorIj11FixedVectorIiLj1EEEEZZNS1_16scan_by_key_implILNS1_25lookback_scan_determinismE0ELb0ES3_N6thrust23THRUST_200600_302600_NS6detail15normal_iteratorINSB_10device_ptrIjEEEENSD_INSE_IS6_EEEESI_S6_NSB_4plusIvEENSB_8equal_toIvEES6_EE10hipError_tPvRmT2_T3_T4_T5_mT6_T7_P12ihipStream_tbENKUlT_T0_E_clISt17integral_constantIbLb0EES12_IbLb1EEEEDaSY_SZ_EUlSY_E_NS1_11comp_targetILNS1_3genE0ELNS1_11target_archE4294967295ELNS1_3gpuE0ELNS1_3repE0EEENS1_30default_config_static_selectorELNS0_4arch9wavefront6targetE1EEEvT1_
                                        ; -- End function
	.section	.AMDGPU.csdata,"",@progbits
; Kernel info:
; codeLenInByte = 0
; NumSgprs: 4
; NumVgprs: 0
; NumAgprs: 0
; TotalNumVgprs: 0
; ScratchSize: 0
; MemoryBound: 0
; FloatMode: 240
; IeeeMode: 1
; LDSByteSize: 0 bytes/workgroup (compile time only)
; SGPRBlocks: 0
; VGPRBlocks: 0
; NumSGPRsForWavesPerEU: 4
; NumVGPRsForWavesPerEU: 1
; AccumOffset: 4
; Occupancy: 8
; WaveLimiterHint : 0
; COMPUTE_PGM_RSRC2:SCRATCH_EN: 0
; COMPUTE_PGM_RSRC2:USER_SGPR: 6
; COMPUTE_PGM_RSRC2:TRAP_HANDLER: 0
; COMPUTE_PGM_RSRC2:TGID_X_EN: 1
; COMPUTE_PGM_RSRC2:TGID_Y_EN: 0
; COMPUTE_PGM_RSRC2:TGID_Z_EN: 0
; COMPUTE_PGM_RSRC2:TIDIG_COMP_CNT: 0
; COMPUTE_PGM_RSRC3_GFX90A:ACCUM_OFFSET: 0
; COMPUTE_PGM_RSRC3_GFX90A:TG_SPLIT: 0
	.section	.text._ZN7rocprim17ROCPRIM_400000_NS6detail17trampoline_kernelINS0_14default_configENS1_27scan_by_key_config_selectorIj11FixedVectorIiLj1EEEEZZNS1_16scan_by_key_implILNS1_25lookback_scan_determinismE0ELb0ES3_N6thrust23THRUST_200600_302600_NS6detail15normal_iteratorINSB_10device_ptrIjEEEENSD_INSE_IS6_EEEESI_S6_NSB_4plusIvEENSB_8equal_toIvEES6_EE10hipError_tPvRmT2_T3_T4_T5_mT6_T7_P12ihipStream_tbENKUlT_T0_E_clISt17integral_constantIbLb0EES12_IbLb1EEEEDaSY_SZ_EUlSY_E_NS1_11comp_targetILNS1_3genE10ELNS1_11target_archE1201ELNS1_3gpuE5ELNS1_3repE0EEENS1_30default_config_static_selectorELNS0_4arch9wavefront6targetE1EEEvT1_,"axG",@progbits,_ZN7rocprim17ROCPRIM_400000_NS6detail17trampoline_kernelINS0_14default_configENS1_27scan_by_key_config_selectorIj11FixedVectorIiLj1EEEEZZNS1_16scan_by_key_implILNS1_25lookback_scan_determinismE0ELb0ES3_N6thrust23THRUST_200600_302600_NS6detail15normal_iteratorINSB_10device_ptrIjEEEENSD_INSE_IS6_EEEESI_S6_NSB_4plusIvEENSB_8equal_toIvEES6_EE10hipError_tPvRmT2_T3_T4_T5_mT6_T7_P12ihipStream_tbENKUlT_T0_E_clISt17integral_constantIbLb0EES12_IbLb1EEEEDaSY_SZ_EUlSY_E_NS1_11comp_targetILNS1_3genE10ELNS1_11target_archE1201ELNS1_3gpuE5ELNS1_3repE0EEENS1_30default_config_static_selectorELNS0_4arch9wavefront6targetE1EEEvT1_,comdat
	.protected	_ZN7rocprim17ROCPRIM_400000_NS6detail17trampoline_kernelINS0_14default_configENS1_27scan_by_key_config_selectorIj11FixedVectorIiLj1EEEEZZNS1_16scan_by_key_implILNS1_25lookback_scan_determinismE0ELb0ES3_N6thrust23THRUST_200600_302600_NS6detail15normal_iteratorINSB_10device_ptrIjEEEENSD_INSE_IS6_EEEESI_S6_NSB_4plusIvEENSB_8equal_toIvEES6_EE10hipError_tPvRmT2_T3_T4_T5_mT6_T7_P12ihipStream_tbENKUlT_T0_E_clISt17integral_constantIbLb0EES12_IbLb1EEEEDaSY_SZ_EUlSY_E_NS1_11comp_targetILNS1_3genE10ELNS1_11target_archE1201ELNS1_3gpuE5ELNS1_3repE0EEENS1_30default_config_static_selectorELNS0_4arch9wavefront6targetE1EEEvT1_ ; -- Begin function _ZN7rocprim17ROCPRIM_400000_NS6detail17trampoline_kernelINS0_14default_configENS1_27scan_by_key_config_selectorIj11FixedVectorIiLj1EEEEZZNS1_16scan_by_key_implILNS1_25lookback_scan_determinismE0ELb0ES3_N6thrust23THRUST_200600_302600_NS6detail15normal_iteratorINSB_10device_ptrIjEEEENSD_INSE_IS6_EEEESI_S6_NSB_4plusIvEENSB_8equal_toIvEES6_EE10hipError_tPvRmT2_T3_T4_T5_mT6_T7_P12ihipStream_tbENKUlT_T0_E_clISt17integral_constantIbLb0EES12_IbLb1EEEEDaSY_SZ_EUlSY_E_NS1_11comp_targetILNS1_3genE10ELNS1_11target_archE1201ELNS1_3gpuE5ELNS1_3repE0EEENS1_30default_config_static_selectorELNS0_4arch9wavefront6targetE1EEEvT1_
	.globl	_ZN7rocprim17ROCPRIM_400000_NS6detail17trampoline_kernelINS0_14default_configENS1_27scan_by_key_config_selectorIj11FixedVectorIiLj1EEEEZZNS1_16scan_by_key_implILNS1_25lookback_scan_determinismE0ELb0ES3_N6thrust23THRUST_200600_302600_NS6detail15normal_iteratorINSB_10device_ptrIjEEEENSD_INSE_IS6_EEEESI_S6_NSB_4plusIvEENSB_8equal_toIvEES6_EE10hipError_tPvRmT2_T3_T4_T5_mT6_T7_P12ihipStream_tbENKUlT_T0_E_clISt17integral_constantIbLb0EES12_IbLb1EEEEDaSY_SZ_EUlSY_E_NS1_11comp_targetILNS1_3genE10ELNS1_11target_archE1201ELNS1_3gpuE5ELNS1_3repE0EEENS1_30default_config_static_selectorELNS0_4arch9wavefront6targetE1EEEvT1_
	.p2align	8
	.type	_ZN7rocprim17ROCPRIM_400000_NS6detail17trampoline_kernelINS0_14default_configENS1_27scan_by_key_config_selectorIj11FixedVectorIiLj1EEEEZZNS1_16scan_by_key_implILNS1_25lookback_scan_determinismE0ELb0ES3_N6thrust23THRUST_200600_302600_NS6detail15normal_iteratorINSB_10device_ptrIjEEEENSD_INSE_IS6_EEEESI_S6_NSB_4plusIvEENSB_8equal_toIvEES6_EE10hipError_tPvRmT2_T3_T4_T5_mT6_T7_P12ihipStream_tbENKUlT_T0_E_clISt17integral_constantIbLb0EES12_IbLb1EEEEDaSY_SZ_EUlSY_E_NS1_11comp_targetILNS1_3genE10ELNS1_11target_archE1201ELNS1_3gpuE5ELNS1_3repE0EEENS1_30default_config_static_selectorELNS0_4arch9wavefront6targetE1EEEvT1_,@function
_ZN7rocprim17ROCPRIM_400000_NS6detail17trampoline_kernelINS0_14default_configENS1_27scan_by_key_config_selectorIj11FixedVectorIiLj1EEEEZZNS1_16scan_by_key_implILNS1_25lookback_scan_determinismE0ELb0ES3_N6thrust23THRUST_200600_302600_NS6detail15normal_iteratorINSB_10device_ptrIjEEEENSD_INSE_IS6_EEEESI_S6_NSB_4plusIvEENSB_8equal_toIvEES6_EE10hipError_tPvRmT2_T3_T4_T5_mT6_T7_P12ihipStream_tbENKUlT_T0_E_clISt17integral_constantIbLb0EES12_IbLb1EEEEDaSY_SZ_EUlSY_E_NS1_11comp_targetILNS1_3genE10ELNS1_11target_archE1201ELNS1_3gpuE5ELNS1_3repE0EEENS1_30default_config_static_selectorELNS0_4arch9wavefront6targetE1EEEvT1_: ; @_ZN7rocprim17ROCPRIM_400000_NS6detail17trampoline_kernelINS0_14default_configENS1_27scan_by_key_config_selectorIj11FixedVectorIiLj1EEEEZZNS1_16scan_by_key_implILNS1_25lookback_scan_determinismE0ELb0ES3_N6thrust23THRUST_200600_302600_NS6detail15normal_iteratorINSB_10device_ptrIjEEEENSD_INSE_IS6_EEEESI_S6_NSB_4plusIvEENSB_8equal_toIvEES6_EE10hipError_tPvRmT2_T3_T4_T5_mT6_T7_P12ihipStream_tbENKUlT_T0_E_clISt17integral_constantIbLb0EES12_IbLb1EEEEDaSY_SZ_EUlSY_E_NS1_11comp_targetILNS1_3genE10ELNS1_11target_archE1201ELNS1_3gpuE5ELNS1_3repE0EEENS1_30default_config_static_selectorELNS0_4arch9wavefront6targetE1EEEvT1_
; %bb.0:
	.section	.rodata,"a",@progbits
	.p2align	6, 0x0
	.amdhsa_kernel _ZN7rocprim17ROCPRIM_400000_NS6detail17trampoline_kernelINS0_14default_configENS1_27scan_by_key_config_selectorIj11FixedVectorIiLj1EEEEZZNS1_16scan_by_key_implILNS1_25lookback_scan_determinismE0ELb0ES3_N6thrust23THRUST_200600_302600_NS6detail15normal_iteratorINSB_10device_ptrIjEEEENSD_INSE_IS6_EEEESI_S6_NSB_4plusIvEENSB_8equal_toIvEES6_EE10hipError_tPvRmT2_T3_T4_T5_mT6_T7_P12ihipStream_tbENKUlT_T0_E_clISt17integral_constantIbLb0EES12_IbLb1EEEEDaSY_SZ_EUlSY_E_NS1_11comp_targetILNS1_3genE10ELNS1_11target_archE1201ELNS1_3gpuE5ELNS1_3repE0EEENS1_30default_config_static_selectorELNS0_4arch9wavefront6targetE1EEEvT1_
		.amdhsa_group_segment_fixed_size 0
		.amdhsa_private_segment_fixed_size 0
		.amdhsa_kernarg_size 112
		.amdhsa_user_sgpr_count 6
		.amdhsa_user_sgpr_private_segment_buffer 1
		.amdhsa_user_sgpr_dispatch_ptr 0
		.amdhsa_user_sgpr_queue_ptr 0
		.amdhsa_user_sgpr_kernarg_segment_ptr 1
		.amdhsa_user_sgpr_dispatch_id 0
		.amdhsa_user_sgpr_flat_scratch_init 0
		.amdhsa_user_sgpr_kernarg_preload_length 0
		.amdhsa_user_sgpr_kernarg_preload_offset 0
		.amdhsa_user_sgpr_private_segment_size 0
		.amdhsa_uses_dynamic_stack 0
		.amdhsa_system_sgpr_private_segment_wavefront_offset 0
		.amdhsa_system_sgpr_workgroup_id_x 1
		.amdhsa_system_sgpr_workgroup_id_y 0
		.amdhsa_system_sgpr_workgroup_id_z 0
		.amdhsa_system_sgpr_workgroup_info 0
		.amdhsa_system_vgpr_workitem_id 0
		.amdhsa_next_free_vgpr 1
		.amdhsa_next_free_sgpr 0
		.amdhsa_accum_offset 4
		.amdhsa_reserve_vcc 0
		.amdhsa_reserve_flat_scratch 0
		.amdhsa_float_round_mode_32 0
		.amdhsa_float_round_mode_16_64 0
		.amdhsa_float_denorm_mode_32 3
		.amdhsa_float_denorm_mode_16_64 3
		.amdhsa_dx10_clamp 1
		.amdhsa_ieee_mode 1
		.amdhsa_fp16_overflow 0
		.amdhsa_tg_split 0
		.amdhsa_exception_fp_ieee_invalid_op 0
		.amdhsa_exception_fp_denorm_src 0
		.amdhsa_exception_fp_ieee_div_zero 0
		.amdhsa_exception_fp_ieee_overflow 0
		.amdhsa_exception_fp_ieee_underflow 0
		.amdhsa_exception_fp_ieee_inexact 0
		.amdhsa_exception_int_div_zero 0
	.end_amdhsa_kernel
	.section	.text._ZN7rocprim17ROCPRIM_400000_NS6detail17trampoline_kernelINS0_14default_configENS1_27scan_by_key_config_selectorIj11FixedVectorIiLj1EEEEZZNS1_16scan_by_key_implILNS1_25lookback_scan_determinismE0ELb0ES3_N6thrust23THRUST_200600_302600_NS6detail15normal_iteratorINSB_10device_ptrIjEEEENSD_INSE_IS6_EEEESI_S6_NSB_4plusIvEENSB_8equal_toIvEES6_EE10hipError_tPvRmT2_T3_T4_T5_mT6_T7_P12ihipStream_tbENKUlT_T0_E_clISt17integral_constantIbLb0EES12_IbLb1EEEEDaSY_SZ_EUlSY_E_NS1_11comp_targetILNS1_3genE10ELNS1_11target_archE1201ELNS1_3gpuE5ELNS1_3repE0EEENS1_30default_config_static_selectorELNS0_4arch9wavefront6targetE1EEEvT1_,"axG",@progbits,_ZN7rocprim17ROCPRIM_400000_NS6detail17trampoline_kernelINS0_14default_configENS1_27scan_by_key_config_selectorIj11FixedVectorIiLj1EEEEZZNS1_16scan_by_key_implILNS1_25lookback_scan_determinismE0ELb0ES3_N6thrust23THRUST_200600_302600_NS6detail15normal_iteratorINSB_10device_ptrIjEEEENSD_INSE_IS6_EEEESI_S6_NSB_4plusIvEENSB_8equal_toIvEES6_EE10hipError_tPvRmT2_T3_T4_T5_mT6_T7_P12ihipStream_tbENKUlT_T0_E_clISt17integral_constantIbLb0EES12_IbLb1EEEEDaSY_SZ_EUlSY_E_NS1_11comp_targetILNS1_3genE10ELNS1_11target_archE1201ELNS1_3gpuE5ELNS1_3repE0EEENS1_30default_config_static_selectorELNS0_4arch9wavefront6targetE1EEEvT1_,comdat
.Lfunc_end1903:
	.size	_ZN7rocprim17ROCPRIM_400000_NS6detail17trampoline_kernelINS0_14default_configENS1_27scan_by_key_config_selectorIj11FixedVectorIiLj1EEEEZZNS1_16scan_by_key_implILNS1_25lookback_scan_determinismE0ELb0ES3_N6thrust23THRUST_200600_302600_NS6detail15normal_iteratorINSB_10device_ptrIjEEEENSD_INSE_IS6_EEEESI_S6_NSB_4plusIvEENSB_8equal_toIvEES6_EE10hipError_tPvRmT2_T3_T4_T5_mT6_T7_P12ihipStream_tbENKUlT_T0_E_clISt17integral_constantIbLb0EES12_IbLb1EEEEDaSY_SZ_EUlSY_E_NS1_11comp_targetILNS1_3genE10ELNS1_11target_archE1201ELNS1_3gpuE5ELNS1_3repE0EEENS1_30default_config_static_selectorELNS0_4arch9wavefront6targetE1EEEvT1_, .Lfunc_end1903-_ZN7rocprim17ROCPRIM_400000_NS6detail17trampoline_kernelINS0_14default_configENS1_27scan_by_key_config_selectorIj11FixedVectorIiLj1EEEEZZNS1_16scan_by_key_implILNS1_25lookback_scan_determinismE0ELb0ES3_N6thrust23THRUST_200600_302600_NS6detail15normal_iteratorINSB_10device_ptrIjEEEENSD_INSE_IS6_EEEESI_S6_NSB_4plusIvEENSB_8equal_toIvEES6_EE10hipError_tPvRmT2_T3_T4_T5_mT6_T7_P12ihipStream_tbENKUlT_T0_E_clISt17integral_constantIbLb0EES12_IbLb1EEEEDaSY_SZ_EUlSY_E_NS1_11comp_targetILNS1_3genE10ELNS1_11target_archE1201ELNS1_3gpuE5ELNS1_3repE0EEENS1_30default_config_static_selectorELNS0_4arch9wavefront6targetE1EEEvT1_
                                        ; -- End function
	.section	.AMDGPU.csdata,"",@progbits
; Kernel info:
; codeLenInByte = 0
; NumSgprs: 4
; NumVgprs: 0
; NumAgprs: 0
; TotalNumVgprs: 0
; ScratchSize: 0
; MemoryBound: 0
; FloatMode: 240
; IeeeMode: 1
; LDSByteSize: 0 bytes/workgroup (compile time only)
; SGPRBlocks: 0
; VGPRBlocks: 0
; NumSGPRsForWavesPerEU: 4
; NumVGPRsForWavesPerEU: 1
; AccumOffset: 4
; Occupancy: 8
; WaveLimiterHint : 0
; COMPUTE_PGM_RSRC2:SCRATCH_EN: 0
; COMPUTE_PGM_RSRC2:USER_SGPR: 6
; COMPUTE_PGM_RSRC2:TRAP_HANDLER: 0
; COMPUTE_PGM_RSRC2:TGID_X_EN: 1
; COMPUTE_PGM_RSRC2:TGID_Y_EN: 0
; COMPUTE_PGM_RSRC2:TGID_Z_EN: 0
; COMPUTE_PGM_RSRC2:TIDIG_COMP_CNT: 0
; COMPUTE_PGM_RSRC3_GFX90A:ACCUM_OFFSET: 0
; COMPUTE_PGM_RSRC3_GFX90A:TG_SPLIT: 0
	.section	.text._ZN7rocprim17ROCPRIM_400000_NS6detail17trampoline_kernelINS0_14default_configENS1_27scan_by_key_config_selectorIj11FixedVectorIiLj1EEEEZZNS1_16scan_by_key_implILNS1_25lookback_scan_determinismE0ELb0ES3_N6thrust23THRUST_200600_302600_NS6detail15normal_iteratorINSB_10device_ptrIjEEEENSD_INSE_IS6_EEEESI_S6_NSB_4plusIvEENSB_8equal_toIvEES6_EE10hipError_tPvRmT2_T3_T4_T5_mT6_T7_P12ihipStream_tbENKUlT_T0_E_clISt17integral_constantIbLb0EES12_IbLb1EEEEDaSY_SZ_EUlSY_E_NS1_11comp_targetILNS1_3genE5ELNS1_11target_archE942ELNS1_3gpuE9ELNS1_3repE0EEENS1_30default_config_static_selectorELNS0_4arch9wavefront6targetE1EEEvT1_,"axG",@progbits,_ZN7rocprim17ROCPRIM_400000_NS6detail17trampoline_kernelINS0_14default_configENS1_27scan_by_key_config_selectorIj11FixedVectorIiLj1EEEEZZNS1_16scan_by_key_implILNS1_25lookback_scan_determinismE0ELb0ES3_N6thrust23THRUST_200600_302600_NS6detail15normal_iteratorINSB_10device_ptrIjEEEENSD_INSE_IS6_EEEESI_S6_NSB_4plusIvEENSB_8equal_toIvEES6_EE10hipError_tPvRmT2_T3_T4_T5_mT6_T7_P12ihipStream_tbENKUlT_T0_E_clISt17integral_constantIbLb0EES12_IbLb1EEEEDaSY_SZ_EUlSY_E_NS1_11comp_targetILNS1_3genE5ELNS1_11target_archE942ELNS1_3gpuE9ELNS1_3repE0EEENS1_30default_config_static_selectorELNS0_4arch9wavefront6targetE1EEEvT1_,comdat
	.protected	_ZN7rocprim17ROCPRIM_400000_NS6detail17trampoline_kernelINS0_14default_configENS1_27scan_by_key_config_selectorIj11FixedVectorIiLj1EEEEZZNS1_16scan_by_key_implILNS1_25lookback_scan_determinismE0ELb0ES3_N6thrust23THRUST_200600_302600_NS6detail15normal_iteratorINSB_10device_ptrIjEEEENSD_INSE_IS6_EEEESI_S6_NSB_4plusIvEENSB_8equal_toIvEES6_EE10hipError_tPvRmT2_T3_T4_T5_mT6_T7_P12ihipStream_tbENKUlT_T0_E_clISt17integral_constantIbLb0EES12_IbLb1EEEEDaSY_SZ_EUlSY_E_NS1_11comp_targetILNS1_3genE5ELNS1_11target_archE942ELNS1_3gpuE9ELNS1_3repE0EEENS1_30default_config_static_selectorELNS0_4arch9wavefront6targetE1EEEvT1_ ; -- Begin function _ZN7rocprim17ROCPRIM_400000_NS6detail17trampoline_kernelINS0_14default_configENS1_27scan_by_key_config_selectorIj11FixedVectorIiLj1EEEEZZNS1_16scan_by_key_implILNS1_25lookback_scan_determinismE0ELb0ES3_N6thrust23THRUST_200600_302600_NS6detail15normal_iteratorINSB_10device_ptrIjEEEENSD_INSE_IS6_EEEESI_S6_NSB_4plusIvEENSB_8equal_toIvEES6_EE10hipError_tPvRmT2_T3_T4_T5_mT6_T7_P12ihipStream_tbENKUlT_T0_E_clISt17integral_constantIbLb0EES12_IbLb1EEEEDaSY_SZ_EUlSY_E_NS1_11comp_targetILNS1_3genE5ELNS1_11target_archE942ELNS1_3gpuE9ELNS1_3repE0EEENS1_30default_config_static_selectorELNS0_4arch9wavefront6targetE1EEEvT1_
	.globl	_ZN7rocprim17ROCPRIM_400000_NS6detail17trampoline_kernelINS0_14default_configENS1_27scan_by_key_config_selectorIj11FixedVectorIiLj1EEEEZZNS1_16scan_by_key_implILNS1_25lookback_scan_determinismE0ELb0ES3_N6thrust23THRUST_200600_302600_NS6detail15normal_iteratorINSB_10device_ptrIjEEEENSD_INSE_IS6_EEEESI_S6_NSB_4plusIvEENSB_8equal_toIvEES6_EE10hipError_tPvRmT2_T3_T4_T5_mT6_T7_P12ihipStream_tbENKUlT_T0_E_clISt17integral_constantIbLb0EES12_IbLb1EEEEDaSY_SZ_EUlSY_E_NS1_11comp_targetILNS1_3genE5ELNS1_11target_archE942ELNS1_3gpuE9ELNS1_3repE0EEENS1_30default_config_static_selectorELNS0_4arch9wavefront6targetE1EEEvT1_
	.p2align	8
	.type	_ZN7rocprim17ROCPRIM_400000_NS6detail17trampoline_kernelINS0_14default_configENS1_27scan_by_key_config_selectorIj11FixedVectorIiLj1EEEEZZNS1_16scan_by_key_implILNS1_25lookback_scan_determinismE0ELb0ES3_N6thrust23THRUST_200600_302600_NS6detail15normal_iteratorINSB_10device_ptrIjEEEENSD_INSE_IS6_EEEESI_S6_NSB_4plusIvEENSB_8equal_toIvEES6_EE10hipError_tPvRmT2_T3_T4_T5_mT6_T7_P12ihipStream_tbENKUlT_T0_E_clISt17integral_constantIbLb0EES12_IbLb1EEEEDaSY_SZ_EUlSY_E_NS1_11comp_targetILNS1_3genE5ELNS1_11target_archE942ELNS1_3gpuE9ELNS1_3repE0EEENS1_30default_config_static_selectorELNS0_4arch9wavefront6targetE1EEEvT1_,@function
_ZN7rocprim17ROCPRIM_400000_NS6detail17trampoline_kernelINS0_14default_configENS1_27scan_by_key_config_selectorIj11FixedVectorIiLj1EEEEZZNS1_16scan_by_key_implILNS1_25lookback_scan_determinismE0ELb0ES3_N6thrust23THRUST_200600_302600_NS6detail15normal_iteratorINSB_10device_ptrIjEEEENSD_INSE_IS6_EEEESI_S6_NSB_4plusIvEENSB_8equal_toIvEES6_EE10hipError_tPvRmT2_T3_T4_T5_mT6_T7_P12ihipStream_tbENKUlT_T0_E_clISt17integral_constantIbLb0EES12_IbLb1EEEEDaSY_SZ_EUlSY_E_NS1_11comp_targetILNS1_3genE5ELNS1_11target_archE942ELNS1_3gpuE9ELNS1_3repE0EEENS1_30default_config_static_selectorELNS0_4arch9wavefront6targetE1EEEvT1_: ; @_ZN7rocprim17ROCPRIM_400000_NS6detail17trampoline_kernelINS0_14default_configENS1_27scan_by_key_config_selectorIj11FixedVectorIiLj1EEEEZZNS1_16scan_by_key_implILNS1_25lookback_scan_determinismE0ELb0ES3_N6thrust23THRUST_200600_302600_NS6detail15normal_iteratorINSB_10device_ptrIjEEEENSD_INSE_IS6_EEEESI_S6_NSB_4plusIvEENSB_8equal_toIvEES6_EE10hipError_tPvRmT2_T3_T4_T5_mT6_T7_P12ihipStream_tbENKUlT_T0_E_clISt17integral_constantIbLb0EES12_IbLb1EEEEDaSY_SZ_EUlSY_E_NS1_11comp_targetILNS1_3genE5ELNS1_11target_archE942ELNS1_3gpuE9ELNS1_3repE0EEENS1_30default_config_static_selectorELNS0_4arch9wavefront6targetE1EEEvT1_
; %bb.0:
	.section	.rodata,"a",@progbits
	.p2align	6, 0x0
	.amdhsa_kernel _ZN7rocprim17ROCPRIM_400000_NS6detail17trampoline_kernelINS0_14default_configENS1_27scan_by_key_config_selectorIj11FixedVectorIiLj1EEEEZZNS1_16scan_by_key_implILNS1_25lookback_scan_determinismE0ELb0ES3_N6thrust23THRUST_200600_302600_NS6detail15normal_iteratorINSB_10device_ptrIjEEEENSD_INSE_IS6_EEEESI_S6_NSB_4plusIvEENSB_8equal_toIvEES6_EE10hipError_tPvRmT2_T3_T4_T5_mT6_T7_P12ihipStream_tbENKUlT_T0_E_clISt17integral_constantIbLb0EES12_IbLb1EEEEDaSY_SZ_EUlSY_E_NS1_11comp_targetILNS1_3genE5ELNS1_11target_archE942ELNS1_3gpuE9ELNS1_3repE0EEENS1_30default_config_static_selectorELNS0_4arch9wavefront6targetE1EEEvT1_
		.amdhsa_group_segment_fixed_size 0
		.amdhsa_private_segment_fixed_size 0
		.amdhsa_kernarg_size 112
		.amdhsa_user_sgpr_count 6
		.amdhsa_user_sgpr_private_segment_buffer 1
		.amdhsa_user_sgpr_dispatch_ptr 0
		.amdhsa_user_sgpr_queue_ptr 0
		.amdhsa_user_sgpr_kernarg_segment_ptr 1
		.amdhsa_user_sgpr_dispatch_id 0
		.amdhsa_user_sgpr_flat_scratch_init 0
		.amdhsa_user_sgpr_kernarg_preload_length 0
		.amdhsa_user_sgpr_kernarg_preload_offset 0
		.amdhsa_user_sgpr_private_segment_size 0
		.amdhsa_uses_dynamic_stack 0
		.amdhsa_system_sgpr_private_segment_wavefront_offset 0
		.amdhsa_system_sgpr_workgroup_id_x 1
		.amdhsa_system_sgpr_workgroup_id_y 0
		.amdhsa_system_sgpr_workgroup_id_z 0
		.amdhsa_system_sgpr_workgroup_info 0
		.amdhsa_system_vgpr_workitem_id 0
		.amdhsa_next_free_vgpr 1
		.amdhsa_next_free_sgpr 0
		.amdhsa_accum_offset 4
		.amdhsa_reserve_vcc 0
		.amdhsa_reserve_flat_scratch 0
		.amdhsa_float_round_mode_32 0
		.amdhsa_float_round_mode_16_64 0
		.amdhsa_float_denorm_mode_32 3
		.amdhsa_float_denorm_mode_16_64 3
		.amdhsa_dx10_clamp 1
		.amdhsa_ieee_mode 1
		.amdhsa_fp16_overflow 0
		.amdhsa_tg_split 0
		.amdhsa_exception_fp_ieee_invalid_op 0
		.amdhsa_exception_fp_denorm_src 0
		.amdhsa_exception_fp_ieee_div_zero 0
		.amdhsa_exception_fp_ieee_overflow 0
		.amdhsa_exception_fp_ieee_underflow 0
		.amdhsa_exception_fp_ieee_inexact 0
		.amdhsa_exception_int_div_zero 0
	.end_amdhsa_kernel
	.section	.text._ZN7rocprim17ROCPRIM_400000_NS6detail17trampoline_kernelINS0_14default_configENS1_27scan_by_key_config_selectorIj11FixedVectorIiLj1EEEEZZNS1_16scan_by_key_implILNS1_25lookback_scan_determinismE0ELb0ES3_N6thrust23THRUST_200600_302600_NS6detail15normal_iteratorINSB_10device_ptrIjEEEENSD_INSE_IS6_EEEESI_S6_NSB_4plusIvEENSB_8equal_toIvEES6_EE10hipError_tPvRmT2_T3_T4_T5_mT6_T7_P12ihipStream_tbENKUlT_T0_E_clISt17integral_constantIbLb0EES12_IbLb1EEEEDaSY_SZ_EUlSY_E_NS1_11comp_targetILNS1_3genE5ELNS1_11target_archE942ELNS1_3gpuE9ELNS1_3repE0EEENS1_30default_config_static_selectorELNS0_4arch9wavefront6targetE1EEEvT1_,"axG",@progbits,_ZN7rocprim17ROCPRIM_400000_NS6detail17trampoline_kernelINS0_14default_configENS1_27scan_by_key_config_selectorIj11FixedVectorIiLj1EEEEZZNS1_16scan_by_key_implILNS1_25lookback_scan_determinismE0ELb0ES3_N6thrust23THRUST_200600_302600_NS6detail15normal_iteratorINSB_10device_ptrIjEEEENSD_INSE_IS6_EEEESI_S6_NSB_4plusIvEENSB_8equal_toIvEES6_EE10hipError_tPvRmT2_T3_T4_T5_mT6_T7_P12ihipStream_tbENKUlT_T0_E_clISt17integral_constantIbLb0EES12_IbLb1EEEEDaSY_SZ_EUlSY_E_NS1_11comp_targetILNS1_3genE5ELNS1_11target_archE942ELNS1_3gpuE9ELNS1_3repE0EEENS1_30default_config_static_selectorELNS0_4arch9wavefront6targetE1EEEvT1_,comdat
.Lfunc_end1904:
	.size	_ZN7rocprim17ROCPRIM_400000_NS6detail17trampoline_kernelINS0_14default_configENS1_27scan_by_key_config_selectorIj11FixedVectorIiLj1EEEEZZNS1_16scan_by_key_implILNS1_25lookback_scan_determinismE0ELb0ES3_N6thrust23THRUST_200600_302600_NS6detail15normal_iteratorINSB_10device_ptrIjEEEENSD_INSE_IS6_EEEESI_S6_NSB_4plusIvEENSB_8equal_toIvEES6_EE10hipError_tPvRmT2_T3_T4_T5_mT6_T7_P12ihipStream_tbENKUlT_T0_E_clISt17integral_constantIbLb0EES12_IbLb1EEEEDaSY_SZ_EUlSY_E_NS1_11comp_targetILNS1_3genE5ELNS1_11target_archE942ELNS1_3gpuE9ELNS1_3repE0EEENS1_30default_config_static_selectorELNS0_4arch9wavefront6targetE1EEEvT1_, .Lfunc_end1904-_ZN7rocprim17ROCPRIM_400000_NS6detail17trampoline_kernelINS0_14default_configENS1_27scan_by_key_config_selectorIj11FixedVectorIiLj1EEEEZZNS1_16scan_by_key_implILNS1_25lookback_scan_determinismE0ELb0ES3_N6thrust23THRUST_200600_302600_NS6detail15normal_iteratorINSB_10device_ptrIjEEEENSD_INSE_IS6_EEEESI_S6_NSB_4plusIvEENSB_8equal_toIvEES6_EE10hipError_tPvRmT2_T3_T4_T5_mT6_T7_P12ihipStream_tbENKUlT_T0_E_clISt17integral_constantIbLb0EES12_IbLb1EEEEDaSY_SZ_EUlSY_E_NS1_11comp_targetILNS1_3genE5ELNS1_11target_archE942ELNS1_3gpuE9ELNS1_3repE0EEENS1_30default_config_static_selectorELNS0_4arch9wavefront6targetE1EEEvT1_
                                        ; -- End function
	.section	.AMDGPU.csdata,"",@progbits
; Kernel info:
; codeLenInByte = 0
; NumSgprs: 4
; NumVgprs: 0
; NumAgprs: 0
; TotalNumVgprs: 0
; ScratchSize: 0
; MemoryBound: 0
; FloatMode: 240
; IeeeMode: 1
; LDSByteSize: 0 bytes/workgroup (compile time only)
; SGPRBlocks: 0
; VGPRBlocks: 0
; NumSGPRsForWavesPerEU: 4
; NumVGPRsForWavesPerEU: 1
; AccumOffset: 4
; Occupancy: 8
; WaveLimiterHint : 0
; COMPUTE_PGM_RSRC2:SCRATCH_EN: 0
; COMPUTE_PGM_RSRC2:USER_SGPR: 6
; COMPUTE_PGM_RSRC2:TRAP_HANDLER: 0
; COMPUTE_PGM_RSRC2:TGID_X_EN: 1
; COMPUTE_PGM_RSRC2:TGID_Y_EN: 0
; COMPUTE_PGM_RSRC2:TGID_Z_EN: 0
; COMPUTE_PGM_RSRC2:TIDIG_COMP_CNT: 0
; COMPUTE_PGM_RSRC3_GFX90A:ACCUM_OFFSET: 0
; COMPUTE_PGM_RSRC3_GFX90A:TG_SPLIT: 0
	.section	.text._ZN7rocprim17ROCPRIM_400000_NS6detail17trampoline_kernelINS0_14default_configENS1_27scan_by_key_config_selectorIj11FixedVectorIiLj1EEEEZZNS1_16scan_by_key_implILNS1_25lookback_scan_determinismE0ELb0ES3_N6thrust23THRUST_200600_302600_NS6detail15normal_iteratorINSB_10device_ptrIjEEEENSD_INSE_IS6_EEEESI_S6_NSB_4plusIvEENSB_8equal_toIvEES6_EE10hipError_tPvRmT2_T3_T4_T5_mT6_T7_P12ihipStream_tbENKUlT_T0_E_clISt17integral_constantIbLb0EES12_IbLb1EEEEDaSY_SZ_EUlSY_E_NS1_11comp_targetILNS1_3genE4ELNS1_11target_archE910ELNS1_3gpuE8ELNS1_3repE0EEENS1_30default_config_static_selectorELNS0_4arch9wavefront6targetE1EEEvT1_,"axG",@progbits,_ZN7rocprim17ROCPRIM_400000_NS6detail17trampoline_kernelINS0_14default_configENS1_27scan_by_key_config_selectorIj11FixedVectorIiLj1EEEEZZNS1_16scan_by_key_implILNS1_25lookback_scan_determinismE0ELb0ES3_N6thrust23THRUST_200600_302600_NS6detail15normal_iteratorINSB_10device_ptrIjEEEENSD_INSE_IS6_EEEESI_S6_NSB_4plusIvEENSB_8equal_toIvEES6_EE10hipError_tPvRmT2_T3_T4_T5_mT6_T7_P12ihipStream_tbENKUlT_T0_E_clISt17integral_constantIbLb0EES12_IbLb1EEEEDaSY_SZ_EUlSY_E_NS1_11comp_targetILNS1_3genE4ELNS1_11target_archE910ELNS1_3gpuE8ELNS1_3repE0EEENS1_30default_config_static_selectorELNS0_4arch9wavefront6targetE1EEEvT1_,comdat
	.protected	_ZN7rocprim17ROCPRIM_400000_NS6detail17trampoline_kernelINS0_14default_configENS1_27scan_by_key_config_selectorIj11FixedVectorIiLj1EEEEZZNS1_16scan_by_key_implILNS1_25lookback_scan_determinismE0ELb0ES3_N6thrust23THRUST_200600_302600_NS6detail15normal_iteratorINSB_10device_ptrIjEEEENSD_INSE_IS6_EEEESI_S6_NSB_4plusIvEENSB_8equal_toIvEES6_EE10hipError_tPvRmT2_T3_T4_T5_mT6_T7_P12ihipStream_tbENKUlT_T0_E_clISt17integral_constantIbLb0EES12_IbLb1EEEEDaSY_SZ_EUlSY_E_NS1_11comp_targetILNS1_3genE4ELNS1_11target_archE910ELNS1_3gpuE8ELNS1_3repE0EEENS1_30default_config_static_selectorELNS0_4arch9wavefront6targetE1EEEvT1_ ; -- Begin function _ZN7rocprim17ROCPRIM_400000_NS6detail17trampoline_kernelINS0_14default_configENS1_27scan_by_key_config_selectorIj11FixedVectorIiLj1EEEEZZNS1_16scan_by_key_implILNS1_25lookback_scan_determinismE0ELb0ES3_N6thrust23THRUST_200600_302600_NS6detail15normal_iteratorINSB_10device_ptrIjEEEENSD_INSE_IS6_EEEESI_S6_NSB_4plusIvEENSB_8equal_toIvEES6_EE10hipError_tPvRmT2_T3_T4_T5_mT6_T7_P12ihipStream_tbENKUlT_T0_E_clISt17integral_constantIbLb0EES12_IbLb1EEEEDaSY_SZ_EUlSY_E_NS1_11comp_targetILNS1_3genE4ELNS1_11target_archE910ELNS1_3gpuE8ELNS1_3repE0EEENS1_30default_config_static_selectorELNS0_4arch9wavefront6targetE1EEEvT1_
	.globl	_ZN7rocprim17ROCPRIM_400000_NS6detail17trampoline_kernelINS0_14default_configENS1_27scan_by_key_config_selectorIj11FixedVectorIiLj1EEEEZZNS1_16scan_by_key_implILNS1_25lookback_scan_determinismE0ELb0ES3_N6thrust23THRUST_200600_302600_NS6detail15normal_iteratorINSB_10device_ptrIjEEEENSD_INSE_IS6_EEEESI_S6_NSB_4plusIvEENSB_8equal_toIvEES6_EE10hipError_tPvRmT2_T3_T4_T5_mT6_T7_P12ihipStream_tbENKUlT_T0_E_clISt17integral_constantIbLb0EES12_IbLb1EEEEDaSY_SZ_EUlSY_E_NS1_11comp_targetILNS1_3genE4ELNS1_11target_archE910ELNS1_3gpuE8ELNS1_3repE0EEENS1_30default_config_static_selectorELNS0_4arch9wavefront6targetE1EEEvT1_
	.p2align	8
	.type	_ZN7rocprim17ROCPRIM_400000_NS6detail17trampoline_kernelINS0_14default_configENS1_27scan_by_key_config_selectorIj11FixedVectorIiLj1EEEEZZNS1_16scan_by_key_implILNS1_25lookback_scan_determinismE0ELb0ES3_N6thrust23THRUST_200600_302600_NS6detail15normal_iteratorINSB_10device_ptrIjEEEENSD_INSE_IS6_EEEESI_S6_NSB_4plusIvEENSB_8equal_toIvEES6_EE10hipError_tPvRmT2_T3_T4_T5_mT6_T7_P12ihipStream_tbENKUlT_T0_E_clISt17integral_constantIbLb0EES12_IbLb1EEEEDaSY_SZ_EUlSY_E_NS1_11comp_targetILNS1_3genE4ELNS1_11target_archE910ELNS1_3gpuE8ELNS1_3repE0EEENS1_30default_config_static_selectorELNS0_4arch9wavefront6targetE1EEEvT1_,@function
_ZN7rocprim17ROCPRIM_400000_NS6detail17trampoline_kernelINS0_14default_configENS1_27scan_by_key_config_selectorIj11FixedVectorIiLj1EEEEZZNS1_16scan_by_key_implILNS1_25lookback_scan_determinismE0ELb0ES3_N6thrust23THRUST_200600_302600_NS6detail15normal_iteratorINSB_10device_ptrIjEEEENSD_INSE_IS6_EEEESI_S6_NSB_4plusIvEENSB_8equal_toIvEES6_EE10hipError_tPvRmT2_T3_T4_T5_mT6_T7_P12ihipStream_tbENKUlT_T0_E_clISt17integral_constantIbLb0EES12_IbLb1EEEEDaSY_SZ_EUlSY_E_NS1_11comp_targetILNS1_3genE4ELNS1_11target_archE910ELNS1_3gpuE8ELNS1_3repE0EEENS1_30default_config_static_selectorELNS0_4arch9wavefront6targetE1EEEvT1_: ; @_ZN7rocprim17ROCPRIM_400000_NS6detail17trampoline_kernelINS0_14default_configENS1_27scan_by_key_config_selectorIj11FixedVectorIiLj1EEEEZZNS1_16scan_by_key_implILNS1_25lookback_scan_determinismE0ELb0ES3_N6thrust23THRUST_200600_302600_NS6detail15normal_iteratorINSB_10device_ptrIjEEEENSD_INSE_IS6_EEEESI_S6_NSB_4plusIvEENSB_8equal_toIvEES6_EE10hipError_tPvRmT2_T3_T4_T5_mT6_T7_P12ihipStream_tbENKUlT_T0_E_clISt17integral_constantIbLb0EES12_IbLb1EEEEDaSY_SZ_EUlSY_E_NS1_11comp_targetILNS1_3genE4ELNS1_11target_archE910ELNS1_3gpuE8ELNS1_3repE0EEENS1_30default_config_static_selectorELNS0_4arch9wavefront6targetE1EEEvT1_
; %bb.0:
	s_load_dwordx4 s[56:59], s[4:5], 0x28
	s_load_dwordx2 s[60:61], s[4:5], 0x38
	v_cmp_ne_u32_e64 s[36:37], 0, v0
	v_cmp_eq_u32_e64 s[0:1], 0, v0
	s_and_saveexec_b64 s[2:3], s[0:1]
	s_cbranch_execz .LBB1905_4
; %bb.1:
	s_mov_b64 s[8:9], exec
	v_mbcnt_lo_u32_b32 v1, s8, 0
	v_mbcnt_hi_u32_b32 v1, s9, v1
	v_cmp_eq_u32_e32 vcc, 0, v1
                                        ; implicit-def: $vgpr2
	s_and_saveexec_b64 s[6:7], vcc
	s_cbranch_execz .LBB1905_3
; %bb.2:
	s_load_dwordx2 s[10:11], s[4:5], 0x68
	s_bcnt1_i32_b64 s8, s[8:9]
	v_mov_b32_e32 v2, 0
	v_mov_b32_e32 v3, s8
	s_waitcnt lgkmcnt(0)
	global_atomic_add v2, v2, v3, s[10:11] glc
.LBB1905_3:
	s_or_b64 exec, exec, s[6:7]
	s_waitcnt vmcnt(0)
	v_readfirstlane_b32 s6, v2
	v_add_u32_e32 v1, s6, v1
	v_mov_b32_e32 v2, 0
	ds_write_b32 v2, v1
.LBB1905_4:
	s_or_b64 exec, exec, s[2:3]
	s_load_dwordx8 s[40:47], s[4:5], 0x0
	s_load_dword s2, s[4:5], 0x40
	s_load_dwordx8 s[48:55], s[4:5], 0x48
	v_mov_b32_e32 v1, 0
	s_waitcnt lgkmcnt(0)
	s_barrier
	ds_read_b32 v1, v1
	s_lshl_b64 s[38:39], s[42:43], 2
	s_add_u32 s4, s40, s38
	s_addc_u32 s5, s41, s39
	s_add_u32 s6, s44, s38
	s_mul_i32 s3, s61, s2
	s_mul_hi_u32 s8, s60, s2
	s_addc_u32 s7, s45, s39
	s_add_i32 s8, s8, s3
	s_waitcnt lgkmcnt(0)
	v_readfirstlane_b32 s59, v1
	s_mul_i32 s9, s60, s2
	s_cmp_lg_u64 s[52:53], 0
	s_mov_b32 s3, 0
	s_mul_i32 s2, s59, 0xe00
	s_cselect_b64 s[44:45], -1, 0
	s_lshl_b64 s[40:41], s[2:3], 2
	s_add_u32 s42, s4, s40
	s_addc_u32 s43, s5, s41
	s_add_u32 s62, s6, s40
	s_addc_u32 s63, s7, s41
	;; [unrolled: 2-line block ×3, first 2 shown]
	s_add_u32 s4, s48, -1
	s_addc_u32 s5, s49, -1
	v_pk_mov_b32 v[2:3], s[4:5], s[4:5] op_sel:[0,1]
	v_cmp_ge_u64_e64 s[2:3], s[52:53], v[2:3]
	s_mov_b64 s[18:19], 0
	s_mov_b64 s[12:13], -1
	s_and_b64 vcc, exec, s[2:3]
	s_mul_i32 s33, s4, 0xfffff200
	s_barrier
	s_barrier
	s_cbranch_vccz .LBB1905_94
; %bb.5:
	v_pk_mov_b32 v[2:3], s[42:43], s[42:43] op_sel:[0,1]
	flat_load_dword v1, v[2:3]
	s_add_i32 s64, s33, s58
	v_cmp_gt_u32_e64 s[6:7], s64, v0
	s_waitcnt vmcnt(0) lgkmcnt(0)
	v_mov_b32_e32 v13, v1
	s_and_saveexec_b64 s[4:5], s[6:7]
	s_cbranch_execz .LBB1905_7
; %bb.6:
	v_lshlrev_b32_e32 v2, 2, v0
	v_mov_b32_e32 v3, s43
	v_add_co_u32_e32 v2, vcc, s42, v2
	v_addc_co_u32_e32 v3, vcc, 0, v3, vcc
	flat_load_dword v13, v[2:3]
.LBB1905_7:
	s_or_b64 exec, exec, s[4:5]
	v_or_b32_e32 v2, 0x100, v0
	v_cmp_gt_u32_e64 s[8:9], s64, v2
	v_mov_b32_e32 v14, v1
	s_and_saveexec_b64 s[4:5], s[8:9]
	s_cbranch_execz .LBB1905_9
; %bb.8:
	v_lshlrev_b32_e32 v2, 2, v0
	v_mov_b32_e32 v3, s43
	v_add_co_u32_e32 v2, vcc, s42, v2
	v_addc_co_u32_e32 v3, vcc, 0, v3, vcc
	flat_load_dword v14, v[2:3] offset:1024
.LBB1905_9:
	s_or_b64 exec, exec, s[4:5]
	v_or_b32_e32 v2, 0x200, v0
	v_cmp_gt_u32_e64 s[10:11], s64, v2
	v_mov_b32_e32 v15, v1
	s_and_saveexec_b64 s[4:5], s[10:11]
	s_cbranch_execz .LBB1905_11
; %bb.10:
	v_lshlrev_b32_e32 v2, 2, v0
	v_mov_b32_e32 v3, s43
	v_add_co_u32_e32 v2, vcc, s42, v2
	v_addc_co_u32_e32 v3, vcc, 0, v3, vcc
	flat_load_dword v15, v[2:3] offset:2048
.LBB1905_11:
	;; [unrolled: 13-line block ×3, first 2 shown]
	s_or_b64 exec, exec, s[4:5]
	v_or_b32_e32 v2, 0x400, v0
	v_cmp_gt_u32_e64 s[14:15], s64, v2
	v_lshlrev_b32_e32 v2, 2, v2
	v_mov_b32_e32 v17, v1
	s_and_saveexec_b64 s[4:5], s[14:15]
	s_cbranch_execz .LBB1905_15
; %bb.14:
	v_mov_b32_e32 v3, s43
	v_add_co_u32_e32 v4, vcc, s42, v2
	v_addc_co_u32_e32 v5, vcc, 0, v3, vcc
	flat_load_dword v17, v[4:5]
.LBB1905_15:
	s_or_b64 exec, exec, s[4:5]
	v_or_b32_e32 v3, 0x500, v0
	v_cmp_gt_u32_e64 s[16:17], s64, v3
	v_lshlrev_b32_e32 v3, 2, v3
	v_mov_b32_e32 v18, v1
	s_and_saveexec_b64 s[4:5], s[16:17]
	s_cbranch_execz .LBB1905_17
; %bb.16:
	v_mov_b32_e32 v5, s43
	v_add_co_u32_e32 v4, vcc, s42, v3
	v_addc_co_u32_e32 v5, vcc, 0, v5, vcc
	flat_load_dword v18, v[4:5]
.LBB1905_17:
	s_or_b64 exec, exec, s[4:5]
	v_or_b32_e32 v4, 0x600, v0
	v_cmp_gt_u32_e64 s[18:19], s64, v4
	v_lshlrev_b32_e32 v4, 2, v4
	v_mov_b32_e32 v19, v1
	s_and_saveexec_b64 s[4:5], s[18:19]
	s_cbranch_execz .LBB1905_19
; %bb.18:
	v_mov_b32_e32 v5, s43
	v_add_co_u32_e32 v6, vcc, s42, v4
	v_addc_co_u32_e32 v7, vcc, 0, v5, vcc
	flat_load_dword v19, v[6:7]
.LBB1905_19:
	s_or_b64 exec, exec, s[4:5]
	v_or_b32_e32 v5, 0x700, v0
	v_cmp_gt_u32_e64 s[20:21], s64, v5
	v_lshlrev_b32_e32 v5, 2, v5
	v_mov_b32_e32 v20, v1
	s_and_saveexec_b64 s[4:5], s[20:21]
	s_cbranch_execz .LBB1905_21
; %bb.20:
	v_mov_b32_e32 v7, s43
	v_add_co_u32_e32 v6, vcc, s42, v5
	v_addc_co_u32_e32 v7, vcc, 0, v7, vcc
	flat_load_dword v20, v[6:7]
.LBB1905_21:
	s_or_b64 exec, exec, s[4:5]
	v_or_b32_e32 v6, 0x800, v0
	v_cmp_gt_u32_e64 s[22:23], s64, v6
	v_lshlrev_b32_e32 v6, 2, v6
	v_mov_b32_e32 v21, v1
	s_and_saveexec_b64 s[4:5], s[22:23]
	s_cbranch_execz .LBB1905_23
; %bb.22:
	v_mov_b32_e32 v7, s43
	v_add_co_u32_e32 v8, vcc, s42, v6
	v_addc_co_u32_e32 v9, vcc, 0, v7, vcc
	flat_load_dword v21, v[8:9]
.LBB1905_23:
	s_or_b64 exec, exec, s[4:5]
	v_or_b32_e32 v7, 0x900, v0
	v_cmp_gt_u32_e64 s[24:25], s64, v7
	v_lshlrev_b32_e32 v7, 2, v7
	v_mov_b32_e32 v22, v1
	s_and_saveexec_b64 s[4:5], s[24:25]
	s_cbranch_execz .LBB1905_25
; %bb.24:
	v_mov_b32_e32 v9, s43
	v_add_co_u32_e32 v8, vcc, s42, v7
	v_addc_co_u32_e32 v9, vcc, 0, v9, vcc
	flat_load_dword v22, v[8:9]
.LBB1905_25:
	s_or_b64 exec, exec, s[4:5]
	v_or_b32_e32 v8, 0xa00, v0
	v_cmp_gt_u32_e64 s[26:27], s64, v8
	v_lshlrev_b32_e32 v8, 2, v8
	v_mov_b32_e32 v23, v1
	s_and_saveexec_b64 s[4:5], s[26:27]
	s_cbranch_execz .LBB1905_27
; %bb.26:
	v_mov_b32_e32 v9, s43
	v_add_co_u32_e32 v10, vcc, s42, v8
	v_addc_co_u32_e32 v11, vcc, 0, v9, vcc
	flat_load_dword v23, v[10:11]
.LBB1905_27:
	s_or_b64 exec, exec, s[4:5]
	v_or_b32_e32 v9, 0xb00, v0
	v_cmp_gt_u32_e64 s[28:29], s64, v9
	v_lshlrev_b32_e32 v9, 2, v9
	v_mov_b32_e32 v24, v1
	s_and_saveexec_b64 s[4:5], s[28:29]
	s_cbranch_execz .LBB1905_29
; %bb.28:
	v_mov_b32_e32 v11, s43
	v_add_co_u32_e32 v10, vcc, s42, v9
	v_addc_co_u32_e32 v11, vcc, 0, v11, vcc
	flat_load_dword v24, v[10:11]
.LBB1905_29:
	s_or_b64 exec, exec, s[4:5]
	v_or_b32_e32 v10, 0xc00, v0
	v_cmp_gt_u32_e64 s[30:31], s64, v10
	v_lshlrev_b32_e32 v10, 2, v10
	v_mov_b32_e32 v25, v1
	s_and_saveexec_b64 s[4:5], s[30:31]
	s_cbranch_execz .LBB1905_31
; %bb.30:
	v_mov_b32_e32 v11, s43
	v_add_co_u32_e32 v26, vcc, s42, v10
	v_addc_co_u32_e32 v27, vcc, 0, v11, vcc
	flat_load_dword v25, v[26:27]
.LBB1905_31:
	s_or_b64 exec, exec, s[4:5]
	v_or_b32_e32 v11, 0xd00, v0
	v_cmp_gt_u32_e64 s[34:35], s64, v11
	v_lshlrev_b32_e32 v11, 2, v11
	s_and_saveexec_b64 s[4:5], s[34:35]
	s_cbranch_execz .LBB1905_33
; %bb.32:
	v_mov_b32_e32 v1, s43
	v_add_co_u32_e32 v26, vcc, s42, v11
	v_addc_co_u32_e32 v27, vcc, 0, v1, vcc
	flat_load_dword v1, v[26:27]
.LBB1905_33:
	s_or_b64 exec, exec, s[4:5]
	v_lshlrev_b32_e32 v12, 2, v0
	s_waitcnt vmcnt(0) lgkmcnt(0)
	ds_write2st64_b32 v12, v13, v14 offset1:4
	ds_write2st64_b32 v12, v15, v16 offset0:8 offset1:12
	ds_write2st64_b32 v12, v17, v18 offset0:16 offset1:20
	;; [unrolled: 1-line block ×6, first 2 shown]
	v_mad_u32_u24 v1, v0, 52, v12
	s_waitcnt lgkmcnt(0)
	s_barrier
	ds_read2_b64 v[34:37], v1 offset1:1
	ds_read2_b64 v[30:33], v1 offset0:2 offset1:3
	ds_read2_b64 v[26:29], v1 offset0:4 offset1:5
	ds_read_b64 v[40:41], v1 offset:48
	s_cmp_eq_u64 s[52:53], 0
	s_mov_b64 s[4:5], s[42:43]
	s_cbranch_scc1 .LBB1905_37
; %bb.34:
	s_andn2_b64 vcc, exec, s[44:45]
	s_cbranch_vccnz .LBB1905_207
; %bb.35:
	s_lshl_b64 s[4:5], s[52:53], 2
	s_add_u32 s4, s54, s4
	s_addc_u32 s5, s55, s5
	s_add_u32 s4, s4, -4
	s_addc_u32 s5, s5, -1
	s_cbranch_execnz .LBB1905_37
.LBB1905_36:
	s_add_u32 s4, s42, -4
	s_addc_u32 s5, s43, -1
.LBB1905_37:
	v_pk_mov_b32 v[14:15], s[4:5], s[4:5] op_sel:[0,1]
	flat_load_dword v44, v[14:15]
	s_movk_i32 s4, 0xffcc
	v_mad_i32_i24 v13, v0, s4, v1
	s_waitcnt lgkmcnt(0)
	ds_write_b32 v13, v41 offset:14336
	s_waitcnt lgkmcnt(0)
	s_barrier
	s_and_saveexec_b64 s[4:5], s[36:37]
	s_cbranch_execz .LBB1905_39
; %bb.38:
	v_mul_i32_i24_e32 v13, 0xffffffcc, v0
	v_add_u32_e32 v13, v1, v13
	s_waitcnt vmcnt(0)
	ds_read_b32 v44, v13 offset:14332
.LBB1905_39:
	s_or_b64 exec, exec, s[4:5]
	v_mov_b32_e32 v13, 0
	v_mov_b32_e32 v14, 0
	s_waitcnt lgkmcnt(0)
	s_barrier
	s_and_saveexec_b64 s[4:5], s[6:7]
	s_cbranch_execz .LBB1905_41
; %bb.40:
	v_mov_b32_e32 v15, s63
	v_add_co_u32_e32 v14, vcc, s62, v12
	v_addc_co_u32_e32 v15, vcc, 0, v15, vcc
	flat_load_dword v14, v[14:15]
.LBB1905_41:
	s_or_b64 exec, exec, s[4:5]
	s_and_saveexec_b64 s[4:5], s[8:9]
	s_cbranch_execz .LBB1905_43
; %bb.42:
	v_mov_b32_e32 v13, s63
	v_add_co_u32_e32 v16, vcc, s62, v12
	v_addc_co_u32_e32 v17, vcc, 0, v13, vcc
	flat_load_dword v13, v[16:17] offset:1024
.LBB1905_43:
	s_or_b64 exec, exec, s[4:5]
	v_mov_b32_e32 v15, 0
	v_mov_b32_e32 v16, 0
	s_and_saveexec_b64 s[4:5], s[10:11]
	s_cbranch_execz .LBB1905_45
; %bb.44:
	v_mov_b32_e32 v17, s63
	v_add_co_u32_e32 v16, vcc, s62, v12
	v_addc_co_u32_e32 v17, vcc, 0, v17, vcc
	flat_load_dword v16, v[16:17] offset:2048
.LBB1905_45:
	s_or_b64 exec, exec, s[4:5]
	s_and_saveexec_b64 s[4:5], s[12:13]
	s_cbranch_execz .LBB1905_47
; %bb.46:
	v_mov_b32_e32 v15, s63
	v_add_co_u32_e32 v18, vcc, s62, v12
	v_addc_co_u32_e32 v19, vcc, 0, v15, vcc
	flat_load_dword v15, v[18:19] offset:3072
.LBB1905_47:
	s_or_b64 exec, exec, s[4:5]
	v_mov_b32_e32 v17, 0
	v_mov_b32_e32 v18, 0
	s_and_saveexec_b64 s[4:5], s[14:15]
	s_cbranch_execz .LBB1905_49
; %bb.48:
	v_mov_b32_e32 v19, s63
	v_add_co_u32_e32 v18, vcc, s62, v2
	v_addc_co_u32_e32 v19, vcc, 0, v19, vcc
	flat_load_dword v18, v[18:19]
.LBB1905_49:
	s_or_b64 exec, exec, s[4:5]
	s_and_saveexec_b64 s[4:5], s[16:17]
	s_cbranch_execz .LBB1905_51
; %bb.50:
	v_mov_b32_e32 v17, s63
	v_add_co_u32_e32 v2, vcc, s62, v3
	v_addc_co_u32_e32 v3, vcc, 0, v17, vcc
	flat_load_dword v17, v[2:3]
.LBB1905_51:
	s_or_b64 exec, exec, s[4:5]
	v_mov_b32_e32 v2, 0
	v_mov_b32_e32 v3, 0
	s_and_saveexec_b64 s[4:5], s[18:19]
	s_cbranch_execz .LBB1905_53
; %bb.52:
	v_mov_b32_e32 v3, s63
	v_add_co_u32_e32 v20, vcc, s62, v4
	v_addc_co_u32_e32 v21, vcc, 0, v3, vcc
	flat_load_dword v3, v[20:21]
.LBB1905_53:
	s_or_b64 exec, exec, s[4:5]
	s_and_saveexec_b64 s[4:5], s[20:21]
	s_cbranch_execz .LBB1905_55
; %bb.54:
	v_mov_b32_e32 v2, s63
	v_add_co_u32_e32 v4, vcc, s62, v5
	v_addc_co_u32_e32 v5, vcc, 0, v2, vcc
	flat_load_dword v2, v[4:5]
.LBB1905_55:
	;; [unrolled: 20-line block ×5, first 2 shown]
	s_or_b64 exec, exec, s[4:5]
	s_mov_b32 s4, 0
	s_mov_b32 s5, s4
	s_waitcnt vmcnt(0) lgkmcnt(0)
	ds_write2st64_b32 v12, v14, v13 offset1:4
	ds_write2st64_b32 v12, v16, v15 offset0:8 offset1:12
	ds_write2st64_b32 v12, v18, v17 offset0:16 offset1:20
	;; [unrolled: 1-line block ×6, first 2 shown]
	s_mov_b32 s6, s4
	s_mov_b32 s7, s4
	;; [unrolled: 1-line block ×6, first 2 shown]
	v_pk_mov_b32 v[2:3], s[4:5], s[4:5] op_sel:[0,1]
	v_pk_mov_b32 v[8:9], s[10:11], s[10:11] op_sel:[0,1]
	v_mul_u32_u24_e32 v42, 14, v0
	v_pk_mov_b32 v[4:5], s[6:7], s[6:7] op_sel:[0,1]
	v_pk_mov_b32 v[6:7], s[8:9], s[8:9] op_sel:[0,1]
	;; [unrolled: 1-line block ×4, first 2 shown]
	v_cmp_gt_u32_e32 vcc, s64, v42
	s_mov_b64 s[12:13], 0
	v_pk_mov_b32 v[38:39], 0, 0
	s_mov_b64 s[18:19], 0
	v_pk_mov_b32 v[14:15], v[6:7], v[6:7] op_sel:[0,1]
	v_pk_mov_b32 v[12:13], v[4:5], v[4:5] op_sel:[0,1]
	;; [unrolled: 1-line block ×6, first 2 shown]
	s_waitcnt lgkmcnt(0)
	s_barrier
	s_waitcnt lgkmcnt(0)
                                        ; implicit-def: $sgpr16_sgpr17
                                        ; implicit-def: $vgpr43
	s_and_saveexec_b64 s[14:15], vcc
	s_cbranch_execz .LBB1905_93
; %bb.68:
	v_or_b32_e32 v2, 1, v42
	ds_read_b32 v38, v1
	v_cmp_ne_u32_e32 vcc, v44, v34
	v_cndmask_b32_e64 v39, 0, 1, vcc
	v_cmp_gt_u32_e32 vcc, s64, v2
	v_pk_mov_b32 v[2:3], s[4:5], s[4:5] op_sel:[0,1]
	v_pk_mov_b32 v[8:9], s[10:11], s[10:11] op_sel:[0,1]
	;; [unrolled: 1-line block ×12, first 2 shown]
                                        ; implicit-def: $sgpr4_sgpr5
                                        ; implicit-def: $vgpr43
	s_and_saveexec_b64 s[16:17], vcc
	s_cbranch_execz .LBB1905_92
; %bb.69:
	ds_read2_b32 v[44:45], v1 offset0:1 offset1:2
	s_mov_b32 s4, 0
	s_mov_b32 s10, s4
	;; [unrolled: 1-line block ×8, first 2 shown]
	v_pk_mov_b32 v[16:17], s[10:11], s[10:11] op_sel:[0,1]
	v_add_u32_e32 v2, 2, v42
	v_cmp_ne_u32_e32 vcc, v34, v35
	v_mov_b32_e32 v6, 0
	v_pk_mov_b32 v[14:15], s[8:9], s[8:9] op_sel:[0,1]
	v_pk_mov_b32 v[12:13], s[6:7], s[6:7] op_sel:[0,1]
	;; [unrolled: 1-line block ×4, first 2 shown]
	v_cndmask_b32_e64 v3, 0, 1, vcc
	v_cmp_gt_u32_e32 vcc, s64, v2
	s_waitcnt lgkmcnt(0)
	v_mov_b32_e32 v2, v44
	v_mov_b32_e32 v4, v6
	;; [unrolled: 1-line block ×6, first 2 shown]
	s_mov_b64 s[20:21], 0
	v_pk_mov_b32 v[22:23], v[14:15], v[14:15] op_sel:[0,1]
	v_pk_mov_b32 v[20:21], v[12:13], v[12:13] op_sel:[0,1]
	;; [unrolled: 1-line block ×3, first 2 shown]
                                        ; implicit-def: $sgpr24_sgpr25
                                        ; implicit-def: $vgpr43
	s_and_saveexec_b64 s[18:19], vcc
	s_cbranch_execz .LBB1905_91
; %bb.70:
	v_pk_mov_b32 v[16:17], s[10:11], s[10:11] op_sel:[0,1]
	v_add_u32_e32 v2, 3, v42
	v_cmp_ne_u32_e32 vcc, v35, v36
	v_pk_mov_b32 v[14:15], s[8:9], s[8:9] op_sel:[0,1]
	v_pk_mov_b32 v[12:13], s[6:7], s[6:7] op_sel:[0,1]
	;; [unrolled: 1-line block ×4, first 2 shown]
	v_cndmask_b32_e64 v5, 0, 1, vcc
	v_cmp_gt_u32_e32 vcc, s64, v2
	v_mov_b32_e32 v2, v44
	v_mov_b32_e32 v4, v45
	;; [unrolled: 1-line block ×5, first 2 shown]
	s_mov_b64 s[22:23], 0
	v_pk_mov_b32 v[22:23], v[14:15], v[14:15] op_sel:[0,1]
	v_pk_mov_b32 v[20:21], v[12:13], v[12:13] op_sel:[0,1]
	;; [unrolled: 1-line block ×3, first 2 shown]
                                        ; implicit-def: $sgpr4_sgpr5
                                        ; implicit-def: $vgpr43
	s_and_saveexec_b64 s[20:21], vcc
	s_cbranch_execz .LBB1905_90
; %bb.71:
	ds_read2_b32 v[34:35], v1 offset0:3 offset1:4
	s_mov_b32 s4, 0
	s_mov_b32 s10, s4
	;; [unrolled: 1-line block ×8, first 2 shown]
	v_pk_mov_b32 v[16:17], s[10:11], s[10:11] op_sel:[0,1]
	v_add_u32_e32 v6, 4, v42
	v_cmp_ne_u32_e32 vcc, v36, v37
	v_pk_mov_b32 v[14:15], s[8:9], s[8:9] op_sel:[0,1]
	v_pk_mov_b32 v[12:13], s[6:7], s[6:7] op_sel:[0,1]
	;; [unrolled: 1-line block ×4, first 2 shown]
	v_cndmask_b32_e64 v7, 0, 1, vcc
	v_cmp_gt_u32_e32 vcc, s64, v6
	s_waitcnt lgkmcnt(0)
	v_mov_b32_e32 v6, v34
	v_mov_b32_e32 v8, s4
	;; [unrolled: 1-line block ×3, first 2 shown]
	s_mov_b64 s[24:25], 0
	v_pk_mov_b32 v[22:23], v[14:15], v[14:15] op_sel:[0,1]
	v_pk_mov_b32 v[20:21], v[12:13], v[12:13] op_sel:[0,1]
	;; [unrolled: 1-line block ×3, first 2 shown]
                                        ; implicit-def: $sgpr26_sgpr27
                                        ; implicit-def: $vgpr43
	s_and_saveexec_b64 s[22:23], vcc
	s_cbranch_execz .LBB1905_89
; %bb.72:
	v_pk_mov_b32 v[16:17], s[10:11], s[10:11] op_sel:[0,1]
	v_add_u32_e32 v8, 5, v42
	v_cmp_ne_u32_e32 vcc, v37, v30
	v_pk_mov_b32 v[14:15], s[8:9], s[8:9] op_sel:[0,1]
	v_pk_mov_b32 v[12:13], s[6:7], s[6:7] op_sel:[0,1]
	;; [unrolled: 1-line block ×4, first 2 shown]
	v_cndmask_b32_e64 v9, 0, 1, vcc
	v_cmp_gt_u32_e32 vcc, s64, v8
	v_mov_b32_e32 v8, v35
	s_mov_b64 s[28:29], 0
	v_pk_mov_b32 v[22:23], v[14:15], v[14:15] op_sel:[0,1]
	v_pk_mov_b32 v[20:21], v[12:13], v[12:13] op_sel:[0,1]
	;; [unrolled: 1-line block ×3, first 2 shown]
                                        ; implicit-def: $sgpr4_sgpr5
                                        ; implicit-def: $vgpr43
	s_and_saveexec_b64 s[24:25], vcc
	s_cbranch_execz .LBB1905_88
; %bb.73:
	ds_read2_b32 v[34:35], v1 offset0:5 offset1:6
	s_mov_b32 s4, 0
	s_mov_b32 s10, s4
	;; [unrolled: 1-line block ×3, first 2 shown]
	v_add_u32_e32 v10, 6, v42
	v_cmp_ne_u32_e32 vcc, v30, v31
	v_mov_b32_e32 v14, 0
	s_mov_b32 s5, s4
	s_mov_b32 s6, s4
	;; [unrolled: 1-line block ×5, first 2 shown]
	v_pk_mov_b32 v[24:25], s[10:11], s[10:11] op_sel:[0,1]
	v_cndmask_b32_e64 v11, 0, 1, vcc
	v_cmp_gt_u32_e32 vcc, s64, v10
	s_waitcnt lgkmcnt(0)
	v_mov_b32_e32 v10, v34
	v_mov_b32_e32 v12, v14
	;; [unrolled: 1-line block ×6, first 2 shown]
	v_pk_mov_b32 v[22:23], s[8:9], s[8:9] op_sel:[0,1]
	v_pk_mov_b32 v[20:21], s[6:7], s[6:7] op_sel:[0,1]
	;; [unrolled: 1-line block ×3, first 2 shown]
                                        ; implicit-def: $sgpr34_sgpr35
                                        ; implicit-def: $vgpr43
	s_and_saveexec_b64 s[26:27], vcc
	s_cbranch_execz .LBB1905_87
; %bb.74:
	v_add_u32_e32 v10, 7, v42
	v_cmp_ne_u32_e32 vcc, v31, v32
	v_pk_mov_b32 v[24:25], s[10:11], s[10:11] op_sel:[0,1]
	v_cndmask_b32_e64 v13, 0, 1, vcc
	v_cmp_gt_u32_e32 vcc, s64, v10
	v_mov_b32_e32 v10, v34
	v_mov_b32_e32 v12, v35
	;; [unrolled: 1-line block ×5, first 2 shown]
	s_mov_b64 s[30:31], 0
	v_pk_mov_b32 v[22:23], s[8:9], s[8:9] op_sel:[0,1]
	v_pk_mov_b32 v[20:21], s[6:7], s[6:7] op_sel:[0,1]
	;; [unrolled: 1-line block ×3, first 2 shown]
                                        ; implicit-def: $sgpr4_sgpr5
                                        ; implicit-def: $vgpr43
	s_and_saveexec_b64 s[28:29], vcc
	s_cbranch_execz .LBB1905_86
; %bb.75:
	ds_read2_b32 v[30:31], v1 offset0:7 offset1:8
	s_mov_b32 s4, 0
	s_mov_b32 s10, s4
	;; [unrolled: 1-line block ×3, first 2 shown]
	v_add_u32_e32 v14, 8, v42
	v_cmp_ne_u32_e32 vcc, v32, v33
	s_mov_b32 s5, s4
	s_mov_b32 s6, s4
	;; [unrolled: 1-line block ×5, first 2 shown]
	v_pk_mov_b32 v[24:25], s[10:11], s[10:11] op_sel:[0,1]
	v_cndmask_b32_e64 v15, 0, 1, vcc
	v_cmp_gt_u32_e32 vcc, s64, v14
	s_waitcnt lgkmcnt(0)
	v_mov_b32_e32 v14, v30
	v_mov_b32_e32 v16, s4
	;; [unrolled: 1-line block ×3, first 2 shown]
	s_mov_b64 s[34:35], 0
	v_pk_mov_b32 v[22:23], s[8:9], s[8:9] op_sel:[0,1]
	v_pk_mov_b32 v[20:21], s[6:7], s[6:7] op_sel:[0,1]
	;; [unrolled: 1-line block ×3, first 2 shown]
                                        ; implicit-def: $sgpr48_sgpr49
                                        ; implicit-def: $vgpr43
	s_and_saveexec_b64 s[30:31], vcc
	s_cbranch_execz .LBB1905_85
; %bb.76:
	v_add_u32_e32 v16, 9, v42
	v_cmp_ne_u32_e32 vcc, v33, v26
	v_pk_mov_b32 v[24:25], s[10:11], s[10:11] op_sel:[0,1]
	v_cndmask_b32_e64 v17, 0, 1, vcc
	v_cmp_gt_u32_e32 vcc, s64, v16
	v_mov_b32_e32 v16, v31
	v_pk_mov_b32 v[22:23], s[8:9], s[8:9] op_sel:[0,1]
	v_pk_mov_b32 v[20:21], s[6:7], s[6:7] op_sel:[0,1]
	;; [unrolled: 1-line block ×3, first 2 shown]
                                        ; implicit-def: $sgpr8_sgpr9
                                        ; implicit-def: $vgpr43
	s_and_saveexec_b64 s[6:7], vcc
	s_cbranch_execz .LBB1905_84
; %bb.77:
	ds_read2_b32 v[30:31], v1 offset0:9 offset1:10
	v_add_u32_e32 v18, 10, v42
	v_cmp_ne_u32_e32 vcc, v26, v27
	v_mov_b32_e32 v22, 0
	v_cndmask_b32_e64 v19, 0, 1, vcc
	v_cmp_gt_u32_e32 vcc, s64, v18
	s_waitcnt lgkmcnt(0)
	v_mov_b32_e32 v18, v30
	v_mov_b32_e32 v20, v22
	;; [unrolled: 1-line block ×6, first 2 shown]
	s_mov_b64 s[4:5], 0
                                        ; implicit-def: $sgpr10_sgpr11
                                        ; implicit-def: $vgpr43
	s_and_saveexec_b64 s[8:9], vcc
	s_cbranch_execz .LBB1905_83
; %bb.78:
	v_add_u32_e32 v18, 11, v42
	v_cmp_ne_u32_e32 vcc, v27, v28
	v_cndmask_b32_e64 v21, 0, 1, vcc
	v_cmp_gt_u32_e32 vcc, s64, v18
	s_mov_b32 s48, 0
	v_mov_b32_e32 v18, v30
	v_mov_b32_e32 v20, v31
	;; [unrolled: 1-line block ×5, first 2 shown]
                                        ; implicit-def: $sgpr34_sgpr35
                                        ; implicit-def: $vgpr43
	s_and_saveexec_b64 s[10:11], vcc
	s_cbranch_execz .LBB1905_82
; %bb.79:
	ds_read2_b32 v[26:27], v1 offset0:11 offset1:12
	v_add_u32_e32 v22, 12, v42
	v_cmp_ne_u32_e32 vcc, v28, v29
	v_cndmask_b32_e64 v23, 0, 1, vcc
	v_cmp_gt_u32_e32 vcc, s64, v22
	s_waitcnt lgkmcnt(0)
	v_mov_b32_e32 v22, v26
	v_mov_b32_e32 v24, s48
	;; [unrolled: 1-line block ×3, first 2 shown]
                                        ; implicit-def: $sgpr34_sgpr35
                                        ; implicit-def: $vgpr43
	s_and_saveexec_b64 s[48:49], vcc
	s_xor_b64 s[48:49], exec, s[48:49]
	s_cbranch_execz .LBB1905_81
; %bb.80:
	ds_read_b32 v43, v1 offset:52
	v_add_u32_e32 v1, 13, v42
	v_cmp_ne_u32_e64 s[4:5], v29, v40
	v_cmp_ne_u32_e32 vcc, v40, v41
	v_cndmask_b32_e64 v25, 0, 1, s[4:5]
	v_cmp_gt_u32_e64 s[4:5], s64, v1
	v_mov_b32_e32 v24, v27
	s_and_b64 s[34:35], vcc, exec
	s_and_b64 s[4:5], s[4:5], exec
.LBB1905_81:
	s_or_b64 exec, exec, s[48:49]
	s_and_b64 s[34:35], s[34:35], exec
	s_and_b64 s[4:5], s[4:5], exec
.LBB1905_82:
	s_or_b64 exec, exec, s[10:11]
	s_and_b64 s[10:11], s[34:35], exec
	s_and_b64 s[4:5], s[4:5], exec
.LBB1905_83:
	s_or_b64 exec, exec, s[8:9]
	s_and_b64 s[8:9], s[10:11], exec
	s_and_b64 s[34:35], s[4:5], exec
.LBB1905_84:
	s_or_b64 exec, exec, s[6:7]
	s_and_b64 s[48:49], s[8:9], exec
	s_and_b64 s[34:35], s[34:35], exec
.LBB1905_85:
	s_or_b64 exec, exec, s[30:31]
	s_and_b64 s[4:5], s[48:49], exec
	s_and_b64 s[30:31], s[34:35], exec
.LBB1905_86:
	s_or_b64 exec, exec, s[28:29]
	s_and_b64 s[34:35], s[4:5], exec
	s_and_b64 s[28:29], s[30:31], exec
.LBB1905_87:
	s_or_b64 exec, exec, s[26:27]
	s_and_b64 s[4:5], s[34:35], exec
	s_and_b64 s[28:29], s[28:29], exec
.LBB1905_88:
	s_or_b64 exec, exec, s[24:25]
	s_and_b64 s[26:27], s[4:5], exec
	s_and_b64 s[24:25], s[28:29], exec
.LBB1905_89:
	s_or_b64 exec, exec, s[22:23]
	s_and_b64 s[4:5], s[26:27], exec
	s_and_b64 s[22:23], s[24:25], exec
.LBB1905_90:
	s_or_b64 exec, exec, s[20:21]
	s_and_b64 s[24:25], s[4:5], exec
	s_and_b64 s[20:21], s[22:23], exec
.LBB1905_91:
	s_or_b64 exec, exec, s[18:19]
	s_and_b64 s[4:5], s[24:25], exec
	s_and_b64 s[18:19], s[20:21], exec
.LBB1905_92:
	s_or_b64 exec, exec, s[16:17]
	s_and_b64 s[16:17], s[4:5], exec
	s_and_b64 s[18:19], s[18:19], exec
.LBB1905_93:
	s_or_b64 exec, exec, s[14:15]
	s_and_b64 vcc, exec, s[12:13]
	v_lshlrev_b32_e32 v50, 2, v0
	s_cbranch_vccnz .LBB1905_95
	s_branch .LBB1905_103
.LBB1905_94:
                                        ; implicit-def: $sgpr16_sgpr17
                                        ; implicit-def: $vgpr2_vgpr3_vgpr4_vgpr5_vgpr6_vgpr7_vgpr8_vgpr9
                                        ; implicit-def: $vgpr10_vgpr11_vgpr12_vgpr13_vgpr14_vgpr15_vgpr16_vgpr17
                                        ; implicit-def: $vgpr18_vgpr19_vgpr20_vgpr21_vgpr22_vgpr23_vgpr24_vgpr25
                                        ; implicit-def: $vgpr43
                                        ; implicit-def: $vgpr38_vgpr39
	s_and_b64 vcc, exec, s[12:13]
	v_lshlrev_b32_e32 v50, 2, v0
	s_cbranch_vccz .LBB1905_103
.LBB1905_95:
	v_mov_b32_e32 v1, s43
	v_add_co_u32_e32 v2, vcc, s42, v50
	v_addc_co_u32_e32 v3, vcc, 0, v1, vcc
	v_add_co_u32_e32 v4, vcc, 0x1000, v2
	v_addc_co_u32_e32 v5, vcc, 0, v3, vcc
	flat_load_dword v6, v[2:3]
	flat_load_dword v7, v[2:3] offset:1024
	flat_load_dword v8, v[2:3] offset:2048
	;; [unrolled: 1-line block ×3, first 2 shown]
	flat_load_dword v10, v[4:5]
	flat_load_dword v11, v[4:5] offset:1024
	flat_load_dword v12, v[4:5] offset:2048
	;; [unrolled: 1-line block ×3, first 2 shown]
	v_add_co_u32_e32 v4, vcc, 0x2000, v2
	v_addc_co_u32_e32 v5, vcc, 0, v3, vcc
	v_add_co_u32_e32 v2, vcc, 0x3000, v2
	v_addc_co_u32_e32 v3, vcc, 0, v3, vcc
	flat_load_dword v14, v[4:5]
	flat_load_dword v15, v[4:5] offset:1024
	flat_load_dword v16, v[4:5] offset:2048
	;; [unrolled: 1-line block ×3, first 2 shown]
	flat_load_dword v18, v[2:3]
	flat_load_dword v19, v[2:3] offset:1024
	v_mad_u32_u24 v1, v0, 52, v50
	s_cmp_eq_u64 s[52:53], 0
	s_waitcnt vmcnt(0) lgkmcnt(0)
	ds_write2st64_b32 v50, v6, v7 offset1:4
	ds_write2st64_b32 v50, v8, v9 offset0:8 offset1:12
	ds_write2st64_b32 v50, v10, v11 offset0:16 offset1:20
	;; [unrolled: 1-line block ×6, first 2 shown]
	s_waitcnt lgkmcnt(0)
	s_barrier
	ds_read2_b64 v[2:5], v1 offset1:1
	ds_read2_b64 v[10:13], v1 offset0:2 offset1:3
	ds_read2_b64 v[18:21], v1 offset0:4 offset1:5
	ds_read_b64 v[6:7], v1 offset:48
	s_cbranch_scc1 .LBB1905_100
; %bb.96:
	s_andn2_b64 vcc, exec, s[44:45]
	s_cbranch_vccnz .LBB1905_208
; %bb.97:
	s_lshl_b64 s[4:5], s[52:53], 2
	s_add_u32 s4, s54, s4
	s_addc_u32 s5, s55, s5
	s_add_u32 s4, s4, -4
	s_addc_u32 s5, s5, -1
	s_cbranch_execnz .LBB1905_99
.LBB1905_98:
	s_add_u32 s4, s42, -4
	s_addc_u32 s5, s43, -1
.LBB1905_99:
	s_mov_b64 s[42:43], s[4:5]
.LBB1905_100:
	v_pk_mov_b32 v[8:9], s[42:43], s[42:43] op_sel:[0,1]
	flat_load_dword v8, v[8:9]
	s_movk_i32 s4, 0xffcc
	v_mad_i32_i24 v9, v0, s4, v1
	s_waitcnt lgkmcnt(0)
	ds_write_b32 v9, v7 offset:14336
	s_waitcnt lgkmcnt(0)
	s_barrier
	s_and_saveexec_b64 s[4:5], s[36:37]
	s_cbranch_execz .LBB1905_102
; %bb.101:
	s_waitcnt vmcnt(0)
	v_mul_i32_i24_e32 v8, 0xffffffcc, v0
	v_add_u32_e32 v8, v1, v8
	ds_read_b32 v8, v8 offset:14332
.LBB1905_102:
	s_or_b64 exec, exec, s[4:5]
	v_mov_b32_e32 v9, s63
	v_add_co_u32_e32 v14, vcc, s62, v50
	v_addc_co_u32_e32 v15, vcc, 0, v9, vcc
	s_movk_i32 s4, 0x1000
	v_add_co_u32_e32 v16, vcc, s4, v14
	v_addc_co_u32_e32 v17, vcc, 0, v15, vcc
	s_movk_i32 s4, 0x2000
	s_waitcnt lgkmcnt(0)
	s_barrier
	flat_load_dword v22, v[14:15]
	flat_load_dword v24, v[14:15] offset:1024
	flat_load_dword v26, v[14:15] offset:2048
	;; [unrolled: 1-line block ×3, first 2 shown]
	flat_load_dword v28, v[16:17]
	flat_load_dword v29, v[16:17] offset:1024
	flat_load_dword v30, v[16:17] offset:2048
	;; [unrolled: 1-line block ×3, first 2 shown]
	v_add_co_u32_e32 v16, vcc, s4, v14
	v_addc_co_u32_e32 v17, vcc, 0, v15, vcc
	s_movk_i32 s4, 0x3000
	v_add_co_u32_e32 v14, vcc, s4, v14
	v_addc_co_u32_e32 v15, vcc, 0, v15, vcc
	flat_load_dword v32, v[16:17]
	flat_load_dword v33, v[16:17] offset:1024
	flat_load_dword v34, v[16:17] offset:2048
	;; [unrolled: 1-line block ×3, first 2 shown]
	flat_load_dword v36, v[14:15]
	flat_load_dword v37, v[14:15] offset:1024
	s_waitcnt vmcnt(0)
	v_cmp_ne_u32_e32 vcc, v8, v2
	v_cndmask_b32_e64 v39, 0, 1, vcc
	v_cmp_ne_u32_e32 vcc, v5, v10
	v_cndmask_b32_e64 v9, 0, 1, vcc
	v_cmp_ne_u32_e32 vcc, v4, v5
	v_cmp_ne_u32_e64 s[16:17], v6, v7
	v_cndmask_b32_e64 v7, 0, 1, vcc
	v_cmp_ne_u32_e32 vcc, v3, v4
	v_cndmask_b32_e64 v5, 0, 1, vcc
	v_cmp_ne_u32_e32 vcc, v2, v3
	;; [unrolled: 2-line block ×10, first 2 shown]
	v_cndmask_b32_e64 v19, 0, 1, vcc
	s_mov_b64 s[18:19], -1
                                        ; implicit-def: $sgpr12_sgpr13
	s_waitcnt lgkmcnt(0)
	ds_write2st64_b32 v50, v22, v24 offset1:4
	ds_write2st64_b32 v50, v26, v27 offset0:8 offset1:12
	ds_write2st64_b32 v50, v28, v29 offset0:16 offset1:20
	ds_write2st64_b32 v50, v30, v31 offset0:24 offset1:28
	ds_write2st64_b32 v50, v32, v33 offset0:32 offset1:36
	ds_write2st64_b32 v50, v34, v35 offset0:40 offset1:44
	ds_write2st64_b32 v50, v36, v37 offset0:48 offset1:52
	s_waitcnt lgkmcnt(0)
	s_barrier
	ds_read2_b32 v[42:43], v1 offset1:13
	ds_read2_b32 v[26:27], v1 offset0:7 offset1:8
	ds_read2_b32 v[28:29], v1 offset0:5 offset1:6
	;; [unrolled: 1-line block ×6, first 2 shown]
	s_waitcnt lgkmcnt(6)
	v_mov_b32_e32 v38, v42
	s_waitcnt lgkmcnt(4)
	v_mov_b32_e32 v10, v28
	;; [unrolled: 2-line block ×4, first 2 shown]
	v_mov_b32_e32 v4, v33
	v_mov_b32_e32 v8, v31
	;; [unrolled: 1-line block ×5, first 2 shown]
	s_waitcnt lgkmcnt(0)
	v_mov_b32_e32 v18, v36
	v_mov_b32_e32 v20, v37
	v_mov_b32_e32 v22, v34
	v_mov_b32_e32 v24, v35
.LBB1905_103:
	v_pk_mov_b32 v[40:41], s[12:13], s[12:13] op_sel:[0,1]
	s_and_saveexec_b64 s[4:5], s[18:19]
	s_cbranch_execz .LBB1905_105
; %bb.104:
	v_cndmask_b32_e64 v41, 0, 1, s[16:17]
	s_waitcnt lgkmcnt(0)
	v_mov_b32_e32 v40, v43
.LBB1905_105:
	s_or_b64 exec, exec, s[4:5]
	s_mov_b32 s4, 0
	s_cmp_lg_u32 s59, 0
	v_mbcnt_lo_u32_b32 v52, -1, 0
	v_lshrrev_b32_e32 v1, 6, v0
	v_or_b32_e32 v51, 63, v0
	s_waitcnt lgkmcnt(0)
	s_barrier
	s_cbranch_scc0 .LBB1905_134
; %bb.106:
	s_mov_b32 s5, 1
	v_cmp_gt_u64_e64 s[6:7], s[4:5], v[2:3]
	v_cndmask_b32_e64 v27, 0, v38, s[6:7]
	v_add_u32_e32 v27, v27, v2
	v_cmp_gt_u64_e64 s[8:9], s[4:5], v[4:5]
	v_cndmask_b32_e64 v27, 0, v27, s[8:9]
	v_add_u32_e32 v27, v27, v4
	;; [unrolled: 3-line block ×13, first 2 shown]
	v_or3_b32 v27, v41, v25, v23
	v_or3_b32 v27, v27, v21, v19
	;; [unrolled: 1-line block ×6, first 2 shown]
	v_mov_b32_e32 v26, 0
	v_and_b32_e32 v27, 1, v27
	v_cmp_eq_u64_e32 vcc, 0, v[26:27]
	v_cndmask_b32_e32 v26, 1, v39, vcc
	v_mbcnt_hi_u32_b32 v46, -1, v52
	v_mov_b32_dpp v29, v28 row_shr:1 row_mask:0xf bank_mask:0xf
	v_mov_b32_dpp v30, v26 row_shr:1 row_mask:0xf bank_mask:0xf
	v_cmp_eq_u32_e32 vcc, 0, v26
	v_and_b32_e32 v31, 1, v26
	v_and_b32_e32 v27, 15, v46
	v_cndmask_b32_e32 v29, 0, v29, vcc
	v_and_b32_e32 v30, 1, v30
	v_cmp_eq_u32_e32 vcc, 1, v31
	v_cndmask_b32_e64 v30, v30, 1, vcc
	v_cmp_eq_u32_e32 vcc, 0, v27
	v_cndmask_b32_e32 v26, v30, v26, vcc
	v_and_b32_e32 v31, 1, v26
	v_cmp_eq_u32_e64 s[4:5], 1, v31
	v_mov_b32_dpp v30, v26 row_shr:2 row_mask:0xf bank_mask:0xf
	v_and_b32_e32 v30, 1, v30
	v_cndmask_b32_e64 v30, v30, 1, s[4:5]
	v_cmp_lt_u32_e64 s[4:5], 1, v27
	v_cndmask_b32_e64 v29, v29, 0, vcc
	v_cmp_eq_u32_e32 vcc, 0, v26
	v_cndmask_b32_e64 v26, v26, v30, s[4:5]
	v_add_u32_e32 v28, v29, v28
	v_and_b32_e32 v31, 1, v26
	v_mov_b32_dpp v30, v26 row_shr:4 row_mask:0xf bank_mask:0xf
	v_mov_b32_dpp v29, v28 row_shr:2 row_mask:0xf bank_mask:0xf
	s_and_b64 vcc, s[4:5], vcc
	v_and_b32_e32 v30, 1, v30
	v_cmp_eq_u32_e64 s[4:5], 1, v31
	v_cndmask_b32_e32 v29, 0, v29, vcc
	v_cndmask_b32_e64 v30, v30, 1, s[4:5]
	v_cmp_lt_u32_e64 s[4:5], 3, v27
	v_add_u32_e32 v28, v29, v28
	v_cmp_eq_u32_e32 vcc, 0, v26
	v_cndmask_b32_e64 v26, v26, v30, s[4:5]
	v_mov_b32_dpp v29, v28 row_shr:4 row_mask:0xf bank_mask:0xf
	s_and_b64 vcc, s[4:5], vcc
	v_mov_b32_dpp v30, v26 row_shr:8 row_mask:0xf bank_mask:0xf
	v_and_b32_e32 v31, 1, v26
	v_cndmask_b32_e32 v29, 0, v29, vcc
	v_and_b32_e32 v30, 1, v30
	v_cmp_eq_u32_e64 s[4:5], 1, v31
	v_add_u32_e32 v28, v29, v28
	v_cmp_eq_u32_e32 vcc, 0, v26
	v_cndmask_b32_e64 v30, v30, 1, s[4:5]
	v_cmp_lt_u32_e64 s[4:5], 7, v27
	v_mov_b32_dpp v29, v28 row_shr:8 row_mask:0xf bank_mask:0xf
	s_and_b64 vcc, s[4:5], vcc
	v_cndmask_b32_e32 v27, 0, v29, vcc
	v_cndmask_b32_e64 v26, v26, v30, s[4:5]
	v_add_u32_e32 v27, v27, v28
	v_cmp_eq_u32_e32 vcc, 0, v26
	v_mov_b32_dpp v29, v26 row_bcast:15 row_mask:0xf bank_mask:0xf
	v_mov_b32_dpp v28, v27 row_bcast:15 row_mask:0xf bank_mask:0xf
	v_and_b32_e32 v32, 1, v26
	v_and_b32_e32 v31, 16, v46
	v_cndmask_b32_e32 v28, 0, v28, vcc
	v_and_b32_e32 v29, 1, v29
	v_cmp_eq_u32_e32 vcc, 1, v32
	v_bfe_i32 v30, v46, 4, 1
	v_cndmask_b32_e64 v29, v29, 1, vcc
	v_cmp_eq_u32_e32 vcc, 0, v31
	v_and_b32_e32 v28, v30, v28
	v_cndmask_b32_e32 v26, v29, v26, vcc
	v_add_u32_e32 v27, v28, v27
	v_and_b32_e32 v30, 1, v26
	v_mov_b32_dpp v28, v26 row_bcast:31 row_mask:0xf bank_mask:0xf
	v_and_b32_e32 v28, 1, v28
	v_cmp_eq_u32_e64 s[4:5], 1, v30
	v_cmp_eq_u32_e32 vcc, 0, v26
	v_cndmask_b32_e64 v28, v28, 1, s[4:5]
	v_cmp_lt_u32_e64 s[4:5], 31, v46
	v_mov_b32_dpp v29, v27 row_bcast:31 row_mask:0xf bank_mask:0xf
	s_and_b64 vcc, s[4:5], vcc
	v_cndmask_b32_e64 v28, v26, v28, s[4:5]
	v_cndmask_b32_e32 v26, 0, v29, vcc
	v_add_u32_e32 v29, v26, v27
	v_cmp_eq_u32_e32 vcc, v51, v0
	s_and_saveexec_b64 s[4:5], vcc
	s_cbranch_execz .LBB1905_108
; %bb.107:
	v_lshlrev_b32_e32 v26, 3, v1
	ds_write_b32 v26, v29
	ds_write_b8 v26, v28 offset:4
.LBB1905_108:
	s_or_b64 exec, exec, s[4:5]
	v_cmp_gt_u32_e32 vcc, 4, v0
	s_waitcnt lgkmcnt(0)
	s_barrier
	s_and_saveexec_b64 s[4:5], vcc
	s_cbranch_execz .LBB1905_112
; %bb.109:
	v_lshlrev_b32_e32 v30, 3, v0
	ds_read_b64 v[26:27], v30
	v_and_b32_e32 v31, 3, v46
	v_cmp_ne_u32_e32 vcc, 0, v31
	s_waitcnt lgkmcnt(0)
	v_mov_b32_dpp v32, v26 row_shr:1 row_mask:0xf bank_mask:0xf
	v_mov_b32_dpp v34, v27 row_shr:1 row_mask:0xf bank_mask:0xf
	v_mov_b32_e32 v33, v27
	s_and_saveexec_b64 s[34:35], vcc
	s_cbranch_execz .LBB1905_111
; %bb.110:
	v_and_b32_e32 v33, 1, v27
	v_and_b32_e32 v34, 1, v34
	v_cmp_eq_u32_e32 vcc, 1, v33
	v_mov_b32_e32 v33, 0
	v_cndmask_b32_e64 v34, v34, 1, vcc
	v_cmp_eq_u16_sdwa vcc, v27, v33 src0_sel:BYTE_0 src1_sel:DWORD
	v_cndmask_b32_e32 v32, 0, v32, vcc
	v_add_u32_e32 v26, v32, v26
	v_and_b32_e32 v32, 0xffff, v34
	s_movk_i32 s42, 0xff00
	v_and_or_b32 v33, v27, s42, v32
	v_mov_b32_e32 v27, v34
.LBB1905_111:
	s_or_b64 exec, exec, s[34:35]
	v_mov_b32_dpp v33, v33 row_shr:2 row_mask:0xf bank_mask:0xf
	v_and_b32_e32 v34, 1, v27
	v_and_b32_e32 v33, 1, v33
	v_cmp_eq_u32_e32 vcc, 1, v34
	v_mov_b32_e32 v34, 0
	v_cndmask_b32_e64 v33, v33, 1, vcc
	v_cmp_eq_u16_sdwa s[34:35], v27, v34 src0_sel:BYTE_0 src1_sel:DWORD
	v_cmp_lt_u32_e32 vcc, 1, v31
	v_mov_b32_dpp v32, v26 row_shr:2 row_mask:0xf bank_mask:0xf
	v_cndmask_b32_e32 v27, v27, v33, vcc
	s_and_b64 vcc, vcc, s[34:35]
	v_cndmask_b32_e32 v31, 0, v32, vcc
	v_add_u32_e32 v26, v31, v26
	ds_write_b32 v30, v26
	ds_write_b8 v30, v27 offset:4
.LBB1905_112:
	s_or_b64 exec, exec, s[4:5]
	v_cmp_gt_u32_e32 vcc, 64, v0
	v_cmp_lt_u32_e64 s[4:5], 63, v0
	v_mov_b32_e32 v42, 0
	v_mov_b32_e32 v43, 0
	s_waitcnt lgkmcnt(0)
	s_barrier
	s_and_saveexec_b64 s[34:35], s[4:5]
	s_cbranch_execz .LBB1905_114
; %bb.113:
	v_lshl_add_u32 v26, v1, 3, -8
	ds_read_b32 v42, v26
	ds_read_u8 v43, v26 offset:4
	v_and_b32_e32 v27, 1, v28
	v_cmp_eq_u32_e64 s[4:5], 0, v28
	s_waitcnt lgkmcnt(1)
	v_cndmask_b32_e64 v26, 0, v42, s[4:5]
	v_cmp_eq_u32_e64 s[4:5], 1, v27
	v_add_u32_e32 v29, v26, v29
	s_waitcnt lgkmcnt(0)
	v_cndmask_b32_e64 v28, v43, 1, s[4:5]
.LBB1905_114:
	s_or_b64 exec, exec, s[34:35]
	v_add_u32_e32 v26, -1, v46
	v_and_b32_e32 v27, 64, v46
	v_cmp_lt_i32_e64 s[4:5], v26, v27
	v_cndmask_b32_e64 v26, v26, v46, s[4:5]
	v_lshlrev_b32_e32 v26, 2, v26
	ds_bpermute_b32 v44, v26, v29
	ds_bpermute_b32 v45, v26, v28
	v_cmp_eq_u32_e64 s[34:35], 0, v46
	s_and_saveexec_b64 s[42:43], vcc
	s_cbranch_execz .LBB1905_133
; %bb.115:
	v_mov_b32_e32 v29, 0
	ds_read_b64 v[26:27], v29 offset:24
	s_waitcnt lgkmcnt(0)
	v_readfirstlane_b32 s52, v27
	s_and_saveexec_b64 s[4:5], s[34:35]
	s_cbranch_execz .LBB1905_117
; %bb.116:
	s_add_i32 s44, s59, 64
	s_mov_b32 s45, 0
	s_lshl_b64 s[48:49], s[44:45], 4
	s_add_u32 s48, s56, s48
	s_addc_u32 s49, s57, s49
	s_and_b32 s55, s52, 0xff000000
	s_mov_b32 s54, s45
	s_and_b32 s63, s52, 0xff0000
	s_mov_b32 s62, s45
	s_or_b64 s[54:55], s[62:63], s[54:55]
	s_and_b32 s63, s52, 0xff00
	s_or_b64 s[54:55], s[54:55], s[62:63]
	s_and_b32 s63, s52, 0xff
	s_or_b64 s[44:45], s[54:55], s[62:63]
	v_mov_b32_e32 v27, s45
	v_mov_b32_e32 v28, 1
	v_pk_mov_b32 v[30:31], s[48:49], s[48:49] op_sel:[0,1]
	;;#ASMSTART
	global_store_dwordx4 v[30:31], v[26:29] off	
s_waitcnt vmcnt(0)
	;;#ASMEND
.LBB1905_117:
	s_or_b64 exec, exec, s[4:5]
	v_xad_u32 v34, v46, -1, s59
	v_add_u32_e32 v28, 64, v34
	v_lshlrev_b64 v[30:31], 4, v[28:29]
	v_mov_b32_e32 v27, s57
	v_add_co_u32_e32 v36, vcc, s56, v30
	v_addc_co_u32_e32 v37, vcc, v27, v31, vcc
	;;#ASMSTART
	global_load_dwordx4 v[30:33], v[36:37] off glc	
s_waitcnt vmcnt(0)
	;;#ASMEND
	v_and_b32_e32 v27, 0xff0000, v30
	v_or_b32_sdwa v27, v30, v27 dst_sel:DWORD dst_unused:UNUSED_PAD src0_sel:WORD_0 src1_sel:DWORD
	v_and_b32_e32 v28, 0xff000000, v30
	v_and_b32_e32 v30, 0xff, v31
	v_or3_b32 v31, 0, 0, v30
	v_or3_b32 v30, v27, v28, 0
	v_cmp_eq_u16_sdwa s[44:45], v32, v29 src0_sel:BYTE_0 src1_sel:DWORD
	s_and_saveexec_b64 s[4:5], s[44:45]
	s_cbranch_execz .LBB1905_121
; %bb.118:
	s_mov_b64 s[44:45], 0
	v_mov_b32_e32 v27, 0
.LBB1905_119:                           ; =>This Inner Loop Header: Depth=1
	;;#ASMSTART
	global_load_dwordx4 v[30:33], v[36:37] off glc	
s_waitcnt vmcnt(0)
	;;#ASMEND
	v_cmp_ne_u16_sdwa s[48:49], v32, v27 src0_sel:BYTE_0 src1_sel:DWORD
	s_or_b64 s[44:45], s[48:49], s[44:45]
	s_andn2_b64 exec, exec, s[44:45]
	s_cbranch_execnz .LBB1905_119
; %bb.120:
	s_or_b64 exec, exec, s[44:45]
	v_and_b32_e32 v31, 0xff, v31
.LBB1905_121:
	s_or_b64 exec, exec, s[4:5]
	v_mov_b32_e32 v27, 2
	v_cmp_eq_u16_sdwa s[4:5], v32, v27 src0_sel:BYTE_0 src1_sel:DWORD
	v_lshlrev_b64 v[28:29], v46, -1
	v_and_b32_e32 v33, s5, v29
	v_or_b32_e32 v33, 0x80000000, v33
	v_and_b32_e32 v35, s4, v28
	v_ffbl_b32_e32 v33, v33
	v_and_b32_e32 v47, 63, v46
	v_add_u32_e32 v33, 32, v33
	v_ffbl_b32_e32 v35, v35
	v_cmp_ne_u32_e32 vcc, 63, v47
	v_min_u32_e32 v33, v35, v33
	v_addc_co_u32_e32 v35, vcc, 0, v46, vcc
	v_lshlrev_b32_e32 v48, 2, v35
	ds_bpermute_b32 v35, v48, v31
	ds_bpermute_b32 v36, v48, v30
	s_mov_b32 s44, 0
	v_and_b32_e32 v37, 1, v31
	s_mov_b32 s45, 1
	s_waitcnt lgkmcnt(1)
	v_and_b32_e32 v35, 1, v35
	v_cmp_eq_u32_e32 vcc, 1, v37
	v_cndmask_b32_e64 v35, v35, 1, vcc
	v_cmp_gt_u64_e32 vcc, s[44:45], v[30:31]
	v_cmp_lt_u32_e64 s[4:5], v47, v33
	s_and_b64 vcc, s[4:5], vcc
	v_and_b32_e32 v37, 0xffff, v35
	v_cndmask_b32_e64 v54, v31, v35, s[4:5]
	s_waitcnt lgkmcnt(0)
	v_cndmask_b32_e32 v35, 0, v36, vcc
	v_cmp_gt_u32_e32 vcc, 62, v47
	v_cndmask_b32_e64 v36, 0, 1, vcc
	v_lshlrev_b32_e32 v36, 1, v36
	v_cndmask_b32_e64 v31, v31, v37, s[4:5]
	v_add_lshl_u32 v49, v36, v46, 2
	ds_bpermute_b32 v36, v49, v31
	v_add_u32_e32 v30, v35, v30
	ds_bpermute_b32 v37, v49, v30
	v_and_b32_e32 v35, 1, v54
	v_cmp_eq_u32_e32 vcc, 1, v35
	s_waitcnt lgkmcnt(1)
	v_and_b32_e32 v36, 1, v36
	v_mov_b32_e32 v35, 0
	v_add_u32_e32 v53, 2, v47
	v_cndmask_b32_e64 v36, v36, 1, vcc
	v_cmp_eq_u16_sdwa vcc, v54, v35 src0_sel:BYTE_0 src1_sel:DWORD
	v_and_b32_e32 v55, 0xffff, v36
	s_waitcnt lgkmcnt(0)
	v_cndmask_b32_e32 v37, 0, v37, vcc
	v_cmp_gt_u32_e32 vcc, v53, v33
	v_cndmask_b32_e32 v36, v36, v54, vcc
	v_cndmask_b32_e64 v37, v37, 0, vcc
	v_cndmask_b32_e32 v31, v55, v31, vcc
	v_cmp_gt_u32_e32 vcc, 60, v47
	v_cndmask_b32_e64 v54, 0, 1, vcc
	v_lshlrev_b32_e32 v54, 2, v54
	v_add_lshl_u32 v54, v54, v46, 2
	ds_bpermute_b32 v56, v54, v31
	v_add_u32_e32 v30, v37, v30
	ds_bpermute_b32 v37, v54, v30
	v_and_b32_e32 v57, 1, v36
	v_cmp_eq_u32_e32 vcc, 1, v57
	s_waitcnt lgkmcnt(1)
	v_and_b32_e32 v56, 1, v56
	v_add_u32_e32 v55, 4, v47
	v_cndmask_b32_e64 v56, v56, 1, vcc
	v_cmp_eq_u16_sdwa vcc, v36, v35 src0_sel:BYTE_0 src1_sel:DWORD
	v_and_b32_e32 v57, 0xffff, v56
	s_waitcnt lgkmcnt(0)
	v_cndmask_b32_e32 v37, 0, v37, vcc
	v_cmp_gt_u32_e32 vcc, v55, v33
	v_cndmask_b32_e32 v36, v56, v36, vcc
	v_cndmask_b32_e64 v37, v37, 0, vcc
	v_cndmask_b32_e32 v31, v57, v31, vcc
	v_cmp_gt_u32_e32 vcc, 56, v47
	v_cndmask_b32_e64 v56, 0, 1, vcc
	v_lshlrev_b32_e32 v56, 3, v56
	v_add_lshl_u32 v56, v56, v46, 2
	ds_bpermute_b32 v58, v56, v31
	v_add_u32_e32 v30, v37, v30
	ds_bpermute_b32 v37, v56, v30
	v_and_b32_e32 v59, 1, v36
	v_cmp_eq_u32_e32 vcc, 1, v59
	s_waitcnt lgkmcnt(1)
	v_and_b32_e32 v58, 1, v58
	;; [unrolled: 21-line block ×4, first 2 shown]
	v_add_u32_e32 v62, 32, v47
	v_cndmask_b32_e64 v31, v31, 1, vcc
	v_cmp_eq_u16_sdwa vcc, v36, v35 src0_sel:BYTE_0 src1_sel:DWORD
	s_waitcnt lgkmcnt(0)
	v_cndmask_b32_e32 v37, 0, v37, vcc
	v_cmp_gt_u32_e32 vcc, v62, v33
	v_cndmask_b32_e64 v33, v37, 0, vcc
	v_cndmask_b32_e32 v31, v31, v36, vcc
	v_add_u32_e32 v30, v33, v30
	s_branch .LBB1905_123
.LBB1905_122:                           ;   in Loop: Header=BB1905_123 Depth=1
	s_or_b64 exec, exec, s[4:5]
	v_cmp_eq_u16_sdwa s[4:5], v32, v27 src0_sel:BYTE_0 src1_sel:DWORD
	v_and_b32_e32 v33, s5, v29
	ds_bpermute_b32 v37, v48, v31
	v_or_b32_e32 v33, 0x80000000, v33
	v_and_b32_e32 v36, s4, v28
	v_ffbl_b32_e32 v33, v33
	v_add_u32_e32 v33, 32, v33
	v_ffbl_b32_e32 v36, v36
	v_min_u32_e32 v33, v36, v33
	ds_bpermute_b32 v36, v48, v30
	v_and_b32_e32 v63, 1, v31
	s_waitcnt lgkmcnt(1)
	v_and_b32_e32 v37, 1, v37
	v_cmp_eq_u32_e32 vcc, 1, v63
	v_cndmask_b32_e64 v37, v37, 1, vcc
	v_cmp_gt_u64_e32 vcc, s[44:45], v[30:31]
	v_and_b32_e32 v63, 0xffff, v37
	v_cmp_lt_u32_e64 s[4:5], v47, v33
	v_cndmask_b32_e64 v37, v31, v37, s[4:5]
	v_cndmask_b32_e64 v31, v31, v63, s[4:5]
	s_and_b64 vcc, s[4:5], vcc
	ds_bpermute_b32 v63, v49, v31
	s_waitcnt lgkmcnt(1)
	v_cndmask_b32_e32 v36, 0, v36, vcc
	v_add_u32_e32 v30, v36, v30
	ds_bpermute_b32 v36, v49, v30
	v_and_b32_e32 v64, 1, v37
	s_waitcnt lgkmcnt(1)
	v_and_b32_e32 v63, 1, v63
	v_cmp_eq_u32_e32 vcc, 1, v64
	v_cndmask_b32_e64 v63, v63, 1, vcc
	v_cmp_eq_u16_sdwa vcc, v37, v35 src0_sel:BYTE_0 src1_sel:DWORD
	v_and_b32_e32 v64, 0xffff, v63
	s_waitcnt lgkmcnt(0)
	v_cndmask_b32_e32 v36, 0, v36, vcc
	v_cmp_gt_u32_e32 vcc, v53, v33
	v_cndmask_b32_e32 v31, v64, v31, vcc
	v_cndmask_b32_e32 v37, v63, v37, vcc
	ds_bpermute_b32 v63, v54, v31
	v_cndmask_b32_e64 v36, v36, 0, vcc
	v_add_u32_e32 v30, v36, v30
	ds_bpermute_b32 v36, v54, v30
	v_and_b32_e32 v64, 1, v37
	s_waitcnt lgkmcnt(1)
	v_and_b32_e32 v63, 1, v63
	v_cmp_eq_u32_e32 vcc, 1, v64
	v_cndmask_b32_e64 v63, v63, 1, vcc
	v_cmp_eq_u16_sdwa vcc, v37, v35 src0_sel:BYTE_0 src1_sel:DWORD
	v_and_b32_e32 v64, 0xffff, v63
	s_waitcnt lgkmcnt(0)
	v_cndmask_b32_e32 v36, 0, v36, vcc
	v_cmp_gt_u32_e32 vcc, v55, v33
	v_cndmask_b32_e32 v31, v64, v31, vcc
	v_cndmask_b32_e32 v37, v63, v37, vcc
	ds_bpermute_b32 v63, v56, v31
	v_cndmask_b32_e64 v36, v36, 0, vcc
	;; [unrolled: 16-line block ×3, first 2 shown]
	v_add_u32_e32 v30, v36, v30
	ds_bpermute_b32 v36, v58, v30
	v_and_b32_e32 v64, 1, v37
	s_waitcnt lgkmcnt(1)
	v_and_b32_e32 v63, 1, v63
	v_cmp_eq_u32_e32 vcc, 1, v64
	v_cndmask_b32_e64 v63, v63, 1, vcc
	v_cmp_eq_u16_sdwa vcc, v37, v35 src0_sel:BYTE_0 src1_sel:DWORD
	v_and_b32_e32 v64, 0xffff, v63
	s_waitcnt lgkmcnt(0)
	v_cndmask_b32_e32 v36, 0, v36, vcc
	v_cmp_gt_u32_e32 vcc, v59, v33
	v_cndmask_b32_e64 v36, v36, 0, vcc
	v_cndmask_b32_e32 v31, v64, v31, vcc
	ds_bpermute_b32 v31, v61, v31
	v_add_u32_e32 v30, v36, v30
	ds_bpermute_b32 v36, v61, v30
	v_cndmask_b32_e32 v37, v63, v37, vcc
	v_and_b32_e32 v63, 1, v37
	v_cmp_eq_u32_e32 vcc, 1, v63
	s_waitcnt lgkmcnt(1)
	v_cndmask_b32_e64 v31, v31, 1, vcc
	v_cmp_eq_u16_sdwa vcc, v37, v35 src0_sel:BYTE_0 src1_sel:DWORD
	s_waitcnt lgkmcnt(0)
	v_cndmask_b32_e32 v36, 0, v36, vcc
	v_cmp_gt_u32_e32 vcc, v62, v33
	v_cndmask_b32_e64 v33, v36, 0, vcc
	v_cndmask_b32_e32 v31, v31, v37, vcc
	v_add_u32_e32 v30, v33, v30
	v_cmp_eq_u16_sdwa vcc, v46, v35 src0_sel:BYTE_0 src1_sel:DWORD
	v_and_b32_e32 v33, 1, v46
	v_cndmask_b32_e32 v30, 0, v30, vcc
	v_and_b32_e32 v31, 1, v31
	v_cmp_eq_u32_e32 vcc, 1, v33
	v_subrev_u32_e32 v34, 64, v34
	v_add_u32_e32 v30, v30, v60
	v_cndmask_b32_e64 v31, v31, 1, vcc
.LBB1905_123:                           ; =>This Loop Header: Depth=1
                                        ;     Child Loop BB1905_126 Depth 2
	v_cmp_ne_u16_sdwa s[4:5], v32, v27 src0_sel:BYTE_0 src1_sel:DWORD
	v_mov_b32_e32 v46, v31
	v_cndmask_b32_e64 v31, 0, 1, s[4:5]
	;;#ASMSTART
	;;#ASMEND
	v_cmp_ne_u32_e32 vcc, 0, v31
	s_cmp_lg_u64 vcc, exec
	v_mov_b32_e32 v60, v30
	s_cbranch_scc1 .LBB1905_128
; %bb.124:                              ;   in Loop: Header=BB1905_123 Depth=1
	v_lshlrev_b64 v[30:31], 4, v[34:35]
	v_mov_b32_e32 v32, s57
	v_add_co_u32_e32 v36, vcc, s56, v30
	v_addc_co_u32_e32 v37, vcc, v32, v31, vcc
	;;#ASMSTART
	global_load_dwordx4 v[30:33], v[36:37] off glc	
s_waitcnt vmcnt(0)
	;;#ASMEND
	v_and_b32_e32 v33, 0xff0000, v30
	v_or_b32_sdwa v33, v30, v33 dst_sel:DWORD dst_unused:UNUSED_PAD src0_sel:WORD_0 src1_sel:DWORD
	v_and_b32_e32 v30, 0xff000000, v30
	v_and_b32_e32 v31, 0xff, v31
	v_or3_b32 v31, 0, 0, v31
	v_or3_b32 v30, v33, v30, 0
	v_cmp_eq_u16_sdwa s[48:49], v32, v35 src0_sel:BYTE_0 src1_sel:DWORD
	s_and_saveexec_b64 s[4:5], s[48:49]
	s_cbranch_execz .LBB1905_122
; %bb.125:                              ;   in Loop: Header=BB1905_123 Depth=1
	s_mov_b64 s[48:49], 0
.LBB1905_126:                           ;   Parent Loop BB1905_123 Depth=1
                                        ; =>  This Inner Loop Header: Depth=2
	;;#ASMSTART
	global_load_dwordx4 v[30:33], v[36:37] off glc	
s_waitcnt vmcnt(0)
	;;#ASMEND
	v_cmp_ne_u16_sdwa s[54:55], v32, v35 src0_sel:BYTE_0 src1_sel:DWORD
	s_or_b64 s[48:49], s[54:55], s[48:49]
	s_andn2_b64 exec, exec, s[48:49]
	s_cbranch_execnz .LBB1905_126
; %bb.127:                              ;   in Loop: Header=BB1905_123 Depth=1
	s_or_b64 exec, exec, s[48:49]
	v_and_b32_e32 v31, 0xff, v31
	s_branch .LBB1905_122
.LBB1905_128:                           ;   in Loop: Header=BB1905_123 Depth=1
                                        ; implicit-def: $vgpr31
                                        ; implicit-def: $vgpr30
                                        ; implicit-def: $vgpr32
	s_cbranch_execz .LBB1905_123
; %bb.129:
	s_and_saveexec_b64 s[4:5], s[34:35]
	s_cbranch_execz .LBB1905_131
; %bb.130:
	s_and_b32 s44, s52, 0xff
	s_cmp_eq_u32 s44, 0
	s_cselect_b64 vcc, -1, 0
	s_bitcmp1_b32 s52, 0
	s_mov_b32 s45, 0
	s_cselect_b64 s[48:49], -1, 0
	s_add_i32 s44, s59, 64
	s_lshl_b64 s[44:45], s[44:45], 4
	v_cndmask_b32_e32 v27, 0, v60, vcc
	s_add_u32 s44, s56, s44
	v_add_u32_e32 v26, v27, v26
	v_and_b32_e32 v27, 1, v46
	s_addc_u32 s45, s57, s45
	v_mov_b32_e32 v29, 0
	v_cndmask_b32_e64 v27, v27, 1, s[48:49]
	v_mov_b32_e32 v28, 2
	v_pk_mov_b32 v[30:31], s[44:45], s[44:45] op_sel:[0,1]
	;;#ASMSTART
	global_store_dwordx4 v[30:31], v[26:29] off	
s_waitcnt vmcnt(0)
	;;#ASMEND
.LBB1905_131:
	s_or_b64 exec, exec, s[4:5]
	s_and_b64 exec, exec, s[0:1]
	s_cbranch_execz .LBB1905_133
; %bb.132:
	v_mov_b32_e32 v26, 0
	ds_write_b32 v26, v60 offset:24
	ds_write_b8 v26, v46 offset:28
.LBB1905_133:
	s_or_b64 exec, exec, s[42:43]
	s_mov_b32 s4, 0
	v_mov_b32_e32 v28, 0
	s_mov_b32 s5, 1
	s_waitcnt lgkmcnt(0)
	v_cndmask_b32_e64 v26, v45, v43, s[34:35]
	v_cndmask_b32_e64 v27, v44, v42, s[34:35]
	s_barrier
	ds_read_b32 v29, v28 offset:24
	v_cmp_gt_u64_e32 vcc, s[4:5], v[38:39]
	v_and_b32_e32 v30, 1, v39
	v_cndmask_b32_e32 v27, 0, v27, vcc
	v_and_b32_e32 v26, 1, v26
	v_cmp_eq_u32_e32 vcc, 1, v30
	v_cndmask_b32_e64 v26, v26, 1, vcc
	v_cndmask_b32_e64 v26, v26, v39, s[0:1]
	v_cmp_eq_u16_sdwa vcc, v26, v28 src0_sel:BYTE_0 src1_sel:DWORD
	v_cndmask_b32_e64 v27, v27, 0, s[0:1]
	s_waitcnt lgkmcnt(0)
	v_cndmask_b32_e32 v26, 0, v29, vcc
	v_add3_u32 v26, v27, v38, v26
	v_cndmask_b32_e64 v27, 0, v26, s[6:7]
	v_add_u32_e32 v27, v27, v2
	v_cndmask_b32_e64 v28, 0, v27, s[8:9]
	v_add_u32_e32 v42, v28, v4
	;; [unrolled: 2-line block ×13, first 2 shown]
	s_branch .LBB1905_150
.LBB1905_134:
                                        ; implicit-def: $vgpr49
                                        ; implicit-def: $vgpr47
                                        ; implicit-def: $vgpr45
                                        ; implicit-def: $vgpr43
                                        ; implicit-def: $vgpr34_vgpr35_vgpr36_vgpr37
                                        ; implicit-def: $vgpr30_vgpr31_vgpr32_vgpr33
                                        ; implicit-def: $vgpr26_vgpr27_vgpr28_vgpr29
	s_cbranch_execz .LBB1905_150
; %bb.135:
	s_cmp_lg_u64 s[60:61], 0
	s_cselect_b32 s9, s51, 0
	s_cselect_b32 s8, s50, 0
	s_cmp_lg_u64 s[8:9], 0
	s_cselect_b64 s[6:7], -1, 0
	s_mov_b32 s4, 0
	s_and_b64 s[10:11], s[0:1], s[6:7]
	s_and_saveexec_b64 s[6:7], s[10:11]
	s_cbranch_execz .LBB1905_137
; %bb.136:
	v_mov_b32_e32 v26, 0
	global_load_dword v28, v26, s[8:9]
	global_load_ubyte v29, v26, s[8:9] offset:4
	s_mov_b32 s5, 1
	v_and_b32_e32 v27, 1, v39
	v_cmp_gt_u64_e32 vcc, s[4:5], v[38:39]
	s_waitcnt vmcnt(1)
	v_cndmask_b32_e32 v28, 0, v28, vcc
	s_waitcnt vmcnt(0)
	v_and_b32_e32 v29, 1, v29
	v_cmp_eq_u64_e32 vcc, 0, v[26:27]
	v_add_u32_e32 v38, v28, v38
	v_cndmask_b32_e32 v39, 1, v29, vcc
.LBB1905_137:
	s_or_b64 exec, exec, s[6:7]
	s_mov_b32 s5, 1
	v_cmp_gt_u64_e32 vcc, s[4:5], v[2:3]
	v_cndmask_b32_e32 v26, 0, v38, vcc
	v_add_u32_e32 v27, v26, v2
	v_cmp_gt_u64_e64 s[6:7], s[4:5], v[4:5]
	v_cndmask_b32_e64 v26, 0, v27, s[6:7]
	v_add_u32_e32 v42, v26, v4
	v_cmp_gt_u64_e64 s[8:9], s[4:5], v[6:7]
	v_cndmask_b32_e64 v26, 0, v42, s[8:9]
	;; [unrolled: 3-line block ×6, first 2 shown]
	v_add_u32_e32 v45, v26, v14
	v_cmp_gt_u64_e64 s[18:19], s[4:5], v[16:17]
	v_mov_b32_e32 v28, 0
	v_cndmask_b32_e64 v26, 0, v45, s[18:19]
	v_or3_b32 v7, v23, v15, v7
	v_add_u32_e32 v34, v26, v16
	v_cmp_gt_u64_e64 s[20:21], s[4:5], v[18:19]
	v_or3_b32 v9, v25, v17, v9
	v_and_b32_e32 v55, 1, v7
	v_mov_b32_e32 v54, v28
	v_cndmask_b32_e64 v26, 0, v34, s[20:21]
	v_or3_b32 v3, v19, v11, v3
	v_and_b32_e32 v37, 1, v9
	v_mov_b32_e32 v36, v28
	v_cmp_ne_u64_e64 s[30:31], 0, v[54:55]
	v_add_u32_e32 v35, v26, v18
	v_cmp_gt_u64_e64 s[22:23], s[4:5], v[20:21]
	v_or3_b32 v5, v21, v13, v5
	v_and_b32_e32 v29, 1, v3
	v_cndmask_b32_e64 v3, 0, 1, s[30:31]
	v_cmp_ne_u64_e64 s[30:31], 0, v[36:37]
	v_cndmask_b32_e64 v26, 0, v35, s[22:23]
	v_and_b32_e32 v33, 1, v5
	v_mov_b32_e32 v32, v28
	v_cndmask_b32_e64 v5, 0, 1, s[30:31]
	v_add_u32_e32 v46, v26, v20
	v_cmp_gt_u64_e64 s[24:25], s[4:5], v[22:23]
	v_lshlrev_b16_e32 v3, 2, v3
	v_lshlrev_b16_e32 v5, 3, v5
	v_cmp_ne_u64_e64 s[30:31], 0, v[32:33]
	v_cndmask_b32_e64 v26, 0, v46, s[24:25]
	v_or_b32_e32 v3, v5, v3
	v_cndmask_b32_e64 v5, 0, 1, s[30:31]
	v_cmp_ne_u64_e64 s[30:31], 0, v[28:29]
	v_add_u32_e32 v47, v26, v22
	v_cmp_gt_u64_e64 s[26:27], s[4:5], v[24:25]
	v_lshlrev_b16_e32 v5, 1, v5
	v_cndmask_b32_e64 v7, 0, 1, s[30:31]
	v_cndmask_b32_e64 v26, 0, v47, s[26:27]
	v_or_b32_e32 v5, v7, v5
	v_add_u32_e32 v48, v26, v24
	v_cmp_gt_u64_e64 s[28:29], s[4:5], v[40:41]
	v_and_b32_e32 v5, 3, v5
	v_cndmask_b32_e64 v26, 0, v48, s[28:29]
	v_or_b32_e32 v3, v5, v3
	v_add_u32_e32 v49, v26, v40
	v_and_b32_e32 v26, 1, v41
	v_and_b32_e32 v3, 15, v3
	v_cmp_eq_u32_e64 s[4:5], 1, v26
	v_cmp_ne_u16_e64 s[30:31], 0, v3
	s_or_b64 s[4:5], s[4:5], s[30:31]
	v_cndmask_b32_e64 v5, v39, 1, s[4:5]
	v_mbcnt_hi_u32_b32 v3, -1, v52
	v_mov_b32_dpp v9, v49 row_shr:1 row_mask:0xf bank_mask:0xf
	v_mov_b32_dpp v11, v5 row_shr:1 row_mask:0xf bank_mask:0xf
	v_cmp_eq_u32_e64 s[4:5], 0, v5
	v_and_b32_e32 v13, 1, v5
	v_and_b32_e32 v7, 15, v3
	v_cndmask_b32_e64 v9, 0, v9, s[4:5]
	v_and_b32_e32 v11, 1, v11
	v_cmp_eq_u32_e64 s[4:5], 1, v13
	v_cndmask_b32_e64 v11, v11, 1, s[4:5]
	v_cmp_eq_u32_e64 s[4:5], 0, v7
	v_cndmask_b32_e64 v5, v11, v5, s[4:5]
	v_and_b32_e32 v15, 1, v5
	v_cmp_eq_u32_e64 s[30:31], 1, v15
	v_mov_b32_dpp v13, v5 row_shr:2 row_mask:0xf bank_mask:0xf
	v_and_b32_e32 v13, 1, v13
	v_cndmask_b32_e64 v13, v13, 1, s[30:31]
	v_cmp_lt_u32_e64 s[30:31], 1, v7
	v_cndmask_b32_e64 v9, v9, 0, s[4:5]
	v_cmp_eq_u32_e64 s[4:5], 0, v5
	v_cndmask_b32_e64 v5, v5, v13, s[30:31]
	v_add_u32_e32 v9, v49, v9
	v_and_b32_e32 v15, 1, v5
	v_mov_b32_dpp v13, v5 row_shr:4 row_mask:0xf bank_mask:0xf
	v_mov_b32_dpp v11, v9 row_shr:2 row_mask:0xf bank_mask:0xf
	s_and_b64 s[4:5], s[30:31], s[4:5]
	v_and_b32_e32 v13, 1, v13
	v_cmp_eq_u32_e64 s[30:31], 1, v15
	v_cndmask_b32_e64 v11, 0, v11, s[4:5]
	v_cndmask_b32_e64 v13, v13, 1, s[30:31]
	v_cmp_lt_u32_e64 s[30:31], 3, v7
	v_add_u32_e32 v9, v9, v11
	v_cmp_eq_u32_e64 s[4:5], 0, v5
	v_cndmask_b32_e64 v5, v5, v13, s[30:31]
	v_mov_b32_dpp v11, v9 row_shr:4 row_mask:0xf bank_mask:0xf
	s_and_b64 s[4:5], s[30:31], s[4:5]
	v_mov_b32_dpp v13, v5 row_shr:8 row_mask:0xf bank_mask:0xf
	v_and_b32_e32 v15, 1, v5
	v_cndmask_b32_e64 v11, 0, v11, s[4:5]
	v_and_b32_e32 v13, 1, v13
	v_cmp_eq_u32_e64 s[30:31], 1, v15
	v_add_u32_e32 v9, v9, v11
	v_cmp_eq_u32_e64 s[4:5], 0, v5
	v_cndmask_b32_e64 v13, v13, 1, s[30:31]
	v_cmp_lt_u32_e64 s[30:31], 7, v7
	v_mov_b32_dpp v11, v9 row_shr:8 row_mask:0xf bank_mask:0xf
	s_and_b64 s[4:5], s[30:31], s[4:5]
	v_cndmask_b32_e64 v7, 0, v11, s[4:5]
	v_cndmask_b32_e64 v5, v5, v13, s[30:31]
	v_add_u32_e32 v7, v9, v7
	v_cmp_eq_u32_e64 s[4:5], 0, v5
	v_mov_b32_dpp v11, v5 row_bcast:15 row_mask:0xf bank_mask:0xf
	v_mov_b32_dpp v9, v7 row_bcast:15 row_mask:0xf bank_mask:0xf
	v_and_b32_e32 v17, 1, v5
	v_and_b32_e32 v15, 16, v3
	v_cndmask_b32_e64 v9, 0, v9, s[4:5]
	v_and_b32_e32 v11, 1, v11
	v_cmp_eq_u32_e64 s[4:5], 1, v17
	v_bfe_i32 v13, v3, 4, 1
	v_cndmask_b32_e64 v11, v11, 1, s[4:5]
	v_cmp_eq_u32_e64 s[4:5], 0, v15
	v_and_b32_e32 v9, v13, v9
	v_cndmask_b32_e64 v5, v11, v5, s[4:5]
	v_add_u32_e32 v9, v7, v9
	v_and_b32_e32 v13, 1, v5
	v_mov_b32_dpp v7, v5 row_bcast:31 row_mask:0xf bank_mask:0xf
	v_and_b32_e32 v7, 1, v7
	v_cmp_eq_u32_e64 s[30:31], 1, v13
	v_cmp_eq_u32_e64 s[4:5], 0, v5
	v_cndmask_b32_e64 v7, v7, 1, s[30:31]
	v_cmp_lt_u32_e64 s[30:31], 31, v3
	v_mov_b32_dpp v11, v9 row_bcast:31 row_mask:0xf bank_mask:0xf
	s_and_b64 s[4:5], s[30:31], s[4:5]
	v_cndmask_b32_e64 v7, v5, v7, s[30:31]
	v_cndmask_b32_e64 v5, 0, v11, s[4:5]
	v_add_u32_e32 v5, v9, v5
	v_cmp_eq_u32_e64 s[4:5], v51, v0
	s_and_saveexec_b64 s[30:31], s[4:5]
	s_cbranch_execz .LBB1905_139
; %bb.138:
	v_lshlrev_b32_e32 v9, 3, v1
	ds_write_b32 v9, v5
	ds_write_b8 v9, v7 offset:4
.LBB1905_139:
	s_or_b64 exec, exec, s[30:31]
	v_cmp_gt_u32_e64 s[4:5], 4, v0
	s_waitcnt lgkmcnt(0)
	s_barrier
	s_and_saveexec_b64 s[30:31], s[4:5]
	s_cbranch_execz .LBB1905_143
; %bb.140:
	v_lshlrev_b32_e32 v9, 3, v0
	ds_read_b64 v[28:29], v9
	v_and_b32_e32 v11, 3, v3
	v_cmp_ne_u32_e64 s[4:5], 0, v11
	s_waitcnt lgkmcnt(0)
	v_mov_b32_dpp v13, v28 row_shr:1 row_mask:0xf bank_mask:0xf
	v_mov_b32_dpp v17, v29 row_shr:1 row_mask:0xf bank_mask:0xf
	v_mov_b32_e32 v15, v29
	s_and_saveexec_b64 s[34:35], s[4:5]
	s_cbranch_execz .LBB1905_142
; %bb.141:
	v_and_b32_e32 v15, 1, v29
	v_and_b32_e32 v17, 1, v17
	v_cmp_eq_u32_e64 s[4:5], 1, v15
	v_mov_b32_e32 v15, 0
	v_cndmask_b32_e64 v17, v17, 1, s[4:5]
	v_cmp_eq_u16_sdwa s[4:5], v29, v15 src0_sel:BYTE_0 src1_sel:DWORD
	v_cndmask_b32_e64 v13, 0, v13, s[4:5]
	v_add_u32_e32 v28, v13, v28
	v_and_b32_e32 v13, 0xffff, v17
	s_movk_i32 s4, 0xff00
	v_and_or_b32 v15, v29, s4, v13
	v_mov_b32_e32 v29, v17
.LBB1905_142:
	s_or_b64 exec, exec, s[34:35]
	v_mov_b32_dpp v15, v15 row_shr:2 row_mask:0xf bank_mask:0xf
	v_and_b32_e32 v17, 1, v29
	v_and_b32_e32 v15, 1, v15
	v_cmp_eq_u32_e64 s[4:5], 1, v17
	v_mov_b32_e32 v17, 0
	v_cndmask_b32_e64 v15, v15, 1, s[4:5]
	v_cmp_eq_u16_sdwa s[34:35], v29, v17 src0_sel:BYTE_0 src1_sel:DWORD
	v_cmp_lt_u32_e64 s[4:5], 1, v11
	v_mov_b32_dpp v13, v28 row_shr:2 row_mask:0xf bank_mask:0xf
	v_cndmask_b32_e64 v11, v29, v15, s[4:5]
	s_and_b64 s[4:5], s[4:5], s[34:35]
	v_cndmask_b32_e64 v13, 0, v13, s[4:5]
	v_add_u32_e32 v13, v13, v28
	ds_write_b32 v9, v13
	ds_write_b8 v9, v11 offset:4
.LBB1905_143:
	s_or_b64 exec, exec, s[30:31]
	v_cmp_lt_u32_e64 s[4:5], 63, v0
	v_mov_b32_e32 v9, 0
	s_waitcnt lgkmcnt(0)
	s_barrier
	s_and_saveexec_b64 s[30:31], s[4:5]
	s_cbranch_execz .LBB1905_145
; %bb.144:
	v_lshl_add_u32 v1, v1, 3, -8
	ds_read_b32 v9, v1
	v_cmp_eq_u32_e64 s[4:5], 0, v7
	s_waitcnt lgkmcnt(0)
	v_cndmask_b32_e64 v1, 0, v9, s[4:5]
	v_add_u32_e32 v5, v1, v5
.LBB1905_145:
	s_or_b64 exec, exec, s[30:31]
	v_add_u32_e32 v1, -1, v3
	v_and_b32_e32 v7, 64, v3
	v_cmp_lt_i32_e64 s[4:5], v1, v7
	v_cndmask_b32_e64 v1, v1, v3, s[4:5]
	v_lshlrev_b32_e32 v1, 2, v1
	ds_bpermute_b32 v1, v1, v5
	s_and_saveexec_b64 s[30:31], s[36:37]
	s_cbranch_execz .LBB1905_147
; %bb.146:
	v_and_b32_e32 v27, 0xff, v39
	v_mov_b32_e32 v26, 0
	v_cmp_eq_u32_e64 s[4:5], 0, v3
	s_waitcnt lgkmcnt(0)
	v_cndmask_b32_e64 v1, v1, v9, s[4:5]
	v_cmp_eq_u64_e64 s[4:5], 0, v[26:27]
	v_cndmask_b32_e64 v1, 0, v1, s[4:5]
	v_add_u32_e32 v38, v1, v38
	v_cndmask_b32_e32 v1, 0, v38, vcc
	v_add_u32_e32 v27, v1, v2
	v_cndmask_b32_e64 v1, 0, v27, s[6:7]
	v_add_u32_e32 v42, v1, v4
	v_cndmask_b32_e64 v1, 0, v42, s[8:9]
	;; [unrolled: 2-line block ×12, first 2 shown]
	v_add_u32_e32 v49, v1, v40
	;;#ASMSTART
	;;#ASMEND
.LBB1905_147:
	s_or_b64 exec, exec, s[30:31]
	s_and_saveexec_b64 s[4:5], s[0:1]
	s_cbranch_execz .LBB1905_149
; %bb.148:
	v_mov_b32_e32 v5, 0
	ds_read_b32 v2, v5 offset:24
	ds_read_u8 v3, v5 offset:28
	s_add_u32 s0, s56, 0x400
	s_addc_u32 s1, s57, 0
	v_mov_b32_e32 v4, 2
	v_pk_mov_b32 v[6:7], s[0:1], s[0:1] op_sel:[0,1]
	s_waitcnt lgkmcnt(0)
	;;#ASMSTART
	global_store_dwordx4 v[6:7], v[2:5] off	
s_waitcnt vmcnt(0)
	;;#ASMEND
.LBB1905_149:
	s_or_b64 exec, exec, s[4:5]
	v_mov_b32_e32 v26, v38
.LBB1905_150:
	s_add_u32 s0, s46, s38
	s_addc_u32 s1, s47, s39
	s_add_u32 s26, s0, s40
	s_addc_u32 s27, s1, s41
	v_mul_u32_u24_e32 v18, 14, v0
	s_and_b64 vcc, exec, s[2:3]
	s_cbranch_vccz .LBB1905_202
; %bb.151:
	s_add_i32 s33, s33, s58
	v_cmp_gt_u32_e32 vcc, s33, v18
	s_waitcnt lgkmcnt(0)
	v_mov_b32_e32 v1, 0
	v_mov_b32_e32 v5, 0
	;; [unrolled: 1-line block ×15, first 2 shown]
	s_and_saveexec_b64 s[2:3], vcc
	s_cbranch_execz .LBB1905_175
; %bb.152:
	v_or_b32_e32 v2, 1, v18
	v_cmp_gt_u32_e32 vcc, s33, v2
	v_mov_b32_e32 v3, 0
	v_mov_b32_e32 v2, 0
	;; [unrolled: 1-line block ×13, first 2 shown]
	s_and_saveexec_b64 s[4:5], vcc
	s_cbranch_execz .LBB1905_174
; %bb.153:
	v_add_u32_e32 v2, 2, v18
	v_cmp_gt_u32_e32 vcc, s33, v2
	v_mov_b32_e32 v3, 0
	v_mov_b32_e32 v2, 0
	;; [unrolled: 1-line block ×12, first 2 shown]
	s_and_saveexec_b64 s[6:7], vcc
	s_cbranch_execz .LBB1905_173
; %bb.154:
	v_add_u32_e32 v2, 3, v18
	v_cmp_gt_u32_e32 vcc, s33, v2
	v_mov_b32_e32 v3, 0
	v_mov_b32_e32 v2, 0
	;; [unrolled: 1-line block ×11, first 2 shown]
	s_and_saveexec_b64 s[8:9], vcc
	s_cbranch_execz .LBB1905_172
; %bb.155:
	v_add_u32_e32 v2, 4, v18
	v_cmp_gt_u32_e32 vcc, s33, v2
	v_mov_b32_e32 v3, 0
	v_mov_b32_e32 v2, 0
	;; [unrolled: 1-line block ×10, first 2 shown]
	s_and_saveexec_b64 s[10:11], vcc
	s_cbranch_execz .LBB1905_171
; %bb.156:
	v_add_u32_e32 v2, 5, v18
	v_cmp_gt_u32_e32 vcc, s33, v2
	v_mov_b32_e32 v3, 0
	v_mov_b32_e32 v2, 0
	;; [unrolled: 1-line block ×9, first 2 shown]
	s_and_saveexec_b64 s[12:13], vcc
	s_cbranch_execz .LBB1905_170
; %bb.157:
	v_add_u32_e32 v2, 6, v18
	v_cmp_gt_u32_e32 vcc, s33, v2
	v_mov_b32_e32 v3, 0
	v_mov_b32_e32 v2, 0
	;; [unrolled: 1-line block ×8, first 2 shown]
	s_and_saveexec_b64 s[14:15], vcc
	s_cbranch_execz .LBB1905_169
; %bb.158:
	v_add_u32_e32 v2, 7, v18
	v_cmp_gt_u32_e32 vcc, s33, v2
	v_mov_b32_e32 v3, 0
	v_mov_b32_e32 v2, 0
	;; [unrolled: 1-line block ×7, first 2 shown]
	s_and_saveexec_b64 s[16:17], vcc
	s_cbranch_execz .LBB1905_168
; %bb.159:
	v_add_u32_e32 v2, 8, v18
	v_cmp_gt_u32_e32 vcc, s33, v2
	v_mov_b32_e32 v3, 0
	v_mov_b32_e32 v2, 0
	;; [unrolled: 1-line block ×6, first 2 shown]
	s_and_saveexec_b64 s[18:19], vcc
	s_cbranch_execz .LBB1905_167
; %bb.160:
	v_add_u32_e32 v2, 9, v18
	v_cmp_gt_u32_e32 vcc, s33, v2
	v_mov_b32_e32 v3, 0
	v_mov_b32_e32 v2, 0
	v_mov_b32_e32 v7, 0
	v_mov_b32_e32 v4, 0
	v_mov_b32_e32 v5, 0
	s_and_saveexec_b64 s[20:21], vcc
	s_cbranch_execz .LBB1905_166
; %bb.161:
	v_add_u32_e32 v2, 10, v18
	v_cmp_gt_u32_e32 vcc, s33, v2
	v_mov_b32_e32 v3, 0
	v_mov_b32_e32 v2, 0
	;; [unrolled: 1-line block ×4, first 2 shown]
	s_and_saveexec_b64 s[22:23], vcc
	s_cbranch_execz .LBB1905_165
; %bb.162:
	v_add_u32_e32 v2, 11, v18
	v_cmp_gt_u32_e32 vcc, s33, v2
	v_mov_b32_e32 v3, 0
	v_mov_b32_e32 v4, 0
	;; [unrolled: 1-line block ×3, first 2 shown]
	s_and_saveexec_b64 s[24:25], vcc
; %bb.163:
	v_add_u32_e32 v2, 12, v18
	v_cmp_gt_u32_e32 vcc, s33, v2
	v_add_u32_e32 v2, 13, v18
	v_cmp_gt_u32_e64 s[0:1], s33, v2
	v_cndmask_b32_e32 v4, 0, v48, vcc
	s_and_b64 vcc, vcc, s[0:1]
	v_cndmask_b32_e32 v5, 0, v49, vcc
	v_mov_b32_e32 v3, v47
; %bb.164:
	s_or_b64 exec, exec, s[24:25]
	v_mov_b32_e32 v2, v46
.LBB1905_165:
	s_or_b64 exec, exec, s[22:23]
	v_mov_b32_e32 v7, v35
.LBB1905_166:
	s_or_b64 exec, exec, s[20:21]
	v_mov_b32_e32 v6, v34
.LBB1905_167:
	s_or_b64 exec, exec, s[18:19]
	v_mov_b32_e32 v9, v45
.LBB1905_168:
	s_or_b64 exec, exec, s[16:17]
	v_mov_b32_e32 v8, v44
.LBB1905_169:
	s_or_b64 exec, exec, s[14:15]
	v_mov_b32_e32 v11, v31
.LBB1905_170:
	s_or_b64 exec, exec, s[12:13]
	v_mov_b32_e32 v10, v30
.LBB1905_171:
	s_or_b64 exec, exec, s[10:11]
	v_mov_b32_e32 v13, v43
.LBB1905_172:
	s_or_b64 exec, exec, s[8:9]
	v_mov_b32_e32 v12, v42
.LBB1905_173:
	s_or_b64 exec, exec, s[6:7]
	v_mov_b32_e32 v15, v27
.LBB1905_174:
	s_or_b64 exec, exec, s[4:5]
	v_mov_b32_e32 v14, v26
.LBB1905_175:
	s_or_b64 exec, exec, s[2:3]
	v_lshlrev_b32_e32 v19, 2, v18
	s_movk_i32 s0, 0xffcc
	s_barrier
	ds_write2_b64 v19, v[14:15], v[12:13] offset1:1
	ds_write2_b64 v19, v[10:11], v[8:9] offset0:2 offset1:3
	ds_write2_b64 v19, v[6:7], v[2:3] offset0:4 offset1:5
	ds_write_b64 v19, v[4:5] offset:48
	v_mad_i32_i24 v2, v0, s0, v19
	s_waitcnt lgkmcnt(0)
	s_barrier
	ds_read2st64_b32 v[16:17], v2 offset0:4 offset1:8
	ds_read2st64_b32 v[14:15], v2 offset0:12 offset1:16
	;; [unrolled: 1-line block ×6, first 2 shown]
	ds_read_b32 v3, v2 offset:13312
	v_mov_b32_e32 v2, s27
	v_add_co_u32_e32 v6, vcc, s26, v50
	v_addc_co_u32_e32 v7, vcc, 0, v2, vcc
	v_cmp_gt_u32_e32 vcc, s33, v0
	s_and_saveexec_b64 s[0:1], vcc
	s_cbranch_execz .LBB1905_177
; %bb.176:
	v_mul_i32_i24_e32 v2, 0xffffffcc, v0
	v_add_u32_e32 v2, v19, v2
	ds_read_b32 v2, v2
	s_waitcnt lgkmcnt(0)
	flat_store_dword v[6:7], v2
.LBB1905_177:
	s_or_b64 exec, exec, s[0:1]
	v_or_b32_e32 v2, 0x100, v0
	v_cmp_gt_u32_e32 vcc, s33, v2
	s_and_saveexec_b64 s[0:1], vcc
	s_cbranch_execz .LBB1905_179
; %bb.178:
	s_waitcnt lgkmcnt(0)
	flat_store_dword v[6:7], v16 offset:1024
.LBB1905_179:
	s_or_b64 exec, exec, s[0:1]
	v_or_b32_e32 v2, 0x200, v0
	v_cmp_gt_u32_e32 vcc, s33, v2
	s_and_saveexec_b64 s[0:1], vcc
	s_cbranch_execz .LBB1905_181
; %bb.180:
	s_waitcnt lgkmcnt(0)
	flat_store_dword v[6:7], v17 offset:2048
.LBB1905_181:
	;; [unrolled: 9-line block ×3, first 2 shown]
	s_or_b64 exec, exec, s[0:1]
	v_or_b32_e32 v2, 0x400, v0
	v_cmp_gt_u32_e32 vcc, s33, v2
	s_and_saveexec_b64 s[0:1], vcc
	s_cbranch_execz .LBB1905_185
; %bb.184:
	s_waitcnt lgkmcnt(0)
	v_add_co_u32_e32 v16, vcc, 0x1000, v6
	v_addc_co_u32_e32 v17, vcc, 0, v7, vcc
	flat_store_dword v[16:17], v15
.LBB1905_185:
	s_or_b64 exec, exec, s[0:1]
	v_or_b32_e32 v2, 0x500, v0
	v_cmp_gt_u32_e32 vcc, s33, v2
	s_and_saveexec_b64 s[0:1], vcc
	s_cbranch_execz .LBB1905_187
; %bb.186:
	s_waitcnt lgkmcnt(0)
	v_add_co_u32_e32 v14, vcc, 0x1000, v6
	v_addc_co_u32_e32 v15, vcc, 0, v7, vcc
	flat_store_dword v[14:15], v12 offset:1024
.LBB1905_187:
	s_or_b64 exec, exec, s[0:1]
	v_or_b32_e32 v2, 0x600, v0
	v_cmp_gt_u32_e32 vcc, s33, v2
	s_and_saveexec_b64 s[0:1], vcc
	s_cbranch_execz .LBB1905_189
; %bb.188:
	s_waitcnt lgkmcnt(0)
	v_add_co_u32_e32 v14, vcc, 0x1000, v6
	v_addc_co_u32_e32 v15, vcc, 0, v7, vcc
	flat_store_dword v[14:15], v13 offset:2048
.LBB1905_189:
	;; [unrolled: 11-line block ×3, first 2 shown]
	s_or_b64 exec, exec, s[0:1]
	v_or_b32_e32 v2, 0x800, v0
	v_cmp_gt_u32_e32 vcc, s33, v2
	s_and_saveexec_b64 s[0:1], vcc
	s_cbranch_execz .LBB1905_193
; %bb.192:
	s_waitcnt lgkmcnt(0)
	v_add_co_u32_e32 v12, vcc, 0x2000, v6
	v_addc_co_u32_e32 v13, vcc, 0, v7, vcc
	flat_store_dword v[12:13], v11
.LBB1905_193:
	s_or_b64 exec, exec, s[0:1]
	v_or_b32_e32 v2, 0x900, v0
	v_cmp_gt_u32_e32 vcc, s33, v2
	s_and_saveexec_b64 s[0:1], vcc
	s_cbranch_execz .LBB1905_195
; %bb.194:
	s_waitcnt lgkmcnt(0)
	v_add_co_u32_e32 v10, vcc, 0x2000, v6
	v_addc_co_u32_e32 v11, vcc, 0, v7, vcc
	flat_store_dword v[10:11], v8 offset:1024
.LBB1905_195:
	s_or_b64 exec, exec, s[0:1]
	v_or_b32_e32 v2, 0xa00, v0
	v_cmp_gt_u32_e32 vcc, s33, v2
	s_and_saveexec_b64 s[0:1], vcc
	s_cbranch_execz .LBB1905_197
; %bb.196:
	s_waitcnt lgkmcnt(0)
	v_add_co_u32_e32 v10, vcc, 0x2000, v6
	v_addc_co_u32_e32 v11, vcc, 0, v7, vcc
	flat_store_dword v[10:11], v9 offset:2048
.LBB1905_197:
	;; [unrolled: 11-line block ×3, first 2 shown]
	s_or_b64 exec, exec, s[0:1]
	v_or_b32_e32 v2, 0xc00, v0
	v_cmp_gt_u32_e32 vcc, s33, v2
	s_and_saveexec_b64 s[0:1], vcc
	s_cbranch_execz .LBB1905_201
; %bb.200:
	v_add_co_u32_e32 v6, vcc, 0x3000, v6
	v_addc_co_u32_e32 v7, vcc, 0, v7, vcc
	s_waitcnt lgkmcnt(0)
	flat_store_dword v[6:7], v5
.LBB1905_201:
	s_or_b64 exec, exec, s[0:1]
	v_or_b32_e32 v2, 0xd00, v0
	v_cmp_gt_u32_e64 s[0:1], s33, v2
	s_branch .LBB1905_204
.LBB1905_202:
	s_mov_b64 s[0:1], 0
                                        ; implicit-def: $vgpr3
	s_cbranch_execz .LBB1905_204
; %bb.203:
	v_lshlrev_b32_e32 v2, 2, v18
	s_movk_i32 s2, 0xffcc
	s_waitcnt lgkmcnt(0)
	s_barrier
	ds_write2_b64 v2, v[26:27], v[42:43] offset1:1
	ds_write2_b64 v2, v[30:31], v[44:45] offset0:2 offset1:3
	ds_write2_b64 v2, v[34:35], v[46:47] offset0:4 offset1:5
	ds_write_b64 v2, v[48:49] offset:48
	v_mad_i32_i24 v2, v0, s2, v2
	v_mov_b32_e32 v17, s27
	v_add_co_u32_e32 v16, vcc, s26, v50
	s_waitcnt lgkmcnt(0)
	s_barrier
	ds_read2st64_b32 v[4:5], v2 offset1:4
	ds_read2st64_b32 v[6:7], v2 offset0:8 offset1:12
	ds_read2st64_b32 v[8:9], v2 offset0:16 offset1:20
	;; [unrolled: 1-line block ×6, first 2 shown]
	v_addc_co_u32_e32 v17, vcc, 0, v17, vcc
	s_movk_i32 s2, 0x1000
	s_waitcnt lgkmcnt(0)
	flat_store_dword v[16:17], v4
	flat_store_dword v[16:17], v5 offset:1024
	flat_store_dword v[16:17], v6 offset:2048
	;; [unrolled: 1-line block ×3, first 2 shown]
	v_add_co_u32_e32 v4, vcc, s2, v16
	v_addc_co_u32_e32 v5, vcc, 0, v17, vcc
	flat_store_dword v[4:5], v8
	flat_store_dword v[4:5], v9 offset:1024
	flat_store_dword v[4:5], v10 offset:2048
	;; [unrolled: 1-line block ×3, first 2 shown]
	v_add_co_u32_e32 v4, vcc, 0x2000, v16
	v_addc_co_u32_e32 v5, vcc, 0, v17, vcc
	flat_store_dword v[4:5], v12
	flat_store_dword v[4:5], v13 offset:1024
	flat_store_dword v[4:5], v14 offset:2048
	;; [unrolled: 1-line block ×3, first 2 shown]
	v_add_co_u32_e32 v4, vcc, 0x3000, v16
	v_mov_b32_e32 v1, 0
	v_addc_co_u32_e32 v5, vcc, 0, v17, vcc
	s_or_b64 s[0:1], s[0:1], exec
	flat_store_dword v[4:5], v2
.LBB1905_204:
	s_and_saveexec_b64 s[2:3], s[0:1]
	s_cbranch_execnz .LBB1905_206
; %bb.205:
	s_endpgm
.LBB1905_206:
	s_waitcnt lgkmcnt(0)
	v_lshlrev_b64 v[0:1], 2, v[0:1]
	v_mov_b32_e32 v2, s27
	v_add_co_u32_e32 v0, vcc, s26, v0
	v_addc_co_u32_e32 v1, vcc, v2, v1, vcc
	v_add_co_u32_e32 v0, vcc, 0x3000, v0
	v_addc_co_u32_e32 v1, vcc, 0, v1, vcc
	flat_store_dword v[0:1], v3 offset:1024
	s_endpgm
.LBB1905_207:
                                        ; implicit-def: $sgpr4_sgpr5
	s_branch .LBB1905_36
.LBB1905_208:
                                        ; implicit-def: $sgpr4_sgpr5
	s_branch .LBB1905_98
	.section	.rodata,"a",@progbits
	.p2align	6, 0x0
	.amdhsa_kernel _ZN7rocprim17ROCPRIM_400000_NS6detail17trampoline_kernelINS0_14default_configENS1_27scan_by_key_config_selectorIj11FixedVectorIiLj1EEEEZZNS1_16scan_by_key_implILNS1_25lookback_scan_determinismE0ELb0ES3_N6thrust23THRUST_200600_302600_NS6detail15normal_iteratorINSB_10device_ptrIjEEEENSD_INSE_IS6_EEEESI_S6_NSB_4plusIvEENSB_8equal_toIvEES6_EE10hipError_tPvRmT2_T3_T4_T5_mT6_T7_P12ihipStream_tbENKUlT_T0_E_clISt17integral_constantIbLb0EES12_IbLb1EEEEDaSY_SZ_EUlSY_E_NS1_11comp_targetILNS1_3genE4ELNS1_11target_archE910ELNS1_3gpuE8ELNS1_3repE0EEENS1_30default_config_static_selectorELNS0_4arch9wavefront6targetE1EEEvT1_
		.amdhsa_group_segment_fixed_size 16384
		.amdhsa_private_segment_fixed_size 0
		.amdhsa_kernarg_size 112
		.amdhsa_user_sgpr_count 6
		.amdhsa_user_sgpr_private_segment_buffer 1
		.amdhsa_user_sgpr_dispatch_ptr 0
		.amdhsa_user_sgpr_queue_ptr 0
		.amdhsa_user_sgpr_kernarg_segment_ptr 1
		.amdhsa_user_sgpr_dispatch_id 0
		.amdhsa_user_sgpr_flat_scratch_init 0
		.amdhsa_user_sgpr_kernarg_preload_length 0
		.amdhsa_user_sgpr_kernarg_preload_offset 0
		.amdhsa_user_sgpr_private_segment_size 0
		.amdhsa_uses_dynamic_stack 0
		.amdhsa_system_sgpr_private_segment_wavefront_offset 0
		.amdhsa_system_sgpr_workgroup_id_x 1
		.amdhsa_system_sgpr_workgroup_id_y 0
		.amdhsa_system_sgpr_workgroup_id_z 0
		.amdhsa_system_sgpr_workgroup_info 0
		.amdhsa_system_vgpr_workitem_id 0
		.amdhsa_next_free_vgpr 65
		.amdhsa_next_free_sgpr 65
		.amdhsa_accum_offset 68
		.amdhsa_reserve_vcc 1
		.amdhsa_reserve_flat_scratch 0
		.amdhsa_float_round_mode_32 0
		.amdhsa_float_round_mode_16_64 0
		.amdhsa_float_denorm_mode_32 3
		.amdhsa_float_denorm_mode_16_64 3
		.amdhsa_dx10_clamp 1
		.amdhsa_ieee_mode 1
		.amdhsa_fp16_overflow 0
		.amdhsa_tg_split 0
		.amdhsa_exception_fp_ieee_invalid_op 0
		.amdhsa_exception_fp_denorm_src 0
		.amdhsa_exception_fp_ieee_div_zero 0
		.amdhsa_exception_fp_ieee_overflow 0
		.amdhsa_exception_fp_ieee_underflow 0
		.amdhsa_exception_fp_ieee_inexact 0
		.amdhsa_exception_int_div_zero 0
	.end_amdhsa_kernel
	.section	.text._ZN7rocprim17ROCPRIM_400000_NS6detail17trampoline_kernelINS0_14default_configENS1_27scan_by_key_config_selectorIj11FixedVectorIiLj1EEEEZZNS1_16scan_by_key_implILNS1_25lookback_scan_determinismE0ELb0ES3_N6thrust23THRUST_200600_302600_NS6detail15normal_iteratorINSB_10device_ptrIjEEEENSD_INSE_IS6_EEEESI_S6_NSB_4plusIvEENSB_8equal_toIvEES6_EE10hipError_tPvRmT2_T3_T4_T5_mT6_T7_P12ihipStream_tbENKUlT_T0_E_clISt17integral_constantIbLb0EES12_IbLb1EEEEDaSY_SZ_EUlSY_E_NS1_11comp_targetILNS1_3genE4ELNS1_11target_archE910ELNS1_3gpuE8ELNS1_3repE0EEENS1_30default_config_static_selectorELNS0_4arch9wavefront6targetE1EEEvT1_,"axG",@progbits,_ZN7rocprim17ROCPRIM_400000_NS6detail17trampoline_kernelINS0_14default_configENS1_27scan_by_key_config_selectorIj11FixedVectorIiLj1EEEEZZNS1_16scan_by_key_implILNS1_25lookback_scan_determinismE0ELb0ES3_N6thrust23THRUST_200600_302600_NS6detail15normal_iteratorINSB_10device_ptrIjEEEENSD_INSE_IS6_EEEESI_S6_NSB_4plusIvEENSB_8equal_toIvEES6_EE10hipError_tPvRmT2_T3_T4_T5_mT6_T7_P12ihipStream_tbENKUlT_T0_E_clISt17integral_constantIbLb0EES12_IbLb1EEEEDaSY_SZ_EUlSY_E_NS1_11comp_targetILNS1_3genE4ELNS1_11target_archE910ELNS1_3gpuE8ELNS1_3repE0EEENS1_30default_config_static_selectorELNS0_4arch9wavefront6targetE1EEEvT1_,comdat
.Lfunc_end1905:
	.size	_ZN7rocprim17ROCPRIM_400000_NS6detail17trampoline_kernelINS0_14default_configENS1_27scan_by_key_config_selectorIj11FixedVectorIiLj1EEEEZZNS1_16scan_by_key_implILNS1_25lookback_scan_determinismE0ELb0ES3_N6thrust23THRUST_200600_302600_NS6detail15normal_iteratorINSB_10device_ptrIjEEEENSD_INSE_IS6_EEEESI_S6_NSB_4plusIvEENSB_8equal_toIvEES6_EE10hipError_tPvRmT2_T3_T4_T5_mT6_T7_P12ihipStream_tbENKUlT_T0_E_clISt17integral_constantIbLb0EES12_IbLb1EEEEDaSY_SZ_EUlSY_E_NS1_11comp_targetILNS1_3genE4ELNS1_11target_archE910ELNS1_3gpuE8ELNS1_3repE0EEENS1_30default_config_static_selectorELNS0_4arch9wavefront6targetE1EEEvT1_, .Lfunc_end1905-_ZN7rocprim17ROCPRIM_400000_NS6detail17trampoline_kernelINS0_14default_configENS1_27scan_by_key_config_selectorIj11FixedVectorIiLj1EEEEZZNS1_16scan_by_key_implILNS1_25lookback_scan_determinismE0ELb0ES3_N6thrust23THRUST_200600_302600_NS6detail15normal_iteratorINSB_10device_ptrIjEEEENSD_INSE_IS6_EEEESI_S6_NSB_4plusIvEENSB_8equal_toIvEES6_EE10hipError_tPvRmT2_T3_T4_T5_mT6_T7_P12ihipStream_tbENKUlT_T0_E_clISt17integral_constantIbLb0EES12_IbLb1EEEEDaSY_SZ_EUlSY_E_NS1_11comp_targetILNS1_3genE4ELNS1_11target_archE910ELNS1_3gpuE8ELNS1_3repE0EEENS1_30default_config_static_selectorELNS0_4arch9wavefront6targetE1EEEvT1_
                                        ; -- End function
	.section	.AMDGPU.csdata,"",@progbits
; Kernel info:
; codeLenInByte = 11684
; NumSgprs: 69
; NumVgprs: 65
; NumAgprs: 0
; TotalNumVgprs: 65
; ScratchSize: 0
; MemoryBound: 0
; FloatMode: 240
; IeeeMode: 1
; LDSByteSize: 16384 bytes/workgroup (compile time only)
; SGPRBlocks: 8
; VGPRBlocks: 8
; NumSGPRsForWavesPerEU: 69
; NumVGPRsForWavesPerEU: 65
; AccumOffset: 68
; Occupancy: 4
; WaveLimiterHint : 1
; COMPUTE_PGM_RSRC2:SCRATCH_EN: 0
; COMPUTE_PGM_RSRC2:USER_SGPR: 6
; COMPUTE_PGM_RSRC2:TRAP_HANDLER: 0
; COMPUTE_PGM_RSRC2:TGID_X_EN: 1
; COMPUTE_PGM_RSRC2:TGID_Y_EN: 0
; COMPUTE_PGM_RSRC2:TGID_Z_EN: 0
; COMPUTE_PGM_RSRC2:TIDIG_COMP_CNT: 0
; COMPUTE_PGM_RSRC3_GFX90A:ACCUM_OFFSET: 16
; COMPUTE_PGM_RSRC3_GFX90A:TG_SPLIT: 0
	.section	.text._ZN7rocprim17ROCPRIM_400000_NS6detail17trampoline_kernelINS0_14default_configENS1_27scan_by_key_config_selectorIj11FixedVectorIiLj1EEEEZZNS1_16scan_by_key_implILNS1_25lookback_scan_determinismE0ELb0ES3_N6thrust23THRUST_200600_302600_NS6detail15normal_iteratorINSB_10device_ptrIjEEEENSD_INSE_IS6_EEEESI_S6_NSB_4plusIvEENSB_8equal_toIvEES6_EE10hipError_tPvRmT2_T3_T4_T5_mT6_T7_P12ihipStream_tbENKUlT_T0_E_clISt17integral_constantIbLb0EES12_IbLb1EEEEDaSY_SZ_EUlSY_E_NS1_11comp_targetILNS1_3genE3ELNS1_11target_archE908ELNS1_3gpuE7ELNS1_3repE0EEENS1_30default_config_static_selectorELNS0_4arch9wavefront6targetE1EEEvT1_,"axG",@progbits,_ZN7rocprim17ROCPRIM_400000_NS6detail17trampoline_kernelINS0_14default_configENS1_27scan_by_key_config_selectorIj11FixedVectorIiLj1EEEEZZNS1_16scan_by_key_implILNS1_25lookback_scan_determinismE0ELb0ES3_N6thrust23THRUST_200600_302600_NS6detail15normal_iteratorINSB_10device_ptrIjEEEENSD_INSE_IS6_EEEESI_S6_NSB_4plusIvEENSB_8equal_toIvEES6_EE10hipError_tPvRmT2_T3_T4_T5_mT6_T7_P12ihipStream_tbENKUlT_T0_E_clISt17integral_constantIbLb0EES12_IbLb1EEEEDaSY_SZ_EUlSY_E_NS1_11comp_targetILNS1_3genE3ELNS1_11target_archE908ELNS1_3gpuE7ELNS1_3repE0EEENS1_30default_config_static_selectorELNS0_4arch9wavefront6targetE1EEEvT1_,comdat
	.protected	_ZN7rocprim17ROCPRIM_400000_NS6detail17trampoline_kernelINS0_14default_configENS1_27scan_by_key_config_selectorIj11FixedVectorIiLj1EEEEZZNS1_16scan_by_key_implILNS1_25lookback_scan_determinismE0ELb0ES3_N6thrust23THRUST_200600_302600_NS6detail15normal_iteratorINSB_10device_ptrIjEEEENSD_INSE_IS6_EEEESI_S6_NSB_4plusIvEENSB_8equal_toIvEES6_EE10hipError_tPvRmT2_T3_T4_T5_mT6_T7_P12ihipStream_tbENKUlT_T0_E_clISt17integral_constantIbLb0EES12_IbLb1EEEEDaSY_SZ_EUlSY_E_NS1_11comp_targetILNS1_3genE3ELNS1_11target_archE908ELNS1_3gpuE7ELNS1_3repE0EEENS1_30default_config_static_selectorELNS0_4arch9wavefront6targetE1EEEvT1_ ; -- Begin function _ZN7rocprim17ROCPRIM_400000_NS6detail17trampoline_kernelINS0_14default_configENS1_27scan_by_key_config_selectorIj11FixedVectorIiLj1EEEEZZNS1_16scan_by_key_implILNS1_25lookback_scan_determinismE0ELb0ES3_N6thrust23THRUST_200600_302600_NS6detail15normal_iteratorINSB_10device_ptrIjEEEENSD_INSE_IS6_EEEESI_S6_NSB_4plusIvEENSB_8equal_toIvEES6_EE10hipError_tPvRmT2_T3_T4_T5_mT6_T7_P12ihipStream_tbENKUlT_T0_E_clISt17integral_constantIbLb0EES12_IbLb1EEEEDaSY_SZ_EUlSY_E_NS1_11comp_targetILNS1_3genE3ELNS1_11target_archE908ELNS1_3gpuE7ELNS1_3repE0EEENS1_30default_config_static_selectorELNS0_4arch9wavefront6targetE1EEEvT1_
	.globl	_ZN7rocprim17ROCPRIM_400000_NS6detail17trampoline_kernelINS0_14default_configENS1_27scan_by_key_config_selectorIj11FixedVectorIiLj1EEEEZZNS1_16scan_by_key_implILNS1_25lookback_scan_determinismE0ELb0ES3_N6thrust23THRUST_200600_302600_NS6detail15normal_iteratorINSB_10device_ptrIjEEEENSD_INSE_IS6_EEEESI_S6_NSB_4plusIvEENSB_8equal_toIvEES6_EE10hipError_tPvRmT2_T3_T4_T5_mT6_T7_P12ihipStream_tbENKUlT_T0_E_clISt17integral_constantIbLb0EES12_IbLb1EEEEDaSY_SZ_EUlSY_E_NS1_11comp_targetILNS1_3genE3ELNS1_11target_archE908ELNS1_3gpuE7ELNS1_3repE0EEENS1_30default_config_static_selectorELNS0_4arch9wavefront6targetE1EEEvT1_
	.p2align	8
	.type	_ZN7rocprim17ROCPRIM_400000_NS6detail17trampoline_kernelINS0_14default_configENS1_27scan_by_key_config_selectorIj11FixedVectorIiLj1EEEEZZNS1_16scan_by_key_implILNS1_25lookback_scan_determinismE0ELb0ES3_N6thrust23THRUST_200600_302600_NS6detail15normal_iteratorINSB_10device_ptrIjEEEENSD_INSE_IS6_EEEESI_S6_NSB_4plusIvEENSB_8equal_toIvEES6_EE10hipError_tPvRmT2_T3_T4_T5_mT6_T7_P12ihipStream_tbENKUlT_T0_E_clISt17integral_constantIbLb0EES12_IbLb1EEEEDaSY_SZ_EUlSY_E_NS1_11comp_targetILNS1_3genE3ELNS1_11target_archE908ELNS1_3gpuE7ELNS1_3repE0EEENS1_30default_config_static_selectorELNS0_4arch9wavefront6targetE1EEEvT1_,@function
_ZN7rocprim17ROCPRIM_400000_NS6detail17trampoline_kernelINS0_14default_configENS1_27scan_by_key_config_selectorIj11FixedVectorIiLj1EEEEZZNS1_16scan_by_key_implILNS1_25lookback_scan_determinismE0ELb0ES3_N6thrust23THRUST_200600_302600_NS6detail15normal_iteratorINSB_10device_ptrIjEEEENSD_INSE_IS6_EEEESI_S6_NSB_4plusIvEENSB_8equal_toIvEES6_EE10hipError_tPvRmT2_T3_T4_T5_mT6_T7_P12ihipStream_tbENKUlT_T0_E_clISt17integral_constantIbLb0EES12_IbLb1EEEEDaSY_SZ_EUlSY_E_NS1_11comp_targetILNS1_3genE3ELNS1_11target_archE908ELNS1_3gpuE7ELNS1_3repE0EEENS1_30default_config_static_selectorELNS0_4arch9wavefront6targetE1EEEvT1_: ; @_ZN7rocprim17ROCPRIM_400000_NS6detail17trampoline_kernelINS0_14default_configENS1_27scan_by_key_config_selectorIj11FixedVectorIiLj1EEEEZZNS1_16scan_by_key_implILNS1_25lookback_scan_determinismE0ELb0ES3_N6thrust23THRUST_200600_302600_NS6detail15normal_iteratorINSB_10device_ptrIjEEEENSD_INSE_IS6_EEEESI_S6_NSB_4plusIvEENSB_8equal_toIvEES6_EE10hipError_tPvRmT2_T3_T4_T5_mT6_T7_P12ihipStream_tbENKUlT_T0_E_clISt17integral_constantIbLb0EES12_IbLb1EEEEDaSY_SZ_EUlSY_E_NS1_11comp_targetILNS1_3genE3ELNS1_11target_archE908ELNS1_3gpuE7ELNS1_3repE0EEENS1_30default_config_static_selectorELNS0_4arch9wavefront6targetE1EEEvT1_
; %bb.0:
	.section	.rodata,"a",@progbits
	.p2align	6, 0x0
	.amdhsa_kernel _ZN7rocprim17ROCPRIM_400000_NS6detail17trampoline_kernelINS0_14default_configENS1_27scan_by_key_config_selectorIj11FixedVectorIiLj1EEEEZZNS1_16scan_by_key_implILNS1_25lookback_scan_determinismE0ELb0ES3_N6thrust23THRUST_200600_302600_NS6detail15normal_iteratorINSB_10device_ptrIjEEEENSD_INSE_IS6_EEEESI_S6_NSB_4plusIvEENSB_8equal_toIvEES6_EE10hipError_tPvRmT2_T3_T4_T5_mT6_T7_P12ihipStream_tbENKUlT_T0_E_clISt17integral_constantIbLb0EES12_IbLb1EEEEDaSY_SZ_EUlSY_E_NS1_11comp_targetILNS1_3genE3ELNS1_11target_archE908ELNS1_3gpuE7ELNS1_3repE0EEENS1_30default_config_static_selectorELNS0_4arch9wavefront6targetE1EEEvT1_
		.amdhsa_group_segment_fixed_size 0
		.amdhsa_private_segment_fixed_size 0
		.amdhsa_kernarg_size 112
		.amdhsa_user_sgpr_count 6
		.amdhsa_user_sgpr_private_segment_buffer 1
		.amdhsa_user_sgpr_dispatch_ptr 0
		.amdhsa_user_sgpr_queue_ptr 0
		.amdhsa_user_sgpr_kernarg_segment_ptr 1
		.amdhsa_user_sgpr_dispatch_id 0
		.amdhsa_user_sgpr_flat_scratch_init 0
		.amdhsa_user_sgpr_kernarg_preload_length 0
		.amdhsa_user_sgpr_kernarg_preload_offset 0
		.amdhsa_user_sgpr_private_segment_size 0
		.amdhsa_uses_dynamic_stack 0
		.amdhsa_system_sgpr_private_segment_wavefront_offset 0
		.amdhsa_system_sgpr_workgroup_id_x 1
		.amdhsa_system_sgpr_workgroup_id_y 0
		.amdhsa_system_sgpr_workgroup_id_z 0
		.amdhsa_system_sgpr_workgroup_info 0
		.amdhsa_system_vgpr_workitem_id 0
		.amdhsa_next_free_vgpr 1
		.amdhsa_next_free_sgpr 0
		.amdhsa_accum_offset 4
		.amdhsa_reserve_vcc 0
		.amdhsa_reserve_flat_scratch 0
		.amdhsa_float_round_mode_32 0
		.amdhsa_float_round_mode_16_64 0
		.amdhsa_float_denorm_mode_32 3
		.amdhsa_float_denorm_mode_16_64 3
		.amdhsa_dx10_clamp 1
		.amdhsa_ieee_mode 1
		.amdhsa_fp16_overflow 0
		.amdhsa_tg_split 0
		.amdhsa_exception_fp_ieee_invalid_op 0
		.amdhsa_exception_fp_denorm_src 0
		.amdhsa_exception_fp_ieee_div_zero 0
		.amdhsa_exception_fp_ieee_overflow 0
		.amdhsa_exception_fp_ieee_underflow 0
		.amdhsa_exception_fp_ieee_inexact 0
		.amdhsa_exception_int_div_zero 0
	.end_amdhsa_kernel
	.section	.text._ZN7rocprim17ROCPRIM_400000_NS6detail17trampoline_kernelINS0_14default_configENS1_27scan_by_key_config_selectorIj11FixedVectorIiLj1EEEEZZNS1_16scan_by_key_implILNS1_25lookback_scan_determinismE0ELb0ES3_N6thrust23THRUST_200600_302600_NS6detail15normal_iteratorINSB_10device_ptrIjEEEENSD_INSE_IS6_EEEESI_S6_NSB_4plusIvEENSB_8equal_toIvEES6_EE10hipError_tPvRmT2_T3_T4_T5_mT6_T7_P12ihipStream_tbENKUlT_T0_E_clISt17integral_constantIbLb0EES12_IbLb1EEEEDaSY_SZ_EUlSY_E_NS1_11comp_targetILNS1_3genE3ELNS1_11target_archE908ELNS1_3gpuE7ELNS1_3repE0EEENS1_30default_config_static_selectorELNS0_4arch9wavefront6targetE1EEEvT1_,"axG",@progbits,_ZN7rocprim17ROCPRIM_400000_NS6detail17trampoline_kernelINS0_14default_configENS1_27scan_by_key_config_selectorIj11FixedVectorIiLj1EEEEZZNS1_16scan_by_key_implILNS1_25lookback_scan_determinismE0ELb0ES3_N6thrust23THRUST_200600_302600_NS6detail15normal_iteratorINSB_10device_ptrIjEEEENSD_INSE_IS6_EEEESI_S6_NSB_4plusIvEENSB_8equal_toIvEES6_EE10hipError_tPvRmT2_T3_T4_T5_mT6_T7_P12ihipStream_tbENKUlT_T0_E_clISt17integral_constantIbLb0EES12_IbLb1EEEEDaSY_SZ_EUlSY_E_NS1_11comp_targetILNS1_3genE3ELNS1_11target_archE908ELNS1_3gpuE7ELNS1_3repE0EEENS1_30default_config_static_selectorELNS0_4arch9wavefront6targetE1EEEvT1_,comdat
.Lfunc_end1906:
	.size	_ZN7rocprim17ROCPRIM_400000_NS6detail17trampoline_kernelINS0_14default_configENS1_27scan_by_key_config_selectorIj11FixedVectorIiLj1EEEEZZNS1_16scan_by_key_implILNS1_25lookback_scan_determinismE0ELb0ES3_N6thrust23THRUST_200600_302600_NS6detail15normal_iteratorINSB_10device_ptrIjEEEENSD_INSE_IS6_EEEESI_S6_NSB_4plusIvEENSB_8equal_toIvEES6_EE10hipError_tPvRmT2_T3_T4_T5_mT6_T7_P12ihipStream_tbENKUlT_T0_E_clISt17integral_constantIbLb0EES12_IbLb1EEEEDaSY_SZ_EUlSY_E_NS1_11comp_targetILNS1_3genE3ELNS1_11target_archE908ELNS1_3gpuE7ELNS1_3repE0EEENS1_30default_config_static_selectorELNS0_4arch9wavefront6targetE1EEEvT1_, .Lfunc_end1906-_ZN7rocprim17ROCPRIM_400000_NS6detail17trampoline_kernelINS0_14default_configENS1_27scan_by_key_config_selectorIj11FixedVectorIiLj1EEEEZZNS1_16scan_by_key_implILNS1_25lookback_scan_determinismE0ELb0ES3_N6thrust23THRUST_200600_302600_NS6detail15normal_iteratorINSB_10device_ptrIjEEEENSD_INSE_IS6_EEEESI_S6_NSB_4plusIvEENSB_8equal_toIvEES6_EE10hipError_tPvRmT2_T3_T4_T5_mT6_T7_P12ihipStream_tbENKUlT_T0_E_clISt17integral_constantIbLb0EES12_IbLb1EEEEDaSY_SZ_EUlSY_E_NS1_11comp_targetILNS1_3genE3ELNS1_11target_archE908ELNS1_3gpuE7ELNS1_3repE0EEENS1_30default_config_static_selectorELNS0_4arch9wavefront6targetE1EEEvT1_
                                        ; -- End function
	.section	.AMDGPU.csdata,"",@progbits
; Kernel info:
; codeLenInByte = 0
; NumSgprs: 4
; NumVgprs: 0
; NumAgprs: 0
; TotalNumVgprs: 0
; ScratchSize: 0
; MemoryBound: 0
; FloatMode: 240
; IeeeMode: 1
; LDSByteSize: 0 bytes/workgroup (compile time only)
; SGPRBlocks: 0
; VGPRBlocks: 0
; NumSGPRsForWavesPerEU: 4
; NumVGPRsForWavesPerEU: 1
; AccumOffset: 4
; Occupancy: 8
; WaveLimiterHint : 0
; COMPUTE_PGM_RSRC2:SCRATCH_EN: 0
; COMPUTE_PGM_RSRC2:USER_SGPR: 6
; COMPUTE_PGM_RSRC2:TRAP_HANDLER: 0
; COMPUTE_PGM_RSRC2:TGID_X_EN: 1
; COMPUTE_PGM_RSRC2:TGID_Y_EN: 0
; COMPUTE_PGM_RSRC2:TGID_Z_EN: 0
; COMPUTE_PGM_RSRC2:TIDIG_COMP_CNT: 0
; COMPUTE_PGM_RSRC3_GFX90A:ACCUM_OFFSET: 0
; COMPUTE_PGM_RSRC3_GFX90A:TG_SPLIT: 0
	.section	.text._ZN7rocprim17ROCPRIM_400000_NS6detail17trampoline_kernelINS0_14default_configENS1_27scan_by_key_config_selectorIj11FixedVectorIiLj1EEEEZZNS1_16scan_by_key_implILNS1_25lookback_scan_determinismE0ELb0ES3_N6thrust23THRUST_200600_302600_NS6detail15normal_iteratorINSB_10device_ptrIjEEEENSD_INSE_IS6_EEEESI_S6_NSB_4plusIvEENSB_8equal_toIvEES6_EE10hipError_tPvRmT2_T3_T4_T5_mT6_T7_P12ihipStream_tbENKUlT_T0_E_clISt17integral_constantIbLb0EES12_IbLb1EEEEDaSY_SZ_EUlSY_E_NS1_11comp_targetILNS1_3genE2ELNS1_11target_archE906ELNS1_3gpuE6ELNS1_3repE0EEENS1_30default_config_static_selectorELNS0_4arch9wavefront6targetE1EEEvT1_,"axG",@progbits,_ZN7rocprim17ROCPRIM_400000_NS6detail17trampoline_kernelINS0_14default_configENS1_27scan_by_key_config_selectorIj11FixedVectorIiLj1EEEEZZNS1_16scan_by_key_implILNS1_25lookback_scan_determinismE0ELb0ES3_N6thrust23THRUST_200600_302600_NS6detail15normal_iteratorINSB_10device_ptrIjEEEENSD_INSE_IS6_EEEESI_S6_NSB_4plusIvEENSB_8equal_toIvEES6_EE10hipError_tPvRmT2_T3_T4_T5_mT6_T7_P12ihipStream_tbENKUlT_T0_E_clISt17integral_constantIbLb0EES12_IbLb1EEEEDaSY_SZ_EUlSY_E_NS1_11comp_targetILNS1_3genE2ELNS1_11target_archE906ELNS1_3gpuE6ELNS1_3repE0EEENS1_30default_config_static_selectorELNS0_4arch9wavefront6targetE1EEEvT1_,comdat
	.protected	_ZN7rocprim17ROCPRIM_400000_NS6detail17trampoline_kernelINS0_14default_configENS1_27scan_by_key_config_selectorIj11FixedVectorIiLj1EEEEZZNS1_16scan_by_key_implILNS1_25lookback_scan_determinismE0ELb0ES3_N6thrust23THRUST_200600_302600_NS6detail15normal_iteratorINSB_10device_ptrIjEEEENSD_INSE_IS6_EEEESI_S6_NSB_4plusIvEENSB_8equal_toIvEES6_EE10hipError_tPvRmT2_T3_T4_T5_mT6_T7_P12ihipStream_tbENKUlT_T0_E_clISt17integral_constantIbLb0EES12_IbLb1EEEEDaSY_SZ_EUlSY_E_NS1_11comp_targetILNS1_3genE2ELNS1_11target_archE906ELNS1_3gpuE6ELNS1_3repE0EEENS1_30default_config_static_selectorELNS0_4arch9wavefront6targetE1EEEvT1_ ; -- Begin function _ZN7rocprim17ROCPRIM_400000_NS6detail17trampoline_kernelINS0_14default_configENS1_27scan_by_key_config_selectorIj11FixedVectorIiLj1EEEEZZNS1_16scan_by_key_implILNS1_25lookback_scan_determinismE0ELb0ES3_N6thrust23THRUST_200600_302600_NS6detail15normal_iteratorINSB_10device_ptrIjEEEENSD_INSE_IS6_EEEESI_S6_NSB_4plusIvEENSB_8equal_toIvEES6_EE10hipError_tPvRmT2_T3_T4_T5_mT6_T7_P12ihipStream_tbENKUlT_T0_E_clISt17integral_constantIbLb0EES12_IbLb1EEEEDaSY_SZ_EUlSY_E_NS1_11comp_targetILNS1_3genE2ELNS1_11target_archE906ELNS1_3gpuE6ELNS1_3repE0EEENS1_30default_config_static_selectorELNS0_4arch9wavefront6targetE1EEEvT1_
	.globl	_ZN7rocprim17ROCPRIM_400000_NS6detail17trampoline_kernelINS0_14default_configENS1_27scan_by_key_config_selectorIj11FixedVectorIiLj1EEEEZZNS1_16scan_by_key_implILNS1_25lookback_scan_determinismE0ELb0ES3_N6thrust23THRUST_200600_302600_NS6detail15normal_iteratorINSB_10device_ptrIjEEEENSD_INSE_IS6_EEEESI_S6_NSB_4plusIvEENSB_8equal_toIvEES6_EE10hipError_tPvRmT2_T3_T4_T5_mT6_T7_P12ihipStream_tbENKUlT_T0_E_clISt17integral_constantIbLb0EES12_IbLb1EEEEDaSY_SZ_EUlSY_E_NS1_11comp_targetILNS1_3genE2ELNS1_11target_archE906ELNS1_3gpuE6ELNS1_3repE0EEENS1_30default_config_static_selectorELNS0_4arch9wavefront6targetE1EEEvT1_
	.p2align	8
	.type	_ZN7rocprim17ROCPRIM_400000_NS6detail17trampoline_kernelINS0_14default_configENS1_27scan_by_key_config_selectorIj11FixedVectorIiLj1EEEEZZNS1_16scan_by_key_implILNS1_25lookback_scan_determinismE0ELb0ES3_N6thrust23THRUST_200600_302600_NS6detail15normal_iteratorINSB_10device_ptrIjEEEENSD_INSE_IS6_EEEESI_S6_NSB_4plusIvEENSB_8equal_toIvEES6_EE10hipError_tPvRmT2_T3_T4_T5_mT6_T7_P12ihipStream_tbENKUlT_T0_E_clISt17integral_constantIbLb0EES12_IbLb1EEEEDaSY_SZ_EUlSY_E_NS1_11comp_targetILNS1_3genE2ELNS1_11target_archE906ELNS1_3gpuE6ELNS1_3repE0EEENS1_30default_config_static_selectorELNS0_4arch9wavefront6targetE1EEEvT1_,@function
_ZN7rocprim17ROCPRIM_400000_NS6detail17trampoline_kernelINS0_14default_configENS1_27scan_by_key_config_selectorIj11FixedVectorIiLj1EEEEZZNS1_16scan_by_key_implILNS1_25lookback_scan_determinismE0ELb0ES3_N6thrust23THRUST_200600_302600_NS6detail15normal_iteratorINSB_10device_ptrIjEEEENSD_INSE_IS6_EEEESI_S6_NSB_4plusIvEENSB_8equal_toIvEES6_EE10hipError_tPvRmT2_T3_T4_T5_mT6_T7_P12ihipStream_tbENKUlT_T0_E_clISt17integral_constantIbLb0EES12_IbLb1EEEEDaSY_SZ_EUlSY_E_NS1_11comp_targetILNS1_3genE2ELNS1_11target_archE906ELNS1_3gpuE6ELNS1_3repE0EEENS1_30default_config_static_selectorELNS0_4arch9wavefront6targetE1EEEvT1_: ; @_ZN7rocprim17ROCPRIM_400000_NS6detail17trampoline_kernelINS0_14default_configENS1_27scan_by_key_config_selectorIj11FixedVectorIiLj1EEEEZZNS1_16scan_by_key_implILNS1_25lookback_scan_determinismE0ELb0ES3_N6thrust23THRUST_200600_302600_NS6detail15normal_iteratorINSB_10device_ptrIjEEEENSD_INSE_IS6_EEEESI_S6_NSB_4plusIvEENSB_8equal_toIvEES6_EE10hipError_tPvRmT2_T3_T4_T5_mT6_T7_P12ihipStream_tbENKUlT_T0_E_clISt17integral_constantIbLb0EES12_IbLb1EEEEDaSY_SZ_EUlSY_E_NS1_11comp_targetILNS1_3genE2ELNS1_11target_archE906ELNS1_3gpuE6ELNS1_3repE0EEENS1_30default_config_static_selectorELNS0_4arch9wavefront6targetE1EEEvT1_
; %bb.0:
	.section	.rodata,"a",@progbits
	.p2align	6, 0x0
	.amdhsa_kernel _ZN7rocprim17ROCPRIM_400000_NS6detail17trampoline_kernelINS0_14default_configENS1_27scan_by_key_config_selectorIj11FixedVectorIiLj1EEEEZZNS1_16scan_by_key_implILNS1_25lookback_scan_determinismE0ELb0ES3_N6thrust23THRUST_200600_302600_NS6detail15normal_iteratorINSB_10device_ptrIjEEEENSD_INSE_IS6_EEEESI_S6_NSB_4plusIvEENSB_8equal_toIvEES6_EE10hipError_tPvRmT2_T3_T4_T5_mT6_T7_P12ihipStream_tbENKUlT_T0_E_clISt17integral_constantIbLb0EES12_IbLb1EEEEDaSY_SZ_EUlSY_E_NS1_11comp_targetILNS1_3genE2ELNS1_11target_archE906ELNS1_3gpuE6ELNS1_3repE0EEENS1_30default_config_static_selectorELNS0_4arch9wavefront6targetE1EEEvT1_
		.amdhsa_group_segment_fixed_size 0
		.amdhsa_private_segment_fixed_size 0
		.amdhsa_kernarg_size 112
		.amdhsa_user_sgpr_count 6
		.amdhsa_user_sgpr_private_segment_buffer 1
		.amdhsa_user_sgpr_dispatch_ptr 0
		.amdhsa_user_sgpr_queue_ptr 0
		.amdhsa_user_sgpr_kernarg_segment_ptr 1
		.amdhsa_user_sgpr_dispatch_id 0
		.amdhsa_user_sgpr_flat_scratch_init 0
		.amdhsa_user_sgpr_kernarg_preload_length 0
		.amdhsa_user_sgpr_kernarg_preload_offset 0
		.amdhsa_user_sgpr_private_segment_size 0
		.amdhsa_uses_dynamic_stack 0
		.amdhsa_system_sgpr_private_segment_wavefront_offset 0
		.amdhsa_system_sgpr_workgroup_id_x 1
		.amdhsa_system_sgpr_workgroup_id_y 0
		.amdhsa_system_sgpr_workgroup_id_z 0
		.amdhsa_system_sgpr_workgroup_info 0
		.amdhsa_system_vgpr_workitem_id 0
		.amdhsa_next_free_vgpr 1
		.amdhsa_next_free_sgpr 0
		.amdhsa_accum_offset 4
		.amdhsa_reserve_vcc 0
		.amdhsa_reserve_flat_scratch 0
		.amdhsa_float_round_mode_32 0
		.amdhsa_float_round_mode_16_64 0
		.amdhsa_float_denorm_mode_32 3
		.amdhsa_float_denorm_mode_16_64 3
		.amdhsa_dx10_clamp 1
		.amdhsa_ieee_mode 1
		.amdhsa_fp16_overflow 0
		.amdhsa_tg_split 0
		.amdhsa_exception_fp_ieee_invalid_op 0
		.amdhsa_exception_fp_denorm_src 0
		.amdhsa_exception_fp_ieee_div_zero 0
		.amdhsa_exception_fp_ieee_overflow 0
		.amdhsa_exception_fp_ieee_underflow 0
		.amdhsa_exception_fp_ieee_inexact 0
		.amdhsa_exception_int_div_zero 0
	.end_amdhsa_kernel
	.section	.text._ZN7rocprim17ROCPRIM_400000_NS6detail17trampoline_kernelINS0_14default_configENS1_27scan_by_key_config_selectorIj11FixedVectorIiLj1EEEEZZNS1_16scan_by_key_implILNS1_25lookback_scan_determinismE0ELb0ES3_N6thrust23THRUST_200600_302600_NS6detail15normal_iteratorINSB_10device_ptrIjEEEENSD_INSE_IS6_EEEESI_S6_NSB_4plusIvEENSB_8equal_toIvEES6_EE10hipError_tPvRmT2_T3_T4_T5_mT6_T7_P12ihipStream_tbENKUlT_T0_E_clISt17integral_constantIbLb0EES12_IbLb1EEEEDaSY_SZ_EUlSY_E_NS1_11comp_targetILNS1_3genE2ELNS1_11target_archE906ELNS1_3gpuE6ELNS1_3repE0EEENS1_30default_config_static_selectorELNS0_4arch9wavefront6targetE1EEEvT1_,"axG",@progbits,_ZN7rocprim17ROCPRIM_400000_NS6detail17trampoline_kernelINS0_14default_configENS1_27scan_by_key_config_selectorIj11FixedVectorIiLj1EEEEZZNS1_16scan_by_key_implILNS1_25lookback_scan_determinismE0ELb0ES3_N6thrust23THRUST_200600_302600_NS6detail15normal_iteratorINSB_10device_ptrIjEEEENSD_INSE_IS6_EEEESI_S6_NSB_4plusIvEENSB_8equal_toIvEES6_EE10hipError_tPvRmT2_T3_T4_T5_mT6_T7_P12ihipStream_tbENKUlT_T0_E_clISt17integral_constantIbLb0EES12_IbLb1EEEEDaSY_SZ_EUlSY_E_NS1_11comp_targetILNS1_3genE2ELNS1_11target_archE906ELNS1_3gpuE6ELNS1_3repE0EEENS1_30default_config_static_selectorELNS0_4arch9wavefront6targetE1EEEvT1_,comdat
.Lfunc_end1907:
	.size	_ZN7rocprim17ROCPRIM_400000_NS6detail17trampoline_kernelINS0_14default_configENS1_27scan_by_key_config_selectorIj11FixedVectorIiLj1EEEEZZNS1_16scan_by_key_implILNS1_25lookback_scan_determinismE0ELb0ES3_N6thrust23THRUST_200600_302600_NS6detail15normal_iteratorINSB_10device_ptrIjEEEENSD_INSE_IS6_EEEESI_S6_NSB_4plusIvEENSB_8equal_toIvEES6_EE10hipError_tPvRmT2_T3_T4_T5_mT6_T7_P12ihipStream_tbENKUlT_T0_E_clISt17integral_constantIbLb0EES12_IbLb1EEEEDaSY_SZ_EUlSY_E_NS1_11comp_targetILNS1_3genE2ELNS1_11target_archE906ELNS1_3gpuE6ELNS1_3repE0EEENS1_30default_config_static_selectorELNS0_4arch9wavefront6targetE1EEEvT1_, .Lfunc_end1907-_ZN7rocprim17ROCPRIM_400000_NS6detail17trampoline_kernelINS0_14default_configENS1_27scan_by_key_config_selectorIj11FixedVectorIiLj1EEEEZZNS1_16scan_by_key_implILNS1_25lookback_scan_determinismE0ELb0ES3_N6thrust23THRUST_200600_302600_NS6detail15normal_iteratorINSB_10device_ptrIjEEEENSD_INSE_IS6_EEEESI_S6_NSB_4plusIvEENSB_8equal_toIvEES6_EE10hipError_tPvRmT2_T3_T4_T5_mT6_T7_P12ihipStream_tbENKUlT_T0_E_clISt17integral_constantIbLb0EES12_IbLb1EEEEDaSY_SZ_EUlSY_E_NS1_11comp_targetILNS1_3genE2ELNS1_11target_archE906ELNS1_3gpuE6ELNS1_3repE0EEENS1_30default_config_static_selectorELNS0_4arch9wavefront6targetE1EEEvT1_
                                        ; -- End function
	.section	.AMDGPU.csdata,"",@progbits
; Kernel info:
; codeLenInByte = 0
; NumSgprs: 4
; NumVgprs: 0
; NumAgprs: 0
; TotalNumVgprs: 0
; ScratchSize: 0
; MemoryBound: 0
; FloatMode: 240
; IeeeMode: 1
; LDSByteSize: 0 bytes/workgroup (compile time only)
; SGPRBlocks: 0
; VGPRBlocks: 0
; NumSGPRsForWavesPerEU: 4
; NumVGPRsForWavesPerEU: 1
; AccumOffset: 4
; Occupancy: 8
; WaveLimiterHint : 0
; COMPUTE_PGM_RSRC2:SCRATCH_EN: 0
; COMPUTE_PGM_RSRC2:USER_SGPR: 6
; COMPUTE_PGM_RSRC2:TRAP_HANDLER: 0
; COMPUTE_PGM_RSRC2:TGID_X_EN: 1
; COMPUTE_PGM_RSRC2:TGID_Y_EN: 0
; COMPUTE_PGM_RSRC2:TGID_Z_EN: 0
; COMPUTE_PGM_RSRC2:TIDIG_COMP_CNT: 0
; COMPUTE_PGM_RSRC3_GFX90A:ACCUM_OFFSET: 0
; COMPUTE_PGM_RSRC3_GFX90A:TG_SPLIT: 0
	.section	.text._ZN7rocprim17ROCPRIM_400000_NS6detail17trampoline_kernelINS0_14default_configENS1_27scan_by_key_config_selectorIj11FixedVectorIiLj1EEEEZZNS1_16scan_by_key_implILNS1_25lookback_scan_determinismE0ELb0ES3_N6thrust23THRUST_200600_302600_NS6detail15normal_iteratorINSB_10device_ptrIjEEEENSD_INSE_IS6_EEEESI_S6_NSB_4plusIvEENSB_8equal_toIvEES6_EE10hipError_tPvRmT2_T3_T4_T5_mT6_T7_P12ihipStream_tbENKUlT_T0_E_clISt17integral_constantIbLb0EES12_IbLb1EEEEDaSY_SZ_EUlSY_E_NS1_11comp_targetILNS1_3genE10ELNS1_11target_archE1200ELNS1_3gpuE4ELNS1_3repE0EEENS1_30default_config_static_selectorELNS0_4arch9wavefront6targetE1EEEvT1_,"axG",@progbits,_ZN7rocprim17ROCPRIM_400000_NS6detail17trampoline_kernelINS0_14default_configENS1_27scan_by_key_config_selectorIj11FixedVectorIiLj1EEEEZZNS1_16scan_by_key_implILNS1_25lookback_scan_determinismE0ELb0ES3_N6thrust23THRUST_200600_302600_NS6detail15normal_iteratorINSB_10device_ptrIjEEEENSD_INSE_IS6_EEEESI_S6_NSB_4plusIvEENSB_8equal_toIvEES6_EE10hipError_tPvRmT2_T3_T4_T5_mT6_T7_P12ihipStream_tbENKUlT_T0_E_clISt17integral_constantIbLb0EES12_IbLb1EEEEDaSY_SZ_EUlSY_E_NS1_11comp_targetILNS1_3genE10ELNS1_11target_archE1200ELNS1_3gpuE4ELNS1_3repE0EEENS1_30default_config_static_selectorELNS0_4arch9wavefront6targetE1EEEvT1_,comdat
	.protected	_ZN7rocprim17ROCPRIM_400000_NS6detail17trampoline_kernelINS0_14default_configENS1_27scan_by_key_config_selectorIj11FixedVectorIiLj1EEEEZZNS1_16scan_by_key_implILNS1_25lookback_scan_determinismE0ELb0ES3_N6thrust23THRUST_200600_302600_NS6detail15normal_iteratorINSB_10device_ptrIjEEEENSD_INSE_IS6_EEEESI_S6_NSB_4plusIvEENSB_8equal_toIvEES6_EE10hipError_tPvRmT2_T3_T4_T5_mT6_T7_P12ihipStream_tbENKUlT_T0_E_clISt17integral_constantIbLb0EES12_IbLb1EEEEDaSY_SZ_EUlSY_E_NS1_11comp_targetILNS1_3genE10ELNS1_11target_archE1200ELNS1_3gpuE4ELNS1_3repE0EEENS1_30default_config_static_selectorELNS0_4arch9wavefront6targetE1EEEvT1_ ; -- Begin function _ZN7rocprim17ROCPRIM_400000_NS6detail17trampoline_kernelINS0_14default_configENS1_27scan_by_key_config_selectorIj11FixedVectorIiLj1EEEEZZNS1_16scan_by_key_implILNS1_25lookback_scan_determinismE0ELb0ES3_N6thrust23THRUST_200600_302600_NS6detail15normal_iteratorINSB_10device_ptrIjEEEENSD_INSE_IS6_EEEESI_S6_NSB_4plusIvEENSB_8equal_toIvEES6_EE10hipError_tPvRmT2_T3_T4_T5_mT6_T7_P12ihipStream_tbENKUlT_T0_E_clISt17integral_constantIbLb0EES12_IbLb1EEEEDaSY_SZ_EUlSY_E_NS1_11comp_targetILNS1_3genE10ELNS1_11target_archE1200ELNS1_3gpuE4ELNS1_3repE0EEENS1_30default_config_static_selectorELNS0_4arch9wavefront6targetE1EEEvT1_
	.globl	_ZN7rocprim17ROCPRIM_400000_NS6detail17trampoline_kernelINS0_14default_configENS1_27scan_by_key_config_selectorIj11FixedVectorIiLj1EEEEZZNS1_16scan_by_key_implILNS1_25lookback_scan_determinismE0ELb0ES3_N6thrust23THRUST_200600_302600_NS6detail15normal_iteratorINSB_10device_ptrIjEEEENSD_INSE_IS6_EEEESI_S6_NSB_4plusIvEENSB_8equal_toIvEES6_EE10hipError_tPvRmT2_T3_T4_T5_mT6_T7_P12ihipStream_tbENKUlT_T0_E_clISt17integral_constantIbLb0EES12_IbLb1EEEEDaSY_SZ_EUlSY_E_NS1_11comp_targetILNS1_3genE10ELNS1_11target_archE1200ELNS1_3gpuE4ELNS1_3repE0EEENS1_30default_config_static_selectorELNS0_4arch9wavefront6targetE1EEEvT1_
	.p2align	8
	.type	_ZN7rocprim17ROCPRIM_400000_NS6detail17trampoline_kernelINS0_14default_configENS1_27scan_by_key_config_selectorIj11FixedVectorIiLj1EEEEZZNS1_16scan_by_key_implILNS1_25lookback_scan_determinismE0ELb0ES3_N6thrust23THRUST_200600_302600_NS6detail15normal_iteratorINSB_10device_ptrIjEEEENSD_INSE_IS6_EEEESI_S6_NSB_4plusIvEENSB_8equal_toIvEES6_EE10hipError_tPvRmT2_T3_T4_T5_mT6_T7_P12ihipStream_tbENKUlT_T0_E_clISt17integral_constantIbLb0EES12_IbLb1EEEEDaSY_SZ_EUlSY_E_NS1_11comp_targetILNS1_3genE10ELNS1_11target_archE1200ELNS1_3gpuE4ELNS1_3repE0EEENS1_30default_config_static_selectorELNS0_4arch9wavefront6targetE1EEEvT1_,@function
_ZN7rocprim17ROCPRIM_400000_NS6detail17trampoline_kernelINS0_14default_configENS1_27scan_by_key_config_selectorIj11FixedVectorIiLj1EEEEZZNS1_16scan_by_key_implILNS1_25lookback_scan_determinismE0ELb0ES3_N6thrust23THRUST_200600_302600_NS6detail15normal_iteratorINSB_10device_ptrIjEEEENSD_INSE_IS6_EEEESI_S6_NSB_4plusIvEENSB_8equal_toIvEES6_EE10hipError_tPvRmT2_T3_T4_T5_mT6_T7_P12ihipStream_tbENKUlT_T0_E_clISt17integral_constantIbLb0EES12_IbLb1EEEEDaSY_SZ_EUlSY_E_NS1_11comp_targetILNS1_3genE10ELNS1_11target_archE1200ELNS1_3gpuE4ELNS1_3repE0EEENS1_30default_config_static_selectorELNS0_4arch9wavefront6targetE1EEEvT1_: ; @_ZN7rocprim17ROCPRIM_400000_NS6detail17trampoline_kernelINS0_14default_configENS1_27scan_by_key_config_selectorIj11FixedVectorIiLj1EEEEZZNS1_16scan_by_key_implILNS1_25lookback_scan_determinismE0ELb0ES3_N6thrust23THRUST_200600_302600_NS6detail15normal_iteratorINSB_10device_ptrIjEEEENSD_INSE_IS6_EEEESI_S6_NSB_4plusIvEENSB_8equal_toIvEES6_EE10hipError_tPvRmT2_T3_T4_T5_mT6_T7_P12ihipStream_tbENKUlT_T0_E_clISt17integral_constantIbLb0EES12_IbLb1EEEEDaSY_SZ_EUlSY_E_NS1_11comp_targetILNS1_3genE10ELNS1_11target_archE1200ELNS1_3gpuE4ELNS1_3repE0EEENS1_30default_config_static_selectorELNS0_4arch9wavefront6targetE1EEEvT1_
; %bb.0:
	.section	.rodata,"a",@progbits
	.p2align	6, 0x0
	.amdhsa_kernel _ZN7rocprim17ROCPRIM_400000_NS6detail17trampoline_kernelINS0_14default_configENS1_27scan_by_key_config_selectorIj11FixedVectorIiLj1EEEEZZNS1_16scan_by_key_implILNS1_25lookback_scan_determinismE0ELb0ES3_N6thrust23THRUST_200600_302600_NS6detail15normal_iteratorINSB_10device_ptrIjEEEENSD_INSE_IS6_EEEESI_S6_NSB_4plusIvEENSB_8equal_toIvEES6_EE10hipError_tPvRmT2_T3_T4_T5_mT6_T7_P12ihipStream_tbENKUlT_T0_E_clISt17integral_constantIbLb0EES12_IbLb1EEEEDaSY_SZ_EUlSY_E_NS1_11comp_targetILNS1_3genE10ELNS1_11target_archE1200ELNS1_3gpuE4ELNS1_3repE0EEENS1_30default_config_static_selectorELNS0_4arch9wavefront6targetE1EEEvT1_
		.amdhsa_group_segment_fixed_size 0
		.amdhsa_private_segment_fixed_size 0
		.amdhsa_kernarg_size 112
		.amdhsa_user_sgpr_count 6
		.amdhsa_user_sgpr_private_segment_buffer 1
		.amdhsa_user_sgpr_dispatch_ptr 0
		.amdhsa_user_sgpr_queue_ptr 0
		.amdhsa_user_sgpr_kernarg_segment_ptr 1
		.amdhsa_user_sgpr_dispatch_id 0
		.amdhsa_user_sgpr_flat_scratch_init 0
		.amdhsa_user_sgpr_kernarg_preload_length 0
		.amdhsa_user_sgpr_kernarg_preload_offset 0
		.amdhsa_user_sgpr_private_segment_size 0
		.amdhsa_uses_dynamic_stack 0
		.amdhsa_system_sgpr_private_segment_wavefront_offset 0
		.amdhsa_system_sgpr_workgroup_id_x 1
		.amdhsa_system_sgpr_workgroup_id_y 0
		.amdhsa_system_sgpr_workgroup_id_z 0
		.amdhsa_system_sgpr_workgroup_info 0
		.amdhsa_system_vgpr_workitem_id 0
		.amdhsa_next_free_vgpr 1
		.amdhsa_next_free_sgpr 0
		.amdhsa_accum_offset 4
		.amdhsa_reserve_vcc 0
		.amdhsa_reserve_flat_scratch 0
		.amdhsa_float_round_mode_32 0
		.amdhsa_float_round_mode_16_64 0
		.amdhsa_float_denorm_mode_32 3
		.amdhsa_float_denorm_mode_16_64 3
		.amdhsa_dx10_clamp 1
		.amdhsa_ieee_mode 1
		.amdhsa_fp16_overflow 0
		.amdhsa_tg_split 0
		.amdhsa_exception_fp_ieee_invalid_op 0
		.amdhsa_exception_fp_denorm_src 0
		.amdhsa_exception_fp_ieee_div_zero 0
		.amdhsa_exception_fp_ieee_overflow 0
		.amdhsa_exception_fp_ieee_underflow 0
		.amdhsa_exception_fp_ieee_inexact 0
		.amdhsa_exception_int_div_zero 0
	.end_amdhsa_kernel
	.section	.text._ZN7rocprim17ROCPRIM_400000_NS6detail17trampoline_kernelINS0_14default_configENS1_27scan_by_key_config_selectorIj11FixedVectorIiLj1EEEEZZNS1_16scan_by_key_implILNS1_25lookback_scan_determinismE0ELb0ES3_N6thrust23THRUST_200600_302600_NS6detail15normal_iteratorINSB_10device_ptrIjEEEENSD_INSE_IS6_EEEESI_S6_NSB_4plusIvEENSB_8equal_toIvEES6_EE10hipError_tPvRmT2_T3_T4_T5_mT6_T7_P12ihipStream_tbENKUlT_T0_E_clISt17integral_constantIbLb0EES12_IbLb1EEEEDaSY_SZ_EUlSY_E_NS1_11comp_targetILNS1_3genE10ELNS1_11target_archE1200ELNS1_3gpuE4ELNS1_3repE0EEENS1_30default_config_static_selectorELNS0_4arch9wavefront6targetE1EEEvT1_,"axG",@progbits,_ZN7rocprim17ROCPRIM_400000_NS6detail17trampoline_kernelINS0_14default_configENS1_27scan_by_key_config_selectorIj11FixedVectorIiLj1EEEEZZNS1_16scan_by_key_implILNS1_25lookback_scan_determinismE0ELb0ES3_N6thrust23THRUST_200600_302600_NS6detail15normal_iteratorINSB_10device_ptrIjEEEENSD_INSE_IS6_EEEESI_S6_NSB_4plusIvEENSB_8equal_toIvEES6_EE10hipError_tPvRmT2_T3_T4_T5_mT6_T7_P12ihipStream_tbENKUlT_T0_E_clISt17integral_constantIbLb0EES12_IbLb1EEEEDaSY_SZ_EUlSY_E_NS1_11comp_targetILNS1_3genE10ELNS1_11target_archE1200ELNS1_3gpuE4ELNS1_3repE0EEENS1_30default_config_static_selectorELNS0_4arch9wavefront6targetE1EEEvT1_,comdat
.Lfunc_end1908:
	.size	_ZN7rocprim17ROCPRIM_400000_NS6detail17trampoline_kernelINS0_14default_configENS1_27scan_by_key_config_selectorIj11FixedVectorIiLj1EEEEZZNS1_16scan_by_key_implILNS1_25lookback_scan_determinismE0ELb0ES3_N6thrust23THRUST_200600_302600_NS6detail15normal_iteratorINSB_10device_ptrIjEEEENSD_INSE_IS6_EEEESI_S6_NSB_4plusIvEENSB_8equal_toIvEES6_EE10hipError_tPvRmT2_T3_T4_T5_mT6_T7_P12ihipStream_tbENKUlT_T0_E_clISt17integral_constantIbLb0EES12_IbLb1EEEEDaSY_SZ_EUlSY_E_NS1_11comp_targetILNS1_3genE10ELNS1_11target_archE1200ELNS1_3gpuE4ELNS1_3repE0EEENS1_30default_config_static_selectorELNS0_4arch9wavefront6targetE1EEEvT1_, .Lfunc_end1908-_ZN7rocprim17ROCPRIM_400000_NS6detail17trampoline_kernelINS0_14default_configENS1_27scan_by_key_config_selectorIj11FixedVectorIiLj1EEEEZZNS1_16scan_by_key_implILNS1_25lookback_scan_determinismE0ELb0ES3_N6thrust23THRUST_200600_302600_NS6detail15normal_iteratorINSB_10device_ptrIjEEEENSD_INSE_IS6_EEEESI_S6_NSB_4plusIvEENSB_8equal_toIvEES6_EE10hipError_tPvRmT2_T3_T4_T5_mT6_T7_P12ihipStream_tbENKUlT_T0_E_clISt17integral_constantIbLb0EES12_IbLb1EEEEDaSY_SZ_EUlSY_E_NS1_11comp_targetILNS1_3genE10ELNS1_11target_archE1200ELNS1_3gpuE4ELNS1_3repE0EEENS1_30default_config_static_selectorELNS0_4arch9wavefront6targetE1EEEvT1_
                                        ; -- End function
	.section	.AMDGPU.csdata,"",@progbits
; Kernel info:
; codeLenInByte = 0
; NumSgprs: 4
; NumVgprs: 0
; NumAgprs: 0
; TotalNumVgprs: 0
; ScratchSize: 0
; MemoryBound: 0
; FloatMode: 240
; IeeeMode: 1
; LDSByteSize: 0 bytes/workgroup (compile time only)
; SGPRBlocks: 0
; VGPRBlocks: 0
; NumSGPRsForWavesPerEU: 4
; NumVGPRsForWavesPerEU: 1
; AccumOffset: 4
; Occupancy: 8
; WaveLimiterHint : 0
; COMPUTE_PGM_RSRC2:SCRATCH_EN: 0
; COMPUTE_PGM_RSRC2:USER_SGPR: 6
; COMPUTE_PGM_RSRC2:TRAP_HANDLER: 0
; COMPUTE_PGM_RSRC2:TGID_X_EN: 1
; COMPUTE_PGM_RSRC2:TGID_Y_EN: 0
; COMPUTE_PGM_RSRC2:TGID_Z_EN: 0
; COMPUTE_PGM_RSRC2:TIDIG_COMP_CNT: 0
; COMPUTE_PGM_RSRC3_GFX90A:ACCUM_OFFSET: 0
; COMPUTE_PGM_RSRC3_GFX90A:TG_SPLIT: 0
	.section	.text._ZN7rocprim17ROCPRIM_400000_NS6detail17trampoline_kernelINS0_14default_configENS1_27scan_by_key_config_selectorIj11FixedVectorIiLj1EEEEZZNS1_16scan_by_key_implILNS1_25lookback_scan_determinismE0ELb0ES3_N6thrust23THRUST_200600_302600_NS6detail15normal_iteratorINSB_10device_ptrIjEEEENSD_INSE_IS6_EEEESI_S6_NSB_4plusIvEENSB_8equal_toIvEES6_EE10hipError_tPvRmT2_T3_T4_T5_mT6_T7_P12ihipStream_tbENKUlT_T0_E_clISt17integral_constantIbLb0EES12_IbLb1EEEEDaSY_SZ_EUlSY_E_NS1_11comp_targetILNS1_3genE9ELNS1_11target_archE1100ELNS1_3gpuE3ELNS1_3repE0EEENS1_30default_config_static_selectorELNS0_4arch9wavefront6targetE1EEEvT1_,"axG",@progbits,_ZN7rocprim17ROCPRIM_400000_NS6detail17trampoline_kernelINS0_14default_configENS1_27scan_by_key_config_selectorIj11FixedVectorIiLj1EEEEZZNS1_16scan_by_key_implILNS1_25lookback_scan_determinismE0ELb0ES3_N6thrust23THRUST_200600_302600_NS6detail15normal_iteratorINSB_10device_ptrIjEEEENSD_INSE_IS6_EEEESI_S6_NSB_4plusIvEENSB_8equal_toIvEES6_EE10hipError_tPvRmT2_T3_T4_T5_mT6_T7_P12ihipStream_tbENKUlT_T0_E_clISt17integral_constantIbLb0EES12_IbLb1EEEEDaSY_SZ_EUlSY_E_NS1_11comp_targetILNS1_3genE9ELNS1_11target_archE1100ELNS1_3gpuE3ELNS1_3repE0EEENS1_30default_config_static_selectorELNS0_4arch9wavefront6targetE1EEEvT1_,comdat
	.protected	_ZN7rocprim17ROCPRIM_400000_NS6detail17trampoline_kernelINS0_14default_configENS1_27scan_by_key_config_selectorIj11FixedVectorIiLj1EEEEZZNS1_16scan_by_key_implILNS1_25lookback_scan_determinismE0ELb0ES3_N6thrust23THRUST_200600_302600_NS6detail15normal_iteratorINSB_10device_ptrIjEEEENSD_INSE_IS6_EEEESI_S6_NSB_4plusIvEENSB_8equal_toIvEES6_EE10hipError_tPvRmT2_T3_T4_T5_mT6_T7_P12ihipStream_tbENKUlT_T0_E_clISt17integral_constantIbLb0EES12_IbLb1EEEEDaSY_SZ_EUlSY_E_NS1_11comp_targetILNS1_3genE9ELNS1_11target_archE1100ELNS1_3gpuE3ELNS1_3repE0EEENS1_30default_config_static_selectorELNS0_4arch9wavefront6targetE1EEEvT1_ ; -- Begin function _ZN7rocprim17ROCPRIM_400000_NS6detail17trampoline_kernelINS0_14default_configENS1_27scan_by_key_config_selectorIj11FixedVectorIiLj1EEEEZZNS1_16scan_by_key_implILNS1_25lookback_scan_determinismE0ELb0ES3_N6thrust23THRUST_200600_302600_NS6detail15normal_iteratorINSB_10device_ptrIjEEEENSD_INSE_IS6_EEEESI_S6_NSB_4plusIvEENSB_8equal_toIvEES6_EE10hipError_tPvRmT2_T3_T4_T5_mT6_T7_P12ihipStream_tbENKUlT_T0_E_clISt17integral_constantIbLb0EES12_IbLb1EEEEDaSY_SZ_EUlSY_E_NS1_11comp_targetILNS1_3genE9ELNS1_11target_archE1100ELNS1_3gpuE3ELNS1_3repE0EEENS1_30default_config_static_selectorELNS0_4arch9wavefront6targetE1EEEvT1_
	.globl	_ZN7rocprim17ROCPRIM_400000_NS6detail17trampoline_kernelINS0_14default_configENS1_27scan_by_key_config_selectorIj11FixedVectorIiLj1EEEEZZNS1_16scan_by_key_implILNS1_25lookback_scan_determinismE0ELb0ES3_N6thrust23THRUST_200600_302600_NS6detail15normal_iteratorINSB_10device_ptrIjEEEENSD_INSE_IS6_EEEESI_S6_NSB_4plusIvEENSB_8equal_toIvEES6_EE10hipError_tPvRmT2_T3_T4_T5_mT6_T7_P12ihipStream_tbENKUlT_T0_E_clISt17integral_constantIbLb0EES12_IbLb1EEEEDaSY_SZ_EUlSY_E_NS1_11comp_targetILNS1_3genE9ELNS1_11target_archE1100ELNS1_3gpuE3ELNS1_3repE0EEENS1_30default_config_static_selectorELNS0_4arch9wavefront6targetE1EEEvT1_
	.p2align	8
	.type	_ZN7rocprim17ROCPRIM_400000_NS6detail17trampoline_kernelINS0_14default_configENS1_27scan_by_key_config_selectorIj11FixedVectorIiLj1EEEEZZNS1_16scan_by_key_implILNS1_25lookback_scan_determinismE0ELb0ES3_N6thrust23THRUST_200600_302600_NS6detail15normal_iteratorINSB_10device_ptrIjEEEENSD_INSE_IS6_EEEESI_S6_NSB_4plusIvEENSB_8equal_toIvEES6_EE10hipError_tPvRmT2_T3_T4_T5_mT6_T7_P12ihipStream_tbENKUlT_T0_E_clISt17integral_constantIbLb0EES12_IbLb1EEEEDaSY_SZ_EUlSY_E_NS1_11comp_targetILNS1_3genE9ELNS1_11target_archE1100ELNS1_3gpuE3ELNS1_3repE0EEENS1_30default_config_static_selectorELNS0_4arch9wavefront6targetE1EEEvT1_,@function
_ZN7rocprim17ROCPRIM_400000_NS6detail17trampoline_kernelINS0_14default_configENS1_27scan_by_key_config_selectorIj11FixedVectorIiLj1EEEEZZNS1_16scan_by_key_implILNS1_25lookback_scan_determinismE0ELb0ES3_N6thrust23THRUST_200600_302600_NS6detail15normal_iteratorINSB_10device_ptrIjEEEENSD_INSE_IS6_EEEESI_S6_NSB_4plusIvEENSB_8equal_toIvEES6_EE10hipError_tPvRmT2_T3_T4_T5_mT6_T7_P12ihipStream_tbENKUlT_T0_E_clISt17integral_constantIbLb0EES12_IbLb1EEEEDaSY_SZ_EUlSY_E_NS1_11comp_targetILNS1_3genE9ELNS1_11target_archE1100ELNS1_3gpuE3ELNS1_3repE0EEENS1_30default_config_static_selectorELNS0_4arch9wavefront6targetE1EEEvT1_: ; @_ZN7rocprim17ROCPRIM_400000_NS6detail17trampoline_kernelINS0_14default_configENS1_27scan_by_key_config_selectorIj11FixedVectorIiLj1EEEEZZNS1_16scan_by_key_implILNS1_25lookback_scan_determinismE0ELb0ES3_N6thrust23THRUST_200600_302600_NS6detail15normal_iteratorINSB_10device_ptrIjEEEENSD_INSE_IS6_EEEESI_S6_NSB_4plusIvEENSB_8equal_toIvEES6_EE10hipError_tPvRmT2_T3_T4_T5_mT6_T7_P12ihipStream_tbENKUlT_T0_E_clISt17integral_constantIbLb0EES12_IbLb1EEEEDaSY_SZ_EUlSY_E_NS1_11comp_targetILNS1_3genE9ELNS1_11target_archE1100ELNS1_3gpuE3ELNS1_3repE0EEENS1_30default_config_static_selectorELNS0_4arch9wavefront6targetE1EEEvT1_
; %bb.0:
	.section	.rodata,"a",@progbits
	.p2align	6, 0x0
	.amdhsa_kernel _ZN7rocprim17ROCPRIM_400000_NS6detail17trampoline_kernelINS0_14default_configENS1_27scan_by_key_config_selectorIj11FixedVectorIiLj1EEEEZZNS1_16scan_by_key_implILNS1_25lookback_scan_determinismE0ELb0ES3_N6thrust23THRUST_200600_302600_NS6detail15normal_iteratorINSB_10device_ptrIjEEEENSD_INSE_IS6_EEEESI_S6_NSB_4plusIvEENSB_8equal_toIvEES6_EE10hipError_tPvRmT2_T3_T4_T5_mT6_T7_P12ihipStream_tbENKUlT_T0_E_clISt17integral_constantIbLb0EES12_IbLb1EEEEDaSY_SZ_EUlSY_E_NS1_11comp_targetILNS1_3genE9ELNS1_11target_archE1100ELNS1_3gpuE3ELNS1_3repE0EEENS1_30default_config_static_selectorELNS0_4arch9wavefront6targetE1EEEvT1_
		.amdhsa_group_segment_fixed_size 0
		.amdhsa_private_segment_fixed_size 0
		.amdhsa_kernarg_size 112
		.amdhsa_user_sgpr_count 6
		.amdhsa_user_sgpr_private_segment_buffer 1
		.amdhsa_user_sgpr_dispatch_ptr 0
		.amdhsa_user_sgpr_queue_ptr 0
		.amdhsa_user_sgpr_kernarg_segment_ptr 1
		.amdhsa_user_sgpr_dispatch_id 0
		.amdhsa_user_sgpr_flat_scratch_init 0
		.amdhsa_user_sgpr_kernarg_preload_length 0
		.amdhsa_user_sgpr_kernarg_preload_offset 0
		.amdhsa_user_sgpr_private_segment_size 0
		.amdhsa_uses_dynamic_stack 0
		.amdhsa_system_sgpr_private_segment_wavefront_offset 0
		.amdhsa_system_sgpr_workgroup_id_x 1
		.amdhsa_system_sgpr_workgroup_id_y 0
		.amdhsa_system_sgpr_workgroup_id_z 0
		.amdhsa_system_sgpr_workgroup_info 0
		.amdhsa_system_vgpr_workitem_id 0
		.amdhsa_next_free_vgpr 1
		.amdhsa_next_free_sgpr 0
		.amdhsa_accum_offset 4
		.amdhsa_reserve_vcc 0
		.amdhsa_reserve_flat_scratch 0
		.amdhsa_float_round_mode_32 0
		.amdhsa_float_round_mode_16_64 0
		.amdhsa_float_denorm_mode_32 3
		.amdhsa_float_denorm_mode_16_64 3
		.amdhsa_dx10_clamp 1
		.amdhsa_ieee_mode 1
		.amdhsa_fp16_overflow 0
		.amdhsa_tg_split 0
		.amdhsa_exception_fp_ieee_invalid_op 0
		.amdhsa_exception_fp_denorm_src 0
		.amdhsa_exception_fp_ieee_div_zero 0
		.amdhsa_exception_fp_ieee_overflow 0
		.amdhsa_exception_fp_ieee_underflow 0
		.amdhsa_exception_fp_ieee_inexact 0
		.amdhsa_exception_int_div_zero 0
	.end_amdhsa_kernel
	.section	.text._ZN7rocprim17ROCPRIM_400000_NS6detail17trampoline_kernelINS0_14default_configENS1_27scan_by_key_config_selectorIj11FixedVectorIiLj1EEEEZZNS1_16scan_by_key_implILNS1_25lookback_scan_determinismE0ELb0ES3_N6thrust23THRUST_200600_302600_NS6detail15normal_iteratorINSB_10device_ptrIjEEEENSD_INSE_IS6_EEEESI_S6_NSB_4plusIvEENSB_8equal_toIvEES6_EE10hipError_tPvRmT2_T3_T4_T5_mT6_T7_P12ihipStream_tbENKUlT_T0_E_clISt17integral_constantIbLb0EES12_IbLb1EEEEDaSY_SZ_EUlSY_E_NS1_11comp_targetILNS1_3genE9ELNS1_11target_archE1100ELNS1_3gpuE3ELNS1_3repE0EEENS1_30default_config_static_selectorELNS0_4arch9wavefront6targetE1EEEvT1_,"axG",@progbits,_ZN7rocprim17ROCPRIM_400000_NS6detail17trampoline_kernelINS0_14default_configENS1_27scan_by_key_config_selectorIj11FixedVectorIiLj1EEEEZZNS1_16scan_by_key_implILNS1_25lookback_scan_determinismE0ELb0ES3_N6thrust23THRUST_200600_302600_NS6detail15normal_iteratorINSB_10device_ptrIjEEEENSD_INSE_IS6_EEEESI_S6_NSB_4plusIvEENSB_8equal_toIvEES6_EE10hipError_tPvRmT2_T3_T4_T5_mT6_T7_P12ihipStream_tbENKUlT_T0_E_clISt17integral_constantIbLb0EES12_IbLb1EEEEDaSY_SZ_EUlSY_E_NS1_11comp_targetILNS1_3genE9ELNS1_11target_archE1100ELNS1_3gpuE3ELNS1_3repE0EEENS1_30default_config_static_selectorELNS0_4arch9wavefront6targetE1EEEvT1_,comdat
.Lfunc_end1909:
	.size	_ZN7rocprim17ROCPRIM_400000_NS6detail17trampoline_kernelINS0_14default_configENS1_27scan_by_key_config_selectorIj11FixedVectorIiLj1EEEEZZNS1_16scan_by_key_implILNS1_25lookback_scan_determinismE0ELb0ES3_N6thrust23THRUST_200600_302600_NS6detail15normal_iteratorINSB_10device_ptrIjEEEENSD_INSE_IS6_EEEESI_S6_NSB_4plusIvEENSB_8equal_toIvEES6_EE10hipError_tPvRmT2_T3_T4_T5_mT6_T7_P12ihipStream_tbENKUlT_T0_E_clISt17integral_constantIbLb0EES12_IbLb1EEEEDaSY_SZ_EUlSY_E_NS1_11comp_targetILNS1_3genE9ELNS1_11target_archE1100ELNS1_3gpuE3ELNS1_3repE0EEENS1_30default_config_static_selectorELNS0_4arch9wavefront6targetE1EEEvT1_, .Lfunc_end1909-_ZN7rocprim17ROCPRIM_400000_NS6detail17trampoline_kernelINS0_14default_configENS1_27scan_by_key_config_selectorIj11FixedVectorIiLj1EEEEZZNS1_16scan_by_key_implILNS1_25lookback_scan_determinismE0ELb0ES3_N6thrust23THRUST_200600_302600_NS6detail15normal_iteratorINSB_10device_ptrIjEEEENSD_INSE_IS6_EEEESI_S6_NSB_4plusIvEENSB_8equal_toIvEES6_EE10hipError_tPvRmT2_T3_T4_T5_mT6_T7_P12ihipStream_tbENKUlT_T0_E_clISt17integral_constantIbLb0EES12_IbLb1EEEEDaSY_SZ_EUlSY_E_NS1_11comp_targetILNS1_3genE9ELNS1_11target_archE1100ELNS1_3gpuE3ELNS1_3repE0EEENS1_30default_config_static_selectorELNS0_4arch9wavefront6targetE1EEEvT1_
                                        ; -- End function
	.section	.AMDGPU.csdata,"",@progbits
; Kernel info:
; codeLenInByte = 0
; NumSgprs: 4
; NumVgprs: 0
; NumAgprs: 0
; TotalNumVgprs: 0
; ScratchSize: 0
; MemoryBound: 0
; FloatMode: 240
; IeeeMode: 1
; LDSByteSize: 0 bytes/workgroup (compile time only)
; SGPRBlocks: 0
; VGPRBlocks: 0
; NumSGPRsForWavesPerEU: 4
; NumVGPRsForWavesPerEU: 1
; AccumOffset: 4
; Occupancy: 8
; WaveLimiterHint : 0
; COMPUTE_PGM_RSRC2:SCRATCH_EN: 0
; COMPUTE_PGM_RSRC2:USER_SGPR: 6
; COMPUTE_PGM_RSRC2:TRAP_HANDLER: 0
; COMPUTE_PGM_RSRC2:TGID_X_EN: 1
; COMPUTE_PGM_RSRC2:TGID_Y_EN: 0
; COMPUTE_PGM_RSRC2:TGID_Z_EN: 0
; COMPUTE_PGM_RSRC2:TIDIG_COMP_CNT: 0
; COMPUTE_PGM_RSRC3_GFX90A:ACCUM_OFFSET: 0
; COMPUTE_PGM_RSRC3_GFX90A:TG_SPLIT: 0
	.section	.text._ZN7rocprim17ROCPRIM_400000_NS6detail17trampoline_kernelINS0_14default_configENS1_27scan_by_key_config_selectorIj11FixedVectorIiLj1EEEEZZNS1_16scan_by_key_implILNS1_25lookback_scan_determinismE0ELb0ES3_N6thrust23THRUST_200600_302600_NS6detail15normal_iteratorINSB_10device_ptrIjEEEENSD_INSE_IS6_EEEESI_S6_NSB_4plusIvEENSB_8equal_toIvEES6_EE10hipError_tPvRmT2_T3_T4_T5_mT6_T7_P12ihipStream_tbENKUlT_T0_E_clISt17integral_constantIbLb0EES12_IbLb1EEEEDaSY_SZ_EUlSY_E_NS1_11comp_targetILNS1_3genE8ELNS1_11target_archE1030ELNS1_3gpuE2ELNS1_3repE0EEENS1_30default_config_static_selectorELNS0_4arch9wavefront6targetE1EEEvT1_,"axG",@progbits,_ZN7rocprim17ROCPRIM_400000_NS6detail17trampoline_kernelINS0_14default_configENS1_27scan_by_key_config_selectorIj11FixedVectorIiLj1EEEEZZNS1_16scan_by_key_implILNS1_25lookback_scan_determinismE0ELb0ES3_N6thrust23THRUST_200600_302600_NS6detail15normal_iteratorINSB_10device_ptrIjEEEENSD_INSE_IS6_EEEESI_S6_NSB_4plusIvEENSB_8equal_toIvEES6_EE10hipError_tPvRmT2_T3_T4_T5_mT6_T7_P12ihipStream_tbENKUlT_T0_E_clISt17integral_constantIbLb0EES12_IbLb1EEEEDaSY_SZ_EUlSY_E_NS1_11comp_targetILNS1_3genE8ELNS1_11target_archE1030ELNS1_3gpuE2ELNS1_3repE0EEENS1_30default_config_static_selectorELNS0_4arch9wavefront6targetE1EEEvT1_,comdat
	.protected	_ZN7rocprim17ROCPRIM_400000_NS6detail17trampoline_kernelINS0_14default_configENS1_27scan_by_key_config_selectorIj11FixedVectorIiLj1EEEEZZNS1_16scan_by_key_implILNS1_25lookback_scan_determinismE0ELb0ES3_N6thrust23THRUST_200600_302600_NS6detail15normal_iteratorINSB_10device_ptrIjEEEENSD_INSE_IS6_EEEESI_S6_NSB_4plusIvEENSB_8equal_toIvEES6_EE10hipError_tPvRmT2_T3_T4_T5_mT6_T7_P12ihipStream_tbENKUlT_T0_E_clISt17integral_constantIbLb0EES12_IbLb1EEEEDaSY_SZ_EUlSY_E_NS1_11comp_targetILNS1_3genE8ELNS1_11target_archE1030ELNS1_3gpuE2ELNS1_3repE0EEENS1_30default_config_static_selectorELNS0_4arch9wavefront6targetE1EEEvT1_ ; -- Begin function _ZN7rocprim17ROCPRIM_400000_NS6detail17trampoline_kernelINS0_14default_configENS1_27scan_by_key_config_selectorIj11FixedVectorIiLj1EEEEZZNS1_16scan_by_key_implILNS1_25lookback_scan_determinismE0ELb0ES3_N6thrust23THRUST_200600_302600_NS6detail15normal_iteratorINSB_10device_ptrIjEEEENSD_INSE_IS6_EEEESI_S6_NSB_4plusIvEENSB_8equal_toIvEES6_EE10hipError_tPvRmT2_T3_T4_T5_mT6_T7_P12ihipStream_tbENKUlT_T0_E_clISt17integral_constantIbLb0EES12_IbLb1EEEEDaSY_SZ_EUlSY_E_NS1_11comp_targetILNS1_3genE8ELNS1_11target_archE1030ELNS1_3gpuE2ELNS1_3repE0EEENS1_30default_config_static_selectorELNS0_4arch9wavefront6targetE1EEEvT1_
	.globl	_ZN7rocprim17ROCPRIM_400000_NS6detail17trampoline_kernelINS0_14default_configENS1_27scan_by_key_config_selectorIj11FixedVectorIiLj1EEEEZZNS1_16scan_by_key_implILNS1_25lookback_scan_determinismE0ELb0ES3_N6thrust23THRUST_200600_302600_NS6detail15normal_iteratorINSB_10device_ptrIjEEEENSD_INSE_IS6_EEEESI_S6_NSB_4plusIvEENSB_8equal_toIvEES6_EE10hipError_tPvRmT2_T3_T4_T5_mT6_T7_P12ihipStream_tbENKUlT_T0_E_clISt17integral_constantIbLb0EES12_IbLb1EEEEDaSY_SZ_EUlSY_E_NS1_11comp_targetILNS1_3genE8ELNS1_11target_archE1030ELNS1_3gpuE2ELNS1_3repE0EEENS1_30default_config_static_selectorELNS0_4arch9wavefront6targetE1EEEvT1_
	.p2align	8
	.type	_ZN7rocprim17ROCPRIM_400000_NS6detail17trampoline_kernelINS0_14default_configENS1_27scan_by_key_config_selectorIj11FixedVectorIiLj1EEEEZZNS1_16scan_by_key_implILNS1_25lookback_scan_determinismE0ELb0ES3_N6thrust23THRUST_200600_302600_NS6detail15normal_iteratorINSB_10device_ptrIjEEEENSD_INSE_IS6_EEEESI_S6_NSB_4plusIvEENSB_8equal_toIvEES6_EE10hipError_tPvRmT2_T3_T4_T5_mT6_T7_P12ihipStream_tbENKUlT_T0_E_clISt17integral_constantIbLb0EES12_IbLb1EEEEDaSY_SZ_EUlSY_E_NS1_11comp_targetILNS1_3genE8ELNS1_11target_archE1030ELNS1_3gpuE2ELNS1_3repE0EEENS1_30default_config_static_selectorELNS0_4arch9wavefront6targetE1EEEvT1_,@function
_ZN7rocprim17ROCPRIM_400000_NS6detail17trampoline_kernelINS0_14default_configENS1_27scan_by_key_config_selectorIj11FixedVectorIiLj1EEEEZZNS1_16scan_by_key_implILNS1_25lookback_scan_determinismE0ELb0ES3_N6thrust23THRUST_200600_302600_NS6detail15normal_iteratorINSB_10device_ptrIjEEEENSD_INSE_IS6_EEEESI_S6_NSB_4plusIvEENSB_8equal_toIvEES6_EE10hipError_tPvRmT2_T3_T4_T5_mT6_T7_P12ihipStream_tbENKUlT_T0_E_clISt17integral_constantIbLb0EES12_IbLb1EEEEDaSY_SZ_EUlSY_E_NS1_11comp_targetILNS1_3genE8ELNS1_11target_archE1030ELNS1_3gpuE2ELNS1_3repE0EEENS1_30default_config_static_selectorELNS0_4arch9wavefront6targetE1EEEvT1_: ; @_ZN7rocprim17ROCPRIM_400000_NS6detail17trampoline_kernelINS0_14default_configENS1_27scan_by_key_config_selectorIj11FixedVectorIiLj1EEEEZZNS1_16scan_by_key_implILNS1_25lookback_scan_determinismE0ELb0ES3_N6thrust23THRUST_200600_302600_NS6detail15normal_iteratorINSB_10device_ptrIjEEEENSD_INSE_IS6_EEEESI_S6_NSB_4plusIvEENSB_8equal_toIvEES6_EE10hipError_tPvRmT2_T3_T4_T5_mT6_T7_P12ihipStream_tbENKUlT_T0_E_clISt17integral_constantIbLb0EES12_IbLb1EEEEDaSY_SZ_EUlSY_E_NS1_11comp_targetILNS1_3genE8ELNS1_11target_archE1030ELNS1_3gpuE2ELNS1_3repE0EEENS1_30default_config_static_selectorELNS0_4arch9wavefront6targetE1EEEvT1_
; %bb.0:
	.section	.rodata,"a",@progbits
	.p2align	6, 0x0
	.amdhsa_kernel _ZN7rocprim17ROCPRIM_400000_NS6detail17trampoline_kernelINS0_14default_configENS1_27scan_by_key_config_selectorIj11FixedVectorIiLj1EEEEZZNS1_16scan_by_key_implILNS1_25lookback_scan_determinismE0ELb0ES3_N6thrust23THRUST_200600_302600_NS6detail15normal_iteratorINSB_10device_ptrIjEEEENSD_INSE_IS6_EEEESI_S6_NSB_4plusIvEENSB_8equal_toIvEES6_EE10hipError_tPvRmT2_T3_T4_T5_mT6_T7_P12ihipStream_tbENKUlT_T0_E_clISt17integral_constantIbLb0EES12_IbLb1EEEEDaSY_SZ_EUlSY_E_NS1_11comp_targetILNS1_3genE8ELNS1_11target_archE1030ELNS1_3gpuE2ELNS1_3repE0EEENS1_30default_config_static_selectorELNS0_4arch9wavefront6targetE1EEEvT1_
		.amdhsa_group_segment_fixed_size 0
		.amdhsa_private_segment_fixed_size 0
		.amdhsa_kernarg_size 112
		.amdhsa_user_sgpr_count 6
		.amdhsa_user_sgpr_private_segment_buffer 1
		.amdhsa_user_sgpr_dispatch_ptr 0
		.amdhsa_user_sgpr_queue_ptr 0
		.amdhsa_user_sgpr_kernarg_segment_ptr 1
		.amdhsa_user_sgpr_dispatch_id 0
		.amdhsa_user_sgpr_flat_scratch_init 0
		.amdhsa_user_sgpr_kernarg_preload_length 0
		.amdhsa_user_sgpr_kernarg_preload_offset 0
		.amdhsa_user_sgpr_private_segment_size 0
		.amdhsa_uses_dynamic_stack 0
		.amdhsa_system_sgpr_private_segment_wavefront_offset 0
		.amdhsa_system_sgpr_workgroup_id_x 1
		.amdhsa_system_sgpr_workgroup_id_y 0
		.amdhsa_system_sgpr_workgroup_id_z 0
		.amdhsa_system_sgpr_workgroup_info 0
		.amdhsa_system_vgpr_workitem_id 0
		.amdhsa_next_free_vgpr 1
		.amdhsa_next_free_sgpr 0
		.amdhsa_accum_offset 4
		.amdhsa_reserve_vcc 0
		.amdhsa_reserve_flat_scratch 0
		.amdhsa_float_round_mode_32 0
		.amdhsa_float_round_mode_16_64 0
		.amdhsa_float_denorm_mode_32 3
		.amdhsa_float_denorm_mode_16_64 3
		.amdhsa_dx10_clamp 1
		.amdhsa_ieee_mode 1
		.amdhsa_fp16_overflow 0
		.amdhsa_tg_split 0
		.amdhsa_exception_fp_ieee_invalid_op 0
		.amdhsa_exception_fp_denorm_src 0
		.amdhsa_exception_fp_ieee_div_zero 0
		.amdhsa_exception_fp_ieee_overflow 0
		.amdhsa_exception_fp_ieee_underflow 0
		.amdhsa_exception_fp_ieee_inexact 0
		.amdhsa_exception_int_div_zero 0
	.end_amdhsa_kernel
	.section	.text._ZN7rocprim17ROCPRIM_400000_NS6detail17trampoline_kernelINS0_14default_configENS1_27scan_by_key_config_selectorIj11FixedVectorIiLj1EEEEZZNS1_16scan_by_key_implILNS1_25lookback_scan_determinismE0ELb0ES3_N6thrust23THRUST_200600_302600_NS6detail15normal_iteratorINSB_10device_ptrIjEEEENSD_INSE_IS6_EEEESI_S6_NSB_4plusIvEENSB_8equal_toIvEES6_EE10hipError_tPvRmT2_T3_T4_T5_mT6_T7_P12ihipStream_tbENKUlT_T0_E_clISt17integral_constantIbLb0EES12_IbLb1EEEEDaSY_SZ_EUlSY_E_NS1_11comp_targetILNS1_3genE8ELNS1_11target_archE1030ELNS1_3gpuE2ELNS1_3repE0EEENS1_30default_config_static_selectorELNS0_4arch9wavefront6targetE1EEEvT1_,"axG",@progbits,_ZN7rocprim17ROCPRIM_400000_NS6detail17trampoline_kernelINS0_14default_configENS1_27scan_by_key_config_selectorIj11FixedVectorIiLj1EEEEZZNS1_16scan_by_key_implILNS1_25lookback_scan_determinismE0ELb0ES3_N6thrust23THRUST_200600_302600_NS6detail15normal_iteratorINSB_10device_ptrIjEEEENSD_INSE_IS6_EEEESI_S6_NSB_4plusIvEENSB_8equal_toIvEES6_EE10hipError_tPvRmT2_T3_T4_T5_mT6_T7_P12ihipStream_tbENKUlT_T0_E_clISt17integral_constantIbLb0EES12_IbLb1EEEEDaSY_SZ_EUlSY_E_NS1_11comp_targetILNS1_3genE8ELNS1_11target_archE1030ELNS1_3gpuE2ELNS1_3repE0EEENS1_30default_config_static_selectorELNS0_4arch9wavefront6targetE1EEEvT1_,comdat
.Lfunc_end1910:
	.size	_ZN7rocprim17ROCPRIM_400000_NS6detail17trampoline_kernelINS0_14default_configENS1_27scan_by_key_config_selectorIj11FixedVectorIiLj1EEEEZZNS1_16scan_by_key_implILNS1_25lookback_scan_determinismE0ELb0ES3_N6thrust23THRUST_200600_302600_NS6detail15normal_iteratorINSB_10device_ptrIjEEEENSD_INSE_IS6_EEEESI_S6_NSB_4plusIvEENSB_8equal_toIvEES6_EE10hipError_tPvRmT2_T3_T4_T5_mT6_T7_P12ihipStream_tbENKUlT_T0_E_clISt17integral_constantIbLb0EES12_IbLb1EEEEDaSY_SZ_EUlSY_E_NS1_11comp_targetILNS1_3genE8ELNS1_11target_archE1030ELNS1_3gpuE2ELNS1_3repE0EEENS1_30default_config_static_selectorELNS0_4arch9wavefront6targetE1EEEvT1_, .Lfunc_end1910-_ZN7rocprim17ROCPRIM_400000_NS6detail17trampoline_kernelINS0_14default_configENS1_27scan_by_key_config_selectorIj11FixedVectorIiLj1EEEEZZNS1_16scan_by_key_implILNS1_25lookback_scan_determinismE0ELb0ES3_N6thrust23THRUST_200600_302600_NS6detail15normal_iteratorINSB_10device_ptrIjEEEENSD_INSE_IS6_EEEESI_S6_NSB_4plusIvEENSB_8equal_toIvEES6_EE10hipError_tPvRmT2_T3_T4_T5_mT6_T7_P12ihipStream_tbENKUlT_T0_E_clISt17integral_constantIbLb0EES12_IbLb1EEEEDaSY_SZ_EUlSY_E_NS1_11comp_targetILNS1_3genE8ELNS1_11target_archE1030ELNS1_3gpuE2ELNS1_3repE0EEENS1_30default_config_static_selectorELNS0_4arch9wavefront6targetE1EEEvT1_
                                        ; -- End function
	.section	.AMDGPU.csdata,"",@progbits
; Kernel info:
; codeLenInByte = 0
; NumSgprs: 4
; NumVgprs: 0
; NumAgprs: 0
; TotalNumVgprs: 0
; ScratchSize: 0
; MemoryBound: 0
; FloatMode: 240
; IeeeMode: 1
; LDSByteSize: 0 bytes/workgroup (compile time only)
; SGPRBlocks: 0
; VGPRBlocks: 0
; NumSGPRsForWavesPerEU: 4
; NumVGPRsForWavesPerEU: 1
; AccumOffset: 4
; Occupancy: 8
; WaveLimiterHint : 0
; COMPUTE_PGM_RSRC2:SCRATCH_EN: 0
; COMPUTE_PGM_RSRC2:USER_SGPR: 6
; COMPUTE_PGM_RSRC2:TRAP_HANDLER: 0
; COMPUTE_PGM_RSRC2:TGID_X_EN: 1
; COMPUTE_PGM_RSRC2:TGID_Y_EN: 0
; COMPUTE_PGM_RSRC2:TGID_Z_EN: 0
; COMPUTE_PGM_RSRC2:TIDIG_COMP_CNT: 0
; COMPUTE_PGM_RSRC3_GFX90A:ACCUM_OFFSET: 0
; COMPUTE_PGM_RSRC3_GFX90A:TG_SPLIT: 0
	.section	.text._ZN7rocprim17ROCPRIM_400000_NS6detail17trampoline_kernelINS0_14default_configENS1_27scan_by_key_config_selectorIj11FixedVectorIiLj1EEEEZZNS1_16scan_by_key_implILNS1_25lookback_scan_determinismE0ELb1ES3_N6thrust23THRUST_200600_302600_NS6detail15normal_iteratorINSB_10device_ptrIjEEEENSD_INSE_IS6_EEEESI_S6_NSB_4plusIvEENSB_8equal_toIvEES6_EE10hipError_tPvRmT2_T3_T4_T5_mT6_T7_P12ihipStream_tbENKUlT_T0_E_clISt17integral_constantIbLb0EES13_EEDaSY_SZ_EUlSY_E_NS1_11comp_targetILNS1_3genE0ELNS1_11target_archE4294967295ELNS1_3gpuE0ELNS1_3repE0EEENS1_30default_config_static_selectorELNS0_4arch9wavefront6targetE1EEEvT1_,"axG",@progbits,_ZN7rocprim17ROCPRIM_400000_NS6detail17trampoline_kernelINS0_14default_configENS1_27scan_by_key_config_selectorIj11FixedVectorIiLj1EEEEZZNS1_16scan_by_key_implILNS1_25lookback_scan_determinismE0ELb1ES3_N6thrust23THRUST_200600_302600_NS6detail15normal_iteratorINSB_10device_ptrIjEEEENSD_INSE_IS6_EEEESI_S6_NSB_4plusIvEENSB_8equal_toIvEES6_EE10hipError_tPvRmT2_T3_T4_T5_mT6_T7_P12ihipStream_tbENKUlT_T0_E_clISt17integral_constantIbLb0EES13_EEDaSY_SZ_EUlSY_E_NS1_11comp_targetILNS1_3genE0ELNS1_11target_archE4294967295ELNS1_3gpuE0ELNS1_3repE0EEENS1_30default_config_static_selectorELNS0_4arch9wavefront6targetE1EEEvT1_,comdat
	.protected	_ZN7rocprim17ROCPRIM_400000_NS6detail17trampoline_kernelINS0_14default_configENS1_27scan_by_key_config_selectorIj11FixedVectorIiLj1EEEEZZNS1_16scan_by_key_implILNS1_25lookback_scan_determinismE0ELb1ES3_N6thrust23THRUST_200600_302600_NS6detail15normal_iteratorINSB_10device_ptrIjEEEENSD_INSE_IS6_EEEESI_S6_NSB_4plusIvEENSB_8equal_toIvEES6_EE10hipError_tPvRmT2_T3_T4_T5_mT6_T7_P12ihipStream_tbENKUlT_T0_E_clISt17integral_constantIbLb0EES13_EEDaSY_SZ_EUlSY_E_NS1_11comp_targetILNS1_3genE0ELNS1_11target_archE4294967295ELNS1_3gpuE0ELNS1_3repE0EEENS1_30default_config_static_selectorELNS0_4arch9wavefront6targetE1EEEvT1_ ; -- Begin function _ZN7rocprim17ROCPRIM_400000_NS6detail17trampoline_kernelINS0_14default_configENS1_27scan_by_key_config_selectorIj11FixedVectorIiLj1EEEEZZNS1_16scan_by_key_implILNS1_25lookback_scan_determinismE0ELb1ES3_N6thrust23THRUST_200600_302600_NS6detail15normal_iteratorINSB_10device_ptrIjEEEENSD_INSE_IS6_EEEESI_S6_NSB_4plusIvEENSB_8equal_toIvEES6_EE10hipError_tPvRmT2_T3_T4_T5_mT6_T7_P12ihipStream_tbENKUlT_T0_E_clISt17integral_constantIbLb0EES13_EEDaSY_SZ_EUlSY_E_NS1_11comp_targetILNS1_3genE0ELNS1_11target_archE4294967295ELNS1_3gpuE0ELNS1_3repE0EEENS1_30default_config_static_selectorELNS0_4arch9wavefront6targetE1EEEvT1_
	.globl	_ZN7rocprim17ROCPRIM_400000_NS6detail17trampoline_kernelINS0_14default_configENS1_27scan_by_key_config_selectorIj11FixedVectorIiLj1EEEEZZNS1_16scan_by_key_implILNS1_25lookback_scan_determinismE0ELb1ES3_N6thrust23THRUST_200600_302600_NS6detail15normal_iteratorINSB_10device_ptrIjEEEENSD_INSE_IS6_EEEESI_S6_NSB_4plusIvEENSB_8equal_toIvEES6_EE10hipError_tPvRmT2_T3_T4_T5_mT6_T7_P12ihipStream_tbENKUlT_T0_E_clISt17integral_constantIbLb0EES13_EEDaSY_SZ_EUlSY_E_NS1_11comp_targetILNS1_3genE0ELNS1_11target_archE4294967295ELNS1_3gpuE0ELNS1_3repE0EEENS1_30default_config_static_selectorELNS0_4arch9wavefront6targetE1EEEvT1_
	.p2align	8
	.type	_ZN7rocprim17ROCPRIM_400000_NS6detail17trampoline_kernelINS0_14default_configENS1_27scan_by_key_config_selectorIj11FixedVectorIiLj1EEEEZZNS1_16scan_by_key_implILNS1_25lookback_scan_determinismE0ELb1ES3_N6thrust23THRUST_200600_302600_NS6detail15normal_iteratorINSB_10device_ptrIjEEEENSD_INSE_IS6_EEEESI_S6_NSB_4plusIvEENSB_8equal_toIvEES6_EE10hipError_tPvRmT2_T3_T4_T5_mT6_T7_P12ihipStream_tbENKUlT_T0_E_clISt17integral_constantIbLb0EES13_EEDaSY_SZ_EUlSY_E_NS1_11comp_targetILNS1_3genE0ELNS1_11target_archE4294967295ELNS1_3gpuE0ELNS1_3repE0EEENS1_30default_config_static_selectorELNS0_4arch9wavefront6targetE1EEEvT1_,@function
_ZN7rocprim17ROCPRIM_400000_NS6detail17trampoline_kernelINS0_14default_configENS1_27scan_by_key_config_selectorIj11FixedVectorIiLj1EEEEZZNS1_16scan_by_key_implILNS1_25lookback_scan_determinismE0ELb1ES3_N6thrust23THRUST_200600_302600_NS6detail15normal_iteratorINSB_10device_ptrIjEEEENSD_INSE_IS6_EEEESI_S6_NSB_4plusIvEENSB_8equal_toIvEES6_EE10hipError_tPvRmT2_T3_T4_T5_mT6_T7_P12ihipStream_tbENKUlT_T0_E_clISt17integral_constantIbLb0EES13_EEDaSY_SZ_EUlSY_E_NS1_11comp_targetILNS1_3genE0ELNS1_11target_archE4294967295ELNS1_3gpuE0ELNS1_3repE0EEENS1_30default_config_static_selectorELNS0_4arch9wavefront6targetE1EEEvT1_: ; @_ZN7rocprim17ROCPRIM_400000_NS6detail17trampoline_kernelINS0_14default_configENS1_27scan_by_key_config_selectorIj11FixedVectorIiLj1EEEEZZNS1_16scan_by_key_implILNS1_25lookback_scan_determinismE0ELb1ES3_N6thrust23THRUST_200600_302600_NS6detail15normal_iteratorINSB_10device_ptrIjEEEENSD_INSE_IS6_EEEESI_S6_NSB_4plusIvEENSB_8equal_toIvEES6_EE10hipError_tPvRmT2_T3_T4_T5_mT6_T7_P12ihipStream_tbENKUlT_T0_E_clISt17integral_constantIbLb0EES13_EEDaSY_SZ_EUlSY_E_NS1_11comp_targetILNS1_3genE0ELNS1_11target_archE4294967295ELNS1_3gpuE0ELNS1_3repE0EEENS1_30default_config_static_selectorELNS0_4arch9wavefront6targetE1EEEvT1_
; %bb.0:
	.section	.rodata,"a",@progbits
	.p2align	6, 0x0
	.amdhsa_kernel _ZN7rocprim17ROCPRIM_400000_NS6detail17trampoline_kernelINS0_14default_configENS1_27scan_by_key_config_selectorIj11FixedVectorIiLj1EEEEZZNS1_16scan_by_key_implILNS1_25lookback_scan_determinismE0ELb1ES3_N6thrust23THRUST_200600_302600_NS6detail15normal_iteratorINSB_10device_ptrIjEEEENSD_INSE_IS6_EEEESI_S6_NSB_4plusIvEENSB_8equal_toIvEES6_EE10hipError_tPvRmT2_T3_T4_T5_mT6_T7_P12ihipStream_tbENKUlT_T0_E_clISt17integral_constantIbLb0EES13_EEDaSY_SZ_EUlSY_E_NS1_11comp_targetILNS1_3genE0ELNS1_11target_archE4294967295ELNS1_3gpuE0ELNS1_3repE0EEENS1_30default_config_static_selectorELNS0_4arch9wavefront6targetE1EEEvT1_
		.amdhsa_group_segment_fixed_size 0
		.amdhsa_private_segment_fixed_size 0
		.amdhsa_kernarg_size 112
		.amdhsa_user_sgpr_count 6
		.amdhsa_user_sgpr_private_segment_buffer 1
		.amdhsa_user_sgpr_dispatch_ptr 0
		.amdhsa_user_sgpr_queue_ptr 0
		.amdhsa_user_sgpr_kernarg_segment_ptr 1
		.amdhsa_user_sgpr_dispatch_id 0
		.amdhsa_user_sgpr_flat_scratch_init 0
		.amdhsa_user_sgpr_kernarg_preload_length 0
		.amdhsa_user_sgpr_kernarg_preload_offset 0
		.amdhsa_user_sgpr_private_segment_size 0
		.amdhsa_uses_dynamic_stack 0
		.amdhsa_system_sgpr_private_segment_wavefront_offset 0
		.amdhsa_system_sgpr_workgroup_id_x 1
		.amdhsa_system_sgpr_workgroup_id_y 0
		.amdhsa_system_sgpr_workgroup_id_z 0
		.amdhsa_system_sgpr_workgroup_info 0
		.amdhsa_system_vgpr_workitem_id 0
		.amdhsa_next_free_vgpr 1
		.amdhsa_next_free_sgpr 0
		.amdhsa_accum_offset 4
		.amdhsa_reserve_vcc 0
		.amdhsa_reserve_flat_scratch 0
		.amdhsa_float_round_mode_32 0
		.amdhsa_float_round_mode_16_64 0
		.amdhsa_float_denorm_mode_32 3
		.amdhsa_float_denorm_mode_16_64 3
		.amdhsa_dx10_clamp 1
		.amdhsa_ieee_mode 1
		.amdhsa_fp16_overflow 0
		.amdhsa_tg_split 0
		.amdhsa_exception_fp_ieee_invalid_op 0
		.amdhsa_exception_fp_denorm_src 0
		.amdhsa_exception_fp_ieee_div_zero 0
		.amdhsa_exception_fp_ieee_overflow 0
		.amdhsa_exception_fp_ieee_underflow 0
		.amdhsa_exception_fp_ieee_inexact 0
		.amdhsa_exception_int_div_zero 0
	.end_amdhsa_kernel
	.section	.text._ZN7rocprim17ROCPRIM_400000_NS6detail17trampoline_kernelINS0_14default_configENS1_27scan_by_key_config_selectorIj11FixedVectorIiLj1EEEEZZNS1_16scan_by_key_implILNS1_25lookback_scan_determinismE0ELb1ES3_N6thrust23THRUST_200600_302600_NS6detail15normal_iteratorINSB_10device_ptrIjEEEENSD_INSE_IS6_EEEESI_S6_NSB_4plusIvEENSB_8equal_toIvEES6_EE10hipError_tPvRmT2_T3_T4_T5_mT6_T7_P12ihipStream_tbENKUlT_T0_E_clISt17integral_constantIbLb0EES13_EEDaSY_SZ_EUlSY_E_NS1_11comp_targetILNS1_3genE0ELNS1_11target_archE4294967295ELNS1_3gpuE0ELNS1_3repE0EEENS1_30default_config_static_selectorELNS0_4arch9wavefront6targetE1EEEvT1_,"axG",@progbits,_ZN7rocprim17ROCPRIM_400000_NS6detail17trampoline_kernelINS0_14default_configENS1_27scan_by_key_config_selectorIj11FixedVectorIiLj1EEEEZZNS1_16scan_by_key_implILNS1_25lookback_scan_determinismE0ELb1ES3_N6thrust23THRUST_200600_302600_NS6detail15normal_iteratorINSB_10device_ptrIjEEEENSD_INSE_IS6_EEEESI_S6_NSB_4plusIvEENSB_8equal_toIvEES6_EE10hipError_tPvRmT2_T3_T4_T5_mT6_T7_P12ihipStream_tbENKUlT_T0_E_clISt17integral_constantIbLb0EES13_EEDaSY_SZ_EUlSY_E_NS1_11comp_targetILNS1_3genE0ELNS1_11target_archE4294967295ELNS1_3gpuE0ELNS1_3repE0EEENS1_30default_config_static_selectorELNS0_4arch9wavefront6targetE1EEEvT1_,comdat
.Lfunc_end1911:
	.size	_ZN7rocprim17ROCPRIM_400000_NS6detail17trampoline_kernelINS0_14default_configENS1_27scan_by_key_config_selectorIj11FixedVectorIiLj1EEEEZZNS1_16scan_by_key_implILNS1_25lookback_scan_determinismE0ELb1ES3_N6thrust23THRUST_200600_302600_NS6detail15normal_iteratorINSB_10device_ptrIjEEEENSD_INSE_IS6_EEEESI_S6_NSB_4plusIvEENSB_8equal_toIvEES6_EE10hipError_tPvRmT2_T3_T4_T5_mT6_T7_P12ihipStream_tbENKUlT_T0_E_clISt17integral_constantIbLb0EES13_EEDaSY_SZ_EUlSY_E_NS1_11comp_targetILNS1_3genE0ELNS1_11target_archE4294967295ELNS1_3gpuE0ELNS1_3repE0EEENS1_30default_config_static_selectorELNS0_4arch9wavefront6targetE1EEEvT1_, .Lfunc_end1911-_ZN7rocprim17ROCPRIM_400000_NS6detail17trampoline_kernelINS0_14default_configENS1_27scan_by_key_config_selectorIj11FixedVectorIiLj1EEEEZZNS1_16scan_by_key_implILNS1_25lookback_scan_determinismE0ELb1ES3_N6thrust23THRUST_200600_302600_NS6detail15normal_iteratorINSB_10device_ptrIjEEEENSD_INSE_IS6_EEEESI_S6_NSB_4plusIvEENSB_8equal_toIvEES6_EE10hipError_tPvRmT2_T3_T4_T5_mT6_T7_P12ihipStream_tbENKUlT_T0_E_clISt17integral_constantIbLb0EES13_EEDaSY_SZ_EUlSY_E_NS1_11comp_targetILNS1_3genE0ELNS1_11target_archE4294967295ELNS1_3gpuE0ELNS1_3repE0EEENS1_30default_config_static_selectorELNS0_4arch9wavefront6targetE1EEEvT1_
                                        ; -- End function
	.section	.AMDGPU.csdata,"",@progbits
; Kernel info:
; codeLenInByte = 0
; NumSgprs: 4
; NumVgprs: 0
; NumAgprs: 0
; TotalNumVgprs: 0
; ScratchSize: 0
; MemoryBound: 0
; FloatMode: 240
; IeeeMode: 1
; LDSByteSize: 0 bytes/workgroup (compile time only)
; SGPRBlocks: 0
; VGPRBlocks: 0
; NumSGPRsForWavesPerEU: 4
; NumVGPRsForWavesPerEU: 1
; AccumOffset: 4
; Occupancy: 8
; WaveLimiterHint : 0
; COMPUTE_PGM_RSRC2:SCRATCH_EN: 0
; COMPUTE_PGM_RSRC2:USER_SGPR: 6
; COMPUTE_PGM_RSRC2:TRAP_HANDLER: 0
; COMPUTE_PGM_RSRC2:TGID_X_EN: 1
; COMPUTE_PGM_RSRC2:TGID_Y_EN: 0
; COMPUTE_PGM_RSRC2:TGID_Z_EN: 0
; COMPUTE_PGM_RSRC2:TIDIG_COMP_CNT: 0
; COMPUTE_PGM_RSRC3_GFX90A:ACCUM_OFFSET: 0
; COMPUTE_PGM_RSRC3_GFX90A:TG_SPLIT: 0
	.section	.text._ZN7rocprim17ROCPRIM_400000_NS6detail17trampoline_kernelINS0_14default_configENS1_27scan_by_key_config_selectorIj11FixedVectorIiLj1EEEEZZNS1_16scan_by_key_implILNS1_25lookback_scan_determinismE0ELb1ES3_N6thrust23THRUST_200600_302600_NS6detail15normal_iteratorINSB_10device_ptrIjEEEENSD_INSE_IS6_EEEESI_S6_NSB_4plusIvEENSB_8equal_toIvEES6_EE10hipError_tPvRmT2_T3_T4_T5_mT6_T7_P12ihipStream_tbENKUlT_T0_E_clISt17integral_constantIbLb0EES13_EEDaSY_SZ_EUlSY_E_NS1_11comp_targetILNS1_3genE10ELNS1_11target_archE1201ELNS1_3gpuE5ELNS1_3repE0EEENS1_30default_config_static_selectorELNS0_4arch9wavefront6targetE1EEEvT1_,"axG",@progbits,_ZN7rocprim17ROCPRIM_400000_NS6detail17trampoline_kernelINS0_14default_configENS1_27scan_by_key_config_selectorIj11FixedVectorIiLj1EEEEZZNS1_16scan_by_key_implILNS1_25lookback_scan_determinismE0ELb1ES3_N6thrust23THRUST_200600_302600_NS6detail15normal_iteratorINSB_10device_ptrIjEEEENSD_INSE_IS6_EEEESI_S6_NSB_4plusIvEENSB_8equal_toIvEES6_EE10hipError_tPvRmT2_T3_T4_T5_mT6_T7_P12ihipStream_tbENKUlT_T0_E_clISt17integral_constantIbLb0EES13_EEDaSY_SZ_EUlSY_E_NS1_11comp_targetILNS1_3genE10ELNS1_11target_archE1201ELNS1_3gpuE5ELNS1_3repE0EEENS1_30default_config_static_selectorELNS0_4arch9wavefront6targetE1EEEvT1_,comdat
	.protected	_ZN7rocprim17ROCPRIM_400000_NS6detail17trampoline_kernelINS0_14default_configENS1_27scan_by_key_config_selectorIj11FixedVectorIiLj1EEEEZZNS1_16scan_by_key_implILNS1_25lookback_scan_determinismE0ELb1ES3_N6thrust23THRUST_200600_302600_NS6detail15normal_iteratorINSB_10device_ptrIjEEEENSD_INSE_IS6_EEEESI_S6_NSB_4plusIvEENSB_8equal_toIvEES6_EE10hipError_tPvRmT2_T3_T4_T5_mT6_T7_P12ihipStream_tbENKUlT_T0_E_clISt17integral_constantIbLb0EES13_EEDaSY_SZ_EUlSY_E_NS1_11comp_targetILNS1_3genE10ELNS1_11target_archE1201ELNS1_3gpuE5ELNS1_3repE0EEENS1_30default_config_static_selectorELNS0_4arch9wavefront6targetE1EEEvT1_ ; -- Begin function _ZN7rocprim17ROCPRIM_400000_NS6detail17trampoline_kernelINS0_14default_configENS1_27scan_by_key_config_selectorIj11FixedVectorIiLj1EEEEZZNS1_16scan_by_key_implILNS1_25lookback_scan_determinismE0ELb1ES3_N6thrust23THRUST_200600_302600_NS6detail15normal_iteratorINSB_10device_ptrIjEEEENSD_INSE_IS6_EEEESI_S6_NSB_4plusIvEENSB_8equal_toIvEES6_EE10hipError_tPvRmT2_T3_T4_T5_mT6_T7_P12ihipStream_tbENKUlT_T0_E_clISt17integral_constantIbLb0EES13_EEDaSY_SZ_EUlSY_E_NS1_11comp_targetILNS1_3genE10ELNS1_11target_archE1201ELNS1_3gpuE5ELNS1_3repE0EEENS1_30default_config_static_selectorELNS0_4arch9wavefront6targetE1EEEvT1_
	.globl	_ZN7rocprim17ROCPRIM_400000_NS6detail17trampoline_kernelINS0_14default_configENS1_27scan_by_key_config_selectorIj11FixedVectorIiLj1EEEEZZNS1_16scan_by_key_implILNS1_25lookback_scan_determinismE0ELb1ES3_N6thrust23THRUST_200600_302600_NS6detail15normal_iteratorINSB_10device_ptrIjEEEENSD_INSE_IS6_EEEESI_S6_NSB_4plusIvEENSB_8equal_toIvEES6_EE10hipError_tPvRmT2_T3_T4_T5_mT6_T7_P12ihipStream_tbENKUlT_T0_E_clISt17integral_constantIbLb0EES13_EEDaSY_SZ_EUlSY_E_NS1_11comp_targetILNS1_3genE10ELNS1_11target_archE1201ELNS1_3gpuE5ELNS1_3repE0EEENS1_30default_config_static_selectorELNS0_4arch9wavefront6targetE1EEEvT1_
	.p2align	8
	.type	_ZN7rocprim17ROCPRIM_400000_NS6detail17trampoline_kernelINS0_14default_configENS1_27scan_by_key_config_selectorIj11FixedVectorIiLj1EEEEZZNS1_16scan_by_key_implILNS1_25lookback_scan_determinismE0ELb1ES3_N6thrust23THRUST_200600_302600_NS6detail15normal_iteratorINSB_10device_ptrIjEEEENSD_INSE_IS6_EEEESI_S6_NSB_4plusIvEENSB_8equal_toIvEES6_EE10hipError_tPvRmT2_T3_T4_T5_mT6_T7_P12ihipStream_tbENKUlT_T0_E_clISt17integral_constantIbLb0EES13_EEDaSY_SZ_EUlSY_E_NS1_11comp_targetILNS1_3genE10ELNS1_11target_archE1201ELNS1_3gpuE5ELNS1_3repE0EEENS1_30default_config_static_selectorELNS0_4arch9wavefront6targetE1EEEvT1_,@function
_ZN7rocprim17ROCPRIM_400000_NS6detail17trampoline_kernelINS0_14default_configENS1_27scan_by_key_config_selectorIj11FixedVectorIiLj1EEEEZZNS1_16scan_by_key_implILNS1_25lookback_scan_determinismE0ELb1ES3_N6thrust23THRUST_200600_302600_NS6detail15normal_iteratorINSB_10device_ptrIjEEEENSD_INSE_IS6_EEEESI_S6_NSB_4plusIvEENSB_8equal_toIvEES6_EE10hipError_tPvRmT2_T3_T4_T5_mT6_T7_P12ihipStream_tbENKUlT_T0_E_clISt17integral_constantIbLb0EES13_EEDaSY_SZ_EUlSY_E_NS1_11comp_targetILNS1_3genE10ELNS1_11target_archE1201ELNS1_3gpuE5ELNS1_3repE0EEENS1_30default_config_static_selectorELNS0_4arch9wavefront6targetE1EEEvT1_: ; @_ZN7rocprim17ROCPRIM_400000_NS6detail17trampoline_kernelINS0_14default_configENS1_27scan_by_key_config_selectorIj11FixedVectorIiLj1EEEEZZNS1_16scan_by_key_implILNS1_25lookback_scan_determinismE0ELb1ES3_N6thrust23THRUST_200600_302600_NS6detail15normal_iteratorINSB_10device_ptrIjEEEENSD_INSE_IS6_EEEESI_S6_NSB_4plusIvEENSB_8equal_toIvEES6_EE10hipError_tPvRmT2_T3_T4_T5_mT6_T7_P12ihipStream_tbENKUlT_T0_E_clISt17integral_constantIbLb0EES13_EEDaSY_SZ_EUlSY_E_NS1_11comp_targetILNS1_3genE10ELNS1_11target_archE1201ELNS1_3gpuE5ELNS1_3repE0EEENS1_30default_config_static_selectorELNS0_4arch9wavefront6targetE1EEEvT1_
; %bb.0:
	.section	.rodata,"a",@progbits
	.p2align	6, 0x0
	.amdhsa_kernel _ZN7rocprim17ROCPRIM_400000_NS6detail17trampoline_kernelINS0_14default_configENS1_27scan_by_key_config_selectorIj11FixedVectorIiLj1EEEEZZNS1_16scan_by_key_implILNS1_25lookback_scan_determinismE0ELb1ES3_N6thrust23THRUST_200600_302600_NS6detail15normal_iteratorINSB_10device_ptrIjEEEENSD_INSE_IS6_EEEESI_S6_NSB_4plusIvEENSB_8equal_toIvEES6_EE10hipError_tPvRmT2_T3_T4_T5_mT6_T7_P12ihipStream_tbENKUlT_T0_E_clISt17integral_constantIbLb0EES13_EEDaSY_SZ_EUlSY_E_NS1_11comp_targetILNS1_3genE10ELNS1_11target_archE1201ELNS1_3gpuE5ELNS1_3repE0EEENS1_30default_config_static_selectorELNS0_4arch9wavefront6targetE1EEEvT1_
		.amdhsa_group_segment_fixed_size 0
		.amdhsa_private_segment_fixed_size 0
		.amdhsa_kernarg_size 112
		.amdhsa_user_sgpr_count 6
		.amdhsa_user_sgpr_private_segment_buffer 1
		.amdhsa_user_sgpr_dispatch_ptr 0
		.amdhsa_user_sgpr_queue_ptr 0
		.amdhsa_user_sgpr_kernarg_segment_ptr 1
		.amdhsa_user_sgpr_dispatch_id 0
		.amdhsa_user_sgpr_flat_scratch_init 0
		.amdhsa_user_sgpr_kernarg_preload_length 0
		.amdhsa_user_sgpr_kernarg_preload_offset 0
		.amdhsa_user_sgpr_private_segment_size 0
		.amdhsa_uses_dynamic_stack 0
		.amdhsa_system_sgpr_private_segment_wavefront_offset 0
		.amdhsa_system_sgpr_workgroup_id_x 1
		.amdhsa_system_sgpr_workgroup_id_y 0
		.amdhsa_system_sgpr_workgroup_id_z 0
		.amdhsa_system_sgpr_workgroup_info 0
		.amdhsa_system_vgpr_workitem_id 0
		.amdhsa_next_free_vgpr 1
		.amdhsa_next_free_sgpr 0
		.amdhsa_accum_offset 4
		.amdhsa_reserve_vcc 0
		.amdhsa_reserve_flat_scratch 0
		.amdhsa_float_round_mode_32 0
		.amdhsa_float_round_mode_16_64 0
		.amdhsa_float_denorm_mode_32 3
		.amdhsa_float_denorm_mode_16_64 3
		.amdhsa_dx10_clamp 1
		.amdhsa_ieee_mode 1
		.amdhsa_fp16_overflow 0
		.amdhsa_tg_split 0
		.amdhsa_exception_fp_ieee_invalid_op 0
		.amdhsa_exception_fp_denorm_src 0
		.amdhsa_exception_fp_ieee_div_zero 0
		.amdhsa_exception_fp_ieee_overflow 0
		.amdhsa_exception_fp_ieee_underflow 0
		.amdhsa_exception_fp_ieee_inexact 0
		.amdhsa_exception_int_div_zero 0
	.end_amdhsa_kernel
	.section	.text._ZN7rocprim17ROCPRIM_400000_NS6detail17trampoline_kernelINS0_14default_configENS1_27scan_by_key_config_selectorIj11FixedVectorIiLj1EEEEZZNS1_16scan_by_key_implILNS1_25lookback_scan_determinismE0ELb1ES3_N6thrust23THRUST_200600_302600_NS6detail15normal_iteratorINSB_10device_ptrIjEEEENSD_INSE_IS6_EEEESI_S6_NSB_4plusIvEENSB_8equal_toIvEES6_EE10hipError_tPvRmT2_T3_T4_T5_mT6_T7_P12ihipStream_tbENKUlT_T0_E_clISt17integral_constantIbLb0EES13_EEDaSY_SZ_EUlSY_E_NS1_11comp_targetILNS1_3genE10ELNS1_11target_archE1201ELNS1_3gpuE5ELNS1_3repE0EEENS1_30default_config_static_selectorELNS0_4arch9wavefront6targetE1EEEvT1_,"axG",@progbits,_ZN7rocprim17ROCPRIM_400000_NS6detail17trampoline_kernelINS0_14default_configENS1_27scan_by_key_config_selectorIj11FixedVectorIiLj1EEEEZZNS1_16scan_by_key_implILNS1_25lookback_scan_determinismE0ELb1ES3_N6thrust23THRUST_200600_302600_NS6detail15normal_iteratorINSB_10device_ptrIjEEEENSD_INSE_IS6_EEEESI_S6_NSB_4plusIvEENSB_8equal_toIvEES6_EE10hipError_tPvRmT2_T3_T4_T5_mT6_T7_P12ihipStream_tbENKUlT_T0_E_clISt17integral_constantIbLb0EES13_EEDaSY_SZ_EUlSY_E_NS1_11comp_targetILNS1_3genE10ELNS1_11target_archE1201ELNS1_3gpuE5ELNS1_3repE0EEENS1_30default_config_static_selectorELNS0_4arch9wavefront6targetE1EEEvT1_,comdat
.Lfunc_end1912:
	.size	_ZN7rocprim17ROCPRIM_400000_NS6detail17trampoline_kernelINS0_14default_configENS1_27scan_by_key_config_selectorIj11FixedVectorIiLj1EEEEZZNS1_16scan_by_key_implILNS1_25lookback_scan_determinismE0ELb1ES3_N6thrust23THRUST_200600_302600_NS6detail15normal_iteratorINSB_10device_ptrIjEEEENSD_INSE_IS6_EEEESI_S6_NSB_4plusIvEENSB_8equal_toIvEES6_EE10hipError_tPvRmT2_T3_T4_T5_mT6_T7_P12ihipStream_tbENKUlT_T0_E_clISt17integral_constantIbLb0EES13_EEDaSY_SZ_EUlSY_E_NS1_11comp_targetILNS1_3genE10ELNS1_11target_archE1201ELNS1_3gpuE5ELNS1_3repE0EEENS1_30default_config_static_selectorELNS0_4arch9wavefront6targetE1EEEvT1_, .Lfunc_end1912-_ZN7rocprim17ROCPRIM_400000_NS6detail17trampoline_kernelINS0_14default_configENS1_27scan_by_key_config_selectorIj11FixedVectorIiLj1EEEEZZNS1_16scan_by_key_implILNS1_25lookback_scan_determinismE0ELb1ES3_N6thrust23THRUST_200600_302600_NS6detail15normal_iteratorINSB_10device_ptrIjEEEENSD_INSE_IS6_EEEESI_S6_NSB_4plusIvEENSB_8equal_toIvEES6_EE10hipError_tPvRmT2_T3_T4_T5_mT6_T7_P12ihipStream_tbENKUlT_T0_E_clISt17integral_constantIbLb0EES13_EEDaSY_SZ_EUlSY_E_NS1_11comp_targetILNS1_3genE10ELNS1_11target_archE1201ELNS1_3gpuE5ELNS1_3repE0EEENS1_30default_config_static_selectorELNS0_4arch9wavefront6targetE1EEEvT1_
                                        ; -- End function
	.section	.AMDGPU.csdata,"",@progbits
; Kernel info:
; codeLenInByte = 0
; NumSgprs: 4
; NumVgprs: 0
; NumAgprs: 0
; TotalNumVgprs: 0
; ScratchSize: 0
; MemoryBound: 0
; FloatMode: 240
; IeeeMode: 1
; LDSByteSize: 0 bytes/workgroup (compile time only)
; SGPRBlocks: 0
; VGPRBlocks: 0
; NumSGPRsForWavesPerEU: 4
; NumVGPRsForWavesPerEU: 1
; AccumOffset: 4
; Occupancy: 8
; WaveLimiterHint : 0
; COMPUTE_PGM_RSRC2:SCRATCH_EN: 0
; COMPUTE_PGM_RSRC2:USER_SGPR: 6
; COMPUTE_PGM_RSRC2:TRAP_HANDLER: 0
; COMPUTE_PGM_RSRC2:TGID_X_EN: 1
; COMPUTE_PGM_RSRC2:TGID_Y_EN: 0
; COMPUTE_PGM_RSRC2:TGID_Z_EN: 0
; COMPUTE_PGM_RSRC2:TIDIG_COMP_CNT: 0
; COMPUTE_PGM_RSRC3_GFX90A:ACCUM_OFFSET: 0
; COMPUTE_PGM_RSRC3_GFX90A:TG_SPLIT: 0
	.section	.text._ZN7rocprim17ROCPRIM_400000_NS6detail17trampoline_kernelINS0_14default_configENS1_27scan_by_key_config_selectorIj11FixedVectorIiLj1EEEEZZNS1_16scan_by_key_implILNS1_25lookback_scan_determinismE0ELb1ES3_N6thrust23THRUST_200600_302600_NS6detail15normal_iteratorINSB_10device_ptrIjEEEENSD_INSE_IS6_EEEESI_S6_NSB_4plusIvEENSB_8equal_toIvEES6_EE10hipError_tPvRmT2_T3_T4_T5_mT6_T7_P12ihipStream_tbENKUlT_T0_E_clISt17integral_constantIbLb0EES13_EEDaSY_SZ_EUlSY_E_NS1_11comp_targetILNS1_3genE5ELNS1_11target_archE942ELNS1_3gpuE9ELNS1_3repE0EEENS1_30default_config_static_selectorELNS0_4arch9wavefront6targetE1EEEvT1_,"axG",@progbits,_ZN7rocprim17ROCPRIM_400000_NS6detail17trampoline_kernelINS0_14default_configENS1_27scan_by_key_config_selectorIj11FixedVectorIiLj1EEEEZZNS1_16scan_by_key_implILNS1_25lookback_scan_determinismE0ELb1ES3_N6thrust23THRUST_200600_302600_NS6detail15normal_iteratorINSB_10device_ptrIjEEEENSD_INSE_IS6_EEEESI_S6_NSB_4plusIvEENSB_8equal_toIvEES6_EE10hipError_tPvRmT2_T3_T4_T5_mT6_T7_P12ihipStream_tbENKUlT_T0_E_clISt17integral_constantIbLb0EES13_EEDaSY_SZ_EUlSY_E_NS1_11comp_targetILNS1_3genE5ELNS1_11target_archE942ELNS1_3gpuE9ELNS1_3repE0EEENS1_30default_config_static_selectorELNS0_4arch9wavefront6targetE1EEEvT1_,comdat
	.protected	_ZN7rocprim17ROCPRIM_400000_NS6detail17trampoline_kernelINS0_14default_configENS1_27scan_by_key_config_selectorIj11FixedVectorIiLj1EEEEZZNS1_16scan_by_key_implILNS1_25lookback_scan_determinismE0ELb1ES3_N6thrust23THRUST_200600_302600_NS6detail15normal_iteratorINSB_10device_ptrIjEEEENSD_INSE_IS6_EEEESI_S6_NSB_4plusIvEENSB_8equal_toIvEES6_EE10hipError_tPvRmT2_T3_T4_T5_mT6_T7_P12ihipStream_tbENKUlT_T0_E_clISt17integral_constantIbLb0EES13_EEDaSY_SZ_EUlSY_E_NS1_11comp_targetILNS1_3genE5ELNS1_11target_archE942ELNS1_3gpuE9ELNS1_3repE0EEENS1_30default_config_static_selectorELNS0_4arch9wavefront6targetE1EEEvT1_ ; -- Begin function _ZN7rocprim17ROCPRIM_400000_NS6detail17trampoline_kernelINS0_14default_configENS1_27scan_by_key_config_selectorIj11FixedVectorIiLj1EEEEZZNS1_16scan_by_key_implILNS1_25lookback_scan_determinismE0ELb1ES3_N6thrust23THRUST_200600_302600_NS6detail15normal_iteratorINSB_10device_ptrIjEEEENSD_INSE_IS6_EEEESI_S6_NSB_4plusIvEENSB_8equal_toIvEES6_EE10hipError_tPvRmT2_T3_T4_T5_mT6_T7_P12ihipStream_tbENKUlT_T0_E_clISt17integral_constantIbLb0EES13_EEDaSY_SZ_EUlSY_E_NS1_11comp_targetILNS1_3genE5ELNS1_11target_archE942ELNS1_3gpuE9ELNS1_3repE0EEENS1_30default_config_static_selectorELNS0_4arch9wavefront6targetE1EEEvT1_
	.globl	_ZN7rocprim17ROCPRIM_400000_NS6detail17trampoline_kernelINS0_14default_configENS1_27scan_by_key_config_selectorIj11FixedVectorIiLj1EEEEZZNS1_16scan_by_key_implILNS1_25lookback_scan_determinismE0ELb1ES3_N6thrust23THRUST_200600_302600_NS6detail15normal_iteratorINSB_10device_ptrIjEEEENSD_INSE_IS6_EEEESI_S6_NSB_4plusIvEENSB_8equal_toIvEES6_EE10hipError_tPvRmT2_T3_T4_T5_mT6_T7_P12ihipStream_tbENKUlT_T0_E_clISt17integral_constantIbLb0EES13_EEDaSY_SZ_EUlSY_E_NS1_11comp_targetILNS1_3genE5ELNS1_11target_archE942ELNS1_3gpuE9ELNS1_3repE0EEENS1_30default_config_static_selectorELNS0_4arch9wavefront6targetE1EEEvT1_
	.p2align	8
	.type	_ZN7rocprim17ROCPRIM_400000_NS6detail17trampoline_kernelINS0_14default_configENS1_27scan_by_key_config_selectorIj11FixedVectorIiLj1EEEEZZNS1_16scan_by_key_implILNS1_25lookback_scan_determinismE0ELb1ES3_N6thrust23THRUST_200600_302600_NS6detail15normal_iteratorINSB_10device_ptrIjEEEENSD_INSE_IS6_EEEESI_S6_NSB_4plusIvEENSB_8equal_toIvEES6_EE10hipError_tPvRmT2_T3_T4_T5_mT6_T7_P12ihipStream_tbENKUlT_T0_E_clISt17integral_constantIbLb0EES13_EEDaSY_SZ_EUlSY_E_NS1_11comp_targetILNS1_3genE5ELNS1_11target_archE942ELNS1_3gpuE9ELNS1_3repE0EEENS1_30default_config_static_selectorELNS0_4arch9wavefront6targetE1EEEvT1_,@function
_ZN7rocprim17ROCPRIM_400000_NS6detail17trampoline_kernelINS0_14default_configENS1_27scan_by_key_config_selectorIj11FixedVectorIiLj1EEEEZZNS1_16scan_by_key_implILNS1_25lookback_scan_determinismE0ELb1ES3_N6thrust23THRUST_200600_302600_NS6detail15normal_iteratorINSB_10device_ptrIjEEEENSD_INSE_IS6_EEEESI_S6_NSB_4plusIvEENSB_8equal_toIvEES6_EE10hipError_tPvRmT2_T3_T4_T5_mT6_T7_P12ihipStream_tbENKUlT_T0_E_clISt17integral_constantIbLb0EES13_EEDaSY_SZ_EUlSY_E_NS1_11comp_targetILNS1_3genE5ELNS1_11target_archE942ELNS1_3gpuE9ELNS1_3repE0EEENS1_30default_config_static_selectorELNS0_4arch9wavefront6targetE1EEEvT1_: ; @_ZN7rocprim17ROCPRIM_400000_NS6detail17trampoline_kernelINS0_14default_configENS1_27scan_by_key_config_selectorIj11FixedVectorIiLj1EEEEZZNS1_16scan_by_key_implILNS1_25lookback_scan_determinismE0ELb1ES3_N6thrust23THRUST_200600_302600_NS6detail15normal_iteratorINSB_10device_ptrIjEEEENSD_INSE_IS6_EEEESI_S6_NSB_4plusIvEENSB_8equal_toIvEES6_EE10hipError_tPvRmT2_T3_T4_T5_mT6_T7_P12ihipStream_tbENKUlT_T0_E_clISt17integral_constantIbLb0EES13_EEDaSY_SZ_EUlSY_E_NS1_11comp_targetILNS1_3genE5ELNS1_11target_archE942ELNS1_3gpuE9ELNS1_3repE0EEENS1_30default_config_static_selectorELNS0_4arch9wavefront6targetE1EEEvT1_
; %bb.0:
	.section	.rodata,"a",@progbits
	.p2align	6, 0x0
	.amdhsa_kernel _ZN7rocprim17ROCPRIM_400000_NS6detail17trampoline_kernelINS0_14default_configENS1_27scan_by_key_config_selectorIj11FixedVectorIiLj1EEEEZZNS1_16scan_by_key_implILNS1_25lookback_scan_determinismE0ELb1ES3_N6thrust23THRUST_200600_302600_NS6detail15normal_iteratorINSB_10device_ptrIjEEEENSD_INSE_IS6_EEEESI_S6_NSB_4plusIvEENSB_8equal_toIvEES6_EE10hipError_tPvRmT2_T3_T4_T5_mT6_T7_P12ihipStream_tbENKUlT_T0_E_clISt17integral_constantIbLb0EES13_EEDaSY_SZ_EUlSY_E_NS1_11comp_targetILNS1_3genE5ELNS1_11target_archE942ELNS1_3gpuE9ELNS1_3repE0EEENS1_30default_config_static_selectorELNS0_4arch9wavefront6targetE1EEEvT1_
		.amdhsa_group_segment_fixed_size 0
		.amdhsa_private_segment_fixed_size 0
		.amdhsa_kernarg_size 112
		.amdhsa_user_sgpr_count 6
		.amdhsa_user_sgpr_private_segment_buffer 1
		.amdhsa_user_sgpr_dispatch_ptr 0
		.amdhsa_user_sgpr_queue_ptr 0
		.amdhsa_user_sgpr_kernarg_segment_ptr 1
		.amdhsa_user_sgpr_dispatch_id 0
		.amdhsa_user_sgpr_flat_scratch_init 0
		.amdhsa_user_sgpr_kernarg_preload_length 0
		.amdhsa_user_sgpr_kernarg_preload_offset 0
		.amdhsa_user_sgpr_private_segment_size 0
		.amdhsa_uses_dynamic_stack 0
		.amdhsa_system_sgpr_private_segment_wavefront_offset 0
		.amdhsa_system_sgpr_workgroup_id_x 1
		.amdhsa_system_sgpr_workgroup_id_y 0
		.amdhsa_system_sgpr_workgroup_id_z 0
		.amdhsa_system_sgpr_workgroup_info 0
		.amdhsa_system_vgpr_workitem_id 0
		.amdhsa_next_free_vgpr 1
		.amdhsa_next_free_sgpr 0
		.amdhsa_accum_offset 4
		.amdhsa_reserve_vcc 0
		.amdhsa_reserve_flat_scratch 0
		.amdhsa_float_round_mode_32 0
		.amdhsa_float_round_mode_16_64 0
		.amdhsa_float_denorm_mode_32 3
		.amdhsa_float_denorm_mode_16_64 3
		.amdhsa_dx10_clamp 1
		.amdhsa_ieee_mode 1
		.amdhsa_fp16_overflow 0
		.amdhsa_tg_split 0
		.amdhsa_exception_fp_ieee_invalid_op 0
		.amdhsa_exception_fp_denorm_src 0
		.amdhsa_exception_fp_ieee_div_zero 0
		.amdhsa_exception_fp_ieee_overflow 0
		.amdhsa_exception_fp_ieee_underflow 0
		.amdhsa_exception_fp_ieee_inexact 0
		.amdhsa_exception_int_div_zero 0
	.end_amdhsa_kernel
	.section	.text._ZN7rocprim17ROCPRIM_400000_NS6detail17trampoline_kernelINS0_14default_configENS1_27scan_by_key_config_selectorIj11FixedVectorIiLj1EEEEZZNS1_16scan_by_key_implILNS1_25lookback_scan_determinismE0ELb1ES3_N6thrust23THRUST_200600_302600_NS6detail15normal_iteratorINSB_10device_ptrIjEEEENSD_INSE_IS6_EEEESI_S6_NSB_4plusIvEENSB_8equal_toIvEES6_EE10hipError_tPvRmT2_T3_T4_T5_mT6_T7_P12ihipStream_tbENKUlT_T0_E_clISt17integral_constantIbLb0EES13_EEDaSY_SZ_EUlSY_E_NS1_11comp_targetILNS1_3genE5ELNS1_11target_archE942ELNS1_3gpuE9ELNS1_3repE0EEENS1_30default_config_static_selectorELNS0_4arch9wavefront6targetE1EEEvT1_,"axG",@progbits,_ZN7rocprim17ROCPRIM_400000_NS6detail17trampoline_kernelINS0_14default_configENS1_27scan_by_key_config_selectorIj11FixedVectorIiLj1EEEEZZNS1_16scan_by_key_implILNS1_25lookback_scan_determinismE0ELb1ES3_N6thrust23THRUST_200600_302600_NS6detail15normal_iteratorINSB_10device_ptrIjEEEENSD_INSE_IS6_EEEESI_S6_NSB_4plusIvEENSB_8equal_toIvEES6_EE10hipError_tPvRmT2_T3_T4_T5_mT6_T7_P12ihipStream_tbENKUlT_T0_E_clISt17integral_constantIbLb0EES13_EEDaSY_SZ_EUlSY_E_NS1_11comp_targetILNS1_3genE5ELNS1_11target_archE942ELNS1_3gpuE9ELNS1_3repE0EEENS1_30default_config_static_selectorELNS0_4arch9wavefront6targetE1EEEvT1_,comdat
.Lfunc_end1913:
	.size	_ZN7rocprim17ROCPRIM_400000_NS6detail17trampoline_kernelINS0_14default_configENS1_27scan_by_key_config_selectorIj11FixedVectorIiLj1EEEEZZNS1_16scan_by_key_implILNS1_25lookback_scan_determinismE0ELb1ES3_N6thrust23THRUST_200600_302600_NS6detail15normal_iteratorINSB_10device_ptrIjEEEENSD_INSE_IS6_EEEESI_S6_NSB_4plusIvEENSB_8equal_toIvEES6_EE10hipError_tPvRmT2_T3_T4_T5_mT6_T7_P12ihipStream_tbENKUlT_T0_E_clISt17integral_constantIbLb0EES13_EEDaSY_SZ_EUlSY_E_NS1_11comp_targetILNS1_3genE5ELNS1_11target_archE942ELNS1_3gpuE9ELNS1_3repE0EEENS1_30default_config_static_selectorELNS0_4arch9wavefront6targetE1EEEvT1_, .Lfunc_end1913-_ZN7rocprim17ROCPRIM_400000_NS6detail17trampoline_kernelINS0_14default_configENS1_27scan_by_key_config_selectorIj11FixedVectorIiLj1EEEEZZNS1_16scan_by_key_implILNS1_25lookback_scan_determinismE0ELb1ES3_N6thrust23THRUST_200600_302600_NS6detail15normal_iteratorINSB_10device_ptrIjEEEENSD_INSE_IS6_EEEESI_S6_NSB_4plusIvEENSB_8equal_toIvEES6_EE10hipError_tPvRmT2_T3_T4_T5_mT6_T7_P12ihipStream_tbENKUlT_T0_E_clISt17integral_constantIbLb0EES13_EEDaSY_SZ_EUlSY_E_NS1_11comp_targetILNS1_3genE5ELNS1_11target_archE942ELNS1_3gpuE9ELNS1_3repE0EEENS1_30default_config_static_selectorELNS0_4arch9wavefront6targetE1EEEvT1_
                                        ; -- End function
	.section	.AMDGPU.csdata,"",@progbits
; Kernel info:
; codeLenInByte = 0
; NumSgprs: 4
; NumVgprs: 0
; NumAgprs: 0
; TotalNumVgprs: 0
; ScratchSize: 0
; MemoryBound: 0
; FloatMode: 240
; IeeeMode: 1
; LDSByteSize: 0 bytes/workgroup (compile time only)
; SGPRBlocks: 0
; VGPRBlocks: 0
; NumSGPRsForWavesPerEU: 4
; NumVGPRsForWavesPerEU: 1
; AccumOffset: 4
; Occupancy: 8
; WaveLimiterHint : 0
; COMPUTE_PGM_RSRC2:SCRATCH_EN: 0
; COMPUTE_PGM_RSRC2:USER_SGPR: 6
; COMPUTE_PGM_RSRC2:TRAP_HANDLER: 0
; COMPUTE_PGM_RSRC2:TGID_X_EN: 1
; COMPUTE_PGM_RSRC2:TGID_Y_EN: 0
; COMPUTE_PGM_RSRC2:TGID_Z_EN: 0
; COMPUTE_PGM_RSRC2:TIDIG_COMP_CNT: 0
; COMPUTE_PGM_RSRC3_GFX90A:ACCUM_OFFSET: 0
; COMPUTE_PGM_RSRC3_GFX90A:TG_SPLIT: 0
	.section	.text._ZN7rocprim17ROCPRIM_400000_NS6detail17trampoline_kernelINS0_14default_configENS1_27scan_by_key_config_selectorIj11FixedVectorIiLj1EEEEZZNS1_16scan_by_key_implILNS1_25lookback_scan_determinismE0ELb1ES3_N6thrust23THRUST_200600_302600_NS6detail15normal_iteratorINSB_10device_ptrIjEEEENSD_INSE_IS6_EEEESI_S6_NSB_4plusIvEENSB_8equal_toIvEES6_EE10hipError_tPvRmT2_T3_T4_T5_mT6_T7_P12ihipStream_tbENKUlT_T0_E_clISt17integral_constantIbLb0EES13_EEDaSY_SZ_EUlSY_E_NS1_11comp_targetILNS1_3genE4ELNS1_11target_archE910ELNS1_3gpuE8ELNS1_3repE0EEENS1_30default_config_static_selectorELNS0_4arch9wavefront6targetE1EEEvT1_,"axG",@progbits,_ZN7rocprim17ROCPRIM_400000_NS6detail17trampoline_kernelINS0_14default_configENS1_27scan_by_key_config_selectorIj11FixedVectorIiLj1EEEEZZNS1_16scan_by_key_implILNS1_25lookback_scan_determinismE0ELb1ES3_N6thrust23THRUST_200600_302600_NS6detail15normal_iteratorINSB_10device_ptrIjEEEENSD_INSE_IS6_EEEESI_S6_NSB_4plusIvEENSB_8equal_toIvEES6_EE10hipError_tPvRmT2_T3_T4_T5_mT6_T7_P12ihipStream_tbENKUlT_T0_E_clISt17integral_constantIbLb0EES13_EEDaSY_SZ_EUlSY_E_NS1_11comp_targetILNS1_3genE4ELNS1_11target_archE910ELNS1_3gpuE8ELNS1_3repE0EEENS1_30default_config_static_selectorELNS0_4arch9wavefront6targetE1EEEvT1_,comdat
	.protected	_ZN7rocprim17ROCPRIM_400000_NS6detail17trampoline_kernelINS0_14default_configENS1_27scan_by_key_config_selectorIj11FixedVectorIiLj1EEEEZZNS1_16scan_by_key_implILNS1_25lookback_scan_determinismE0ELb1ES3_N6thrust23THRUST_200600_302600_NS6detail15normal_iteratorINSB_10device_ptrIjEEEENSD_INSE_IS6_EEEESI_S6_NSB_4plusIvEENSB_8equal_toIvEES6_EE10hipError_tPvRmT2_T3_T4_T5_mT6_T7_P12ihipStream_tbENKUlT_T0_E_clISt17integral_constantIbLb0EES13_EEDaSY_SZ_EUlSY_E_NS1_11comp_targetILNS1_3genE4ELNS1_11target_archE910ELNS1_3gpuE8ELNS1_3repE0EEENS1_30default_config_static_selectorELNS0_4arch9wavefront6targetE1EEEvT1_ ; -- Begin function _ZN7rocprim17ROCPRIM_400000_NS6detail17trampoline_kernelINS0_14default_configENS1_27scan_by_key_config_selectorIj11FixedVectorIiLj1EEEEZZNS1_16scan_by_key_implILNS1_25lookback_scan_determinismE0ELb1ES3_N6thrust23THRUST_200600_302600_NS6detail15normal_iteratorINSB_10device_ptrIjEEEENSD_INSE_IS6_EEEESI_S6_NSB_4plusIvEENSB_8equal_toIvEES6_EE10hipError_tPvRmT2_T3_T4_T5_mT6_T7_P12ihipStream_tbENKUlT_T0_E_clISt17integral_constantIbLb0EES13_EEDaSY_SZ_EUlSY_E_NS1_11comp_targetILNS1_3genE4ELNS1_11target_archE910ELNS1_3gpuE8ELNS1_3repE0EEENS1_30default_config_static_selectorELNS0_4arch9wavefront6targetE1EEEvT1_
	.globl	_ZN7rocprim17ROCPRIM_400000_NS6detail17trampoline_kernelINS0_14default_configENS1_27scan_by_key_config_selectorIj11FixedVectorIiLj1EEEEZZNS1_16scan_by_key_implILNS1_25lookback_scan_determinismE0ELb1ES3_N6thrust23THRUST_200600_302600_NS6detail15normal_iteratorINSB_10device_ptrIjEEEENSD_INSE_IS6_EEEESI_S6_NSB_4plusIvEENSB_8equal_toIvEES6_EE10hipError_tPvRmT2_T3_T4_T5_mT6_T7_P12ihipStream_tbENKUlT_T0_E_clISt17integral_constantIbLb0EES13_EEDaSY_SZ_EUlSY_E_NS1_11comp_targetILNS1_3genE4ELNS1_11target_archE910ELNS1_3gpuE8ELNS1_3repE0EEENS1_30default_config_static_selectorELNS0_4arch9wavefront6targetE1EEEvT1_
	.p2align	8
	.type	_ZN7rocprim17ROCPRIM_400000_NS6detail17trampoline_kernelINS0_14default_configENS1_27scan_by_key_config_selectorIj11FixedVectorIiLj1EEEEZZNS1_16scan_by_key_implILNS1_25lookback_scan_determinismE0ELb1ES3_N6thrust23THRUST_200600_302600_NS6detail15normal_iteratorINSB_10device_ptrIjEEEENSD_INSE_IS6_EEEESI_S6_NSB_4plusIvEENSB_8equal_toIvEES6_EE10hipError_tPvRmT2_T3_T4_T5_mT6_T7_P12ihipStream_tbENKUlT_T0_E_clISt17integral_constantIbLb0EES13_EEDaSY_SZ_EUlSY_E_NS1_11comp_targetILNS1_3genE4ELNS1_11target_archE910ELNS1_3gpuE8ELNS1_3repE0EEENS1_30default_config_static_selectorELNS0_4arch9wavefront6targetE1EEEvT1_,@function
_ZN7rocprim17ROCPRIM_400000_NS6detail17trampoline_kernelINS0_14default_configENS1_27scan_by_key_config_selectorIj11FixedVectorIiLj1EEEEZZNS1_16scan_by_key_implILNS1_25lookback_scan_determinismE0ELb1ES3_N6thrust23THRUST_200600_302600_NS6detail15normal_iteratorINSB_10device_ptrIjEEEENSD_INSE_IS6_EEEESI_S6_NSB_4plusIvEENSB_8equal_toIvEES6_EE10hipError_tPvRmT2_T3_T4_T5_mT6_T7_P12ihipStream_tbENKUlT_T0_E_clISt17integral_constantIbLb0EES13_EEDaSY_SZ_EUlSY_E_NS1_11comp_targetILNS1_3genE4ELNS1_11target_archE910ELNS1_3gpuE8ELNS1_3repE0EEENS1_30default_config_static_selectorELNS0_4arch9wavefront6targetE1EEEvT1_: ; @_ZN7rocprim17ROCPRIM_400000_NS6detail17trampoline_kernelINS0_14default_configENS1_27scan_by_key_config_selectorIj11FixedVectorIiLj1EEEEZZNS1_16scan_by_key_implILNS1_25lookback_scan_determinismE0ELb1ES3_N6thrust23THRUST_200600_302600_NS6detail15normal_iteratorINSB_10device_ptrIjEEEENSD_INSE_IS6_EEEESI_S6_NSB_4plusIvEENSB_8equal_toIvEES6_EE10hipError_tPvRmT2_T3_T4_T5_mT6_T7_P12ihipStream_tbENKUlT_T0_E_clISt17integral_constantIbLb0EES13_EEDaSY_SZ_EUlSY_E_NS1_11comp_targetILNS1_3genE4ELNS1_11target_archE910ELNS1_3gpuE8ELNS1_3repE0EEENS1_30default_config_static_selectorELNS0_4arch9wavefront6targetE1EEEvT1_
; %bb.0:
	s_load_dwordx8 s[36:43], s[4:5], 0x0
	s_load_dword s56, s[4:5], 0x20
	s_load_dwordx4 s[44:47], s[4:5], 0x28
	s_load_dwordx2 s[52:53], s[4:5], 0x38
	s_load_dword s0, s[4:5], 0x40
	s_load_dwordx4 s[48:51], s[4:5], 0x48
	s_waitcnt lgkmcnt(0)
	s_lshl_b64 s[34:35], s[38:39], 2
	s_add_u32 s2, s36, s34
	s_addc_u32 s3, s37, s35
	s_add_u32 s4, s40, s34
	s_mul_i32 s1, s53, s0
	s_mul_hi_u32 s7, s52, s0
	s_addc_u32 s5, s41, s35
	s_add_i32 s8, s7, s1
	s_mul_i32 s9, s52, s0
	s_mul_i32 s0, s6, 0xe00
	s_mov_b32 s1, 0
	s_lshl_b64 s[36:37], s[0:1], 2
	s_add_u32 s38, s2, s36
	s_addc_u32 s39, s3, s37
	s_add_u32 s7, s4, s36
	s_addc_u32 s47, s5, s37
	;; [unrolled: 2-line block ×3, first 2 shown]
	s_add_u32 s4, s48, -1
	s_addc_u32 s5, s49, -1
	v_pk_mov_b32 v[2:3], s[4:5], s[4:5] op_sel:[0,1]
	v_cmp_ge_u64_e64 s[0:1], s[0:1], v[2:3]
	s_mov_b64 s[2:3], -1
	s_and_b64 vcc, exec, s[0:1]
	s_mul_i32 s33, s4, 0xfffff200
	s_barrier
	s_cbranch_vccz .LBB1914_88
; %bb.1:
	v_pk_mov_b32 v[2:3], s[38:39], s[38:39] op_sel:[0,1]
	flat_load_dword v1, v[2:3]
	s_add_i32 s54, s33, s46
	v_cmp_gt_u32_e32 vcc, s54, v0
	s_waitcnt vmcnt(0) lgkmcnt(0)
	v_mov_b32_e32 v13, v1
	s_and_saveexec_b64 s[4:5], vcc
	s_cbranch_execz .LBB1914_3
; %bb.2:
	v_lshlrev_b32_e32 v2, 2, v0
	v_mov_b32_e32 v3, s39
	v_add_co_u32_e64 v2, s[2:3], s38, v2
	v_addc_co_u32_e64 v3, s[2:3], 0, v3, s[2:3]
	flat_load_dword v13, v[2:3]
.LBB1914_3:
	s_or_b64 exec, exec, s[4:5]
	v_or_b32_e32 v2, 0x100, v0
	v_cmp_gt_u32_e64 s[2:3], s54, v2
	v_mov_b32_e32 v14, v1
	s_and_saveexec_b64 s[8:9], s[2:3]
	s_cbranch_execz .LBB1914_5
; %bb.4:
	v_lshlrev_b32_e32 v2, 2, v0
	v_mov_b32_e32 v3, s39
	v_add_co_u32_e64 v2, s[4:5], s38, v2
	v_addc_co_u32_e64 v3, s[4:5], 0, v3, s[4:5]
	flat_load_dword v14, v[2:3] offset:1024
.LBB1914_5:
	s_or_b64 exec, exec, s[8:9]
	v_or_b32_e32 v2, 0x200, v0
	v_cmp_gt_u32_e64 s[4:5], s54, v2
	v_mov_b32_e32 v15, v1
	s_and_saveexec_b64 s[10:11], s[4:5]
	s_cbranch_execz .LBB1914_7
; %bb.6:
	v_lshlrev_b32_e32 v2, 2, v0
	v_mov_b32_e32 v3, s39
	v_add_co_u32_e64 v2, s[8:9], s38, v2
	v_addc_co_u32_e64 v3, s[8:9], 0, v3, s[8:9]
	flat_load_dword v15, v[2:3] offset:2048
.LBB1914_7:
	;; [unrolled: 13-line block ×3, first 2 shown]
	s_or_b64 exec, exec, s[10:11]
	v_or_b32_e32 v2, 0x400, v0
	v_cmp_gt_u32_e64 s[8:9], s54, v2
	v_lshlrev_b32_e32 v2, 2, v2
	v_mov_b32_e32 v17, v1
	s_and_saveexec_b64 s[12:13], s[8:9]
	s_cbranch_execz .LBB1914_11
; %bb.10:
	v_mov_b32_e32 v3, s39
	v_add_co_u32_e64 v4, s[10:11], s38, v2
	v_addc_co_u32_e64 v5, s[10:11], 0, v3, s[10:11]
	flat_load_dword v17, v[4:5]
.LBB1914_11:
	s_or_b64 exec, exec, s[12:13]
	v_or_b32_e32 v3, 0x500, v0
	v_cmp_gt_u32_e64 s[10:11], s54, v3
	v_lshlrev_b32_e32 v3, 2, v3
	v_mov_b32_e32 v18, v1
	s_and_saveexec_b64 s[14:15], s[10:11]
	s_cbranch_execz .LBB1914_13
; %bb.12:
	v_mov_b32_e32 v5, s39
	v_add_co_u32_e64 v4, s[12:13], s38, v3
	v_addc_co_u32_e64 v5, s[12:13], 0, v5, s[12:13]
	flat_load_dword v18, v[4:5]
.LBB1914_13:
	;; [unrolled: 13-line block ×9, first 2 shown]
	s_or_b64 exec, exec, s[30:31]
	v_or_b32_e32 v11, 0xd00, v0
	v_cmp_gt_u32_e64 s[26:27], s54, v11
	v_lshlrev_b32_e32 v11, 2, v11
	s_and_saveexec_b64 s[40:41], s[26:27]
	s_cbranch_execz .LBB1914_29
; %bb.28:
	v_mov_b32_e32 v1, s39
	v_add_co_u32_e64 v26, s[30:31], s38, v11
	v_addc_co_u32_e64 v27, s[30:31], 0, v1, s[30:31]
	flat_load_dword v1, v[26:27]
.LBB1914_29:
	s_or_b64 exec, exec, s[40:41]
	v_lshlrev_b32_e32 v12, 2, v0
	s_waitcnt vmcnt(0) lgkmcnt(0)
	ds_write2st64_b32 v12, v13, v14 offset1:4
	ds_write2st64_b32 v12, v15, v16 offset0:8 offset1:12
	ds_write2st64_b32 v12, v17, v18 offset0:16 offset1:20
	;; [unrolled: 1-line block ×6, first 2 shown]
	v_pk_mov_b32 v[14:15], s[38:39], s[38:39] op_sel:[0,1]
	s_waitcnt lgkmcnt(0)
	s_barrier
	flat_load_dword v1, v[14:15]
	v_mad_u32_u24 v44, v0, 52, v12
	s_movk_i32 s30, 0xffcc
	ds_read2_b64 v[34:37], v44 offset1:1
	ds_read2_b64 v[30:33], v44 offset0:2 offset1:3
	ds_read2_b64 v[26:29], v44 offset0:4 offset1:5
	ds_read_b64 v[40:41], v44 offset:48
	v_mad_i32_i24 v13, v0, s30, v44
	s_movk_i32 s30, 0xff
	v_cmp_ne_u32_e64 s[30:31], s30, v0
	s_waitcnt lgkmcnt(0)
	ds_write_b32 v13, v34 offset:15360
	s_waitcnt lgkmcnt(0)
	s_barrier
	s_and_saveexec_b64 s[40:41], s[30:31]
	s_cbranch_execz .LBB1914_31
; %bb.30:
	s_waitcnt vmcnt(0)
	ds_read_b32 v1, v12 offset:15364
.LBB1914_31:
	s_or_b64 exec, exec, s[40:41]
	v_mov_b32_e32 v13, 0
	v_mov_b32_e32 v14, 0
	s_waitcnt lgkmcnt(0)
	s_barrier
	s_and_saveexec_b64 s[30:31], vcc
	s_cbranch_execz .LBB1914_33
; %bb.32:
	v_mov_b32_e32 v15, s47
	v_add_co_u32_e32 v14, vcc, s7, v12
	v_addc_co_u32_e32 v15, vcc, 0, v15, vcc
	flat_load_dword v14, v[14:15]
.LBB1914_33:
	s_or_b64 exec, exec, s[30:31]
	s_and_saveexec_b64 s[30:31], s[2:3]
	s_cbranch_execz .LBB1914_35
; %bb.34:
	v_mov_b32_e32 v13, s47
	v_add_co_u32_e32 v16, vcc, s7, v12
	v_addc_co_u32_e32 v17, vcc, 0, v13, vcc
	flat_load_dword v13, v[16:17] offset:1024
.LBB1914_35:
	s_or_b64 exec, exec, s[30:31]
	v_mov_b32_e32 v15, 0
	v_mov_b32_e32 v16, 0
	s_and_saveexec_b64 s[2:3], s[4:5]
	s_cbranch_execz .LBB1914_37
; %bb.36:
	v_mov_b32_e32 v17, s47
	v_add_co_u32_e32 v16, vcc, s7, v12
	v_addc_co_u32_e32 v17, vcc, 0, v17, vcc
	flat_load_dword v16, v[16:17] offset:2048
.LBB1914_37:
	s_or_b64 exec, exec, s[2:3]
	s_and_saveexec_b64 s[2:3], s[28:29]
	s_cbranch_execz .LBB1914_39
; %bb.38:
	v_mov_b32_e32 v15, s47
	v_add_co_u32_e32 v18, vcc, s7, v12
	v_addc_co_u32_e32 v19, vcc, 0, v15, vcc
	flat_load_dword v15, v[18:19] offset:3072
.LBB1914_39:
	s_or_b64 exec, exec, s[2:3]
	v_mov_b32_e32 v17, 0
	v_mov_b32_e32 v18, 0
	s_and_saveexec_b64 s[2:3], s[8:9]
	s_cbranch_execz .LBB1914_41
; %bb.40:
	v_mov_b32_e32 v19, s47
	v_add_co_u32_e32 v18, vcc, s7, v2
	v_addc_co_u32_e32 v19, vcc, 0, v19, vcc
	flat_load_dword v18, v[18:19]
.LBB1914_41:
	s_or_b64 exec, exec, s[2:3]
	s_and_saveexec_b64 s[2:3], s[10:11]
	s_cbranch_execz .LBB1914_43
; %bb.42:
	v_mov_b32_e32 v17, s47
	v_add_co_u32_e32 v2, vcc, s7, v3
	v_addc_co_u32_e32 v3, vcc, 0, v17, vcc
	flat_load_dword v17, v[2:3]
.LBB1914_43:
	s_or_b64 exec, exec, s[2:3]
	v_mov_b32_e32 v2, 0
	v_mov_b32_e32 v3, 0
	s_and_saveexec_b64 s[2:3], s[12:13]
	s_cbranch_execz .LBB1914_45
; %bb.44:
	v_mov_b32_e32 v3, s47
	v_add_co_u32_e32 v20, vcc, s7, v4
	v_addc_co_u32_e32 v21, vcc, 0, v3, vcc
	flat_load_dword v3, v[20:21]
.LBB1914_45:
	s_or_b64 exec, exec, s[2:3]
	s_and_saveexec_b64 s[2:3], s[14:15]
	s_cbranch_execz .LBB1914_47
; %bb.46:
	v_mov_b32_e32 v2, s47
	v_add_co_u32_e32 v4, vcc, s7, v5
	v_addc_co_u32_e32 v5, vcc, 0, v2, vcc
	flat_load_dword v2, v[4:5]
.LBB1914_47:
	;; [unrolled: 20-line block ×4, first 2 shown]
	s_or_b64 exec, exec, s[2:3]
	v_mov_b32_e32 v8, 0
	v_mov_b32_e32 v9, 0
	s_and_saveexec_b64 s[2:3], s[24:25]
	s_cbranch_execz .LBB1914_57
; %bb.56:
	v_mov_b32_e32 v9, s47
	v_add_co_u32_e32 v20, vcc, s7, v10
	v_addc_co_u32_e32 v21, vcc, 0, v9, vcc
	flat_load_dword v9, v[20:21]
.LBB1914_57:
	s_or_b64 exec, exec, s[2:3]
	v_mul_u32_u24_e32 v45, 14, v0
	s_and_saveexec_b64 s[2:3], s[26:27]
	s_cbranch_execz .LBB1914_59
; %bb.58:
	v_mov_b32_e32 v8, s47
	v_add_co_u32_e32 v10, vcc, s7, v11
	v_addc_co_u32_e32 v11, vcc, 0, v8, vcc
	flat_load_dword v8, v[10:11]
.LBB1914_59:
	s_or_b64 exec, exec, s[2:3]
	s_mov_b32 s8, 0
	s_mov_b32 s9, s8
	s_waitcnt vmcnt(0) lgkmcnt(0)
	ds_write2st64_b32 v12, v14, v13 offset1:4
	ds_write2st64_b32 v12, v16, v15 offset0:8 offset1:12
	ds_write2st64_b32 v12, v18, v17 offset0:16 offset1:20
	;; [unrolled: 1-line block ×6, first 2 shown]
	s_mov_b32 s10, s8
	s_mov_b32 s11, s8
	;; [unrolled: 1-line block ×6, first 2 shown]
	v_pk_mov_b32 v[2:3], s[8:9], s[8:9] op_sel:[0,1]
	v_pk_mov_b32 v[8:9], s[14:15], s[14:15] op_sel:[0,1]
	;; [unrolled: 1-line block ×6, first 2 shown]
	v_cmp_gt_u32_e32 vcc, s54, v45
	s_mov_b64 s[2:3], 0
	v_pk_mov_b32 v[38:39], 0, 0
	s_mov_b64 s[18:19], 0
	v_pk_mov_b32 v[14:15], v[6:7], v[6:7] op_sel:[0,1]
	v_pk_mov_b32 v[12:13], v[4:5], v[4:5] op_sel:[0,1]
	;; [unrolled: 1-line block ×6, first 2 shown]
	s_waitcnt lgkmcnt(0)
	s_barrier
	s_waitcnt lgkmcnt(0)
                                        ; implicit-def: $sgpr16_sgpr17
                                        ; implicit-def: $vgpr42
	s_and_saveexec_b64 s[4:5], vcc
	s_cbranch_execz .LBB1914_87
; %bb.60:
	ds_read_b32 v2, v44
	v_mov_b32_e32 v4, s56
	v_cmp_eq_u32_e32 vcc, v34, v35
	v_or_b32_e32 v3, 1, v45
                                        ; implicit-def: $vgpr42
	s_waitcnt lgkmcnt(0)
	v_cndmask_b32_e32 v38, v4, v2, vcc
	v_cmp_ne_u32_e32 vcc, v34, v35
	v_cndmask_b32_e64 v39, 0, 1, vcc
	v_cmp_gt_u32_e32 vcc, s54, v3
	v_pk_mov_b32 v[2:3], s[8:9], s[8:9] op_sel:[0,1]
	v_pk_mov_b32 v[8:9], s[14:15], s[14:15] op_sel:[0,1]
	;; [unrolled: 1-line block ×12, first 2 shown]
                                        ; implicit-def: $sgpr8_sgpr9
	s_and_saveexec_b64 s[16:17], vcc
	s_cbranch_execz .LBB1914_86
; %bb.61:
	ds_read2_b32 v[42:43], v44 offset0:1 offset1:2
	s_mov_b32 s8, 0
	v_mov_b32_e32 v3, s56
	v_cmp_eq_u32_e32 vcc, v35, v36
	s_mov_b32 s14, s8
	s_mov_b32 s15, s8
	v_add_u32_e32 v2, 2, v45
	s_waitcnt lgkmcnt(0)
	v_cndmask_b32_e32 v8, v3, v42, vcc
	v_cmp_ne_u32_e32 vcc, v35, v36
	s_mov_b32 s9, s8
	s_mov_b32 s10, s8
	;; [unrolled: 1-line block ×5, first 2 shown]
	v_pk_mov_b32 v[16:17], s[14:15], s[14:15] op_sel:[0,1]
	v_cndmask_b32_e64 v9, 0, 1, vcc
	v_cmp_gt_u32_e32 vcc, s54, v2
	v_mov_b32_e32 v2, 0
	v_pk_mov_b32 v[14:15], s[12:13], s[12:13] op_sel:[0,1]
	v_pk_mov_b32 v[12:13], s[10:11], s[10:11] op_sel:[0,1]
	;; [unrolled: 1-line block ×4, first 2 shown]
	v_mov_b32_e32 v3, v2
	v_mov_b32_e32 v4, v2
	v_mov_b32_e32 v5, v2
	v_mov_b32_e32 v6, v2
	v_mov_b32_e32 v7, v2
	s_mov_b64 s[20:21], 0
	v_pk_mov_b32 v[22:23], v[14:15], v[14:15] op_sel:[0,1]
	v_pk_mov_b32 v[20:21], v[12:13], v[12:13] op_sel:[0,1]
	;; [unrolled: 1-line block ×3, first 2 shown]
                                        ; implicit-def: $sgpr24_sgpr25
                                        ; implicit-def: $vgpr42
	s_and_saveexec_b64 s[18:19], vcc
	s_cbranch_execz .LBB1914_85
; %bb.62:
	v_mov_b32_e32 v4, s56
	v_cmp_eq_u32_e32 vcc, v36, v37
	v_pk_mov_b32 v[16:17], s[14:15], s[14:15] op_sel:[0,1]
	v_add_u32_e32 v3, 3, v45
	v_cndmask_b32_e32 v6, v4, v43, vcc
	v_cmp_ne_u32_e32 vcc, v36, v37
	v_pk_mov_b32 v[14:15], s[12:13], s[12:13] op_sel:[0,1]
	v_pk_mov_b32 v[12:13], s[10:11], s[10:11] op_sel:[0,1]
	;; [unrolled: 1-line block ×4, first 2 shown]
	v_cndmask_b32_e64 v7, 0, 1, vcc
	v_cmp_gt_u32_e32 vcc, s54, v3
	v_mov_b32_e32 v3, v2
	v_mov_b32_e32 v4, v2
	;; [unrolled: 1-line block ×3, first 2 shown]
	s_mov_b64 s[22:23], 0
	v_pk_mov_b32 v[22:23], v[14:15], v[14:15] op_sel:[0,1]
	v_pk_mov_b32 v[20:21], v[12:13], v[12:13] op_sel:[0,1]
	;; [unrolled: 1-line block ×3, first 2 shown]
                                        ; implicit-def: $sgpr8_sgpr9
                                        ; implicit-def: $vgpr42
	s_and_saveexec_b64 s[20:21], vcc
	s_cbranch_execz .LBB1914_84
; %bb.63:
	ds_read2_b32 v[34:35], v44 offset0:3 offset1:4
	s_mov_b32 s8, 0
	s_mov_b32 s14, s8
	;; [unrolled: 1-line block ×3, first 2 shown]
	v_mov_b32_e32 v3, s56
	v_cmp_eq_u32_e32 vcc, v37, v30
	s_mov_b32 s9, s8
	s_mov_b32 s10, s8
	;; [unrolled: 1-line block ×5, first 2 shown]
	v_pk_mov_b32 v[16:17], s[14:15], s[14:15] op_sel:[0,1]
	v_add_u32_e32 v2, 4, v45
	s_waitcnt lgkmcnt(0)
	v_cndmask_b32_e32 v4, v3, v34, vcc
	v_cmp_ne_u32_e32 vcc, v37, v30
	v_pk_mov_b32 v[14:15], s[12:13], s[12:13] op_sel:[0,1]
	v_pk_mov_b32 v[12:13], s[10:11], s[10:11] op_sel:[0,1]
	;; [unrolled: 1-line block ×4, first 2 shown]
	v_cndmask_b32_e64 v5, 0, 1, vcc
	v_cmp_gt_u32_e32 vcc, s54, v2
	v_mov_b32_e32 v2, s8
	v_mov_b32_e32 v3, s8
	s_mov_b64 s[24:25], 0
	v_pk_mov_b32 v[22:23], v[14:15], v[14:15] op_sel:[0,1]
	v_pk_mov_b32 v[20:21], v[12:13], v[12:13] op_sel:[0,1]
	;; [unrolled: 1-line block ×3, first 2 shown]
                                        ; implicit-def: $sgpr26_sgpr27
                                        ; implicit-def: $vgpr42
	s_and_saveexec_b64 s[22:23], vcc
	s_cbranch_execz .LBB1914_83
; %bb.64:
	v_mov_b32_e32 v2, s56
	v_cmp_eq_u32_e32 vcc, v30, v31
	v_add_u32_e32 v10, 5, v45
	v_cndmask_b32_e32 v2, v2, v35, vcc
	v_cmp_ne_u32_e32 vcc, v30, v31
	v_cndmask_b32_e64 v3, 0, 1, vcc
	v_cmp_gt_u32_e32 vcc, s54, v10
	v_pk_mov_b32 v[16:17], s[14:15], s[14:15] op_sel:[0,1]
	v_pk_mov_b32 v[14:15], s[12:13], s[12:13] op_sel:[0,1]
	;; [unrolled: 1-line block ×5, first 2 shown]
	s_mov_b64 s[28:29], 0
	v_pk_mov_b32 v[22:23], v[14:15], v[14:15] op_sel:[0,1]
	v_pk_mov_b32 v[20:21], v[12:13], v[12:13] op_sel:[0,1]
	v_pk_mov_b32 v[18:19], v[10:11], v[10:11] op_sel:[0,1]
                                        ; implicit-def: $sgpr8_sgpr9
                                        ; implicit-def: $vgpr42
	s_and_saveexec_b64 s[24:25], vcc
	s_cbranch_execz .LBB1914_82
; %bb.65:
	ds_read2_b32 v[34:35], v44 offset0:5 offset1:6
	v_mov_b32_e32 v11, s56
	v_cmp_eq_u32_e32 vcc, v31, v32
	s_mov_b32 s8, 0
	v_add_u32_e32 v10, 6, v45
	s_waitcnt lgkmcnt(0)
	v_cndmask_b32_e32 v16, v11, v34, vcc
	v_cmp_ne_u32_e32 vcc, v31, v32
	s_mov_b32 s14, s8
	s_mov_b32 s15, s8
	v_cndmask_b32_e64 v17, 0, 1, vcc
	v_cmp_gt_u32_e32 vcc, s54, v10
	v_mov_b32_e32 v10, 0
	s_mov_b32 s9, s8
	s_mov_b32 s10, s8
	;; [unrolled: 1-line block ×5, first 2 shown]
	v_pk_mov_b32 v[24:25], s[14:15], s[14:15] op_sel:[0,1]
	v_mov_b32_e32 v11, v10
	v_mov_b32_e32 v12, v10
	;; [unrolled: 1-line block ×5, first 2 shown]
	v_pk_mov_b32 v[22:23], s[12:13], s[12:13] op_sel:[0,1]
	v_pk_mov_b32 v[20:21], s[10:11], s[10:11] op_sel:[0,1]
	;; [unrolled: 1-line block ×3, first 2 shown]
                                        ; implicit-def: $sgpr40_sgpr41
                                        ; implicit-def: $vgpr42
	s_and_saveexec_b64 s[26:27], vcc
	s_cbranch_execz .LBB1914_81
; %bb.66:
	v_mov_b32_e32 v12, s56
	v_cmp_eq_u32_e32 vcc, v32, v33
	v_add_u32_e32 v11, 7, v45
	v_cndmask_b32_e32 v14, v12, v35, vcc
	v_cmp_ne_u32_e32 vcc, v32, v33
	v_pk_mov_b32 v[24:25], s[14:15], s[14:15] op_sel:[0,1]
	v_cndmask_b32_e64 v15, 0, 1, vcc
	v_cmp_gt_u32_e32 vcc, s54, v11
	v_mov_b32_e32 v11, v10
	v_mov_b32_e32 v12, v10
	;; [unrolled: 1-line block ×3, first 2 shown]
	s_mov_b64 s[30:31], 0
	v_pk_mov_b32 v[22:23], s[12:13], s[12:13] op_sel:[0,1]
	v_pk_mov_b32 v[20:21], s[10:11], s[10:11] op_sel:[0,1]
	;; [unrolled: 1-line block ×3, first 2 shown]
                                        ; implicit-def: $sgpr8_sgpr9
                                        ; implicit-def: $vgpr42
	s_and_saveexec_b64 s[28:29], vcc
	s_cbranch_execz .LBB1914_80
; %bb.67:
	ds_read2_b32 v[30:31], v44 offset0:7 offset1:8
	s_mov_b32 s8, 0
	v_mov_b32_e32 v11, s56
	v_cmp_eq_u32_e32 vcc, v33, v26
	s_mov_b32 s14, s8
	s_mov_b32 s15, s8
	v_add_u32_e32 v10, 8, v45
	s_waitcnt lgkmcnt(0)
	v_cndmask_b32_e32 v12, v11, v30, vcc
	v_cmp_ne_u32_e32 vcc, v33, v26
	s_mov_b32 s9, s8
	s_mov_b32 s10, s8
	;; [unrolled: 1-line block ×5, first 2 shown]
	v_pk_mov_b32 v[24:25], s[14:15], s[14:15] op_sel:[0,1]
	v_cndmask_b32_e64 v13, 0, 1, vcc
	v_cmp_gt_u32_e32 vcc, s54, v10
	v_mov_b32_e32 v10, s8
	v_mov_b32_e32 v11, s8
	s_mov_b64 s[40:41], 0
	v_pk_mov_b32 v[22:23], s[12:13], s[12:13] op_sel:[0,1]
	v_pk_mov_b32 v[20:21], s[10:11], s[10:11] op_sel:[0,1]
	;; [unrolled: 1-line block ×3, first 2 shown]
                                        ; implicit-def: $sgpr48_sgpr49
                                        ; implicit-def: $vgpr42
	s_and_saveexec_b64 s[30:31], vcc
	s_cbranch_execz .LBB1914_79
; %bb.68:
	v_mov_b32_e32 v10, s56
	v_cmp_eq_u32_e32 vcc, v26, v27
	v_add_u32_e32 v18, 9, v45
	v_cndmask_b32_e32 v10, v10, v31, vcc
	v_cmp_ne_u32_e32 vcc, v26, v27
	v_cndmask_b32_e64 v11, 0, 1, vcc
	v_cmp_gt_u32_e32 vcc, s54, v18
	v_pk_mov_b32 v[24:25], s[14:15], s[14:15] op_sel:[0,1]
	v_pk_mov_b32 v[22:23], s[12:13], s[12:13] op_sel:[0,1]
	;; [unrolled: 1-line block ×4, first 2 shown]
                                        ; implicit-def: $sgpr10_sgpr11
                                        ; implicit-def: $vgpr42
	s_and_saveexec_b64 s[8:9], vcc
	s_cbranch_execz .LBB1914_78
; %bb.69:
	ds_read2_b32 v[30:31], v44 offset0:9 offset1:10
	v_mov_b32_e32 v18, s56
	v_cmp_eq_u32_e32 vcc, v27, v28
	v_add_u32_e32 v20, 10, v45
	v_mov_b32_e32 v22, 0
	s_waitcnt lgkmcnt(0)
	v_cndmask_b32_e32 v18, v18, v30, vcc
	v_cmp_ne_u32_e32 vcc, v27, v28
	v_cndmask_b32_e64 v19, 0, 1, vcc
	v_cmp_gt_u32_e32 vcc, s54, v20
	v_mov_b32_e32 v20, v22
	v_mov_b32_e32 v21, v22
	;; [unrolled: 1-line block ×5, first 2 shown]
	s_mov_b64 s[12:13], 0
                                        ; implicit-def: $sgpr40_sgpr41
                                        ; implicit-def: $vgpr42
	s_and_saveexec_b64 s[10:11], vcc
	s_cbranch_execz .LBB1914_77
; %bb.70:
	v_mov_b32_e32 v20, s56
	v_cmp_eq_u32_e32 vcc, v28, v29
	v_add_u32_e32 v23, 11, v45
	v_cndmask_b32_e32 v20, v20, v31, vcc
	v_cmp_ne_u32_e32 vcc, v28, v29
	v_cndmask_b32_e64 v21, 0, 1, vcc
	v_cmp_gt_u32_e32 vcc, s54, v23
	s_mov_b32 s40, 0
	v_mov_b32_e32 v23, v22
	v_mov_b32_e32 v24, v22
	;; [unrolled: 1-line block ×3, first 2 shown]
	s_mov_b64 s[14:15], 0
                                        ; implicit-def: $sgpr48_sgpr49
                                        ; implicit-def: $vgpr42
	s_and_saveexec_b64 s[12:13], vcc
	s_cbranch_execz .LBB1914_76
; %bb.71:
	ds_read2_b32 v[26:27], v44 offset0:11 offset1:12
	v_mov_b32_e32 v22, s56
	v_cmp_eq_u32_e32 vcc, v29, v40
	v_add_u32_e32 v24, 12, v45
	v_mov_b32_e32 v25, s40
	s_waitcnt lgkmcnt(0)
	v_cndmask_b32_e32 v22, v22, v26, vcc
	v_cmp_ne_u32_e32 vcc, v29, v40
	v_cndmask_b32_e64 v23, 0, 1, vcc
	v_cmp_gt_u32_e32 vcc, s54, v24
	v_mov_b32_e32 v24, s40
	s_mov_b64 s[40:41], 0
                                        ; implicit-def: $sgpr48_sgpr49
                                        ; implicit-def: $vgpr42
	s_and_saveexec_b64 s[14:15], vcc
	s_cbranch_execz .LBB1914_75
; %bb.72:
	v_mov_b32_e32 v24, s56
	v_cmp_eq_u32_e32 vcc, v40, v41
	v_add_u32_e32 v26, 13, v45
	v_cndmask_b32_e32 v24, v24, v27, vcc
	v_cmp_ne_u32_e32 vcc, v40, v41
	v_cndmask_b32_e64 v25, 0, 1, vcc
	v_cmp_gt_u32_e32 vcc, s54, v26
                                        ; implicit-def: $sgpr48_sgpr49
                                        ; implicit-def: $vgpr42
	s_and_saveexec_b64 s[54:55], vcc
	s_xor_b64 s[54:55], exec, s[54:55]
	s_cbranch_execz .LBB1914_74
; %bb.73:
	ds_read_b32 v26, v44 offset:52
	v_mov_b32_e32 v27, s56
	v_cmp_ne_u32_e32 vcc, v41, v1
	s_mov_b64 s[40:41], exec
	s_and_b64 s[48:49], vcc, exec
	s_waitcnt lgkmcnt(0)
	v_cndmask_b32_e32 v42, v26, v27, vcc
.LBB1914_74:
	s_or_b64 exec, exec, s[54:55]
	s_and_b64 s[48:49], s[48:49], exec
	s_and_b64 s[40:41], s[40:41], exec
.LBB1914_75:
	s_or_b64 exec, exec, s[14:15]
	s_and_b64 s[48:49], s[48:49], exec
	s_and_b64 s[14:15], s[40:41], exec
.LBB1914_76:
	s_or_b64 exec, exec, s[12:13]
	s_and_b64 s[40:41], s[48:49], exec
	s_and_b64 s[12:13], s[14:15], exec
.LBB1914_77:
	s_or_b64 exec, exec, s[10:11]
	s_and_b64 s[10:11], s[40:41], exec
	s_and_b64 s[40:41], s[12:13], exec
.LBB1914_78:
	s_or_b64 exec, exec, s[8:9]
	s_and_b64 s[48:49], s[10:11], exec
	s_and_b64 s[40:41], s[40:41], exec
.LBB1914_79:
	s_or_b64 exec, exec, s[30:31]
	s_and_b64 s[8:9], s[48:49], exec
	s_and_b64 s[30:31], s[40:41], exec
.LBB1914_80:
	s_or_b64 exec, exec, s[28:29]
	s_and_b64 s[40:41], s[8:9], exec
	s_and_b64 s[28:29], s[30:31], exec
.LBB1914_81:
	s_or_b64 exec, exec, s[26:27]
	s_and_b64 s[8:9], s[40:41], exec
	s_and_b64 s[28:29], s[28:29], exec
.LBB1914_82:
	s_or_b64 exec, exec, s[24:25]
	s_and_b64 s[26:27], s[8:9], exec
	s_and_b64 s[24:25], s[28:29], exec
.LBB1914_83:
	s_or_b64 exec, exec, s[22:23]
	s_and_b64 s[8:9], s[26:27], exec
	s_and_b64 s[22:23], s[24:25], exec
.LBB1914_84:
	s_or_b64 exec, exec, s[20:21]
	s_and_b64 s[24:25], s[8:9], exec
	s_and_b64 s[20:21], s[22:23], exec
.LBB1914_85:
	s_or_b64 exec, exec, s[18:19]
	s_and_b64 s[8:9], s[24:25], exec
	s_and_b64 s[18:19], s[20:21], exec
.LBB1914_86:
	s_or_b64 exec, exec, s[16:17]
	s_and_b64 s[16:17], s[8:9], exec
	s_and_b64 s[18:19], s[18:19], exec
.LBB1914_87:
	s_or_b64 exec, exec, s[4:5]
	s_and_b64 vcc, exec, s[2:3]
	v_lshlrev_b32_e32 v50, 2, v0
	s_cbranch_vccnz .LBB1914_89
	s_branch .LBB1914_94
.LBB1914_88:
	s_mov_b64 s[18:19], 0
                                        ; implicit-def: $sgpr16_sgpr17
                                        ; implicit-def: $vgpr2_vgpr3_vgpr4_vgpr5_vgpr6_vgpr7_vgpr8_vgpr9
                                        ; implicit-def: $vgpr10_vgpr11_vgpr12_vgpr13_vgpr14_vgpr15_vgpr16_vgpr17
                                        ; implicit-def: $vgpr18_vgpr19_vgpr20_vgpr21_vgpr22_vgpr23_vgpr24_vgpr25
                                        ; implicit-def: $vgpr38_vgpr39
                                        ; implicit-def: $vgpr42
	s_and_b64 vcc, exec, s[2:3]
	v_lshlrev_b32_e32 v50, 2, v0
	s_cbranch_vccz .LBB1914_94
.LBB1914_89:
	v_mov_b32_e32 v1, s39
	v_add_co_u32_e32 v2, vcc, s38, v50
	v_addc_co_u32_e32 v3, vcc, 0, v1, vcc
	v_add_co_u32_e32 v4, vcc, 0x1000, v2
	v_addc_co_u32_e32 v5, vcc, 0, v3, vcc
	flat_load_dword v1, v[2:3]
	flat_load_dword v6, v[2:3] offset:1024
	flat_load_dword v7, v[2:3] offset:2048
	;; [unrolled: 1-line block ×3, first 2 shown]
	flat_load_dword v9, v[4:5]
	flat_load_dword v10, v[4:5] offset:1024
	flat_load_dword v11, v[4:5] offset:2048
	;; [unrolled: 1-line block ×3, first 2 shown]
	v_add_co_u32_e32 v4, vcc, 0x2000, v2
	v_addc_co_u32_e32 v5, vcc, 0, v3, vcc
	v_add_co_u32_e32 v2, vcc, 0x3000, v2
	v_addc_co_u32_e32 v3, vcc, 0, v3, vcc
	flat_load_dword v13, v[4:5]
	flat_load_dword v14, v[4:5] offset:1024
	flat_load_dword v15, v[4:5] offset:2048
	;; [unrolled: 1-line block ×3, first 2 shown]
	flat_load_dword v17, v[2:3]
	flat_load_dword v18, v[2:3] offset:1024
	v_mov_b32_e32 v2, s38
	v_mov_b32_e32 v3, s39
	v_add_co_u32_e32 v2, vcc, 0x3000, v2
	v_addc_co_u32_e32 v3, vcc, 0, v3, vcc
	s_movk_i32 s4, 0xffcc
	s_movk_i32 s9, 0x1000
	s_mov_b32 s2, 0
	s_movk_i32 s8, 0x2000
	s_movk_i32 s3, 0x3000
	s_waitcnt vmcnt(0) lgkmcnt(0)
	ds_write2st64_b32 v50, v1, v6 offset1:4
	ds_write2st64_b32 v50, v7, v8 offset0:8 offset1:12
	ds_write2st64_b32 v50, v9, v10 offset0:16 offset1:20
	ds_write2st64_b32 v50, v11, v12 offset0:24 offset1:28
	ds_write2st64_b32 v50, v13, v14 offset0:32 offset1:36
	ds_write2st64_b32 v50, v15, v16 offset0:40 offset1:44
	ds_write2st64_b32 v50, v17, v18 offset0:48 offset1:52
	s_waitcnt lgkmcnt(0)
	s_barrier
	flat_load_dword v1, v[2:3] offset:2048
	v_mad_u32_u24 v6, v0, 52, v50
	v_mad_i32_i24 v2, v0, s4, v6
	s_movk_i32 s4, 0xff
	v_cmp_ne_u32_e32 vcc, s4, v0
	ds_read2_b32 v[26:27], v6 offset1:13
	ds_read2_b32 v[18:19], v6 offset0:7 offset1:8
	ds_read2_b32 v[20:21], v6 offset0:5 offset1:6
	;; [unrolled: 1-line block ×6, first 2 shown]
	s_waitcnt lgkmcnt(0)
	ds_write_b32 v2, v26 offset:15360
	s_waitcnt lgkmcnt(0)
	s_barrier
	s_and_saveexec_b64 s[4:5], vcc
	s_cbranch_execz .LBB1914_91
; %bb.90:
	s_waitcnt vmcnt(0)
	ds_read_b32 v1, v50 offset:15364
.LBB1914_91:
	s_or_b64 exec, exec, s[4:5]
	v_mov_b32_e32 v3, s47
	v_add_co_u32_e32 v2, vcc, s7, v50
	v_addc_co_u32_e32 v3, vcc, 0, v3, vcc
	v_add_co_u32_e32 v4, vcc, s9, v2
	v_addc_co_u32_e32 v5, vcc, 0, v3, vcc
	s_waitcnt lgkmcnt(0)
	s_barrier
	flat_load_dword v7, v[2:3]
	flat_load_dword v8, v[2:3] offset:1024
	flat_load_dword v9, v[2:3] offset:2048
	;; [unrolled: 1-line block ×3, first 2 shown]
	flat_load_dword v15, v[4:5]
	flat_load_dword v16, v[4:5] offset:1024
	flat_load_dword v17, v[4:5] offset:2048
	;; [unrolled: 1-line block ×3, first 2 shown]
	v_add_co_u32_e32 v4, vcc, s8, v2
	v_addc_co_u32_e32 v5, vcc, 0, v3, vcc
	v_add_co_u32_e32 v2, vcc, s3, v2
	v_addc_co_u32_e32 v3, vcc, 0, v3, vcc
	flat_load_dword v23, v[4:5]
	flat_load_dword v24, v[4:5] offset:1024
	flat_load_dword v25, v[4:5] offset:2048
	;; [unrolled: 1-line block ×3, first 2 shown]
	flat_load_dword v33, v[2:3]
	flat_load_dword v34, v[2:3] offset:1024
	s_mov_b32 s3, 1
	v_cmp_eq_u32_e32 vcc, v26, v12
	v_pk_mov_b32 v[38:39], s[2:3], s[2:3] op_sel:[0,1]
	s_waitcnt vmcnt(0) lgkmcnt(0)
	ds_write2st64_b32 v50, v7, v8 offset1:4
	ds_write2st64_b32 v50, v9, v14 offset0:8 offset1:12
	ds_write2st64_b32 v50, v15, v16 offset0:16 offset1:20
	;; [unrolled: 1-line block ×6, first 2 shown]
	s_waitcnt lgkmcnt(0)
	s_barrier
	ds_read2_b32 v[24:25], v6 offset0:7 offset1:8
	ds_read2_b32 v[14:15], v6 offset0:5 offset1:6
	ds_read2_b32 v[2:3], v6 offset0:3 offset1:4
	ds_read2_b32 v[4:5], v6 offset0:1 offset1:2
	ds_read_b32 v34, v6 offset:52
	ds_read2_b32 v[22:23], v6 offset0:11 offset1:12
	ds_read2_b32 v[32:33], v6 offset0:9 offset1:10
	v_mov_b32_e32 v7, s56
	s_and_saveexec_b64 s[2:3], vcc
	s_cbranch_execz .LBB1914_93
; %bb.92:
	ds_read_b32 v7, v6
	v_pk_mov_b32 v[38:39], 0, 0
.LBB1914_93:
	s_or_b64 exec, exec, s[2:3]
	v_mov_b32_e32 v26, s56
	v_cmp_eq_u32_e32 vcc, v12, v13
	s_waitcnt lgkmcnt(3)
	v_cndmask_b32_e32 v8, v26, v4, vcc
	v_cmp_eq_u32_e32 vcc, v13, v10
	v_cndmask_b32_e32 v6, v26, v5, vcc
	v_cmp_eq_u32_e32 vcc, v10, v11
	;; [unrolled: 2-line block ×3, first 2 shown]
	v_cndmask_b32_e32 v2, v26, v3, vcc
	v_cmp_ne_u32_e32 vcc, v12, v13
	v_cndmask_b32_e64 v9, 0, 1, vcc
	v_cmp_ne_u32_e32 vcc, v13, v10
	s_waitcnt lgkmcnt(0)
	v_or_b32_e32 v38, v38, v7
	v_cndmask_b32_e64 v7, 0, 1, vcc
	v_cmp_ne_u32_e32 vcc, v10, v11
	v_cndmask_b32_e64 v5, 0, 1, vcc
	v_cmp_ne_u32_e32 vcc, v11, v20
	v_cndmask_b32_e64 v3, 0, 1, vcc
	v_cmp_eq_u32_e32 vcc, v20, v21
	v_cndmask_b32_e32 v16, v26, v14, vcc
	v_cmp_eq_u32_e32 vcc, v21, v18
	v_cndmask_b32_e32 v14, v26, v15, vcc
	;; [unrolled: 2-line block ×4, first 2 shown]
	v_cmp_ne_u32_e32 vcc, v20, v21
	v_cndmask_b32_e64 v17, 0, 1, vcc
	v_cmp_ne_u32_e32 vcc, v21, v18
	v_cndmask_b32_e64 v15, 0, 1, vcc
	;; [unrolled: 2-line block ×4, first 2 shown]
	v_cmp_eq_u32_e32 vcc, v31, v27
	v_cndmask_b32_e32 v24, v26, v23, vcc
	v_cmp_eq_u32_e32 vcc, v30, v31
	v_cndmask_b32_e32 v22, v26, v22, vcc
	;; [unrolled: 2-line block ×4, first 2 shown]
	v_cmp_ne_u32_e32 vcc, v31, v27
	v_cndmask_b32_e64 v25, 0, 1, vcc
	v_cmp_ne_u32_e32 vcc, v30, v31
	v_cndmask_b32_e64 v23, 0, 1, vcc
	v_cmp_ne_u32_e32 vcc, v29, v30
	v_cndmask_b32_e64 v21, 0, 1, vcc
	v_cmp_ne_u32_e32 vcc, v28, v29
	v_cmp_ne_u32_e64 s[16:17], v27, v1
	v_cndmask_b32_e64 v19, 0, 1, vcc
	v_cndmask_b32_e64 v42, v34, v26, s[16:17]
	s_mov_b64 s[18:19], -1
                                        ; implicit-def: $sgpr2_sgpr3
.LBB1914_94:
	v_pk_mov_b32 v[40:41], s[2:3], s[2:3] op_sel:[0,1]
	s_and_saveexec_b64 s[2:3], s[18:19]
; %bb.95:
	v_cndmask_b32_e64 v43, 0, 1, s[16:17]
	v_pk_mov_b32 v[40:41], v[42:43], v[42:43] op_sel:[0,1]
; %bb.96:
	s_or_b64 exec, exec, s[2:3]
	s_mov_b32 s26, 0
	s_cmp_lg_u32 s6, 0
	v_mbcnt_lo_u32_b32 v52, -1, 0
	v_lshrrev_b32_e32 v1, 6, v0
	v_or_b32_e32 v51, 63, v0
	s_barrier
	s_cbranch_scc0 .LBB1914_125
; %bb.97:
	s_mov_b32 s27, 1
	v_cmp_gt_u64_e64 s[2:3], s[26:27], v[8:9]
	v_cndmask_b32_e64 v27, 0, v38, s[2:3]
	v_add_u32_e32 v27, v27, v8
	v_cmp_gt_u64_e64 s[4:5], s[26:27], v[6:7]
	v_cndmask_b32_e64 v27, 0, v27, s[4:5]
	v_add_u32_e32 v27, v27, v6
	v_cmp_gt_u64_e64 s[28:29], s[26:27], v[4:5]
	v_cndmask_b32_e64 v27, 0, v27, s[28:29]
	v_add_u32_e32 v27, v27, v4
	v_cmp_gt_u64_e64 s[8:9], s[26:27], v[2:3]
	v_cndmask_b32_e64 v27, 0, v27, s[8:9]
	v_add_u32_e32 v27, v27, v2
	v_cmp_gt_u64_e64 s[10:11], s[26:27], v[16:17]
	v_cndmask_b32_e64 v27, 0, v27, s[10:11]
	v_add_u32_e32 v27, v27, v16
	v_cmp_gt_u64_e64 s[12:13], s[26:27], v[14:15]
	v_cndmask_b32_e64 v27, 0, v27, s[12:13]
	v_add_u32_e32 v27, v27, v14
	v_cmp_gt_u64_e64 s[14:15], s[26:27], v[12:13]
	v_cndmask_b32_e64 v27, 0, v27, s[14:15]
	v_add_u32_e32 v27, v27, v12
	v_cmp_gt_u64_e64 s[16:17], s[26:27], v[10:11]
	v_cndmask_b32_e64 v27, 0, v27, s[16:17]
	v_add_u32_e32 v27, v27, v10
	v_cmp_gt_u64_e64 s[18:19], s[26:27], v[18:19]
	v_cndmask_b32_e64 v27, 0, v27, s[18:19]
	v_add_u32_e32 v27, v27, v18
	v_cmp_gt_u64_e64 s[20:21], s[26:27], v[20:21]
	v_cndmask_b32_e64 v27, 0, v27, s[20:21]
	v_add_u32_e32 v27, v27, v20
	v_cmp_gt_u64_e64 s[22:23], s[26:27], v[22:23]
	v_cndmask_b32_e64 v27, 0, v27, s[22:23]
	v_add_u32_e32 v27, v27, v22
	v_cmp_gt_u64_e64 s[24:25], s[26:27], v[24:25]
	v_cndmask_b32_e64 v27, 0, v27, s[24:25]
	v_add_u32_e32 v27, v27, v24
	v_cmp_gt_u64_e32 vcc, s[26:27], v[40:41]
	v_cndmask_b32_e32 v27, 0, v27, vcc
	v_add_u32_e32 v28, v27, v40
	v_or3_b32 v27, v41, v25, v23
	v_or3_b32 v27, v27, v21, v19
	;; [unrolled: 1-line block ×6, first 2 shown]
	v_mov_b32_e32 v26, 0
	v_and_b32_e32 v27, 1, v27
	v_cmp_eq_u64_e32 vcc, 0, v[26:27]
	v_cndmask_b32_e32 v27, 1, v39, vcc
	v_and_b32_e32 v29, 0xff, v27
	v_mov_b32_dpp v31, v28 row_shr:1 row_mask:0xf bank_mask:0xf
	v_cmp_eq_u16_e32 vcc, 0, v29
	v_mov_b32_dpp v32, v29 row_shr:1 row_mask:0xf bank_mask:0xf
	v_and_b32_e32 v33, 1, v27
	v_mbcnt_hi_u32_b32 v46, -1, v52
	v_cndmask_b32_e32 v31, 0, v31, vcc
	v_and_b32_e32 v32, 1, v32
	v_cmp_eq_u32_e32 vcc, 1, v33
	v_and_b32_e32 v30, 15, v46
	v_cndmask_b32_e64 v32, v32, 1, vcc
	v_and_b32_e32 v33, 0xffff, v32
	v_cmp_eq_u32_e32 vcc, 0, v30
	v_cndmask_b32_e32 v27, v32, v27, vcc
	v_cndmask_b32_e32 v29, v33, v29, vcc
	v_and_b32_e32 v33, 1, v27
	v_cndmask_b32_e64 v31, v31, 0, vcc
	v_mov_b32_dpp v32, v29 row_shr:2 row_mask:0xf bank_mask:0xf
	v_and_b32_e32 v32, 1, v32
	v_cmp_eq_u32_e32 vcc, 1, v33
	v_cndmask_b32_e64 v32, v32, 1, vcc
	v_and_b32_e32 v33, 0xffff, v32
	v_cmp_lt_u32_e32 vcc, 1, v30
	v_add_u32_e32 v28, v31, v28
	v_cmp_eq_u16_sdwa s[26:27], v27, v26 src0_sel:BYTE_0 src1_sel:DWORD
	v_cndmask_b32_e32 v27, v27, v32, vcc
	v_cndmask_b32_e32 v29, v29, v33, vcc
	v_mov_b32_dpp v31, v28 row_shr:2 row_mask:0xf bank_mask:0xf
	s_and_b64 vcc, vcc, s[26:27]
	v_mov_b32_dpp v32, v29 row_shr:4 row_mask:0xf bank_mask:0xf
	v_and_b32_e32 v33, 1, v27
	v_cndmask_b32_e32 v31, 0, v31, vcc
	v_and_b32_e32 v32, 1, v32
	v_cmp_eq_u32_e32 vcc, 1, v33
	v_cndmask_b32_e64 v32, v32, 1, vcc
	v_and_b32_e32 v33, 0xffff, v32
	v_cmp_lt_u32_e32 vcc, 3, v30
	v_add_u32_e32 v28, v31, v28
	v_cmp_eq_u16_sdwa s[26:27], v27, v26 src0_sel:BYTE_0 src1_sel:DWORD
	v_cndmask_b32_e32 v27, v27, v32, vcc
	v_cndmask_b32_e32 v29, v29, v33, vcc
	v_mov_b32_dpp v31, v28 row_shr:4 row_mask:0xf bank_mask:0xf
	s_and_b64 vcc, vcc, s[26:27]
	v_mov_b32_dpp v32, v29 row_shr:8 row_mask:0xf bank_mask:0xf
	v_and_b32_e32 v33, 1, v27
	v_cndmask_b32_e32 v31, 0, v31, vcc
	v_and_b32_e32 v32, 1, v32
	v_cmp_eq_u32_e32 vcc, 1, v33
	v_cndmask_b32_e64 v32, v32, 1, vcc
	v_add_u32_e32 v28, v31, v28
	v_cmp_eq_u16_sdwa s[26:27], v27, v26 src0_sel:BYTE_0 src1_sel:DWORD
	v_and_b32_e32 v33, 0xffff, v32
	v_cmp_lt_u32_e32 vcc, 7, v30
	v_mov_b32_dpp v31, v28 row_shr:8 row_mask:0xf bank_mask:0xf
	v_cndmask_b32_e32 v27, v27, v32, vcc
	v_cndmask_b32_e32 v29, v29, v33, vcc
	s_and_b64 vcc, vcc, s[26:27]
	v_cndmask_b32_e32 v30, 0, v31, vcc
	v_add_u32_e32 v28, v30, v28
	v_mov_b32_dpp v31, v29 row_bcast:15 row_mask:0xf bank_mask:0xf
	v_cmp_eq_u16_sdwa vcc, v27, v26 src0_sel:BYTE_0 src1_sel:DWORD
	v_mov_b32_dpp v30, v28 row_bcast:15 row_mask:0xf bank_mask:0xf
	v_and_b32_e32 v34, 1, v27
	v_cndmask_b32_e32 v30, 0, v30, vcc
	v_and_b32_e32 v31, 1, v31
	v_cmp_eq_u32_e32 vcc, 1, v34
	v_and_b32_e32 v33, 16, v46
	v_cndmask_b32_e64 v31, v31, 1, vcc
	v_and_b32_e32 v34, 0xffff, v31
	v_cmp_eq_u32_e32 vcc, 0, v33
	v_cndmask_b32_e32 v27, v31, v27, vcc
	v_cndmask_b32_e32 v29, v34, v29, vcc
	v_bfe_i32 v32, v46, 4, 1
	v_cmp_eq_u16_sdwa s[26:27], v27, v26 src0_sel:BYTE_0 src1_sel:DWORD
	v_mov_b32_dpp v29, v29 row_bcast:31 row_mask:0xf bank_mask:0xf
	v_and_b32_e32 v26, 1, v27
	v_and_b32_e32 v30, v32, v30
	;; [unrolled: 1-line block ×3, first 2 shown]
	v_cmp_eq_u32_e32 vcc, 1, v26
	v_add_u32_e32 v28, v30, v28
	v_cndmask_b32_e64 v26, v29, 1, vcc
	v_cmp_lt_u32_e32 vcc, 31, v46
	v_mov_b32_dpp v30, v28 row_bcast:31 row_mask:0xf bank_mask:0xf
	v_cndmask_b32_e32 v29, v27, v26, vcc
	s_and_b64 vcc, vcc, s[26:27]
	v_cndmask_b32_e32 v26, 0, v30, vcc
	v_add_u32_e32 v28, v26, v28
	v_cmp_eq_u32_e32 vcc, v51, v0
	s_and_saveexec_b64 s[26:27], vcc
	s_cbranch_execz .LBB1914_99
; %bb.98:
	v_lshlrev_b32_e32 v26, 3, v1
	ds_write_b32 v26, v28
	ds_write_b8 v26, v29 offset:4
.LBB1914_99:
	s_or_b64 exec, exec, s[26:27]
	v_cmp_gt_u32_e32 vcc, 4, v0
	s_waitcnt lgkmcnt(0)
	s_barrier
	s_and_saveexec_b64 s[26:27], vcc
	s_cbranch_execz .LBB1914_103
; %bb.100:
	v_lshlrev_b32_e32 v30, 3, v0
	ds_read_b64 v[26:27], v30
	v_and_b32_e32 v31, 3, v46
	v_cmp_ne_u32_e32 vcc, 0, v31
	s_waitcnt lgkmcnt(0)
	v_mov_b32_dpp v32, v26 row_shr:1 row_mask:0xf bank_mask:0xf
	v_mov_b32_dpp v34, v27 row_shr:1 row_mask:0xf bank_mask:0xf
	v_mov_b32_e32 v33, v27
	s_and_saveexec_b64 s[30:31], vcc
	s_cbranch_execz .LBB1914_102
; %bb.101:
	v_and_b32_e32 v33, 1, v27
	v_and_b32_e32 v34, 1, v34
	v_cmp_eq_u32_e32 vcc, 1, v33
	v_mov_b32_e32 v33, 0
	v_cndmask_b32_e64 v34, v34, 1, vcc
	v_cmp_eq_u16_sdwa vcc, v27, v33 src0_sel:BYTE_0 src1_sel:DWORD
	v_cndmask_b32_e32 v32, 0, v32, vcc
	v_add_u32_e32 v26, v32, v26
	v_and_b32_e32 v32, 0xffff, v34
	s_movk_i32 s7, 0xff00
	v_and_or_b32 v33, v27, s7, v32
	v_mov_b32_e32 v27, v34
.LBB1914_102:
	s_or_b64 exec, exec, s[30:31]
	v_mov_b32_dpp v33, v33 row_shr:2 row_mask:0xf bank_mask:0xf
	v_and_b32_e32 v34, 1, v27
	v_and_b32_e32 v33, 1, v33
	v_cmp_eq_u32_e32 vcc, 1, v34
	v_mov_b32_e32 v34, 0
	v_cndmask_b32_e64 v33, v33, 1, vcc
	v_cmp_eq_u16_sdwa s[30:31], v27, v34 src0_sel:BYTE_0 src1_sel:DWORD
	v_cmp_lt_u32_e32 vcc, 1, v31
	v_mov_b32_dpp v32, v26 row_shr:2 row_mask:0xf bank_mask:0xf
	v_cndmask_b32_e32 v27, v27, v33, vcc
	s_and_b64 vcc, vcc, s[30:31]
	v_cndmask_b32_e32 v31, 0, v32, vcc
	v_add_u32_e32 v26, v31, v26
	ds_write_b32 v30, v26
	ds_write_b8 v30, v27 offset:4
.LBB1914_103:
	s_or_b64 exec, exec, s[26:27]
	v_cmp_gt_u32_e32 vcc, 64, v0
	v_cmp_lt_u32_e64 s[26:27], 63, v0
	v_mov_b32_e32 v42, 0
	v_mov_b32_e32 v43, 0
	s_waitcnt lgkmcnt(0)
	s_barrier
	s_and_saveexec_b64 s[30:31], s[26:27]
	s_cbranch_execz .LBB1914_105
; %bb.104:
	v_lshl_add_u32 v26, v1, 3, -8
	ds_read_b32 v42, v26
	ds_read_u8 v43, v26 offset:4
	v_mov_b32_e32 v27, 0
	v_and_b32_e32 v30, 1, v29
	v_cmp_eq_u16_sdwa s[26:27], v29, v27 src0_sel:BYTE_0 src1_sel:DWORD
	s_waitcnt lgkmcnt(1)
	v_cndmask_b32_e64 v26, 0, v42, s[26:27]
	v_cmp_eq_u32_e64 s[26:27], 1, v30
	v_add_u32_e32 v28, v26, v28
	s_waitcnt lgkmcnt(0)
	v_cndmask_b32_e64 v29, v43, 1, s[26:27]
.LBB1914_105:
	s_or_b64 exec, exec, s[30:31]
	v_and_b32_e32 v26, 0xff, v29
	v_add_u32_e32 v27, -1, v46
	v_and_b32_e32 v29, 64, v46
	v_cmp_lt_i32_e64 s[26:27], v27, v29
	v_cndmask_b32_e64 v27, v27, v46, s[26:27]
	v_lshlrev_b32_e32 v27, 2, v27
	ds_bpermute_b32 v44, v27, v28
	ds_bpermute_b32 v45, v27, v26
	v_cmp_eq_u32_e64 s[26:27], 0, v46
	s_and_saveexec_b64 s[38:39], vcc
	s_cbranch_execz .LBB1914_124
; %bb.106:
	v_mov_b32_e32 v29, 0
	ds_read_b64 v[26:27], v29 offset:24
	s_waitcnt lgkmcnt(0)
	v_readfirstlane_b32 s7, v27
	s_and_saveexec_b64 s[30:31], s[26:27]
	s_cbranch_execz .LBB1914_108
; %bb.107:
	s_add_i32 s40, s6, 64
	s_mov_b32 s41, 0
	s_lshl_b64 s[48:49], s[40:41], 4
	s_add_u32 s48, s44, s48
	s_addc_u32 s49, s45, s49
	s_and_b32 s55, s7, 0xff000000
	s_mov_b32 s54, s41
	s_and_b32 s59, s7, 0xff0000
	s_mov_b32 s58, s41
	s_or_b64 s[54:55], s[58:59], s[54:55]
	s_and_b32 s59, s7, 0xff00
	s_or_b64 s[54:55], s[54:55], s[58:59]
	s_and_b32 s59, s7, 0xff
	s_or_b64 s[40:41], s[54:55], s[58:59]
	v_mov_b32_e32 v27, s41
	v_mov_b32_e32 v28, 1
	v_pk_mov_b32 v[30:31], s[48:49], s[48:49] op_sel:[0,1]
	;;#ASMSTART
	global_store_dwordx4 v[30:31], v[26:29] off	
s_waitcnt vmcnt(0)
	;;#ASMEND
.LBB1914_108:
	s_or_b64 exec, exec, s[30:31]
	v_xad_u32 v34, v46, -1, s6
	v_add_u32_e32 v28, 64, v34
	v_lshlrev_b64 v[30:31], 4, v[28:29]
	v_mov_b32_e32 v27, s45
	v_add_co_u32_e32 v36, vcc, s44, v30
	v_addc_co_u32_e32 v37, vcc, v27, v31, vcc
	;;#ASMSTART
	global_load_dwordx4 v[30:33], v[36:37] off glc	
s_waitcnt vmcnt(0)
	;;#ASMEND
	v_and_b32_e32 v27, 0xff0000, v30
	v_or_b32_sdwa v27, v30, v27 dst_sel:DWORD dst_unused:UNUSED_PAD src0_sel:WORD_0 src1_sel:DWORD
	v_and_b32_e32 v28, 0xff000000, v30
	v_and_b32_e32 v30, 0xff, v31
	v_or3_b32 v31, 0, 0, v30
	v_or3_b32 v30, v27, v28, 0
	v_cmp_eq_u16_sdwa s[40:41], v32, v29 src0_sel:BYTE_0 src1_sel:DWORD
	s_and_saveexec_b64 s[30:31], s[40:41]
	s_cbranch_execz .LBB1914_112
; %bb.109:
	s_mov_b64 s[40:41], 0
	v_mov_b32_e32 v27, 0
.LBB1914_110:                           ; =>This Inner Loop Header: Depth=1
	;;#ASMSTART
	global_load_dwordx4 v[30:33], v[36:37] off glc	
s_waitcnt vmcnt(0)
	;;#ASMEND
	v_cmp_ne_u16_sdwa s[48:49], v32, v27 src0_sel:BYTE_0 src1_sel:DWORD
	s_or_b64 s[40:41], s[48:49], s[40:41]
	s_andn2_b64 exec, exec, s[40:41]
	s_cbranch_execnz .LBB1914_110
; %bb.111:
	s_or_b64 exec, exec, s[40:41]
	v_and_b32_e32 v31, 0xff, v31
.LBB1914_112:
	s_or_b64 exec, exec, s[30:31]
	v_mov_b32_e32 v27, 2
	v_cmp_eq_u16_sdwa s[30:31], v32, v27 src0_sel:BYTE_0 src1_sel:DWORD
	v_lshlrev_b64 v[28:29], v46, -1
	v_and_b32_e32 v33, s31, v29
	v_or_b32_e32 v33, 0x80000000, v33
	v_and_b32_e32 v35, s30, v28
	v_ffbl_b32_e32 v33, v33
	v_and_b32_e32 v47, 63, v46
	v_add_u32_e32 v33, 32, v33
	v_ffbl_b32_e32 v35, v35
	v_cmp_ne_u32_e32 vcc, 63, v47
	v_min_u32_e32 v33, v35, v33
	v_addc_co_u32_e32 v35, vcc, 0, v46, vcc
	v_lshlrev_b32_e32 v48, 2, v35
	ds_bpermute_b32 v35, v48, v31
	ds_bpermute_b32 v36, v48, v30
	s_mov_b32 s40, 0
	v_and_b32_e32 v37, 1, v31
	s_mov_b32 s41, 1
	s_waitcnt lgkmcnt(1)
	v_and_b32_e32 v35, 1, v35
	v_cmp_eq_u32_e32 vcc, 1, v37
	v_cndmask_b32_e64 v35, v35, 1, vcc
	v_cmp_gt_u64_e32 vcc, s[40:41], v[30:31]
	v_cmp_lt_u32_e64 s[30:31], v47, v33
	s_and_b64 vcc, s[30:31], vcc
	v_and_b32_e32 v37, 0xffff, v35
	v_cndmask_b32_e64 v54, v31, v35, s[30:31]
	s_waitcnt lgkmcnt(0)
	v_cndmask_b32_e32 v35, 0, v36, vcc
	v_cmp_gt_u32_e32 vcc, 62, v47
	v_cndmask_b32_e64 v36, 0, 1, vcc
	v_lshlrev_b32_e32 v36, 1, v36
	v_cndmask_b32_e64 v31, v31, v37, s[30:31]
	v_add_lshl_u32 v49, v36, v46, 2
	ds_bpermute_b32 v36, v49, v31
	v_add_u32_e32 v30, v35, v30
	ds_bpermute_b32 v37, v49, v30
	v_and_b32_e32 v35, 1, v54
	v_cmp_eq_u32_e32 vcc, 1, v35
	s_waitcnt lgkmcnt(1)
	v_and_b32_e32 v36, 1, v36
	v_mov_b32_e32 v35, 0
	v_add_u32_e32 v53, 2, v47
	v_cndmask_b32_e64 v36, v36, 1, vcc
	v_cmp_eq_u16_sdwa vcc, v54, v35 src0_sel:BYTE_0 src1_sel:DWORD
	v_and_b32_e32 v55, 0xffff, v36
	s_waitcnt lgkmcnt(0)
	v_cndmask_b32_e32 v37, 0, v37, vcc
	v_cmp_gt_u32_e32 vcc, v53, v33
	v_cndmask_b32_e32 v36, v36, v54, vcc
	v_cndmask_b32_e64 v37, v37, 0, vcc
	v_cndmask_b32_e32 v31, v55, v31, vcc
	v_cmp_gt_u32_e32 vcc, 60, v47
	v_cndmask_b32_e64 v54, 0, 1, vcc
	v_lshlrev_b32_e32 v54, 2, v54
	v_add_lshl_u32 v54, v54, v46, 2
	ds_bpermute_b32 v56, v54, v31
	v_add_u32_e32 v30, v37, v30
	ds_bpermute_b32 v37, v54, v30
	v_and_b32_e32 v57, 1, v36
	v_cmp_eq_u32_e32 vcc, 1, v57
	s_waitcnt lgkmcnt(1)
	v_and_b32_e32 v56, 1, v56
	v_add_u32_e32 v55, 4, v47
	v_cndmask_b32_e64 v56, v56, 1, vcc
	v_cmp_eq_u16_sdwa vcc, v36, v35 src0_sel:BYTE_0 src1_sel:DWORD
	v_and_b32_e32 v57, 0xffff, v56
	s_waitcnt lgkmcnt(0)
	v_cndmask_b32_e32 v37, 0, v37, vcc
	v_cmp_gt_u32_e32 vcc, v55, v33
	v_cndmask_b32_e32 v36, v56, v36, vcc
	v_cndmask_b32_e64 v37, v37, 0, vcc
	v_cndmask_b32_e32 v31, v57, v31, vcc
	v_cmp_gt_u32_e32 vcc, 56, v47
	v_cndmask_b32_e64 v56, 0, 1, vcc
	v_lshlrev_b32_e32 v56, 3, v56
	v_add_lshl_u32 v56, v56, v46, 2
	ds_bpermute_b32 v58, v56, v31
	v_add_u32_e32 v30, v37, v30
	ds_bpermute_b32 v37, v56, v30
	v_and_b32_e32 v59, 1, v36
	v_cmp_eq_u32_e32 vcc, 1, v59
	s_waitcnt lgkmcnt(1)
	v_and_b32_e32 v58, 1, v58
	;; [unrolled: 21-line block ×4, first 2 shown]
	v_add_u32_e32 v62, 32, v47
	v_cndmask_b32_e64 v31, v31, 1, vcc
	v_cmp_eq_u16_sdwa vcc, v36, v35 src0_sel:BYTE_0 src1_sel:DWORD
	s_waitcnt lgkmcnt(0)
	v_cndmask_b32_e32 v37, 0, v37, vcc
	v_cmp_gt_u32_e32 vcc, v62, v33
	v_cndmask_b32_e64 v33, v37, 0, vcc
	v_cndmask_b32_e32 v31, v31, v36, vcc
	v_add_u32_e32 v30, v33, v30
	s_branch .LBB1914_114
.LBB1914_113:                           ;   in Loop: Header=BB1914_114 Depth=1
	s_or_b64 exec, exec, s[30:31]
	v_cmp_eq_u16_sdwa s[30:31], v32, v27 src0_sel:BYTE_0 src1_sel:DWORD
	v_and_b32_e32 v33, s31, v29
	ds_bpermute_b32 v37, v48, v31
	v_or_b32_e32 v33, 0x80000000, v33
	v_and_b32_e32 v36, s30, v28
	v_ffbl_b32_e32 v33, v33
	v_add_u32_e32 v33, 32, v33
	v_ffbl_b32_e32 v36, v36
	v_min_u32_e32 v33, v36, v33
	ds_bpermute_b32 v36, v48, v30
	v_and_b32_e32 v63, 1, v31
	s_waitcnt lgkmcnt(1)
	v_and_b32_e32 v37, 1, v37
	v_cmp_eq_u32_e32 vcc, 1, v63
	v_cndmask_b32_e64 v37, v37, 1, vcc
	v_cmp_gt_u64_e32 vcc, s[40:41], v[30:31]
	v_and_b32_e32 v63, 0xffff, v37
	v_cmp_lt_u32_e64 s[30:31], v47, v33
	v_cndmask_b32_e64 v37, v31, v37, s[30:31]
	v_cndmask_b32_e64 v31, v31, v63, s[30:31]
	s_and_b64 vcc, s[30:31], vcc
	ds_bpermute_b32 v63, v49, v31
	s_waitcnt lgkmcnt(1)
	v_cndmask_b32_e32 v36, 0, v36, vcc
	v_add_u32_e32 v30, v36, v30
	ds_bpermute_b32 v36, v49, v30
	v_and_b32_e32 v64, 1, v37
	s_waitcnt lgkmcnt(1)
	v_and_b32_e32 v63, 1, v63
	v_cmp_eq_u32_e32 vcc, 1, v64
	v_cndmask_b32_e64 v63, v63, 1, vcc
	v_cmp_eq_u16_sdwa vcc, v37, v35 src0_sel:BYTE_0 src1_sel:DWORD
	v_and_b32_e32 v64, 0xffff, v63
	s_waitcnt lgkmcnt(0)
	v_cndmask_b32_e32 v36, 0, v36, vcc
	v_cmp_gt_u32_e32 vcc, v53, v33
	v_cndmask_b32_e32 v31, v64, v31, vcc
	v_cndmask_b32_e32 v37, v63, v37, vcc
	ds_bpermute_b32 v63, v54, v31
	v_cndmask_b32_e64 v36, v36, 0, vcc
	v_add_u32_e32 v30, v36, v30
	ds_bpermute_b32 v36, v54, v30
	v_and_b32_e32 v64, 1, v37
	s_waitcnt lgkmcnt(1)
	v_and_b32_e32 v63, 1, v63
	v_cmp_eq_u32_e32 vcc, 1, v64
	v_cndmask_b32_e64 v63, v63, 1, vcc
	v_cmp_eq_u16_sdwa vcc, v37, v35 src0_sel:BYTE_0 src1_sel:DWORD
	v_and_b32_e32 v64, 0xffff, v63
	s_waitcnt lgkmcnt(0)
	v_cndmask_b32_e32 v36, 0, v36, vcc
	v_cmp_gt_u32_e32 vcc, v55, v33
	v_cndmask_b32_e32 v31, v64, v31, vcc
	v_cndmask_b32_e32 v37, v63, v37, vcc
	ds_bpermute_b32 v63, v56, v31
	v_cndmask_b32_e64 v36, v36, 0, vcc
	;; [unrolled: 16-line block ×3, first 2 shown]
	v_add_u32_e32 v30, v36, v30
	ds_bpermute_b32 v36, v58, v30
	v_and_b32_e32 v64, 1, v37
	s_waitcnt lgkmcnt(1)
	v_and_b32_e32 v63, 1, v63
	v_cmp_eq_u32_e32 vcc, 1, v64
	v_cndmask_b32_e64 v63, v63, 1, vcc
	v_cmp_eq_u16_sdwa vcc, v37, v35 src0_sel:BYTE_0 src1_sel:DWORD
	v_and_b32_e32 v64, 0xffff, v63
	s_waitcnt lgkmcnt(0)
	v_cndmask_b32_e32 v36, 0, v36, vcc
	v_cmp_gt_u32_e32 vcc, v59, v33
	v_cndmask_b32_e64 v36, v36, 0, vcc
	v_cndmask_b32_e32 v31, v64, v31, vcc
	ds_bpermute_b32 v31, v61, v31
	v_add_u32_e32 v30, v36, v30
	ds_bpermute_b32 v36, v61, v30
	v_cndmask_b32_e32 v37, v63, v37, vcc
	v_and_b32_e32 v63, 1, v37
	v_cmp_eq_u32_e32 vcc, 1, v63
	s_waitcnt lgkmcnt(1)
	v_cndmask_b32_e64 v31, v31, 1, vcc
	v_cmp_eq_u16_sdwa vcc, v37, v35 src0_sel:BYTE_0 src1_sel:DWORD
	s_waitcnt lgkmcnt(0)
	v_cndmask_b32_e32 v36, 0, v36, vcc
	v_cmp_gt_u32_e32 vcc, v62, v33
	v_cndmask_b32_e64 v33, v36, 0, vcc
	v_cndmask_b32_e32 v31, v31, v37, vcc
	v_add_u32_e32 v30, v33, v30
	v_cmp_eq_u16_sdwa vcc, v46, v35 src0_sel:BYTE_0 src1_sel:DWORD
	v_and_b32_e32 v33, 1, v46
	v_cndmask_b32_e32 v30, 0, v30, vcc
	v_and_b32_e32 v31, 1, v31
	v_cmp_eq_u32_e32 vcc, 1, v33
	v_subrev_u32_e32 v34, 64, v34
	v_add_u32_e32 v30, v30, v60
	v_cndmask_b32_e64 v31, v31, 1, vcc
.LBB1914_114:                           ; =>This Loop Header: Depth=1
                                        ;     Child Loop BB1914_117 Depth 2
	v_cmp_ne_u16_sdwa s[30:31], v32, v27 src0_sel:BYTE_0 src1_sel:DWORD
	v_mov_b32_e32 v46, v31
	v_cndmask_b32_e64 v31, 0, 1, s[30:31]
	;;#ASMSTART
	;;#ASMEND
	v_cmp_ne_u32_e32 vcc, 0, v31
	s_cmp_lg_u64 vcc, exec
	v_mov_b32_e32 v60, v30
	s_cbranch_scc1 .LBB1914_119
; %bb.115:                              ;   in Loop: Header=BB1914_114 Depth=1
	v_lshlrev_b64 v[30:31], 4, v[34:35]
	v_mov_b32_e32 v32, s45
	v_add_co_u32_e32 v36, vcc, s44, v30
	v_addc_co_u32_e32 v37, vcc, v32, v31, vcc
	;;#ASMSTART
	global_load_dwordx4 v[30:33], v[36:37] off glc	
s_waitcnt vmcnt(0)
	;;#ASMEND
	v_and_b32_e32 v33, 0xff0000, v30
	v_or_b32_sdwa v33, v30, v33 dst_sel:DWORD dst_unused:UNUSED_PAD src0_sel:WORD_0 src1_sel:DWORD
	v_and_b32_e32 v30, 0xff000000, v30
	v_and_b32_e32 v31, 0xff, v31
	v_or3_b32 v31, 0, 0, v31
	v_or3_b32 v30, v33, v30, 0
	v_cmp_eq_u16_sdwa s[48:49], v32, v35 src0_sel:BYTE_0 src1_sel:DWORD
	s_and_saveexec_b64 s[30:31], s[48:49]
	s_cbranch_execz .LBB1914_113
; %bb.116:                              ;   in Loop: Header=BB1914_114 Depth=1
	s_mov_b64 s[48:49], 0
.LBB1914_117:                           ;   Parent Loop BB1914_114 Depth=1
                                        ; =>  This Inner Loop Header: Depth=2
	;;#ASMSTART
	global_load_dwordx4 v[30:33], v[36:37] off glc	
s_waitcnt vmcnt(0)
	;;#ASMEND
	v_cmp_ne_u16_sdwa s[54:55], v32, v35 src0_sel:BYTE_0 src1_sel:DWORD
	s_or_b64 s[48:49], s[54:55], s[48:49]
	s_andn2_b64 exec, exec, s[48:49]
	s_cbranch_execnz .LBB1914_117
; %bb.118:                              ;   in Loop: Header=BB1914_114 Depth=1
	s_or_b64 exec, exec, s[48:49]
	v_and_b32_e32 v31, 0xff, v31
	s_branch .LBB1914_113
.LBB1914_119:                           ;   in Loop: Header=BB1914_114 Depth=1
                                        ; implicit-def: $vgpr31
                                        ; implicit-def: $vgpr30
                                        ; implicit-def: $vgpr32
	s_cbranch_execz .LBB1914_114
; %bb.120:
	s_and_saveexec_b64 s[30:31], s[26:27]
	s_cbranch_execz .LBB1914_122
; %bb.121:
	s_and_b32 s40, s7, 0xff
	s_cmp_eq_u32 s40, 0
	s_cselect_b64 vcc, -1, 0
	s_bitcmp1_b32 s7, 0
	s_mov_b32 s41, 0
	s_cselect_b64 s[48:49], -1, 0
	s_add_i32 s40, s6, 64
	s_lshl_b64 s[6:7], s[40:41], 4
	v_cndmask_b32_e32 v27, 0, v60, vcc
	s_add_u32 s6, s44, s6
	v_add_u32_e32 v26, v27, v26
	v_and_b32_e32 v27, 1, v46
	s_addc_u32 s7, s45, s7
	v_mov_b32_e32 v29, 0
	v_cndmask_b32_e64 v27, v27, 1, s[48:49]
	v_mov_b32_e32 v28, 2
	v_pk_mov_b32 v[30:31], s[6:7], s[6:7] op_sel:[0,1]
	;;#ASMSTART
	global_store_dwordx4 v[30:31], v[26:29] off	
s_waitcnt vmcnt(0)
	;;#ASMEND
.LBB1914_122:
	s_or_b64 exec, exec, s[30:31]
	v_cmp_eq_u32_e32 vcc, 0, v0
	s_and_b64 exec, exec, vcc
	s_cbranch_execz .LBB1914_124
; %bb.123:
	v_mov_b32_e32 v26, 0
	ds_write_b32 v26, v60 offset:24
	ds_write_b8 v26, v46 offset:28
.LBB1914_124:
	s_or_b64 exec, exec, s[38:39]
	v_mov_b32_e32 v28, 0
	s_waitcnt lgkmcnt(0)
	s_barrier
	ds_read_b32 v26, v28 offset:24
	v_cndmask_b32_e64 v27, v45, v43, s[26:27]
	v_cmp_eq_u16_sdwa vcc, v27, v28 src0_sel:BYTE_0 src1_sel:DWORD
	v_cndmask_b32_e64 v29, v44, v42, s[26:27]
	s_waitcnt lgkmcnt(0)
	v_cndmask_b32_e32 v27, 0, v26, vcc
	v_add_u32_e32 v27, v27, v29
	v_cmp_eq_u32_e32 vcc, 0, v0
	v_and_b32_e32 v29, 0xff, v39
	v_cndmask_b32_e32 v26, v27, v26, vcc
	v_cmp_eq_u64_e32 vcc, 0, v[28:29]
	v_cndmask_b32_e32 v27, 0, v26, vcc
	v_add_u32_e32 v27, v27, v38
	v_cndmask_b32_e64 v28, 0, v27, s[2:3]
	v_add_u32_e32 v42, v28, v8
	v_cndmask_b32_e64 v28, 0, v42, s[4:5]
	;; [unrolled: 2-line block ×12, first 2 shown]
	v_add_u32_e32 v49, v28, v24
	s_branch .LBB1914_139
.LBB1914_125:
                                        ; implicit-def: $vgpr49
                                        ; implicit-def: $vgpr47
                                        ; implicit-def: $vgpr45
                                        ; implicit-def: $vgpr43
                                        ; implicit-def: $vgpr34_vgpr35_vgpr36_vgpr37
                                        ; implicit-def: $vgpr30_vgpr31_vgpr32_vgpr33
                                        ; implicit-def: $vgpr26_vgpr27_vgpr28_vgpr29
	s_cbranch_execz .LBB1914_139
; %bb.126:
	s_cmp_lg_u64 s[52:53], 0
	s_cselect_b32 s3, s51, 0
	s_cselect_b32 s2, s50, 0
	s_mov_b32 s24, 0
	s_cmp_eq_u64 s[2:3], 0
	v_mov_b32_e32 v32, s56
	s_cbranch_scc1 .LBB1914_128
; %bb.127:
	v_mov_b32_e32 v26, 0
	global_load_dword v32, v26, s[2:3]
.LBB1914_128:
	s_mov_b32 s25, 1
	v_cmp_gt_u64_e32 vcc, s[24:25], v[8:9]
	v_cndmask_b32_e32 v27, 0, v38, vcc
	v_add_u32_e32 v27, v27, v8
	v_cmp_gt_u64_e64 s[2:3], s[24:25], v[6:7]
	v_cndmask_b32_e64 v27, 0, v27, s[2:3]
	v_add_u32_e32 v27, v27, v6
	v_cmp_gt_u64_e64 s[4:5], s[24:25], v[4:5]
	v_cndmask_b32_e64 v27, 0, v27, s[4:5]
	;; [unrolled: 3-line block ×11, first 2 shown]
	v_mov_b32_e32 v26, 0
	v_add_u32_e32 v27, v27, v24
	v_cmp_gt_u64_e64 s[24:25], s[24:25], v[40:41]
	v_or3_b32 v7, v23, v15, v7
	v_cndmask_b32_e64 v27, 0, v27, s[24:25]
	v_or3_b32 v9, v25, v17, v9
	v_and_b32_e32 v35, 1, v7
	v_mov_b32_e32 v34, v26
	v_add_u32_e32 v33, v27, v40
	v_and_b32_e32 v27, 1, v41
	v_or3_b32 v3, v19, v11, v3
	v_and_b32_e32 v31, 1, v9
	v_mov_b32_e32 v30, v26
	v_cmp_ne_u64_e64 s[26:27], 0, v[34:35]
	v_cmp_eq_u32_e64 s[24:25], 1, v27
	v_or3_b32 v5, v21, v13, v5
	v_and_b32_e32 v27, 1, v3
	v_cndmask_b32_e64 v3, 0, 1, s[26:27]
	v_cmp_ne_u64_e64 s[26:27], 0, v[30:31]
	v_and_b32_e32 v29, 1, v5
	v_mov_b32_e32 v28, v26
	v_cndmask_b32_e64 v5, 0, 1, s[26:27]
	v_lshlrev_b16_e32 v3, 2, v3
	v_lshlrev_b16_e32 v5, 3, v5
	v_cmp_ne_u64_e64 s[26:27], 0, v[28:29]
	v_or_b32_e32 v3, v5, v3
	v_cndmask_b32_e64 v5, 0, 1, s[26:27]
	v_cmp_ne_u64_e64 s[26:27], 0, v[26:27]
	v_lshlrev_b16_e32 v5, 1, v5
	v_cndmask_b32_e64 v7, 0, 1, s[26:27]
	v_or_b32_e32 v5, v7, v5
	v_and_b32_e32 v5, 3, v5
	v_or_b32_e32 v3, v5, v3
	v_and_b32_e32 v3, 15, v3
	v_cmp_ne_u16_e64 s[26:27], 0, v3
	s_or_b64 s[24:25], s[24:25], s[26:27]
	v_cndmask_b32_e64 v5, v39, 1, s[24:25]
	v_and_b32_e32 v7, 0xff, v5
	v_mov_b32_dpp v11, v33 row_shr:1 row_mask:0xf bank_mask:0xf
	v_cmp_eq_u16_e64 s[24:25], 0, v7
	v_mov_b32_dpp v13, v7 row_shr:1 row_mask:0xf bank_mask:0xf
	v_and_b32_e32 v15, 1, v5
	v_mbcnt_hi_u32_b32 v3, -1, v52
	v_cndmask_b32_e64 v11, 0, v11, s[24:25]
	v_and_b32_e32 v13, 1, v13
	v_cmp_eq_u32_e64 s[24:25], 1, v15
	v_and_b32_e32 v9, 15, v3
	v_cndmask_b32_e64 v13, v13, 1, s[24:25]
	v_and_b32_e32 v15, 0xffff, v13
	v_cmp_eq_u32_e64 s[24:25], 0, v9
	v_cndmask_b32_e64 v5, v13, v5, s[24:25]
	v_cndmask_b32_e64 v7, v15, v7, s[24:25]
	v_and_b32_e32 v17, 1, v5
	v_cndmask_b32_e64 v11, v11, 0, s[24:25]
	v_mov_b32_dpp v15, v7 row_shr:2 row_mask:0xf bank_mask:0xf
	v_and_b32_e32 v15, 1, v15
	v_cmp_eq_u32_e64 s[24:25], 1, v17
	v_cndmask_b32_e64 v15, v15, 1, s[24:25]
	v_and_b32_e32 v17, 0xffff, v15
	v_cmp_lt_u32_e64 s[24:25], 1, v9
	v_add_u32_e32 v11, v11, v33
	v_cmp_eq_u16_sdwa s[26:27], v5, v26 src0_sel:BYTE_0 src1_sel:DWORD
	v_cndmask_b32_e64 v5, v5, v15, s[24:25]
	v_cndmask_b32_e64 v7, v7, v17, s[24:25]
	v_mov_b32_dpp v13, v11 row_shr:2 row_mask:0xf bank_mask:0xf
	s_and_b64 s[24:25], s[24:25], s[26:27]
	v_mov_b32_dpp v15, v7 row_shr:4 row_mask:0xf bank_mask:0xf
	v_and_b32_e32 v17, 1, v5
	v_cndmask_b32_e64 v13, 0, v13, s[24:25]
	v_and_b32_e32 v15, 1, v15
	v_cmp_eq_u32_e64 s[24:25], 1, v17
	v_cndmask_b32_e64 v15, v15, 1, s[24:25]
	v_and_b32_e32 v17, 0xffff, v15
	v_cmp_lt_u32_e64 s[24:25], 3, v9
	v_add_u32_e32 v11, v13, v11
	v_cmp_eq_u16_sdwa s[26:27], v5, v26 src0_sel:BYTE_0 src1_sel:DWORD
	v_cndmask_b32_e64 v5, v5, v15, s[24:25]
	v_cndmask_b32_e64 v7, v7, v17, s[24:25]
	v_mov_b32_dpp v13, v11 row_shr:4 row_mask:0xf bank_mask:0xf
	s_and_b64 s[24:25], s[24:25], s[26:27]
	v_mov_b32_dpp v15, v7 row_shr:8 row_mask:0xf bank_mask:0xf
	v_and_b32_e32 v17, 1, v5
	v_cndmask_b32_e64 v13, 0, v13, s[24:25]
	v_and_b32_e32 v15, 1, v15
	v_cmp_eq_u32_e64 s[24:25], 1, v17
	v_cndmask_b32_e64 v15, v15, 1, s[24:25]
	v_add_u32_e32 v11, v13, v11
	v_cmp_eq_u16_sdwa s[26:27], v5, v26 src0_sel:BYTE_0 src1_sel:DWORD
	v_and_b32_e32 v17, 0xffff, v15
	v_cmp_lt_u32_e64 s[24:25], 7, v9
	v_mov_b32_dpp v13, v11 row_shr:8 row_mask:0xf bank_mask:0xf
	v_cndmask_b32_e64 v5, v5, v15, s[24:25]
	v_cndmask_b32_e64 v7, v7, v17, s[24:25]
	s_and_b64 s[24:25], s[24:25], s[26:27]
	v_cndmask_b32_e64 v9, 0, v13, s[24:25]
	v_add_u32_e32 v9, v9, v11
	v_mov_b32_dpp v13, v7 row_bcast:15 row_mask:0xf bank_mask:0xf
	v_cmp_eq_u16_sdwa s[24:25], v5, v26 src0_sel:BYTE_0 src1_sel:DWORD
	v_mov_b32_dpp v11, v9 row_bcast:15 row_mask:0xf bank_mask:0xf
	v_and_b32_e32 v19, 1, v5
	v_cndmask_b32_e64 v11, 0, v11, s[24:25]
	v_and_b32_e32 v13, 1, v13
	v_cmp_eq_u32_e64 s[24:25], 1, v19
	v_and_b32_e32 v17, 16, v3
	v_cndmask_b32_e64 v13, v13, 1, s[24:25]
	v_and_b32_e32 v19, 0xffff, v13
	v_cmp_eq_u32_e64 s[24:25], 0, v17
	v_cndmask_b32_e64 v5, v13, v5, s[24:25]
	v_cndmask_b32_e64 v7, v19, v7, s[24:25]
	v_bfe_i32 v15, v3, 4, 1
	v_and_b32_e32 v13, 1, v5
	v_mov_b32_dpp v7, v7 row_bcast:31 row_mask:0xf bank_mask:0xf
	v_and_b32_e32 v11, v15, v11
	v_and_b32_e32 v7, 1, v7
	v_cmp_eq_u32_e64 s[24:25], 1, v13
	v_add_u32_e32 v9, v11, v9
	v_cmp_eq_u16_sdwa s[26:27], v5, v26 src0_sel:BYTE_0 src1_sel:DWORD
	v_cndmask_b32_e64 v7, v7, 1, s[24:25]
	v_cmp_lt_u32_e64 s[24:25], 31, v3
	v_mov_b32_dpp v11, v9 row_bcast:31 row_mask:0xf bank_mask:0xf
	v_cndmask_b32_e64 v5, v5, v7, s[24:25]
	s_and_b64 s[24:25], s[24:25], s[26:27]
	v_cndmask_b32_e64 v7, 0, v11, s[24:25]
	v_add_u32_e32 v7, v7, v9
	v_cmp_eq_u32_e64 s[24:25], v51, v0
	s_and_saveexec_b64 s[26:27], s[24:25]
	s_cbranch_execz .LBB1914_130
; %bb.129:
	v_lshlrev_b32_e32 v9, 3, v1
	ds_write_b32 v9, v7
	ds_write_b8 v9, v5 offset:4
.LBB1914_130:
	s_or_b64 exec, exec, s[26:27]
	v_cmp_gt_u32_e64 s[24:25], 4, v0
	s_waitcnt lgkmcnt(0)
	s_barrier
	s_and_saveexec_b64 s[26:27], s[24:25]
	s_cbranch_execz .LBB1914_134
; %bb.131:
	v_lshlrev_b32_e32 v9, 3, v0
	ds_read_b64 v[26:27], v9
	v_and_b32_e32 v11, 3, v3
	v_cmp_ne_u32_e64 s[24:25], 0, v11
	s_waitcnt lgkmcnt(0)
	v_mov_b32_dpp v13, v26 row_shr:1 row_mask:0xf bank_mask:0xf
	v_mov_b32_dpp v17, v27 row_shr:1 row_mask:0xf bank_mask:0xf
	v_mov_b32_e32 v15, v27
	s_and_saveexec_b64 s[28:29], s[24:25]
	s_cbranch_execz .LBB1914_133
; %bb.132:
	v_and_b32_e32 v15, 1, v27
	v_and_b32_e32 v17, 1, v17
	v_cmp_eq_u32_e64 s[24:25], 1, v15
	v_mov_b32_e32 v15, 0
	v_cndmask_b32_e64 v17, v17, 1, s[24:25]
	v_cmp_eq_u16_sdwa s[24:25], v27, v15 src0_sel:BYTE_0 src1_sel:DWORD
	v_cndmask_b32_e64 v13, 0, v13, s[24:25]
	v_add_u32_e32 v26, v13, v26
	v_and_b32_e32 v13, 0xffff, v17
	s_movk_i32 s24, 0xff00
	v_and_or_b32 v15, v27, s24, v13
	v_mov_b32_e32 v27, v17
.LBB1914_133:
	s_or_b64 exec, exec, s[28:29]
	v_mov_b32_dpp v15, v15 row_shr:2 row_mask:0xf bank_mask:0xf
	v_and_b32_e32 v17, 1, v27
	v_and_b32_e32 v15, 1, v15
	v_cmp_eq_u32_e64 s[24:25], 1, v17
	v_mov_b32_e32 v17, 0
	v_cndmask_b32_e64 v15, v15, 1, s[24:25]
	v_cmp_eq_u16_sdwa s[28:29], v27, v17 src0_sel:BYTE_0 src1_sel:DWORD
	v_cmp_lt_u32_e64 s[24:25], 1, v11
	v_mov_b32_dpp v13, v26 row_shr:2 row_mask:0xf bank_mask:0xf
	v_cndmask_b32_e64 v11, v27, v15, s[24:25]
	s_and_b64 s[24:25], s[24:25], s[28:29]
	v_cndmask_b32_e64 v13, 0, v13, s[24:25]
	v_add_u32_e32 v13, v13, v26
	ds_write_b32 v9, v13
	ds_write_b8 v9, v11 offset:4
.LBB1914_134:
	s_or_b64 exec, exec, s[26:27]
	v_cmp_lt_u32_e64 s[24:25], 63, v0
	s_waitcnt vmcnt(0)
	v_mov_b32_e32 v9, v32
	s_waitcnt lgkmcnt(0)
	s_barrier
	s_and_saveexec_b64 s[26:27], s[24:25]
	s_cbranch_execz .LBB1914_136
; %bb.135:
	v_lshl_add_u32 v1, v1, 3, -8
	ds_read_u8 v9, v1 offset:4
	ds_read_b32 v1, v1
	s_waitcnt lgkmcnt(1)
	v_cmp_eq_u16_e64 s[24:25], 0, v9
	v_cndmask_b32_e64 v9, 0, v32, s[24:25]
	s_waitcnt lgkmcnt(0)
	v_add_u32_e32 v9, v9, v1
.LBB1914_136:
	s_or_b64 exec, exec, s[26:27]
	v_mov_b32_e32 v28, 0
	v_cmp_eq_u16_sdwa s[24:25], v5, v28 src0_sel:BYTE_0 src1_sel:DWORD
	v_cndmask_b32_e64 v1, 0, v9, s[24:25]
	v_add_u32_e32 v1, v1, v7
	v_add_u32_e32 v5, -1, v3
	v_and_b32_e32 v7, 64, v3
	v_cmp_lt_i32_e64 s[24:25], v5, v7
	v_cndmask_b32_e64 v5, v5, v3, s[24:25]
	v_lshlrev_b32_e32 v5, 2, v5
	ds_bpermute_b32 v1, v5, v1
	v_cmp_eq_u32_e64 s[24:25], 0, v3
	v_and_b32_e32 v29, 0xff, v39
	v_cmp_eq_u64_e64 s[26:27], 0, v[28:29]
	s_waitcnt lgkmcnt(0)
	v_cndmask_b32_e64 v26, v1, v9, s[24:25]
	v_cmp_eq_u32_e64 s[24:25], 0, v0
	v_cndmask_b32_e64 v1, v26, v32, s[24:25]
	v_cndmask_b32_e64 v1, 0, v1, s[26:27]
	v_add_u32_e32 v27, v1, v38
	v_cndmask_b32_e32 v1, 0, v27, vcc
	v_add_u32_e32 v42, v1, v8
	v_cndmask_b32_e64 v1, 0, v42, s[2:3]
	v_add_u32_e32 v43, v1, v6
	v_cndmask_b32_e64 v1, 0, v43, s[4:5]
	;; [unrolled: 2-line block ×11, first 2 shown]
	s_and_saveexec_b64 s[2:3], s[24:25]
	s_cbranch_execz .LBB1914_138
; %bb.137:
	ds_read_u8 v3, v28 offset:28
	ds_read_b32 v2, v28 offset:24
	s_add_u32 s4, s44, 0x400
	s_addc_u32 s5, s45, 0
	v_mov_b32_e32 v5, v28
	s_waitcnt lgkmcnt(1)
	v_cmp_eq_u16_e32 vcc, 0, v3
	v_cndmask_b32_e32 v4, 0, v32, vcc
	s_waitcnt lgkmcnt(0)
	v_add_u32_e32 v2, v4, v2
	v_and_b32_e32 v3, 0xffff, v3
	v_mov_b32_e32 v4, 2
	v_pk_mov_b32 v[6:7], s[4:5], s[4:5] op_sel:[0,1]
	;;#ASMSTART
	global_store_dwordx4 v[6:7], v[2:5] off	
s_waitcnt vmcnt(0)
	;;#ASMEND
	v_mov_b32_e32 v26, v32
.LBB1914_138:
	s_or_b64 exec, exec, s[2:3]
	v_add_u32_e32 v49, v1, v24
.LBB1914_139:
	s_add_u32 s2, s42, s34
	s_addc_u32 s3, s43, s35
	s_add_u32 s26, s2, s36
	s_addc_u32 s27, s3, s37
	v_mul_u32_u24_e32 v18, 14, v0
	s_and_b64 vcc, exec, s[0:1]
	s_cbranch_vccz .LBB1914_191
; %bb.140:
	s_add_i32 s33, s33, s46
	v_cmp_gt_u32_e32 vcc, s33, v18
	v_mov_b32_e32 v1, 0
	v_mov_b32_e32 v5, 0
	;; [unrolled: 1-line block ×15, first 2 shown]
	s_and_saveexec_b64 s[2:3], vcc
	s_cbranch_execz .LBB1914_164
; %bb.141:
	v_or_b32_e32 v2, 1, v18
	v_cmp_gt_u32_e32 vcc, s33, v2
	v_mov_b32_e32 v3, 0
	v_mov_b32_e32 v2, 0
	;; [unrolled: 1-line block ×13, first 2 shown]
	s_and_saveexec_b64 s[4:5], vcc
	s_cbranch_execz .LBB1914_163
; %bb.142:
	v_add_u32_e32 v2, 2, v18
	v_cmp_gt_u32_e32 vcc, s33, v2
	v_mov_b32_e32 v3, 0
	v_mov_b32_e32 v2, 0
	;; [unrolled: 1-line block ×12, first 2 shown]
	s_and_saveexec_b64 s[6:7], vcc
	s_cbranch_execz .LBB1914_162
; %bb.143:
	v_add_u32_e32 v2, 3, v18
	v_cmp_gt_u32_e32 vcc, s33, v2
	v_mov_b32_e32 v3, 0
	v_mov_b32_e32 v2, 0
	v_mov_b32_e32 v7, 0
	v_mov_b32_e32 v6, 0
	v_mov_b32_e32 v9, 0
	v_mov_b32_e32 v8, 0
	v_mov_b32_e32 v11, 0
	v_mov_b32_e32 v10, 0
	v_mov_b32_e32 v13, 0
	v_mov_b32_e32 v4, 0
	v_mov_b32_e32 v5, 0
	s_and_saveexec_b64 s[8:9], vcc
	s_cbranch_execz .LBB1914_161
; %bb.144:
	v_add_u32_e32 v2, 4, v18
	v_cmp_gt_u32_e32 vcc, s33, v2
	v_mov_b32_e32 v3, 0
	v_mov_b32_e32 v2, 0
	;; [unrolled: 1-line block ×10, first 2 shown]
	s_and_saveexec_b64 s[10:11], vcc
	s_cbranch_execz .LBB1914_160
; %bb.145:
	v_add_u32_e32 v2, 5, v18
	v_cmp_gt_u32_e32 vcc, s33, v2
	v_mov_b32_e32 v3, 0
	v_mov_b32_e32 v2, 0
	;; [unrolled: 1-line block ×9, first 2 shown]
	s_and_saveexec_b64 s[12:13], vcc
	s_cbranch_execz .LBB1914_159
; %bb.146:
	v_add_u32_e32 v2, 6, v18
	v_cmp_gt_u32_e32 vcc, s33, v2
	v_mov_b32_e32 v3, 0
	v_mov_b32_e32 v2, 0
	;; [unrolled: 1-line block ×8, first 2 shown]
	s_and_saveexec_b64 s[14:15], vcc
	s_cbranch_execz .LBB1914_158
; %bb.147:
	v_add_u32_e32 v2, 7, v18
	v_cmp_gt_u32_e32 vcc, s33, v2
	v_mov_b32_e32 v3, 0
	v_mov_b32_e32 v2, 0
	v_mov_b32_e32 v7, 0
	v_mov_b32_e32 v6, 0
	v_mov_b32_e32 v9, 0
	v_mov_b32_e32 v4, 0
	v_mov_b32_e32 v5, 0
	s_and_saveexec_b64 s[16:17], vcc
	s_cbranch_execz .LBB1914_157
; %bb.148:
	v_add_u32_e32 v2, 8, v18
	v_cmp_gt_u32_e32 vcc, s33, v2
	v_mov_b32_e32 v3, 0
	v_mov_b32_e32 v2, 0
	;; [unrolled: 1-line block ×6, first 2 shown]
	s_and_saveexec_b64 s[18:19], vcc
	s_cbranch_execz .LBB1914_156
; %bb.149:
	v_add_u32_e32 v2, 9, v18
	v_cmp_gt_u32_e32 vcc, s33, v2
	v_mov_b32_e32 v3, 0
	v_mov_b32_e32 v2, 0
	;; [unrolled: 1-line block ×5, first 2 shown]
	s_and_saveexec_b64 s[20:21], vcc
	s_cbranch_execz .LBB1914_155
; %bb.150:
	v_add_u32_e32 v2, 10, v18
	v_cmp_gt_u32_e32 vcc, s33, v2
	v_mov_b32_e32 v3, 0
	v_mov_b32_e32 v2, 0
	;; [unrolled: 1-line block ×4, first 2 shown]
	s_and_saveexec_b64 s[22:23], vcc
	s_cbranch_execz .LBB1914_154
; %bb.151:
	v_add_u32_e32 v2, 11, v18
	v_cmp_gt_u32_e32 vcc, s33, v2
	v_mov_b32_e32 v3, 0
	v_mov_b32_e32 v4, 0
	;; [unrolled: 1-line block ×3, first 2 shown]
	s_and_saveexec_b64 s[24:25], vcc
; %bb.152:
	v_add_u32_e32 v2, 12, v18
	v_cmp_gt_u32_e32 vcc, s33, v2
	v_add_u32_e32 v2, 13, v18
	v_cmp_gt_u32_e64 s[0:1], s33, v2
	v_cndmask_b32_e32 v4, 0, v48, vcc
	s_and_b64 vcc, vcc, s[0:1]
	v_cndmask_b32_e32 v5, 0, v49, vcc
	v_mov_b32_e32 v3, v47
; %bb.153:
	s_or_b64 exec, exec, s[24:25]
	v_mov_b32_e32 v2, v46
.LBB1914_154:
	s_or_b64 exec, exec, s[22:23]
	v_mov_b32_e32 v7, v35
.LBB1914_155:
	s_or_b64 exec, exec, s[20:21]
	v_mov_b32_e32 v6, v34
.LBB1914_156:
	s_or_b64 exec, exec, s[18:19]
	v_mov_b32_e32 v9, v45
.LBB1914_157:
	s_or_b64 exec, exec, s[16:17]
	v_mov_b32_e32 v8, v44
.LBB1914_158:
	s_or_b64 exec, exec, s[14:15]
	v_mov_b32_e32 v11, v31
.LBB1914_159:
	s_or_b64 exec, exec, s[12:13]
	v_mov_b32_e32 v10, v30
.LBB1914_160:
	s_or_b64 exec, exec, s[10:11]
	v_mov_b32_e32 v13, v43
.LBB1914_161:
	s_or_b64 exec, exec, s[8:9]
	v_mov_b32_e32 v12, v42
.LBB1914_162:
	s_or_b64 exec, exec, s[6:7]
	v_mov_b32_e32 v15, v27
.LBB1914_163:
	s_or_b64 exec, exec, s[4:5]
	v_mov_b32_e32 v14, v26
.LBB1914_164:
	s_or_b64 exec, exec, s[2:3]
	v_lshlrev_b32_e32 v19, 2, v18
	s_movk_i32 s0, 0xffcc
	s_barrier
	ds_write2_b64 v19, v[14:15], v[12:13] offset1:1
	ds_write2_b64 v19, v[10:11], v[8:9] offset0:2 offset1:3
	ds_write2_b64 v19, v[6:7], v[2:3] offset0:4 offset1:5
	ds_write_b64 v19, v[4:5] offset:48
	v_mad_i32_i24 v2, v0, s0, v19
	s_waitcnt lgkmcnt(0)
	s_barrier
	ds_read2st64_b32 v[16:17], v2 offset0:4 offset1:8
	ds_read2st64_b32 v[14:15], v2 offset0:12 offset1:16
	;; [unrolled: 1-line block ×6, first 2 shown]
	ds_read_b32 v3, v2 offset:13312
	v_mov_b32_e32 v2, s27
	v_add_co_u32_e32 v6, vcc, s26, v50
	v_addc_co_u32_e32 v7, vcc, 0, v2, vcc
	v_cmp_gt_u32_e32 vcc, s33, v0
	s_and_saveexec_b64 s[0:1], vcc
	s_cbranch_execz .LBB1914_166
; %bb.165:
	v_mul_i32_i24_e32 v2, 0xffffffcc, v0
	v_add_u32_e32 v2, v19, v2
	ds_read_b32 v2, v2
	s_waitcnt lgkmcnt(0)
	flat_store_dword v[6:7], v2
.LBB1914_166:
	s_or_b64 exec, exec, s[0:1]
	v_or_b32_e32 v2, 0x100, v0
	v_cmp_gt_u32_e32 vcc, s33, v2
	s_and_saveexec_b64 s[0:1], vcc
	s_cbranch_execz .LBB1914_168
; %bb.167:
	s_waitcnt lgkmcnt(0)
	flat_store_dword v[6:7], v16 offset:1024
.LBB1914_168:
	s_or_b64 exec, exec, s[0:1]
	v_or_b32_e32 v2, 0x200, v0
	v_cmp_gt_u32_e32 vcc, s33, v2
	s_and_saveexec_b64 s[0:1], vcc
	s_cbranch_execz .LBB1914_170
; %bb.169:
	s_waitcnt lgkmcnt(0)
	flat_store_dword v[6:7], v17 offset:2048
.LBB1914_170:
	;; [unrolled: 9-line block ×3, first 2 shown]
	s_or_b64 exec, exec, s[0:1]
	v_or_b32_e32 v2, 0x400, v0
	v_cmp_gt_u32_e32 vcc, s33, v2
	s_and_saveexec_b64 s[0:1], vcc
	s_cbranch_execz .LBB1914_174
; %bb.173:
	s_waitcnt lgkmcnt(0)
	v_add_co_u32_e32 v16, vcc, 0x1000, v6
	v_addc_co_u32_e32 v17, vcc, 0, v7, vcc
	flat_store_dword v[16:17], v15
.LBB1914_174:
	s_or_b64 exec, exec, s[0:1]
	v_or_b32_e32 v2, 0x500, v0
	v_cmp_gt_u32_e32 vcc, s33, v2
	s_and_saveexec_b64 s[0:1], vcc
	s_cbranch_execz .LBB1914_176
; %bb.175:
	s_waitcnt lgkmcnt(0)
	v_add_co_u32_e32 v14, vcc, 0x1000, v6
	v_addc_co_u32_e32 v15, vcc, 0, v7, vcc
	flat_store_dword v[14:15], v12 offset:1024
.LBB1914_176:
	s_or_b64 exec, exec, s[0:1]
	v_or_b32_e32 v2, 0x600, v0
	v_cmp_gt_u32_e32 vcc, s33, v2
	s_and_saveexec_b64 s[0:1], vcc
	s_cbranch_execz .LBB1914_178
; %bb.177:
	s_waitcnt lgkmcnt(0)
	v_add_co_u32_e32 v14, vcc, 0x1000, v6
	v_addc_co_u32_e32 v15, vcc, 0, v7, vcc
	flat_store_dword v[14:15], v13 offset:2048
.LBB1914_178:
	;; [unrolled: 11-line block ×3, first 2 shown]
	s_or_b64 exec, exec, s[0:1]
	v_or_b32_e32 v2, 0x800, v0
	v_cmp_gt_u32_e32 vcc, s33, v2
	s_and_saveexec_b64 s[0:1], vcc
	s_cbranch_execz .LBB1914_182
; %bb.181:
	s_waitcnt lgkmcnt(0)
	v_add_co_u32_e32 v12, vcc, 0x2000, v6
	v_addc_co_u32_e32 v13, vcc, 0, v7, vcc
	flat_store_dword v[12:13], v11
.LBB1914_182:
	s_or_b64 exec, exec, s[0:1]
	v_or_b32_e32 v2, 0x900, v0
	v_cmp_gt_u32_e32 vcc, s33, v2
	s_and_saveexec_b64 s[0:1], vcc
	s_cbranch_execz .LBB1914_184
; %bb.183:
	s_waitcnt lgkmcnt(0)
	v_add_co_u32_e32 v10, vcc, 0x2000, v6
	v_addc_co_u32_e32 v11, vcc, 0, v7, vcc
	flat_store_dword v[10:11], v8 offset:1024
.LBB1914_184:
	s_or_b64 exec, exec, s[0:1]
	v_or_b32_e32 v2, 0xa00, v0
	v_cmp_gt_u32_e32 vcc, s33, v2
	s_and_saveexec_b64 s[0:1], vcc
	s_cbranch_execz .LBB1914_186
; %bb.185:
	s_waitcnt lgkmcnt(0)
	v_add_co_u32_e32 v10, vcc, 0x2000, v6
	v_addc_co_u32_e32 v11, vcc, 0, v7, vcc
	flat_store_dword v[10:11], v9 offset:2048
.LBB1914_186:
	;; [unrolled: 11-line block ×3, first 2 shown]
	s_or_b64 exec, exec, s[0:1]
	v_or_b32_e32 v2, 0xc00, v0
	v_cmp_gt_u32_e32 vcc, s33, v2
	s_and_saveexec_b64 s[0:1], vcc
	s_cbranch_execz .LBB1914_190
; %bb.189:
	v_add_co_u32_e32 v6, vcc, 0x3000, v6
	v_addc_co_u32_e32 v7, vcc, 0, v7, vcc
	s_waitcnt lgkmcnt(0)
	flat_store_dword v[6:7], v5
.LBB1914_190:
	s_or_b64 exec, exec, s[0:1]
	v_or_b32_e32 v2, 0xd00, v0
	v_cmp_gt_u32_e64 s[0:1], s33, v2
	s_branch .LBB1914_193
.LBB1914_191:
	s_mov_b64 s[0:1], 0
                                        ; implicit-def: $vgpr3
	s_cbranch_execz .LBB1914_193
; %bb.192:
	v_lshlrev_b32_e32 v2, 2, v18
	s_movk_i32 s2, 0xffcc
	s_waitcnt lgkmcnt(0)
	s_barrier
	ds_write2_b64 v2, v[26:27], v[42:43] offset1:1
	ds_write2_b64 v2, v[30:31], v[44:45] offset0:2 offset1:3
	ds_write2_b64 v2, v[34:35], v[46:47] offset0:4 offset1:5
	ds_write_b64 v2, v[48:49] offset:48
	v_mad_i32_i24 v2, v0, s2, v2
	v_mov_b32_e32 v17, s27
	v_add_co_u32_e32 v16, vcc, s26, v50
	s_waitcnt lgkmcnt(0)
	s_barrier
	ds_read2st64_b32 v[4:5], v2 offset1:4
	ds_read2st64_b32 v[6:7], v2 offset0:8 offset1:12
	ds_read2st64_b32 v[8:9], v2 offset0:16 offset1:20
	;; [unrolled: 1-line block ×6, first 2 shown]
	v_addc_co_u32_e32 v17, vcc, 0, v17, vcc
	s_movk_i32 s2, 0x1000
	s_waitcnt lgkmcnt(0)
	flat_store_dword v[16:17], v4
	flat_store_dword v[16:17], v5 offset:1024
	flat_store_dword v[16:17], v6 offset:2048
	;; [unrolled: 1-line block ×3, first 2 shown]
	v_add_co_u32_e32 v4, vcc, s2, v16
	v_addc_co_u32_e32 v5, vcc, 0, v17, vcc
	flat_store_dword v[4:5], v8
	flat_store_dword v[4:5], v9 offset:1024
	flat_store_dword v[4:5], v10 offset:2048
	flat_store_dword v[4:5], v11 offset:3072
	v_add_co_u32_e32 v4, vcc, 0x2000, v16
	v_addc_co_u32_e32 v5, vcc, 0, v17, vcc
	flat_store_dword v[4:5], v12
	flat_store_dword v[4:5], v13 offset:1024
	flat_store_dword v[4:5], v14 offset:2048
	;; [unrolled: 1-line block ×3, first 2 shown]
	v_add_co_u32_e32 v4, vcc, 0x3000, v16
	v_mov_b32_e32 v1, 0
	v_addc_co_u32_e32 v5, vcc, 0, v17, vcc
	s_or_b64 s[0:1], s[0:1], exec
	flat_store_dword v[4:5], v2
.LBB1914_193:
	s_and_saveexec_b64 s[2:3], s[0:1]
	s_cbranch_execnz .LBB1914_195
; %bb.194:
	s_endpgm
.LBB1914_195:
	v_lshlrev_b64 v[0:1], 2, v[0:1]
	v_mov_b32_e32 v2, s27
	v_add_co_u32_e32 v0, vcc, s26, v0
	v_addc_co_u32_e32 v1, vcc, v2, v1, vcc
	v_add_co_u32_e32 v0, vcc, 0x3000, v0
	v_addc_co_u32_e32 v1, vcc, 0, v1, vcc
	s_waitcnt lgkmcnt(0)
	flat_store_dword v[0:1], v3 offset:1024
	s_endpgm
	.section	.rodata,"a",@progbits
	.p2align	6, 0x0
	.amdhsa_kernel _ZN7rocprim17ROCPRIM_400000_NS6detail17trampoline_kernelINS0_14default_configENS1_27scan_by_key_config_selectorIj11FixedVectorIiLj1EEEEZZNS1_16scan_by_key_implILNS1_25lookback_scan_determinismE0ELb1ES3_N6thrust23THRUST_200600_302600_NS6detail15normal_iteratorINSB_10device_ptrIjEEEENSD_INSE_IS6_EEEESI_S6_NSB_4plusIvEENSB_8equal_toIvEES6_EE10hipError_tPvRmT2_T3_T4_T5_mT6_T7_P12ihipStream_tbENKUlT_T0_E_clISt17integral_constantIbLb0EES13_EEDaSY_SZ_EUlSY_E_NS1_11comp_targetILNS1_3genE4ELNS1_11target_archE910ELNS1_3gpuE8ELNS1_3repE0EEENS1_30default_config_static_selectorELNS0_4arch9wavefront6targetE1EEEvT1_
		.amdhsa_group_segment_fixed_size 16384
		.amdhsa_private_segment_fixed_size 0
		.amdhsa_kernarg_size 112
		.amdhsa_user_sgpr_count 6
		.amdhsa_user_sgpr_private_segment_buffer 1
		.amdhsa_user_sgpr_dispatch_ptr 0
		.amdhsa_user_sgpr_queue_ptr 0
		.amdhsa_user_sgpr_kernarg_segment_ptr 1
		.amdhsa_user_sgpr_dispatch_id 0
		.amdhsa_user_sgpr_flat_scratch_init 0
		.amdhsa_user_sgpr_kernarg_preload_length 0
		.amdhsa_user_sgpr_kernarg_preload_offset 0
		.amdhsa_user_sgpr_private_segment_size 0
		.amdhsa_uses_dynamic_stack 0
		.amdhsa_system_sgpr_private_segment_wavefront_offset 0
		.amdhsa_system_sgpr_workgroup_id_x 1
		.amdhsa_system_sgpr_workgroup_id_y 0
		.amdhsa_system_sgpr_workgroup_id_z 0
		.amdhsa_system_sgpr_workgroup_info 0
		.amdhsa_system_vgpr_workitem_id 0
		.amdhsa_next_free_vgpr 65
		.amdhsa_next_free_sgpr 60
		.amdhsa_accum_offset 68
		.amdhsa_reserve_vcc 1
		.amdhsa_reserve_flat_scratch 0
		.amdhsa_float_round_mode_32 0
		.amdhsa_float_round_mode_16_64 0
		.amdhsa_float_denorm_mode_32 3
		.amdhsa_float_denorm_mode_16_64 3
		.amdhsa_dx10_clamp 1
		.amdhsa_ieee_mode 1
		.amdhsa_fp16_overflow 0
		.amdhsa_tg_split 0
		.amdhsa_exception_fp_ieee_invalid_op 0
		.amdhsa_exception_fp_denorm_src 0
		.amdhsa_exception_fp_ieee_div_zero 0
		.amdhsa_exception_fp_ieee_overflow 0
		.amdhsa_exception_fp_ieee_underflow 0
		.amdhsa_exception_fp_ieee_inexact 0
		.amdhsa_exception_int_div_zero 0
	.end_amdhsa_kernel
	.section	.text._ZN7rocprim17ROCPRIM_400000_NS6detail17trampoline_kernelINS0_14default_configENS1_27scan_by_key_config_selectorIj11FixedVectorIiLj1EEEEZZNS1_16scan_by_key_implILNS1_25lookback_scan_determinismE0ELb1ES3_N6thrust23THRUST_200600_302600_NS6detail15normal_iteratorINSB_10device_ptrIjEEEENSD_INSE_IS6_EEEESI_S6_NSB_4plusIvEENSB_8equal_toIvEES6_EE10hipError_tPvRmT2_T3_T4_T5_mT6_T7_P12ihipStream_tbENKUlT_T0_E_clISt17integral_constantIbLb0EES13_EEDaSY_SZ_EUlSY_E_NS1_11comp_targetILNS1_3genE4ELNS1_11target_archE910ELNS1_3gpuE8ELNS1_3repE0EEENS1_30default_config_static_selectorELNS0_4arch9wavefront6targetE1EEEvT1_,"axG",@progbits,_ZN7rocprim17ROCPRIM_400000_NS6detail17trampoline_kernelINS0_14default_configENS1_27scan_by_key_config_selectorIj11FixedVectorIiLj1EEEEZZNS1_16scan_by_key_implILNS1_25lookback_scan_determinismE0ELb1ES3_N6thrust23THRUST_200600_302600_NS6detail15normal_iteratorINSB_10device_ptrIjEEEENSD_INSE_IS6_EEEESI_S6_NSB_4plusIvEENSB_8equal_toIvEES6_EE10hipError_tPvRmT2_T3_T4_T5_mT6_T7_P12ihipStream_tbENKUlT_T0_E_clISt17integral_constantIbLb0EES13_EEDaSY_SZ_EUlSY_E_NS1_11comp_targetILNS1_3genE4ELNS1_11target_archE910ELNS1_3gpuE8ELNS1_3repE0EEENS1_30default_config_static_selectorELNS0_4arch9wavefront6targetE1EEEvT1_,comdat
.Lfunc_end1914:
	.size	_ZN7rocprim17ROCPRIM_400000_NS6detail17trampoline_kernelINS0_14default_configENS1_27scan_by_key_config_selectorIj11FixedVectorIiLj1EEEEZZNS1_16scan_by_key_implILNS1_25lookback_scan_determinismE0ELb1ES3_N6thrust23THRUST_200600_302600_NS6detail15normal_iteratorINSB_10device_ptrIjEEEENSD_INSE_IS6_EEEESI_S6_NSB_4plusIvEENSB_8equal_toIvEES6_EE10hipError_tPvRmT2_T3_T4_T5_mT6_T7_P12ihipStream_tbENKUlT_T0_E_clISt17integral_constantIbLb0EES13_EEDaSY_SZ_EUlSY_E_NS1_11comp_targetILNS1_3genE4ELNS1_11target_archE910ELNS1_3gpuE8ELNS1_3repE0EEENS1_30default_config_static_selectorELNS0_4arch9wavefront6targetE1EEEvT1_, .Lfunc_end1914-_ZN7rocprim17ROCPRIM_400000_NS6detail17trampoline_kernelINS0_14default_configENS1_27scan_by_key_config_selectorIj11FixedVectorIiLj1EEEEZZNS1_16scan_by_key_implILNS1_25lookback_scan_determinismE0ELb1ES3_N6thrust23THRUST_200600_302600_NS6detail15normal_iteratorINSB_10device_ptrIjEEEENSD_INSE_IS6_EEEESI_S6_NSB_4plusIvEENSB_8equal_toIvEES6_EE10hipError_tPvRmT2_T3_T4_T5_mT6_T7_P12ihipStream_tbENKUlT_T0_E_clISt17integral_constantIbLb0EES13_EEDaSY_SZ_EUlSY_E_NS1_11comp_targetILNS1_3genE4ELNS1_11target_archE910ELNS1_3gpuE8ELNS1_3repE0EEENS1_30default_config_static_selectorELNS0_4arch9wavefront6targetE1EEEvT1_
                                        ; -- End function
	.section	.AMDGPU.csdata,"",@progbits
; Kernel info:
; codeLenInByte = 11856
; NumSgprs: 64
; NumVgprs: 65
; NumAgprs: 0
; TotalNumVgprs: 65
; ScratchSize: 0
; MemoryBound: 0
; FloatMode: 240
; IeeeMode: 1
; LDSByteSize: 16384 bytes/workgroup (compile time only)
; SGPRBlocks: 7
; VGPRBlocks: 8
; NumSGPRsForWavesPerEU: 64
; NumVGPRsForWavesPerEU: 65
; AccumOffset: 68
; Occupancy: 4
; WaveLimiterHint : 1
; COMPUTE_PGM_RSRC2:SCRATCH_EN: 0
; COMPUTE_PGM_RSRC2:USER_SGPR: 6
; COMPUTE_PGM_RSRC2:TRAP_HANDLER: 0
; COMPUTE_PGM_RSRC2:TGID_X_EN: 1
; COMPUTE_PGM_RSRC2:TGID_Y_EN: 0
; COMPUTE_PGM_RSRC2:TGID_Z_EN: 0
; COMPUTE_PGM_RSRC2:TIDIG_COMP_CNT: 0
; COMPUTE_PGM_RSRC3_GFX90A:ACCUM_OFFSET: 16
; COMPUTE_PGM_RSRC3_GFX90A:TG_SPLIT: 0
	.section	.text._ZN7rocprim17ROCPRIM_400000_NS6detail17trampoline_kernelINS0_14default_configENS1_27scan_by_key_config_selectorIj11FixedVectorIiLj1EEEEZZNS1_16scan_by_key_implILNS1_25lookback_scan_determinismE0ELb1ES3_N6thrust23THRUST_200600_302600_NS6detail15normal_iteratorINSB_10device_ptrIjEEEENSD_INSE_IS6_EEEESI_S6_NSB_4plusIvEENSB_8equal_toIvEES6_EE10hipError_tPvRmT2_T3_T4_T5_mT6_T7_P12ihipStream_tbENKUlT_T0_E_clISt17integral_constantIbLb0EES13_EEDaSY_SZ_EUlSY_E_NS1_11comp_targetILNS1_3genE3ELNS1_11target_archE908ELNS1_3gpuE7ELNS1_3repE0EEENS1_30default_config_static_selectorELNS0_4arch9wavefront6targetE1EEEvT1_,"axG",@progbits,_ZN7rocprim17ROCPRIM_400000_NS6detail17trampoline_kernelINS0_14default_configENS1_27scan_by_key_config_selectorIj11FixedVectorIiLj1EEEEZZNS1_16scan_by_key_implILNS1_25lookback_scan_determinismE0ELb1ES3_N6thrust23THRUST_200600_302600_NS6detail15normal_iteratorINSB_10device_ptrIjEEEENSD_INSE_IS6_EEEESI_S6_NSB_4plusIvEENSB_8equal_toIvEES6_EE10hipError_tPvRmT2_T3_T4_T5_mT6_T7_P12ihipStream_tbENKUlT_T0_E_clISt17integral_constantIbLb0EES13_EEDaSY_SZ_EUlSY_E_NS1_11comp_targetILNS1_3genE3ELNS1_11target_archE908ELNS1_3gpuE7ELNS1_3repE0EEENS1_30default_config_static_selectorELNS0_4arch9wavefront6targetE1EEEvT1_,comdat
	.protected	_ZN7rocprim17ROCPRIM_400000_NS6detail17trampoline_kernelINS0_14default_configENS1_27scan_by_key_config_selectorIj11FixedVectorIiLj1EEEEZZNS1_16scan_by_key_implILNS1_25lookback_scan_determinismE0ELb1ES3_N6thrust23THRUST_200600_302600_NS6detail15normal_iteratorINSB_10device_ptrIjEEEENSD_INSE_IS6_EEEESI_S6_NSB_4plusIvEENSB_8equal_toIvEES6_EE10hipError_tPvRmT2_T3_T4_T5_mT6_T7_P12ihipStream_tbENKUlT_T0_E_clISt17integral_constantIbLb0EES13_EEDaSY_SZ_EUlSY_E_NS1_11comp_targetILNS1_3genE3ELNS1_11target_archE908ELNS1_3gpuE7ELNS1_3repE0EEENS1_30default_config_static_selectorELNS0_4arch9wavefront6targetE1EEEvT1_ ; -- Begin function _ZN7rocprim17ROCPRIM_400000_NS6detail17trampoline_kernelINS0_14default_configENS1_27scan_by_key_config_selectorIj11FixedVectorIiLj1EEEEZZNS1_16scan_by_key_implILNS1_25lookback_scan_determinismE0ELb1ES3_N6thrust23THRUST_200600_302600_NS6detail15normal_iteratorINSB_10device_ptrIjEEEENSD_INSE_IS6_EEEESI_S6_NSB_4plusIvEENSB_8equal_toIvEES6_EE10hipError_tPvRmT2_T3_T4_T5_mT6_T7_P12ihipStream_tbENKUlT_T0_E_clISt17integral_constantIbLb0EES13_EEDaSY_SZ_EUlSY_E_NS1_11comp_targetILNS1_3genE3ELNS1_11target_archE908ELNS1_3gpuE7ELNS1_3repE0EEENS1_30default_config_static_selectorELNS0_4arch9wavefront6targetE1EEEvT1_
	.globl	_ZN7rocprim17ROCPRIM_400000_NS6detail17trampoline_kernelINS0_14default_configENS1_27scan_by_key_config_selectorIj11FixedVectorIiLj1EEEEZZNS1_16scan_by_key_implILNS1_25lookback_scan_determinismE0ELb1ES3_N6thrust23THRUST_200600_302600_NS6detail15normal_iteratorINSB_10device_ptrIjEEEENSD_INSE_IS6_EEEESI_S6_NSB_4plusIvEENSB_8equal_toIvEES6_EE10hipError_tPvRmT2_T3_T4_T5_mT6_T7_P12ihipStream_tbENKUlT_T0_E_clISt17integral_constantIbLb0EES13_EEDaSY_SZ_EUlSY_E_NS1_11comp_targetILNS1_3genE3ELNS1_11target_archE908ELNS1_3gpuE7ELNS1_3repE0EEENS1_30default_config_static_selectorELNS0_4arch9wavefront6targetE1EEEvT1_
	.p2align	8
	.type	_ZN7rocprim17ROCPRIM_400000_NS6detail17trampoline_kernelINS0_14default_configENS1_27scan_by_key_config_selectorIj11FixedVectorIiLj1EEEEZZNS1_16scan_by_key_implILNS1_25lookback_scan_determinismE0ELb1ES3_N6thrust23THRUST_200600_302600_NS6detail15normal_iteratorINSB_10device_ptrIjEEEENSD_INSE_IS6_EEEESI_S6_NSB_4plusIvEENSB_8equal_toIvEES6_EE10hipError_tPvRmT2_T3_T4_T5_mT6_T7_P12ihipStream_tbENKUlT_T0_E_clISt17integral_constantIbLb0EES13_EEDaSY_SZ_EUlSY_E_NS1_11comp_targetILNS1_3genE3ELNS1_11target_archE908ELNS1_3gpuE7ELNS1_3repE0EEENS1_30default_config_static_selectorELNS0_4arch9wavefront6targetE1EEEvT1_,@function
_ZN7rocprim17ROCPRIM_400000_NS6detail17trampoline_kernelINS0_14default_configENS1_27scan_by_key_config_selectorIj11FixedVectorIiLj1EEEEZZNS1_16scan_by_key_implILNS1_25lookback_scan_determinismE0ELb1ES3_N6thrust23THRUST_200600_302600_NS6detail15normal_iteratorINSB_10device_ptrIjEEEENSD_INSE_IS6_EEEESI_S6_NSB_4plusIvEENSB_8equal_toIvEES6_EE10hipError_tPvRmT2_T3_T4_T5_mT6_T7_P12ihipStream_tbENKUlT_T0_E_clISt17integral_constantIbLb0EES13_EEDaSY_SZ_EUlSY_E_NS1_11comp_targetILNS1_3genE3ELNS1_11target_archE908ELNS1_3gpuE7ELNS1_3repE0EEENS1_30default_config_static_selectorELNS0_4arch9wavefront6targetE1EEEvT1_: ; @_ZN7rocprim17ROCPRIM_400000_NS6detail17trampoline_kernelINS0_14default_configENS1_27scan_by_key_config_selectorIj11FixedVectorIiLj1EEEEZZNS1_16scan_by_key_implILNS1_25lookback_scan_determinismE0ELb1ES3_N6thrust23THRUST_200600_302600_NS6detail15normal_iteratorINSB_10device_ptrIjEEEENSD_INSE_IS6_EEEESI_S6_NSB_4plusIvEENSB_8equal_toIvEES6_EE10hipError_tPvRmT2_T3_T4_T5_mT6_T7_P12ihipStream_tbENKUlT_T0_E_clISt17integral_constantIbLb0EES13_EEDaSY_SZ_EUlSY_E_NS1_11comp_targetILNS1_3genE3ELNS1_11target_archE908ELNS1_3gpuE7ELNS1_3repE0EEENS1_30default_config_static_selectorELNS0_4arch9wavefront6targetE1EEEvT1_
; %bb.0:
	.section	.rodata,"a",@progbits
	.p2align	6, 0x0
	.amdhsa_kernel _ZN7rocprim17ROCPRIM_400000_NS6detail17trampoline_kernelINS0_14default_configENS1_27scan_by_key_config_selectorIj11FixedVectorIiLj1EEEEZZNS1_16scan_by_key_implILNS1_25lookback_scan_determinismE0ELb1ES3_N6thrust23THRUST_200600_302600_NS6detail15normal_iteratorINSB_10device_ptrIjEEEENSD_INSE_IS6_EEEESI_S6_NSB_4plusIvEENSB_8equal_toIvEES6_EE10hipError_tPvRmT2_T3_T4_T5_mT6_T7_P12ihipStream_tbENKUlT_T0_E_clISt17integral_constantIbLb0EES13_EEDaSY_SZ_EUlSY_E_NS1_11comp_targetILNS1_3genE3ELNS1_11target_archE908ELNS1_3gpuE7ELNS1_3repE0EEENS1_30default_config_static_selectorELNS0_4arch9wavefront6targetE1EEEvT1_
		.amdhsa_group_segment_fixed_size 0
		.amdhsa_private_segment_fixed_size 0
		.amdhsa_kernarg_size 112
		.amdhsa_user_sgpr_count 6
		.amdhsa_user_sgpr_private_segment_buffer 1
		.amdhsa_user_sgpr_dispatch_ptr 0
		.amdhsa_user_sgpr_queue_ptr 0
		.amdhsa_user_sgpr_kernarg_segment_ptr 1
		.amdhsa_user_sgpr_dispatch_id 0
		.amdhsa_user_sgpr_flat_scratch_init 0
		.amdhsa_user_sgpr_kernarg_preload_length 0
		.amdhsa_user_sgpr_kernarg_preload_offset 0
		.amdhsa_user_sgpr_private_segment_size 0
		.amdhsa_uses_dynamic_stack 0
		.amdhsa_system_sgpr_private_segment_wavefront_offset 0
		.amdhsa_system_sgpr_workgroup_id_x 1
		.amdhsa_system_sgpr_workgroup_id_y 0
		.amdhsa_system_sgpr_workgroup_id_z 0
		.amdhsa_system_sgpr_workgroup_info 0
		.amdhsa_system_vgpr_workitem_id 0
		.amdhsa_next_free_vgpr 1
		.amdhsa_next_free_sgpr 0
		.amdhsa_accum_offset 4
		.amdhsa_reserve_vcc 0
		.amdhsa_reserve_flat_scratch 0
		.amdhsa_float_round_mode_32 0
		.amdhsa_float_round_mode_16_64 0
		.amdhsa_float_denorm_mode_32 3
		.amdhsa_float_denorm_mode_16_64 3
		.amdhsa_dx10_clamp 1
		.amdhsa_ieee_mode 1
		.amdhsa_fp16_overflow 0
		.amdhsa_tg_split 0
		.amdhsa_exception_fp_ieee_invalid_op 0
		.amdhsa_exception_fp_denorm_src 0
		.amdhsa_exception_fp_ieee_div_zero 0
		.amdhsa_exception_fp_ieee_overflow 0
		.amdhsa_exception_fp_ieee_underflow 0
		.amdhsa_exception_fp_ieee_inexact 0
		.amdhsa_exception_int_div_zero 0
	.end_amdhsa_kernel
	.section	.text._ZN7rocprim17ROCPRIM_400000_NS6detail17trampoline_kernelINS0_14default_configENS1_27scan_by_key_config_selectorIj11FixedVectorIiLj1EEEEZZNS1_16scan_by_key_implILNS1_25lookback_scan_determinismE0ELb1ES3_N6thrust23THRUST_200600_302600_NS6detail15normal_iteratorINSB_10device_ptrIjEEEENSD_INSE_IS6_EEEESI_S6_NSB_4plusIvEENSB_8equal_toIvEES6_EE10hipError_tPvRmT2_T3_T4_T5_mT6_T7_P12ihipStream_tbENKUlT_T0_E_clISt17integral_constantIbLb0EES13_EEDaSY_SZ_EUlSY_E_NS1_11comp_targetILNS1_3genE3ELNS1_11target_archE908ELNS1_3gpuE7ELNS1_3repE0EEENS1_30default_config_static_selectorELNS0_4arch9wavefront6targetE1EEEvT1_,"axG",@progbits,_ZN7rocprim17ROCPRIM_400000_NS6detail17trampoline_kernelINS0_14default_configENS1_27scan_by_key_config_selectorIj11FixedVectorIiLj1EEEEZZNS1_16scan_by_key_implILNS1_25lookback_scan_determinismE0ELb1ES3_N6thrust23THRUST_200600_302600_NS6detail15normal_iteratorINSB_10device_ptrIjEEEENSD_INSE_IS6_EEEESI_S6_NSB_4plusIvEENSB_8equal_toIvEES6_EE10hipError_tPvRmT2_T3_T4_T5_mT6_T7_P12ihipStream_tbENKUlT_T0_E_clISt17integral_constantIbLb0EES13_EEDaSY_SZ_EUlSY_E_NS1_11comp_targetILNS1_3genE3ELNS1_11target_archE908ELNS1_3gpuE7ELNS1_3repE0EEENS1_30default_config_static_selectorELNS0_4arch9wavefront6targetE1EEEvT1_,comdat
.Lfunc_end1915:
	.size	_ZN7rocprim17ROCPRIM_400000_NS6detail17trampoline_kernelINS0_14default_configENS1_27scan_by_key_config_selectorIj11FixedVectorIiLj1EEEEZZNS1_16scan_by_key_implILNS1_25lookback_scan_determinismE0ELb1ES3_N6thrust23THRUST_200600_302600_NS6detail15normal_iteratorINSB_10device_ptrIjEEEENSD_INSE_IS6_EEEESI_S6_NSB_4plusIvEENSB_8equal_toIvEES6_EE10hipError_tPvRmT2_T3_T4_T5_mT6_T7_P12ihipStream_tbENKUlT_T0_E_clISt17integral_constantIbLb0EES13_EEDaSY_SZ_EUlSY_E_NS1_11comp_targetILNS1_3genE3ELNS1_11target_archE908ELNS1_3gpuE7ELNS1_3repE0EEENS1_30default_config_static_selectorELNS0_4arch9wavefront6targetE1EEEvT1_, .Lfunc_end1915-_ZN7rocprim17ROCPRIM_400000_NS6detail17trampoline_kernelINS0_14default_configENS1_27scan_by_key_config_selectorIj11FixedVectorIiLj1EEEEZZNS1_16scan_by_key_implILNS1_25lookback_scan_determinismE0ELb1ES3_N6thrust23THRUST_200600_302600_NS6detail15normal_iteratorINSB_10device_ptrIjEEEENSD_INSE_IS6_EEEESI_S6_NSB_4plusIvEENSB_8equal_toIvEES6_EE10hipError_tPvRmT2_T3_T4_T5_mT6_T7_P12ihipStream_tbENKUlT_T0_E_clISt17integral_constantIbLb0EES13_EEDaSY_SZ_EUlSY_E_NS1_11comp_targetILNS1_3genE3ELNS1_11target_archE908ELNS1_3gpuE7ELNS1_3repE0EEENS1_30default_config_static_selectorELNS0_4arch9wavefront6targetE1EEEvT1_
                                        ; -- End function
	.section	.AMDGPU.csdata,"",@progbits
; Kernel info:
; codeLenInByte = 0
; NumSgprs: 4
; NumVgprs: 0
; NumAgprs: 0
; TotalNumVgprs: 0
; ScratchSize: 0
; MemoryBound: 0
; FloatMode: 240
; IeeeMode: 1
; LDSByteSize: 0 bytes/workgroup (compile time only)
; SGPRBlocks: 0
; VGPRBlocks: 0
; NumSGPRsForWavesPerEU: 4
; NumVGPRsForWavesPerEU: 1
; AccumOffset: 4
; Occupancy: 8
; WaveLimiterHint : 0
; COMPUTE_PGM_RSRC2:SCRATCH_EN: 0
; COMPUTE_PGM_RSRC2:USER_SGPR: 6
; COMPUTE_PGM_RSRC2:TRAP_HANDLER: 0
; COMPUTE_PGM_RSRC2:TGID_X_EN: 1
; COMPUTE_PGM_RSRC2:TGID_Y_EN: 0
; COMPUTE_PGM_RSRC2:TGID_Z_EN: 0
; COMPUTE_PGM_RSRC2:TIDIG_COMP_CNT: 0
; COMPUTE_PGM_RSRC3_GFX90A:ACCUM_OFFSET: 0
; COMPUTE_PGM_RSRC3_GFX90A:TG_SPLIT: 0
	.section	.text._ZN7rocprim17ROCPRIM_400000_NS6detail17trampoline_kernelINS0_14default_configENS1_27scan_by_key_config_selectorIj11FixedVectorIiLj1EEEEZZNS1_16scan_by_key_implILNS1_25lookback_scan_determinismE0ELb1ES3_N6thrust23THRUST_200600_302600_NS6detail15normal_iteratorINSB_10device_ptrIjEEEENSD_INSE_IS6_EEEESI_S6_NSB_4plusIvEENSB_8equal_toIvEES6_EE10hipError_tPvRmT2_T3_T4_T5_mT6_T7_P12ihipStream_tbENKUlT_T0_E_clISt17integral_constantIbLb0EES13_EEDaSY_SZ_EUlSY_E_NS1_11comp_targetILNS1_3genE2ELNS1_11target_archE906ELNS1_3gpuE6ELNS1_3repE0EEENS1_30default_config_static_selectorELNS0_4arch9wavefront6targetE1EEEvT1_,"axG",@progbits,_ZN7rocprim17ROCPRIM_400000_NS6detail17trampoline_kernelINS0_14default_configENS1_27scan_by_key_config_selectorIj11FixedVectorIiLj1EEEEZZNS1_16scan_by_key_implILNS1_25lookback_scan_determinismE0ELb1ES3_N6thrust23THRUST_200600_302600_NS6detail15normal_iteratorINSB_10device_ptrIjEEEENSD_INSE_IS6_EEEESI_S6_NSB_4plusIvEENSB_8equal_toIvEES6_EE10hipError_tPvRmT2_T3_T4_T5_mT6_T7_P12ihipStream_tbENKUlT_T0_E_clISt17integral_constantIbLb0EES13_EEDaSY_SZ_EUlSY_E_NS1_11comp_targetILNS1_3genE2ELNS1_11target_archE906ELNS1_3gpuE6ELNS1_3repE0EEENS1_30default_config_static_selectorELNS0_4arch9wavefront6targetE1EEEvT1_,comdat
	.protected	_ZN7rocprim17ROCPRIM_400000_NS6detail17trampoline_kernelINS0_14default_configENS1_27scan_by_key_config_selectorIj11FixedVectorIiLj1EEEEZZNS1_16scan_by_key_implILNS1_25lookback_scan_determinismE0ELb1ES3_N6thrust23THRUST_200600_302600_NS6detail15normal_iteratorINSB_10device_ptrIjEEEENSD_INSE_IS6_EEEESI_S6_NSB_4plusIvEENSB_8equal_toIvEES6_EE10hipError_tPvRmT2_T3_T4_T5_mT6_T7_P12ihipStream_tbENKUlT_T0_E_clISt17integral_constantIbLb0EES13_EEDaSY_SZ_EUlSY_E_NS1_11comp_targetILNS1_3genE2ELNS1_11target_archE906ELNS1_3gpuE6ELNS1_3repE0EEENS1_30default_config_static_selectorELNS0_4arch9wavefront6targetE1EEEvT1_ ; -- Begin function _ZN7rocprim17ROCPRIM_400000_NS6detail17trampoline_kernelINS0_14default_configENS1_27scan_by_key_config_selectorIj11FixedVectorIiLj1EEEEZZNS1_16scan_by_key_implILNS1_25lookback_scan_determinismE0ELb1ES3_N6thrust23THRUST_200600_302600_NS6detail15normal_iteratorINSB_10device_ptrIjEEEENSD_INSE_IS6_EEEESI_S6_NSB_4plusIvEENSB_8equal_toIvEES6_EE10hipError_tPvRmT2_T3_T4_T5_mT6_T7_P12ihipStream_tbENKUlT_T0_E_clISt17integral_constantIbLb0EES13_EEDaSY_SZ_EUlSY_E_NS1_11comp_targetILNS1_3genE2ELNS1_11target_archE906ELNS1_3gpuE6ELNS1_3repE0EEENS1_30default_config_static_selectorELNS0_4arch9wavefront6targetE1EEEvT1_
	.globl	_ZN7rocprim17ROCPRIM_400000_NS6detail17trampoline_kernelINS0_14default_configENS1_27scan_by_key_config_selectorIj11FixedVectorIiLj1EEEEZZNS1_16scan_by_key_implILNS1_25lookback_scan_determinismE0ELb1ES3_N6thrust23THRUST_200600_302600_NS6detail15normal_iteratorINSB_10device_ptrIjEEEENSD_INSE_IS6_EEEESI_S6_NSB_4plusIvEENSB_8equal_toIvEES6_EE10hipError_tPvRmT2_T3_T4_T5_mT6_T7_P12ihipStream_tbENKUlT_T0_E_clISt17integral_constantIbLb0EES13_EEDaSY_SZ_EUlSY_E_NS1_11comp_targetILNS1_3genE2ELNS1_11target_archE906ELNS1_3gpuE6ELNS1_3repE0EEENS1_30default_config_static_selectorELNS0_4arch9wavefront6targetE1EEEvT1_
	.p2align	8
	.type	_ZN7rocprim17ROCPRIM_400000_NS6detail17trampoline_kernelINS0_14default_configENS1_27scan_by_key_config_selectorIj11FixedVectorIiLj1EEEEZZNS1_16scan_by_key_implILNS1_25lookback_scan_determinismE0ELb1ES3_N6thrust23THRUST_200600_302600_NS6detail15normal_iteratorINSB_10device_ptrIjEEEENSD_INSE_IS6_EEEESI_S6_NSB_4plusIvEENSB_8equal_toIvEES6_EE10hipError_tPvRmT2_T3_T4_T5_mT6_T7_P12ihipStream_tbENKUlT_T0_E_clISt17integral_constantIbLb0EES13_EEDaSY_SZ_EUlSY_E_NS1_11comp_targetILNS1_3genE2ELNS1_11target_archE906ELNS1_3gpuE6ELNS1_3repE0EEENS1_30default_config_static_selectorELNS0_4arch9wavefront6targetE1EEEvT1_,@function
_ZN7rocprim17ROCPRIM_400000_NS6detail17trampoline_kernelINS0_14default_configENS1_27scan_by_key_config_selectorIj11FixedVectorIiLj1EEEEZZNS1_16scan_by_key_implILNS1_25lookback_scan_determinismE0ELb1ES3_N6thrust23THRUST_200600_302600_NS6detail15normal_iteratorINSB_10device_ptrIjEEEENSD_INSE_IS6_EEEESI_S6_NSB_4plusIvEENSB_8equal_toIvEES6_EE10hipError_tPvRmT2_T3_T4_T5_mT6_T7_P12ihipStream_tbENKUlT_T0_E_clISt17integral_constantIbLb0EES13_EEDaSY_SZ_EUlSY_E_NS1_11comp_targetILNS1_3genE2ELNS1_11target_archE906ELNS1_3gpuE6ELNS1_3repE0EEENS1_30default_config_static_selectorELNS0_4arch9wavefront6targetE1EEEvT1_: ; @_ZN7rocprim17ROCPRIM_400000_NS6detail17trampoline_kernelINS0_14default_configENS1_27scan_by_key_config_selectorIj11FixedVectorIiLj1EEEEZZNS1_16scan_by_key_implILNS1_25lookback_scan_determinismE0ELb1ES3_N6thrust23THRUST_200600_302600_NS6detail15normal_iteratorINSB_10device_ptrIjEEEENSD_INSE_IS6_EEEESI_S6_NSB_4plusIvEENSB_8equal_toIvEES6_EE10hipError_tPvRmT2_T3_T4_T5_mT6_T7_P12ihipStream_tbENKUlT_T0_E_clISt17integral_constantIbLb0EES13_EEDaSY_SZ_EUlSY_E_NS1_11comp_targetILNS1_3genE2ELNS1_11target_archE906ELNS1_3gpuE6ELNS1_3repE0EEENS1_30default_config_static_selectorELNS0_4arch9wavefront6targetE1EEEvT1_
; %bb.0:
	.section	.rodata,"a",@progbits
	.p2align	6, 0x0
	.amdhsa_kernel _ZN7rocprim17ROCPRIM_400000_NS6detail17trampoline_kernelINS0_14default_configENS1_27scan_by_key_config_selectorIj11FixedVectorIiLj1EEEEZZNS1_16scan_by_key_implILNS1_25lookback_scan_determinismE0ELb1ES3_N6thrust23THRUST_200600_302600_NS6detail15normal_iteratorINSB_10device_ptrIjEEEENSD_INSE_IS6_EEEESI_S6_NSB_4plusIvEENSB_8equal_toIvEES6_EE10hipError_tPvRmT2_T3_T4_T5_mT6_T7_P12ihipStream_tbENKUlT_T0_E_clISt17integral_constantIbLb0EES13_EEDaSY_SZ_EUlSY_E_NS1_11comp_targetILNS1_3genE2ELNS1_11target_archE906ELNS1_3gpuE6ELNS1_3repE0EEENS1_30default_config_static_selectorELNS0_4arch9wavefront6targetE1EEEvT1_
		.amdhsa_group_segment_fixed_size 0
		.amdhsa_private_segment_fixed_size 0
		.amdhsa_kernarg_size 112
		.amdhsa_user_sgpr_count 6
		.amdhsa_user_sgpr_private_segment_buffer 1
		.amdhsa_user_sgpr_dispatch_ptr 0
		.amdhsa_user_sgpr_queue_ptr 0
		.amdhsa_user_sgpr_kernarg_segment_ptr 1
		.amdhsa_user_sgpr_dispatch_id 0
		.amdhsa_user_sgpr_flat_scratch_init 0
		.amdhsa_user_sgpr_kernarg_preload_length 0
		.amdhsa_user_sgpr_kernarg_preload_offset 0
		.amdhsa_user_sgpr_private_segment_size 0
		.amdhsa_uses_dynamic_stack 0
		.amdhsa_system_sgpr_private_segment_wavefront_offset 0
		.amdhsa_system_sgpr_workgroup_id_x 1
		.amdhsa_system_sgpr_workgroup_id_y 0
		.amdhsa_system_sgpr_workgroup_id_z 0
		.amdhsa_system_sgpr_workgroup_info 0
		.amdhsa_system_vgpr_workitem_id 0
		.amdhsa_next_free_vgpr 1
		.amdhsa_next_free_sgpr 0
		.amdhsa_accum_offset 4
		.amdhsa_reserve_vcc 0
		.amdhsa_reserve_flat_scratch 0
		.amdhsa_float_round_mode_32 0
		.amdhsa_float_round_mode_16_64 0
		.amdhsa_float_denorm_mode_32 3
		.amdhsa_float_denorm_mode_16_64 3
		.amdhsa_dx10_clamp 1
		.amdhsa_ieee_mode 1
		.amdhsa_fp16_overflow 0
		.amdhsa_tg_split 0
		.amdhsa_exception_fp_ieee_invalid_op 0
		.amdhsa_exception_fp_denorm_src 0
		.amdhsa_exception_fp_ieee_div_zero 0
		.amdhsa_exception_fp_ieee_overflow 0
		.amdhsa_exception_fp_ieee_underflow 0
		.amdhsa_exception_fp_ieee_inexact 0
		.amdhsa_exception_int_div_zero 0
	.end_amdhsa_kernel
	.section	.text._ZN7rocprim17ROCPRIM_400000_NS6detail17trampoline_kernelINS0_14default_configENS1_27scan_by_key_config_selectorIj11FixedVectorIiLj1EEEEZZNS1_16scan_by_key_implILNS1_25lookback_scan_determinismE0ELb1ES3_N6thrust23THRUST_200600_302600_NS6detail15normal_iteratorINSB_10device_ptrIjEEEENSD_INSE_IS6_EEEESI_S6_NSB_4plusIvEENSB_8equal_toIvEES6_EE10hipError_tPvRmT2_T3_T4_T5_mT6_T7_P12ihipStream_tbENKUlT_T0_E_clISt17integral_constantIbLb0EES13_EEDaSY_SZ_EUlSY_E_NS1_11comp_targetILNS1_3genE2ELNS1_11target_archE906ELNS1_3gpuE6ELNS1_3repE0EEENS1_30default_config_static_selectorELNS0_4arch9wavefront6targetE1EEEvT1_,"axG",@progbits,_ZN7rocprim17ROCPRIM_400000_NS6detail17trampoline_kernelINS0_14default_configENS1_27scan_by_key_config_selectorIj11FixedVectorIiLj1EEEEZZNS1_16scan_by_key_implILNS1_25lookback_scan_determinismE0ELb1ES3_N6thrust23THRUST_200600_302600_NS6detail15normal_iteratorINSB_10device_ptrIjEEEENSD_INSE_IS6_EEEESI_S6_NSB_4plusIvEENSB_8equal_toIvEES6_EE10hipError_tPvRmT2_T3_T4_T5_mT6_T7_P12ihipStream_tbENKUlT_T0_E_clISt17integral_constantIbLb0EES13_EEDaSY_SZ_EUlSY_E_NS1_11comp_targetILNS1_3genE2ELNS1_11target_archE906ELNS1_3gpuE6ELNS1_3repE0EEENS1_30default_config_static_selectorELNS0_4arch9wavefront6targetE1EEEvT1_,comdat
.Lfunc_end1916:
	.size	_ZN7rocprim17ROCPRIM_400000_NS6detail17trampoline_kernelINS0_14default_configENS1_27scan_by_key_config_selectorIj11FixedVectorIiLj1EEEEZZNS1_16scan_by_key_implILNS1_25lookback_scan_determinismE0ELb1ES3_N6thrust23THRUST_200600_302600_NS6detail15normal_iteratorINSB_10device_ptrIjEEEENSD_INSE_IS6_EEEESI_S6_NSB_4plusIvEENSB_8equal_toIvEES6_EE10hipError_tPvRmT2_T3_T4_T5_mT6_T7_P12ihipStream_tbENKUlT_T0_E_clISt17integral_constantIbLb0EES13_EEDaSY_SZ_EUlSY_E_NS1_11comp_targetILNS1_3genE2ELNS1_11target_archE906ELNS1_3gpuE6ELNS1_3repE0EEENS1_30default_config_static_selectorELNS0_4arch9wavefront6targetE1EEEvT1_, .Lfunc_end1916-_ZN7rocprim17ROCPRIM_400000_NS6detail17trampoline_kernelINS0_14default_configENS1_27scan_by_key_config_selectorIj11FixedVectorIiLj1EEEEZZNS1_16scan_by_key_implILNS1_25lookback_scan_determinismE0ELb1ES3_N6thrust23THRUST_200600_302600_NS6detail15normal_iteratorINSB_10device_ptrIjEEEENSD_INSE_IS6_EEEESI_S6_NSB_4plusIvEENSB_8equal_toIvEES6_EE10hipError_tPvRmT2_T3_T4_T5_mT6_T7_P12ihipStream_tbENKUlT_T0_E_clISt17integral_constantIbLb0EES13_EEDaSY_SZ_EUlSY_E_NS1_11comp_targetILNS1_3genE2ELNS1_11target_archE906ELNS1_3gpuE6ELNS1_3repE0EEENS1_30default_config_static_selectorELNS0_4arch9wavefront6targetE1EEEvT1_
                                        ; -- End function
	.section	.AMDGPU.csdata,"",@progbits
; Kernel info:
; codeLenInByte = 0
; NumSgprs: 4
; NumVgprs: 0
; NumAgprs: 0
; TotalNumVgprs: 0
; ScratchSize: 0
; MemoryBound: 0
; FloatMode: 240
; IeeeMode: 1
; LDSByteSize: 0 bytes/workgroup (compile time only)
; SGPRBlocks: 0
; VGPRBlocks: 0
; NumSGPRsForWavesPerEU: 4
; NumVGPRsForWavesPerEU: 1
; AccumOffset: 4
; Occupancy: 8
; WaveLimiterHint : 0
; COMPUTE_PGM_RSRC2:SCRATCH_EN: 0
; COMPUTE_PGM_RSRC2:USER_SGPR: 6
; COMPUTE_PGM_RSRC2:TRAP_HANDLER: 0
; COMPUTE_PGM_RSRC2:TGID_X_EN: 1
; COMPUTE_PGM_RSRC2:TGID_Y_EN: 0
; COMPUTE_PGM_RSRC2:TGID_Z_EN: 0
; COMPUTE_PGM_RSRC2:TIDIG_COMP_CNT: 0
; COMPUTE_PGM_RSRC3_GFX90A:ACCUM_OFFSET: 0
; COMPUTE_PGM_RSRC3_GFX90A:TG_SPLIT: 0
	.section	.text._ZN7rocprim17ROCPRIM_400000_NS6detail17trampoline_kernelINS0_14default_configENS1_27scan_by_key_config_selectorIj11FixedVectorIiLj1EEEEZZNS1_16scan_by_key_implILNS1_25lookback_scan_determinismE0ELb1ES3_N6thrust23THRUST_200600_302600_NS6detail15normal_iteratorINSB_10device_ptrIjEEEENSD_INSE_IS6_EEEESI_S6_NSB_4plusIvEENSB_8equal_toIvEES6_EE10hipError_tPvRmT2_T3_T4_T5_mT6_T7_P12ihipStream_tbENKUlT_T0_E_clISt17integral_constantIbLb0EES13_EEDaSY_SZ_EUlSY_E_NS1_11comp_targetILNS1_3genE10ELNS1_11target_archE1200ELNS1_3gpuE4ELNS1_3repE0EEENS1_30default_config_static_selectorELNS0_4arch9wavefront6targetE1EEEvT1_,"axG",@progbits,_ZN7rocprim17ROCPRIM_400000_NS6detail17trampoline_kernelINS0_14default_configENS1_27scan_by_key_config_selectorIj11FixedVectorIiLj1EEEEZZNS1_16scan_by_key_implILNS1_25lookback_scan_determinismE0ELb1ES3_N6thrust23THRUST_200600_302600_NS6detail15normal_iteratorINSB_10device_ptrIjEEEENSD_INSE_IS6_EEEESI_S6_NSB_4plusIvEENSB_8equal_toIvEES6_EE10hipError_tPvRmT2_T3_T4_T5_mT6_T7_P12ihipStream_tbENKUlT_T0_E_clISt17integral_constantIbLb0EES13_EEDaSY_SZ_EUlSY_E_NS1_11comp_targetILNS1_3genE10ELNS1_11target_archE1200ELNS1_3gpuE4ELNS1_3repE0EEENS1_30default_config_static_selectorELNS0_4arch9wavefront6targetE1EEEvT1_,comdat
	.protected	_ZN7rocprim17ROCPRIM_400000_NS6detail17trampoline_kernelINS0_14default_configENS1_27scan_by_key_config_selectorIj11FixedVectorIiLj1EEEEZZNS1_16scan_by_key_implILNS1_25lookback_scan_determinismE0ELb1ES3_N6thrust23THRUST_200600_302600_NS6detail15normal_iteratorINSB_10device_ptrIjEEEENSD_INSE_IS6_EEEESI_S6_NSB_4plusIvEENSB_8equal_toIvEES6_EE10hipError_tPvRmT2_T3_T4_T5_mT6_T7_P12ihipStream_tbENKUlT_T0_E_clISt17integral_constantIbLb0EES13_EEDaSY_SZ_EUlSY_E_NS1_11comp_targetILNS1_3genE10ELNS1_11target_archE1200ELNS1_3gpuE4ELNS1_3repE0EEENS1_30default_config_static_selectorELNS0_4arch9wavefront6targetE1EEEvT1_ ; -- Begin function _ZN7rocprim17ROCPRIM_400000_NS6detail17trampoline_kernelINS0_14default_configENS1_27scan_by_key_config_selectorIj11FixedVectorIiLj1EEEEZZNS1_16scan_by_key_implILNS1_25lookback_scan_determinismE0ELb1ES3_N6thrust23THRUST_200600_302600_NS6detail15normal_iteratorINSB_10device_ptrIjEEEENSD_INSE_IS6_EEEESI_S6_NSB_4plusIvEENSB_8equal_toIvEES6_EE10hipError_tPvRmT2_T3_T4_T5_mT6_T7_P12ihipStream_tbENKUlT_T0_E_clISt17integral_constantIbLb0EES13_EEDaSY_SZ_EUlSY_E_NS1_11comp_targetILNS1_3genE10ELNS1_11target_archE1200ELNS1_3gpuE4ELNS1_3repE0EEENS1_30default_config_static_selectorELNS0_4arch9wavefront6targetE1EEEvT1_
	.globl	_ZN7rocprim17ROCPRIM_400000_NS6detail17trampoline_kernelINS0_14default_configENS1_27scan_by_key_config_selectorIj11FixedVectorIiLj1EEEEZZNS1_16scan_by_key_implILNS1_25lookback_scan_determinismE0ELb1ES3_N6thrust23THRUST_200600_302600_NS6detail15normal_iteratorINSB_10device_ptrIjEEEENSD_INSE_IS6_EEEESI_S6_NSB_4plusIvEENSB_8equal_toIvEES6_EE10hipError_tPvRmT2_T3_T4_T5_mT6_T7_P12ihipStream_tbENKUlT_T0_E_clISt17integral_constantIbLb0EES13_EEDaSY_SZ_EUlSY_E_NS1_11comp_targetILNS1_3genE10ELNS1_11target_archE1200ELNS1_3gpuE4ELNS1_3repE0EEENS1_30default_config_static_selectorELNS0_4arch9wavefront6targetE1EEEvT1_
	.p2align	8
	.type	_ZN7rocprim17ROCPRIM_400000_NS6detail17trampoline_kernelINS0_14default_configENS1_27scan_by_key_config_selectorIj11FixedVectorIiLj1EEEEZZNS1_16scan_by_key_implILNS1_25lookback_scan_determinismE0ELb1ES3_N6thrust23THRUST_200600_302600_NS6detail15normal_iteratorINSB_10device_ptrIjEEEENSD_INSE_IS6_EEEESI_S6_NSB_4plusIvEENSB_8equal_toIvEES6_EE10hipError_tPvRmT2_T3_T4_T5_mT6_T7_P12ihipStream_tbENKUlT_T0_E_clISt17integral_constantIbLb0EES13_EEDaSY_SZ_EUlSY_E_NS1_11comp_targetILNS1_3genE10ELNS1_11target_archE1200ELNS1_3gpuE4ELNS1_3repE0EEENS1_30default_config_static_selectorELNS0_4arch9wavefront6targetE1EEEvT1_,@function
_ZN7rocprim17ROCPRIM_400000_NS6detail17trampoline_kernelINS0_14default_configENS1_27scan_by_key_config_selectorIj11FixedVectorIiLj1EEEEZZNS1_16scan_by_key_implILNS1_25lookback_scan_determinismE0ELb1ES3_N6thrust23THRUST_200600_302600_NS6detail15normal_iteratorINSB_10device_ptrIjEEEENSD_INSE_IS6_EEEESI_S6_NSB_4plusIvEENSB_8equal_toIvEES6_EE10hipError_tPvRmT2_T3_T4_T5_mT6_T7_P12ihipStream_tbENKUlT_T0_E_clISt17integral_constantIbLb0EES13_EEDaSY_SZ_EUlSY_E_NS1_11comp_targetILNS1_3genE10ELNS1_11target_archE1200ELNS1_3gpuE4ELNS1_3repE0EEENS1_30default_config_static_selectorELNS0_4arch9wavefront6targetE1EEEvT1_: ; @_ZN7rocprim17ROCPRIM_400000_NS6detail17trampoline_kernelINS0_14default_configENS1_27scan_by_key_config_selectorIj11FixedVectorIiLj1EEEEZZNS1_16scan_by_key_implILNS1_25lookback_scan_determinismE0ELb1ES3_N6thrust23THRUST_200600_302600_NS6detail15normal_iteratorINSB_10device_ptrIjEEEENSD_INSE_IS6_EEEESI_S6_NSB_4plusIvEENSB_8equal_toIvEES6_EE10hipError_tPvRmT2_T3_T4_T5_mT6_T7_P12ihipStream_tbENKUlT_T0_E_clISt17integral_constantIbLb0EES13_EEDaSY_SZ_EUlSY_E_NS1_11comp_targetILNS1_3genE10ELNS1_11target_archE1200ELNS1_3gpuE4ELNS1_3repE0EEENS1_30default_config_static_selectorELNS0_4arch9wavefront6targetE1EEEvT1_
; %bb.0:
	.section	.rodata,"a",@progbits
	.p2align	6, 0x0
	.amdhsa_kernel _ZN7rocprim17ROCPRIM_400000_NS6detail17trampoline_kernelINS0_14default_configENS1_27scan_by_key_config_selectorIj11FixedVectorIiLj1EEEEZZNS1_16scan_by_key_implILNS1_25lookback_scan_determinismE0ELb1ES3_N6thrust23THRUST_200600_302600_NS6detail15normal_iteratorINSB_10device_ptrIjEEEENSD_INSE_IS6_EEEESI_S6_NSB_4plusIvEENSB_8equal_toIvEES6_EE10hipError_tPvRmT2_T3_T4_T5_mT6_T7_P12ihipStream_tbENKUlT_T0_E_clISt17integral_constantIbLb0EES13_EEDaSY_SZ_EUlSY_E_NS1_11comp_targetILNS1_3genE10ELNS1_11target_archE1200ELNS1_3gpuE4ELNS1_3repE0EEENS1_30default_config_static_selectorELNS0_4arch9wavefront6targetE1EEEvT1_
		.amdhsa_group_segment_fixed_size 0
		.amdhsa_private_segment_fixed_size 0
		.amdhsa_kernarg_size 112
		.amdhsa_user_sgpr_count 6
		.amdhsa_user_sgpr_private_segment_buffer 1
		.amdhsa_user_sgpr_dispatch_ptr 0
		.amdhsa_user_sgpr_queue_ptr 0
		.amdhsa_user_sgpr_kernarg_segment_ptr 1
		.amdhsa_user_sgpr_dispatch_id 0
		.amdhsa_user_sgpr_flat_scratch_init 0
		.amdhsa_user_sgpr_kernarg_preload_length 0
		.amdhsa_user_sgpr_kernarg_preload_offset 0
		.amdhsa_user_sgpr_private_segment_size 0
		.amdhsa_uses_dynamic_stack 0
		.amdhsa_system_sgpr_private_segment_wavefront_offset 0
		.amdhsa_system_sgpr_workgroup_id_x 1
		.amdhsa_system_sgpr_workgroup_id_y 0
		.amdhsa_system_sgpr_workgroup_id_z 0
		.amdhsa_system_sgpr_workgroup_info 0
		.amdhsa_system_vgpr_workitem_id 0
		.amdhsa_next_free_vgpr 1
		.amdhsa_next_free_sgpr 0
		.amdhsa_accum_offset 4
		.amdhsa_reserve_vcc 0
		.amdhsa_reserve_flat_scratch 0
		.amdhsa_float_round_mode_32 0
		.amdhsa_float_round_mode_16_64 0
		.amdhsa_float_denorm_mode_32 3
		.amdhsa_float_denorm_mode_16_64 3
		.amdhsa_dx10_clamp 1
		.amdhsa_ieee_mode 1
		.amdhsa_fp16_overflow 0
		.amdhsa_tg_split 0
		.amdhsa_exception_fp_ieee_invalid_op 0
		.amdhsa_exception_fp_denorm_src 0
		.amdhsa_exception_fp_ieee_div_zero 0
		.amdhsa_exception_fp_ieee_overflow 0
		.amdhsa_exception_fp_ieee_underflow 0
		.amdhsa_exception_fp_ieee_inexact 0
		.amdhsa_exception_int_div_zero 0
	.end_amdhsa_kernel
	.section	.text._ZN7rocprim17ROCPRIM_400000_NS6detail17trampoline_kernelINS0_14default_configENS1_27scan_by_key_config_selectorIj11FixedVectorIiLj1EEEEZZNS1_16scan_by_key_implILNS1_25lookback_scan_determinismE0ELb1ES3_N6thrust23THRUST_200600_302600_NS6detail15normal_iteratorINSB_10device_ptrIjEEEENSD_INSE_IS6_EEEESI_S6_NSB_4plusIvEENSB_8equal_toIvEES6_EE10hipError_tPvRmT2_T3_T4_T5_mT6_T7_P12ihipStream_tbENKUlT_T0_E_clISt17integral_constantIbLb0EES13_EEDaSY_SZ_EUlSY_E_NS1_11comp_targetILNS1_3genE10ELNS1_11target_archE1200ELNS1_3gpuE4ELNS1_3repE0EEENS1_30default_config_static_selectorELNS0_4arch9wavefront6targetE1EEEvT1_,"axG",@progbits,_ZN7rocprim17ROCPRIM_400000_NS6detail17trampoline_kernelINS0_14default_configENS1_27scan_by_key_config_selectorIj11FixedVectorIiLj1EEEEZZNS1_16scan_by_key_implILNS1_25lookback_scan_determinismE0ELb1ES3_N6thrust23THRUST_200600_302600_NS6detail15normal_iteratorINSB_10device_ptrIjEEEENSD_INSE_IS6_EEEESI_S6_NSB_4plusIvEENSB_8equal_toIvEES6_EE10hipError_tPvRmT2_T3_T4_T5_mT6_T7_P12ihipStream_tbENKUlT_T0_E_clISt17integral_constantIbLb0EES13_EEDaSY_SZ_EUlSY_E_NS1_11comp_targetILNS1_3genE10ELNS1_11target_archE1200ELNS1_3gpuE4ELNS1_3repE0EEENS1_30default_config_static_selectorELNS0_4arch9wavefront6targetE1EEEvT1_,comdat
.Lfunc_end1917:
	.size	_ZN7rocprim17ROCPRIM_400000_NS6detail17trampoline_kernelINS0_14default_configENS1_27scan_by_key_config_selectorIj11FixedVectorIiLj1EEEEZZNS1_16scan_by_key_implILNS1_25lookback_scan_determinismE0ELb1ES3_N6thrust23THRUST_200600_302600_NS6detail15normal_iteratorINSB_10device_ptrIjEEEENSD_INSE_IS6_EEEESI_S6_NSB_4plusIvEENSB_8equal_toIvEES6_EE10hipError_tPvRmT2_T3_T4_T5_mT6_T7_P12ihipStream_tbENKUlT_T0_E_clISt17integral_constantIbLb0EES13_EEDaSY_SZ_EUlSY_E_NS1_11comp_targetILNS1_3genE10ELNS1_11target_archE1200ELNS1_3gpuE4ELNS1_3repE0EEENS1_30default_config_static_selectorELNS0_4arch9wavefront6targetE1EEEvT1_, .Lfunc_end1917-_ZN7rocprim17ROCPRIM_400000_NS6detail17trampoline_kernelINS0_14default_configENS1_27scan_by_key_config_selectorIj11FixedVectorIiLj1EEEEZZNS1_16scan_by_key_implILNS1_25lookback_scan_determinismE0ELb1ES3_N6thrust23THRUST_200600_302600_NS6detail15normal_iteratorINSB_10device_ptrIjEEEENSD_INSE_IS6_EEEESI_S6_NSB_4plusIvEENSB_8equal_toIvEES6_EE10hipError_tPvRmT2_T3_T4_T5_mT6_T7_P12ihipStream_tbENKUlT_T0_E_clISt17integral_constantIbLb0EES13_EEDaSY_SZ_EUlSY_E_NS1_11comp_targetILNS1_3genE10ELNS1_11target_archE1200ELNS1_3gpuE4ELNS1_3repE0EEENS1_30default_config_static_selectorELNS0_4arch9wavefront6targetE1EEEvT1_
                                        ; -- End function
	.section	.AMDGPU.csdata,"",@progbits
; Kernel info:
; codeLenInByte = 0
; NumSgprs: 4
; NumVgprs: 0
; NumAgprs: 0
; TotalNumVgprs: 0
; ScratchSize: 0
; MemoryBound: 0
; FloatMode: 240
; IeeeMode: 1
; LDSByteSize: 0 bytes/workgroup (compile time only)
; SGPRBlocks: 0
; VGPRBlocks: 0
; NumSGPRsForWavesPerEU: 4
; NumVGPRsForWavesPerEU: 1
; AccumOffset: 4
; Occupancy: 8
; WaveLimiterHint : 0
; COMPUTE_PGM_RSRC2:SCRATCH_EN: 0
; COMPUTE_PGM_RSRC2:USER_SGPR: 6
; COMPUTE_PGM_RSRC2:TRAP_HANDLER: 0
; COMPUTE_PGM_RSRC2:TGID_X_EN: 1
; COMPUTE_PGM_RSRC2:TGID_Y_EN: 0
; COMPUTE_PGM_RSRC2:TGID_Z_EN: 0
; COMPUTE_PGM_RSRC2:TIDIG_COMP_CNT: 0
; COMPUTE_PGM_RSRC3_GFX90A:ACCUM_OFFSET: 0
; COMPUTE_PGM_RSRC3_GFX90A:TG_SPLIT: 0
	.section	.text._ZN7rocprim17ROCPRIM_400000_NS6detail17trampoline_kernelINS0_14default_configENS1_27scan_by_key_config_selectorIj11FixedVectorIiLj1EEEEZZNS1_16scan_by_key_implILNS1_25lookback_scan_determinismE0ELb1ES3_N6thrust23THRUST_200600_302600_NS6detail15normal_iteratorINSB_10device_ptrIjEEEENSD_INSE_IS6_EEEESI_S6_NSB_4plusIvEENSB_8equal_toIvEES6_EE10hipError_tPvRmT2_T3_T4_T5_mT6_T7_P12ihipStream_tbENKUlT_T0_E_clISt17integral_constantIbLb0EES13_EEDaSY_SZ_EUlSY_E_NS1_11comp_targetILNS1_3genE9ELNS1_11target_archE1100ELNS1_3gpuE3ELNS1_3repE0EEENS1_30default_config_static_selectorELNS0_4arch9wavefront6targetE1EEEvT1_,"axG",@progbits,_ZN7rocprim17ROCPRIM_400000_NS6detail17trampoline_kernelINS0_14default_configENS1_27scan_by_key_config_selectorIj11FixedVectorIiLj1EEEEZZNS1_16scan_by_key_implILNS1_25lookback_scan_determinismE0ELb1ES3_N6thrust23THRUST_200600_302600_NS6detail15normal_iteratorINSB_10device_ptrIjEEEENSD_INSE_IS6_EEEESI_S6_NSB_4plusIvEENSB_8equal_toIvEES6_EE10hipError_tPvRmT2_T3_T4_T5_mT6_T7_P12ihipStream_tbENKUlT_T0_E_clISt17integral_constantIbLb0EES13_EEDaSY_SZ_EUlSY_E_NS1_11comp_targetILNS1_3genE9ELNS1_11target_archE1100ELNS1_3gpuE3ELNS1_3repE0EEENS1_30default_config_static_selectorELNS0_4arch9wavefront6targetE1EEEvT1_,comdat
	.protected	_ZN7rocprim17ROCPRIM_400000_NS6detail17trampoline_kernelINS0_14default_configENS1_27scan_by_key_config_selectorIj11FixedVectorIiLj1EEEEZZNS1_16scan_by_key_implILNS1_25lookback_scan_determinismE0ELb1ES3_N6thrust23THRUST_200600_302600_NS6detail15normal_iteratorINSB_10device_ptrIjEEEENSD_INSE_IS6_EEEESI_S6_NSB_4plusIvEENSB_8equal_toIvEES6_EE10hipError_tPvRmT2_T3_T4_T5_mT6_T7_P12ihipStream_tbENKUlT_T0_E_clISt17integral_constantIbLb0EES13_EEDaSY_SZ_EUlSY_E_NS1_11comp_targetILNS1_3genE9ELNS1_11target_archE1100ELNS1_3gpuE3ELNS1_3repE0EEENS1_30default_config_static_selectorELNS0_4arch9wavefront6targetE1EEEvT1_ ; -- Begin function _ZN7rocprim17ROCPRIM_400000_NS6detail17trampoline_kernelINS0_14default_configENS1_27scan_by_key_config_selectorIj11FixedVectorIiLj1EEEEZZNS1_16scan_by_key_implILNS1_25lookback_scan_determinismE0ELb1ES3_N6thrust23THRUST_200600_302600_NS6detail15normal_iteratorINSB_10device_ptrIjEEEENSD_INSE_IS6_EEEESI_S6_NSB_4plusIvEENSB_8equal_toIvEES6_EE10hipError_tPvRmT2_T3_T4_T5_mT6_T7_P12ihipStream_tbENKUlT_T0_E_clISt17integral_constantIbLb0EES13_EEDaSY_SZ_EUlSY_E_NS1_11comp_targetILNS1_3genE9ELNS1_11target_archE1100ELNS1_3gpuE3ELNS1_3repE0EEENS1_30default_config_static_selectorELNS0_4arch9wavefront6targetE1EEEvT1_
	.globl	_ZN7rocprim17ROCPRIM_400000_NS6detail17trampoline_kernelINS0_14default_configENS1_27scan_by_key_config_selectorIj11FixedVectorIiLj1EEEEZZNS1_16scan_by_key_implILNS1_25lookback_scan_determinismE0ELb1ES3_N6thrust23THRUST_200600_302600_NS6detail15normal_iteratorINSB_10device_ptrIjEEEENSD_INSE_IS6_EEEESI_S6_NSB_4plusIvEENSB_8equal_toIvEES6_EE10hipError_tPvRmT2_T3_T4_T5_mT6_T7_P12ihipStream_tbENKUlT_T0_E_clISt17integral_constantIbLb0EES13_EEDaSY_SZ_EUlSY_E_NS1_11comp_targetILNS1_3genE9ELNS1_11target_archE1100ELNS1_3gpuE3ELNS1_3repE0EEENS1_30default_config_static_selectorELNS0_4arch9wavefront6targetE1EEEvT1_
	.p2align	8
	.type	_ZN7rocprim17ROCPRIM_400000_NS6detail17trampoline_kernelINS0_14default_configENS1_27scan_by_key_config_selectorIj11FixedVectorIiLj1EEEEZZNS1_16scan_by_key_implILNS1_25lookback_scan_determinismE0ELb1ES3_N6thrust23THRUST_200600_302600_NS6detail15normal_iteratorINSB_10device_ptrIjEEEENSD_INSE_IS6_EEEESI_S6_NSB_4plusIvEENSB_8equal_toIvEES6_EE10hipError_tPvRmT2_T3_T4_T5_mT6_T7_P12ihipStream_tbENKUlT_T0_E_clISt17integral_constantIbLb0EES13_EEDaSY_SZ_EUlSY_E_NS1_11comp_targetILNS1_3genE9ELNS1_11target_archE1100ELNS1_3gpuE3ELNS1_3repE0EEENS1_30default_config_static_selectorELNS0_4arch9wavefront6targetE1EEEvT1_,@function
_ZN7rocprim17ROCPRIM_400000_NS6detail17trampoline_kernelINS0_14default_configENS1_27scan_by_key_config_selectorIj11FixedVectorIiLj1EEEEZZNS1_16scan_by_key_implILNS1_25lookback_scan_determinismE0ELb1ES3_N6thrust23THRUST_200600_302600_NS6detail15normal_iteratorINSB_10device_ptrIjEEEENSD_INSE_IS6_EEEESI_S6_NSB_4plusIvEENSB_8equal_toIvEES6_EE10hipError_tPvRmT2_T3_T4_T5_mT6_T7_P12ihipStream_tbENKUlT_T0_E_clISt17integral_constantIbLb0EES13_EEDaSY_SZ_EUlSY_E_NS1_11comp_targetILNS1_3genE9ELNS1_11target_archE1100ELNS1_3gpuE3ELNS1_3repE0EEENS1_30default_config_static_selectorELNS0_4arch9wavefront6targetE1EEEvT1_: ; @_ZN7rocprim17ROCPRIM_400000_NS6detail17trampoline_kernelINS0_14default_configENS1_27scan_by_key_config_selectorIj11FixedVectorIiLj1EEEEZZNS1_16scan_by_key_implILNS1_25lookback_scan_determinismE0ELb1ES3_N6thrust23THRUST_200600_302600_NS6detail15normal_iteratorINSB_10device_ptrIjEEEENSD_INSE_IS6_EEEESI_S6_NSB_4plusIvEENSB_8equal_toIvEES6_EE10hipError_tPvRmT2_T3_T4_T5_mT6_T7_P12ihipStream_tbENKUlT_T0_E_clISt17integral_constantIbLb0EES13_EEDaSY_SZ_EUlSY_E_NS1_11comp_targetILNS1_3genE9ELNS1_11target_archE1100ELNS1_3gpuE3ELNS1_3repE0EEENS1_30default_config_static_selectorELNS0_4arch9wavefront6targetE1EEEvT1_
; %bb.0:
	.section	.rodata,"a",@progbits
	.p2align	6, 0x0
	.amdhsa_kernel _ZN7rocprim17ROCPRIM_400000_NS6detail17trampoline_kernelINS0_14default_configENS1_27scan_by_key_config_selectorIj11FixedVectorIiLj1EEEEZZNS1_16scan_by_key_implILNS1_25lookback_scan_determinismE0ELb1ES3_N6thrust23THRUST_200600_302600_NS6detail15normal_iteratorINSB_10device_ptrIjEEEENSD_INSE_IS6_EEEESI_S6_NSB_4plusIvEENSB_8equal_toIvEES6_EE10hipError_tPvRmT2_T3_T4_T5_mT6_T7_P12ihipStream_tbENKUlT_T0_E_clISt17integral_constantIbLb0EES13_EEDaSY_SZ_EUlSY_E_NS1_11comp_targetILNS1_3genE9ELNS1_11target_archE1100ELNS1_3gpuE3ELNS1_3repE0EEENS1_30default_config_static_selectorELNS0_4arch9wavefront6targetE1EEEvT1_
		.amdhsa_group_segment_fixed_size 0
		.amdhsa_private_segment_fixed_size 0
		.amdhsa_kernarg_size 112
		.amdhsa_user_sgpr_count 6
		.amdhsa_user_sgpr_private_segment_buffer 1
		.amdhsa_user_sgpr_dispatch_ptr 0
		.amdhsa_user_sgpr_queue_ptr 0
		.amdhsa_user_sgpr_kernarg_segment_ptr 1
		.amdhsa_user_sgpr_dispatch_id 0
		.amdhsa_user_sgpr_flat_scratch_init 0
		.amdhsa_user_sgpr_kernarg_preload_length 0
		.amdhsa_user_sgpr_kernarg_preload_offset 0
		.amdhsa_user_sgpr_private_segment_size 0
		.amdhsa_uses_dynamic_stack 0
		.amdhsa_system_sgpr_private_segment_wavefront_offset 0
		.amdhsa_system_sgpr_workgroup_id_x 1
		.amdhsa_system_sgpr_workgroup_id_y 0
		.amdhsa_system_sgpr_workgroup_id_z 0
		.amdhsa_system_sgpr_workgroup_info 0
		.amdhsa_system_vgpr_workitem_id 0
		.amdhsa_next_free_vgpr 1
		.amdhsa_next_free_sgpr 0
		.amdhsa_accum_offset 4
		.amdhsa_reserve_vcc 0
		.amdhsa_reserve_flat_scratch 0
		.amdhsa_float_round_mode_32 0
		.amdhsa_float_round_mode_16_64 0
		.amdhsa_float_denorm_mode_32 3
		.amdhsa_float_denorm_mode_16_64 3
		.amdhsa_dx10_clamp 1
		.amdhsa_ieee_mode 1
		.amdhsa_fp16_overflow 0
		.amdhsa_tg_split 0
		.amdhsa_exception_fp_ieee_invalid_op 0
		.amdhsa_exception_fp_denorm_src 0
		.amdhsa_exception_fp_ieee_div_zero 0
		.amdhsa_exception_fp_ieee_overflow 0
		.amdhsa_exception_fp_ieee_underflow 0
		.amdhsa_exception_fp_ieee_inexact 0
		.amdhsa_exception_int_div_zero 0
	.end_amdhsa_kernel
	.section	.text._ZN7rocprim17ROCPRIM_400000_NS6detail17trampoline_kernelINS0_14default_configENS1_27scan_by_key_config_selectorIj11FixedVectorIiLj1EEEEZZNS1_16scan_by_key_implILNS1_25lookback_scan_determinismE0ELb1ES3_N6thrust23THRUST_200600_302600_NS6detail15normal_iteratorINSB_10device_ptrIjEEEENSD_INSE_IS6_EEEESI_S6_NSB_4plusIvEENSB_8equal_toIvEES6_EE10hipError_tPvRmT2_T3_T4_T5_mT6_T7_P12ihipStream_tbENKUlT_T0_E_clISt17integral_constantIbLb0EES13_EEDaSY_SZ_EUlSY_E_NS1_11comp_targetILNS1_3genE9ELNS1_11target_archE1100ELNS1_3gpuE3ELNS1_3repE0EEENS1_30default_config_static_selectorELNS0_4arch9wavefront6targetE1EEEvT1_,"axG",@progbits,_ZN7rocprim17ROCPRIM_400000_NS6detail17trampoline_kernelINS0_14default_configENS1_27scan_by_key_config_selectorIj11FixedVectorIiLj1EEEEZZNS1_16scan_by_key_implILNS1_25lookback_scan_determinismE0ELb1ES3_N6thrust23THRUST_200600_302600_NS6detail15normal_iteratorINSB_10device_ptrIjEEEENSD_INSE_IS6_EEEESI_S6_NSB_4plusIvEENSB_8equal_toIvEES6_EE10hipError_tPvRmT2_T3_T4_T5_mT6_T7_P12ihipStream_tbENKUlT_T0_E_clISt17integral_constantIbLb0EES13_EEDaSY_SZ_EUlSY_E_NS1_11comp_targetILNS1_3genE9ELNS1_11target_archE1100ELNS1_3gpuE3ELNS1_3repE0EEENS1_30default_config_static_selectorELNS0_4arch9wavefront6targetE1EEEvT1_,comdat
.Lfunc_end1918:
	.size	_ZN7rocprim17ROCPRIM_400000_NS6detail17trampoline_kernelINS0_14default_configENS1_27scan_by_key_config_selectorIj11FixedVectorIiLj1EEEEZZNS1_16scan_by_key_implILNS1_25lookback_scan_determinismE0ELb1ES3_N6thrust23THRUST_200600_302600_NS6detail15normal_iteratorINSB_10device_ptrIjEEEENSD_INSE_IS6_EEEESI_S6_NSB_4plusIvEENSB_8equal_toIvEES6_EE10hipError_tPvRmT2_T3_T4_T5_mT6_T7_P12ihipStream_tbENKUlT_T0_E_clISt17integral_constantIbLb0EES13_EEDaSY_SZ_EUlSY_E_NS1_11comp_targetILNS1_3genE9ELNS1_11target_archE1100ELNS1_3gpuE3ELNS1_3repE0EEENS1_30default_config_static_selectorELNS0_4arch9wavefront6targetE1EEEvT1_, .Lfunc_end1918-_ZN7rocprim17ROCPRIM_400000_NS6detail17trampoline_kernelINS0_14default_configENS1_27scan_by_key_config_selectorIj11FixedVectorIiLj1EEEEZZNS1_16scan_by_key_implILNS1_25lookback_scan_determinismE0ELb1ES3_N6thrust23THRUST_200600_302600_NS6detail15normal_iteratorINSB_10device_ptrIjEEEENSD_INSE_IS6_EEEESI_S6_NSB_4plusIvEENSB_8equal_toIvEES6_EE10hipError_tPvRmT2_T3_T4_T5_mT6_T7_P12ihipStream_tbENKUlT_T0_E_clISt17integral_constantIbLb0EES13_EEDaSY_SZ_EUlSY_E_NS1_11comp_targetILNS1_3genE9ELNS1_11target_archE1100ELNS1_3gpuE3ELNS1_3repE0EEENS1_30default_config_static_selectorELNS0_4arch9wavefront6targetE1EEEvT1_
                                        ; -- End function
	.section	.AMDGPU.csdata,"",@progbits
; Kernel info:
; codeLenInByte = 0
; NumSgprs: 4
; NumVgprs: 0
; NumAgprs: 0
; TotalNumVgprs: 0
; ScratchSize: 0
; MemoryBound: 0
; FloatMode: 240
; IeeeMode: 1
; LDSByteSize: 0 bytes/workgroup (compile time only)
; SGPRBlocks: 0
; VGPRBlocks: 0
; NumSGPRsForWavesPerEU: 4
; NumVGPRsForWavesPerEU: 1
; AccumOffset: 4
; Occupancy: 8
; WaveLimiterHint : 0
; COMPUTE_PGM_RSRC2:SCRATCH_EN: 0
; COMPUTE_PGM_RSRC2:USER_SGPR: 6
; COMPUTE_PGM_RSRC2:TRAP_HANDLER: 0
; COMPUTE_PGM_RSRC2:TGID_X_EN: 1
; COMPUTE_PGM_RSRC2:TGID_Y_EN: 0
; COMPUTE_PGM_RSRC2:TGID_Z_EN: 0
; COMPUTE_PGM_RSRC2:TIDIG_COMP_CNT: 0
; COMPUTE_PGM_RSRC3_GFX90A:ACCUM_OFFSET: 0
; COMPUTE_PGM_RSRC3_GFX90A:TG_SPLIT: 0
	.section	.text._ZN7rocprim17ROCPRIM_400000_NS6detail17trampoline_kernelINS0_14default_configENS1_27scan_by_key_config_selectorIj11FixedVectorIiLj1EEEEZZNS1_16scan_by_key_implILNS1_25lookback_scan_determinismE0ELb1ES3_N6thrust23THRUST_200600_302600_NS6detail15normal_iteratorINSB_10device_ptrIjEEEENSD_INSE_IS6_EEEESI_S6_NSB_4plusIvEENSB_8equal_toIvEES6_EE10hipError_tPvRmT2_T3_T4_T5_mT6_T7_P12ihipStream_tbENKUlT_T0_E_clISt17integral_constantIbLb0EES13_EEDaSY_SZ_EUlSY_E_NS1_11comp_targetILNS1_3genE8ELNS1_11target_archE1030ELNS1_3gpuE2ELNS1_3repE0EEENS1_30default_config_static_selectorELNS0_4arch9wavefront6targetE1EEEvT1_,"axG",@progbits,_ZN7rocprim17ROCPRIM_400000_NS6detail17trampoline_kernelINS0_14default_configENS1_27scan_by_key_config_selectorIj11FixedVectorIiLj1EEEEZZNS1_16scan_by_key_implILNS1_25lookback_scan_determinismE0ELb1ES3_N6thrust23THRUST_200600_302600_NS6detail15normal_iteratorINSB_10device_ptrIjEEEENSD_INSE_IS6_EEEESI_S6_NSB_4plusIvEENSB_8equal_toIvEES6_EE10hipError_tPvRmT2_T3_T4_T5_mT6_T7_P12ihipStream_tbENKUlT_T0_E_clISt17integral_constantIbLb0EES13_EEDaSY_SZ_EUlSY_E_NS1_11comp_targetILNS1_3genE8ELNS1_11target_archE1030ELNS1_3gpuE2ELNS1_3repE0EEENS1_30default_config_static_selectorELNS0_4arch9wavefront6targetE1EEEvT1_,comdat
	.protected	_ZN7rocprim17ROCPRIM_400000_NS6detail17trampoline_kernelINS0_14default_configENS1_27scan_by_key_config_selectorIj11FixedVectorIiLj1EEEEZZNS1_16scan_by_key_implILNS1_25lookback_scan_determinismE0ELb1ES3_N6thrust23THRUST_200600_302600_NS6detail15normal_iteratorINSB_10device_ptrIjEEEENSD_INSE_IS6_EEEESI_S6_NSB_4plusIvEENSB_8equal_toIvEES6_EE10hipError_tPvRmT2_T3_T4_T5_mT6_T7_P12ihipStream_tbENKUlT_T0_E_clISt17integral_constantIbLb0EES13_EEDaSY_SZ_EUlSY_E_NS1_11comp_targetILNS1_3genE8ELNS1_11target_archE1030ELNS1_3gpuE2ELNS1_3repE0EEENS1_30default_config_static_selectorELNS0_4arch9wavefront6targetE1EEEvT1_ ; -- Begin function _ZN7rocprim17ROCPRIM_400000_NS6detail17trampoline_kernelINS0_14default_configENS1_27scan_by_key_config_selectorIj11FixedVectorIiLj1EEEEZZNS1_16scan_by_key_implILNS1_25lookback_scan_determinismE0ELb1ES3_N6thrust23THRUST_200600_302600_NS6detail15normal_iteratorINSB_10device_ptrIjEEEENSD_INSE_IS6_EEEESI_S6_NSB_4plusIvEENSB_8equal_toIvEES6_EE10hipError_tPvRmT2_T3_T4_T5_mT6_T7_P12ihipStream_tbENKUlT_T0_E_clISt17integral_constantIbLb0EES13_EEDaSY_SZ_EUlSY_E_NS1_11comp_targetILNS1_3genE8ELNS1_11target_archE1030ELNS1_3gpuE2ELNS1_3repE0EEENS1_30default_config_static_selectorELNS0_4arch9wavefront6targetE1EEEvT1_
	.globl	_ZN7rocprim17ROCPRIM_400000_NS6detail17trampoline_kernelINS0_14default_configENS1_27scan_by_key_config_selectorIj11FixedVectorIiLj1EEEEZZNS1_16scan_by_key_implILNS1_25lookback_scan_determinismE0ELb1ES3_N6thrust23THRUST_200600_302600_NS6detail15normal_iteratorINSB_10device_ptrIjEEEENSD_INSE_IS6_EEEESI_S6_NSB_4plusIvEENSB_8equal_toIvEES6_EE10hipError_tPvRmT2_T3_T4_T5_mT6_T7_P12ihipStream_tbENKUlT_T0_E_clISt17integral_constantIbLb0EES13_EEDaSY_SZ_EUlSY_E_NS1_11comp_targetILNS1_3genE8ELNS1_11target_archE1030ELNS1_3gpuE2ELNS1_3repE0EEENS1_30default_config_static_selectorELNS0_4arch9wavefront6targetE1EEEvT1_
	.p2align	8
	.type	_ZN7rocprim17ROCPRIM_400000_NS6detail17trampoline_kernelINS0_14default_configENS1_27scan_by_key_config_selectorIj11FixedVectorIiLj1EEEEZZNS1_16scan_by_key_implILNS1_25lookback_scan_determinismE0ELb1ES3_N6thrust23THRUST_200600_302600_NS6detail15normal_iteratorINSB_10device_ptrIjEEEENSD_INSE_IS6_EEEESI_S6_NSB_4plusIvEENSB_8equal_toIvEES6_EE10hipError_tPvRmT2_T3_T4_T5_mT6_T7_P12ihipStream_tbENKUlT_T0_E_clISt17integral_constantIbLb0EES13_EEDaSY_SZ_EUlSY_E_NS1_11comp_targetILNS1_3genE8ELNS1_11target_archE1030ELNS1_3gpuE2ELNS1_3repE0EEENS1_30default_config_static_selectorELNS0_4arch9wavefront6targetE1EEEvT1_,@function
_ZN7rocprim17ROCPRIM_400000_NS6detail17trampoline_kernelINS0_14default_configENS1_27scan_by_key_config_selectorIj11FixedVectorIiLj1EEEEZZNS1_16scan_by_key_implILNS1_25lookback_scan_determinismE0ELb1ES3_N6thrust23THRUST_200600_302600_NS6detail15normal_iteratorINSB_10device_ptrIjEEEENSD_INSE_IS6_EEEESI_S6_NSB_4plusIvEENSB_8equal_toIvEES6_EE10hipError_tPvRmT2_T3_T4_T5_mT6_T7_P12ihipStream_tbENKUlT_T0_E_clISt17integral_constantIbLb0EES13_EEDaSY_SZ_EUlSY_E_NS1_11comp_targetILNS1_3genE8ELNS1_11target_archE1030ELNS1_3gpuE2ELNS1_3repE0EEENS1_30default_config_static_selectorELNS0_4arch9wavefront6targetE1EEEvT1_: ; @_ZN7rocprim17ROCPRIM_400000_NS6detail17trampoline_kernelINS0_14default_configENS1_27scan_by_key_config_selectorIj11FixedVectorIiLj1EEEEZZNS1_16scan_by_key_implILNS1_25lookback_scan_determinismE0ELb1ES3_N6thrust23THRUST_200600_302600_NS6detail15normal_iteratorINSB_10device_ptrIjEEEENSD_INSE_IS6_EEEESI_S6_NSB_4plusIvEENSB_8equal_toIvEES6_EE10hipError_tPvRmT2_T3_T4_T5_mT6_T7_P12ihipStream_tbENKUlT_T0_E_clISt17integral_constantIbLb0EES13_EEDaSY_SZ_EUlSY_E_NS1_11comp_targetILNS1_3genE8ELNS1_11target_archE1030ELNS1_3gpuE2ELNS1_3repE0EEENS1_30default_config_static_selectorELNS0_4arch9wavefront6targetE1EEEvT1_
; %bb.0:
	.section	.rodata,"a",@progbits
	.p2align	6, 0x0
	.amdhsa_kernel _ZN7rocprim17ROCPRIM_400000_NS6detail17trampoline_kernelINS0_14default_configENS1_27scan_by_key_config_selectorIj11FixedVectorIiLj1EEEEZZNS1_16scan_by_key_implILNS1_25lookback_scan_determinismE0ELb1ES3_N6thrust23THRUST_200600_302600_NS6detail15normal_iteratorINSB_10device_ptrIjEEEENSD_INSE_IS6_EEEESI_S6_NSB_4plusIvEENSB_8equal_toIvEES6_EE10hipError_tPvRmT2_T3_T4_T5_mT6_T7_P12ihipStream_tbENKUlT_T0_E_clISt17integral_constantIbLb0EES13_EEDaSY_SZ_EUlSY_E_NS1_11comp_targetILNS1_3genE8ELNS1_11target_archE1030ELNS1_3gpuE2ELNS1_3repE0EEENS1_30default_config_static_selectorELNS0_4arch9wavefront6targetE1EEEvT1_
		.amdhsa_group_segment_fixed_size 0
		.amdhsa_private_segment_fixed_size 0
		.amdhsa_kernarg_size 112
		.amdhsa_user_sgpr_count 6
		.amdhsa_user_sgpr_private_segment_buffer 1
		.amdhsa_user_sgpr_dispatch_ptr 0
		.amdhsa_user_sgpr_queue_ptr 0
		.amdhsa_user_sgpr_kernarg_segment_ptr 1
		.amdhsa_user_sgpr_dispatch_id 0
		.amdhsa_user_sgpr_flat_scratch_init 0
		.amdhsa_user_sgpr_kernarg_preload_length 0
		.amdhsa_user_sgpr_kernarg_preload_offset 0
		.amdhsa_user_sgpr_private_segment_size 0
		.amdhsa_uses_dynamic_stack 0
		.amdhsa_system_sgpr_private_segment_wavefront_offset 0
		.amdhsa_system_sgpr_workgroup_id_x 1
		.amdhsa_system_sgpr_workgroup_id_y 0
		.amdhsa_system_sgpr_workgroup_id_z 0
		.amdhsa_system_sgpr_workgroup_info 0
		.amdhsa_system_vgpr_workitem_id 0
		.amdhsa_next_free_vgpr 1
		.amdhsa_next_free_sgpr 0
		.amdhsa_accum_offset 4
		.amdhsa_reserve_vcc 0
		.amdhsa_reserve_flat_scratch 0
		.amdhsa_float_round_mode_32 0
		.amdhsa_float_round_mode_16_64 0
		.amdhsa_float_denorm_mode_32 3
		.amdhsa_float_denorm_mode_16_64 3
		.amdhsa_dx10_clamp 1
		.amdhsa_ieee_mode 1
		.amdhsa_fp16_overflow 0
		.amdhsa_tg_split 0
		.amdhsa_exception_fp_ieee_invalid_op 0
		.amdhsa_exception_fp_denorm_src 0
		.amdhsa_exception_fp_ieee_div_zero 0
		.amdhsa_exception_fp_ieee_overflow 0
		.amdhsa_exception_fp_ieee_underflow 0
		.amdhsa_exception_fp_ieee_inexact 0
		.amdhsa_exception_int_div_zero 0
	.end_amdhsa_kernel
	.section	.text._ZN7rocprim17ROCPRIM_400000_NS6detail17trampoline_kernelINS0_14default_configENS1_27scan_by_key_config_selectorIj11FixedVectorIiLj1EEEEZZNS1_16scan_by_key_implILNS1_25lookback_scan_determinismE0ELb1ES3_N6thrust23THRUST_200600_302600_NS6detail15normal_iteratorINSB_10device_ptrIjEEEENSD_INSE_IS6_EEEESI_S6_NSB_4plusIvEENSB_8equal_toIvEES6_EE10hipError_tPvRmT2_T3_T4_T5_mT6_T7_P12ihipStream_tbENKUlT_T0_E_clISt17integral_constantIbLb0EES13_EEDaSY_SZ_EUlSY_E_NS1_11comp_targetILNS1_3genE8ELNS1_11target_archE1030ELNS1_3gpuE2ELNS1_3repE0EEENS1_30default_config_static_selectorELNS0_4arch9wavefront6targetE1EEEvT1_,"axG",@progbits,_ZN7rocprim17ROCPRIM_400000_NS6detail17trampoline_kernelINS0_14default_configENS1_27scan_by_key_config_selectorIj11FixedVectorIiLj1EEEEZZNS1_16scan_by_key_implILNS1_25lookback_scan_determinismE0ELb1ES3_N6thrust23THRUST_200600_302600_NS6detail15normal_iteratorINSB_10device_ptrIjEEEENSD_INSE_IS6_EEEESI_S6_NSB_4plusIvEENSB_8equal_toIvEES6_EE10hipError_tPvRmT2_T3_T4_T5_mT6_T7_P12ihipStream_tbENKUlT_T0_E_clISt17integral_constantIbLb0EES13_EEDaSY_SZ_EUlSY_E_NS1_11comp_targetILNS1_3genE8ELNS1_11target_archE1030ELNS1_3gpuE2ELNS1_3repE0EEENS1_30default_config_static_selectorELNS0_4arch9wavefront6targetE1EEEvT1_,comdat
.Lfunc_end1919:
	.size	_ZN7rocprim17ROCPRIM_400000_NS6detail17trampoline_kernelINS0_14default_configENS1_27scan_by_key_config_selectorIj11FixedVectorIiLj1EEEEZZNS1_16scan_by_key_implILNS1_25lookback_scan_determinismE0ELb1ES3_N6thrust23THRUST_200600_302600_NS6detail15normal_iteratorINSB_10device_ptrIjEEEENSD_INSE_IS6_EEEESI_S6_NSB_4plusIvEENSB_8equal_toIvEES6_EE10hipError_tPvRmT2_T3_T4_T5_mT6_T7_P12ihipStream_tbENKUlT_T0_E_clISt17integral_constantIbLb0EES13_EEDaSY_SZ_EUlSY_E_NS1_11comp_targetILNS1_3genE8ELNS1_11target_archE1030ELNS1_3gpuE2ELNS1_3repE0EEENS1_30default_config_static_selectorELNS0_4arch9wavefront6targetE1EEEvT1_, .Lfunc_end1919-_ZN7rocprim17ROCPRIM_400000_NS6detail17trampoline_kernelINS0_14default_configENS1_27scan_by_key_config_selectorIj11FixedVectorIiLj1EEEEZZNS1_16scan_by_key_implILNS1_25lookback_scan_determinismE0ELb1ES3_N6thrust23THRUST_200600_302600_NS6detail15normal_iteratorINSB_10device_ptrIjEEEENSD_INSE_IS6_EEEESI_S6_NSB_4plusIvEENSB_8equal_toIvEES6_EE10hipError_tPvRmT2_T3_T4_T5_mT6_T7_P12ihipStream_tbENKUlT_T0_E_clISt17integral_constantIbLb0EES13_EEDaSY_SZ_EUlSY_E_NS1_11comp_targetILNS1_3genE8ELNS1_11target_archE1030ELNS1_3gpuE2ELNS1_3repE0EEENS1_30default_config_static_selectorELNS0_4arch9wavefront6targetE1EEEvT1_
                                        ; -- End function
	.section	.AMDGPU.csdata,"",@progbits
; Kernel info:
; codeLenInByte = 0
; NumSgprs: 4
; NumVgprs: 0
; NumAgprs: 0
; TotalNumVgprs: 0
; ScratchSize: 0
; MemoryBound: 0
; FloatMode: 240
; IeeeMode: 1
; LDSByteSize: 0 bytes/workgroup (compile time only)
; SGPRBlocks: 0
; VGPRBlocks: 0
; NumSGPRsForWavesPerEU: 4
; NumVGPRsForWavesPerEU: 1
; AccumOffset: 4
; Occupancy: 8
; WaveLimiterHint : 0
; COMPUTE_PGM_RSRC2:SCRATCH_EN: 0
; COMPUTE_PGM_RSRC2:USER_SGPR: 6
; COMPUTE_PGM_RSRC2:TRAP_HANDLER: 0
; COMPUTE_PGM_RSRC2:TGID_X_EN: 1
; COMPUTE_PGM_RSRC2:TGID_Y_EN: 0
; COMPUTE_PGM_RSRC2:TGID_Z_EN: 0
; COMPUTE_PGM_RSRC2:TIDIG_COMP_CNT: 0
; COMPUTE_PGM_RSRC3_GFX90A:ACCUM_OFFSET: 0
; COMPUTE_PGM_RSRC3_GFX90A:TG_SPLIT: 0
	.section	.text._ZN7rocprim17ROCPRIM_400000_NS6detail17trampoline_kernelINS0_14default_configENS1_27scan_by_key_config_selectorIj11FixedVectorIiLj1EEEEZZNS1_16scan_by_key_implILNS1_25lookback_scan_determinismE0ELb1ES3_N6thrust23THRUST_200600_302600_NS6detail15normal_iteratorINSB_10device_ptrIjEEEENSD_INSE_IS6_EEEESI_S6_NSB_4plusIvEENSB_8equal_toIvEES6_EE10hipError_tPvRmT2_T3_T4_T5_mT6_T7_P12ihipStream_tbENKUlT_T0_E_clISt17integral_constantIbLb1EES13_EEDaSY_SZ_EUlSY_E_NS1_11comp_targetILNS1_3genE0ELNS1_11target_archE4294967295ELNS1_3gpuE0ELNS1_3repE0EEENS1_30default_config_static_selectorELNS0_4arch9wavefront6targetE1EEEvT1_,"axG",@progbits,_ZN7rocprim17ROCPRIM_400000_NS6detail17trampoline_kernelINS0_14default_configENS1_27scan_by_key_config_selectorIj11FixedVectorIiLj1EEEEZZNS1_16scan_by_key_implILNS1_25lookback_scan_determinismE0ELb1ES3_N6thrust23THRUST_200600_302600_NS6detail15normal_iteratorINSB_10device_ptrIjEEEENSD_INSE_IS6_EEEESI_S6_NSB_4plusIvEENSB_8equal_toIvEES6_EE10hipError_tPvRmT2_T3_T4_T5_mT6_T7_P12ihipStream_tbENKUlT_T0_E_clISt17integral_constantIbLb1EES13_EEDaSY_SZ_EUlSY_E_NS1_11comp_targetILNS1_3genE0ELNS1_11target_archE4294967295ELNS1_3gpuE0ELNS1_3repE0EEENS1_30default_config_static_selectorELNS0_4arch9wavefront6targetE1EEEvT1_,comdat
	.protected	_ZN7rocprim17ROCPRIM_400000_NS6detail17trampoline_kernelINS0_14default_configENS1_27scan_by_key_config_selectorIj11FixedVectorIiLj1EEEEZZNS1_16scan_by_key_implILNS1_25lookback_scan_determinismE0ELb1ES3_N6thrust23THRUST_200600_302600_NS6detail15normal_iteratorINSB_10device_ptrIjEEEENSD_INSE_IS6_EEEESI_S6_NSB_4plusIvEENSB_8equal_toIvEES6_EE10hipError_tPvRmT2_T3_T4_T5_mT6_T7_P12ihipStream_tbENKUlT_T0_E_clISt17integral_constantIbLb1EES13_EEDaSY_SZ_EUlSY_E_NS1_11comp_targetILNS1_3genE0ELNS1_11target_archE4294967295ELNS1_3gpuE0ELNS1_3repE0EEENS1_30default_config_static_selectorELNS0_4arch9wavefront6targetE1EEEvT1_ ; -- Begin function _ZN7rocprim17ROCPRIM_400000_NS6detail17trampoline_kernelINS0_14default_configENS1_27scan_by_key_config_selectorIj11FixedVectorIiLj1EEEEZZNS1_16scan_by_key_implILNS1_25lookback_scan_determinismE0ELb1ES3_N6thrust23THRUST_200600_302600_NS6detail15normal_iteratorINSB_10device_ptrIjEEEENSD_INSE_IS6_EEEESI_S6_NSB_4plusIvEENSB_8equal_toIvEES6_EE10hipError_tPvRmT2_T3_T4_T5_mT6_T7_P12ihipStream_tbENKUlT_T0_E_clISt17integral_constantIbLb1EES13_EEDaSY_SZ_EUlSY_E_NS1_11comp_targetILNS1_3genE0ELNS1_11target_archE4294967295ELNS1_3gpuE0ELNS1_3repE0EEENS1_30default_config_static_selectorELNS0_4arch9wavefront6targetE1EEEvT1_
	.globl	_ZN7rocprim17ROCPRIM_400000_NS6detail17trampoline_kernelINS0_14default_configENS1_27scan_by_key_config_selectorIj11FixedVectorIiLj1EEEEZZNS1_16scan_by_key_implILNS1_25lookback_scan_determinismE0ELb1ES3_N6thrust23THRUST_200600_302600_NS6detail15normal_iteratorINSB_10device_ptrIjEEEENSD_INSE_IS6_EEEESI_S6_NSB_4plusIvEENSB_8equal_toIvEES6_EE10hipError_tPvRmT2_T3_T4_T5_mT6_T7_P12ihipStream_tbENKUlT_T0_E_clISt17integral_constantIbLb1EES13_EEDaSY_SZ_EUlSY_E_NS1_11comp_targetILNS1_3genE0ELNS1_11target_archE4294967295ELNS1_3gpuE0ELNS1_3repE0EEENS1_30default_config_static_selectorELNS0_4arch9wavefront6targetE1EEEvT1_
	.p2align	8
	.type	_ZN7rocprim17ROCPRIM_400000_NS6detail17trampoline_kernelINS0_14default_configENS1_27scan_by_key_config_selectorIj11FixedVectorIiLj1EEEEZZNS1_16scan_by_key_implILNS1_25lookback_scan_determinismE0ELb1ES3_N6thrust23THRUST_200600_302600_NS6detail15normal_iteratorINSB_10device_ptrIjEEEENSD_INSE_IS6_EEEESI_S6_NSB_4plusIvEENSB_8equal_toIvEES6_EE10hipError_tPvRmT2_T3_T4_T5_mT6_T7_P12ihipStream_tbENKUlT_T0_E_clISt17integral_constantIbLb1EES13_EEDaSY_SZ_EUlSY_E_NS1_11comp_targetILNS1_3genE0ELNS1_11target_archE4294967295ELNS1_3gpuE0ELNS1_3repE0EEENS1_30default_config_static_selectorELNS0_4arch9wavefront6targetE1EEEvT1_,@function
_ZN7rocprim17ROCPRIM_400000_NS6detail17trampoline_kernelINS0_14default_configENS1_27scan_by_key_config_selectorIj11FixedVectorIiLj1EEEEZZNS1_16scan_by_key_implILNS1_25lookback_scan_determinismE0ELb1ES3_N6thrust23THRUST_200600_302600_NS6detail15normal_iteratorINSB_10device_ptrIjEEEENSD_INSE_IS6_EEEESI_S6_NSB_4plusIvEENSB_8equal_toIvEES6_EE10hipError_tPvRmT2_T3_T4_T5_mT6_T7_P12ihipStream_tbENKUlT_T0_E_clISt17integral_constantIbLb1EES13_EEDaSY_SZ_EUlSY_E_NS1_11comp_targetILNS1_3genE0ELNS1_11target_archE4294967295ELNS1_3gpuE0ELNS1_3repE0EEENS1_30default_config_static_selectorELNS0_4arch9wavefront6targetE1EEEvT1_: ; @_ZN7rocprim17ROCPRIM_400000_NS6detail17trampoline_kernelINS0_14default_configENS1_27scan_by_key_config_selectorIj11FixedVectorIiLj1EEEEZZNS1_16scan_by_key_implILNS1_25lookback_scan_determinismE0ELb1ES3_N6thrust23THRUST_200600_302600_NS6detail15normal_iteratorINSB_10device_ptrIjEEEENSD_INSE_IS6_EEEESI_S6_NSB_4plusIvEENSB_8equal_toIvEES6_EE10hipError_tPvRmT2_T3_T4_T5_mT6_T7_P12ihipStream_tbENKUlT_T0_E_clISt17integral_constantIbLb1EES13_EEDaSY_SZ_EUlSY_E_NS1_11comp_targetILNS1_3genE0ELNS1_11target_archE4294967295ELNS1_3gpuE0ELNS1_3repE0EEENS1_30default_config_static_selectorELNS0_4arch9wavefront6targetE1EEEvT1_
; %bb.0:
	.section	.rodata,"a",@progbits
	.p2align	6, 0x0
	.amdhsa_kernel _ZN7rocprim17ROCPRIM_400000_NS6detail17trampoline_kernelINS0_14default_configENS1_27scan_by_key_config_selectorIj11FixedVectorIiLj1EEEEZZNS1_16scan_by_key_implILNS1_25lookback_scan_determinismE0ELb1ES3_N6thrust23THRUST_200600_302600_NS6detail15normal_iteratorINSB_10device_ptrIjEEEENSD_INSE_IS6_EEEESI_S6_NSB_4plusIvEENSB_8equal_toIvEES6_EE10hipError_tPvRmT2_T3_T4_T5_mT6_T7_P12ihipStream_tbENKUlT_T0_E_clISt17integral_constantIbLb1EES13_EEDaSY_SZ_EUlSY_E_NS1_11comp_targetILNS1_3genE0ELNS1_11target_archE4294967295ELNS1_3gpuE0ELNS1_3repE0EEENS1_30default_config_static_selectorELNS0_4arch9wavefront6targetE1EEEvT1_
		.amdhsa_group_segment_fixed_size 0
		.amdhsa_private_segment_fixed_size 0
		.amdhsa_kernarg_size 112
		.amdhsa_user_sgpr_count 6
		.amdhsa_user_sgpr_private_segment_buffer 1
		.amdhsa_user_sgpr_dispatch_ptr 0
		.amdhsa_user_sgpr_queue_ptr 0
		.amdhsa_user_sgpr_kernarg_segment_ptr 1
		.amdhsa_user_sgpr_dispatch_id 0
		.amdhsa_user_sgpr_flat_scratch_init 0
		.amdhsa_user_sgpr_kernarg_preload_length 0
		.amdhsa_user_sgpr_kernarg_preload_offset 0
		.amdhsa_user_sgpr_private_segment_size 0
		.amdhsa_uses_dynamic_stack 0
		.amdhsa_system_sgpr_private_segment_wavefront_offset 0
		.amdhsa_system_sgpr_workgroup_id_x 1
		.amdhsa_system_sgpr_workgroup_id_y 0
		.amdhsa_system_sgpr_workgroup_id_z 0
		.amdhsa_system_sgpr_workgroup_info 0
		.amdhsa_system_vgpr_workitem_id 0
		.amdhsa_next_free_vgpr 1
		.amdhsa_next_free_sgpr 0
		.amdhsa_accum_offset 4
		.amdhsa_reserve_vcc 0
		.amdhsa_reserve_flat_scratch 0
		.amdhsa_float_round_mode_32 0
		.amdhsa_float_round_mode_16_64 0
		.amdhsa_float_denorm_mode_32 3
		.amdhsa_float_denorm_mode_16_64 3
		.amdhsa_dx10_clamp 1
		.amdhsa_ieee_mode 1
		.amdhsa_fp16_overflow 0
		.amdhsa_tg_split 0
		.amdhsa_exception_fp_ieee_invalid_op 0
		.amdhsa_exception_fp_denorm_src 0
		.amdhsa_exception_fp_ieee_div_zero 0
		.amdhsa_exception_fp_ieee_overflow 0
		.amdhsa_exception_fp_ieee_underflow 0
		.amdhsa_exception_fp_ieee_inexact 0
		.amdhsa_exception_int_div_zero 0
	.end_amdhsa_kernel
	.section	.text._ZN7rocprim17ROCPRIM_400000_NS6detail17trampoline_kernelINS0_14default_configENS1_27scan_by_key_config_selectorIj11FixedVectorIiLj1EEEEZZNS1_16scan_by_key_implILNS1_25lookback_scan_determinismE0ELb1ES3_N6thrust23THRUST_200600_302600_NS6detail15normal_iteratorINSB_10device_ptrIjEEEENSD_INSE_IS6_EEEESI_S6_NSB_4plusIvEENSB_8equal_toIvEES6_EE10hipError_tPvRmT2_T3_T4_T5_mT6_T7_P12ihipStream_tbENKUlT_T0_E_clISt17integral_constantIbLb1EES13_EEDaSY_SZ_EUlSY_E_NS1_11comp_targetILNS1_3genE0ELNS1_11target_archE4294967295ELNS1_3gpuE0ELNS1_3repE0EEENS1_30default_config_static_selectorELNS0_4arch9wavefront6targetE1EEEvT1_,"axG",@progbits,_ZN7rocprim17ROCPRIM_400000_NS6detail17trampoline_kernelINS0_14default_configENS1_27scan_by_key_config_selectorIj11FixedVectorIiLj1EEEEZZNS1_16scan_by_key_implILNS1_25lookback_scan_determinismE0ELb1ES3_N6thrust23THRUST_200600_302600_NS6detail15normal_iteratorINSB_10device_ptrIjEEEENSD_INSE_IS6_EEEESI_S6_NSB_4plusIvEENSB_8equal_toIvEES6_EE10hipError_tPvRmT2_T3_T4_T5_mT6_T7_P12ihipStream_tbENKUlT_T0_E_clISt17integral_constantIbLb1EES13_EEDaSY_SZ_EUlSY_E_NS1_11comp_targetILNS1_3genE0ELNS1_11target_archE4294967295ELNS1_3gpuE0ELNS1_3repE0EEENS1_30default_config_static_selectorELNS0_4arch9wavefront6targetE1EEEvT1_,comdat
.Lfunc_end1920:
	.size	_ZN7rocprim17ROCPRIM_400000_NS6detail17trampoline_kernelINS0_14default_configENS1_27scan_by_key_config_selectorIj11FixedVectorIiLj1EEEEZZNS1_16scan_by_key_implILNS1_25lookback_scan_determinismE0ELb1ES3_N6thrust23THRUST_200600_302600_NS6detail15normal_iteratorINSB_10device_ptrIjEEEENSD_INSE_IS6_EEEESI_S6_NSB_4plusIvEENSB_8equal_toIvEES6_EE10hipError_tPvRmT2_T3_T4_T5_mT6_T7_P12ihipStream_tbENKUlT_T0_E_clISt17integral_constantIbLb1EES13_EEDaSY_SZ_EUlSY_E_NS1_11comp_targetILNS1_3genE0ELNS1_11target_archE4294967295ELNS1_3gpuE0ELNS1_3repE0EEENS1_30default_config_static_selectorELNS0_4arch9wavefront6targetE1EEEvT1_, .Lfunc_end1920-_ZN7rocprim17ROCPRIM_400000_NS6detail17trampoline_kernelINS0_14default_configENS1_27scan_by_key_config_selectorIj11FixedVectorIiLj1EEEEZZNS1_16scan_by_key_implILNS1_25lookback_scan_determinismE0ELb1ES3_N6thrust23THRUST_200600_302600_NS6detail15normal_iteratorINSB_10device_ptrIjEEEENSD_INSE_IS6_EEEESI_S6_NSB_4plusIvEENSB_8equal_toIvEES6_EE10hipError_tPvRmT2_T3_T4_T5_mT6_T7_P12ihipStream_tbENKUlT_T0_E_clISt17integral_constantIbLb1EES13_EEDaSY_SZ_EUlSY_E_NS1_11comp_targetILNS1_3genE0ELNS1_11target_archE4294967295ELNS1_3gpuE0ELNS1_3repE0EEENS1_30default_config_static_selectorELNS0_4arch9wavefront6targetE1EEEvT1_
                                        ; -- End function
	.section	.AMDGPU.csdata,"",@progbits
; Kernel info:
; codeLenInByte = 0
; NumSgprs: 4
; NumVgprs: 0
; NumAgprs: 0
; TotalNumVgprs: 0
; ScratchSize: 0
; MemoryBound: 0
; FloatMode: 240
; IeeeMode: 1
; LDSByteSize: 0 bytes/workgroup (compile time only)
; SGPRBlocks: 0
; VGPRBlocks: 0
; NumSGPRsForWavesPerEU: 4
; NumVGPRsForWavesPerEU: 1
; AccumOffset: 4
; Occupancy: 8
; WaveLimiterHint : 0
; COMPUTE_PGM_RSRC2:SCRATCH_EN: 0
; COMPUTE_PGM_RSRC2:USER_SGPR: 6
; COMPUTE_PGM_RSRC2:TRAP_HANDLER: 0
; COMPUTE_PGM_RSRC2:TGID_X_EN: 1
; COMPUTE_PGM_RSRC2:TGID_Y_EN: 0
; COMPUTE_PGM_RSRC2:TGID_Z_EN: 0
; COMPUTE_PGM_RSRC2:TIDIG_COMP_CNT: 0
; COMPUTE_PGM_RSRC3_GFX90A:ACCUM_OFFSET: 0
; COMPUTE_PGM_RSRC3_GFX90A:TG_SPLIT: 0
	.section	.text._ZN7rocprim17ROCPRIM_400000_NS6detail17trampoline_kernelINS0_14default_configENS1_27scan_by_key_config_selectorIj11FixedVectorIiLj1EEEEZZNS1_16scan_by_key_implILNS1_25lookback_scan_determinismE0ELb1ES3_N6thrust23THRUST_200600_302600_NS6detail15normal_iteratorINSB_10device_ptrIjEEEENSD_INSE_IS6_EEEESI_S6_NSB_4plusIvEENSB_8equal_toIvEES6_EE10hipError_tPvRmT2_T3_T4_T5_mT6_T7_P12ihipStream_tbENKUlT_T0_E_clISt17integral_constantIbLb1EES13_EEDaSY_SZ_EUlSY_E_NS1_11comp_targetILNS1_3genE10ELNS1_11target_archE1201ELNS1_3gpuE5ELNS1_3repE0EEENS1_30default_config_static_selectorELNS0_4arch9wavefront6targetE1EEEvT1_,"axG",@progbits,_ZN7rocprim17ROCPRIM_400000_NS6detail17trampoline_kernelINS0_14default_configENS1_27scan_by_key_config_selectorIj11FixedVectorIiLj1EEEEZZNS1_16scan_by_key_implILNS1_25lookback_scan_determinismE0ELb1ES3_N6thrust23THRUST_200600_302600_NS6detail15normal_iteratorINSB_10device_ptrIjEEEENSD_INSE_IS6_EEEESI_S6_NSB_4plusIvEENSB_8equal_toIvEES6_EE10hipError_tPvRmT2_T3_T4_T5_mT6_T7_P12ihipStream_tbENKUlT_T0_E_clISt17integral_constantIbLb1EES13_EEDaSY_SZ_EUlSY_E_NS1_11comp_targetILNS1_3genE10ELNS1_11target_archE1201ELNS1_3gpuE5ELNS1_3repE0EEENS1_30default_config_static_selectorELNS0_4arch9wavefront6targetE1EEEvT1_,comdat
	.protected	_ZN7rocprim17ROCPRIM_400000_NS6detail17trampoline_kernelINS0_14default_configENS1_27scan_by_key_config_selectorIj11FixedVectorIiLj1EEEEZZNS1_16scan_by_key_implILNS1_25lookback_scan_determinismE0ELb1ES3_N6thrust23THRUST_200600_302600_NS6detail15normal_iteratorINSB_10device_ptrIjEEEENSD_INSE_IS6_EEEESI_S6_NSB_4plusIvEENSB_8equal_toIvEES6_EE10hipError_tPvRmT2_T3_T4_T5_mT6_T7_P12ihipStream_tbENKUlT_T0_E_clISt17integral_constantIbLb1EES13_EEDaSY_SZ_EUlSY_E_NS1_11comp_targetILNS1_3genE10ELNS1_11target_archE1201ELNS1_3gpuE5ELNS1_3repE0EEENS1_30default_config_static_selectorELNS0_4arch9wavefront6targetE1EEEvT1_ ; -- Begin function _ZN7rocprim17ROCPRIM_400000_NS6detail17trampoline_kernelINS0_14default_configENS1_27scan_by_key_config_selectorIj11FixedVectorIiLj1EEEEZZNS1_16scan_by_key_implILNS1_25lookback_scan_determinismE0ELb1ES3_N6thrust23THRUST_200600_302600_NS6detail15normal_iteratorINSB_10device_ptrIjEEEENSD_INSE_IS6_EEEESI_S6_NSB_4plusIvEENSB_8equal_toIvEES6_EE10hipError_tPvRmT2_T3_T4_T5_mT6_T7_P12ihipStream_tbENKUlT_T0_E_clISt17integral_constantIbLb1EES13_EEDaSY_SZ_EUlSY_E_NS1_11comp_targetILNS1_3genE10ELNS1_11target_archE1201ELNS1_3gpuE5ELNS1_3repE0EEENS1_30default_config_static_selectorELNS0_4arch9wavefront6targetE1EEEvT1_
	.globl	_ZN7rocprim17ROCPRIM_400000_NS6detail17trampoline_kernelINS0_14default_configENS1_27scan_by_key_config_selectorIj11FixedVectorIiLj1EEEEZZNS1_16scan_by_key_implILNS1_25lookback_scan_determinismE0ELb1ES3_N6thrust23THRUST_200600_302600_NS6detail15normal_iteratorINSB_10device_ptrIjEEEENSD_INSE_IS6_EEEESI_S6_NSB_4plusIvEENSB_8equal_toIvEES6_EE10hipError_tPvRmT2_T3_T4_T5_mT6_T7_P12ihipStream_tbENKUlT_T0_E_clISt17integral_constantIbLb1EES13_EEDaSY_SZ_EUlSY_E_NS1_11comp_targetILNS1_3genE10ELNS1_11target_archE1201ELNS1_3gpuE5ELNS1_3repE0EEENS1_30default_config_static_selectorELNS0_4arch9wavefront6targetE1EEEvT1_
	.p2align	8
	.type	_ZN7rocprim17ROCPRIM_400000_NS6detail17trampoline_kernelINS0_14default_configENS1_27scan_by_key_config_selectorIj11FixedVectorIiLj1EEEEZZNS1_16scan_by_key_implILNS1_25lookback_scan_determinismE0ELb1ES3_N6thrust23THRUST_200600_302600_NS6detail15normal_iteratorINSB_10device_ptrIjEEEENSD_INSE_IS6_EEEESI_S6_NSB_4plusIvEENSB_8equal_toIvEES6_EE10hipError_tPvRmT2_T3_T4_T5_mT6_T7_P12ihipStream_tbENKUlT_T0_E_clISt17integral_constantIbLb1EES13_EEDaSY_SZ_EUlSY_E_NS1_11comp_targetILNS1_3genE10ELNS1_11target_archE1201ELNS1_3gpuE5ELNS1_3repE0EEENS1_30default_config_static_selectorELNS0_4arch9wavefront6targetE1EEEvT1_,@function
_ZN7rocprim17ROCPRIM_400000_NS6detail17trampoline_kernelINS0_14default_configENS1_27scan_by_key_config_selectorIj11FixedVectorIiLj1EEEEZZNS1_16scan_by_key_implILNS1_25lookback_scan_determinismE0ELb1ES3_N6thrust23THRUST_200600_302600_NS6detail15normal_iteratorINSB_10device_ptrIjEEEENSD_INSE_IS6_EEEESI_S6_NSB_4plusIvEENSB_8equal_toIvEES6_EE10hipError_tPvRmT2_T3_T4_T5_mT6_T7_P12ihipStream_tbENKUlT_T0_E_clISt17integral_constantIbLb1EES13_EEDaSY_SZ_EUlSY_E_NS1_11comp_targetILNS1_3genE10ELNS1_11target_archE1201ELNS1_3gpuE5ELNS1_3repE0EEENS1_30default_config_static_selectorELNS0_4arch9wavefront6targetE1EEEvT1_: ; @_ZN7rocprim17ROCPRIM_400000_NS6detail17trampoline_kernelINS0_14default_configENS1_27scan_by_key_config_selectorIj11FixedVectorIiLj1EEEEZZNS1_16scan_by_key_implILNS1_25lookback_scan_determinismE0ELb1ES3_N6thrust23THRUST_200600_302600_NS6detail15normal_iteratorINSB_10device_ptrIjEEEENSD_INSE_IS6_EEEESI_S6_NSB_4plusIvEENSB_8equal_toIvEES6_EE10hipError_tPvRmT2_T3_T4_T5_mT6_T7_P12ihipStream_tbENKUlT_T0_E_clISt17integral_constantIbLb1EES13_EEDaSY_SZ_EUlSY_E_NS1_11comp_targetILNS1_3genE10ELNS1_11target_archE1201ELNS1_3gpuE5ELNS1_3repE0EEENS1_30default_config_static_selectorELNS0_4arch9wavefront6targetE1EEEvT1_
; %bb.0:
	.section	.rodata,"a",@progbits
	.p2align	6, 0x0
	.amdhsa_kernel _ZN7rocprim17ROCPRIM_400000_NS6detail17trampoline_kernelINS0_14default_configENS1_27scan_by_key_config_selectorIj11FixedVectorIiLj1EEEEZZNS1_16scan_by_key_implILNS1_25lookback_scan_determinismE0ELb1ES3_N6thrust23THRUST_200600_302600_NS6detail15normal_iteratorINSB_10device_ptrIjEEEENSD_INSE_IS6_EEEESI_S6_NSB_4plusIvEENSB_8equal_toIvEES6_EE10hipError_tPvRmT2_T3_T4_T5_mT6_T7_P12ihipStream_tbENKUlT_T0_E_clISt17integral_constantIbLb1EES13_EEDaSY_SZ_EUlSY_E_NS1_11comp_targetILNS1_3genE10ELNS1_11target_archE1201ELNS1_3gpuE5ELNS1_3repE0EEENS1_30default_config_static_selectorELNS0_4arch9wavefront6targetE1EEEvT1_
		.amdhsa_group_segment_fixed_size 0
		.amdhsa_private_segment_fixed_size 0
		.amdhsa_kernarg_size 112
		.amdhsa_user_sgpr_count 6
		.amdhsa_user_sgpr_private_segment_buffer 1
		.amdhsa_user_sgpr_dispatch_ptr 0
		.amdhsa_user_sgpr_queue_ptr 0
		.amdhsa_user_sgpr_kernarg_segment_ptr 1
		.amdhsa_user_sgpr_dispatch_id 0
		.amdhsa_user_sgpr_flat_scratch_init 0
		.amdhsa_user_sgpr_kernarg_preload_length 0
		.amdhsa_user_sgpr_kernarg_preload_offset 0
		.amdhsa_user_sgpr_private_segment_size 0
		.amdhsa_uses_dynamic_stack 0
		.amdhsa_system_sgpr_private_segment_wavefront_offset 0
		.amdhsa_system_sgpr_workgroup_id_x 1
		.amdhsa_system_sgpr_workgroup_id_y 0
		.amdhsa_system_sgpr_workgroup_id_z 0
		.amdhsa_system_sgpr_workgroup_info 0
		.amdhsa_system_vgpr_workitem_id 0
		.amdhsa_next_free_vgpr 1
		.amdhsa_next_free_sgpr 0
		.amdhsa_accum_offset 4
		.amdhsa_reserve_vcc 0
		.amdhsa_reserve_flat_scratch 0
		.amdhsa_float_round_mode_32 0
		.amdhsa_float_round_mode_16_64 0
		.amdhsa_float_denorm_mode_32 3
		.amdhsa_float_denorm_mode_16_64 3
		.amdhsa_dx10_clamp 1
		.amdhsa_ieee_mode 1
		.amdhsa_fp16_overflow 0
		.amdhsa_tg_split 0
		.amdhsa_exception_fp_ieee_invalid_op 0
		.amdhsa_exception_fp_denorm_src 0
		.amdhsa_exception_fp_ieee_div_zero 0
		.amdhsa_exception_fp_ieee_overflow 0
		.amdhsa_exception_fp_ieee_underflow 0
		.amdhsa_exception_fp_ieee_inexact 0
		.amdhsa_exception_int_div_zero 0
	.end_amdhsa_kernel
	.section	.text._ZN7rocprim17ROCPRIM_400000_NS6detail17trampoline_kernelINS0_14default_configENS1_27scan_by_key_config_selectorIj11FixedVectorIiLj1EEEEZZNS1_16scan_by_key_implILNS1_25lookback_scan_determinismE0ELb1ES3_N6thrust23THRUST_200600_302600_NS6detail15normal_iteratorINSB_10device_ptrIjEEEENSD_INSE_IS6_EEEESI_S6_NSB_4plusIvEENSB_8equal_toIvEES6_EE10hipError_tPvRmT2_T3_T4_T5_mT6_T7_P12ihipStream_tbENKUlT_T0_E_clISt17integral_constantIbLb1EES13_EEDaSY_SZ_EUlSY_E_NS1_11comp_targetILNS1_3genE10ELNS1_11target_archE1201ELNS1_3gpuE5ELNS1_3repE0EEENS1_30default_config_static_selectorELNS0_4arch9wavefront6targetE1EEEvT1_,"axG",@progbits,_ZN7rocprim17ROCPRIM_400000_NS6detail17trampoline_kernelINS0_14default_configENS1_27scan_by_key_config_selectorIj11FixedVectorIiLj1EEEEZZNS1_16scan_by_key_implILNS1_25lookback_scan_determinismE0ELb1ES3_N6thrust23THRUST_200600_302600_NS6detail15normal_iteratorINSB_10device_ptrIjEEEENSD_INSE_IS6_EEEESI_S6_NSB_4plusIvEENSB_8equal_toIvEES6_EE10hipError_tPvRmT2_T3_T4_T5_mT6_T7_P12ihipStream_tbENKUlT_T0_E_clISt17integral_constantIbLb1EES13_EEDaSY_SZ_EUlSY_E_NS1_11comp_targetILNS1_3genE10ELNS1_11target_archE1201ELNS1_3gpuE5ELNS1_3repE0EEENS1_30default_config_static_selectorELNS0_4arch9wavefront6targetE1EEEvT1_,comdat
.Lfunc_end1921:
	.size	_ZN7rocprim17ROCPRIM_400000_NS6detail17trampoline_kernelINS0_14default_configENS1_27scan_by_key_config_selectorIj11FixedVectorIiLj1EEEEZZNS1_16scan_by_key_implILNS1_25lookback_scan_determinismE0ELb1ES3_N6thrust23THRUST_200600_302600_NS6detail15normal_iteratorINSB_10device_ptrIjEEEENSD_INSE_IS6_EEEESI_S6_NSB_4plusIvEENSB_8equal_toIvEES6_EE10hipError_tPvRmT2_T3_T4_T5_mT6_T7_P12ihipStream_tbENKUlT_T0_E_clISt17integral_constantIbLb1EES13_EEDaSY_SZ_EUlSY_E_NS1_11comp_targetILNS1_3genE10ELNS1_11target_archE1201ELNS1_3gpuE5ELNS1_3repE0EEENS1_30default_config_static_selectorELNS0_4arch9wavefront6targetE1EEEvT1_, .Lfunc_end1921-_ZN7rocprim17ROCPRIM_400000_NS6detail17trampoline_kernelINS0_14default_configENS1_27scan_by_key_config_selectorIj11FixedVectorIiLj1EEEEZZNS1_16scan_by_key_implILNS1_25lookback_scan_determinismE0ELb1ES3_N6thrust23THRUST_200600_302600_NS6detail15normal_iteratorINSB_10device_ptrIjEEEENSD_INSE_IS6_EEEESI_S6_NSB_4plusIvEENSB_8equal_toIvEES6_EE10hipError_tPvRmT2_T3_T4_T5_mT6_T7_P12ihipStream_tbENKUlT_T0_E_clISt17integral_constantIbLb1EES13_EEDaSY_SZ_EUlSY_E_NS1_11comp_targetILNS1_3genE10ELNS1_11target_archE1201ELNS1_3gpuE5ELNS1_3repE0EEENS1_30default_config_static_selectorELNS0_4arch9wavefront6targetE1EEEvT1_
                                        ; -- End function
	.section	.AMDGPU.csdata,"",@progbits
; Kernel info:
; codeLenInByte = 0
; NumSgprs: 4
; NumVgprs: 0
; NumAgprs: 0
; TotalNumVgprs: 0
; ScratchSize: 0
; MemoryBound: 0
; FloatMode: 240
; IeeeMode: 1
; LDSByteSize: 0 bytes/workgroup (compile time only)
; SGPRBlocks: 0
; VGPRBlocks: 0
; NumSGPRsForWavesPerEU: 4
; NumVGPRsForWavesPerEU: 1
; AccumOffset: 4
; Occupancy: 8
; WaveLimiterHint : 0
; COMPUTE_PGM_RSRC2:SCRATCH_EN: 0
; COMPUTE_PGM_RSRC2:USER_SGPR: 6
; COMPUTE_PGM_RSRC2:TRAP_HANDLER: 0
; COMPUTE_PGM_RSRC2:TGID_X_EN: 1
; COMPUTE_PGM_RSRC2:TGID_Y_EN: 0
; COMPUTE_PGM_RSRC2:TGID_Z_EN: 0
; COMPUTE_PGM_RSRC2:TIDIG_COMP_CNT: 0
; COMPUTE_PGM_RSRC3_GFX90A:ACCUM_OFFSET: 0
; COMPUTE_PGM_RSRC3_GFX90A:TG_SPLIT: 0
	.section	.text._ZN7rocprim17ROCPRIM_400000_NS6detail17trampoline_kernelINS0_14default_configENS1_27scan_by_key_config_selectorIj11FixedVectorIiLj1EEEEZZNS1_16scan_by_key_implILNS1_25lookback_scan_determinismE0ELb1ES3_N6thrust23THRUST_200600_302600_NS6detail15normal_iteratorINSB_10device_ptrIjEEEENSD_INSE_IS6_EEEESI_S6_NSB_4plusIvEENSB_8equal_toIvEES6_EE10hipError_tPvRmT2_T3_T4_T5_mT6_T7_P12ihipStream_tbENKUlT_T0_E_clISt17integral_constantIbLb1EES13_EEDaSY_SZ_EUlSY_E_NS1_11comp_targetILNS1_3genE5ELNS1_11target_archE942ELNS1_3gpuE9ELNS1_3repE0EEENS1_30default_config_static_selectorELNS0_4arch9wavefront6targetE1EEEvT1_,"axG",@progbits,_ZN7rocprim17ROCPRIM_400000_NS6detail17trampoline_kernelINS0_14default_configENS1_27scan_by_key_config_selectorIj11FixedVectorIiLj1EEEEZZNS1_16scan_by_key_implILNS1_25lookback_scan_determinismE0ELb1ES3_N6thrust23THRUST_200600_302600_NS6detail15normal_iteratorINSB_10device_ptrIjEEEENSD_INSE_IS6_EEEESI_S6_NSB_4plusIvEENSB_8equal_toIvEES6_EE10hipError_tPvRmT2_T3_T4_T5_mT6_T7_P12ihipStream_tbENKUlT_T0_E_clISt17integral_constantIbLb1EES13_EEDaSY_SZ_EUlSY_E_NS1_11comp_targetILNS1_3genE5ELNS1_11target_archE942ELNS1_3gpuE9ELNS1_3repE0EEENS1_30default_config_static_selectorELNS0_4arch9wavefront6targetE1EEEvT1_,comdat
	.protected	_ZN7rocprim17ROCPRIM_400000_NS6detail17trampoline_kernelINS0_14default_configENS1_27scan_by_key_config_selectorIj11FixedVectorIiLj1EEEEZZNS1_16scan_by_key_implILNS1_25lookback_scan_determinismE0ELb1ES3_N6thrust23THRUST_200600_302600_NS6detail15normal_iteratorINSB_10device_ptrIjEEEENSD_INSE_IS6_EEEESI_S6_NSB_4plusIvEENSB_8equal_toIvEES6_EE10hipError_tPvRmT2_T3_T4_T5_mT6_T7_P12ihipStream_tbENKUlT_T0_E_clISt17integral_constantIbLb1EES13_EEDaSY_SZ_EUlSY_E_NS1_11comp_targetILNS1_3genE5ELNS1_11target_archE942ELNS1_3gpuE9ELNS1_3repE0EEENS1_30default_config_static_selectorELNS0_4arch9wavefront6targetE1EEEvT1_ ; -- Begin function _ZN7rocprim17ROCPRIM_400000_NS6detail17trampoline_kernelINS0_14default_configENS1_27scan_by_key_config_selectorIj11FixedVectorIiLj1EEEEZZNS1_16scan_by_key_implILNS1_25lookback_scan_determinismE0ELb1ES3_N6thrust23THRUST_200600_302600_NS6detail15normal_iteratorINSB_10device_ptrIjEEEENSD_INSE_IS6_EEEESI_S6_NSB_4plusIvEENSB_8equal_toIvEES6_EE10hipError_tPvRmT2_T3_T4_T5_mT6_T7_P12ihipStream_tbENKUlT_T0_E_clISt17integral_constantIbLb1EES13_EEDaSY_SZ_EUlSY_E_NS1_11comp_targetILNS1_3genE5ELNS1_11target_archE942ELNS1_3gpuE9ELNS1_3repE0EEENS1_30default_config_static_selectorELNS0_4arch9wavefront6targetE1EEEvT1_
	.globl	_ZN7rocprim17ROCPRIM_400000_NS6detail17trampoline_kernelINS0_14default_configENS1_27scan_by_key_config_selectorIj11FixedVectorIiLj1EEEEZZNS1_16scan_by_key_implILNS1_25lookback_scan_determinismE0ELb1ES3_N6thrust23THRUST_200600_302600_NS6detail15normal_iteratorINSB_10device_ptrIjEEEENSD_INSE_IS6_EEEESI_S6_NSB_4plusIvEENSB_8equal_toIvEES6_EE10hipError_tPvRmT2_T3_T4_T5_mT6_T7_P12ihipStream_tbENKUlT_T0_E_clISt17integral_constantIbLb1EES13_EEDaSY_SZ_EUlSY_E_NS1_11comp_targetILNS1_3genE5ELNS1_11target_archE942ELNS1_3gpuE9ELNS1_3repE0EEENS1_30default_config_static_selectorELNS0_4arch9wavefront6targetE1EEEvT1_
	.p2align	8
	.type	_ZN7rocprim17ROCPRIM_400000_NS6detail17trampoline_kernelINS0_14default_configENS1_27scan_by_key_config_selectorIj11FixedVectorIiLj1EEEEZZNS1_16scan_by_key_implILNS1_25lookback_scan_determinismE0ELb1ES3_N6thrust23THRUST_200600_302600_NS6detail15normal_iteratorINSB_10device_ptrIjEEEENSD_INSE_IS6_EEEESI_S6_NSB_4plusIvEENSB_8equal_toIvEES6_EE10hipError_tPvRmT2_T3_T4_T5_mT6_T7_P12ihipStream_tbENKUlT_T0_E_clISt17integral_constantIbLb1EES13_EEDaSY_SZ_EUlSY_E_NS1_11comp_targetILNS1_3genE5ELNS1_11target_archE942ELNS1_3gpuE9ELNS1_3repE0EEENS1_30default_config_static_selectorELNS0_4arch9wavefront6targetE1EEEvT1_,@function
_ZN7rocprim17ROCPRIM_400000_NS6detail17trampoline_kernelINS0_14default_configENS1_27scan_by_key_config_selectorIj11FixedVectorIiLj1EEEEZZNS1_16scan_by_key_implILNS1_25lookback_scan_determinismE0ELb1ES3_N6thrust23THRUST_200600_302600_NS6detail15normal_iteratorINSB_10device_ptrIjEEEENSD_INSE_IS6_EEEESI_S6_NSB_4plusIvEENSB_8equal_toIvEES6_EE10hipError_tPvRmT2_T3_T4_T5_mT6_T7_P12ihipStream_tbENKUlT_T0_E_clISt17integral_constantIbLb1EES13_EEDaSY_SZ_EUlSY_E_NS1_11comp_targetILNS1_3genE5ELNS1_11target_archE942ELNS1_3gpuE9ELNS1_3repE0EEENS1_30default_config_static_selectorELNS0_4arch9wavefront6targetE1EEEvT1_: ; @_ZN7rocprim17ROCPRIM_400000_NS6detail17trampoline_kernelINS0_14default_configENS1_27scan_by_key_config_selectorIj11FixedVectorIiLj1EEEEZZNS1_16scan_by_key_implILNS1_25lookback_scan_determinismE0ELb1ES3_N6thrust23THRUST_200600_302600_NS6detail15normal_iteratorINSB_10device_ptrIjEEEENSD_INSE_IS6_EEEESI_S6_NSB_4plusIvEENSB_8equal_toIvEES6_EE10hipError_tPvRmT2_T3_T4_T5_mT6_T7_P12ihipStream_tbENKUlT_T0_E_clISt17integral_constantIbLb1EES13_EEDaSY_SZ_EUlSY_E_NS1_11comp_targetILNS1_3genE5ELNS1_11target_archE942ELNS1_3gpuE9ELNS1_3repE0EEENS1_30default_config_static_selectorELNS0_4arch9wavefront6targetE1EEEvT1_
; %bb.0:
	.section	.rodata,"a",@progbits
	.p2align	6, 0x0
	.amdhsa_kernel _ZN7rocprim17ROCPRIM_400000_NS6detail17trampoline_kernelINS0_14default_configENS1_27scan_by_key_config_selectorIj11FixedVectorIiLj1EEEEZZNS1_16scan_by_key_implILNS1_25lookback_scan_determinismE0ELb1ES3_N6thrust23THRUST_200600_302600_NS6detail15normal_iteratorINSB_10device_ptrIjEEEENSD_INSE_IS6_EEEESI_S6_NSB_4plusIvEENSB_8equal_toIvEES6_EE10hipError_tPvRmT2_T3_T4_T5_mT6_T7_P12ihipStream_tbENKUlT_T0_E_clISt17integral_constantIbLb1EES13_EEDaSY_SZ_EUlSY_E_NS1_11comp_targetILNS1_3genE5ELNS1_11target_archE942ELNS1_3gpuE9ELNS1_3repE0EEENS1_30default_config_static_selectorELNS0_4arch9wavefront6targetE1EEEvT1_
		.amdhsa_group_segment_fixed_size 0
		.amdhsa_private_segment_fixed_size 0
		.amdhsa_kernarg_size 112
		.amdhsa_user_sgpr_count 6
		.amdhsa_user_sgpr_private_segment_buffer 1
		.amdhsa_user_sgpr_dispatch_ptr 0
		.amdhsa_user_sgpr_queue_ptr 0
		.amdhsa_user_sgpr_kernarg_segment_ptr 1
		.amdhsa_user_sgpr_dispatch_id 0
		.amdhsa_user_sgpr_flat_scratch_init 0
		.amdhsa_user_sgpr_kernarg_preload_length 0
		.amdhsa_user_sgpr_kernarg_preload_offset 0
		.amdhsa_user_sgpr_private_segment_size 0
		.amdhsa_uses_dynamic_stack 0
		.amdhsa_system_sgpr_private_segment_wavefront_offset 0
		.amdhsa_system_sgpr_workgroup_id_x 1
		.amdhsa_system_sgpr_workgroup_id_y 0
		.amdhsa_system_sgpr_workgroup_id_z 0
		.amdhsa_system_sgpr_workgroup_info 0
		.amdhsa_system_vgpr_workitem_id 0
		.amdhsa_next_free_vgpr 1
		.amdhsa_next_free_sgpr 0
		.amdhsa_accum_offset 4
		.amdhsa_reserve_vcc 0
		.amdhsa_reserve_flat_scratch 0
		.amdhsa_float_round_mode_32 0
		.amdhsa_float_round_mode_16_64 0
		.amdhsa_float_denorm_mode_32 3
		.amdhsa_float_denorm_mode_16_64 3
		.amdhsa_dx10_clamp 1
		.amdhsa_ieee_mode 1
		.amdhsa_fp16_overflow 0
		.amdhsa_tg_split 0
		.amdhsa_exception_fp_ieee_invalid_op 0
		.amdhsa_exception_fp_denorm_src 0
		.amdhsa_exception_fp_ieee_div_zero 0
		.amdhsa_exception_fp_ieee_overflow 0
		.amdhsa_exception_fp_ieee_underflow 0
		.amdhsa_exception_fp_ieee_inexact 0
		.amdhsa_exception_int_div_zero 0
	.end_amdhsa_kernel
	.section	.text._ZN7rocprim17ROCPRIM_400000_NS6detail17trampoline_kernelINS0_14default_configENS1_27scan_by_key_config_selectorIj11FixedVectorIiLj1EEEEZZNS1_16scan_by_key_implILNS1_25lookback_scan_determinismE0ELb1ES3_N6thrust23THRUST_200600_302600_NS6detail15normal_iteratorINSB_10device_ptrIjEEEENSD_INSE_IS6_EEEESI_S6_NSB_4plusIvEENSB_8equal_toIvEES6_EE10hipError_tPvRmT2_T3_T4_T5_mT6_T7_P12ihipStream_tbENKUlT_T0_E_clISt17integral_constantIbLb1EES13_EEDaSY_SZ_EUlSY_E_NS1_11comp_targetILNS1_3genE5ELNS1_11target_archE942ELNS1_3gpuE9ELNS1_3repE0EEENS1_30default_config_static_selectorELNS0_4arch9wavefront6targetE1EEEvT1_,"axG",@progbits,_ZN7rocprim17ROCPRIM_400000_NS6detail17trampoline_kernelINS0_14default_configENS1_27scan_by_key_config_selectorIj11FixedVectorIiLj1EEEEZZNS1_16scan_by_key_implILNS1_25lookback_scan_determinismE0ELb1ES3_N6thrust23THRUST_200600_302600_NS6detail15normal_iteratorINSB_10device_ptrIjEEEENSD_INSE_IS6_EEEESI_S6_NSB_4plusIvEENSB_8equal_toIvEES6_EE10hipError_tPvRmT2_T3_T4_T5_mT6_T7_P12ihipStream_tbENKUlT_T0_E_clISt17integral_constantIbLb1EES13_EEDaSY_SZ_EUlSY_E_NS1_11comp_targetILNS1_3genE5ELNS1_11target_archE942ELNS1_3gpuE9ELNS1_3repE0EEENS1_30default_config_static_selectorELNS0_4arch9wavefront6targetE1EEEvT1_,comdat
.Lfunc_end1922:
	.size	_ZN7rocprim17ROCPRIM_400000_NS6detail17trampoline_kernelINS0_14default_configENS1_27scan_by_key_config_selectorIj11FixedVectorIiLj1EEEEZZNS1_16scan_by_key_implILNS1_25lookback_scan_determinismE0ELb1ES3_N6thrust23THRUST_200600_302600_NS6detail15normal_iteratorINSB_10device_ptrIjEEEENSD_INSE_IS6_EEEESI_S6_NSB_4plusIvEENSB_8equal_toIvEES6_EE10hipError_tPvRmT2_T3_T4_T5_mT6_T7_P12ihipStream_tbENKUlT_T0_E_clISt17integral_constantIbLb1EES13_EEDaSY_SZ_EUlSY_E_NS1_11comp_targetILNS1_3genE5ELNS1_11target_archE942ELNS1_3gpuE9ELNS1_3repE0EEENS1_30default_config_static_selectorELNS0_4arch9wavefront6targetE1EEEvT1_, .Lfunc_end1922-_ZN7rocprim17ROCPRIM_400000_NS6detail17trampoline_kernelINS0_14default_configENS1_27scan_by_key_config_selectorIj11FixedVectorIiLj1EEEEZZNS1_16scan_by_key_implILNS1_25lookback_scan_determinismE0ELb1ES3_N6thrust23THRUST_200600_302600_NS6detail15normal_iteratorINSB_10device_ptrIjEEEENSD_INSE_IS6_EEEESI_S6_NSB_4plusIvEENSB_8equal_toIvEES6_EE10hipError_tPvRmT2_T3_T4_T5_mT6_T7_P12ihipStream_tbENKUlT_T0_E_clISt17integral_constantIbLb1EES13_EEDaSY_SZ_EUlSY_E_NS1_11comp_targetILNS1_3genE5ELNS1_11target_archE942ELNS1_3gpuE9ELNS1_3repE0EEENS1_30default_config_static_selectorELNS0_4arch9wavefront6targetE1EEEvT1_
                                        ; -- End function
	.section	.AMDGPU.csdata,"",@progbits
; Kernel info:
; codeLenInByte = 0
; NumSgprs: 4
; NumVgprs: 0
; NumAgprs: 0
; TotalNumVgprs: 0
; ScratchSize: 0
; MemoryBound: 0
; FloatMode: 240
; IeeeMode: 1
; LDSByteSize: 0 bytes/workgroup (compile time only)
; SGPRBlocks: 0
; VGPRBlocks: 0
; NumSGPRsForWavesPerEU: 4
; NumVGPRsForWavesPerEU: 1
; AccumOffset: 4
; Occupancy: 8
; WaveLimiterHint : 0
; COMPUTE_PGM_RSRC2:SCRATCH_EN: 0
; COMPUTE_PGM_RSRC2:USER_SGPR: 6
; COMPUTE_PGM_RSRC2:TRAP_HANDLER: 0
; COMPUTE_PGM_RSRC2:TGID_X_EN: 1
; COMPUTE_PGM_RSRC2:TGID_Y_EN: 0
; COMPUTE_PGM_RSRC2:TGID_Z_EN: 0
; COMPUTE_PGM_RSRC2:TIDIG_COMP_CNT: 0
; COMPUTE_PGM_RSRC3_GFX90A:ACCUM_OFFSET: 0
; COMPUTE_PGM_RSRC3_GFX90A:TG_SPLIT: 0
	.section	.text._ZN7rocprim17ROCPRIM_400000_NS6detail17trampoline_kernelINS0_14default_configENS1_27scan_by_key_config_selectorIj11FixedVectorIiLj1EEEEZZNS1_16scan_by_key_implILNS1_25lookback_scan_determinismE0ELb1ES3_N6thrust23THRUST_200600_302600_NS6detail15normal_iteratorINSB_10device_ptrIjEEEENSD_INSE_IS6_EEEESI_S6_NSB_4plusIvEENSB_8equal_toIvEES6_EE10hipError_tPvRmT2_T3_T4_T5_mT6_T7_P12ihipStream_tbENKUlT_T0_E_clISt17integral_constantIbLb1EES13_EEDaSY_SZ_EUlSY_E_NS1_11comp_targetILNS1_3genE4ELNS1_11target_archE910ELNS1_3gpuE8ELNS1_3repE0EEENS1_30default_config_static_selectorELNS0_4arch9wavefront6targetE1EEEvT1_,"axG",@progbits,_ZN7rocprim17ROCPRIM_400000_NS6detail17trampoline_kernelINS0_14default_configENS1_27scan_by_key_config_selectorIj11FixedVectorIiLj1EEEEZZNS1_16scan_by_key_implILNS1_25lookback_scan_determinismE0ELb1ES3_N6thrust23THRUST_200600_302600_NS6detail15normal_iteratorINSB_10device_ptrIjEEEENSD_INSE_IS6_EEEESI_S6_NSB_4plusIvEENSB_8equal_toIvEES6_EE10hipError_tPvRmT2_T3_T4_T5_mT6_T7_P12ihipStream_tbENKUlT_T0_E_clISt17integral_constantIbLb1EES13_EEDaSY_SZ_EUlSY_E_NS1_11comp_targetILNS1_3genE4ELNS1_11target_archE910ELNS1_3gpuE8ELNS1_3repE0EEENS1_30default_config_static_selectorELNS0_4arch9wavefront6targetE1EEEvT1_,comdat
	.protected	_ZN7rocprim17ROCPRIM_400000_NS6detail17trampoline_kernelINS0_14default_configENS1_27scan_by_key_config_selectorIj11FixedVectorIiLj1EEEEZZNS1_16scan_by_key_implILNS1_25lookback_scan_determinismE0ELb1ES3_N6thrust23THRUST_200600_302600_NS6detail15normal_iteratorINSB_10device_ptrIjEEEENSD_INSE_IS6_EEEESI_S6_NSB_4plusIvEENSB_8equal_toIvEES6_EE10hipError_tPvRmT2_T3_T4_T5_mT6_T7_P12ihipStream_tbENKUlT_T0_E_clISt17integral_constantIbLb1EES13_EEDaSY_SZ_EUlSY_E_NS1_11comp_targetILNS1_3genE4ELNS1_11target_archE910ELNS1_3gpuE8ELNS1_3repE0EEENS1_30default_config_static_selectorELNS0_4arch9wavefront6targetE1EEEvT1_ ; -- Begin function _ZN7rocprim17ROCPRIM_400000_NS6detail17trampoline_kernelINS0_14default_configENS1_27scan_by_key_config_selectorIj11FixedVectorIiLj1EEEEZZNS1_16scan_by_key_implILNS1_25lookback_scan_determinismE0ELb1ES3_N6thrust23THRUST_200600_302600_NS6detail15normal_iteratorINSB_10device_ptrIjEEEENSD_INSE_IS6_EEEESI_S6_NSB_4plusIvEENSB_8equal_toIvEES6_EE10hipError_tPvRmT2_T3_T4_T5_mT6_T7_P12ihipStream_tbENKUlT_T0_E_clISt17integral_constantIbLb1EES13_EEDaSY_SZ_EUlSY_E_NS1_11comp_targetILNS1_3genE4ELNS1_11target_archE910ELNS1_3gpuE8ELNS1_3repE0EEENS1_30default_config_static_selectorELNS0_4arch9wavefront6targetE1EEEvT1_
	.globl	_ZN7rocprim17ROCPRIM_400000_NS6detail17trampoline_kernelINS0_14default_configENS1_27scan_by_key_config_selectorIj11FixedVectorIiLj1EEEEZZNS1_16scan_by_key_implILNS1_25lookback_scan_determinismE0ELb1ES3_N6thrust23THRUST_200600_302600_NS6detail15normal_iteratorINSB_10device_ptrIjEEEENSD_INSE_IS6_EEEESI_S6_NSB_4plusIvEENSB_8equal_toIvEES6_EE10hipError_tPvRmT2_T3_T4_T5_mT6_T7_P12ihipStream_tbENKUlT_T0_E_clISt17integral_constantIbLb1EES13_EEDaSY_SZ_EUlSY_E_NS1_11comp_targetILNS1_3genE4ELNS1_11target_archE910ELNS1_3gpuE8ELNS1_3repE0EEENS1_30default_config_static_selectorELNS0_4arch9wavefront6targetE1EEEvT1_
	.p2align	8
	.type	_ZN7rocprim17ROCPRIM_400000_NS6detail17trampoline_kernelINS0_14default_configENS1_27scan_by_key_config_selectorIj11FixedVectorIiLj1EEEEZZNS1_16scan_by_key_implILNS1_25lookback_scan_determinismE0ELb1ES3_N6thrust23THRUST_200600_302600_NS6detail15normal_iteratorINSB_10device_ptrIjEEEENSD_INSE_IS6_EEEESI_S6_NSB_4plusIvEENSB_8equal_toIvEES6_EE10hipError_tPvRmT2_T3_T4_T5_mT6_T7_P12ihipStream_tbENKUlT_T0_E_clISt17integral_constantIbLb1EES13_EEDaSY_SZ_EUlSY_E_NS1_11comp_targetILNS1_3genE4ELNS1_11target_archE910ELNS1_3gpuE8ELNS1_3repE0EEENS1_30default_config_static_selectorELNS0_4arch9wavefront6targetE1EEEvT1_,@function
_ZN7rocprim17ROCPRIM_400000_NS6detail17trampoline_kernelINS0_14default_configENS1_27scan_by_key_config_selectorIj11FixedVectorIiLj1EEEEZZNS1_16scan_by_key_implILNS1_25lookback_scan_determinismE0ELb1ES3_N6thrust23THRUST_200600_302600_NS6detail15normal_iteratorINSB_10device_ptrIjEEEENSD_INSE_IS6_EEEESI_S6_NSB_4plusIvEENSB_8equal_toIvEES6_EE10hipError_tPvRmT2_T3_T4_T5_mT6_T7_P12ihipStream_tbENKUlT_T0_E_clISt17integral_constantIbLb1EES13_EEDaSY_SZ_EUlSY_E_NS1_11comp_targetILNS1_3genE4ELNS1_11target_archE910ELNS1_3gpuE8ELNS1_3repE0EEENS1_30default_config_static_selectorELNS0_4arch9wavefront6targetE1EEEvT1_: ; @_ZN7rocprim17ROCPRIM_400000_NS6detail17trampoline_kernelINS0_14default_configENS1_27scan_by_key_config_selectorIj11FixedVectorIiLj1EEEEZZNS1_16scan_by_key_implILNS1_25lookback_scan_determinismE0ELb1ES3_N6thrust23THRUST_200600_302600_NS6detail15normal_iteratorINSB_10device_ptrIjEEEENSD_INSE_IS6_EEEESI_S6_NSB_4plusIvEENSB_8equal_toIvEES6_EE10hipError_tPvRmT2_T3_T4_T5_mT6_T7_P12ihipStream_tbENKUlT_T0_E_clISt17integral_constantIbLb1EES13_EEDaSY_SZ_EUlSY_E_NS1_11comp_targetILNS1_3genE4ELNS1_11target_archE910ELNS1_3gpuE8ELNS1_3repE0EEENS1_30default_config_static_selectorELNS0_4arch9wavefront6targetE1EEEvT1_
; %bb.0:
	s_load_dword s54, s[4:5], 0x20
	s_load_dwordx4 s[44:47], s[4:5], 0x28
	s_load_dwordx2 s[52:53], s[4:5], 0x38
	v_cmp_eq_u32_e64 s[0:1], 0, v0
	s_and_saveexec_b64 s[2:3], s[0:1]
	s_cbranch_execz .LBB1923_4
; %bb.1:
	s_mov_b64 s[8:9], exec
	v_mbcnt_lo_u32_b32 v1, s8, 0
	v_mbcnt_hi_u32_b32 v1, s9, v1
	v_cmp_eq_u32_e32 vcc, 0, v1
                                        ; implicit-def: $vgpr2
	s_and_saveexec_b64 s[6:7], vcc
	s_cbranch_execz .LBB1923_3
; %bb.2:
	s_load_dwordx2 s[10:11], s[4:5], 0x68
	s_bcnt1_i32_b64 s8, s[8:9]
	v_mov_b32_e32 v2, 0
	v_mov_b32_e32 v3, s8
	s_waitcnt lgkmcnt(0)
	global_atomic_add v2, v2, v3, s[10:11] glc
.LBB1923_3:
	s_or_b64 exec, exec, s[6:7]
	s_waitcnt vmcnt(0)
	v_readfirstlane_b32 s6, v2
	v_add_u32_e32 v1, s6, v1
	v_mov_b32_e32 v2, 0
	ds_write_b32 v2, v1
.LBB1923_4:
	s_or_b64 exec, exec, s[2:3]
	s_load_dwordx8 s[36:43], s[4:5], 0x0
	s_load_dword s2, s[4:5], 0x40
	s_load_dwordx4 s[48:51], s[4:5], 0x48
	v_mov_b32_e32 v3, 0
	s_waitcnt lgkmcnt(0)
	s_lshl_b64 s[34:35], s[38:39], 2
	s_barrier
	ds_read_b32 v4, v3
	s_add_u32 s3, s36, s34
	s_addc_u32 s4, s37, s35
	s_add_u32 s5, s40, s34
	s_mul_i32 s7, s53, s2
	s_mul_hi_u32 s8, s52, s2
	s_addc_u32 s6, s41, s35
	s_add_i32 s7, s8, s7
	s_movk_i32 s8, 0xe00
	s_waitcnt lgkmcnt(0)
	v_mul_lo_u32 v2, v4, s8
	v_lshlrev_b64 v[38:39], 2, v[2:3]
	v_mov_b32_e32 v1, s4
	v_add_co_u32_e32 v42, vcc, s3, v38
	v_addc_co_u32_e32 v43, vcc, v1, v39, vcc
	v_mov_b32_e32 v2, s6
	v_add_co_u32_e32 v1, vcc, s5, v38
	s_mul_i32 s2, s52, s2
	v_addc_co_u32_e32 v48, vcc, v2, v39, vcc
	v_mov_b32_e32 v3, s7
	v_add_co_u32_e32 v2, vcc, s2, v4
	s_add_u32 s4, s48, -1
	v_addc_co_u32_e32 v3, vcc, 0, v3, vcc
	s_addc_u32 s5, s49, -1
	v_cmp_le_u64_e64 s[2:3], s[4:5], v[2:3]
	v_readfirstlane_b32 s47, v4
	s_mov_b64 s[12:13], -1
	s_and_b64 vcc, exec, s[2:3]
	s_mul_i32 s33, s4, 0xfffff200
	s_barrier
	s_barrier
	s_cbranch_vccz .LBB1923_92
; %bb.5:
	flat_load_dword v13, v[42:43]
	s_add_i32 s40, s33, s46
	v_cmp_gt_u32_e32 vcc, s40, v0
	s_waitcnt vmcnt(0) lgkmcnt(0)
	v_mov_b32_e32 v14, v13
	s_and_saveexec_b64 s[6:7], vcc
	s_cbranch_execz .LBB1923_7
; %bb.6:
	v_lshlrev_b32_e32 v2, 2, v0
	v_add_co_u32_e64 v2, s[4:5], v42, v2
	v_addc_co_u32_e64 v3, s[4:5], 0, v43, s[4:5]
	flat_load_dword v14, v[2:3]
.LBB1923_7:
	s_or_b64 exec, exec, s[6:7]
	v_or_b32_e32 v2, 0x100, v0
	v_cmp_gt_u32_e64 s[4:5], s40, v2
	v_mov_b32_e32 v15, v13
	s_and_saveexec_b64 s[8:9], s[4:5]
	s_cbranch_execz .LBB1923_9
; %bb.8:
	v_lshlrev_b32_e32 v2, 2, v0
	v_add_co_u32_e64 v2, s[6:7], v42, v2
	v_addc_co_u32_e64 v3, s[6:7], 0, v43, s[6:7]
	flat_load_dword v15, v[2:3] offset:1024
.LBB1923_9:
	s_or_b64 exec, exec, s[8:9]
	v_or_b32_e32 v2, 0x200, v0
	v_cmp_gt_u32_e64 s[6:7], s40, v2
	v_mov_b32_e32 v16, v13
	s_and_saveexec_b64 s[10:11], s[6:7]
	s_cbranch_execz .LBB1923_11
; %bb.10:
	v_lshlrev_b32_e32 v2, 2, v0
	v_add_co_u32_e64 v2, s[8:9], v42, v2
	v_addc_co_u32_e64 v3, s[8:9], 0, v43, s[8:9]
	flat_load_dword v16, v[2:3] offset:2048
.LBB1923_11:
	;; [unrolled: 12-line block ×3, first 2 shown]
	s_or_b64 exec, exec, s[12:13]
	v_or_b32_e32 v2, 0x400, v0
	v_cmp_gt_u32_e64 s[10:11], s40, v2
	v_mov_b32_e32 v18, v13
	s_and_saveexec_b64 s[14:15], s[10:11]
	s_cbranch_execz .LBB1923_15
; %bb.14:
	v_lshlrev_b32_e32 v3, 2, v2
	v_add_co_u32_e64 v4, s[12:13], v42, v3
	v_addc_co_u32_e64 v5, s[12:13], 0, v43, s[12:13]
	flat_load_dword v18, v[4:5]
.LBB1923_15:
	s_or_b64 exec, exec, s[14:15]
	v_or_b32_e32 v3, 0x500, v0
	v_cmp_gt_u32_e64 s[12:13], s40, v3
	v_mov_b32_e32 v19, v13
	s_and_saveexec_b64 s[16:17], s[12:13]
	s_cbranch_execz .LBB1923_17
; %bb.16:
	v_lshlrev_b32_e32 v4, 2, v3
	v_add_co_u32_e64 v4, s[14:15], v42, v4
	v_addc_co_u32_e64 v5, s[14:15], 0, v43, s[14:15]
	flat_load_dword v19, v[4:5]
.LBB1923_17:
	;; [unrolled: 12-line block ×9, first 2 shown]
	s_or_b64 exec, exec, s[30:31]
	v_or_b32_e32 v11, 0xd00, v0
	v_cmp_gt_u32_e64 s[28:29], s40, v11
	s_and_saveexec_b64 s[36:37], s[28:29]
	s_cbranch_execz .LBB1923_33
; %bb.32:
	v_lshlrev_b32_e32 v12, 2, v11
	v_add_co_u32_e64 v12, s[30:31], v42, v12
	v_addc_co_u32_e64 v13, s[30:31], 0, v43, s[30:31]
	flat_load_dword v13, v[12:13]
.LBB1923_33:
	s_or_b64 exec, exec, s[36:37]
	v_lshlrev_b32_e32 v12, 2, v0
	s_waitcnt vmcnt(0) lgkmcnt(0)
	ds_write2st64_b32 v12, v14, v15 offset1:4
	ds_write2st64_b32 v12, v16, v17 offset0:8 offset1:12
	ds_write2st64_b32 v12, v18, v19 offset0:16 offset1:20
	;; [unrolled: 1-line block ×6, first 2 shown]
	s_waitcnt lgkmcnt(0)
	s_barrier
	flat_load_dword v49, v[42:43]
	v_mad_u32_u24 v50, v0, 52, v12
	s_movk_i32 s30, 0xffcc
	ds_read2_b64 v[34:37], v50 offset1:1
	ds_read2_b64 v[30:33], v50 offset0:2 offset1:3
	ds_read2_b64 v[26:29], v50 offset0:4 offset1:5
	ds_read_b64 v[44:45], v50 offset:48
	v_mad_i32_i24 v13, v0, s30, v50
	s_movk_i32 s30, 0xff
	v_cmp_ne_u32_e64 s[30:31], s30, v0
	s_waitcnt lgkmcnt(0)
	ds_write_b32 v13, v34 offset:15360
	s_waitcnt lgkmcnt(0)
	s_barrier
	s_and_saveexec_b64 s[36:37], s[30:31]
	s_cbranch_execz .LBB1923_35
; %bb.34:
	s_waitcnt vmcnt(0)
	ds_read_b32 v49, v12 offset:15364
.LBB1923_35:
	s_or_b64 exec, exec, s[36:37]
	v_mov_b32_e32 v13, 0
	v_mov_b32_e32 v14, 0
	s_waitcnt lgkmcnt(0)
	s_barrier
	s_and_saveexec_b64 s[30:31], vcc
	s_cbranch_execz .LBB1923_37
; %bb.36:
	v_add_co_u32_e32 v14, vcc, v1, v12
	v_addc_co_u32_e32 v15, vcc, 0, v48, vcc
	flat_load_dword v14, v[14:15]
.LBB1923_37:
	s_or_b64 exec, exec, s[30:31]
	s_and_saveexec_b64 s[30:31], s[4:5]
	s_cbranch_execz .LBB1923_39
; %bb.38:
	v_add_co_u32_e32 v16, vcc, v1, v12
	v_addc_co_u32_e32 v17, vcc, 0, v48, vcc
	flat_load_dword v13, v[16:17] offset:1024
.LBB1923_39:
	s_or_b64 exec, exec, s[30:31]
	v_mov_b32_e32 v15, 0
	v_mov_b32_e32 v16, 0
	s_and_saveexec_b64 s[4:5], s[6:7]
	s_cbranch_execz .LBB1923_41
; %bb.40:
	v_add_co_u32_e32 v16, vcc, v1, v12
	v_addc_co_u32_e32 v17, vcc, 0, v48, vcc
	flat_load_dword v16, v[16:17] offset:2048
.LBB1923_41:
	s_or_b64 exec, exec, s[4:5]
	s_and_saveexec_b64 s[4:5], s[8:9]
	s_cbranch_execz .LBB1923_43
; %bb.42:
	v_add_co_u32_e32 v18, vcc, v1, v12
	v_addc_co_u32_e32 v19, vcc, 0, v48, vcc
	flat_load_dword v15, v[18:19] offset:3072
.LBB1923_43:
	s_or_b64 exec, exec, s[4:5]
	v_mov_b32_e32 v17, 0
	v_mov_b32_e32 v18, 0
	s_and_saveexec_b64 s[4:5], s[10:11]
	s_cbranch_execz .LBB1923_45
; %bb.44:
	v_lshlrev_b32_e32 v2, 2, v2
	v_add_co_u32_e32 v18, vcc, v1, v2
	v_addc_co_u32_e32 v19, vcc, 0, v48, vcc
	flat_load_dword v18, v[18:19]
.LBB1923_45:
	s_or_b64 exec, exec, s[4:5]
	s_and_saveexec_b64 s[4:5], s[12:13]
	s_cbranch_execz .LBB1923_47
; %bb.46:
	v_lshlrev_b32_e32 v2, 2, v3
	v_add_co_u32_e32 v2, vcc, v1, v2
	v_addc_co_u32_e32 v3, vcc, 0, v48, vcc
	flat_load_dword v17, v[2:3]
.LBB1923_47:
	s_or_b64 exec, exec, s[4:5]
	v_mov_b32_e32 v2, 0
	v_mov_b32_e32 v3, 0
	s_and_saveexec_b64 s[4:5], s[14:15]
	s_cbranch_execz .LBB1923_49
; %bb.48:
	v_lshlrev_b32_e32 v3, 2, v4
	v_add_co_u32_e32 v20, vcc, v1, v3
	v_addc_co_u32_e32 v21, vcc, 0, v48, vcc
	flat_load_dword v3, v[20:21]
.LBB1923_49:
	s_or_b64 exec, exec, s[4:5]
	s_and_saveexec_b64 s[4:5], s[16:17]
	s_cbranch_execz .LBB1923_51
; %bb.50:
	v_lshlrev_b32_e32 v2, 2, v5
	v_add_co_u32_e32 v4, vcc, v1, v2
	v_addc_co_u32_e32 v5, vcc, 0, v48, vcc
	flat_load_dword v2, v[4:5]
.LBB1923_51:
	;; [unrolled: 20-line block ×4, first 2 shown]
	s_or_b64 exec, exec, s[4:5]
	v_mov_b32_e32 v8, 0
	v_mov_b32_e32 v9, 0
	s_and_saveexec_b64 s[4:5], s[26:27]
	s_cbranch_execz .LBB1923_61
; %bb.60:
	v_lshlrev_b32_e32 v9, 2, v10
	v_add_co_u32_e32 v20, vcc, v1, v9
	v_addc_co_u32_e32 v21, vcc, 0, v48, vcc
	flat_load_dword v9, v[20:21]
.LBB1923_61:
	s_or_b64 exec, exec, s[4:5]
	v_mul_u32_u24_e32 v51, 14, v0
	s_and_saveexec_b64 s[4:5], s[28:29]
	s_cbranch_execz .LBB1923_63
; %bb.62:
	v_lshlrev_b32_e32 v8, 2, v11
	v_add_co_u32_e32 v10, vcc, v1, v8
	v_addc_co_u32_e32 v11, vcc, 0, v48, vcc
	flat_load_dword v8, v[10:11]
.LBB1923_63:
	s_or_b64 exec, exec, s[4:5]
	s_mov_b32 s4, 0
	s_mov_b32 s5, s4
	s_waitcnt vmcnt(0) lgkmcnt(0)
	ds_write2st64_b32 v12, v14, v13 offset1:4
	ds_write2st64_b32 v12, v16, v15 offset0:8 offset1:12
	ds_write2st64_b32 v12, v18, v17 offset0:16 offset1:20
	;; [unrolled: 1-line block ×6, first 2 shown]
	s_mov_b32 s6, s4
	s_mov_b32 s7, s4
	s_mov_b32 s8, s4
	s_mov_b32 s9, s4
	s_mov_b32 s10, s4
	s_mov_b32 s11, s4
	v_pk_mov_b32 v[2:3], s[4:5], s[4:5] op_sel:[0,1]
	v_pk_mov_b32 v[8:9], s[10:11], s[10:11] op_sel:[0,1]
	;; [unrolled: 1-line block ×6, first 2 shown]
	v_cmp_gt_u32_e32 vcc, s40, v51
	s_mov_b64 s[12:13], 0
	v_pk_mov_b32 v[40:41], 0, 0
	s_mov_b64 s[18:19], 0
	v_pk_mov_b32 v[14:15], v[6:7], v[6:7] op_sel:[0,1]
	v_pk_mov_b32 v[12:13], v[4:5], v[4:5] op_sel:[0,1]
	;; [unrolled: 1-line block ×6, first 2 shown]
	s_waitcnt lgkmcnt(0)
	s_barrier
	s_waitcnt lgkmcnt(0)
                                        ; implicit-def: $sgpr16_sgpr17
                                        ; implicit-def: $vgpr46
	s_and_saveexec_b64 s[14:15], vcc
	s_cbranch_execz .LBB1923_91
; %bb.64:
	ds_read_b32 v2, v50
	v_mov_b32_e32 v4, s54
	v_cmp_eq_u32_e32 vcc, v34, v35
	v_or_b32_e32 v3, 1, v51
                                        ; implicit-def: $vgpr46
	s_waitcnt lgkmcnt(0)
	v_cndmask_b32_e32 v40, v4, v2, vcc
	v_cmp_ne_u32_e32 vcc, v34, v35
	v_cndmask_b32_e64 v41, 0, 1, vcc
	v_cmp_gt_u32_e32 vcc, s40, v3
	v_pk_mov_b32 v[2:3], s[4:5], s[4:5] op_sel:[0,1]
	v_pk_mov_b32 v[8:9], s[10:11], s[10:11] op_sel:[0,1]
	;; [unrolled: 1-line block ×12, first 2 shown]
                                        ; implicit-def: $sgpr4_sgpr5
	s_and_saveexec_b64 s[16:17], vcc
	s_cbranch_execz .LBB1923_90
; %bb.65:
	ds_read2_b32 v[46:47], v50 offset0:1 offset1:2
	s_mov_b32 s4, 0
	v_mov_b32_e32 v3, s54
	v_cmp_eq_u32_e32 vcc, v35, v36
	s_mov_b32 s10, s4
	s_mov_b32 s11, s4
	v_add_u32_e32 v2, 2, v51
	s_waitcnt lgkmcnt(0)
	v_cndmask_b32_e32 v8, v3, v46, vcc
	v_cmp_ne_u32_e32 vcc, v35, v36
	s_mov_b32 s5, s4
	s_mov_b32 s6, s4
	;; [unrolled: 1-line block ×5, first 2 shown]
	v_pk_mov_b32 v[16:17], s[10:11], s[10:11] op_sel:[0,1]
	v_cndmask_b32_e64 v9, 0, 1, vcc
	v_cmp_gt_u32_e32 vcc, s40, v2
	v_mov_b32_e32 v2, 0
	v_pk_mov_b32 v[14:15], s[8:9], s[8:9] op_sel:[0,1]
	v_pk_mov_b32 v[12:13], s[6:7], s[6:7] op_sel:[0,1]
	v_pk_mov_b32 v[10:11], s[4:5], s[4:5] op_sel:[0,1]
	v_pk_mov_b32 v[24:25], v[16:17], v[16:17] op_sel:[0,1]
	v_mov_b32_e32 v3, v2
	v_mov_b32_e32 v4, v2
	;; [unrolled: 1-line block ×5, first 2 shown]
	s_mov_b64 s[20:21], 0
	v_pk_mov_b32 v[22:23], v[14:15], v[14:15] op_sel:[0,1]
	v_pk_mov_b32 v[20:21], v[12:13], v[12:13] op_sel:[0,1]
	;; [unrolled: 1-line block ×3, first 2 shown]
                                        ; implicit-def: $sgpr24_sgpr25
                                        ; implicit-def: $vgpr46
	s_and_saveexec_b64 s[18:19], vcc
	s_cbranch_execz .LBB1923_89
; %bb.66:
	v_mov_b32_e32 v4, s54
	v_cmp_eq_u32_e32 vcc, v36, v37
	v_pk_mov_b32 v[16:17], s[10:11], s[10:11] op_sel:[0,1]
	v_add_u32_e32 v3, 3, v51
	v_cndmask_b32_e32 v6, v4, v47, vcc
	v_cmp_ne_u32_e32 vcc, v36, v37
	v_pk_mov_b32 v[14:15], s[8:9], s[8:9] op_sel:[0,1]
	v_pk_mov_b32 v[12:13], s[6:7], s[6:7] op_sel:[0,1]
	;; [unrolled: 1-line block ×4, first 2 shown]
	v_cndmask_b32_e64 v7, 0, 1, vcc
	v_cmp_gt_u32_e32 vcc, s40, v3
	v_mov_b32_e32 v3, v2
	v_mov_b32_e32 v4, v2
	;; [unrolled: 1-line block ×3, first 2 shown]
	s_mov_b64 s[22:23], 0
	v_pk_mov_b32 v[22:23], v[14:15], v[14:15] op_sel:[0,1]
	v_pk_mov_b32 v[20:21], v[12:13], v[12:13] op_sel:[0,1]
	v_pk_mov_b32 v[18:19], v[10:11], v[10:11] op_sel:[0,1]
                                        ; implicit-def: $sgpr4_sgpr5
                                        ; implicit-def: $vgpr46
	s_and_saveexec_b64 s[20:21], vcc
	s_cbranch_execz .LBB1923_88
; %bb.67:
	ds_read2_b32 v[34:35], v50 offset0:3 offset1:4
	s_mov_b32 s4, 0
	s_mov_b32 s10, s4
	;; [unrolled: 1-line block ×3, first 2 shown]
	v_mov_b32_e32 v3, s54
	v_cmp_eq_u32_e32 vcc, v37, v30
	s_mov_b32 s5, s4
	s_mov_b32 s6, s4
	;; [unrolled: 1-line block ×5, first 2 shown]
	v_pk_mov_b32 v[16:17], s[10:11], s[10:11] op_sel:[0,1]
	v_add_u32_e32 v2, 4, v51
	s_waitcnt lgkmcnt(0)
	v_cndmask_b32_e32 v4, v3, v34, vcc
	v_cmp_ne_u32_e32 vcc, v37, v30
	v_pk_mov_b32 v[14:15], s[8:9], s[8:9] op_sel:[0,1]
	v_pk_mov_b32 v[12:13], s[6:7], s[6:7] op_sel:[0,1]
	;; [unrolled: 1-line block ×4, first 2 shown]
	v_cndmask_b32_e64 v5, 0, 1, vcc
	v_cmp_gt_u32_e32 vcc, s40, v2
	v_mov_b32_e32 v2, s4
	v_mov_b32_e32 v3, s4
	s_mov_b64 s[24:25], 0
	v_pk_mov_b32 v[22:23], v[14:15], v[14:15] op_sel:[0,1]
	v_pk_mov_b32 v[20:21], v[12:13], v[12:13] op_sel:[0,1]
	;; [unrolled: 1-line block ×3, first 2 shown]
                                        ; implicit-def: $sgpr26_sgpr27
                                        ; implicit-def: $vgpr46
	s_and_saveexec_b64 s[22:23], vcc
	s_cbranch_execz .LBB1923_87
; %bb.68:
	v_mov_b32_e32 v2, s54
	v_cmp_eq_u32_e32 vcc, v30, v31
	v_add_u32_e32 v10, 5, v51
	v_cndmask_b32_e32 v2, v2, v35, vcc
	v_cmp_ne_u32_e32 vcc, v30, v31
	v_cndmask_b32_e64 v3, 0, 1, vcc
	v_cmp_gt_u32_e32 vcc, s40, v10
	v_pk_mov_b32 v[16:17], s[10:11], s[10:11] op_sel:[0,1]
	v_pk_mov_b32 v[14:15], s[8:9], s[8:9] op_sel:[0,1]
	;; [unrolled: 1-line block ×5, first 2 shown]
	s_mov_b64 s[28:29], 0
	v_pk_mov_b32 v[22:23], v[14:15], v[14:15] op_sel:[0,1]
	v_pk_mov_b32 v[20:21], v[12:13], v[12:13] op_sel:[0,1]
	;; [unrolled: 1-line block ×3, first 2 shown]
                                        ; implicit-def: $sgpr4_sgpr5
                                        ; implicit-def: $vgpr46
	s_and_saveexec_b64 s[24:25], vcc
	s_cbranch_execz .LBB1923_86
; %bb.69:
	ds_read2_b32 v[34:35], v50 offset0:5 offset1:6
	v_mov_b32_e32 v11, s54
	v_cmp_eq_u32_e32 vcc, v31, v32
	s_mov_b32 s4, 0
	v_add_u32_e32 v10, 6, v51
	s_waitcnt lgkmcnt(0)
	v_cndmask_b32_e32 v16, v11, v34, vcc
	v_cmp_ne_u32_e32 vcc, v31, v32
	s_mov_b32 s10, s4
	s_mov_b32 s11, s4
	v_cndmask_b32_e64 v17, 0, 1, vcc
	v_cmp_gt_u32_e32 vcc, s40, v10
	v_mov_b32_e32 v10, 0
	s_mov_b32 s5, s4
	s_mov_b32 s6, s4
	s_mov_b32 s7, s4
	s_mov_b32 s8, s4
	s_mov_b32 s9, s4
	v_pk_mov_b32 v[24:25], s[10:11], s[10:11] op_sel:[0,1]
	v_mov_b32_e32 v11, v10
	v_mov_b32_e32 v12, v10
	v_mov_b32_e32 v13, v10
	v_mov_b32_e32 v14, v10
	v_mov_b32_e32 v15, v10
	v_pk_mov_b32 v[22:23], s[8:9], s[8:9] op_sel:[0,1]
	v_pk_mov_b32 v[20:21], s[6:7], s[6:7] op_sel:[0,1]
	;; [unrolled: 1-line block ×3, first 2 shown]
                                        ; implicit-def: $sgpr36_sgpr37
                                        ; implicit-def: $vgpr46
	s_and_saveexec_b64 s[26:27], vcc
	s_cbranch_execz .LBB1923_85
; %bb.70:
	v_mov_b32_e32 v12, s54
	v_cmp_eq_u32_e32 vcc, v32, v33
	v_add_u32_e32 v11, 7, v51
	v_cndmask_b32_e32 v14, v12, v35, vcc
	v_cmp_ne_u32_e32 vcc, v32, v33
	v_pk_mov_b32 v[24:25], s[10:11], s[10:11] op_sel:[0,1]
	v_cndmask_b32_e64 v15, 0, 1, vcc
	v_cmp_gt_u32_e32 vcc, s40, v11
	v_mov_b32_e32 v11, v10
	v_mov_b32_e32 v12, v10
	;; [unrolled: 1-line block ×3, first 2 shown]
	s_mov_b64 s[30:31], 0
	v_pk_mov_b32 v[22:23], s[8:9], s[8:9] op_sel:[0,1]
	v_pk_mov_b32 v[20:21], s[6:7], s[6:7] op_sel:[0,1]
	;; [unrolled: 1-line block ×3, first 2 shown]
                                        ; implicit-def: $sgpr4_sgpr5
                                        ; implicit-def: $vgpr46
	s_and_saveexec_b64 s[28:29], vcc
	s_cbranch_execz .LBB1923_84
; %bb.71:
	ds_read2_b32 v[30:31], v50 offset0:7 offset1:8
	s_mov_b32 s4, 0
	v_mov_b32_e32 v11, s54
	v_cmp_eq_u32_e32 vcc, v33, v26
	s_mov_b32 s10, s4
	s_mov_b32 s11, s4
	v_add_u32_e32 v10, 8, v51
	s_waitcnt lgkmcnt(0)
	v_cndmask_b32_e32 v12, v11, v30, vcc
	v_cmp_ne_u32_e32 vcc, v33, v26
	s_mov_b32 s5, s4
	s_mov_b32 s6, s4
	;; [unrolled: 1-line block ×5, first 2 shown]
	v_pk_mov_b32 v[24:25], s[10:11], s[10:11] op_sel:[0,1]
	v_cndmask_b32_e64 v13, 0, 1, vcc
	v_cmp_gt_u32_e32 vcc, s40, v10
	v_mov_b32_e32 v10, s4
	v_mov_b32_e32 v11, s4
	s_mov_b64 s[36:37], 0
	v_pk_mov_b32 v[22:23], s[8:9], s[8:9] op_sel:[0,1]
	v_pk_mov_b32 v[20:21], s[6:7], s[6:7] op_sel:[0,1]
	;; [unrolled: 1-line block ×3, first 2 shown]
                                        ; implicit-def: $sgpr38_sgpr39
                                        ; implicit-def: $vgpr46
	s_and_saveexec_b64 s[30:31], vcc
	s_cbranch_execz .LBB1923_83
; %bb.72:
	v_mov_b32_e32 v10, s54
	v_cmp_eq_u32_e32 vcc, v26, v27
	v_add_u32_e32 v18, 9, v51
	v_cndmask_b32_e32 v10, v10, v31, vcc
	v_cmp_ne_u32_e32 vcc, v26, v27
	v_cndmask_b32_e64 v11, 0, 1, vcc
	v_cmp_gt_u32_e32 vcc, s40, v18
	v_pk_mov_b32 v[24:25], s[10:11], s[10:11] op_sel:[0,1]
	v_pk_mov_b32 v[22:23], s[8:9], s[8:9] op_sel:[0,1]
	v_pk_mov_b32 v[20:21], s[6:7], s[6:7] op_sel:[0,1]
	v_pk_mov_b32 v[18:19], s[4:5], s[4:5] op_sel:[0,1]
                                        ; implicit-def: $sgpr6_sgpr7
                                        ; implicit-def: $vgpr46
	s_and_saveexec_b64 s[4:5], vcc
	s_cbranch_execz .LBB1923_82
; %bb.73:
	ds_read2_b32 v[30:31], v50 offset0:9 offset1:10
	v_mov_b32_e32 v18, s54
	v_cmp_eq_u32_e32 vcc, v27, v28
	v_add_u32_e32 v20, 10, v51
	v_mov_b32_e32 v22, 0
	s_waitcnt lgkmcnt(0)
	v_cndmask_b32_e32 v18, v18, v30, vcc
	v_cmp_ne_u32_e32 vcc, v27, v28
	v_cndmask_b32_e64 v19, 0, 1, vcc
	v_cmp_gt_u32_e32 vcc, s40, v20
	v_mov_b32_e32 v20, v22
	v_mov_b32_e32 v21, v22
	;; [unrolled: 1-line block ×5, first 2 shown]
	s_mov_b64 s[8:9], 0
                                        ; implicit-def: $sgpr36_sgpr37
                                        ; implicit-def: $vgpr46
	s_and_saveexec_b64 s[6:7], vcc
	s_cbranch_execz .LBB1923_81
; %bb.74:
	v_mov_b32_e32 v20, s54
	v_cmp_eq_u32_e32 vcc, v28, v29
	v_add_u32_e32 v23, 11, v51
	v_cndmask_b32_e32 v20, v20, v31, vcc
	v_cmp_ne_u32_e32 vcc, v28, v29
	v_cndmask_b32_e64 v21, 0, 1, vcc
	v_cmp_gt_u32_e32 vcc, s40, v23
	s_mov_b32 s36, 0
	v_mov_b32_e32 v23, v22
	v_mov_b32_e32 v24, v22
	v_mov_b32_e32 v25, v22
	s_mov_b64 s[10:11], 0
                                        ; implicit-def: $sgpr38_sgpr39
                                        ; implicit-def: $vgpr46
	s_and_saveexec_b64 s[8:9], vcc
	s_cbranch_execz .LBB1923_80
; %bb.75:
	ds_read2_b32 v[26:27], v50 offset0:11 offset1:12
	v_mov_b32_e32 v22, s54
	v_cmp_eq_u32_e32 vcc, v29, v44
	v_add_u32_e32 v24, 12, v51
	v_mov_b32_e32 v25, s36
	s_waitcnt lgkmcnt(0)
	v_cndmask_b32_e32 v22, v22, v26, vcc
	v_cmp_ne_u32_e32 vcc, v29, v44
	v_cndmask_b32_e64 v23, 0, 1, vcc
	v_cmp_gt_u32_e32 vcc, s40, v24
	v_mov_b32_e32 v24, s36
	s_mov_b64 s[36:37], 0
                                        ; implicit-def: $sgpr38_sgpr39
                                        ; implicit-def: $vgpr46
	s_and_saveexec_b64 s[10:11], vcc
	s_cbranch_execz .LBB1923_79
; %bb.76:
	v_mov_b32_e32 v24, s54
	v_cmp_eq_u32_e32 vcc, v44, v45
	v_add_u32_e32 v26, 13, v51
	v_cndmask_b32_e32 v24, v24, v27, vcc
	v_cmp_ne_u32_e32 vcc, v44, v45
	v_cndmask_b32_e64 v25, 0, 1, vcc
	v_cmp_gt_u32_e32 vcc, s40, v26
                                        ; implicit-def: $sgpr38_sgpr39
                                        ; implicit-def: $vgpr46
	s_and_saveexec_b64 s[40:41], vcc
	s_xor_b64 s[40:41], exec, s[40:41]
	s_cbranch_execz .LBB1923_78
; %bb.77:
	ds_read_b32 v26, v50 offset:52
	v_mov_b32_e32 v27, s54
	v_cmp_ne_u32_e32 vcc, v45, v49
	s_mov_b64 s[36:37], exec
	s_and_b64 s[38:39], vcc, exec
	s_waitcnt lgkmcnt(0)
	v_cndmask_b32_e32 v46, v26, v27, vcc
.LBB1923_78:
	s_or_b64 exec, exec, s[40:41]
	s_and_b64 s[38:39], s[38:39], exec
	s_and_b64 s[36:37], s[36:37], exec
.LBB1923_79:
	s_or_b64 exec, exec, s[10:11]
	s_and_b64 s[38:39], s[38:39], exec
	s_and_b64 s[10:11], s[36:37], exec
.LBB1923_80:
	s_or_b64 exec, exec, s[8:9]
	s_and_b64 s[36:37], s[38:39], exec
	s_and_b64 s[8:9], s[10:11], exec
.LBB1923_81:
	s_or_b64 exec, exec, s[6:7]
	s_and_b64 s[6:7], s[36:37], exec
	s_and_b64 s[36:37], s[8:9], exec
.LBB1923_82:
	s_or_b64 exec, exec, s[4:5]
	s_and_b64 s[38:39], s[6:7], exec
	s_and_b64 s[36:37], s[36:37], exec
.LBB1923_83:
	s_or_b64 exec, exec, s[30:31]
	s_and_b64 s[4:5], s[38:39], exec
	s_and_b64 s[30:31], s[36:37], exec
.LBB1923_84:
	s_or_b64 exec, exec, s[28:29]
	s_and_b64 s[36:37], s[4:5], exec
	s_and_b64 s[28:29], s[30:31], exec
.LBB1923_85:
	s_or_b64 exec, exec, s[26:27]
	s_and_b64 s[4:5], s[36:37], exec
	s_and_b64 s[28:29], s[28:29], exec
.LBB1923_86:
	s_or_b64 exec, exec, s[24:25]
	s_and_b64 s[26:27], s[4:5], exec
	s_and_b64 s[24:25], s[28:29], exec
.LBB1923_87:
	s_or_b64 exec, exec, s[22:23]
	s_and_b64 s[4:5], s[26:27], exec
	s_and_b64 s[22:23], s[24:25], exec
.LBB1923_88:
	s_or_b64 exec, exec, s[20:21]
	s_and_b64 s[24:25], s[4:5], exec
	s_and_b64 s[20:21], s[22:23], exec
.LBB1923_89:
	s_or_b64 exec, exec, s[18:19]
	s_and_b64 s[4:5], s[24:25], exec
	s_and_b64 s[18:19], s[20:21], exec
.LBB1923_90:
	s_or_b64 exec, exec, s[16:17]
	s_and_b64 s[16:17], s[4:5], exec
	s_and_b64 s[18:19], s[18:19], exec
.LBB1923_91:
	s_or_b64 exec, exec, s[14:15]
	s_and_b64 vcc, exec, s[12:13]
	v_lshlrev_b32_e32 v52, 2, v0
	s_cbranch_vccnz .LBB1923_93
	s_branch .LBB1923_98
.LBB1923_92:
	s_mov_b64 s[18:19], 0
                                        ; implicit-def: $sgpr16_sgpr17
                                        ; implicit-def: $vgpr2_vgpr3_vgpr4_vgpr5_vgpr6_vgpr7_vgpr8_vgpr9
                                        ; implicit-def: $vgpr10_vgpr11_vgpr12_vgpr13_vgpr14_vgpr15_vgpr16_vgpr17
                                        ; implicit-def: $vgpr18_vgpr19_vgpr20_vgpr21_vgpr22_vgpr23_vgpr24_vgpr25
                                        ; implicit-def: $vgpr40_vgpr41
                                        ; implicit-def: $vgpr46
	s_and_b64 vcc, exec, s[12:13]
	v_lshlrev_b32_e32 v52, 2, v0
	s_cbranch_vccz .LBB1923_98
.LBB1923_93:
	v_add_co_u32_e32 v2, vcc, v42, v52
	v_addc_co_u32_e32 v3, vcc, 0, v43, vcc
	v_add_co_u32_e32 v4, vcc, 0x1000, v2
	v_addc_co_u32_e32 v5, vcc, 0, v3, vcc
	flat_load_dword v6, v[2:3]
	flat_load_dword v7, v[2:3] offset:1024
	flat_load_dword v8, v[2:3] offset:2048
	;; [unrolled: 1-line block ×3, first 2 shown]
	flat_load_dword v10, v[4:5]
	flat_load_dword v11, v[4:5] offset:1024
	flat_load_dword v12, v[4:5] offset:2048
	;; [unrolled: 1-line block ×3, first 2 shown]
	v_add_co_u32_e32 v4, vcc, 0x2000, v2
	v_addc_co_u32_e32 v5, vcc, 0, v3, vcc
	v_add_co_u32_e32 v2, vcc, 0x3000, v2
	v_addc_co_u32_e32 v3, vcc, 0, v3, vcc
	flat_load_dword v14, v[4:5]
	flat_load_dword v15, v[4:5] offset:1024
	flat_load_dword v16, v[4:5] offset:2048
	;; [unrolled: 1-line block ×3, first 2 shown]
	flat_load_dword v18, v[2:3]
	flat_load_dword v19, v[2:3] offset:1024
	v_add_co_u32_e32 v2, vcc, 0x3000, v42
	v_addc_co_u32_e32 v3, vcc, 0, v43, vcc
	s_movk_i32 s6, 0xffcc
	s_movk_i32 s9, 0x1000
	s_mov_b32 s4, 0
	s_movk_i32 s8, 0x2000
	s_movk_i32 s5, 0x3000
	s_waitcnt vmcnt(0) lgkmcnt(0)
	ds_write2st64_b32 v52, v6, v7 offset1:4
	ds_write2st64_b32 v52, v8, v9 offset0:8 offset1:12
	ds_write2st64_b32 v52, v10, v11 offset0:16 offset1:20
	;; [unrolled: 1-line block ×6, first 2 shown]
	s_waitcnt lgkmcnt(0)
	s_barrier
	flat_load_dword v34, v[2:3] offset:2048
	v_mad_u32_u24 v6, v0, 52, v52
	v_mad_i32_i24 v2, v0, s6, v6
	s_movk_i32 s6, 0xff
	v_cmp_ne_u32_e32 vcc, s6, v0
	ds_read2_b32 v[26:27], v6 offset1:13
	ds_read2_b32 v[18:19], v6 offset0:7 offset1:8
	ds_read2_b32 v[20:21], v6 offset0:5 offset1:6
	;; [unrolled: 1-line block ×6, first 2 shown]
	s_waitcnt lgkmcnt(0)
	ds_write_b32 v2, v26 offset:15360
	s_waitcnt lgkmcnt(0)
	s_barrier
	s_and_saveexec_b64 s[6:7], vcc
	s_cbranch_execz .LBB1923_95
; %bb.94:
	s_waitcnt vmcnt(0)
	ds_read_b32 v34, v52 offset:15364
.LBB1923_95:
	s_or_b64 exec, exec, s[6:7]
	v_add_co_u32_e32 v2, vcc, v1, v52
	v_addc_co_u32_e32 v3, vcc, 0, v48, vcc
	v_add_co_u32_e32 v4, vcc, s9, v2
	v_addc_co_u32_e32 v5, vcc, 0, v3, vcc
	s_waitcnt lgkmcnt(0)
	s_barrier
	flat_load_dword v1, v[2:3]
	flat_load_dword v7, v[2:3] offset:1024
	flat_load_dword v8, v[2:3] offset:2048
	;; [unrolled: 1-line block ×3, first 2 shown]
	flat_load_dword v14, v[4:5]
	flat_load_dword v15, v[4:5] offset:1024
	flat_load_dword v16, v[4:5] offset:2048
	;; [unrolled: 1-line block ×3, first 2 shown]
	v_add_co_u32_e32 v4, vcc, s8, v2
	v_addc_co_u32_e32 v5, vcc, 0, v3, vcc
	v_add_co_u32_e32 v2, vcc, s5, v2
	v_addc_co_u32_e32 v3, vcc, 0, v3, vcc
	flat_load_dword v22, v[4:5]
	flat_load_dword v23, v[4:5] offset:1024
	flat_load_dword v24, v[4:5] offset:2048
	flat_load_dword v25, v[4:5] offset:3072
	flat_load_dword v32, v[2:3]
	flat_load_dword v33, v[2:3] offset:1024
	s_mov_b32 s5, 1
	v_cmp_eq_u32_e32 vcc, v26, v12
	v_pk_mov_b32 v[40:41], s[4:5], s[4:5] op_sel:[0,1]
	s_waitcnt vmcnt(0) lgkmcnt(0)
	ds_write2st64_b32 v52, v1, v7 offset1:4
	ds_write2st64_b32 v52, v8, v9 offset0:8 offset1:12
	ds_write2st64_b32 v52, v14, v15 offset0:16 offset1:20
	;; [unrolled: 1-line block ×6, first 2 shown]
	s_waitcnt lgkmcnt(0)
	s_barrier
	ds_read2_b32 v[24:25], v6 offset0:7 offset1:8
	ds_read2_b32 v[14:15], v6 offset0:5 offset1:6
	ds_read2_b32 v[2:3], v6 offset0:3 offset1:4
	ds_read2_b32 v[4:5], v6 offset0:1 offset1:2
	ds_read_b32 v1, v6 offset:52
	ds_read2_b32 v[22:23], v6 offset0:11 offset1:12
	ds_read2_b32 v[32:33], v6 offset0:9 offset1:10
	v_mov_b32_e32 v7, s54
	s_and_saveexec_b64 s[4:5], vcc
	s_cbranch_execz .LBB1923_97
; %bb.96:
	ds_read_b32 v7, v6
	v_pk_mov_b32 v[40:41], 0, 0
.LBB1923_97:
	s_or_b64 exec, exec, s[4:5]
	v_mov_b32_e32 v26, s54
	v_cmp_eq_u32_e32 vcc, v12, v13
	s_waitcnt lgkmcnt(3)
	v_cndmask_b32_e32 v8, v26, v4, vcc
	v_cmp_eq_u32_e32 vcc, v13, v10
	v_cndmask_b32_e32 v6, v26, v5, vcc
	v_cmp_eq_u32_e32 vcc, v10, v11
	;; [unrolled: 2-line block ×3, first 2 shown]
	v_cndmask_b32_e32 v2, v26, v3, vcc
	v_cmp_ne_u32_e32 vcc, v12, v13
	v_cndmask_b32_e64 v9, 0, 1, vcc
	v_cmp_ne_u32_e32 vcc, v13, v10
	s_waitcnt lgkmcnt(0)
	v_or_b32_e32 v40, v40, v7
	v_cndmask_b32_e64 v7, 0, 1, vcc
	v_cmp_ne_u32_e32 vcc, v10, v11
	v_cndmask_b32_e64 v5, 0, 1, vcc
	v_cmp_ne_u32_e32 vcc, v11, v20
	v_cndmask_b32_e64 v3, 0, 1, vcc
	v_cmp_eq_u32_e32 vcc, v20, v21
	v_cndmask_b32_e32 v16, v26, v14, vcc
	v_cmp_eq_u32_e32 vcc, v21, v18
	v_cndmask_b32_e32 v14, v26, v15, vcc
	;; [unrolled: 2-line block ×4, first 2 shown]
	v_cmp_ne_u32_e32 vcc, v20, v21
	v_cndmask_b32_e64 v17, 0, 1, vcc
	v_cmp_ne_u32_e32 vcc, v21, v18
	v_cndmask_b32_e64 v15, 0, 1, vcc
	;; [unrolled: 2-line block ×4, first 2 shown]
	v_cmp_eq_u32_e32 vcc, v31, v27
	v_cndmask_b32_e32 v24, v26, v23, vcc
	v_cmp_eq_u32_e32 vcc, v30, v31
	v_cndmask_b32_e32 v22, v26, v22, vcc
	;; [unrolled: 2-line block ×4, first 2 shown]
	v_cmp_ne_u32_e32 vcc, v31, v27
	v_cndmask_b32_e64 v25, 0, 1, vcc
	v_cmp_ne_u32_e32 vcc, v30, v31
	v_cndmask_b32_e64 v23, 0, 1, vcc
	;; [unrolled: 2-line block ×3, first 2 shown]
	v_cmp_ne_u32_e32 vcc, v28, v29
	v_cmp_ne_u32_e64 s[16:17], v27, v34
	v_cndmask_b32_e64 v19, 0, 1, vcc
	v_cndmask_b32_e64 v46, v1, v26, s[16:17]
	s_mov_b64 s[18:19], -1
                                        ; implicit-def: $sgpr12_sgpr13
.LBB1923_98:
	v_pk_mov_b32 v[42:43], s[12:13], s[12:13] op_sel:[0,1]
	s_and_saveexec_b64 s[4:5], s[18:19]
; %bb.99:
	v_cndmask_b32_e64 v47, 0, 1, s[16:17]
	v_pk_mov_b32 v[42:43], v[46:47], v[46:47] op_sel:[0,1]
; %bb.100:
	s_or_b64 exec, exec, s[4:5]
	s_mov_b32 s28, 0
	s_cmp_lg_u32 s47, 0
	v_mbcnt_lo_u32_b32 v54, -1, 0
	v_lshrrev_b32_e32 v1, 6, v0
	v_or_b32_e32 v53, 63, v0
	s_barrier
	s_cbranch_scc0 .LBB1923_133
; %bb.101:
	s_mov_b32 s29, 1
	v_cmp_gt_u64_e64 s[4:5], s[28:29], v[8:9]
	v_cndmask_b32_e64 v27, 0, v40, s[4:5]
	v_add_u32_e32 v27, v27, v8
	v_cmp_gt_u64_e64 s[6:7], s[28:29], v[6:7]
	v_cndmask_b32_e64 v27, 0, v27, s[6:7]
	v_add_u32_e32 v27, v27, v6
	;; [unrolled: 3-line block ×12, first 2 shown]
	v_cmp_gt_u64_e32 vcc, s[28:29], v[42:43]
	v_cndmask_b32_e32 v27, 0, v27, vcc
	v_add_u32_e32 v28, v27, v42
	v_or3_b32 v27, v43, v25, v23
	v_or3_b32 v27, v27, v21, v19
	;; [unrolled: 1-line block ×6, first 2 shown]
	v_mov_b32_e32 v26, 0
	v_and_b32_e32 v27, 1, v27
	v_cmp_eq_u64_e32 vcc, 0, v[26:27]
	v_cndmask_b32_e32 v27, 1, v41, vcc
	v_and_b32_e32 v29, 0xff, v27
	v_mov_b32_dpp v31, v28 row_shr:1 row_mask:0xf bank_mask:0xf
	v_cmp_eq_u16_e32 vcc, 0, v29
	v_mov_b32_dpp v32, v29 row_shr:1 row_mask:0xf bank_mask:0xf
	v_and_b32_e32 v33, 1, v27
	v_mbcnt_hi_u32_b32 v48, -1, v54
	v_cndmask_b32_e32 v31, 0, v31, vcc
	v_and_b32_e32 v32, 1, v32
	v_cmp_eq_u32_e32 vcc, 1, v33
	v_and_b32_e32 v30, 15, v48
	v_cndmask_b32_e64 v32, v32, 1, vcc
	v_and_b32_e32 v33, 0xffff, v32
	v_cmp_eq_u32_e32 vcc, 0, v30
	v_cndmask_b32_e32 v27, v32, v27, vcc
	v_cndmask_b32_e32 v29, v33, v29, vcc
	v_and_b32_e32 v33, 1, v27
	v_cndmask_b32_e64 v31, v31, 0, vcc
	v_mov_b32_dpp v32, v29 row_shr:2 row_mask:0xf bank_mask:0xf
	v_and_b32_e32 v32, 1, v32
	v_cmp_eq_u32_e32 vcc, 1, v33
	v_cndmask_b32_e64 v32, v32, 1, vcc
	v_and_b32_e32 v33, 0xffff, v32
	v_cmp_lt_u32_e32 vcc, 1, v30
	v_add_u32_e32 v28, v31, v28
	v_cmp_eq_u16_sdwa s[28:29], v27, v26 src0_sel:BYTE_0 src1_sel:DWORD
	v_cndmask_b32_e32 v27, v27, v32, vcc
	v_cndmask_b32_e32 v29, v29, v33, vcc
	v_mov_b32_dpp v31, v28 row_shr:2 row_mask:0xf bank_mask:0xf
	s_and_b64 vcc, vcc, s[28:29]
	v_mov_b32_dpp v32, v29 row_shr:4 row_mask:0xf bank_mask:0xf
	v_and_b32_e32 v33, 1, v27
	v_cndmask_b32_e32 v31, 0, v31, vcc
	v_and_b32_e32 v32, 1, v32
	v_cmp_eq_u32_e32 vcc, 1, v33
	v_cndmask_b32_e64 v32, v32, 1, vcc
	v_and_b32_e32 v33, 0xffff, v32
	v_cmp_lt_u32_e32 vcc, 3, v30
	v_add_u32_e32 v28, v31, v28
	v_cmp_eq_u16_sdwa s[28:29], v27, v26 src0_sel:BYTE_0 src1_sel:DWORD
	v_cndmask_b32_e32 v27, v27, v32, vcc
	v_cndmask_b32_e32 v29, v29, v33, vcc
	v_mov_b32_dpp v31, v28 row_shr:4 row_mask:0xf bank_mask:0xf
	s_and_b64 vcc, vcc, s[28:29]
	v_mov_b32_dpp v32, v29 row_shr:8 row_mask:0xf bank_mask:0xf
	v_and_b32_e32 v33, 1, v27
	v_cndmask_b32_e32 v31, 0, v31, vcc
	v_and_b32_e32 v32, 1, v32
	v_cmp_eq_u32_e32 vcc, 1, v33
	v_cndmask_b32_e64 v32, v32, 1, vcc
	v_add_u32_e32 v28, v31, v28
	v_cmp_eq_u16_sdwa s[28:29], v27, v26 src0_sel:BYTE_0 src1_sel:DWORD
	v_and_b32_e32 v33, 0xffff, v32
	v_cmp_lt_u32_e32 vcc, 7, v30
	v_mov_b32_dpp v31, v28 row_shr:8 row_mask:0xf bank_mask:0xf
	v_cndmask_b32_e32 v27, v27, v32, vcc
	v_cndmask_b32_e32 v29, v29, v33, vcc
	s_and_b64 vcc, vcc, s[28:29]
	v_cndmask_b32_e32 v30, 0, v31, vcc
	v_add_u32_e32 v28, v30, v28
	v_mov_b32_dpp v31, v29 row_bcast:15 row_mask:0xf bank_mask:0xf
	v_cmp_eq_u16_sdwa vcc, v27, v26 src0_sel:BYTE_0 src1_sel:DWORD
	v_mov_b32_dpp v30, v28 row_bcast:15 row_mask:0xf bank_mask:0xf
	v_and_b32_e32 v34, 1, v27
	v_cndmask_b32_e32 v30, 0, v30, vcc
	v_and_b32_e32 v31, 1, v31
	v_cmp_eq_u32_e32 vcc, 1, v34
	v_and_b32_e32 v33, 16, v48
	v_cndmask_b32_e64 v31, v31, 1, vcc
	v_and_b32_e32 v34, 0xffff, v31
	v_cmp_eq_u32_e32 vcc, 0, v33
	v_cndmask_b32_e32 v27, v31, v27, vcc
	v_cndmask_b32_e32 v29, v34, v29, vcc
	v_bfe_i32 v32, v48, 4, 1
	v_cmp_eq_u16_sdwa s[28:29], v27, v26 src0_sel:BYTE_0 src1_sel:DWORD
	v_mov_b32_dpp v29, v29 row_bcast:31 row_mask:0xf bank_mask:0xf
	v_and_b32_e32 v26, 1, v27
	v_and_b32_e32 v30, v32, v30
	;; [unrolled: 1-line block ×3, first 2 shown]
	v_cmp_eq_u32_e32 vcc, 1, v26
	v_add_u32_e32 v28, v30, v28
	v_cndmask_b32_e64 v26, v29, 1, vcc
	v_cmp_lt_u32_e32 vcc, 31, v48
	v_mov_b32_dpp v30, v28 row_bcast:31 row_mask:0xf bank_mask:0xf
	v_cndmask_b32_e32 v29, v27, v26, vcc
	s_and_b64 vcc, vcc, s[28:29]
	v_cndmask_b32_e32 v26, 0, v30, vcc
	v_add_u32_e32 v28, v26, v28
	v_cmp_eq_u32_e32 vcc, v53, v0
	s_and_saveexec_b64 s[28:29], vcc
	s_cbranch_execz .LBB1923_103
; %bb.102:
	v_lshlrev_b32_e32 v26, 3, v1
	ds_write_b32 v26, v28
	ds_write_b8 v26, v29 offset:4
.LBB1923_103:
	s_or_b64 exec, exec, s[28:29]
	v_cmp_gt_u32_e32 vcc, 4, v0
	s_waitcnt lgkmcnt(0)
	s_barrier
	s_and_saveexec_b64 s[28:29], vcc
	s_cbranch_execz .LBB1923_107
; %bb.104:
	v_lshlrev_b32_e32 v30, 3, v0
	ds_read_b64 v[26:27], v30
	v_and_b32_e32 v31, 3, v48
	v_cmp_ne_u32_e32 vcc, 0, v31
	s_waitcnt lgkmcnt(0)
	v_mov_b32_dpp v32, v26 row_shr:1 row_mask:0xf bank_mask:0xf
	v_mov_b32_dpp v34, v27 row_shr:1 row_mask:0xf bank_mask:0xf
	v_mov_b32_e32 v33, v27
	s_and_saveexec_b64 s[30:31], vcc
	s_cbranch_execz .LBB1923_106
; %bb.105:
	v_and_b32_e32 v33, 1, v27
	v_and_b32_e32 v34, 1, v34
	v_cmp_eq_u32_e32 vcc, 1, v33
	v_mov_b32_e32 v33, 0
	v_cndmask_b32_e64 v34, v34, 1, vcc
	v_cmp_eq_u16_sdwa vcc, v27, v33 src0_sel:BYTE_0 src1_sel:DWORD
	v_cndmask_b32_e32 v32, 0, v32, vcc
	v_add_u32_e32 v26, v32, v26
	v_and_b32_e32 v32, 0xffff, v34
	s_movk_i32 s36, 0xff00
	v_and_or_b32 v33, v27, s36, v32
	v_mov_b32_e32 v27, v34
.LBB1923_106:
	s_or_b64 exec, exec, s[30:31]
	v_mov_b32_dpp v33, v33 row_shr:2 row_mask:0xf bank_mask:0xf
	v_and_b32_e32 v34, 1, v27
	v_and_b32_e32 v33, 1, v33
	v_cmp_eq_u32_e32 vcc, 1, v34
	v_mov_b32_e32 v34, 0
	v_cndmask_b32_e64 v33, v33, 1, vcc
	v_cmp_eq_u16_sdwa s[30:31], v27, v34 src0_sel:BYTE_0 src1_sel:DWORD
	v_cmp_lt_u32_e32 vcc, 1, v31
	v_mov_b32_dpp v32, v26 row_shr:2 row_mask:0xf bank_mask:0xf
	v_cndmask_b32_e32 v27, v27, v33, vcc
	s_and_b64 vcc, vcc, s[30:31]
	v_cndmask_b32_e32 v31, 0, v32, vcc
	v_add_u32_e32 v26, v31, v26
	ds_write_b32 v30, v26
	ds_write_b8 v30, v27 offset:4
.LBB1923_107:
	s_or_b64 exec, exec, s[28:29]
	v_cmp_gt_u32_e32 vcc, 64, v0
	v_cmp_lt_u32_e64 s[28:29], 63, v0
	v_mov_b32_e32 v44, 0
	v_mov_b32_e32 v45, 0
	s_waitcnt lgkmcnt(0)
	s_barrier
	s_and_saveexec_b64 s[30:31], s[28:29]
	s_cbranch_execz .LBB1923_109
; %bb.108:
	v_lshl_add_u32 v26, v1, 3, -8
	ds_read_b32 v44, v26
	ds_read_u8 v45, v26 offset:4
	v_mov_b32_e32 v27, 0
	v_and_b32_e32 v30, 1, v29
	v_cmp_eq_u16_sdwa s[28:29], v29, v27 src0_sel:BYTE_0 src1_sel:DWORD
	s_waitcnt lgkmcnt(1)
	v_cndmask_b32_e64 v26, 0, v44, s[28:29]
	v_cmp_eq_u32_e64 s[28:29], 1, v30
	v_add_u32_e32 v28, v26, v28
	s_waitcnt lgkmcnt(0)
	v_cndmask_b32_e64 v29, v45, 1, s[28:29]
.LBB1923_109:
	s_or_b64 exec, exec, s[30:31]
	v_and_b32_e32 v26, 0xff, v29
	v_add_u32_e32 v27, -1, v48
	v_and_b32_e32 v29, 64, v48
	v_cmp_lt_i32_e64 s[28:29], v27, v29
	v_cndmask_b32_e64 v27, v27, v48, s[28:29]
	v_lshlrev_b32_e32 v27, 2, v27
	ds_bpermute_b32 v46, v27, v28
	ds_bpermute_b32 v47, v27, v26
	v_cmp_eq_u32_e64 s[28:29], 0, v48
	s_and_saveexec_b64 s[36:37], vcc
	s_cbranch_execz .LBB1923_132
; %bb.110:
	v_mov_b32_e32 v29, 0
	ds_read_b64 v[26:27], v29 offset:24
	s_waitcnt lgkmcnt(0)
	v_readfirstlane_b32 s48, v27
	s_and_saveexec_b64 s[30:31], s[28:29]
	s_cbranch_execz .LBB1923_112
; %bb.111:
	s_add_i32 s38, s47, 64
	s_mov_b32 s39, 0
	s_lshl_b64 s[40:41], s[38:39], 4
	s_add_u32 s40, s44, s40
	s_addc_u32 s41, s45, s41
	s_and_b32 s57, s48, 0xff000000
	s_mov_b32 s56, s39
	s_and_b32 s59, s48, 0xff0000
	s_mov_b32 s58, s39
	s_or_b64 s[56:57], s[58:59], s[56:57]
	s_and_b32 s59, s48, 0xff00
	s_or_b64 s[56:57], s[56:57], s[58:59]
	s_and_b32 s59, s48, 0xff
	s_or_b64 s[38:39], s[56:57], s[58:59]
	v_mov_b32_e32 v27, s39
	v_mov_b32_e32 v28, 1
	v_pk_mov_b32 v[30:31], s[40:41], s[40:41] op_sel:[0,1]
	;;#ASMSTART
	global_store_dwordx4 v[30:31], v[26:29] off	
s_waitcnt vmcnt(0)
	;;#ASMEND
.LBB1923_112:
	s_or_b64 exec, exec, s[30:31]
	v_xad_u32 v34, v48, -1, s47
	v_add_u32_e32 v28, 64, v34
	v_lshlrev_b64 v[30:31], 4, v[28:29]
	v_mov_b32_e32 v27, s45
	v_add_co_u32_e32 v36, vcc, s44, v30
	v_addc_co_u32_e32 v37, vcc, v27, v31, vcc
	;;#ASMSTART
	global_load_dwordx4 v[30:33], v[36:37] off glc	
s_waitcnt vmcnt(0)
	;;#ASMEND
	v_and_b32_e32 v27, 0xff0000, v30
	v_or_b32_sdwa v27, v30, v27 dst_sel:DWORD dst_unused:UNUSED_PAD src0_sel:WORD_0 src1_sel:DWORD
	v_and_b32_e32 v28, 0xff000000, v30
	v_and_b32_e32 v30, 0xff, v31
	v_or3_b32 v31, 0, 0, v30
	v_or3_b32 v30, v27, v28, 0
	v_cmp_eq_u16_sdwa s[38:39], v32, v29 src0_sel:BYTE_0 src1_sel:DWORD
	s_and_saveexec_b64 s[30:31], s[38:39]
	s_cbranch_execz .LBB1923_118
; %bb.113:
	s_mov_b32 s40, 1
	s_mov_b64 s[38:39], 0
	v_mov_b32_e32 v27, 0
.LBB1923_114:                           ; =>This Loop Header: Depth=1
                                        ;     Child Loop BB1923_115 Depth 2
	s_max_u32 s41, s40, 1
.LBB1923_115:                           ;   Parent Loop BB1923_114 Depth=1
                                        ; =>  This Inner Loop Header: Depth=2
	s_add_i32 s41, s41, -1
	s_cmp_eq_u32 s41, 0
	s_sleep 1
	s_cbranch_scc0 .LBB1923_115
; %bb.116:                              ;   in Loop: Header=BB1923_114 Depth=1
	s_cmp_lt_u32 s40, 32
	s_cselect_b64 s[56:57], -1, 0
	s_cmp_lg_u64 s[56:57], 0
	s_addc_u32 s40, s40, 0
	;;#ASMSTART
	global_load_dwordx4 v[30:33], v[36:37] off glc	
s_waitcnt vmcnt(0)
	;;#ASMEND
	v_cmp_ne_u16_sdwa s[56:57], v32, v27 src0_sel:BYTE_0 src1_sel:DWORD
	s_or_b64 s[38:39], s[56:57], s[38:39]
	s_andn2_b64 exec, exec, s[38:39]
	s_cbranch_execnz .LBB1923_114
; %bb.117:
	s_or_b64 exec, exec, s[38:39]
	v_and_b32_e32 v31, 0xff, v31
.LBB1923_118:
	s_or_b64 exec, exec, s[30:31]
	v_mov_b32_e32 v27, 2
	v_cmp_eq_u16_sdwa s[30:31], v32, v27 src0_sel:BYTE_0 src1_sel:DWORD
	v_lshlrev_b64 v[28:29], v48, -1
	v_and_b32_e32 v33, s31, v29
	v_or_b32_e32 v33, 0x80000000, v33
	v_and_b32_e32 v35, s30, v28
	v_ffbl_b32_e32 v33, v33
	v_and_b32_e32 v49, 63, v48
	v_add_u32_e32 v33, 32, v33
	v_ffbl_b32_e32 v35, v35
	v_cmp_ne_u32_e32 vcc, 63, v49
	v_min_u32_e32 v33, v35, v33
	v_addc_co_u32_e32 v35, vcc, 0, v48, vcc
	v_lshlrev_b32_e32 v50, 2, v35
	ds_bpermute_b32 v35, v50, v31
	ds_bpermute_b32 v36, v50, v30
	s_mov_b32 s38, 0
	v_and_b32_e32 v37, 1, v31
	s_mov_b32 s39, 1
	s_waitcnt lgkmcnt(1)
	v_and_b32_e32 v35, 1, v35
	v_cmp_eq_u32_e32 vcc, 1, v37
	v_cndmask_b32_e64 v35, v35, 1, vcc
	v_cmp_gt_u64_e32 vcc, s[38:39], v[30:31]
	v_cmp_lt_u32_e64 s[30:31], v49, v33
	s_and_b64 vcc, s[30:31], vcc
	v_and_b32_e32 v37, 0xffff, v35
	v_cndmask_b32_e64 v56, v31, v35, s[30:31]
	s_waitcnt lgkmcnt(0)
	v_cndmask_b32_e32 v35, 0, v36, vcc
	v_cmp_gt_u32_e32 vcc, 62, v49
	v_cndmask_b32_e64 v36, 0, 1, vcc
	v_lshlrev_b32_e32 v36, 1, v36
	v_cndmask_b32_e64 v31, v31, v37, s[30:31]
	v_add_lshl_u32 v51, v36, v48, 2
	ds_bpermute_b32 v36, v51, v31
	v_add_u32_e32 v30, v35, v30
	ds_bpermute_b32 v37, v51, v30
	v_and_b32_e32 v35, 1, v56
	v_cmp_eq_u32_e32 vcc, 1, v35
	s_waitcnt lgkmcnt(1)
	v_and_b32_e32 v36, 1, v36
	v_mov_b32_e32 v35, 0
	v_add_u32_e32 v55, 2, v49
	v_cndmask_b32_e64 v36, v36, 1, vcc
	v_cmp_eq_u16_sdwa vcc, v56, v35 src0_sel:BYTE_0 src1_sel:DWORD
	v_and_b32_e32 v57, 0xffff, v36
	s_waitcnt lgkmcnt(0)
	v_cndmask_b32_e32 v37, 0, v37, vcc
	v_cmp_gt_u32_e32 vcc, v55, v33
	v_cndmask_b32_e32 v36, v36, v56, vcc
	v_cndmask_b32_e64 v37, v37, 0, vcc
	v_cndmask_b32_e32 v31, v57, v31, vcc
	v_cmp_gt_u32_e32 vcc, 60, v49
	v_cndmask_b32_e64 v56, 0, 1, vcc
	v_lshlrev_b32_e32 v56, 2, v56
	v_add_lshl_u32 v56, v56, v48, 2
	ds_bpermute_b32 v58, v56, v31
	v_add_u32_e32 v30, v37, v30
	ds_bpermute_b32 v37, v56, v30
	v_and_b32_e32 v59, 1, v36
	v_cmp_eq_u32_e32 vcc, 1, v59
	s_waitcnt lgkmcnt(1)
	v_and_b32_e32 v58, 1, v58
	v_add_u32_e32 v57, 4, v49
	v_cndmask_b32_e64 v58, v58, 1, vcc
	v_cmp_eq_u16_sdwa vcc, v36, v35 src0_sel:BYTE_0 src1_sel:DWORD
	v_and_b32_e32 v59, 0xffff, v58
	s_waitcnt lgkmcnt(0)
	v_cndmask_b32_e32 v37, 0, v37, vcc
	v_cmp_gt_u32_e32 vcc, v57, v33
	v_cndmask_b32_e32 v36, v58, v36, vcc
	v_cndmask_b32_e64 v37, v37, 0, vcc
	v_cndmask_b32_e32 v31, v59, v31, vcc
	v_cmp_gt_u32_e32 vcc, 56, v49
	v_cndmask_b32_e64 v58, 0, 1, vcc
	v_lshlrev_b32_e32 v58, 3, v58
	v_add_lshl_u32 v58, v58, v48, 2
	ds_bpermute_b32 v60, v58, v31
	v_add_u32_e32 v30, v37, v30
	ds_bpermute_b32 v37, v58, v30
	v_and_b32_e32 v61, 1, v36
	v_cmp_eq_u32_e32 vcc, 1, v61
	s_waitcnt lgkmcnt(1)
	v_and_b32_e32 v60, 1, v60
	;; [unrolled: 21-line block ×4, first 2 shown]
	v_add_u32_e32 v64, 32, v49
	v_cndmask_b32_e64 v31, v31, 1, vcc
	v_cmp_eq_u16_sdwa vcc, v36, v35 src0_sel:BYTE_0 src1_sel:DWORD
	s_waitcnt lgkmcnt(0)
	v_cndmask_b32_e32 v37, 0, v37, vcc
	v_cmp_gt_u32_e32 vcc, v64, v33
	v_cndmask_b32_e64 v33, v37, 0, vcc
	v_cndmask_b32_e32 v31, v31, v36, vcc
	v_add_u32_e32 v30, v33, v30
	s_branch .LBB1923_120
.LBB1923_119:                           ;   in Loop: Header=BB1923_120 Depth=1
	s_or_b64 exec, exec, s[30:31]
	v_cmp_eq_u16_sdwa s[30:31], v32, v27 src0_sel:BYTE_0 src1_sel:DWORD
	v_and_b32_e32 v33, s31, v29
	ds_bpermute_b32 v37, v50, v31
	v_or_b32_e32 v33, 0x80000000, v33
	v_and_b32_e32 v36, s30, v28
	v_ffbl_b32_e32 v33, v33
	v_add_u32_e32 v33, 32, v33
	v_ffbl_b32_e32 v36, v36
	v_min_u32_e32 v33, v36, v33
	ds_bpermute_b32 v36, v50, v30
	v_and_b32_e32 v65, 1, v31
	s_waitcnt lgkmcnt(1)
	v_and_b32_e32 v37, 1, v37
	v_cmp_eq_u32_e32 vcc, 1, v65
	v_cndmask_b32_e64 v37, v37, 1, vcc
	v_cmp_gt_u64_e32 vcc, s[38:39], v[30:31]
	v_and_b32_e32 v65, 0xffff, v37
	v_cmp_lt_u32_e64 s[30:31], v49, v33
	v_cndmask_b32_e64 v37, v31, v37, s[30:31]
	v_cndmask_b32_e64 v31, v31, v65, s[30:31]
	s_and_b64 vcc, s[30:31], vcc
	ds_bpermute_b32 v65, v51, v31
	s_waitcnt lgkmcnt(1)
	v_cndmask_b32_e32 v36, 0, v36, vcc
	v_add_u32_e32 v30, v36, v30
	ds_bpermute_b32 v36, v51, v30
	v_and_b32_e32 v66, 1, v37
	s_waitcnt lgkmcnt(1)
	v_and_b32_e32 v65, 1, v65
	v_cmp_eq_u32_e32 vcc, 1, v66
	v_cndmask_b32_e64 v65, v65, 1, vcc
	v_cmp_eq_u16_sdwa vcc, v37, v35 src0_sel:BYTE_0 src1_sel:DWORD
	v_and_b32_e32 v66, 0xffff, v65
	s_waitcnt lgkmcnt(0)
	v_cndmask_b32_e32 v36, 0, v36, vcc
	v_cmp_gt_u32_e32 vcc, v55, v33
	v_cndmask_b32_e32 v31, v66, v31, vcc
	v_cndmask_b32_e32 v37, v65, v37, vcc
	ds_bpermute_b32 v65, v56, v31
	v_cndmask_b32_e64 v36, v36, 0, vcc
	v_add_u32_e32 v30, v36, v30
	ds_bpermute_b32 v36, v56, v30
	v_and_b32_e32 v66, 1, v37
	s_waitcnt lgkmcnt(1)
	v_and_b32_e32 v65, 1, v65
	v_cmp_eq_u32_e32 vcc, 1, v66
	v_cndmask_b32_e64 v65, v65, 1, vcc
	v_cmp_eq_u16_sdwa vcc, v37, v35 src0_sel:BYTE_0 src1_sel:DWORD
	v_and_b32_e32 v66, 0xffff, v65
	s_waitcnt lgkmcnt(0)
	v_cndmask_b32_e32 v36, 0, v36, vcc
	v_cmp_gt_u32_e32 vcc, v57, v33
	v_cndmask_b32_e32 v31, v66, v31, vcc
	v_cndmask_b32_e32 v37, v65, v37, vcc
	ds_bpermute_b32 v65, v58, v31
	v_cndmask_b32_e64 v36, v36, 0, vcc
	;; [unrolled: 16-line block ×3, first 2 shown]
	v_add_u32_e32 v30, v36, v30
	ds_bpermute_b32 v36, v60, v30
	v_and_b32_e32 v66, 1, v37
	s_waitcnt lgkmcnt(1)
	v_and_b32_e32 v65, 1, v65
	v_cmp_eq_u32_e32 vcc, 1, v66
	v_cndmask_b32_e64 v65, v65, 1, vcc
	v_cmp_eq_u16_sdwa vcc, v37, v35 src0_sel:BYTE_0 src1_sel:DWORD
	v_and_b32_e32 v66, 0xffff, v65
	s_waitcnt lgkmcnt(0)
	v_cndmask_b32_e32 v36, 0, v36, vcc
	v_cmp_gt_u32_e32 vcc, v61, v33
	v_cndmask_b32_e64 v36, v36, 0, vcc
	v_cndmask_b32_e32 v31, v66, v31, vcc
	ds_bpermute_b32 v31, v63, v31
	v_add_u32_e32 v30, v36, v30
	ds_bpermute_b32 v36, v63, v30
	v_cndmask_b32_e32 v37, v65, v37, vcc
	v_and_b32_e32 v65, 1, v37
	v_cmp_eq_u32_e32 vcc, 1, v65
	s_waitcnt lgkmcnt(1)
	v_cndmask_b32_e64 v31, v31, 1, vcc
	v_cmp_eq_u16_sdwa vcc, v37, v35 src0_sel:BYTE_0 src1_sel:DWORD
	s_waitcnt lgkmcnt(0)
	v_cndmask_b32_e32 v36, 0, v36, vcc
	v_cmp_gt_u32_e32 vcc, v64, v33
	v_cndmask_b32_e64 v33, v36, 0, vcc
	v_cndmask_b32_e32 v31, v31, v37, vcc
	v_add_u32_e32 v30, v33, v30
	v_cmp_eq_u16_sdwa vcc, v48, v35 src0_sel:BYTE_0 src1_sel:DWORD
	v_and_b32_e32 v33, 1, v48
	v_cndmask_b32_e32 v30, 0, v30, vcc
	v_and_b32_e32 v31, 1, v31
	v_cmp_eq_u32_e32 vcc, 1, v33
	v_subrev_u32_e32 v34, 64, v34
	v_add_u32_e32 v30, v30, v62
	v_cndmask_b32_e64 v31, v31, 1, vcc
.LBB1923_120:                           ; =>This Loop Header: Depth=1
                                        ;     Child Loop BB1923_123 Depth 2
                                        ;       Child Loop BB1923_124 Depth 3
	v_cmp_ne_u16_sdwa s[30:31], v32, v27 src0_sel:BYTE_0 src1_sel:DWORD
	v_mov_b32_e32 v48, v31
	v_cndmask_b32_e64 v31, 0, 1, s[30:31]
	;;#ASMSTART
	;;#ASMEND
	v_cmp_ne_u32_e32 vcc, 0, v31
	s_cmp_lg_u64 vcc, exec
	v_mov_b32_e32 v62, v30
	s_cbranch_scc1 .LBB1923_127
; %bb.121:                              ;   in Loop: Header=BB1923_120 Depth=1
	v_lshlrev_b64 v[30:31], 4, v[34:35]
	v_mov_b32_e32 v32, s45
	v_add_co_u32_e32 v36, vcc, s44, v30
	v_addc_co_u32_e32 v37, vcc, v32, v31, vcc
	;;#ASMSTART
	global_load_dwordx4 v[30:33], v[36:37] off glc	
s_waitcnt vmcnt(0)
	;;#ASMEND
	v_and_b32_e32 v33, 0xff0000, v30
	v_or_b32_sdwa v33, v30, v33 dst_sel:DWORD dst_unused:UNUSED_PAD src0_sel:WORD_0 src1_sel:DWORD
	v_and_b32_e32 v30, 0xff000000, v30
	v_and_b32_e32 v31, 0xff, v31
	v_or3_b32 v31, 0, 0, v31
	v_or3_b32 v30, v33, v30, 0
	v_cmp_eq_u16_sdwa s[40:41], v32, v35 src0_sel:BYTE_0 src1_sel:DWORD
	s_and_saveexec_b64 s[30:31], s[40:41]
	s_cbranch_execz .LBB1923_119
; %bb.122:                              ;   in Loop: Header=BB1923_120 Depth=1
	s_mov_b32 s49, 1
	s_mov_b64 s[40:41], 0
.LBB1923_123:                           ;   Parent Loop BB1923_120 Depth=1
                                        ; =>  This Loop Header: Depth=2
                                        ;       Child Loop BB1923_124 Depth 3
	s_max_u32 s55, s49, 1
.LBB1923_124:                           ;   Parent Loop BB1923_120 Depth=1
                                        ;     Parent Loop BB1923_123 Depth=2
                                        ; =>    This Inner Loop Header: Depth=3
	s_add_i32 s55, s55, -1
	s_cmp_eq_u32 s55, 0
	s_sleep 1
	s_cbranch_scc0 .LBB1923_124
; %bb.125:                              ;   in Loop: Header=BB1923_123 Depth=2
	s_cmp_lt_u32 s49, 32
	s_cselect_b64 s[56:57], -1, 0
	s_cmp_lg_u64 s[56:57], 0
	s_addc_u32 s49, s49, 0
	;;#ASMSTART
	global_load_dwordx4 v[30:33], v[36:37] off glc	
s_waitcnt vmcnt(0)
	;;#ASMEND
	v_cmp_ne_u16_sdwa s[56:57], v32, v35 src0_sel:BYTE_0 src1_sel:DWORD
	s_or_b64 s[40:41], s[56:57], s[40:41]
	s_andn2_b64 exec, exec, s[40:41]
	s_cbranch_execnz .LBB1923_123
; %bb.126:                              ;   in Loop: Header=BB1923_120 Depth=1
	s_or_b64 exec, exec, s[40:41]
	v_and_b32_e32 v31, 0xff, v31
	s_branch .LBB1923_119
.LBB1923_127:                           ;   in Loop: Header=BB1923_120 Depth=1
                                        ; implicit-def: $vgpr31
                                        ; implicit-def: $vgpr30
                                        ; implicit-def: $vgpr32
	s_cbranch_execz .LBB1923_120
; %bb.128:
	s_and_saveexec_b64 s[30:31], s[28:29]
	s_cbranch_execz .LBB1923_130
; %bb.129:
	s_and_b32 s38, s48, 0xff
	s_cmp_eq_u32 s38, 0
	s_cselect_b64 vcc, -1, 0
	s_bitcmp1_b32 s48, 0
	s_mov_b32 s39, 0
	s_cselect_b64 s[40:41], -1, 0
	s_add_i32 s38, s47, 64
	s_lshl_b64 s[38:39], s[38:39], 4
	v_cndmask_b32_e32 v27, 0, v62, vcc
	s_add_u32 s38, s44, s38
	v_add_u32_e32 v26, v27, v26
	v_and_b32_e32 v27, 1, v48
	s_addc_u32 s39, s45, s39
	v_mov_b32_e32 v29, 0
	v_cndmask_b32_e64 v27, v27, 1, s[40:41]
	v_mov_b32_e32 v28, 2
	v_pk_mov_b32 v[30:31], s[38:39], s[38:39] op_sel:[0,1]
	;;#ASMSTART
	global_store_dwordx4 v[30:31], v[26:29] off	
s_waitcnt vmcnt(0)
	;;#ASMEND
.LBB1923_130:
	s_or_b64 exec, exec, s[30:31]
	s_and_b64 exec, exec, s[0:1]
	s_cbranch_execz .LBB1923_132
; %bb.131:
	v_mov_b32_e32 v26, 0
	ds_write_b32 v26, v62 offset:24
	ds_write_b8 v26, v48 offset:28
.LBB1923_132:
	s_or_b64 exec, exec, s[36:37]
	v_mov_b32_e32 v28, 0
	s_waitcnt lgkmcnt(0)
	s_barrier
	ds_read_b32 v26, v28 offset:24
	v_cndmask_b32_e64 v27, v47, v45, s[28:29]
	v_cmp_eq_u16_sdwa vcc, v27, v28 src0_sel:BYTE_0 src1_sel:DWORD
	v_cndmask_b32_e64 v29, v46, v44, s[28:29]
	s_waitcnt lgkmcnt(0)
	v_cndmask_b32_e32 v27, 0, v26, vcc
	v_add_u32_e32 v27, v27, v29
	v_and_b32_e32 v29, 0xff, v41
	v_cndmask_b32_e64 v26, v27, v26, s[0:1]
	v_cmp_eq_u64_e32 vcc, 0, v[28:29]
	v_cndmask_b32_e32 v27, 0, v26, vcc
	v_add_u32_e32 v27, v27, v40
	v_cndmask_b32_e64 v28, 0, v27, s[4:5]
	v_add_u32_e32 v44, v28, v8
	v_cndmask_b32_e64 v28, 0, v44, s[6:7]
	;; [unrolled: 2-line block ×12, first 2 shown]
	v_add_u32_e32 v51, v28, v24
	s_branch .LBB1923_147
.LBB1923_133:
                                        ; implicit-def: $vgpr51
                                        ; implicit-def: $vgpr49
                                        ; implicit-def: $vgpr47
                                        ; implicit-def: $vgpr45
                                        ; implicit-def: $vgpr34_vgpr35_vgpr36_vgpr37
                                        ; implicit-def: $vgpr30_vgpr31_vgpr32_vgpr33
                                        ; implicit-def: $vgpr26_vgpr27_vgpr28_vgpr29
	s_cbranch_execz .LBB1923_147
; %bb.134:
	s_cmp_lg_u64 s[52:53], 0
	s_cselect_b32 s5, s51, 0
	s_cselect_b32 s4, s50, 0
	s_mov_b32 s26, 0
	s_cmp_eq_u64 s[4:5], 0
	v_mov_b32_e32 v32, s54
	s_cbranch_scc1 .LBB1923_136
; %bb.135:
	v_mov_b32_e32 v26, 0
	global_load_dword v32, v26, s[4:5]
.LBB1923_136:
	s_mov_b32 s27, 1
	v_cmp_gt_u64_e32 vcc, s[26:27], v[8:9]
	v_cndmask_b32_e32 v27, 0, v40, vcc
	v_add_u32_e32 v27, v27, v8
	v_cmp_gt_u64_e64 s[4:5], s[26:27], v[6:7]
	v_cndmask_b32_e64 v27, 0, v27, s[4:5]
	v_add_u32_e32 v27, v27, v6
	v_cmp_gt_u64_e64 s[6:7], s[26:27], v[4:5]
	v_cndmask_b32_e64 v27, 0, v27, s[6:7]
	;; [unrolled: 3-line block ×11, first 2 shown]
	v_mov_b32_e32 v26, 0
	v_add_u32_e32 v27, v27, v24
	v_cmp_gt_u64_e64 s[26:27], s[26:27], v[42:43]
	v_or3_b32 v7, v23, v15, v7
	v_cndmask_b32_e64 v27, 0, v27, s[26:27]
	v_or3_b32 v9, v25, v17, v9
	v_and_b32_e32 v35, 1, v7
	v_mov_b32_e32 v34, v26
	v_add_u32_e32 v33, v27, v42
	v_and_b32_e32 v27, 1, v43
	v_or3_b32 v3, v19, v11, v3
	v_and_b32_e32 v31, 1, v9
	v_mov_b32_e32 v30, v26
	v_cmp_ne_u64_e64 s[28:29], 0, v[34:35]
	v_cmp_eq_u32_e64 s[26:27], 1, v27
	v_or3_b32 v5, v21, v13, v5
	v_and_b32_e32 v27, 1, v3
	v_cndmask_b32_e64 v3, 0, 1, s[28:29]
	v_cmp_ne_u64_e64 s[28:29], 0, v[30:31]
	v_and_b32_e32 v29, 1, v5
	v_mov_b32_e32 v28, v26
	v_cndmask_b32_e64 v5, 0, 1, s[28:29]
	v_lshlrev_b16_e32 v3, 2, v3
	v_lshlrev_b16_e32 v5, 3, v5
	v_cmp_ne_u64_e64 s[28:29], 0, v[28:29]
	v_or_b32_e32 v3, v5, v3
	v_cndmask_b32_e64 v5, 0, 1, s[28:29]
	v_cmp_ne_u64_e64 s[28:29], 0, v[26:27]
	v_lshlrev_b16_e32 v5, 1, v5
	v_cndmask_b32_e64 v7, 0, 1, s[28:29]
	v_or_b32_e32 v5, v7, v5
	v_and_b32_e32 v5, 3, v5
	v_or_b32_e32 v3, v5, v3
	v_and_b32_e32 v3, 15, v3
	v_cmp_ne_u16_e64 s[28:29], 0, v3
	s_or_b64 s[26:27], s[26:27], s[28:29]
	v_cndmask_b32_e64 v5, v41, 1, s[26:27]
	v_and_b32_e32 v7, 0xff, v5
	v_mov_b32_dpp v11, v33 row_shr:1 row_mask:0xf bank_mask:0xf
	v_cmp_eq_u16_e64 s[26:27], 0, v7
	v_mov_b32_dpp v13, v7 row_shr:1 row_mask:0xf bank_mask:0xf
	v_and_b32_e32 v15, 1, v5
	v_mbcnt_hi_u32_b32 v3, -1, v54
	v_cndmask_b32_e64 v11, 0, v11, s[26:27]
	v_and_b32_e32 v13, 1, v13
	v_cmp_eq_u32_e64 s[26:27], 1, v15
	v_and_b32_e32 v9, 15, v3
	v_cndmask_b32_e64 v13, v13, 1, s[26:27]
	v_and_b32_e32 v15, 0xffff, v13
	v_cmp_eq_u32_e64 s[26:27], 0, v9
	v_cndmask_b32_e64 v5, v13, v5, s[26:27]
	v_cndmask_b32_e64 v7, v15, v7, s[26:27]
	v_and_b32_e32 v17, 1, v5
	v_cndmask_b32_e64 v11, v11, 0, s[26:27]
	v_mov_b32_dpp v15, v7 row_shr:2 row_mask:0xf bank_mask:0xf
	v_and_b32_e32 v15, 1, v15
	v_cmp_eq_u32_e64 s[26:27], 1, v17
	v_cndmask_b32_e64 v15, v15, 1, s[26:27]
	v_and_b32_e32 v17, 0xffff, v15
	v_cmp_lt_u32_e64 s[26:27], 1, v9
	v_add_u32_e32 v11, v11, v33
	v_cmp_eq_u16_sdwa s[28:29], v5, v26 src0_sel:BYTE_0 src1_sel:DWORD
	v_cndmask_b32_e64 v5, v5, v15, s[26:27]
	v_cndmask_b32_e64 v7, v7, v17, s[26:27]
	v_mov_b32_dpp v13, v11 row_shr:2 row_mask:0xf bank_mask:0xf
	s_and_b64 s[26:27], s[26:27], s[28:29]
	v_mov_b32_dpp v15, v7 row_shr:4 row_mask:0xf bank_mask:0xf
	v_and_b32_e32 v17, 1, v5
	v_cndmask_b32_e64 v13, 0, v13, s[26:27]
	v_and_b32_e32 v15, 1, v15
	v_cmp_eq_u32_e64 s[26:27], 1, v17
	v_cndmask_b32_e64 v15, v15, 1, s[26:27]
	v_and_b32_e32 v17, 0xffff, v15
	v_cmp_lt_u32_e64 s[26:27], 3, v9
	v_add_u32_e32 v11, v13, v11
	v_cmp_eq_u16_sdwa s[28:29], v5, v26 src0_sel:BYTE_0 src1_sel:DWORD
	v_cndmask_b32_e64 v5, v5, v15, s[26:27]
	v_cndmask_b32_e64 v7, v7, v17, s[26:27]
	v_mov_b32_dpp v13, v11 row_shr:4 row_mask:0xf bank_mask:0xf
	s_and_b64 s[26:27], s[26:27], s[28:29]
	v_mov_b32_dpp v15, v7 row_shr:8 row_mask:0xf bank_mask:0xf
	v_and_b32_e32 v17, 1, v5
	v_cndmask_b32_e64 v13, 0, v13, s[26:27]
	v_and_b32_e32 v15, 1, v15
	v_cmp_eq_u32_e64 s[26:27], 1, v17
	v_cndmask_b32_e64 v15, v15, 1, s[26:27]
	v_add_u32_e32 v11, v13, v11
	v_cmp_eq_u16_sdwa s[28:29], v5, v26 src0_sel:BYTE_0 src1_sel:DWORD
	v_and_b32_e32 v17, 0xffff, v15
	v_cmp_lt_u32_e64 s[26:27], 7, v9
	v_mov_b32_dpp v13, v11 row_shr:8 row_mask:0xf bank_mask:0xf
	v_cndmask_b32_e64 v5, v5, v15, s[26:27]
	v_cndmask_b32_e64 v7, v7, v17, s[26:27]
	s_and_b64 s[26:27], s[26:27], s[28:29]
	v_cndmask_b32_e64 v9, 0, v13, s[26:27]
	v_add_u32_e32 v9, v9, v11
	v_mov_b32_dpp v13, v7 row_bcast:15 row_mask:0xf bank_mask:0xf
	v_cmp_eq_u16_sdwa s[26:27], v5, v26 src0_sel:BYTE_0 src1_sel:DWORD
	v_mov_b32_dpp v11, v9 row_bcast:15 row_mask:0xf bank_mask:0xf
	v_and_b32_e32 v19, 1, v5
	v_cndmask_b32_e64 v11, 0, v11, s[26:27]
	v_and_b32_e32 v13, 1, v13
	v_cmp_eq_u32_e64 s[26:27], 1, v19
	v_and_b32_e32 v17, 16, v3
	v_cndmask_b32_e64 v13, v13, 1, s[26:27]
	v_and_b32_e32 v19, 0xffff, v13
	v_cmp_eq_u32_e64 s[26:27], 0, v17
	v_cndmask_b32_e64 v5, v13, v5, s[26:27]
	v_cndmask_b32_e64 v7, v19, v7, s[26:27]
	v_bfe_i32 v15, v3, 4, 1
	v_and_b32_e32 v13, 1, v5
	v_mov_b32_dpp v7, v7 row_bcast:31 row_mask:0xf bank_mask:0xf
	v_and_b32_e32 v11, v15, v11
	v_and_b32_e32 v7, 1, v7
	v_cmp_eq_u32_e64 s[26:27], 1, v13
	v_add_u32_e32 v9, v11, v9
	v_cmp_eq_u16_sdwa s[28:29], v5, v26 src0_sel:BYTE_0 src1_sel:DWORD
	v_cndmask_b32_e64 v7, v7, 1, s[26:27]
	v_cmp_lt_u32_e64 s[26:27], 31, v3
	v_mov_b32_dpp v11, v9 row_bcast:31 row_mask:0xf bank_mask:0xf
	v_cndmask_b32_e64 v5, v5, v7, s[26:27]
	s_and_b64 s[26:27], s[26:27], s[28:29]
	v_cndmask_b32_e64 v7, 0, v11, s[26:27]
	v_add_u32_e32 v7, v7, v9
	v_cmp_eq_u32_e64 s[26:27], v53, v0
	s_and_saveexec_b64 s[28:29], s[26:27]
	s_cbranch_execz .LBB1923_138
; %bb.137:
	v_lshlrev_b32_e32 v9, 3, v1
	ds_write_b32 v9, v7
	ds_write_b8 v9, v5 offset:4
.LBB1923_138:
	s_or_b64 exec, exec, s[28:29]
	v_cmp_gt_u32_e64 s[26:27], 4, v0
	s_waitcnt lgkmcnt(0)
	s_barrier
	s_and_saveexec_b64 s[28:29], s[26:27]
	s_cbranch_execz .LBB1923_142
; %bb.139:
	v_lshlrev_b32_e32 v9, 3, v0
	ds_read_b64 v[26:27], v9
	v_and_b32_e32 v11, 3, v3
	v_cmp_ne_u32_e64 s[26:27], 0, v11
	s_waitcnt lgkmcnt(0)
	v_mov_b32_dpp v13, v26 row_shr:1 row_mask:0xf bank_mask:0xf
	v_mov_b32_dpp v17, v27 row_shr:1 row_mask:0xf bank_mask:0xf
	v_mov_b32_e32 v15, v27
	s_and_saveexec_b64 s[30:31], s[26:27]
	s_cbranch_execz .LBB1923_141
; %bb.140:
	v_and_b32_e32 v15, 1, v27
	v_and_b32_e32 v17, 1, v17
	v_cmp_eq_u32_e64 s[26:27], 1, v15
	v_mov_b32_e32 v15, 0
	v_cndmask_b32_e64 v17, v17, 1, s[26:27]
	v_cmp_eq_u16_sdwa s[26:27], v27, v15 src0_sel:BYTE_0 src1_sel:DWORD
	v_cndmask_b32_e64 v13, 0, v13, s[26:27]
	v_add_u32_e32 v26, v13, v26
	v_and_b32_e32 v13, 0xffff, v17
	s_movk_i32 s26, 0xff00
	v_and_or_b32 v15, v27, s26, v13
	v_mov_b32_e32 v27, v17
.LBB1923_141:
	s_or_b64 exec, exec, s[30:31]
	v_mov_b32_dpp v15, v15 row_shr:2 row_mask:0xf bank_mask:0xf
	v_and_b32_e32 v17, 1, v27
	v_and_b32_e32 v15, 1, v15
	v_cmp_eq_u32_e64 s[26:27], 1, v17
	v_mov_b32_e32 v17, 0
	v_cndmask_b32_e64 v15, v15, 1, s[26:27]
	v_cmp_eq_u16_sdwa s[30:31], v27, v17 src0_sel:BYTE_0 src1_sel:DWORD
	v_cmp_lt_u32_e64 s[26:27], 1, v11
	v_mov_b32_dpp v13, v26 row_shr:2 row_mask:0xf bank_mask:0xf
	v_cndmask_b32_e64 v11, v27, v15, s[26:27]
	s_and_b64 s[26:27], s[26:27], s[30:31]
	v_cndmask_b32_e64 v13, 0, v13, s[26:27]
	v_add_u32_e32 v13, v13, v26
	ds_write_b32 v9, v13
	ds_write_b8 v9, v11 offset:4
.LBB1923_142:
	s_or_b64 exec, exec, s[28:29]
	v_cmp_lt_u32_e64 s[26:27], 63, v0
	s_waitcnt vmcnt(0)
	v_mov_b32_e32 v9, v32
	s_waitcnt lgkmcnt(0)
	s_barrier
	s_and_saveexec_b64 s[28:29], s[26:27]
	s_cbranch_execz .LBB1923_144
; %bb.143:
	v_lshl_add_u32 v1, v1, 3, -8
	ds_read_u8 v9, v1 offset:4
	ds_read_b32 v1, v1
	s_waitcnt lgkmcnt(1)
	v_cmp_eq_u16_e64 s[26:27], 0, v9
	v_cndmask_b32_e64 v9, 0, v32, s[26:27]
	s_waitcnt lgkmcnt(0)
	v_add_u32_e32 v9, v9, v1
.LBB1923_144:
	s_or_b64 exec, exec, s[28:29]
	v_mov_b32_e32 v28, 0
	v_cmp_eq_u16_sdwa s[26:27], v5, v28 src0_sel:BYTE_0 src1_sel:DWORD
	v_cndmask_b32_e64 v1, 0, v9, s[26:27]
	v_add_u32_e32 v1, v1, v7
	v_add_u32_e32 v5, -1, v3
	v_and_b32_e32 v7, 64, v3
	v_cmp_lt_i32_e64 s[26:27], v5, v7
	v_cndmask_b32_e64 v5, v5, v3, s[26:27]
	v_lshlrev_b32_e32 v5, 2, v5
	ds_bpermute_b32 v1, v5, v1
	v_cmp_eq_u32_e64 s[26:27], 0, v3
	v_and_b32_e32 v29, 0xff, v41
	s_waitcnt lgkmcnt(0)
	v_cndmask_b32_e64 v26, v1, v9, s[26:27]
	v_cndmask_b32_e64 v1, v26, v32, s[0:1]
	v_cmp_eq_u64_e64 s[26:27], 0, v[28:29]
	v_cndmask_b32_e64 v1, 0, v1, s[26:27]
	v_add_u32_e32 v27, v1, v40
	v_cndmask_b32_e32 v1, 0, v27, vcc
	v_add_u32_e32 v44, v1, v8
	v_cndmask_b32_e64 v1, 0, v44, s[4:5]
	v_add_u32_e32 v45, v1, v6
	v_cndmask_b32_e64 v1, 0, v45, s[6:7]
	;; [unrolled: 2-line block ×11, first 2 shown]
	s_and_saveexec_b64 s[4:5], s[0:1]
	s_cbranch_execz .LBB1923_146
; %bb.145:
	ds_read_u8 v3, v28 offset:28
	ds_read_b32 v2, v28 offset:24
	s_add_u32 s0, s44, 0x400
	s_addc_u32 s1, s45, 0
	v_mov_b32_e32 v5, v28
	s_waitcnt lgkmcnt(1)
	v_cmp_eq_u16_e32 vcc, 0, v3
	v_cndmask_b32_e32 v4, 0, v32, vcc
	s_waitcnt lgkmcnt(0)
	v_add_u32_e32 v2, v4, v2
	v_and_b32_e32 v3, 0xffff, v3
	v_mov_b32_e32 v4, 2
	v_pk_mov_b32 v[6:7], s[0:1], s[0:1] op_sel:[0,1]
	;;#ASMSTART
	global_store_dwordx4 v[6:7], v[2:5] off	
s_waitcnt vmcnt(0)
	;;#ASMEND
	v_mov_b32_e32 v26, v32
.LBB1923_146:
	s_or_b64 exec, exec, s[4:5]
	v_add_u32_e32 v51, v1, v24
.LBB1923_147:
	s_add_u32 s0, s42, s34
	s_addc_u32 s1, s43, s35
	v_mov_b32_e32 v1, s1
	v_add_co_u32_e32 v18, vcc, s0, v38
	v_addc_co_u32_e32 v19, vcc, v1, v39, vcc
	v_mul_u32_u24_e32 v20, 14, v0
	s_and_b64 vcc, exec, s[2:3]
	s_cbranch_vccz .LBB1923_199
; %bb.148:
	s_add_i32 s33, s33, s46
	v_cmp_gt_u32_e32 vcc, s33, v20
	v_mov_b32_e32 v1, 0
	v_mov_b32_e32 v5, 0
	;; [unrolled: 1-line block ×15, first 2 shown]
	s_and_saveexec_b64 s[2:3], vcc
	s_cbranch_execz .LBB1923_172
; %bb.149:
	v_or_b32_e32 v2, 1, v20
	v_cmp_gt_u32_e32 vcc, s33, v2
	v_mov_b32_e32 v3, 0
	v_mov_b32_e32 v2, 0
	;; [unrolled: 1-line block ×13, first 2 shown]
	s_and_saveexec_b64 s[4:5], vcc
	s_cbranch_execz .LBB1923_171
; %bb.150:
	v_add_u32_e32 v2, 2, v20
	v_cmp_gt_u32_e32 vcc, s33, v2
	v_mov_b32_e32 v3, 0
	v_mov_b32_e32 v2, 0
	;; [unrolled: 1-line block ×12, first 2 shown]
	s_and_saveexec_b64 s[6:7], vcc
	s_cbranch_execz .LBB1923_170
; %bb.151:
	v_add_u32_e32 v2, 3, v20
	v_cmp_gt_u32_e32 vcc, s33, v2
	v_mov_b32_e32 v3, 0
	v_mov_b32_e32 v2, 0
	;; [unrolled: 1-line block ×11, first 2 shown]
	s_and_saveexec_b64 s[8:9], vcc
	s_cbranch_execz .LBB1923_169
; %bb.152:
	v_add_u32_e32 v2, 4, v20
	v_cmp_gt_u32_e32 vcc, s33, v2
	v_mov_b32_e32 v3, 0
	v_mov_b32_e32 v2, 0
	;; [unrolled: 1-line block ×10, first 2 shown]
	s_and_saveexec_b64 s[10:11], vcc
	s_cbranch_execz .LBB1923_168
; %bb.153:
	v_add_u32_e32 v2, 5, v20
	v_cmp_gt_u32_e32 vcc, s33, v2
	v_mov_b32_e32 v3, 0
	v_mov_b32_e32 v2, 0
	;; [unrolled: 1-line block ×9, first 2 shown]
	s_and_saveexec_b64 s[12:13], vcc
	s_cbranch_execz .LBB1923_167
; %bb.154:
	v_add_u32_e32 v2, 6, v20
	v_cmp_gt_u32_e32 vcc, s33, v2
	v_mov_b32_e32 v3, 0
	v_mov_b32_e32 v2, 0
	;; [unrolled: 1-line block ×8, first 2 shown]
	s_and_saveexec_b64 s[14:15], vcc
	s_cbranch_execz .LBB1923_166
; %bb.155:
	v_add_u32_e32 v2, 7, v20
	v_cmp_gt_u32_e32 vcc, s33, v2
	v_mov_b32_e32 v3, 0
	v_mov_b32_e32 v2, 0
	;; [unrolled: 1-line block ×7, first 2 shown]
	s_and_saveexec_b64 s[16:17], vcc
	s_cbranch_execz .LBB1923_165
; %bb.156:
	v_add_u32_e32 v2, 8, v20
	v_cmp_gt_u32_e32 vcc, s33, v2
	v_mov_b32_e32 v3, 0
	v_mov_b32_e32 v2, 0
	;; [unrolled: 1-line block ×6, first 2 shown]
	s_and_saveexec_b64 s[18:19], vcc
	s_cbranch_execz .LBB1923_164
; %bb.157:
	v_add_u32_e32 v2, 9, v20
	v_cmp_gt_u32_e32 vcc, s33, v2
	v_mov_b32_e32 v3, 0
	v_mov_b32_e32 v2, 0
	v_mov_b32_e32 v7, 0
	v_mov_b32_e32 v4, 0
	v_mov_b32_e32 v5, 0
	s_and_saveexec_b64 s[20:21], vcc
	s_cbranch_execz .LBB1923_163
; %bb.158:
	v_add_u32_e32 v2, 10, v20
	v_cmp_gt_u32_e32 vcc, s33, v2
	v_mov_b32_e32 v3, 0
	v_mov_b32_e32 v2, 0
	;; [unrolled: 1-line block ×4, first 2 shown]
	s_and_saveexec_b64 s[22:23], vcc
	s_cbranch_execz .LBB1923_162
; %bb.159:
	v_add_u32_e32 v2, 11, v20
	v_cmp_gt_u32_e32 vcc, s33, v2
	v_mov_b32_e32 v3, 0
	v_mov_b32_e32 v4, 0
	;; [unrolled: 1-line block ×3, first 2 shown]
	s_and_saveexec_b64 s[24:25], vcc
; %bb.160:
	v_add_u32_e32 v2, 12, v20
	v_cmp_gt_u32_e32 vcc, s33, v2
	v_add_u32_e32 v2, 13, v20
	v_cmp_gt_u32_e64 s[0:1], s33, v2
	v_cndmask_b32_e32 v4, 0, v50, vcc
	s_and_b64 vcc, vcc, s[0:1]
	v_cndmask_b32_e32 v5, 0, v51, vcc
	v_mov_b32_e32 v3, v49
; %bb.161:
	s_or_b64 exec, exec, s[24:25]
	v_mov_b32_e32 v2, v48
.LBB1923_162:
	s_or_b64 exec, exec, s[22:23]
	v_mov_b32_e32 v7, v35
.LBB1923_163:
	s_or_b64 exec, exec, s[20:21]
	v_mov_b32_e32 v6, v34
.LBB1923_164:
	s_or_b64 exec, exec, s[18:19]
	v_mov_b32_e32 v9, v47
.LBB1923_165:
	s_or_b64 exec, exec, s[16:17]
	v_mov_b32_e32 v8, v46
.LBB1923_166:
	s_or_b64 exec, exec, s[14:15]
	v_mov_b32_e32 v11, v31
.LBB1923_167:
	s_or_b64 exec, exec, s[12:13]
	v_mov_b32_e32 v10, v30
.LBB1923_168:
	s_or_b64 exec, exec, s[10:11]
	v_mov_b32_e32 v13, v45
.LBB1923_169:
	s_or_b64 exec, exec, s[8:9]
	v_mov_b32_e32 v12, v44
.LBB1923_170:
	s_or_b64 exec, exec, s[6:7]
	v_mov_b32_e32 v15, v27
.LBB1923_171:
	s_or_b64 exec, exec, s[4:5]
	v_mov_b32_e32 v14, v26
.LBB1923_172:
	s_or_b64 exec, exec, s[2:3]
	v_lshlrev_b32_e32 v21, 2, v20
	s_movk_i32 s0, 0xffcc
	s_barrier
	ds_write2_b64 v21, v[14:15], v[12:13] offset1:1
	ds_write2_b64 v21, v[10:11], v[8:9] offset0:2 offset1:3
	ds_write2_b64 v21, v[6:7], v[2:3] offset0:4 offset1:5
	ds_write_b64 v21, v[4:5] offset:48
	v_mad_i32_i24 v2, v0, s0, v21
	s_waitcnt lgkmcnt(0)
	s_barrier
	ds_read2st64_b32 v[16:17], v2 offset0:4 offset1:8
	ds_read2st64_b32 v[14:15], v2 offset0:12 offset1:16
	;; [unrolled: 1-line block ×6, first 2 shown]
	ds_read_b32 v3, v2 offset:13312
	v_add_co_u32_e32 v6, vcc, v18, v52
	v_addc_co_u32_e32 v7, vcc, 0, v19, vcc
	v_cmp_gt_u32_e32 vcc, s33, v0
	s_and_saveexec_b64 s[0:1], vcc
	s_cbranch_execz .LBB1923_174
; %bb.173:
	v_mul_i32_i24_e32 v2, 0xffffffcc, v0
	v_add_u32_e32 v2, v21, v2
	ds_read_b32 v2, v2
	s_waitcnt lgkmcnt(0)
	flat_store_dword v[6:7], v2
.LBB1923_174:
	s_or_b64 exec, exec, s[0:1]
	v_or_b32_e32 v2, 0x100, v0
	v_cmp_gt_u32_e32 vcc, s33, v2
	s_and_saveexec_b64 s[0:1], vcc
	s_cbranch_execz .LBB1923_176
; %bb.175:
	s_waitcnt lgkmcnt(0)
	flat_store_dword v[6:7], v16 offset:1024
.LBB1923_176:
	s_or_b64 exec, exec, s[0:1]
	v_or_b32_e32 v2, 0x200, v0
	v_cmp_gt_u32_e32 vcc, s33, v2
	s_and_saveexec_b64 s[0:1], vcc
	s_cbranch_execz .LBB1923_178
; %bb.177:
	s_waitcnt lgkmcnt(0)
	flat_store_dword v[6:7], v17 offset:2048
.LBB1923_178:
	;; [unrolled: 9-line block ×3, first 2 shown]
	s_or_b64 exec, exec, s[0:1]
	v_or_b32_e32 v2, 0x400, v0
	v_cmp_gt_u32_e32 vcc, s33, v2
	s_and_saveexec_b64 s[0:1], vcc
	s_cbranch_execz .LBB1923_182
; %bb.181:
	s_waitcnt lgkmcnt(0)
	v_add_co_u32_e32 v16, vcc, 0x1000, v6
	v_addc_co_u32_e32 v17, vcc, 0, v7, vcc
	flat_store_dword v[16:17], v15
.LBB1923_182:
	s_or_b64 exec, exec, s[0:1]
	v_or_b32_e32 v2, 0x500, v0
	v_cmp_gt_u32_e32 vcc, s33, v2
	s_and_saveexec_b64 s[0:1], vcc
	s_cbranch_execz .LBB1923_184
; %bb.183:
	s_waitcnt lgkmcnt(0)
	v_add_co_u32_e32 v14, vcc, 0x1000, v6
	v_addc_co_u32_e32 v15, vcc, 0, v7, vcc
	flat_store_dword v[14:15], v12 offset:1024
.LBB1923_184:
	s_or_b64 exec, exec, s[0:1]
	v_or_b32_e32 v2, 0x600, v0
	v_cmp_gt_u32_e32 vcc, s33, v2
	s_and_saveexec_b64 s[0:1], vcc
	s_cbranch_execz .LBB1923_186
; %bb.185:
	s_waitcnt lgkmcnt(0)
	v_add_co_u32_e32 v14, vcc, 0x1000, v6
	v_addc_co_u32_e32 v15, vcc, 0, v7, vcc
	flat_store_dword v[14:15], v13 offset:2048
.LBB1923_186:
	;; [unrolled: 11-line block ×3, first 2 shown]
	s_or_b64 exec, exec, s[0:1]
	v_or_b32_e32 v2, 0x800, v0
	v_cmp_gt_u32_e32 vcc, s33, v2
	s_and_saveexec_b64 s[0:1], vcc
	s_cbranch_execz .LBB1923_190
; %bb.189:
	s_waitcnt lgkmcnt(0)
	v_add_co_u32_e32 v12, vcc, 0x2000, v6
	v_addc_co_u32_e32 v13, vcc, 0, v7, vcc
	flat_store_dword v[12:13], v11
.LBB1923_190:
	s_or_b64 exec, exec, s[0:1]
	v_or_b32_e32 v2, 0x900, v0
	v_cmp_gt_u32_e32 vcc, s33, v2
	s_and_saveexec_b64 s[0:1], vcc
	s_cbranch_execz .LBB1923_192
; %bb.191:
	s_waitcnt lgkmcnt(0)
	v_add_co_u32_e32 v10, vcc, 0x2000, v6
	v_addc_co_u32_e32 v11, vcc, 0, v7, vcc
	flat_store_dword v[10:11], v8 offset:1024
.LBB1923_192:
	s_or_b64 exec, exec, s[0:1]
	v_or_b32_e32 v2, 0xa00, v0
	v_cmp_gt_u32_e32 vcc, s33, v2
	s_and_saveexec_b64 s[0:1], vcc
	s_cbranch_execz .LBB1923_194
; %bb.193:
	s_waitcnt lgkmcnt(0)
	v_add_co_u32_e32 v10, vcc, 0x2000, v6
	v_addc_co_u32_e32 v11, vcc, 0, v7, vcc
	flat_store_dword v[10:11], v9 offset:2048
.LBB1923_194:
	;; [unrolled: 11-line block ×3, first 2 shown]
	s_or_b64 exec, exec, s[0:1]
	v_or_b32_e32 v2, 0xc00, v0
	v_cmp_gt_u32_e32 vcc, s33, v2
	s_and_saveexec_b64 s[0:1], vcc
	s_cbranch_execz .LBB1923_198
; %bb.197:
	v_add_co_u32_e32 v6, vcc, 0x3000, v6
	v_addc_co_u32_e32 v7, vcc, 0, v7, vcc
	s_waitcnt lgkmcnt(0)
	flat_store_dword v[6:7], v5
.LBB1923_198:
	s_or_b64 exec, exec, s[0:1]
	v_or_b32_e32 v2, 0xd00, v0
	v_cmp_gt_u32_e64 s[0:1], s33, v2
	s_branch .LBB1923_201
.LBB1923_199:
	s_mov_b64 s[0:1], 0
                                        ; implicit-def: $vgpr3
	s_cbranch_execz .LBB1923_201
; %bb.200:
	v_lshlrev_b32_e32 v2, 2, v20
	s_movk_i32 s2, 0xffcc
	s_waitcnt lgkmcnt(0)
	s_barrier
	ds_write2_b64 v2, v[26:27], v[44:45] offset1:1
	ds_write2_b64 v2, v[30:31], v[46:47] offset0:2 offset1:3
	ds_write2_b64 v2, v[34:35], v[48:49] offset0:4 offset1:5
	ds_write_b64 v2, v[50:51] offset:48
	v_mad_i32_i24 v2, v0, s2, v2
	v_add_co_u32_e32 v16, vcc, v18, v52
	s_waitcnt lgkmcnt(0)
	s_barrier
	ds_read2st64_b32 v[4:5], v2 offset1:4
	ds_read2st64_b32 v[6:7], v2 offset0:8 offset1:12
	ds_read2st64_b32 v[8:9], v2 offset0:16 offset1:20
	;; [unrolled: 1-line block ×6, first 2 shown]
	v_addc_co_u32_e32 v17, vcc, 0, v19, vcc
	s_movk_i32 s2, 0x1000
	s_waitcnt lgkmcnt(0)
	flat_store_dword v[16:17], v4
	flat_store_dword v[16:17], v5 offset:1024
	flat_store_dword v[16:17], v6 offset:2048
	flat_store_dword v[16:17], v7 offset:3072
	v_add_co_u32_e32 v4, vcc, s2, v16
	v_addc_co_u32_e32 v5, vcc, 0, v17, vcc
	flat_store_dword v[4:5], v8
	flat_store_dword v[4:5], v9 offset:1024
	flat_store_dword v[4:5], v10 offset:2048
	;; [unrolled: 1-line block ×3, first 2 shown]
	v_add_co_u32_e32 v4, vcc, 0x2000, v16
	v_addc_co_u32_e32 v5, vcc, 0, v17, vcc
	flat_store_dword v[4:5], v12
	flat_store_dword v[4:5], v13 offset:1024
	flat_store_dword v[4:5], v14 offset:2048
	;; [unrolled: 1-line block ×3, first 2 shown]
	v_add_co_u32_e32 v4, vcc, 0x3000, v16
	v_mov_b32_e32 v1, 0
	v_addc_co_u32_e32 v5, vcc, 0, v17, vcc
	s_or_b64 s[0:1], s[0:1], exec
	flat_store_dword v[4:5], v2
.LBB1923_201:
	s_and_saveexec_b64 s[2:3], s[0:1]
	s_cbranch_execnz .LBB1923_203
; %bb.202:
	s_endpgm
.LBB1923_203:
	v_lshlrev_b64 v[0:1], 2, v[0:1]
	v_add_co_u32_e32 v0, vcc, v18, v0
	v_addc_co_u32_e32 v1, vcc, v19, v1, vcc
	v_add_co_u32_e32 v0, vcc, 0x3000, v0
	v_addc_co_u32_e32 v1, vcc, 0, v1, vcc
	s_waitcnt lgkmcnt(0)
	flat_store_dword v[0:1], v3 offset:1024
	s_endpgm
	.section	.rodata,"a",@progbits
	.p2align	6, 0x0
	.amdhsa_kernel _ZN7rocprim17ROCPRIM_400000_NS6detail17trampoline_kernelINS0_14default_configENS1_27scan_by_key_config_selectorIj11FixedVectorIiLj1EEEEZZNS1_16scan_by_key_implILNS1_25lookback_scan_determinismE0ELb1ES3_N6thrust23THRUST_200600_302600_NS6detail15normal_iteratorINSB_10device_ptrIjEEEENSD_INSE_IS6_EEEESI_S6_NSB_4plusIvEENSB_8equal_toIvEES6_EE10hipError_tPvRmT2_T3_T4_T5_mT6_T7_P12ihipStream_tbENKUlT_T0_E_clISt17integral_constantIbLb1EES13_EEDaSY_SZ_EUlSY_E_NS1_11comp_targetILNS1_3genE4ELNS1_11target_archE910ELNS1_3gpuE8ELNS1_3repE0EEENS1_30default_config_static_selectorELNS0_4arch9wavefront6targetE1EEEvT1_
		.amdhsa_group_segment_fixed_size 16384
		.amdhsa_private_segment_fixed_size 0
		.amdhsa_kernarg_size 112
		.amdhsa_user_sgpr_count 6
		.amdhsa_user_sgpr_private_segment_buffer 1
		.amdhsa_user_sgpr_dispatch_ptr 0
		.amdhsa_user_sgpr_queue_ptr 0
		.amdhsa_user_sgpr_kernarg_segment_ptr 1
		.amdhsa_user_sgpr_dispatch_id 0
		.amdhsa_user_sgpr_flat_scratch_init 0
		.amdhsa_user_sgpr_kernarg_preload_length 0
		.amdhsa_user_sgpr_kernarg_preload_offset 0
		.amdhsa_user_sgpr_private_segment_size 0
		.amdhsa_uses_dynamic_stack 0
		.amdhsa_system_sgpr_private_segment_wavefront_offset 0
		.amdhsa_system_sgpr_workgroup_id_x 1
		.amdhsa_system_sgpr_workgroup_id_y 0
		.amdhsa_system_sgpr_workgroup_id_z 0
		.amdhsa_system_sgpr_workgroup_info 0
		.amdhsa_system_vgpr_workitem_id 0
		.amdhsa_next_free_vgpr 67
		.amdhsa_next_free_sgpr 60
		.amdhsa_accum_offset 68
		.amdhsa_reserve_vcc 1
		.amdhsa_reserve_flat_scratch 0
		.amdhsa_float_round_mode_32 0
		.amdhsa_float_round_mode_16_64 0
		.amdhsa_float_denorm_mode_32 3
		.amdhsa_float_denorm_mode_16_64 3
		.amdhsa_dx10_clamp 1
		.amdhsa_ieee_mode 1
		.amdhsa_fp16_overflow 0
		.amdhsa_tg_split 0
		.amdhsa_exception_fp_ieee_invalid_op 0
		.amdhsa_exception_fp_denorm_src 0
		.amdhsa_exception_fp_ieee_div_zero 0
		.amdhsa_exception_fp_ieee_overflow 0
		.amdhsa_exception_fp_ieee_underflow 0
		.amdhsa_exception_fp_ieee_inexact 0
		.amdhsa_exception_int_div_zero 0
	.end_amdhsa_kernel
	.section	.text._ZN7rocprim17ROCPRIM_400000_NS6detail17trampoline_kernelINS0_14default_configENS1_27scan_by_key_config_selectorIj11FixedVectorIiLj1EEEEZZNS1_16scan_by_key_implILNS1_25lookback_scan_determinismE0ELb1ES3_N6thrust23THRUST_200600_302600_NS6detail15normal_iteratorINSB_10device_ptrIjEEEENSD_INSE_IS6_EEEESI_S6_NSB_4plusIvEENSB_8equal_toIvEES6_EE10hipError_tPvRmT2_T3_T4_T5_mT6_T7_P12ihipStream_tbENKUlT_T0_E_clISt17integral_constantIbLb1EES13_EEDaSY_SZ_EUlSY_E_NS1_11comp_targetILNS1_3genE4ELNS1_11target_archE910ELNS1_3gpuE8ELNS1_3repE0EEENS1_30default_config_static_selectorELNS0_4arch9wavefront6targetE1EEEvT1_,"axG",@progbits,_ZN7rocprim17ROCPRIM_400000_NS6detail17trampoline_kernelINS0_14default_configENS1_27scan_by_key_config_selectorIj11FixedVectorIiLj1EEEEZZNS1_16scan_by_key_implILNS1_25lookback_scan_determinismE0ELb1ES3_N6thrust23THRUST_200600_302600_NS6detail15normal_iteratorINSB_10device_ptrIjEEEENSD_INSE_IS6_EEEESI_S6_NSB_4plusIvEENSB_8equal_toIvEES6_EE10hipError_tPvRmT2_T3_T4_T5_mT6_T7_P12ihipStream_tbENKUlT_T0_E_clISt17integral_constantIbLb1EES13_EEDaSY_SZ_EUlSY_E_NS1_11comp_targetILNS1_3genE4ELNS1_11target_archE910ELNS1_3gpuE8ELNS1_3repE0EEENS1_30default_config_static_selectorELNS0_4arch9wavefront6targetE1EEEvT1_,comdat
.Lfunc_end1923:
	.size	_ZN7rocprim17ROCPRIM_400000_NS6detail17trampoline_kernelINS0_14default_configENS1_27scan_by_key_config_selectorIj11FixedVectorIiLj1EEEEZZNS1_16scan_by_key_implILNS1_25lookback_scan_determinismE0ELb1ES3_N6thrust23THRUST_200600_302600_NS6detail15normal_iteratorINSB_10device_ptrIjEEEENSD_INSE_IS6_EEEESI_S6_NSB_4plusIvEENSB_8equal_toIvEES6_EE10hipError_tPvRmT2_T3_T4_T5_mT6_T7_P12ihipStream_tbENKUlT_T0_E_clISt17integral_constantIbLb1EES13_EEDaSY_SZ_EUlSY_E_NS1_11comp_targetILNS1_3genE4ELNS1_11target_archE910ELNS1_3gpuE8ELNS1_3repE0EEENS1_30default_config_static_selectorELNS0_4arch9wavefront6targetE1EEEvT1_, .Lfunc_end1923-_ZN7rocprim17ROCPRIM_400000_NS6detail17trampoline_kernelINS0_14default_configENS1_27scan_by_key_config_selectorIj11FixedVectorIiLj1EEEEZZNS1_16scan_by_key_implILNS1_25lookback_scan_determinismE0ELb1ES3_N6thrust23THRUST_200600_302600_NS6detail15normal_iteratorINSB_10device_ptrIjEEEENSD_INSE_IS6_EEEESI_S6_NSB_4plusIvEENSB_8equal_toIvEES6_EE10hipError_tPvRmT2_T3_T4_T5_mT6_T7_P12ihipStream_tbENKUlT_T0_E_clISt17integral_constantIbLb1EES13_EEDaSY_SZ_EUlSY_E_NS1_11comp_targetILNS1_3genE4ELNS1_11target_archE910ELNS1_3gpuE8ELNS1_3repE0EEENS1_30default_config_static_selectorELNS0_4arch9wavefront6targetE1EEEvT1_
                                        ; -- End function
	.section	.AMDGPU.csdata,"",@progbits
; Kernel info:
; codeLenInByte = 11960
; NumSgprs: 64
; NumVgprs: 67
; NumAgprs: 0
; TotalNumVgprs: 67
; ScratchSize: 0
; MemoryBound: 0
; FloatMode: 240
; IeeeMode: 1
; LDSByteSize: 16384 bytes/workgroup (compile time only)
; SGPRBlocks: 7
; VGPRBlocks: 8
; NumSGPRsForWavesPerEU: 64
; NumVGPRsForWavesPerEU: 67
; AccumOffset: 68
; Occupancy: 4
; WaveLimiterHint : 1
; COMPUTE_PGM_RSRC2:SCRATCH_EN: 0
; COMPUTE_PGM_RSRC2:USER_SGPR: 6
; COMPUTE_PGM_RSRC2:TRAP_HANDLER: 0
; COMPUTE_PGM_RSRC2:TGID_X_EN: 1
; COMPUTE_PGM_RSRC2:TGID_Y_EN: 0
; COMPUTE_PGM_RSRC2:TGID_Z_EN: 0
; COMPUTE_PGM_RSRC2:TIDIG_COMP_CNT: 0
; COMPUTE_PGM_RSRC3_GFX90A:ACCUM_OFFSET: 16
; COMPUTE_PGM_RSRC3_GFX90A:TG_SPLIT: 0
	.section	.text._ZN7rocprim17ROCPRIM_400000_NS6detail17trampoline_kernelINS0_14default_configENS1_27scan_by_key_config_selectorIj11FixedVectorIiLj1EEEEZZNS1_16scan_by_key_implILNS1_25lookback_scan_determinismE0ELb1ES3_N6thrust23THRUST_200600_302600_NS6detail15normal_iteratorINSB_10device_ptrIjEEEENSD_INSE_IS6_EEEESI_S6_NSB_4plusIvEENSB_8equal_toIvEES6_EE10hipError_tPvRmT2_T3_T4_T5_mT6_T7_P12ihipStream_tbENKUlT_T0_E_clISt17integral_constantIbLb1EES13_EEDaSY_SZ_EUlSY_E_NS1_11comp_targetILNS1_3genE3ELNS1_11target_archE908ELNS1_3gpuE7ELNS1_3repE0EEENS1_30default_config_static_selectorELNS0_4arch9wavefront6targetE1EEEvT1_,"axG",@progbits,_ZN7rocprim17ROCPRIM_400000_NS6detail17trampoline_kernelINS0_14default_configENS1_27scan_by_key_config_selectorIj11FixedVectorIiLj1EEEEZZNS1_16scan_by_key_implILNS1_25lookback_scan_determinismE0ELb1ES3_N6thrust23THRUST_200600_302600_NS6detail15normal_iteratorINSB_10device_ptrIjEEEENSD_INSE_IS6_EEEESI_S6_NSB_4plusIvEENSB_8equal_toIvEES6_EE10hipError_tPvRmT2_T3_T4_T5_mT6_T7_P12ihipStream_tbENKUlT_T0_E_clISt17integral_constantIbLb1EES13_EEDaSY_SZ_EUlSY_E_NS1_11comp_targetILNS1_3genE3ELNS1_11target_archE908ELNS1_3gpuE7ELNS1_3repE0EEENS1_30default_config_static_selectorELNS0_4arch9wavefront6targetE1EEEvT1_,comdat
	.protected	_ZN7rocprim17ROCPRIM_400000_NS6detail17trampoline_kernelINS0_14default_configENS1_27scan_by_key_config_selectorIj11FixedVectorIiLj1EEEEZZNS1_16scan_by_key_implILNS1_25lookback_scan_determinismE0ELb1ES3_N6thrust23THRUST_200600_302600_NS6detail15normal_iteratorINSB_10device_ptrIjEEEENSD_INSE_IS6_EEEESI_S6_NSB_4plusIvEENSB_8equal_toIvEES6_EE10hipError_tPvRmT2_T3_T4_T5_mT6_T7_P12ihipStream_tbENKUlT_T0_E_clISt17integral_constantIbLb1EES13_EEDaSY_SZ_EUlSY_E_NS1_11comp_targetILNS1_3genE3ELNS1_11target_archE908ELNS1_3gpuE7ELNS1_3repE0EEENS1_30default_config_static_selectorELNS0_4arch9wavefront6targetE1EEEvT1_ ; -- Begin function _ZN7rocprim17ROCPRIM_400000_NS6detail17trampoline_kernelINS0_14default_configENS1_27scan_by_key_config_selectorIj11FixedVectorIiLj1EEEEZZNS1_16scan_by_key_implILNS1_25lookback_scan_determinismE0ELb1ES3_N6thrust23THRUST_200600_302600_NS6detail15normal_iteratorINSB_10device_ptrIjEEEENSD_INSE_IS6_EEEESI_S6_NSB_4plusIvEENSB_8equal_toIvEES6_EE10hipError_tPvRmT2_T3_T4_T5_mT6_T7_P12ihipStream_tbENKUlT_T0_E_clISt17integral_constantIbLb1EES13_EEDaSY_SZ_EUlSY_E_NS1_11comp_targetILNS1_3genE3ELNS1_11target_archE908ELNS1_3gpuE7ELNS1_3repE0EEENS1_30default_config_static_selectorELNS0_4arch9wavefront6targetE1EEEvT1_
	.globl	_ZN7rocprim17ROCPRIM_400000_NS6detail17trampoline_kernelINS0_14default_configENS1_27scan_by_key_config_selectorIj11FixedVectorIiLj1EEEEZZNS1_16scan_by_key_implILNS1_25lookback_scan_determinismE0ELb1ES3_N6thrust23THRUST_200600_302600_NS6detail15normal_iteratorINSB_10device_ptrIjEEEENSD_INSE_IS6_EEEESI_S6_NSB_4plusIvEENSB_8equal_toIvEES6_EE10hipError_tPvRmT2_T3_T4_T5_mT6_T7_P12ihipStream_tbENKUlT_T0_E_clISt17integral_constantIbLb1EES13_EEDaSY_SZ_EUlSY_E_NS1_11comp_targetILNS1_3genE3ELNS1_11target_archE908ELNS1_3gpuE7ELNS1_3repE0EEENS1_30default_config_static_selectorELNS0_4arch9wavefront6targetE1EEEvT1_
	.p2align	8
	.type	_ZN7rocprim17ROCPRIM_400000_NS6detail17trampoline_kernelINS0_14default_configENS1_27scan_by_key_config_selectorIj11FixedVectorIiLj1EEEEZZNS1_16scan_by_key_implILNS1_25lookback_scan_determinismE0ELb1ES3_N6thrust23THRUST_200600_302600_NS6detail15normal_iteratorINSB_10device_ptrIjEEEENSD_INSE_IS6_EEEESI_S6_NSB_4plusIvEENSB_8equal_toIvEES6_EE10hipError_tPvRmT2_T3_T4_T5_mT6_T7_P12ihipStream_tbENKUlT_T0_E_clISt17integral_constantIbLb1EES13_EEDaSY_SZ_EUlSY_E_NS1_11comp_targetILNS1_3genE3ELNS1_11target_archE908ELNS1_3gpuE7ELNS1_3repE0EEENS1_30default_config_static_selectorELNS0_4arch9wavefront6targetE1EEEvT1_,@function
_ZN7rocprim17ROCPRIM_400000_NS6detail17trampoline_kernelINS0_14default_configENS1_27scan_by_key_config_selectorIj11FixedVectorIiLj1EEEEZZNS1_16scan_by_key_implILNS1_25lookback_scan_determinismE0ELb1ES3_N6thrust23THRUST_200600_302600_NS6detail15normal_iteratorINSB_10device_ptrIjEEEENSD_INSE_IS6_EEEESI_S6_NSB_4plusIvEENSB_8equal_toIvEES6_EE10hipError_tPvRmT2_T3_T4_T5_mT6_T7_P12ihipStream_tbENKUlT_T0_E_clISt17integral_constantIbLb1EES13_EEDaSY_SZ_EUlSY_E_NS1_11comp_targetILNS1_3genE3ELNS1_11target_archE908ELNS1_3gpuE7ELNS1_3repE0EEENS1_30default_config_static_selectorELNS0_4arch9wavefront6targetE1EEEvT1_: ; @_ZN7rocprim17ROCPRIM_400000_NS6detail17trampoline_kernelINS0_14default_configENS1_27scan_by_key_config_selectorIj11FixedVectorIiLj1EEEEZZNS1_16scan_by_key_implILNS1_25lookback_scan_determinismE0ELb1ES3_N6thrust23THRUST_200600_302600_NS6detail15normal_iteratorINSB_10device_ptrIjEEEENSD_INSE_IS6_EEEESI_S6_NSB_4plusIvEENSB_8equal_toIvEES6_EE10hipError_tPvRmT2_T3_T4_T5_mT6_T7_P12ihipStream_tbENKUlT_T0_E_clISt17integral_constantIbLb1EES13_EEDaSY_SZ_EUlSY_E_NS1_11comp_targetILNS1_3genE3ELNS1_11target_archE908ELNS1_3gpuE7ELNS1_3repE0EEENS1_30default_config_static_selectorELNS0_4arch9wavefront6targetE1EEEvT1_
; %bb.0:
	.section	.rodata,"a",@progbits
	.p2align	6, 0x0
	.amdhsa_kernel _ZN7rocprim17ROCPRIM_400000_NS6detail17trampoline_kernelINS0_14default_configENS1_27scan_by_key_config_selectorIj11FixedVectorIiLj1EEEEZZNS1_16scan_by_key_implILNS1_25lookback_scan_determinismE0ELb1ES3_N6thrust23THRUST_200600_302600_NS6detail15normal_iteratorINSB_10device_ptrIjEEEENSD_INSE_IS6_EEEESI_S6_NSB_4plusIvEENSB_8equal_toIvEES6_EE10hipError_tPvRmT2_T3_T4_T5_mT6_T7_P12ihipStream_tbENKUlT_T0_E_clISt17integral_constantIbLb1EES13_EEDaSY_SZ_EUlSY_E_NS1_11comp_targetILNS1_3genE3ELNS1_11target_archE908ELNS1_3gpuE7ELNS1_3repE0EEENS1_30default_config_static_selectorELNS0_4arch9wavefront6targetE1EEEvT1_
		.amdhsa_group_segment_fixed_size 0
		.amdhsa_private_segment_fixed_size 0
		.amdhsa_kernarg_size 112
		.amdhsa_user_sgpr_count 6
		.amdhsa_user_sgpr_private_segment_buffer 1
		.amdhsa_user_sgpr_dispatch_ptr 0
		.amdhsa_user_sgpr_queue_ptr 0
		.amdhsa_user_sgpr_kernarg_segment_ptr 1
		.amdhsa_user_sgpr_dispatch_id 0
		.amdhsa_user_sgpr_flat_scratch_init 0
		.amdhsa_user_sgpr_kernarg_preload_length 0
		.amdhsa_user_sgpr_kernarg_preload_offset 0
		.amdhsa_user_sgpr_private_segment_size 0
		.amdhsa_uses_dynamic_stack 0
		.amdhsa_system_sgpr_private_segment_wavefront_offset 0
		.amdhsa_system_sgpr_workgroup_id_x 1
		.amdhsa_system_sgpr_workgroup_id_y 0
		.amdhsa_system_sgpr_workgroup_id_z 0
		.amdhsa_system_sgpr_workgroup_info 0
		.amdhsa_system_vgpr_workitem_id 0
		.amdhsa_next_free_vgpr 1
		.amdhsa_next_free_sgpr 0
		.amdhsa_accum_offset 4
		.amdhsa_reserve_vcc 0
		.amdhsa_reserve_flat_scratch 0
		.amdhsa_float_round_mode_32 0
		.amdhsa_float_round_mode_16_64 0
		.amdhsa_float_denorm_mode_32 3
		.amdhsa_float_denorm_mode_16_64 3
		.amdhsa_dx10_clamp 1
		.amdhsa_ieee_mode 1
		.amdhsa_fp16_overflow 0
		.amdhsa_tg_split 0
		.amdhsa_exception_fp_ieee_invalid_op 0
		.amdhsa_exception_fp_denorm_src 0
		.amdhsa_exception_fp_ieee_div_zero 0
		.amdhsa_exception_fp_ieee_overflow 0
		.amdhsa_exception_fp_ieee_underflow 0
		.amdhsa_exception_fp_ieee_inexact 0
		.amdhsa_exception_int_div_zero 0
	.end_amdhsa_kernel
	.section	.text._ZN7rocprim17ROCPRIM_400000_NS6detail17trampoline_kernelINS0_14default_configENS1_27scan_by_key_config_selectorIj11FixedVectorIiLj1EEEEZZNS1_16scan_by_key_implILNS1_25lookback_scan_determinismE0ELb1ES3_N6thrust23THRUST_200600_302600_NS6detail15normal_iteratorINSB_10device_ptrIjEEEENSD_INSE_IS6_EEEESI_S6_NSB_4plusIvEENSB_8equal_toIvEES6_EE10hipError_tPvRmT2_T3_T4_T5_mT6_T7_P12ihipStream_tbENKUlT_T0_E_clISt17integral_constantIbLb1EES13_EEDaSY_SZ_EUlSY_E_NS1_11comp_targetILNS1_3genE3ELNS1_11target_archE908ELNS1_3gpuE7ELNS1_3repE0EEENS1_30default_config_static_selectorELNS0_4arch9wavefront6targetE1EEEvT1_,"axG",@progbits,_ZN7rocprim17ROCPRIM_400000_NS6detail17trampoline_kernelINS0_14default_configENS1_27scan_by_key_config_selectorIj11FixedVectorIiLj1EEEEZZNS1_16scan_by_key_implILNS1_25lookback_scan_determinismE0ELb1ES3_N6thrust23THRUST_200600_302600_NS6detail15normal_iteratorINSB_10device_ptrIjEEEENSD_INSE_IS6_EEEESI_S6_NSB_4plusIvEENSB_8equal_toIvEES6_EE10hipError_tPvRmT2_T3_T4_T5_mT6_T7_P12ihipStream_tbENKUlT_T0_E_clISt17integral_constantIbLb1EES13_EEDaSY_SZ_EUlSY_E_NS1_11comp_targetILNS1_3genE3ELNS1_11target_archE908ELNS1_3gpuE7ELNS1_3repE0EEENS1_30default_config_static_selectorELNS0_4arch9wavefront6targetE1EEEvT1_,comdat
.Lfunc_end1924:
	.size	_ZN7rocprim17ROCPRIM_400000_NS6detail17trampoline_kernelINS0_14default_configENS1_27scan_by_key_config_selectorIj11FixedVectorIiLj1EEEEZZNS1_16scan_by_key_implILNS1_25lookback_scan_determinismE0ELb1ES3_N6thrust23THRUST_200600_302600_NS6detail15normal_iteratorINSB_10device_ptrIjEEEENSD_INSE_IS6_EEEESI_S6_NSB_4plusIvEENSB_8equal_toIvEES6_EE10hipError_tPvRmT2_T3_T4_T5_mT6_T7_P12ihipStream_tbENKUlT_T0_E_clISt17integral_constantIbLb1EES13_EEDaSY_SZ_EUlSY_E_NS1_11comp_targetILNS1_3genE3ELNS1_11target_archE908ELNS1_3gpuE7ELNS1_3repE0EEENS1_30default_config_static_selectorELNS0_4arch9wavefront6targetE1EEEvT1_, .Lfunc_end1924-_ZN7rocprim17ROCPRIM_400000_NS6detail17trampoline_kernelINS0_14default_configENS1_27scan_by_key_config_selectorIj11FixedVectorIiLj1EEEEZZNS1_16scan_by_key_implILNS1_25lookback_scan_determinismE0ELb1ES3_N6thrust23THRUST_200600_302600_NS6detail15normal_iteratorINSB_10device_ptrIjEEEENSD_INSE_IS6_EEEESI_S6_NSB_4plusIvEENSB_8equal_toIvEES6_EE10hipError_tPvRmT2_T3_T4_T5_mT6_T7_P12ihipStream_tbENKUlT_T0_E_clISt17integral_constantIbLb1EES13_EEDaSY_SZ_EUlSY_E_NS1_11comp_targetILNS1_3genE3ELNS1_11target_archE908ELNS1_3gpuE7ELNS1_3repE0EEENS1_30default_config_static_selectorELNS0_4arch9wavefront6targetE1EEEvT1_
                                        ; -- End function
	.section	.AMDGPU.csdata,"",@progbits
; Kernel info:
; codeLenInByte = 0
; NumSgprs: 4
; NumVgprs: 0
; NumAgprs: 0
; TotalNumVgprs: 0
; ScratchSize: 0
; MemoryBound: 0
; FloatMode: 240
; IeeeMode: 1
; LDSByteSize: 0 bytes/workgroup (compile time only)
; SGPRBlocks: 0
; VGPRBlocks: 0
; NumSGPRsForWavesPerEU: 4
; NumVGPRsForWavesPerEU: 1
; AccumOffset: 4
; Occupancy: 8
; WaveLimiterHint : 0
; COMPUTE_PGM_RSRC2:SCRATCH_EN: 0
; COMPUTE_PGM_RSRC2:USER_SGPR: 6
; COMPUTE_PGM_RSRC2:TRAP_HANDLER: 0
; COMPUTE_PGM_RSRC2:TGID_X_EN: 1
; COMPUTE_PGM_RSRC2:TGID_Y_EN: 0
; COMPUTE_PGM_RSRC2:TGID_Z_EN: 0
; COMPUTE_PGM_RSRC2:TIDIG_COMP_CNT: 0
; COMPUTE_PGM_RSRC3_GFX90A:ACCUM_OFFSET: 0
; COMPUTE_PGM_RSRC3_GFX90A:TG_SPLIT: 0
	.section	.text._ZN7rocprim17ROCPRIM_400000_NS6detail17trampoline_kernelINS0_14default_configENS1_27scan_by_key_config_selectorIj11FixedVectorIiLj1EEEEZZNS1_16scan_by_key_implILNS1_25lookback_scan_determinismE0ELb1ES3_N6thrust23THRUST_200600_302600_NS6detail15normal_iteratorINSB_10device_ptrIjEEEENSD_INSE_IS6_EEEESI_S6_NSB_4plusIvEENSB_8equal_toIvEES6_EE10hipError_tPvRmT2_T3_T4_T5_mT6_T7_P12ihipStream_tbENKUlT_T0_E_clISt17integral_constantIbLb1EES13_EEDaSY_SZ_EUlSY_E_NS1_11comp_targetILNS1_3genE2ELNS1_11target_archE906ELNS1_3gpuE6ELNS1_3repE0EEENS1_30default_config_static_selectorELNS0_4arch9wavefront6targetE1EEEvT1_,"axG",@progbits,_ZN7rocprim17ROCPRIM_400000_NS6detail17trampoline_kernelINS0_14default_configENS1_27scan_by_key_config_selectorIj11FixedVectorIiLj1EEEEZZNS1_16scan_by_key_implILNS1_25lookback_scan_determinismE0ELb1ES3_N6thrust23THRUST_200600_302600_NS6detail15normal_iteratorINSB_10device_ptrIjEEEENSD_INSE_IS6_EEEESI_S6_NSB_4plusIvEENSB_8equal_toIvEES6_EE10hipError_tPvRmT2_T3_T4_T5_mT6_T7_P12ihipStream_tbENKUlT_T0_E_clISt17integral_constantIbLb1EES13_EEDaSY_SZ_EUlSY_E_NS1_11comp_targetILNS1_3genE2ELNS1_11target_archE906ELNS1_3gpuE6ELNS1_3repE0EEENS1_30default_config_static_selectorELNS0_4arch9wavefront6targetE1EEEvT1_,comdat
	.protected	_ZN7rocprim17ROCPRIM_400000_NS6detail17trampoline_kernelINS0_14default_configENS1_27scan_by_key_config_selectorIj11FixedVectorIiLj1EEEEZZNS1_16scan_by_key_implILNS1_25lookback_scan_determinismE0ELb1ES3_N6thrust23THRUST_200600_302600_NS6detail15normal_iteratorINSB_10device_ptrIjEEEENSD_INSE_IS6_EEEESI_S6_NSB_4plusIvEENSB_8equal_toIvEES6_EE10hipError_tPvRmT2_T3_T4_T5_mT6_T7_P12ihipStream_tbENKUlT_T0_E_clISt17integral_constantIbLb1EES13_EEDaSY_SZ_EUlSY_E_NS1_11comp_targetILNS1_3genE2ELNS1_11target_archE906ELNS1_3gpuE6ELNS1_3repE0EEENS1_30default_config_static_selectorELNS0_4arch9wavefront6targetE1EEEvT1_ ; -- Begin function _ZN7rocprim17ROCPRIM_400000_NS6detail17trampoline_kernelINS0_14default_configENS1_27scan_by_key_config_selectorIj11FixedVectorIiLj1EEEEZZNS1_16scan_by_key_implILNS1_25lookback_scan_determinismE0ELb1ES3_N6thrust23THRUST_200600_302600_NS6detail15normal_iteratorINSB_10device_ptrIjEEEENSD_INSE_IS6_EEEESI_S6_NSB_4plusIvEENSB_8equal_toIvEES6_EE10hipError_tPvRmT2_T3_T4_T5_mT6_T7_P12ihipStream_tbENKUlT_T0_E_clISt17integral_constantIbLb1EES13_EEDaSY_SZ_EUlSY_E_NS1_11comp_targetILNS1_3genE2ELNS1_11target_archE906ELNS1_3gpuE6ELNS1_3repE0EEENS1_30default_config_static_selectorELNS0_4arch9wavefront6targetE1EEEvT1_
	.globl	_ZN7rocprim17ROCPRIM_400000_NS6detail17trampoline_kernelINS0_14default_configENS1_27scan_by_key_config_selectorIj11FixedVectorIiLj1EEEEZZNS1_16scan_by_key_implILNS1_25lookback_scan_determinismE0ELb1ES3_N6thrust23THRUST_200600_302600_NS6detail15normal_iteratorINSB_10device_ptrIjEEEENSD_INSE_IS6_EEEESI_S6_NSB_4plusIvEENSB_8equal_toIvEES6_EE10hipError_tPvRmT2_T3_T4_T5_mT6_T7_P12ihipStream_tbENKUlT_T0_E_clISt17integral_constantIbLb1EES13_EEDaSY_SZ_EUlSY_E_NS1_11comp_targetILNS1_3genE2ELNS1_11target_archE906ELNS1_3gpuE6ELNS1_3repE0EEENS1_30default_config_static_selectorELNS0_4arch9wavefront6targetE1EEEvT1_
	.p2align	8
	.type	_ZN7rocprim17ROCPRIM_400000_NS6detail17trampoline_kernelINS0_14default_configENS1_27scan_by_key_config_selectorIj11FixedVectorIiLj1EEEEZZNS1_16scan_by_key_implILNS1_25lookback_scan_determinismE0ELb1ES3_N6thrust23THRUST_200600_302600_NS6detail15normal_iteratorINSB_10device_ptrIjEEEENSD_INSE_IS6_EEEESI_S6_NSB_4plusIvEENSB_8equal_toIvEES6_EE10hipError_tPvRmT2_T3_T4_T5_mT6_T7_P12ihipStream_tbENKUlT_T0_E_clISt17integral_constantIbLb1EES13_EEDaSY_SZ_EUlSY_E_NS1_11comp_targetILNS1_3genE2ELNS1_11target_archE906ELNS1_3gpuE6ELNS1_3repE0EEENS1_30default_config_static_selectorELNS0_4arch9wavefront6targetE1EEEvT1_,@function
_ZN7rocprim17ROCPRIM_400000_NS6detail17trampoline_kernelINS0_14default_configENS1_27scan_by_key_config_selectorIj11FixedVectorIiLj1EEEEZZNS1_16scan_by_key_implILNS1_25lookback_scan_determinismE0ELb1ES3_N6thrust23THRUST_200600_302600_NS6detail15normal_iteratorINSB_10device_ptrIjEEEENSD_INSE_IS6_EEEESI_S6_NSB_4plusIvEENSB_8equal_toIvEES6_EE10hipError_tPvRmT2_T3_T4_T5_mT6_T7_P12ihipStream_tbENKUlT_T0_E_clISt17integral_constantIbLb1EES13_EEDaSY_SZ_EUlSY_E_NS1_11comp_targetILNS1_3genE2ELNS1_11target_archE906ELNS1_3gpuE6ELNS1_3repE0EEENS1_30default_config_static_selectorELNS0_4arch9wavefront6targetE1EEEvT1_: ; @_ZN7rocprim17ROCPRIM_400000_NS6detail17trampoline_kernelINS0_14default_configENS1_27scan_by_key_config_selectorIj11FixedVectorIiLj1EEEEZZNS1_16scan_by_key_implILNS1_25lookback_scan_determinismE0ELb1ES3_N6thrust23THRUST_200600_302600_NS6detail15normal_iteratorINSB_10device_ptrIjEEEENSD_INSE_IS6_EEEESI_S6_NSB_4plusIvEENSB_8equal_toIvEES6_EE10hipError_tPvRmT2_T3_T4_T5_mT6_T7_P12ihipStream_tbENKUlT_T0_E_clISt17integral_constantIbLb1EES13_EEDaSY_SZ_EUlSY_E_NS1_11comp_targetILNS1_3genE2ELNS1_11target_archE906ELNS1_3gpuE6ELNS1_3repE0EEENS1_30default_config_static_selectorELNS0_4arch9wavefront6targetE1EEEvT1_
; %bb.0:
	.section	.rodata,"a",@progbits
	.p2align	6, 0x0
	.amdhsa_kernel _ZN7rocprim17ROCPRIM_400000_NS6detail17trampoline_kernelINS0_14default_configENS1_27scan_by_key_config_selectorIj11FixedVectorIiLj1EEEEZZNS1_16scan_by_key_implILNS1_25lookback_scan_determinismE0ELb1ES3_N6thrust23THRUST_200600_302600_NS6detail15normal_iteratorINSB_10device_ptrIjEEEENSD_INSE_IS6_EEEESI_S6_NSB_4plusIvEENSB_8equal_toIvEES6_EE10hipError_tPvRmT2_T3_T4_T5_mT6_T7_P12ihipStream_tbENKUlT_T0_E_clISt17integral_constantIbLb1EES13_EEDaSY_SZ_EUlSY_E_NS1_11comp_targetILNS1_3genE2ELNS1_11target_archE906ELNS1_3gpuE6ELNS1_3repE0EEENS1_30default_config_static_selectorELNS0_4arch9wavefront6targetE1EEEvT1_
		.amdhsa_group_segment_fixed_size 0
		.amdhsa_private_segment_fixed_size 0
		.amdhsa_kernarg_size 112
		.amdhsa_user_sgpr_count 6
		.amdhsa_user_sgpr_private_segment_buffer 1
		.amdhsa_user_sgpr_dispatch_ptr 0
		.amdhsa_user_sgpr_queue_ptr 0
		.amdhsa_user_sgpr_kernarg_segment_ptr 1
		.amdhsa_user_sgpr_dispatch_id 0
		.amdhsa_user_sgpr_flat_scratch_init 0
		.amdhsa_user_sgpr_kernarg_preload_length 0
		.amdhsa_user_sgpr_kernarg_preload_offset 0
		.amdhsa_user_sgpr_private_segment_size 0
		.amdhsa_uses_dynamic_stack 0
		.amdhsa_system_sgpr_private_segment_wavefront_offset 0
		.amdhsa_system_sgpr_workgroup_id_x 1
		.amdhsa_system_sgpr_workgroup_id_y 0
		.amdhsa_system_sgpr_workgroup_id_z 0
		.amdhsa_system_sgpr_workgroup_info 0
		.amdhsa_system_vgpr_workitem_id 0
		.amdhsa_next_free_vgpr 1
		.amdhsa_next_free_sgpr 0
		.amdhsa_accum_offset 4
		.amdhsa_reserve_vcc 0
		.amdhsa_reserve_flat_scratch 0
		.amdhsa_float_round_mode_32 0
		.amdhsa_float_round_mode_16_64 0
		.amdhsa_float_denorm_mode_32 3
		.amdhsa_float_denorm_mode_16_64 3
		.amdhsa_dx10_clamp 1
		.amdhsa_ieee_mode 1
		.amdhsa_fp16_overflow 0
		.amdhsa_tg_split 0
		.amdhsa_exception_fp_ieee_invalid_op 0
		.amdhsa_exception_fp_denorm_src 0
		.amdhsa_exception_fp_ieee_div_zero 0
		.amdhsa_exception_fp_ieee_overflow 0
		.amdhsa_exception_fp_ieee_underflow 0
		.amdhsa_exception_fp_ieee_inexact 0
		.amdhsa_exception_int_div_zero 0
	.end_amdhsa_kernel
	.section	.text._ZN7rocprim17ROCPRIM_400000_NS6detail17trampoline_kernelINS0_14default_configENS1_27scan_by_key_config_selectorIj11FixedVectorIiLj1EEEEZZNS1_16scan_by_key_implILNS1_25lookback_scan_determinismE0ELb1ES3_N6thrust23THRUST_200600_302600_NS6detail15normal_iteratorINSB_10device_ptrIjEEEENSD_INSE_IS6_EEEESI_S6_NSB_4plusIvEENSB_8equal_toIvEES6_EE10hipError_tPvRmT2_T3_T4_T5_mT6_T7_P12ihipStream_tbENKUlT_T0_E_clISt17integral_constantIbLb1EES13_EEDaSY_SZ_EUlSY_E_NS1_11comp_targetILNS1_3genE2ELNS1_11target_archE906ELNS1_3gpuE6ELNS1_3repE0EEENS1_30default_config_static_selectorELNS0_4arch9wavefront6targetE1EEEvT1_,"axG",@progbits,_ZN7rocprim17ROCPRIM_400000_NS6detail17trampoline_kernelINS0_14default_configENS1_27scan_by_key_config_selectorIj11FixedVectorIiLj1EEEEZZNS1_16scan_by_key_implILNS1_25lookback_scan_determinismE0ELb1ES3_N6thrust23THRUST_200600_302600_NS6detail15normal_iteratorINSB_10device_ptrIjEEEENSD_INSE_IS6_EEEESI_S6_NSB_4plusIvEENSB_8equal_toIvEES6_EE10hipError_tPvRmT2_T3_T4_T5_mT6_T7_P12ihipStream_tbENKUlT_T0_E_clISt17integral_constantIbLb1EES13_EEDaSY_SZ_EUlSY_E_NS1_11comp_targetILNS1_3genE2ELNS1_11target_archE906ELNS1_3gpuE6ELNS1_3repE0EEENS1_30default_config_static_selectorELNS0_4arch9wavefront6targetE1EEEvT1_,comdat
.Lfunc_end1925:
	.size	_ZN7rocprim17ROCPRIM_400000_NS6detail17trampoline_kernelINS0_14default_configENS1_27scan_by_key_config_selectorIj11FixedVectorIiLj1EEEEZZNS1_16scan_by_key_implILNS1_25lookback_scan_determinismE0ELb1ES3_N6thrust23THRUST_200600_302600_NS6detail15normal_iteratorINSB_10device_ptrIjEEEENSD_INSE_IS6_EEEESI_S6_NSB_4plusIvEENSB_8equal_toIvEES6_EE10hipError_tPvRmT2_T3_T4_T5_mT6_T7_P12ihipStream_tbENKUlT_T0_E_clISt17integral_constantIbLb1EES13_EEDaSY_SZ_EUlSY_E_NS1_11comp_targetILNS1_3genE2ELNS1_11target_archE906ELNS1_3gpuE6ELNS1_3repE0EEENS1_30default_config_static_selectorELNS0_4arch9wavefront6targetE1EEEvT1_, .Lfunc_end1925-_ZN7rocprim17ROCPRIM_400000_NS6detail17trampoline_kernelINS0_14default_configENS1_27scan_by_key_config_selectorIj11FixedVectorIiLj1EEEEZZNS1_16scan_by_key_implILNS1_25lookback_scan_determinismE0ELb1ES3_N6thrust23THRUST_200600_302600_NS6detail15normal_iteratorINSB_10device_ptrIjEEEENSD_INSE_IS6_EEEESI_S6_NSB_4plusIvEENSB_8equal_toIvEES6_EE10hipError_tPvRmT2_T3_T4_T5_mT6_T7_P12ihipStream_tbENKUlT_T0_E_clISt17integral_constantIbLb1EES13_EEDaSY_SZ_EUlSY_E_NS1_11comp_targetILNS1_3genE2ELNS1_11target_archE906ELNS1_3gpuE6ELNS1_3repE0EEENS1_30default_config_static_selectorELNS0_4arch9wavefront6targetE1EEEvT1_
                                        ; -- End function
	.section	.AMDGPU.csdata,"",@progbits
; Kernel info:
; codeLenInByte = 0
; NumSgprs: 4
; NumVgprs: 0
; NumAgprs: 0
; TotalNumVgprs: 0
; ScratchSize: 0
; MemoryBound: 0
; FloatMode: 240
; IeeeMode: 1
; LDSByteSize: 0 bytes/workgroup (compile time only)
; SGPRBlocks: 0
; VGPRBlocks: 0
; NumSGPRsForWavesPerEU: 4
; NumVGPRsForWavesPerEU: 1
; AccumOffset: 4
; Occupancy: 8
; WaveLimiterHint : 0
; COMPUTE_PGM_RSRC2:SCRATCH_EN: 0
; COMPUTE_PGM_RSRC2:USER_SGPR: 6
; COMPUTE_PGM_RSRC2:TRAP_HANDLER: 0
; COMPUTE_PGM_RSRC2:TGID_X_EN: 1
; COMPUTE_PGM_RSRC2:TGID_Y_EN: 0
; COMPUTE_PGM_RSRC2:TGID_Z_EN: 0
; COMPUTE_PGM_RSRC2:TIDIG_COMP_CNT: 0
; COMPUTE_PGM_RSRC3_GFX90A:ACCUM_OFFSET: 0
; COMPUTE_PGM_RSRC3_GFX90A:TG_SPLIT: 0
	.section	.text._ZN7rocprim17ROCPRIM_400000_NS6detail17trampoline_kernelINS0_14default_configENS1_27scan_by_key_config_selectorIj11FixedVectorIiLj1EEEEZZNS1_16scan_by_key_implILNS1_25lookback_scan_determinismE0ELb1ES3_N6thrust23THRUST_200600_302600_NS6detail15normal_iteratorINSB_10device_ptrIjEEEENSD_INSE_IS6_EEEESI_S6_NSB_4plusIvEENSB_8equal_toIvEES6_EE10hipError_tPvRmT2_T3_T4_T5_mT6_T7_P12ihipStream_tbENKUlT_T0_E_clISt17integral_constantIbLb1EES13_EEDaSY_SZ_EUlSY_E_NS1_11comp_targetILNS1_3genE10ELNS1_11target_archE1200ELNS1_3gpuE4ELNS1_3repE0EEENS1_30default_config_static_selectorELNS0_4arch9wavefront6targetE1EEEvT1_,"axG",@progbits,_ZN7rocprim17ROCPRIM_400000_NS6detail17trampoline_kernelINS0_14default_configENS1_27scan_by_key_config_selectorIj11FixedVectorIiLj1EEEEZZNS1_16scan_by_key_implILNS1_25lookback_scan_determinismE0ELb1ES3_N6thrust23THRUST_200600_302600_NS6detail15normal_iteratorINSB_10device_ptrIjEEEENSD_INSE_IS6_EEEESI_S6_NSB_4plusIvEENSB_8equal_toIvEES6_EE10hipError_tPvRmT2_T3_T4_T5_mT6_T7_P12ihipStream_tbENKUlT_T0_E_clISt17integral_constantIbLb1EES13_EEDaSY_SZ_EUlSY_E_NS1_11comp_targetILNS1_3genE10ELNS1_11target_archE1200ELNS1_3gpuE4ELNS1_3repE0EEENS1_30default_config_static_selectorELNS0_4arch9wavefront6targetE1EEEvT1_,comdat
	.protected	_ZN7rocprim17ROCPRIM_400000_NS6detail17trampoline_kernelINS0_14default_configENS1_27scan_by_key_config_selectorIj11FixedVectorIiLj1EEEEZZNS1_16scan_by_key_implILNS1_25lookback_scan_determinismE0ELb1ES3_N6thrust23THRUST_200600_302600_NS6detail15normal_iteratorINSB_10device_ptrIjEEEENSD_INSE_IS6_EEEESI_S6_NSB_4plusIvEENSB_8equal_toIvEES6_EE10hipError_tPvRmT2_T3_T4_T5_mT6_T7_P12ihipStream_tbENKUlT_T0_E_clISt17integral_constantIbLb1EES13_EEDaSY_SZ_EUlSY_E_NS1_11comp_targetILNS1_3genE10ELNS1_11target_archE1200ELNS1_3gpuE4ELNS1_3repE0EEENS1_30default_config_static_selectorELNS0_4arch9wavefront6targetE1EEEvT1_ ; -- Begin function _ZN7rocprim17ROCPRIM_400000_NS6detail17trampoline_kernelINS0_14default_configENS1_27scan_by_key_config_selectorIj11FixedVectorIiLj1EEEEZZNS1_16scan_by_key_implILNS1_25lookback_scan_determinismE0ELb1ES3_N6thrust23THRUST_200600_302600_NS6detail15normal_iteratorINSB_10device_ptrIjEEEENSD_INSE_IS6_EEEESI_S6_NSB_4plusIvEENSB_8equal_toIvEES6_EE10hipError_tPvRmT2_T3_T4_T5_mT6_T7_P12ihipStream_tbENKUlT_T0_E_clISt17integral_constantIbLb1EES13_EEDaSY_SZ_EUlSY_E_NS1_11comp_targetILNS1_3genE10ELNS1_11target_archE1200ELNS1_3gpuE4ELNS1_3repE0EEENS1_30default_config_static_selectorELNS0_4arch9wavefront6targetE1EEEvT1_
	.globl	_ZN7rocprim17ROCPRIM_400000_NS6detail17trampoline_kernelINS0_14default_configENS1_27scan_by_key_config_selectorIj11FixedVectorIiLj1EEEEZZNS1_16scan_by_key_implILNS1_25lookback_scan_determinismE0ELb1ES3_N6thrust23THRUST_200600_302600_NS6detail15normal_iteratorINSB_10device_ptrIjEEEENSD_INSE_IS6_EEEESI_S6_NSB_4plusIvEENSB_8equal_toIvEES6_EE10hipError_tPvRmT2_T3_T4_T5_mT6_T7_P12ihipStream_tbENKUlT_T0_E_clISt17integral_constantIbLb1EES13_EEDaSY_SZ_EUlSY_E_NS1_11comp_targetILNS1_3genE10ELNS1_11target_archE1200ELNS1_3gpuE4ELNS1_3repE0EEENS1_30default_config_static_selectorELNS0_4arch9wavefront6targetE1EEEvT1_
	.p2align	8
	.type	_ZN7rocprim17ROCPRIM_400000_NS6detail17trampoline_kernelINS0_14default_configENS1_27scan_by_key_config_selectorIj11FixedVectorIiLj1EEEEZZNS1_16scan_by_key_implILNS1_25lookback_scan_determinismE0ELb1ES3_N6thrust23THRUST_200600_302600_NS6detail15normal_iteratorINSB_10device_ptrIjEEEENSD_INSE_IS6_EEEESI_S6_NSB_4plusIvEENSB_8equal_toIvEES6_EE10hipError_tPvRmT2_T3_T4_T5_mT6_T7_P12ihipStream_tbENKUlT_T0_E_clISt17integral_constantIbLb1EES13_EEDaSY_SZ_EUlSY_E_NS1_11comp_targetILNS1_3genE10ELNS1_11target_archE1200ELNS1_3gpuE4ELNS1_3repE0EEENS1_30default_config_static_selectorELNS0_4arch9wavefront6targetE1EEEvT1_,@function
_ZN7rocprim17ROCPRIM_400000_NS6detail17trampoline_kernelINS0_14default_configENS1_27scan_by_key_config_selectorIj11FixedVectorIiLj1EEEEZZNS1_16scan_by_key_implILNS1_25lookback_scan_determinismE0ELb1ES3_N6thrust23THRUST_200600_302600_NS6detail15normal_iteratorINSB_10device_ptrIjEEEENSD_INSE_IS6_EEEESI_S6_NSB_4plusIvEENSB_8equal_toIvEES6_EE10hipError_tPvRmT2_T3_T4_T5_mT6_T7_P12ihipStream_tbENKUlT_T0_E_clISt17integral_constantIbLb1EES13_EEDaSY_SZ_EUlSY_E_NS1_11comp_targetILNS1_3genE10ELNS1_11target_archE1200ELNS1_3gpuE4ELNS1_3repE0EEENS1_30default_config_static_selectorELNS0_4arch9wavefront6targetE1EEEvT1_: ; @_ZN7rocprim17ROCPRIM_400000_NS6detail17trampoline_kernelINS0_14default_configENS1_27scan_by_key_config_selectorIj11FixedVectorIiLj1EEEEZZNS1_16scan_by_key_implILNS1_25lookback_scan_determinismE0ELb1ES3_N6thrust23THRUST_200600_302600_NS6detail15normal_iteratorINSB_10device_ptrIjEEEENSD_INSE_IS6_EEEESI_S6_NSB_4plusIvEENSB_8equal_toIvEES6_EE10hipError_tPvRmT2_T3_T4_T5_mT6_T7_P12ihipStream_tbENKUlT_T0_E_clISt17integral_constantIbLb1EES13_EEDaSY_SZ_EUlSY_E_NS1_11comp_targetILNS1_3genE10ELNS1_11target_archE1200ELNS1_3gpuE4ELNS1_3repE0EEENS1_30default_config_static_selectorELNS0_4arch9wavefront6targetE1EEEvT1_
; %bb.0:
	.section	.rodata,"a",@progbits
	.p2align	6, 0x0
	.amdhsa_kernel _ZN7rocprim17ROCPRIM_400000_NS6detail17trampoline_kernelINS0_14default_configENS1_27scan_by_key_config_selectorIj11FixedVectorIiLj1EEEEZZNS1_16scan_by_key_implILNS1_25lookback_scan_determinismE0ELb1ES3_N6thrust23THRUST_200600_302600_NS6detail15normal_iteratorINSB_10device_ptrIjEEEENSD_INSE_IS6_EEEESI_S6_NSB_4plusIvEENSB_8equal_toIvEES6_EE10hipError_tPvRmT2_T3_T4_T5_mT6_T7_P12ihipStream_tbENKUlT_T0_E_clISt17integral_constantIbLb1EES13_EEDaSY_SZ_EUlSY_E_NS1_11comp_targetILNS1_3genE10ELNS1_11target_archE1200ELNS1_3gpuE4ELNS1_3repE0EEENS1_30default_config_static_selectorELNS0_4arch9wavefront6targetE1EEEvT1_
		.amdhsa_group_segment_fixed_size 0
		.amdhsa_private_segment_fixed_size 0
		.amdhsa_kernarg_size 112
		.amdhsa_user_sgpr_count 6
		.amdhsa_user_sgpr_private_segment_buffer 1
		.amdhsa_user_sgpr_dispatch_ptr 0
		.amdhsa_user_sgpr_queue_ptr 0
		.amdhsa_user_sgpr_kernarg_segment_ptr 1
		.amdhsa_user_sgpr_dispatch_id 0
		.amdhsa_user_sgpr_flat_scratch_init 0
		.amdhsa_user_sgpr_kernarg_preload_length 0
		.amdhsa_user_sgpr_kernarg_preload_offset 0
		.amdhsa_user_sgpr_private_segment_size 0
		.amdhsa_uses_dynamic_stack 0
		.amdhsa_system_sgpr_private_segment_wavefront_offset 0
		.amdhsa_system_sgpr_workgroup_id_x 1
		.amdhsa_system_sgpr_workgroup_id_y 0
		.amdhsa_system_sgpr_workgroup_id_z 0
		.amdhsa_system_sgpr_workgroup_info 0
		.amdhsa_system_vgpr_workitem_id 0
		.amdhsa_next_free_vgpr 1
		.amdhsa_next_free_sgpr 0
		.amdhsa_accum_offset 4
		.amdhsa_reserve_vcc 0
		.amdhsa_reserve_flat_scratch 0
		.amdhsa_float_round_mode_32 0
		.amdhsa_float_round_mode_16_64 0
		.amdhsa_float_denorm_mode_32 3
		.amdhsa_float_denorm_mode_16_64 3
		.amdhsa_dx10_clamp 1
		.amdhsa_ieee_mode 1
		.amdhsa_fp16_overflow 0
		.amdhsa_tg_split 0
		.amdhsa_exception_fp_ieee_invalid_op 0
		.amdhsa_exception_fp_denorm_src 0
		.amdhsa_exception_fp_ieee_div_zero 0
		.amdhsa_exception_fp_ieee_overflow 0
		.amdhsa_exception_fp_ieee_underflow 0
		.amdhsa_exception_fp_ieee_inexact 0
		.amdhsa_exception_int_div_zero 0
	.end_amdhsa_kernel
	.section	.text._ZN7rocprim17ROCPRIM_400000_NS6detail17trampoline_kernelINS0_14default_configENS1_27scan_by_key_config_selectorIj11FixedVectorIiLj1EEEEZZNS1_16scan_by_key_implILNS1_25lookback_scan_determinismE0ELb1ES3_N6thrust23THRUST_200600_302600_NS6detail15normal_iteratorINSB_10device_ptrIjEEEENSD_INSE_IS6_EEEESI_S6_NSB_4plusIvEENSB_8equal_toIvEES6_EE10hipError_tPvRmT2_T3_T4_T5_mT6_T7_P12ihipStream_tbENKUlT_T0_E_clISt17integral_constantIbLb1EES13_EEDaSY_SZ_EUlSY_E_NS1_11comp_targetILNS1_3genE10ELNS1_11target_archE1200ELNS1_3gpuE4ELNS1_3repE0EEENS1_30default_config_static_selectorELNS0_4arch9wavefront6targetE1EEEvT1_,"axG",@progbits,_ZN7rocprim17ROCPRIM_400000_NS6detail17trampoline_kernelINS0_14default_configENS1_27scan_by_key_config_selectorIj11FixedVectorIiLj1EEEEZZNS1_16scan_by_key_implILNS1_25lookback_scan_determinismE0ELb1ES3_N6thrust23THRUST_200600_302600_NS6detail15normal_iteratorINSB_10device_ptrIjEEEENSD_INSE_IS6_EEEESI_S6_NSB_4plusIvEENSB_8equal_toIvEES6_EE10hipError_tPvRmT2_T3_T4_T5_mT6_T7_P12ihipStream_tbENKUlT_T0_E_clISt17integral_constantIbLb1EES13_EEDaSY_SZ_EUlSY_E_NS1_11comp_targetILNS1_3genE10ELNS1_11target_archE1200ELNS1_3gpuE4ELNS1_3repE0EEENS1_30default_config_static_selectorELNS0_4arch9wavefront6targetE1EEEvT1_,comdat
.Lfunc_end1926:
	.size	_ZN7rocprim17ROCPRIM_400000_NS6detail17trampoline_kernelINS0_14default_configENS1_27scan_by_key_config_selectorIj11FixedVectorIiLj1EEEEZZNS1_16scan_by_key_implILNS1_25lookback_scan_determinismE0ELb1ES3_N6thrust23THRUST_200600_302600_NS6detail15normal_iteratorINSB_10device_ptrIjEEEENSD_INSE_IS6_EEEESI_S6_NSB_4plusIvEENSB_8equal_toIvEES6_EE10hipError_tPvRmT2_T3_T4_T5_mT6_T7_P12ihipStream_tbENKUlT_T0_E_clISt17integral_constantIbLb1EES13_EEDaSY_SZ_EUlSY_E_NS1_11comp_targetILNS1_3genE10ELNS1_11target_archE1200ELNS1_3gpuE4ELNS1_3repE0EEENS1_30default_config_static_selectorELNS0_4arch9wavefront6targetE1EEEvT1_, .Lfunc_end1926-_ZN7rocprim17ROCPRIM_400000_NS6detail17trampoline_kernelINS0_14default_configENS1_27scan_by_key_config_selectorIj11FixedVectorIiLj1EEEEZZNS1_16scan_by_key_implILNS1_25lookback_scan_determinismE0ELb1ES3_N6thrust23THRUST_200600_302600_NS6detail15normal_iteratorINSB_10device_ptrIjEEEENSD_INSE_IS6_EEEESI_S6_NSB_4plusIvEENSB_8equal_toIvEES6_EE10hipError_tPvRmT2_T3_T4_T5_mT6_T7_P12ihipStream_tbENKUlT_T0_E_clISt17integral_constantIbLb1EES13_EEDaSY_SZ_EUlSY_E_NS1_11comp_targetILNS1_3genE10ELNS1_11target_archE1200ELNS1_3gpuE4ELNS1_3repE0EEENS1_30default_config_static_selectorELNS0_4arch9wavefront6targetE1EEEvT1_
                                        ; -- End function
	.section	.AMDGPU.csdata,"",@progbits
; Kernel info:
; codeLenInByte = 0
; NumSgprs: 4
; NumVgprs: 0
; NumAgprs: 0
; TotalNumVgprs: 0
; ScratchSize: 0
; MemoryBound: 0
; FloatMode: 240
; IeeeMode: 1
; LDSByteSize: 0 bytes/workgroup (compile time only)
; SGPRBlocks: 0
; VGPRBlocks: 0
; NumSGPRsForWavesPerEU: 4
; NumVGPRsForWavesPerEU: 1
; AccumOffset: 4
; Occupancy: 8
; WaveLimiterHint : 0
; COMPUTE_PGM_RSRC2:SCRATCH_EN: 0
; COMPUTE_PGM_RSRC2:USER_SGPR: 6
; COMPUTE_PGM_RSRC2:TRAP_HANDLER: 0
; COMPUTE_PGM_RSRC2:TGID_X_EN: 1
; COMPUTE_PGM_RSRC2:TGID_Y_EN: 0
; COMPUTE_PGM_RSRC2:TGID_Z_EN: 0
; COMPUTE_PGM_RSRC2:TIDIG_COMP_CNT: 0
; COMPUTE_PGM_RSRC3_GFX90A:ACCUM_OFFSET: 0
; COMPUTE_PGM_RSRC3_GFX90A:TG_SPLIT: 0
	.section	.text._ZN7rocprim17ROCPRIM_400000_NS6detail17trampoline_kernelINS0_14default_configENS1_27scan_by_key_config_selectorIj11FixedVectorIiLj1EEEEZZNS1_16scan_by_key_implILNS1_25lookback_scan_determinismE0ELb1ES3_N6thrust23THRUST_200600_302600_NS6detail15normal_iteratorINSB_10device_ptrIjEEEENSD_INSE_IS6_EEEESI_S6_NSB_4plusIvEENSB_8equal_toIvEES6_EE10hipError_tPvRmT2_T3_T4_T5_mT6_T7_P12ihipStream_tbENKUlT_T0_E_clISt17integral_constantIbLb1EES13_EEDaSY_SZ_EUlSY_E_NS1_11comp_targetILNS1_3genE9ELNS1_11target_archE1100ELNS1_3gpuE3ELNS1_3repE0EEENS1_30default_config_static_selectorELNS0_4arch9wavefront6targetE1EEEvT1_,"axG",@progbits,_ZN7rocprim17ROCPRIM_400000_NS6detail17trampoline_kernelINS0_14default_configENS1_27scan_by_key_config_selectorIj11FixedVectorIiLj1EEEEZZNS1_16scan_by_key_implILNS1_25lookback_scan_determinismE0ELb1ES3_N6thrust23THRUST_200600_302600_NS6detail15normal_iteratorINSB_10device_ptrIjEEEENSD_INSE_IS6_EEEESI_S6_NSB_4plusIvEENSB_8equal_toIvEES6_EE10hipError_tPvRmT2_T3_T4_T5_mT6_T7_P12ihipStream_tbENKUlT_T0_E_clISt17integral_constantIbLb1EES13_EEDaSY_SZ_EUlSY_E_NS1_11comp_targetILNS1_3genE9ELNS1_11target_archE1100ELNS1_3gpuE3ELNS1_3repE0EEENS1_30default_config_static_selectorELNS0_4arch9wavefront6targetE1EEEvT1_,comdat
	.protected	_ZN7rocprim17ROCPRIM_400000_NS6detail17trampoline_kernelINS0_14default_configENS1_27scan_by_key_config_selectorIj11FixedVectorIiLj1EEEEZZNS1_16scan_by_key_implILNS1_25lookback_scan_determinismE0ELb1ES3_N6thrust23THRUST_200600_302600_NS6detail15normal_iteratorINSB_10device_ptrIjEEEENSD_INSE_IS6_EEEESI_S6_NSB_4plusIvEENSB_8equal_toIvEES6_EE10hipError_tPvRmT2_T3_T4_T5_mT6_T7_P12ihipStream_tbENKUlT_T0_E_clISt17integral_constantIbLb1EES13_EEDaSY_SZ_EUlSY_E_NS1_11comp_targetILNS1_3genE9ELNS1_11target_archE1100ELNS1_3gpuE3ELNS1_3repE0EEENS1_30default_config_static_selectorELNS0_4arch9wavefront6targetE1EEEvT1_ ; -- Begin function _ZN7rocprim17ROCPRIM_400000_NS6detail17trampoline_kernelINS0_14default_configENS1_27scan_by_key_config_selectorIj11FixedVectorIiLj1EEEEZZNS1_16scan_by_key_implILNS1_25lookback_scan_determinismE0ELb1ES3_N6thrust23THRUST_200600_302600_NS6detail15normal_iteratorINSB_10device_ptrIjEEEENSD_INSE_IS6_EEEESI_S6_NSB_4plusIvEENSB_8equal_toIvEES6_EE10hipError_tPvRmT2_T3_T4_T5_mT6_T7_P12ihipStream_tbENKUlT_T0_E_clISt17integral_constantIbLb1EES13_EEDaSY_SZ_EUlSY_E_NS1_11comp_targetILNS1_3genE9ELNS1_11target_archE1100ELNS1_3gpuE3ELNS1_3repE0EEENS1_30default_config_static_selectorELNS0_4arch9wavefront6targetE1EEEvT1_
	.globl	_ZN7rocprim17ROCPRIM_400000_NS6detail17trampoline_kernelINS0_14default_configENS1_27scan_by_key_config_selectorIj11FixedVectorIiLj1EEEEZZNS1_16scan_by_key_implILNS1_25lookback_scan_determinismE0ELb1ES3_N6thrust23THRUST_200600_302600_NS6detail15normal_iteratorINSB_10device_ptrIjEEEENSD_INSE_IS6_EEEESI_S6_NSB_4plusIvEENSB_8equal_toIvEES6_EE10hipError_tPvRmT2_T3_T4_T5_mT6_T7_P12ihipStream_tbENKUlT_T0_E_clISt17integral_constantIbLb1EES13_EEDaSY_SZ_EUlSY_E_NS1_11comp_targetILNS1_3genE9ELNS1_11target_archE1100ELNS1_3gpuE3ELNS1_3repE0EEENS1_30default_config_static_selectorELNS0_4arch9wavefront6targetE1EEEvT1_
	.p2align	8
	.type	_ZN7rocprim17ROCPRIM_400000_NS6detail17trampoline_kernelINS0_14default_configENS1_27scan_by_key_config_selectorIj11FixedVectorIiLj1EEEEZZNS1_16scan_by_key_implILNS1_25lookback_scan_determinismE0ELb1ES3_N6thrust23THRUST_200600_302600_NS6detail15normal_iteratorINSB_10device_ptrIjEEEENSD_INSE_IS6_EEEESI_S6_NSB_4plusIvEENSB_8equal_toIvEES6_EE10hipError_tPvRmT2_T3_T4_T5_mT6_T7_P12ihipStream_tbENKUlT_T0_E_clISt17integral_constantIbLb1EES13_EEDaSY_SZ_EUlSY_E_NS1_11comp_targetILNS1_3genE9ELNS1_11target_archE1100ELNS1_3gpuE3ELNS1_3repE0EEENS1_30default_config_static_selectorELNS0_4arch9wavefront6targetE1EEEvT1_,@function
_ZN7rocprim17ROCPRIM_400000_NS6detail17trampoline_kernelINS0_14default_configENS1_27scan_by_key_config_selectorIj11FixedVectorIiLj1EEEEZZNS1_16scan_by_key_implILNS1_25lookback_scan_determinismE0ELb1ES3_N6thrust23THRUST_200600_302600_NS6detail15normal_iteratorINSB_10device_ptrIjEEEENSD_INSE_IS6_EEEESI_S6_NSB_4plusIvEENSB_8equal_toIvEES6_EE10hipError_tPvRmT2_T3_T4_T5_mT6_T7_P12ihipStream_tbENKUlT_T0_E_clISt17integral_constantIbLb1EES13_EEDaSY_SZ_EUlSY_E_NS1_11comp_targetILNS1_3genE9ELNS1_11target_archE1100ELNS1_3gpuE3ELNS1_3repE0EEENS1_30default_config_static_selectorELNS0_4arch9wavefront6targetE1EEEvT1_: ; @_ZN7rocprim17ROCPRIM_400000_NS6detail17trampoline_kernelINS0_14default_configENS1_27scan_by_key_config_selectorIj11FixedVectorIiLj1EEEEZZNS1_16scan_by_key_implILNS1_25lookback_scan_determinismE0ELb1ES3_N6thrust23THRUST_200600_302600_NS6detail15normal_iteratorINSB_10device_ptrIjEEEENSD_INSE_IS6_EEEESI_S6_NSB_4plusIvEENSB_8equal_toIvEES6_EE10hipError_tPvRmT2_T3_T4_T5_mT6_T7_P12ihipStream_tbENKUlT_T0_E_clISt17integral_constantIbLb1EES13_EEDaSY_SZ_EUlSY_E_NS1_11comp_targetILNS1_3genE9ELNS1_11target_archE1100ELNS1_3gpuE3ELNS1_3repE0EEENS1_30default_config_static_selectorELNS0_4arch9wavefront6targetE1EEEvT1_
; %bb.0:
	.section	.rodata,"a",@progbits
	.p2align	6, 0x0
	.amdhsa_kernel _ZN7rocprim17ROCPRIM_400000_NS6detail17trampoline_kernelINS0_14default_configENS1_27scan_by_key_config_selectorIj11FixedVectorIiLj1EEEEZZNS1_16scan_by_key_implILNS1_25lookback_scan_determinismE0ELb1ES3_N6thrust23THRUST_200600_302600_NS6detail15normal_iteratorINSB_10device_ptrIjEEEENSD_INSE_IS6_EEEESI_S6_NSB_4plusIvEENSB_8equal_toIvEES6_EE10hipError_tPvRmT2_T3_T4_T5_mT6_T7_P12ihipStream_tbENKUlT_T0_E_clISt17integral_constantIbLb1EES13_EEDaSY_SZ_EUlSY_E_NS1_11comp_targetILNS1_3genE9ELNS1_11target_archE1100ELNS1_3gpuE3ELNS1_3repE0EEENS1_30default_config_static_selectorELNS0_4arch9wavefront6targetE1EEEvT1_
		.amdhsa_group_segment_fixed_size 0
		.amdhsa_private_segment_fixed_size 0
		.amdhsa_kernarg_size 112
		.amdhsa_user_sgpr_count 6
		.amdhsa_user_sgpr_private_segment_buffer 1
		.amdhsa_user_sgpr_dispatch_ptr 0
		.amdhsa_user_sgpr_queue_ptr 0
		.amdhsa_user_sgpr_kernarg_segment_ptr 1
		.amdhsa_user_sgpr_dispatch_id 0
		.amdhsa_user_sgpr_flat_scratch_init 0
		.amdhsa_user_sgpr_kernarg_preload_length 0
		.amdhsa_user_sgpr_kernarg_preload_offset 0
		.amdhsa_user_sgpr_private_segment_size 0
		.amdhsa_uses_dynamic_stack 0
		.amdhsa_system_sgpr_private_segment_wavefront_offset 0
		.amdhsa_system_sgpr_workgroup_id_x 1
		.amdhsa_system_sgpr_workgroup_id_y 0
		.amdhsa_system_sgpr_workgroup_id_z 0
		.amdhsa_system_sgpr_workgroup_info 0
		.amdhsa_system_vgpr_workitem_id 0
		.amdhsa_next_free_vgpr 1
		.amdhsa_next_free_sgpr 0
		.amdhsa_accum_offset 4
		.amdhsa_reserve_vcc 0
		.amdhsa_reserve_flat_scratch 0
		.amdhsa_float_round_mode_32 0
		.amdhsa_float_round_mode_16_64 0
		.amdhsa_float_denorm_mode_32 3
		.amdhsa_float_denorm_mode_16_64 3
		.amdhsa_dx10_clamp 1
		.amdhsa_ieee_mode 1
		.amdhsa_fp16_overflow 0
		.amdhsa_tg_split 0
		.amdhsa_exception_fp_ieee_invalid_op 0
		.amdhsa_exception_fp_denorm_src 0
		.amdhsa_exception_fp_ieee_div_zero 0
		.amdhsa_exception_fp_ieee_overflow 0
		.amdhsa_exception_fp_ieee_underflow 0
		.amdhsa_exception_fp_ieee_inexact 0
		.amdhsa_exception_int_div_zero 0
	.end_amdhsa_kernel
	.section	.text._ZN7rocprim17ROCPRIM_400000_NS6detail17trampoline_kernelINS0_14default_configENS1_27scan_by_key_config_selectorIj11FixedVectorIiLj1EEEEZZNS1_16scan_by_key_implILNS1_25lookback_scan_determinismE0ELb1ES3_N6thrust23THRUST_200600_302600_NS6detail15normal_iteratorINSB_10device_ptrIjEEEENSD_INSE_IS6_EEEESI_S6_NSB_4plusIvEENSB_8equal_toIvEES6_EE10hipError_tPvRmT2_T3_T4_T5_mT6_T7_P12ihipStream_tbENKUlT_T0_E_clISt17integral_constantIbLb1EES13_EEDaSY_SZ_EUlSY_E_NS1_11comp_targetILNS1_3genE9ELNS1_11target_archE1100ELNS1_3gpuE3ELNS1_3repE0EEENS1_30default_config_static_selectorELNS0_4arch9wavefront6targetE1EEEvT1_,"axG",@progbits,_ZN7rocprim17ROCPRIM_400000_NS6detail17trampoline_kernelINS0_14default_configENS1_27scan_by_key_config_selectorIj11FixedVectorIiLj1EEEEZZNS1_16scan_by_key_implILNS1_25lookback_scan_determinismE0ELb1ES3_N6thrust23THRUST_200600_302600_NS6detail15normal_iteratorINSB_10device_ptrIjEEEENSD_INSE_IS6_EEEESI_S6_NSB_4plusIvEENSB_8equal_toIvEES6_EE10hipError_tPvRmT2_T3_T4_T5_mT6_T7_P12ihipStream_tbENKUlT_T0_E_clISt17integral_constantIbLb1EES13_EEDaSY_SZ_EUlSY_E_NS1_11comp_targetILNS1_3genE9ELNS1_11target_archE1100ELNS1_3gpuE3ELNS1_3repE0EEENS1_30default_config_static_selectorELNS0_4arch9wavefront6targetE1EEEvT1_,comdat
.Lfunc_end1927:
	.size	_ZN7rocprim17ROCPRIM_400000_NS6detail17trampoline_kernelINS0_14default_configENS1_27scan_by_key_config_selectorIj11FixedVectorIiLj1EEEEZZNS1_16scan_by_key_implILNS1_25lookback_scan_determinismE0ELb1ES3_N6thrust23THRUST_200600_302600_NS6detail15normal_iteratorINSB_10device_ptrIjEEEENSD_INSE_IS6_EEEESI_S6_NSB_4plusIvEENSB_8equal_toIvEES6_EE10hipError_tPvRmT2_T3_T4_T5_mT6_T7_P12ihipStream_tbENKUlT_T0_E_clISt17integral_constantIbLb1EES13_EEDaSY_SZ_EUlSY_E_NS1_11comp_targetILNS1_3genE9ELNS1_11target_archE1100ELNS1_3gpuE3ELNS1_3repE0EEENS1_30default_config_static_selectorELNS0_4arch9wavefront6targetE1EEEvT1_, .Lfunc_end1927-_ZN7rocprim17ROCPRIM_400000_NS6detail17trampoline_kernelINS0_14default_configENS1_27scan_by_key_config_selectorIj11FixedVectorIiLj1EEEEZZNS1_16scan_by_key_implILNS1_25lookback_scan_determinismE0ELb1ES3_N6thrust23THRUST_200600_302600_NS6detail15normal_iteratorINSB_10device_ptrIjEEEENSD_INSE_IS6_EEEESI_S6_NSB_4plusIvEENSB_8equal_toIvEES6_EE10hipError_tPvRmT2_T3_T4_T5_mT6_T7_P12ihipStream_tbENKUlT_T0_E_clISt17integral_constantIbLb1EES13_EEDaSY_SZ_EUlSY_E_NS1_11comp_targetILNS1_3genE9ELNS1_11target_archE1100ELNS1_3gpuE3ELNS1_3repE0EEENS1_30default_config_static_selectorELNS0_4arch9wavefront6targetE1EEEvT1_
                                        ; -- End function
	.section	.AMDGPU.csdata,"",@progbits
; Kernel info:
; codeLenInByte = 0
; NumSgprs: 4
; NumVgprs: 0
; NumAgprs: 0
; TotalNumVgprs: 0
; ScratchSize: 0
; MemoryBound: 0
; FloatMode: 240
; IeeeMode: 1
; LDSByteSize: 0 bytes/workgroup (compile time only)
; SGPRBlocks: 0
; VGPRBlocks: 0
; NumSGPRsForWavesPerEU: 4
; NumVGPRsForWavesPerEU: 1
; AccumOffset: 4
; Occupancy: 8
; WaveLimiterHint : 0
; COMPUTE_PGM_RSRC2:SCRATCH_EN: 0
; COMPUTE_PGM_RSRC2:USER_SGPR: 6
; COMPUTE_PGM_RSRC2:TRAP_HANDLER: 0
; COMPUTE_PGM_RSRC2:TGID_X_EN: 1
; COMPUTE_PGM_RSRC2:TGID_Y_EN: 0
; COMPUTE_PGM_RSRC2:TGID_Z_EN: 0
; COMPUTE_PGM_RSRC2:TIDIG_COMP_CNT: 0
; COMPUTE_PGM_RSRC3_GFX90A:ACCUM_OFFSET: 0
; COMPUTE_PGM_RSRC3_GFX90A:TG_SPLIT: 0
	.section	.text._ZN7rocprim17ROCPRIM_400000_NS6detail17trampoline_kernelINS0_14default_configENS1_27scan_by_key_config_selectorIj11FixedVectorIiLj1EEEEZZNS1_16scan_by_key_implILNS1_25lookback_scan_determinismE0ELb1ES3_N6thrust23THRUST_200600_302600_NS6detail15normal_iteratorINSB_10device_ptrIjEEEENSD_INSE_IS6_EEEESI_S6_NSB_4plusIvEENSB_8equal_toIvEES6_EE10hipError_tPvRmT2_T3_T4_T5_mT6_T7_P12ihipStream_tbENKUlT_T0_E_clISt17integral_constantIbLb1EES13_EEDaSY_SZ_EUlSY_E_NS1_11comp_targetILNS1_3genE8ELNS1_11target_archE1030ELNS1_3gpuE2ELNS1_3repE0EEENS1_30default_config_static_selectorELNS0_4arch9wavefront6targetE1EEEvT1_,"axG",@progbits,_ZN7rocprim17ROCPRIM_400000_NS6detail17trampoline_kernelINS0_14default_configENS1_27scan_by_key_config_selectorIj11FixedVectorIiLj1EEEEZZNS1_16scan_by_key_implILNS1_25lookback_scan_determinismE0ELb1ES3_N6thrust23THRUST_200600_302600_NS6detail15normal_iteratorINSB_10device_ptrIjEEEENSD_INSE_IS6_EEEESI_S6_NSB_4plusIvEENSB_8equal_toIvEES6_EE10hipError_tPvRmT2_T3_T4_T5_mT6_T7_P12ihipStream_tbENKUlT_T0_E_clISt17integral_constantIbLb1EES13_EEDaSY_SZ_EUlSY_E_NS1_11comp_targetILNS1_3genE8ELNS1_11target_archE1030ELNS1_3gpuE2ELNS1_3repE0EEENS1_30default_config_static_selectorELNS0_4arch9wavefront6targetE1EEEvT1_,comdat
	.protected	_ZN7rocprim17ROCPRIM_400000_NS6detail17trampoline_kernelINS0_14default_configENS1_27scan_by_key_config_selectorIj11FixedVectorIiLj1EEEEZZNS1_16scan_by_key_implILNS1_25lookback_scan_determinismE0ELb1ES3_N6thrust23THRUST_200600_302600_NS6detail15normal_iteratorINSB_10device_ptrIjEEEENSD_INSE_IS6_EEEESI_S6_NSB_4plusIvEENSB_8equal_toIvEES6_EE10hipError_tPvRmT2_T3_T4_T5_mT6_T7_P12ihipStream_tbENKUlT_T0_E_clISt17integral_constantIbLb1EES13_EEDaSY_SZ_EUlSY_E_NS1_11comp_targetILNS1_3genE8ELNS1_11target_archE1030ELNS1_3gpuE2ELNS1_3repE0EEENS1_30default_config_static_selectorELNS0_4arch9wavefront6targetE1EEEvT1_ ; -- Begin function _ZN7rocprim17ROCPRIM_400000_NS6detail17trampoline_kernelINS0_14default_configENS1_27scan_by_key_config_selectorIj11FixedVectorIiLj1EEEEZZNS1_16scan_by_key_implILNS1_25lookback_scan_determinismE0ELb1ES3_N6thrust23THRUST_200600_302600_NS6detail15normal_iteratorINSB_10device_ptrIjEEEENSD_INSE_IS6_EEEESI_S6_NSB_4plusIvEENSB_8equal_toIvEES6_EE10hipError_tPvRmT2_T3_T4_T5_mT6_T7_P12ihipStream_tbENKUlT_T0_E_clISt17integral_constantIbLb1EES13_EEDaSY_SZ_EUlSY_E_NS1_11comp_targetILNS1_3genE8ELNS1_11target_archE1030ELNS1_3gpuE2ELNS1_3repE0EEENS1_30default_config_static_selectorELNS0_4arch9wavefront6targetE1EEEvT1_
	.globl	_ZN7rocprim17ROCPRIM_400000_NS6detail17trampoline_kernelINS0_14default_configENS1_27scan_by_key_config_selectorIj11FixedVectorIiLj1EEEEZZNS1_16scan_by_key_implILNS1_25lookback_scan_determinismE0ELb1ES3_N6thrust23THRUST_200600_302600_NS6detail15normal_iteratorINSB_10device_ptrIjEEEENSD_INSE_IS6_EEEESI_S6_NSB_4plusIvEENSB_8equal_toIvEES6_EE10hipError_tPvRmT2_T3_T4_T5_mT6_T7_P12ihipStream_tbENKUlT_T0_E_clISt17integral_constantIbLb1EES13_EEDaSY_SZ_EUlSY_E_NS1_11comp_targetILNS1_3genE8ELNS1_11target_archE1030ELNS1_3gpuE2ELNS1_3repE0EEENS1_30default_config_static_selectorELNS0_4arch9wavefront6targetE1EEEvT1_
	.p2align	8
	.type	_ZN7rocprim17ROCPRIM_400000_NS6detail17trampoline_kernelINS0_14default_configENS1_27scan_by_key_config_selectorIj11FixedVectorIiLj1EEEEZZNS1_16scan_by_key_implILNS1_25lookback_scan_determinismE0ELb1ES3_N6thrust23THRUST_200600_302600_NS6detail15normal_iteratorINSB_10device_ptrIjEEEENSD_INSE_IS6_EEEESI_S6_NSB_4plusIvEENSB_8equal_toIvEES6_EE10hipError_tPvRmT2_T3_T4_T5_mT6_T7_P12ihipStream_tbENKUlT_T0_E_clISt17integral_constantIbLb1EES13_EEDaSY_SZ_EUlSY_E_NS1_11comp_targetILNS1_3genE8ELNS1_11target_archE1030ELNS1_3gpuE2ELNS1_3repE0EEENS1_30default_config_static_selectorELNS0_4arch9wavefront6targetE1EEEvT1_,@function
_ZN7rocprim17ROCPRIM_400000_NS6detail17trampoline_kernelINS0_14default_configENS1_27scan_by_key_config_selectorIj11FixedVectorIiLj1EEEEZZNS1_16scan_by_key_implILNS1_25lookback_scan_determinismE0ELb1ES3_N6thrust23THRUST_200600_302600_NS6detail15normal_iteratorINSB_10device_ptrIjEEEENSD_INSE_IS6_EEEESI_S6_NSB_4plusIvEENSB_8equal_toIvEES6_EE10hipError_tPvRmT2_T3_T4_T5_mT6_T7_P12ihipStream_tbENKUlT_T0_E_clISt17integral_constantIbLb1EES13_EEDaSY_SZ_EUlSY_E_NS1_11comp_targetILNS1_3genE8ELNS1_11target_archE1030ELNS1_3gpuE2ELNS1_3repE0EEENS1_30default_config_static_selectorELNS0_4arch9wavefront6targetE1EEEvT1_: ; @_ZN7rocprim17ROCPRIM_400000_NS6detail17trampoline_kernelINS0_14default_configENS1_27scan_by_key_config_selectorIj11FixedVectorIiLj1EEEEZZNS1_16scan_by_key_implILNS1_25lookback_scan_determinismE0ELb1ES3_N6thrust23THRUST_200600_302600_NS6detail15normal_iteratorINSB_10device_ptrIjEEEENSD_INSE_IS6_EEEESI_S6_NSB_4plusIvEENSB_8equal_toIvEES6_EE10hipError_tPvRmT2_T3_T4_T5_mT6_T7_P12ihipStream_tbENKUlT_T0_E_clISt17integral_constantIbLb1EES13_EEDaSY_SZ_EUlSY_E_NS1_11comp_targetILNS1_3genE8ELNS1_11target_archE1030ELNS1_3gpuE2ELNS1_3repE0EEENS1_30default_config_static_selectorELNS0_4arch9wavefront6targetE1EEEvT1_
; %bb.0:
	.section	.rodata,"a",@progbits
	.p2align	6, 0x0
	.amdhsa_kernel _ZN7rocprim17ROCPRIM_400000_NS6detail17trampoline_kernelINS0_14default_configENS1_27scan_by_key_config_selectorIj11FixedVectorIiLj1EEEEZZNS1_16scan_by_key_implILNS1_25lookback_scan_determinismE0ELb1ES3_N6thrust23THRUST_200600_302600_NS6detail15normal_iteratorINSB_10device_ptrIjEEEENSD_INSE_IS6_EEEESI_S6_NSB_4plusIvEENSB_8equal_toIvEES6_EE10hipError_tPvRmT2_T3_T4_T5_mT6_T7_P12ihipStream_tbENKUlT_T0_E_clISt17integral_constantIbLb1EES13_EEDaSY_SZ_EUlSY_E_NS1_11comp_targetILNS1_3genE8ELNS1_11target_archE1030ELNS1_3gpuE2ELNS1_3repE0EEENS1_30default_config_static_selectorELNS0_4arch9wavefront6targetE1EEEvT1_
		.amdhsa_group_segment_fixed_size 0
		.amdhsa_private_segment_fixed_size 0
		.amdhsa_kernarg_size 112
		.amdhsa_user_sgpr_count 6
		.amdhsa_user_sgpr_private_segment_buffer 1
		.amdhsa_user_sgpr_dispatch_ptr 0
		.amdhsa_user_sgpr_queue_ptr 0
		.amdhsa_user_sgpr_kernarg_segment_ptr 1
		.amdhsa_user_sgpr_dispatch_id 0
		.amdhsa_user_sgpr_flat_scratch_init 0
		.amdhsa_user_sgpr_kernarg_preload_length 0
		.amdhsa_user_sgpr_kernarg_preload_offset 0
		.amdhsa_user_sgpr_private_segment_size 0
		.amdhsa_uses_dynamic_stack 0
		.amdhsa_system_sgpr_private_segment_wavefront_offset 0
		.amdhsa_system_sgpr_workgroup_id_x 1
		.amdhsa_system_sgpr_workgroup_id_y 0
		.amdhsa_system_sgpr_workgroup_id_z 0
		.amdhsa_system_sgpr_workgroup_info 0
		.amdhsa_system_vgpr_workitem_id 0
		.amdhsa_next_free_vgpr 1
		.amdhsa_next_free_sgpr 0
		.amdhsa_accum_offset 4
		.amdhsa_reserve_vcc 0
		.amdhsa_reserve_flat_scratch 0
		.amdhsa_float_round_mode_32 0
		.amdhsa_float_round_mode_16_64 0
		.amdhsa_float_denorm_mode_32 3
		.amdhsa_float_denorm_mode_16_64 3
		.amdhsa_dx10_clamp 1
		.amdhsa_ieee_mode 1
		.amdhsa_fp16_overflow 0
		.amdhsa_tg_split 0
		.amdhsa_exception_fp_ieee_invalid_op 0
		.amdhsa_exception_fp_denorm_src 0
		.amdhsa_exception_fp_ieee_div_zero 0
		.amdhsa_exception_fp_ieee_overflow 0
		.amdhsa_exception_fp_ieee_underflow 0
		.amdhsa_exception_fp_ieee_inexact 0
		.amdhsa_exception_int_div_zero 0
	.end_amdhsa_kernel
	.section	.text._ZN7rocprim17ROCPRIM_400000_NS6detail17trampoline_kernelINS0_14default_configENS1_27scan_by_key_config_selectorIj11FixedVectorIiLj1EEEEZZNS1_16scan_by_key_implILNS1_25lookback_scan_determinismE0ELb1ES3_N6thrust23THRUST_200600_302600_NS6detail15normal_iteratorINSB_10device_ptrIjEEEENSD_INSE_IS6_EEEESI_S6_NSB_4plusIvEENSB_8equal_toIvEES6_EE10hipError_tPvRmT2_T3_T4_T5_mT6_T7_P12ihipStream_tbENKUlT_T0_E_clISt17integral_constantIbLb1EES13_EEDaSY_SZ_EUlSY_E_NS1_11comp_targetILNS1_3genE8ELNS1_11target_archE1030ELNS1_3gpuE2ELNS1_3repE0EEENS1_30default_config_static_selectorELNS0_4arch9wavefront6targetE1EEEvT1_,"axG",@progbits,_ZN7rocprim17ROCPRIM_400000_NS6detail17trampoline_kernelINS0_14default_configENS1_27scan_by_key_config_selectorIj11FixedVectorIiLj1EEEEZZNS1_16scan_by_key_implILNS1_25lookback_scan_determinismE0ELb1ES3_N6thrust23THRUST_200600_302600_NS6detail15normal_iteratorINSB_10device_ptrIjEEEENSD_INSE_IS6_EEEESI_S6_NSB_4plusIvEENSB_8equal_toIvEES6_EE10hipError_tPvRmT2_T3_T4_T5_mT6_T7_P12ihipStream_tbENKUlT_T0_E_clISt17integral_constantIbLb1EES13_EEDaSY_SZ_EUlSY_E_NS1_11comp_targetILNS1_3genE8ELNS1_11target_archE1030ELNS1_3gpuE2ELNS1_3repE0EEENS1_30default_config_static_selectorELNS0_4arch9wavefront6targetE1EEEvT1_,comdat
.Lfunc_end1928:
	.size	_ZN7rocprim17ROCPRIM_400000_NS6detail17trampoline_kernelINS0_14default_configENS1_27scan_by_key_config_selectorIj11FixedVectorIiLj1EEEEZZNS1_16scan_by_key_implILNS1_25lookback_scan_determinismE0ELb1ES3_N6thrust23THRUST_200600_302600_NS6detail15normal_iteratorINSB_10device_ptrIjEEEENSD_INSE_IS6_EEEESI_S6_NSB_4plusIvEENSB_8equal_toIvEES6_EE10hipError_tPvRmT2_T3_T4_T5_mT6_T7_P12ihipStream_tbENKUlT_T0_E_clISt17integral_constantIbLb1EES13_EEDaSY_SZ_EUlSY_E_NS1_11comp_targetILNS1_3genE8ELNS1_11target_archE1030ELNS1_3gpuE2ELNS1_3repE0EEENS1_30default_config_static_selectorELNS0_4arch9wavefront6targetE1EEEvT1_, .Lfunc_end1928-_ZN7rocprim17ROCPRIM_400000_NS6detail17trampoline_kernelINS0_14default_configENS1_27scan_by_key_config_selectorIj11FixedVectorIiLj1EEEEZZNS1_16scan_by_key_implILNS1_25lookback_scan_determinismE0ELb1ES3_N6thrust23THRUST_200600_302600_NS6detail15normal_iteratorINSB_10device_ptrIjEEEENSD_INSE_IS6_EEEESI_S6_NSB_4plusIvEENSB_8equal_toIvEES6_EE10hipError_tPvRmT2_T3_T4_T5_mT6_T7_P12ihipStream_tbENKUlT_T0_E_clISt17integral_constantIbLb1EES13_EEDaSY_SZ_EUlSY_E_NS1_11comp_targetILNS1_3genE8ELNS1_11target_archE1030ELNS1_3gpuE2ELNS1_3repE0EEENS1_30default_config_static_selectorELNS0_4arch9wavefront6targetE1EEEvT1_
                                        ; -- End function
	.section	.AMDGPU.csdata,"",@progbits
; Kernel info:
; codeLenInByte = 0
; NumSgprs: 4
; NumVgprs: 0
; NumAgprs: 0
; TotalNumVgprs: 0
; ScratchSize: 0
; MemoryBound: 0
; FloatMode: 240
; IeeeMode: 1
; LDSByteSize: 0 bytes/workgroup (compile time only)
; SGPRBlocks: 0
; VGPRBlocks: 0
; NumSGPRsForWavesPerEU: 4
; NumVGPRsForWavesPerEU: 1
; AccumOffset: 4
; Occupancy: 8
; WaveLimiterHint : 0
; COMPUTE_PGM_RSRC2:SCRATCH_EN: 0
; COMPUTE_PGM_RSRC2:USER_SGPR: 6
; COMPUTE_PGM_RSRC2:TRAP_HANDLER: 0
; COMPUTE_PGM_RSRC2:TGID_X_EN: 1
; COMPUTE_PGM_RSRC2:TGID_Y_EN: 0
; COMPUTE_PGM_RSRC2:TGID_Z_EN: 0
; COMPUTE_PGM_RSRC2:TIDIG_COMP_CNT: 0
; COMPUTE_PGM_RSRC3_GFX90A:ACCUM_OFFSET: 0
; COMPUTE_PGM_RSRC3_GFX90A:TG_SPLIT: 0
	.section	.text._ZN7rocprim17ROCPRIM_400000_NS6detail17trampoline_kernelINS0_14default_configENS1_27scan_by_key_config_selectorIj11FixedVectorIiLj1EEEEZZNS1_16scan_by_key_implILNS1_25lookback_scan_determinismE0ELb1ES3_N6thrust23THRUST_200600_302600_NS6detail15normal_iteratorINSB_10device_ptrIjEEEENSD_INSE_IS6_EEEESI_S6_NSB_4plusIvEENSB_8equal_toIvEES6_EE10hipError_tPvRmT2_T3_T4_T5_mT6_T7_P12ihipStream_tbENKUlT_T0_E_clISt17integral_constantIbLb1EES12_IbLb0EEEEDaSY_SZ_EUlSY_E_NS1_11comp_targetILNS1_3genE0ELNS1_11target_archE4294967295ELNS1_3gpuE0ELNS1_3repE0EEENS1_30default_config_static_selectorELNS0_4arch9wavefront6targetE1EEEvT1_,"axG",@progbits,_ZN7rocprim17ROCPRIM_400000_NS6detail17trampoline_kernelINS0_14default_configENS1_27scan_by_key_config_selectorIj11FixedVectorIiLj1EEEEZZNS1_16scan_by_key_implILNS1_25lookback_scan_determinismE0ELb1ES3_N6thrust23THRUST_200600_302600_NS6detail15normal_iteratorINSB_10device_ptrIjEEEENSD_INSE_IS6_EEEESI_S6_NSB_4plusIvEENSB_8equal_toIvEES6_EE10hipError_tPvRmT2_T3_T4_T5_mT6_T7_P12ihipStream_tbENKUlT_T0_E_clISt17integral_constantIbLb1EES12_IbLb0EEEEDaSY_SZ_EUlSY_E_NS1_11comp_targetILNS1_3genE0ELNS1_11target_archE4294967295ELNS1_3gpuE0ELNS1_3repE0EEENS1_30default_config_static_selectorELNS0_4arch9wavefront6targetE1EEEvT1_,comdat
	.protected	_ZN7rocprim17ROCPRIM_400000_NS6detail17trampoline_kernelINS0_14default_configENS1_27scan_by_key_config_selectorIj11FixedVectorIiLj1EEEEZZNS1_16scan_by_key_implILNS1_25lookback_scan_determinismE0ELb1ES3_N6thrust23THRUST_200600_302600_NS6detail15normal_iteratorINSB_10device_ptrIjEEEENSD_INSE_IS6_EEEESI_S6_NSB_4plusIvEENSB_8equal_toIvEES6_EE10hipError_tPvRmT2_T3_T4_T5_mT6_T7_P12ihipStream_tbENKUlT_T0_E_clISt17integral_constantIbLb1EES12_IbLb0EEEEDaSY_SZ_EUlSY_E_NS1_11comp_targetILNS1_3genE0ELNS1_11target_archE4294967295ELNS1_3gpuE0ELNS1_3repE0EEENS1_30default_config_static_selectorELNS0_4arch9wavefront6targetE1EEEvT1_ ; -- Begin function _ZN7rocprim17ROCPRIM_400000_NS6detail17trampoline_kernelINS0_14default_configENS1_27scan_by_key_config_selectorIj11FixedVectorIiLj1EEEEZZNS1_16scan_by_key_implILNS1_25lookback_scan_determinismE0ELb1ES3_N6thrust23THRUST_200600_302600_NS6detail15normal_iteratorINSB_10device_ptrIjEEEENSD_INSE_IS6_EEEESI_S6_NSB_4plusIvEENSB_8equal_toIvEES6_EE10hipError_tPvRmT2_T3_T4_T5_mT6_T7_P12ihipStream_tbENKUlT_T0_E_clISt17integral_constantIbLb1EES12_IbLb0EEEEDaSY_SZ_EUlSY_E_NS1_11comp_targetILNS1_3genE0ELNS1_11target_archE4294967295ELNS1_3gpuE0ELNS1_3repE0EEENS1_30default_config_static_selectorELNS0_4arch9wavefront6targetE1EEEvT1_
	.globl	_ZN7rocprim17ROCPRIM_400000_NS6detail17trampoline_kernelINS0_14default_configENS1_27scan_by_key_config_selectorIj11FixedVectorIiLj1EEEEZZNS1_16scan_by_key_implILNS1_25lookback_scan_determinismE0ELb1ES3_N6thrust23THRUST_200600_302600_NS6detail15normal_iteratorINSB_10device_ptrIjEEEENSD_INSE_IS6_EEEESI_S6_NSB_4plusIvEENSB_8equal_toIvEES6_EE10hipError_tPvRmT2_T3_T4_T5_mT6_T7_P12ihipStream_tbENKUlT_T0_E_clISt17integral_constantIbLb1EES12_IbLb0EEEEDaSY_SZ_EUlSY_E_NS1_11comp_targetILNS1_3genE0ELNS1_11target_archE4294967295ELNS1_3gpuE0ELNS1_3repE0EEENS1_30default_config_static_selectorELNS0_4arch9wavefront6targetE1EEEvT1_
	.p2align	8
	.type	_ZN7rocprim17ROCPRIM_400000_NS6detail17trampoline_kernelINS0_14default_configENS1_27scan_by_key_config_selectorIj11FixedVectorIiLj1EEEEZZNS1_16scan_by_key_implILNS1_25lookback_scan_determinismE0ELb1ES3_N6thrust23THRUST_200600_302600_NS6detail15normal_iteratorINSB_10device_ptrIjEEEENSD_INSE_IS6_EEEESI_S6_NSB_4plusIvEENSB_8equal_toIvEES6_EE10hipError_tPvRmT2_T3_T4_T5_mT6_T7_P12ihipStream_tbENKUlT_T0_E_clISt17integral_constantIbLb1EES12_IbLb0EEEEDaSY_SZ_EUlSY_E_NS1_11comp_targetILNS1_3genE0ELNS1_11target_archE4294967295ELNS1_3gpuE0ELNS1_3repE0EEENS1_30default_config_static_selectorELNS0_4arch9wavefront6targetE1EEEvT1_,@function
_ZN7rocprim17ROCPRIM_400000_NS6detail17trampoline_kernelINS0_14default_configENS1_27scan_by_key_config_selectorIj11FixedVectorIiLj1EEEEZZNS1_16scan_by_key_implILNS1_25lookback_scan_determinismE0ELb1ES3_N6thrust23THRUST_200600_302600_NS6detail15normal_iteratorINSB_10device_ptrIjEEEENSD_INSE_IS6_EEEESI_S6_NSB_4plusIvEENSB_8equal_toIvEES6_EE10hipError_tPvRmT2_T3_T4_T5_mT6_T7_P12ihipStream_tbENKUlT_T0_E_clISt17integral_constantIbLb1EES12_IbLb0EEEEDaSY_SZ_EUlSY_E_NS1_11comp_targetILNS1_3genE0ELNS1_11target_archE4294967295ELNS1_3gpuE0ELNS1_3repE0EEENS1_30default_config_static_selectorELNS0_4arch9wavefront6targetE1EEEvT1_: ; @_ZN7rocprim17ROCPRIM_400000_NS6detail17trampoline_kernelINS0_14default_configENS1_27scan_by_key_config_selectorIj11FixedVectorIiLj1EEEEZZNS1_16scan_by_key_implILNS1_25lookback_scan_determinismE0ELb1ES3_N6thrust23THRUST_200600_302600_NS6detail15normal_iteratorINSB_10device_ptrIjEEEENSD_INSE_IS6_EEEESI_S6_NSB_4plusIvEENSB_8equal_toIvEES6_EE10hipError_tPvRmT2_T3_T4_T5_mT6_T7_P12ihipStream_tbENKUlT_T0_E_clISt17integral_constantIbLb1EES12_IbLb0EEEEDaSY_SZ_EUlSY_E_NS1_11comp_targetILNS1_3genE0ELNS1_11target_archE4294967295ELNS1_3gpuE0ELNS1_3repE0EEENS1_30default_config_static_selectorELNS0_4arch9wavefront6targetE1EEEvT1_
; %bb.0:
	.section	.rodata,"a",@progbits
	.p2align	6, 0x0
	.amdhsa_kernel _ZN7rocprim17ROCPRIM_400000_NS6detail17trampoline_kernelINS0_14default_configENS1_27scan_by_key_config_selectorIj11FixedVectorIiLj1EEEEZZNS1_16scan_by_key_implILNS1_25lookback_scan_determinismE0ELb1ES3_N6thrust23THRUST_200600_302600_NS6detail15normal_iteratorINSB_10device_ptrIjEEEENSD_INSE_IS6_EEEESI_S6_NSB_4plusIvEENSB_8equal_toIvEES6_EE10hipError_tPvRmT2_T3_T4_T5_mT6_T7_P12ihipStream_tbENKUlT_T0_E_clISt17integral_constantIbLb1EES12_IbLb0EEEEDaSY_SZ_EUlSY_E_NS1_11comp_targetILNS1_3genE0ELNS1_11target_archE4294967295ELNS1_3gpuE0ELNS1_3repE0EEENS1_30default_config_static_selectorELNS0_4arch9wavefront6targetE1EEEvT1_
		.amdhsa_group_segment_fixed_size 0
		.amdhsa_private_segment_fixed_size 0
		.amdhsa_kernarg_size 112
		.amdhsa_user_sgpr_count 6
		.amdhsa_user_sgpr_private_segment_buffer 1
		.amdhsa_user_sgpr_dispatch_ptr 0
		.amdhsa_user_sgpr_queue_ptr 0
		.amdhsa_user_sgpr_kernarg_segment_ptr 1
		.amdhsa_user_sgpr_dispatch_id 0
		.amdhsa_user_sgpr_flat_scratch_init 0
		.amdhsa_user_sgpr_kernarg_preload_length 0
		.amdhsa_user_sgpr_kernarg_preload_offset 0
		.amdhsa_user_sgpr_private_segment_size 0
		.amdhsa_uses_dynamic_stack 0
		.amdhsa_system_sgpr_private_segment_wavefront_offset 0
		.amdhsa_system_sgpr_workgroup_id_x 1
		.amdhsa_system_sgpr_workgroup_id_y 0
		.amdhsa_system_sgpr_workgroup_id_z 0
		.amdhsa_system_sgpr_workgroup_info 0
		.amdhsa_system_vgpr_workitem_id 0
		.amdhsa_next_free_vgpr 1
		.amdhsa_next_free_sgpr 0
		.amdhsa_accum_offset 4
		.amdhsa_reserve_vcc 0
		.amdhsa_reserve_flat_scratch 0
		.amdhsa_float_round_mode_32 0
		.amdhsa_float_round_mode_16_64 0
		.amdhsa_float_denorm_mode_32 3
		.amdhsa_float_denorm_mode_16_64 3
		.amdhsa_dx10_clamp 1
		.amdhsa_ieee_mode 1
		.amdhsa_fp16_overflow 0
		.amdhsa_tg_split 0
		.amdhsa_exception_fp_ieee_invalid_op 0
		.amdhsa_exception_fp_denorm_src 0
		.amdhsa_exception_fp_ieee_div_zero 0
		.amdhsa_exception_fp_ieee_overflow 0
		.amdhsa_exception_fp_ieee_underflow 0
		.amdhsa_exception_fp_ieee_inexact 0
		.amdhsa_exception_int_div_zero 0
	.end_amdhsa_kernel
	.section	.text._ZN7rocprim17ROCPRIM_400000_NS6detail17trampoline_kernelINS0_14default_configENS1_27scan_by_key_config_selectorIj11FixedVectorIiLj1EEEEZZNS1_16scan_by_key_implILNS1_25lookback_scan_determinismE0ELb1ES3_N6thrust23THRUST_200600_302600_NS6detail15normal_iteratorINSB_10device_ptrIjEEEENSD_INSE_IS6_EEEESI_S6_NSB_4plusIvEENSB_8equal_toIvEES6_EE10hipError_tPvRmT2_T3_T4_T5_mT6_T7_P12ihipStream_tbENKUlT_T0_E_clISt17integral_constantIbLb1EES12_IbLb0EEEEDaSY_SZ_EUlSY_E_NS1_11comp_targetILNS1_3genE0ELNS1_11target_archE4294967295ELNS1_3gpuE0ELNS1_3repE0EEENS1_30default_config_static_selectorELNS0_4arch9wavefront6targetE1EEEvT1_,"axG",@progbits,_ZN7rocprim17ROCPRIM_400000_NS6detail17trampoline_kernelINS0_14default_configENS1_27scan_by_key_config_selectorIj11FixedVectorIiLj1EEEEZZNS1_16scan_by_key_implILNS1_25lookback_scan_determinismE0ELb1ES3_N6thrust23THRUST_200600_302600_NS6detail15normal_iteratorINSB_10device_ptrIjEEEENSD_INSE_IS6_EEEESI_S6_NSB_4plusIvEENSB_8equal_toIvEES6_EE10hipError_tPvRmT2_T3_T4_T5_mT6_T7_P12ihipStream_tbENKUlT_T0_E_clISt17integral_constantIbLb1EES12_IbLb0EEEEDaSY_SZ_EUlSY_E_NS1_11comp_targetILNS1_3genE0ELNS1_11target_archE4294967295ELNS1_3gpuE0ELNS1_3repE0EEENS1_30default_config_static_selectorELNS0_4arch9wavefront6targetE1EEEvT1_,comdat
.Lfunc_end1929:
	.size	_ZN7rocprim17ROCPRIM_400000_NS6detail17trampoline_kernelINS0_14default_configENS1_27scan_by_key_config_selectorIj11FixedVectorIiLj1EEEEZZNS1_16scan_by_key_implILNS1_25lookback_scan_determinismE0ELb1ES3_N6thrust23THRUST_200600_302600_NS6detail15normal_iteratorINSB_10device_ptrIjEEEENSD_INSE_IS6_EEEESI_S6_NSB_4plusIvEENSB_8equal_toIvEES6_EE10hipError_tPvRmT2_T3_T4_T5_mT6_T7_P12ihipStream_tbENKUlT_T0_E_clISt17integral_constantIbLb1EES12_IbLb0EEEEDaSY_SZ_EUlSY_E_NS1_11comp_targetILNS1_3genE0ELNS1_11target_archE4294967295ELNS1_3gpuE0ELNS1_3repE0EEENS1_30default_config_static_selectorELNS0_4arch9wavefront6targetE1EEEvT1_, .Lfunc_end1929-_ZN7rocprim17ROCPRIM_400000_NS6detail17trampoline_kernelINS0_14default_configENS1_27scan_by_key_config_selectorIj11FixedVectorIiLj1EEEEZZNS1_16scan_by_key_implILNS1_25lookback_scan_determinismE0ELb1ES3_N6thrust23THRUST_200600_302600_NS6detail15normal_iteratorINSB_10device_ptrIjEEEENSD_INSE_IS6_EEEESI_S6_NSB_4plusIvEENSB_8equal_toIvEES6_EE10hipError_tPvRmT2_T3_T4_T5_mT6_T7_P12ihipStream_tbENKUlT_T0_E_clISt17integral_constantIbLb1EES12_IbLb0EEEEDaSY_SZ_EUlSY_E_NS1_11comp_targetILNS1_3genE0ELNS1_11target_archE4294967295ELNS1_3gpuE0ELNS1_3repE0EEENS1_30default_config_static_selectorELNS0_4arch9wavefront6targetE1EEEvT1_
                                        ; -- End function
	.section	.AMDGPU.csdata,"",@progbits
; Kernel info:
; codeLenInByte = 0
; NumSgprs: 4
; NumVgprs: 0
; NumAgprs: 0
; TotalNumVgprs: 0
; ScratchSize: 0
; MemoryBound: 0
; FloatMode: 240
; IeeeMode: 1
; LDSByteSize: 0 bytes/workgroup (compile time only)
; SGPRBlocks: 0
; VGPRBlocks: 0
; NumSGPRsForWavesPerEU: 4
; NumVGPRsForWavesPerEU: 1
; AccumOffset: 4
; Occupancy: 8
; WaveLimiterHint : 0
; COMPUTE_PGM_RSRC2:SCRATCH_EN: 0
; COMPUTE_PGM_RSRC2:USER_SGPR: 6
; COMPUTE_PGM_RSRC2:TRAP_HANDLER: 0
; COMPUTE_PGM_RSRC2:TGID_X_EN: 1
; COMPUTE_PGM_RSRC2:TGID_Y_EN: 0
; COMPUTE_PGM_RSRC2:TGID_Z_EN: 0
; COMPUTE_PGM_RSRC2:TIDIG_COMP_CNT: 0
; COMPUTE_PGM_RSRC3_GFX90A:ACCUM_OFFSET: 0
; COMPUTE_PGM_RSRC3_GFX90A:TG_SPLIT: 0
	.section	.text._ZN7rocprim17ROCPRIM_400000_NS6detail17trampoline_kernelINS0_14default_configENS1_27scan_by_key_config_selectorIj11FixedVectorIiLj1EEEEZZNS1_16scan_by_key_implILNS1_25lookback_scan_determinismE0ELb1ES3_N6thrust23THRUST_200600_302600_NS6detail15normal_iteratorINSB_10device_ptrIjEEEENSD_INSE_IS6_EEEESI_S6_NSB_4plusIvEENSB_8equal_toIvEES6_EE10hipError_tPvRmT2_T3_T4_T5_mT6_T7_P12ihipStream_tbENKUlT_T0_E_clISt17integral_constantIbLb1EES12_IbLb0EEEEDaSY_SZ_EUlSY_E_NS1_11comp_targetILNS1_3genE10ELNS1_11target_archE1201ELNS1_3gpuE5ELNS1_3repE0EEENS1_30default_config_static_selectorELNS0_4arch9wavefront6targetE1EEEvT1_,"axG",@progbits,_ZN7rocprim17ROCPRIM_400000_NS6detail17trampoline_kernelINS0_14default_configENS1_27scan_by_key_config_selectorIj11FixedVectorIiLj1EEEEZZNS1_16scan_by_key_implILNS1_25lookback_scan_determinismE0ELb1ES3_N6thrust23THRUST_200600_302600_NS6detail15normal_iteratorINSB_10device_ptrIjEEEENSD_INSE_IS6_EEEESI_S6_NSB_4plusIvEENSB_8equal_toIvEES6_EE10hipError_tPvRmT2_T3_T4_T5_mT6_T7_P12ihipStream_tbENKUlT_T0_E_clISt17integral_constantIbLb1EES12_IbLb0EEEEDaSY_SZ_EUlSY_E_NS1_11comp_targetILNS1_3genE10ELNS1_11target_archE1201ELNS1_3gpuE5ELNS1_3repE0EEENS1_30default_config_static_selectorELNS0_4arch9wavefront6targetE1EEEvT1_,comdat
	.protected	_ZN7rocprim17ROCPRIM_400000_NS6detail17trampoline_kernelINS0_14default_configENS1_27scan_by_key_config_selectorIj11FixedVectorIiLj1EEEEZZNS1_16scan_by_key_implILNS1_25lookback_scan_determinismE0ELb1ES3_N6thrust23THRUST_200600_302600_NS6detail15normal_iteratorINSB_10device_ptrIjEEEENSD_INSE_IS6_EEEESI_S6_NSB_4plusIvEENSB_8equal_toIvEES6_EE10hipError_tPvRmT2_T3_T4_T5_mT6_T7_P12ihipStream_tbENKUlT_T0_E_clISt17integral_constantIbLb1EES12_IbLb0EEEEDaSY_SZ_EUlSY_E_NS1_11comp_targetILNS1_3genE10ELNS1_11target_archE1201ELNS1_3gpuE5ELNS1_3repE0EEENS1_30default_config_static_selectorELNS0_4arch9wavefront6targetE1EEEvT1_ ; -- Begin function _ZN7rocprim17ROCPRIM_400000_NS6detail17trampoline_kernelINS0_14default_configENS1_27scan_by_key_config_selectorIj11FixedVectorIiLj1EEEEZZNS1_16scan_by_key_implILNS1_25lookback_scan_determinismE0ELb1ES3_N6thrust23THRUST_200600_302600_NS6detail15normal_iteratorINSB_10device_ptrIjEEEENSD_INSE_IS6_EEEESI_S6_NSB_4plusIvEENSB_8equal_toIvEES6_EE10hipError_tPvRmT2_T3_T4_T5_mT6_T7_P12ihipStream_tbENKUlT_T0_E_clISt17integral_constantIbLb1EES12_IbLb0EEEEDaSY_SZ_EUlSY_E_NS1_11comp_targetILNS1_3genE10ELNS1_11target_archE1201ELNS1_3gpuE5ELNS1_3repE0EEENS1_30default_config_static_selectorELNS0_4arch9wavefront6targetE1EEEvT1_
	.globl	_ZN7rocprim17ROCPRIM_400000_NS6detail17trampoline_kernelINS0_14default_configENS1_27scan_by_key_config_selectorIj11FixedVectorIiLj1EEEEZZNS1_16scan_by_key_implILNS1_25lookback_scan_determinismE0ELb1ES3_N6thrust23THRUST_200600_302600_NS6detail15normal_iteratorINSB_10device_ptrIjEEEENSD_INSE_IS6_EEEESI_S6_NSB_4plusIvEENSB_8equal_toIvEES6_EE10hipError_tPvRmT2_T3_T4_T5_mT6_T7_P12ihipStream_tbENKUlT_T0_E_clISt17integral_constantIbLb1EES12_IbLb0EEEEDaSY_SZ_EUlSY_E_NS1_11comp_targetILNS1_3genE10ELNS1_11target_archE1201ELNS1_3gpuE5ELNS1_3repE0EEENS1_30default_config_static_selectorELNS0_4arch9wavefront6targetE1EEEvT1_
	.p2align	8
	.type	_ZN7rocprim17ROCPRIM_400000_NS6detail17trampoline_kernelINS0_14default_configENS1_27scan_by_key_config_selectorIj11FixedVectorIiLj1EEEEZZNS1_16scan_by_key_implILNS1_25lookback_scan_determinismE0ELb1ES3_N6thrust23THRUST_200600_302600_NS6detail15normal_iteratorINSB_10device_ptrIjEEEENSD_INSE_IS6_EEEESI_S6_NSB_4plusIvEENSB_8equal_toIvEES6_EE10hipError_tPvRmT2_T3_T4_T5_mT6_T7_P12ihipStream_tbENKUlT_T0_E_clISt17integral_constantIbLb1EES12_IbLb0EEEEDaSY_SZ_EUlSY_E_NS1_11comp_targetILNS1_3genE10ELNS1_11target_archE1201ELNS1_3gpuE5ELNS1_3repE0EEENS1_30default_config_static_selectorELNS0_4arch9wavefront6targetE1EEEvT1_,@function
_ZN7rocprim17ROCPRIM_400000_NS6detail17trampoline_kernelINS0_14default_configENS1_27scan_by_key_config_selectorIj11FixedVectorIiLj1EEEEZZNS1_16scan_by_key_implILNS1_25lookback_scan_determinismE0ELb1ES3_N6thrust23THRUST_200600_302600_NS6detail15normal_iteratorINSB_10device_ptrIjEEEENSD_INSE_IS6_EEEESI_S6_NSB_4plusIvEENSB_8equal_toIvEES6_EE10hipError_tPvRmT2_T3_T4_T5_mT6_T7_P12ihipStream_tbENKUlT_T0_E_clISt17integral_constantIbLb1EES12_IbLb0EEEEDaSY_SZ_EUlSY_E_NS1_11comp_targetILNS1_3genE10ELNS1_11target_archE1201ELNS1_3gpuE5ELNS1_3repE0EEENS1_30default_config_static_selectorELNS0_4arch9wavefront6targetE1EEEvT1_: ; @_ZN7rocprim17ROCPRIM_400000_NS6detail17trampoline_kernelINS0_14default_configENS1_27scan_by_key_config_selectorIj11FixedVectorIiLj1EEEEZZNS1_16scan_by_key_implILNS1_25lookback_scan_determinismE0ELb1ES3_N6thrust23THRUST_200600_302600_NS6detail15normal_iteratorINSB_10device_ptrIjEEEENSD_INSE_IS6_EEEESI_S6_NSB_4plusIvEENSB_8equal_toIvEES6_EE10hipError_tPvRmT2_T3_T4_T5_mT6_T7_P12ihipStream_tbENKUlT_T0_E_clISt17integral_constantIbLb1EES12_IbLb0EEEEDaSY_SZ_EUlSY_E_NS1_11comp_targetILNS1_3genE10ELNS1_11target_archE1201ELNS1_3gpuE5ELNS1_3repE0EEENS1_30default_config_static_selectorELNS0_4arch9wavefront6targetE1EEEvT1_
; %bb.0:
	.section	.rodata,"a",@progbits
	.p2align	6, 0x0
	.amdhsa_kernel _ZN7rocprim17ROCPRIM_400000_NS6detail17trampoline_kernelINS0_14default_configENS1_27scan_by_key_config_selectorIj11FixedVectorIiLj1EEEEZZNS1_16scan_by_key_implILNS1_25lookback_scan_determinismE0ELb1ES3_N6thrust23THRUST_200600_302600_NS6detail15normal_iteratorINSB_10device_ptrIjEEEENSD_INSE_IS6_EEEESI_S6_NSB_4plusIvEENSB_8equal_toIvEES6_EE10hipError_tPvRmT2_T3_T4_T5_mT6_T7_P12ihipStream_tbENKUlT_T0_E_clISt17integral_constantIbLb1EES12_IbLb0EEEEDaSY_SZ_EUlSY_E_NS1_11comp_targetILNS1_3genE10ELNS1_11target_archE1201ELNS1_3gpuE5ELNS1_3repE0EEENS1_30default_config_static_selectorELNS0_4arch9wavefront6targetE1EEEvT1_
		.amdhsa_group_segment_fixed_size 0
		.amdhsa_private_segment_fixed_size 0
		.amdhsa_kernarg_size 112
		.amdhsa_user_sgpr_count 6
		.amdhsa_user_sgpr_private_segment_buffer 1
		.amdhsa_user_sgpr_dispatch_ptr 0
		.amdhsa_user_sgpr_queue_ptr 0
		.amdhsa_user_sgpr_kernarg_segment_ptr 1
		.amdhsa_user_sgpr_dispatch_id 0
		.amdhsa_user_sgpr_flat_scratch_init 0
		.amdhsa_user_sgpr_kernarg_preload_length 0
		.amdhsa_user_sgpr_kernarg_preload_offset 0
		.amdhsa_user_sgpr_private_segment_size 0
		.amdhsa_uses_dynamic_stack 0
		.amdhsa_system_sgpr_private_segment_wavefront_offset 0
		.amdhsa_system_sgpr_workgroup_id_x 1
		.amdhsa_system_sgpr_workgroup_id_y 0
		.amdhsa_system_sgpr_workgroup_id_z 0
		.amdhsa_system_sgpr_workgroup_info 0
		.amdhsa_system_vgpr_workitem_id 0
		.amdhsa_next_free_vgpr 1
		.amdhsa_next_free_sgpr 0
		.amdhsa_accum_offset 4
		.amdhsa_reserve_vcc 0
		.amdhsa_reserve_flat_scratch 0
		.amdhsa_float_round_mode_32 0
		.amdhsa_float_round_mode_16_64 0
		.amdhsa_float_denorm_mode_32 3
		.amdhsa_float_denorm_mode_16_64 3
		.amdhsa_dx10_clamp 1
		.amdhsa_ieee_mode 1
		.amdhsa_fp16_overflow 0
		.amdhsa_tg_split 0
		.amdhsa_exception_fp_ieee_invalid_op 0
		.amdhsa_exception_fp_denorm_src 0
		.amdhsa_exception_fp_ieee_div_zero 0
		.amdhsa_exception_fp_ieee_overflow 0
		.amdhsa_exception_fp_ieee_underflow 0
		.amdhsa_exception_fp_ieee_inexact 0
		.amdhsa_exception_int_div_zero 0
	.end_amdhsa_kernel
	.section	.text._ZN7rocprim17ROCPRIM_400000_NS6detail17trampoline_kernelINS0_14default_configENS1_27scan_by_key_config_selectorIj11FixedVectorIiLj1EEEEZZNS1_16scan_by_key_implILNS1_25lookback_scan_determinismE0ELb1ES3_N6thrust23THRUST_200600_302600_NS6detail15normal_iteratorINSB_10device_ptrIjEEEENSD_INSE_IS6_EEEESI_S6_NSB_4plusIvEENSB_8equal_toIvEES6_EE10hipError_tPvRmT2_T3_T4_T5_mT6_T7_P12ihipStream_tbENKUlT_T0_E_clISt17integral_constantIbLb1EES12_IbLb0EEEEDaSY_SZ_EUlSY_E_NS1_11comp_targetILNS1_3genE10ELNS1_11target_archE1201ELNS1_3gpuE5ELNS1_3repE0EEENS1_30default_config_static_selectorELNS0_4arch9wavefront6targetE1EEEvT1_,"axG",@progbits,_ZN7rocprim17ROCPRIM_400000_NS6detail17trampoline_kernelINS0_14default_configENS1_27scan_by_key_config_selectorIj11FixedVectorIiLj1EEEEZZNS1_16scan_by_key_implILNS1_25lookback_scan_determinismE0ELb1ES3_N6thrust23THRUST_200600_302600_NS6detail15normal_iteratorINSB_10device_ptrIjEEEENSD_INSE_IS6_EEEESI_S6_NSB_4plusIvEENSB_8equal_toIvEES6_EE10hipError_tPvRmT2_T3_T4_T5_mT6_T7_P12ihipStream_tbENKUlT_T0_E_clISt17integral_constantIbLb1EES12_IbLb0EEEEDaSY_SZ_EUlSY_E_NS1_11comp_targetILNS1_3genE10ELNS1_11target_archE1201ELNS1_3gpuE5ELNS1_3repE0EEENS1_30default_config_static_selectorELNS0_4arch9wavefront6targetE1EEEvT1_,comdat
.Lfunc_end1930:
	.size	_ZN7rocprim17ROCPRIM_400000_NS6detail17trampoline_kernelINS0_14default_configENS1_27scan_by_key_config_selectorIj11FixedVectorIiLj1EEEEZZNS1_16scan_by_key_implILNS1_25lookback_scan_determinismE0ELb1ES3_N6thrust23THRUST_200600_302600_NS6detail15normal_iteratorINSB_10device_ptrIjEEEENSD_INSE_IS6_EEEESI_S6_NSB_4plusIvEENSB_8equal_toIvEES6_EE10hipError_tPvRmT2_T3_T4_T5_mT6_T7_P12ihipStream_tbENKUlT_T0_E_clISt17integral_constantIbLb1EES12_IbLb0EEEEDaSY_SZ_EUlSY_E_NS1_11comp_targetILNS1_3genE10ELNS1_11target_archE1201ELNS1_3gpuE5ELNS1_3repE0EEENS1_30default_config_static_selectorELNS0_4arch9wavefront6targetE1EEEvT1_, .Lfunc_end1930-_ZN7rocprim17ROCPRIM_400000_NS6detail17trampoline_kernelINS0_14default_configENS1_27scan_by_key_config_selectorIj11FixedVectorIiLj1EEEEZZNS1_16scan_by_key_implILNS1_25lookback_scan_determinismE0ELb1ES3_N6thrust23THRUST_200600_302600_NS6detail15normal_iteratorINSB_10device_ptrIjEEEENSD_INSE_IS6_EEEESI_S6_NSB_4plusIvEENSB_8equal_toIvEES6_EE10hipError_tPvRmT2_T3_T4_T5_mT6_T7_P12ihipStream_tbENKUlT_T0_E_clISt17integral_constantIbLb1EES12_IbLb0EEEEDaSY_SZ_EUlSY_E_NS1_11comp_targetILNS1_3genE10ELNS1_11target_archE1201ELNS1_3gpuE5ELNS1_3repE0EEENS1_30default_config_static_selectorELNS0_4arch9wavefront6targetE1EEEvT1_
                                        ; -- End function
	.section	.AMDGPU.csdata,"",@progbits
; Kernel info:
; codeLenInByte = 0
; NumSgprs: 4
; NumVgprs: 0
; NumAgprs: 0
; TotalNumVgprs: 0
; ScratchSize: 0
; MemoryBound: 0
; FloatMode: 240
; IeeeMode: 1
; LDSByteSize: 0 bytes/workgroup (compile time only)
; SGPRBlocks: 0
; VGPRBlocks: 0
; NumSGPRsForWavesPerEU: 4
; NumVGPRsForWavesPerEU: 1
; AccumOffset: 4
; Occupancy: 8
; WaveLimiterHint : 0
; COMPUTE_PGM_RSRC2:SCRATCH_EN: 0
; COMPUTE_PGM_RSRC2:USER_SGPR: 6
; COMPUTE_PGM_RSRC2:TRAP_HANDLER: 0
; COMPUTE_PGM_RSRC2:TGID_X_EN: 1
; COMPUTE_PGM_RSRC2:TGID_Y_EN: 0
; COMPUTE_PGM_RSRC2:TGID_Z_EN: 0
; COMPUTE_PGM_RSRC2:TIDIG_COMP_CNT: 0
; COMPUTE_PGM_RSRC3_GFX90A:ACCUM_OFFSET: 0
; COMPUTE_PGM_RSRC3_GFX90A:TG_SPLIT: 0
	.section	.text._ZN7rocprim17ROCPRIM_400000_NS6detail17trampoline_kernelINS0_14default_configENS1_27scan_by_key_config_selectorIj11FixedVectorIiLj1EEEEZZNS1_16scan_by_key_implILNS1_25lookback_scan_determinismE0ELb1ES3_N6thrust23THRUST_200600_302600_NS6detail15normal_iteratorINSB_10device_ptrIjEEEENSD_INSE_IS6_EEEESI_S6_NSB_4plusIvEENSB_8equal_toIvEES6_EE10hipError_tPvRmT2_T3_T4_T5_mT6_T7_P12ihipStream_tbENKUlT_T0_E_clISt17integral_constantIbLb1EES12_IbLb0EEEEDaSY_SZ_EUlSY_E_NS1_11comp_targetILNS1_3genE5ELNS1_11target_archE942ELNS1_3gpuE9ELNS1_3repE0EEENS1_30default_config_static_selectorELNS0_4arch9wavefront6targetE1EEEvT1_,"axG",@progbits,_ZN7rocprim17ROCPRIM_400000_NS6detail17trampoline_kernelINS0_14default_configENS1_27scan_by_key_config_selectorIj11FixedVectorIiLj1EEEEZZNS1_16scan_by_key_implILNS1_25lookback_scan_determinismE0ELb1ES3_N6thrust23THRUST_200600_302600_NS6detail15normal_iteratorINSB_10device_ptrIjEEEENSD_INSE_IS6_EEEESI_S6_NSB_4plusIvEENSB_8equal_toIvEES6_EE10hipError_tPvRmT2_T3_T4_T5_mT6_T7_P12ihipStream_tbENKUlT_T0_E_clISt17integral_constantIbLb1EES12_IbLb0EEEEDaSY_SZ_EUlSY_E_NS1_11comp_targetILNS1_3genE5ELNS1_11target_archE942ELNS1_3gpuE9ELNS1_3repE0EEENS1_30default_config_static_selectorELNS0_4arch9wavefront6targetE1EEEvT1_,comdat
	.protected	_ZN7rocprim17ROCPRIM_400000_NS6detail17trampoline_kernelINS0_14default_configENS1_27scan_by_key_config_selectorIj11FixedVectorIiLj1EEEEZZNS1_16scan_by_key_implILNS1_25lookback_scan_determinismE0ELb1ES3_N6thrust23THRUST_200600_302600_NS6detail15normal_iteratorINSB_10device_ptrIjEEEENSD_INSE_IS6_EEEESI_S6_NSB_4plusIvEENSB_8equal_toIvEES6_EE10hipError_tPvRmT2_T3_T4_T5_mT6_T7_P12ihipStream_tbENKUlT_T0_E_clISt17integral_constantIbLb1EES12_IbLb0EEEEDaSY_SZ_EUlSY_E_NS1_11comp_targetILNS1_3genE5ELNS1_11target_archE942ELNS1_3gpuE9ELNS1_3repE0EEENS1_30default_config_static_selectorELNS0_4arch9wavefront6targetE1EEEvT1_ ; -- Begin function _ZN7rocprim17ROCPRIM_400000_NS6detail17trampoline_kernelINS0_14default_configENS1_27scan_by_key_config_selectorIj11FixedVectorIiLj1EEEEZZNS1_16scan_by_key_implILNS1_25lookback_scan_determinismE0ELb1ES3_N6thrust23THRUST_200600_302600_NS6detail15normal_iteratorINSB_10device_ptrIjEEEENSD_INSE_IS6_EEEESI_S6_NSB_4plusIvEENSB_8equal_toIvEES6_EE10hipError_tPvRmT2_T3_T4_T5_mT6_T7_P12ihipStream_tbENKUlT_T0_E_clISt17integral_constantIbLb1EES12_IbLb0EEEEDaSY_SZ_EUlSY_E_NS1_11comp_targetILNS1_3genE5ELNS1_11target_archE942ELNS1_3gpuE9ELNS1_3repE0EEENS1_30default_config_static_selectorELNS0_4arch9wavefront6targetE1EEEvT1_
	.globl	_ZN7rocprim17ROCPRIM_400000_NS6detail17trampoline_kernelINS0_14default_configENS1_27scan_by_key_config_selectorIj11FixedVectorIiLj1EEEEZZNS1_16scan_by_key_implILNS1_25lookback_scan_determinismE0ELb1ES3_N6thrust23THRUST_200600_302600_NS6detail15normal_iteratorINSB_10device_ptrIjEEEENSD_INSE_IS6_EEEESI_S6_NSB_4plusIvEENSB_8equal_toIvEES6_EE10hipError_tPvRmT2_T3_T4_T5_mT6_T7_P12ihipStream_tbENKUlT_T0_E_clISt17integral_constantIbLb1EES12_IbLb0EEEEDaSY_SZ_EUlSY_E_NS1_11comp_targetILNS1_3genE5ELNS1_11target_archE942ELNS1_3gpuE9ELNS1_3repE0EEENS1_30default_config_static_selectorELNS0_4arch9wavefront6targetE1EEEvT1_
	.p2align	8
	.type	_ZN7rocprim17ROCPRIM_400000_NS6detail17trampoline_kernelINS0_14default_configENS1_27scan_by_key_config_selectorIj11FixedVectorIiLj1EEEEZZNS1_16scan_by_key_implILNS1_25lookback_scan_determinismE0ELb1ES3_N6thrust23THRUST_200600_302600_NS6detail15normal_iteratorINSB_10device_ptrIjEEEENSD_INSE_IS6_EEEESI_S6_NSB_4plusIvEENSB_8equal_toIvEES6_EE10hipError_tPvRmT2_T3_T4_T5_mT6_T7_P12ihipStream_tbENKUlT_T0_E_clISt17integral_constantIbLb1EES12_IbLb0EEEEDaSY_SZ_EUlSY_E_NS1_11comp_targetILNS1_3genE5ELNS1_11target_archE942ELNS1_3gpuE9ELNS1_3repE0EEENS1_30default_config_static_selectorELNS0_4arch9wavefront6targetE1EEEvT1_,@function
_ZN7rocprim17ROCPRIM_400000_NS6detail17trampoline_kernelINS0_14default_configENS1_27scan_by_key_config_selectorIj11FixedVectorIiLj1EEEEZZNS1_16scan_by_key_implILNS1_25lookback_scan_determinismE0ELb1ES3_N6thrust23THRUST_200600_302600_NS6detail15normal_iteratorINSB_10device_ptrIjEEEENSD_INSE_IS6_EEEESI_S6_NSB_4plusIvEENSB_8equal_toIvEES6_EE10hipError_tPvRmT2_T3_T4_T5_mT6_T7_P12ihipStream_tbENKUlT_T0_E_clISt17integral_constantIbLb1EES12_IbLb0EEEEDaSY_SZ_EUlSY_E_NS1_11comp_targetILNS1_3genE5ELNS1_11target_archE942ELNS1_3gpuE9ELNS1_3repE0EEENS1_30default_config_static_selectorELNS0_4arch9wavefront6targetE1EEEvT1_: ; @_ZN7rocprim17ROCPRIM_400000_NS6detail17trampoline_kernelINS0_14default_configENS1_27scan_by_key_config_selectorIj11FixedVectorIiLj1EEEEZZNS1_16scan_by_key_implILNS1_25lookback_scan_determinismE0ELb1ES3_N6thrust23THRUST_200600_302600_NS6detail15normal_iteratorINSB_10device_ptrIjEEEENSD_INSE_IS6_EEEESI_S6_NSB_4plusIvEENSB_8equal_toIvEES6_EE10hipError_tPvRmT2_T3_T4_T5_mT6_T7_P12ihipStream_tbENKUlT_T0_E_clISt17integral_constantIbLb1EES12_IbLb0EEEEDaSY_SZ_EUlSY_E_NS1_11comp_targetILNS1_3genE5ELNS1_11target_archE942ELNS1_3gpuE9ELNS1_3repE0EEENS1_30default_config_static_selectorELNS0_4arch9wavefront6targetE1EEEvT1_
; %bb.0:
	.section	.rodata,"a",@progbits
	.p2align	6, 0x0
	.amdhsa_kernel _ZN7rocprim17ROCPRIM_400000_NS6detail17trampoline_kernelINS0_14default_configENS1_27scan_by_key_config_selectorIj11FixedVectorIiLj1EEEEZZNS1_16scan_by_key_implILNS1_25lookback_scan_determinismE0ELb1ES3_N6thrust23THRUST_200600_302600_NS6detail15normal_iteratorINSB_10device_ptrIjEEEENSD_INSE_IS6_EEEESI_S6_NSB_4plusIvEENSB_8equal_toIvEES6_EE10hipError_tPvRmT2_T3_T4_T5_mT6_T7_P12ihipStream_tbENKUlT_T0_E_clISt17integral_constantIbLb1EES12_IbLb0EEEEDaSY_SZ_EUlSY_E_NS1_11comp_targetILNS1_3genE5ELNS1_11target_archE942ELNS1_3gpuE9ELNS1_3repE0EEENS1_30default_config_static_selectorELNS0_4arch9wavefront6targetE1EEEvT1_
		.amdhsa_group_segment_fixed_size 0
		.amdhsa_private_segment_fixed_size 0
		.amdhsa_kernarg_size 112
		.amdhsa_user_sgpr_count 6
		.amdhsa_user_sgpr_private_segment_buffer 1
		.amdhsa_user_sgpr_dispatch_ptr 0
		.amdhsa_user_sgpr_queue_ptr 0
		.amdhsa_user_sgpr_kernarg_segment_ptr 1
		.amdhsa_user_sgpr_dispatch_id 0
		.amdhsa_user_sgpr_flat_scratch_init 0
		.amdhsa_user_sgpr_kernarg_preload_length 0
		.amdhsa_user_sgpr_kernarg_preload_offset 0
		.amdhsa_user_sgpr_private_segment_size 0
		.amdhsa_uses_dynamic_stack 0
		.amdhsa_system_sgpr_private_segment_wavefront_offset 0
		.amdhsa_system_sgpr_workgroup_id_x 1
		.amdhsa_system_sgpr_workgroup_id_y 0
		.amdhsa_system_sgpr_workgroup_id_z 0
		.amdhsa_system_sgpr_workgroup_info 0
		.amdhsa_system_vgpr_workitem_id 0
		.amdhsa_next_free_vgpr 1
		.amdhsa_next_free_sgpr 0
		.amdhsa_accum_offset 4
		.amdhsa_reserve_vcc 0
		.amdhsa_reserve_flat_scratch 0
		.amdhsa_float_round_mode_32 0
		.amdhsa_float_round_mode_16_64 0
		.amdhsa_float_denorm_mode_32 3
		.amdhsa_float_denorm_mode_16_64 3
		.amdhsa_dx10_clamp 1
		.amdhsa_ieee_mode 1
		.amdhsa_fp16_overflow 0
		.amdhsa_tg_split 0
		.amdhsa_exception_fp_ieee_invalid_op 0
		.amdhsa_exception_fp_denorm_src 0
		.amdhsa_exception_fp_ieee_div_zero 0
		.amdhsa_exception_fp_ieee_overflow 0
		.amdhsa_exception_fp_ieee_underflow 0
		.amdhsa_exception_fp_ieee_inexact 0
		.amdhsa_exception_int_div_zero 0
	.end_amdhsa_kernel
	.section	.text._ZN7rocprim17ROCPRIM_400000_NS6detail17trampoline_kernelINS0_14default_configENS1_27scan_by_key_config_selectorIj11FixedVectorIiLj1EEEEZZNS1_16scan_by_key_implILNS1_25lookback_scan_determinismE0ELb1ES3_N6thrust23THRUST_200600_302600_NS6detail15normal_iteratorINSB_10device_ptrIjEEEENSD_INSE_IS6_EEEESI_S6_NSB_4plusIvEENSB_8equal_toIvEES6_EE10hipError_tPvRmT2_T3_T4_T5_mT6_T7_P12ihipStream_tbENKUlT_T0_E_clISt17integral_constantIbLb1EES12_IbLb0EEEEDaSY_SZ_EUlSY_E_NS1_11comp_targetILNS1_3genE5ELNS1_11target_archE942ELNS1_3gpuE9ELNS1_3repE0EEENS1_30default_config_static_selectorELNS0_4arch9wavefront6targetE1EEEvT1_,"axG",@progbits,_ZN7rocprim17ROCPRIM_400000_NS6detail17trampoline_kernelINS0_14default_configENS1_27scan_by_key_config_selectorIj11FixedVectorIiLj1EEEEZZNS1_16scan_by_key_implILNS1_25lookback_scan_determinismE0ELb1ES3_N6thrust23THRUST_200600_302600_NS6detail15normal_iteratorINSB_10device_ptrIjEEEENSD_INSE_IS6_EEEESI_S6_NSB_4plusIvEENSB_8equal_toIvEES6_EE10hipError_tPvRmT2_T3_T4_T5_mT6_T7_P12ihipStream_tbENKUlT_T0_E_clISt17integral_constantIbLb1EES12_IbLb0EEEEDaSY_SZ_EUlSY_E_NS1_11comp_targetILNS1_3genE5ELNS1_11target_archE942ELNS1_3gpuE9ELNS1_3repE0EEENS1_30default_config_static_selectorELNS0_4arch9wavefront6targetE1EEEvT1_,comdat
.Lfunc_end1931:
	.size	_ZN7rocprim17ROCPRIM_400000_NS6detail17trampoline_kernelINS0_14default_configENS1_27scan_by_key_config_selectorIj11FixedVectorIiLj1EEEEZZNS1_16scan_by_key_implILNS1_25lookback_scan_determinismE0ELb1ES3_N6thrust23THRUST_200600_302600_NS6detail15normal_iteratorINSB_10device_ptrIjEEEENSD_INSE_IS6_EEEESI_S6_NSB_4plusIvEENSB_8equal_toIvEES6_EE10hipError_tPvRmT2_T3_T4_T5_mT6_T7_P12ihipStream_tbENKUlT_T0_E_clISt17integral_constantIbLb1EES12_IbLb0EEEEDaSY_SZ_EUlSY_E_NS1_11comp_targetILNS1_3genE5ELNS1_11target_archE942ELNS1_3gpuE9ELNS1_3repE0EEENS1_30default_config_static_selectorELNS0_4arch9wavefront6targetE1EEEvT1_, .Lfunc_end1931-_ZN7rocprim17ROCPRIM_400000_NS6detail17trampoline_kernelINS0_14default_configENS1_27scan_by_key_config_selectorIj11FixedVectorIiLj1EEEEZZNS1_16scan_by_key_implILNS1_25lookback_scan_determinismE0ELb1ES3_N6thrust23THRUST_200600_302600_NS6detail15normal_iteratorINSB_10device_ptrIjEEEENSD_INSE_IS6_EEEESI_S6_NSB_4plusIvEENSB_8equal_toIvEES6_EE10hipError_tPvRmT2_T3_T4_T5_mT6_T7_P12ihipStream_tbENKUlT_T0_E_clISt17integral_constantIbLb1EES12_IbLb0EEEEDaSY_SZ_EUlSY_E_NS1_11comp_targetILNS1_3genE5ELNS1_11target_archE942ELNS1_3gpuE9ELNS1_3repE0EEENS1_30default_config_static_selectorELNS0_4arch9wavefront6targetE1EEEvT1_
                                        ; -- End function
	.section	.AMDGPU.csdata,"",@progbits
; Kernel info:
; codeLenInByte = 0
; NumSgprs: 4
; NumVgprs: 0
; NumAgprs: 0
; TotalNumVgprs: 0
; ScratchSize: 0
; MemoryBound: 0
; FloatMode: 240
; IeeeMode: 1
; LDSByteSize: 0 bytes/workgroup (compile time only)
; SGPRBlocks: 0
; VGPRBlocks: 0
; NumSGPRsForWavesPerEU: 4
; NumVGPRsForWavesPerEU: 1
; AccumOffset: 4
; Occupancy: 8
; WaveLimiterHint : 0
; COMPUTE_PGM_RSRC2:SCRATCH_EN: 0
; COMPUTE_PGM_RSRC2:USER_SGPR: 6
; COMPUTE_PGM_RSRC2:TRAP_HANDLER: 0
; COMPUTE_PGM_RSRC2:TGID_X_EN: 1
; COMPUTE_PGM_RSRC2:TGID_Y_EN: 0
; COMPUTE_PGM_RSRC2:TGID_Z_EN: 0
; COMPUTE_PGM_RSRC2:TIDIG_COMP_CNT: 0
; COMPUTE_PGM_RSRC3_GFX90A:ACCUM_OFFSET: 0
; COMPUTE_PGM_RSRC3_GFX90A:TG_SPLIT: 0
	.section	.text._ZN7rocprim17ROCPRIM_400000_NS6detail17trampoline_kernelINS0_14default_configENS1_27scan_by_key_config_selectorIj11FixedVectorIiLj1EEEEZZNS1_16scan_by_key_implILNS1_25lookback_scan_determinismE0ELb1ES3_N6thrust23THRUST_200600_302600_NS6detail15normal_iteratorINSB_10device_ptrIjEEEENSD_INSE_IS6_EEEESI_S6_NSB_4plusIvEENSB_8equal_toIvEES6_EE10hipError_tPvRmT2_T3_T4_T5_mT6_T7_P12ihipStream_tbENKUlT_T0_E_clISt17integral_constantIbLb1EES12_IbLb0EEEEDaSY_SZ_EUlSY_E_NS1_11comp_targetILNS1_3genE4ELNS1_11target_archE910ELNS1_3gpuE8ELNS1_3repE0EEENS1_30default_config_static_selectorELNS0_4arch9wavefront6targetE1EEEvT1_,"axG",@progbits,_ZN7rocprim17ROCPRIM_400000_NS6detail17trampoline_kernelINS0_14default_configENS1_27scan_by_key_config_selectorIj11FixedVectorIiLj1EEEEZZNS1_16scan_by_key_implILNS1_25lookback_scan_determinismE0ELb1ES3_N6thrust23THRUST_200600_302600_NS6detail15normal_iteratorINSB_10device_ptrIjEEEENSD_INSE_IS6_EEEESI_S6_NSB_4plusIvEENSB_8equal_toIvEES6_EE10hipError_tPvRmT2_T3_T4_T5_mT6_T7_P12ihipStream_tbENKUlT_T0_E_clISt17integral_constantIbLb1EES12_IbLb0EEEEDaSY_SZ_EUlSY_E_NS1_11comp_targetILNS1_3genE4ELNS1_11target_archE910ELNS1_3gpuE8ELNS1_3repE0EEENS1_30default_config_static_selectorELNS0_4arch9wavefront6targetE1EEEvT1_,comdat
	.protected	_ZN7rocprim17ROCPRIM_400000_NS6detail17trampoline_kernelINS0_14default_configENS1_27scan_by_key_config_selectorIj11FixedVectorIiLj1EEEEZZNS1_16scan_by_key_implILNS1_25lookback_scan_determinismE0ELb1ES3_N6thrust23THRUST_200600_302600_NS6detail15normal_iteratorINSB_10device_ptrIjEEEENSD_INSE_IS6_EEEESI_S6_NSB_4plusIvEENSB_8equal_toIvEES6_EE10hipError_tPvRmT2_T3_T4_T5_mT6_T7_P12ihipStream_tbENKUlT_T0_E_clISt17integral_constantIbLb1EES12_IbLb0EEEEDaSY_SZ_EUlSY_E_NS1_11comp_targetILNS1_3genE4ELNS1_11target_archE910ELNS1_3gpuE8ELNS1_3repE0EEENS1_30default_config_static_selectorELNS0_4arch9wavefront6targetE1EEEvT1_ ; -- Begin function _ZN7rocprim17ROCPRIM_400000_NS6detail17trampoline_kernelINS0_14default_configENS1_27scan_by_key_config_selectorIj11FixedVectorIiLj1EEEEZZNS1_16scan_by_key_implILNS1_25lookback_scan_determinismE0ELb1ES3_N6thrust23THRUST_200600_302600_NS6detail15normal_iteratorINSB_10device_ptrIjEEEENSD_INSE_IS6_EEEESI_S6_NSB_4plusIvEENSB_8equal_toIvEES6_EE10hipError_tPvRmT2_T3_T4_T5_mT6_T7_P12ihipStream_tbENKUlT_T0_E_clISt17integral_constantIbLb1EES12_IbLb0EEEEDaSY_SZ_EUlSY_E_NS1_11comp_targetILNS1_3genE4ELNS1_11target_archE910ELNS1_3gpuE8ELNS1_3repE0EEENS1_30default_config_static_selectorELNS0_4arch9wavefront6targetE1EEEvT1_
	.globl	_ZN7rocprim17ROCPRIM_400000_NS6detail17trampoline_kernelINS0_14default_configENS1_27scan_by_key_config_selectorIj11FixedVectorIiLj1EEEEZZNS1_16scan_by_key_implILNS1_25lookback_scan_determinismE0ELb1ES3_N6thrust23THRUST_200600_302600_NS6detail15normal_iteratorINSB_10device_ptrIjEEEENSD_INSE_IS6_EEEESI_S6_NSB_4plusIvEENSB_8equal_toIvEES6_EE10hipError_tPvRmT2_T3_T4_T5_mT6_T7_P12ihipStream_tbENKUlT_T0_E_clISt17integral_constantIbLb1EES12_IbLb0EEEEDaSY_SZ_EUlSY_E_NS1_11comp_targetILNS1_3genE4ELNS1_11target_archE910ELNS1_3gpuE8ELNS1_3repE0EEENS1_30default_config_static_selectorELNS0_4arch9wavefront6targetE1EEEvT1_
	.p2align	8
	.type	_ZN7rocprim17ROCPRIM_400000_NS6detail17trampoline_kernelINS0_14default_configENS1_27scan_by_key_config_selectorIj11FixedVectorIiLj1EEEEZZNS1_16scan_by_key_implILNS1_25lookback_scan_determinismE0ELb1ES3_N6thrust23THRUST_200600_302600_NS6detail15normal_iteratorINSB_10device_ptrIjEEEENSD_INSE_IS6_EEEESI_S6_NSB_4plusIvEENSB_8equal_toIvEES6_EE10hipError_tPvRmT2_T3_T4_T5_mT6_T7_P12ihipStream_tbENKUlT_T0_E_clISt17integral_constantIbLb1EES12_IbLb0EEEEDaSY_SZ_EUlSY_E_NS1_11comp_targetILNS1_3genE4ELNS1_11target_archE910ELNS1_3gpuE8ELNS1_3repE0EEENS1_30default_config_static_selectorELNS0_4arch9wavefront6targetE1EEEvT1_,@function
_ZN7rocprim17ROCPRIM_400000_NS6detail17trampoline_kernelINS0_14default_configENS1_27scan_by_key_config_selectorIj11FixedVectorIiLj1EEEEZZNS1_16scan_by_key_implILNS1_25lookback_scan_determinismE0ELb1ES3_N6thrust23THRUST_200600_302600_NS6detail15normal_iteratorINSB_10device_ptrIjEEEENSD_INSE_IS6_EEEESI_S6_NSB_4plusIvEENSB_8equal_toIvEES6_EE10hipError_tPvRmT2_T3_T4_T5_mT6_T7_P12ihipStream_tbENKUlT_T0_E_clISt17integral_constantIbLb1EES12_IbLb0EEEEDaSY_SZ_EUlSY_E_NS1_11comp_targetILNS1_3genE4ELNS1_11target_archE910ELNS1_3gpuE8ELNS1_3repE0EEENS1_30default_config_static_selectorELNS0_4arch9wavefront6targetE1EEEvT1_: ; @_ZN7rocprim17ROCPRIM_400000_NS6detail17trampoline_kernelINS0_14default_configENS1_27scan_by_key_config_selectorIj11FixedVectorIiLj1EEEEZZNS1_16scan_by_key_implILNS1_25lookback_scan_determinismE0ELb1ES3_N6thrust23THRUST_200600_302600_NS6detail15normal_iteratorINSB_10device_ptrIjEEEENSD_INSE_IS6_EEEESI_S6_NSB_4plusIvEENSB_8equal_toIvEES6_EE10hipError_tPvRmT2_T3_T4_T5_mT6_T7_P12ihipStream_tbENKUlT_T0_E_clISt17integral_constantIbLb1EES12_IbLb0EEEEDaSY_SZ_EUlSY_E_NS1_11comp_targetILNS1_3genE4ELNS1_11target_archE910ELNS1_3gpuE8ELNS1_3repE0EEENS1_30default_config_static_selectorELNS0_4arch9wavefront6targetE1EEEvT1_
; %bb.0:
	s_load_dwordx8 s[36:43], s[4:5], 0x0
	s_load_dword s56, s[4:5], 0x20
	s_load_dwordx4 s[44:47], s[4:5], 0x28
	s_load_dwordx2 s[52:53], s[4:5], 0x38
	s_load_dword s0, s[4:5], 0x40
	s_load_dwordx4 s[48:51], s[4:5], 0x48
	s_waitcnt lgkmcnt(0)
	s_lshl_b64 s[34:35], s[38:39], 2
	s_add_u32 s2, s36, s34
	s_addc_u32 s3, s37, s35
	s_add_u32 s4, s40, s34
	s_mul_i32 s1, s53, s0
	s_mul_hi_u32 s7, s52, s0
	s_addc_u32 s5, s41, s35
	s_add_i32 s8, s7, s1
	s_mul_i32 s9, s52, s0
	s_mul_i32 s0, s6, 0xe00
	s_mov_b32 s1, 0
	s_lshl_b64 s[36:37], s[0:1], 2
	s_add_u32 s38, s2, s36
	s_addc_u32 s39, s3, s37
	s_add_u32 s7, s4, s36
	s_addc_u32 s47, s5, s37
	;; [unrolled: 2-line block ×3, first 2 shown]
	s_add_u32 s4, s48, -1
	s_addc_u32 s5, s49, -1
	v_pk_mov_b32 v[2:3], s[4:5], s[4:5] op_sel:[0,1]
	v_cmp_ge_u64_e64 s[0:1], s[0:1], v[2:3]
	s_mov_b64 s[2:3], -1
	s_and_b64 vcc, exec, s[0:1]
	s_mul_i32 s33, s4, 0xfffff200
	s_barrier
	s_cbranch_vccz .LBB1932_88
; %bb.1:
	v_pk_mov_b32 v[2:3], s[38:39], s[38:39] op_sel:[0,1]
	flat_load_dword v1, v[2:3]
	s_add_i32 s54, s33, s46
	v_cmp_gt_u32_e32 vcc, s54, v0
	s_waitcnt vmcnt(0) lgkmcnt(0)
	v_mov_b32_e32 v13, v1
	s_and_saveexec_b64 s[4:5], vcc
	s_cbranch_execz .LBB1932_3
; %bb.2:
	v_lshlrev_b32_e32 v2, 2, v0
	v_mov_b32_e32 v3, s39
	v_add_co_u32_e64 v2, s[2:3], s38, v2
	v_addc_co_u32_e64 v3, s[2:3], 0, v3, s[2:3]
	flat_load_dword v13, v[2:3]
.LBB1932_3:
	s_or_b64 exec, exec, s[4:5]
	v_or_b32_e32 v2, 0x100, v0
	v_cmp_gt_u32_e64 s[2:3], s54, v2
	v_mov_b32_e32 v14, v1
	s_and_saveexec_b64 s[8:9], s[2:3]
	s_cbranch_execz .LBB1932_5
; %bb.4:
	v_lshlrev_b32_e32 v2, 2, v0
	v_mov_b32_e32 v3, s39
	v_add_co_u32_e64 v2, s[4:5], s38, v2
	v_addc_co_u32_e64 v3, s[4:5], 0, v3, s[4:5]
	flat_load_dword v14, v[2:3] offset:1024
.LBB1932_5:
	s_or_b64 exec, exec, s[8:9]
	v_or_b32_e32 v2, 0x200, v0
	v_cmp_gt_u32_e64 s[4:5], s54, v2
	v_mov_b32_e32 v15, v1
	s_and_saveexec_b64 s[10:11], s[4:5]
	s_cbranch_execz .LBB1932_7
; %bb.6:
	v_lshlrev_b32_e32 v2, 2, v0
	v_mov_b32_e32 v3, s39
	v_add_co_u32_e64 v2, s[8:9], s38, v2
	v_addc_co_u32_e64 v3, s[8:9], 0, v3, s[8:9]
	flat_load_dword v15, v[2:3] offset:2048
.LBB1932_7:
	;; [unrolled: 13-line block ×3, first 2 shown]
	s_or_b64 exec, exec, s[10:11]
	v_or_b32_e32 v2, 0x400, v0
	v_cmp_gt_u32_e64 s[8:9], s54, v2
	v_mov_b32_e32 v17, v1
	s_and_saveexec_b64 s[12:13], s[8:9]
	s_cbranch_execz .LBB1932_11
; %bb.10:
	v_lshlrev_b32_e32 v3, 2, v2
	v_mov_b32_e32 v5, s39
	v_add_co_u32_e64 v4, s[10:11], s38, v3
	v_addc_co_u32_e64 v5, s[10:11], 0, v5, s[10:11]
	flat_load_dword v17, v[4:5]
.LBB1932_11:
	s_or_b64 exec, exec, s[12:13]
	v_or_b32_e32 v3, 0x500, v0
	v_cmp_gt_u32_e64 s[10:11], s54, v3
	v_mov_b32_e32 v18, v1
	s_and_saveexec_b64 s[14:15], s[10:11]
	s_cbranch_execz .LBB1932_13
; %bb.12:
	v_lshlrev_b32_e32 v4, 2, v3
	v_mov_b32_e32 v5, s39
	v_add_co_u32_e64 v4, s[12:13], s38, v4
	v_addc_co_u32_e64 v5, s[12:13], 0, v5, s[12:13]
	flat_load_dword v18, v[4:5]
.LBB1932_13:
	;; [unrolled: 13-line block ×9, first 2 shown]
	s_or_b64 exec, exec, s[30:31]
	v_or_b32_e32 v11, 0xd00, v0
	v_cmp_gt_u32_e64 s[26:27], s54, v11
	s_and_saveexec_b64 s[40:41], s[26:27]
	s_cbranch_execz .LBB1932_29
; %bb.28:
	v_lshlrev_b32_e32 v1, 2, v11
	v_mov_b32_e32 v12, s39
	v_add_co_u32_e64 v26, s[30:31], s38, v1
	v_addc_co_u32_e64 v27, s[30:31], 0, v12, s[30:31]
	flat_load_dword v1, v[26:27]
.LBB1932_29:
	s_or_b64 exec, exec, s[40:41]
	v_lshlrev_b32_e32 v12, 2, v0
	s_waitcnt vmcnt(0) lgkmcnt(0)
	ds_write2st64_b32 v12, v13, v14 offset1:4
	ds_write2st64_b32 v12, v15, v16 offset0:8 offset1:12
	ds_write2st64_b32 v12, v17, v18 offset0:16 offset1:20
	;; [unrolled: 1-line block ×6, first 2 shown]
	v_pk_mov_b32 v[14:15], s[38:39], s[38:39] op_sel:[0,1]
	s_waitcnt lgkmcnt(0)
	s_barrier
	flat_load_dword v1, v[14:15]
	v_mad_u32_u24 v44, v0, 52, v12
	s_movk_i32 s30, 0xffcc
	ds_read2_b64 v[34:37], v44 offset1:1
	ds_read2_b64 v[30:33], v44 offset0:2 offset1:3
	ds_read2_b64 v[26:29], v44 offset0:4 offset1:5
	ds_read_b64 v[40:41], v44 offset:48
	v_mad_i32_i24 v13, v0, s30, v44
	s_movk_i32 s30, 0xff
	v_cmp_ne_u32_e64 s[30:31], s30, v0
	s_waitcnt lgkmcnt(0)
	ds_write_b32 v13, v34 offset:15360
	s_waitcnt lgkmcnt(0)
	s_barrier
	s_and_saveexec_b64 s[40:41], s[30:31]
	s_cbranch_execz .LBB1932_31
; %bb.30:
	s_waitcnt vmcnt(0)
	ds_read_b32 v1, v12 offset:15364
.LBB1932_31:
	s_or_b64 exec, exec, s[40:41]
	v_mov_b32_e32 v13, 0
	v_mov_b32_e32 v14, 0
	s_waitcnt lgkmcnt(0)
	s_barrier
	s_and_saveexec_b64 s[30:31], vcc
	s_cbranch_execz .LBB1932_33
; %bb.32:
	v_mov_b32_e32 v15, s47
	v_add_co_u32_e32 v14, vcc, s7, v12
	v_addc_co_u32_e32 v15, vcc, 0, v15, vcc
	flat_load_dword v14, v[14:15]
.LBB1932_33:
	s_or_b64 exec, exec, s[30:31]
	s_and_saveexec_b64 s[30:31], s[2:3]
	s_cbranch_execz .LBB1932_35
; %bb.34:
	v_mov_b32_e32 v13, s47
	v_add_co_u32_e32 v16, vcc, s7, v12
	v_addc_co_u32_e32 v17, vcc, 0, v13, vcc
	flat_load_dword v13, v[16:17] offset:1024
.LBB1932_35:
	s_or_b64 exec, exec, s[30:31]
	v_mov_b32_e32 v15, 0
	v_mov_b32_e32 v16, 0
	s_and_saveexec_b64 s[2:3], s[4:5]
	s_cbranch_execz .LBB1932_37
; %bb.36:
	v_mov_b32_e32 v17, s47
	v_add_co_u32_e32 v16, vcc, s7, v12
	v_addc_co_u32_e32 v17, vcc, 0, v17, vcc
	flat_load_dword v16, v[16:17] offset:2048
.LBB1932_37:
	s_or_b64 exec, exec, s[2:3]
	s_and_saveexec_b64 s[2:3], s[28:29]
	s_cbranch_execz .LBB1932_39
; %bb.38:
	v_mov_b32_e32 v15, s47
	v_add_co_u32_e32 v18, vcc, s7, v12
	v_addc_co_u32_e32 v19, vcc, 0, v15, vcc
	flat_load_dword v15, v[18:19] offset:3072
.LBB1932_39:
	s_or_b64 exec, exec, s[2:3]
	v_mov_b32_e32 v17, 0
	v_mov_b32_e32 v18, 0
	s_and_saveexec_b64 s[2:3], s[8:9]
	s_cbranch_execz .LBB1932_41
; %bb.40:
	v_lshlrev_b32_e32 v2, 2, v2
	v_mov_b32_e32 v19, s47
	v_add_co_u32_e32 v18, vcc, s7, v2
	v_addc_co_u32_e32 v19, vcc, 0, v19, vcc
	flat_load_dword v18, v[18:19]
.LBB1932_41:
	s_or_b64 exec, exec, s[2:3]
	s_and_saveexec_b64 s[2:3], s[10:11]
	s_cbranch_execz .LBB1932_43
; %bb.42:
	v_lshlrev_b32_e32 v2, 2, v3
	v_mov_b32_e32 v3, s47
	v_add_co_u32_e32 v2, vcc, s7, v2
	v_addc_co_u32_e32 v3, vcc, 0, v3, vcc
	flat_load_dword v17, v[2:3]
.LBB1932_43:
	s_or_b64 exec, exec, s[2:3]
	v_mov_b32_e32 v2, 0
	v_mov_b32_e32 v3, 0
	s_and_saveexec_b64 s[2:3], s[12:13]
	s_cbranch_execz .LBB1932_45
; %bb.44:
	v_lshlrev_b32_e32 v3, 2, v4
	v_mov_b32_e32 v4, s47
	v_add_co_u32_e32 v20, vcc, s7, v3
	v_addc_co_u32_e32 v21, vcc, 0, v4, vcc
	flat_load_dword v3, v[20:21]
.LBB1932_45:
	s_or_b64 exec, exec, s[2:3]
	s_and_saveexec_b64 s[2:3], s[14:15]
	s_cbranch_execz .LBB1932_47
; %bb.46:
	v_lshlrev_b32_e32 v2, 2, v5
	v_mov_b32_e32 v5, s47
	v_add_co_u32_e32 v4, vcc, s7, v2
	v_addc_co_u32_e32 v5, vcc, 0, v5, vcc
	flat_load_dword v2, v[4:5]
.LBB1932_47:
	;; [unrolled: 22-line block ×4, first 2 shown]
	s_or_b64 exec, exec, s[2:3]
	v_mov_b32_e32 v8, 0
	v_mov_b32_e32 v9, 0
	s_and_saveexec_b64 s[2:3], s[24:25]
	s_cbranch_execz .LBB1932_57
; %bb.56:
	v_lshlrev_b32_e32 v9, 2, v10
	v_mov_b32_e32 v10, s47
	v_add_co_u32_e32 v20, vcc, s7, v9
	v_addc_co_u32_e32 v21, vcc, 0, v10, vcc
	flat_load_dword v9, v[20:21]
.LBB1932_57:
	s_or_b64 exec, exec, s[2:3]
	v_mul_u32_u24_e32 v45, 14, v0
	s_and_saveexec_b64 s[2:3], s[26:27]
	s_cbranch_execz .LBB1932_59
; %bb.58:
	v_lshlrev_b32_e32 v8, 2, v11
	v_mov_b32_e32 v11, s47
	v_add_co_u32_e32 v10, vcc, s7, v8
	v_addc_co_u32_e32 v11, vcc, 0, v11, vcc
	flat_load_dword v8, v[10:11]
.LBB1932_59:
	s_or_b64 exec, exec, s[2:3]
	s_mov_b32 s8, 0
	s_mov_b32 s9, s8
	s_waitcnt vmcnt(0) lgkmcnt(0)
	ds_write2st64_b32 v12, v14, v13 offset1:4
	ds_write2st64_b32 v12, v16, v15 offset0:8 offset1:12
	ds_write2st64_b32 v12, v18, v17 offset0:16 offset1:20
	;; [unrolled: 1-line block ×6, first 2 shown]
	s_mov_b32 s10, s8
	s_mov_b32 s11, s8
	;; [unrolled: 1-line block ×6, first 2 shown]
	v_pk_mov_b32 v[2:3], s[8:9], s[8:9] op_sel:[0,1]
	v_pk_mov_b32 v[8:9], s[14:15], s[14:15] op_sel:[0,1]
	;; [unrolled: 1-line block ×6, first 2 shown]
	v_cmp_gt_u32_e32 vcc, s54, v45
	s_mov_b64 s[2:3], 0
	v_pk_mov_b32 v[38:39], 0, 0
	s_mov_b64 s[18:19], 0
	v_pk_mov_b32 v[14:15], v[6:7], v[6:7] op_sel:[0,1]
	v_pk_mov_b32 v[12:13], v[4:5], v[4:5] op_sel:[0,1]
	;; [unrolled: 1-line block ×6, first 2 shown]
	s_waitcnt lgkmcnt(0)
	s_barrier
	s_waitcnt lgkmcnt(0)
                                        ; implicit-def: $sgpr16_sgpr17
                                        ; implicit-def: $vgpr42
	s_and_saveexec_b64 s[4:5], vcc
	s_cbranch_execz .LBB1932_87
; %bb.60:
	ds_read_b32 v2, v44
	v_mov_b32_e32 v4, s56
	v_cmp_eq_u32_e32 vcc, v34, v35
	v_or_b32_e32 v3, 1, v45
                                        ; implicit-def: $vgpr42
	s_waitcnt lgkmcnt(0)
	v_cndmask_b32_e32 v38, v4, v2, vcc
	v_cmp_ne_u32_e32 vcc, v34, v35
	v_cndmask_b32_e64 v39, 0, 1, vcc
	v_cmp_gt_u32_e32 vcc, s54, v3
	v_pk_mov_b32 v[2:3], s[8:9], s[8:9] op_sel:[0,1]
	v_pk_mov_b32 v[8:9], s[14:15], s[14:15] op_sel:[0,1]
	;; [unrolled: 1-line block ×12, first 2 shown]
                                        ; implicit-def: $sgpr8_sgpr9
	s_and_saveexec_b64 s[16:17], vcc
	s_cbranch_execz .LBB1932_86
; %bb.61:
	ds_read2_b32 v[42:43], v44 offset0:1 offset1:2
	s_mov_b32 s8, 0
	v_mov_b32_e32 v3, s56
	v_cmp_eq_u32_e32 vcc, v35, v36
	s_mov_b32 s14, s8
	s_mov_b32 s15, s8
	v_add_u32_e32 v2, 2, v45
	s_waitcnt lgkmcnt(0)
	v_cndmask_b32_e32 v8, v3, v42, vcc
	v_cmp_ne_u32_e32 vcc, v35, v36
	s_mov_b32 s9, s8
	s_mov_b32 s10, s8
	;; [unrolled: 1-line block ×5, first 2 shown]
	v_pk_mov_b32 v[16:17], s[14:15], s[14:15] op_sel:[0,1]
	v_cndmask_b32_e64 v9, 0, 1, vcc
	v_cmp_gt_u32_e32 vcc, s54, v2
	v_mov_b32_e32 v2, 0
	v_pk_mov_b32 v[14:15], s[12:13], s[12:13] op_sel:[0,1]
	v_pk_mov_b32 v[12:13], s[10:11], s[10:11] op_sel:[0,1]
	;; [unrolled: 1-line block ×4, first 2 shown]
	v_mov_b32_e32 v3, v2
	v_mov_b32_e32 v4, v2
	;; [unrolled: 1-line block ×5, first 2 shown]
	s_mov_b64 s[20:21], 0
	v_pk_mov_b32 v[22:23], v[14:15], v[14:15] op_sel:[0,1]
	v_pk_mov_b32 v[20:21], v[12:13], v[12:13] op_sel:[0,1]
	;; [unrolled: 1-line block ×3, first 2 shown]
                                        ; implicit-def: $sgpr24_sgpr25
                                        ; implicit-def: $vgpr42
	s_and_saveexec_b64 s[18:19], vcc
	s_cbranch_execz .LBB1932_85
; %bb.62:
	v_mov_b32_e32 v4, s56
	v_cmp_eq_u32_e32 vcc, v36, v37
	v_pk_mov_b32 v[16:17], s[14:15], s[14:15] op_sel:[0,1]
	v_add_u32_e32 v3, 3, v45
	v_cndmask_b32_e32 v6, v4, v43, vcc
	v_cmp_ne_u32_e32 vcc, v36, v37
	v_pk_mov_b32 v[14:15], s[12:13], s[12:13] op_sel:[0,1]
	v_pk_mov_b32 v[12:13], s[10:11], s[10:11] op_sel:[0,1]
	;; [unrolled: 1-line block ×4, first 2 shown]
	v_cndmask_b32_e64 v7, 0, 1, vcc
	v_cmp_gt_u32_e32 vcc, s54, v3
	v_mov_b32_e32 v3, v2
	v_mov_b32_e32 v4, v2
	;; [unrolled: 1-line block ×3, first 2 shown]
	s_mov_b64 s[22:23], 0
	v_pk_mov_b32 v[22:23], v[14:15], v[14:15] op_sel:[0,1]
	v_pk_mov_b32 v[20:21], v[12:13], v[12:13] op_sel:[0,1]
	v_pk_mov_b32 v[18:19], v[10:11], v[10:11] op_sel:[0,1]
                                        ; implicit-def: $sgpr8_sgpr9
                                        ; implicit-def: $vgpr42
	s_and_saveexec_b64 s[20:21], vcc
	s_cbranch_execz .LBB1932_84
; %bb.63:
	ds_read2_b32 v[34:35], v44 offset0:3 offset1:4
	s_mov_b32 s8, 0
	s_mov_b32 s14, s8
	;; [unrolled: 1-line block ×3, first 2 shown]
	v_mov_b32_e32 v3, s56
	v_cmp_eq_u32_e32 vcc, v37, v30
	s_mov_b32 s9, s8
	s_mov_b32 s10, s8
	;; [unrolled: 1-line block ×5, first 2 shown]
	v_pk_mov_b32 v[16:17], s[14:15], s[14:15] op_sel:[0,1]
	v_add_u32_e32 v2, 4, v45
	s_waitcnt lgkmcnt(0)
	v_cndmask_b32_e32 v4, v3, v34, vcc
	v_cmp_ne_u32_e32 vcc, v37, v30
	v_pk_mov_b32 v[14:15], s[12:13], s[12:13] op_sel:[0,1]
	v_pk_mov_b32 v[12:13], s[10:11], s[10:11] op_sel:[0,1]
	;; [unrolled: 1-line block ×4, first 2 shown]
	v_cndmask_b32_e64 v5, 0, 1, vcc
	v_cmp_gt_u32_e32 vcc, s54, v2
	v_mov_b32_e32 v2, s8
	v_mov_b32_e32 v3, s8
	s_mov_b64 s[24:25], 0
	v_pk_mov_b32 v[22:23], v[14:15], v[14:15] op_sel:[0,1]
	v_pk_mov_b32 v[20:21], v[12:13], v[12:13] op_sel:[0,1]
	;; [unrolled: 1-line block ×3, first 2 shown]
                                        ; implicit-def: $sgpr26_sgpr27
                                        ; implicit-def: $vgpr42
	s_and_saveexec_b64 s[22:23], vcc
	s_cbranch_execz .LBB1932_83
; %bb.64:
	v_mov_b32_e32 v2, s56
	v_cmp_eq_u32_e32 vcc, v30, v31
	v_add_u32_e32 v10, 5, v45
	v_cndmask_b32_e32 v2, v2, v35, vcc
	v_cmp_ne_u32_e32 vcc, v30, v31
	v_cndmask_b32_e64 v3, 0, 1, vcc
	v_cmp_gt_u32_e32 vcc, s54, v10
	v_pk_mov_b32 v[16:17], s[14:15], s[14:15] op_sel:[0,1]
	v_pk_mov_b32 v[14:15], s[12:13], s[12:13] op_sel:[0,1]
	;; [unrolled: 1-line block ×5, first 2 shown]
	s_mov_b64 s[28:29], 0
	v_pk_mov_b32 v[22:23], v[14:15], v[14:15] op_sel:[0,1]
	v_pk_mov_b32 v[20:21], v[12:13], v[12:13] op_sel:[0,1]
	;; [unrolled: 1-line block ×3, first 2 shown]
                                        ; implicit-def: $sgpr8_sgpr9
                                        ; implicit-def: $vgpr42
	s_and_saveexec_b64 s[24:25], vcc
	s_cbranch_execz .LBB1932_82
; %bb.65:
	ds_read2_b32 v[34:35], v44 offset0:5 offset1:6
	v_mov_b32_e32 v11, s56
	v_cmp_eq_u32_e32 vcc, v31, v32
	s_mov_b32 s8, 0
	v_add_u32_e32 v10, 6, v45
	s_waitcnt lgkmcnt(0)
	v_cndmask_b32_e32 v16, v11, v34, vcc
	v_cmp_ne_u32_e32 vcc, v31, v32
	s_mov_b32 s14, s8
	s_mov_b32 s15, s8
	v_cndmask_b32_e64 v17, 0, 1, vcc
	v_cmp_gt_u32_e32 vcc, s54, v10
	v_mov_b32_e32 v10, 0
	s_mov_b32 s9, s8
	s_mov_b32 s10, s8
	;; [unrolled: 1-line block ×5, first 2 shown]
	v_pk_mov_b32 v[24:25], s[14:15], s[14:15] op_sel:[0,1]
	v_mov_b32_e32 v11, v10
	v_mov_b32_e32 v12, v10
	;; [unrolled: 1-line block ×5, first 2 shown]
	v_pk_mov_b32 v[22:23], s[12:13], s[12:13] op_sel:[0,1]
	v_pk_mov_b32 v[20:21], s[10:11], s[10:11] op_sel:[0,1]
	;; [unrolled: 1-line block ×3, first 2 shown]
                                        ; implicit-def: $sgpr40_sgpr41
                                        ; implicit-def: $vgpr42
	s_and_saveexec_b64 s[26:27], vcc
	s_cbranch_execz .LBB1932_81
; %bb.66:
	v_mov_b32_e32 v12, s56
	v_cmp_eq_u32_e32 vcc, v32, v33
	v_add_u32_e32 v11, 7, v45
	v_cndmask_b32_e32 v14, v12, v35, vcc
	v_cmp_ne_u32_e32 vcc, v32, v33
	v_pk_mov_b32 v[24:25], s[14:15], s[14:15] op_sel:[0,1]
	v_cndmask_b32_e64 v15, 0, 1, vcc
	v_cmp_gt_u32_e32 vcc, s54, v11
	v_mov_b32_e32 v11, v10
	v_mov_b32_e32 v12, v10
	;; [unrolled: 1-line block ×3, first 2 shown]
	s_mov_b64 s[30:31], 0
	v_pk_mov_b32 v[22:23], s[12:13], s[12:13] op_sel:[0,1]
	v_pk_mov_b32 v[20:21], s[10:11], s[10:11] op_sel:[0,1]
	;; [unrolled: 1-line block ×3, first 2 shown]
                                        ; implicit-def: $sgpr8_sgpr9
                                        ; implicit-def: $vgpr42
	s_and_saveexec_b64 s[28:29], vcc
	s_cbranch_execz .LBB1932_80
; %bb.67:
	ds_read2_b32 v[30:31], v44 offset0:7 offset1:8
	s_mov_b32 s8, 0
	v_mov_b32_e32 v11, s56
	v_cmp_eq_u32_e32 vcc, v33, v26
	s_mov_b32 s14, s8
	s_mov_b32 s15, s8
	v_add_u32_e32 v10, 8, v45
	s_waitcnt lgkmcnt(0)
	v_cndmask_b32_e32 v12, v11, v30, vcc
	v_cmp_ne_u32_e32 vcc, v33, v26
	s_mov_b32 s9, s8
	s_mov_b32 s10, s8
	;; [unrolled: 1-line block ×5, first 2 shown]
	v_pk_mov_b32 v[24:25], s[14:15], s[14:15] op_sel:[0,1]
	v_cndmask_b32_e64 v13, 0, 1, vcc
	v_cmp_gt_u32_e32 vcc, s54, v10
	v_mov_b32_e32 v10, s8
	v_mov_b32_e32 v11, s8
	s_mov_b64 s[40:41], 0
	v_pk_mov_b32 v[22:23], s[12:13], s[12:13] op_sel:[0,1]
	v_pk_mov_b32 v[20:21], s[10:11], s[10:11] op_sel:[0,1]
	;; [unrolled: 1-line block ×3, first 2 shown]
                                        ; implicit-def: $sgpr48_sgpr49
                                        ; implicit-def: $vgpr42
	s_and_saveexec_b64 s[30:31], vcc
	s_cbranch_execz .LBB1932_79
; %bb.68:
	v_mov_b32_e32 v10, s56
	v_cmp_eq_u32_e32 vcc, v26, v27
	v_add_u32_e32 v18, 9, v45
	v_cndmask_b32_e32 v10, v10, v31, vcc
	v_cmp_ne_u32_e32 vcc, v26, v27
	v_cndmask_b32_e64 v11, 0, 1, vcc
	v_cmp_gt_u32_e32 vcc, s54, v18
	v_pk_mov_b32 v[24:25], s[14:15], s[14:15] op_sel:[0,1]
	v_pk_mov_b32 v[22:23], s[12:13], s[12:13] op_sel:[0,1]
	;; [unrolled: 1-line block ×4, first 2 shown]
                                        ; implicit-def: $sgpr10_sgpr11
                                        ; implicit-def: $vgpr42
	s_and_saveexec_b64 s[8:9], vcc
	s_cbranch_execz .LBB1932_78
; %bb.69:
	ds_read2_b32 v[30:31], v44 offset0:9 offset1:10
	v_mov_b32_e32 v18, s56
	v_cmp_eq_u32_e32 vcc, v27, v28
	v_add_u32_e32 v20, 10, v45
	v_mov_b32_e32 v22, 0
	s_waitcnt lgkmcnt(0)
	v_cndmask_b32_e32 v18, v18, v30, vcc
	v_cmp_ne_u32_e32 vcc, v27, v28
	v_cndmask_b32_e64 v19, 0, 1, vcc
	v_cmp_gt_u32_e32 vcc, s54, v20
	v_mov_b32_e32 v20, v22
	v_mov_b32_e32 v21, v22
	;; [unrolled: 1-line block ×5, first 2 shown]
	s_mov_b64 s[12:13], 0
                                        ; implicit-def: $sgpr40_sgpr41
                                        ; implicit-def: $vgpr42
	s_and_saveexec_b64 s[10:11], vcc
	s_cbranch_execz .LBB1932_77
; %bb.70:
	v_mov_b32_e32 v20, s56
	v_cmp_eq_u32_e32 vcc, v28, v29
	v_add_u32_e32 v23, 11, v45
	v_cndmask_b32_e32 v20, v20, v31, vcc
	v_cmp_ne_u32_e32 vcc, v28, v29
	v_cndmask_b32_e64 v21, 0, 1, vcc
	v_cmp_gt_u32_e32 vcc, s54, v23
	s_mov_b32 s40, 0
	v_mov_b32_e32 v23, v22
	v_mov_b32_e32 v24, v22
	;; [unrolled: 1-line block ×3, first 2 shown]
	s_mov_b64 s[14:15], 0
                                        ; implicit-def: $sgpr48_sgpr49
                                        ; implicit-def: $vgpr42
	s_and_saveexec_b64 s[12:13], vcc
	s_cbranch_execz .LBB1932_76
; %bb.71:
	ds_read2_b32 v[26:27], v44 offset0:11 offset1:12
	v_mov_b32_e32 v22, s56
	v_cmp_eq_u32_e32 vcc, v29, v40
	v_add_u32_e32 v24, 12, v45
	v_mov_b32_e32 v25, s40
	s_waitcnt lgkmcnt(0)
	v_cndmask_b32_e32 v22, v22, v26, vcc
	v_cmp_ne_u32_e32 vcc, v29, v40
	v_cndmask_b32_e64 v23, 0, 1, vcc
	v_cmp_gt_u32_e32 vcc, s54, v24
	v_mov_b32_e32 v24, s40
	s_mov_b64 s[40:41], 0
                                        ; implicit-def: $sgpr48_sgpr49
                                        ; implicit-def: $vgpr42
	s_and_saveexec_b64 s[14:15], vcc
	s_cbranch_execz .LBB1932_75
; %bb.72:
	v_mov_b32_e32 v24, s56
	v_cmp_eq_u32_e32 vcc, v40, v41
	v_add_u32_e32 v26, 13, v45
	v_cndmask_b32_e32 v24, v24, v27, vcc
	v_cmp_ne_u32_e32 vcc, v40, v41
	v_cndmask_b32_e64 v25, 0, 1, vcc
	v_cmp_gt_u32_e32 vcc, s54, v26
                                        ; implicit-def: $sgpr48_sgpr49
                                        ; implicit-def: $vgpr42
	s_and_saveexec_b64 s[54:55], vcc
	s_xor_b64 s[54:55], exec, s[54:55]
	s_cbranch_execz .LBB1932_74
; %bb.73:
	ds_read_b32 v26, v44 offset:52
	v_mov_b32_e32 v27, s56
	v_cmp_ne_u32_e32 vcc, v41, v1
	s_mov_b64 s[40:41], exec
	s_and_b64 s[48:49], vcc, exec
	s_waitcnt lgkmcnt(0)
	v_cndmask_b32_e32 v42, v26, v27, vcc
.LBB1932_74:
	s_or_b64 exec, exec, s[54:55]
	s_and_b64 s[48:49], s[48:49], exec
	s_and_b64 s[40:41], s[40:41], exec
.LBB1932_75:
	s_or_b64 exec, exec, s[14:15]
	s_and_b64 s[48:49], s[48:49], exec
	s_and_b64 s[14:15], s[40:41], exec
.LBB1932_76:
	s_or_b64 exec, exec, s[12:13]
	s_and_b64 s[40:41], s[48:49], exec
	s_and_b64 s[12:13], s[14:15], exec
.LBB1932_77:
	s_or_b64 exec, exec, s[10:11]
	s_and_b64 s[10:11], s[40:41], exec
	s_and_b64 s[40:41], s[12:13], exec
.LBB1932_78:
	s_or_b64 exec, exec, s[8:9]
	s_and_b64 s[48:49], s[10:11], exec
	s_and_b64 s[40:41], s[40:41], exec
.LBB1932_79:
	s_or_b64 exec, exec, s[30:31]
	s_and_b64 s[8:9], s[48:49], exec
	s_and_b64 s[30:31], s[40:41], exec
.LBB1932_80:
	s_or_b64 exec, exec, s[28:29]
	s_and_b64 s[40:41], s[8:9], exec
	s_and_b64 s[28:29], s[30:31], exec
.LBB1932_81:
	s_or_b64 exec, exec, s[26:27]
	s_and_b64 s[8:9], s[40:41], exec
	s_and_b64 s[28:29], s[28:29], exec
.LBB1932_82:
	s_or_b64 exec, exec, s[24:25]
	s_and_b64 s[26:27], s[8:9], exec
	s_and_b64 s[24:25], s[28:29], exec
.LBB1932_83:
	s_or_b64 exec, exec, s[22:23]
	s_and_b64 s[8:9], s[26:27], exec
	s_and_b64 s[22:23], s[24:25], exec
.LBB1932_84:
	s_or_b64 exec, exec, s[20:21]
	s_and_b64 s[24:25], s[8:9], exec
	s_and_b64 s[20:21], s[22:23], exec
.LBB1932_85:
	s_or_b64 exec, exec, s[18:19]
	s_and_b64 s[8:9], s[24:25], exec
	s_and_b64 s[18:19], s[20:21], exec
.LBB1932_86:
	s_or_b64 exec, exec, s[16:17]
	s_and_b64 s[16:17], s[8:9], exec
	s_and_b64 s[18:19], s[18:19], exec
.LBB1932_87:
	s_or_b64 exec, exec, s[4:5]
	s_and_b64 vcc, exec, s[2:3]
	v_lshlrev_b32_e32 v50, 2, v0
	s_cbranch_vccnz .LBB1932_89
	s_branch .LBB1932_94
.LBB1932_88:
	s_mov_b64 s[18:19], 0
                                        ; implicit-def: $sgpr16_sgpr17
                                        ; implicit-def: $vgpr2_vgpr3_vgpr4_vgpr5_vgpr6_vgpr7_vgpr8_vgpr9
                                        ; implicit-def: $vgpr10_vgpr11_vgpr12_vgpr13_vgpr14_vgpr15_vgpr16_vgpr17
                                        ; implicit-def: $vgpr18_vgpr19_vgpr20_vgpr21_vgpr22_vgpr23_vgpr24_vgpr25
                                        ; implicit-def: $vgpr38_vgpr39
                                        ; implicit-def: $vgpr42
	s_and_b64 vcc, exec, s[2:3]
	v_lshlrev_b32_e32 v50, 2, v0
	s_cbranch_vccz .LBB1932_94
.LBB1932_89:
	v_mov_b32_e32 v1, s39
	v_add_co_u32_e32 v2, vcc, s38, v50
	v_addc_co_u32_e32 v3, vcc, 0, v1, vcc
	v_add_co_u32_e32 v4, vcc, 0x1000, v2
	v_addc_co_u32_e32 v5, vcc, 0, v3, vcc
	flat_load_dword v1, v[2:3]
	flat_load_dword v6, v[2:3] offset:1024
	flat_load_dword v7, v[2:3] offset:2048
	;; [unrolled: 1-line block ×3, first 2 shown]
	flat_load_dword v9, v[4:5]
	flat_load_dword v10, v[4:5] offset:1024
	flat_load_dword v11, v[4:5] offset:2048
	;; [unrolled: 1-line block ×3, first 2 shown]
	v_add_co_u32_e32 v4, vcc, 0x2000, v2
	v_addc_co_u32_e32 v5, vcc, 0, v3, vcc
	v_add_co_u32_e32 v2, vcc, 0x3000, v2
	v_addc_co_u32_e32 v3, vcc, 0, v3, vcc
	flat_load_dword v13, v[4:5]
	flat_load_dword v14, v[4:5] offset:1024
	flat_load_dword v15, v[4:5] offset:2048
	;; [unrolled: 1-line block ×3, first 2 shown]
	flat_load_dword v17, v[2:3]
	flat_load_dword v18, v[2:3] offset:1024
	v_mov_b32_e32 v2, s38
	v_mov_b32_e32 v3, s39
	v_add_co_u32_e32 v2, vcc, 0x3000, v2
	v_addc_co_u32_e32 v3, vcc, 0, v3, vcc
	s_movk_i32 s4, 0xffcc
	s_movk_i32 s9, 0x1000
	s_mov_b32 s2, 0
	s_movk_i32 s8, 0x2000
	s_movk_i32 s3, 0x3000
	s_waitcnt vmcnt(0) lgkmcnt(0)
	ds_write2st64_b32 v50, v1, v6 offset1:4
	ds_write2st64_b32 v50, v7, v8 offset0:8 offset1:12
	ds_write2st64_b32 v50, v9, v10 offset0:16 offset1:20
	;; [unrolled: 1-line block ×6, first 2 shown]
	s_waitcnt lgkmcnt(0)
	s_barrier
	flat_load_dword v1, v[2:3] offset:2048
	v_mad_u32_u24 v6, v0, 52, v50
	v_mad_i32_i24 v2, v0, s4, v6
	s_movk_i32 s4, 0xff
	v_cmp_ne_u32_e32 vcc, s4, v0
	ds_read2_b32 v[26:27], v6 offset1:13
	ds_read2_b32 v[18:19], v6 offset0:7 offset1:8
	ds_read2_b32 v[20:21], v6 offset0:5 offset1:6
	;; [unrolled: 1-line block ×6, first 2 shown]
	s_waitcnt lgkmcnt(0)
	ds_write_b32 v2, v26 offset:15360
	s_waitcnt lgkmcnt(0)
	s_barrier
	s_and_saveexec_b64 s[4:5], vcc
	s_cbranch_execz .LBB1932_91
; %bb.90:
	s_waitcnt vmcnt(0)
	ds_read_b32 v1, v50 offset:15364
.LBB1932_91:
	s_or_b64 exec, exec, s[4:5]
	v_mov_b32_e32 v3, s47
	v_add_co_u32_e32 v2, vcc, s7, v50
	v_addc_co_u32_e32 v3, vcc, 0, v3, vcc
	v_add_co_u32_e32 v4, vcc, s9, v2
	v_addc_co_u32_e32 v5, vcc, 0, v3, vcc
	s_waitcnt lgkmcnt(0)
	s_barrier
	flat_load_dword v7, v[2:3]
	flat_load_dword v8, v[2:3] offset:1024
	flat_load_dword v9, v[2:3] offset:2048
	;; [unrolled: 1-line block ×3, first 2 shown]
	flat_load_dword v15, v[4:5]
	flat_load_dword v16, v[4:5] offset:1024
	flat_load_dword v17, v[4:5] offset:2048
	;; [unrolled: 1-line block ×3, first 2 shown]
	v_add_co_u32_e32 v4, vcc, s8, v2
	v_addc_co_u32_e32 v5, vcc, 0, v3, vcc
	v_add_co_u32_e32 v2, vcc, s3, v2
	v_addc_co_u32_e32 v3, vcc, 0, v3, vcc
	flat_load_dword v23, v[4:5]
	flat_load_dword v24, v[4:5] offset:1024
	flat_load_dword v25, v[4:5] offset:2048
	;; [unrolled: 1-line block ×3, first 2 shown]
	flat_load_dword v33, v[2:3]
	flat_load_dword v34, v[2:3] offset:1024
	s_mov_b32 s3, 1
	v_cmp_eq_u32_e32 vcc, v26, v12
	v_pk_mov_b32 v[38:39], s[2:3], s[2:3] op_sel:[0,1]
	s_waitcnt vmcnt(0) lgkmcnt(0)
	ds_write2st64_b32 v50, v7, v8 offset1:4
	ds_write2st64_b32 v50, v9, v14 offset0:8 offset1:12
	ds_write2st64_b32 v50, v15, v16 offset0:16 offset1:20
	;; [unrolled: 1-line block ×6, first 2 shown]
	s_waitcnt lgkmcnt(0)
	s_barrier
	ds_read2_b32 v[24:25], v6 offset0:7 offset1:8
	ds_read2_b32 v[14:15], v6 offset0:5 offset1:6
	;; [unrolled: 1-line block ×4, first 2 shown]
	ds_read_b32 v34, v6 offset:52
	ds_read2_b32 v[22:23], v6 offset0:11 offset1:12
	ds_read2_b32 v[32:33], v6 offset0:9 offset1:10
	v_mov_b32_e32 v7, s56
	s_and_saveexec_b64 s[2:3], vcc
	s_cbranch_execz .LBB1932_93
; %bb.92:
	ds_read_b32 v7, v6
	v_pk_mov_b32 v[38:39], 0, 0
.LBB1932_93:
	s_or_b64 exec, exec, s[2:3]
	v_mov_b32_e32 v26, s56
	v_cmp_eq_u32_e32 vcc, v12, v13
	s_waitcnt lgkmcnt(3)
	v_cndmask_b32_e32 v8, v26, v4, vcc
	v_cmp_eq_u32_e32 vcc, v13, v10
	v_cndmask_b32_e32 v6, v26, v5, vcc
	v_cmp_eq_u32_e32 vcc, v10, v11
	;; [unrolled: 2-line block ×3, first 2 shown]
	v_cndmask_b32_e32 v2, v26, v3, vcc
	v_cmp_ne_u32_e32 vcc, v12, v13
	v_cndmask_b32_e64 v9, 0, 1, vcc
	v_cmp_ne_u32_e32 vcc, v13, v10
	s_waitcnt lgkmcnt(0)
	v_or_b32_e32 v38, v38, v7
	v_cndmask_b32_e64 v7, 0, 1, vcc
	v_cmp_ne_u32_e32 vcc, v10, v11
	v_cndmask_b32_e64 v5, 0, 1, vcc
	v_cmp_ne_u32_e32 vcc, v11, v20
	v_cndmask_b32_e64 v3, 0, 1, vcc
	v_cmp_eq_u32_e32 vcc, v20, v21
	v_cndmask_b32_e32 v16, v26, v14, vcc
	v_cmp_eq_u32_e32 vcc, v21, v18
	v_cndmask_b32_e32 v14, v26, v15, vcc
	;; [unrolled: 2-line block ×4, first 2 shown]
	v_cmp_ne_u32_e32 vcc, v20, v21
	v_cndmask_b32_e64 v17, 0, 1, vcc
	v_cmp_ne_u32_e32 vcc, v21, v18
	v_cndmask_b32_e64 v15, 0, 1, vcc
	;; [unrolled: 2-line block ×4, first 2 shown]
	v_cmp_eq_u32_e32 vcc, v31, v27
	v_cndmask_b32_e32 v24, v26, v23, vcc
	v_cmp_eq_u32_e32 vcc, v30, v31
	v_cndmask_b32_e32 v22, v26, v22, vcc
	;; [unrolled: 2-line block ×4, first 2 shown]
	v_cmp_ne_u32_e32 vcc, v31, v27
	v_cndmask_b32_e64 v25, 0, 1, vcc
	v_cmp_ne_u32_e32 vcc, v30, v31
	v_cndmask_b32_e64 v23, 0, 1, vcc
	;; [unrolled: 2-line block ×3, first 2 shown]
	v_cmp_ne_u32_e32 vcc, v28, v29
	v_cmp_ne_u32_e64 s[16:17], v27, v1
	v_cndmask_b32_e64 v19, 0, 1, vcc
	v_cndmask_b32_e64 v42, v34, v26, s[16:17]
	s_mov_b64 s[18:19], -1
                                        ; implicit-def: $sgpr2_sgpr3
.LBB1932_94:
	v_pk_mov_b32 v[40:41], s[2:3], s[2:3] op_sel:[0,1]
	s_and_saveexec_b64 s[2:3], s[18:19]
; %bb.95:
	v_cndmask_b32_e64 v43, 0, 1, s[16:17]
	v_pk_mov_b32 v[40:41], v[42:43], v[42:43] op_sel:[0,1]
; %bb.96:
	s_or_b64 exec, exec, s[2:3]
	s_mov_b32 s26, 0
	s_cmp_lg_u32 s6, 0
	v_mbcnt_lo_u32_b32 v52, -1, 0
	v_lshrrev_b32_e32 v1, 6, v0
	v_or_b32_e32 v51, 63, v0
	s_barrier
	s_cbranch_scc0 .LBB1932_129
; %bb.97:
	s_mov_b32 s27, 1
	v_cmp_gt_u64_e64 s[2:3], s[26:27], v[8:9]
	v_cndmask_b32_e64 v27, 0, v38, s[2:3]
	v_add_u32_e32 v27, v27, v8
	v_cmp_gt_u64_e64 s[4:5], s[26:27], v[6:7]
	v_cndmask_b32_e64 v27, 0, v27, s[4:5]
	v_add_u32_e32 v27, v27, v6
	;; [unrolled: 3-line block ×12, first 2 shown]
	v_cmp_gt_u64_e32 vcc, s[26:27], v[40:41]
	v_cndmask_b32_e32 v27, 0, v27, vcc
	v_add_u32_e32 v28, v27, v40
	v_or3_b32 v27, v41, v25, v23
	v_or3_b32 v27, v27, v21, v19
	;; [unrolled: 1-line block ×6, first 2 shown]
	v_mov_b32_e32 v26, 0
	v_and_b32_e32 v27, 1, v27
	v_cmp_eq_u64_e32 vcc, 0, v[26:27]
	v_cndmask_b32_e32 v27, 1, v39, vcc
	v_and_b32_e32 v29, 0xff, v27
	v_mov_b32_dpp v31, v28 row_shr:1 row_mask:0xf bank_mask:0xf
	v_cmp_eq_u16_e32 vcc, 0, v29
	v_mov_b32_dpp v32, v29 row_shr:1 row_mask:0xf bank_mask:0xf
	v_and_b32_e32 v33, 1, v27
	v_mbcnt_hi_u32_b32 v46, -1, v52
	v_cndmask_b32_e32 v31, 0, v31, vcc
	v_and_b32_e32 v32, 1, v32
	v_cmp_eq_u32_e32 vcc, 1, v33
	v_and_b32_e32 v30, 15, v46
	v_cndmask_b32_e64 v32, v32, 1, vcc
	v_and_b32_e32 v33, 0xffff, v32
	v_cmp_eq_u32_e32 vcc, 0, v30
	v_cndmask_b32_e32 v27, v32, v27, vcc
	v_cndmask_b32_e32 v29, v33, v29, vcc
	v_and_b32_e32 v33, 1, v27
	v_cndmask_b32_e64 v31, v31, 0, vcc
	v_mov_b32_dpp v32, v29 row_shr:2 row_mask:0xf bank_mask:0xf
	v_and_b32_e32 v32, 1, v32
	v_cmp_eq_u32_e32 vcc, 1, v33
	v_cndmask_b32_e64 v32, v32, 1, vcc
	v_and_b32_e32 v33, 0xffff, v32
	v_cmp_lt_u32_e32 vcc, 1, v30
	v_add_u32_e32 v28, v31, v28
	v_cmp_eq_u16_sdwa s[26:27], v27, v26 src0_sel:BYTE_0 src1_sel:DWORD
	v_cndmask_b32_e32 v27, v27, v32, vcc
	v_cndmask_b32_e32 v29, v29, v33, vcc
	v_mov_b32_dpp v31, v28 row_shr:2 row_mask:0xf bank_mask:0xf
	s_and_b64 vcc, vcc, s[26:27]
	v_mov_b32_dpp v32, v29 row_shr:4 row_mask:0xf bank_mask:0xf
	v_and_b32_e32 v33, 1, v27
	v_cndmask_b32_e32 v31, 0, v31, vcc
	v_and_b32_e32 v32, 1, v32
	v_cmp_eq_u32_e32 vcc, 1, v33
	v_cndmask_b32_e64 v32, v32, 1, vcc
	v_and_b32_e32 v33, 0xffff, v32
	v_cmp_lt_u32_e32 vcc, 3, v30
	v_add_u32_e32 v28, v31, v28
	v_cmp_eq_u16_sdwa s[26:27], v27, v26 src0_sel:BYTE_0 src1_sel:DWORD
	v_cndmask_b32_e32 v27, v27, v32, vcc
	v_cndmask_b32_e32 v29, v29, v33, vcc
	v_mov_b32_dpp v31, v28 row_shr:4 row_mask:0xf bank_mask:0xf
	s_and_b64 vcc, vcc, s[26:27]
	v_mov_b32_dpp v32, v29 row_shr:8 row_mask:0xf bank_mask:0xf
	v_and_b32_e32 v33, 1, v27
	v_cndmask_b32_e32 v31, 0, v31, vcc
	v_and_b32_e32 v32, 1, v32
	v_cmp_eq_u32_e32 vcc, 1, v33
	v_cndmask_b32_e64 v32, v32, 1, vcc
	v_add_u32_e32 v28, v31, v28
	v_cmp_eq_u16_sdwa s[26:27], v27, v26 src0_sel:BYTE_0 src1_sel:DWORD
	v_and_b32_e32 v33, 0xffff, v32
	v_cmp_lt_u32_e32 vcc, 7, v30
	v_mov_b32_dpp v31, v28 row_shr:8 row_mask:0xf bank_mask:0xf
	v_cndmask_b32_e32 v27, v27, v32, vcc
	v_cndmask_b32_e32 v29, v29, v33, vcc
	s_and_b64 vcc, vcc, s[26:27]
	v_cndmask_b32_e32 v30, 0, v31, vcc
	v_add_u32_e32 v28, v30, v28
	v_mov_b32_dpp v31, v29 row_bcast:15 row_mask:0xf bank_mask:0xf
	v_cmp_eq_u16_sdwa vcc, v27, v26 src0_sel:BYTE_0 src1_sel:DWORD
	v_mov_b32_dpp v30, v28 row_bcast:15 row_mask:0xf bank_mask:0xf
	v_and_b32_e32 v34, 1, v27
	v_cndmask_b32_e32 v30, 0, v30, vcc
	v_and_b32_e32 v31, 1, v31
	v_cmp_eq_u32_e32 vcc, 1, v34
	v_and_b32_e32 v33, 16, v46
	v_cndmask_b32_e64 v31, v31, 1, vcc
	v_and_b32_e32 v34, 0xffff, v31
	v_cmp_eq_u32_e32 vcc, 0, v33
	v_cndmask_b32_e32 v27, v31, v27, vcc
	v_cndmask_b32_e32 v29, v34, v29, vcc
	v_bfe_i32 v32, v46, 4, 1
	v_cmp_eq_u16_sdwa s[26:27], v27, v26 src0_sel:BYTE_0 src1_sel:DWORD
	v_mov_b32_dpp v29, v29 row_bcast:31 row_mask:0xf bank_mask:0xf
	v_and_b32_e32 v26, 1, v27
	v_and_b32_e32 v30, v32, v30
	;; [unrolled: 1-line block ×3, first 2 shown]
	v_cmp_eq_u32_e32 vcc, 1, v26
	v_add_u32_e32 v28, v30, v28
	v_cndmask_b32_e64 v26, v29, 1, vcc
	v_cmp_lt_u32_e32 vcc, 31, v46
	v_mov_b32_dpp v30, v28 row_bcast:31 row_mask:0xf bank_mask:0xf
	v_cndmask_b32_e32 v29, v27, v26, vcc
	s_and_b64 vcc, vcc, s[26:27]
	v_cndmask_b32_e32 v26, 0, v30, vcc
	v_add_u32_e32 v28, v26, v28
	v_cmp_eq_u32_e32 vcc, v51, v0
	s_and_saveexec_b64 s[26:27], vcc
	s_cbranch_execz .LBB1932_99
; %bb.98:
	v_lshlrev_b32_e32 v26, 3, v1
	ds_write_b32 v26, v28
	ds_write_b8 v26, v29 offset:4
.LBB1932_99:
	s_or_b64 exec, exec, s[26:27]
	v_cmp_gt_u32_e32 vcc, 4, v0
	s_waitcnt lgkmcnt(0)
	s_barrier
	s_and_saveexec_b64 s[26:27], vcc
	s_cbranch_execz .LBB1932_103
; %bb.100:
	v_lshlrev_b32_e32 v30, 3, v0
	ds_read_b64 v[26:27], v30
	v_and_b32_e32 v31, 3, v46
	v_cmp_ne_u32_e32 vcc, 0, v31
	s_waitcnt lgkmcnt(0)
	v_mov_b32_dpp v32, v26 row_shr:1 row_mask:0xf bank_mask:0xf
	v_mov_b32_dpp v34, v27 row_shr:1 row_mask:0xf bank_mask:0xf
	v_mov_b32_e32 v33, v27
	s_and_saveexec_b64 s[30:31], vcc
	s_cbranch_execz .LBB1932_102
; %bb.101:
	v_and_b32_e32 v33, 1, v27
	v_and_b32_e32 v34, 1, v34
	v_cmp_eq_u32_e32 vcc, 1, v33
	v_mov_b32_e32 v33, 0
	v_cndmask_b32_e64 v34, v34, 1, vcc
	v_cmp_eq_u16_sdwa vcc, v27, v33 src0_sel:BYTE_0 src1_sel:DWORD
	v_cndmask_b32_e32 v32, 0, v32, vcc
	v_add_u32_e32 v26, v32, v26
	v_and_b32_e32 v32, 0xffff, v34
	s_movk_i32 s7, 0xff00
	v_and_or_b32 v33, v27, s7, v32
	v_mov_b32_e32 v27, v34
.LBB1932_102:
	s_or_b64 exec, exec, s[30:31]
	v_mov_b32_dpp v33, v33 row_shr:2 row_mask:0xf bank_mask:0xf
	v_and_b32_e32 v34, 1, v27
	v_and_b32_e32 v33, 1, v33
	v_cmp_eq_u32_e32 vcc, 1, v34
	v_mov_b32_e32 v34, 0
	v_cndmask_b32_e64 v33, v33, 1, vcc
	v_cmp_eq_u16_sdwa s[30:31], v27, v34 src0_sel:BYTE_0 src1_sel:DWORD
	v_cmp_lt_u32_e32 vcc, 1, v31
	v_mov_b32_dpp v32, v26 row_shr:2 row_mask:0xf bank_mask:0xf
	v_cndmask_b32_e32 v27, v27, v33, vcc
	s_and_b64 vcc, vcc, s[30:31]
	v_cndmask_b32_e32 v31, 0, v32, vcc
	v_add_u32_e32 v26, v31, v26
	ds_write_b32 v30, v26
	ds_write_b8 v30, v27 offset:4
.LBB1932_103:
	s_or_b64 exec, exec, s[26:27]
	v_cmp_gt_u32_e32 vcc, 64, v0
	v_cmp_lt_u32_e64 s[26:27], 63, v0
	v_mov_b32_e32 v42, 0
	v_mov_b32_e32 v43, 0
	s_waitcnt lgkmcnt(0)
	s_barrier
	s_and_saveexec_b64 s[30:31], s[26:27]
	s_cbranch_execz .LBB1932_105
; %bb.104:
	v_lshl_add_u32 v26, v1, 3, -8
	ds_read_b32 v42, v26
	ds_read_u8 v43, v26 offset:4
	v_mov_b32_e32 v27, 0
	v_and_b32_e32 v30, 1, v29
	v_cmp_eq_u16_sdwa s[26:27], v29, v27 src0_sel:BYTE_0 src1_sel:DWORD
	s_waitcnt lgkmcnt(1)
	v_cndmask_b32_e64 v26, 0, v42, s[26:27]
	v_cmp_eq_u32_e64 s[26:27], 1, v30
	v_add_u32_e32 v28, v26, v28
	s_waitcnt lgkmcnt(0)
	v_cndmask_b32_e64 v29, v43, 1, s[26:27]
.LBB1932_105:
	s_or_b64 exec, exec, s[30:31]
	v_and_b32_e32 v26, 0xff, v29
	v_add_u32_e32 v27, -1, v46
	v_and_b32_e32 v29, 64, v46
	v_cmp_lt_i32_e64 s[26:27], v27, v29
	v_cndmask_b32_e64 v27, v27, v46, s[26:27]
	v_lshlrev_b32_e32 v27, 2, v27
	ds_bpermute_b32 v44, v27, v28
	ds_bpermute_b32 v45, v27, v26
	v_cmp_eq_u32_e64 s[26:27], 0, v46
	s_and_saveexec_b64 s[38:39], vcc
	s_cbranch_execz .LBB1932_128
; %bb.106:
	v_mov_b32_e32 v29, 0
	ds_read_b64 v[26:27], v29 offset:24
	s_waitcnt lgkmcnt(0)
	v_readfirstlane_b32 s7, v27
	s_and_saveexec_b64 s[30:31], s[26:27]
	s_cbranch_execz .LBB1932_108
; %bb.107:
	s_add_i32 s40, s6, 64
	s_mov_b32 s41, 0
	s_lshl_b64 s[48:49], s[40:41], 4
	s_add_u32 s48, s44, s48
	s_addc_u32 s49, s45, s49
	s_and_b32 s55, s7, 0xff000000
	s_mov_b32 s54, s41
	s_and_b32 s59, s7, 0xff0000
	s_mov_b32 s58, s41
	s_or_b64 s[54:55], s[58:59], s[54:55]
	s_and_b32 s59, s7, 0xff00
	s_or_b64 s[54:55], s[54:55], s[58:59]
	s_and_b32 s59, s7, 0xff
	s_or_b64 s[40:41], s[54:55], s[58:59]
	v_mov_b32_e32 v27, s41
	v_mov_b32_e32 v28, 1
	v_pk_mov_b32 v[30:31], s[48:49], s[48:49] op_sel:[0,1]
	;;#ASMSTART
	global_store_dwordx4 v[30:31], v[26:29] off	
s_waitcnt vmcnt(0)
	;;#ASMEND
.LBB1932_108:
	s_or_b64 exec, exec, s[30:31]
	v_xad_u32 v34, v46, -1, s6
	v_add_u32_e32 v28, 64, v34
	v_lshlrev_b64 v[30:31], 4, v[28:29]
	v_mov_b32_e32 v27, s45
	v_add_co_u32_e32 v36, vcc, s44, v30
	v_addc_co_u32_e32 v37, vcc, v27, v31, vcc
	;;#ASMSTART
	global_load_dwordx4 v[30:33], v[36:37] off glc	
s_waitcnt vmcnt(0)
	;;#ASMEND
	v_and_b32_e32 v27, 0xff0000, v30
	v_or_b32_sdwa v27, v30, v27 dst_sel:DWORD dst_unused:UNUSED_PAD src0_sel:WORD_0 src1_sel:DWORD
	v_and_b32_e32 v28, 0xff000000, v30
	v_and_b32_e32 v30, 0xff, v31
	v_or3_b32 v31, 0, 0, v30
	v_or3_b32 v30, v27, v28, 0
	v_cmp_eq_u16_sdwa s[40:41], v32, v29 src0_sel:BYTE_0 src1_sel:DWORD
	s_and_saveexec_b64 s[30:31], s[40:41]
	s_cbranch_execz .LBB1932_114
; %bb.109:
	s_mov_b32 s47, 1
	s_mov_b64 s[40:41], 0
	v_mov_b32_e32 v27, 0
.LBB1932_110:                           ; =>This Loop Header: Depth=1
                                        ;     Child Loop BB1932_111 Depth 2
	s_max_u32 s48, s47, 1
.LBB1932_111:                           ;   Parent Loop BB1932_110 Depth=1
                                        ; =>  This Inner Loop Header: Depth=2
	s_add_i32 s48, s48, -1
	s_cmp_eq_u32 s48, 0
	s_sleep 1
	s_cbranch_scc0 .LBB1932_111
; %bb.112:                              ;   in Loop: Header=BB1932_110 Depth=1
	s_cmp_lt_u32 s47, 32
	s_cselect_b64 s[48:49], -1, 0
	s_cmp_lg_u64 s[48:49], 0
	s_addc_u32 s47, s47, 0
	;;#ASMSTART
	global_load_dwordx4 v[30:33], v[36:37] off glc	
s_waitcnt vmcnt(0)
	;;#ASMEND
	v_cmp_ne_u16_sdwa s[48:49], v32, v27 src0_sel:BYTE_0 src1_sel:DWORD
	s_or_b64 s[40:41], s[48:49], s[40:41]
	s_andn2_b64 exec, exec, s[40:41]
	s_cbranch_execnz .LBB1932_110
; %bb.113:
	s_or_b64 exec, exec, s[40:41]
	v_and_b32_e32 v31, 0xff, v31
.LBB1932_114:
	s_or_b64 exec, exec, s[30:31]
	v_mov_b32_e32 v27, 2
	v_cmp_eq_u16_sdwa s[30:31], v32, v27 src0_sel:BYTE_0 src1_sel:DWORD
	v_lshlrev_b64 v[28:29], v46, -1
	v_and_b32_e32 v33, s31, v29
	v_or_b32_e32 v33, 0x80000000, v33
	v_and_b32_e32 v35, s30, v28
	v_ffbl_b32_e32 v33, v33
	v_and_b32_e32 v47, 63, v46
	v_add_u32_e32 v33, 32, v33
	v_ffbl_b32_e32 v35, v35
	v_cmp_ne_u32_e32 vcc, 63, v47
	v_min_u32_e32 v33, v35, v33
	v_addc_co_u32_e32 v35, vcc, 0, v46, vcc
	v_lshlrev_b32_e32 v48, 2, v35
	ds_bpermute_b32 v35, v48, v31
	ds_bpermute_b32 v36, v48, v30
	s_mov_b32 s40, 0
	v_and_b32_e32 v37, 1, v31
	s_mov_b32 s41, 1
	s_waitcnt lgkmcnt(1)
	v_and_b32_e32 v35, 1, v35
	v_cmp_eq_u32_e32 vcc, 1, v37
	v_cndmask_b32_e64 v35, v35, 1, vcc
	v_cmp_gt_u64_e32 vcc, s[40:41], v[30:31]
	v_cmp_lt_u32_e64 s[30:31], v47, v33
	s_and_b64 vcc, s[30:31], vcc
	v_and_b32_e32 v37, 0xffff, v35
	v_cndmask_b32_e64 v54, v31, v35, s[30:31]
	s_waitcnt lgkmcnt(0)
	v_cndmask_b32_e32 v35, 0, v36, vcc
	v_cmp_gt_u32_e32 vcc, 62, v47
	v_cndmask_b32_e64 v36, 0, 1, vcc
	v_lshlrev_b32_e32 v36, 1, v36
	v_cndmask_b32_e64 v31, v31, v37, s[30:31]
	v_add_lshl_u32 v49, v36, v46, 2
	ds_bpermute_b32 v36, v49, v31
	v_add_u32_e32 v30, v35, v30
	ds_bpermute_b32 v37, v49, v30
	v_and_b32_e32 v35, 1, v54
	v_cmp_eq_u32_e32 vcc, 1, v35
	s_waitcnt lgkmcnt(1)
	v_and_b32_e32 v36, 1, v36
	v_mov_b32_e32 v35, 0
	v_add_u32_e32 v53, 2, v47
	v_cndmask_b32_e64 v36, v36, 1, vcc
	v_cmp_eq_u16_sdwa vcc, v54, v35 src0_sel:BYTE_0 src1_sel:DWORD
	v_and_b32_e32 v55, 0xffff, v36
	s_waitcnt lgkmcnt(0)
	v_cndmask_b32_e32 v37, 0, v37, vcc
	v_cmp_gt_u32_e32 vcc, v53, v33
	v_cndmask_b32_e32 v36, v36, v54, vcc
	v_cndmask_b32_e64 v37, v37, 0, vcc
	v_cndmask_b32_e32 v31, v55, v31, vcc
	v_cmp_gt_u32_e32 vcc, 60, v47
	v_cndmask_b32_e64 v54, 0, 1, vcc
	v_lshlrev_b32_e32 v54, 2, v54
	v_add_lshl_u32 v54, v54, v46, 2
	ds_bpermute_b32 v56, v54, v31
	v_add_u32_e32 v30, v37, v30
	ds_bpermute_b32 v37, v54, v30
	v_and_b32_e32 v57, 1, v36
	v_cmp_eq_u32_e32 vcc, 1, v57
	s_waitcnt lgkmcnt(1)
	v_and_b32_e32 v56, 1, v56
	v_add_u32_e32 v55, 4, v47
	v_cndmask_b32_e64 v56, v56, 1, vcc
	v_cmp_eq_u16_sdwa vcc, v36, v35 src0_sel:BYTE_0 src1_sel:DWORD
	v_and_b32_e32 v57, 0xffff, v56
	s_waitcnt lgkmcnt(0)
	v_cndmask_b32_e32 v37, 0, v37, vcc
	v_cmp_gt_u32_e32 vcc, v55, v33
	v_cndmask_b32_e32 v36, v56, v36, vcc
	v_cndmask_b32_e64 v37, v37, 0, vcc
	v_cndmask_b32_e32 v31, v57, v31, vcc
	v_cmp_gt_u32_e32 vcc, 56, v47
	v_cndmask_b32_e64 v56, 0, 1, vcc
	v_lshlrev_b32_e32 v56, 3, v56
	v_add_lshl_u32 v56, v56, v46, 2
	ds_bpermute_b32 v58, v56, v31
	v_add_u32_e32 v30, v37, v30
	ds_bpermute_b32 v37, v56, v30
	v_and_b32_e32 v59, 1, v36
	v_cmp_eq_u32_e32 vcc, 1, v59
	s_waitcnt lgkmcnt(1)
	v_and_b32_e32 v58, 1, v58
	;; [unrolled: 21-line block ×4, first 2 shown]
	v_add_u32_e32 v62, 32, v47
	v_cndmask_b32_e64 v31, v31, 1, vcc
	v_cmp_eq_u16_sdwa vcc, v36, v35 src0_sel:BYTE_0 src1_sel:DWORD
	s_waitcnt lgkmcnt(0)
	v_cndmask_b32_e32 v37, 0, v37, vcc
	v_cmp_gt_u32_e32 vcc, v62, v33
	v_cndmask_b32_e64 v33, v37, 0, vcc
	v_cndmask_b32_e32 v31, v31, v36, vcc
	v_add_u32_e32 v30, v33, v30
	s_branch .LBB1932_116
.LBB1932_115:                           ;   in Loop: Header=BB1932_116 Depth=1
	s_or_b64 exec, exec, s[30:31]
	v_cmp_eq_u16_sdwa s[30:31], v32, v27 src0_sel:BYTE_0 src1_sel:DWORD
	v_and_b32_e32 v33, s31, v29
	ds_bpermute_b32 v37, v48, v31
	v_or_b32_e32 v33, 0x80000000, v33
	v_and_b32_e32 v36, s30, v28
	v_ffbl_b32_e32 v33, v33
	v_add_u32_e32 v33, 32, v33
	v_ffbl_b32_e32 v36, v36
	v_min_u32_e32 v33, v36, v33
	ds_bpermute_b32 v36, v48, v30
	v_and_b32_e32 v63, 1, v31
	s_waitcnt lgkmcnt(1)
	v_and_b32_e32 v37, 1, v37
	v_cmp_eq_u32_e32 vcc, 1, v63
	v_cndmask_b32_e64 v37, v37, 1, vcc
	v_cmp_gt_u64_e32 vcc, s[40:41], v[30:31]
	v_and_b32_e32 v63, 0xffff, v37
	v_cmp_lt_u32_e64 s[30:31], v47, v33
	v_cndmask_b32_e64 v37, v31, v37, s[30:31]
	v_cndmask_b32_e64 v31, v31, v63, s[30:31]
	s_and_b64 vcc, s[30:31], vcc
	ds_bpermute_b32 v63, v49, v31
	s_waitcnt lgkmcnt(1)
	v_cndmask_b32_e32 v36, 0, v36, vcc
	v_add_u32_e32 v30, v36, v30
	ds_bpermute_b32 v36, v49, v30
	v_and_b32_e32 v64, 1, v37
	s_waitcnt lgkmcnt(1)
	v_and_b32_e32 v63, 1, v63
	v_cmp_eq_u32_e32 vcc, 1, v64
	v_cndmask_b32_e64 v63, v63, 1, vcc
	v_cmp_eq_u16_sdwa vcc, v37, v35 src0_sel:BYTE_0 src1_sel:DWORD
	v_and_b32_e32 v64, 0xffff, v63
	s_waitcnt lgkmcnt(0)
	v_cndmask_b32_e32 v36, 0, v36, vcc
	v_cmp_gt_u32_e32 vcc, v53, v33
	v_cndmask_b32_e32 v31, v64, v31, vcc
	v_cndmask_b32_e32 v37, v63, v37, vcc
	ds_bpermute_b32 v63, v54, v31
	v_cndmask_b32_e64 v36, v36, 0, vcc
	v_add_u32_e32 v30, v36, v30
	ds_bpermute_b32 v36, v54, v30
	v_and_b32_e32 v64, 1, v37
	s_waitcnt lgkmcnt(1)
	v_and_b32_e32 v63, 1, v63
	v_cmp_eq_u32_e32 vcc, 1, v64
	v_cndmask_b32_e64 v63, v63, 1, vcc
	v_cmp_eq_u16_sdwa vcc, v37, v35 src0_sel:BYTE_0 src1_sel:DWORD
	v_and_b32_e32 v64, 0xffff, v63
	s_waitcnt lgkmcnt(0)
	v_cndmask_b32_e32 v36, 0, v36, vcc
	v_cmp_gt_u32_e32 vcc, v55, v33
	v_cndmask_b32_e32 v31, v64, v31, vcc
	v_cndmask_b32_e32 v37, v63, v37, vcc
	ds_bpermute_b32 v63, v56, v31
	v_cndmask_b32_e64 v36, v36, 0, vcc
	;; [unrolled: 16-line block ×3, first 2 shown]
	v_add_u32_e32 v30, v36, v30
	ds_bpermute_b32 v36, v58, v30
	v_and_b32_e32 v64, 1, v37
	s_waitcnt lgkmcnt(1)
	v_and_b32_e32 v63, 1, v63
	v_cmp_eq_u32_e32 vcc, 1, v64
	v_cndmask_b32_e64 v63, v63, 1, vcc
	v_cmp_eq_u16_sdwa vcc, v37, v35 src0_sel:BYTE_0 src1_sel:DWORD
	v_and_b32_e32 v64, 0xffff, v63
	s_waitcnt lgkmcnt(0)
	v_cndmask_b32_e32 v36, 0, v36, vcc
	v_cmp_gt_u32_e32 vcc, v59, v33
	v_cndmask_b32_e64 v36, v36, 0, vcc
	v_cndmask_b32_e32 v31, v64, v31, vcc
	ds_bpermute_b32 v31, v61, v31
	v_add_u32_e32 v30, v36, v30
	ds_bpermute_b32 v36, v61, v30
	v_cndmask_b32_e32 v37, v63, v37, vcc
	v_and_b32_e32 v63, 1, v37
	v_cmp_eq_u32_e32 vcc, 1, v63
	s_waitcnt lgkmcnt(1)
	v_cndmask_b32_e64 v31, v31, 1, vcc
	v_cmp_eq_u16_sdwa vcc, v37, v35 src0_sel:BYTE_0 src1_sel:DWORD
	s_waitcnt lgkmcnt(0)
	v_cndmask_b32_e32 v36, 0, v36, vcc
	v_cmp_gt_u32_e32 vcc, v62, v33
	v_cndmask_b32_e64 v33, v36, 0, vcc
	v_cndmask_b32_e32 v31, v31, v37, vcc
	v_add_u32_e32 v30, v33, v30
	v_cmp_eq_u16_sdwa vcc, v46, v35 src0_sel:BYTE_0 src1_sel:DWORD
	v_and_b32_e32 v33, 1, v46
	v_cndmask_b32_e32 v30, 0, v30, vcc
	v_and_b32_e32 v31, 1, v31
	v_cmp_eq_u32_e32 vcc, 1, v33
	v_subrev_u32_e32 v34, 64, v34
	v_add_u32_e32 v30, v30, v60
	v_cndmask_b32_e64 v31, v31, 1, vcc
.LBB1932_116:                           ; =>This Loop Header: Depth=1
                                        ;     Child Loop BB1932_119 Depth 2
                                        ;       Child Loop BB1932_120 Depth 3
	v_cmp_ne_u16_sdwa s[30:31], v32, v27 src0_sel:BYTE_0 src1_sel:DWORD
	v_mov_b32_e32 v46, v31
	v_cndmask_b32_e64 v31, 0, 1, s[30:31]
	;;#ASMSTART
	;;#ASMEND
	v_cmp_ne_u32_e32 vcc, 0, v31
	s_cmp_lg_u64 vcc, exec
	v_mov_b32_e32 v60, v30
	s_cbranch_scc1 .LBB1932_123
; %bb.117:                              ;   in Loop: Header=BB1932_116 Depth=1
	v_lshlrev_b64 v[30:31], 4, v[34:35]
	v_mov_b32_e32 v32, s45
	v_add_co_u32_e32 v36, vcc, s44, v30
	v_addc_co_u32_e32 v37, vcc, v32, v31, vcc
	;;#ASMSTART
	global_load_dwordx4 v[30:33], v[36:37] off glc	
s_waitcnt vmcnt(0)
	;;#ASMEND
	v_and_b32_e32 v33, 0xff0000, v30
	v_or_b32_sdwa v33, v30, v33 dst_sel:DWORD dst_unused:UNUSED_PAD src0_sel:WORD_0 src1_sel:DWORD
	v_and_b32_e32 v30, 0xff000000, v30
	v_and_b32_e32 v31, 0xff, v31
	v_or3_b32 v31, 0, 0, v31
	v_or3_b32 v30, v33, v30, 0
	v_cmp_eq_u16_sdwa s[48:49], v32, v35 src0_sel:BYTE_0 src1_sel:DWORD
	s_and_saveexec_b64 s[30:31], s[48:49]
	s_cbranch_execz .LBB1932_115
; %bb.118:                              ;   in Loop: Header=BB1932_116 Depth=1
	s_mov_b32 s47, 1
	s_mov_b64 s[48:49], 0
.LBB1932_119:                           ;   Parent Loop BB1932_116 Depth=1
                                        ; =>  This Loop Header: Depth=2
                                        ;       Child Loop BB1932_120 Depth 3
	s_max_u32 s54, s47, 1
.LBB1932_120:                           ;   Parent Loop BB1932_116 Depth=1
                                        ;     Parent Loop BB1932_119 Depth=2
                                        ; =>    This Inner Loop Header: Depth=3
	s_add_i32 s54, s54, -1
	s_cmp_eq_u32 s54, 0
	s_sleep 1
	s_cbranch_scc0 .LBB1932_120
; %bb.121:                              ;   in Loop: Header=BB1932_119 Depth=2
	s_cmp_lt_u32 s47, 32
	s_cselect_b64 s[54:55], -1, 0
	s_cmp_lg_u64 s[54:55], 0
	s_addc_u32 s47, s47, 0
	;;#ASMSTART
	global_load_dwordx4 v[30:33], v[36:37] off glc	
s_waitcnt vmcnt(0)
	;;#ASMEND
	v_cmp_ne_u16_sdwa s[54:55], v32, v35 src0_sel:BYTE_0 src1_sel:DWORD
	s_or_b64 s[48:49], s[54:55], s[48:49]
	s_andn2_b64 exec, exec, s[48:49]
	s_cbranch_execnz .LBB1932_119
; %bb.122:                              ;   in Loop: Header=BB1932_116 Depth=1
	s_or_b64 exec, exec, s[48:49]
	v_and_b32_e32 v31, 0xff, v31
	s_branch .LBB1932_115
.LBB1932_123:                           ;   in Loop: Header=BB1932_116 Depth=1
                                        ; implicit-def: $vgpr31
                                        ; implicit-def: $vgpr30
                                        ; implicit-def: $vgpr32
	s_cbranch_execz .LBB1932_116
; %bb.124:
	s_and_saveexec_b64 s[30:31], s[26:27]
	s_cbranch_execz .LBB1932_126
; %bb.125:
	s_and_b32 s40, s7, 0xff
	s_cmp_eq_u32 s40, 0
	s_cselect_b64 vcc, -1, 0
	s_bitcmp1_b32 s7, 0
	s_mov_b32 s41, 0
	s_cselect_b64 s[48:49], -1, 0
	s_add_i32 s40, s6, 64
	s_lshl_b64 s[6:7], s[40:41], 4
	v_cndmask_b32_e32 v27, 0, v60, vcc
	s_add_u32 s6, s44, s6
	v_add_u32_e32 v26, v27, v26
	v_and_b32_e32 v27, 1, v46
	s_addc_u32 s7, s45, s7
	v_mov_b32_e32 v29, 0
	v_cndmask_b32_e64 v27, v27, 1, s[48:49]
	v_mov_b32_e32 v28, 2
	v_pk_mov_b32 v[30:31], s[6:7], s[6:7] op_sel:[0,1]
	;;#ASMSTART
	global_store_dwordx4 v[30:31], v[26:29] off	
s_waitcnt vmcnt(0)
	;;#ASMEND
.LBB1932_126:
	s_or_b64 exec, exec, s[30:31]
	v_cmp_eq_u32_e32 vcc, 0, v0
	s_and_b64 exec, exec, vcc
	s_cbranch_execz .LBB1932_128
; %bb.127:
	v_mov_b32_e32 v26, 0
	ds_write_b32 v26, v60 offset:24
	ds_write_b8 v26, v46 offset:28
.LBB1932_128:
	s_or_b64 exec, exec, s[38:39]
	v_mov_b32_e32 v28, 0
	s_waitcnt lgkmcnt(0)
	s_barrier
	ds_read_b32 v26, v28 offset:24
	v_cndmask_b32_e64 v27, v45, v43, s[26:27]
	v_cmp_eq_u16_sdwa vcc, v27, v28 src0_sel:BYTE_0 src1_sel:DWORD
	v_cndmask_b32_e64 v29, v44, v42, s[26:27]
	s_waitcnt lgkmcnt(0)
	v_cndmask_b32_e32 v27, 0, v26, vcc
	v_add_u32_e32 v27, v27, v29
	v_cmp_eq_u32_e32 vcc, 0, v0
	v_and_b32_e32 v29, 0xff, v39
	v_cndmask_b32_e32 v26, v27, v26, vcc
	v_cmp_eq_u64_e32 vcc, 0, v[28:29]
	v_cndmask_b32_e32 v27, 0, v26, vcc
	v_add_u32_e32 v27, v27, v38
	v_cndmask_b32_e64 v28, 0, v27, s[2:3]
	v_add_u32_e32 v42, v28, v8
	v_cndmask_b32_e64 v28, 0, v42, s[4:5]
	;; [unrolled: 2-line block ×12, first 2 shown]
	v_add_u32_e32 v49, v28, v24
	s_branch .LBB1932_143
.LBB1932_129:
                                        ; implicit-def: $vgpr49
                                        ; implicit-def: $vgpr47
                                        ; implicit-def: $vgpr45
                                        ; implicit-def: $vgpr43
                                        ; implicit-def: $vgpr34_vgpr35_vgpr36_vgpr37
                                        ; implicit-def: $vgpr30_vgpr31_vgpr32_vgpr33
                                        ; implicit-def: $vgpr26_vgpr27_vgpr28_vgpr29
	s_cbranch_execz .LBB1932_143
; %bb.130:
	s_cmp_lg_u64 s[52:53], 0
	s_cselect_b32 s3, s51, 0
	s_cselect_b32 s2, s50, 0
	s_mov_b32 s24, 0
	s_cmp_eq_u64 s[2:3], 0
	v_mov_b32_e32 v32, s56
	s_cbranch_scc1 .LBB1932_132
; %bb.131:
	v_mov_b32_e32 v26, 0
	global_load_dword v32, v26, s[2:3]
.LBB1932_132:
	s_mov_b32 s25, 1
	v_cmp_gt_u64_e32 vcc, s[24:25], v[8:9]
	v_cndmask_b32_e32 v27, 0, v38, vcc
	v_add_u32_e32 v27, v27, v8
	v_cmp_gt_u64_e64 s[2:3], s[24:25], v[6:7]
	v_cndmask_b32_e64 v27, 0, v27, s[2:3]
	v_add_u32_e32 v27, v27, v6
	v_cmp_gt_u64_e64 s[4:5], s[24:25], v[4:5]
	v_cndmask_b32_e64 v27, 0, v27, s[4:5]
	;; [unrolled: 3-line block ×11, first 2 shown]
	v_mov_b32_e32 v26, 0
	v_add_u32_e32 v27, v27, v24
	v_cmp_gt_u64_e64 s[24:25], s[24:25], v[40:41]
	v_or3_b32 v7, v23, v15, v7
	v_cndmask_b32_e64 v27, 0, v27, s[24:25]
	v_or3_b32 v9, v25, v17, v9
	v_and_b32_e32 v35, 1, v7
	v_mov_b32_e32 v34, v26
	v_add_u32_e32 v33, v27, v40
	v_and_b32_e32 v27, 1, v41
	v_or3_b32 v3, v19, v11, v3
	v_and_b32_e32 v31, 1, v9
	v_mov_b32_e32 v30, v26
	v_cmp_ne_u64_e64 s[26:27], 0, v[34:35]
	v_cmp_eq_u32_e64 s[24:25], 1, v27
	v_or3_b32 v5, v21, v13, v5
	v_and_b32_e32 v27, 1, v3
	v_cndmask_b32_e64 v3, 0, 1, s[26:27]
	v_cmp_ne_u64_e64 s[26:27], 0, v[30:31]
	v_and_b32_e32 v29, 1, v5
	v_mov_b32_e32 v28, v26
	v_cndmask_b32_e64 v5, 0, 1, s[26:27]
	v_lshlrev_b16_e32 v3, 2, v3
	v_lshlrev_b16_e32 v5, 3, v5
	v_cmp_ne_u64_e64 s[26:27], 0, v[28:29]
	v_or_b32_e32 v3, v5, v3
	v_cndmask_b32_e64 v5, 0, 1, s[26:27]
	v_cmp_ne_u64_e64 s[26:27], 0, v[26:27]
	v_lshlrev_b16_e32 v5, 1, v5
	v_cndmask_b32_e64 v7, 0, 1, s[26:27]
	v_or_b32_e32 v5, v7, v5
	v_and_b32_e32 v5, 3, v5
	v_or_b32_e32 v3, v5, v3
	v_and_b32_e32 v3, 15, v3
	v_cmp_ne_u16_e64 s[26:27], 0, v3
	s_or_b64 s[24:25], s[24:25], s[26:27]
	v_cndmask_b32_e64 v5, v39, 1, s[24:25]
	v_and_b32_e32 v7, 0xff, v5
	v_mov_b32_dpp v11, v33 row_shr:1 row_mask:0xf bank_mask:0xf
	v_cmp_eq_u16_e64 s[24:25], 0, v7
	v_mov_b32_dpp v13, v7 row_shr:1 row_mask:0xf bank_mask:0xf
	v_and_b32_e32 v15, 1, v5
	v_mbcnt_hi_u32_b32 v3, -1, v52
	v_cndmask_b32_e64 v11, 0, v11, s[24:25]
	v_and_b32_e32 v13, 1, v13
	v_cmp_eq_u32_e64 s[24:25], 1, v15
	v_and_b32_e32 v9, 15, v3
	v_cndmask_b32_e64 v13, v13, 1, s[24:25]
	v_and_b32_e32 v15, 0xffff, v13
	v_cmp_eq_u32_e64 s[24:25], 0, v9
	v_cndmask_b32_e64 v5, v13, v5, s[24:25]
	v_cndmask_b32_e64 v7, v15, v7, s[24:25]
	v_and_b32_e32 v17, 1, v5
	v_cndmask_b32_e64 v11, v11, 0, s[24:25]
	v_mov_b32_dpp v15, v7 row_shr:2 row_mask:0xf bank_mask:0xf
	v_and_b32_e32 v15, 1, v15
	v_cmp_eq_u32_e64 s[24:25], 1, v17
	v_cndmask_b32_e64 v15, v15, 1, s[24:25]
	v_and_b32_e32 v17, 0xffff, v15
	v_cmp_lt_u32_e64 s[24:25], 1, v9
	v_add_u32_e32 v11, v11, v33
	v_cmp_eq_u16_sdwa s[26:27], v5, v26 src0_sel:BYTE_0 src1_sel:DWORD
	v_cndmask_b32_e64 v5, v5, v15, s[24:25]
	v_cndmask_b32_e64 v7, v7, v17, s[24:25]
	v_mov_b32_dpp v13, v11 row_shr:2 row_mask:0xf bank_mask:0xf
	s_and_b64 s[24:25], s[24:25], s[26:27]
	v_mov_b32_dpp v15, v7 row_shr:4 row_mask:0xf bank_mask:0xf
	v_and_b32_e32 v17, 1, v5
	v_cndmask_b32_e64 v13, 0, v13, s[24:25]
	v_and_b32_e32 v15, 1, v15
	v_cmp_eq_u32_e64 s[24:25], 1, v17
	v_cndmask_b32_e64 v15, v15, 1, s[24:25]
	v_and_b32_e32 v17, 0xffff, v15
	v_cmp_lt_u32_e64 s[24:25], 3, v9
	v_add_u32_e32 v11, v13, v11
	v_cmp_eq_u16_sdwa s[26:27], v5, v26 src0_sel:BYTE_0 src1_sel:DWORD
	v_cndmask_b32_e64 v5, v5, v15, s[24:25]
	v_cndmask_b32_e64 v7, v7, v17, s[24:25]
	v_mov_b32_dpp v13, v11 row_shr:4 row_mask:0xf bank_mask:0xf
	s_and_b64 s[24:25], s[24:25], s[26:27]
	v_mov_b32_dpp v15, v7 row_shr:8 row_mask:0xf bank_mask:0xf
	v_and_b32_e32 v17, 1, v5
	v_cndmask_b32_e64 v13, 0, v13, s[24:25]
	v_and_b32_e32 v15, 1, v15
	v_cmp_eq_u32_e64 s[24:25], 1, v17
	v_cndmask_b32_e64 v15, v15, 1, s[24:25]
	v_add_u32_e32 v11, v13, v11
	v_cmp_eq_u16_sdwa s[26:27], v5, v26 src0_sel:BYTE_0 src1_sel:DWORD
	v_and_b32_e32 v17, 0xffff, v15
	v_cmp_lt_u32_e64 s[24:25], 7, v9
	v_mov_b32_dpp v13, v11 row_shr:8 row_mask:0xf bank_mask:0xf
	v_cndmask_b32_e64 v5, v5, v15, s[24:25]
	v_cndmask_b32_e64 v7, v7, v17, s[24:25]
	s_and_b64 s[24:25], s[24:25], s[26:27]
	v_cndmask_b32_e64 v9, 0, v13, s[24:25]
	v_add_u32_e32 v9, v9, v11
	v_mov_b32_dpp v13, v7 row_bcast:15 row_mask:0xf bank_mask:0xf
	v_cmp_eq_u16_sdwa s[24:25], v5, v26 src0_sel:BYTE_0 src1_sel:DWORD
	v_mov_b32_dpp v11, v9 row_bcast:15 row_mask:0xf bank_mask:0xf
	v_and_b32_e32 v19, 1, v5
	v_cndmask_b32_e64 v11, 0, v11, s[24:25]
	v_and_b32_e32 v13, 1, v13
	v_cmp_eq_u32_e64 s[24:25], 1, v19
	v_and_b32_e32 v17, 16, v3
	v_cndmask_b32_e64 v13, v13, 1, s[24:25]
	v_and_b32_e32 v19, 0xffff, v13
	v_cmp_eq_u32_e64 s[24:25], 0, v17
	v_cndmask_b32_e64 v5, v13, v5, s[24:25]
	v_cndmask_b32_e64 v7, v19, v7, s[24:25]
	v_bfe_i32 v15, v3, 4, 1
	v_and_b32_e32 v13, 1, v5
	v_mov_b32_dpp v7, v7 row_bcast:31 row_mask:0xf bank_mask:0xf
	v_and_b32_e32 v11, v15, v11
	v_and_b32_e32 v7, 1, v7
	v_cmp_eq_u32_e64 s[24:25], 1, v13
	v_add_u32_e32 v9, v11, v9
	v_cmp_eq_u16_sdwa s[26:27], v5, v26 src0_sel:BYTE_0 src1_sel:DWORD
	v_cndmask_b32_e64 v7, v7, 1, s[24:25]
	v_cmp_lt_u32_e64 s[24:25], 31, v3
	v_mov_b32_dpp v11, v9 row_bcast:31 row_mask:0xf bank_mask:0xf
	v_cndmask_b32_e64 v5, v5, v7, s[24:25]
	s_and_b64 s[24:25], s[24:25], s[26:27]
	v_cndmask_b32_e64 v7, 0, v11, s[24:25]
	v_add_u32_e32 v7, v7, v9
	v_cmp_eq_u32_e64 s[24:25], v51, v0
	s_and_saveexec_b64 s[26:27], s[24:25]
	s_cbranch_execz .LBB1932_134
; %bb.133:
	v_lshlrev_b32_e32 v9, 3, v1
	ds_write_b32 v9, v7
	ds_write_b8 v9, v5 offset:4
.LBB1932_134:
	s_or_b64 exec, exec, s[26:27]
	v_cmp_gt_u32_e64 s[24:25], 4, v0
	s_waitcnt lgkmcnt(0)
	s_barrier
	s_and_saveexec_b64 s[26:27], s[24:25]
	s_cbranch_execz .LBB1932_138
; %bb.135:
	v_lshlrev_b32_e32 v9, 3, v0
	ds_read_b64 v[26:27], v9
	v_and_b32_e32 v11, 3, v3
	v_cmp_ne_u32_e64 s[24:25], 0, v11
	s_waitcnt lgkmcnt(0)
	v_mov_b32_dpp v13, v26 row_shr:1 row_mask:0xf bank_mask:0xf
	v_mov_b32_dpp v17, v27 row_shr:1 row_mask:0xf bank_mask:0xf
	v_mov_b32_e32 v15, v27
	s_and_saveexec_b64 s[28:29], s[24:25]
	s_cbranch_execz .LBB1932_137
; %bb.136:
	v_and_b32_e32 v15, 1, v27
	v_and_b32_e32 v17, 1, v17
	v_cmp_eq_u32_e64 s[24:25], 1, v15
	v_mov_b32_e32 v15, 0
	v_cndmask_b32_e64 v17, v17, 1, s[24:25]
	v_cmp_eq_u16_sdwa s[24:25], v27, v15 src0_sel:BYTE_0 src1_sel:DWORD
	v_cndmask_b32_e64 v13, 0, v13, s[24:25]
	v_add_u32_e32 v26, v13, v26
	v_and_b32_e32 v13, 0xffff, v17
	s_movk_i32 s24, 0xff00
	v_and_or_b32 v15, v27, s24, v13
	v_mov_b32_e32 v27, v17
.LBB1932_137:
	s_or_b64 exec, exec, s[28:29]
	v_mov_b32_dpp v15, v15 row_shr:2 row_mask:0xf bank_mask:0xf
	v_and_b32_e32 v17, 1, v27
	v_and_b32_e32 v15, 1, v15
	v_cmp_eq_u32_e64 s[24:25], 1, v17
	v_mov_b32_e32 v17, 0
	v_cndmask_b32_e64 v15, v15, 1, s[24:25]
	v_cmp_eq_u16_sdwa s[28:29], v27, v17 src0_sel:BYTE_0 src1_sel:DWORD
	v_cmp_lt_u32_e64 s[24:25], 1, v11
	v_mov_b32_dpp v13, v26 row_shr:2 row_mask:0xf bank_mask:0xf
	v_cndmask_b32_e64 v11, v27, v15, s[24:25]
	s_and_b64 s[24:25], s[24:25], s[28:29]
	v_cndmask_b32_e64 v13, 0, v13, s[24:25]
	v_add_u32_e32 v13, v13, v26
	ds_write_b32 v9, v13
	ds_write_b8 v9, v11 offset:4
.LBB1932_138:
	s_or_b64 exec, exec, s[26:27]
	v_cmp_lt_u32_e64 s[24:25], 63, v0
	s_waitcnt vmcnt(0)
	v_mov_b32_e32 v9, v32
	s_waitcnt lgkmcnt(0)
	s_barrier
	s_and_saveexec_b64 s[26:27], s[24:25]
	s_cbranch_execz .LBB1932_140
; %bb.139:
	v_lshl_add_u32 v1, v1, 3, -8
	ds_read_u8 v9, v1 offset:4
	ds_read_b32 v1, v1
	s_waitcnt lgkmcnt(1)
	v_cmp_eq_u16_e64 s[24:25], 0, v9
	v_cndmask_b32_e64 v9, 0, v32, s[24:25]
	s_waitcnt lgkmcnt(0)
	v_add_u32_e32 v9, v9, v1
.LBB1932_140:
	s_or_b64 exec, exec, s[26:27]
	v_mov_b32_e32 v28, 0
	v_cmp_eq_u16_sdwa s[24:25], v5, v28 src0_sel:BYTE_0 src1_sel:DWORD
	v_cndmask_b32_e64 v1, 0, v9, s[24:25]
	v_add_u32_e32 v1, v1, v7
	v_add_u32_e32 v5, -1, v3
	v_and_b32_e32 v7, 64, v3
	v_cmp_lt_i32_e64 s[24:25], v5, v7
	v_cndmask_b32_e64 v5, v5, v3, s[24:25]
	v_lshlrev_b32_e32 v5, 2, v5
	ds_bpermute_b32 v1, v5, v1
	v_cmp_eq_u32_e64 s[24:25], 0, v3
	v_and_b32_e32 v29, 0xff, v39
	v_cmp_eq_u64_e64 s[26:27], 0, v[28:29]
	s_waitcnt lgkmcnt(0)
	v_cndmask_b32_e64 v26, v1, v9, s[24:25]
	v_cmp_eq_u32_e64 s[24:25], 0, v0
	v_cndmask_b32_e64 v1, v26, v32, s[24:25]
	v_cndmask_b32_e64 v1, 0, v1, s[26:27]
	v_add_u32_e32 v27, v1, v38
	v_cndmask_b32_e32 v1, 0, v27, vcc
	v_add_u32_e32 v42, v1, v8
	v_cndmask_b32_e64 v1, 0, v42, s[2:3]
	v_add_u32_e32 v43, v1, v6
	v_cndmask_b32_e64 v1, 0, v43, s[4:5]
	;; [unrolled: 2-line block ×11, first 2 shown]
	s_and_saveexec_b64 s[2:3], s[24:25]
	s_cbranch_execz .LBB1932_142
; %bb.141:
	ds_read_u8 v3, v28 offset:28
	ds_read_b32 v2, v28 offset:24
	s_add_u32 s4, s44, 0x400
	s_addc_u32 s5, s45, 0
	v_mov_b32_e32 v5, v28
	s_waitcnt lgkmcnt(1)
	v_cmp_eq_u16_e32 vcc, 0, v3
	v_cndmask_b32_e32 v4, 0, v32, vcc
	s_waitcnt lgkmcnt(0)
	v_add_u32_e32 v2, v4, v2
	v_and_b32_e32 v3, 0xffff, v3
	v_mov_b32_e32 v4, 2
	v_pk_mov_b32 v[6:7], s[4:5], s[4:5] op_sel:[0,1]
	;;#ASMSTART
	global_store_dwordx4 v[6:7], v[2:5] off	
s_waitcnt vmcnt(0)
	;;#ASMEND
	v_mov_b32_e32 v26, v32
.LBB1932_142:
	s_or_b64 exec, exec, s[2:3]
	v_add_u32_e32 v49, v1, v24
.LBB1932_143:
	s_add_u32 s2, s42, s34
	s_addc_u32 s3, s43, s35
	s_add_u32 s26, s2, s36
	s_addc_u32 s27, s3, s37
	v_mul_u32_u24_e32 v18, 14, v0
	s_and_b64 vcc, exec, s[0:1]
	s_cbranch_vccz .LBB1932_195
; %bb.144:
	s_add_i32 s33, s33, s46
	v_cmp_gt_u32_e32 vcc, s33, v18
	v_mov_b32_e32 v1, 0
	v_mov_b32_e32 v5, 0
	;; [unrolled: 1-line block ×15, first 2 shown]
	s_and_saveexec_b64 s[2:3], vcc
	s_cbranch_execz .LBB1932_168
; %bb.145:
	v_or_b32_e32 v2, 1, v18
	v_cmp_gt_u32_e32 vcc, s33, v2
	v_mov_b32_e32 v3, 0
	v_mov_b32_e32 v2, 0
	;; [unrolled: 1-line block ×13, first 2 shown]
	s_and_saveexec_b64 s[4:5], vcc
	s_cbranch_execz .LBB1932_167
; %bb.146:
	v_add_u32_e32 v2, 2, v18
	v_cmp_gt_u32_e32 vcc, s33, v2
	v_mov_b32_e32 v3, 0
	v_mov_b32_e32 v2, 0
	;; [unrolled: 1-line block ×12, first 2 shown]
	s_and_saveexec_b64 s[6:7], vcc
	s_cbranch_execz .LBB1932_166
; %bb.147:
	v_add_u32_e32 v2, 3, v18
	v_cmp_gt_u32_e32 vcc, s33, v2
	v_mov_b32_e32 v3, 0
	v_mov_b32_e32 v2, 0
	;; [unrolled: 1-line block ×11, first 2 shown]
	s_and_saveexec_b64 s[8:9], vcc
	s_cbranch_execz .LBB1932_165
; %bb.148:
	v_add_u32_e32 v2, 4, v18
	v_cmp_gt_u32_e32 vcc, s33, v2
	v_mov_b32_e32 v3, 0
	v_mov_b32_e32 v2, 0
	;; [unrolled: 1-line block ×10, first 2 shown]
	s_and_saveexec_b64 s[10:11], vcc
	s_cbranch_execz .LBB1932_164
; %bb.149:
	v_add_u32_e32 v2, 5, v18
	v_cmp_gt_u32_e32 vcc, s33, v2
	v_mov_b32_e32 v3, 0
	v_mov_b32_e32 v2, 0
	;; [unrolled: 1-line block ×9, first 2 shown]
	s_and_saveexec_b64 s[12:13], vcc
	s_cbranch_execz .LBB1932_163
; %bb.150:
	v_add_u32_e32 v2, 6, v18
	v_cmp_gt_u32_e32 vcc, s33, v2
	v_mov_b32_e32 v3, 0
	v_mov_b32_e32 v2, 0
	;; [unrolled: 1-line block ×8, first 2 shown]
	s_and_saveexec_b64 s[14:15], vcc
	s_cbranch_execz .LBB1932_162
; %bb.151:
	v_add_u32_e32 v2, 7, v18
	v_cmp_gt_u32_e32 vcc, s33, v2
	v_mov_b32_e32 v3, 0
	v_mov_b32_e32 v2, 0
	;; [unrolled: 1-line block ×7, first 2 shown]
	s_and_saveexec_b64 s[16:17], vcc
	s_cbranch_execz .LBB1932_161
; %bb.152:
	v_add_u32_e32 v2, 8, v18
	v_cmp_gt_u32_e32 vcc, s33, v2
	v_mov_b32_e32 v3, 0
	v_mov_b32_e32 v2, 0
	;; [unrolled: 1-line block ×6, first 2 shown]
	s_and_saveexec_b64 s[18:19], vcc
	s_cbranch_execz .LBB1932_160
; %bb.153:
	v_add_u32_e32 v2, 9, v18
	v_cmp_gt_u32_e32 vcc, s33, v2
	v_mov_b32_e32 v3, 0
	v_mov_b32_e32 v2, 0
	;; [unrolled: 1-line block ×5, first 2 shown]
	s_and_saveexec_b64 s[20:21], vcc
	s_cbranch_execz .LBB1932_159
; %bb.154:
	v_add_u32_e32 v2, 10, v18
	v_cmp_gt_u32_e32 vcc, s33, v2
	v_mov_b32_e32 v3, 0
	v_mov_b32_e32 v2, 0
	;; [unrolled: 1-line block ×4, first 2 shown]
	s_and_saveexec_b64 s[22:23], vcc
	s_cbranch_execz .LBB1932_158
; %bb.155:
	v_add_u32_e32 v2, 11, v18
	v_cmp_gt_u32_e32 vcc, s33, v2
	v_mov_b32_e32 v3, 0
	v_mov_b32_e32 v4, 0
	;; [unrolled: 1-line block ×3, first 2 shown]
	s_and_saveexec_b64 s[24:25], vcc
; %bb.156:
	v_add_u32_e32 v2, 12, v18
	v_cmp_gt_u32_e32 vcc, s33, v2
	v_add_u32_e32 v2, 13, v18
	v_cmp_gt_u32_e64 s[0:1], s33, v2
	v_cndmask_b32_e32 v4, 0, v48, vcc
	s_and_b64 vcc, vcc, s[0:1]
	v_cndmask_b32_e32 v5, 0, v49, vcc
	v_mov_b32_e32 v3, v47
; %bb.157:
	s_or_b64 exec, exec, s[24:25]
	v_mov_b32_e32 v2, v46
.LBB1932_158:
	s_or_b64 exec, exec, s[22:23]
	v_mov_b32_e32 v7, v35
.LBB1932_159:
	s_or_b64 exec, exec, s[20:21]
	v_mov_b32_e32 v6, v34
.LBB1932_160:
	s_or_b64 exec, exec, s[18:19]
	v_mov_b32_e32 v9, v45
.LBB1932_161:
	s_or_b64 exec, exec, s[16:17]
	v_mov_b32_e32 v8, v44
.LBB1932_162:
	s_or_b64 exec, exec, s[14:15]
	v_mov_b32_e32 v11, v31
.LBB1932_163:
	s_or_b64 exec, exec, s[12:13]
	v_mov_b32_e32 v10, v30
.LBB1932_164:
	s_or_b64 exec, exec, s[10:11]
	v_mov_b32_e32 v13, v43
.LBB1932_165:
	s_or_b64 exec, exec, s[8:9]
	v_mov_b32_e32 v12, v42
.LBB1932_166:
	s_or_b64 exec, exec, s[6:7]
	v_mov_b32_e32 v15, v27
.LBB1932_167:
	s_or_b64 exec, exec, s[4:5]
	v_mov_b32_e32 v14, v26
.LBB1932_168:
	s_or_b64 exec, exec, s[2:3]
	v_lshlrev_b32_e32 v19, 2, v18
	s_movk_i32 s0, 0xffcc
	s_barrier
	ds_write2_b64 v19, v[14:15], v[12:13] offset1:1
	ds_write2_b64 v19, v[10:11], v[8:9] offset0:2 offset1:3
	ds_write2_b64 v19, v[6:7], v[2:3] offset0:4 offset1:5
	ds_write_b64 v19, v[4:5] offset:48
	v_mad_i32_i24 v2, v0, s0, v19
	s_waitcnt lgkmcnt(0)
	s_barrier
	ds_read2st64_b32 v[16:17], v2 offset0:4 offset1:8
	ds_read2st64_b32 v[14:15], v2 offset0:12 offset1:16
	;; [unrolled: 1-line block ×6, first 2 shown]
	ds_read_b32 v3, v2 offset:13312
	v_mov_b32_e32 v2, s27
	v_add_co_u32_e32 v6, vcc, s26, v50
	v_addc_co_u32_e32 v7, vcc, 0, v2, vcc
	v_cmp_gt_u32_e32 vcc, s33, v0
	s_and_saveexec_b64 s[0:1], vcc
	s_cbranch_execz .LBB1932_170
; %bb.169:
	v_mul_i32_i24_e32 v2, 0xffffffcc, v0
	v_add_u32_e32 v2, v19, v2
	ds_read_b32 v2, v2
	s_waitcnt lgkmcnt(0)
	flat_store_dword v[6:7], v2
.LBB1932_170:
	s_or_b64 exec, exec, s[0:1]
	v_or_b32_e32 v2, 0x100, v0
	v_cmp_gt_u32_e32 vcc, s33, v2
	s_and_saveexec_b64 s[0:1], vcc
	s_cbranch_execz .LBB1932_172
; %bb.171:
	s_waitcnt lgkmcnt(0)
	flat_store_dword v[6:7], v16 offset:1024
.LBB1932_172:
	s_or_b64 exec, exec, s[0:1]
	v_or_b32_e32 v2, 0x200, v0
	v_cmp_gt_u32_e32 vcc, s33, v2
	s_and_saveexec_b64 s[0:1], vcc
	s_cbranch_execz .LBB1932_174
; %bb.173:
	s_waitcnt lgkmcnt(0)
	flat_store_dword v[6:7], v17 offset:2048
.LBB1932_174:
	;; [unrolled: 9-line block ×3, first 2 shown]
	s_or_b64 exec, exec, s[0:1]
	v_or_b32_e32 v2, 0x400, v0
	v_cmp_gt_u32_e32 vcc, s33, v2
	s_and_saveexec_b64 s[0:1], vcc
	s_cbranch_execz .LBB1932_178
; %bb.177:
	s_waitcnt lgkmcnt(0)
	v_add_co_u32_e32 v16, vcc, 0x1000, v6
	v_addc_co_u32_e32 v17, vcc, 0, v7, vcc
	flat_store_dword v[16:17], v15
.LBB1932_178:
	s_or_b64 exec, exec, s[0:1]
	v_or_b32_e32 v2, 0x500, v0
	v_cmp_gt_u32_e32 vcc, s33, v2
	s_and_saveexec_b64 s[0:1], vcc
	s_cbranch_execz .LBB1932_180
; %bb.179:
	s_waitcnt lgkmcnt(0)
	v_add_co_u32_e32 v14, vcc, 0x1000, v6
	v_addc_co_u32_e32 v15, vcc, 0, v7, vcc
	flat_store_dword v[14:15], v12 offset:1024
.LBB1932_180:
	s_or_b64 exec, exec, s[0:1]
	v_or_b32_e32 v2, 0x600, v0
	v_cmp_gt_u32_e32 vcc, s33, v2
	s_and_saveexec_b64 s[0:1], vcc
	s_cbranch_execz .LBB1932_182
; %bb.181:
	s_waitcnt lgkmcnt(0)
	v_add_co_u32_e32 v14, vcc, 0x1000, v6
	v_addc_co_u32_e32 v15, vcc, 0, v7, vcc
	flat_store_dword v[14:15], v13 offset:2048
.LBB1932_182:
	;; [unrolled: 11-line block ×3, first 2 shown]
	s_or_b64 exec, exec, s[0:1]
	v_or_b32_e32 v2, 0x800, v0
	v_cmp_gt_u32_e32 vcc, s33, v2
	s_and_saveexec_b64 s[0:1], vcc
	s_cbranch_execz .LBB1932_186
; %bb.185:
	s_waitcnt lgkmcnt(0)
	v_add_co_u32_e32 v12, vcc, 0x2000, v6
	v_addc_co_u32_e32 v13, vcc, 0, v7, vcc
	flat_store_dword v[12:13], v11
.LBB1932_186:
	s_or_b64 exec, exec, s[0:1]
	v_or_b32_e32 v2, 0x900, v0
	v_cmp_gt_u32_e32 vcc, s33, v2
	s_and_saveexec_b64 s[0:1], vcc
	s_cbranch_execz .LBB1932_188
; %bb.187:
	s_waitcnt lgkmcnt(0)
	v_add_co_u32_e32 v10, vcc, 0x2000, v6
	v_addc_co_u32_e32 v11, vcc, 0, v7, vcc
	flat_store_dword v[10:11], v8 offset:1024
.LBB1932_188:
	s_or_b64 exec, exec, s[0:1]
	v_or_b32_e32 v2, 0xa00, v0
	v_cmp_gt_u32_e32 vcc, s33, v2
	s_and_saveexec_b64 s[0:1], vcc
	s_cbranch_execz .LBB1932_190
; %bb.189:
	s_waitcnt lgkmcnt(0)
	v_add_co_u32_e32 v10, vcc, 0x2000, v6
	v_addc_co_u32_e32 v11, vcc, 0, v7, vcc
	flat_store_dword v[10:11], v9 offset:2048
.LBB1932_190:
	;; [unrolled: 11-line block ×3, first 2 shown]
	s_or_b64 exec, exec, s[0:1]
	v_or_b32_e32 v2, 0xc00, v0
	v_cmp_gt_u32_e32 vcc, s33, v2
	s_and_saveexec_b64 s[0:1], vcc
	s_cbranch_execz .LBB1932_194
; %bb.193:
	v_add_co_u32_e32 v6, vcc, 0x3000, v6
	v_addc_co_u32_e32 v7, vcc, 0, v7, vcc
	s_waitcnt lgkmcnt(0)
	flat_store_dword v[6:7], v5
.LBB1932_194:
	s_or_b64 exec, exec, s[0:1]
	v_or_b32_e32 v2, 0xd00, v0
	v_cmp_gt_u32_e64 s[0:1], s33, v2
	s_branch .LBB1932_197
.LBB1932_195:
	s_mov_b64 s[0:1], 0
                                        ; implicit-def: $vgpr3
	s_cbranch_execz .LBB1932_197
; %bb.196:
	v_lshlrev_b32_e32 v2, 2, v18
	s_movk_i32 s2, 0xffcc
	s_waitcnt lgkmcnt(0)
	s_barrier
	ds_write2_b64 v2, v[26:27], v[42:43] offset1:1
	ds_write2_b64 v2, v[30:31], v[44:45] offset0:2 offset1:3
	ds_write2_b64 v2, v[34:35], v[46:47] offset0:4 offset1:5
	ds_write_b64 v2, v[48:49] offset:48
	v_mad_i32_i24 v2, v0, s2, v2
	v_mov_b32_e32 v17, s27
	v_add_co_u32_e32 v16, vcc, s26, v50
	s_waitcnt lgkmcnt(0)
	s_barrier
	ds_read2st64_b32 v[4:5], v2 offset1:4
	ds_read2st64_b32 v[6:7], v2 offset0:8 offset1:12
	ds_read2st64_b32 v[8:9], v2 offset0:16 offset1:20
	;; [unrolled: 1-line block ×6, first 2 shown]
	v_addc_co_u32_e32 v17, vcc, 0, v17, vcc
	s_movk_i32 s2, 0x1000
	s_waitcnt lgkmcnt(0)
	flat_store_dword v[16:17], v4
	flat_store_dword v[16:17], v5 offset:1024
	flat_store_dword v[16:17], v6 offset:2048
	;; [unrolled: 1-line block ×3, first 2 shown]
	v_add_co_u32_e32 v4, vcc, s2, v16
	v_addc_co_u32_e32 v5, vcc, 0, v17, vcc
	flat_store_dword v[4:5], v8
	flat_store_dword v[4:5], v9 offset:1024
	flat_store_dword v[4:5], v10 offset:2048
	;; [unrolled: 1-line block ×3, first 2 shown]
	v_add_co_u32_e32 v4, vcc, 0x2000, v16
	v_addc_co_u32_e32 v5, vcc, 0, v17, vcc
	flat_store_dword v[4:5], v12
	flat_store_dword v[4:5], v13 offset:1024
	flat_store_dword v[4:5], v14 offset:2048
	;; [unrolled: 1-line block ×3, first 2 shown]
	v_add_co_u32_e32 v4, vcc, 0x3000, v16
	v_mov_b32_e32 v1, 0
	v_addc_co_u32_e32 v5, vcc, 0, v17, vcc
	s_or_b64 s[0:1], s[0:1], exec
	flat_store_dword v[4:5], v2
.LBB1932_197:
	s_and_saveexec_b64 s[2:3], s[0:1]
	s_cbranch_execnz .LBB1932_199
; %bb.198:
	s_endpgm
.LBB1932_199:
	v_lshlrev_b64 v[0:1], 2, v[0:1]
	v_mov_b32_e32 v2, s27
	v_add_co_u32_e32 v0, vcc, s26, v0
	v_addc_co_u32_e32 v1, vcc, v2, v1, vcc
	v_add_co_u32_e32 v0, vcc, 0x3000, v0
	v_addc_co_u32_e32 v1, vcc, 0, v1, vcc
	s_waitcnt lgkmcnt(0)
	flat_store_dword v[0:1], v3 offset:1024
	s_endpgm
	.section	.rodata,"a",@progbits
	.p2align	6, 0x0
	.amdhsa_kernel _ZN7rocprim17ROCPRIM_400000_NS6detail17trampoline_kernelINS0_14default_configENS1_27scan_by_key_config_selectorIj11FixedVectorIiLj1EEEEZZNS1_16scan_by_key_implILNS1_25lookback_scan_determinismE0ELb1ES3_N6thrust23THRUST_200600_302600_NS6detail15normal_iteratorINSB_10device_ptrIjEEEENSD_INSE_IS6_EEEESI_S6_NSB_4plusIvEENSB_8equal_toIvEES6_EE10hipError_tPvRmT2_T3_T4_T5_mT6_T7_P12ihipStream_tbENKUlT_T0_E_clISt17integral_constantIbLb1EES12_IbLb0EEEEDaSY_SZ_EUlSY_E_NS1_11comp_targetILNS1_3genE4ELNS1_11target_archE910ELNS1_3gpuE8ELNS1_3repE0EEENS1_30default_config_static_selectorELNS0_4arch9wavefront6targetE1EEEvT1_
		.amdhsa_group_segment_fixed_size 16384
		.amdhsa_private_segment_fixed_size 0
		.amdhsa_kernarg_size 112
		.amdhsa_user_sgpr_count 6
		.amdhsa_user_sgpr_private_segment_buffer 1
		.amdhsa_user_sgpr_dispatch_ptr 0
		.amdhsa_user_sgpr_queue_ptr 0
		.amdhsa_user_sgpr_kernarg_segment_ptr 1
		.amdhsa_user_sgpr_dispatch_id 0
		.amdhsa_user_sgpr_flat_scratch_init 0
		.amdhsa_user_sgpr_kernarg_preload_length 0
		.amdhsa_user_sgpr_kernarg_preload_offset 0
		.amdhsa_user_sgpr_private_segment_size 0
		.amdhsa_uses_dynamic_stack 0
		.amdhsa_system_sgpr_private_segment_wavefront_offset 0
		.amdhsa_system_sgpr_workgroup_id_x 1
		.amdhsa_system_sgpr_workgroup_id_y 0
		.amdhsa_system_sgpr_workgroup_id_z 0
		.amdhsa_system_sgpr_workgroup_info 0
		.amdhsa_system_vgpr_workitem_id 0
		.amdhsa_next_free_vgpr 65
		.amdhsa_next_free_sgpr 60
		.amdhsa_accum_offset 68
		.amdhsa_reserve_vcc 1
		.amdhsa_reserve_flat_scratch 0
		.amdhsa_float_round_mode_32 0
		.amdhsa_float_round_mode_16_64 0
		.amdhsa_float_denorm_mode_32 3
		.amdhsa_float_denorm_mode_16_64 3
		.amdhsa_dx10_clamp 1
		.amdhsa_ieee_mode 1
		.amdhsa_fp16_overflow 0
		.amdhsa_tg_split 0
		.amdhsa_exception_fp_ieee_invalid_op 0
		.amdhsa_exception_fp_denorm_src 0
		.amdhsa_exception_fp_ieee_div_zero 0
		.amdhsa_exception_fp_ieee_overflow 0
		.amdhsa_exception_fp_ieee_underflow 0
		.amdhsa_exception_fp_ieee_inexact 0
		.amdhsa_exception_int_div_zero 0
	.end_amdhsa_kernel
	.section	.text._ZN7rocprim17ROCPRIM_400000_NS6detail17trampoline_kernelINS0_14default_configENS1_27scan_by_key_config_selectorIj11FixedVectorIiLj1EEEEZZNS1_16scan_by_key_implILNS1_25lookback_scan_determinismE0ELb1ES3_N6thrust23THRUST_200600_302600_NS6detail15normal_iteratorINSB_10device_ptrIjEEEENSD_INSE_IS6_EEEESI_S6_NSB_4plusIvEENSB_8equal_toIvEES6_EE10hipError_tPvRmT2_T3_T4_T5_mT6_T7_P12ihipStream_tbENKUlT_T0_E_clISt17integral_constantIbLb1EES12_IbLb0EEEEDaSY_SZ_EUlSY_E_NS1_11comp_targetILNS1_3genE4ELNS1_11target_archE910ELNS1_3gpuE8ELNS1_3repE0EEENS1_30default_config_static_selectorELNS0_4arch9wavefront6targetE1EEEvT1_,"axG",@progbits,_ZN7rocprim17ROCPRIM_400000_NS6detail17trampoline_kernelINS0_14default_configENS1_27scan_by_key_config_selectorIj11FixedVectorIiLj1EEEEZZNS1_16scan_by_key_implILNS1_25lookback_scan_determinismE0ELb1ES3_N6thrust23THRUST_200600_302600_NS6detail15normal_iteratorINSB_10device_ptrIjEEEENSD_INSE_IS6_EEEESI_S6_NSB_4plusIvEENSB_8equal_toIvEES6_EE10hipError_tPvRmT2_T3_T4_T5_mT6_T7_P12ihipStream_tbENKUlT_T0_E_clISt17integral_constantIbLb1EES12_IbLb0EEEEDaSY_SZ_EUlSY_E_NS1_11comp_targetILNS1_3genE4ELNS1_11target_archE910ELNS1_3gpuE8ELNS1_3repE0EEENS1_30default_config_static_selectorELNS0_4arch9wavefront6targetE1EEEvT1_,comdat
.Lfunc_end1932:
	.size	_ZN7rocprim17ROCPRIM_400000_NS6detail17trampoline_kernelINS0_14default_configENS1_27scan_by_key_config_selectorIj11FixedVectorIiLj1EEEEZZNS1_16scan_by_key_implILNS1_25lookback_scan_determinismE0ELb1ES3_N6thrust23THRUST_200600_302600_NS6detail15normal_iteratorINSB_10device_ptrIjEEEENSD_INSE_IS6_EEEESI_S6_NSB_4plusIvEENSB_8equal_toIvEES6_EE10hipError_tPvRmT2_T3_T4_T5_mT6_T7_P12ihipStream_tbENKUlT_T0_E_clISt17integral_constantIbLb1EES12_IbLb0EEEEDaSY_SZ_EUlSY_E_NS1_11comp_targetILNS1_3genE4ELNS1_11target_archE910ELNS1_3gpuE8ELNS1_3repE0EEENS1_30default_config_static_selectorELNS0_4arch9wavefront6targetE1EEEvT1_, .Lfunc_end1932-_ZN7rocprim17ROCPRIM_400000_NS6detail17trampoline_kernelINS0_14default_configENS1_27scan_by_key_config_selectorIj11FixedVectorIiLj1EEEEZZNS1_16scan_by_key_implILNS1_25lookback_scan_determinismE0ELb1ES3_N6thrust23THRUST_200600_302600_NS6detail15normal_iteratorINSB_10device_ptrIjEEEENSD_INSE_IS6_EEEESI_S6_NSB_4plusIvEENSB_8equal_toIvEES6_EE10hipError_tPvRmT2_T3_T4_T5_mT6_T7_P12ihipStream_tbENKUlT_T0_E_clISt17integral_constantIbLb1EES12_IbLb0EEEEDaSY_SZ_EUlSY_E_NS1_11comp_targetILNS1_3genE4ELNS1_11target_archE910ELNS1_3gpuE8ELNS1_3repE0EEENS1_30default_config_static_selectorELNS0_4arch9wavefront6targetE1EEEvT1_
                                        ; -- End function
	.section	.AMDGPU.csdata,"",@progbits
; Kernel info:
; codeLenInByte = 11976
; NumSgprs: 64
; NumVgprs: 65
; NumAgprs: 0
; TotalNumVgprs: 65
; ScratchSize: 0
; MemoryBound: 0
; FloatMode: 240
; IeeeMode: 1
; LDSByteSize: 16384 bytes/workgroup (compile time only)
; SGPRBlocks: 7
; VGPRBlocks: 8
; NumSGPRsForWavesPerEU: 64
; NumVGPRsForWavesPerEU: 65
; AccumOffset: 68
; Occupancy: 4
; WaveLimiterHint : 1
; COMPUTE_PGM_RSRC2:SCRATCH_EN: 0
; COMPUTE_PGM_RSRC2:USER_SGPR: 6
; COMPUTE_PGM_RSRC2:TRAP_HANDLER: 0
; COMPUTE_PGM_RSRC2:TGID_X_EN: 1
; COMPUTE_PGM_RSRC2:TGID_Y_EN: 0
; COMPUTE_PGM_RSRC2:TGID_Z_EN: 0
; COMPUTE_PGM_RSRC2:TIDIG_COMP_CNT: 0
; COMPUTE_PGM_RSRC3_GFX90A:ACCUM_OFFSET: 16
; COMPUTE_PGM_RSRC3_GFX90A:TG_SPLIT: 0
	.section	.text._ZN7rocprim17ROCPRIM_400000_NS6detail17trampoline_kernelINS0_14default_configENS1_27scan_by_key_config_selectorIj11FixedVectorIiLj1EEEEZZNS1_16scan_by_key_implILNS1_25lookback_scan_determinismE0ELb1ES3_N6thrust23THRUST_200600_302600_NS6detail15normal_iteratorINSB_10device_ptrIjEEEENSD_INSE_IS6_EEEESI_S6_NSB_4plusIvEENSB_8equal_toIvEES6_EE10hipError_tPvRmT2_T3_T4_T5_mT6_T7_P12ihipStream_tbENKUlT_T0_E_clISt17integral_constantIbLb1EES12_IbLb0EEEEDaSY_SZ_EUlSY_E_NS1_11comp_targetILNS1_3genE3ELNS1_11target_archE908ELNS1_3gpuE7ELNS1_3repE0EEENS1_30default_config_static_selectorELNS0_4arch9wavefront6targetE1EEEvT1_,"axG",@progbits,_ZN7rocprim17ROCPRIM_400000_NS6detail17trampoline_kernelINS0_14default_configENS1_27scan_by_key_config_selectorIj11FixedVectorIiLj1EEEEZZNS1_16scan_by_key_implILNS1_25lookback_scan_determinismE0ELb1ES3_N6thrust23THRUST_200600_302600_NS6detail15normal_iteratorINSB_10device_ptrIjEEEENSD_INSE_IS6_EEEESI_S6_NSB_4plusIvEENSB_8equal_toIvEES6_EE10hipError_tPvRmT2_T3_T4_T5_mT6_T7_P12ihipStream_tbENKUlT_T0_E_clISt17integral_constantIbLb1EES12_IbLb0EEEEDaSY_SZ_EUlSY_E_NS1_11comp_targetILNS1_3genE3ELNS1_11target_archE908ELNS1_3gpuE7ELNS1_3repE0EEENS1_30default_config_static_selectorELNS0_4arch9wavefront6targetE1EEEvT1_,comdat
	.protected	_ZN7rocprim17ROCPRIM_400000_NS6detail17trampoline_kernelINS0_14default_configENS1_27scan_by_key_config_selectorIj11FixedVectorIiLj1EEEEZZNS1_16scan_by_key_implILNS1_25lookback_scan_determinismE0ELb1ES3_N6thrust23THRUST_200600_302600_NS6detail15normal_iteratorINSB_10device_ptrIjEEEENSD_INSE_IS6_EEEESI_S6_NSB_4plusIvEENSB_8equal_toIvEES6_EE10hipError_tPvRmT2_T3_T4_T5_mT6_T7_P12ihipStream_tbENKUlT_T0_E_clISt17integral_constantIbLb1EES12_IbLb0EEEEDaSY_SZ_EUlSY_E_NS1_11comp_targetILNS1_3genE3ELNS1_11target_archE908ELNS1_3gpuE7ELNS1_3repE0EEENS1_30default_config_static_selectorELNS0_4arch9wavefront6targetE1EEEvT1_ ; -- Begin function _ZN7rocprim17ROCPRIM_400000_NS6detail17trampoline_kernelINS0_14default_configENS1_27scan_by_key_config_selectorIj11FixedVectorIiLj1EEEEZZNS1_16scan_by_key_implILNS1_25lookback_scan_determinismE0ELb1ES3_N6thrust23THRUST_200600_302600_NS6detail15normal_iteratorINSB_10device_ptrIjEEEENSD_INSE_IS6_EEEESI_S6_NSB_4plusIvEENSB_8equal_toIvEES6_EE10hipError_tPvRmT2_T3_T4_T5_mT6_T7_P12ihipStream_tbENKUlT_T0_E_clISt17integral_constantIbLb1EES12_IbLb0EEEEDaSY_SZ_EUlSY_E_NS1_11comp_targetILNS1_3genE3ELNS1_11target_archE908ELNS1_3gpuE7ELNS1_3repE0EEENS1_30default_config_static_selectorELNS0_4arch9wavefront6targetE1EEEvT1_
	.globl	_ZN7rocprim17ROCPRIM_400000_NS6detail17trampoline_kernelINS0_14default_configENS1_27scan_by_key_config_selectorIj11FixedVectorIiLj1EEEEZZNS1_16scan_by_key_implILNS1_25lookback_scan_determinismE0ELb1ES3_N6thrust23THRUST_200600_302600_NS6detail15normal_iteratorINSB_10device_ptrIjEEEENSD_INSE_IS6_EEEESI_S6_NSB_4plusIvEENSB_8equal_toIvEES6_EE10hipError_tPvRmT2_T3_T4_T5_mT6_T7_P12ihipStream_tbENKUlT_T0_E_clISt17integral_constantIbLb1EES12_IbLb0EEEEDaSY_SZ_EUlSY_E_NS1_11comp_targetILNS1_3genE3ELNS1_11target_archE908ELNS1_3gpuE7ELNS1_3repE0EEENS1_30default_config_static_selectorELNS0_4arch9wavefront6targetE1EEEvT1_
	.p2align	8
	.type	_ZN7rocprim17ROCPRIM_400000_NS6detail17trampoline_kernelINS0_14default_configENS1_27scan_by_key_config_selectorIj11FixedVectorIiLj1EEEEZZNS1_16scan_by_key_implILNS1_25lookback_scan_determinismE0ELb1ES3_N6thrust23THRUST_200600_302600_NS6detail15normal_iteratorINSB_10device_ptrIjEEEENSD_INSE_IS6_EEEESI_S6_NSB_4plusIvEENSB_8equal_toIvEES6_EE10hipError_tPvRmT2_T3_T4_T5_mT6_T7_P12ihipStream_tbENKUlT_T0_E_clISt17integral_constantIbLb1EES12_IbLb0EEEEDaSY_SZ_EUlSY_E_NS1_11comp_targetILNS1_3genE3ELNS1_11target_archE908ELNS1_3gpuE7ELNS1_3repE0EEENS1_30default_config_static_selectorELNS0_4arch9wavefront6targetE1EEEvT1_,@function
_ZN7rocprim17ROCPRIM_400000_NS6detail17trampoline_kernelINS0_14default_configENS1_27scan_by_key_config_selectorIj11FixedVectorIiLj1EEEEZZNS1_16scan_by_key_implILNS1_25lookback_scan_determinismE0ELb1ES3_N6thrust23THRUST_200600_302600_NS6detail15normal_iteratorINSB_10device_ptrIjEEEENSD_INSE_IS6_EEEESI_S6_NSB_4plusIvEENSB_8equal_toIvEES6_EE10hipError_tPvRmT2_T3_T4_T5_mT6_T7_P12ihipStream_tbENKUlT_T0_E_clISt17integral_constantIbLb1EES12_IbLb0EEEEDaSY_SZ_EUlSY_E_NS1_11comp_targetILNS1_3genE3ELNS1_11target_archE908ELNS1_3gpuE7ELNS1_3repE0EEENS1_30default_config_static_selectorELNS0_4arch9wavefront6targetE1EEEvT1_: ; @_ZN7rocprim17ROCPRIM_400000_NS6detail17trampoline_kernelINS0_14default_configENS1_27scan_by_key_config_selectorIj11FixedVectorIiLj1EEEEZZNS1_16scan_by_key_implILNS1_25lookback_scan_determinismE0ELb1ES3_N6thrust23THRUST_200600_302600_NS6detail15normal_iteratorINSB_10device_ptrIjEEEENSD_INSE_IS6_EEEESI_S6_NSB_4plusIvEENSB_8equal_toIvEES6_EE10hipError_tPvRmT2_T3_T4_T5_mT6_T7_P12ihipStream_tbENKUlT_T0_E_clISt17integral_constantIbLb1EES12_IbLb0EEEEDaSY_SZ_EUlSY_E_NS1_11comp_targetILNS1_3genE3ELNS1_11target_archE908ELNS1_3gpuE7ELNS1_3repE0EEENS1_30default_config_static_selectorELNS0_4arch9wavefront6targetE1EEEvT1_
; %bb.0:
	.section	.rodata,"a",@progbits
	.p2align	6, 0x0
	.amdhsa_kernel _ZN7rocprim17ROCPRIM_400000_NS6detail17trampoline_kernelINS0_14default_configENS1_27scan_by_key_config_selectorIj11FixedVectorIiLj1EEEEZZNS1_16scan_by_key_implILNS1_25lookback_scan_determinismE0ELb1ES3_N6thrust23THRUST_200600_302600_NS6detail15normal_iteratorINSB_10device_ptrIjEEEENSD_INSE_IS6_EEEESI_S6_NSB_4plusIvEENSB_8equal_toIvEES6_EE10hipError_tPvRmT2_T3_T4_T5_mT6_T7_P12ihipStream_tbENKUlT_T0_E_clISt17integral_constantIbLb1EES12_IbLb0EEEEDaSY_SZ_EUlSY_E_NS1_11comp_targetILNS1_3genE3ELNS1_11target_archE908ELNS1_3gpuE7ELNS1_3repE0EEENS1_30default_config_static_selectorELNS0_4arch9wavefront6targetE1EEEvT1_
		.amdhsa_group_segment_fixed_size 0
		.amdhsa_private_segment_fixed_size 0
		.amdhsa_kernarg_size 112
		.amdhsa_user_sgpr_count 6
		.amdhsa_user_sgpr_private_segment_buffer 1
		.amdhsa_user_sgpr_dispatch_ptr 0
		.amdhsa_user_sgpr_queue_ptr 0
		.amdhsa_user_sgpr_kernarg_segment_ptr 1
		.amdhsa_user_sgpr_dispatch_id 0
		.amdhsa_user_sgpr_flat_scratch_init 0
		.amdhsa_user_sgpr_kernarg_preload_length 0
		.amdhsa_user_sgpr_kernarg_preload_offset 0
		.amdhsa_user_sgpr_private_segment_size 0
		.amdhsa_uses_dynamic_stack 0
		.amdhsa_system_sgpr_private_segment_wavefront_offset 0
		.amdhsa_system_sgpr_workgroup_id_x 1
		.amdhsa_system_sgpr_workgroup_id_y 0
		.amdhsa_system_sgpr_workgroup_id_z 0
		.amdhsa_system_sgpr_workgroup_info 0
		.amdhsa_system_vgpr_workitem_id 0
		.amdhsa_next_free_vgpr 1
		.amdhsa_next_free_sgpr 0
		.amdhsa_accum_offset 4
		.amdhsa_reserve_vcc 0
		.amdhsa_reserve_flat_scratch 0
		.amdhsa_float_round_mode_32 0
		.amdhsa_float_round_mode_16_64 0
		.amdhsa_float_denorm_mode_32 3
		.amdhsa_float_denorm_mode_16_64 3
		.amdhsa_dx10_clamp 1
		.amdhsa_ieee_mode 1
		.amdhsa_fp16_overflow 0
		.amdhsa_tg_split 0
		.amdhsa_exception_fp_ieee_invalid_op 0
		.amdhsa_exception_fp_denorm_src 0
		.amdhsa_exception_fp_ieee_div_zero 0
		.amdhsa_exception_fp_ieee_overflow 0
		.amdhsa_exception_fp_ieee_underflow 0
		.amdhsa_exception_fp_ieee_inexact 0
		.amdhsa_exception_int_div_zero 0
	.end_amdhsa_kernel
	.section	.text._ZN7rocprim17ROCPRIM_400000_NS6detail17trampoline_kernelINS0_14default_configENS1_27scan_by_key_config_selectorIj11FixedVectorIiLj1EEEEZZNS1_16scan_by_key_implILNS1_25lookback_scan_determinismE0ELb1ES3_N6thrust23THRUST_200600_302600_NS6detail15normal_iteratorINSB_10device_ptrIjEEEENSD_INSE_IS6_EEEESI_S6_NSB_4plusIvEENSB_8equal_toIvEES6_EE10hipError_tPvRmT2_T3_T4_T5_mT6_T7_P12ihipStream_tbENKUlT_T0_E_clISt17integral_constantIbLb1EES12_IbLb0EEEEDaSY_SZ_EUlSY_E_NS1_11comp_targetILNS1_3genE3ELNS1_11target_archE908ELNS1_3gpuE7ELNS1_3repE0EEENS1_30default_config_static_selectorELNS0_4arch9wavefront6targetE1EEEvT1_,"axG",@progbits,_ZN7rocprim17ROCPRIM_400000_NS6detail17trampoline_kernelINS0_14default_configENS1_27scan_by_key_config_selectorIj11FixedVectorIiLj1EEEEZZNS1_16scan_by_key_implILNS1_25lookback_scan_determinismE0ELb1ES3_N6thrust23THRUST_200600_302600_NS6detail15normal_iteratorINSB_10device_ptrIjEEEENSD_INSE_IS6_EEEESI_S6_NSB_4plusIvEENSB_8equal_toIvEES6_EE10hipError_tPvRmT2_T3_T4_T5_mT6_T7_P12ihipStream_tbENKUlT_T0_E_clISt17integral_constantIbLb1EES12_IbLb0EEEEDaSY_SZ_EUlSY_E_NS1_11comp_targetILNS1_3genE3ELNS1_11target_archE908ELNS1_3gpuE7ELNS1_3repE0EEENS1_30default_config_static_selectorELNS0_4arch9wavefront6targetE1EEEvT1_,comdat
.Lfunc_end1933:
	.size	_ZN7rocprim17ROCPRIM_400000_NS6detail17trampoline_kernelINS0_14default_configENS1_27scan_by_key_config_selectorIj11FixedVectorIiLj1EEEEZZNS1_16scan_by_key_implILNS1_25lookback_scan_determinismE0ELb1ES3_N6thrust23THRUST_200600_302600_NS6detail15normal_iteratorINSB_10device_ptrIjEEEENSD_INSE_IS6_EEEESI_S6_NSB_4plusIvEENSB_8equal_toIvEES6_EE10hipError_tPvRmT2_T3_T4_T5_mT6_T7_P12ihipStream_tbENKUlT_T0_E_clISt17integral_constantIbLb1EES12_IbLb0EEEEDaSY_SZ_EUlSY_E_NS1_11comp_targetILNS1_3genE3ELNS1_11target_archE908ELNS1_3gpuE7ELNS1_3repE0EEENS1_30default_config_static_selectorELNS0_4arch9wavefront6targetE1EEEvT1_, .Lfunc_end1933-_ZN7rocprim17ROCPRIM_400000_NS6detail17trampoline_kernelINS0_14default_configENS1_27scan_by_key_config_selectorIj11FixedVectorIiLj1EEEEZZNS1_16scan_by_key_implILNS1_25lookback_scan_determinismE0ELb1ES3_N6thrust23THRUST_200600_302600_NS6detail15normal_iteratorINSB_10device_ptrIjEEEENSD_INSE_IS6_EEEESI_S6_NSB_4plusIvEENSB_8equal_toIvEES6_EE10hipError_tPvRmT2_T3_T4_T5_mT6_T7_P12ihipStream_tbENKUlT_T0_E_clISt17integral_constantIbLb1EES12_IbLb0EEEEDaSY_SZ_EUlSY_E_NS1_11comp_targetILNS1_3genE3ELNS1_11target_archE908ELNS1_3gpuE7ELNS1_3repE0EEENS1_30default_config_static_selectorELNS0_4arch9wavefront6targetE1EEEvT1_
                                        ; -- End function
	.section	.AMDGPU.csdata,"",@progbits
; Kernel info:
; codeLenInByte = 0
; NumSgprs: 4
; NumVgprs: 0
; NumAgprs: 0
; TotalNumVgprs: 0
; ScratchSize: 0
; MemoryBound: 0
; FloatMode: 240
; IeeeMode: 1
; LDSByteSize: 0 bytes/workgroup (compile time only)
; SGPRBlocks: 0
; VGPRBlocks: 0
; NumSGPRsForWavesPerEU: 4
; NumVGPRsForWavesPerEU: 1
; AccumOffset: 4
; Occupancy: 8
; WaveLimiterHint : 0
; COMPUTE_PGM_RSRC2:SCRATCH_EN: 0
; COMPUTE_PGM_RSRC2:USER_SGPR: 6
; COMPUTE_PGM_RSRC2:TRAP_HANDLER: 0
; COMPUTE_PGM_RSRC2:TGID_X_EN: 1
; COMPUTE_PGM_RSRC2:TGID_Y_EN: 0
; COMPUTE_PGM_RSRC2:TGID_Z_EN: 0
; COMPUTE_PGM_RSRC2:TIDIG_COMP_CNT: 0
; COMPUTE_PGM_RSRC3_GFX90A:ACCUM_OFFSET: 0
; COMPUTE_PGM_RSRC3_GFX90A:TG_SPLIT: 0
	.section	.text._ZN7rocprim17ROCPRIM_400000_NS6detail17trampoline_kernelINS0_14default_configENS1_27scan_by_key_config_selectorIj11FixedVectorIiLj1EEEEZZNS1_16scan_by_key_implILNS1_25lookback_scan_determinismE0ELb1ES3_N6thrust23THRUST_200600_302600_NS6detail15normal_iteratorINSB_10device_ptrIjEEEENSD_INSE_IS6_EEEESI_S6_NSB_4plusIvEENSB_8equal_toIvEES6_EE10hipError_tPvRmT2_T3_T4_T5_mT6_T7_P12ihipStream_tbENKUlT_T0_E_clISt17integral_constantIbLb1EES12_IbLb0EEEEDaSY_SZ_EUlSY_E_NS1_11comp_targetILNS1_3genE2ELNS1_11target_archE906ELNS1_3gpuE6ELNS1_3repE0EEENS1_30default_config_static_selectorELNS0_4arch9wavefront6targetE1EEEvT1_,"axG",@progbits,_ZN7rocprim17ROCPRIM_400000_NS6detail17trampoline_kernelINS0_14default_configENS1_27scan_by_key_config_selectorIj11FixedVectorIiLj1EEEEZZNS1_16scan_by_key_implILNS1_25lookback_scan_determinismE0ELb1ES3_N6thrust23THRUST_200600_302600_NS6detail15normal_iteratorINSB_10device_ptrIjEEEENSD_INSE_IS6_EEEESI_S6_NSB_4plusIvEENSB_8equal_toIvEES6_EE10hipError_tPvRmT2_T3_T4_T5_mT6_T7_P12ihipStream_tbENKUlT_T0_E_clISt17integral_constantIbLb1EES12_IbLb0EEEEDaSY_SZ_EUlSY_E_NS1_11comp_targetILNS1_3genE2ELNS1_11target_archE906ELNS1_3gpuE6ELNS1_3repE0EEENS1_30default_config_static_selectorELNS0_4arch9wavefront6targetE1EEEvT1_,comdat
	.protected	_ZN7rocprim17ROCPRIM_400000_NS6detail17trampoline_kernelINS0_14default_configENS1_27scan_by_key_config_selectorIj11FixedVectorIiLj1EEEEZZNS1_16scan_by_key_implILNS1_25lookback_scan_determinismE0ELb1ES3_N6thrust23THRUST_200600_302600_NS6detail15normal_iteratorINSB_10device_ptrIjEEEENSD_INSE_IS6_EEEESI_S6_NSB_4plusIvEENSB_8equal_toIvEES6_EE10hipError_tPvRmT2_T3_T4_T5_mT6_T7_P12ihipStream_tbENKUlT_T0_E_clISt17integral_constantIbLb1EES12_IbLb0EEEEDaSY_SZ_EUlSY_E_NS1_11comp_targetILNS1_3genE2ELNS1_11target_archE906ELNS1_3gpuE6ELNS1_3repE0EEENS1_30default_config_static_selectorELNS0_4arch9wavefront6targetE1EEEvT1_ ; -- Begin function _ZN7rocprim17ROCPRIM_400000_NS6detail17trampoline_kernelINS0_14default_configENS1_27scan_by_key_config_selectorIj11FixedVectorIiLj1EEEEZZNS1_16scan_by_key_implILNS1_25lookback_scan_determinismE0ELb1ES3_N6thrust23THRUST_200600_302600_NS6detail15normal_iteratorINSB_10device_ptrIjEEEENSD_INSE_IS6_EEEESI_S6_NSB_4plusIvEENSB_8equal_toIvEES6_EE10hipError_tPvRmT2_T3_T4_T5_mT6_T7_P12ihipStream_tbENKUlT_T0_E_clISt17integral_constantIbLb1EES12_IbLb0EEEEDaSY_SZ_EUlSY_E_NS1_11comp_targetILNS1_3genE2ELNS1_11target_archE906ELNS1_3gpuE6ELNS1_3repE0EEENS1_30default_config_static_selectorELNS0_4arch9wavefront6targetE1EEEvT1_
	.globl	_ZN7rocprim17ROCPRIM_400000_NS6detail17trampoline_kernelINS0_14default_configENS1_27scan_by_key_config_selectorIj11FixedVectorIiLj1EEEEZZNS1_16scan_by_key_implILNS1_25lookback_scan_determinismE0ELb1ES3_N6thrust23THRUST_200600_302600_NS6detail15normal_iteratorINSB_10device_ptrIjEEEENSD_INSE_IS6_EEEESI_S6_NSB_4plusIvEENSB_8equal_toIvEES6_EE10hipError_tPvRmT2_T3_T4_T5_mT6_T7_P12ihipStream_tbENKUlT_T0_E_clISt17integral_constantIbLb1EES12_IbLb0EEEEDaSY_SZ_EUlSY_E_NS1_11comp_targetILNS1_3genE2ELNS1_11target_archE906ELNS1_3gpuE6ELNS1_3repE0EEENS1_30default_config_static_selectorELNS0_4arch9wavefront6targetE1EEEvT1_
	.p2align	8
	.type	_ZN7rocprim17ROCPRIM_400000_NS6detail17trampoline_kernelINS0_14default_configENS1_27scan_by_key_config_selectorIj11FixedVectorIiLj1EEEEZZNS1_16scan_by_key_implILNS1_25lookback_scan_determinismE0ELb1ES3_N6thrust23THRUST_200600_302600_NS6detail15normal_iteratorINSB_10device_ptrIjEEEENSD_INSE_IS6_EEEESI_S6_NSB_4plusIvEENSB_8equal_toIvEES6_EE10hipError_tPvRmT2_T3_T4_T5_mT6_T7_P12ihipStream_tbENKUlT_T0_E_clISt17integral_constantIbLb1EES12_IbLb0EEEEDaSY_SZ_EUlSY_E_NS1_11comp_targetILNS1_3genE2ELNS1_11target_archE906ELNS1_3gpuE6ELNS1_3repE0EEENS1_30default_config_static_selectorELNS0_4arch9wavefront6targetE1EEEvT1_,@function
_ZN7rocprim17ROCPRIM_400000_NS6detail17trampoline_kernelINS0_14default_configENS1_27scan_by_key_config_selectorIj11FixedVectorIiLj1EEEEZZNS1_16scan_by_key_implILNS1_25lookback_scan_determinismE0ELb1ES3_N6thrust23THRUST_200600_302600_NS6detail15normal_iteratorINSB_10device_ptrIjEEEENSD_INSE_IS6_EEEESI_S6_NSB_4plusIvEENSB_8equal_toIvEES6_EE10hipError_tPvRmT2_T3_T4_T5_mT6_T7_P12ihipStream_tbENKUlT_T0_E_clISt17integral_constantIbLb1EES12_IbLb0EEEEDaSY_SZ_EUlSY_E_NS1_11comp_targetILNS1_3genE2ELNS1_11target_archE906ELNS1_3gpuE6ELNS1_3repE0EEENS1_30default_config_static_selectorELNS0_4arch9wavefront6targetE1EEEvT1_: ; @_ZN7rocprim17ROCPRIM_400000_NS6detail17trampoline_kernelINS0_14default_configENS1_27scan_by_key_config_selectorIj11FixedVectorIiLj1EEEEZZNS1_16scan_by_key_implILNS1_25lookback_scan_determinismE0ELb1ES3_N6thrust23THRUST_200600_302600_NS6detail15normal_iteratorINSB_10device_ptrIjEEEENSD_INSE_IS6_EEEESI_S6_NSB_4plusIvEENSB_8equal_toIvEES6_EE10hipError_tPvRmT2_T3_T4_T5_mT6_T7_P12ihipStream_tbENKUlT_T0_E_clISt17integral_constantIbLb1EES12_IbLb0EEEEDaSY_SZ_EUlSY_E_NS1_11comp_targetILNS1_3genE2ELNS1_11target_archE906ELNS1_3gpuE6ELNS1_3repE0EEENS1_30default_config_static_selectorELNS0_4arch9wavefront6targetE1EEEvT1_
; %bb.0:
	.section	.rodata,"a",@progbits
	.p2align	6, 0x0
	.amdhsa_kernel _ZN7rocprim17ROCPRIM_400000_NS6detail17trampoline_kernelINS0_14default_configENS1_27scan_by_key_config_selectorIj11FixedVectorIiLj1EEEEZZNS1_16scan_by_key_implILNS1_25lookback_scan_determinismE0ELb1ES3_N6thrust23THRUST_200600_302600_NS6detail15normal_iteratorINSB_10device_ptrIjEEEENSD_INSE_IS6_EEEESI_S6_NSB_4plusIvEENSB_8equal_toIvEES6_EE10hipError_tPvRmT2_T3_T4_T5_mT6_T7_P12ihipStream_tbENKUlT_T0_E_clISt17integral_constantIbLb1EES12_IbLb0EEEEDaSY_SZ_EUlSY_E_NS1_11comp_targetILNS1_3genE2ELNS1_11target_archE906ELNS1_3gpuE6ELNS1_3repE0EEENS1_30default_config_static_selectorELNS0_4arch9wavefront6targetE1EEEvT1_
		.amdhsa_group_segment_fixed_size 0
		.amdhsa_private_segment_fixed_size 0
		.amdhsa_kernarg_size 112
		.amdhsa_user_sgpr_count 6
		.amdhsa_user_sgpr_private_segment_buffer 1
		.amdhsa_user_sgpr_dispatch_ptr 0
		.amdhsa_user_sgpr_queue_ptr 0
		.amdhsa_user_sgpr_kernarg_segment_ptr 1
		.amdhsa_user_sgpr_dispatch_id 0
		.amdhsa_user_sgpr_flat_scratch_init 0
		.amdhsa_user_sgpr_kernarg_preload_length 0
		.amdhsa_user_sgpr_kernarg_preload_offset 0
		.amdhsa_user_sgpr_private_segment_size 0
		.amdhsa_uses_dynamic_stack 0
		.amdhsa_system_sgpr_private_segment_wavefront_offset 0
		.amdhsa_system_sgpr_workgroup_id_x 1
		.amdhsa_system_sgpr_workgroup_id_y 0
		.amdhsa_system_sgpr_workgroup_id_z 0
		.amdhsa_system_sgpr_workgroup_info 0
		.amdhsa_system_vgpr_workitem_id 0
		.amdhsa_next_free_vgpr 1
		.amdhsa_next_free_sgpr 0
		.amdhsa_accum_offset 4
		.amdhsa_reserve_vcc 0
		.amdhsa_reserve_flat_scratch 0
		.amdhsa_float_round_mode_32 0
		.amdhsa_float_round_mode_16_64 0
		.amdhsa_float_denorm_mode_32 3
		.amdhsa_float_denorm_mode_16_64 3
		.amdhsa_dx10_clamp 1
		.amdhsa_ieee_mode 1
		.amdhsa_fp16_overflow 0
		.amdhsa_tg_split 0
		.amdhsa_exception_fp_ieee_invalid_op 0
		.amdhsa_exception_fp_denorm_src 0
		.amdhsa_exception_fp_ieee_div_zero 0
		.amdhsa_exception_fp_ieee_overflow 0
		.amdhsa_exception_fp_ieee_underflow 0
		.amdhsa_exception_fp_ieee_inexact 0
		.amdhsa_exception_int_div_zero 0
	.end_amdhsa_kernel
	.section	.text._ZN7rocprim17ROCPRIM_400000_NS6detail17trampoline_kernelINS0_14default_configENS1_27scan_by_key_config_selectorIj11FixedVectorIiLj1EEEEZZNS1_16scan_by_key_implILNS1_25lookback_scan_determinismE0ELb1ES3_N6thrust23THRUST_200600_302600_NS6detail15normal_iteratorINSB_10device_ptrIjEEEENSD_INSE_IS6_EEEESI_S6_NSB_4plusIvEENSB_8equal_toIvEES6_EE10hipError_tPvRmT2_T3_T4_T5_mT6_T7_P12ihipStream_tbENKUlT_T0_E_clISt17integral_constantIbLb1EES12_IbLb0EEEEDaSY_SZ_EUlSY_E_NS1_11comp_targetILNS1_3genE2ELNS1_11target_archE906ELNS1_3gpuE6ELNS1_3repE0EEENS1_30default_config_static_selectorELNS0_4arch9wavefront6targetE1EEEvT1_,"axG",@progbits,_ZN7rocprim17ROCPRIM_400000_NS6detail17trampoline_kernelINS0_14default_configENS1_27scan_by_key_config_selectorIj11FixedVectorIiLj1EEEEZZNS1_16scan_by_key_implILNS1_25lookback_scan_determinismE0ELb1ES3_N6thrust23THRUST_200600_302600_NS6detail15normal_iteratorINSB_10device_ptrIjEEEENSD_INSE_IS6_EEEESI_S6_NSB_4plusIvEENSB_8equal_toIvEES6_EE10hipError_tPvRmT2_T3_T4_T5_mT6_T7_P12ihipStream_tbENKUlT_T0_E_clISt17integral_constantIbLb1EES12_IbLb0EEEEDaSY_SZ_EUlSY_E_NS1_11comp_targetILNS1_3genE2ELNS1_11target_archE906ELNS1_3gpuE6ELNS1_3repE0EEENS1_30default_config_static_selectorELNS0_4arch9wavefront6targetE1EEEvT1_,comdat
.Lfunc_end1934:
	.size	_ZN7rocprim17ROCPRIM_400000_NS6detail17trampoline_kernelINS0_14default_configENS1_27scan_by_key_config_selectorIj11FixedVectorIiLj1EEEEZZNS1_16scan_by_key_implILNS1_25lookback_scan_determinismE0ELb1ES3_N6thrust23THRUST_200600_302600_NS6detail15normal_iteratorINSB_10device_ptrIjEEEENSD_INSE_IS6_EEEESI_S6_NSB_4plusIvEENSB_8equal_toIvEES6_EE10hipError_tPvRmT2_T3_T4_T5_mT6_T7_P12ihipStream_tbENKUlT_T0_E_clISt17integral_constantIbLb1EES12_IbLb0EEEEDaSY_SZ_EUlSY_E_NS1_11comp_targetILNS1_3genE2ELNS1_11target_archE906ELNS1_3gpuE6ELNS1_3repE0EEENS1_30default_config_static_selectorELNS0_4arch9wavefront6targetE1EEEvT1_, .Lfunc_end1934-_ZN7rocprim17ROCPRIM_400000_NS6detail17trampoline_kernelINS0_14default_configENS1_27scan_by_key_config_selectorIj11FixedVectorIiLj1EEEEZZNS1_16scan_by_key_implILNS1_25lookback_scan_determinismE0ELb1ES3_N6thrust23THRUST_200600_302600_NS6detail15normal_iteratorINSB_10device_ptrIjEEEENSD_INSE_IS6_EEEESI_S6_NSB_4plusIvEENSB_8equal_toIvEES6_EE10hipError_tPvRmT2_T3_T4_T5_mT6_T7_P12ihipStream_tbENKUlT_T0_E_clISt17integral_constantIbLb1EES12_IbLb0EEEEDaSY_SZ_EUlSY_E_NS1_11comp_targetILNS1_3genE2ELNS1_11target_archE906ELNS1_3gpuE6ELNS1_3repE0EEENS1_30default_config_static_selectorELNS0_4arch9wavefront6targetE1EEEvT1_
                                        ; -- End function
	.section	.AMDGPU.csdata,"",@progbits
; Kernel info:
; codeLenInByte = 0
; NumSgprs: 4
; NumVgprs: 0
; NumAgprs: 0
; TotalNumVgprs: 0
; ScratchSize: 0
; MemoryBound: 0
; FloatMode: 240
; IeeeMode: 1
; LDSByteSize: 0 bytes/workgroup (compile time only)
; SGPRBlocks: 0
; VGPRBlocks: 0
; NumSGPRsForWavesPerEU: 4
; NumVGPRsForWavesPerEU: 1
; AccumOffset: 4
; Occupancy: 8
; WaveLimiterHint : 0
; COMPUTE_PGM_RSRC2:SCRATCH_EN: 0
; COMPUTE_PGM_RSRC2:USER_SGPR: 6
; COMPUTE_PGM_RSRC2:TRAP_HANDLER: 0
; COMPUTE_PGM_RSRC2:TGID_X_EN: 1
; COMPUTE_PGM_RSRC2:TGID_Y_EN: 0
; COMPUTE_PGM_RSRC2:TGID_Z_EN: 0
; COMPUTE_PGM_RSRC2:TIDIG_COMP_CNT: 0
; COMPUTE_PGM_RSRC3_GFX90A:ACCUM_OFFSET: 0
; COMPUTE_PGM_RSRC3_GFX90A:TG_SPLIT: 0
	.section	.text._ZN7rocprim17ROCPRIM_400000_NS6detail17trampoline_kernelINS0_14default_configENS1_27scan_by_key_config_selectorIj11FixedVectorIiLj1EEEEZZNS1_16scan_by_key_implILNS1_25lookback_scan_determinismE0ELb1ES3_N6thrust23THRUST_200600_302600_NS6detail15normal_iteratorINSB_10device_ptrIjEEEENSD_INSE_IS6_EEEESI_S6_NSB_4plusIvEENSB_8equal_toIvEES6_EE10hipError_tPvRmT2_T3_T4_T5_mT6_T7_P12ihipStream_tbENKUlT_T0_E_clISt17integral_constantIbLb1EES12_IbLb0EEEEDaSY_SZ_EUlSY_E_NS1_11comp_targetILNS1_3genE10ELNS1_11target_archE1200ELNS1_3gpuE4ELNS1_3repE0EEENS1_30default_config_static_selectorELNS0_4arch9wavefront6targetE1EEEvT1_,"axG",@progbits,_ZN7rocprim17ROCPRIM_400000_NS6detail17trampoline_kernelINS0_14default_configENS1_27scan_by_key_config_selectorIj11FixedVectorIiLj1EEEEZZNS1_16scan_by_key_implILNS1_25lookback_scan_determinismE0ELb1ES3_N6thrust23THRUST_200600_302600_NS6detail15normal_iteratorINSB_10device_ptrIjEEEENSD_INSE_IS6_EEEESI_S6_NSB_4plusIvEENSB_8equal_toIvEES6_EE10hipError_tPvRmT2_T3_T4_T5_mT6_T7_P12ihipStream_tbENKUlT_T0_E_clISt17integral_constantIbLb1EES12_IbLb0EEEEDaSY_SZ_EUlSY_E_NS1_11comp_targetILNS1_3genE10ELNS1_11target_archE1200ELNS1_3gpuE4ELNS1_3repE0EEENS1_30default_config_static_selectorELNS0_4arch9wavefront6targetE1EEEvT1_,comdat
	.protected	_ZN7rocprim17ROCPRIM_400000_NS6detail17trampoline_kernelINS0_14default_configENS1_27scan_by_key_config_selectorIj11FixedVectorIiLj1EEEEZZNS1_16scan_by_key_implILNS1_25lookback_scan_determinismE0ELb1ES3_N6thrust23THRUST_200600_302600_NS6detail15normal_iteratorINSB_10device_ptrIjEEEENSD_INSE_IS6_EEEESI_S6_NSB_4plusIvEENSB_8equal_toIvEES6_EE10hipError_tPvRmT2_T3_T4_T5_mT6_T7_P12ihipStream_tbENKUlT_T0_E_clISt17integral_constantIbLb1EES12_IbLb0EEEEDaSY_SZ_EUlSY_E_NS1_11comp_targetILNS1_3genE10ELNS1_11target_archE1200ELNS1_3gpuE4ELNS1_3repE0EEENS1_30default_config_static_selectorELNS0_4arch9wavefront6targetE1EEEvT1_ ; -- Begin function _ZN7rocprim17ROCPRIM_400000_NS6detail17trampoline_kernelINS0_14default_configENS1_27scan_by_key_config_selectorIj11FixedVectorIiLj1EEEEZZNS1_16scan_by_key_implILNS1_25lookback_scan_determinismE0ELb1ES3_N6thrust23THRUST_200600_302600_NS6detail15normal_iteratorINSB_10device_ptrIjEEEENSD_INSE_IS6_EEEESI_S6_NSB_4plusIvEENSB_8equal_toIvEES6_EE10hipError_tPvRmT2_T3_T4_T5_mT6_T7_P12ihipStream_tbENKUlT_T0_E_clISt17integral_constantIbLb1EES12_IbLb0EEEEDaSY_SZ_EUlSY_E_NS1_11comp_targetILNS1_3genE10ELNS1_11target_archE1200ELNS1_3gpuE4ELNS1_3repE0EEENS1_30default_config_static_selectorELNS0_4arch9wavefront6targetE1EEEvT1_
	.globl	_ZN7rocprim17ROCPRIM_400000_NS6detail17trampoline_kernelINS0_14default_configENS1_27scan_by_key_config_selectorIj11FixedVectorIiLj1EEEEZZNS1_16scan_by_key_implILNS1_25lookback_scan_determinismE0ELb1ES3_N6thrust23THRUST_200600_302600_NS6detail15normal_iteratorINSB_10device_ptrIjEEEENSD_INSE_IS6_EEEESI_S6_NSB_4plusIvEENSB_8equal_toIvEES6_EE10hipError_tPvRmT2_T3_T4_T5_mT6_T7_P12ihipStream_tbENKUlT_T0_E_clISt17integral_constantIbLb1EES12_IbLb0EEEEDaSY_SZ_EUlSY_E_NS1_11comp_targetILNS1_3genE10ELNS1_11target_archE1200ELNS1_3gpuE4ELNS1_3repE0EEENS1_30default_config_static_selectorELNS0_4arch9wavefront6targetE1EEEvT1_
	.p2align	8
	.type	_ZN7rocprim17ROCPRIM_400000_NS6detail17trampoline_kernelINS0_14default_configENS1_27scan_by_key_config_selectorIj11FixedVectorIiLj1EEEEZZNS1_16scan_by_key_implILNS1_25lookback_scan_determinismE0ELb1ES3_N6thrust23THRUST_200600_302600_NS6detail15normal_iteratorINSB_10device_ptrIjEEEENSD_INSE_IS6_EEEESI_S6_NSB_4plusIvEENSB_8equal_toIvEES6_EE10hipError_tPvRmT2_T3_T4_T5_mT6_T7_P12ihipStream_tbENKUlT_T0_E_clISt17integral_constantIbLb1EES12_IbLb0EEEEDaSY_SZ_EUlSY_E_NS1_11comp_targetILNS1_3genE10ELNS1_11target_archE1200ELNS1_3gpuE4ELNS1_3repE0EEENS1_30default_config_static_selectorELNS0_4arch9wavefront6targetE1EEEvT1_,@function
_ZN7rocprim17ROCPRIM_400000_NS6detail17trampoline_kernelINS0_14default_configENS1_27scan_by_key_config_selectorIj11FixedVectorIiLj1EEEEZZNS1_16scan_by_key_implILNS1_25lookback_scan_determinismE0ELb1ES3_N6thrust23THRUST_200600_302600_NS6detail15normal_iteratorINSB_10device_ptrIjEEEENSD_INSE_IS6_EEEESI_S6_NSB_4plusIvEENSB_8equal_toIvEES6_EE10hipError_tPvRmT2_T3_T4_T5_mT6_T7_P12ihipStream_tbENKUlT_T0_E_clISt17integral_constantIbLb1EES12_IbLb0EEEEDaSY_SZ_EUlSY_E_NS1_11comp_targetILNS1_3genE10ELNS1_11target_archE1200ELNS1_3gpuE4ELNS1_3repE0EEENS1_30default_config_static_selectorELNS0_4arch9wavefront6targetE1EEEvT1_: ; @_ZN7rocprim17ROCPRIM_400000_NS6detail17trampoline_kernelINS0_14default_configENS1_27scan_by_key_config_selectorIj11FixedVectorIiLj1EEEEZZNS1_16scan_by_key_implILNS1_25lookback_scan_determinismE0ELb1ES3_N6thrust23THRUST_200600_302600_NS6detail15normal_iteratorINSB_10device_ptrIjEEEENSD_INSE_IS6_EEEESI_S6_NSB_4plusIvEENSB_8equal_toIvEES6_EE10hipError_tPvRmT2_T3_T4_T5_mT6_T7_P12ihipStream_tbENKUlT_T0_E_clISt17integral_constantIbLb1EES12_IbLb0EEEEDaSY_SZ_EUlSY_E_NS1_11comp_targetILNS1_3genE10ELNS1_11target_archE1200ELNS1_3gpuE4ELNS1_3repE0EEENS1_30default_config_static_selectorELNS0_4arch9wavefront6targetE1EEEvT1_
; %bb.0:
	.section	.rodata,"a",@progbits
	.p2align	6, 0x0
	.amdhsa_kernel _ZN7rocprim17ROCPRIM_400000_NS6detail17trampoline_kernelINS0_14default_configENS1_27scan_by_key_config_selectorIj11FixedVectorIiLj1EEEEZZNS1_16scan_by_key_implILNS1_25lookback_scan_determinismE0ELb1ES3_N6thrust23THRUST_200600_302600_NS6detail15normal_iteratorINSB_10device_ptrIjEEEENSD_INSE_IS6_EEEESI_S6_NSB_4plusIvEENSB_8equal_toIvEES6_EE10hipError_tPvRmT2_T3_T4_T5_mT6_T7_P12ihipStream_tbENKUlT_T0_E_clISt17integral_constantIbLb1EES12_IbLb0EEEEDaSY_SZ_EUlSY_E_NS1_11comp_targetILNS1_3genE10ELNS1_11target_archE1200ELNS1_3gpuE4ELNS1_3repE0EEENS1_30default_config_static_selectorELNS0_4arch9wavefront6targetE1EEEvT1_
		.amdhsa_group_segment_fixed_size 0
		.amdhsa_private_segment_fixed_size 0
		.amdhsa_kernarg_size 112
		.amdhsa_user_sgpr_count 6
		.amdhsa_user_sgpr_private_segment_buffer 1
		.amdhsa_user_sgpr_dispatch_ptr 0
		.amdhsa_user_sgpr_queue_ptr 0
		.amdhsa_user_sgpr_kernarg_segment_ptr 1
		.amdhsa_user_sgpr_dispatch_id 0
		.amdhsa_user_sgpr_flat_scratch_init 0
		.amdhsa_user_sgpr_kernarg_preload_length 0
		.amdhsa_user_sgpr_kernarg_preload_offset 0
		.amdhsa_user_sgpr_private_segment_size 0
		.amdhsa_uses_dynamic_stack 0
		.amdhsa_system_sgpr_private_segment_wavefront_offset 0
		.amdhsa_system_sgpr_workgroup_id_x 1
		.amdhsa_system_sgpr_workgroup_id_y 0
		.amdhsa_system_sgpr_workgroup_id_z 0
		.amdhsa_system_sgpr_workgroup_info 0
		.amdhsa_system_vgpr_workitem_id 0
		.amdhsa_next_free_vgpr 1
		.amdhsa_next_free_sgpr 0
		.amdhsa_accum_offset 4
		.amdhsa_reserve_vcc 0
		.amdhsa_reserve_flat_scratch 0
		.amdhsa_float_round_mode_32 0
		.amdhsa_float_round_mode_16_64 0
		.amdhsa_float_denorm_mode_32 3
		.amdhsa_float_denorm_mode_16_64 3
		.amdhsa_dx10_clamp 1
		.amdhsa_ieee_mode 1
		.amdhsa_fp16_overflow 0
		.amdhsa_tg_split 0
		.amdhsa_exception_fp_ieee_invalid_op 0
		.amdhsa_exception_fp_denorm_src 0
		.amdhsa_exception_fp_ieee_div_zero 0
		.amdhsa_exception_fp_ieee_overflow 0
		.amdhsa_exception_fp_ieee_underflow 0
		.amdhsa_exception_fp_ieee_inexact 0
		.amdhsa_exception_int_div_zero 0
	.end_amdhsa_kernel
	.section	.text._ZN7rocprim17ROCPRIM_400000_NS6detail17trampoline_kernelINS0_14default_configENS1_27scan_by_key_config_selectorIj11FixedVectorIiLj1EEEEZZNS1_16scan_by_key_implILNS1_25lookback_scan_determinismE0ELb1ES3_N6thrust23THRUST_200600_302600_NS6detail15normal_iteratorINSB_10device_ptrIjEEEENSD_INSE_IS6_EEEESI_S6_NSB_4plusIvEENSB_8equal_toIvEES6_EE10hipError_tPvRmT2_T3_T4_T5_mT6_T7_P12ihipStream_tbENKUlT_T0_E_clISt17integral_constantIbLb1EES12_IbLb0EEEEDaSY_SZ_EUlSY_E_NS1_11comp_targetILNS1_3genE10ELNS1_11target_archE1200ELNS1_3gpuE4ELNS1_3repE0EEENS1_30default_config_static_selectorELNS0_4arch9wavefront6targetE1EEEvT1_,"axG",@progbits,_ZN7rocprim17ROCPRIM_400000_NS6detail17trampoline_kernelINS0_14default_configENS1_27scan_by_key_config_selectorIj11FixedVectorIiLj1EEEEZZNS1_16scan_by_key_implILNS1_25lookback_scan_determinismE0ELb1ES3_N6thrust23THRUST_200600_302600_NS6detail15normal_iteratorINSB_10device_ptrIjEEEENSD_INSE_IS6_EEEESI_S6_NSB_4plusIvEENSB_8equal_toIvEES6_EE10hipError_tPvRmT2_T3_T4_T5_mT6_T7_P12ihipStream_tbENKUlT_T0_E_clISt17integral_constantIbLb1EES12_IbLb0EEEEDaSY_SZ_EUlSY_E_NS1_11comp_targetILNS1_3genE10ELNS1_11target_archE1200ELNS1_3gpuE4ELNS1_3repE0EEENS1_30default_config_static_selectorELNS0_4arch9wavefront6targetE1EEEvT1_,comdat
.Lfunc_end1935:
	.size	_ZN7rocprim17ROCPRIM_400000_NS6detail17trampoline_kernelINS0_14default_configENS1_27scan_by_key_config_selectorIj11FixedVectorIiLj1EEEEZZNS1_16scan_by_key_implILNS1_25lookback_scan_determinismE0ELb1ES3_N6thrust23THRUST_200600_302600_NS6detail15normal_iteratorINSB_10device_ptrIjEEEENSD_INSE_IS6_EEEESI_S6_NSB_4plusIvEENSB_8equal_toIvEES6_EE10hipError_tPvRmT2_T3_T4_T5_mT6_T7_P12ihipStream_tbENKUlT_T0_E_clISt17integral_constantIbLb1EES12_IbLb0EEEEDaSY_SZ_EUlSY_E_NS1_11comp_targetILNS1_3genE10ELNS1_11target_archE1200ELNS1_3gpuE4ELNS1_3repE0EEENS1_30default_config_static_selectorELNS0_4arch9wavefront6targetE1EEEvT1_, .Lfunc_end1935-_ZN7rocprim17ROCPRIM_400000_NS6detail17trampoline_kernelINS0_14default_configENS1_27scan_by_key_config_selectorIj11FixedVectorIiLj1EEEEZZNS1_16scan_by_key_implILNS1_25lookback_scan_determinismE0ELb1ES3_N6thrust23THRUST_200600_302600_NS6detail15normal_iteratorINSB_10device_ptrIjEEEENSD_INSE_IS6_EEEESI_S6_NSB_4plusIvEENSB_8equal_toIvEES6_EE10hipError_tPvRmT2_T3_T4_T5_mT6_T7_P12ihipStream_tbENKUlT_T0_E_clISt17integral_constantIbLb1EES12_IbLb0EEEEDaSY_SZ_EUlSY_E_NS1_11comp_targetILNS1_3genE10ELNS1_11target_archE1200ELNS1_3gpuE4ELNS1_3repE0EEENS1_30default_config_static_selectorELNS0_4arch9wavefront6targetE1EEEvT1_
                                        ; -- End function
	.section	.AMDGPU.csdata,"",@progbits
; Kernel info:
; codeLenInByte = 0
; NumSgprs: 4
; NumVgprs: 0
; NumAgprs: 0
; TotalNumVgprs: 0
; ScratchSize: 0
; MemoryBound: 0
; FloatMode: 240
; IeeeMode: 1
; LDSByteSize: 0 bytes/workgroup (compile time only)
; SGPRBlocks: 0
; VGPRBlocks: 0
; NumSGPRsForWavesPerEU: 4
; NumVGPRsForWavesPerEU: 1
; AccumOffset: 4
; Occupancy: 8
; WaveLimiterHint : 0
; COMPUTE_PGM_RSRC2:SCRATCH_EN: 0
; COMPUTE_PGM_RSRC2:USER_SGPR: 6
; COMPUTE_PGM_RSRC2:TRAP_HANDLER: 0
; COMPUTE_PGM_RSRC2:TGID_X_EN: 1
; COMPUTE_PGM_RSRC2:TGID_Y_EN: 0
; COMPUTE_PGM_RSRC2:TGID_Z_EN: 0
; COMPUTE_PGM_RSRC2:TIDIG_COMP_CNT: 0
; COMPUTE_PGM_RSRC3_GFX90A:ACCUM_OFFSET: 0
; COMPUTE_PGM_RSRC3_GFX90A:TG_SPLIT: 0
	.section	.text._ZN7rocprim17ROCPRIM_400000_NS6detail17trampoline_kernelINS0_14default_configENS1_27scan_by_key_config_selectorIj11FixedVectorIiLj1EEEEZZNS1_16scan_by_key_implILNS1_25lookback_scan_determinismE0ELb1ES3_N6thrust23THRUST_200600_302600_NS6detail15normal_iteratorINSB_10device_ptrIjEEEENSD_INSE_IS6_EEEESI_S6_NSB_4plusIvEENSB_8equal_toIvEES6_EE10hipError_tPvRmT2_T3_T4_T5_mT6_T7_P12ihipStream_tbENKUlT_T0_E_clISt17integral_constantIbLb1EES12_IbLb0EEEEDaSY_SZ_EUlSY_E_NS1_11comp_targetILNS1_3genE9ELNS1_11target_archE1100ELNS1_3gpuE3ELNS1_3repE0EEENS1_30default_config_static_selectorELNS0_4arch9wavefront6targetE1EEEvT1_,"axG",@progbits,_ZN7rocprim17ROCPRIM_400000_NS6detail17trampoline_kernelINS0_14default_configENS1_27scan_by_key_config_selectorIj11FixedVectorIiLj1EEEEZZNS1_16scan_by_key_implILNS1_25lookback_scan_determinismE0ELb1ES3_N6thrust23THRUST_200600_302600_NS6detail15normal_iteratorINSB_10device_ptrIjEEEENSD_INSE_IS6_EEEESI_S6_NSB_4plusIvEENSB_8equal_toIvEES6_EE10hipError_tPvRmT2_T3_T4_T5_mT6_T7_P12ihipStream_tbENKUlT_T0_E_clISt17integral_constantIbLb1EES12_IbLb0EEEEDaSY_SZ_EUlSY_E_NS1_11comp_targetILNS1_3genE9ELNS1_11target_archE1100ELNS1_3gpuE3ELNS1_3repE0EEENS1_30default_config_static_selectorELNS0_4arch9wavefront6targetE1EEEvT1_,comdat
	.protected	_ZN7rocprim17ROCPRIM_400000_NS6detail17trampoline_kernelINS0_14default_configENS1_27scan_by_key_config_selectorIj11FixedVectorIiLj1EEEEZZNS1_16scan_by_key_implILNS1_25lookback_scan_determinismE0ELb1ES3_N6thrust23THRUST_200600_302600_NS6detail15normal_iteratorINSB_10device_ptrIjEEEENSD_INSE_IS6_EEEESI_S6_NSB_4plusIvEENSB_8equal_toIvEES6_EE10hipError_tPvRmT2_T3_T4_T5_mT6_T7_P12ihipStream_tbENKUlT_T0_E_clISt17integral_constantIbLb1EES12_IbLb0EEEEDaSY_SZ_EUlSY_E_NS1_11comp_targetILNS1_3genE9ELNS1_11target_archE1100ELNS1_3gpuE3ELNS1_3repE0EEENS1_30default_config_static_selectorELNS0_4arch9wavefront6targetE1EEEvT1_ ; -- Begin function _ZN7rocprim17ROCPRIM_400000_NS6detail17trampoline_kernelINS0_14default_configENS1_27scan_by_key_config_selectorIj11FixedVectorIiLj1EEEEZZNS1_16scan_by_key_implILNS1_25lookback_scan_determinismE0ELb1ES3_N6thrust23THRUST_200600_302600_NS6detail15normal_iteratorINSB_10device_ptrIjEEEENSD_INSE_IS6_EEEESI_S6_NSB_4plusIvEENSB_8equal_toIvEES6_EE10hipError_tPvRmT2_T3_T4_T5_mT6_T7_P12ihipStream_tbENKUlT_T0_E_clISt17integral_constantIbLb1EES12_IbLb0EEEEDaSY_SZ_EUlSY_E_NS1_11comp_targetILNS1_3genE9ELNS1_11target_archE1100ELNS1_3gpuE3ELNS1_3repE0EEENS1_30default_config_static_selectorELNS0_4arch9wavefront6targetE1EEEvT1_
	.globl	_ZN7rocprim17ROCPRIM_400000_NS6detail17trampoline_kernelINS0_14default_configENS1_27scan_by_key_config_selectorIj11FixedVectorIiLj1EEEEZZNS1_16scan_by_key_implILNS1_25lookback_scan_determinismE0ELb1ES3_N6thrust23THRUST_200600_302600_NS6detail15normal_iteratorINSB_10device_ptrIjEEEENSD_INSE_IS6_EEEESI_S6_NSB_4plusIvEENSB_8equal_toIvEES6_EE10hipError_tPvRmT2_T3_T4_T5_mT6_T7_P12ihipStream_tbENKUlT_T0_E_clISt17integral_constantIbLb1EES12_IbLb0EEEEDaSY_SZ_EUlSY_E_NS1_11comp_targetILNS1_3genE9ELNS1_11target_archE1100ELNS1_3gpuE3ELNS1_3repE0EEENS1_30default_config_static_selectorELNS0_4arch9wavefront6targetE1EEEvT1_
	.p2align	8
	.type	_ZN7rocprim17ROCPRIM_400000_NS6detail17trampoline_kernelINS0_14default_configENS1_27scan_by_key_config_selectorIj11FixedVectorIiLj1EEEEZZNS1_16scan_by_key_implILNS1_25lookback_scan_determinismE0ELb1ES3_N6thrust23THRUST_200600_302600_NS6detail15normal_iteratorINSB_10device_ptrIjEEEENSD_INSE_IS6_EEEESI_S6_NSB_4plusIvEENSB_8equal_toIvEES6_EE10hipError_tPvRmT2_T3_T4_T5_mT6_T7_P12ihipStream_tbENKUlT_T0_E_clISt17integral_constantIbLb1EES12_IbLb0EEEEDaSY_SZ_EUlSY_E_NS1_11comp_targetILNS1_3genE9ELNS1_11target_archE1100ELNS1_3gpuE3ELNS1_3repE0EEENS1_30default_config_static_selectorELNS0_4arch9wavefront6targetE1EEEvT1_,@function
_ZN7rocprim17ROCPRIM_400000_NS6detail17trampoline_kernelINS0_14default_configENS1_27scan_by_key_config_selectorIj11FixedVectorIiLj1EEEEZZNS1_16scan_by_key_implILNS1_25lookback_scan_determinismE0ELb1ES3_N6thrust23THRUST_200600_302600_NS6detail15normal_iteratorINSB_10device_ptrIjEEEENSD_INSE_IS6_EEEESI_S6_NSB_4plusIvEENSB_8equal_toIvEES6_EE10hipError_tPvRmT2_T3_T4_T5_mT6_T7_P12ihipStream_tbENKUlT_T0_E_clISt17integral_constantIbLb1EES12_IbLb0EEEEDaSY_SZ_EUlSY_E_NS1_11comp_targetILNS1_3genE9ELNS1_11target_archE1100ELNS1_3gpuE3ELNS1_3repE0EEENS1_30default_config_static_selectorELNS0_4arch9wavefront6targetE1EEEvT1_: ; @_ZN7rocprim17ROCPRIM_400000_NS6detail17trampoline_kernelINS0_14default_configENS1_27scan_by_key_config_selectorIj11FixedVectorIiLj1EEEEZZNS1_16scan_by_key_implILNS1_25lookback_scan_determinismE0ELb1ES3_N6thrust23THRUST_200600_302600_NS6detail15normal_iteratorINSB_10device_ptrIjEEEENSD_INSE_IS6_EEEESI_S6_NSB_4plusIvEENSB_8equal_toIvEES6_EE10hipError_tPvRmT2_T3_T4_T5_mT6_T7_P12ihipStream_tbENKUlT_T0_E_clISt17integral_constantIbLb1EES12_IbLb0EEEEDaSY_SZ_EUlSY_E_NS1_11comp_targetILNS1_3genE9ELNS1_11target_archE1100ELNS1_3gpuE3ELNS1_3repE0EEENS1_30default_config_static_selectorELNS0_4arch9wavefront6targetE1EEEvT1_
; %bb.0:
	.section	.rodata,"a",@progbits
	.p2align	6, 0x0
	.amdhsa_kernel _ZN7rocprim17ROCPRIM_400000_NS6detail17trampoline_kernelINS0_14default_configENS1_27scan_by_key_config_selectorIj11FixedVectorIiLj1EEEEZZNS1_16scan_by_key_implILNS1_25lookback_scan_determinismE0ELb1ES3_N6thrust23THRUST_200600_302600_NS6detail15normal_iteratorINSB_10device_ptrIjEEEENSD_INSE_IS6_EEEESI_S6_NSB_4plusIvEENSB_8equal_toIvEES6_EE10hipError_tPvRmT2_T3_T4_T5_mT6_T7_P12ihipStream_tbENKUlT_T0_E_clISt17integral_constantIbLb1EES12_IbLb0EEEEDaSY_SZ_EUlSY_E_NS1_11comp_targetILNS1_3genE9ELNS1_11target_archE1100ELNS1_3gpuE3ELNS1_3repE0EEENS1_30default_config_static_selectorELNS0_4arch9wavefront6targetE1EEEvT1_
		.amdhsa_group_segment_fixed_size 0
		.amdhsa_private_segment_fixed_size 0
		.amdhsa_kernarg_size 112
		.amdhsa_user_sgpr_count 6
		.amdhsa_user_sgpr_private_segment_buffer 1
		.amdhsa_user_sgpr_dispatch_ptr 0
		.amdhsa_user_sgpr_queue_ptr 0
		.amdhsa_user_sgpr_kernarg_segment_ptr 1
		.amdhsa_user_sgpr_dispatch_id 0
		.amdhsa_user_sgpr_flat_scratch_init 0
		.amdhsa_user_sgpr_kernarg_preload_length 0
		.amdhsa_user_sgpr_kernarg_preload_offset 0
		.amdhsa_user_sgpr_private_segment_size 0
		.amdhsa_uses_dynamic_stack 0
		.amdhsa_system_sgpr_private_segment_wavefront_offset 0
		.amdhsa_system_sgpr_workgroup_id_x 1
		.amdhsa_system_sgpr_workgroup_id_y 0
		.amdhsa_system_sgpr_workgroup_id_z 0
		.amdhsa_system_sgpr_workgroup_info 0
		.amdhsa_system_vgpr_workitem_id 0
		.amdhsa_next_free_vgpr 1
		.amdhsa_next_free_sgpr 0
		.amdhsa_accum_offset 4
		.amdhsa_reserve_vcc 0
		.amdhsa_reserve_flat_scratch 0
		.amdhsa_float_round_mode_32 0
		.amdhsa_float_round_mode_16_64 0
		.amdhsa_float_denorm_mode_32 3
		.amdhsa_float_denorm_mode_16_64 3
		.amdhsa_dx10_clamp 1
		.amdhsa_ieee_mode 1
		.amdhsa_fp16_overflow 0
		.amdhsa_tg_split 0
		.amdhsa_exception_fp_ieee_invalid_op 0
		.amdhsa_exception_fp_denorm_src 0
		.amdhsa_exception_fp_ieee_div_zero 0
		.amdhsa_exception_fp_ieee_overflow 0
		.amdhsa_exception_fp_ieee_underflow 0
		.amdhsa_exception_fp_ieee_inexact 0
		.amdhsa_exception_int_div_zero 0
	.end_amdhsa_kernel
	.section	.text._ZN7rocprim17ROCPRIM_400000_NS6detail17trampoline_kernelINS0_14default_configENS1_27scan_by_key_config_selectorIj11FixedVectorIiLj1EEEEZZNS1_16scan_by_key_implILNS1_25lookback_scan_determinismE0ELb1ES3_N6thrust23THRUST_200600_302600_NS6detail15normal_iteratorINSB_10device_ptrIjEEEENSD_INSE_IS6_EEEESI_S6_NSB_4plusIvEENSB_8equal_toIvEES6_EE10hipError_tPvRmT2_T3_T4_T5_mT6_T7_P12ihipStream_tbENKUlT_T0_E_clISt17integral_constantIbLb1EES12_IbLb0EEEEDaSY_SZ_EUlSY_E_NS1_11comp_targetILNS1_3genE9ELNS1_11target_archE1100ELNS1_3gpuE3ELNS1_3repE0EEENS1_30default_config_static_selectorELNS0_4arch9wavefront6targetE1EEEvT1_,"axG",@progbits,_ZN7rocprim17ROCPRIM_400000_NS6detail17trampoline_kernelINS0_14default_configENS1_27scan_by_key_config_selectorIj11FixedVectorIiLj1EEEEZZNS1_16scan_by_key_implILNS1_25lookback_scan_determinismE0ELb1ES3_N6thrust23THRUST_200600_302600_NS6detail15normal_iteratorINSB_10device_ptrIjEEEENSD_INSE_IS6_EEEESI_S6_NSB_4plusIvEENSB_8equal_toIvEES6_EE10hipError_tPvRmT2_T3_T4_T5_mT6_T7_P12ihipStream_tbENKUlT_T0_E_clISt17integral_constantIbLb1EES12_IbLb0EEEEDaSY_SZ_EUlSY_E_NS1_11comp_targetILNS1_3genE9ELNS1_11target_archE1100ELNS1_3gpuE3ELNS1_3repE0EEENS1_30default_config_static_selectorELNS0_4arch9wavefront6targetE1EEEvT1_,comdat
.Lfunc_end1936:
	.size	_ZN7rocprim17ROCPRIM_400000_NS6detail17trampoline_kernelINS0_14default_configENS1_27scan_by_key_config_selectorIj11FixedVectorIiLj1EEEEZZNS1_16scan_by_key_implILNS1_25lookback_scan_determinismE0ELb1ES3_N6thrust23THRUST_200600_302600_NS6detail15normal_iteratorINSB_10device_ptrIjEEEENSD_INSE_IS6_EEEESI_S6_NSB_4plusIvEENSB_8equal_toIvEES6_EE10hipError_tPvRmT2_T3_T4_T5_mT6_T7_P12ihipStream_tbENKUlT_T0_E_clISt17integral_constantIbLb1EES12_IbLb0EEEEDaSY_SZ_EUlSY_E_NS1_11comp_targetILNS1_3genE9ELNS1_11target_archE1100ELNS1_3gpuE3ELNS1_3repE0EEENS1_30default_config_static_selectorELNS0_4arch9wavefront6targetE1EEEvT1_, .Lfunc_end1936-_ZN7rocprim17ROCPRIM_400000_NS6detail17trampoline_kernelINS0_14default_configENS1_27scan_by_key_config_selectorIj11FixedVectorIiLj1EEEEZZNS1_16scan_by_key_implILNS1_25lookback_scan_determinismE0ELb1ES3_N6thrust23THRUST_200600_302600_NS6detail15normal_iteratorINSB_10device_ptrIjEEEENSD_INSE_IS6_EEEESI_S6_NSB_4plusIvEENSB_8equal_toIvEES6_EE10hipError_tPvRmT2_T3_T4_T5_mT6_T7_P12ihipStream_tbENKUlT_T0_E_clISt17integral_constantIbLb1EES12_IbLb0EEEEDaSY_SZ_EUlSY_E_NS1_11comp_targetILNS1_3genE9ELNS1_11target_archE1100ELNS1_3gpuE3ELNS1_3repE0EEENS1_30default_config_static_selectorELNS0_4arch9wavefront6targetE1EEEvT1_
                                        ; -- End function
	.section	.AMDGPU.csdata,"",@progbits
; Kernel info:
; codeLenInByte = 0
; NumSgprs: 4
; NumVgprs: 0
; NumAgprs: 0
; TotalNumVgprs: 0
; ScratchSize: 0
; MemoryBound: 0
; FloatMode: 240
; IeeeMode: 1
; LDSByteSize: 0 bytes/workgroup (compile time only)
; SGPRBlocks: 0
; VGPRBlocks: 0
; NumSGPRsForWavesPerEU: 4
; NumVGPRsForWavesPerEU: 1
; AccumOffset: 4
; Occupancy: 8
; WaveLimiterHint : 0
; COMPUTE_PGM_RSRC2:SCRATCH_EN: 0
; COMPUTE_PGM_RSRC2:USER_SGPR: 6
; COMPUTE_PGM_RSRC2:TRAP_HANDLER: 0
; COMPUTE_PGM_RSRC2:TGID_X_EN: 1
; COMPUTE_PGM_RSRC2:TGID_Y_EN: 0
; COMPUTE_PGM_RSRC2:TGID_Z_EN: 0
; COMPUTE_PGM_RSRC2:TIDIG_COMP_CNT: 0
; COMPUTE_PGM_RSRC3_GFX90A:ACCUM_OFFSET: 0
; COMPUTE_PGM_RSRC3_GFX90A:TG_SPLIT: 0
	.section	.text._ZN7rocprim17ROCPRIM_400000_NS6detail17trampoline_kernelINS0_14default_configENS1_27scan_by_key_config_selectorIj11FixedVectorIiLj1EEEEZZNS1_16scan_by_key_implILNS1_25lookback_scan_determinismE0ELb1ES3_N6thrust23THRUST_200600_302600_NS6detail15normal_iteratorINSB_10device_ptrIjEEEENSD_INSE_IS6_EEEESI_S6_NSB_4plusIvEENSB_8equal_toIvEES6_EE10hipError_tPvRmT2_T3_T4_T5_mT6_T7_P12ihipStream_tbENKUlT_T0_E_clISt17integral_constantIbLb1EES12_IbLb0EEEEDaSY_SZ_EUlSY_E_NS1_11comp_targetILNS1_3genE8ELNS1_11target_archE1030ELNS1_3gpuE2ELNS1_3repE0EEENS1_30default_config_static_selectorELNS0_4arch9wavefront6targetE1EEEvT1_,"axG",@progbits,_ZN7rocprim17ROCPRIM_400000_NS6detail17trampoline_kernelINS0_14default_configENS1_27scan_by_key_config_selectorIj11FixedVectorIiLj1EEEEZZNS1_16scan_by_key_implILNS1_25lookback_scan_determinismE0ELb1ES3_N6thrust23THRUST_200600_302600_NS6detail15normal_iteratorINSB_10device_ptrIjEEEENSD_INSE_IS6_EEEESI_S6_NSB_4plusIvEENSB_8equal_toIvEES6_EE10hipError_tPvRmT2_T3_T4_T5_mT6_T7_P12ihipStream_tbENKUlT_T0_E_clISt17integral_constantIbLb1EES12_IbLb0EEEEDaSY_SZ_EUlSY_E_NS1_11comp_targetILNS1_3genE8ELNS1_11target_archE1030ELNS1_3gpuE2ELNS1_3repE0EEENS1_30default_config_static_selectorELNS0_4arch9wavefront6targetE1EEEvT1_,comdat
	.protected	_ZN7rocprim17ROCPRIM_400000_NS6detail17trampoline_kernelINS0_14default_configENS1_27scan_by_key_config_selectorIj11FixedVectorIiLj1EEEEZZNS1_16scan_by_key_implILNS1_25lookback_scan_determinismE0ELb1ES3_N6thrust23THRUST_200600_302600_NS6detail15normal_iteratorINSB_10device_ptrIjEEEENSD_INSE_IS6_EEEESI_S6_NSB_4plusIvEENSB_8equal_toIvEES6_EE10hipError_tPvRmT2_T3_T4_T5_mT6_T7_P12ihipStream_tbENKUlT_T0_E_clISt17integral_constantIbLb1EES12_IbLb0EEEEDaSY_SZ_EUlSY_E_NS1_11comp_targetILNS1_3genE8ELNS1_11target_archE1030ELNS1_3gpuE2ELNS1_3repE0EEENS1_30default_config_static_selectorELNS0_4arch9wavefront6targetE1EEEvT1_ ; -- Begin function _ZN7rocprim17ROCPRIM_400000_NS6detail17trampoline_kernelINS0_14default_configENS1_27scan_by_key_config_selectorIj11FixedVectorIiLj1EEEEZZNS1_16scan_by_key_implILNS1_25lookback_scan_determinismE0ELb1ES3_N6thrust23THRUST_200600_302600_NS6detail15normal_iteratorINSB_10device_ptrIjEEEENSD_INSE_IS6_EEEESI_S6_NSB_4plusIvEENSB_8equal_toIvEES6_EE10hipError_tPvRmT2_T3_T4_T5_mT6_T7_P12ihipStream_tbENKUlT_T0_E_clISt17integral_constantIbLb1EES12_IbLb0EEEEDaSY_SZ_EUlSY_E_NS1_11comp_targetILNS1_3genE8ELNS1_11target_archE1030ELNS1_3gpuE2ELNS1_3repE0EEENS1_30default_config_static_selectorELNS0_4arch9wavefront6targetE1EEEvT1_
	.globl	_ZN7rocprim17ROCPRIM_400000_NS6detail17trampoline_kernelINS0_14default_configENS1_27scan_by_key_config_selectorIj11FixedVectorIiLj1EEEEZZNS1_16scan_by_key_implILNS1_25lookback_scan_determinismE0ELb1ES3_N6thrust23THRUST_200600_302600_NS6detail15normal_iteratorINSB_10device_ptrIjEEEENSD_INSE_IS6_EEEESI_S6_NSB_4plusIvEENSB_8equal_toIvEES6_EE10hipError_tPvRmT2_T3_T4_T5_mT6_T7_P12ihipStream_tbENKUlT_T0_E_clISt17integral_constantIbLb1EES12_IbLb0EEEEDaSY_SZ_EUlSY_E_NS1_11comp_targetILNS1_3genE8ELNS1_11target_archE1030ELNS1_3gpuE2ELNS1_3repE0EEENS1_30default_config_static_selectorELNS0_4arch9wavefront6targetE1EEEvT1_
	.p2align	8
	.type	_ZN7rocprim17ROCPRIM_400000_NS6detail17trampoline_kernelINS0_14default_configENS1_27scan_by_key_config_selectorIj11FixedVectorIiLj1EEEEZZNS1_16scan_by_key_implILNS1_25lookback_scan_determinismE0ELb1ES3_N6thrust23THRUST_200600_302600_NS6detail15normal_iteratorINSB_10device_ptrIjEEEENSD_INSE_IS6_EEEESI_S6_NSB_4plusIvEENSB_8equal_toIvEES6_EE10hipError_tPvRmT2_T3_T4_T5_mT6_T7_P12ihipStream_tbENKUlT_T0_E_clISt17integral_constantIbLb1EES12_IbLb0EEEEDaSY_SZ_EUlSY_E_NS1_11comp_targetILNS1_3genE8ELNS1_11target_archE1030ELNS1_3gpuE2ELNS1_3repE0EEENS1_30default_config_static_selectorELNS0_4arch9wavefront6targetE1EEEvT1_,@function
_ZN7rocprim17ROCPRIM_400000_NS6detail17trampoline_kernelINS0_14default_configENS1_27scan_by_key_config_selectorIj11FixedVectorIiLj1EEEEZZNS1_16scan_by_key_implILNS1_25lookback_scan_determinismE0ELb1ES3_N6thrust23THRUST_200600_302600_NS6detail15normal_iteratorINSB_10device_ptrIjEEEENSD_INSE_IS6_EEEESI_S6_NSB_4plusIvEENSB_8equal_toIvEES6_EE10hipError_tPvRmT2_T3_T4_T5_mT6_T7_P12ihipStream_tbENKUlT_T0_E_clISt17integral_constantIbLb1EES12_IbLb0EEEEDaSY_SZ_EUlSY_E_NS1_11comp_targetILNS1_3genE8ELNS1_11target_archE1030ELNS1_3gpuE2ELNS1_3repE0EEENS1_30default_config_static_selectorELNS0_4arch9wavefront6targetE1EEEvT1_: ; @_ZN7rocprim17ROCPRIM_400000_NS6detail17trampoline_kernelINS0_14default_configENS1_27scan_by_key_config_selectorIj11FixedVectorIiLj1EEEEZZNS1_16scan_by_key_implILNS1_25lookback_scan_determinismE0ELb1ES3_N6thrust23THRUST_200600_302600_NS6detail15normal_iteratorINSB_10device_ptrIjEEEENSD_INSE_IS6_EEEESI_S6_NSB_4plusIvEENSB_8equal_toIvEES6_EE10hipError_tPvRmT2_T3_T4_T5_mT6_T7_P12ihipStream_tbENKUlT_T0_E_clISt17integral_constantIbLb1EES12_IbLb0EEEEDaSY_SZ_EUlSY_E_NS1_11comp_targetILNS1_3genE8ELNS1_11target_archE1030ELNS1_3gpuE2ELNS1_3repE0EEENS1_30default_config_static_selectorELNS0_4arch9wavefront6targetE1EEEvT1_
; %bb.0:
	.section	.rodata,"a",@progbits
	.p2align	6, 0x0
	.amdhsa_kernel _ZN7rocprim17ROCPRIM_400000_NS6detail17trampoline_kernelINS0_14default_configENS1_27scan_by_key_config_selectorIj11FixedVectorIiLj1EEEEZZNS1_16scan_by_key_implILNS1_25lookback_scan_determinismE0ELb1ES3_N6thrust23THRUST_200600_302600_NS6detail15normal_iteratorINSB_10device_ptrIjEEEENSD_INSE_IS6_EEEESI_S6_NSB_4plusIvEENSB_8equal_toIvEES6_EE10hipError_tPvRmT2_T3_T4_T5_mT6_T7_P12ihipStream_tbENKUlT_T0_E_clISt17integral_constantIbLb1EES12_IbLb0EEEEDaSY_SZ_EUlSY_E_NS1_11comp_targetILNS1_3genE8ELNS1_11target_archE1030ELNS1_3gpuE2ELNS1_3repE0EEENS1_30default_config_static_selectorELNS0_4arch9wavefront6targetE1EEEvT1_
		.amdhsa_group_segment_fixed_size 0
		.amdhsa_private_segment_fixed_size 0
		.amdhsa_kernarg_size 112
		.amdhsa_user_sgpr_count 6
		.amdhsa_user_sgpr_private_segment_buffer 1
		.amdhsa_user_sgpr_dispatch_ptr 0
		.amdhsa_user_sgpr_queue_ptr 0
		.amdhsa_user_sgpr_kernarg_segment_ptr 1
		.amdhsa_user_sgpr_dispatch_id 0
		.amdhsa_user_sgpr_flat_scratch_init 0
		.amdhsa_user_sgpr_kernarg_preload_length 0
		.amdhsa_user_sgpr_kernarg_preload_offset 0
		.amdhsa_user_sgpr_private_segment_size 0
		.amdhsa_uses_dynamic_stack 0
		.amdhsa_system_sgpr_private_segment_wavefront_offset 0
		.amdhsa_system_sgpr_workgroup_id_x 1
		.amdhsa_system_sgpr_workgroup_id_y 0
		.amdhsa_system_sgpr_workgroup_id_z 0
		.amdhsa_system_sgpr_workgroup_info 0
		.amdhsa_system_vgpr_workitem_id 0
		.amdhsa_next_free_vgpr 1
		.amdhsa_next_free_sgpr 0
		.amdhsa_accum_offset 4
		.amdhsa_reserve_vcc 0
		.amdhsa_reserve_flat_scratch 0
		.amdhsa_float_round_mode_32 0
		.amdhsa_float_round_mode_16_64 0
		.amdhsa_float_denorm_mode_32 3
		.amdhsa_float_denorm_mode_16_64 3
		.amdhsa_dx10_clamp 1
		.amdhsa_ieee_mode 1
		.amdhsa_fp16_overflow 0
		.amdhsa_tg_split 0
		.amdhsa_exception_fp_ieee_invalid_op 0
		.amdhsa_exception_fp_denorm_src 0
		.amdhsa_exception_fp_ieee_div_zero 0
		.amdhsa_exception_fp_ieee_overflow 0
		.amdhsa_exception_fp_ieee_underflow 0
		.amdhsa_exception_fp_ieee_inexact 0
		.amdhsa_exception_int_div_zero 0
	.end_amdhsa_kernel
	.section	.text._ZN7rocprim17ROCPRIM_400000_NS6detail17trampoline_kernelINS0_14default_configENS1_27scan_by_key_config_selectorIj11FixedVectorIiLj1EEEEZZNS1_16scan_by_key_implILNS1_25lookback_scan_determinismE0ELb1ES3_N6thrust23THRUST_200600_302600_NS6detail15normal_iteratorINSB_10device_ptrIjEEEENSD_INSE_IS6_EEEESI_S6_NSB_4plusIvEENSB_8equal_toIvEES6_EE10hipError_tPvRmT2_T3_T4_T5_mT6_T7_P12ihipStream_tbENKUlT_T0_E_clISt17integral_constantIbLb1EES12_IbLb0EEEEDaSY_SZ_EUlSY_E_NS1_11comp_targetILNS1_3genE8ELNS1_11target_archE1030ELNS1_3gpuE2ELNS1_3repE0EEENS1_30default_config_static_selectorELNS0_4arch9wavefront6targetE1EEEvT1_,"axG",@progbits,_ZN7rocprim17ROCPRIM_400000_NS6detail17trampoline_kernelINS0_14default_configENS1_27scan_by_key_config_selectorIj11FixedVectorIiLj1EEEEZZNS1_16scan_by_key_implILNS1_25lookback_scan_determinismE0ELb1ES3_N6thrust23THRUST_200600_302600_NS6detail15normal_iteratorINSB_10device_ptrIjEEEENSD_INSE_IS6_EEEESI_S6_NSB_4plusIvEENSB_8equal_toIvEES6_EE10hipError_tPvRmT2_T3_T4_T5_mT6_T7_P12ihipStream_tbENKUlT_T0_E_clISt17integral_constantIbLb1EES12_IbLb0EEEEDaSY_SZ_EUlSY_E_NS1_11comp_targetILNS1_3genE8ELNS1_11target_archE1030ELNS1_3gpuE2ELNS1_3repE0EEENS1_30default_config_static_selectorELNS0_4arch9wavefront6targetE1EEEvT1_,comdat
.Lfunc_end1937:
	.size	_ZN7rocprim17ROCPRIM_400000_NS6detail17trampoline_kernelINS0_14default_configENS1_27scan_by_key_config_selectorIj11FixedVectorIiLj1EEEEZZNS1_16scan_by_key_implILNS1_25lookback_scan_determinismE0ELb1ES3_N6thrust23THRUST_200600_302600_NS6detail15normal_iteratorINSB_10device_ptrIjEEEENSD_INSE_IS6_EEEESI_S6_NSB_4plusIvEENSB_8equal_toIvEES6_EE10hipError_tPvRmT2_T3_T4_T5_mT6_T7_P12ihipStream_tbENKUlT_T0_E_clISt17integral_constantIbLb1EES12_IbLb0EEEEDaSY_SZ_EUlSY_E_NS1_11comp_targetILNS1_3genE8ELNS1_11target_archE1030ELNS1_3gpuE2ELNS1_3repE0EEENS1_30default_config_static_selectorELNS0_4arch9wavefront6targetE1EEEvT1_, .Lfunc_end1937-_ZN7rocprim17ROCPRIM_400000_NS6detail17trampoline_kernelINS0_14default_configENS1_27scan_by_key_config_selectorIj11FixedVectorIiLj1EEEEZZNS1_16scan_by_key_implILNS1_25lookback_scan_determinismE0ELb1ES3_N6thrust23THRUST_200600_302600_NS6detail15normal_iteratorINSB_10device_ptrIjEEEENSD_INSE_IS6_EEEESI_S6_NSB_4plusIvEENSB_8equal_toIvEES6_EE10hipError_tPvRmT2_T3_T4_T5_mT6_T7_P12ihipStream_tbENKUlT_T0_E_clISt17integral_constantIbLb1EES12_IbLb0EEEEDaSY_SZ_EUlSY_E_NS1_11comp_targetILNS1_3genE8ELNS1_11target_archE1030ELNS1_3gpuE2ELNS1_3repE0EEENS1_30default_config_static_selectorELNS0_4arch9wavefront6targetE1EEEvT1_
                                        ; -- End function
	.section	.AMDGPU.csdata,"",@progbits
; Kernel info:
; codeLenInByte = 0
; NumSgprs: 4
; NumVgprs: 0
; NumAgprs: 0
; TotalNumVgprs: 0
; ScratchSize: 0
; MemoryBound: 0
; FloatMode: 240
; IeeeMode: 1
; LDSByteSize: 0 bytes/workgroup (compile time only)
; SGPRBlocks: 0
; VGPRBlocks: 0
; NumSGPRsForWavesPerEU: 4
; NumVGPRsForWavesPerEU: 1
; AccumOffset: 4
; Occupancy: 8
; WaveLimiterHint : 0
; COMPUTE_PGM_RSRC2:SCRATCH_EN: 0
; COMPUTE_PGM_RSRC2:USER_SGPR: 6
; COMPUTE_PGM_RSRC2:TRAP_HANDLER: 0
; COMPUTE_PGM_RSRC2:TGID_X_EN: 1
; COMPUTE_PGM_RSRC2:TGID_Y_EN: 0
; COMPUTE_PGM_RSRC2:TGID_Z_EN: 0
; COMPUTE_PGM_RSRC2:TIDIG_COMP_CNT: 0
; COMPUTE_PGM_RSRC3_GFX90A:ACCUM_OFFSET: 0
; COMPUTE_PGM_RSRC3_GFX90A:TG_SPLIT: 0
	.section	.text._ZN7rocprim17ROCPRIM_400000_NS6detail17trampoline_kernelINS0_14default_configENS1_27scan_by_key_config_selectorIj11FixedVectorIiLj1EEEEZZNS1_16scan_by_key_implILNS1_25lookback_scan_determinismE0ELb1ES3_N6thrust23THRUST_200600_302600_NS6detail15normal_iteratorINSB_10device_ptrIjEEEENSD_INSE_IS6_EEEESI_S6_NSB_4plusIvEENSB_8equal_toIvEES6_EE10hipError_tPvRmT2_T3_T4_T5_mT6_T7_P12ihipStream_tbENKUlT_T0_E_clISt17integral_constantIbLb0EES12_IbLb1EEEEDaSY_SZ_EUlSY_E_NS1_11comp_targetILNS1_3genE0ELNS1_11target_archE4294967295ELNS1_3gpuE0ELNS1_3repE0EEENS1_30default_config_static_selectorELNS0_4arch9wavefront6targetE1EEEvT1_,"axG",@progbits,_ZN7rocprim17ROCPRIM_400000_NS6detail17trampoline_kernelINS0_14default_configENS1_27scan_by_key_config_selectorIj11FixedVectorIiLj1EEEEZZNS1_16scan_by_key_implILNS1_25lookback_scan_determinismE0ELb1ES3_N6thrust23THRUST_200600_302600_NS6detail15normal_iteratorINSB_10device_ptrIjEEEENSD_INSE_IS6_EEEESI_S6_NSB_4plusIvEENSB_8equal_toIvEES6_EE10hipError_tPvRmT2_T3_T4_T5_mT6_T7_P12ihipStream_tbENKUlT_T0_E_clISt17integral_constantIbLb0EES12_IbLb1EEEEDaSY_SZ_EUlSY_E_NS1_11comp_targetILNS1_3genE0ELNS1_11target_archE4294967295ELNS1_3gpuE0ELNS1_3repE0EEENS1_30default_config_static_selectorELNS0_4arch9wavefront6targetE1EEEvT1_,comdat
	.protected	_ZN7rocprim17ROCPRIM_400000_NS6detail17trampoline_kernelINS0_14default_configENS1_27scan_by_key_config_selectorIj11FixedVectorIiLj1EEEEZZNS1_16scan_by_key_implILNS1_25lookback_scan_determinismE0ELb1ES3_N6thrust23THRUST_200600_302600_NS6detail15normal_iteratorINSB_10device_ptrIjEEEENSD_INSE_IS6_EEEESI_S6_NSB_4plusIvEENSB_8equal_toIvEES6_EE10hipError_tPvRmT2_T3_T4_T5_mT6_T7_P12ihipStream_tbENKUlT_T0_E_clISt17integral_constantIbLb0EES12_IbLb1EEEEDaSY_SZ_EUlSY_E_NS1_11comp_targetILNS1_3genE0ELNS1_11target_archE4294967295ELNS1_3gpuE0ELNS1_3repE0EEENS1_30default_config_static_selectorELNS0_4arch9wavefront6targetE1EEEvT1_ ; -- Begin function _ZN7rocprim17ROCPRIM_400000_NS6detail17trampoline_kernelINS0_14default_configENS1_27scan_by_key_config_selectorIj11FixedVectorIiLj1EEEEZZNS1_16scan_by_key_implILNS1_25lookback_scan_determinismE0ELb1ES3_N6thrust23THRUST_200600_302600_NS6detail15normal_iteratorINSB_10device_ptrIjEEEENSD_INSE_IS6_EEEESI_S6_NSB_4plusIvEENSB_8equal_toIvEES6_EE10hipError_tPvRmT2_T3_T4_T5_mT6_T7_P12ihipStream_tbENKUlT_T0_E_clISt17integral_constantIbLb0EES12_IbLb1EEEEDaSY_SZ_EUlSY_E_NS1_11comp_targetILNS1_3genE0ELNS1_11target_archE4294967295ELNS1_3gpuE0ELNS1_3repE0EEENS1_30default_config_static_selectorELNS0_4arch9wavefront6targetE1EEEvT1_
	.globl	_ZN7rocprim17ROCPRIM_400000_NS6detail17trampoline_kernelINS0_14default_configENS1_27scan_by_key_config_selectorIj11FixedVectorIiLj1EEEEZZNS1_16scan_by_key_implILNS1_25lookback_scan_determinismE0ELb1ES3_N6thrust23THRUST_200600_302600_NS6detail15normal_iteratorINSB_10device_ptrIjEEEENSD_INSE_IS6_EEEESI_S6_NSB_4plusIvEENSB_8equal_toIvEES6_EE10hipError_tPvRmT2_T3_T4_T5_mT6_T7_P12ihipStream_tbENKUlT_T0_E_clISt17integral_constantIbLb0EES12_IbLb1EEEEDaSY_SZ_EUlSY_E_NS1_11comp_targetILNS1_3genE0ELNS1_11target_archE4294967295ELNS1_3gpuE0ELNS1_3repE0EEENS1_30default_config_static_selectorELNS0_4arch9wavefront6targetE1EEEvT1_
	.p2align	8
	.type	_ZN7rocprim17ROCPRIM_400000_NS6detail17trampoline_kernelINS0_14default_configENS1_27scan_by_key_config_selectorIj11FixedVectorIiLj1EEEEZZNS1_16scan_by_key_implILNS1_25lookback_scan_determinismE0ELb1ES3_N6thrust23THRUST_200600_302600_NS6detail15normal_iteratorINSB_10device_ptrIjEEEENSD_INSE_IS6_EEEESI_S6_NSB_4plusIvEENSB_8equal_toIvEES6_EE10hipError_tPvRmT2_T3_T4_T5_mT6_T7_P12ihipStream_tbENKUlT_T0_E_clISt17integral_constantIbLb0EES12_IbLb1EEEEDaSY_SZ_EUlSY_E_NS1_11comp_targetILNS1_3genE0ELNS1_11target_archE4294967295ELNS1_3gpuE0ELNS1_3repE0EEENS1_30default_config_static_selectorELNS0_4arch9wavefront6targetE1EEEvT1_,@function
_ZN7rocprim17ROCPRIM_400000_NS6detail17trampoline_kernelINS0_14default_configENS1_27scan_by_key_config_selectorIj11FixedVectorIiLj1EEEEZZNS1_16scan_by_key_implILNS1_25lookback_scan_determinismE0ELb1ES3_N6thrust23THRUST_200600_302600_NS6detail15normal_iteratorINSB_10device_ptrIjEEEENSD_INSE_IS6_EEEESI_S6_NSB_4plusIvEENSB_8equal_toIvEES6_EE10hipError_tPvRmT2_T3_T4_T5_mT6_T7_P12ihipStream_tbENKUlT_T0_E_clISt17integral_constantIbLb0EES12_IbLb1EEEEDaSY_SZ_EUlSY_E_NS1_11comp_targetILNS1_3genE0ELNS1_11target_archE4294967295ELNS1_3gpuE0ELNS1_3repE0EEENS1_30default_config_static_selectorELNS0_4arch9wavefront6targetE1EEEvT1_: ; @_ZN7rocprim17ROCPRIM_400000_NS6detail17trampoline_kernelINS0_14default_configENS1_27scan_by_key_config_selectorIj11FixedVectorIiLj1EEEEZZNS1_16scan_by_key_implILNS1_25lookback_scan_determinismE0ELb1ES3_N6thrust23THRUST_200600_302600_NS6detail15normal_iteratorINSB_10device_ptrIjEEEENSD_INSE_IS6_EEEESI_S6_NSB_4plusIvEENSB_8equal_toIvEES6_EE10hipError_tPvRmT2_T3_T4_T5_mT6_T7_P12ihipStream_tbENKUlT_T0_E_clISt17integral_constantIbLb0EES12_IbLb1EEEEDaSY_SZ_EUlSY_E_NS1_11comp_targetILNS1_3genE0ELNS1_11target_archE4294967295ELNS1_3gpuE0ELNS1_3repE0EEENS1_30default_config_static_selectorELNS0_4arch9wavefront6targetE1EEEvT1_
; %bb.0:
	.section	.rodata,"a",@progbits
	.p2align	6, 0x0
	.amdhsa_kernel _ZN7rocprim17ROCPRIM_400000_NS6detail17trampoline_kernelINS0_14default_configENS1_27scan_by_key_config_selectorIj11FixedVectorIiLj1EEEEZZNS1_16scan_by_key_implILNS1_25lookback_scan_determinismE0ELb1ES3_N6thrust23THRUST_200600_302600_NS6detail15normal_iteratorINSB_10device_ptrIjEEEENSD_INSE_IS6_EEEESI_S6_NSB_4plusIvEENSB_8equal_toIvEES6_EE10hipError_tPvRmT2_T3_T4_T5_mT6_T7_P12ihipStream_tbENKUlT_T0_E_clISt17integral_constantIbLb0EES12_IbLb1EEEEDaSY_SZ_EUlSY_E_NS1_11comp_targetILNS1_3genE0ELNS1_11target_archE4294967295ELNS1_3gpuE0ELNS1_3repE0EEENS1_30default_config_static_selectorELNS0_4arch9wavefront6targetE1EEEvT1_
		.amdhsa_group_segment_fixed_size 0
		.amdhsa_private_segment_fixed_size 0
		.amdhsa_kernarg_size 112
		.amdhsa_user_sgpr_count 6
		.amdhsa_user_sgpr_private_segment_buffer 1
		.amdhsa_user_sgpr_dispatch_ptr 0
		.amdhsa_user_sgpr_queue_ptr 0
		.amdhsa_user_sgpr_kernarg_segment_ptr 1
		.amdhsa_user_sgpr_dispatch_id 0
		.amdhsa_user_sgpr_flat_scratch_init 0
		.amdhsa_user_sgpr_kernarg_preload_length 0
		.amdhsa_user_sgpr_kernarg_preload_offset 0
		.amdhsa_user_sgpr_private_segment_size 0
		.amdhsa_uses_dynamic_stack 0
		.amdhsa_system_sgpr_private_segment_wavefront_offset 0
		.amdhsa_system_sgpr_workgroup_id_x 1
		.amdhsa_system_sgpr_workgroup_id_y 0
		.amdhsa_system_sgpr_workgroup_id_z 0
		.amdhsa_system_sgpr_workgroup_info 0
		.amdhsa_system_vgpr_workitem_id 0
		.amdhsa_next_free_vgpr 1
		.amdhsa_next_free_sgpr 0
		.amdhsa_accum_offset 4
		.amdhsa_reserve_vcc 0
		.amdhsa_reserve_flat_scratch 0
		.amdhsa_float_round_mode_32 0
		.amdhsa_float_round_mode_16_64 0
		.amdhsa_float_denorm_mode_32 3
		.amdhsa_float_denorm_mode_16_64 3
		.amdhsa_dx10_clamp 1
		.amdhsa_ieee_mode 1
		.amdhsa_fp16_overflow 0
		.amdhsa_tg_split 0
		.amdhsa_exception_fp_ieee_invalid_op 0
		.amdhsa_exception_fp_denorm_src 0
		.amdhsa_exception_fp_ieee_div_zero 0
		.amdhsa_exception_fp_ieee_overflow 0
		.amdhsa_exception_fp_ieee_underflow 0
		.amdhsa_exception_fp_ieee_inexact 0
		.amdhsa_exception_int_div_zero 0
	.end_amdhsa_kernel
	.section	.text._ZN7rocprim17ROCPRIM_400000_NS6detail17trampoline_kernelINS0_14default_configENS1_27scan_by_key_config_selectorIj11FixedVectorIiLj1EEEEZZNS1_16scan_by_key_implILNS1_25lookback_scan_determinismE0ELb1ES3_N6thrust23THRUST_200600_302600_NS6detail15normal_iteratorINSB_10device_ptrIjEEEENSD_INSE_IS6_EEEESI_S6_NSB_4plusIvEENSB_8equal_toIvEES6_EE10hipError_tPvRmT2_T3_T4_T5_mT6_T7_P12ihipStream_tbENKUlT_T0_E_clISt17integral_constantIbLb0EES12_IbLb1EEEEDaSY_SZ_EUlSY_E_NS1_11comp_targetILNS1_3genE0ELNS1_11target_archE4294967295ELNS1_3gpuE0ELNS1_3repE0EEENS1_30default_config_static_selectorELNS0_4arch9wavefront6targetE1EEEvT1_,"axG",@progbits,_ZN7rocprim17ROCPRIM_400000_NS6detail17trampoline_kernelINS0_14default_configENS1_27scan_by_key_config_selectorIj11FixedVectorIiLj1EEEEZZNS1_16scan_by_key_implILNS1_25lookback_scan_determinismE0ELb1ES3_N6thrust23THRUST_200600_302600_NS6detail15normal_iteratorINSB_10device_ptrIjEEEENSD_INSE_IS6_EEEESI_S6_NSB_4plusIvEENSB_8equal_toIvEES6_EE10hipError_tPvRmT2_T3_T4_T5_mT6_T7_P12ihipStream_tbENKUlT_T0_E_clISt17integral_constantIbLb0EES12_IbLb1EEEEDaSY_SZ_EUlSY_E_NS1_11comp_targetILNS1_3genE0ELNS1_11target_archE4294967295ELNS1_3gpuE0ELNS1_3repE0EEENS1_30default_config_static_selectorELNS0_4arch9wavefront6targetE1EEEvT1_,comdat
.Lfunc_end1938:
	.size	_ZN7rocprim17ROCPRIM_400000_NS6detail17trampoline_kernelINS0_14default_configENS1_27scan_by_key_config_selectorIj11FixedVectorIiLj1EEEEZZNS1_16scan_by_key_implILNS1_25lookback_scan_determinismE0ELb1ES3_N6thrust23THRUST_200600_302600_NS6detail15normal_iteratorINSB_10device_ptrIjEEEENSD_INSE_IS6_EEEESI_S6_NSB_4plusIvEENSB_8equal_toIvEES6_EE10hipError_tPvRmT2_T3_T4_T5_mT6_T7_P12ihipStream_tbENKUlT_T0_E_clISt17integral_constantIbLb0EES12_IbLb1EEEEDaSY_SZ_EUlSY_E_NS1_11comp_targetILNS1_3genE0ELNS1_11target_archE4294967295ELNS1_3gpuE0ELNS1_3repE0EEENS1_30default_config_static_selectorELNS0_4arch9wavefront6targetE1EEEvT1_, .Lfunc_end1938-_ZN7rocprim17ROCPRIM_400000_NS6detail17trampoline_kernelINS0_14default_configENS1_27scan_by_key_config_selectorIj11FixedVectorIiLj1EEEEZZNS1_16scan_by_key_implILNS1_25lookback_scan_determinismE0ELb1ES3_N6thrust23THRUST_200600_302600_NS6detail15normal_iteratorINSB_10device_ptrIjEEEENSD_INSE_IS6_EEEESI_S6_NSB_4plusIvEENSB_8equal_toIvEES6_EE10hipError_tPvRmT2_T3_T4_T5_mT6_T7_P12ihipStream_tbENKUlT_T0_E_clISt17integral_constantIbLb0EES12_IbLb1EEEEDaSY_SZ_EUlSY_E_NS1_11comp_targetILNS1_3genE0ELNS1_11target_archE4294967295ELNS1_3gpuE0ELNS1_3repE0EEENS1_30default_config_static_selectorELNS0_4arch9wavefront6targetE1EEEvT1_
                                        ; -- End function
	.section	.AMDGPU.csdata,"",@progbits
; Kernel info:
; codeLenInByte = 0
; NumSgprs: 4
; NumVgprs: 0
; NumAgprs: 0
; TotalNumVgprs: 0
; ScratchSize: 0
; MemoryBound: 0
; FloatMode: 240
; IeeeMode: 1
; LDSByteSize: 0 bytes/workgroup (compile time only)
; SGPRBlocks: 0
; VGPRBlocks: 0
; NumSGPRsForWavesPerEU: 4
; NumVGPRsForWavesPerEU: 1
; AccumOffset: 4
; Occupancy: 8
; WaveLimiterHint : 0
; COMPUTE_PGM_RSRC2:SCRATCH_EN: 0
; COMPUTE_PGM_RSRC2:USER_SGPR: 6
; COMPUTE_PGM_RSRC2:TRAP_HANDLER: 0
; COMPUTE_PGM_RSRC2:TGID_X_EN: 1
; COMPUTE_PGM_RSRC2:TGID_Y_EN: 0
; COMPUTE_PGM_RSRC2:TGID_Z_EN: 0
; COMPUTE_PGM_RSRC2:TIDIG_COMP_CNT: 0
; COMPUTE_PGM_RSRC3_GFX90A:ACCUM_OFFSET: 0
; COMPUTE_PGM_RSRC3_GFX90A:TG_SPLIT: 0
	.section	.text._ZN7rocprim17ROCPRIM_400000_NS6detail17trampoline_kernelINS0_14default_configENS1_27scan_by_key_config_selectorIj11FixedVectorIiLj1EEEEZZNS1_16scan_by_key_implILNS1_25lookback_scan_determinismE0ELb1ES3_N6thrust23THRUST_200600_302600_NS6detail15normal_iteratorINSB_10device_ptrIjEEEENSD_INSE_IS6_EEEESI_S6_NSB_4plusIvEENSB_8equal_toIvEES6_EE10hipError_tPvRmT2_T3_T4_T5_mT6_T7_P12ihipStream_tbENKUlT_T0_E_clISt17integral_constantIbLb0EES12_IbLb1EEEEDaSY_SZ_EUlSY_E_NS1_11comp_targetILNS1_3genE10ELNS1_11target_archE1201ELNS1_3gpuE5ELNS1_3repE0EEENS1_30default_config_static_selectorELNS0_4arch9wavefront6targetE1EEEvT1_,"axG",@progbits,_ZN7rocprim17ROCPRIM_400000_NS6detail17trampoline_kernelINS0_14default_configENS1_27scan_by_key_config_selectorIj11FixedVectorIiLj1EEEEZZNS1_16scan_by_key_implILNS1_25lookback_scan_determinismE0ELb1ES3_N6thrust23THRUST_200600_302600_NS6detail15normal_iteratorINSB_10device_ptrIjEEEENSD_INSE_IS6_EEEESI_S6_NSB_4plusIvEENSB_8equal_toIvEES6_EE10hipError_tPvRmT2_T3_T4_T5_mT6_T7_P12ihipStream_tbENKUlT_T0_E_clISt17integral_constantIbLb0EES12_IbLb1EEEEDaSY_SZ_EUlSY_E_NS1_11comp_targetILNS1_3genE10ELNS1_11target_archE1201ELNS1_3gpuE5ELNS1_3repE0EEENS1_30default_config_static_selectorELNS0_4arch9wavefront6targetE1EEEvT1_,comdat
	.protected	_ZN7rocprim17ROCPRIM_400000_NS6detail17trampoline_kernelINS0_14default_configENS1_27scan_by_key_config_selectorIj11FixedVectorIiLj1EEEEZZNS1_16scan_by_key_implILNS1_25lookback_scan_determinismE0ELb1ES3_N6thrust23THRUST_200600_302600_NS6detail15normal_iteratorINSB_10device_ptrIjEEEENSD_INSE_IS6_EEEESI_S6_NSB_4plusIvEENSB_8equal_toIvEES6_EE10hipError_tPvRmT2_T3_T4_T5_mT6_T7_P12ihipStream_tbENKUlT_T0_E_clISt17integral_constantIbLb0EES12_IbLb1EEEEDaSY_SZ_EUlSY_E_NS1_11comp_targetILNS1_3genE10ELNS1_11target_archE1201ELNS1_3gpuE5ELNS1_3repE0EEENS1_30default_config_static_selectorELNS0_4arch9wavefront6targetE1EEEvT1_ ; -- Begin function _ZN7rocprim17ROCPRIM_400000_NS6detail17trampoline_kernelINS0_14default_configENS1_27scan_by_key_config_selectorIj11FixedVectorIiLj1EEEEZZNS1_16scan_by_key_implILNS1_25lookback_scan_determinismE0ELb1ES3_N6thrust23THRUST_200600_302600_NS6detail15normal_iteratorINSB_10device_ptrIjEEEENSD_INSE_IS6_EEEESI_S6_NSB_4plusIvEENSB_8equal_toIvEES6_EE10hipError_tPvRmT2_T3_T4_T5_mT6_T7_P12ihipStream_tbENKUlT_T0_E_clISt17integral_constantIbLb0EES12_IbLb1EEEEDaSY_SZ_EUlSY_E_NS1_11comp_targetILNS1_3genE10ELNS1_11target_archE1201ELNS1_3gpuE5ELNS1_3repE0EEENS1_30default_config_static_selectorELNS0_4arch9wavefront6targetE1EEEvT1_
	.globl	_ZN7rocprim17ROCPRIM_400000_NS6detail17trampoline_kernelINS0_14default_configENS1_27scan_by_key_config_selectorIj11FixedVectorIiLj1EEEEZZNS1_16scan_by_key_implILNS1_25lookback_scan_determinismE0ELb1ES3_N6thrust23THRUST_200600_302600_NS6detail15normal_iteratorINSB_10device_ptrIjEEEENSD_INSE_IS6_EEEESI_S6_NSB_4plusIvEENSB_8equal_toIvEES6_EE10hipError_tPvRmT2_T3_T4_T5_mT6_T7_P12ihipStream_tbENKUlT_T0_E_clISt17integral_constantIbLb0EES12_IbLb1EEEEDaSY_SZ_EUlSY_E_NS1_11comp_targetILNS1_3genE10ELNS1_11target_archE1201ELNS1_3gpuE5ELNS1_3repE0EEENS1_30default_config_static_selectorELNS0_4arch9wavefront6targetE1EEEvT1_
	.p2align	8
	.type	_ZN7rocprim17ROCPRIM_400000_NS6detail17trampoline_kernelINS0_14default_configENS1_27scan_by_key_config_selectorIj11FixedVectorIiLj1EEEEZZNS1_16scan_by_key_implILNS1_25lookback_scan_determinismE0ELb1ES3_N6thrust23THRUST_200600_302600_NS6detail15normal_iteratorINSB_10device_ptrIjEEEENSD_INSE_IS6_EEEESI_S6_NSB_4plusIvEENSB_8equal_toIvEES6_EE10hipError_tPvRmT2_T3_T4_T5_mT6_T7_P12ihipStream_tbENKUlT_T0_E_clISt17integral_constantIbLb0EES12_IbLb1EEEEDaSY_SZ_EUlSY_E_NS1_11comp_targetILNS1_3genE10ELNS1_11target_archE1201ELNS1_3gpuE5ELNS1_3repE0EEENS1_30default_config_static_selectorELNS0_4arch9wavefront6targetE1EEEvT1_,@function
_ZN7rocprim17ROCPRIM_400000_NS6detail17trampoline_kernelINS0_14default_configENS1_27scan_by_key_config_selectorIj11FixedVectorIiLj1EEEEZZNS1_16scan_by_key_implILNS1_25lookback_scan_determinismE0ELb1ES3_N6thrust23THRUST_200600_302600_NS6detail15normal_iteratorINSB_10device_ptrIjEEEENSD_INSE_IS6_EEEESI_S6_NSB_4plusIvEENSB_8equal_toIvEES6_EE10hipError_tPvRmT2_T3_T4_T5_mT6_T7_P12ihipStream_tbENKUlT_T0_E_clISt17integral_constantIbLb0EES12_IbLb1EEEEDaSY_SZ_EUlSY_E_NS1_11comp_targetILNS1_3genE10ELNS1_11target_archE1201ELNS1_3gpuE5ELNS1_3repE0EEENS1_30default_config_static_selectorELNS0_4arch9wavefront6targetE1EEEvT1_: ; @_ZN7rocprim17ROCPRIM_400000_NS6detail17trampoline_kernelINS0_14default_configENS1_27scan_by_key_config_selectorIj11FixedVectorIiLj1EEEEZZNS1_16scan_by_key_implILNS1_25lookback_scan_determinismE0ELb1ES3_N6thrust23THRUST_200600_302600_NS6detail15normal_iteratorINSB_10device_ptrIjEEEENSD_INSE_IS6_EEEESI_S6_NSB_4plusIvEENSB_8equal_toIvEES6_EE10hipError_tPvRmT2_T3_T4_T5_mT6_T7_P12ihipStream_tbENKUlT_T0_E_clISt17integral_constantIbLb0EES12_IbLb1EEEEDaSY_SZ_EUlSY_E_NS1_11comp_targetILNS1_3genE10ELNS1_11target_archE1201ELNS1_3gpuE5ELNS1_3repE0EEENS1_30default_config_static_selectorELNS0_4arch9wavefront6targetE1EEEvT1_
; %bb.0:
	.section	.rodata,"a",@progbits
	.p2align	6, 0x0
	.amdhsa_kernel _ZN7rocprim17ROCPRIM_400000_NS6detail17trampoline_kernelINS0_14default_configENS1_27scan_by_key_config_selectorIj11FixedVectorIiLj1EEEEZZNS1_16scan_by_key_implILNS1_25lookback_scan_determinismE0ELb1ES3_N6thrust23THRUST_200600_302600_NS6detail15normal_iteratorINSB_10device_ptrIjEEEENSD_INSE_IS6_EEEESI_S6_NSB_4plusIvEENSB_8equal_toIvEES6_EE10hipError_tPvRmT2_T3_T4_T5_mT6_T7_P12ihipStream_tbENKUlT_T0_E_clISt17integral_constantIbLb0EES12_IbLb1EEEEDaSY_SZ_EUlSY_E_NS1_11comp_targetILNS1_3genE10ELNS1_11target_archE1201ELNS1_3gpuE5ELNS1_3repE0EEENS1_30default_config_static_selectorELNS0_4arch9wavefront6targetE1EEEvT1_
		.amdhsa_group_segment_fixed_size 0
		.amdhsa_private_segment_fixed_size 0
		.amdhsa_kernarg_size 112
		.amdhsa_user_sgpr_count 6
		.amdhsa_user_sgpr_private_segment_buffer 1
		.amdhsa_user_sgpr_dispatch_ptr 0
		.amdhsa_user_sgpr_queue_ptr 0
		.amdhsa_user_sgpr_kernarg_segment_ptr 1
		.amdhsa_user_sgpr_dispatch_id 0
		.amdhsa_user_sgpr_flat_scratch_init 0
		.amdhsa_user_sgpr_kernarg_preload_length 0
		.amdhsa_user_sgpr_kernarg_preload_offset 0
		.amdhsa_user_sgpr_private_segment_size 0
		.amdhsa_uses_dynamic_stack 0
		.amdhsa_system_sgpr_private_segment_wavefront_offset 0
		.amdhsa_system_sgpr_workgroup_id_x 1
		.amdhsa_system_sgpr_workgroup_id_y 0
		.amdhsa_system_sgpr_workgroup_id_z 0
		.amdhsa_system_sgpr_workgroup_info 0
		.amdhsa_system_vgpr_workitem_id 0
		.amdhsa_next_free_vgpr 1
		.amdhsa_next_free_sgpr 0
		.amdhsa_accum_offset 4
		.amdhsa_reserve_vcc 0
		.amdhsa_reserve_flat_scratch 0
		.amdhsa_float_round_mode_32 0
		.amdhsa_float_round_mode_16_64 0
		.amdhsa_float_denorm_mode_32 3
		.amdhsa_float_denorm_mode_16_64 3
		.amdhsa_dx10_clamp 1
		.amdhsa_ieee_mode 1
		.amdhsa_fp16_overflow 0
		.amdhsa_tg_split 0
		.amdhsa_exception_fp_ieee_invalid_op 0
		.amdhsa_exception_fp_denorm_src 0
		.amdhsa_exception_fp_ieee_div_zero 0
		.amdhsa_exception_fp_ieee_overflow 0
		.amdhsa_exception_fp_ieee_underflow 0
		.amdhsa_exception_fp_ieee_inexact 0
		.amdhsa_exception_int_div_zero 0
	.end_amdhsa_kernel
	.section	.text._ZN7rocprim17ROCPRIM_400000_NS6detail17trampoline_kernelINS0_14default_configENS1_27scan_by_key_config_selectorIj11FixedVectorIiLj1EEEEZZNS1_16scan_by_key_implILNS1_25lookback_scan_determinismE0ELb1ES3_N6thrust23THRUST_200600_302600_NS6detail15normal_iteratorINSB_10device_ptrIjEEEENSD_INSE_IS6_EEEESI_S6_NSB_4plusIvEENSB_8equal_toIvEES6_EE10hipError_tPvRmT2_T3_T4_T5_mT6_T7_P12ihipStream_tbENKUlT_T0_E_clISt17integral_constantIbLb0EES12_IbLb1EEEEDaSY_SZ_EUlSY_E_NS1_11comp_targetILNS1_3genE10ELNS1_11target_archE1201ELNS1_3gpuE5ELNS1_3repE0EEENS1_30default_config_static_selectorELNS0_4arch9wavefront6targetE1EEEvT1_,"axG",@progbits,_ZN7rocprim17ROCPRIM_400000_NS6detail17trampoline_kernelINS0_14default_configENS1_27scan_by_key_config_selectorIj11FixedVectorIiLj1EEEEZZNS1_16scan_by_key_implILNS1_25lookback_scan_determinismE0ELb1ES3_N6thrust23THRUST_200600_302600_NS6detail15normal_iteratorINSB_10device_ptrIjEEEENSD_INSE_IS6_EEEESI_S6_NSB_4plusIvEENSB_8equal_toIvEES6_EE10hipError_tPvRmT2_T3_T4_T5_mT6_T7_P12ihipStream_tbENKUlT_T0_E_clISt17integral_constantIbLb0EES12_IbLb1EEEEDaSY_SZ_EUlSY_E_NS1_11comp_targetILNS1_3genE10ELNS1_11target_archE1201ELNS1_3gpuE5ELNS1_3repE0EEENS1_30default_config_static_selectorELNS0_4arch9wavefront6targetE1EEEvT1_,comdat
.Lfunc_end1939:
	.size	_ZN7rocprim17ROCPRIM_400000_NS6detail17trampoline_kernelINS0_14default_configENS1_27scan_by_key_config_selectorIj11FixedVectorIiLj1EEEEZZNS1_16scan_by_key_implILNS1_25lookback_scan_determinismE0ELb1ES3_N6thrust23THRUST_200600_302600_NS6detail15normal_iteratorINSB_10device_ptrIjEEEENSD_INSE_IS6_EEEESI_S6_NSB_4plusIvEENSB_8equal_toIvEES6_EE10hipError_tPvRmT2_T3_T4_T5_mT6_T7_P12ihipStream_tbENKUlT_T0_E_clISt17integral_constantIbLb0EES12_IbLb1EEEEDaSY_SZ_EUlSY_E_NS1_11comp_targetILNS1_3genE10ELNS1_11target_archE1201ELNS1_3gpuE5ELNS1_3repE0EEENS1_30default_config_static_selectorELNS0_4arch9wavefront6targetE1EEEvT1_, .Lfunc_end1939-_ZN7rocprim17ROCPRIM_400000_NS6detail17trampoline_kernelINS0_14default_configENS1_27scan_by_key_config_selectorIj11FixedVectorIiLj1EEEEZZNS1_16scan_by_key_implILNS1_25lookback_scan_determinismE0ELb1ES3_N6thrust23THRUST_200600_302600_NS6detail15normal_iteratorINSB_10device_ptrIjEEEENSD_INSE_IS6_EEEESI_S6_NSB_4plusIvEENSB_8equal_toIvEES6_EE10hipError_tPvRmT2_T3_T4_T5_mT6_T7_P12ihipStream_tbENKUlT_T0_E_clISt17integral_constantIbLb0EES12_IbLb1EEEEDaSY_SZ_EUlSY_E_NS1_11comp_targetILNS1_3genE10ELNS1_11target_archE1201ELNS1_3gpuE5ELNS1_3repE0EEENS1_30default_config_static_selectorELNS0_4arch9wavefront6targetE1EEEvT1_
                                        ; -- End function
	.section	.AMDGPU.csdata,"",@progbits
; Kernel info:
; codeLenInByte = 0
; NumSgprs: 4
; NumVgprs: 0
; NumAgprs: 0
; TotalNumVgprs: 0
; ScratchSize: 0
; MemoryBound: 0
; FloatMode: 240
; IeeeMode: 1
; LDSByteSize: 0 bytes/workgroup (compile time only)
; SGPRBlocks: 0
; VGPRBlocks: 0
; NumSGPRsForWavesPerEU: 4
; NumVGPRsForWavesPerEU: 1
; AccumOffset: 4
; Occupancy: 8
; WaveLimiterHint : 0
; COMPUTE_PGM_RSRC2:SCRATCH_EN: 0
; COMPUTE_PGM_RSRC2:USER_SGPR: 6
; COMPUTE_PGM_RSRC2:TRAP_HANDLER: 0
; COMPUTE_PGM_RSRC2:TGID_X_EN: 1
; COMPUTE_PGM_RSRC2:TGID_Y_EN: 0
; COMPUTE_PGM_RSRC2:TGID_Z_EN: 0
; COMPUTE_PGM_RSRC2:TIDIG_COMP_CNT: 0
; COMPUTE_PGM_RSRC3_GFX90A:ACCUM_OFFSET: 0
; COMPUTE_PGM_RSRC3_GFX90A:TG_SPLIT: 0
	.section	.text._ZN7rocprim17ROCPRIM_400000_NS6detail17trampoline_kernelINS0_14default_configENS1_27scan_by_key_config_selectorIj11FixedVectorIiLj1EEEEZZNS1_16scan_by_key_implILNS1_25lookback_scan_determinismE0ELb1ES3_N6thrust23THRUST_200600_302600_NS6detail15normal_iteratorINSB_10device_ptrIjEEEENSD_INSE_IS6_EEEESI_S6_NSB_4plusIvEENSB_8equal_toIvEES6_EE10hipError_tPvRmT2_T3_T4_T5_mT6_T7_P12ihipStream_tbENKUlT_T0_E_clISt17integral_constantIbLb0EES12_IbLb1EEEEDaSY_SZ_EUlSY_E_NS1_11comp_targetILNS1_3genE5ELNS1_11target_archE942ELNS1_3gpuE9ELNS1_3repE0EEENS1_30default_config_static_selectorELNS0_4arch9wavefront6targetE1EEEvT1_,"axG",@progbits,_ZN7rocprim17ROCPRIM_400000_NS6detail17trampoline_kernelINS0_14default_configENS1_27scan_by_key_config_selectorIj11FixedVectorIiLj1EEEEZZNS1_16scan_by_key_implILNS1_25lookback_scan_determinismE0ELb1ES3_N6thrust23THRUST_200600_302600_NS6detail15normal_iteratorINSB_10device_ptrIjEEEENSD_INSE_IS6_EEEESI_S6_NSB_4plusIvEENSB_8equal_toIvEES6_EE10hipError_tPvRmT2_T3_T4_T5_mT6_T7_P12ihipStream_tbENKUlT_T0_E_clISt17integral_constantIbLb0EES12_IbLb1EEEEDaSY_SZ_EUlSY_E_NS1_11comp_targetILNS1_3genE5ELNS1_11target_archE942ELNS1_3gpuE9ELNS1_3repE0EEENS1_30default_config_static_selectorELNS0_4arch9wavefront6targetE1EEEvT1_,comdat
	.protected	_ZN7rocprim17ROCPRIM_400000_NS6detail17trampoline_kernelINS0_14default_configENS1_27scan_by_key_config_selectorIj11FixedVectorIiLj1EEEEZZNS1_16scan_by_key_implILNS1_25lookback_scan_determinismE0ELb1ES3_N6thrust23THRUST_200600_302600_NS6detail15normal_iteratorINSB_10device_ptrIjEEEENSD_INSE_IS6_EEEESI_S6_NSB_4plusIvEENSB_8equal_toIvEES6_EE10hipError_tPvRmT2_T3_T4_T5_mT6_T7_P12ihipStream_tbENKUlT_T0_E_clISt17integral_constantIbLb0EES12_IbLb1EEEEDaSY_SZ_EUlSY_E_NS1_11comp_targetILNS1_3genE5ELNS1_11target_archE942ELNS1_3gpuE9ELNS1_3repE0EEENS1_30default_config_static_selectorELNS0_4arch9wavefront6targetE1EEEvT1_ ; -- Begin function _ZN7rocprim17ROCPRIM_400000_NS6detail17trampoline_kernelINS0_14default_configENS1_27scan_by_key_config_selectorIj11FixedVectorIiLj1EEEEZZNS1_16scan_by_key_implILNS1_25lookback_scan_determinismE0ELb1ES3_N6thrust23THRUST_200600_302600_NS6detail15normal_iteratorINSB_10device_ptrIjEEEENSD_INSE_IS6_EEEESI_S6_NSB_4plusIvEENSB_8equal_toIvEES6_EE10hipError_tPvRmT2_T3_T4_T5_mT6_T7_P12ihipStream_tbENKUlT_T0_E_clISt17integral_constantIbLb0EES12_IbLb1EEEEDaSY_SZ_EUlSY_E_NS1_11comp_targetILNS1_3genE5ELNS1_11target_archE942ELNS1_3gpuE9ELNS1_3repE0EEENS1_30default_config_static_selectorELNS0_4arch9wavefront6targetE1EEEvT1_
	.globl	_ZN7rocprim17ROCPRIM_400000_NS6detail17trampoline_kernelINS0_14default_configENS1_27scan_by_key_config_selectorIj11FixedVectorIiLj1EEEEZZNS1_16scan_by_key_implILNS1_25lookback_scan_determinismE0ELb1ES3_N6thrust23THRUST_200600_302600_NS6detail15normal_iteratorINSB_10device_ptrIjEEEENSD_INSE_IS6_EEEESI_S6_NSB_4plusIvEENSB_8equal_toIvEES6_EE10hipError_tPvRmT2_T3_T4_T5_mT6_T7_P12ihipStream_tbENKUlT_T0_E_clISt17integral_constantIbLb0EES12_IbLb1EEEEDaSY_SZ_EUlSY_E_NS1_11comp_targetILNS1_3genE5ELNS1_11target_archE942ELNS1_3gpuE9ELNS1_3repE0EEENS1_30default_config_static_selectorELNS0_4arch9wavefront6targetE1EEEvT1_
	.p2align	8
	.type	_ZN7rocprim17ROCPRIM_400000_NS6detail17trampoline_kernelINS0_14default_configENS1_27scan_by_key_config_selectorIj11FixedVectorIiLj1EEEEZZNS1_16scan_by_key_implILNS1_25lookback_scan_determinismE0ELb1ES3_N6thrust23THRUST_200600_302600_NS6detail15normal_iteratorINSB_10device_ptrIjEEEENSD_INSE_IS6_EEEESI_S6_NSB_4plusIvEENSB_8equal_toIvEES6_EE10hipError_tPvRmT2_T3_T4_T5_mT6_T7_P12ihipStream_tbENKUlT_T0_E_clISt17integral_constantIbLb0EES12_IbLb1EEEEDaSY_SZ_EUlSY_E_NS1_11comp_targetILNS1_3genE5ELNS1_11target_archE942ELNS1_3gpuE9ELNS1_3repE0EEENS1_30default_config_static_selectorELNS0_4arch9wavefront6targetE1EEEvT1_,@function
_ZN7rocprim17ROCPRIM_400000_NS6detail17trampoline_kernelINS0_14default_configENS1_27scan_by_key_config_selectorIj11FixedVectorIiLj1EEEEZZNS1_16scan_by_key_implILNS1_25lookback_scan_determinismE0ELb1ES3_N6thrust23THRUST_200600_302600_NS6detail15normal_iteratorINSB_10device_ptrIjEEEENSD_INSE_IS6_EEEESI_S6_NSB_4plusIvEENSB_8equal_toIvEES6_EE10hipError_tPvRmT2_T3_T4_T5_mT6_T7_P12ihipStream_tbENKUlT_T0_E_clISt17integral_constantIbLb0EES12_IbLb1EEEEDaSY_SZ_EUlSY_E_NS1_11comp_targetILNS1_3genE5ELNS1_11target_archE942ELNS1_3gpuE9ELNS1_3repE0EEENS1_30default_config_static_selectorELNS0_4arch9wavefront6targetE1EEEvT1_: ; @_ZN7rocprim17ROCPRIM_400000_NS6detail17trampoline_kernelINS0_14default_configENS1_27scan_by_key_config_selectorIj11FixedVectorIiLj1EEEEZZNS1_16scan_by_key_implILNS1_25lookback_scan_determinismE0ELb1ES3_N6thrust23THRUST_200600_302600_NS6detail15normal_iteratorINSB_10device_ptrIjEEEENSD_INSE_IS6_EEEESI_S6_NSB_4plusIvEENSB_8equal_toIvEES6_EE10hipError_tPvRmT2_T3_T4_T5_mT6_T7_P12ihipStream_tbENKUlT_T0_E_clISt17integral_constantIbLb0EES12_IbLb1EEEEDaSY_SZ_EUlSY_E_NS1_11comp_targetILNS1_3genE5ELNS1_11target_archE942ELNS1_3gpuE9ELNS1_3repE0EEENS1_30default_config_static_selectorELNS0_4arch9wavefront6targetE1EEEvT1_
; %bb.0:
	.section	.rodata,"a",@progbits
	.p2align	6, 0x0
	.amdhsa_kernel _ZN7rocprim17ROCPRIM_400000_NS6detail17trampoline_kernelINS0_14default_configENS1_27scan_by_key_config_selectorIj11FixedVectorIiLj1EEEEZZNS1_16scan_by_key_implILNS1_25lookback_scan_determinismE0ELb1ES3_N6thrust23THRUST_200600_302600_NS6detail15normal_iteratorINSB_10device_ptrIjEEEENSD_INSE_IS6_EEEESI_S6_NSB_4plusIvEENSB_8equal_toIvEES6_EE10hipError_tPvRmT2_T3_T4_T5_mT6_T7_P12ihipStream_tbENKUlT_T0_E_clISt17integral_constantIbLb0EES12_IbLb1EEEEDaSY_SZ_EUlSY_E_NS1_11comp_targetILNS1_3genE5ELNS1_11target_archE942ELNS1_3gpuE9ELNS1_3repE0EEENS1_30default_config_static_selectorELNS0_4arch9wavefront6targetE1EEEvT1_
		.amdhsa_group_segment_fixed_size 0
		.amdhsa_private_segment_fixed_size 0
		.amdhsa_kernarg_size 112
		.amdhsa_user_sgpr_count 6
		.amdhsa_user_sgpr_private_segment_buffer 1
		.amdhsa_user_sgpr_dispatch_ptr 0
		.amdhsa_user_sgpr_queue_ptr 0
		.amdhsa_user_sgpr_kernarg_segment_ptr 1
		.amdhsa_user_sgpr_dispatch_id 0
		.amdhsa_user_sgpr_flat_scratch_init 0
		.amdhsa_user_sgpr_kernarg_preload_length 0
		.amdhsa_user_sgpr_kernarg_preload_offset 0
		.amdhsa_user_sgpr_private_segment_size 0
		.amdhsa_uses_dynamic_stack 0
		.amdhsa_system_sgpr_private_segment_wavefront_offset 0
		.amdhsa_system_sgpr_workgroup_id_x 1
		.amdhsa_system_sgpr_workgroup_id_y 0
		.amdhsa_system_sgpr_workgroup_id_z 0
		.amdhsa_system_sgpr_workgroup_info 0
		.amdhsa_system_vgpr_workitem_id 0
		.amdhsa_next_free_vgpr 1
		.amdhsa_next_free_sgpr 0
		.amdhsa_accum_offset 4
		.amdhsa_reserve_vcc 0
		.amdhsa_reserve_flat_scratch 0
		.amdhsa_float_round_mode_32 0
		.amdhsa_float_round_mode_16_64 0
		.amdhsa_float_denorm_mode_32 3
		.amdhsa_float_denorm_mode_16_64 3
		.amdhsa_dx10_clamp 1
		.amdhsa_ieee_mode 1
		.amdhsa_fp16_overflow 0
		.amdhsa_tg_split 0
		.amdhsa_exception_fp_ieee_invalid_op 0
		.amdhsa_exception_fp_denorm_src 0
		.amdhsa_exception_fp_ieee_div_zero 0
		.amdhsa_exception_fp_ieee_overflow 0
		.amdhsa_exception_fp_ieee_underflow 0
		.amdhsa_exception_fp_ieee_inexact 0
		.amdhsa_exception_int_div_zero 0
	.end_amdhsa_kernel
	.section	.text._ZN7rocprim17ROCPRIM_400000_NS6detail17trampoline_kernelINS0_14default_configENS1_27scan_by_key_config_selectorIj11FixedVectorIiLj1EEEEZZNS1_16scan_by_key_implILNS1_25lookback_scan_determinismE0ELb1ES3_N6thrust23THRUST_200600_302600_NS6detail15normal_iteratorINSB_10device_ptrIjEEEENSD_INSE_IS6_EEEESI_S6_NSB_4plusIvEENSB_8equal_toIvEES6_EE10hipError_tPvRmT2_T3_T4_T5_mT6_T7_P12ihipStream_tbENKUlT_T0_E_clISt17integral_constantIbLb0EES12_IbLb1EEEEDaSY_SZ_EUlSY_E_NS1_11comp_targetILNS1_3genE5ELNS1_11target_archE942ELNS1_3gpuE9ELNS1_3repE0EEENS1_30default_config_static_selectorELNS0_4arch9wavefront6targetE1EEEvT1_,"axG",@progbits,_ZN7rocprim17ROCPRIM_400000_NS6detail17trampoline_kernelINS0_14default_configENS1_27scan_by_key_config_selectorIj11FixedVectorIiLj1EEEEZZNS1_16scan_by_key_implILNS1_25lookback_scan_determinismE0ELb1ES3_N6thrust23THRUST_200600_302600_NS6detail15normal_iteratorINSB_10device_ptrIjEEEENSD_INSE_IS6_EEEESI_S6_NSB_4plusIvEENSB_8equal_toIvEES6_EE10hipError_tPvRmT2_T3_T4_T5_mT6_T7_P12ihipStream_tbENKUlT_T0_E_clISt17integral_constantIbLb0EES12_IbLb1EEEEDaSY_SZ_EUlSY_E_NS1_11comp_targetILNS1_3genE5ELNS1_11target_archE942ELNS1_3gpuE9ELNS1_3repE0EEENS1_30default_config_static_selectorELNS0_4arch9wavefront6targetE1EEEvT1_,comdat
.Lfunc_end1940:
	.size	_ZN7rocprim17ROCPRIM_400000_NS6detail17trampoline_kernelINS0_14default_configENS1_27scan_by_key_config_selectorIj11FixedVectorIiLj1EEEEZZNS1_16scan_by_key_implILNS1_25lookback_scan_determinismE0ELb1ES3_N6thrust23THRUST_200600_302600_NS6detail15normal_iteratorINSB_10device_ptrIjEEEENSD_INSE_IS6_EEEESI_S6_NSB_4plusIvEENSB_8equal_toIvEES6_EE10hipError_tPvRmT2_T3_T4_T5_mT6_T7_P12ihipStream_tbENKUlT_T0_E_clISt17integral_constantIbLb0EES12_IbLb1EEEEDaSY_SZ_EUlSY_E_NS1_11comp_targetILNS1_3genE5ELNS1_11target_archE942ELNS1_3gpuE9ELNS1_3repE0EEENS1_30default_config_static_selectorELNS0_4arch9wavefront6targetE1EEEvT1_, .Lfunc_end1940-_ZN7rocprim17ROCPRIM_400000_NS6detail17trampoline_kernelINS0_14default_configENS1_27scan_by_key_config_selectorIj11FixedVectorIiLj1EEEEZZNS1_16scan_by_key_implILNS1_25lookback_scan_determinismE0ELb1ES3_N6thrust23THRUST_200600_302600_NS6detail15normal_iteratorINSB_10device_ptrIjEEEENSD_INSE_IS6_EEEESI_S6_NSB_4plusIvEENSB_8equal_toIvEES6_EE10hipError_tPvRmT2_T3_T4_T5_mT6_T7_P12ihipStream_tbENKUlT_T0_E_clISt17integral_constantIbLb0EES12_IbLb1EEEEDaSY_SZ_EUlSY_E_NS1_11comp_targetILNS1_3genE5ELNS1_11target_archE942ELNS1_3gpuE9ELNS1_3repE0EEENS1_30default_config_static_selectorELNS0_4arch9wavefront6targetE1EEEvT1_
                                        ; -- End function
	.section	.AMDGPU.csdata,"",@progbits
; Kernel info:
; codeLenInByte = 0
; NumSgprs: 4
; NumVgprs: 0
; NumAgprs: 0
; TotalNumVgprs: 0
; ScratchSize: 0
; MemoryBound: 0
; FloatMode: 240
; IeeeMode: 1
; LDSByteSize: 0 bytes/workgroup (compile time only)
; SGPRBlocks: 0
; VGPRBlocks: 0
; NumSGPRsForWavesPerEU: 4
; NumVGPRsForWavesPerEU: 1
; AccumOffset: 4
; Occupancy: 8
; WaveLimiterHint : 0
; COMPUTE_PGM_RSRC2:SCRATCH_EN: 0
; COMPUTE_PGM_RSRC2:USER_SGPR: 6
; COMPUTE_PGM_RSRC2:TRAP_HANDLER: 0
; COMPUTE_PGM_RSRC2:TGID_X_EN: 1
; COMPUTE_PGM_RSRC2:TGID_Y_EN: 0
; COMPUTE_PGM_RSRC2:TGID_Z_EN: 0
; COMPUTE_PGM_RSRC2:TIDIG_COMP_CNT: 0
; COMPUTE_PGM_RSRC3_GFX90A:ACCUM_OFFSET: 0
; COMPUTE_PGM_RSRC3_GFX90A:TG_SPLIT: 0
	.section	.text._ZN7rocprim17ROCPRIM_400000_NS6detail17trampoline_kernelINS0_14default_configENS1_27scan_by_key_config_selectorIj11FixedVectorIiLj1EEEEZZNS1_16scan_by_key_implILNS1_25lookback_scan_determinismE0ELb1ES3_N6thrust23THRUST_200600_302600_NS6detail15normal_iteratorINSB_10device_ptrIjEEEENSD_INSE_IS6_EEEESI_S6_NSB_4plusIvEENSB_8equal_toIvEES6_EE10hipError_tPvRmT2_T3_T4_T5_mT6_T7_P12ihipStream_tbENKUlT_T0_E_clISt17integral_constantIbLb0EES12_IbLb1EEEEDaSY_SZ_EUlSY_E_NS1_11comp_targetILNS1_3genE4ELNS1_11target_archE910ELNS1_3gpuE8ELNS1_3repE0EEENS1_30default_config_static_selectorELNS0_4arch9wavefront6targetE1EEEvT1_,"axG",@progbits,_ZN7rocprim17ROCPRIM_400000_NS6detail17trampoline_kernelINS0_14default_configENS1_27scan_by_key_config_selectorIj11FixedVectorIiLj1EEEEZZNS1_16scan_by_key_implILNS1_25lookback_scan_determinismE0ELb1ES3_N6thrust23THRUST_200600_302600_NS6detail15normal_iteratorINSB_10device_ptrIjEEEENSD_INSE_IS6_EEEESI_S6_NSB_4plusIvEENSB_8equal_toIvEES6_EE10hipError_tPvRmT2_T3_T4_T5_mT6_T7_P12ihipStream_tbENKUlT_T0_E_clISt17integral_constantIbLb0EES12_IbLb1EEEEDaSY_SZ_EUlSY_E_NS1_11comp_targetILNS1_3genE4ELNS1_11target_archE910ELNS1_3gpuE8ELNS1_3repE0EEENS1_30default_config_static_selectorELNS0_4arch9wavefront6targetE1EEEvT1_,comdat
	.protected	_ZN7rocprim17ROCPRIM_400000_NS6detail17trampoline_kernelINS0_14default_configENS1_27scan_by_key_config_selectorIj11FixedVectorIiLj1EEEEZZNS1_16scan_by_key_implILNS1_25lookback_scan_determinismE0ELb1ES3_N6thrust23THRUST_200600_302600_NS6detail15normal_iteratorINSB_10device_ptrIjEEEENSD_INSE_IS6_EEEESI_S6_NSB_4plusIvEENSB_8equal_toIvEES6_EE10hipError_tPvRmT2_T3_T4_T5_mT6_T7_P12ihipStream_tbENKUlT_T0_E_clISt17integral_constantIbLb0EES12_IbLb1EEEEDaSY_SZ_EUlSY_E_NS1_11comp_targetILNS1_3genE4ELNS1_11target_archE910ELNS1_3gpuE8ELNS1_3repE0EEENS1_30default_config_static_selectorELNS0_4arch9wavefront6targetE1EEEvT1_ ; -- Begin function _ZN7rocprim17ROCPRIM_400000_NS6detail17trampoline_kernelINS0_14default_configENS1_27scan_by_key_config_selectorIj11FixedVectorIiLj1EEEEZZNS1_16scan_by_key_implILNS1_25lookback_scan_determinismE0ELb1ES3_N6thrust23THRUST_200600_302600_NS6detail15normal_iteratorINSB_10device_ptrIjEEEENSD_INSE_IS6_EEEESI_S6_NSB_4plusIvEENSB_8equal_toIvEES6_EE10hipError_tPvRmT2_T3_T4_T5_mT6_T7_P12ihipStream_tbENKUlT_T0_E_clISt17integral_constantIbLb0EES12_IbLb1EEEEDaSY_SZ_EUlSY_E_NS1_11comp_targetILNS1_3genE4ELNS1_11target_archE910ELNS1_3gpuE8ELNS1_3repE0EEENS1_30default_config_static_selectorELNS0_4arch9wavefront6targetE1EEEvT1_
	.globl	_ZN7rocprim17ROCPRIM_400000_NS6detail17trampoline_kernelINS0_14default_configENS1_27scan_by_key_config_selectorIj11FixedVectorIiLj1EEEEZZNS1_16scan_by_key_implILNS1_25lookback_scan_determinismE0ELb1ES3_N6thrust23THRUST_200600_302600_NS6detail15normal_iteratorINSB_10device_ptrIjEEEENSD_INSE_IS6_EEEESI_S6_NSB_4plusIvEENSB_8equal_toIvEES6_EE10hipError_tPvRmT2_T3_T4_T5_mT6_T7_P12ihipStream_tbENKUlT_T0_E_clISt17integral_constantIbLb0EES12_IbLb1EEEEDaSY_SZ_EUlSY_E_NS1_11comp_targetILNS1_3genE4ELNS1_11target_archE910ELNS1_3gpuE8ELNS1_3repE0EEENS1_30default_config_static_selectorELNS0_4arch9wavefront6targetE1EEEvT1_
	.p2align	8
	.type	_ZN7rocprim17ROCPRIM_400000_NS6detail17trampoline_kernelINS0_14default_configENS1_27scan_by_key_config_selectorIj11FixedVectorIiLj1EEEEZZNS1_16scan_by_key_implILNS1_25lookback_scan_determinismE0ELb1ES3_N6thrust23THRUST_200600_302600_NS6detail15normal_iteratorINSB_10device_ptrIjEEEENSD_INSE_IS6_EEEESI_S6_NSB_4plusIvEENSB_8equal_toIvEES6_EE10hipError_tPvRmT2_T3_T4_T5_mT6_T7_P12ihipStream_tbENKUlT_T0_E_clISt17integral_constantIbLb0EES12_IbLb1EEEEDaSY_SZ_EUlSY_E_NS1_11comp_targetILNS1_3genE4ELNS1_11target_archE910ELNS1_3gpuE8ELNS1_3repE0EEENS1_30default_config_static_selectorELNS0_4arch9wavefront6targetE1EEEvT1_,@function
_ZN7rocprim17ROCPRIM_400000_NS6detail17trampoline_kernelINS0_14default_configENS1_27scan_by_key_config_selectorIj11FixedVectorIiLj1EEEEZZNS1_16scan_by_key_implILNS1_25lookback_scan_determinismE0ELb1ES3_N6thrust23THRUST_200600_302600_NS6detail15normal_iteratorINSB_10device_ptrIjEEEENSD_INSE_IS6_EEEESI_S6_NSB_4plusIvEENSB_8equal_toIvEES6_EE10hipError_tPvRmT2_T3_T4_T5_mT6_T7_P12ihipStream_tbENKUlT_T0_E_clISt17integral_constantIbLb0EES12_IbLb1EEEEDaSY_SZ_EUlSY_E_NS1_11comp_targetILNS1_3genE4ELNS1_11target_archE910ELNS1_3gpuE8ELNS1_3repE0EEENS1_30default_config_static_selectorELNS0_4arch9wavefront6targetE1EEEvT1_: ; @_ZN7rocprim17ROCPRIM_400000_NS6detail17trampoline_kernelINS0_14default_configENS1_27scan_by_key_config_selectorIj11FixedVectorIiLj1EEEEZZNS1_16scan_by_key_implILNS1_25lookback_scan_determinismE0ELb1ES3_N6thrust23THRUST_200600_302600_NS6detail15normal_iteratorINSB_10device_ptrIjEEEENSD_INSE_IS6_EEEESI_S6_NSB_4plusIvEENSB_8equal_toIvEES6_EE10hipError_tPvRmT2_T3_T4_T5_mT6_T7_P12ihipStream_tbENKUlT_T0_E_clISt17integral_constantIbLb0EES12_IbLb1EEEEDaSY_SZ_EUlSY_E_NS1_11comp_targetILNS1_3genE4ELNS1_11target_archE910ELNS1_3gpuE8ELNS1_3repE0EEENS1_30default_config_static_selectorELNS0_4arch9wavefront6targetE1EEEvT1_
; %bb.0:
	s_load_dword s54, s[4:5], 0x20
	s_load_dwordx4 s[44:47], s[4:5], 0x28
	s_load_dwordx2 s[52:53], s[4:5], 0x38
	v_cmp_eq_u32_e64 s[0:1], 0, v0
	s_and_saveexec_b64 s[2:3], s[0:1]
	s_cbranch_execz .LBB1941_4
; %bb.1:
	s_mov_b64 s[8:9], exec
	v_mbcnt_lo_u32_b32 v1, s8, 0
	v_mbcnt_hi_u32_b32 v1, s9, v1
	v_cmp_eq_u32_e32 vcc, 0, v1
                                        ; implicit-def: $vgpr2
	s_and_saveexec_b64 s[6:7], vcc
	s_cbranch_execz .LBB1941_3
; %bb.2:
	s_load_dwordx2 s[10:11], s[4:5], 0x68
	s_bcnt1_i32_b64 s8, s[8:9]
	v_mov_b32_e32 v2, 0
	v_mov_b32_e32 v3, s8
	s_waitcnt lgkmcnt(0)
	global_atomic_add v2, v2, v3, s[10:11] glc
.LBB1941_3:
	s_or_b64 exec, exec, s[6:7]
	s_waitcnt vmcnt(0)
	v_readfirstlane_b32 s6, v2
	v_add_u32_e32 v1, s6, v1
	v_mov_b32_e32 v2, 0
	ds_write_b32 v2, v1
.LBB1941_4:
	s_or_b64 exec, exec, s[2:3]
	s_load_dwordx8 s[36:43], s[4:5], 0x0
	s_load_dword s2, s[4:5], 0x40
	s_load_dwordx4 s[48:51], s[4:5], 0x48
	v_mov_b32_e32 v3, 0
	s_waitcnt lgkmcnt(0)
	s_lshl_b64 s[34:35], s[38:39], 2
	s_barrier
	ds_read_b32 v4, v3
	s_add_u32 s3, s36, s34
	s_addc_u32 s4, s37, s35
	s_add_u32 s5, s40, s34
	s_mul_i32 s7, s53, s2
	s_mul_hi_u32 s8, s52, s2
	s_addc_u32 s6, s41, s35
	s_add_i32 s7, s8, s7
	s_movk_i32 s8, 0xe00
	s_waitcnt lgkmcnt(0)
	v_mul_lo_u32 v2, v4, s8
	v_lshlrev_b64 v[38:39], 2, v[2:3]
	v_mov_b32_e32 v1, s4
	v_add_co_u32_e32 v42, vcc, s3, v38
	v_addc_co_u32_e32 v43, vcc, v1, v39, vcc
	v_mov_b32_e32 v2, s6
	v_add_co_u32_e32 v1, vcc, s5, v38
	s_mul_i32 s2, s52, s2
	v_addc_co_u32_e32 v48, vcc, v2, v39, vcc
	v_mov_b32_e32 v3, s7
	v_add_co_u32_e32 v2, vcc, s2, v4
	s_add_u32 s4, s48, -1
	v_addc_co_u32_e32 v3, vcc, 0, v3, vcc
	s_addc_u32 s5, s49, -1
	v_cmp_le_u64_e64 s[2:3], s[4:5], v[2:3]
	v_readfirstlane_b32 s47, v4
	s_mov_b64 s[12:13], -1
	s_and_b64 vcc, exec, s[2:3]
	s_mul_i32 s33, s4, 0xfffff200
	s_barrier
	s_barrier
	s_cbranch_vccz .LBB1941_92
; %bb.5:
	flat_load_dword v13, v[42:43]
	s_add_i32 s40, s33, s46
	v_cmp_gt_u32_e32 vcc, s40, v0
	s_waitcnt vmcnt(0) lgkmcnt(0)
	v_mov_b32_e32 v14, v13
	s_and_saveexec_b64 s[6:7], vcc
	s_cbranch_execz .LBB1941_7
; %bb.6:
	v_lshlrev_b32_e32 v2, 2, v0
	v_add_co_u32_e64 v2, s[4:5], v42, v2
	v_addc_co_u32_e64 v3, s[4:5], 0, v43, s[4:5]
	flat_load_dword v14, v[2:3]
.LBB1941_7:
	s_or_b64 exec, exec, s[6:7]
	v_or_b32_e32 v2, 0x100, v0
	v_cmp_gt_u32_e64 s[4:5], s40, v2
	v_mov_b32_e32 v15, v13
	s_and_saveexec_b64 s[8:9], s[4:5]
	s_cbranch_execz .LBB1941_9
; %bb.8:
	v_lshlrev_b32_e32 v2, 2, v0
	v_add_co_u32_e64 v2, s[6:7], v42, v2
	v_addc_co_u32_e64 v3, s[6:7], 0, v43, s[6:7]
	flat_load_dword v15, v[2:3] offset:1024
.LBB1941_9:
	s_or_b64 exec, exec, s[8:9]
	v_or_b32_e32 v2, 0x200, v0
	v_cmp_gt_u32_e64 s[6:7], s40, v2
	v_mov_b32_e32 v16, v13
	s_and_saveexec_b64 s[10:11], s[6:7]
	s_cbranch_execz .LBB1941_11
; %bb.10:
	v_lshlrev_b32_e32 v2, 2, v0
	v_add_co_u32_e64 v2, s[8:9], v42, v2
	v_addc_co_u32_e64 v3, s[8:9], 0, v43, s[8:9]
	flat_load_dword v16, v[2:3] offset:2048
.LBB1941_11:
	;; [unrolled: 12-line block ×3, first 2 shown]
	s_or_b64 exec, exec, s[12:13]
	v_or_b32_e32 v2, 0x400, v0
	v_cmp_gt_u32_e64 s[10:11], s40, v2
	v_lshlrev_b32_e32 v2, 2, v2
	v_mov_b32_e32 v18, v13
	s_and_saveexec_b64 s[14:15], s[10:11]
	s_cbranch_execz .LBB1941_15
; %bb.14:
	v_add_co_u32_e64 v4, s[12:13], v42, v2
	v_addc_co_u32_e64 v5, s[12:13], 0, v43, s[12:13]
	flat_load_dword v18, v[4:5]
.LBB1941_15:
	s_or_b64 exec, exec, s[14:15]
	v_or_b32_e32 v3, 0x500, v0
	v_cmp_gt_u32_e64 s[12:13], s40, v3
	v_lshlrev_b32_e32 v3, 2, v3
	v_mov_b32_e32 v19, v13
	s_and_saveexec_b64 s[16:17], s[12:13]
	s_cbranch_execz .LBB1941_17
; %bb.16:
	v_add_co_u32_e64 v4, s[14:15], v42, v3
	v_addc_co_u32_e64 v5, s[14:15], 0, v43, s[14:15]
	flat_load_dword v19, v[4:5]
.LBB1941_17:
	;; [unrolled: 12-line block ×9, first 2 shown]
	s_or_b64 exec, exec, s[30:31]
	v_or_b32_e32 v11, 0xd00, v0
	v_cmp_gt_u32_e64 s[28:29], s40, v11
	v_lshlrev_b32_e32 v11, 2, v11
	s_and_saveexec_b64 s[36:37], s[28:29]
	s_cbranch_execz .LBB1941_33
; %bb.32:
	v_add_co_u32_e64 v12, s[30:31], v42, v11
	v_addc_co_u32_e64 v13, s[30:31], 0, v43, s[30:31]
	flat_load_dword v13, v[12:13]
.LBB1941_33:
	s_or_b64 exec, exec, s[36:37]
	v_lshlrev_b32_e32 v12, 2, v0
	s_waitcnt vmcnt(0) lgkmcnt(0)
	ds_write2st64_b32 v12, v14, v15 offset1:4
	ds_write2st64_b32 v12, v16, v17 offset0:8 offset1:12
	ds_write2st64_b32 v12, v18, v19 offset0:16 offset1:20
	;; [unrolled: 1-line block ×6, first 2 shown]
	s_waitcnt lgkmcnt(0)
	s_barrier
	flat_load_dword v49, v[42:43]
	v_mad_u32_u24 v50, v0, 52, v12
	s_movk_i32 s30, 0xffcc
	ds_read2_b64 v[34:37], v50 offset1:1
	ds_read2_b64 v[30:33], v50 offset0:2 offset1:3
	ds_read2_b64 v[26:29], v50 offset0:4 offset1:5
	ds_read_b64 v[44:45], v50 offset:48
	v_mad_i32_i24 v13, v0, s30, v50
	s_movk_i32 s30, 0xff
	v_cmp_ne_u32_e64 s[30:31], s30, v0
	s_waitcnt lgkmcnt(0)
	ds_write_b32 v13, v34 offset:15360
	s_waitcnt lgkmcnt(0)
	s_barrier
	s_and_saveexec_b64 s[36:37], s[30:31]
	s_cbranch_execz .LBB1941_35
; %bb.34:
	s_waitcnt vmcnt(0)
	ds_read_b32 v49, v12 offset:15364
.LBB1941_35:
	s_or_b64 exec, exec, s[36:37]
	v_mov_b32_e32 v13, 0
	v_mov_b32_e32 v14, 0
	s_waitcnt lgkmcnt(0)
	s_barrier
	s_and_saveexec_b64 s[30:31], vcc
	s_cbranch_execz .LBB1941_37
; %bb.36:
	v_add_co_u32_e32 v14, vcc, v1, v12
	v_addc_co_u32_e32 v15, vcc, 0, v48, vcc
	flat_load_dword v14, v[14:15]
.LBB1941_37:
	s_or_b64 exec, exec, s[30:31]
	s_and_saveexec_b64 s[30:31], s[4:5]
	s_cbranch_execz .LBB1941_39
; %bb.38:
	v_add_co_u32_e32 v16, vcc, v1, v12
	v_addc_co_u32_e32 v17, vcc, 0, v48, vcc
	flat_load_dword v13, v[16:17] offset:1024
.LBB1941_39:
	s_or_b64 exec, exec, s[30:31]
	v_mov_b32_e32 v15, 0
	v_mov_b32_e32 v16, 0
	s_and_saveexec_b64 s[4:5], s[6:7]
	s_cbranch_execz .LBB1941_41
; %bb.40:
	v_add_co_u32_e32 v16, vcc, v1, v12
	v_addc_co_u32_e32 v17, vcc, 0, v48, vcc
	flat_load_dword v16, v[16:17] offset:2048
.LBB1941_41:
	s_or_b64 exec, exec, s[4:5]
	s_and_saveexec_b64 s[4:5], s[8:9]
	s_cbranch_execz .LBB1941_43
; %bb.42:
	v_add_co_u32_e32 v18, vcc, v1, v12
	v_addc_co_u32_e32 v19, vcc, 0, v48, vcc
	flat_load_dword v15, v[18:19] offset:3072
.LBB1941_43:
	s_or_b64 exec, exec, s[4:5]
	v_mov_b32_e32 v17, 0
	v_mov_b32_e32 v18, 0
	s_and_saveexec_b64 s[4:5], s[10:11]
	s_cbranch_execz .LBB1941_45
; %bb.44:
	v_add_co_u32_e32 v18, vcc, v1, v2
	v_addc_co_u32_e32 v19, vcc, 0, v48, vcc
	flat_load_dword v18, v[18:19]
.LBB1941_45:
	s_or_b64 exec, exec, s[4:5]
	s_and_saveexec_b64 s[4:5], s[12:13]
	s_cbranch_execz .LBB1941_47
; %bb.46:
	v_add_co_u32_e32 v2, vcc, v1, v3
	v_addc_co_u32_e32 v3, vcc, 0, v48, vcc
	flat_load_dword v17, v[2:3]
.LBB1941_47:
	s_or_b64 exec, exec, s[4:5]
	v_mov_b32_e32 v2, 0
	v_mov_b32_e32 v3, 0
	s_and_saveexec_b64 s[4:5], s[14:15]
	s_cbranch_execz .LBB1941_49
; %bb.48:
	v_add_co_u32_e32 v20, vcc, v1, v4
	v_addc_co_u32_e32 v21, vcc, 0, v48, vcc
	flat_load_dword v3, v[20:21]
.LBB1941_49:
	s_or_b64 exec, exec, s[4:5]
	s_and_saveexec_b64 s[4:5], s[16:17]
	s_cbranch_execz .LBB1941_51
; %bb.50:
	v_add_co_u32_e32 v4, vcc, v1, v5
	v_addc_co_u32_e32 v5, vcc, 0, v48, vcc
	flat_load_dword v2, v[4:5]
.LBB1941_51:
	;; [unrolled: 18-line block ×4, first 2 shown]
	s_or_b64 exec, exec, s[4:5]
	v_mov_b32_e32 v8, 0
	v_mov_b32_e32 v9, 0
	s_and_saveexec_b64 s[4:5], s[26:27]
	s_cbranch_execz .LBB1941_61
; %bb.60:
	v_add_co_u32_e32 v20, vcc, v1, v10
	v_addc_co_u32_e32 v21, vcc, 0, v48, vcc
	flat_load_dword v9, v[20:21]
.LBB1941_61:
	s_or_b64 exec, exec, s[4:5]
	v_mul_u32_u24_e32 v51, 14, v0
	s_and_saveexec_b64 s[4:5], s[28:29]
	s_cbranch_execz .LBB1941_63
; %bb.62:
	v_add_co_u32_e32 v10, vcc, v1, v11
	v_addc_co_u32_e32 v11, vcc, 0, v48, vcc
	flat_load_dword v8, v[10:11]
.LBB1941_63:
	s_or_b64 exec, exec, s[4:5]
	s_mov_b32 s4, 0
	s_mov_b32 s5, s4
	s_waitcnt vmcnt(0) lgkmcnt(0)
	ds_write2st64_b32 v12, v14, v13 offset1:4
	ds_write2st64_b32 v12, v16, v15 offset0:8 offset1:12
	ds_write2st64_b32 v12, v18, v17 offset0:16 offset1:20
	;; [unrolled: 1-line block ×6, first 2 shown]
	s_mov_b32 s6, s4
	s_mov_b32 s7, s4
	;; [unrolled: 1-line block ×6, first 2 shown]
	v_pk_mov_b32 v[2:3], s[4:5], s[4:5] op_sel:[0,1]
	v_pk_mov_b32 v[8:9], s[10:11], s[10:11] op_sel:[0,1]
	;; [unrolled: 1-line block ×6, first 2 shown]
	v_cmp_gt_u32_e32 vcc, s40, v51
	s_mov_b64 s[12:13], 0
	v_pk_mov_b32 v[40:41], 0, 0
	s_mov_b64 s[18:19], 0
	v_pk_mov_b32 v[14:15], v[6:7], v[6:7] op_sel:[0,1]
	v_pk_mov_b32 v[12:13], v[4:5], v[4:5] op_sel:[0,1]
	;; [unrolled: 1-line block ×6, first 2 shown]
	s_waitcnt lgkmcnt(0)
	s_barrier
	s_waitcnt lgkmcnt(0)
                                        ; implicit-def: $sgpr16_sgpr17
                                        ; implicit-def: $vgpr46
	s_and_saveexec_b64 s[14:15], vcc
	s_cbranch_execz .LBB1941_91
; %bb.64:
	ds_read_b32 v2, v50
	v_mov_b32_e32 v4, s54
	v_cmp_eq_u32_e32 vcc, v34, v35
	v_or_b32_e32 v3, 1, v51
                                        ; implicit-def: $vgpr46
	s_waitcnt lgkmcnt(0)
	v_cndmask_b32_e32 v40, v4, v2, vcc
	v_cmp_ne_u32_e32 vcc, v34, v35
	v_cndmask_b32_e64 v41, 0, 1, vcc
	v_cmp_gt_u32_e32 vcc, s40, v3
	v_pk_mov_b32 v[2:3], s[4:5], s[4:5] op_sel:[0,1]
	v_pk_mov_b32 v[8:9], s[10:11], s[10:11] op_sel:[0,1]
	v_pk_mov_b32 v[4:5], s[6:7], s[6:7] op_sel:[0,1]
	v_pk_mov_b32 v[6:7], s[8:9], s[8:9] op_sel:[0,1]
	v_pk_mov_b32 v[16:17], v[8:9], v[8:9] op_sel:[0,1]
	v_pk_mov_b32 v[24:25], v[8:9], v[8:9] op_sel:[0,1]
	v_pk_mov_b32 v[14:15], v[6:7], v[6:7] op_sel:[0,1]
	v_pk_mov_b32 v[12:13], v[4:5], v[4:5] op_sel:[0,1]
	v_pk_mov_b32 v[10:11], v[2:3], v[2:3] op_sel:[0,1]
	v_pk_mov_b32 v[22:23], v[6:7], v[6:7] op_sel:[0,1]
	v_pk_mov_b32 v[20:21], v[4:5], v[4:5] op_sel:[0,1]
	v_pk_mov_b32 v[18:19], v[2:3], v[2:3] op_sel:[0,1]
                                        ; implicit-def: $sgpr4_sgpr5
	s_and_saveexec_b64 s[16:17], vcc
	s_cbranch_execz .LBB1941_90
; %bb.65:
	ds_read2_b32 v[46:47], v50 offset0:1 offset1:2
	s_mov_b32 s4, 0
	v_mov_b32_e32 v3, s54
	v_cmp_eq_u32_e32 vcc, v35, v36
	s_mov_b32 s10, s4
	s_mov_b32 s11, s4
	v_add_u32_e32 v2, 2, v51
	s_waitcnt lgkmcnt(0)
	v_cndmask_b32_e32 v8, v3, v46, vcc
	v_cmp_ne_u32_e32 vcc, v35, v36
	s_mov_b32 s5, s4
	s_mov_b32 s6, s4
	;; [unrolled: 1-line block ×5, first 2 shown]
	v_pk_mov_b32 v[16:17], s[10:11], s[10:11] op_sel:[0,1]
	v_cndmask_b32_e64 v9, 0, 1, vcc
	v_cmp_gt_u32_e32 vcc, s40, v2
	v_mov_b32_e32 v2, 0
	v_pk_mov_b32 v[14:15], s[8:9], s[8:9] op_sel:[0,1]
	v_pk_mov_b32 v[12:13], s[6:7], s[6:7] op_sel:[0,1]
	;; [unrolled: 1-line block ×4, first 2 shown]
	v_mov_b32_e32 v3, v2
	v_mov_b32_e32 v4, v2
	;; [unrolled: 1-line block ×5, first 2 shown]
	s_mov_b64 s[20:21], 0
	v_pk_mov_b32 v[22:23], v[14:15], v[14:15] op_sel:[0,1]
	v_pk_mov_b32 v[20:21], v[12:13], v[12:13] op_sel:[0,1]
	;; [unrolled: 1-line block ×3, first 2 shown]
                                        ; implicit-def: $sgpr24_sgpr25
                                        ; implicit-def: $vgpr46
	s_and_saveexec_b64 s[18:19], vcc
	s_cbranch_execz .LBB1941_89
; %bb.66:
	v_mov_b32_e32 v4, s54
	v_cmp_eq_u32_e32 vcc, v36, v37
	v_pk_mov_b32 v[16:17], s[10:11], s[10:11] op_sel:[0,1]
	v_add_u32_e32 v3, 3, v51
	v_cndmask_b32_e32 v6, v4, v47, vcc
	v_cmp_ne_u32_e32 vcc, v36, v37
	v_pk_mov_b32 v[14:15], s[8:9], s[8:9] op_sel:[0,1]
	v_pk_mov_b32 v[12:13], s[6:7], s[6:7] op_sel:[0,1]
	;; [unrolled: 1-line block ×4, first 2 shown]
	v_cndmask_b32_e64 v7, 0, 1, vcc
	v_cmp_gt_u32_e32 vcc, s40, v3
	v_mov_b32_e32 v3, v2
	v_mov_b32_e32 v4, v2
	;; [unrolled: 1-line block ×3, first 2 shown]
	s_mov_b64 s[22:23], 0
	v_pk_mov_b32 v[22:23], v[14:15], v[14:15] op_sel:[0,1]
	v_pk_mov_b32 v[20:21], v[12:13], v[12:13] op_sel:[0,1]
	;; [unrolled: 1-line block ×3, first 2 shown]
                                        ; implicit-def: $sgpr4_sgpr5
                                        ; implicit-def: $vgpr46
	s_and_saveexec_b64 s[20:21], vcc
	s_cbranch_execz .LBB1941_88
; %bb.67:
	ds_read2_b32 v[34:35], v50 offset0:3 offset1:4
	s_mov_b32 s4, 0
	s_mov_b32 s10, s4
	;; [unrolled: 1-line block ×3, first 2 shown]
	v_mov_b32_e32 v3, s54
	v_cmp_eq_u32_e32 vcc, v37, v30
	s_mov_b32 s5, s4
	s_mov_b32 s6, s4
	;; [unrolled: 1-line block ×5, first 2 shown]
	v_pk_mov_b32 v[16:17], s[10:11], s[10:11] op_sel:[0,1]
	v_add_u32_e32 v2, 4, v51
	s_waitcnt lgkmcnt(0)
	v_cndmask_b32_e32 v4, v3, v34, vcc
	v_cmp_ne_u32_e32 vcc, v37, v30
	v_pk_mov_b32 v[14:15], s[8:9], s[8:9] op_sel:[0,1]
	v_pk_mov_b32 v[12:13], s[6:7], s[6:7] op_sel:[0,1]
	;; [unrolled: 1-line block ×4, first 2 shown]
	v_cndmask_b32_e64 v5, 0, 1, vcc
	v_cmp_gt_u32_e32 vcc, s40, v2
	v_mov_b32_e32 v2, s4
	v_mov_b32_e32 v3, s4
	s_mov_b64 s[24:25], 0
	v_pk_mov_b32 v[22:23], v[14:15], v[14:15] op_sel:[0,1]
	v_pk_mov_b32 v[20:21], v[12:13], v[12:13] op_sel:[0,1]
	;; [unrolled: 1-line block ×3, first 2 shown]
                                        ; implicit-def: $sgpr26_sgpr27
                                        ; implicit-def: $vgpr46
	s_and_saveexec_b64 s[22:23], vcc
	s_cbranch_execz .LBB1941_87
; %bb.68:
	v_mov_b32_e32 v2, s54
	v_cmp_eq_u32_e32 vcc, v30, v31
	v_add_u32_e32 v10, 5, v51
	v_cndmask_b32_e32 v2, v2, v35, vcc
	v_cmp_ne_u32_e32 vcc, v30, v31
	v_cndmask_b32_e64 v3, 0, 1, vcc
	v_cmp_gt_u32_e32 vcc, s40, v10
	v_pk_mov_b32 v[16:17], s[10:11], s[10:11] op_sel:[0,1]
	v_pk_mov_b32 v[14:15], s[8:9], s[8:9] op_sel:[0,1]
	;; [unrolled: 1-line block ×5, first 2 shown]
	s_mov_b64 s[28:29], 0
	v_pk_mov_b32 v[22:23], v[14:15], v[14:15] op_sel:[0,1]
	v_pk_mov_b32 v[20:21], v[12:13], v[12:13] op_sel:[0,1]
	;; [unrolled: 1-line block ×3, first 2 shown]
                                        ; implicit-def: $sgpr4_sgpr5
                                        ; implicit-def: $vgpr46
	s_and_saveexec_b64 s[24:25], vcc
	s_cbranch_execz .LBB1941_86
; %bb.69:
	ds_read2_b32 v[34:35], v50 offset0:5 offset1:6
	v_mov_b32_e32 v11, s54
	v_cmp_eq_u32_e32 vcc, v31, v32
	s_mov_b32 s4, 0
	v_add_u32_e32 v10, 6, v51
	s_waitcnt lgkmcnt(0)
	v_cndmask_b32_e32 v16, v11, v34, vcc
	v_cmp_ne_u32_e32 vcc, v31, v32
	s_mov_b32 s10, s4
	s_mov_b32 s11, s4
	v_cndmask_b32_e64 v17, 0, 1, vcc
	v_cmp_gt_u32_e32 vcc, s40, v10
	v_mov_b32_e32 v10, 0
	s_mov_b32 s5, s4
	s_mov_b32 s6, s4
	;; [unrolled: 1-line block ×5, first 2 shown]
	v_pk_mov_b32 v[24:25], s[10:11], s[10:11] op_sel:[0,1]
	v_mov_b32_e32 v11, v10
	v_mov_b32_e32 v12, v10
	;; [unrolled: 1-line block ×5, first 2 shown]
	v_pk_mov_b32 v[22:23], s[8:9], s[8:9] op_sel:[0,1]
	v_pk_mov_b32 v[20:21], s[6:7], s[6:7] op_sel:[0,1]
	;; [unrolled: 1-line block ×3, first 2 shown]
                                        ; implicit-def: $sgpr36_sgpr37
                                        ; implicit-def: $vgpr46
	s_and_saveexec_b64 s[26:27], vcc
	s_cbranch_execz .LBB1941_85
; %bb.70:
	v_mov_b32_e32 v12, s54
	v_cmp_eq_u32_e32 vcc, v32, v33
	v_add_u32_e32 v11, 7, v51
	v_cndmask_b32_e32 v14, v12, v35, vcc
	v_cmp_ne_u32_e32 vcc, v32, v33
	v_pk_mov_b32 v[24:25], s[10:11], s[10:11] op_sel:[0,1]
	v_cndmask_b32_e64 v15, 0, 1, vcc
	v_cmp_gt_u32_e32 vcc, s40, v11
	v_mov_b32_e32 v11, v10
	v_mov_b32_e32 v12, v10
	v_mov_b32_e32 v13, v10
	s_mov_b64 s[30:31], 0
	v_pk_mov_b32 v[22:23], s[8:9], s[8:9] op_sel:[0,1]
	v_pk_mov_b32 v[20:21], s[6:7], s[6:7] op_sel:[0,1]
	;; [unrolled: 1-line block ×3, first 2 shown]
                                        ; implicit-def: $sgpr4_sgpr5
                                        ; implicit-def: $vgpr46
	s_and_saveexec_b64 s[28:29], vcc
	s_cbranch_execz .LBB1941_84
; %bb.71:
	ds_read2_b32 v[30:31], v50 offset0:7 offset1:8
	s_mov_b32 s4, 0
	v_mov_b32_e32 v11, s54
	v_cmp_eq_u32_e32 vcc, v33, v26
	s_mov_b32 s10, s4
	s_mov_b32 s11, s4
	v_add_u32_e32 v10, 8, v51
	s_waitcnt lgkmcnt(0)
	v_cndmask_b32_e32 v12, v11, v30, vcc
	v_cmp_ne_u32_e32 vcc, v33, v26
	s_mov_b32 s5, s4
	s_mov_b32 s6, s4
	;; [unrolled: 1-line block ×5, first 2 shown]
	v_pk_mov_b32 v[24:25], s[10:11], s[10:11] op_sel:[0,1]
	v_cndmask_b32_e64 v13, 0, 1, vcc
	v_cmp_gt_u32_e32 vcc, s40, v10
	v_mov_b32_e32 v10, s4
	v_mov_b32_e32 v11, s4
	s_mov_b64 s[36:37], 0
	v_pk_mov_b32 v[22:23], s[8:9], s[8:9] op_sel:[0,1]
	v_pk_mov_b32 v[20:21], s[6:7], s[6:7] op_sel:[0,1]
	;; [unrolled: 1-line block ×3, first 2 shown]
                                        ; implicit-def: $sgpr38_sgpr39
                                        ; implicit-def: $vgpr46
	s_and_saveexec_b64 s[30:31], vcc
	s_cbranch_execz .LBB1941_83
; %bb.72:
	v_mov_b32_e32 v10, s54
	v_cmp_eq_u32_e32 vcc, v26, v27
	v_add_u32_e32 v18, 9, v51
	v_cndmask_b32_e32 v10, v10, v31, vcc
	v_cmp_ne_u32_e32 vcc, v26, v27
	v_cndmask_b32_e64 v11, 0, 1, vcc
	v_cmp_gt_u32_e32 vcc, s40, v18
	v_pk_mov_b32 v[24:25], s[10:11], s[10:11] op_sel:[0,1]
	v_pk_mov_b32 v[22:23], s[8:9], s[8:9] op_sel:[0,1]
	;; [unrolled: 1-line block ×4, first 2 shown]
                                        ; implicit-def: $sgpr6_sgpr7
                                        ; implicit-def: $vgpr46
	s_and_saveexec_b64 s[4:5], vcc
	s_cbranch_execz .LBB1941_82
; %bb.73:
	ds_read2_b32 v[30:31], v50 offset0:9 offset1:10
	v_mov_b32_e32 v18, s54
	v_cmp_eq_u32_e32 vcc, v27, v28
	v_add_u32_e32 v20, 10, v51
	v_mov_b32_e32 v22, 0
	s_waitcnt lgkmcnt(0)
	v_cndmask_b32_e32 v18, v18, v30, vcc
	v_cmp_ne_u32_e32 vcc, v27, v28
	v_cndmask_b32_e64 v19, 0, 1, vcc
	v_cmp_gt_u32_e32 vcc, s40, v20
	v_mov_b32_e32 v20, v22
	v_mov_b32_e32 v21, v22
	;; [unrolled: 1-line block ×5, first 2 shown]
	s_mov_b64 s[8:9], 0
                                        ; implicit-def: $sgpr36_sgpr37
                                        ; implicit-def: $vgpr46
	s_and_saveexec_b64 s[6:7], vcc
	s_cbranch_execz .LBB1941_81
; %bb.74:
	v_mov_b32_e32 v20, s54
	v_cmp_eq_u32_e32 vcc, v28, v29
	v_add_u32_e32 v23, 11, v51
	v_cndmask_b32_e32 v20, v20, v31, vcc
	v_cmp_ne_u32_e32 vcc, v28, v29
	v_cndmask_b32_e64 v21, 0, 1, vcc
	v_cmp_gt_u32_e32 vcc, s40, v23
	s_mov_b32 s36, 0
	v_mov_b32_e32 v23, v22
	v_mov_b32_e32 v24, v22
	;; [unrolled: 1-line block ×3, first 2 shown]
	s_mov_b64 s[10:11], 0
                                        ; implicit-def: $sgpr38_sgpr39
                                        ; implicit-def: $vgpr46
	s_and_saveexec_b64 s[8:9], vcc
	s_cbranch_execz .LBB1941_80
; %bb.75:
	ds_read2_b32 v[26:27], v50 offset0:11 offset1:12
	v_mov_b32_e32 v22, s54
	v_cmp_eq_u32_e32 vcc, v29, v44
	v_add_u32_e32 v24, 12, v51
	v_mov_b32_e32 v25, s36
	s_waitcnt lgkmcnt(0)
	v_cndmask_b32_e32 v22, v22, v26, vcc
	v_cmp_ne_u32_e32 vcc, v29, v44
	v_cndmask_b32_e64 v23, 0, 1, vcc
	v_cmp_gt_u32_e32 vcc, s40, v24
	v_mov_b32_e32 v24, s36
	s_mov_b64 s[36:37], 0
                                        ; implicit-def: $sgpr38_sgpr39
                                        ; implicit-def: $vgpr46
	s_and_saveexec_b64 s[10:11], vcc
	s_cbranch_execz .LBB1941_79
; %bb.76:
	v_mov_b32_e32 v24, s54
	v_cmp_eq_u32_e32 vcc, v44, v45
	v_add_u32_e32 v26, 13, v51
	v_cndmask_b32_e32 v24, v24, v27, vcc
	v_cmp_ne_u32_e32 vcc, v44, v45
	v_cndmask_b32_e64 v25, 0, 1, vcc
	v_cmp_gt_u32_e32 vcc, s40, v26
                                        ; implicit-def: $sgpr38_sgpr39
                                        ; implicit-def: $vgpr46
	s_and_saveexec_b64 s[40:41], vcc
	s_xor_b64 s[40:41], exec, s[40:41]
	s_cbranch_execz .LBB1941_78
; %bb.77:
	ds_read_b32 v26, v50 offset:52
	v_mov_b32_e32 v27, s54
	v_cmp_ne_u32_e32 vcc, v45, v49
	s_mov_b64 s[36:37], exec
	s_and_b64 s[38:39], vcc, exec
	s_waitcnt lgkmcnt(0)
	v_cndmask_b32_e32 v46, v26, v27, vcc
.LBB1941_78:
	s_or_b64 exec, exec, s[40:41]
	s_and_b64 s[38:39], s[38:39], exec
	s_and_b64 s[36:37], s[36:37], exec
.LBB1941_79:
	s_or_b64 exec, exec, s[10:11]
	s_and_b64 s[38:39], s[38:39], exec
	s_and_b64 s[10:11], s[36:37], exec
.LBB1941_80:
	s_or_b64 exec, exec, s[8:9]
	s_and_b64 s[36:37], s[38:39], exec
	s_and_b64 s[8:9], s[10:11], exec
.LBB1941_81:
	s_or_b64 exec, exec, s[6:7]
	s_and_b64 s[6:7], s[36:37], exec
	s_and_b64 s[36:37], s[8:9], exec
.LBB1941_82:
	s_or_b64 exec, exec, s[4:5]
	s_and_b64 s[38:39], s[6:7], exec
	s_and_b64 s[36:37], s[36:37], exec
.LBB1941_83:
	s_or_b64 exec, exec, s[30:31]
	s_and_b64 s[4:5], s[38:39], exec
	s_and_b64 s[30:31], s[36:37], exec
.LBB1941_84:
	s_or_b64 exec, exec, s[28:29]
	s_and_b64 s[36:37], s[4:5], exec
	s_and_b64 s[28:29], s[30:31], exec
.LBB1941_85:
	s_or_b64 exec, exec, s[26:27]
	s_and_b64 s[4:5], s[36:37], exec
	s_and_b64 s[28:29], s[28:29], exec
.LBB1941_86:
	s_or_b64 exec, exec, s[24:25]
	s_and_b64 s[26:27], s[4:5], exec
	s_and_b64 s[24:25], s[28:29], exec
.LBB1941_87:
	s_or_b64 exec, exec, s[22:23]
	s_and_b64 s[4:5], s[26:27], exec
	s_and_b64 s[22:23], s[24:25], exec
.LBB1941_88:
	s_or_b64 exec, exec, s[20:21]
	s_and_b64 s[24:25], s[4:5], exec
	s_and_b64 s[20:21], s[22:23], exec
.LBB1941_89:
	s_or_b64 exec, exec, s[18:19]
	s_and_b64 s[4:5], s[24:25], exec
	s_and_b64 s[18:19], s[20:21], exec
.LBB1941_90:
	s_or_b64 exec, exec, s[16:17]
	s_and_b64 s[16:17], s[4:5], exec
	s_and_b64 s[18:19], s[18:19], exec
.LBB1941_91:
	s_or_b64 exec, exec, s[14:15]
	s_and_b64 vcc, exec, s[12:13]
	v_lshlrev_b32_e32 v52, 2, v0
	s_cbranch_vccnz .LBB1941_93
	s_branch .LBB1941_98
.LBB1941_92:
	s_mov_b64 s[18:19], 0
                                        ; implicit-def: $sgpr16_sgpr17
                                        ; implicit-def: $vgpr2_vgpr3_vgpr4_vgpr5_vgpr6_vgpr7_vgpr8_vgpr9
                                        ; implicit-def: $vgpr10_vgpr11_vgpr12_vgpr13_vgpr14_vgpr15_vgpr16_vgpr17
                                        ; implicit-def: $vgpr18_vgpr19_vgpr20_vgpr21_vgpr22_vgpr23_vgpr24_vgpr25
                                        ; implicit-def: $vgpr40_vgpr41
                                        ; implicit-def: $vgpr46
	s_and_b64 vcc, exec, s[12:13]
	v_lshlrev_b32_e32 v52, 2, v0
	s_cbranch_vccz .LBB1941_98
.LBB1941_93:
	v_add_co_u32_e32 v2, vcc, v42, v52
	v_addc_co_u32_e32 v3, vcc, 0, v43, vcc
	v_add_co_u32_e32 v4, vcc, 0x1000, v2
	v_addc_co_u32_e32 v5, vcc, 0, v3, vcc
	flat_load_dword v6, v[2:3]
	flat_load_dword v7, v[2:3] offset:1024
	flat_load_dword v8, v[2:3] offset:2048
	;; [unrolled: 1-line block ×3, first 2 shown]
	flat_load_dword v10, v[4:5]
	flat_load_dword v11, v[4:5] offset:1024
	flat_load_dword v12, v[4:5] offset:2048
	;; [unrolled: 1-line block ×3, first 2 shown]
	v_add_co_u32_e32 v4, vcc, 0x2000, v2
	v_addc_co_u32_e32 v5, vcc, 0, v3, vcc
	v_add_co_u32_e32 v2, vcc, 0x3000, v2
	v_addc_co_u32_e32 v3, vcc, 0, v3, vcc
	flat_load_dword v14, v[4:5]
	flat_load_dword v15, v[4:5] offset:1024
	flat_load_dword v16, v[4:5] offset:2048
	;; [unrolled: 1-line block ×3, first 2 shown]
	flat_load_dword v18, v[2:3]
	flat_load_dword v19, v[2:3] offset:1024
	v_add_co_u32_e32 v2, vcc, 0x3000, v42
	v_addc_co_u32_e32 v3, vcc, 0, v43, vcc
	s_movk_i32 s6, 0xffcc
	s_movk_i32 s9, 0x1000
	s_mov_b32 s4, 0
	s_movk_i32 s8, 0x2000
	s_movk_i32 s5, 0x3000
	s_waitcnt vmcnt(0) lgkmcnt(0)
	ds_write2st64_b32 v52, v6, v7 offset1:4
	ds_write2st64_b32 v52, v8, v9 offset0:8 offset1:12
	ds_write2st64_b32 v52, v10, v11 offset0:16 offset1:20
	;; [unrolled: 1-line block ×6, first 2 shown]
	s_waitcnt lgkmcnt(0)
	s_barrier
	flat_load_dword v34, v[2:3] offset:2048
	v_mad_u32_u24 v6, v0, 52, v52
	v_mad_i32_i24 v2, v0, s6, v6
	s_movk_i32 s6, 0xff
	v_cmp_ne_u32_e32 vcc, s6, v0
	ds_read2_b32 v[26:27], v6 offset1:13
	ds_read2_b32 v[18:19], v6 offset0:7 offset1:8
	ds_read2_b32 v[20:21], v6 offset0:5 offset1:6
	;; [unrolled: 1-line block ×6, first 2 shown]
	s_waitcnt lgkmcnt(0)
	ds_write_b32 v2, v26 offset:15360
	s_waitcnt lgkmcnt(0)
	s_barrier
	s_and_saveexec_b64 s[6:7], vcc
	s_cbranch_execz .LBB1941_95
; %bb.94:
	s_waitcnt vmcnt(0)
	ds_read_b32 v34, v52 offset:15364
.LBB1941_95:
	s_or_b64 exec, exec, s[6:7]
	v_add_co_u32_e32 v2, vcc, v1, v52
	v_addc_co_u32_e32 v3, vcc, 0, v48, vcc
	v_add_co_u32_e32 v4, vcc, s9, v2
	v_addc_co_u32_e32 v5, vcc, 0, v3, vcc
	s_waitcnt lgkmcnt(0)
	s_barrier
	flat_load_dword v1, v[2:3]
	flat_load_dword v7, v[2:3] offset:1024
	flat_load_dword v8, v[2:3] offset:2048
	;; [unrolled: 1-line block ×3, first 2 shown]
	flat_load_dword v14, v[4:5]
	flat_load_dword v15, v[4:5] offset:1024
	flat_load_dword v16, v[4:5] offset:2048
	;; [unrolled: 1-line block ×3, first 2 shown]
	v_add_co_u32_e32 v4, vcc, s8, v2
	v_addc_co_u32_e32 v5, vcc, 0, v3, vcc
	v_add_co_u32_e32 v2, vcc, s5, v2
	v_addc_co_u32_e32 v3, vcc, 0, v3, vcc
	flat_load_dword v22, v[4:5]
	flat_load_dword v23, v[4:5] offset:1024
	flat_load_dword v24, v[4:5] offset:2048
	;; [unrolled: 1-line block ×3, first 2 shown]
	flat_load_dword v32, v[2:3]
	flat_load_dword v33, v[2:3] offset:1024
	s_mov_b32 s5, 1
	v_cmp_eq_u32_e32 vcc, v26, v12
	v_pk_mov_b32 v[40:41], s[4:5], s[4:5] op_sel:[0,1]
	s_waitcnt vmcnt(0) lgkmcnt(0)
	ds_write2st64_b32 v52, v1, v7 offset1:4
	ds_write2st64_b32 v52, v8, v9 offset0:8 offset1:12
	ds_write2st64_b32 v52, v14, v15 offset0:16 offset1:20
	;; [unrolled: 1-line block ×6, first 2 shown]
	s_waitcnt lgkmcnt(0)
	s_barrier
	ds_read2_b32 v[24:25], v6 offset0:7 offset1:8
	ds_read2_b32 v[14:15], v6 offset0:5 offset1:6
	;; [unrolled: 1-line block ×4, first 2 shown]
	ds_read_b32 v1, v6 offset:52
	ds_read2_b32 v[22:23], v6 offset0:11 offset1:12
	ds_read2_b32 v[32:33], v6 offset0:9 offset1:10
	v_mov_b32_e32 v7, s54
	s_and_saveexec_b64 s[4:5], vcc
	s_cbranch_execz .LBB1941_97
; %bb.96:
	ds_read_b32 v7, v6
	v_pk_mov_b32 v[40:41], 0, 0
.LBB1941_97:
	s_or_b64 exec, exec, s[4:5]
	v_mov_b32_e32 v26, s54
	v_cmp_eq_u32_e32 vcc, v12, v13
	s_waitcnt lgkmcnt(3)
	v_cndmask_b32_e32 v8, v26, v4, vcc
	v_cmp_eq_u32_e32 vcc, v13, v10
	v_cndmask_b32_e32 v6, v26, v5, vcc
	v_cmp_eq_u32_e32 vcc, v10, v11
	;; [unrolled: 2-line block ×3, first 2 shown]
	v_cndmask_b32_e32 v2, v26, v3, vcc
	v_cmp_ne_u32_e32 vcc, v12, v13
	v_cndmask_b32_e64 v9, 0, 1, vcc
	v_cmp_ne_u32_e32 vcc, v13, v10
	s_waitcnt lgkmcnt(0)
	v_or_b32_e32 v40, v40, v7
	v_cndmask_b32_e64 v7, 0, 1, vcc
	v_cmp_ne_u32_e32 vcc, v10, v11
	v_cndmask_b32_e64 v5, 0, 1, vcc
	v_cmp_ne_u32_e32 vcc, v11, v20
	v_cndmask_b32_e64 v3, 0, 1, vcc
	v_cmp_eq_u32_e32 vcc, v20, v21
	v_cndmask_b32_e32 v16, v26, v14, vcc
	v_cmp_eq_u32_e32 vcc, v21, v18
	v_cndmask_b32_e32 v14, v26, v15, vcc
	;; [unrolled: 2-line block ×4, first 2 shown]
	v_cmp_ne_u32_e32 vcc, v20, v21
	v_cndmask_b32_e64 v17, 0, 1, vcc
	v_cmp_ne_u32_e32 vcc, v21, v18
	v_cndmask_b32_e64 v15, 0, 1, vcc
	v_cmp_ne_u32_e32 vcc, v18, v19
	v_cndmask_b32_e64 v13, 0, 1, vcc
	v_cmp_ne_u32_e32 vcc, v19, v28
	v_cndmask_b32_e64 v11, 0, 1, vcc
	v_cmp_eq_u32_e32 vcc, v31, v27
	v_cndmask_b32_e32 v24, v26, v23, vcc
	v_cmp_eq_u32_e32 vcc, v30, v31
	v_cndmask_b32_e32 v22, v26, v22, vcc
	v_cmp_eq_u32_e32 vcc, v29, v30
	v_cndmask_b32_e32 v20, v26, v33, vcc
	v_cmp_eq_u32_e32 vcc, v28, v29
	v_cndmask_b32_e32 v18, v26, v32, vcc
	v_cmp_ne_u32_e32 vcc, v31, v27
	v_cndmask_b32_e64 v25, 0, 1, vcc
	v_cmp_ne_u32_e32 vcc, v30, v31
	v_cndmask_b32_e64 v23, 0, 1, vcc
	;; [unrolled: 2-line block ×3, first 2 shown]
	v_cmp_ne_u32_e32 vcc, v28, v29
	v_cmp_ne_u32_e64 s[16:17], v27, v34
	v_cndmask_b32_e64 v19, 0, 1, vcc
	v_cndmask_b32_e64 v46, v1, v26, s[16:17]
	s_mov_b64 s[18:19], -1
                                        ; implicit-def: $sgpr12_sgpr13
.LBB1941_98:
	v_pk_mov_b32 v[42:43], s[12:13], s[12:13] op_sel:[0,1]
	s_and_saveexec_b64 s[4:5], s[18:19]
; %bb.99:
	v_cndmask_b32_e64 v47, 0, 1, s[16:17]
	v_pk_mov_b32 v[42:43], v[46:47], v[46:47] op_sel:[0,1]
; %bb.100:
	s_or_b64 exec, exec, s[4:5]
	s_mov_b32 s28, 0
	s_cmp_lg_u32 s47, 0
	v_mbcnt_lo_u32_b32 v54, -1, 0
	v_lshrrev_b32_e32 v1, 6, v0
	v_or_b32_e32 v53, 63, v0
	s_barrier
	s_cbranch_scc0 .LBB1941_129
; %bb.101:
	s_mov_b32 s29, 1
	v_cmp_gt_u64_e64 s[4:5], s[28:29], v[8:9]
	v_cndmask_b32_e64 v27, 0, v40, s[4:5]
	v_add_u32_e32 v27, v27, v8
	v_cmp_gt_u64_e64 s[6:7], s[28:29], v[6:7]
	v_cndmask_b32_e64 v27, 0, v27, s[6:7]
	v_add_u32_e32 v27, v27, v6
	;; [unrolled: 3-line block ×12, first 2 shown]
	v_cmp_gt_u64_e32 vcc, s[28:29], v[42:43]
	v_cndmask_b32_e32 v27, 0, v27, vcc
	v_add_u32_e32 v28, v27, v42
	v_or3_b32 v27, v43, v25, v23
	v_or3_b32 v27, v27, v21, v19
	;; [unrolled: 1-line block ×6, first 2 shown]
	v_mov_b32_e32 v26, 0
	v_and_b32_e32 v27, 1, v27
	v_cmp_eq_u64_e32 vcc, 0, v[26:27]
	v_cndmask_b32_e32 v27, 1, v41, vcc
	v_and_b32_e32 v29, 0xff, v27
	v_mov_b32_dpp v31, v28 row_shr:1 row_mask:0xf bank_mask:0xf
	v_cmp_eq_u16_e32 vcc, 0, v29
	v_mov_b32_dpp v32, v29 row_shr:1 row_mask:0xf bank_mask:0xf
	v_and_b32_e32 v33, 1, v27
	v_mbcnt_hi_u32_b32 v48, -1, v54
	v_cndmask_b32_e32 v31, 0, v31, vcc
	v_and_b32_e32 v32, 1, v32
	v_cmp_eq_u32_e32 vcc, 1, v33
	v_and_b32_e32 v30, 15, v48
	v_cndmask_b32_e64 v32, v32, 1, vcc
	v_and_b32_e32 v33, 0xffff, v32
	v_cmp_eq_u32_e32 vcc, 0, v30
	v_cndmask_b32_e32 v27, v32, v27, vcc
	v_cndmask_b32_e32 v29, v33, v29, vcc
	v_and_b32_e32 v33, 1, v27
	v_cndmask_b32_e64 v31, v31, 0, vcc
	v_mov_b32_dpp v32, v29 row_shr:2 row_mask:0xf bank_mask:0xf
	v_and_b32_e32 v32, 1, v32
	v_cmp_eq_u32_e32 vcc, 1, v33
	v_cndmask_b32_e64 v32, v32, 1, vcc
	v_and_b32_e32 v33, 0xffff, v32
	v_cmp_lt_u32_e32 vcc, 1, v30
	v_add_u32_e32 v28, v31, v28
	v_cmp_eq_u16_sdwa s[28:29], v27, v26 src0_sel:BYTE_0 src1_sel:DWORD
	v_cndmask_b32_e32 v27, v27, v32, vcc
	v_cndmask_b32_e32 v29, v29, v33, vcc
	v_mov_b32_dpp v31, v28 row_shr:2 row_mask:0xf bank_mask:0xf
	s_and_b64 vcc, vcc, s[28:29]
	v_mov_b32_dpp v32, v29 row_shr:4 row_mask:0xf bank_mask:0xf
	v_and_b32_e32 v33, 1, v27
	v_cndmask_b32_e32 v31, 0, v31, vcc
	v_and_b32_e32 v32, 1, v32
	v_cmp_eq_u32_e32 vcc, 1, v33
	v_cndmask_b32_e64 v32, v32, 1, vcc
	v_and_b32_e32 v33, 0xffff, v32
	v_cmp_lt_u32_e32 vcc, 3, v30
	v_add_u32_e32 v28, v31, v28
	v_cmp_eq_u16_sdwa s[28:29], v27, v26 src0_sel:BYTE_0 src1_sel:DWORD
	v_cndmask_b32_e32 v27, v27, v32, vcc
	v_cndmask_b32_e32 v29, v29, v33, vcc
	v_mov_b32_dpp v31, v28 row_shr:4 row_mask:0xf bank_mask:0xf
	s_and_b64 vcc, vcc, s[28:29]
	v_mov_b32_dpp v32, v29 row_shr:8 row_mask:0xf bank_mask:0xf
	v_and_b32_e32 v33, 1, v27
	v_cndmask_b32_e32 v31, 0, v31, vcc
	v_and_b32_e32 v32, 1, v32
	v_cmp_eq_u32_e32 vcc, 1, v33
	v_cndmask_b32_e64 v32, v32, 1, vcc
	v_add_u32_e32 v28, v31, v28
	v_cmp_eq_u16_sdwa s[28:29], v27, v26 src0_sel:BYTE_0 src1_sel:DWORD
	v_and_b32_e32 v33, 0xffff, v32
	v_cmp_lt_u32_e32 vcc, 7, v30
	v_mov_b32_dpp v31, v28 row_shr:8 row_mask:0xf bank_mask:0xf
	v_cndmask_b32_e32 v27, v27, v32, vcc
	v_cndmask_b32_e32 v29, v29, v33, vcc
	s_and_b64 vcc, vcc, s[28:29]
	v_cndmask_b32_e32 v30, 0, v31, vcc
	v_add_u32_e32 v28, v30, v28
	v_mov_b32_dpp v31, v29 row_bcast:15 row_mask:0xf bank_mask:0xf
	v_cmp_eq_u16_sdwa vcc, v27, v26 src0_sel:BYTE_0 src1_sel:DWORD
	v_mov_b32_dpp v30, v28 row_bcast:15 row_mask:0xf bank_mask:0xf
	v_and_b32_e32 v34, 1, v27
	v_cndmask_b32_e32 v30, 0, v30, vcc
	v_and_b32_e32 v31, 1, v31
	v_cmp_eq_u32_e32 vcc, 1, v34
	v_and_b32_e32 v33, 16, v48
	v_cndmask_b32_e64 v31, v31, 1, vcc
	v_and_b32_e32 v34, 0xffff, v31
	v_cmp_eq_u32_e32 vcc, 0, v33
	v_cndmask_b32_e32 v27, v31, v27, vcc
	v_cndmask_b32_e32 v29, v34, v29, vcc
	v_bfe_i32 v32, v48, 4, 1
	v_cmp_eq_u16_sdwa s[28:29], v27, v26 src0_sel:BYTE_0 src1_sel:DWORD
	v_mov_b32_dpp v29, v29 row_bcast:31 row_mask:0xf bank_mask:0xf
	v_and_b32_e32 v26, 1, v27
	v_and_b32_e32 v30, v32, v30
	;; [unrolled: 1-line block ×3, first 2 shown]
	v_cmp_eq_u32_e32 vcc, 1, v26
	v_add_u32_e32 v28, v30, v28
	v_cndmask_b32_e64 v26, v29, 1, vcc
	v_cmp_lt_u32_e32 vcc, 31, v48
	v_mov_b32_dpp v30, v28 row_bcast:31 row_mask:0xf bank_mask:0xf
	v_cndmask_b32_e32 v29, v27, v26, vcc
	s_and_b64 vcc, vcc, s[28:29]
	v_cndmask_b32_e32 v26, 0, v30, vcc
	v_add_u32_e32 v28, v26, v28
	v_cmp_eq_u32_e32 vcc, v53, v0
	s_and_saveexec_b64 s[28:29], vcc
	s_cbranch_execz .LBB1941_103
; %bb.102:
	v_lshlrev_b32_e32 v26, 3, v1
	ds_write_b32 v26, v28
	ds_write_b8 v26, v29 offset:4
.LBB1941_103:
	s_or_b64 exec, exec, s[28:29]
	v_cmp_gt_u32_e32 vcc, 4, v0
	s_waitcnt lgkmcnt(0)
	s_barrier
	s_and_saveexec_b64 s[28:29], vcc
	s_cbranch_execz .LBB1941_107
; %bb.104:
	v_lshlrev_b32_e32 v30, 3, v0
	ds_read_b64 v[26:27], v30
	v_and_b32_e32 v31, 3, v48
	v_cmp_ne_u32_e32 vcc, 0, v31
	s_waitcnt lgkmcnt(0)
	v_mov_b32_dpp v32, v26 row_shr:1 row_mask:0xf bank_mask:0xf
	v_mov_b32_dpp v34, v27 row_shr:1 row_mask:0xf bank_mask:0xf
	v_mov_b32_e32 v33, v27
	s_and_saveexec_b64 s[30:31], vcc
	s_cbranch_execz .LBB1941_106
; %bb.105:
	v_and_b32_e32 v33, 1, v27
	v_and_b32_e32 v34, 1, v34
	v_cmp_eq_u32_e32 vcc, 1, v33
	v_mov_b32_e32 v33, 0
	v_cndmask_b32_e64 v34, v34, 1, vcc
	v_cmp_eq_u16_sdwa vcc, v27, v33 src0_sel:BYTE_0 src1_sel:DWORD
	v_cndmask_b32_e32 v32, 0, v32, vcc
	v_add_u32_e32 v26, v32, v26
	v_and_b32_e32 v32, 0xffff, v34
	s_movk_i32 s36, 0xff00
	v_and_or_b32 v33, v27, s36, v32
	v_mov_b32_e32 v27, v34
.LBB1941_106:
	s_or_b64 exec, exec, s[30:31]
	v_mov_b32_dpp v33, v33 row_shr:2 row_mask:0xf bank_mask:0xf
	v_and_b32_e32 v34, 1, v27
	v_and_b32_e32 v33, 1, v33
	v_cmp_eq_u32_e32 vcc, 1, v34
	v_mov_b32_e32 v34, 0
	v_cndmask_b32_e64 v33, v33, 1, vcc
	v_cmp_eq_u16_sdwa s[30:31], v27, v34 src0_sel:BYTE_0 src1_sel:DWORD
	v_cmp_lt_u32_e32 vcc, 1, v31
	v_mov_b32_dpp v32, v26 row_shr:2 row_mask:0xf bank_mask:0xf
	v_cndmask_b32_e32 v27, v27, v33, vcc
	s_and_b64 vcc, vcc, s[30:31]
	v_cndmask_b32_e32 v31, 0, v32, vcc
	v_add_u32_e32 v26, v31, v26
	ds_write_b32 v30, v26
	ds_write_b8 v30, v27 offset:4
.LBB1941_107:
	s_or_b64 exec, exec, s[28:29]
	v_cmp_gt_u32_e32 vcc, 64, v0
	v_cmp_lt_u32_e64 s[28:29], 63, v0
	v_mov_b32_e32 v44, 0
	v_mov_b32_e32 v45, 0
	s_waitcnt lgkmcnt(0)
	s_barrier
	s_and_saveexec_b64 s[30:31], s[28:29]
	s_cbranch_execz .LBB1941_109
; %bb.108:
	v_lshl_add_u32 v26, v1, 3, -8
	ds_read_b32 v44, v26
	ds_read_u8 v45, v26 offset:4
	v_mov_b32_e32 v27, 0
	v_and_b32_e32 v30, 1, v29
	v_cmp_eq_u16_sdwa s[28:29], v29, v27 src0_sel:BYTE_0 src1_sel:DWORD
	s_waitcnt lgkmcnt(1)
	v_cndmask_b32_e64 v26, 0, v44, s[28:29]
	v_cmp_eq_u32_e64 s[28:29], 1, v30
	v_add_u32_e32 v28, v26, v28
	s_waitcnt lgkmcnt(0)
	v_cndmask_b32_e64 v29, v45, 1, s[28:29]
.LBB1941_109:
	s_or_b64 exec, exec, s[30:31]
	v_and_b32_e32 v26, 0xff, v29
	v_add_u32_e32 v27, -1, v48
	v_and_b32_e32 v29, 64, v48
	v_cmp_lt_i32_e64 s[28:29], v27, v29
	v_cndmask_b32_e64 v27, v27, v48, s[28:29]
	v_lshlrev_b32_e32 v27, 2, v27
	ds_bpermute_b32 v46, v27, v28
	ds_bpermute_b32 v47, v27, v26
	v_cmp_eq_u32_e64 s[28:29], 0, v48
	s_and_saveexec_b64 s[36:37], vcc
	s_cbranch_execz .LBB1941_128
; %bb.110:
	v_mov_b32_e32 v29, 0
	ds_read_b64 v[26:27], v29 offset:24
	s_waitcnt lgkmcnt(0)
	v_readfirstlane_b32 s48, v27
	s_and_saveexec_b64 s[30:31], s[28:29]
	s_cbranch_execz .LBB1941_112
; %bb.111:
	s_add_i32 s38, s47, 64
	s_mov_b32 s39, 0
	s_lshl_b64 s[40:41], s[38:39], 4
	s_add_u32 s40, s44, s40
	s_addc_u32 s41, s45, s41
	s_and_b32 s57, s48, 0xff000000
	s_mov_b32 s56, s39
	s_and_b32 s59, s48, 0xff0000
	s_mov_b32 s58, s39
	s_or_b64 s[56:57], s[58:59], s[56:57]
	s_and_b32 s59, s48, 0xff00
	s_or_b64 s[56:57], s[56:57], s[58:59]
	s_and_b32 s59, s48, 0xff
	s_or_b64 s[38:39], s[56:57], s[58:59]
	v_mov_b32_e32 v27, s39
	v_mov_b32_e32 v28, 1
	v_pk_mov_b32 v[30:31], s[40:41], s[40:41] op_sel:[0,1]
	;;#ASMSTART
	global_store_dwordx4 v[30:31], v[26:29] off	
s_waitcnt vmcnt(0)
	;;#ASMEND
.LBB1941_112:
	s_or_b64 exec, exec, s[30:31]
	v_xad_u32 v34, v48, -1, s47
	v_add_u32_e32 v28, 64, v34
	v_lshlrev_b64 v[30:31], 4, v[28:29]
	v_mov_b32_e32 v27, s45
	v_add_co_u32_e32 v36, vcc, s44, v30
	v_addc_co_u32_e32 v37, vcc, v27, v31, vcc
	;;#ASMSTART
	global_load_dwordx4 v[30:33], v[36:37] off glc	
s_waitcnt vmcnt(0)
	;;#ASMEND
	v_and_b32_e32 v27, 0xff0000, v30
	v_or_b32_sdwa v27, v30, v27 dst_sel:DWORD dst_unused:UNUSED_PAD src0_sel:WORD_0 src1_sel:DWORD
	v_and_b32_e32 v28, 0xff000000, v30
	v_and_b32_e32 v30, 0xff, v31
	v_or3_b32 v31, 0, 0, v30
	v_or3_b32 v30, v27, v28, 0
	v_cmp_eq_u16_sdwa s[38:39], v32, v29 src0_sel:BYTE_0 src1_sel:DWORD
	s_and_saveexec_b64 s[30:31], s[38:39]
	s_cbranch_execz .LBB1941_116
; %bb.113:
	s_mov_b64 s[38:39], 0
	v_mov_b32_e32 v27, 0
.LBB1941_114:                           ; =>This Inner Loop Header: Depth=1
	;;#ASMSTART
	global_load_dwordx4 v[30:33], v[36:37] off glc	
s_waitcnt vmcnt(0)
	;;#ASMEND
	v_cmp_ne_u16_sdwa s[40:41], v32, v27 src0_sel:BYTE_0 src1_sel:DWORD
	s_or_b64 s[38:39], s[40:41], s[38:39]
	s_andn2_b64 exec, exec, s[38:39]
	s_cbranch_execnz .LBB1941_114
; %bb.115:
	s_or_b64 exec, exec, s[38:39]
	v_and_b32_e32 v31, 0xff, v31
.LBB1941_116:
	s_or_b64 exec, exec, s[30:31]
	v_mov_b32_e32 v27, 2
	v_cmp_eq_u16_sdwa s[30:31], v32, v27 src0_sel:BYTE_0 src1_sel:DWORD
	v_lshlrev_b64 v[28:29], v48, -1
	v_and_b32_e32 v33, s31, v29
	v_or_b32_e32 v33, 0x80000000, v33
	v_and_b32_e32 v35, s30, v28
	v_ffbl_b32_e32 v33, v33
	v_and_b32_e32 v49, 63, v48
	v_add_u32_e32 v33, 32, v33
	v_ffbl_b32_e32 v35, v35
	v_cmp_ne_u32_e32 vcc, 63, v49
	v_min_u32_e32 v33, v35, v33
	v_addc_co_u32_e32 v35, vcc, 0, v48, vcc
	v_lshlrev_b32_e32 v50, 2, v35
	ds_bpermute_b32 v35, v50, v31
	ds_bpermute_b32 v36, v50, v30
	s_mov_b32 s38, 0
	v_and_b32_e32 v37, 1, v31
	s_mov_b32 s39, 1
	s_waitcnt lgkmcnt(1)
	v_and_b32_e32 v35, 1, v35
	v_cmp_eq_u32_e32 vcc, 1, v37
	v_cndmask_b32_e64 v35, v35, 1, vcc
	v_cmp_gt_u64_e32 vcc, s[38:39], v[30:31]
	v_cmp_lt_u32_e64 s[30:31], v49, v33
	s_and_b64 vcc, s[30:31], vcc
	v_and_b32_e32 v37, 0xffff, v35
	v_cndmask_b32_e64 v56, v31, v35, s[30:31]
	s_waitcnt lgkmcnt(0)
	v_cndmask_b32_e32 v35, 0, v36, vcc
	v_cmp_gt_u32_e32 vcc, 62, v49
	v_cndmask_b32_e64 v36, 0, 1, vcc
	v_lshlrev_b32_e32 v36, 1, v36
	v_cndmask_b32_e64 v31, v31, v37, s[30:31]
	v_add_lshl_u32 v51, v36, v48, 2
	ds_bpermute_b32 v36, v51, v31
	v_add_u32_e32 v30, v35, v30
	ds_bpermute_b32 v37, v51, v30
	v_and_b32_e32 v35, 1, v56
	v_cmp_eq_u32_e32 vcc, 1, v35
	s_waitcnt lgkmcnt(1)
	v_and_b32_e32 v36, 1, v36
	v_mov_b32_e32 v35, 0
	v_add_u32_e32 v55, 2, v49
	v_cndmask_b32_e64 v36, v36, 1, vcc
	v_cmp_eq_u16_sdwa vcc, v56, v35 src0_sel:BYTE_0 src1_sel:DWORD
	v_and_b32_e32 v57, 0xffff, v36
	s_waitcnt lgkmcnt(0)
	v_cndmask_b32_e32 v37, 0, v37, vcc
	v_cmp_gt_u32_e32 vcc, v55, v33
	v_cndmask_b32_e32 v36, v36, v56, vcc
	v_cndmask_b32_e64 v37, v37, 0, vcc
	v_cndmask_b32_e32 v31, v57, v31, vcc
	v_cmp_gt_u32_e32 vcc, 60, v49
	v_cndmask_b32_e64 v56, 0, 1, vcc
	v_lshlrev_b32_e32 v56, 2, v56
	v_add_lshl_u32 v56, v56, v48, 2
	ds_bpermute_b32 v58, v56, v31
	v_add_u32_e32 v30, v37, v30
	ds_bpermute_b32 v37, v56, v30
	v_and_b32_e32 v59, 1, v36
	v_cmp_eq_u32_e32 vcc, 1, v59
	s_waitcnt lgkmcnt(1)
	v_and_b32_e32 v58, 1, v58
	v_add_u32_e32 v57, 4, v49
	v_cndmask_b32_e64 v58, v58, 1, vcc
	v_cmp_eq_u16_sdwa vcc, v36, v35 src0_sel:BYTE_0 src1_sel:DWORD
	v_and_b32_e32 v59, 0xffff, v58
	s_waitcnt lgkmcnt(0)
	v_cndmask_b32_e32 v37, 0, v37, vcc
	v_cmp_gt_u32_e32 vcc, v57, v33
	v_cndmask_b32_e32 v36, v58, v36, vcc
	v_cndmask_b32_e64 v37, v37, 0, vcc
	v_cndmask_b32_e32 v31, v59, v31, vcc
	v_cmp_gt_u32_e32 vcc, 56, v49
	v_cndmask_b32_e64 v58, 0, 1, vcc
	v_lshlrev_b32_e32 v58, 3, v58
	v_add_lshl_u32 v58, v58, v48, 2
	ds_bpermute_b32 v60, v58, v31
	v_add_u32_e32 v30, v37, v30
	ds_bpermute_b32 v37, v58, v30
	v_and_b32_e32 v61, 1, v36
	v_cmp_eq_u32_e32 vcc, 1, v61
	s_waitcnt lgkmcnt(1)
	v_and_b32_e32 v60, 1, v60
	;; [unrolled: 21-line block ×4, first 2 shown]
	v_add_u32_e32 v64, 32, v49
	v_cndmask_b32_e64 v31, v31, 1, vcc
	v_cmp_eq_u16_sdwa vcc, v36, v35 src0_sel:BYTE_0 src1_sel:DWORD
	s_waitcnt lgkmcnt(0)
	v_cndmask_b32_e32 v37, 0, v37, vcc
	v_cmp_gt_u32_e32 vcc, v64, v33
	v_cndmask_b32_e64 v33, v37, 0, vcc
	v_cndmask_b32_e32 v31, v31, v36, vcc
	v_add_u32_e32 v30, v33, v30
	s_branch .LBB1941_118
.LBB1941_117:                           ;   in Loop: Header=BB1941_118 Depth=1
	s_or_b64 exec, exec, s[30:31]
	v_cmp_eq_u16_sdwa s[30:31], v32, v27 src0_sel:BYTE_0 src1_sel:DWORD
	v_and_b32_e32 v33, s31, v29
	ds_bpermute_b32 v37, v50, v31
	v_or_b32_e32 v33, 0x80000000, v33
	v_and_b32_e32 v36, s30, v28
	v_ffbl_b32_e32 v33, v33
	v_add_u32_e32 v33, 32, v33
	v_ffbl_b32_e32 v36, v36
	v_min_u32_e32 v33, v36, v33
	ds_bpermute_b32 v36, v50, v30
	v_and_b32_e32 v65, 1, v31
	s_waitcnt lgkmcnt(1)
	v_and_b32_e32 v37, 1, v37
	v_cmp_eq_u32_e32 vcc, 1, v65
	v_cndmask_b32_e64 v37, v37, 1, vcc
	v_cmp_gt_u64_e32 vcc, s[38:39], v[30:31]
	v_and_b32_e32 v65, 0xffff, v37
	v_cmp_lt_u32_e64 s[30:31], v49, v33
	v_cndmask_b32_e64 v37, v31, v37, s[30:31]
	v_cndmask_b32_e64 v31, v31, v65, s[30:31]
	s_and_b64 vcc, s[30:31], vcc
	ds_bpermute_b32 v65, v51, v31
	s_waitcnt lgkmcnt(1)
	v_cndmask_b32_e32 v36, 0, v36, vcc
	v_add_u32_e32 v30, v36, v30
	ds_bpermute_b32 v36, v51, v30
	v_and_b32_e32 v66, 1, v37
	s_waitcnt lgkmcnt(1)
	v_and_b32_e32 v65, 1, v65
	v_cmp_eq_u32_e32 vcc, 1, v66
	v_cndmask_b32_e64 v65, v65, 1, vcc
	v_cmp_eq_u16_sdwa vcc, v37, v35 src0_sel:BYTE_0 src1_sel:DWORD
	v_and_b32_e32 v66, 0xffff, v65
	s_waitcnt lgkmcnt(0)
	v_cndmask_b32_e32 v36, 0, v36, vcc
	v_cmp_gt_u32_e32 vcc, v55, v33
	v_cndmask_b32_e32 v31, v66, v31, vcc
	v_cndmask_b32_e32 v37, v65, v37, vcc
	ds_bpermute_b32 v65, v56, v31
	v_cndmask_b32_e64 v36, v36, 0, vcc
	v_add_u32_e32 v30, v36, v30
	ds_bpermute_b32 v36, v56, v30
	v_and_b32_e32 v66, 1, v37
	s_waitcnt lgkmcnt(1)
	v_and_b32_e32 v65, 1, v65
	v_cmp_eq_u32_e32 vcc, 1, v66
	v_cndmask_b32_e64 v65, v65, 1, vcc
	v_cmp_eq_u16_sdwa vcc, v37, v35 src0_sel:BYTE_0 src1_sel:DWORD
	v_and_b32_e32 v66, 0xffff, v65
	s_waitcnt lgkmcnt(0)
	v_cndmask_b32_e32 v36, 0, v36, vcc
	v_cmp_gt_u32_e32 vcc, v57, v33
	v_cndmask_b32_e32 v31, v66, v31, vcc
	v_cndmask_b32_e32 v37, v65, v37, vcc
	ds_bpermute_b32 v65, v58, v31
	v_cndmask_b32_e64 v36, v36, 0, vcc
	;; [unrolled: 16-line block ×3, first 2 shown]
	v_add_u32_e32 v30, v36, v30
	ds_bpermute_b32 v36, v60, v30
	v_and_b32_e32 v66, 1, v37
	s_waitcnt lgkmcnt(1)
	v_and_b32_e32 v65, 1, v65
	v_cmp_eq_u32_e32 vcc, 1, v66
	v_cndmask_b32_e64 v65, v65, 1, vcc
	v_cmp_eq_u16_sdwa vcc, v37, v35 src0_sel:BYTE_0 src1_sel:DWORD
	v_and_b32_e32 v66, 0xffff, v65
	s_waitcnt lgkmcnt(0)
	v_cndmask_b32_e32 v36, 0, v36, vcc
	v_cmp_gt_u32_e32 vcc, v61, v33
	v_cndmask_b32_e64 v36, v36, 0, vcc
	v_cndmask_b32_e32 v31, v66, v31, vcc
	ds_bpermute_b32 v31, v63, v31
	v_add_u32_e32 v30, v36, v30
	ds_bpermute_b32 v36, v63, v30
	v_cndmask_b32_e32 v37, v65, v37, vcc
	v_and_b32_e32 v65, 1, v37
	v_cmp_eq_u32_e32 vcc, 1, v65
	s_waitcnt lgkmcnt(1)
	v_cndmask_b32_e64 v31, v31, 1, vcc
	v_cmp_eq_u16_sdwa vcc, v37, v35 src0_sel:BYTE_0 src1_sel:DWORD
	s_waitcnt lgkmcnt(0)
	v_cndmask_b32_e32 v36, 0, v36, vcc
	v_cmp_gt_u32_e32 vcc, v64, v33
	v_cndmask_b32_e64 v33, v36, 0, vcc
	v_cndmask_b32_e32 v31, v31, v37, vcc
	v_add_u32_e32 v30, v33, v30
	v_cmp_eq_u16_sdwa vcc, v48, v35 src0_sel:BYTE_0 src1_sel:DWORD
	v_and_b32_e32 v33, 1, v48
	v_cndmask_b32_e32 v30, 0, v30, vcc
	v_and_b32_e32 v31, 1, v31
	v_cmp_eq_u32_e32 vcc, 1, v33
	v_subrev_u32_e32 v34, 64, v34
	v_add_u32_e32 v30, v30, v62
	v_cndmask_b32_e64 v31, v31, 1, vcc
.LBB1941_118:                           ; =>This Loop Header: Depth=1
                                        ;     Child Loop BB1941_121 Depth 2
	v_cmp_ne_u16_sdwa s[30:31], v32, v27 src0_sel:BYTE_0 src1_sel:DWORD
	v_mov_b32_e32 v48, v31
	v_cndmask_b32_e64 v31, 0, 1, s[30:31]
	;;#ASMSTART
	;;#ASMEND
	v_cmp_ne_u32_e32 vcc, 0, v31
	s_cmp_lg_u64 vcc, exec
	v_mov_b32_e32 v62, v30
	s_cbranch_scc1 .LBB1941_123
; %bb.119:                              ;   in Loop: Header=BB1941_118 Depth=1
	v_lshlrev_b64 v[30:31], 4, v[34:35]
	v_mov_b32_e32 v32, s45
	v_add_co_u32_e32 v36, vcc, s44, v30
	v_addc_co_u32_e32 v37, vcc, v32, v31, vcc
	;;#ASMSTART
	global_load_dwordx4 v[30:33], v[36:37] off glc	
s_waitcnt vmcnt(0)
	;;#ASMEND
	v_and_b32_e32 v33, 0xff0000, v30
	v_or_b32_sdwa v33, v30, v33 dst_sel:DWORD dst_unused:UNUSED_PAD src0_sel:WORD_0 src1_sel:DWORD
	v_and_b32_e32 v30, 0xff000000, v30
	v_and_b32_e32 v31, 0xff, v31
	v_or3_b32 v31, 0, 0, v31
	v_or3_b32 v30, v33, v30, 0
	v_cmp_eq_u16_sdwa s[40:41], v32, v35 src0_sel:BYTE_0 src1_sel:DWORD
	s_and_saveexec_b64 s[30:31], s[40:41]
	s_cbranch_execz .LBB1941_117
; %bb.120:                              ;   in Loop: Header=BB1941_118 Depth=1
	s_mov_b64 s[40:41], 0
.LBB1941_121:                           ;   Parent Loop BB1941_118 Depth=1
                                        ; =>  This Inner Loop Header: Depth=2
	;;#ASMSTART
	global_load_dwordx4 v[30:33], v[36:37] off glc	
s_waitcnt vmcnt(0)
	;;#ASMEND
	v_cmp_ne_u16_sdwa s[56:57], v32, v35 src0_sel:BYTE_0 src1_sel:DWORD
	s_or_b64 s[40:41], s[56:57], s[40:41]
	s_andn2_b64 exec, exec, s[40:41]
	s_cbranch_execnz .LBB1941_121
; %bb.122:                              ;   in Loop: Header=BB1941_118 Depth=1
	s_or_b64 exec, exec, s[40:41]
	v_and_b32_e32 v31, 0xff, v31
	s_branch .LBB1941_117
.LBB1941_123:                           ;   in Loop: Header=BB1941_118 Depth=1
                                        ; implicit-def: $vgpr31
                                        ; implicit-def: $vgpr30
                                        ; implicit-def: $vgpr32
	s_cbranch_execz .LBB1941_118
; %bb.124:
	s_and_saveexec_b64 s[30:31], s[28:29]
	s_cbranch_execz .LBB1941_126
; %bb.125:
	s_and_b32 s38, s48, 0xff
	s_cmp_eq_u32 s38, 0
	s_cselect_b64 vcc, -1, 0
	s_bitcmp1_b32 s48, 0
	s_mov_b32 s39, 0
	s_cselect_b64 s[40:41], -1, 0
	s_add_i32 s38, s47, 64
	s_lshl_b64 s[38:39], s[38:39], 4
	v_cndmask_b32_e32 v27, 0, v62, vcc
	s_add_u32 s38, s44, s38
	v_add_u32_e32 v26, v27, v26
	v_and_b32_e32 v27, 1, v48
	s_addc_u32 s39, s45, s39
	v_mov_b32_e32 v29, 0
	v_cndmask_b32_e64 v27, v27, 1, s[40:41]
	v_mov_b32_e32 v28, 2
	v_pk_mov_b32 v[30:31], s[38:39], s[38:39] op_sel:[0,1]
	;;#ASMSTART
	global_store_dwordx4 v[30:31], v[26:29] off	
s_waitcnt vmcnt(0)
	;;#ASMEND
.LBB1941_126:
	s_or_b64 exec, exec, s[30:31]
	s_and_b64 exec, exec, s[0:1]
	s_cbranch_execz .LBB1941_128
; %bb.127:
	v_mov_b32_e32 v26, 0
	ds_write_b32 v26, v62 offset:24
	ds_write_b8 v26, v48 offset:28
.LBB1941_128:
	s_or_b64 exec, exec, s[36:37]
	v_mov_b32_e32 v28, 0
	s_waitcnt lgkmcnt(0)
	s_barrier
	ds_read_b32 v26, v28 offset:24
	v_cndmask_b32_e64 v27, v47, v45, s[28:29]
	v_cmp_eq_u16_sdwa vcc, v27, v28 src0_sel:BYTE_0 src1_sel:DWORD
	v_cndmask_b32_e64 v29, v46, v44, s[28:29]
	s_waitcnt lgkmcnt(0)
	v_cndmask_b32_e32 v27, 0, v26, vcc
	v_add_u32_e32 v27, v27, v29
	v_and_b32_e32 v29, 0xff, v41
	v_cndmask_b32_e64 v26, v27, v26, s[0:1]
	v_cmp_eq_u64_e32 vcc, 0, v[28:29]
	v_cndmask_b32_e32 v27, 0, v26, vcc
	v_add_u32_e32 v27, v27, v40
	v_cndmask_b32_e64 v28, 0, v27, s[4:5]
	v_add_u32_e32 v44, v28, v8
	v_cndmask_b32_e64 v28, 0, v44, s[6:7]
	;; [unrolled: 2-line block ×12, first 2 shown]
	v_add_u32_e32 v51, v28, v24
	s_branch .LBB1941_143
.LBB1941_129:
                                        ; implicit-def: $vgpr51
                                        ; implicit-def: $vgpr49
                                        ; implicit-def: $vgpr47
                                        ; implicit-def: $vgpr45
                                        ; implicit-def: $vgpr34_vgpr35_vgpr36_vgpr37
                                        ; implicit-def: $vgpr30_vgpr31_vgpr32_vgpr33
                                        ; implicit-def: $vgpr26_vgpr27_vgpr28_vgpr29
	s_cbranch_execz .LBB1941_143
; %bb.130:
	s_cmp_lg_u64 s[52:53], 0
	s_cselect_b32 s5, s51, 0
	s_cselect_b32 s4, s50, 0
	s_mov_b32 s26, 0
	s_cmp_eq_u64 s[4:5], 0
	v_mov_b32_e32 v32, s54
	s_cbranch_scc1 .LBB1941_132
; %bb.131:
	v_mov_b32_e32 v26, 0
	global_load_dword v32, v26, s[4:5]
.LBB1941_132:
	s_mov_b32 s27, 1
	v_cmp_gt_u64_e32 vcc, s[26:27], v[8:9]
	v_cndmask_b32_e32 v27, 0, v40, vcc
	v_add_u32_e32 v27, v27, v8
	v_cmp_gt_u64_e64 s[4:5], s[26:27], v[6:7]
	v_cndmask_b32_e64 v27, 0, v27, s[4:5]
	v_add_u32_e32 v27, v27, v6
	v_cmp_gt_u64_e64 s[6:7], s[26:27], v[4:5]
	v_cndmask_b32_e64 v27, 0, v27, s[6:7]
	;; [unrolled: 3-line block ×11, first 2 shown]
	v_mov_b32_e32 v26, 0
	v_add_u32_e32 v27, v27, v24
	v_cmp_gt_u64_e64 s[26:27], s[26:27], v[42:43]
	v_or3_b32 v7, v23, v15, v7
	v_cndmask_b32_e64 v27, 0, v27, s[26:27]
	v_or3_b32 v9, v25, v17, v9
	v_and_b32_e32 v35, 1, v7
	v_mov_b32_e32 v34, v26
	v_add_u32_e32 v33, v27, v42
	v_and_b32_e32 v27, 1, v43
	v_or3_b32 v3, v19, v11, v3
	v_and_b32_e32 v31, 1, v9
	v_mov_b32_e32 v30, v26
	v_cmp_ne_u64_e64 s[28:29], 0, v[34:35]
	v_cmp_eq_u32_e64 s[26:27], 1, v27
	v_or3_b32 v5, v21, v13, v5
	v_and_b32_e32 v27, 1, v3
	v_cndmask_b32_e64 v3, 0, 1, s[28:29]
	v_cmp_ne_u64_e64 s[28:29], 0, v[30:31]
	v_and_b32_e32 v29, 1, v5
	v_mov_b32_e32 v28, v26
	v_cndmask_b32_e64 v5, 0, 1, s[28:29]
	v_lshlrev_b16_e32 v3, 2, v3
	v_lshlrev_b16_e32 v5, 3, v5
	v_cmp_ne_u64_e64 s[28:29], 0, v[28:29]
	v_or_b32_e32 v3, v5, v3
	v_cndmask_b32_e64 v5, 0, 1, s[28:29]
	v_cmp_ne_u64_e64 s[28:29], 0, v[26:27]
	v_lshlrev_b16_e32 v5, 1, v5
	v_cndmask_b32_e64 v7, 0, 1, s[28:29]
	v_or_b32_e32 v5, v7, v5
	v_and_b32_e32 v5, 3, v5
	v_or_b32_e32 v3, v5, v3
	v_and_b32_e32 v3, 15, v3
	v_cmp_ne_u16_e64 s[28:29], 0, v3
	s_or_b64 s[26:27], s[26:27], s[28:29]
	v_cndmask_b32_e64 v5, v41, 1, s[26:27]
	v_and_b32_e32 v7, 0xff, v5
	v_mov_b32_dpp v11, v33 row_shr:1 row_mask:0xf bank_mask:0xf
	v_cmp_eq_u16_e64 s[26:27], 0, v7
	v_mov_b32_dpp v13, v7 row_shr:1 row_mask:0xf bank_mask:0xf
	v_and_b32_e32 v15, 1, v5
	v_mbcnt_hi_u32_b32 v3, -1, v54
	v_cndmask_b32_e64 v11, 0, v11, s[26:27]
	v_and_b32_e32 v13, 1, v13
	v_cmp_eq_u32_e64 s[26:27], 1, v15
	v_and_b32_e32 v9, 15, v3
	v_cndmask_b32_e64 v13, v13, 1, s[26:27]
	v_and_b32_e32 v15, 0xffff, v13
	v_cmp_eq_u32_e64 s[26:27], 0, v9
	v_cndmask_b32_e64 v5, v13, v5, s[26:27]
	v_cndmask_b32_e64 v7, v15, v7, s[26:27]
	v_and_b32_e32 v17, 1, v5
	v_cndmask_b32_e64 v11, v11, 0, s[26:27]
	v_mov_b32_dpp v15, v7 row_shr:2 row_mask:0xf bank_mask:0xf
	v_and_b32_e32 v15, 1, v15
	v_cmp_eq_u32_e64 s[26:27], 1, v17
	v_cndmask_b32_e64 v15, v15, 1, s[26:27]
	v_and_b32_e32 v17, 0xffff, v15
	v_cmp_lt_u32_e64 s[26:27], 1, v9
	v_add_u32_e32 v11, v11, v33
	v_cmp_eq_u16_sdwa s[28:29], v5, v26 src0_sel:BYTE_0 src1_sel:DWORD
	v_cndmask_b32_e64 v5, v5, v15, s[26:27]
	v_cndmask_b32_e64 v7, v7, v17, s[26:27]
	v_mov_b32_dpp v13, v11 row_shr:2 row_mask:0xf bank_mask:0xf
	s_and_b64 s[26:27], s[26:27], s[28:29]
	v_mov_b32_dpp v15, v7 row_shr:4 row_mask:0xf bank_mask:0xf
	v_and_b32_e32 v17, 1, v5
	v_cndmask_b32_e64 v13, 0, v13, s[26:27]
	v_and_b32_e32 v15, 1, v15
	v_cmp_eq_u32_e64 s[26:27], 1, v17
	v_cndmask_b32_e64 v15, v15, 1, s[26:27]
	v_and_b32_e32 v17, 0xffff, v15
	v_cmp_lt_u32_e64 s[26:27], 3, v9
	v_add_u32_e32 v11, v13, v11
	v_cmp_eq_u16_sdwa s[28:29], v5, v26 src0_sel:BYTE_0 src1_sel:DWORD
	v_cndmask_b32_e64 v5, v5, v15, s[26:27]
	v_cndmask_b32_e64 v7, v7, v17, s[26:27]
	v_mov_b32_dpp v13, v11 row_shr:4 row_mask:0xf bank_mask:0xf
	s_and_b64 s[26:27], s[26:27], s[28:29]
	v_mov_b32_dpp v15, v7 row_shr:8 row_mask:0xf bank_mask:0xf
	v_and_b32_e32 v17, 1, v5
	v_cndmask_b32_e64 v13, 0, v13, s[26:27]
	v_and_b32_e32 v15, 1, v15
	v_cmp_eq_u32_e64 s[26:27], 1, v17
	v_cndmask_b32_e64 v15, v15, 1, s[26:27]
	v_add_u32_e32 v11, v13, v11
	v_cmp_eq_u16_sdwa s[28:29], v5, v26 src0_sel:BYTE_0 src1_sel:DWORD
	v_and_b32_e32 v17, 0xffff, v15
	v_cmp_lt_u32_e64 s[26:27], 7, v9
	v_mov_b32_dpp v13, v11 row_shr:8 row_mask:0xf bank_mask:0xf
	v_cndmask_b32_e64 v5, v5, v15, s[26:27]
	v_cndmask_b32_e64 v7, v7, v17, s[26:27]
	s_and_b64 s[26:27], s[26:27], s[28:29]
	v_cndmask_b32_e64 v9, 0, v13, s[26:27]
	v_add_u32_e32 v9, v9, v11
	v_mov_b32_dpp v13, v7 row_bcast:15 row_mask:0xf bank_mask:0xf
	v_cmp_eq_u16_sdwa s[26:27], v5, v26 src0_sel:BYTE_0 src1_sel:DWORD
	v_mov_b32_dpp v11, v9 row_bcast:15 row_mask:0xf bank_mask:0xf
	v_and_b32_e32 v19, 1, v5
	v_cndmask_b32_e64 v11, 0, v11, s[26:27]
	v_and_b32_e32 v13, 1, v13
	v_cmp_eq_u32_e64 s[26:27], 1, v19
	v_and_b32_e32 v17, 16, v3
	v_cndmask_b32_e64 v13, v13, 1, s[26:27]
	v_and_b32_e32 v19, 0xffff, v13
	v_cmp_eq_u32_e64 s[26:27], 0, v17
	v_cndmask_b32_e64 v5, v13, v5, s[26:27]
	v_cndmask_b32_e64 v7, v19, v7, s[26:27]
	v_bfe_i32 v15, v3, 4, 1
	v_and_b32_e32 v13, 1, v5
	v_mov_b32_dpp v7, v7 row_bcast:31 row_mask:0xf bank_mask:0xf
	v_and_b32_e32 v11, v15, v11
	v_and_b32_e32 v7, 1, v7
	v_cmp_eq_u32_e64 s[26:27], 1, v13
	v_add_u32_e32 v9, v11, v9
	v_cmp_eq_u16_sdwa s[28:29], v5, v26 src0_sel:BYTE_0 src1_sel:DWORD
	v_cndmask_b32_e64 v7, v7, 1, s[26:27]
	v_cmp_lt_u32_e64 s[26:27], 31, v3
	v_mov_b32_dpp v11, v9 row_bcast:31 row_mask:0xf bank_mask:0xf
	v_cndmask_b32_e64 v5, v5, v7, s[26:27]
	s_and_b64 s[26:27], s[26:27], s[28:29]
	v_cndmask_b32_e64 v7, 0, v11, s[26:27]
	v_add_u32_e32 v7, v7, v9
	v_cmp_eq_u32_e64 s[26:27], v53, v0
	s_and_saveexec_b64 s[28:29], s[26:27]
	s_cbranch_execz .LBB1941_134
; %bb.133:
	v_lshlrev_b32_e32 v9, 3, v1
	ds_write_b32 v9, v7
	ds_write_b8 v9, v5 offset:4
.LBB1941_134:
	s_or_b64 exec, exec, s[28:29]
	v_cmp_gt_u32_e64 s[26:27], 4, v0
	s_waitcnt lgkmcnt(0)
	s_barrier
	s_and_saveexec_b64 s[28:29], s[26:27]
	s_cbranch_execz .LBB1941_138
; %bb.135:
	v_lshlrev_b32_e32 v9, 3, v0
	ds_read_b64 v[26:27], v9
	v_and_b32_e32 v11, 3, v3
	v_cmp_ne_u32_e64 s[26:27], 0, v11
	s_waitcnt lgkmcnt(0)
	v_mov_b32_dpp v13, v26 row_shr:1 row_mask:0xf bank_mask:0xf
	v_mov_b32_dpp v17, v27 row_shr:1 row_mask:0xf bank_mask:0xf
	v_mov_b32_e32 v15, v27
	s_and_saveexec_b64 s[30:31], s[26:27]
	s_cbranch_execz .LBB1941_137
; %bb.136:
	v_and_b32_e32 v15, 1, v27
	v_and_b32_e32 v17, 1, v17
	v_cmp_eq_u32_e64 s[26:27], 1, v15
	v_mov_b32_e32 v15, 0
	v_cndmask_b32_e64 v17, v17, 1, s[26:27]
	v_cmp_eq_u16_sdwa s[26:27], v27, v15 src0_sel:BYTE_0 src1_sel:DWORD
	v_cndmask_b32_e64 v13, 0, v13, s[26:27]
	v_add_u32_e32 v26, v13, v26
	v_and_b32_e32 v13, 0xffff, v17
	s_movk_i32 s26, 0xff00
	v_and_or_b32 v15, v27, s26, v13
	v_mov_b32_e32 v27, v17
.LBB1941_137:
	s_or_b64 exec, exec, s[30:31]
	v_mov_b32_dpp v15, v15 row_shr:2 row_mask:0xf bank_mask:0xf
	v_and_b32_e32 v17, 1, v27
	v_and_b32_e32 v15, 1, v15
	v_cmp_eq_u32_e64 s[26:27], 1, v17
	v_mov_b32_e32 v17, 0
	v_cndmask_b32_e64 v15, v15, 1, s[26:27]
	v_cmp_eq_u16_sdwa s[30:31], v27, v17 src0_sel:BYTE_0 src1_sel:DWORD
	v_cmp_lt_u32_e64 s[26:27], 1, v11
	v_mov_b32_dpp v13, v26 row_shr:2 row_mask:0xf bank_mask:0xf
	v_cndmask_b32_e64 v11, v27, v15, s[26:27]
	s_and_b64 s[26:27], s[26:27], s[30:31]
	v_cndmask_b32_e64 v13, 0, v13, s[26:27]
	v_add_u32_e32 v13, v13, v26
	ds_write_b32 v9, v13
	ds_write_b8 v9, v11 offset:4
.LBB1941_138:
	s_or_b64 exec, exec, s[28:29]
	v_cmp_lt_u32_e64 s[26:27], 63, v0
	s_waitcnt vmcnt(0)
	v_mov_b32_e32 v9, v32
	s_waitcnt lgkmcnt(0)
	s_barrier
	s_and_saveexec_b64 s[28:29], s[26:27]
	s_cbranch_execz .LBB1941_140
; %bb.139:
	v_lshl_add_u32 v1, v1, 3, -8
	ds_read_u8 v9, v1 offset:4
	ds_read_b32 v1, v1
	s_waitcnt lgkmcnt(1)
	v_cmp_eq_u16_e64 s[26:27], 0, v9
	v_cndmask_b32_e64 v9, 0, v32, s[26:27]
	s_waitcnt lgkmcnt(0)
	v_add_u32_e32 v9, v9, v1
.LBB1941_140:
	s_or_b64 exec, exec, s[28:29]
	v_mov_b32_e32 v28, 0
	v_cmp_eq_u16_sdwa s[26:27], v5, v28 src0_sel:BYTE_0 src1_sel:DWORD
	v_cndmask_b32_e64 v1, 0, v9, s[26:27]
	v_add_u32_e32 v1, v1, v7
	v_add_u32_e32 v5, -1, v3
	v_and_b32_e32 v7, 64, v3
	v_cmp_lt_i32_e64 s[26:27], v5, v7
	v_cndmask_b32_e64 v5, v5, v3, s[26:27]
	v_lshlrev_b32_e32 v5, 2, v5
	ds_bpermute_b32 v1, v5, v1
	v_cmp_eq_u32_e64 s[26:27], 0, v3
	v_and_b32_e32 v29, 0xff, v41
	s_waitcnt lgkmcnt(0)
	v_cndmask_b32_e64 v26, v1, v9, s[26:27]
	v_cndmask_b32_e64 v1, v26, v32, s[0:1]
	v_cmp_eq_u64_e64 s[26:27], 0, v[28:29]
	v_cndmask_b32_e64 v1, 0, v1, s[26:27]
	v_add_u32_e32 v27, v1, v40
	v_cndmask_b32_e32 v1, 0, v27, vcc
	v_add_u32_e32 v44, v1, v8
	v_cndmask_b32_e64 v1, 0, v44, s[4:5]
	v_add_u32_e32 v45, v1, v6
	v_cndmask_b32_e64 v1, 0, v45, s[6:7]
	;; [unrolled: 2-line block ×11, first 2 shown]
	s_and_saveexec_b64 s[4:5], s[0:1]
	s_cbranch_execz .LBB1941_142
; %bb.141:
	ds_read_u8 v3, v28 offset:28
	ds_read_b32 v2, v28 offset:24
	s_add_u32 s0, s44, 0x400
	s_addc_u32 s1, s45, 0
	v_mov_b32_e32 v5, v28
	s_waitcnt lgkmcnt(1)
	v_cmp_eq_u16_e32 vcc, 0, v3
	v_cndmask_b32_e32 v4, 0, v32, vcc
	s_waitcnt lgkmcnt(0)
	v_add_u32_e32 v2, v4, v2
	v_and_b32_e32 v3, 0xffff, v3
	v_mov_b32_e32 v4, 2
	v_pk_mov_b32 v[6:7], s[0:1], s[0:1] op_sel:[0,1]
	;;#ASMSTART
	global_store_dwordx4 v[6:7], v[2:5] off	
s_waitcnt vmcnt(0)
	;;#ASMEND
	v_mov_b32_e32 v26, v32
.LBB1941_142:
	s_or_b64 exec, exec, s[4:5]
	v_add_u32_e32 v51, v1, v24
.LBB1941_143:
	s_add_u32 s0, s42, s34
	s_addc_u32 s1, s43, s35
	v_mov_b32_e32 v1, s1
	v_add_co_u32_e32 v18, vcc, s0, v38
	v_addc_co_u32_e32 v19, vcc, v1, v39, vcc
	v_mul_u32_u24_e32 v20, 14, v0
	s_and_b64 vcc, exec, s[2:3]
	s_cbranch_vccz .LBB1941_195
; %bb.144:
	s_add_i32 s33, s33, s46
	v_cmp_gt_u32_e32 vcc, s33, v20
	v_mov_b32_e32 v1, 0
	v_mov_b32_e32 v5, 0
	;; [unrolled: 1-line block ×15, first 2 shown]
	s_and_saveexec_b64 s[2:3], vcc
	s_cbranch_execz .LBB1941_168
; %bb.145:
	v_or_b32_e32 v2, 1, v20
	v_cmp_gt_u32_e32 vcc, s33, v2
	v_mov_b32_e32 v3, 0
	v_mov_b32_e32 v2, 0
	;; [unrolled: 1-line block ×13, first 2 shown]
	s_and_saveexec_b64 s[4:5], vcc
	s_cbranch_execz .LBB1941_167
; %bb.146:
	v_add_u32_e32 v2, 2, v20
	v_cmp_gt_u32_e32 vcc, s33, v2
	v_mov_b32_e32 v3, 0
	v_mov_b32_e32 v2, 0
	v_mov_b32_e32 v7, 0
	v_mov_b32_e32 v6, 0
	v_mov_b32_e32 v9, 0
	v_mov_b32_e32 v8, 0
	v_mov_b32_e32 v11, 0
	v_mov_b32_e32 v10, 0
	v_mov_b32_e32 v13, 0
	v_mov_b32_e32 v12, 0
	v_mov_b32_e32 v4, 0
	v_mov_b32_e32 v5, 0
	s_and_saveexec_b64 s[6:7], vcc
	s_cbranch_execz .LBB1941_166
; %bb.147:
	v_add_u32_e32 v2, 3, v20
	v_cmp_gt_u32_e32 vcc, s33, v2
	v_mov_b32_e32 v3, 0
	v_mov_b32_e32 v2, 0
	;; [unrolled: 1-line block ×11, first 2 shown]
	s_and_saveexec_b64 s[8:9], vcc
	s_cbranch_execz .LBB1941_165
; %bb.148:
	v_add_u32_e32 v2, 4, v20
	v_cmp_gt_u32_e32 vcc, s33, v2
	v_mov_b32_e32 v3, 0
	v_mov_b32_e32 v2, 0
	;; [unrolled: 1-line block ×10, first 2 shown]
	s_and_saveexec_b64 s[10:11], vcc
	s_cbranch_execz .LBB1941_164
; %bb.149:
	v_add_u32_e32 v2, 5, v20
	v_cmp_gt_u32_e32 vcc, s33, v2
	v_mov_b32_e32 v3, 0
	v_mov_b32_e32 v2, 0
	;; [unrolled: 1-line block ×9, first 2 shown]
	s_and_saveexec_b64 s[12:13], vcc
	s_cbranch_execz .LBB1941_163
; %bb.150:
	v_add_u32_e32 v2, 6, v20
	v_cmp_gt_u32_e32 vcc, s33, v2
	v_mov_b32_e32 v3, 0
	v_mov_b32_e32 v2, 0
	;; [unrolled: 1-line block ×8, first 2 shown]
	s_and_saveexec_b64 s[14:15], vcc
	s_cbranch_execz .LBB1941_162
; %bb.151:
	v_add_u32_e32 v2, 7, v20
	v_cmp_gt_u32_e32 vcc, s33, v2
	v_mov_b32_e32 v3, 0
	v_mov_b32_e32 v2, 0
	;; [unrolled: 1-line block ×7, first 2 shown]
	s_and_saveexec_b64 s[16:17], vcc
	s_cbranch_execz .LBB1941_161
; %bb.152:
	v_add_u32_e32 v2, 8, v20
	v_cmp_gt_u32_e32 vcc, s33, v2
	v_mov_b32_e32 v3, 0
	v_mov_b32_e32 v2, 0
	v_mov_b32_e32 v7, 0
	v_mov_b32_e32 v6, 0
	v_mov_b32_e32 v4, 0
	v_mov_b32_e32 v5, 0
	s_and_saveexec_b64 s[18:19], vcc
	s_cbranch_execz .LBB1941_160
; %bb.153:
	v_add_u32_e32 v2, 9, v20
	v_cmp_gt_u32_e32 vcc, s33, v2
	v_mov_b32_e32 v3, 0
	v_mov_b32_e32 v2, 0
	;; [unrolled: 1-line block ×5, first 2 shown]
	s_and_saveexec_b64 s[20:21], vcc
	s_cbranch_execz .LBB1941_159
; %bb.154:
	v_add_u32_e32 v2, 10, v20
	v_cmp_gt_u32_e32 vcc, s33, v2
	v_mov_b32_e32 v3, 0
	v_mov_b32_e32 v2, 0
	;; [unrolled: 1-line block ×4, first 2 shown]
	s_and_saveexec_b64 s[22:23], vcc
	s_cbranch_execz .LBB1941_158
; %bb.155:
	v_add_u32_e32 v2, 11, v20
	v_cmp_gt_u32_e32 vcc, s33, v2
	v_mov_b32_e32 v3, 0
	v_mov_b32_e32 v4, 0
	;; [unrolled: 1-line block ×3, first 2 shown]
	s_and_saveexec_b64 s[24:25], vcc
; %bb.156:
	v_add_u32_e32 v2, 12, v20
	v_cmp_gt_u32_e32 vcc, s33, v2
	v_add_u32_e32 v2, 13, v20
	v_cmp_gt_u32_e64 s[0:1], s33, v2
	v_cndmask_b32_e32 v4, 0, v50, vcc
	s_and_b64 vcc, vcc, s[0:1]
	v_cndmask_b32_e32 v5, 0, v51, vcc
	v_mov_b32_e32 v3, v49
; %bb.157:
	s_or_b64 exec, exec, s[24:25]
	v_mov_b32_e32 v2, v48
.LBB1941_158:
	s_or_b64 exec, exec, s[22:23]
	v_mov_b32_e32 v7, v35
.LBB1941_159:
	s_or_b64 exec, exec, s[20:21]
	v_mov_b32_e32 v6, v34
.LBB1941_160:
	s_or_b64 exec, exec, s[18:19]
	v_mov_b32_e32 v9, v47
.LBB1941_161:
	s_or_b64 exec, exec, s[16:17]
	v_mov_b32_e32 v8, v46
.LBB1941_162:
	s_or_b64 exec, exec, s[14:15]
	v_mov_b32_e32 v11, v31
.LBB1941_163:
	s_or_b64 exec, exec, s[12:13]
	v_mov_b32_e32 v10, v30
.LBB1941_164:
	s_or_b64 exec, exec, s[10:11]
	v_mov_b32_e32 v13, v45
.LBB1941_165:
	s_or_b64 exec, exec, s[8:9]
	v_mov_b32_e32 v12, v44
.LBB1941_166:
	s_or_b64 exec, exec, s[6:7]
	v_mov_b32_e32 v15, v27
.LBB1941_167:
	s_or_b64 exec, exec, s[4:5]
	v_mov_b32_e32 v14, v26
.LBB1941_168:
	s_or_b64 exec, exec, s[2:3]
	v_lshlrev_b32_e32 v21, 2, v20
	s_movk_i32 s0, 0xffcc
	s_barrier
	ds_write2_b64 v21, v[14:15], v[12:13] offset1:1
	ds_write2_b64 v21, v[10:11], v[8:9] offset0:2 offset1:3
	ds_write2_b64 v21, v[6:7], v[2:3] offset0:4 offset1:5
	ds_write_b64 v21, v[4:5] offset:48
	v_mad_i32_i24 v2, v0, s0, v21
	s_waitcnt lgkmcnt(0)
	s_barrier
	ds_read2st64_b32 v[16:17], v2 offset0:4 offset1:8
	ds_read2st64_b32 v[14:15], v2 offset0:12 offset1:16
	;; [unrolled: 1-line block ×6, first 2 shown]
	ds_read_b32 v3, v2 offset:13312
	v_add_co_u32_e32 v6, vcc, v18, v52
	v_addc_co_u32_e32 v7, vcc, 0, v19, vcc
	v_cmp_gt_u32_e32 vcc, s33, v0
	s_and_saveexec_b64 s[0:1], vcc
	s_cbranch_execz .LBB1941_170
; %bb.169:
	v_mul_i32_i24_e32 v2, 0xffffffcc, v0
	v_add_u32_e32 v2, v21, v2
	ds_read_b32 v2, v2
	s_waitcnt lgkmcnt(0)
	flat_store_dword v[6:7], v2
.LBB1941_170:
	s_or_b64 exec, exec, s[0:1]
	v_or_b32_e32 v2, 0x100, v0
	v_cmp_gt_u32_e32 vcc, s33, v2
	s_and_saveexec_b64 s[0:1], vcc
	s_cbranch_execz .LBB1941_172
; %bb.171:
	s_waitcnt lgkmcnt(0)
	flat_store_dword v[6:7], v16 offset:1024
.LBB1941_172:
	s_or_b64 exec, exec, s[0:1]
	v_or_b32_e32 v2, 0x200, v0
	v_cmp_gt_u32_e32 vcc, s33, v2
	s_and_saveexec_b64 s[0:1], vcc
	s_cbranch_execz .LBB1941_174
; %bb.173:
	s_waitcnt lgkmcnt(0)
	flat_store_dword v[6:7], v17 offset:2048
.LBB1941_174:
	;; [unrolled: 9-line block ×3, first 2 shown]
	s_or_b64 exec, exec, s[0:1]
	v_or_b32_e32 v2, 0x400, v0
	v_cmp_gt_u32_e32 vcc, s33, v2
	s_and_saveexec_b64 s[0:1], vcc
	s_cbranch_execz .LBB1941_178
; %bb.177:
	s_waitcnt lgkmcnt(0)
	v_add_co_u32_e32 v16, vcc, 0x1000, v6
	v_addc_co_u32_e32 v17, vcc, 0, v7, vcc
	flat_store_dword v[16:17], v15
.LBB1941_178:
	s_or_b64 exec, exec, s[0:1]
	v_or_b32_e32 v2, 0x500, v0
	v_cmp_gt_u32_e32 vcc, s33, v2
	s_and_saveexec_b64 s[0:1], vcc
	s_cbranch_execz .LBB1941_180
; %bb.179:
	s_waitcnt lgkmcnt(0)
	v_add_co_u32_e32 v14, vcc, 0x1000, v6
	v_addc_co_u32_e32 v15, vcc, 0, v7, vcc
	flat_store_dword v[14:15], v12 offset:1024
.LBB1941_180:
	s_or_b64 exec, exec, s[0:1]
	v_or_b32_e32 v2, 0x600, v0
	v_cmp_gt_u32_e32 vcc, s33, v2
	s_and_saveexec_b64 s[0:1], vcc
	s_cbranch_execz .LBB1941_182
; %bb.181:
	s_waitcnt lgkmcnt(0)
	v_add_co_u32_e32 v14, vcc, 0x1000, v6
	v_addc_co_u32_e32 v15, vcc, 0, v7, vcc
	flat_store_dword v[14:15], v13 offset:2048
.LBB1941_182:
	;; [unrolled: 11-line block ×3, first 2 shown]
	s_or_b64 exec, exec, s[0:1]
	v_or_b32_e32 v2, 0x800, v0
	v_cmp_gt_u32_e32 vcc, s33, v2
	s_and_saveexec_b64 s[0:1], vcc
	s_cbranch_execz .LBB1941_186
; %bb.185:
	s_waitcnt lgkmcnt(0)
	v_add_co_u32_e32 v12, vcc, 0x2000, v6
	v_addc_co_u32_e32 v13, vcc, 0, v7, vcc
	flat_store_dword v[12:13], v11
.LBB1941_186:
	s_or_b64 exec, exec, s[0:1]
	v_or_b32_e32 v2, 0x900, v0
	v_cmp_gt_u32_e32 vcc, s33, v2
	s_and_saveexec_b64 s[0:1], vcc
	s_cbranch_execz .LBB1941_188
; %bb.187:
	s_waitcnt lgkmcnt(0)
	v_add_co_u32_e32 v10, vcc, 0x2000, v6
	v_addc_co_u32_e32 v11, vcc, 0, v7, vcc
	flat_store_dword v[10:11], v8 offset:1024
.LBB1941_188:
	s_or_b64 exec, exec, s[0:1]
	v_or_b32_e32 v2, 0xa00, v0
	v_cmp_gt_u32_e32 vcc, s33, v2
	s_and_saveexec_b64 s[0:1], vcc
	s_cbranch_execz .LBB1941_190
; %bb.189:
	s_waitcnt lgkmcnt(0)
	v_add_co_u32_e32 v10, vcc, 0x2000, v6
	v_addc_co_u32_e32 v11, vcc, 0, v7, vcc
	flat_store_dword v[10:11], v9 offset:2048
.LBB1941_190:
	;; [unrolled: 11-line block ×3, first 2 shown]
	s_or_b64 exec, exec, s[0:1]
	v_or_b32_e32 v2, 0xc00, v0
	v_cmp_gt_u32_e32 vcc, s33, v2
	s_and_saveexec_b64 s[0:1], vcc
	s_cbranch_execz .LBB1941_194
; %bb.193:
	v_add_co_u32_e32 v6, vcc, 0x3000, v6
	v_addc_co_u32_e32 v7, vcc, 0, v7, vcc
	s_waitcnt lgkmcnt(0)
	flat_store_dword v[6:7], v5
.LBB1941_194:
	s_or_b64 exec, exec, s[0:1]
	v_or_b32_e32 v2, 0xd00, v0
	v_cmp_gt_u32_e64 s[0:1], s33, v2
	s_branch .LBB1941_197
.LBB1941_195:
	s_mov_b64 s[0:1], 0
                                        ; implicit-def: $vgpr3
	s_cbranch_execz .LBB1941_197
; %bb.196:
	v_lshlrev_b32_e32 v2, 2, v20
	s_movk_i32 s2, 0xffcc
	s_waitcnt lgkmcnt(0)
	s_barrier
	ds_write2_b64 v2, v[26:27], v[44:45] offset1:1
	ds_write2_b64 v2, v[30:31], v[46:47] offset0:2 offset1:3
	ds_write2_b64 v2, v[34:35], v[48:49] offset0:4 offset1:5
	ds_write_b64 v2, v[50:51] offset:48
	v_mad_i32_i24 v2, v0, s2, v2
	v_add_co_u32_e32 v16, vcc, v18, v52
	s_waitcnt lgkmcnt(0)
	s_barrier
	ds_read2st64_b32 v[4:5], v2 offset1:4
	ds_read2st64_b32 v[6:7], v2 offset0:8 offset1:12
	ds_read2st64_b32 v[8:9], v2 offset0:16 offset1:20
	;; [unrolled: 1-line block ×6, first 2 shown]
	v_addc_co_u32_e32 v17, vcc, 0, v19, vcc
	s_movk_i32 s2, 0x1000
	s_waitcnt lgkmcnt(0)
	flat_store_dword v[16:17], v4
	flat_store_dword v[16:17], v5 offset:1024
	flat_store_dword v[16:17], v6 offset:2048
	;; [unrolled: 1-line block ×3, first 2 shown]
	v_add_co_u32_e32 v4, vcc, s2, v16
	v_addc_co_u32_e32 v5, vcc, 0, v17, vcc
	flat_store_dword v[4:5], v8
	flat_store_dword v[4:5], v9 offset:1024
	flat_store_dword v[4:5], v10 offset:2048
	;; [unrolled: 1-line block ×3, first 2 shown]
	v_add_co_u32_e32 v4, vcc, 0x2000, v16
	v_addc_co_u32_e32 v5, vcc, 0, v17, vcc
	flat_store_dword v[4:5], v12
	flat_store_dword v[4:5], v13 offset:1024
	flat_store_dword v[4:5], v14 offset:2048
	;; [unrolled: 1-line block ×3, first 2 shown]
	v_add_co_u32_e32 v4, vcc, 0x3000, v16
	v_mov_b32_e32 v1, 0
	v_addc_co_u32_e32 v5, vcc, 0, v17, vcc
	s_or_b64 s[0:1], s[0:1], exec
	flat_store_dword v[4:5], v2
.LBB1941_197:
	s_and_saveexec_b64 s[2:3], s[0:1]
	s_cbranch_execnz .LBB1941_199
; %bb.198:
	s_endpgm
.LBB1941_199:
	v_lshlrev_b64 v[0:1], 2, v[0:1]
	v_add_co_u32_e32 v0, vcc, v18, v0
	v_addc_co_u32_e32 v1, vcc, v19, v1, vcc
	v_add_co_u32_e32 v0, vcc, 0x3000, v0
	v_addc_co_u32_e32 v1, vcc, 0, v1, vcc
	s_waitcnt lgkmcnt(0)
	flat_store_dword v[0:1], v3 offset:1024
	s_endpgm
	.section	.rodata,"a",@progbits
	.p2align	6, 0x0
	.amdhsa_kernel _ZN7rocprim17ROCPRIM_400000_NS6detail17trampoline_kernelINS0_14default_configENS1_27scan_by_key_config_selectorIj11FixedVectorIiLj1EEEEZZNS1_16scan_by_key_implILNS1_25lookback_scan_determinismE0ELb1ES3_N6thrust23THRUST_200600_302600_NS6detail15normal_iteratorINSB_10device_ptrIjEEEENSD_INSE_IS6_EEEESI_S6_NSB_4plusIvEENSB_8equal_toIvEES6_EE10hipError_tPvRmT2_T3_T4_T5_mT6_T7_P12ihipStream_tbENKUlT_T0_E_clISt17integral_constantIbLb0EES12_IbLb1EEEEDaSY_SZ_EUlSY_E_NS1_11comp_targetILNS1_3genE4ELNS1_11target_archE910ELNS1_3gpuE8ELNS1_3repE0EEENS1_30default_config_static_selectorELNS0_4arch9wavefront6targetE1EEEvT1_
		.amdhsa_group_segment_fixed_size 16384
		.amdhsa_private_segment_fixed_size 0
		.amdhsa_kernarg_size 112
		.amdhsa_user_sgpr_count 6
		.amdhsa_user_sgpr_private_segment_buffer 1
		.amdhsa_user_sgpr_dispatch_ptr 0
		.amdhsa_user_sgpr_queue_ptr 0
		.amdhsa_user_sgpr_kernarg_segment_ptr 1
		.amdhsa_user_sgpr_dispatch_id 0
		.amdhsa_user_sgpr_flat_scratch_init 0
		.amdhsa_user_sgpr_kernarg_preload_length 0
		.amdhsa_user_sgpr_kernarg_preload_offset 0
		.amdhsa_user_sgpr_private_segment_size 0
		.amdhsa_uses_dynamic_stack 0
		.amdhsa_system_sgpr_private_segment_wavefront_offset 0
		.amdhsa_system_sgpr_workgroup_id_x 1
		.amdhsa_system_sgpr_workgroup_id_y 0
		.amdhsa_system_sgpr_workgroup_id_z 0
		.amdhsa_system_sgpr_workgroup_info 0
		.amdhsa_system_vgpr_workitem_id 0
		.amdhsa_next_free_vgpr 67
		.amdhsa_next_free_sgpr 60
		.amdhsa_accum_offset 68
		.amdhsa_reserve_vcc 1
		.amdhsa_reserve_flat_scratch 0
		.amdhsa_float_round_mode_32 0
		.amdhsa_float_round_mode_16_64 0
		.amdhsa_float_denorm_mode_32 3
		.amdhsa_float_denorm_mode_16_64 3
		.amdhsa_dx10_clamp 1
		.amdhsa_ieee_mode 1
		.amdhsa_fp16_overflow 0
		.amdhsa_tg_split 0
		.amdhsa_exception_fp_ieee_invalid_op 0
		.amdhsa_exception_fp_denorm_src 0
		.amdhsa_exception_fp_ieee_div_zero 0
		.amdhsa_exception_fp_ieee_overflow 0
		.amdhsa_exception_fp_ieee_underflow 0
		.amdhsa_exception_fp_ieee_inexact 0
		.amdhsa_exception_int_div_zero 0
	.end_amdhsa_kernel
	.section	.text._ZN7rocprim17ROCPRIM_400000_NS6detail17trampoline_kernelINS0_14default_configENS1_27scan_by_key_config_selectorIj11FixedVectorIiLj1EEEEZZNS1_16scan_by_key_implILNS1_25lookback_scan_determinismE0ELb1ES3_N6thrust23THRUST_200600_302600_NS6detail15normal_iteratorINSB_10device_ptrIjEEEENSD_INSE_IS6_EEEESI_S6_NSB_4plusIvEENSB_8equal_toIvEES6_EE10hipError_tPvRmT2_T3_T4_T5_mT6_T7_P12ihipStream_tbENKUlT_T0_E_clISt17integral_constantIbLb0EES12_IbLb1EEEEDaSY_SZ_EUlSY_E_NS1_11comp_targetILNS1_3genE4ELNS1_11target_archE910ELNS1_3gpuE8ELNS1_3repE0EEENS1_30default_config_static_selectorELNS0_4arch9wavefront6targetE1EEEvT1_,"axG",@progbits,_ZN7rocprim17ROCPRIM_400000_NS6detail17trampoline_kernelINS0_14default_configENS1_27scan_by_key_config_selectorIj11FixedVectorIiLj1EEEEZZNS1_16scan_by_key_implILNS1_25lookback_scan_determinismE0ELb1ES3_N6thrust23THRUST_200600_302600_NS6detail15normal_iteratorINSB_10device_ptrIjEEEENSD_INSE_IS6_EEEESI_S6_NSB_4plusIvEENSB_8equal_toIvEES6_EE10hipError_tPvRmT2_T3_T4_T5_mT6_T7_P12ihipStream_tbENKUlT_T0_E_clISt17integral_constantIbLb0EES12_IbLb1EEEEDaSY_SZ_EUlSY_E_NS1_11comp_targetILNS1_3genE4ELNS1_11target_archE910ELNS1_3gpuE8ELNS1_3repE0EEENS1_30default_config_static_selectorELNS0_4arch9wavefront6targetE1EEEvT1_,comdat
.Lfunc_end1941:
	.size	_ZN7rocprim17ROCPRIM_400000_NS6detail17trampoline_kernelINS0_14default_configENS1_27scan_by_key_config_selectorIj11FixedVectorIiLj1EEEEZZNS1_16scan_by_key_implILNS1_25lookback_scan_determinismE0ELb1ES3_N6thrust23THRUST_200600_302600_NS6detail15normal_iteratorINSB_10device_ptrIjEEEENSD_INSE_IS6_EEEESI_S6_NSB_4plusIvEENSB_8equal_toIvEES6_EE10hipError_tPvRmT2_T3_T4_T5_mT6_T7_P12ihipStream_tbENKUlT_T0_E_clISt17integral_constantIbLb0EES12_IbLb1EEEEDaSY_SZ_EUlSY_E_NS1_11comp_targetILNS1_3genE4ELNS1_11target_archE910ELNS1_3gpuE8ELNS1_3repE0EEENS1_30default_config_static_selectorELNS0_4arch9wavefront6targetE1EEEvT1_, .Lfunc_end1941-_ZN7rocprim17ROCPRIM_400000_NS6detail17trampoline_kernelINS0_14default_configENS1_27scan_by_key_config_selectorIj11FixedVectorIiLj1EEEEZZNS1_16scan_by_key_implILNS1_25lookback_scan_determinismE0ELb1ES3_N6thrust23THRUST_200600_302600_NS6detail15normal_iteratorINSB_10device_ptrIjEEEENSD_INSE_IS6_EEEESI_S6_NSB_4plusIvEENSB_8equal_toIvEES6_EE10hipError_tPvRmT2_T3_T4_T5_mT6_T7_P12ihipStream_tbENKUlT_T0_E_clISt17integral_constantIbLb0EES12_IbLb1EEEEDaSY_SZ_EUlSY_E_NS1_11comp_targetILNS1_3genE4ELNS1_11target_archE910ELNS1_3gpuE8ELNS1_3repE0EEENS1_30default_config_static_selectorELNS0_4arch9wavefront6targetE1EEEvT1_
                                        ; -- End function
	.section	.AMDGPU.csdata,"",@progbits
; Kernel info:
; codeLenInByte = 11840
; NumSgprs: 64
; NumVgprs: 67
; NumAgprs: 0
; TotalNumVgprs: 67
; ScratchSize: 0
; MemoryBound: 0
; FloatMode: 240
; IeeeMode: 1
; LDSByteSize: 16384 bytes/workgroup (compile time only)
; SGPRBlocks: 7
; VGPRBlocks: 8
; NumSGPRsForWavesPerEU: 64
; NumVGPRsForWavesPerEU: 67
; AccumOffset: 68
; Occupancy: 4
; WaveLimiterHint : 1
; COMPUTE_PGM_RSRC2:SCRATCH_EN: 0
; COMPUTE_PGM_RSRC2:USER_SGPR: 6
; COMPUTE_PGM_RSRC2:TRAP_HANDLER: 0
; COMPUTE_PGM_RSRC2:TGID_X_EN: 1
; COMPUTE_PGM_RSRC2:TGID_Y_EN: 0
; COMPUTE_PGM_RSRC2:TGID_Z_EN: 0
; COMPUTE_PGM_RSRC2:TIDIG_COMP_CNT: 0
; COMPUTE_PGM_RSRC3_GFX90A:ACCUM_OFFSET: 16
; COMPUTE_PGM_RSRC3_GFX90A:TG_SPLIT: 0
	.section	.text._ZN7rocprim17ROCPRIM_400000_NS6detail17trampoline_kernelINS0_14default_configENS1_27scan_by_key_config_selectorIj11FixedVectorIiLj1EEEEZZNS1_16scan_by_key_implILNS1_25lookback_scan_determinismE0ELb1ES3_N6thrust23THRUST_200600_302600_NS6detail15normal_iteratorINSB_10device_ptrIjEEEENSD_INSE_IS6_EEEESI_S6_NSB_4plusIvEENSB_8equal_toIvEES6_EE10hipError_tPvRmT2_T3_T4_T5_mT6_T7_P12ihipStream_tbENKUlT_T0_E_clISt17integral_constantIbLb0EES12_IbLb1EEEEDaSY_SZ_EUlSY_E_NS1_11comp_targetILNS1_3genE3ELNS1_11target_archE908ELNS1_3gpuE7ELNS1_3repE0EEENS1_30default_config_static_selectorELNS0_4arch9wavefront6targetE1EEEvT1_,"axG",@progbits,_ZN7rocprim17ROCPRIM_400000_NS6detail17trampoline_kernelINS0_14default_configENS1_27scan_by_key_config_selectorIj11FixedVectorIiLj1EEEEZZNS1_16scan_by_key_implILNS1_25lookback_scan_determinismE0ELb1ES3_N6thrust23THRUST_200600_302600_NS6detail15normal_iteratorINSB_10device_ptrIjEEEENSD_INSE_IS6_EEEESI_S6_NSB_4plusIvEENSB_8equal_toIvEES6_EE10hipError_tPvRmT2_T3_T4_T5_mT6_T7_P12ihipStream_tbENKUlT_T0_E_clISt17integral_constantIbLb0EES12_IbLb1EEEEDaSY_SZ_EUlSY_E_NS1_11comp_targetILNS1_3genE3ELNS1_11target_archE908ELNS1_3gpuE7ELNS1_3repE0EEENS1_30default_config_static_selectorELNS0_4arch9wavefront6targetE1EEEvT1_,comdat
	.protected	_ZN7rocprim17ROCPRIM_400000_NS6detail17trampoline_kernelINS0_14default_configENS1_27scan_by_key_config_selectorIj11FixedVectorIiLj1EEEEZZNS1_16scan_by_key_implILNS1_25lookback_scan_determinismE0ELb1ES3_N6thrust23THRUST_200600_302600_NS6detail15normal_iteratorINSB_10device_ptrIjEEEENSD_INSE_IS6_EEEESI_S6_NSB_4plusIvEENSB_8equal_toIvEES6_EE10hipError_tPvRmT2_T3_T4_T5_mT6_T7_P12ihipStream_tbENKUlT_T0_E_clISt17integral_constantIbLb0EES12_IbLb1EEEEDaSY_SZ_EUlSY_E_NS1_11comp_targetILNS1_3genE3ELNS1_11target_archE908ELNS1_3gpuE7ELNS1_3repE0EEENS1_30default_config_static_selectorELNS0_4arch9wavefront6targetE1EEEvT1_ ; -- Begin function _ZN7rocprim17ROCPRIM_400000_NS6detail17trampoline_kernelINS0_14default_configENS1_27scan_by_key_config_selectorIj11FixedVectorIiLj1EEEEZZNS1_16scan_by_key_implILNS1_25lookback_scan_determinismE0ELb1ES3_N6thrust23THRUST_200600_302600_NS6detail15normal_iteratorINSB_10device_ptrIjEEEENSD_INSE_IS6_EEEESI_S6_NSB_4plusIvEENSB_8equal_toIvEES6_EE10hipError_tPvRmT2_T3_T4_T5_mT6_T7_P12ihipStream_tbENKUlT_T0_E_clISt17integral_constantIbLb0EES12_IbLb1EEEEDaSY_SZ_EUlSY_E_NS1_11comp_targetILNS1_3genE3ELNS1_11target_archE908ELNS1_3gpuE7ELNS1_3repE0EEENS1_30default_config_static_selectorELNS0_4arch9wavefront6targetE1EEEvT1_
	.globl	_ZN7rocprim17ROCPRIM_400000_NS6detail17trampoline_kernelINS0_14default_configENS1_27scan_by_key_config_selectorIj11FixedVectorIiLj1EEEEZZNS1_16scan_by_key_implILNS1_25lookback_scan_determinismE0ELb1ES3_N6thrust23THRUST_200600_302600_NS6detail15normal_iteratorINSB_10device_ptrIjEEEENSD_INSE_IS6_EEEESI_S6_NSB_4plusIvEENSB_8equal_toIvEES6_EE10hipError_tPvRmT2_T3_T4_T5_mT6_T7_P12ihipStream_tbENKUlT_T0_E_clISt17integral_constantIbLb0EES12_IbLb1EEEEDaSY_SZ_EUlSY_E_NS1_11comp_targetILNS1_3genE3ELNS1_11target_archE908ELNS1_3gpuE7ELNS1_3repE0EEENS1_30default_config_static_selectorELNS0_4arch9wavefront6targetE1EEEvT1_
	.p2align	8
	.type	_ZN7rocprim17ROCPRIM_400000_NS6detail17trampoline_kernelINS0_14default_configENS1_27scan_by_key_config_selectorIj11FixedVectorIiLj1EEEEZZNS1_16scan_by_key_implILNS1_25lookback_scan_determinismE0ELb1ES3_N6thrust23THRUST_200600_302600_NS6detail15normal_iteratorINSB_10device_ptrIjEEEENSD_INSE_IS6_EEEESI_S6_NSB_4plusIvEENSB_8equal_toIvEES6_EE10hipError_tPvRmT2_T3_T4_T5_mT6_T7_P12ihipStream_tbENKUlT_T0_E_clISt17integral_constantIbLb0EES12_IbLb1EEEEDaSY_SZ_EUlSY_E_NS1_11comp_targetILNS1_3genE3ELNS1_11target_archE908ELNS1_3gpuE7ELNS1_3repE0EEENS1_30default_config_static_selectorELNS0_4arch9wavefront6targetE1EEEvT1_,@function
_ZN7rocprim17ROCPRIM_400000_NS6detail17trampoline_kernelINS0_14default_configENS1_27scan_by_key_config_selectorIj11FixedVectorIiLj1EEEEZZNS1_16scan_by_key_implILNS1_25lookback_scan_determinismE0ELb1ES3_N6thrust23THRUST_200600_302600_NS6detail15normal_iteratorINSB_10device_ptrIjEEEENSD_INSE_IS6_EEEESI_S6_NSB_4plusIvEENSB_8equal_toIvEES6_EE10hipError_tPvRmT2_T3_T4_T5_mT6_T7_P12ihipStream_tbENKUlT_T0_E_clISt17integral_constantIbLb0EES12_IbLb1EEEEDaSY_SZ_EUlSY_E_NS1_11comp_targetILNS1_3genE3ELNS1_11target_archE908ELNS1_3gpuE7ELNS1_3repE0EEENS1_30default_config_static_selectorELNS0_4arch9wavefront6targetE1EEEvT1_: ; @_ZN7rocprim17ROCPRIM_400000_NS6detail17trampoline_kernelINS0_14default_configENS1_27scan_by_key_config_selectorIj11FixedVectorIiLj1EEEEZZNS1_16scan_by_key_implILNS1_25lookback_scan_determinismE0ELb1ES3_N6thrust23THRUST_200600_302600_NS6detail15normal_iteratorINSB_10device_ptrIjEEEENSD_INSE_IS6_EEEESI_S6_NSB_4plusIvEENSB_8equal_toIvEES6_EE10hipError_tPvRmT2_T3_T4_T5_mT6_T7_P12ihipStream_tbENKUlT_T0_E_clISt17integral_constantIbLb0EES12_IbLb1EEEEDaSY_SZ_EUlSY_E_NS1_11comp_targetILNS1_3genE3ELNS1_11target_archE908ELNS1_3gpuE7ELNS1_3repE0EEENS1_30default_config_static_selectorELNS0_4arch9wavefront6targetE1EEEvT1_
; %bb.0:
	.section	.rodata,"a",@progbits
	.p2align	6, 0x0
	.amdhsa_kernel _ZN7rocprim17ROCPRIM_400000_NS6detail17trampoline_kernelINS0_14default_configENS1_27scan_by_key_config_selectorIj11FixedVectorIiLj1EEEEZZNS1_16scan_by_key_implILNS1_25lookback_scan_determinismE0ELb1ES3_N6thrust23THRUST_200600_302600_NS6detail15normal_iteratorINSB_10device_ptrIjEEEENSD_INSE_IS6_EEEESI_S6_NSB_4plusIvEENSB_8equal_toIvEES6_EE10hipError_tPvRmT2_T3_T4_T5_mT6_T7_P12ihipStream_tbENKUlT_T0_E_clISt17integral_constantIbLb0EES12_IbLb1EEEEDaSY_SZ_EUlSY_E_NS1_11comp_targetILNS1_3genE3ELNS1_11target_archE908ELNS1_3gpuE7ELNS1_3repE0EEENS1_30default_config_static_selectorELNS0_4arch9wavefront6targetE1EEEvT1_
		.amdhsa_group_segment_fixed_size 0
		.amdhsa_private_segment_fixed_size 0
		.amdhsa_kernarg_size 112
		.amdhsa_user_sgpr_count 6
		.amdhsa_user_sgpr_private_segment_buffer 1
		.amdhsa_user_sgpr_dispatch_ptr 0
		.amdhsa_user_sgpr_queue_ptr 0
		.amdhsa_user_sgpr_kernarg_segment_ptr 1
		.amdhsa_user_sgpr_dispatch_id 0
		.amdhsa_user_sgpr_flat_scratch_init 0
		.amdhsa_user_sgpr_kernarg_preload_length 0
		.amdhsa_user_sgpr_kernarg_preload_offset 0
		.amdhsa_user_sgpr_private_segment_size 0
		.amdhsa_uses_dynamic_stack 0
		.amdhsa_system_sgpr_private_segment_wavefront_offset 0
		.amdhsa_system_sgpr_workgroup_id_x 1
		.amdhsa_system_sgpr_workgroup_id_y 0
		.amdhsa_system_sgpr_workgroup_id_z 0
		.amdhsa_system_sgpr_workgroup_info 0
		.amdhsa_system_vgpr_workitem_id 0
		.amdhsa_next_free_vgpr 1
		.amdhsa_next_free_sgpr 0
		.amdhsa_accum_offset 4
		.amdhsa_reserve_vcc 0
		.amdhsa_reserve_flat_scratch 0
		.amdhsa_float_round_mode_32 0
		.amdhsa_float_round_mode_16_64 0
		.amdhsa_float_denorm_mode_32 3
		.amdhsa_float_denorm_mode_16_64 3
		.amdhsa_dx10_clamp 1
		.amdhsa_ieee_mode 1
		.amdhsa_fp16_overflow 0
		.amdhsa_tg_split 0
		.amdhsa_exception_fp_ieee_invalid_op 0
		.amdhsa_exception_fp_denorm_src 0
		.amdhsa_exception_fp_ieee_div_zero 0
		.amdhsa_exception_fp_ieee_overflow 0
		.amdhsa_exception_fp_ieee_underflow 0
		.amdhsa_exception_fp_ieee_inexact 0
		.amdhsa_exception_int_div_zero 0
	.end_amdhsa_kernel
	.section	.text._ZN7rocprim17ROCPRIM_400000_NS6detail17trampoline_kernelINS0_14default_configENS1_27scan_by_key_config_selectorIj11FixedVectorIiLj1EEEEZZNS1_16scan_by_key_implILNS1_25lookback_scan_determinismE0ELb1ES3_N6thrust23THRUST_200600_302600_NS6detail15normal_iteratorINSB_10device_ptrIjEEEENSD_INSE_IS6_EEEESI_S6_NSB_4plusIvEENSB_8equal_toIvEES6_EE10hipError_tPvRmT2_T3_T4_T5_mT6_T7_P12ihipStream_tbENKUlT_T0_E_clISt17integral_constantIbLb0EES12_IbLb1EEEEDaSY_SZ_EUlSY_E_NS1_11comp_targetILNS1_3genE3ELNS1_11target_archE908ELNS1_3gpuE7ELNS1_3repE0EEENS1_30default_config_static_selectorELNS0_4arch9wavefront6targetE1EEEvT1_,"axG",@progbits,_ZN7rocprim17ROCPRIM_400000_NS6detail17trampoline_kernelINS0_14default_configENS1_27scan_by_key_config_selectorIj11FixedVectorIiLj1EEEEZZNS1_16scan_by_key_implILNS1_25lookback_scan_determinismE0ELb1ES3_N6thrust23THRUST_200600_302600_NS6detail15normal_iteratorINSB_10device_ptrIjEEEENSD_INSE_IS6_EEEESI_S6_NSB_4plusIvEENSB_8equal_toIvEES6_EE10hipError_tPvRmT2_T3_T4_T5_mT6_T7_P12ihipStream_tbENKUlT_T0_E_clISt17integral_constantIbLb0EES12_IbLb1EEEEDaSY_SZ_EUlSY_E_NS1_11comp_targetILNS1_3genE3ELNS1_11target_archE908ELNS1_3gpuE7ELNS1_3repE0EEENS1_30default_config_static_selectorELNS0_4arch9wavefront6targetE1EEEvT1_,comdat
.Lfunc_end1942:
	.size	_ZN7rocprim17ROCPRIM_400000_NS6detail17trampoline_kernelINS0_14default_configENS1_27scan_by_key_config_selectorIj11FixedVectorIiLj1EEEEZZNS1_16scan_by_key_implILNS1_25lookback_scan_determinismE0ELb1ES3_N6thrust23THRUST_200600_302600_NS6detail15normal_iteratorINSB_10device_ptrIjEEEENSD_INSE_IS6_EEEESI_S6_NSB_4plusIvEENSB_8equal_toIvEES6_EE10hipError_tPvRmT2_T3_T4_T5_mT6_T7_P12ihipStream_tbENKUlT_T0_E_clISt17integral_constantIbLb0EES12_IbLb1EEEEDaSY_SZ_EUlSY_E_NS1_11comp_targetILNS1_3genE3ELNS1_11target_archE908ELNS1_3gpuE7ELNS1_3repE0EEENS1_30default_config_static_selectorELNS0_4arch9wavefront6targetE1EEEvT1_, .Lfunc_end1942-_ZN7rocprim17ROCPRIM_400000_NS6detail17trampoline_kernelINS0_14default_configENS1_27scan_by_key_config_selectorIj11FixedVectorIiLj1EEEEZZNS1_16scan_by_key_implILNS1_25lookback_scan_determinismE0ELb1ES3_N6thrust23THRUST_200600_302600_NS6detail15normal_iteratorINSB_10device_ptrIjEEEENSD_INSE_IS6_EEEESI_S6_NSB_4plusIvEENSB_8equal_toIvEES6_EE10hipError_tPvRmT2_T3_T4_T5_mT6_T7_P12ihipStream_tbENKUlT_T0_E_clISt17integral_constantIbLb0EES12_IbLb1EEEEDaSY_SZ_EUlSY_E_NS1_11comp_targetILNS1_3genE3ELNS1_11target_archE908ELNS1_3gpuE7ELNS1_3repE0EEENS1_30default_config_static_selectorELNS0_4arch9wavefront6targetE1EEEvT1_
                                        ; -- End function
	.section	.AMDGPU.csdata,"",@progbits
; Kernel info:
; codeLenInByte = 0
; NumSgprs: 4
; NumVgprs: 0
; NumAgprs: 0
; TotalNumVgprs: 0
; ScratchSize: 0
; MemoryBound: 0
; FloatMode: 240
; IeeeMode: 1
; LDSByteSize: 0 bytes/workgroup (compile time only)
; SGPRBlocks: 0
; VGPRBlocks: 0
; NumSGPRsForWavesPerEU: 4
; NumVGPRsForWavesPerEU: 1
; AccumOffset: 4
; Occupancy: 8
; WaveLimiterHint : 0
; COMPUTE_PGM_RSRC2:SCRATCH_EN: 0
; COMPUTE_PGM_RSRC2:USER_SGPR: 6
; COMPUTE_PGM_RSRC2:TRAP_HANDLER: 0
; COMPUTE_PGM_RSRC2:TGID_X_EN: 1
; COMPUTE_PGM_RSRC2:TGID_Y_EN: 0
; COMPUTE_PGM_RSRC2:TGID_Z_EN: 0
; COMPUTE_PGM_RSRC2:TIDIG_COMP_CNT: 0
; COMPUTE_PGM_RSRC3_GFX90A:ACCUM_OFFSET: 0
; COMPUTE_PGM_RSRC3_GFX90A:TG_SPLIT: 0
	.section	.text._ZN7rocprim17ROCPRIM_400000_NS6detail17trampoline_kernelINS0_14default_configENS1_27scan_by_key_config_selectorIj11FixedVectorIiLj1EEEEZZNS1_16scan_by_key_implILNS1_25lookback_scan_determinismE0ELb1ES3_N6thrust23THRUST_200600_302600_NS6detail15normal_iteratorINSB_10device_ptrIjEEEENSD_INSE_IS6_EEEESI_S6_NSB_4plusIvEENSB_8equal_toIvEES6_EE10hipError_tPvRmT2_T3_T4_T5_mT6_T7_P12ihipStream_tbENKUlT_T0_E_clISt17integral_constantIbLb0EES12_IbLb1EEEEDaSY_SZ_EUlSY_E_NS1_11comp_targetILNS1_3genE2ELNS1_11target_archE906ELNS1_3gpuE6ELNS1_3repE0EEENS1_30default_config_static_selectorELNS0_4arch9wavefront6targetE1EEEvT1_,"axG",@progbits,_ZN7rocprim17ROCPRIM_400000_NS6detail17trampoline_kernelINS0_14default_configENS1_27scan_by_key_config_selectorIj11FixedVectorIiLj1EEEEZZNS1_16scan_by_key_implILNS1_25lookback_scan_determinismE0ELb1ES3_N6thrust23THRUST_200600_302600_NS6detail15normal_iteratorINSB_10device_ptrIjEEEENSD_INSE_IS6_EEEESI_S6_NSB_4plusIvEENSB_8equal_toIvEES6_EE10hipError_tPvRmT2_T3_T4_T5_mT6_T7_P12ihipStream_tbENKUlT_T0_E_clISt17integral_constantIbLb0EES12_IbLb1EEEEDaSY_SZ_EUlSY_E_NS1_11comp_targetILNS1_3genE2ELNS1_11target_archE906ELNS1_3gpuE6ELNS1_3repE0EEENS1_30default_config_static_selectorELNS0_4arch9wavefront6targetE1EEEvT1_,comdat
	.protected	_ZN7rocprim17ROCPRIM_400000_NS6detail17trampoline_kernelINS0_14default_configENS1_27scan_by_key_config_selectorIj11FixedVectorIiLj1EEEEZZNS1_16scan_by_key_implILNS1_25lookback_scan_determinismE0ELb1ES3_N6thrust23THRUST_200600_302600_NS6detail15normal_iteratorINSB_10device_ptrIjEEEENSD_INSE_IS6_EEEESI_S6_NSB_4plusIvEENSB_8equal_toIvEES6_EE10hipError_tPvRmT2_T3_T4_T5_mT6_T7_P12ihipStream_tbENKUlT_T0_E_clISt17integral_constantIbLb0EES12_IbLb1EEEEDaSY_SZ_EUlSY_E_NS1_11comp_targetILNS1_3genE2ELNS1_11target_archE906ELNS1_3gpuE6ELNS1_3repE0EEENS1_30default_config_static_selectorELNS0_4arch9wavefront6targetE1EEEvT1_ ; -- Begin function _ZN7rocprim17ROCPRIM_400000_NS6detail17trampoline_kernelINS0_14default_configENS1_27scan_by_key_config_selectorIj11FixedVectorIiLj1EEEEZZNS1_16scan_by_key_implILNS1_25lookback_scan_determinismE0ELb1ES3_N6thrust23THRUST_200600_302600_NS6detail15normal_iteratorINSB_10device_ptrIjEEEENSD_INSE_IS6_EEEESI_S6_NSB_4plusIvEENSB_8equal_toIvEES6_EE10hipError_tPvRmT2_T3_T4_T5_mT6_T7_P12ihipStream_tbENKUlT_T0_E_clISt17integral_constantIbLb0EES12_IbLb1EEEEDaSY_SZ_EUlSY_E_NS1_11comp_targetILNS1_3genE2ELNS1_11target_archE906ELNS1_3gpuE6ELNS1_3repE0EEENS1_30default_config_static_selectorELNS0_4arch9wavefront6targetE1EEEvT1_
	.globl	_ZN7rocprim17ROCPRIM_400000_NS6detail17trampoline_kernelINS0_14default_configENS1_27scan_by_key_config_selectorIj11FixedVectorIiLj1EEEEZZNS1_16scan_by_key_implILNS1_25lookback_scan_determinismE0ELb1ES3_N6thrust23THRUST_200600_302600_NS6detail15normal_iteratorINSB_10device_ptrIjEEEENSD_INSE_IS6_EEEESI_S6_NSB_4plusIvEENSB_8equal_toIvEES6_EE10hipError_tPvRmT2_T3_T4_T5_mT6_T7_P12ihipStream_tbENKUlT_T0_E_clISt17integral_constantIbLb0EES12_IbLb1EEEEDaSY_SZ_EUlSY_E_NS1_11comp_targetILNS1_3genE2ELNS1_11target_archE906ELNS1_3gpuE6ELNS1_3repE0EEENS1_30default_config_static_selectorELNS0_4arch9wavefront6targetE1EEEvT1_
	.p2align	8
	.type	_ZN7rocprim17ROCPRIM_400000_NS6detail17trampoline_kernelINS0_14default_configENS1_27scan_by_key_config_selectorIj11FixedVectorIiLj1EEEEZZNS1_16scan_by_key_implILNS1_25lookback_scan_determinismE0ELb1ES3_N6thrust23THRUST_200600_302600_NS6detail15normal_iteratorINSB_10device_ptrIjEEEENSD_INSE_IS6_EEEESI_S6_NSB_4plusIvEENSB_8equal_toIvEES6_EE10hipError_tPvRmT2_T3_T4_T5_mT6_T7_P12ihipStream_tbENKUlT_T0_E_clISt17integral_constantIbLb0EES12_IbLb1EEEEDaSY_SZ_EUlSY_E_NS1_11comp_targetILNS1_3genE2ELNS1_11target_archE906ELNS1_3gpuE6ELNS1_3repE0EEENS1_30default_config_static_selectorELNS0_4arch9wavefront6targetE1EEEvT1_,@function
_ZN7rocprim17ROCPRIM_400000_NS6detail17trampoline_kernelINS0_14default_configENS1_27scan_by_key_config_selectorIj11FixedVectorIiLj1EEEEZZNS1_16scan_by_key_implILNS1_25lookback_scan_determinismE0ELb1ES3_N6thrust23THRUST_200600_302600_NS6detail15normal_iteratorINSB_10device_ptrIjEEEENSD_INSE_IS6_EEEESI_S6_NSB_4plusIvEENSB_8equal_toIvEES6_EE10hipError_tPvRmT2_T3_T4_T5_mT6_T7_P12ihipStream_tbENKUlT_T0_E_clISt17integral_constantIbLb0EES12_IbLb1EEEEDaSY_SZ_EUlSY_E_NS1_11comp_targetILNS1_3genE2ELNS1_11target_archE906ELNS1_3gpuE6ELNS1_3repE0EEENS1_30default_config_static_selectorELNS0_4arch9wavefront6targetE1EEEvT1_: ; @_ZN7rocprim17ROCPRIM_400000_NS6detail17trampoline_kernelINS0_14default_configENS1_27scan_by_key_config_selectorIj11FixedVectorIiLj1EEEEZZNS1_16scan_by_key_implILNS1_25lookback_scan_determinismE0ELb1ES3_N6thrust23THRUST_200600_302600_NS6detail15normal_iteratorINSB_10device_ptrIjEEEENSD_INSE_IS6_EEEESI_S6_NSB_4plusIvEENSB_8equal_toIvEES6_EE10hipError_tPvRmT2_T3_T4_T5_mT6_T7_P12ihipStream_tbENKUlT_T0_E_clISt17integral_constantIbLb0EES12_IbLb1EEEEDaSY_SZ_EUlSY_E_NS1_11comp_targetILNS1_3genE2ELNS1_11target_archE906ELNS1_3gpuE6ELNS1_3repE0EEENS1_30default_config_static_selectorELNS0_4arch9wavefront6targetE1EEEvT1_
; %bb.0:
	.section	.rodata,"a",@progbits
	.p2align	6, 0x0
	.amdhsa_kernel _ZN7rocprim17ROCPRIM_400000_NS6detail17trampoline_kernelINS0_14default_configENS1_27scan_by_key_config_selectorIj11FixedVectorIiLj1EEEEZZNS1_16scan_by_key_implILNS1_25lookback_scan_determinismE0ELb1ES3_N6thrust23THRUST_200600_302600_NS6detail15normal_iteratorINSB_10device_ptrIjEEEENSD_INSE_IS6_EEEESI_S6_NSB_4plusIvEENSB_8equal_toIvEES6_EE10hipError_tPvRmT2_T3_T4_T5_mT6_T7_P12ihipStream_tbENKUlT_T0_E_clISt17integral_constantIbLb0EES12_IbLb1EEEEDaSY_SZ_EUlSY_E_NS1_11comp_targetILNS1_3genE2ELNS1_11target_archE906ELNS1_3gpuE6ELNS1_3repE0EEENS1_30default_config_static_selectorELNS0_4arch9wavefront6targetE1EEEvT1_
		.amdhsa_group_segment_fixed_size 0
		.amdhsa_private_segment_fixed_size 0
		.amdhsa_kernarg_size 112
		.amdhsa_user_sgpr_count 6
		.amdhsa_user_sgpr_private_segment_buffer 1
		.amdhsa_user_sgpr_dispatch_ptr 0
		.amdhsa_user_sgpr_queue_ptr 0
		.amdhsa_user_sgpr_kernarg_segment_ptr 1
		.amdhsa_user_sgpr_dispatch_id 0
		.amdhsa_user_sgpr_flat_scratch_init 0
		.amdhsa_user_sgpr_kernarg_preload_length 0
		.amdhsa_user_sgpr_kernarg_preload_offset 0
		.amdhsa_user_sgpr_private_segment_size 0
		.amdhsa_uses_dynamic_stack 0
		.amdhsa_system_sgpr_private_segment_wavefront_offset 0
		.amdhsa_system_sgpr_workgroup_id_x 1
		.amdhsa_system_sgpr_workgroup_id_y 0
		.amdhsa_system_sgpr_workgroup_id_z 0
		.amdhsa_system_sgpr_workgroup_info 0
		.amdhsa_system_vgpr_workitem_id 0
		.amdhsa_next_free_vgpr 1
		.amdhsa_next_free_sgpr 0
		.amdhsa_accum_offset 4
		.amdhsa_reserve_vcc 0
		.amdhsa_reserve_flat_scratch 0
		.amdhsa_float_round_mode_32 0
		.amdhsa_float_round_mode_16_64 0
		.amdhsa_float_denorm_mode_32 3
		.amdhsa_float_denorm_mode_16_64 3
		.amdhsa_dx10_clamp 1
		.amdhsa_ieee_mode 1
		.amdhsa_fp16_overflow 0
		.amdhsa_tg_split 0
		.amdhsa_exception_fp_ieee_invalid_op 0
		.amdhsa_exception_fp_denorm_src 0
		.amdhsa_exception_fp_ieee_div_zero 0
		.amdhsa_exception_fp_ieee_overflow 0
		.amdhsa_exception_fp_ieee_underflow 0
		.amdhsa_exception_fp_ieee_inexact 0
		.amdhsa_exception_int_div_zero 0
	.end_amdhsa_kernel
	.section	.text._ZN7rocprim17ROCPRIM_400000_NS6detail17trampoline_kernelINS0_14default_configENS1_27scan_by_key_config_selectorIj11FixedVectorIiLj1EEEEZZNS1_16scan_by_key_implILNS1_25lookback_scan_determinismE0ELb1ES3_N6thrust23THRUST_200600_302600_NS6detail15normal_iteratorINSB_10device_ptrIjEEEENSD_INSE_IS6_EEEESI_S6_NSB_4plusIvEENSB_8equal_toIvEES6_EE10hipError_tPvRmT2_T3_T4_T5_mT6_T7_P12ihipStream_tbENKUlT_T0_E_clISt17integral_constantIbLb0EES12_IbLb1EEEEDaSY_SZ_EUlSY_E_NS1_11comp_targetILNS1_3genE2ELNS1_11target_archE906ELNS1_3gpuE6ELNS1_3repE0EEENS1_30default_config_static_selectorELNS0_4arch9wavefront6targetE1EEEvT1_,"axG",@progbits,_ZN7rocprim17ROCPRIM_400000_NS6detail17trampoline_kernelINS0_14default_configENS1_27scan_by_key_config_selectorIj11FixedVectorIiLj1EEEEZZNS1_16scan_by_key_implILNS1_25lookback_scan_determinismE0ELb1ES3_N6thrust23THRUST_200600_302600_NS6detail15normal_iteratorINSB_10device_ptrIjEEEENSD_INSE_IS6_EEEESI_S6_NSB_4plusIvEENSB_8equal_toIvEES6_EE10hipError_tPvRmT2_T3_T4_T5_mT6_T7_P12ihipStream_tbENKUlT_T0_E_clISt17integral_constantIbLb0EES12_IbLb1EEEEDaSY_SZ_EUlSY_E_NS1_11comp_targetILNS1_3genE2ELNS1_11target_archE906ELNS1_3gpuE6ELNS1_3repE0EEENS1_30default_config_static_selectorELNS0_4arch9wavefront6targetE1EEEvT1_,comdat
.Lfunc_end1943:
	.size	_ZN7rocprim17ROCPRIM_400000_NS6detail17trampoline_kernelINS0_14default_configENS1_27scan_by_key_config_selectorIj11FixedVectorIiLj1EEEEZZNS1_16scan_by_key_implILNS1_25lookback_scan_determinismE0ELb1ES3_N6thrust23THRUST_200600_302600_NS6detail15normal_iteratorINSB_10device_ptrIjEEEENSD_INSE_IS6_EEEESI_S6_NSB_4plusIvEENSB_8equal_toIvEES6_EE10hipError_tPvRmT2_T3_T4_T5_mT6_T7_P12ihipStream_tbENKUlT_T0_E_clISt17integral_constantIbLb0EES12_IbLb1EEEEDaSY_SZ_EUlSY_E_NS1_11comp_targetILNS1_3genE2ELNS1_11target_archE906ELNS1_3gpuE6ELNS1_3repE0EEENS1_30default_config_static_selectorELNS0_4arch9wavefront6targetE1EEEvT1_, .Lfunc_end1943-_ZN7rocprim17ROCPRIM_400000_NS6detail17trampoline_kernelINS0_14default_configENS1_27scan_by_key_config_selectorIj11FixedVectorIiLj1EEEEZZNS1_16scan_by_key_implILNS1_25lookback_scan_determinismE0ELb1ES3_N6thrust23THRUST_200600_302600_NS6detail15normal_iteratorINSB_10device_ptrIjEEEENSD_INSE_IS6_EEEESI_S6_NSB_4plusIvEENSB_8equal_toIvEES6_EE10hipError_tPvRmT2_T3_T4_T5_mT6_T7_P12ihipStream_tbENKUlT_T0_E_clISt17integral_constantIbLb0EES12_IbLb1EEEEDaSY_SZ_EUlSY_E_NS1_11comp_targetILNS1_3genE2ELNS1_11target_archE906ELNS1_3gpuE6ELNS1_3repE0EEENS1_30default_config_static_selectorELNS0_4arch9wavefront6targetE1EEEvT1_
                                        ; -- End function
	.section	.AMDGPU.csdata,"",@progbits
; Kernel info:
; codeLenInByte = 0
; NumSgprs: 4
; NumVgprs: 0
; NumAgprs: 0
; TotalNumVgprs: 0
; ScratchSize: 0
; MemoryBound: 0
; FloatMode: 240
; IeeeMode: 1
; LDSByteSize: 0 bytes/workgroup (compile time only)
; SGPRBlocks: 0
; VGPRBlocks: 0
; NumSGPRsForWavesPerEU: 4
; NumVGPRsForWavesPerEU: 1
; AccumOffset: 4
; Occupancy: 8
; WaveLimiterHint : 0
; COMPUTE_PGM_RSRC2:SCRATCH_EN: 0
; COMPUTE_PGM_RSRC2:USER_SGPR: 6
; COMPUTE_PGM_RSRC2:TRAP_HANDLER: 0
; COMPUTE_PGM_RSRC2:TGID_X_EN: 1
; COMPUTE_PGM_RSRC2:TGID_Y_EN: 0
; COMPUTE_PGM_RSRC2:TGID_Z_EN: 0
; COMPUTE_PGM_RSRC2:TIDIG_COMP_CNT: 0
; COMPUTE_PGM_RSRC3_GFX90A:ACCUM_OFFSET: 0
; COMPUTE_PGM_RSRC3_GFX90A:TG_SPLIT: 0
	.section	.text._ZN7rocprim17ROCPRIM_400000_NS6detail17trampoline_kernelINS0_14default_configENS1_27scan_by_key_config_selectorIj11FixedVectorIiLj1EEEEZZNS1_16scan_by_key_implILNS1_25lookback_scan_determinismE0ELb1ES3_N6thrust23THRUST_200600_302600_NS6detail15normal_iteratorINSB_10device_ptrIjEEEENSD_INSE_IS6_EEEESI_S6_NSB_4plusIvEENSB_8equal_toIvEES6_EE10hipError_tPvRmT2_T3_T4_T5_mT6_T7_P12ihipStream_tbENKUlT_T0_E_clISt17integral_constantIbLb0EES12_IbLb1EEEEDaSY_SZ_EUlSY_E_NS1_11comp_targetILNS1_3genE10ELNS1_11target_archE1200ELNS1_3gpuE4ELNS1_3repE0EEENS1_30default_config_static_selectorELNS0_4arch9wavefront6targetE1EEEvT1_,"axG",@progbits,_ZN7rocprim17ROCPRIM_400000_NS6detail17trampoline_kernelINS0_14default_configENS1_27scan_by_key_config_selectorIj11FixedVectorIiLj1EEEEZZNS1_16scan_by_key_implILNS1_25lookback_scan_determinismE0ELb1ES3_N6thrust23THRUST_200600_302600_NS6detail15normal_iteratorINSB_10device_ptrIjEEEENSD_INSE_IS6_EEEESI_S6_NSB_4plusIvEENSB_8equal_toIvEES6_EE10hipError_tPvRmT2_T3_T4_T5_mT6_T7_P12ihipStream_tbENKUlT_T0_E_clISt17integral_constantIbLb0EES12_IbLb1EEEEDaSY_SZ_EUlSY_E_NS1_11comp_targetILNS1_3genE10ELNS1_11target_archE1200ELNS1_3gpuE4ELNS1_3repE0EEENS1_30default_config_static_selectorELNS0_4arch9wavefront6targetE1EEEvT1_,comdat
	.protected	_ZN7rocprim17ROCPRIM_400000_NS6detail17trampoline_kernelINS0_14default_configENS1_27scan_by_key_config_selectorIj11FixedVectorIiLj1EEEEZZNS1_16scan_by_key_implILNS1_25lookback_scan_determinismE0ELb1ES3_N6thrust23THRUST_200600_302600_NS6detail15normal_iteratorINSB_10device_ptrIjEEEENSD_INSE_IS6_EEEESI_S6_NSB_4plusIvEENSB_8equal_toIvEES6_EE10hipError_tPvRmT2_T3_T4_T5_mT6_T7_P12ihipStream_tbENKUlT_T0_E_clISt17integral_constantIbLb0EES12_IbLb1EEEEDaSY_SZ_EUlSY_E_NS1_11comp_targetILNS1_3genE10ELNS1_11target_archE1200ELNS1_3gpuE4ELNS1_3repE0EEENS1_30default_config_static_selectorELNS0_4arch9wavefront6targetE1EEEvT1_ ; -- Begin function _ZN7rocprim17ROCPRIM_400000_NS6detail17trampoline_kernelINS0_14default_configENS1_27scan_by_key_config_selectorIj11FixedVectorIiLj1EEEEZZNS1_16scan_by_key_implILNS1_25lookback_scan_determinismE0ELb1ES3_N6thrust23THRUST_200600_302600_NS6detail15normal_iteratorINSB_10device_ptrIjEEEENSD_INSE_IS6_EEEESI_S6_NSB_4plusIvEENSB_8equal_toIvEES6_EE10hipError_tPvRmT2_T3_T4_T5_mT6_T7_P12ihipStream_tbENKUlT_T0_E_clISt17integral_constantIbLb0EES12_IbLb1EEEEDaSY_SZ_EUlSY_E_NS1_11comp_targetILNS1_3genE10ELNS1_11target_archE1200ELNS1_3gpuE4ELNS1_3repE0EEENS1_30default_config_static_selectorELNS0_4arch9wavefront6targetE1EEEvT1_
	.globl	_ZN7rocprim17ROCPRIM_400000_NS6detail17trampoline_kernelINS0_14default_configENS1_27scan_by_key_config_selectorIj11FixedVectorIiLj1EEEEZZNS1_16scan_by_key_implILNS1_25lookback_scan_determinismE0ELb1ES3_N6thrust23THRUST_200600_302600_NS6detail15normal_iteratorINSB_10device_ptrIjEEEENSD_INSE_IS6_EEEESI_S6_NSB_4plusIvEENSB_8equal_toIvEES6_EE10hipError_tPvRmT2_T3_T4_T5_mT6_T7_P12ihipStream_tbENKUlT_T0_E_clISt17integral_constantIbLb0EES12_IbLb1EEEEDaSY_SZ_EUlSY_E_NS1_11comp_targetILNS1_3genE10ELNS1_11target_archE1200ELNS1_3gpuE4ELNS1_3repE0EEENS1_30default_config_static_selectorELNS0_4arch9wavefront6targetE1EEEvT1_
	.p2align	8
	.type	_ZN7rocprim17ROCPRIM_400000_NS6detail17trampoline_kernelINS0_14default_configENS1_27scan_by_key_config_selectorIj11FixedVectorIiLj1EEEEZZNS1_16scan_by_key_implILNS1_25lookback_scan_determinismE0ELb1ES3_N6thrust23THRUST_200600_302600_NS6detail15normal_iteratorINSB_10device_ptrIjEEEENSD_INSE_IS6_EEEESI_S6_NSB_4plusIvEENSB_8equal_toIvEES6_EE10hipError_tPvRmT2_T3_T4_T5_mT6_T7_P12ihipStream_tbENKUlT_T0_E_clISt17integral_constantIbLb0EES12_IbLb1EEEEDaSY_SZ_EUlSY_E_NS1_11comp_targetILNS1_3genE10ELNS1_11target_archE1200ELNS1_3gpuE4ELNS1_3repE0EEENS1_30default_config_static_selectorELNS0_4arch9wavefront6targetE1EEEvT1_,@function
_ZN7rocprim17ROCPRIM_400000_NS6detail17trampoline_kernelINS0_14default_configENS1_27scan_by_key_config_selectorIj11FixedVectorIiLj1EEEEZZNS1_16scan_by_key_implILNS1_25lookback_scan_determinismE0ELb1ES3_N6thrust23THRUST_200600_302600_NS6detail15normal_iteratorINSB_10device_ptrIjEEEENSD_INSE_IS6_EEEESI_S6_NSB_4plusIvEENSB_8equal_toIvEES6_EE10hipError_tPvRmT2_T3_T4_T5_mT6_T7_P12ihipStream_tbENKUlT_T0_E_clISt17integral_constantIbLb0EES12_IbLb1EEEEDaSY_SZ_EUlSY_E_NS1_11comp_targetILNS1_3genE10ELNS1_11target_archE1200ELNS1_3gpuE4ELNS1_3repE0EEENS1_30default_config_static_selectorELNS0_4arch9wavefront6targetE1EEEvT1_: ; @_ZN7rocprim17ROCPRIM_400000_NS6detail17trampoline_kernelINS0_14default_configENS1_27scan_by_key_config_selectorIj11FixedVectorIiLj1EEEEZZNS1_16scan_by_key_implILNS1_25lookback_scan_determinismE0ELb1ES3_N6thrust23THRUST_200600_302600_NS6detail15normal_iteratorINSB_10device_ptrIjEEEENSD_INSE_IS6_EEEESI_S6_NSB_4plusIvEENSB_8equal_toIvEES6_EE10hipError_tPvRmT2_T3_T4_T5_mT6_T7_P12ihipStream_tbENKUlT_T0_E_clISt17integral_constantIbLb0EES12_IbLb1EEEEDaSY_SZ_EUlSY_E_NS1_11comp_targetILNS1_3genE10ELNS1_11target_archE1200ELNS1_3gpuE4ELNS1_3repE0EEENS1_30default_config_static_selectorELNS0_4arch9wavefront6targetE1EEEvT1_
; %bb.0:
	.section	.rodata,"a",@progbits
	.p2align	6, 0x0
	.amdhsa_kernel _ZN7rocprim17ROCPRIM_400000_NS6detail17trampoline_kernelINS0_14default_configENS1_27scan_by_key_config_selectorIj11FixedVectorIiLj1EEEEZZNS1_16scan_by_key_implILNS1_25lookback_scan_determinismE0ELb1ES3_N6thrust23THRUST_200600_302600_NS6detail15normal_iteratorINSB_10device_ptrIjEEEENSD_INSE_IS6_EEEESI_S6_NSB_4plusIvEENSB_8equal_toIvEES6_EE10hipError_tPvRmT2_T3_T4_T5_mT6_T7_P12ihipStream_tbENKUlT_T0_E_clISt17integral_constantIbLb0EES12_IbLb1EEEEDaSY_SZ_EUlSY_E_NS1_11comp_targetILNS1_3genE10ELNS1_11target_archE1200ELNS1_3gpuE4ELNS1_3repE0EEENS1_30default_config_static_selectorELNS0_4arch9wavefront6targetE1EEEvT1_
		.amdhsa_group_segment_fixed_size 0
		.amdhsa_private_segment_fixed_size 0
		.amdhsa_kernarg_size 112
		.amdhsa_user_sgpr_count 6
		.amdhsa_user_sgpr_private_segment_buffer 1
		.amdhsa_user_sgpr_dispatch_ptr 0
		.amdhsa_user_sgpr_queue_ptr 0
		.amdhsa_user_sgpr_kernarg_segment_ptr 1
		.amdhsa_user_sgpr_dispatch_id 0
		.amdhsa_user_sgpr_flat_scratch_init 0
		.amdhsa_user_sgpr_kernarg_preload_length 0
		.amdhsa_user_sgpr_kernarg_preload_offset 0
		.amdhsa_user_sgpr_private_segment_size 0
		.amdhsa_uses_dynamic_stack 0
		.amdhsa_system_sgpr_private_segment_wavefront_offset 0
		.amdhsa_system_sgpr_workgroup_id_x 1
		.amdhsa_system_sgpr_workgroup_id_y 0
		.amdhsa_system_sgpr_workgroup_id_z 0
		.amdhsa_system_sgpr_workgroup_info 0
		.amdhsa_system_vgpr_workitem_id 0
		.amdhsa_next_free_vgpr 1
		.amdhsa_next_free_sgpr 0
		.amdhsa_accum_offset 4
		.amdhsa_reserve_vcc 0
		.amdhsa_reserve_flat_scratch 0
		.amdhsa_float_round_mode_32 0
		.amdhsa_float_round_mode_16_64 0
		.amdhsa_float_denorm_mode_32 3
		.amdhsa_float_denorm_mode_16_64 3
		.amdhsa_dx10_clamp 1
		.amdhsa_ieee_mode 1
		.amdhsa_fp16_overflow 0
		.amdhsa_tg_split 0
		.amdhsa_exception_fp_ieee_invalid_op 0
		.amdhsa_exception_fp_denorm_src 0
		.amdhsa_exception_fp_ieee_div_zero 0
		.amdhsa_exception_fp_ieee_overflow 0
		.amdhsa_exception_fp_ieee_underflow 0
		.amdhsa_exception_fp_ieee_inexact 0
		.amdhsa_exception_int_div_zero 0
	.end_amdhsa_kernel
	.section	.text._ZN7rocprim17ROCPRIM_400000_NS6detail17trampoline_kernelINS0_14default_configENS1_27scan_by_key_config_selectorIj11FixedVectorIiLj1EEEEZZNS1_16scan_by_key_implILNS1_25lookback_scan_determinismE0ELb1ES3_N6thrust23THRUST_200600_302600_NS6detail15normal_iteratorINSB_10device_ptrIjEEEENSD_INSE_IS6_EEEESI_S6_NSB_4plusIvEENSB_8equal_toIvEES6_EE10hipError_tPvRmT2_T3_T4_T5_mT6_T7_P12ihipStream_tbENKUlT_T0_E_clISt17integral_constantIbLb0EES12_IbLb1EEEEDaSY_SZ_EUlSY_E_NS1_11comp_targetILNS1_3genE10ELNS1_11target_archE1200ELNS1_3gpuE4ELNS1_3repE0EEENS1_30default_config_static_selectorELNS0_4arch9wavefront6targetE1EEEvT1_,"axG",@progbits,_ZN7rocprim17ROCPRIM_400000_NS6detail17trampoline_kernelINS0_14default_configENS1_27scan_by_key_config_selectorIj11FixedVectorIiLj1EEEEZZNS1_16scan_by_key_implILNS1_25lookback_scan_determinismE0ELb1ES3_N6thrust23THRUST_200600_302600_NS6detail15normal_iteratorINSB_10device_ptrIjEEEENSD_INSE_IS6_EEEESI_S6_NSB_4plusIvEENSB_8equal_toIvEES6_EE10hipError_tPvRmT2_T3_T4_T5_mT6_T7_P12ihipStream_tbENKUlT_T0_E_clISt17integral_constantIbLb0EES12_IbLb1EEEEDaSY_SZ_EUlSY_E_NS1_11comp_targetILNS1_3genE10ELNS1_11target_archE1200ELNS1_3gpuE4ELNS1_3repE0EEENS1_30default_config_static_selectorELNS0_4arch9wavefront6targetE1EEEvT1_,comdat
.Lfunc_end1944:
	.size	_ZN7rocprim17ROCPRIM_400000_NS6detail17trampoline_kernelINS0_14default_configENS1_27scan_by_key_config_selectorIj11FixedVectorIiLj1EEEEZZNS1_16scan_by_key_implILNS1_25lookback_scan_determinismE0ELb1ES3_N6thrust23THRUST_200600_302600_NS6detail15normal_iteratorINSB_10device_ptrIjEEEENSD_INSE_IS6_EEEESI_S6_NSB_4plusIvEENSB_8equal_toIvEES6_EE10hipError_tPvRmT2_T3_T4_T5_mT6_T7_P12ihipStream_tbENKUlT_T0_E_clISt17integral_constantIbLb0EES12_IbLb1EEEEDaSY_SZ_EUlSY_E_NS1_11comp_targetILNS1_3genE10ELNS1_11target_archE1200ELNS1_3gpuE4ELNS1_3repE0EEENS1_30default_config_static_selectorELNS0_4arch9wavefront6targetE1EEEvT1_, .Lfunc_end1944-_ZN7rocprim17ROCPRIM_400000_NS6detail17trampoline_kernelINS0_14default_configENS1_27scan_by_key_config_selectorIj11FixedVectorIiLj1EEEEZZNS1_16scan_by_key_implILNS1_25lookback_scan_determinismE0ELb1ES3_N6thrust23THRUST_200600_302600_NS6detail15normal_iteratorINSB_10device_ptrIjEEEENSD_INSE_IS6_EEEESI_S6_NSB_4plusIvEENSB_8equal_toIvEES6_EE10hipError_tPvRmT2_T3_T4_T5_mT6_T7_P12ihipStream_tbENKUlT_T0_E_clISt17integral_constantIbLb0EES12_IbLb1EEEEDaSY_SZ_EUlSY_E_NS1_11comp_targetILNS1_3genE10ELNS1_11target_archE1200ELNS1_3gpuE4ELNS1_3repE0EEENS1_30default_config_static_selectorELNS0_4arch9wavefront6targetE1EEEvT1_
                                        ; -- End function
	.section	.AMDGPU.csdata,"",@progbits
; Kernel info:
; codeLenInByte = 0
; NumSgprs: 4
; NumVgprs: 0
; NumAgprs: 0
; TotalNumVgprs: 0
; ScratchSize: 0
; MemoryBound: 0
; FloatMode: 240
; IeeeMode: 1
; LDSByteSize: 0 bytes/workgroup (compile time only)
; SGPRBlocks: 0
; VGPRBlocks: 0
; NumSGPRsForWavesPerEU: 4
; NumVGPRsForWavesPerEU: 1
; AccumOffset: 4
; Occupancy: 8
; WaveLimiterHint : 0
; COMPUTE_PGM_RSRC2:SCRATCH_EN: 0
; COMPUTE_PGM_RSRC2:USER_SGPR: 6
; COMPUTE_PGM_RSRC2:TRAP_HANDLER: 0
; COMPUTE_PGM_RSRC2:TGID_X_EN: 1
; COMPUTE_PGM_RSRC2:TGID_Y_EN: 0
; COMPUTE_PGM_RSRC2:TGID_Z_EN: 0
; COMPUTE_PGM_RSRC2:TIDIG_COMP_CNT: 0
; COMPUTE_PGM_RSRC3_GFX90A:ACCUM_OFFSET: 0
; COMPUTE_PGM_RSRC3_GFX90A:TG_SPLIT: 0
	.section	.text._ZN7rocprim17ROCPRIM_400000_NS6detail17trampoline_kernelINS0_14default_configENS1_27scan_by_key_config_selectorIj11FixedVectorIiLj1EEEEZZNS1_16scan_by_key_implILNS1_25lookback_scan_determinismE0ELb1ES3_N6thrust23THRUST_200600_302600_NS6detail15normal_iteratorINSB_10device_ptrIjEEEENSD_INSE_IS6_EEEESI_S6_NSB_4plusIvEENSB_8equal_toIvEES6_EE10hipError_tPvRmT2_T3_T4_T5_mT6_T7_P12ihipStream_tbENKUlT_T0_E_clISt17integral_constantIbLb0EES12_IbLb1EEEEDaSY_SZ_EUlSY_E_NS1_11comp_targetILNS1_3genE9ELNS1_11target_archE1100ELNS1_3gpuE3ELNS1_3repE0EEENS1_30default_config_static_selectorELNS0_4arch9wavefront6targetE1EEEvT1_,"axG",@progbits,_ZN7rocprim17ROCPRIM_400000_NS6detail17trampoline_kernelINS0_14default_configENS1_27scan_by_key_config_selectorIj11FixedVectorIiLj1EEEEZZNS1_16scan_by_key_implILNS1_25lookback_scan_determinismE0ELb1ES3_N6thrust23THRUST_200600_302600_NS6detail15normal_iteratorINSB_10device_ptrIjEEEENSD_INSE_IS6_EEEESI_S6_NSB_4plusIvEENSB_8equal_toIvEES6_EE10hipError_tPvRmT2_T3_T4_T5_mT6_T7_P12ihipStream_tbENKUlT_T0_E_clISt17integral_constantIbLb0EES12_IbLb1EEEEDaSY_SZ_EUlSY_E_NS1_11comp_targetILNS1_3genE9ELNS1_11target_archE1100ELNS1_3gpuE3ELNS1_3repE0EEENS1_30default_config_static_selectorELNS0_4arch9wavefront6targetE1EEEvT1_,comdat
	.protected	_ZN7rocprim17ROCPRIM_400000_NS6detail17trampoline_kernelINS0_14default_configENS1_27scan_by_key_config_selectorIj11FixedVectorIiLj1EEEEZZNS1_16scan_by_key_implILNS1_25lookback_scan_determinismE0ELb1ES3_N6thrust23THRUST_200600_302600_NS6detail15normal_iteratorINSB_10device_ptrIjEEEENSD_INSE_IS6_EEEESI_S6_NSB_4plusIvEENSB_8equal_toIvEES6_EE10hipError_tPvRmT2_T3_T4_T5_mT6_T7_P12ihipStream_tbENKUlT_T0_E_clISt17integral_constantIbLb0EES12_IbLb1EEEEDaSY_SZ_EUlSY_E_NS1_11comp_targetILNS1_3genE9ELNS1_11target_archE1100ELNS1_3gpuE3ELNS1_3repE0EEENS1_30default_config_static_selectorELNS0_4arch9wavefront6targetE1EEEvT1_ ; -- Begin function _ZN7rocprim17ROCPRIM_400000_NS6detail17trampoline_kernelINS0_14default_configENS1_27scan_by_key_config_selectorIj11FixedVectorIiLj1EEEEZZNS1_16scan_by_key_implILNS1_25lookback_scan_determinismE0ELb1ES3_N6thrust23THRUST_200600_302600_NS6detail15normal_iteratorINSB_10device_ptrIjEEEENSD_INSE_IS6_EEEESI_S6_NSB_4plusIvEENSB_8equal_toIvEES6_EE10hipError_tPvRmT2_T3_T4_T5_mT6_T7_P12ihipStream_tbENKUlT_T0_E_clISt17integral_constantIbLb0EES12_IbLb1EEEEDaSY_SZ_EUlSY_E_NS1_11comp_targetILNS1_3genE9ELNS1_11target_archE1100ELNS1_3gpuE3ELNS1_3repE0EEENS1_30default_config_static_selectorELNS0_4arch9wavefront6targetE1EEEvT1_
	.globl	_ZN7rocprim17ROCPRIM_400000_NS6detail17trampoline_kernelINS0_14default_configENS1_27scan_by_key_config_selectorIj11FixedVectorIiLj1EEEEZZNS1_16scan_by_key_implILNS1_25lookback_scan_determinismE0ELb1ES3_N6thrust23THRUST_200600_302600_NS6detail15normal_iteratorINSB_10device_ptrIjEEEENSD_INSE_IS6_EEEESI_S6_NSB_4plusIvEENSB_8equal_toIvEES6_EE10hipError_tPvRmT2_T3_T4_T5_mT6_T7_P12ihipStream_tbENKUlT_T0_E_clISt17integral_constantIbLb0EES12_IbLb1EEEEDaSY_SZ_EUlSY_E_NS1_11comp_targetILNS1_3genE9ELNS1_11target_archE1100ELNS1_3gpuE3ELNS1_3repE0EEENS1_30default_config_static_selectorELNS0_4arch9wavefront6targetE1EEEvT1_
	.p2align	8
	.type	_ZN7rocprim17ROCPRIM_400000_NS6detail17trampoline_kernelINS0_14default_configENS1_27scan_by_key_config_selectorIj11FixedVectorIiLj1EEEEZZNS1_16scan_by_key_implILNS1_25lookback_scan_determinismE0ELb1ES3_N6thrust23THRUST_200600_302600_NS6detail15normal_iteratorINSB_10device_ptrIjEEEENSD_INSE_IS6_EEEESI_S6_NSB_4plusIvEENSB_8equal_toIvEES6_EE10hipError_tPvRmT2_T3_T4_T5_mT6_T7_P12ihipStream_tbENKUlT_T0_E_clISt17integral_constantIbLb0EES12_IbLb1EEEEDaSY_SZ_EUlSY_E_NS1_11comp_targetILNS1_3genE9ELNS1_11target_archE1100ELNS1_3gpuE3ELNS1_3repE0EEENS1_30default_config_static_selectorELNS0_4arch9wavefront6targetE1EEEvT1_,@function
_ZN7rocprim17ROCPRIM_400000_NS6detail17trampoline_kernelINS0_14default_configENS1_27scan_by_key_config_selectorIj11FixedVectorIiLj1EEEEZZNS1_16scan_by_key_implILNS1_25lookback_scan_determinismE0ELb1ES3_N6thrust23THRUST_200600_302600_NS6detail15normal_iteratorINSB_10device_ptrIjEEEENSD_INSE_IS6_EEEESI_S6_NSB_4plusIvEENSB_8equal_toIvEES6_EE10hipError_tPvRmT2_T3_T4_T5_mT6_T7_P12ihipStream_tbENKUlT_T0_E_clISt17integral_constantIbLb0EES12_IbLb1EEEEDaSY_SZ_EUlSY_E_NS1_11comp_targetILNS1_3genE9ELNS1_11target_archE1100ELNS1_3gpuE3ELNS1_3repE0EEENS1_30default_config_static_selectorELNS0_4arch9wavefront6targetE1EEEvT1_: ; @_ZN7rocprim17ROCPRIM_400000_NS6detail17trampoline_kernelINS0_14default_configENS1_27scan_by_key_config_selectorIj11FixedVectorIiLj1EEEEZZNS1_16scan_by_key_implILNS1_25lookback_scan_determinismE0ELb1ES3_N6thrust23THRUST_200600_302600_NS6detail15normal_iteratorINSB_10device_ptrIjEEEENSD_INSE_IS6_EEEESI_S6_NSB_4plusIvEENSB_8equal_toIvEES6_EE10hipError_tPvRmT2_T3_T4_T5_mT6_T7_P12ihipStream_tbENKUlT_T0_E_clISt17integral_constantIbLb0EES12_IbLb1EEEEDaSY_SZ_EUlSY_E_NS1_11comp_targetILNS1_3genE9ELNS1_11target_archE1100ELNS1_3gpuE3ELNS1_3repE0EEENS1_30default_config_static_selectorELNS0_4arch9wavefront6targetE1EEEvT1_
; %bb.0:
	.section	.rodata,"a",@progbits
	.p2align	6, 0x0
	.amdhsa_kernel _ZN7rocprim17ROCPRIM_400000_NS6detail17trampoline_kernelINS0_14default_configENS1_27scan_by_key_config_selectorIj11FixedVectorIiLj1EEEEZZNS1_16scan_by_key_implILNS1_25lookback_scan_determinismE0ELb1ES3_N6thrust23THRUST_200600_302600_NS6detail15normal_iteratorINSB_10device_ptrIjEEEENSD_INSE_IS6_EEEESI_S6_NSB_4plusIvEENSB_8equal_toIvEES6_EE10hipError_tPvRmT2_T3_T4_T5_mT6_T7_P12ihipStream_tbENKUlT_T0_E_clISt17integral_constantIbLb0EES12_IbLb1EEEEDaSY_SZ_EUlSY_E_NS1_11comp_targetILNS1_3genE9ELNS1_11target_archE1100ELNS1_3gpuE3ELNS1_3repE0EEENS1_30default_config_static_selectorELNS0_4arch9wavefront6targetE1EEEvT1_
		.amdhsa_group_segment_fixed_size 0
		.amdhsa_private_segment_fixed_size 0
		.amdhsa_kernarg_size 112
		.amdhsa_user_sgpr_count 6
		.amdhsa_user_sgpr_private_segment_buffer 1
		.amdhsa_user_sgpr_dispatch_ptr 0
		.amdhsa_user_sgpr_queue_ptr 0
		.amdhsa_user_sgpr_kernarg_segment_ptr 1
		.amdhsa_user_sgpr_dispatch_id 0
		.amdhsa_user_sgpr_flat_scratch_init 0
		.amdhsa_user_sgpr_kernarg_preload_length 0
		.amdhsa_user_sgpr_kernarg_preload_offset 0
		.amdhsa_user_sgpr_private_segment_size 0
		.amdhsa_uses_dynamic_stack 0
		.amdhsa_system_sgpr_private_segment_wavefront_offset 0
		.amdhsa_system_sgpr_workgroup_id_x 1
		.amdhsa_system_sgpr_workgroup_id_y 0
		.amdhsa_system_sgpr_workgroup_id_z 0
		.amdhsa_system_sgpr_workgroup_info 0
		.amdhsa_system_vgpr_workitem_id 0
		.amdhsa_next_free_vgpr 1
		.amdhsa_next_free_sgpr 0
		.amdhsa_accum_offset 4
		.amdhsa_reserve_vcc 0
		.amdhsa_reserve_flat_scratch 0
		.amdhsa_float_round_mode_32 0
		.amdhsa_float_round_mode_16_64 0
		.amdhsa_float_denorm_mode_32 3
		.amdhsa_float_denorm_mode_16_64 3
		.amdhsa_dx10_clamp 1
		.amdhsa_ieee_mode 1
		.amdhsa_fp16_overflow 0
		.amdhsa_tg_split 0
		.amdhsa_exception_fp_ieee_invalid_op 0
		.amdhsa_exception_fp_denorm_src 0
		.amdhsa_exception_fp_ieee_div_zero 0
		.amdhsa_exception_fp_ieee_overflow 0
		.amdhsa_exception_fp_ieee_underflow 0
		.amdhsa_exception_fp_ieee_inexact 0
		.amdhsa_exception_int_div_zero 0
	.end_amdhsa_kernel
	.section	.text._ZN7rocprim17ROCPRIM_400000_NS6detail17trampoline_kernelINS0_14default_configENS1_27scan_by_key_config_selectorIj11FixedVectorIiLj1EEEEZZNS1_16scan_by_key_implILNS1_25lookback_scan_determinismE0ELb1ES3_N6thrust23THRUST_200600_302600_NS6detail15normal_iteratorINSB_10device_ptrIjEEEENSD_INSE_IS6_EEEESI_S6_NSB_4plusIvEENSB_8equal_toIvEES6_EE10hipError_tPvRmT2_T3_T4_T5_mT6_T7_P12ihipStream_tbENKUlT_T0_E_clISt17integral_constantIbLb0EES12_IbLb1EEEEDaSY_SZ_EUlSY_E_NS1_11comp_targetILNS1_3genE9ELNS1_11target_archE1100ELNS1_3gpuE3ELNS1_3repE0EEENS1_30default_config_static_selectorELNS0_4arch9wavefront6targetE1EEEvT1_,"axG",@progbits,_ZN7rocprim17ROCPRIM_400000_NS6detail17trampoline_kernelINS0_14default_configENS1_27scan_by_key_config_selectorIj11FixedVectorIiLj1EEEEZZNS1_16scan_by_key_implILNS1_25lookback_scan_determinismE0ELb1ES3_N6thrust23THRUST_200600_302600_NS6detail15normal_iteratorINSB_10device_ptrIjEEEENSD_INSE_IS6_EEEESI_S6_NSB_4plusIvEENSB_8equal_toIvEES6_EE10hipError_tPvRmT2_T3_T4_T5_mT6_T7_P12ihipStream_tbENKUlT_T0_E_clISt17integral_constantIbLb0EES12_IbLb1EEEEDaSY_SZ_EUlSY_E_NS1_11comp_targetILNS1_3genE9ELNS1_11target_archE1100ELNS1_3gpuE3ELNS1_3repE0EEENS1_30default_config_static_selectorELNS0_4arch9wavefront6targetE1EEEvT1_,comdat
.Lfunc_end1945:
	.size	_ZN7rocprim17ROCPRIM_400000_NS6detail17trampoline_kernelINS0_14default_configENS1_27scan_by_key_config_selectorIj11FixedVectorIiLj1EEEEZZNS1_16scan_by_key_implILNS1_25lookback_scan_determinismE0ELb1ES3_N6thrust23THRUST_200600_302600_NS6detail15normal_iteratorINSB_10device_ptrIjEEEENSD_INSE_IS6_EEEESI_S6_NSB_4plusIvEENSB_8equal_toIvEES6_EE10hipError_tPvRmT2_T3_T4_T5_mT6_T7_P12ihipStream_tbENKUlT_T0_E_clISt17integral_constantIbLb0EES12_IbLb1EEEEDaSY_SZ_EUlSY_E_NS1_11comp_targetILNS1_3genE9ELNS1_11target_archE1100ELNS1_3gpuE3ELNS1_3repE0EEENS1_30default_config_static_selectorELNS0_4arch9wavefront6targetE1EEEvT1_, .Lfunc_end1945-_ZN7rocprim17ROCPRIM_400000_NS6detail17trampoline_kernelINS0_14default_configENS1_27scan_by_key_config_selectorIj11FixedVectorIiLj1EEEEZZNS1_16scan_by_key_implILNS1_25lookback_scan_determinismE0ELb1ES3_N6thrust23THRUST_200600_302600_NS6detail15normal_iteratorINSB_10device_ptrIjEEEENSD_INSE_IS6_EEEESI_S6_NSB_4plusIvEENSB_8equal_toIvEES6_EE10hipError_tPvRmT2_T3_T4_T5_mT6_T7_P12ihipStream_tbENKUlT_T0_E_clISt17integral_constantIbLb0EES12_IbLb1EEEEDaSY_SZ_EUlSY_E_NS1_11comp_targetILNS1_3genE9ELNS1_11target_archE1100ELNS1_3gpuE3ELNS1_3repE0EEENS1_30default_config_static_selectorELNS0_4arch9wavefront6targetE1EEEvT1_
                                        ; -- End function
	.section	.AMDGPU.csdata,"",@progbits
; Kernel info:
; codeLenInByte = 0
; NumSgprs: 4
; NumVgprs: 0
; NumAgprs: 0
; TotalNumVgprs: 0
; ScratchSize: 0
; MemoryBound: 0
; FloatMode: 240
; IeeeMode: 1
; LDSByteSize: 0 bytes/workgroup (compile time only)
; SGPRBlocks: 0
; VGPRBlocks: 0
; NumSGPRsForWavesPerEU: 4
; NumVGPRsForWavesPerEU: 1
; AccumOffset: 4
; Occupancy: 8
; WaveLimiterHint : 0
; COMPUTE_PGM_RSRC2:SCRATCH_EN: 0
; COMPUTE_PGM_RSRC2:USER_SGPR: 6
; COMPUTE_PGM_RSRC2:TRAP_HANDLER: 0
; COMPUTE_PGM_RSRC2:TGID_X_EN: 1
; COMPUTE_PGM_RSRC2:TGID_Y_EN: 0
; COMPUTE_PGM_RSRC2:TGID_Z_EN: 0
; COMPUTE_PGM_RSRC2:TIDIG_COMP_CNT: 0
; COMPUTE_PGM_RSRC3_GFX90A:ACCUM_OFFSET: 0
; COMPUTE_PGM_RSRC3_GFX90A:TG_SPLIT: 0
	.section	.text._ZN7rocprim17ROCPRIM_400000_NS6detail17trampoline_kernelINS0_14default_configENS1_27scan_by_key_config_selectorIj11FixedVectorIiLj1EEEEZZNS1_16scan_by_key_implILNS1_25lookback_scan_determinismE0ELb1ES3_N6thrust23THRUST_200600_302600_NS6detail15normal_iteratorINSB_10device_ptrIjEEEENSD_INSE_IS6_EEEESI_S6_NSB_4plusIvEENSB_8equal_toIvEES6_EE10hipError_tPvRmT2_T3_T4_T5_mT6_T7_P12ihipStream_tbENKUlT_T0_E_clISt17integral_constantIbLb0EES12_IbLb1EEEEDaSY_SZ_EUlSY_E_NS1_11comp_targetILNS1_3genE8ELNS1_11target_archE1030ELNS1_3gpuE2ELNS1_3repE0EEENS1_30default_config_static_selectorELNS0_4arch9wavefront6targetE1EEEvT1_,"axG",@progbits,_ZN7rocprim17ROCPRIM_400000_NS6detail17trampoline_kernelINS0_14default_configENS1_27scan_by_key_config_selectorIj11FixedVectorIiLj1EEEEZZNS1_16scan_by_key_implILNS1_25lookback_scan_determinismE0ELb1ES3_N6thrust23THRUST_200600_302600_NS6detail15normal_iteratorINSB_10device_ptrIjEEEENSD_INSE_IS6_EEEESI_S6_NSB_4plusIvEENSB_8equal_toIvEES6_EE10hipError_tPvRmT2_T3_T4_T5_mT6_T7_P12ihipStream_tbENKUlT_T0_E_clISt17integral_constantIbLb0EES12_IbLb1EEEEDaSY_SZ_EUlSY_E_NS1_11comp_targetILNS1_3genE8ELNS1_11target_archE1030ELNS1_3gpuE2ELNS1_3repE0EEENS1_30default_config_static_selectorELNS0_4arch9wavefront6targetE1EEEvT1_,comdat
	.protected	_ZN7rocprim17ROCPRIM_400000_NS6detail17trampoline_kernelINS0_14default_configENS1_27scan_by_key_config_selectorIj11FixedVectorIiLj1EEEEZZNS1_16scan_by_key_implILNS1_25lookback_scan_determinismE0ELb1ES3_N6thrust23THRUST_200600_302600_NS6detail15normal_iteratorINSB_10device_ptrIjEEEENSD_INSE_IS6_EEEESI_S6_NSB_4plusIvEENSB_8equal_toIvEES6_EE10hipError_tPvRmT2_T3_T4_T5_mT6_T7_P12ihipStream_tbENKUlT_T0_E_clISt17integral_constantIbLb0EES12_IbLb1EEEEDaSY_SZ_EUlSY_E_NS1_11comp_targetILNS1_3genE8ELNS1_11target_archE1030ELNS1_3gpuE2ELNS1_3repE0EEENS1_30default_config_static_selectorELNS0_4arch9wavefront6targetE1EEEvT1_ ; -- Begin function _ZN7rocprim17ROCPRIM_400000_NS6detail17trampoline_kernelINS0_14default_configENS1_27scan_by_key_config_selectorIj11FixedVectorIiLj1EEEEZZNS1_16scan_by_key_implILNS1_25lookback_scan_determinismE0ELb1ES3_N6thrust23THRUST_200600_302600_NS6detail15normal_iteratorINSB_10device_ptrIjEEEENSD_INSE_IS6_EEEESI_S6_NSB_4plusIvEENSB_8equal_toIvEES6_EE10hipError_tPvRmT2_T3_T4_T5_mT6_T7_P12ihipStream_tbENKUlT_T0_E_clISt17integral_constantIbLb0EES12_IbLb1EEEEDaSY_SZ_EUlSY_E_NS1_11comp_targetILNS1_3genE8ELNS1_11target_archE1030ELNS1_3gpuE2ELNS1_3repE0EEENS1_30default_config_static_selectorELNS0_4arch9wavefront6targetE1EEEvT1_
	.globl	_ZN7rocprim17ROCPRIM_400000_NS6detail17trampoline_kernelINS0_14default_configENS1_27scan_by_key_config_selectorIj11FixedVectorIiLj1EEEEZZNS1_16scan_by_key_implILNS1_25lookback_scan_determinismE0ELb1ES3_N6thrust23THRUST_200600_302600_NS6detail15normal_iteratorINSB_10device_ptrIjEEEENSD_INSE_IS6_EEEESI_S6_NSB_4plusIvEENSB_8equal_toIvEES6_EE10hipError_tPvRmT2_T3_T4_T5_mT6_T7_P12ihipStream_tbENKUlT_T0_E_clISt17integral_constantIbLb0EES12_IbLb1EEEEDaSY_SZ_EUlSY_E_NS1_11comp_targetILNS1_3genE8ELNS1_11target_archE1030ELNS1_3gpuE2ELNS1_3repE0EEENS1_30default_config_static_selectorELNS0_4arch9wavefront6targetE1EEEvT1_
	.p2align	8
	.type	_ZN7rocprim17ROCPRIM_400000_NS6detail17trampoline_kernelINS0_14default_configENS1_27scan_by_key_config_selectorIj11FixedVectorIiLj1EEEEZZNS1_16scan_by_key_implILNS1_25lookback_scan_determinismE0ELb1ES3_N6thrust23THRUST_200600_302600_NS6detail15normal_iteratorINSB_10device_ptrIjEEEENSD_INSE_IS6_EEEESI_S6_NSB_4plusIvEENSB_8equal_toIvEES6_EE10hipError_tPvRmT2_T3_T4_T5_mT6_T7_P12ihipStream_tbENKUlT_T0_E_clISt17integral_constantIbLb0EES12_IbLb1EEEEDaSY_SZ_EUlSY_E_NS1_11comp_targetILNS1_3genE8ELNS1_11target_archE1030ELNS1_3gpuE2ELNS1_3repE0EEENS1_30default_config_static_selectorELNS0_4arch9wavefront6targetE1EEEvT1_,@function
_ZN7rocprim17ROCPRIM_400000_NS6detail17trampoline_kernelINS0_14default_configENS1_27scan_by_key_config_selectorIj11FixedVectorIiLj1EEEEZZNS1_16scan_by_key_implILNS1_25lookback_scan_determinismE0ELb1ES3_N6thrust23THRUST_200600_302600_NS6detail15normal_iteratorINSB_10device_ptrIjEEEENSD_INSE_IS6_EEEESI_S6_NSB_4plusIvEENSB_8equal_toIvEES6_EE10hipError_tPvRmT2_T3_T4_T5_mT6_T7_P12ihipStream_tbENKUlT_T0_E_clISt17integral_constantIbLb0EES12_IbLb1EEEEDaSY_SZ_EUlSY_E_NS1_11comp_targetILNS1_3genE8ELNS1_11target_archE1030ELNS1_3gpuE2ELNS1_3repE0EEENS1_30default_config_static_selectorELNS0_4arch9wavefront6targetE1EEEvT1_: ; @_ZN7rocprim17ROCPRIM_400000_NS6detail17trampoline_kernelINS0_14default_configENS1_27scan_by_key_config_selectorIj11FixedVectorIiLj1EEEEZZNS1_16scan_by_key_implILNS1_25lookback_scan_determinismE0ELb1ES3_N6thrust23THRUST_200600_302600_NS6detail15normal_iteratorINSB_10device_ptrIjEEEENSD_INSE_IS6_EEEESI_S6_NSB_4plusIvEENSB_8equal_toIvEES6_EE10hipError_tPvRmT2_T3_T4_T5_mT6_T7_P12ihipStream_tbENKUlT_T0_E_clISt17integral_constantIbLb0EES12_IbLb1EEEEDaSY_SZ_EUlSY_E_NS1_11comp_targetILNS1_3genE8ELNS1_11target_archE1030ELNS1_3gpuE2ELNS1_3repE0EEENS1_30default_config_static_selectorELNS0_4arch9wavefront6targetE1EEEvT1_
; %bb.0:
	.section	.rodata,"a",@progbits
	.p2align	6, 0x0
	.amdhsa_kernel _ZN7rocprim17ROCPRIM_400000_NS6detail17trampoline_kernelINS0_14default_configENS1_27scan_by_key_config_selectorIj11FixedVectorIiLj1EEEEZZNS1_16scan_by_key_implILNS1_25lookback_scan_determinismE0ELb1ES3_N6thrust23THRUST_200600_302600_NS6detail15normal_iteratorINSB_10device_ptrIjEEEENSD_INSE_IS6_EEEESI_S6_NSB_4plusIvEENSB_8equal_toIvEES6_EE10hipError_tPvRmT2_T3_T4_T5_mT6_T7_P12ihipStream_tbENKUlT_T0_E_clISt17integral_constantIbLb0EES12_IbLb1EEEEDaSY_SZ_EUlSY_E_NS1_11comp_targetILNS1_3genE8ELNS1_11target_archE1030ELNS1_3gpuE2ELNS1_3repE0EEENS1_30default_config_static_selectorELNS0_4arch9wavefront6targetE1EEEvT1_
		.amdhsa_group_segment_fixed_size 0
		.amdhsa_private_segment_fixed_size 0
		.amdhsa_kernarg_size 112
		.amdhsa_user_sgpr_count 6
		.amdhsa_user_sgpr_private_segment_buffer 1
		.amdhsa_user_sgpr_dispatch_ptr 0
		.amdhsa_user_sgpr_queue_ptr 0
		.amdhsa_user_sgpr_kernarg_segment_ptr 1
		.amdhsa_user_sgpr_dispatch_id 0
		.amdhsa_user_sgpr_flat_scratch_init 0
		.amdhsa_user_sgpr_kernarg_preload_length 0
		.amdhsa_user_sgpr_kernarg_preload_offset 0
		.amdhsa_user_sgpr_private_segment_size 0
		.amdhsa_uses_dynamic_stack 0
		.amdhsa_system_sgpr_private_segment_wavefront_offset 0
		.amdhsa_system_sgpr_workgroup_id_x 1
		.amdhsa_system_sgpr_workgroup_id_y 0
		.amdhsa_system_sgpr_workgroup_id_z 0
		.amdhsa_system_sgpr_workgroup_info 0
		.amdhsa_system_vgpr_workitem_id 0
		.amdhsa_next_free_vgpr 1
		.amdhsa_next_free_sgpr 0
		.amdhsa_accum_offset 4
		.amdhsa_reserve_vcc 0
		.amdhsa_reserve_flat_scratch 0
		.amdhsa_float_round_mode_32 0
		.amdhsa_float_round_mode_16_64 0
		.amdhsa_float_denorm_mode_32 3
		.amdhsa_float_denorm_mode_16_64 3
		.amdhsa_dx10_clamp 1
		.amdhsa_ieee_mode 1
		.amdhsa_fp16_overflow 0
		.amdhsa_tg_split 0
		.amdhsa_exception_fp_ieee_invalid_op 0
		.amdhsa_exception_fp_denorm_src 0
		.amdhsa_exception_fp_ieee_div_zero 0
		.amdhsa_exception_fp_ieee_overflow 0
		.amdhsa_exception_fp_ieee_underflow 0
		.amdhsa_exception_fp_ieee_inexact 0
		.amdhsa_exception_int_div_zero 0
	.end_amdhsa_kernel
	.section	.text._ZN7rocprim17ROCPRIM_400000_NS6detail17trampoline_kernelINS0_14default_configENS1_27scan_by_key_config_selectorIj11FixedVectorIiLj1EEEEZZNS1_16scan_by_key_implILNS1_25lookback_scan_determinismE0ELb1ES3_N6thrust23THRUST_200600_302600_NS6detail15normal_iteratorINSB_10device_ptrIjEEEENSD_INSE_IS6_EEEESI_S6_NSB_4plusIvEENSB_8equal_toIvEES6_EE10hipError_tPvRmT2_T3_T4_T5_mT6_T7_P12ihipStream_tbENKUlT_T0_E_clISt17integral_constantIbLb0EES12_IbLb1EEEEDaSY_SZ_EUlSY_E_NS1_11comp_targetILNS1_3genE8ELNS1_11target_archE1030ELNS1_3gpuE2ELNS1_3repE0EEENS1_30default_config_static_selectorELNS0_4arch9wavefront6targetE1EEEvT1_,"axG",@progbits,_ZN7rocprim17ROCPRIM_400000_NS6detail17trampoline_kernelINS0_14default_configENS1_27scan_by_key_config_selectorIj11FixedVectorIiLj1EEEEZZNS1_16scan_by_key_implILNS1_25lookback_scan_determinismE0ELb1ES3_N6thrust23THRUST_200600_302600_NS6detail15normal_iteratorINSB_10device_ptrIjEEEENSD_INSE_IS6_EEEESI_S6_NSB_4plusIvEENSB_8equal_toIvEES6_EE10hipError_tPvRmT2_T3_T4_T5_mT6_T7_P12ihipStream_tbENKUlT_T0_E_clISt17integral_constantIbLb0EES12_IbLb1EEEEDaSY_SZ_EUlSY_E_NS1_11comp_targetILNS1_3genE8ELNS1_11target_archE1030ELNS1_3gpuE2ELNS1_3repE0EEENS1_30default_config_static_selectorELNS0_4arch9wavefront6targetE1EEEvT1_,comdat
.Lfunc_end1946:
	.size	_ZN7rocprim17ROCPRIM_400000_NS6detail17trampoline_kernelINS0_14default_configENS1_27scan_by_key_config_selectorIj11FixedVectorIiLj1EEEEZZNS1_16scan_by_key_implILNS1_25lookback_scan_determinismE0ELb1ES3_N6thrust23THRUST_200600_302600_NS6detail15normal_iteratorINSB_10device_ptrIjEEEENSD_INSE_IS6_EEEESI_S6_NSB_4plusIvEENSB_8equal_toIvEES6_EE10hipError_tPvRmT2_T3_T4_T5_mT6_T7_P12ihipStream_tbENKUlT_T0_E_clISt17integral_constantIbLb0EES12_IbLb1EEEEDaSY_SZ_EUlSY_E_NS1_11comp_targetILNS1_3genE8ELNS1_11target_archE1030ELNS1_3gpuE2ELNS1_3repE0EEENS1_30default_config_static_selectorELNS0_4arch9wavefront6targetE1EEEvT1_, .Lfunc_end1946-_ZN7rocprim17ROCPRIM_400000_NS6detail17trampoline_kernelINS0_14default_configENS1_27scan_by_key_config_selectorIj11FixedVectorIiLj1EEEEZZNS1_16scan_by_key_implILNS1_25lookback_scan_determinismE0ELb1ES3_N6thrust23THRUST_200600_302600_NS6detail15normal_iteratorINSB_10device_ptrIjEEEENSD_INSE_IS6_EEEESI_S6_NSB_4plusIvEENSB_8equal_toIvEES6_EE10hipError_tPvRmT2_T3_T4_T5_mT6_T7_P12ihipStream_tbENKUlT_T0_E_clISt17integral_constantIbLb0EES12_IbLb1EEEEDaSY_SZ_EUlSY_E_NS1_11comp_targetILNS1_3genE8ELNS1_11target_archE1030ELNS1_3gpuE2ELNS1_3repE0EEENS1_30default_config_static_selectorELNS0_4arch9wavefront6targetE1EEEvT1_
                                        ; -- End function
	.section	.AMDGPU.csdata,"",@progbits
; Kernel info:
; codeLenInByte = 0
; NumSgprs: 4
; NumVgprs: 0
; NumAgprs: 0
; TotalNumVgprs: 0
; ScratchSize: 0
; MemoryBound: 0
; FloatMode: 240
; IeeeMode: 1
; LDSByteSize: 0 bytes/workgroup (compile time only)
; SGPRBlocks: 0
; VGPRBlocks: 0
; NumSGPRsForWavesPerEU: 4
; NumVGPRsForWavesPerEU: 1
; AccumOffset: 4
; Occupancy: 8
; WaveLimiterHint : 0
; COMPUTE_PGM_RSRC2:SCRATCH_EN: 0
; COMPUTE_PGM_RSRC2:USER_SGPR: 6
; COMPUTE_PGM_RSRC2:TRAP_HANDLER: 0
; COMPUTE_PGM_RSRC2:TGID_X_EN: 1
; COMPUTE_PGM_RSRC2:TGID_Y_EN: 0
; COMPUTE_PGM_RSRC2:TGID_Z_EN: 0
; COMPUTE_PGM_RSRC2:TIDIG_COMP_CNT: 0
; COMPUTE_PGM_RSRC3_GFX90A:ACCUM_OFFSET: 0
; COMPUTE_PGM_RSRC3_GFX90A:TG_SPLIT: 0
	.section	.text._ZN6thrust23THRUST_200600_302600_NS11hip_rocprim14__parallel_for6kernelILj256ENS1_10for_each_fINS0_10device_ptrI11FixedVectorIiLj2EEEENS0_6detail16wrapped_functionINS9_23allocator_traits_detail5gozerEvEEEElLj1EEEvT0_T1_SG_,"axG",@progbits,_ZN6thrust23THRUST_200600_302600_NS11hip_rocprim14__parallel_for6kernelILj256ENS1_10for_each_fINS0_10device_ptrI11FixedVectorIiLj2EEEENS0_6detail16wrapped_functionINS9_23allocator_traits_detail5gozerEvEEEElLj1EEEvT0_T1_SG_,comdat
	.protected	_ZN6thrust23THRUST_200600_302600_NS11hip_rocprim14__parallel_for6kernelILj256ENS1_10for_each_fINS0_10device_ptrI11FixedVectorIiLj2EEEENS0_6detail16wrapped_functionINS9_23allocator_traits_detail5gozerEvEEEElLj1EEEvT0_T1_SG_ ; -- Begin function _ZN6thrust23THRUST_200600_302600_NS11hip_rocprim14__parallel_for6kernelILj256ENS1_10for_each_fINS0_10device_ptrI11FixedVectorIiLj2EEEENS0_6detail16wrapped_functionINS9_23allocator_traits_detail5gozerEvEEEElLj1EEEvT0_T1_SG_
	.globl	_ZN6thrust23THRUST_200600_302600_NS11hip_rocprim14__parallel_for6kernelILj256ENS1_10for_each_fINS0_10device_ptrI11FixedVectorIiLj2EEEENS0_6detail16wrapped_functionINS9_23allocator_traits_detail5gozerEvEEEElLj1EEEvT0_T1_SG_
	.p2align	8
	.type	_ZN6thrust23THRUST_200600_302600_NS11hip_rocprim14__parallel_for6kernelILj256ENS1_10for_each_fINS0_10device_ptrI11FixedVectorIiLj2EEEENS0_6detail16wrapped_functionINS9_23allocator_traits_detail5gozerEvEEEElLj1EEEvT0_T1_SG_,@function
_ZN6thrust23THRUST_200600_302600_NS11hip_rocprim14__parallel_for6kernelILj256ENS1_10for_each_fINS0_10device_ptrI11FixedVectorIiLj2EEEENS0_6detail16wrapped_functionINS9_23allocator_traits_detail5gozerEvEEEElLj1EEEvT0_T1_SG_: ; @_ZN6thrust23THRUST_200600_302600_NS11hip_rocprim14__parallel_for6kernelILj256ENS1_10for_each_fINS0_10device_ptrI11FixedVectorIiLj2EEEENS0_6detail16wrapped_functionINS9_23allocator_traits_detail5gozerEvEEEElLj1EEEvT0_T1_SG_
; %bb.0:
	s_endpgm
	.section	.rodata,"a",@progbits
	.p2align	6, 0x0
	.amdhsa_kernel _ZN6thrust23THRUST_200600_302600_NS11hip_rocprim14__parallel_for6kernelILj256ENS1_10for_each_fINS0_10device_ptrI11FixedVectorIiLj2EEEENS0_6detail16wrapped_functionINS9_23allocator_traits_detail5gozerEvEEEElLj1EEEvT0_T1_SG_
		.amdhsa_group_segment_fixed_size 0
		.amdhsa_private_segment_fixed_size 0
		.amdhsa_kernarg_size 32
		.amdhsa_user_sgpr_count 6
		.amdhsa_user_sgpr_private_segment_buffer 1
		.amdhsa_user_sgpr_dispatch_ptr 0
		.amdhsa_user_sgpr_queue_ptr 0
		.amdhsa_user_sgpr_kernarg_segment_ptr 1
		.amdhsa_user_sgpr_dispatch_id 0
		.amdhsa_user_sgpr_flat_scratch_init 0
		.amdhsa_user_sgpr_kernarg_preload_length 0
		.amdhsa_user_sgpr_kernarg_preload_offset 0
		.amdhsa_user_sgpr_private_segment_size 0
		.amdhsa_uses_dynamic_stack 0
		.amdhsa_system_sgpr_private_segment_wavefront_offset 0
		.amdhsa_system_sgpr_workgroup_id_x 1
		.amdhsa_system_sgpr_workgroup_id_y 0
		.amdhsa_system_sgpr_workgroup_id_z 0
		.amdhsa_system_sgpr_workgroup_info 0
		.amdhsa_system_vgpr_workitem_id 0
		.amdhsa_next_free_vgpr 1
		.amdhsa_next_free_sgpr 0
		.amdhsa_accum_offset 4
		.amdhsa_reserve_vcc 0
		.amdhsa_reserve_flat_scratch 0
		.amdhsa_float_round_mode_32 0
		.amdhsa_float_round_mode_16_64 0
		.amdhsa_float_denorm_mode_32 3
		.amdhsa_float_denorm_mode_16_64 3
		.amdhsa_dx10_clamp 1
		.amdhsa_ieee_mode 1
		.amdhsa_fp16_overflow 0
		.amdhsa_tg_split 0
		.amdhsa_exception_fp_ieee_invalid_op 0
		.amdhsa_exception_fp_denorm_src 0
		.amdhsa_exception_fp_ieee_div_zero 0
		.amdhsa_exception_fp_ieee_overflow 0
		.amdhsa_exception_fp_ieee_underflow 0
		.amdhsa_exception_fp_ieee_inexact 0
		.amdhsa_exception_int_div_zero 0
	.end_amdhsa_kernel
	.section	.text._ZN6thrust23THRUST_200600_302600_NS11hip_rocprim14__parallel_for6kernelILj256ENS1_10for_each_fINS0_10device_ptrI11FixedVectorIiLj2EEEENS0_6detail16wrapped_functionINS9_23allocator_traits_detail5gozerEvEEEElLj1EEEvT0_T1_SG_,"axG",@progbits,_ZN6thrust23THRUST_200600_302600_NS11hip_rocprim14__parallel_for6kernelILj256ENS1_10for_each_fINS0_10device_ptrI11FixedVectorIiLj2EEEENS0_6detail16wrapped_functionINS9_23allocator_traits_detail5gozerEvEEEElLj1EEEvT0_T1_SG_,comdat
.Lfunc_end1947:
	.size	_ZN6thrust23THRUST_200600_302600_NS11hip_rocprim14__parallel_for6kernelILj256ENS1_10for_each_fINS0_10device_ptrI11FixedVectorIiLj2EEEENS0_6detail16wrapped_functionINS9_23allocator_traits_detail5gozerEvEEEElLj1EEEvT0_T1_SG_, .Lfunc_end1947-_ZN6thrust23THRUST_200600_302600_NS11hip_rocprim14__parallel_for6kernelILj256ENS1_10for_each_fINS0_10device_ptrI11FixedVectorIiLj2EEEENS0_6detail16wrapped_functionINS9_23allocator_traits_detail5gozerEvEEEElLj1EEEvT0_T1_SG_
                                        ; -- End function
	.section	.AMDGPU.csdata,"",@progbits
; Kernel info:
; codeLenInByte = 4
; NumSgprs: 4
; NumVgprs: 0
; NumAgprs: 0
; TotalNumVgprs: 0
; ScratchSize: 0
; MemoryBound: 0
; FloatMode: 240
; IeeeMode: 1
; LDSByteSize: 0 bytes/workgroup (compile time only)
; SGPRBlocks: 0
; VGPRBlocks: 0
; NumSGPRsForWavesPerEU: 4
; NumVGPRsForWavesPerEU: 1
; AccumOffset: 4
; Occupancy: 8
; WaveLimiterHint : 0
; COMPUTE_PGM_RSRC2:SCRATCH_EN: 0
; COMPUTE_PGM_RSRC2:USER_SGPR: 6
; COMPUTE_PGM_RSRC2:TRAP_HANDLER: 0
; COMPUTE_PGM_RSRC2:TGID_X_EN: 1
; COMPUTE_PGM_RSRC2:TGID_Y_EN: 0
; COMPUTE_PGM_RSRC2:TGID_Z_EN: 0
; COMPUTE_PGM_RSRC2:TIDIG_COMP_CNT: 0
; COMPUTE_PGM_RSRC3_GFX90A:ACCUM_OFFSET: 0
; COMPUTE_PGM_RSRC3_GFX90A:TG_SPLIT: 0
	.section	.text._ZN6thrust23THRUST_200600_302600_NS11hip_rocprim14__parallel_for6kernelILj256ENS1_10for_each_fINS0_10device_ptrI11FixedVectorIiLj2EEEENS0_6detail16wrapped_functionINS9_23allocator_traits_detail24construct1_via_allocatorINS0_16device_allocatorIS7_EEEEvEEEEmLj1EEEvT0_T1_SJ_,"axG",@progbits,_ZN6thrust23THRUST_200600_302600_NS11hip_rocprim14__parallel_for6kernelILj256ENS1_10for_each_fINS0_10device_ptrI11FixedVectorIiLj2EEEENS0_6detail16wrapped_functionINS9_23allocator_traits_detail24construct1_via_allocatorINS0_16device_allocatorIS7_EEEEvEEEEmLj1EEEvT0_T1_SJ_,comdat
	.protected	_ZN6thrust23THRUST_200600_302600_NS11hip_rocprim14__parallel_for6kernelILj256ENS1_10for_each_fINS0_10device_ptrI11FixedVectorIiLj2EEEENS0_6detail16wrapped_functionINS9_23allocator_traits_detail24construct1_via_allocatorINS0_16device_allocatorIS7_EEEEvEEEEmLj1EEEvT0_T1_SJ_ ; -- Begin function _ZN6thrust23THRUST_200600_302600_NS11hip_rocprim14__parallel_for6kernelILj256ENS1_10for_each_fINS0_10device_ptrI11FixedVectorIiLj2EEEENS0_6detail16wrapped_functionINS9_23allocator_traits_detail24construct1_via_allocatorINS0_16device_allocatorIS7_EEEEvEEEEmLj1EEEvT0_T1_SJ_
	.globl	_ZN6thrust23THRUST_200600_302600_NS11hip_rocprim14__parallel_for6kernelILj256ENS1_10for_each_fINS0_10device_ptrI11FixedVectorIiLj2EEEENS0_6detail16wrapped_functionINS9_23allocator_traits_detail24construct1_via_allocatorINS0_16device_allocatorIS7_EEEEvEEEEmLj1EEEvT0_T1_SJ_
	.p2align	8
	.type	_ZN6thrust23THRUST_200600_302600_NS11hip_rocprim14__parallel_for6kernelILj256ENS1_10for_each_fINS0_10device_ptrI11FixedVectorIiLj2EEEENS0_6detail16wrapped_functionINS9_23allocator_traits_detail24construct1_via_allocatorINS0_16device_allocatorIS7_EEEEvEEEEmLj1EEEvT0_T1_SJ_,@function
_ZN6thrust23THRUST_200600_302600_NS11hip_rocprim14__parallel_for6kernelILj256ENS1_10for_each_fINS0_10device_ptrI11FixedVectorIiLj2EEEENS0_6detail16wrapped_functionINS9_23allocator_traits_detail24construct1_via_allocatorINS0_16device_allocatorIS7_EEEEvEEEEmLj1EEEvT0_T1_SJ_: ; @_ZN6thrust23THRUST_200600_302600_NS11hip_rocprim14__parallel_for6kernelILj256ENS1_10for_each_fINS0_10device_ptrI11FixedVectorIiLj2EEEENS0_6detail16wrapped_functionINS9_23allocator_traits_detail24construct1_via_allocatorINS0_16device_allocatorIS7_EEEEvEEEEmLj1EEEvT0_T1_SJ_
; %bb.0:
	s_load_dwordx4 s[8:11], s[4:5], 0x10
	s_load_dwordx2 s[0:1], s[4:5], 0x0
	s_lshl_b32 s2, s6, 8
	v_mov_b32_e32 v2, 0x100
	v_mov_b32_e32 v3, 0
	s_waitcnt lgkmcnt(0)
	s_add_u32 s4, s2, s10
	s_addc_u32 s5, 0, s11
	s_sub_u32 s2, s8, s4
	s_subb_u32 s3, s9, s5
	v_cmp_lt_u64_e32 vcc, s[2:3], v[2:3]
	s_cbranch_vccz .LBB1948_4
; %bb.1:
	v_cmp_gt_u32_e32 vcc, s2, v0
	s_mov_b64 s[6:7], 0
	s_mov_b64 s[2:3], 0
                                        ; implicit-def: $vgpr2_vgpr3
	s_and_saveexec_b64 s[8:9], vcc
	s_xor_b64 s[8:9], exec, s[8:9]
; %bb.2:
	s_lshl_b64 s[10:11], s[4:5], 3
	s_add_u32 s10, s0, s10
	s_addc_u32 s11, s1, s11
	v_lshlrev_b32_e32 v1, 3, v0
	v_mov_b32_e32 v3, s11
	v_add_co_u32_e32 v2, vcc, s10, v1
	s_mov_b64 s[2:3], exec
	v_addc_co_u32_e32 v3, vcc, 0, v3, vcc
; %bb.3:
	s_or_b64 exec, exec, s[8:9]
	s_and_b64 vcc, exec, s[6:7]
	s_cbranch_vccnz .LBB1948_5
	s_branch .LBB1948_6
.LBB1948_4:
	s_mov_b64 s[2:3], 0
                                        ; implicit-def: $vgpr2_vgpr3
	s_cbranch_execz .LBB1948_6
.LBB1948_5:
	s_lshl_b64 s[4:5], s[4:5], 3
	s_add_u32 s0, s0, s4
	s_addc_u32 s1, s1, s5
	v_lshlrev_b32_e32 v0, 3, v0
	v_mov_b32_e32 v1, s1
	v_add_co_u32_e32 v2, vcc, s0, v0
	v_addc_co_u32_e32 v3, vcc, 0, v1, vcc
	s_or_b64 s[2:3], s[2:3], exec
.LBB1948_6:
	s_and_saveexec_b64 s[0:1], s[2:3]
	s_cbranch_execnz .LBB1948_8
; %bb.7:
	s_endpgm
.LBB1948_8:
	v_mov_b32_e32 v0, 0
	v_mov_b32_e32 v1, v0
	flat_store_dwordx2 v[2:3], v[0:1]
	s_endpgm
	.section	.rodata,"a",@progbits
	.p2align	6, 0x0
	.amdhsa_kernel _ZN6thrust23THRUST_200600_302600_NS11hip_rocprim14__parallel_for6kernelILj256ENS1_10for_each_fINS0_10device_ptrI11FixedVectorIiLj2EEEENS0_6detail16wrapped_functionINS9_23allocator_traits_detail24construct1_via_allocatorINS0_16device_allocatorIS7_EEEEvEEEEmLj1EEEvT0_T1_SJ_
		.amdhsa_group_segment_fixed_size 0
		.amdhsa_private_segment_fixed_size 0
		.amdhsa_kernarg_size 32
		.amdhsa_user_sgpr_count 6
		.amdhsa_user_sgpr_private_segment_buffer 1
		.amdhsa_user_sgpr_dispatch_ptr 0
		.amdhsa_user_sgpr_queue_ptr 0
		.amdhsa_user_sgpr_kernarg_segment_ptr 1
		.amdhsa_user_sgpr_dispatch_id 0
		.amdhsa_user_sgpr_flat_scratch_init 0
		.amdhsa_user_sgpr_kernarg_preload_length 0
		.amdhsa_user_sgpr_kernarg_preload_offset 0
		.amdhsa_user_sgpr_private_segment_size 0
		.amdhsa_uses_dynamic_stack 0
		.amdhsa_system_sgpr_private_segment_wavefront_offset 0
		.amdhsa_system_sgpr_workgroup_id_x 1
		.amdhsa_system_sgpr_workgroup_id_y 0
		.amdhsa_system_sgpr_workgroup_id_z 0
		.amdhsa_system_sgpr_workgroup_info 0
		.amdhsa_system_vgpr_workitem_id 0
		.amdhsa_next_free_vgpr 4
		.amdhsa_next_free_sgpr 12
		.amdhsa_accum_offset 4
		.amdhsa_reserve_vcc 1
		.amdhsa_reserve_flat_scratch 0
		.amdhsa_float_round_mode_32 0
		.amdhsa_float_round_mode_16_64 0
		.amdhsa_float_denorm_mode_32 3
		.amdhsa_float_denorm_mode_16_64 3
		.amdhsa_dx10_clamp 1
		.amdhsa_ieee_mode 1
		.amdhsa_fp16_overflow 0
		.amdhsa_tg_split 0
		.amdhsa_exception_fp_ieee_invalid_op 0
		.amdhsa_exception_fp_denorm_src 0
		.amdhsa_exception_fp_ieee_div_zero 0
		.amdhsa_exception_fp_ieee_overflow 0
		.amdhsa_exception_fp_ieee_underflow 0
		.amdhsa_exception_fp_ieee_inexact 0
		.amdhsa_exception_int_div_zero 0
	.end_amdhsa_kernel
	.section	.text._ZN6thrust23THRUST_200600_302600_NS11hip_rocprim14__parallel_for6kernelILj256ENS1_10for_each_fINS0_10device_ptrI11FixedVectorIiLj2EEEENS0_6detail16wrapped_functionINS9_23allocator_traits_detail24construct1_via_allocatorINS0_16device_allocatorIS7_EEEEvEEEEmLj1EEEvT0_T1_SJ_,"axG",@progbits,_ZN6thrust23THRUST_200600_302600_NS11hip_rocprim14__parallel_for6kernelILj256ENS1_10for_each_fINS0_10device_ptrI11FixedVectorIiLj2EEEENS0_6detail16wrapped_functionINS9_23allocator_traits_detail24construct1_via_allocatorINS0_16device_allocatorIS7_EEEEvEEEEmLj1EEEvT0_T1_SJ_,comdat
.Lfunc_end1948:
	.size	_ZN6thrust23THRUST_200600_302600_NS11hip_rocprim14__parallel_for6kernelILj256ENS1_10for_each_fINS0_10device_ptrI11FixedVectorIiLj2EEEENS0_6detail16wrapped_functionINS9_23allocator_traits_detail24construct1_via_allocatorINS0_16device_allocatorIS7_EEEEvEEEEmLj1EEEvT0_T1_SJ_, .Lfunc_end1948-_ZN6thrust23THRUST_200600_302600_NS11hip_rocprim14__parallel_for6kernelILj256ENS1_10for_each_fINS0_10device_ptrI11FixedVectorIiLj2EEEENS0_6detail16wrapped_functionINS9_23allocator_traits_detail24construct1_via_allocatorINS0_16device_allocatorIS7_EEEEvEEEEmLj1EEEvT0_T1_SJ_
                                        ; -- End function
	.section	.AMDGPU.csdata,"",@progbits
; Kernel info:
; codeLenInByte = 200
; NumSgprs: 16
; NumVgprs: 4
; NumAgprs: 0
; TotalNumVgprs: 4
; ScratchSize: 0
; MemoryBound: 0
; FloatMode: 240
; IeeeMode: 1
; LDSByteSize: 0 bytes/workgroup (compile time only)
; SGPRBlocks: 1
; VGPRBlocks: 0
; NumSGPRsForWavesPerEU: 16
; NumVGPRsForWavesPerEU: 4
; AccumOffset: 4
; Occupancy: 8
; WaveLimiterHint : 0
; COMPUTE_PGM_RSRC2:SCRATCH_EN: 0
; COMPUTE_PGM_RSRC2:USER_SGPR: 6
; COMPUTE_PGM_RSRC2:TRAP_HANDLER: 0
; COMPUTE_PGM_RSRC2:TGID_X_EN: 1
; COMPUTE_PGM_RSRC2:TGID_Y_EN: 0
; COMPUTE_PGM_RSRC2:TGID_Z_EN: 0
; COMPUTE_PGM_RSRC2:TIDIG_COMP_CNT: 0
; COMPUTE_PGM_RSRC3_GFX90A:ACCUM_OFFSET: 0
; COMPUTE_PGM_RSRC3_GFX90A:TG_SPLIT: 0
	.section	.text._ZN7rocprim17ROCPRIM_400000_NS6detail30init_device_scan_by_key_kernelINS1_19lookback_scan_stateINS0_5tupleIJ11FixedVectorIiLj2EEbEEELb0ELb1EEEN6thrust23THRUST_200600_302600_NS6detail15normal_iteratorINSA_10device_ptrIjEEEEjNS1_16block_id_wrapperIjLb0EEEEEvT_jjPNSI_10value_typeET0_PNSt15iterator_traitsISL_E10value_typeEmT1_T2_,"axG",@progbits,_ZN7rocprim17ROCPRIM_400000_NS6detail30init_device_scan_by_key_kernelINS1_19lookback_scan_stateINS0_5tupleIJ11FixedVectorIiLj2EEbEEELb0ELb1EEEN6thrust23THRUST_200600_302600_NS6detail15normal_iteratorINSA_10device_ptrIjEEEEjNS1_16block_id_wrapperIjLb0EEEEEvT_jjPNSI_10value_typeET0_PNSt15iterator_traitsISL_E10value_typeEmT1_T2_,comdat
	.protected	_ZN7rocprim17ROCPRIM_400000_NS6detail30init_device_scan_by_key_kernelINS1_19lookback_scan_stateINS0_5tupleIJ11FixedVectorIiLj2EEbEEELb0ELb1EEEN6thrust23THRUST_200600_302600_NS6detail15normal_iteratorINSA_10device_ptrIjEEEEjNS1_16block_id_wrapperIjLb0EEEEEvT_jjPNSI_10value_typeET0_PNSt15iterator_traitsISL_E10value_typeEmT1_T2_ ; -- Begin function _ZN7rocprim17ROCPRIM_400000_NS6detail30init_device_scan_by_key_kernelINS1_19lookback_scan_stateINS0_5tupleIJ11FixedVectorIiLj2EEbEEELb0ELb1EEEN6thrust23THRUST_200600_302600_NS6detail15normal_iteratorINSA_10device_ptrIjEEEEjNS1_16block_id_wrapperIjLb0EEEEEvT_jjPNSI_10value_typeET0_PNSt15iterator_traitsISL_E10value_typeEmT1_T2_
	.globl	_ZN7rocprim17ROCPRIM_400000_NS6detail30init_device_scan_by_key_kernelINS1_19lookback_scan_stateINS0_5tupleIJ11FixedVectorIiLj2EEbEEELb0ELb1EEEN6thrust23THRUST_200600_302600_NS6detail15normal_iteratorINSA_10device_ptrIjEEEEjNS1_16block_id_wrapperIjLb0EEEEEvT_jjPNSI_10value_typeET0_PNSt15iterator_traitsISL_E10value_typeEmT1_T2_
	.p2align	8
	.type	_ZN7rocprim17ROCPRIM_400000_NS6detail30init_device_scan_by_key_kernelINS1_19lookback_scan_stateINS0_5tupleIJ11FixedVectorIiLj2EEbEEELb0ELb1EEEN6thrust23THRUST_200600_302600_NS6detail15normal_iteratorINSA_10device_ptrIjEEEEjNS1_16block_id_wrapperIjLb0EEEEEvT_jjPNSI_10value_typeET0_PNSt15iterator_traitsISL_E10value_typeEmT1_T2_,@function
_ZN7rocprim17ROCPRIM_400000_NS6detail30init_device_scan_by_key_kernelINS1_19lookback_scan_stateINS0_5tupleIJ11FixedVectorIiLj2EEbEEELb0ELb1EEEN6thrust23THRUST_200600_302600_NS6detail15normal_iteratorINSA_10device_ptrIjEEEEjNS1_16block_id_wrapperIjLb0EEEEEvT_jjPNSI_10value_typeET0_PNSt15iterator_traitsISL_E10value_typeEmT1_T2_: ; @_ZN7rocprim17ROCPRIM_400000_NS6detail30init_device_scan_by_key_kernelINS1_19lookback_scan_stateINS0_5tupleIJ11FixedVectorIiLj2EEbEEELb0ELb1EEEN6thrust23THRUST_200600_302600_NS6detail15normal_iteratorINSA_10device_ptrIjEEEEjNS1_16block_id_wrapperIjLb0EEEEEvT_jjPNSI_10value_typeET0_PNSt15iterator_traitsISL_E10value_typeEmT1_T2_
; %bb.0:
	s_load_dword s0, s[4:5], 0x44
	s_load_dwordx8 s[8:15], s[4:5], 0x0
	s_load_dword s18, s[4:5], 0x38
	s_waitcnt lgkmcnt(0)
	s_and_b32 s19, s0, 0xffff
	s_mul_i32 s6, s6, s19
	s_cmp_eq_u64 s[12:13], 0
	v_add_u32_e32 v4, s6, v0
	s_cbranch_scc1 .LBB1949_8
; %bb.1:
	s_cmp_lt_u32 s11, s10
	s_cselect_b32 s0, s11, 0
	s_mov_b32 s3, 0
	v_cmp_eq_u32_e32 vcc, s0, v4
	s_and_saveexec_b64 s[0:1], vcc
	s_cbranch_execz .LBB1949_7
; %bb.2:
	s_add_i32 s2, s11, 64
	s_lshl_b64 s[2:3], s[2:3], 4
	s_add_u32 s6, s8, s2
	s_addc_u32 s7, s9, s3
	v_pk_mov_b32 v[0:1], s[6:7], s[6:7] op_sel:[0,1]
	v_mov_b32_e32 v16, 0
	;;#ASMSTART
	global_load_dwordx4 v[0:3], v[0:1] off glc	
s_waitcnt vmcnt(0)
	;;#ASMEND
	v_lshlrev_b64 v[14:15], 24, v[2:3]
	v_lshrrev_b32_e32 v5, 8, v1
	v_lshlrev_b64 v[18:19], 16, v[2:3]
	v_lshlrev_b64 v[20:21], 8, v[2:3]
	v_and_b32_e32 v17, 0xff, v3
	v_lshrrev_b64 v[6:7], 8, v[0:1]
	v_lshrrev_b64 v[8:9], 16, v[0:1]
	;; [unrolled: 1-line block ×3, first 2 shown]
	v_mov_b32_e32 v12, v1
	v_or_b32_e32 v14, v5, v14
	v_or_b32_sdwa v18, v1, v18 dst_sel:DWORD dst_unused:UNUSED_PAD src0_sel:WORD_1 src1_sel:DWORD
	v_or_b32_sdwa v20, v1, v20 dst_sel:DWORD dst_unused:UNUSED_PAD src0_sel:BYTE_3 src1_sel:DWORD
	s_mov_b64 s[16:17], 0
	v_cmp_eq_u64_e32 vcc, 0, v[16:17]
	s_and_saveexec_b64 s[2:3], vcc
	s_cbranch_execz .LBB1949_6
; %bb.3:
	v_pk_mov_b32 v[6:7], s[6:7], s[6:7] op_sel:[0,1]
.LBB1949_4:                             ; =>This Inner Loop Header: Depth=1
	;;#ASMSTART
	global_load_dwordx4 v[0:3], v[6:7] off glc	
s_waitcnt vmcnt(0)
	;;#ASMEND
	v_and_b32_e32 v17, 0xff, v3
	v_cmp_ne_u64_e32 vcc, 0, v[16:17]
	s_or_b64 s[16:17], vcc, s[16:17]
	s_andn2_b64 exec, exec, s[16:17]
	s_cbranch_execnz .LBB1949_4
; %bb.5:
	s_or_b64 exec, exec, s[16:17]
	v_lshlrev_b64 v[16:17], 16, v[2:3]
	v_lshlrev_b64 v[14:15], 24, v[2:3]
	v_lshrrev_b32_e32 v5, 8, v1
	v_or_b32_sdwa v18, v1, v16 dst_sel:DWORD dst_unused:UNUSED_PAD src0_sel:WORD_1 src1_sel:DWORD
	v_lshlrev_b64 v[16:17], 8, v[2:3]
	v_lshrrev_b64 v[6:7], 8, v[0:1]
	v_lshrrev_b64 v[8:9], 16, v[0:1]
	v_lshrrev_b64 v[10:11], 24, v[0:1]
	v_mov_b32_e32 v12, v1
	v_or_b32_e32 v14, v5, v14
	v_or_b32_sdwa v20, v1, v16 dst_sel:DWORD dst_unused:UNUSED_PAD src0_sel:BYTE_3 src1_sel:DWORD
.LBB1949_6:
	s_or_b64 exec, exec, s[2:3]
	v_lshlrev_b32_e32 v3, 16, v18
	v_lshlrev_b32_e32 v1, 24, v20
	v_and_b32_e32 v3, 0xff0000, v3
	v_lshlrev_b32_e32 v8, 16, v8
	s_mov_b32 s2, 0x4020c0c
	v_lshlrev_b32_e32 v5, 8, v14
	v_lshlrev_b32_e32 v6, 8, v6
	v_or_b32_e32 v1, v3, v1
	v_perm_b32 v3, v10, v8, s2
	v_and_b32_e32 v5, 0xff00, v5
	v_and_b32_e32 v7, 0xff, v12
	;; [unrolled: 1-line block ×3, first 2 shown]
	v_or_b32_sdwa v0, v3, v0 dst_sel:DWORD dst_unused:UNUSED_PAD src0_sel:DWORD src1_sel:BYTE_0
	v_or3_b32 v1, v1, v5, v7
	v_add_co_u32_e32 v0, vcc, v0, v6
	v_mov_b32_e32 v9, 0
	v_addc_co_u32_e32 v1, vcc, 0, v1, vcc
	global_store_dwordx2 v9, v[0:1], s[12:13]
	global_store_byte v9, v2, s[12:13] offset:8
.LBB1949_7:
	s_or_b64 exec, exec, s[0:1]
.LBB1949_8:
	v_cmp_gt_u32_e32 vcc, s10, v4
	s_and_saveexec_b64 s[0:1], vcc
	s_cbranch_execz .LBB1949_10
; %bb.9:
	v_add_u32_e32 v0, 64, v4
	v_mov_b32_e32 v1, 0
	v_lshlrev_b64 v[2:3], 4, v[0:1]
	v_mov_b32_e32 v0, s9
	v_add_co_u32_e32 v6, vcc, s8, v2
	v_addc_co_u32_e32 v7, vcc, v0, v3, vcc
	v_mov_b32_e32 v0, v1
	v_mov_b32_e32 v2, v1
	;; [unrolled: 1-line block ×3, first 2 shown]
	global_store_dwordx4 v[6:7], v[0:3], off
.LBB1949_10:
	s_or_b64 exec, exec, s[0:1]
	v_cmp_gt_u32_e32 vcc, 64, v4
	v_mov_b32_e32 v5, 0
	s_and_saveexec_b64 s[0:1], vcc
	s_cbranch_execz .LBB1949_12
; %bb.11:
	v_lshlrev_b64 v[0:1], 4, v[4:5]
	v_mov_b32_e32 v2, s9
	v_add_co_u32_e32 v6, vcc, s8, v0
	v_addc_co_u32_e32 v7, vcc, v2, v1, vcc
	v_mov_b32_e32 v3, 0xff
	v_mov_b32_e32 v0, v5
	;; [unrolled: 1-line block ×4, first 2 shown]
	global_store_dwordx4 v[6:7], v[0:3], off
.LBB1949_12:
	s_or_b64 exec, exec, s[0:1]
	s_load_dwordx2 s[0:1], s[4:5], 0x28
	s_waitcnt lgkmcnt(0)
	v_cmp_gt_u64_e32 vcc, s[0:1], v[4:5]
	s_and_saveexec_b64 s[2:3], vcc
	s_cbranch_execz .LBB1949_15
; %bb.13:
	s_load_dword s10, s[4:5], 0x30
	s_load_dwordx2 s[6:7], s[4:5], 0x20
	s_mov_b32 s5, 0
	s_mov_b32 s3, s5
	s_mul_i32 s2, s18, s19
	s_waitcnt lgkmcnt(0)
	s_add_i32 s4, s10, -1
	s_lshl_b64 s[4:5], s[4:5], 2
	v_mad_u64_u32 v[0:1], s[8:9], s10, v4, 0
	s_add_u32 s4, s14, s4
	v_lshlrev_b64 v[0:1], 2, v[0:1]
	s_addc_u32 s5, s15, s5
	v_mov_b32_e32 v2, s5
	v_add_co_u32_e32 v0, vcc, s4, v0
	v_addc_co_u32_e32 v1, vcc, v2, v1, vcc
	s_mul_hi_u32 s5, s10, s2
	s_mul_i32 s4, s10, s2
	v_lshlrev_b64 v[2:3], 2, v[4:5]
	s_lshl_b64 s[4:5], s[4:5], 2
	v_mov_b32_e32 v6, s7
	v_add_co_u32_e32 v2, vcc, s6, v2
	s_lshl_b64 s[6:7], s[2:3], 2
	v_addc_co_u32_e32 v3, vcc, v6, v3, vcc
	s_mov_b64 s[8:9], 0
	v_mov_b32_e32 v6, s3
	v_mov_b32_e32 v7, s5
	;; [unrolled: 1-line block ×3, first 2 shown]
.LBB1949_14:                            ; =>This Inner Loop Header: Depth=1
	global_load_dword v9, v[0:1], off
	v_add_co_u32_e32 v4, vcc, s2, v4
	v_addc_co_u32_e32 v5, vcc, v5, v6, vcc
	v_add_co_u32_e32 v0, vcc, s4, v0
	v_addc_co_u32_e32 v1, vcc, v1, v7, vcc
	v_cmp_le_u64_e32 vcc, s[0:1], v[4:5]
	s_or_b64 s[8:9], vcc, s[8:9]
	s_waitcnt vmcnt(0)
	global_store_dword v[2:3], v9, off
	v_add_co_u32_e32 v2, vcc, s6, v2
	v_addc_co_u32_e32 v3, vcc, v3, v8, vcc
	s_andn2_b64 exec, exec, s[8:9]
	s_cbranch_execnz .LBB1949_14
.LBB1949_15:
	s_endpgm
	.section	.rodata,"a",@progbits
	.p2align	6, 0x0
	.amdhsa_kernel _ZN7rocprim17ROCPRIM_400000_NS6detail30init_device_scan_by_key_kernelINS1_19lookback_scan_stateINS0_5tupleIJ11FixedVectorIiLj2EEbEEELb0ELb1EEEN6thrust23THRUST_200600_302600_NS6detail15normal_iteratorINSA_10device_ptrIjEEEEjNS1_16block_id_wrapperIjLb0EEEEEvT_jjPNSI_10value_typeET0_PNSt15iterator_traitsISL_E10value_typeEmT1_T2_
		.amdhsa_group_segment_fixed_size 0
		.amdhsa_private_segment_fixed_size 0
		.amdhsa_kernarg_size 312
		.amdhsa_user_sgpr_count 6
		.amdhsa_user_sgpr_private_segment_buffer 1
		.amdhsa_user_sgpr_dispatch_ptr 0
		.amdhsa_user_sgpr_queue_ptr 0
		.amdhsa_user_sgpr_kernarg_segment_ptr 1
		.amdhsa_user_sgpr_dispatch_id 0
		.amdhsa_user_sgpr_flat_scratch_init 0
		.amdhsa_user_sgpr_kernarg_preload_length 0
		.amdhsa_user_sgpr_kernarg_preload_offset 0
		.amdhsa_user_sgpr_private_segment_size 0
		.amdhsa_uses_dynamic_stack 0
		.amdhsa_system_sgpr_private_segment_wavefront_offset 0
		.amdhsa_system_sgpr_workgroup_id_x 1
		.amdhsa_system_sgpr_workgroup_id_y 0
		.amdhsa_system_sgpr_workgroup_id_z 0
		.amdhsa_system_sgpr_workgroup_info 0
		.amdhsa_system_vgpr_workitem_id 0
		.amdhsa_next_free_vgpr 22
		.amdhsa_next_free_sgpr 20
		.amdhsa_accum_offset 24
		.amdhsa_reserve_vcc 1
		.amdhsa_reserve_flat_scratch 0
		.amdhsa_float_round_mode_32 0
		.amdhsa_float_round_mode_16_64 0
		.amdhsa_float_denorm_mode_32 3
		.amdhsa_float_denorm_mode_16_64 3
		.amdhsa_dx10_clamp 1
		.amdhsa_ieee_mode 1
		.amdhsa_fp16_overflow 0
		.amdhsa_tg_split 0
		.amdhsa_exception_fp_ieee_invalid_op 0
		.amdhsa_exception_fp_denorm_src 0
		.amdhsa_exception_fp_ieee_div_zero 0
		.amdhsa_exception_fp_ieee_overflow 0
		.amdhsa_exception_fp_ieee_underflow 0
		.amdhsa_exception_fp_ieee_inexact 0
		.amdhsa_exception_int_div_zero 0
	.end_amdhsa_kernel
	.section	.text._ZN7rocprim17ROCPRIM_400000_NS6detail30init_device_scan_by_key_kernelINS1_19lookback_scan_stateINS0_5tupleIJ11FixedVectorIiLj2EEbEEELb0ELb1EEEN6thrust23THRUST_200600_302600_NS6detail15normal_iteratorINSA_10device_ptrIjEEEEjNS1_16block_id_wrapperIjLb0EEEEEvT_jjPNSI_10value_typeET0_PNSt15iterator_traitsISL_E10value_typeEmT1_T2_,"axG",@progbits,_ZN7rocprim17ROCPRIM_400000_NS6detail30init_device_scan_by_key_kernelINS1_19lookback_scan_stateINS0_5tupleIJ11FixedVectorIiLj2EEbEEELb0ELb1EEEN6thrust23THRUST_200600_302600_NS6detail15normal_iteratorINSA_10device_ptrIjEEEEjNS1_16block_id_wrapperIjLb0EEEEEvT_jjPNSI_10value_typeET0_PNSt15iterator_traitsISL_E10value_typeEmT1_T2_,comdat
.Lfunc_end1949:
	.size	_ZN7rocprim17ROCPRIM_400000_NS6detail30init_device_scan_by_key_kernelINS1_19lookback_scan_stateINS0_5tupleIJ11FixedVectorIiLj2EEbEEELb0ELb1EEEN6thrust23THRUST_200600_302600_NS6detail15normal_iteratorINSA_10device_ptrIjEEEEjNS1_16block_id_wrapperIjLb0EEEEEvT_jjPNSI_10value_typeET0_PNSt15iterator_traitsISL_E10value_typeEmT1_T2_, .Lfunc_end1949-_ZN7rocprim17ROCPRIM_400000_NS6detail30init_device_scan_by_key_kernelINS1_19lookback_scan_stateINS0_5tupleIJ11FixedVectorIiLj2EEbEEELb0ELb1EEEN6thrust23THRUST_200600_302600_NS6detail15normal_iteratorINSA_10device_ptrIjEEEEjNS1_16block_id_wrapperIjLb0EEEEEvT_jjPNSI_10value_typeET0_PNSt15iterator_traitsISL_E10value_typeEmT1_T2_
                                        ; -- End function
	.section	.AMDGPU.csdata,"",@progbits
; Kernel info:
; codeLenInByte = 820
; NumSgprs: 24
; NumVgprs: 22
; NumAgprs: 0
; TotalNumVgprs: 22
; ScratchSize: 0
; MemoryBound: 0
; FloatMode: 240
; IeeeMode: 1
; LDSByteSize: 0 bytes/workgroup (compile time only)
; SGPRBlocks: 2
; VGPRBlocks: 2
; NumSGPRsForWavesPerEU: 24
; NumVGPRsForWavesPerEU: 22
; AccumOffset: 24
; Occupancy: 8
; WaveLimiterHint : 0
; COMPUTE_PGM_RSRC2:SCRATCH_EN: 0
; COMPUTE_PGM_RSRC2:USER_SGPR: 6
; COMPUTE_PGM_RSRC2:TRAP_HANDLER: 0
; COMPUTE_PGM_RSRC2:TGID_X_EN: 1
; COMPUTE_PGM_RSRC2:TGID_Y_EN: 0
; COMPUTE_PGM_RSRC2:TGID_Z_EN: 0
; COMPUTE_PGM_RSRC2:TIDIG_COMP_CNT: 0
; COMPUTE_PGM_RSRC3_GFX90A:ACCUM_OFFSET: 5
; COMPUTE_PGM_RSRC3_GFX90A:TG_SPLIT: 0
	.section	.text._ZN7rocprim17ROCPRIM_400000_NS6detail30init_device_scan_by_key_kernelINS1_19lookback_scan_stateINS0_5tupleIJ11FixedVectorIiLj2EEbEEELb0ELb1EEENS1_16block_id_wrapperIjLb0EEEEEvT_jjPNSB_10value_typeET0_,"axG",@progbits,_ZN7rocprim17ROCPRIM_400000_NS6detail30init_device_scan_by_key_kernelINS1_19lookback_scan_stateINS0_5tupleIJ11FixedVectorIiLj2EEbEEELb0ELb1EEENS1_16block_id_wrapperIjLb0EEEEEvT_jjPNSB_10value_typeET0_,comdat
	.protected	_ZN7rocprim17ROCPRIM_400000_NS6detail30init_device_scan_by_key_kernelINS1_19lookback_scan_stateINS0_5tupleIJ11FixedVectorIiLj2EEbEEELb0ELb1EEENS1_16block_id_wrapperIjLb0EEEEEvT_jjPNSB_10value_typeET0_ ; -- Begin function _ZN7rocprim17ROCPRIM_400000_NS6detail30init_device_scan_by_key_kernelINS1_19lookback_scan_stateINS0_5tupleIJ11FixedVectorIiLj2EEbEEELb0ELb1EEENS1_16block_id_wrapperIjLb0EEEEEvT_jjPNSB_10value_typeET0_
	.globl	_ZN7rocprim17ROCPRIM_400000_NS6detail30init_device_scan_by_key_kernelINS1_19lookback_scan_stateINS0_5tupleIJ11FixedVectorIiLj2EEbEEELb0ELb1EEENS1_16block_id_wrapperIjLb0EEEEEvT_jjPNSB_10value_typeET0_
	.p2align	8
	.type	_ZN7rocprim17ROCPRIM_400000_NS6detail30init_device_scan_by_key_kernelINS1_19lookback_scan_stateINS0_5tupleIJ11FixedVectorIiLj2EEbEEELb0ELb1EEENS1_16block_id_wrapperIjLb0EEEEEvT_jjPNSB_10value_typeET0_,@function
_ZN7rocprim17ROCPRIM_400000_NS6detail30init_device_scan_by_key_kernelINS1_19lookback_scan_stateINS0_5tupleIJ11FixedVectorIiLj2EEbEEELb0ELb1EEENS1_16block_id_wrapperIjLb0EEEEEvT_jjPNSB_10value_typeET0_: ; @_ZN7rocprim17ROCPRIM_400000_NS6detail30init_device_scan_by_key_kernelINS1_19lookback_scan_stateINS0_5tupleIJ11FixedVectorIiLj2EEbEEELb0ELb1EEENS1_16block_id_wrapperIjLb0EEEEEvT_jjPNSB_10value_typeET0_
; %bb.0:
	s_load_dword s7, s[4:5], 0x2c
	s_load_dwordx2 s[8:9], s[4:5], 0x10
	s_load_dwordx4 s[0:3], s[4:5], 0x0
	s_waitcnt lgkmcnt(0)
	s_and_b32 s4, s7, 0xffff
	s_mul_i32 s6, s6, s4
	s_cmp_eq_u64 s[8:9], 0
	v_add_u32_e32 v0, s6, v0
	s_cbranch_scc1 .LBB1950_8
; %bb.1:
	s_cmp_lt_u32 s3, s2
	s_cselect_b32 s4, s3, 0
	s_mov_b32 s7, 0
	v_cmp_eq_u32_e32 vcc, s4, v0
	s_and_saveexec_b64 s[4:5], vcc
	s_cbranch_execz .LBB1950_7
; %bb.2:
	s_add_i32 s6, s3, 64
	s_lshl_b64 s[6:7], s[6:7], 4
	s_add_u32 s10, s0, s6
	s_addc_u32 s11, s1, s7
	v_pk_mov_b32 v[2:3], s[10:11], s[10:11] op_sel:[0,1]
	v_mov_b32_e32 v16, 0
	;;#ASMSTART
	global_load_dwordx4 v[2:5], v[2:3] off glc	
s_waitcnt vmcnt(0)
	;;#ASMEND
	v_lshlrev_b64 v[14:15], 24, v[4:5]
	v_lshrrev_b32_e32 v1, 8, v3
	v_lshlrev_b64 v[18:19], 16, v[4:5]
	v_lshlrev_b64 v[20:21], 8, v[4:5]
	v_and_b32_e32 v17, 0xff, v5
	v_lshrrev_b64 v[6:7], 8, v[2:3]
	v_lshrrev_b64 v[8:9], 16, v[2:3]
	;; [unrolled: 1-line block ×3, first 2 shown]
	v_mov_b32_e32 v12, v3
	v_or_b32_e32 v14, v1, v14
	v_or_b32_sdwa v18, v3, v18 dst_sel:DWORD dst_unused:UNUSED_PAD src0_sel:WORD_1 src1_sel:DWORD
	v_or_b32_sdwa v20, v3, v20 dst_sel:DWORD dst_unused:UNUSED_PAD src0_sel:BYTE_3 src1_sel:DWORD
	s_mov_b64 s[12:13], 0
	v_cmp_eq_u64_e32 vcc, 0, v[16:17]
	s_and_saveexec_b64 s[6:7], vcc
	s_cbranch_execz .LBB1950_6
; %bb.3:
	v_pk_mov_b32 v[6:7], s[10:11], s[10:11] op_sel:[0,1]
.LBB1950_4:                             ; =>This Inner Loop Header: Depth=1
	;;#ASMSTART
	global_load_dwordx4 v[2:5], v[6:7] off glc	
s_waitcnt vmcnt(0)
	;;#ASMEND
	v_and_b32_e32 v17, 0xff, v5
	v_cmp_ne_u64_e32 vcc, 0, v[16:17]
	s_or_b64 s[12:13], vcc, s[12:13]
	s_andn2_b64 exec, exec, s[12:13]
	s_cbranch_execnz .LBB1950_4
; %bb.5:
	s_or_b64 exec, exec, s[12:13]
	v_lshlrev_b64 v[16:17], 16, v[4:5]
	v_lshlrev_b64 v[14:15], 24, v[4:5]
	v_lshrrev_b32_e32 v1, 8, v3
	v_or_b32_sdwa v18, v3, v16 dst_sel:DWORD dst_unused:UNUSED_PAD src0_sel:WORD_1 src1_sel:DWORD
	v_lshlrev_b64 v[16:17], 8, v[4:5]
	v_lshrrev_b64 v[6:7], 8, v[2:3]
	v_lshrrev_b64 v[8:9], 16, v[2:3]
	;; [unrolled: 1-line block ×3, first 2 shown]
	v_mov_b32_e32 v12, v3
	v_or_b32_e32 v14, v1, v14
	v_or_b32_sdwa v20, v3, v16 dst_sel:DWORD dst_unused:UNUSED_PAD src0_sel:BYTE_3 src1_sel:DWORD
.LBB1950_6:
	s_or_b64 exec, exec, s[6:7]
	v_lshlrev_b32_e32 v3, 16, v18
	v_lshlrev_b32_e32 v1, 24, v20
	v_and_b32_e32 v3, 0xff0000, v3
	v_lshlrev_b32_e32 v8, 16, v8
	s_mov_b32 s3, 0x4020c0c
	v_lshlrev_b32_e32 v5, 8, v14
	v_lshlrev_b32_e32 v6, 8, v6
	v_or_b32_e32 v1, v3, v1
	v_perm_b32 v3, v10, v8, s3
	v_and_b32_e32 v5, 0xff00, v5
	v_and_b32_e32 v7, 0xff, v12
	;; [unrolled: 1-line block ×3, first 2 shown]
	v_or_b32_sdwa v2, v3, v2 dst_sel:DWORD dst_unused:UNUSED_PAD src0_sel:DWORD src1_sel:BYTE_0
	v_or3_b32 v1, v1, v5, v7
	v_add_co_u32_e32 v2, vcc, v2, v6
	v_mov_b32_e32 v9, 0
	v_addc_co_u32_e32 v3, vcc, 0, v1, vcc
	global_store_dwordx2 v9, v[2:3], s[8:9]
	global_store_byte v9, v4, s[8:9] offset:8
.LBB1950_7:
	s_or_b64 exec, exec, s[4:5]
.LBB1950_8:
	v_cmp_gt_u32_e32 vcc, s2, v0
	s_and_saveexec_b64 s[2:3], vcc
	s_cbranch_execnz .LBB1950_11
; %bb.9:
	s_or_b64 exec, exec, s[2:3]
	v_cmp_gt_u32_e32 vcc, 64, v0
	s_and_saveexec_b64 s[2:3], vcc
	s_cbranch_execnz .LBB1950_12
.LBB1950_10:
	s_endpgm
.LBB1950_11:
	v_add_u32_e32 v2, 64, v0
	v_mov_b32_e32 v3, 0
	v_lshlrev_b64 v[4:5], 4, v[2:3]
	v_mov_b32_e32 v1, s1
	v_add_co_u32_e32 v6, vcc, s0, v4
	v_addc_co_u32_e32 v7, vcc, v1, v5, vcc
	v_mov_b32_e32 v2, v3
	v_mov_b32_e32 v4, v3
	;; [unrolled: 1-line block ×3, first 2 shown]
	global_store_dwordx4 v[6:7], v[2:5], off
	s_or_b64 exec, exec, s[2:3]
	v_cmp_gt_u32_e32 vcc, 64, v0
	s_and_saveexec_b64 s[2:3], vcc
	s_cbranch_execz .LBB1950_10
.LBB1950_12:
	v_mov_b32_e32 v1, 0
	v_lshlrev_b64 v[2:3], 4, v[0:1]
	v_mov_b32_e32 v0, s1
	v_add_co_u32_e32 v4, vcc, s0, v2
	v_addc_co_u32_e32 v5, vcc, v0, v3, vcc
	v_mov_b32_e32 v3, 0xff
	v_mov_b32_e32 v0, v1
	;; [unrolled: 1-line block ×3, first 2 shown]
	global_store_dwordx4 v[4:5], v[0:3], off
	s_endpgm
	.section	.rodata,"a",@progbits
	.p2align	6, 0x0
	.amdhsa_kernel _ZN7rocprim17ROCPRIM_400000_NS6detail30init_device_scan_by_key_kernelINS1_19lookback_scan_stateINS0_5tupleIJ11FixedVectorIiLj2EEbEEELb0ELb1EEENS1_16block_id_wrapperIjLb0EEEEEvT_jjPNSB_10value_typeET0_
		.amdhsa_group_segment_fixed_size 0
		.amdhsa_private_segment_fixed_size 0
		.amdhsa_kernarg_size 288
		.amdhsa_user_sgpr_count 6
		.amdhsa_user_sgpr_private_segment_buffer 1
		.amdhsa_user_sgpr_dispatch_ptr 0
		.amdhsa_user_sgpr_queue_ptr 0
		.amdhsa_user_sgpr_kernarg_segment_ptr 1
		.amdhsa_user_sgpr_dispatch_id 0
		.amdhsa_user_sgpr_flat_scratch_init 0
		.amdhsa_user_sgpr_kernarg_preload_length 0
		.amdhsa_user_sgpr_kernarg_preload_offset 0
		.amdhsa_user_sgpr_private_segment_size 0
		.amdhsa_uses_dynamic_stack 0
		.amdhsa_system_sgpr_private_segment_wavefront_offset 0
		.amdhsa_system_sgpr_workgroup_id_x 1
		.amdhsa_system_sgpr_workgroup_id_y 0
		.amdhsa_system_sgpr_workgroup_id_z 0
		.amdhsa_system_sgpr_workgroup_info 0
		.amdhsa_system_vgpr_workitem_id 0
		.amdhsa_next_free_vgpr 22
		.amdhsa_next_free_sgpr 14
		.amdhsa_accum_offset 24
		.amdhsa_reserve_vcc 1
		.amdhsa_reserve_flat_scratch 0
		.amdhsa_float_round_mode_32 0
		.amdhsa_float_round_mode_16_64 0
		.amdhsa_float_denorm_mode_32 3
		.amdhsa_float_denorm_mode_16_64 3
		.amdhsa_dx10_clamp 1
		.amdhsa_ieee_mode 1
		.amdhsa_fp16_overflow 0
		.amdhsa_tg_split 0
		.amdhsa_exception_fp_ieee_invalid_op 0
		.amdhsa_exception_fp_denorm_src 0
		.amdhsa_exception_fp_ieee_div_zero 0
		.amdhsa_exception_fp_ieee_overflow 0
		.amdhsa_exception_fp_ieee_underflow 0
		.amdhsa_exception_fp_ieee_inexact 0
		.amdhsa_exception_int_div_zero 0
	.end_amdhsa_kernel
	.section	.text._ZN7rocprim17ROCPRIM_400000_NS6detail30init_device_scan_by_key_kernelINS1_19lookback_scan_stateINS0_5tupleIJ11FixedVectorIiLj2EEbEEELb0ELb1EEENS1_16block_id_wrapperIjLb0EEEEEvT_jjPNSB_10value_typeET0_,"axG",@progbits,_ZN7rocprim17ROCPRIM_400000_NS6detail30init_device_scan_by_key_kernelINS1_19lookback_scan_stateINS0_5tupleIJ11FixedVectorIiLj2EEbEEELb0ELb1EEENS1_16block_id_wrapperIjLb0EEEEEvT_jjPNSB_10value_typeET0_,comdat
.Lfunc_end1950:
	.size	_ZN7rocprim17ROCPRIM_400000_NS6detail30init_device_scan_by_key_kernelINS1_19lookback_scan_stateINS0_5tupleIJ11FixedVectorIiLj2EEbEEELb0ELb1EEENS1_16block_id_wrapperIjLb0EEEEEvT_jjPNSB_10value_typeET0_, .Lfunc_end1950-_ZN7rocprim17ROCPRIM_400000_NS6detail30init_device_scan_by_key_kernelINS1_19lookback_scan_stateINS0_5tupleIJ11FixedVectorIiLj2EEbEEELb0ELb1EEENS1_16block_id_wrapperIjLb0EEEEEvT_jjPNSB_10value_typeET0_
                                        ; -- End function
	.section	.AMDGPU.csdata,"",@progbits
; Kernel info:
; codeLenInByte = 620
; NumSgprs: 18
; NumVgprs: 22
; NumAgprs: 0
; TotalNumVgprs: 22
; ScratchSize: 0
; MemoryBound: 0
; FloatMode: 240
; IeeeMode: 1
; LDSByteSize: 0 bytes/workgroup (compile time only)
; SGPRBlocks: 2
; VGPRBlocks: 2
; NumSGPRsForWavesPerEU: 18
; NumVGPRsForWavesPerEU: 22
; AccumOffset: 24
; Occupancy: 8
; WaveLimiterHint : 0
; COMPUTE_PGM_RSRC2:SCRATCH_EN: 0
; COMPUTE_PGM_RSRC2:USER_SGPR: 6
; COMPUTE_PGM_RSRC2:TRAP_HANDLER: 0
; COMPUTE_PGM_RSRC2:TGID_X_EN: 1
; COMPUTE_PGM_RSRC2:TGID_Y_EN: 0
; COMPUTE_PGM_RSRC2:TGID_Z_EN: 0
; COMPUTE_PGM_RSRC2:TIDIG_COMP_CNT: 0
; COMPUTE_PGM_RSRC3_GFX90A:ACCUM_OFFSET: 5
; COMPUTE_PGM_RSRC3_GFX90A:TG_SPLIT: 0
	.section	.text._ZN7rocprim17ROCPRIM_400000_NS6detail17trampoline_kernelINS0_14default_configENS1_27scan_by_key_config_selectorIj11FixedVectorIiLj2EEEEZZNS1_16scan_by_key_implILNS1_25lookback_scan_determinismE0ELb0ES3_N6thrust23THRUST_200600_302600_NS6detail15normal_iteratorINSB_10device_ptrIjEEEENSD_INSE_IS6_EEEESI_S6_NSB_4plusIvEENSB_8equal_toIvEES6_EE10hipError_tPvRmT2_T3_T4_T5_mT6_T7_P12ihipStream_tbENKUlT_T0_E_clISt17integral_constantIbLb0EES13_EEDaSY_SZ_EUlSY_E_NS1_11comp_targetILNS1_3genE0ELNS1_11target_archE4294967295ELNS1_3gpuE0ELNS1_3repE0EEENS1_30default_config_static_selectorELNS0_4arch9wavefront6targetE1EEEvT1_,"axG",@progbits,_ZN7rocprim17ROCPRIM_400000_NS6detail17trampoline_kernelINS0_14default_configENS1_27scan_by_key_config_selectorIj11FixedVectorIiLj2EEEEZZNS1_16scan_by_key_implILNS1_25lookback_scan_determinismE0ELb0ES3_N6thrust23THRUST_200600_302600_NS6detail15normal_iteratorINSB_10device_ptrIjEEEENSD_INSE_IS6_EEEESI_S6_NSB_4plusIvEENSB_8equal_toIvEES6_EE10hipError_tPvRmT2_T3_T4_T5_mT6_T7_P12ihipStream_tbENKUlT_T0_E_clISt17integral_constantIbLb0EES13_EEDaSY_SZ_EUlSY_E_NS1_11comp_targetILNS1_3genE0ELNS1_11target_archE4294967295ELNS1_3gpuE0ELNS1_3repE0EEENS1_30default_config_static_selectorELNS0_4arch9wavefront6targetE1EEEvT1_,comdat
	.protected	_ZN7rocprim17ROCPRIM_400000_NS6detail17trampoline_kernelINS0_14default_configENS1_27scan_by_key_config_selectorIj11FixedVectorIiLj2EEEEZZNS1_16scan_by_key_implILNS1_25lookback_scan_determinismE0ELb0ES3_N6thrust23THRUST_200600_302600_NS6detail15normal_iteratorINSB_10device_ptrIjEEEENSD_INSE_IS6_EEEESI_S6_NSB_4plusIvEENSB_8equal_toIvEES6_EE10hipError_tPvRmT2_T3_T4_T5_mT6_T7_P12ihipStream_tbENKUlT_T0_E_clISt17integral_constantIbLb0EES13_EEDaSY_SZ_EUlSY_E_NS1_11comp_targetILNS1_3genE0ELNS1_11target_archE4294967295ELNS1_3gpuE0ELNS1_3repE0EEENS1_30default_config_static_selectorELNS0_4arch9wavefront6targetE1EEEvT1_ ; -- Begin function _ZN7rocprim17ROCPRIM_400000_NS6detail17trampoline_kernelINS0_14default_configENS1_27scan_by_key_config_selectorIj11FixedVectorIiLj2EEEEZZNS1_16scan_by_key_implILNS1_25lookback_scan_determinismE0ELb0ES3_N6thrust23THRUST_200600_302600_NS6detail15normal_iteratorINSB_10device_ptrIjEEEENSD_INSE_IS6_EEEESI_S6_NSB_4plusIvEENSB_8equal_toIvEES6_EE10hipError_tPvRmT2_T3_T4_T5_mT6_T7_P12ihipStream_tbENKUlT_T0_E_clISt17integral_constantIbLb0EES13_EEDaSY_SZ_EUlSY_E_NS1_11comp_targetILNS1_3genE0ELNS1_11target_archE4294967295ELNS1_3gpuE0ELNS1_3repE0EEENS1_30default_config_static_selectorELNS0_4arch9wavefront6targetE1EEEvT1_
	.globl	_ZN7rocprim17ROCPRIM_400000_NS6detail17trampoline_kernelINS0_14default_configENS1_27scan_by_key_config_selectorIj11FixedVectorIiLj2EEEEZZNS1_16scan_by_key_implILNS1_25lookback_scan_determinismE0ELb0ES3_N6thrust23THRUST_200600_302600_NS6detail15normal_iteratorINSB_10device_ptrIjEEEENSD_INSE_IS6_EEEESI_S6_NSB_4plusIvEENSB_8equal_toIvEES6_EE10hipError_tPvRmT2_T3_T4_T5_mT6_T7_P12ihipStream_tbENKUlT_T0_E_clISt17integral_constantIbLb0EES13_EEDaSY_SZ_EUlSY_E_NS1_11comp_targetILNS1_3genE0ELNS1_11target_archE4294967295ELNS1_3gpuE0ELNS1_3repE0EEENS1_30default_config_static_selectorELNS0_4arch9wavefront6targetE1EEEvT1_
	.p2align	8
	.type	_ZN7rocprim17ROCPRIM_400000_NS6detail17trampoline_kernelINS0_14default_configENS1_27scan_by_key_config_selectorIj11FixedVectorIiLj2EEEEZZNS1_16scan_by_key_implILNS1_25lookback_scan_determinismE0ELb0ES3_N6thrust23THRUST_200600_302600_NS6detail15normal_iteratorINSB_10device_ptrIjEEEENSD_INSE_IS6_EEEESI_S6_NSB_4plusIvEENSB_8equal_toIvEES6_EE10hipError_tPvRmT2_T3_T4_T5_mT6_T7_P12ihipStream_tbENKUlT_T0_E_clISt17integral_constantIbLb0EES13_EEDaSY_SZ_EUlSY_E_NS1_11comp_targetILNS1_3genE0ELNS1_11target_archE4294967295ELNS1_3gpuE0ELNS1_3repE0EEENS1_30default_config_static_selectorELNS0_4arch9wavefront6targetE1EEEvT1_,@function
_ZN7rocprim17ROCPRIM_400000_NS6detail17trampoline_kernelINS0_14default_configENS1_27scan_by_key_config_selectorIj11FixedVectorIiLj2EEEEZZNS1_16scan_by_key_implILNS1_25lookback_scan_determinismE0ELb0ES3_N6thrust23THRUST_200600_302600_NS6detail15normal_iteratorINSB_10device_ptrIjEEEENSD_INSE_IS6_EEEESI_S6_NSB_4plusIvEENSB_8equal_toIvEES6_EE10hipError_tPvRmT2_T3_T4_T5_mT6_T7_P12ihipStream_tbENKUlT_T0_E_clISt17integral_constantIbLb0EES13_EEDaSY_SZ_EUlSY_E_NS1_11comp_targetILNS1_3genE0ELNS1_11target_archE4294967295ELNS1_3gpuE0ELNS1_3repE0EEENS1_30default_config_static_selectorELNS0_4arch9wavefront6targetE1EEEvT1_: ; @_ZN7rocprim17ROCPRIM_400000_NS6detail17trampoline_kernelINS0_14default_configENS1_27scan_by_key_config_selectorIj11FixedVectorIiLj2EEEEZZNS1_16scan_by_key_implILNS1_25lookback_scan_determinismE0ELb0ES3_N6thrust23THRUST_200600_302600_NS6detail15normal_iteratorINSB_10device_ptrIjEEEENSD_INSE_IS6_EEEESI_S6_NSB_4plusIvEENSB_8equal_toIvEES6_EE10hipError_tPvRmT2_T3_T4_T5_mT6_T7_P12ihipStream_tbENKUlT_T0_E_clISt17integral_constantIbLb0EES13_EEDaSY_SZ_EUlSY_E_NS1_11comp_targetILNS1_3genE0ELNS1_11target_archE4294967295ELNS1_3gpuE0ELNS1_3repE0EEENS1_30default_config_static_selectorELNS0_4arch9wavefront6targetE1EEEvT1_
; %bb.0:
	.section	.rodata,"a",@progbits
	.p2align	6, 0x0
	.amdhsa_kernel _ZN7rocprim17ROCPRIM_400000_NS6detail17trampoline_kernelINS0_14default_configENS1_27scan_by_key_config_selectorIj11FixedVectorIiLj2EEEEZZNS1_16scan_by_key_implILNS1_25lookback_scan_determinismE0ELb0ES3_N6thrust23THRUST_200600_302600_NS6detail15normal_iteratorINSB_10device_ptrIjEEEENSD_INSE_IS6_EEEESI_S6_NSB_4plusIvEENSB_8equal_toIvEES6_EE10hipError_tPvRmT2_T3_T4_T5_mT6_T7_P12ihipStream_tbENKUlT_T0_E_clISt17integral_constantIbLb0EES13_EEDaSY_SZ_EUlSY_E_NS1_11comp_targetILNS1_3genE0ELNS1_11target_archE4294967295ELNS1_3gpuE0ELNS1_3repE0EEENS1_30default_config_static_selectorELNS0_4arch9wavefront6targetE1EEEvT1_
		.amdhsa_group_segment_fixed_size 0
		.amdhsa_private_segment_fixed_size 0
		.amdhsa_kernarg_size 120
		.amdhsa_user_sgpr_count 6
		.amdhsa_user_sgpr_private_segment_buffer 1
		.amdhsa_user_sgpr_dispatch_ptr 0
		.amdhsa_user_sgpr_queue_ptr 0
		.amdhsa_user_sgpr_kernarg_segment_ptr 1
		.amdhsa_user_sgpr_dispatch_id 0
		.amdhsa_user_sgpr_flat_scratch_init 0
		.amdhsa_user_sgpr_kernarg_preload_length 0
		.amdhsa_user_sgpr_kernarg_preload_offset 0
		.amdhsa_user_sgpr_private_segment_size 0
		.amdhsa_uses_dynamic_stack 0
		.amdhsa_system_sgpr_private_segment_wavefront_offset 0
		.amdhsa_system_sgpr_workgroup_id_x 1
		.amdhsa_system_sgpr_workgroup_id_y 0
		.amdhsa_system_sgpr_workgroup_id_z 0
		.amdhsa_system_sgpr_workgroup_info 0
		.amdhsa_system_vgpr_workitem_id 0
		.amdhsa_next_free_vgpr 1
		.amdhsa_next_free_sgpr 0
		.amdhsa_accum_offset 4
		.amdhsa_reserve_vcc 0
		.amdhsa_reserve_flat_scratch 0
		.amdhsa_float_round_mode_32 0
		.amdhsa_float_round_mode_16_64 0
		.amdhsa_float_denorm_mode_32 3
		.amdhsa_float_denorm_mode_16_64 3
		.amdhsa_dx10_clamp 1
		.amdhsa_ieee_mode 1
		.amdhsa_fp16_overflow 0
		.amdhsa_tg_split 0
		.amdhsa_exception_fp_ieee_invalid_op 0
		.amdhsa_exception_fp_denorm_src 0
		.amdhsa_exception_fp_ieee_div_zero 0
		.amdhsa_exception_fp_ieee_overflow 0
		.amdhsa_exception_fp_ieee_underflow 0
		.amdhsa_exception_fp_ieee_inexact 0
		.amdhsa_exception_int_div_zero 0
	.end_amdhsa_kernel
	.section	.text._ZN7rocprim17ROCPRIM_400000_NS6detail17trampoline_kernelINS0_14default_configENS1_27scan_by_key_config_selectorIj11FixedVectorIiLj2EEEEZZNS1_16scan_by_key_implILNS1_25lookback_scan_determinismE0ELb0ES3_N6thrust23THRUST_200600_302600_NS6detail15normal_iteratorINSB_10device_ptrIjEEEENSD_INSE_IS6_EEEESI_S6_NSB_4plusIvEENSB_8equal_toIvEES6_EE10hipError_tPvRmT2_T3_T4_T5_mT6_T7_P12ihipStream_tbENKUlT_T0_E_clISt17integral_constantIbLb0EES13_EEDaSY_SZ_EUlSY_E_NS1_11comp_targetILNS1_3genE0ELNS1_11target_archE4294967295ELNS1_3gpuE0ELNS1_3repE0EEENS1_30default_config_static_selectorELNS0_4arch9wavefront6targetE1EEEvT1_,"axG",@progbits,_ZN7rocprim17ROCPRIM_400000_NS6detail17trampoline_kernelINS0_14default_configENS1_27scan_by_key_config_selectorIj11FixedVectorIiLj2EEEEZZNS1_16scan_by_key_implILNS1_25lookback_scan_determinismE0ELb0ES3_N6thrust23THRUST_200600_302600_NS6detail15normal_iteratorINSB_10device_ptrIjEEEENSD_INSE_IS6_EEEESI_S6_NSB_4plusIvEENSB_8equal_toIvEES6_EE10hipError_tPvRmT2_T3_T4_T5_mT6_T7_P12ihipStream_tbENKUlT_T0_E_clISt17integral_constantIbLb0EES13_EEDaSY_SZ_EUlSY_E_NS1_11comp_targetILNS1_3genE0ELNS1_11target_archE4294967295ELNS1_3gpuE0ELNS1_3repE0EEENS1_30default_config_static_selectorELNS0_4arch9wavefront6targetE1EEEvT1_,comdat
.Lfunc_end1951:
	.size	_ZN7rocprim17ROCPRIM_400000_NS6detail17trampoline_kernelINS0_14default_configENS1_27scan_by_key_config_selectorIj11FixedVectorIiLj2EEEEZZNS1_16scan_by_key_implILNS1_25lookback_scan_determinismE0ELb0ES3_N6thrust23THRUST_200600_302600_NS6detail15normal_iteratorINSB_10device_ptrIjEEEENSD_INSE_IS6_EEEESI_S6_NSB_4plusIvEENSB_8equal_toIvEES6_EE10hipError_tPvRmT2_T3_T4_T5_mT6_T7_P12ihipStream_tbENKUlT_T0_E_clISt17integral_constantIbLb0EES13_EEDaSY_SZ_EUlSY_E_NS1_11comp_targetILNS1_3genE0ELNS1_11target_archE4294967295ELNS1_3gpuE0ELNS1_3repE0EEENS1_30default_config_static_selectorELNS0_4arch9wavefront6targetE1EEEvT1_, .Lfunc_end1951-_ZN7rocprim17ROCPRIM_400000_NS6detail17trampoline_kernelINS0_14default_configENS1_27scan_by_key_config_selectorIj11FixedVectorIiLj2EEEEZZNS1_16scan_by_key_implILNS1_25lookback_scan_determinismE0ELb0ES3_N6thrust23THRUST_200600_302600_NS6detail15normal_iteratorINSB_10device_ptrIjEEEENSD_INSE_IS6_EEEESI_S6_NSB_4plusIvEENSB_8equal_toIvEES6_EE10hipError_tPvRmT2_T3_T4_T5_mT6_T7_P12ihipStream_tbENKUlT_T0_E_clISt17integral_constantIbLb0EES13_EEDaSY_SZ_EUlSY_E_NS1_11comp_targetILNS1_3genE0ELNS1_11target_archE4294967295ELNS1_3gpuE0ELNS1_3repE0EEENS1_30default_config_static_selectorELNS0_4arch9wavefront6targetE1EEEvT1_
                                        ; -- End function
	.section	.AMDGPU.csdata,"",@progbits
; Kernel info:
; codeLenInByte = 0
; NumSgprs: 4
; NumVgprs: 0
; NumAgprs: 0
; TotalNumVgprs: 0
; ScratchSize: 0
; MemoryBound: 0
; FloatMode: 240
; IeeeMode: 1
; LDSByteSize: 0 bytes/workgroup (compile time only)
; SGPRBlocks: 0
; VGPRBlocks: 0
; NumSGPRsForWavesPerEU: 4
; NumVGPRsForWavesPerEU: 1
; AccumOffset: 4
; Occupancy: 8
; WaveLimiterHint : 0
; COMPUTE_PGM_RSRC2:SCRATCH_EN: 0
; COMPUTE_PGM_RSRC2:USER_SGPR: 6
; COMPUTE_PGM_RSRC2:TRAP_HANDLER: 0
; COMPUTE_PGM_RSRC2:TGID_X_EN: 1
; COMPUTE_PGM_RSRC2:TGID_Y_EN: 0
; COMPUTE_PGM_RSRC2:TGID_Z_EN: 0
; COMPUTE_PGM_RSRC2:TIDIG_COMP_CNT: 0
; COMPUTE_PGM_RSRC3_GFX90A:ACCUM_OFFSET: 0
; COMPUTE_PGM_RSRC3_GFX90A:TG_SPLIT: 0
	.section	.text._ZN7rocprim17ROCPRIM_400000_NS6detail17trampoline_kernelINS0_14default_configENS1_27scan_by_key_config_selectorIj11FixedVectorIiLj2EEEEZZNS1_16scan_by_key_implILNS1_25lookback_scan_determinismE0ELb0ES3_N6thrust23THRUST_200600_302600_NS6detail15normal_iteratorINSB_10device_ptrIjEEEENSD_INSE_IS6_EEEESI_S6_NSB_4plusIvEENSB_8equal_toIvEES6_EE10hipError_tPvRmT2_T3_T4_T5_mT6_T7_P12ihipStream_tbENKUlT_T0_E_clISt17integral_constantIbLb0EES13_EEDaSY_SZ_EUlSY_E_NS1_11comp_targetILNS1_3genE10ELNS1_11target_archE1201ELNS1_3gpuE5ELNS1_3repE0EEENS1_30default_config_static_selectorELNS0_4arch9wavefront6targetE1EEEvT1_,"axG",@progbits,_ZN7rocprim17ROCPRIM_400000_NS6detail17trampoline_kernelINS0_14default_configENS1_27scan_by_key_config_selectorIj11FixedVectorIiLj2EEEEZZNS1_16scan_by_key_implILNS1_25lookback_scan_determinismE0ELb0ES3_N6thrust23THRUST_200600_302600_NS6detail15normal_iteratorINSB_10device_ptrIjEEEENSD_INSE_IS6_EEEESI_S6_NSB_4plusIvEENSB_8equal_toIvEES6_EE10hipError_tPvRmT2_T3_T4_T5_mT6_T7_P12ihipStream_tbENKUlT_T0_E_clISt17integral_constantIbLb0EES13_EEDaSY_SZ_EUlSY_E_NS1_11comp_targetILNS1_3genE10ELNS1_11target_archE1201ELNS1_3gpuE5ELNS1_3repE0EEENS1_30default_config_static_selectorELNS0_4arch9wavefront6targetE1EEEvT1_,comdat
	.protected	_ZN7rocprim17ROCPRIM_400000_NS6detail17trampoline_kernelINS0_14default_configENS1_27scan_by_key_config_selectorIj11FixedVectorIiLj2EEEEZZNS1_16scan_by_key_implILNS1_25lookback_scan_determinismE0ELb0ES3_N6thrust23THRUST_200600_302600_NS6detail15normal_iteratorINSB_10device_ptrIjEEEENSD_INSE_IS6_EEEESI_S6_NSB_4plusIvEENSB_8equal_toIvEES6_EE10hipError_tPvRmT2_T3_T4_T5_mT6_T7_P12ihipStream_tbENKUlT_T0_E_clISt17integral_constantIbLb0EES13_EEDaSY_SZ_EUlSY_E_NS1_11comp_targetILNS1_3genE10ELNS1_11target_archE1201ELNS1_3gpuE5ELNS1_3repE0EEENS1_30default_config_static_selectorELNS0_4arch9wavefront6targetE1EEEvT1_ ; -- Begin function _ZN7rocprim17ROCPRIM_400000_NS6detail17trampoline_kernelINS0_14default_configENS1_27scan_by_key_config_selectorIj11FixedVectorIiLj2EEEEZZNS1_16scan_by_key_implILNS1_25lookback_scan_determinismE0ELb0ES3_N6thrust23THRUST_200600_302600_NS6detail15normal_iteratorINSB_10device_ptrIjEEEENSD_INSE_IS6_EEEESI_S6_NSB_4plusIvEENSB_8equal_toIvEES6_EE10hipError_tPvRmT2_T3_T4_T5_mT6_T7_P12ihipStream_tbENKUlT_T0_E_clISt17integral_constantIbLb0EES13_EEDaSY_SZ_EUlSY_E_NS1_11comp_targetILNS1_3genE10ELNS1_11target_archE1201ELNS1_3gpuE5ELNS1_3repE0EEENS1_30default_config_static_selectorELNS0_4arch9wavefront6targetE1EEEvT1_
	.globl	_ZN7rocprim17ROCPRIM_400000_NS6detail17trampoline_kernelINS0_14default_configENS1_27scan_by_key_config_selectorIj11FixedVectorIiLj2EEEEZZNS1_16scan_by_key_implILNS1_25lookback_scan_determinismE0ELb0ES3_N6thrust23THRUST_200600_302600_NS6detail15normal_iteratorINSB_10device_ptrIjEEEENSD_INSE_IS6_EEEESI_S6_NSB_4plusIvEENSB_8equal_toIvEES6_EE10hipError_tPvRmT2_T3_T4_T5_mT6_T7_P12ihipStream_tbENKUlT_T0_E_clISt17integral_constantIbLb0EES13_EEDaSY_SZ_EUlSY_E_NS1_11comp_targetILNS1_3genE10ELNS1_11target_archE1201ELNS1_3gpuE5ELNS1_3repE0EEENS1_30default_config_static_selectorELNS0_4arch9wavefront6targetE1EEEvT1_
	.p2align	8
	.type	_ZN7rocprim17ROCPRIM_400000_NS6detail17trampoline_kernelINS0_14default_configENS1_27scan_by_key_config_selectorIj11FixedVectorIiLj2EEEEZZNS1_16scan_by_key_implILNS1_25lookback_scan_determinismE0ELb0ES3_N6thrust23THRUST_200600_302600_NS6detail15normal_iteratorINSB_10device_ptrIjEEEENSD_INSE_IS6_EEEESI_S6_NSB_4plusIvEENSB_8equal_toIvEES6_EE10hipError_tPvRmT2_T3_T4_T5_mT6_T7_P12ihipStream_tbENKUlT_T0_E_clISt17integral_constantIbLb0EES13_EEDaSY_SZ_EUlSY_E_NS1_11comp_targetILNS1_3genE10ELNS1_11target_archE1201ELNS1_3gpuE5ELNS1_3repE0EEENS1_30default_config_static_selectorELNS0_4arch9wavefront6targetE1EEEvT1_,@function
_ZN7rocprim17ROCPRIM_400000_NS6detail17trampoline_kernelINS0_14default_configENS1_27scan_by_key_config_selectorIj11FixedVectorIiLj2EEEEZZNS1_16scan_by_key_implILNS1_25lookback_scan_determinismE0ELb0ES3_N6thrust23THRUST_200600_302600_NS6detail15normal_iteratorINSB_10device_ptrIjEEEENSD_INSE_IS6_EEEESI_S6_NSB_4plusIvEENSB_8equal_toIvEES6_EE10hipError_tPvRmT2_T3_T4_T5_mT6_T7_P12ihipStream_tbENKUlT_T0_E_clISt17integral_constantIbLb0EES13_EEDaSY_SZ_EUlSY_E_NS1_11comp_targetILNS1_3genE10ELNS1_11target_archE1201ELNS1_3gpuE5ELNS1_3repE0EEENS1_30default_config_static_selectorELNS0_4arch9wavefront6targetE1EEEvT1_: ; @_ZN7rocprim17ROCPRIM_400000_NS6detail17trampoline_kernelINS0_14default_configENS1_27scan_by_key_config_selectorIj11FixedVectorIiLj2EEEEZZNS1_16scan_by_key_implILNS1_25lookback_scan_determinismE0ELb0ES3_N6thrust23THRUST_200600_302600_NS6detail15normal_iteratorINSB_10device_ptrIjEEEENSD_INSE_IS6_EEEESI_S6_NSB_4plusIvEENSB_8equal_toIvEES6_EE10hipError_tPvRmT2_T3_T4_T5_mT6_T7_P12ihipStream_tbENKUlT_T0_E_clISt17integral_constantIbLb0EES13_EEDaSY_SZ_EUlSY_E_NS1_11comp_targetILNS1_3genE10ELNS1_11target_archE1201ELNS1_3gpuE5ELNS1_3repE0EEENS1_30default_config_static_selectorELNS0_4arch9wavefront6targetE1EEEvT1_
; %bb.0:
	.section	.rodata,"a",@progbits
	.p2align	6, 0x0
	.amdhsa_kernel _ZN7rocprim17ROCPRIM_400000_NS6detail17trampoline_kernelINS0_14default_configENS1_27scan_by_key_config_selectorIj11FixedVectorIiLj2EEEEZZNS1_16scan_by_key_implILNS1_25lookback_scan_determinismE0ELb0ES3_N6thrust23THRUST_200600_302600_NS6detail15normal_iteratorINSB_10device_ptrIjEEEENSD_INSE_IS6_EEEESI_S6_NSB_4plusIvEENSB_8equal_toIvEES6_EE10hipError_tPvRmT2_T3_T4_T5_mT6_T7_P12ihipStream_tbENKUlT_T0_E_clISt17integral_constantIbLb0EES13_EEDaSY_SZ_EUlSY_E_NS1_11comp_targetILNS1_3genE10ELNS1_11target_archE1201ELNS1_3gpuE5ELNS1_3repE0EEENS1_30default_config_static_selectorELNS0_4arch9wavefront6targetE1EEEvT1_
		.amdhsa_group_segment_fixed_size 0
		.amdhsa_private_segment_fixed_size 0
		.amdhsa_kernarg_size 120
		.amdhsa_user_sgpr_count 6
		.amdhsa_user_sgpr_private_segment_buffer 1
		.amdhsa_user_sgpr_dispatch_ptr 0
		.amdhsa_user_sgpr_queue_ptr 0
		.amdhsa_user_sgpr_kernarg_segment_ptr 1
		.amdhsa_user_sgpr_dispatch_id 0
		.amdhsa_user_sgpr_flat_scratch_init 0
		.amdhsa_user_sgpr_kernarg_preload_length 0
		.amdhsa_user_sgpr_kernarg_preload_offset 0
		.amdhsa_user_sgpr_private_segment_size 0
		.amdhsa_uses_dynamic_stack 0
		.amdhsa_system_sgpr_private_segment_wavefront_offset 0
		.amdhsa_system_sgpr_workgroup_id_x 1
		.amdhsa_system_sgpr_workgroup_id_y 0
		.amdhsa_system_sgpr_workgroup_id_z 0
		.amdhsa_system_sgpr_workgroup_info 0
		.amdhsa_system_vgpr_workitem_id 0
		.amdhsa_next_free_vgpr 1
		.amdhsa_next_free_sgpr 0
		.amdhsa_accum_offset 4
		.amdhsa_reserve_vcc 0
		.amdhsa_reserve_flat_scratch 0
		.amdhsa_float_round_mode_32 0
		.amdhsa_float_round_mode_16_64 0
		.amdhsa_float_denorm_mode_32 3
		.amdhsa_float_denorm_mode_16_64 3
		.amdhsa_dx10_clamp 1
		.amdhsa_ieee_mode 1
		.amdhsa_fp16_overflow 0
		.amdhsa_tg_split 0
		.amdhsa_exception_fp_ieee_invalid_op 0
		.amdhsa_exception_fp_denorm_src 0
		.amdhsa_exception_fp_ieee_div_zero 0
		.amdhsa_exception_fp_ieee_overflow 0
		.amdhsa_exception_fp_ieee_underflow 0
		.amdhsa_exception_fp_ieee_inexact 0
		.amdhsa_exception_int_div_zero 0
	.end_amdhsa_kernel
	.section	.text._ZN7rocprim17ROCPRIM_400000_NS6detail17trampoline_kernelINS0_14default_configENS1_27scan_by_key_config_selectorIj11FixedVectorIiLj2EEEEZZNS1_16scan_by_key_implILNS1_25lookback_scan_determinismE0ELb0ES3_N6thrust23THRUST_200600_302600_NS6detail15normal_iteratorINSB_10device_ptrIjEEEENSD_INSE_IS6_EEEESI_S6_NSB_4plusIvEENSB_8equal_toIvEES6_EE10hipError_tPvRmT2_T3_T4_T5_mT6_T7_P12ihipStream_tbENKUlT_T0_E_clISt17integral_constantIbLb0EES13_EEDaSY_SZ_EUlSY_E_NS1_11comp_targetILNS1_3genE10ELNS1_11target_archE1201ELNS1_3gpuE5ELNS1_3repE0EEENS1_30default_config_static_selectorELNS0_4arch9wavefront6targetE1EEEvT1_,"axG",@progbits,_ZN7rocprim17ROCPRIM_400000_NS6detail17trampoline_kernelINS0_14default_configENS1_27scan_by_key_config_selectorIj11FixedVectorIiLj2EEEEZZNS1_16scan_by_key_implILNS1_25lookback_scan_determinismE0ELb0ES3_N6thrust23THRUST_200600_302600_NS6detail15normal_iteratorINSB_10device_ptrIjEEEENSD_INSE_IS6_EEEESI_S6_NSB_4plusIvEENSB_8equal_toIvEES6_EE10hipError_tPvRmT2_T3_T4_T5_mT6_T7_P12ihipStream_tbENKUlT_T0_E_clISt17integral_constantIbLb0EES13_EEDaSY_SZ_EUlSY_E_NS1_11comp_targetILNS1_3genE10ELNS1_11target_archE1201ELNS1_3gpuE5ELNS1_3repE0EEENS1_30default_config_static_selectorELNS0_4arch9wavefront6targetE1EEEvT1_,comdat
.Lfunc_end1952:
	.size	_ZN7rocprim17ROCPRIM_400000_NS6detail17trampoline_kernelINS0_14default_configENS1_27scan_by_key_config_selectorIj11FixedVectorIiLj2EEEEZZNS1_16scan_by_key_implILNS1_25lookback_scan_determinismE0ELb0ES3_N6thrust23THRUST_200600_302600_NS6detail15normal_iteratorINSB_10device_ptrIjEEEENSD_INSE_IS6_EEEESI_S6_NSB_4plusIvEENSB_8equal_toIvEES6_EE10hipError_tPvRmT2_T3_T4_T5_mT6_T7_P12ihipStream_tbENKUlT_T0_E_clISt17integral_constantIbLb0EES13_EEDaSY_SZ_EUlSY_E_NS1_11comp_targetILNS1_3genE10ELNS1_11target_archE1201ELNS1_3gpuE5ELNS1_3repE0EEENS1_30default_config_static_selectorELNS0_4arch9wavefront6targetE1EEEvT1_, .Lfunc_end1952-_ZN7rocprim17ROCPRIM_400000_NS6detail17trampoline_kernelINS0_14default_configENS1_27scan_by_key_config_selectorIj11FixedVectorIiLj2EEEEZZNS1_16scan_by_key_implILNS1_25lookback_scan_determinismE0ELb0ES3_N6thrust23THRUST_200600_302600_NS6detail15normal_iteratorINSB_10device_ptrIjEEEENSD_INSE_IS6_EEEESI_S6_NSB_4plusIvEENSB_8equal_toIvEES6_EE10hipError_tPvRmT2_T3_T4_T5_mT6_T7_P12ihipStream_tbENKUlT_T0_E_clISt17integral_constantIbLb0EES13_EEDaSY_SZ_EUlSY_E_NS1_11comp_targetILNS1_3genE10ELNS1_11target_archE1201ELNS1_3gpuE5ELNS1_3repE0EEENS1_30default_config_static_selectorELNS0_4arch9wavefront6targetE1EEEvT1_
                                        ; -- End function
	.section	.AMDGPU.csdata,"",@progbits
; Kernel info:
; codeLenInByte = 0
; NumSgprs: 4
; NumVgprs: 0
; NumAgprs: 0
; TotalNumVgprs: 0
; ScratchSize: 0
; MemoryBound: 0
; FloatMode: 240
; IeeeMode: 1
; LDSByteSize: 0 bytes/workgroup (compile time only)
; SGPRBlocks: 0
; VGPRBlocks: 0
; NumSGPRsForWavesPerEU: 4
; NumVGPRsForWavesPerEU: 1
; AccumOffset: 4
; Occupancy: 8
; WaveLimiterHint : 0
; COMPUTE_PGM_RSRC2:SCRATCH_EN: 0
; COMPUTE_PGM_RSRC2:USER_SGPR: 6
; COMPUTE_PGM_RSRC2:TRAP_HANDLER: 0
; COMPUTE_PGM_RSRC2:TGID_X_EN: 1
; COMPUTE_PGM_RSRC2:TGID_Y_EN: 0
; COMPUTE_PGM_RSRC2:TGID_Z_EN: 0
; COMPUTE_PGM_RSRC2:TIDIG_COMP_CNT: 0
; COMPUTE_PGM_RSRC3_GFX90A:ACCUM_OFFSET: 0
; COMPUTE_PGM_RSRC3_GFX90A:TG_SPLIT: 0
	.section	.text._ZN7rocprim17ROCPRIM_400000_NS6detail17trampoline_kernelINS0_14default_configENS1_27scan_by_key_config_selectorIj11FixedVectorIiLj2EEEEZZNS1_16scan_by_key_implILNS1_25lookback_scan_determinismE0ELb0ES3_N6thrust23THRUST_200600_302600_NS6detail15normal_iteratorINSB_10device_ptrIjEEEENSD_INSE_IS6_EEEESI_S6_NSB_4plusIvEENSB_8equal_toIvEES6_EE10hipError_tPvRmT2_T3_T4_T5_mT6_T7_P12ihipStream_tbENKUlT_T0_E_clISt17integral_constantIbLb0EES13_EEDaSY_SZ_EUlSY_E_NS1_11comp_targetILNS1_3genE5ELNS1_11target_archE942ELNS1_3gpuE9ELNS1_3repE0EEENS1_30default_config_static_selectorELNS0_4arch9wavefront6targetE1EEEvT1_,"axG",@progbits,_ZN7rocprim17ROCPRIM_400000_NS6detail17trampoline_kernelINS0_14default_configENS1_27scan_by_key_config_selectorIj11FixedVectorIiLj2EEEEZZNS1_16scan_by_key_implILNS1_25lookback_scan_determinismE0ELb0ES3_N6thrust23THRUST_200600_302600_NS6detail15normal_iteratorINSB_10device_ptrIjEEEENSD_INSE_IS6_EEEESI_S6_NSB_4plusIvEENSB_8equal_toIvEES6_EE10hipError_tPvRmT2_T3_T4_T5_mT6_T7_P12ihipStream_tbENKUlT_T0_E_clISt17integral_constantIbLb0EES13_EEDaSY_SZ_EUlSY_E_NS1_11comp_targetILNS1_3genE5ELNS1_11target_archE942ELNS1_3gpuE9ELNS1_3repE0EEENS1_30default_config_static_selectorELNS0_4arch9wavefront6targetE1EEEvT1_,comdat
	.protected	_ZN7rocprim17ROCPRIM_400000_NS6detail17trampoline_kernelINS0_14default_configENS1_27scan_by_key_config_selectorIj11FixedVectorIiLj2EEEEZZNS1_16scan_by_key_implILNS1_25lookback_scan_determinismE0ELb0ES3_N6thrust23THRUST_200600_302600_NS6detail15normal_iteratorINSB_10device_ptrIjEEEENSD_INSE_IS6_EEEESI_S6_NSB_4plusIvEENSB_8equal_toIvEES6_EE10hipError_tPvRmT2_T3_T4_T5_mT6_T7_P12ihipStream_tbENKUlT_T0_E_clISt17integral_constantIbLb0EES13_EEDaSY_SZ_EUlSY_E_NS1_11comp_targetILNS1_3genE5ELNS1_11target_archE942ELNS1_3gpuE9ELNS1_3repE0EEENS1_30default_config_static_selectorELNS0_4arch9wavefront6targetE1EEEvT1_ ; -- Begin function _ZN7rocprim17ROCPRIM_400000_NS6detail17trampoline_kernelINS0_14default_configENS1_27scan_by_key_config_selectorIj11FixedVectorIiLj2EEEEZZNS1_16scan_by_key_implILNS1_25lookback_scan_determinismE0ELb0ES3_N6thrust23THRUST_200600_302600_NS6detail15normal_iteratorINSB_10device_ptrIjEEEENSD_INSE_IS6_EEEESI_S6_NSB_4plusIvEENSB_8equal_toIvEES6_EE10hipError_tPvRmT2_T3_T4_T5_mT6_T7_P12ihipStream_tbENKUlT_T0_E_clISt17integral_constantIbLb0EES13_EEDaSY_SZ_EUlSY_E_NS1_11comp_targetILNS1_3genE5ELNS1_11target_archE942ELNS1_3gpuE9ELNS1_3repE0EEENS1_30default_config_static_selectorELNS0_4arch9wavefront6targetE1EEEvT1_
	.globl	_ZN7rocprim17ROCPRIM_400000_NS6detail17trampoline_kernelINS0_14default_configENS1_27scan_by_key_config_selectorIj11FixedVectorIiLj2EEEEZZNS1_16scan_by_key_implILNS1_25lookback_scan_determinismE0ELb0ES3_N6thrust23THRUST_200600_302600_NS6detail15normal_iteratorINSB_10device_ptrIjEEEENSD_INSE_IS6_EEEESI_S6_NSB_4plusIvEENSB_8equal_toIvEES6_EE10hipError_tPvRmT2_T3_T4_T5_mT6_T7_P12ihipStream_tbENKUlT_T0_E_clISt17integral_constantIbLb0EES13_EEDaSY_SZ_EUlSY_E_NS1_11comp_targetILNS1_3genE5ELNS1_11target_archE942ELNS1_3gpuE9ELNS1_3repE0EEENS1_30default_config_static_selectorELNS0_4arch9wavefront6targetE1EEEvT1_
	.p2align	8
	.type	_ZN7rocprim17ROCPRIM_400000_NS6detail17trampoline_kernelINS0_14default_configENS1_27scan_by_key_config_selectorIj11FixedVectorIiLj2EEEEZZNS1_16scan_by_key_implILNS1_25lookback_scan_determinismE0ELb0ES3_N6thrust23THRUST_200600_302600_NS6detail15normal_iteratorINSB_10device_ptrIjEEEENSD_INSE_IS6_EEEESI_S6_NSB_4plusIvEENSB_8equal_toIvEES6_EE10hipError_tPvRmT2_T3_T4_T5_mT6_T7_P12ihipStream_tbENKUlT_T0_E_clISt17integral_constantIbLb0EES13_EEDaSY_SZ_EUlSY_E_NS1_11comp_targetILNS1_3genE5ELNS1_11target_archE942ELNS1_3gpuE9ELNS1_3repE0EEENS1_30default_config_static_selectorELNS0_4arch9wavefront6targetE1EEEvT1_,@function
_ZN7rocprim17ROCPRIM_400000_NS6detail17trampoline_kernelINS0_14default_configENS1_27scan_by_key_config_selectorIj11FixedVectorIiLj2EEEEZZNS1_16scan_by_key_implILNS1_25lookback_scan_determinismE0ELb0ES3_N6thrust23THRUST_200600_302600_NS6detail15normal_iteratorINSB_10device_ptrIjEEEENSD_INSE_IS6_EEEESI_S6_NSB_4plusIvEENSB_8equal_toIvEES6_EE10hipError_tPvRmT2_T3_T4_T5_mT6_T7_P12ihipStream_tbENKUlT_T0_E_clISt17integral_constantIbLb0EES13_EEDaSY_SZ_EUlSY_E_NS1_11comp_targetILNS1_3genE5ELNS1_11target_archE942ELNS1_3gpuE9ELNS1_3repE0EEENS1_30default_config_static_selectorELNS0_4arch9wavefront6targetE1EEEvT1_: ; @_ZN7rocprim17ROCPRIM_400000_NS6detail17trampoline_kernelINS0_14default_configENS1_27scan_by_key_config_selectorIj11FixedVectorIiLj2EEEEZZNS1_16scan_by_key_implILNS1_25lookback_scan_determinismE0ELb0ES3_N6thrust23THRUST_200600_302600_NS6detail15normal_iteratorINSB_10device_ptrIjEEEENSD_INSE_IS6_EEEESI_S6_NSB_4plusIvEENSB_8equal_toIvEES6_EE10hipError_tPvRmT2_T3_T4_T5_mT6_T7_P12ihipStream_tbENKUlT_T0_E_clISt17integral_constantIbLb0EES13_EEDaSY_SZ_EUlSY_E_NS1_11comp_targetILNS1_3genE5ELNS1_11target_archE942ELNS1_3gpuE9ELNS1_3repE0EEENS1_30default_config_static_selectorELNS0_4arch9wavefront6targetE1EEEvT1_
; %bb.0:
	.section	.rodata,"a",@progbits
	.p2align	6, 0x0
	.amdhsa_kernel _ZN7rocprim17ROCPRIM_400000_NS6detail17trampoline_kernelINS0_14default_configENS1_27scan_by_key_config_selectorIj11FixedVectorIiLj2EEEEZZNS1_16scan_by_key_implILNS1_25lookback_scan_determinismE0ELb0ES3_N6thrust23THRUST_200600_302600_NS6detail15normal_iteratorINSB_10device_ptrIjEEEENSD_INSE_IS6_EEEESI_S6_NSB_4plusIvEENSB_8equal_toIvEES6_EE10hipError_tPvRmT2_T3_T4_T5_mT6_T7_P12ihipStream_tbENKUlT_T0_E_clISt17integral_constantIbLb0EES13_EEDaSY_SZ_EUlSY_E_NS1_11comp_targetILNS1_3genE5ELNS1_11target_archE942ELNS1_3gpuE9ELNS1_3repE0EEENS1_30default_config_static_selectorELNS0_4arch9wavefront6targetE1EEEvT1_
		.amdhsa_group_segment_fixed_size 0
		.amdhsa_private_segment_fixed_size 0
		.amdhsa_kernarg_size 120
		.amdhsa_user_sgpr_count 6
		.amdhsa_user_sgpr_private_segment_buffer 1
		.amdhsa_user_sgpr_dispatch_ptr 0
		.amdhsa_user_sgpr_queue_ptr 0
		.amdhsa_user_sgpr_kernarg_segment_ptr 1
		.amdhsa_user_sgpr_dispatch_id 0
		.amdhsa_user_sgpr_flat_scratch_init 0
		.amdhsa_user_sgpr_kernarg_preload_length 0
		.amdhsa_user_sgpr_kernarg_preload_offset 0
		.amdhsa_user_sgpr_private_segment_size 0
		.amdhsa_uses_dynamic_stack 0
		.amdhsa_system_sgpr_private_segment_wavefront_offset 0
		.amdhsa_system_sgpr_workgroup_id_x 1
		.amdhsa_system_sgpr_workgroup_id_y 0
		.amdhsa_system_sgpr_workgroup_id_z 0
		.amdhsa_system_sgpr_workgroup_info 0
		.amdhsa_system_vgpr_workitem_id 0
		.amdhsa_next_free_vgpr 1
		.amdhsa_next_free_sgpr 0
		.amdhsa_accum_offset 4
		.amdhsa_reserve_vcc 0
		.amdhsa_reserve_flat_scratch 0
		.amdhsa_float_round_mode_32 0
		.amdhsa_float_round_mode_16_64 0
		.amdhsa_float_denorm_mode_32 3
		.amdhsa_float_denorm_mode_16_64 3
		.amdhsa_dx10_clamp 1
		.amdhsa_ieee_mode 1
		.amdhsa_fp16_overflow 0
		.amdhsa_tg_split 0
		.amdhsa_exception_fp_ieee_invalid_op 0
		.amdhsa_exception_fp_denorm_src 0
		.amdhsa_exception_fp_ieee_div_zero 0
		.amdhsa_exception_fp_ieee_overflow 0
		.amdhsa_exception_fp_ieee_underflow 0
		.amdhsa_exception_fp_ieee_inexact 0
		.amdhsa_exception_int_div_zero 0
	.end_amdhsa_kernel
	.section	.text._ZN7rocprim17ROCPRIM_400000_NS6detail17trampoline_kernelINS0_14default_configENS1_27scan_by_key_config_selectorIj11FixedVectorIiLj2EEEEZZNS1_16scan_by_key_implILNS1_25lookback_scan_determinismE0ELb0ES3_N6thrust23THRUST_200600_302600_NS6detail15normal_iteratorINSB_10device_ptrIjEEEENSD_INSE_IS6_EEEESI_S6_NSB_4plusIvEENSB_8equal_toIvEES6_EE10hipError_tPvRmT2_T3_T4_T5_mT6_T7_P12ihipStream_tbENKUlT_T0_E_clISt17integral_constantIbLb0EES13_EEDaSY_SZ_EUlSY_E_NS1_11comp_targetILNS1_3genE5ELNS1_11target_archE942ELNS1_3gpuE9ELNS1_3repE0EEENS1_30default_config_static_selectorELNS0_4arch9wavefront6targetE1EEEvT1_,"axG",@progbits,_ZN7rocprim17ROCPRIM_400000_NS6detail17trampoline_kernelINS0_14default_configENS1_27scan_by_key_config_selectorIj11FixedVectorIiLj2EEEEZZNS1_16scan_by_key_implILNS1_25lookback_scan_determinismE0ELb0ES3_N6thrust23THRUST_200600_302600_NS6detail15normal_iteratorINSB_10device_ptrIjEEEENSD_INSE_IS6_EEEESI_S6_NSB_4plusIvEENSB_8equal_toIvEES6_EE10hipError_tPvRmT2_T3_T4_T5_mT6_T7_P12ihipStream_tbENKUlT_T0_E_clISt17integral_constantIbLb0EES13_EEDaSY_SZ_EUlSY_E_NS1_11comp_targetILNS1_3genE5ELNS1_11target_archE942ELNS1_3gpuE9ELNS1_3repE0EEENS1_30default_config_static_selectorELNS0_4arch9wavefront6targetE1EEEvT1_,comdat
.Lfunc_end1953:
	.size	_ZN7rocprim17ROCPRIM_400000_NS6detail17trampoline_kernelINS0_14default_configENS1_27scan_by_key_config_selectorIj11FixedVectorIiLj2EEEEZZNS1_16scan_by_key_implILNS1_25lookback_scan_determinismE0ELb0ES3_N6thrust23THRUST_200600_302600_NS6detail15normal_iteratorINSB_10device_ptrIjEEEENSD_INSE_IS6_EEEESI_S6_NSB_4plusIvEENSB_8equal_toIvEES6_EE10hipError_tPvRmT2_T3_T4_T5_mT6_T7_P12ihipStream_tbENKUlT_T0_E_clISt17integral_constantIbLb0EES13_EEDaSY_SZ_EUlSY_E_NS1_11comp_targetILNS1_3genE5ELNS1_11target_archE942ELNS1_3gpuE9ELNS1_3repE0EEENS1_30default_config_static_selectorELNS0_4arch9wavefront6targetE1EEEvT1_, .Lfunc_end1953-_ZN7rocprim17ROCPRIM_400000_NS6detail17trampoline_kernelINS0_14default_configENS1_27scan_by_key_config_selectorIj11FixedVectorIiLj2EEEEZZNS1_16scan_by_key_implILNS1_25lookback_scan_determinismE0ELb0ES3_N6thrust23THRUST_200600_302600_NS6detail15normal_iteratorINSB_10device_ptrIjEEEENSD_INSE_IS6_EEEESI_S6_NSB_4plusIvEENSB_8equal_toIvEES6_EE10hipError_tPvRmT2_T3_T4_T5_mT6_T7_P12ihipStream_tbENKUlT_T0_E_clISt17integral_constantIbLb0EES13_EEDaSY_SZ_EUlSY_E_NS1_11comp_targetILNS1_3genE5ELNS1_11target_archE942ELNS1_3gpuE9ELNS1_3repE0EEENS1_30default_config_static_selectorELNS0_4arch9wavefront6targetE1EEEvT1_
                                        ; -- End function
	.section	.AMDGPU.csdata,"",@progbits
; Kernel info:
; codeLenInByte = 0
; NumSgprs: 4
; NumVgprs: 0
; NumAgprs: 0
; TotalNumVgprs: 0
; ScratchSize: 0
; MemoryBound: 0
; FloatMode: 240
; IeeeMode: 1
; LDSByteSize: 0 bytes/workgroup (compile time only)
; SGPRBlocks: 0
; VGPRBlocks: 0
; NumSGPRsForWavesPerEU: 4
; NumVGPRsForWavesPerEU: 1
; AccumOffset: 4
; Occupancy: 8
; WaveLimiterHint : 0
; COMPUTE_PGM_RSRC2:SCRATCH_EN: 0
; COMPUTE_PGM_RSRC2:USER_SGPR: 6
; COMPUTE_PGM_RSRC2:TRAP_HANDLER: 0
; COMPUTE_PGM_RSRC2:TGID_X_EN: 1
; COMPUTE_PGM_RSRC2:TGID_Y_EN: 0
; COMPUTE_PGM_RSRC2:TGID_Z_EN: 0
; COMPUTE_PGM_RSRC2:TIDIG_COMP_CNT: 0
; COMPUTE_PGM_RSRC3_GFX90A:ACCUM_OFFSET: 0
; COMPUTE_PGM_RSRC3_GFX90A:TG_SPLIT: 0
	.section	.text._ZN7rocprim17ROCPRIM_400000_NS6detail17trampoline_kernelINS0_14default_configENS1_27scan_by_key_config_selectorIj11FixedVectorIiLj2EEEEZZNS1_16scan_by_key_implILNS1_25lookback_scan_determinismE0ELb0ES3_N6thrust23THRUST_200600_302600_NS6detail15normal_iteratorINSB_10device_ptrIjEEEENSD_INSE_IS6_EEEESI_S6_NSB_4plusIvEENSB_8equal_toIvEES6_EE10hipError_tPvRmT2_T3_T4_T5_mT6_T7_P12ihipStream_tbENKUlT_T0_E_clISt17integral_constantIbLb0EES13_EEDaSY_SZ_EUlSY_E_NS1_11comp_targetILNS1_3genE4ELNS1_11target_archE910ELNS1_3gpuE8ELNS1_3repE0EEENS1_30default_config_static_selectorELNS0_4arch9wavefront6targetE1EEEvT1_,"axG",@progbits,_ZN7rocprim17ROCPRIM_400000_NS6detail17trampoline_kernelINS0_14default_configENS1_27scan_by_key_config_selectorIj11FixedVectorIiLj2EEEEZZNS1_16scan_by_key_implILNS1_25lookback_scan_determinismE0ELb0ES3_N6thrust23THRUST_200600_302600_NS6detail15normal_iteratorINSB_10device_ptrIjEEEENSD_INSE_IS6_EEEESI_S6_NSB_4plusIvEENSB_8equal_toIvEES6_EE10hipError_tPvRmT2_T3_T4_T5_mT6_T7_P12ihipStream_tbENKUlT_T0_E_clISt17integral_constantIbLb0EES13_EEDaSY_SZ_EUlSY_E_NS1_11comp_targetILNS1_3genE4ELNS1_11target_archE910ELNS1_3gpuE8ELNS1_3repE0EEENS1_30default_config_static_selectorELNS0_4arch9wavefront6targetE1EEEvT1_,comdat
	.protected	_ZN7rocprim17ROCPRIM_400000_NS6detail17trampoline_kernelINS0_14default_configENS1_27scan_by_key_config_selectorIj11FixedVectorIiLj2EEEEZZNS1_16scan_by_key_implILNS1_25lookback_scan_determinismE0ELb0ES3_N6thrust23THRUST_200600_302600_NS6detail15normal_iteratorINSB_10device_ptrIjEEEENSD_INSE_IS6_EEEESI_S6_NSB_4plusIvEENSB_8equal_toIvEES6_EE10hipError_tPvRmT2_T3_T4_T5_mT6_T7_P12ihipStream_tbENKUlT_T0_E_clISt17integral_constantIbLb0EES13_EEDaSY_SZ_EUlSY_E_NS1_11comp_targetILNS1_3genE4ELNS1_11target_archE910ELNS1_3gpuE8ELNS1_3repE0EEENS1_30default_config_static_selectorELNS0_4arch9wavefront6targetE1EEEvT1_ ; -- Begin function _ZN7rocprim17ROCPRIM_400000_NS6detail17trampoline_kernelINS0_14default_configENS1_27scan_by_key_config_selectorIj11FixedVectorIiLj2EEEEZZNS1_16scan_by_key_implILNS1_25lookback_scan_determinismE0ELb0ES3_N6thrust23THRUST_200600_302600_NS6detail15normal_iteratorINSB_10device_ptrIjEEEENSD_INSE_IS6_EEEESI_S6_NSB_4plusIvEENSB_8equal_toIvEES6_EE10hipError_tPvRmT2_T3_T4_T5_mT6_T7_P12ihipStream_tbENKUlT_T0_E_clISt17integral_constantIbLb0EES13_EEDaSY_SZ_EUlSY_E_NS1_11comp_targetILNS1_3genE4ELNS1_11target_archE910ELNS1_3gpuE8ELNS1_3repE0EEENS1_30default_config_static_selectorELNS0_4arch9wavefront6targetE1EEEvT1_
	.globl	_ZN7rocprim17ROCPRIM_400000_NS6detail17trampoline_kernelINS0_14default_configENS1_27scan_by_key_config_selectorIj11FixedVectorIiLj2EEEEZZNS1_16scan_by_key_implILNS1_25lookback_scan_determinismE0ELb0ES3_N6thrust23THRUST_200600_302600_NS6detail15normal_iteratorINSB_10device_ptrIjEEEENSD_INSE_IS6_EEEESI_S6_NSB_4plusIvEENSB_8equal_toIvEES6_EE10hipError_tPvRmT2_T3_T4_T5_mT6_T7_P12ihipStream_tbENKUlT_T0_E_clISt17integral_constantIbLb0EES13_EEDaSY_SZ_EUlSY_E_NS1_11comp_targetILNS1_3genE4ELNS1_11target_archE910ELNS1_3gpuE8ELNS1_3repE0EEENS1_30default_config_static_selectorELNS0_4arch9wavefront6targetE1EEEvT1_
	.p2align	8
	.type	_ZN7rocprim17ROCPRIM_400000_NS6detail17trampoline_kernelINS0_14default_configENS1_27scan_by_key_config_selectorIj11FixedVectorIiLj2EEEEZZNS1_16scan_by_key_implILNS1_25lookback_scan_determinismE0ELb0ES3_N6thrust23THRUST_200600_302600_NS6detail15normal_iteratorINSB_10device_ptrIjEEEENSD_INSE_IS6_EEEESI_S6_NSB_4plusIvEENSB_8equal_toIvEES6_EE10hipError_tPvRmT2_T3_T4_T5_mT6_T7_P12ihipStream_tbENKUlT_T0_E_clISt17integral_constantIbLb0EES13_EEDaSY_SZ_EUlSY_E_NS1_11comp_targetILNS1_3genE4ELNS1_11target_archE910ELNS1_3gpuE8ELNS1_3repE0EEENS1_30default_config_static_selectorELNS0_4arch9wavefront6targetE1EEEvT1_,@function
_ZN7rocprim17ROCPRIM_400000_NS6detail17trampoline_kernelINS0_14default_configENS1_27scan_by_key_config_selectorIj11FixedVectorIiLj2EEEEZZNS1_16scan_by_key_implILNS1_25lookback_scan_determinismE0ELb0ES3_N6thrust23THRUST_200600_302600_NS6detail15normal_iteratorINSB_10device_ptrIjEEEENSD_INSE_IS6_EEEESI_S6_NSB_4plusIvEENSB_8equal_toIvEES6_EE10hipError_tPvRmT2_T3_T4_T5_mT6_T7_P12ihipStream_tbENKUlT_T0_E_clISt17integral_constantIbLb0EES13_EEDaSY_SZ_EUlSY_E_NS1_11comp_targetILNS1_3genE4ELNS1_11target_archE910ELNS1_3gpuE8ELNS1_3repE0EEENS1_30default_config_static_selectorELNS0_4arch9wavefront6targetE1EEEvT1_: ; @_ZN7rocprim17ROCPRIM_400000_NS6detail17trampoline_kernelINS0_14default_configENS1_27scan_by_key_config_selectorIj11FixedVectorIiLj2EEEEZZNS1_16scan_by_key_implILNS1_25lookback_scan_determinismE0ELb0ES3_N6thrust23THRUST_200600_302600_NS6detail15normal_iteratorINSB_10device_ptrIjEEEENSD_INSE_IS6_EEEESI_S6_NSB_4plusIvEENSB_8equal_toIvEES6_EE10hipError_tPvRmT2_T3_T4_T5_mT6_T7_P12ihipStream_tbENKUlT_T0_E_clISt17integral_constantIbLb0EES13_EEDaSY_SZ_EUlSY_E_NS1_11comp_targetILNS1_3genE4ELNS1_11target_archE910ELNS1_3gpuE8ELNS1_3repE0EEENS1_30default_config_static_selectorELNS0_4arch9wavefront6targetE1EEEvT1_
; %bb.0:
	s_load_dwordx8 s[80:87], s[4:5], 0x0
	s_load_dwordx4 s[88:91], s[4:5], 0x30
	s_load_dwordx2 s[94:95], s[4:5], 0x40
	s_load_dword s2, s[4:5], 0x48
	s_load_dwordx8 s[16:23], s[4:5], 0x50
	s_waitcnt lgkmcnt(0)
	s_lshl_b64 s[0:1], s[82:83], 2
	s_add_u32 s7, s80, s0
	s_addc_u32 s8, s81, s1
	s_lshl_b64 s[92:93], s[82:83], 3
	s_add_u32 s9, s84, s92
	s_mul_i32 s0, s95, s2
	s_mul_hi_u32 s1, s94, s2
	s_addc_u32 s10, s85, s93
	s_add_i32 s11, s1, s0
	s_cmp_lg_u64 s[20:21], 0
	s_mul_i32 s0, s6, 0x540
	s_mov_b32 s1, 0
	s_mul_i32 s12, s94, s2
	s_cselect_b64 s[50:51], -1, 0
	s_lshl_b64 s[2:3], s[0:1], 2
	s_add_u32 s48, s7, s2
	s_addc_u32 s49, s8, s3
	s_lshl_b64 s[84:85], s[0:1], 3
	s_add_u32 s7, s9, s84
	s_addc_u32 s60, s10, s85
	s_add_u32 s52, s12, s6
	s_addc_u32 s53, s11, 0
	s_mov_b64 s[14:15], s[18:19]
	s_mov_b64 s[18:19], s[22:23]
                                        ; implicit-def: $vgpr135 : SGPR spill to VGPR lane
	s_add_u32 s2, s16, -1
	v_writelane_b32 v135, s12, 0
	v_writelane_b32 v135, s13, 1
	;; [unrolled: 1-line block ×4, first 2 shown]
	s_addc_u32 s3, s17, -1
	v_writelane_b32 v135, s16, 4
	v_pk_mov_b32 v[2:3], s[2:3], s[2:3] op_sel:[0,1]
	v_writelane_b32 v135, s17, 5
	v_cmp_ge_u64_e64 s[0:1], s[52:53], v[2:3]
	s_mov_b64 s[4:5], 0
	s_mov_b64 s[10:11], -1
	v_writelane_b32 v135, s18, 6
	s_and_b64 vcc, exec, s[0:1]
	s_mul_i32 s33, s2, 0xfffffac0
	s_waitcnt lgkmcnt(0)
	; wave barrier
	v_writelane_b32 v135, s19, 7
	s_cbranch_vccz .LBB1954_130
; %bb.1:
	v_pk_mov_b32 v[2:3], s[48:49], s[48:49] op_sel:[0,1]
	flat_load_dword v2, v[2:3]
	s_add_i32 s62, s33, s90
	v_cmp_gt_u32_e64 s[2:3], s62, v0
	s_waitcnt vmcnt(0) lgkmcnt(0)
	v_mov_b32_e32 v3, v2
	s_and_saveexec_b64 s[4:5], s[2:3]
	s_cbranch_execz .LBB1954_3
; %bb.2:
	v_lshlrev_b32_e32 v1, 2, v0
	v_mov_b32_e32 v3, s49
	v_add_co_u32_e32 v4, vcc, s48, v1
	v_addc_co_u32_e32 v5, vcc, 0, v3, vcc
	flat_load_dword v3, v[4:5]
.LBB1954_3:
	s_or_b64 exec, exec, s[4:5]
	v_or_b32_e32 v1, 64, v0
	v_cmp_gt_u32_e64 s[4:5], s62, v1
	v_mov_b32_e32 v4, v2
	s_and_saveexec_b64 s[8:9], s[4:5]
	s_cbranch_execz .LBB1954_5
; %bb.4:
	v_lshlrev_b32_e32 v1, 2, v0
	v_mov_b32_e32 v5, s49
	v_add_co_u32_e32 v4, vcc, s48, v1
	v_addc_co_u32_e32 v5, vcc, 0, v5, vcc
	flat_load_dword v4, v[4:5] offset:256
.LBB1954_5:
	s_or_b64 exec, exec, s[8:9]
	v_or_b32_e32 v1, 0x80, v0
	v_cmp_gt_u32_e64 s[46:47], s62, v1
	v_mov_b32_e32 v5, v2
	s_and_saveexec_b64 s[8:9], s[46:47]
	s_cbranch_execz .LBB1954_7
; %bb.6:
	v_lshlrev_b32_e32 v1, 2, v0
	v_mov_b32_e32 v5, s49
	v_add_co_u32_e32 v6, vcc, s48, v1
	v_addc_co_u32_e32 v7, vcc, 0, v5, vcc
	flat_load_dword v5, v[6:7] offset:512
.LBB1954_7:
	;; [unrolled: 13-line block ×15, first 2 shown]
	s_or_b64 exec, exec, s[36:37]
	v_or_b32_e32 v58, 0x400, v0
	v_cmp_gt_u32_e64 s[36:37], s62, v58
	v_mov_b32_e32 v19, v2
	s_and_saveexec_b64 s[38:39], s[36:37]
	s_cbranch_execz .LBB1954_35
; %bb.34:
	v_lshlrev_b32_e32 v19, 2, v58
	v_mov_b32_e32 v21, s49
	v_add_co_u32_e32 v20, vcc, s48, v19
	v_addc_co_u32_e32 v21, vcc, 0, v21, vcc
	flat_load_dword v19, v[20:21]
.LBB1954_35:
	s_or_b64 exec, exec, s[38:39]
	v_or_b32_e32 v59, 0x440, v0
	v_cmp_gt_u32_e64 s[38:39], s62, v59
	v_mov_b32_e32 v20, v2
	s_and_saveexec_b64 s[40:41], s[38:39]
	s_cbranch_execz .LBB1954_37
; %bb.36:
	v_lshlrev_b32_e32 v20, 2, v59
	v_mov_b32_e32 v21, s49
	v_add_co_u32_e32 v20, vcc, s48, v20
	v_addc_co_u32_e32 v21, vcc, 0, v21, vcc
	flat_load_dword v20, v[20:21]
.LBB1954_37:
	;; [unrolled: 13-line block ×4, first 2 shown]
	s_or_b64 exec, exec, s[44:45]
	v_or_b32_e32 v65, 0x500, v0
	v_cmp_gt_u32_e64 s[44:45], s62, v65
	s_and_saveexec_b64 s[54:55], s[44:45]
	s_cbranch_execz .LBB1954_43
; %bb.42:
	v_lshlrev_b32_e32 v2, 2, v65
	v_mov_b32_e32 v23, s49
	v_add_co_u32_e32 v24, vcc, s48, v2
	v_addc_co_u32_e32 v25, vcc, 0, v23, vcc
	flat_load_dword v2, v[24:25]
.LBB1954_43:
	s_or_b64 exec, exec, s[54:55]
	v_lshlrev_b32_e32 v23, 2, v0
	s_movk_i32 s54, 0x50
	s_waitcnt vmcnt(0) lgkmcnt(0)
	ds_write2st64_b32 v23, v3, v4 offset1:1
	ds_write2st64_b32 v23, v5, v6 offset0:2 offset1:3
	ds_write2st64_b32 v23, v7, v8 offset0:4 offset1:5
	;; [unrolled: 1-line block ×9, first 2 shown]
	ds_write_b32 v23, v2 offset:5120
	v_mad_u32_u24 v2, v0, s54, v23
	s_waitcnt lgkmcnt(0)
	; wave barrier
	s_waitcnt lgkmcnt(0)
	ds_read2_b32 v[20:21], v2 offset0:7 offset1:8
	ds_read2_b32 v[24:25], v2 offset0:5 offset1:6
	;; [unrolled: 1-line block ×3, first 2 shown]
	ds_read2_b32 v[16:17], v2 offset1:1
	ds_read2_b32 v[32:33], v2 offset0:4 offset1:9
	ds_read2_b32 v[28:29], v2 offset0:15 offset1:16
	ds_read_b32 v64, v2 offset:56
	ds_read2_b32 v[40:41], v2 offset0:12 offset1:13
	ds_read2_b32 v[44:45], v2 offset0:10 offset1:11
	;; [unrolled: 1-line block ×4, first 2 shown]
	s_cmp_eq_u64 s[52:53], 0
	s_mov_b64 s[54:55], s[48:49]
	s_cbranch_scc1 .LBB1954_47
; %bb.44:
	s_andn2_b64 vcc, exec, s[50:51]
	s_cbranch_vccnz .LBB1954_313
; %bb.45:
	v_readlane_b32 s64, v135, 0
	s_lshl_b64 s[54:55], s[52:53], 2
	v_readlane_b32 s70, v135, 6
	v_readlane_b32 s71, v135, 7
	s_add_u32 s54, s70, s54
	s_addc_u32 s55, s71, s55
	s_add_u32 s54, s54, -4
	s_addc_u32 s55, s55, -1
	v_readlane_b32 s65, v135, 1
	v_readlane_b32 s66, v135, 2
	;; [unrolled: 1-line block ×5, first 2 shown]
	s_cbranch_execnz .LBB1954_47
.LBB1954_46:
	s_add_u32 s54, s48, -4
	s_addc_u32 s55, s49, -1
.LBB1954_47:
	v_pk_mov_b32 v[6:7], s[54:55], s[54:55] op_sel:[0,1]
	flat_load_dword v66, v[6:7]
	s_movk_i32 s54, 0xffb0
	v_mad_i32_i24 v67, v0, s54, v2
	v_cmp_ne_u32_e32 vcc, 0, v0
	s_waitcnt lgkmcnt(0)
	ds_write_b32 v67, v5 offset:5376
	s_waitcnt lgkmcnt(0)
	; wave barrier
	s_waitcnt lgkmcnt(0)
	s_and_saveexec_b64 s[54:55], vcc
	s_cbranch_execz .LBB1954_49
; %bb.48:
	s_waitcnt vmcnt(0)
	ds_read_b32 v66, v67 offset:5372
.LBB1954_49:
	s_or_b64 exec, exec, s[54:55]
	v_pk_mov_b32 v[2:3], 0, 0
	v_pk_mov_b32 v[6:7], v[2:3], v[2:3] op_sel:[0,1]
	s_waitcnt lgkmcnt(0)
	; wave barrier
	s_waitcnt lgkmcnt(0)
	s_and_saveexec_b64 s[54:55], s[2:3]
	s_cbranch_execz .LBB1954_51
; %bb.50:
	v_lshlrev_b32_e32 v6, 3, v0
	v_mov_b32_e32 v7, s60
	v_add_co_u32_e32 v6, vcc, s7, v6
	v_addc_co_u32_e32 v7, vcc, 0, v7, vcc
	flat_load_dwordx2 v[6:7], v[6:7]
.LBB1954_51:
	s_or_b64 exec, exec, s[54:55]
	s_and_saveexec_b64 s[2:3], s[4:5]
	s_cbranch_execz .LBB1954_53
; %bb.52:
	v_lshlrev_b32_e32 v2, 3, v0
	v_mov_b32_e32 v3, s60
	v_add_co_u32_e32 v2, vcc, s7, v2
	v_addc_co_u32_e32 v3, vcc, 0, v3, vcc
	flat_load_dwordx2 v[2:3], v[2:3] offset:512
.LBB1954_53:
	s_or_b64 exec, exec, s[2:3]
	v_pk_mov_b32 v[8:9], 0, 0
	v_pk_mov_b32 v[10:11], v[8:9], v[8:9] op_sel:[0,1]
	s_and_saveexec_b64 s[2:3], s[46:47]
	s_cbranch_execz .LBB1954_55
; %bb.54:
	v_lshlrev_b32_e32 v10, 3, v0
	v_mov_b32_e32 v11, s60
	v_add_co_u32_e32 v10, vcc, s7, v10
	v_addc_co_u32_e32 v11, vcc, 0, v11, vcc
	flat_load_dwordx2 v[10:11], v[10:11] offset:1024
.LBB1954_55:
	s_or_b64 exec, exec, s[2:3]
	s_and_saveexec_b64 s[2:3], s[8:9]
	s_cbranch_execz .LBB1954_57
; %bb.56:
	v_lshlrev_b32_e32 v8, 3, v0
	v_mov_b32_e32 v9, s60
	v_add_co_u32_e32 v8, vcc, s7, v8
	v_addc_co_u32_e32 v9, vcc, 0, v9, vcc
	flat_load_dwordx2 v[8:9], v[8:9] offset:1536
.LBB1954_57:
	s_or_b64 exec, exec, s[2:3]
	v_pk_mov_b32 v[14:15], 0, 0
	v_pk_mov_b32 v[18:19], v[14:15], v[14:15] op_sel:[0,1]
	s_and_saveexec_b64 s[2:3], s[10:11]
	s_cbranch_execz .LBB1954_59
; %bb.58:
	v_lshlrev_b32_e32 v18, 3, v0
	v_mov_b32_e32 v19, s60
	v_add_co_u32_e32 v18, vcc, s7, v18
	v_addc_co_u32_e32 v19, vcc, 0, v19, vcc
	flat_load_dwordx2 v[18:19], v[18:19] offset:2048
.LBB1954_59:
	;; [unrolled: 22-line block ×3, first 2 shown]
	s_or_b64 exec, exec, s[2:3]
	s_and_saveexec_b64 s[2:3], s[16:17]
	s_cbranch_execz .LBB1954_65
; %bb.64:
	v_lshlrev_b32_e32 v22, 3, v0
	v_mov_b32_e32 v23, s60
	v_add_co_u32_e32 v22, vcc, s7, v22
	v_addc_co_u32_e32 v23, vcc, 0, v23, vcc
	flat_load_dwordx2 v[22:23], v[22:23] offset:3584
.LBB1954_65:
	s_or_b64 exec, exec, s[2:3]
	v_pk_mov_b32 v[30:31], 0, 0
	v_pk_mov_b32 v[34:35], v[30:31], v[30:31] op_sel:[0,1]
	s_and_saveexec_b64 s[2:3], s[18:19]
	s_cbranch_execz .LBB1954_67
; %bb.66:
	v_lshlrev_b32_e32 v1, 3, v1
	v_mov_b32_e32 v35, s60
	v_add_co_u32_e32 v34, vcc, s7, v1
	v_addc_co_u32_e32 v35, vcc, 0, v35, vcc
	flat_load_dwordx2 v[34:35], v[34:35]
.LBB1954_67:
	s_or_b64 exec, exec, s[2:3]
	s_and_saveexec_b64 s[2:3], s[20:21]
	s_cbranch_execz .LBB1954_69
; %bb.68:
	v_lshlrev_b32_e32 v1, 3, v38
	v_mov_b32_e32 v31, s60
	v_add_co_u32_e32 v30, vcc, s7, v1
	v_addc_co_u32_e32 v31, vcc, 0, v31, vcc
	flat_load_dwordx2 v[30:31], v[30:31]
.LBB1954_69:
	s_or_b64 exec, exec, s[2:3]
	v_pk_mov_b32 v[38:39], 0, 0
	v_pk_mov_b32 v[42:43], v[38:39], v[38:39] op_sel:[0,1]
	s_and_saveexec_b64 s[2:3], s[22:23]
	s_cbranch_execz .LBB1954_71
; %bb.70:
	v_lshlrev_b32_e32 v1, 3, v46
	v_mov_b32_e32 v43, s60
	v_add_co_u32_e32 v42, vcc, s7, v1
	v_addc_co_u32_e32 v43, vcc, 0, v43, vcc
	flat_load_dwordx2 v[42:43], v[42:43]
.LBB1954_71:
	s_or_b64 exec, exec, s[2:3]
	s_and_saveexec_b64 s[2:3], s[24:25]
	s_cbranch_execz .LBB1954_73
; %bb.72:
	v_lshlrev_b32_e32 v1, 3, v47
	v_mov_b32_e32 v39, s60
	v_add_co_u32_e32 v38, vcc, s7, v1
	v_addc_co_u32_e32 v39, vcc, 0, v39, vcc
	flat_load_dwordx2 v[38:39], v[38:39]
.LBB1954_73:
	;; [unrolled: 22-line block ×5, first 2 shown]
	s_or_b64 exec, exec, s[2:3]
	v_pk_mov_b32 v[58:59], 0, 0
	v_pk_mov_b32 v[60:61], v[58:59], v[58:59] op_sel:[0,1]
	s_and_saveexec_b64 s[2:3], s[40:41]
	s_cbranch_execnz .LBB1954_311
; %bb.86:
	s_or_b64 exec, exec, s[2:3]
	s_and_saveexec_b64 s[2:3], s[42:43]
	s_cbranch_execnz .LBB1954_312
.LBB1954_87:
	s_or_b64 exec, exec, s[2:3]
	v_pk_mov_b32 v[62:63], 0, 0
	s_and_saveexec_b64 s[2:3], s[44:45]
	s_cbranch_execz .LBB1954_89
.LBB1954_88:
	v_lshlrev_b32_e32 v1, 3, v65
	v_mov_b32_e32 v63, s60
	v_add_co_u32_e32 v62, vcc, s7, v1
	v_addc_co_u32_e32 v63, vcc, 0, v63, vcc
	flat_load_dwordx2 v[62:63], v[62:63]
.LBB1954_89:
	s_or_b64 exec, exec, s[2:3]
	v_mul_u32_u24_e32 v65, 21, v0
	v_lshl_add_u32 v68, v0, 2, v67
	s_waitcnt vmcnt(0) lgkmcnt(0)
	ds_write2st64_b64 v68, v[6:7], v[2:3] offset1:1
	ds_write2st64_b64 v68, v[10:11], v[8:9] offset0:2 offset1:3
	ds_write2st64_b64 v68, v[18:19], v[14:15] offset0:4 offset1:5
	;; [unrolled: 1-line block ×9, first 2 shown]
	ds_write_b64 v68, v[62:63] offset:10240
	v_cmp_gt_u32_e32 vcc, s62, v65
	s_mov_b64 s[10:11], 0
	s_mov_b32 s61, 0
	v_mov_b32_e32 v123, 0
	v_mov_b32_e32 v105, 0
	s_mov_b64 s[4:5], 0
	v_mov_b32_e32 v116, 0
	v_mov_b32_e32 v111, 0
	;; [unrolled: 1-line block ×46, first 2 shown]
	s_waitcnt lgkmcnt(0)
	; wave barrier
	s_waitcnt lgkmcnt(0)
                                        ; implicit-def: $sgpr2_sgpr3
                                        ; implicit-def: $vgpr1
                                        ; implicit-def: $vgpr80
                                        ; implicit-def: $vgpr81
                                        ; implicit-def: $vgpr82
                                        ; implicit-def: $vgpr51
                                        ; implicit-def: $vgpr55
                                        ; implicit-def: $vgpr59
                                        ; implicit-def: $vgpr63
                                        ; implicit-def: $vgpr67
                                        ; implicit-def: $vgpr71
                                        ; implicit-def: $vgpr75
                                        ; implicit-def: $vgpr79
	s_and_saveexec_b64 s[12:13], vcc
	s_cbranch_execz .LBB1954_129
; %bb.90:
	s_movk_i32 s2, 0xa0
	v_mad_u32_u24 v2, v0, s2, v68
	ds_read_b64 v[2:3], v2
	v_cmp_ne_u32_e32 vcc, v66, v16
	v_add_u32_e32 v1, 1, v65
	v_mov_b32_e32 v123, 0
	v_cndmask_b32_e64 v104, 0, 1, vcc
	v_cmp_gt_u32_e32 vcc, s62, v1
	v_mov_b32_e32 v105, 0
	v_mov_b32_e32 v116, 0
	v_mov_b32_e32 v111, 0
	v_mov_b32_e32 v108, 0
	v_mov_b32_e32 v27, 0
	v_mov_b32_e32 v26, 0
	v_mov_b32_e32 v35, 0
	v_mov_b32_e32 v34, 0
	v_mov_b32_e32 v47, 0
	v_mov_b32_e32 v46, 0
	v_mov_b32_e32 v109, 0
	v_mov_b32_e32 v110, 0
	v_mov_b32_e32 v43, 0
	v_mov_b32_e32 v42, 0
	v_mov_b32_e32 v112, 0
	v_mov_b32_e32 v113, 0
	v_mov_b32_e32 v39, 0
	v_mov_b32_e32 v38, 0
	v_mov_b32_e32 v114, 0
	v_mov_b32_e32 v115, 0
	v_mov_b32_e32 v31, 0
	v_mov_b32_e32 v30, 0
	v_mov_b32_e32 v107, 0
	v_mov_b32_e32 v117, 0
	v_mov_b32_e32 v118, 0
	v_mov_b32_e32 v23, 0
	v_mov_b32_e32 v22, 0
	v_mov_b32_e32 v119, 0
	v_mov_b32_e32 v120, 0
	v_mov_b32_e32 v19, 0
	v_mov_b32_e32 v18, 0
	v_mov_b32_e32 v121, 0
	v_mov_b32_e32 v122, 0
	v_mov_b32_e32 v106, 0
	v_mov_b32_e32 v15, 0
	v_mov_b32_e32 v14, 0
	v_mov_b32_e32 v124, 0
	v_mov_b32_e32 v125, 0
	v_mov_b32_e32 v11, 0
	v_mov_b32_e32 v10, 0
	v_mov_b32_e32 v126, 0
	v_mov_b32_e32 v127, 0
	v_mov_b32_e32 v7, 0
	v_mov_b32_e32 v6, v123
                                        ; implicit-def: $sgpr2_sgpr3
                                        ; implicit-def: $vgpr1
                                        ; implicit-def: $vgpr80
                                        ; implicit-def: $vgpr81
                                        ; implicit-def: $vgpr82
                                        ; implicit-def: $vgpr51
                                        ; implicit-def: $vgpr55
                                        ; implicit-def: $vgpr59
                                        ; implicit-def: $vgpr63
                                        ; implicit-def: $vgpr67
                                        ; implicit-def: $vgpr71
                                        ; implicit-def: $vgpr75
                                        ; implicit-def: $vgpr79
	s_and_saveexec_b64 s[14:15], vcc
	s_cbranch_execz .LBB1954_128
; %bb.91:
	v_mul_u32_u24_e32 v1, 0xa0, v0
	v_add_u32_e32 v50, v68, v1
	ds_read2_b64 v[6:9], v50 offset0:1 offset1:2
	v_cmp_ne_u32_e64 s[8:9], v16, v17
	v_add_u32_e32 v1, 2, v65
	v_cmp_ne_u32_e32 vcc, v12, v13
	v_cmp_ne_u32_e64 s[2:3], v13, v32
	v_cmp_ne_u32_e64 s[4:5], v17, v12
	v_cndmask_b32_e64 v123, 0, 1, s[8:9]
	v_cmp_gt_u32_e64 s[8:9], s62, v1
	s_mov_b64 s[18:19], 0
	v_mov_b32_e32 v116, 0
	v_mov_b32_e32 v105, 0
	;; [unrolled: 1-line block ×42, first 2 shown]
                                        ; implicit-def: $sgpr20_sgpr21
                                        ; implicit-def: $vgpr1
                                        ; implicit-def: $vgpr80
                                        ; implicit-def: $vgpr81
                                        ; implicit-def: $vgpr82
                                        ; implicit-def: $vgpr51
                                        ; implicit-def: $vgpr55
                                        ; implicit-def: $vgpr59
                                        ; implicit-def: $vgpr63
                                        ; implicit-def: $vgpr67
                                        ; implicit-def: $vgpr71
                                        ; implicit-def: $vgpr75
                                        ; implicit-def: $vgpr79
	s_and_saveexec_b64 s[16:17], s[8:9]
	s_cbranch_execz .LBB1954_127
; %bb.92:
	v_cndmask_b32_e64 v1, 0, 1, s[4:5]
	v_cndmask_b32_e64 v10, 0, 1, s[2:3]
	v_lshlrev_b16_e32 v1, 8, v1
	v_lshlrev_b16_e32 v10, 8, v10
	v_cndmask_b32_e64 v11, 0, 1, vcc
	v_or_b32_e32 v1, v123, v1
	v_or_b32_sdwa v10, v11, v10 dst_sel:WORD_1 dst_unused:UNUSED_PAD src0_sel:DWORD src1_sel:DWORD
	v_or_b32_sdwa v1, v1, v10 dst_sel:DWORD dst_unused:UNUSED_PAD src0_sel:WORD_0 src1_sel:DWORD
	v_add_u32_e32 v10, 3, v65
	v_mov_b32_e32 v116, 0
	v_and_b32_e32 v123, 0xffff, v1
	v_cmp_gt_u32_e32 vcc, s62, v10
	s_mov_b64 s[2:3], 0
	v_mov_b32_e32 v105, 0
	v_mov_b32_e32 v111, 0
	;; [unrolled: 1-line block ×39, first 2 shown]
                                        ; implicit-def: $sgpr4_sgpr5
                                        ; implicit-def: $vgpr80
                                        ; implicit-def: $vgpr81
                                        ; implicit-def: $vgpr82
                                        ; implicit-def: $vgpr51
                                        ; implicit-def: $vgpr55
                                        ; implicit-def: $vgpr59
                                        ; implicit-def: $vgpr63
                                        ; implicit-def: $vgpr67
                                        ; implicit-def: $vgpr71
                                        ; implicit-def: $vgpr75
                                        ; implicit-def: $vgpr79
	s_and_saveexec_b64 s[18:19], vcc
	s_cbranch_execz .LBB1954_126
; %bb.93:
	ds_read2_b64 v[10:13], v50 offset0:3 offset1:4
	v_add_u32_e32 v14, 4, v65
	v_cmp_gt_u32_e32 vcc, s62, v14
	v_and_b32_e32 v123, 0xffffff, v1
	v_mov_b32_e32 v116, 0
	v_mov_b32_e32 v105, 0
	;; [unrolled: 1-line block ×38, first 2 shown]
                                        ; implicit-def: $sgpr4_sgpr5
                                        ; implicit-def: $vgpr80
                                        ; implicit-def: $vgpr81
                                        ; implicit-def: $vgpr82
                                        ; implicit-def: $vgpr51
                                        ; implicit-def: $vgpr55
                                        ; implicit-def: $vgpr59
                                        ; implicit-def: $vgpr63
                                        ; implicit-def: $vgpr67
                                        ; implicit-def: $vgpr71
                                        ; implicit-def: $vgpr75
                                        ; implicit-def: $vgpr79
	s_and_saveexec_b64 s[20:21], vcc
	s_cbranch_execz .LBB1954_125
; %bb.94:
	v_add_u32_e32 v14, 5, v65
	v_mov_b32_e32 v116, 0
	v_cmp_gt_u32_e32 vcc, s62, v14
	v_mov_b32_e32 v105, 0
	v_mov_b32_e32 v111, 0
	;; [unrolled: 1-line block ×35, first 2 shown]
                                        ; implicit-def: $sgpr4_sgpr5
                                        ; implicit-def: $vgpr80
                                        ; implicit-def: $vgpr81
                                        ; implicit-def: $vgpr82
                                        ; implicit-def: $vgpr51
                                        ; implicit-def: $vgpr55
                                        ; implicit-def: $vgpr59
                                        ; implicit-def: $vgpr63
                                        ; implicit-def: $vgpr67
                                        ; implicit-def: $vgpr71
                                        ; implicit-def: $vgpr75
                                        ; implicit-def: $vgpr79
	s_and_saveexec_b64 s[22:23], vcc
	s_cbranch_execz .LBB1954_124
; %bb.95:
	ds_read2_b64 v[14:17], v50 offset0:5 offset1:6
	v_cmp_ne_u32_e32 vcc, v32, v24
	v_add_u32_e32 v18, 6, v65
	v_cndmask_b32_e64 v106, 0, 1, vcc
	v_cmp_gt_u32_e32 vcc, s62, v18
	v_mov_b32_e32 v116, 0
	v_mov_b32_e32 v105, 0
	;; [unrolled: 1-line block ×33, first 2 shown]
                                        ; implicit-def: $sgpr4_sgpr5
                                        ; implicit-def: $vgpr80
                                        ; implicit-def: $vgpr81
                                        ; implicit-def: $vgpr82
                                        ; implicit-def: $vgpr51
                                        ; implicit-def: $vgpr55
                                        ; implicit-def: $vgpr59
                                        ; implicit-def: $vgpr63
                                        ; implicit-def: $vgpr67
                                        ; implicit-def: $vgpr71
                                        ; implicit-def: $vgpr75
                                        ; implicit-def: $vgpr79
	s_and_saveexec_b64 s[24:25], vcc
	s_cbranch_execz .LBB1954_123
; %bb.96:
	v_cmp_ne_u32_e64 s[8:9], v24, v25
	v_add_u32_e32 v18, 7, v65
	v_mov_b32_e32 v111, 0
	v_cmp_ne_u32_e32 vcc, v20, v21
	v_cmp_ne_u32_e64 s[2:3], v21, v33
	v_cmp_ne_u32_e64 s[4:5], v25, v20
	v_cndmask_b32_e64 v116, 0, 1, s[8:9]
	v_cmp_gt_u32_e64 s[8:9], s62, v18
	s_mov_b64 s[28:29], 0
	v_mov_b32_e32 v105, 0
	v_mov_b32_e32 v108, 0
	;; [unrolled: 1-line block ×29, first 2 shown]
                                        ; implicit-def: $sgpr30_sgpr31
                                        ; implicit-def: $vgpr80
                                        ; implicit-def: $vgpr81
                                        ; implicit-def: $vgpr82
                                        ; implicit-def: $vgpr51
                                        ; implicit-def: $vgpr55
                                        ; implicit-def: $vgpr59
                                        ; implicit-def: $vgpr63
                                        ; implicit-def: $vgpr67
                                        ; implicit-def: $vgpr71
                                        ; implicit-def: $vgpr75
                                        ; implicit-def: $vgpr79
	s_and_saveexec_b64 s[26:27], s[8:9]
	s_cbranch_execz .LBB1954_122
; %bb.97:
	v_cndmask_b32_e64 v18, 0, 1, s[4:5]
	v_cndmask_b32_e64 v19, 0, 1, s[2:3]
	v_lshlrev_b16_e32 v18, 8, v18
	v_lshlrev_b16_e32 v19, 8, v19
	v_cndmask_b32_e64 v20, 0, 1, vcc
	v_or_b32_e32 v18, v116, v18
	v_or_b32_sdwa v19, v20, v19 dst_sel:WORD_1 dst_unused:UNUSED_PAD src0_sel:DWORD src1_sel:DWORD
	v_or_b32_sdwa v80, v18, v19 dst_sel:DWORD dst_unused:UNUSED_PAD src0_sel:WORD_0 src1_sel:DWORD
	ds_read2_b64 v[18:21], v50 offset0:7 offset1:8
	v_add_u32_e32 v22, 8, v65
	v_and_b32_e32 v116, 0xffff, v80
	v_cmp_gt_u32_e32 vcc, s62, v22
	s_mov_b64 s[2:3], 0
	v_mov_b32_e32 v111, 0
	v_mov_b32_e32 v105, 0
	;; [unrolled: 1-line block ×28, first 2 shown]
                                        ; implicit-def: $sgpr4_sgpr5
                                        ; implicit-def: $vgpr81
                                        ; implicit-def: $vgpr82
                                        ; implicit-def: $vgpr51
                                        ; implicit-def: $vgpr55
                                        ; implicit-def: $vgpr59
                                        ; implicit-def: $vgpr63
                                        ; implicit-def: $vgpr67
                                        ; implicit-def: $vgpr71
                                        ; implicit-def: $vgpr75
                                        ; implicit-def: $vgpr79
	s_and_saveexec_b64 s[28:29], vcc
	s_cbranch_execz .LBB1954_121
; %bb.98:
	v_add_u32_e32 v22, 9, v65
	v_mov_b32_e32 v111, 0
	v_cmp_gt_u32_e32 vcc, s62, v22
	v_and_b32_e32 v116, 0xffffff, v80
	v_mov_b32_e32 v105, 0
	v_mov_b32_e32 v108, 0
	;; [unrolled: 1-line block ×25, first 2 shown]
                                        ; implicit-def: $sgpr4_sgpr5
                                        ; implicit-def: $vgpr81
                                        ; implicit-def: $vgpr82
                                        ; implicit-def: $vgpr51
                                        ; implicit-def: $vgpr55
                                        ; implicit-def: $vgpr59
                                        ; implicit-def: $vgpr63
                                        ; implicit-def: $vgpr67
                                        ; implicit-def: $vgpr71
                                        ; implicit-def: $vgpr75
                                        ; implicit-def: $vgpr79
	s_and_saveexec_b64 s[30:31], vcc
	s_cbranch_execz .LBB1954_120
; %bb.99:
	ds_read2_b64 v[22:25], v50 offset0:9 offset1:10
	v_add_u32_e32 v26, 10, v65
	v_cmp_gt_u32_e32 vcc, s62, v26
	v_mov_b32_e32 v111, 0
	v_mov_b32_e32 v105, 0
	;; [unrolled: 1-line block ×24, first 2 shown]
                                        ; implicit-def: $sgpr4_sgpr5
                                        ; implicit-def: $vgpr81
                                        ; implicit-def: $vgpr82
                                        ; implicit-def: $vgpr51
                                        ; implicit-def: $vgpr55
                                        ; implicit-def: $vgpr59
                                        ; implicit-def: $vgpr63
                                        ; implicit-def: $vgpr67
                                        ; implicit-def: $vgpr71
                                        ; implicit-def: $vgpr75
                                        ; implicit-def: $vgpr79
	s_and_saveexec_b64 s[34:35], vcc
	s_cbranch_execz .LBB1954_119
; %bb.100:
	v_cmp_ne_u32_e32 vcc, v33, v44
	v_add_u32_e32 v26, 11, v65
	v_mov_b32_e32 v111, 0
	v_cndmask_b32_e64 v107, 0, 1, vcc
	v_cmp_gt_u32_e32 vcc, s62, v26
	v_mov_b32_e32 v105, 0
	v_mov_b32_e32 v108, 0
	;; [unrolled: 1-line block ×20, first 2 shown]
                                        ; implicit-def: $sgpr4_sgpr5
                                        ; implicit-def: $vgpr81
                                        ; implicit-def: $vgpr82
                                        ; implicit-def: $vgpr51
                                        ; implicit-def: $vgpr55
                                        ; implicit-def: $vgpr59
                                        ; implicit-def: $vgpr63
                                        ; implicit-def: $vgpr67
                                        ; implicit-def: $vgpr71
                                        ; implicit-def: $vgpr75
                                        ; implicit-def: $vgpr79
	s_and_saveexec_b64 s[36:37], vcc
	s_cbranch_execz .LBB1954_118
; %bb.101:
	ds_read2_b64 v[30:33], v50 offset0:11 offset1:12
	v_cmp_ne_u32_e64 s[8:9], v44, v45
	v_add_u32_e32 v26, 12, v65
	v_cmp_ne_u32_e32 vcc, v40, v41
	v_cmp_ne_u32_e64 s[2:3], v41, v64
	v_cmp_ne_u32_e64 s[4:5], v45, v40
	v_cndmask_b32_e64 v111, 0, 1, s[8:9]
	v_cmp_gt_u32_e64 s[8:9], s62, v26
	s_mov_b64 s[40:41], 0
	v_mov_b32_e32 v108, 0
	v_mov_b32_e32 v105, 0
	;; [unrolled: 1-line block ×18, first 2 shown]
                                        ; implicit-def: $sgpr42_sgpr43
                                        ; implicit-def: $vgpr81
                                        ; implicit-def: $vgpr82
                                        ; implicit-def: $vgpr51
                                        ; implicit-def: $vgpr55
                                        ; implicit-def: $vgpr59
                                        ; implicit-def: $vgpr63
                                        ; implicit-def: $vgpr67
                                        ; implicit-def: $vgpr71
                                        ; implicit-def: $vgpr75
                                        ; implicit-def: $vgpr79
	s_and_saveexec_b64 s[38:39], s[8:9]
	s_cbranch_execz .LBB1954_117
; %bb.102:
	v_cndmask_b32_e64 v26, 0, 1, s[4:5]
	v_cndmask_b32_e64 v27, 0, 1, s[2:3]
	v_lshlrev_b16_e32 v26, 8, v26
	v_lshlrev_b16_e32 v27, 8, v27
	v_cndmask_b32_e64 v34, 0, 1, vcc
	v_or_b32_e32 v26, v111, v26
	v_or_b32_sdwa v27, v34, v27 dst_sel:WORD_1 dst_unused:UNUSED_PAD src0_sel:DWORD src1_sel:DWORD
	v_or_b32_sdwa v81, v26, v27 dst_sel:DWORD dst_unused:UNUSED_PAD src0_sel:WORD_0 src1_sel:DWORD
	v_add_u32_e32 v26, 13, v65
	v_mov_b32_e32 v108, 0
	v_and_b32_e32 v111, 0xffff, v81
	v_cmp_gt_u32_e32 vcc, s62, v26
	s_mov_b64 s[2:3], 0
	v_mov_b32_e32 v105, 0
	v_mov_b32_e32 v27, 0
	;; [unrolled: 1-line block ×15, first 2 shown]
                                        ; implicit-def: $sgpr4_sgpr5
                                        ; implicit-def: $vgpr82
                                        ; implicit-def: $vgpr51
                                        ; implicit-def: $vgpr55
                                        ; implicit-def: $vgpr59
                                        ; implicit-def: $vgpr63
                                        ; implicit-def: $vgpr67
                                        ; implicit-def: $vgpr71
                                        ; implicit-def: $vgpr75
                                        ; implicit-def: $vgpr79
	s_and_saveexec_b64 s[40:41], vcc
	s_cbranch_execz .LBB1954_116
; %bb.103:
	ds_read2_b64 v[38:41], v50 offset0:13 offset1:14
	v_add_u32_e32 v26, 14, v65
	v_cmp_gt_u32_e32 vcc, s62, v26
	v_and_b32_e32 v111, 0xffffff, v81
	v_mov_b32_e32 v108, 0
	v_mov_b32_e32 v105, 0
	;; [unrolled: 1-line block ×14, first 2 shown]
                                        ; implicit-def: $sgpr4_sgpr5
                                        ; implicit-def: $vgpr82
                                        ; implicit-def: $vgpr51
                                        ; implicit-def: $vgpr55
                                        ; implicit-def: $vgpr59
                                        ; implicit-def: $vgpr63
                                        ; implicit-def: $vgpr67
                                        ; implicit-def: $vgpr71
                                        ; implicit-def: $vgpr75
                                        ; implicit-def: $vgpr79
	s_and_saveexec_b64 s[42:43], vcc
	s_cbranch_execz .LBB1954_115
; %bb.104:
	v_add_u32_e32 v26, 15, v65
	v_mov_b32_e32 v108, 0
	v_cmp_gt_u32_e32 vcc, s62, v26
	v_mov_b32_e32 v105, 0
	v_mov_b32_e32 v27, 0
	;; [unrolled: 1-line block ×11, first 2 shown]
                                        ; implicit-def: $sgpr4_sgpr5
                                        ; implicit-def: $vgpr82
                                        ; implicit-def: $vgpr51
                                        ; implicit-def: $vgpr55
                                        ; implicit-def: $vgpr59
                                        ; implicit-def: $vgpr63
                                        ; implicit-def: $vgpr67
                                        ; implicit-def: $vgpr71
                                        ; implicit-def: $vgpr75
                                        ; implicit-def: $vgpr79
	s_and_saveexec_b64 s[44:45], vcc
	s_cbranch_execz .LBB1954_114
; %bb.105:
	ds_read2_b64 v[42:45], v50 offset0:15 offset1:16
	v_cmp_ne_u32_e32 vcc, v64, v28
	v_add_u32_e32 v26, 16, v65
	v_cndmask_b32_e64 v105, 0, 1, vcc
	v_cmp_gt_u32_e32 vcc, s62, v26
	v_mov_b32_e32 v108, 0
	v_mov_b32_e32 v27, 0
	v_mov_b32_e32 v26, 0
	v_mov_b32_e32 v35, 0
	v_mov_b32_e32 v34, 0
	v_mov_b32_e32 v47, 0
	v_mov_b32_e32 v46, 0
	v_mov_b32_e32 v109, 0
	v_mov_b32_e32 v110, 0
                                        ; implicit-def: $sgpr4_sgpr5
                                        ; implicit-def: $vgpr82
                                        ; implicit-def: $vgpr51
                                        ; implicit-def: $vgpr55
                                        ; implicit-def: $vgpr59
                                        ; implicit-def: $vgpr63
                                        ; implicit-def: $vgpr67
                                        ; implicit-def: $vgpr71
                                        ; implicit-def: $vgpr75
                                        ; implicit-def: $vgpr79
	s_and_saveexec_b64 s[46:47], vcc
	s_cbranch_execz .LBB1954_113
; %bb.106:
	v_cmp_ne_u32_e64 s[8:9], v28, v29
	v_add_u32_e32 v26, 17, v65
	v_mov_b32_e32 v27, 0
	v_cmp_ne_u32_e32 vcc, v36, v37
	v_cmp_ne_u32_e64 s[2:3], v37, v4
	v_cmp_ne_u32_e64 s[4:5], v29, v36
	v_cndmask_b32_e64 v108, 0, 1, s[8:9]
	v_cmp_gt_u32_e64 s[8:9], s62, v26
	s_mov_b64 s[56:57], 0
	v_mov_b32_e32 v26, 0
	v_mov_b32_e32 v35, 0
	;; [unrolled: 1-line block ×5, first 2 shown]
                                        ; implicit-def: $sgpr58_sgpr59
                                        ; implicit-def: $vgpr82
                                        ; implicit-def: $vgpr51
                                        ; implicit-def: $vgpr55
                                        ; implicit-def: $vgpr59
                                        ; implicit-def: $vgpr63
                                        ; implicit-def: $vgpr67
                                        ; implicit-def: $vgpr71
                                        ; implicit-def: $vgpr75
                                        ; implicit-def: $vgpr79
	s_and_saveexec_b64 s[54:55], s[8:9]
	s_cbranch_execz .LBB1954_112
; %bb.107:
	v_cndmask_b32_e64 v26, 0, 1, s[4:5]
	v_cndmask_b32_e64 v27, 0, 1, s[2:3]
	ds_read2_b64 v[46:49], v50 offset0:17 offset1:18
	v_lshlrev_b16_e32 v26, 8, v26
	v_lshlrev_b16_e32 v27, 8, v27
	v_cndmask_b32_e64 v28, 0, 1, vcc
	v_or_b32_e32 v26, v108, v26
	v_or_b32_sdwa v27, v28, v27 dst_sel:WORD_1 dst_unused:UNUSED_PAD src0_sel:DWORD src1_sel:DWORD
	v_or_b32_sdwa v82, v26, v27 dst_sel:DWORD dst_unused:UNUSED_PAD src0_sel:WORD_0 src1_sel:DWORD
	v_add_u32_e32 v26, 18, v65
	v_and_b32_e32 v108, 0xffff, v82
	v_cmp_gt_u32_e32 vcc, s62, v26
	s_mov_b64 s[2:3], 0
	v_mov_b32_e32 v27, 0
	v_mov_b32_e32 v26, 0
	;; [unrolled: 1-line block ×4, first 2 shown]
                                        ; implicit-def: $sgpr8_sgpr9
	s_and_saveexec_b64 s[4:5], vcc
	s_cbranch_execz .LBB1954_111
; %bb.108:
	v_add_u32_e32 v26, 19, v65
	s_waitcnt lgkmcnt(0)
	v_mov_b32_e32 v34, v48
	v_mov_b32_e32 v35, v49
	v_cmp_gt_u32_e32 vcc, s62, v26
	v_and_b32_e32 v108, 0xffffff, v82
	v_mov_b32_e32 v27, 0
	v_mov_b32_e32 v26, 0
                                        ; implicit-def: $sgpr8_sgpr9
	s_and_saveexec_b64 s[56:57], vcc
	s_xor_b64 s[56:57], exec, s[56:57]
	s_cbranch_execz .LBB1954_110
; %bb.109:
	ds_read2_b64 v[26:29], v50 offset0:19 offset1:20
	v_cmp_ne_u32_e32 vcc, v4, v5
	v_add_u32_e32 v4, 20, v65
	v_cmp_gt_u32_e64 s[2:3], s62, v4
	s_and_b64 s[8:9], vcc, exec
	s_and_b64 s[2:3], s[2:3], exec
	s_waitcnt lgkmcnt(0)
	v_mov_b32_e32 v37, v27
	v_mov_b32_e32 v36, v26
	;; [unrolled: 1-line block ×3, first 2 shown]
.LBB1954_110:
	s_or_b64 exec, exec, s[56:57]
	s_and_b64 s[8:9], s[8:9], exec
	s_and_b64 s[2:3], s[2:3], exec
.LBB1954_111:
	s_or_b64 exec, exec, s[4:5]
	s_and_b64 s[58:59], s[8:9], exec
	s_and_b64 s[56:57], s[2:3], exec
	s_waitcnt lgkmcnt(0)
	v_mov_b32_e32 v51, v47
	v_mov_b32_e32 v50, v46
	;; [unrolled: 1-line block ×34, first 2 shown]
.LBB1954_112:
	s_or_b64 exec, exec, s[54:55]
	s_and_b64 s[4:5], s[58:59], exec
	s_and_b64 s[2:3], s[56:57], exec
	s_waitcnt lgkmcnt(0)
	v_mov_b32_e32 v109, v45
	v_mov_b32_e32 v110, v44
.LBB1954_113:
	s_or_b64 exec, exec, s[46:47]
	s_and_b64 s[4:5], s[4:5], exec
	s_and_b64 s[2:3], s[2:3], exec
.LBB1954_114:
	s_or_b64 exec, exec, s[44:45]
	s_and_b64 s[4:5], s[4:5], exec
	s_and_b64 s[2:3], s[2:3], exec
	v_mov_b32_e32 v111, v81
	s_waitcnt lgkmcnt(0)
	v_mov_b32_e32 v112, v41
	v_mov_b32_e32 v113, v40
.LBB1954_115:
	s_or_b64 exec, exec, s[42:43]
	s_and_b64 s[4:5], s[4:5], exec
	s_and_b64 s[2:3], s[2:3], exec
.LBB1954_116:
	s_or_b64 exec, exec, s[40:41]
	s_and_b64 s[42:43], s[4:5], exec
	s_and_b64 s[40:41], s[2:3], exec
	s_waitcnt lgkmcnt(0)
	v_mov_b32_e32 v114, v33
	v_mov_b32_e32 v115, v32
.LBB1954_117:
	s_or_b64 exec, exec, s[38:39]
	s_and_b64 s[4:5], s[42:43], exec
	s_and_b64 s[2:3], s[40:41], exec
.LBB1954_118:
	s_or_b64 exec, exec, s[36:37]
	s_and_b64 s[4:5], s[4:5], exec
	s_and_b64 s[2:3], s[2:3], exec
	s_waitcnt lgkmcnt(0)
	v_mov_b32_e32 v117, v25
	v_mov_b32_e32 v118, v24
.LBB1954_119:
	s_or_b64 exec, exec, s[34:35]
	s_and_b64 s[4:5], s[4:5], exec
	s_and_b64 s[2:3], s[2:3], exec
	v_mov_b32_e32 v116, v80
.LBB1954_120:
	s_or_b64 exec, exec, s[30:31]
	s_and_b64 s[4:5], s[4:5], exec
	s_and_b64 s[2:3], s[2:3], exec
	s_waitcnt lgkmcnt(0)
	v_mov_b32_e32 v119, v21
	v_mov_b32_e32 v120, v20
.LBB1954_121:
	s_or_b64 exec, exec, s[28:29]
	s_and_b64 s[30:31], s[4:5], exec
	s_and_b64 s[28:29], s[2:3], exec
.LBB1954_122:
	s_or_b64 exec, exec, s[26:27]
	s_and_b64 s[4:5], s[30:31], exec
	s_and_b64 s[2:3], s[28:29], exec
	s_waitcnt lgkmcnt(0)
	v_mov_b32_e32 v121, v17
	v_mov_b32_e32 v122, v16
.LBB1954_123:
	s_or_b64 exec, exec, s[24:25]
	s_and_b64 s[4:5], s[4:5], exec
	s_and_b64 s[2:3], s[2:3], exec
.LBB1954_124:
	s_or_b64 exec, exec, s[22:23]
	s_and_b64 s[4:5], s[4:5], exec
	s_and_b64 s[2:3], s[2:3], exec
	v_mov_b32_e32 v123, v1
	s_waitcnt lgkmcnt(0)
	v_mov_b32_e32 v124, v13
	v_mov_b32_e32 v125, v12
.LBB1954_125:
	s_or_b64 exec, exec, s[20:21]
	s_and_b64 s[4:5], s[4:5], exec
	s_and_b64 s[2:3], s[2:3], exec
.LBB1954_126:
	s_or_b64 exec, exec, s[18:19]
	s_and_b64 s[20:21], s[4:5], exec
	s_and_b64 s[18:19], s[2:3], exec
	s_waitcnt lgkmcnt(0)
	v_mov_b32_e32 v126, v9
	v_mov_b32_e32 v127, v8
.LBB1954_127:
	s_or_b64 exec, exec, s[16:17]
	s_and_b64 s[2:3], s[20:21], exec
	s_and_b64 s[4:5], s[18:19], exec
.LBB1954_128:
	s_or_b64 exec, exec, s[14:15]
	s_and_b64 s[2:3], s[2:3], exec
	s_and_b64 s[4:5], s[4:5], exec
.LBB1954_129:
	s_or_b64 exec, exec, s[12:13]
	s_mov_b32 s8, 0
	s_and_b64 vcc, exec, s[10:11]
	s_cbranch_vccnz .LBB1954_131
	s_branch .LBB1954_139
.LBB1954_130:
                                        ; kill: def $vgpr2_vgpr3 killed $sgpr0_sgpr1 killed $exec
                                        ; implicit-def: $sgpr2_sgpr3
                                        ; implicit-def: $vgpr1
                                        ; implicit-def: $vgpr80
                                        ; implicit-def: $vgpr81
                                        ; implicit-def: $vgpr82
                                        ; implicit-def: $vgpr28_vgpr29
                                        ; implicit-def: $vgpr37
                                        ; implicit-def: $vgpr51
                                        ; implicit-def: $vgpr105
                                        ; implicit-def: $vgpr55
                                        ; implicit-def: $vgpr59
                                        ; implicit-def: $vgpr63
                                        ; implicit-def: $vgpr107
                                        ; implicit-def: $vgpr67
                                        ; implicit-def: $vgpr71
                                        ; implicit-def: $vgpr106
                                        ; implicit-def: $vgpr75
                                        ; implicit-def: $vgpr79
                                        ; implicit-def: $vgpr5
                                        ; implicit-def: $vgpr104
                                        ; implicit-def: $vgpr123
                                        ; implicit-def: $vgpr116
                                        ; implicit-def: $vgpr111
                                        ; implicit-def: $vgpr108
                                        ; implicit-def: $sgpr8
                                        ; implicit-def: $sgpr61
                                        ; implicit-def: $vgpr47
                                        ; implicit-def: $vgpr109
                                        ; implicit-def: $vgpr110
                                        ; implicit-def: $vgpr43
                                        ; implicit-def: $vgpr112
                                        ; implicit-def: $vgpr113
                                        ; implicit-def: $vgpr39
                                        ; implicit-def: $vgpr114
                                        ; implicit-def: $vgpr115
                                        ; implicit-def: $vgpr31
                                        ; implicit-def: $vgpr117
                                        ; implicit-def: $vgpr118
                                        ; implicit-def: $vgpr23
                                        ; implicit-def: $vgpr119
                                        ; implicit-def: $vgpr120
                                        ; implicit-def: $vgpr19
                                        ; implicit-def: $vgpr121
                                        ; implicit-def: $vgpr122
                                        ; implicit-def: $vgpr15
                                        ; implicit-def: $vgpr124
                                        ; implicit-def: $vgpr125
                                        ; implicit-def: $vgpr11
                                        ; implicit-def: $vgpr126
                                        ; implicit-def: $vgpr127
                                        ; implicit-def: $vgpr7
	s_and_b64 vcc, exec, s[10:11]
	s_cbranch_vccz .LBB1954_139
.LBB1954_131:
	v_lshlrev_b32_e32 v1, 2, v0
	s_waitcnt lgkmcnt(0)
	v_mov_b32_e32 v3, s49
	v_add_co_u32_e32 v2, vcc, s48, v1
	v_addc_co_u32_e32 v3, vcc, 0, v3, vcc
	s_movk_i32 s2, 0x1000
	flat_load_dword v4, v[2:3]
	flat_load_dword v5, v[2:3] offset:256
	flat_load_dword v6, v[2:3] offset:512
	;; [unrolled: 1-line block ×15, first 2 shown]
	v_add_co_u32_e32 v2, vcc, s2, v2
	v_addc_co_u32_e32 v3, vcc, 0, v3, vcc
	flat_load_dword v20, v[2:3]
	flat_load_dword v21, v[2:3] offset:256
	flat_load_dword v22, v[2:3] offset:512
	;; [unrolled: 1-line block ×4, first 2 shown]
	s_movk_i32 s2, 0x50
	v_mad_u32_u24 v23, v0, s2, v1
	s_cmp_eq_u64 s[52:53], 0
	s_waitcnt vmcnt(0) lgkmcnt(0)
	ds_write2st64_b32 v1, v4, v5 offset1:1
	ds_write2st64_b32 v1, v6, v7 offset0:2 offset1:3
	ds_write2st64_b32 v1, v8, v9 offset0:4 offset1:5
	;; [unrolled: 1-line block ×9, first 2 shown]
	ds_write_b32 v1, v25 offset:5120
	s_waitcnt lgkmcnt(0)
	; wave barrier
	s_waitcnt lgkmcnt(0)
	ds_read2_b32 v[10:11], v23 offset0:7 offset1:8
	ds_read2_b32 v[8:9], v23 offset0:5 offset1:6
	ds_read2_b32 v[2:3], v23 offset0:2 offset1:3
	ds_read2_b32 v[6:7], v23 offset1:1
	ds_read2_b32 v[4:5], v23 offset0:4 offset1:9
	ds_read2_b32 v[16:17], v23 offset0:15 offset1:16
	ds_read_b32 v1, v23 offset:56
	ds_read2_b32 v[14:15], v23 offset0:12 offset1:13
	ds_read2_b32 v[12:13], v23 offset0:10 offset1:11
	;; [unrolled: 1-line block ×4, first 2 shown]
	s_cbranch_scc1 .LBB1954_136
; %bb.132:
	s_andn2_b64 vcc, exec, s[50:51]
	s_cbranch_vccnz .LBB1954_314
; %bb.133:
	v_readlane_b32 s8, v135, 0
	s_lshl_b64 s[2:3], s[52:53], 2
	v_readlane_b32 s14, v135, 6
	v_readlane_b32 s15, v135, 7
	s_add_u32 s2, s14, s2
	s_addc_u32 s3, s15, s3
	s_add_u32 s2, s2, -4
	s_addc_u32 s3, s3, -1
	v_readlane_b32 s9, v135, 1
	v_readlane_b32 s10, v135, 2
	;; [unrolled: 1-line block ×5, first 2 shown]
	s_cbranch_execnz .LBB1954_135
.LBB1954_134:
	s_add_u32 s2, s48, -4
	s_addc_u32 s3, s49, -1
.LBB1954_135:
	s_mov_b64 s[48:49], s[2:3]
.LBB1954_136:
	v_pk_mov_b32 v[24:25], s[48:49], s[48:49] op_sel:[0,1]
	flat_load_dword v22, v[24:25]
	s_movk_i32 s2, 0xffb0
	v_mad_i32_i24 v23, v0, s2, v23
	v_cmp_ne_u32_e32 vcc, 0, v0
	s_waitcnt lgkmcnt(0)
	ds_write_b32 v23, v21 offset:5376
	s_waitcnt lgkmcnt(0)
	; wave barrier
	s_waitcnt lgkmcnt(0)
	s_and_saveexec_b64 s[2:3], vcc
	s_cbranch_execz .LBB1954_138
; %bb.137:
	s_waitcnt vmcnt(0)
	ds_read_b32 v22, v23 offset:5372
.LBB1954_138:
	s_or_b64 exec, exec, s[2:3]
	v_lshlrev_b32_e32 v24, 3, v0
	v_mov_b32_e32 v25, s60
	v_add_co_u32_e32 v24, vcc, s7, v24
	v_addc_co_u32_e32 v25, vcc, 0, v25, vcc
	s_movk_i32 s2, 0x1000
	v_add_co_u32_e32 v42, vcc, s2, v24
	v_addc_co_u32_e32 v43, vcc, 0, v25, vcc
	s_movk_i32 s2, 0x2000
	s_waitcnt lgkmcnt(0)
	; wave barrier
	s_waitcnt lgkmcnt(0)
	flat_load_dwordx2 v[26:27], v[24:25]
	flat_load_dwordx2 v[28:29], v[24:25] offset:512
	flat_load_dwordx2 v[30:31], v[24:25] offset:1024
	;; [unrolled: 1-line block ×7, first 2 shown]
	v_add_co_u32_e32 v24, vcc, s2, v24
	v_addc_co_u32_e32 v25, vcc, 0, v25, vcc
	flat_load_dwordx2 v[44:45], v[42:43]
	flat_load_dwordx2 v[46:47], v[42:43] offset:512
	flat_load_dwordx2 v[48:49], v[42:43] offset:1024
	flat_load_dwordx2 v[50:51], v[42:43] offset:1536
	flat_load_dwordx2 v[52:53], v[42:43] offset:2048
	flat_load_dwordx2 v[54:55], v[42:43] offset:2560
	flat_load_dwordx2 v[56:57], v[42:43] offset:3072
	flat_load_dwordx2 v[58:59], v[42:43] offset:3584
	s_nop 0
	flat_load_dwordx2 v[42:43], v[24:25]
	flat_load_dwordx2 v[60:61], v[24:25] offset:512
	flat_load_dwordx2 v[62:63], v[24:25] offset:1024
	;; [unrolled: 1-line block ×4, first 2 shown]
	v_cmp_ne_u32_e32 vcc, v17, v18
	v_cmp_ne_u32_e64 s[2:3], v20, v21
	v_cndmask_b32_e64 v21, 0, 1, vcc
	v_cmp_ne_u32_e32 vcc, v16, v17
	v_cndmask_b32_e64 v17, 0, 1, vcc
	v_cmp_ne_u32_e32 vcc, v19, v20
	;; [unrolled: 2-line block ×8, first 2 shown]
	v_lshlrev_b16_e32 v16, 8, v16
	v_lshlrev_b16_e32 v1, 8, v1
	v_cndmask_b32_e64 v14, 0, 1, vcc
	v_cmp_ne_u32_e32 vcc, v5, v12
	v_or_b32_e32 v13, v13, v16
	v_or_b32_sdwa v1, v14, v1 dst_sel:WORD_1 dst_unused:UNUSED_PAD src0_sel:DWORD src1_sel:DWORD
	v_cndmask_b32_e64 v107, 0, 1, vcc
	v_cmp_ne_u32_e32 vcc, v9, v10
	v_or_b32_sdwa v81, v13, v1 dst_sel:DWORD dst_unused:UNUSED_PAD src0_sel:WORD_0 src1_sel:DWORD
	v_cndmask_b32_e64 v1, 0, 1, vcc
	v_cmp_ne_u32_e32 vcc, v8, v9
	v_cndmask_b32_e64 v9, 0, 1, vcc
	v_cmp_ne_u32_e32 vcc, v11, v5
	v_lshlrev_b16_e32 v1, 8, v1
	v_cndmask_b32_e64 v5, 0, 1, vcc
	v_cmp_ne_u32_e32 vcc, v10, v11
	v_or_b32_e32 v1, v9, v1
	v_lshlrev_b16_e32 v5, 8, v5
	v_cndmask_b32_e64 v9, 0, 1, vcc
	v_cmp_ne_u32_e32 vcc, v4, v8
	v_or_b32_sdwa v5, v9, v5 dst_sel:WORD_1 dst_unused:UNUSED_PAD src0_sel:DWORD src1_sel:DWORD
	v_cndmask_b32_e64 v106, 0, 1, vcc
	v_cmp_ne_u32_e32 vcc, v7, v2
	v_or_b32_sdwa v80, v1, v5 dst_sel:DWORD dst_unused:UNUSED_PAD src0_sel:WORD_0 src1_sel:DWORD
	v_cndmask_b32_e64 v1, 0, 1, vcc
	v_cmp_ne_u32_e32 vcc, v6, v7
	v_cndmask_b32_e64 v5, 0, 1, vcc
	v_cmp_ne_u32_e32 vcc, v3, v4
	;; [unrolled: 2-line block ×3, first 2 shown]
	v_lshlrev_b16_e32 v1, 8, v1
	v_lshlrev_b16_e32 v4, 8, v4
	v_cndmask_b32_e64 v2, 0, 1, vcc
	v_or_b32_e32 v1, v5, v1
	v_or_b32_sdwa v2, v2, v4 dst_sel:WORD_1 dst_unused:UNUSED_PAD src0_sel:DWORD src1_sel:DWORD
	v_or_b32_sdwa v1, v1, v2 dst_sel:DWORD dst_unused:UNUSED_PAD src0_sel:WORD_0 src1_sel:DWORD
	v_lshl_add_u32 v2, v0, 2, v23
	s_movk_i32 s4, 0xa0
	v_mad_u32_u24 v7, v0, s4, v2
	v_lshlrev_b16_e32 v21, 8, v21
	v_lshlrev_b16_e32 v20, 8, v20
	v_or_b32_e32 v17, v17, v21
	v_or_b32_sdwa v18, v18, v20 dst_sel:WORD_1 dst_unused:UNUSED_PAD src0_sel:DWORD src1_sel:DWORD
	s_waitcnt vmcnt(0)
	v_cmp_ne_u32_e32 vcc, v22, v6
	v_or_b32_sdwa v82, v17, v18 dst_sel:DWORD dst_unused:UNUSED_PAD src0_sel:WORD_0 src1_sel:DWORD
	v_cndmask_b32_e64 v104, 0, 1, vcc
	s_mov_b64 s[4:5], -1
                                        ; kill: def $vgpr6 killed $sgpr0 killed $exec
                                        ; implicit-def: $vgpr123
                                        ; implicit-def: $vgpr116
                                        ; implicit-def: $vgpr111
                                        ; implicit-def: $vgpr108
                                        ; implicit-def: $sgpr8
                                        ; implicit-def: $sgpr61
                                        ; implicit-def: $vgpr109
                                        ; implicit-def: $vgpr110
                                        ; implicit-def: $vgpr112
                                        ; implicit-def: $vgpr113
                                        ; implicit-def: $vgpr114
                                        ; implicit-def: $vgpr115
                                        ; implicit-def: $vgpr117
                                        ; implicit-def: $vgpr118
                                        ; implicit-def: $vgpr23
                                        ; implicit-def: $vgpr119
                                        ; implicit-def: $vgpr120
                                        ; implicit-def: $vgpr19
                                        ; implicit-def: $vgpr121
                                        ; implicit-def: $vgpr122
                                        ; implicit-def: $vgpr15
                                        ; implicit-def: $vgpr124
                                        ; implicit-def: $vgpr125
                                        ; implicit-def: $vgpr11
                                        ; implicit-def: $vgpr126
                                        ; implicit-def: $vgpr127
	s_waitcnt lgkmcnt(0)
	ds_write2st64_b64 v2, v[26:27], v[28:29] offset1:1
	ds_write2st64_b64 v2, v[30:31], v[32:33] offset0:2 offset1:3
	ds_write2st64_b64 v2, v[34:35], v[36:37] offset0:4 offset1:5
	;; [unrolled: 1-line block ×9, first 2 shown]
	ds_write_b64 v2, v[66:67] offset:10240
	s_waitcnt lgkmcnt(0)
	; wave barrier
	s_waitcnt lgkmcnt(0)
	ds_read2_b64 v[2:5], v7 offset1:1
	ds_read2_b64 v[76:79], v7 offset0:2 offset1:3
	ds_read2_b64 v[72:75], v7 offset0:4 offset1:5
	;; [unrolled: 1-line block ×9, first 2 shown]
	ds_read_b64 v[28:29], v7 offset:160
                                        ; implicit-def: $vgpr47
                                        ; implicit-def: $vgpr43
                                        ; implicit-def: $vgpr39
                                        ; implicit-def: $vgpr31
                                        ; implicit-def: $vgpr7
.LBB1954_139:
	v_mov_b32_e32 v25, s61
	v_mov_b32_e32 v33, s61
	v_mov_b32_e32 v40, s8
	s_and_saveexec_b64 s[8:9], s[4:5]
	s_cbranch_execz .LBB1954_141
; %bb.140:
	v_cndmask_b32_e64 v40, 0, 1, s[2:3]
	s_waitcnt lgkmcnt(0)
	v_mov_b32_e32 v6, v4
	v_mov_b32_e32 v7, v5
	;; [unrolled: 1-line block ×42, first 2 shown]
.LBB1954_141:
	s_or_b64 exec, exec, s[8:9]
	v_and_b32_e32 v41, 1, v106
	v_and_b32_e32 v128, 1, v107
	;; [unrolled: 1-line block ×4, first 2 shown]
	s_cmp_lg_u32 s6, 0
	v_lshrrev_b32_e32 v134, 8, v123
	v_lshrrev_b32_e32 v133, 8, v116
	;; [unrolled: 1-line block ×4, first 2 shown]
	v_cmp_eq_u32_e32 vcc, 1, v41
	v_cmp_eq_u32_e64 s[44:45], 1, v128
	v_cmp_eq_u32_e64 s[46:47], 1, v129
	;; [unrolled: 1-line block ×3, first 2 shown]
	s_waitcnt lgkmcnt(1)
	v_mbcnt_lo_u32_b32 v37, -1, 0
	s_waitcnt lgkmcnt(0)
	; wave barrier
	s_waitcnt lgkmcnt(0)
	s_cbranch_scc0 .LBB1954_200
; %bb.142:
	v_mov_b32_e32 v1, 0
	v_cmp_eq_u16_sdwa s[2:3], v123, v1 src0_sel:BYTE_0 src1_sel:DWORD
	v_cndmask_b32_e64 v4, 0, v2, s[2:3]
	s_movk_i32 s7, 0xff
	v_add_u32_e32 v4, v4, v6
	v_cndmask_b32_e64 v5, 0, v3, s[2:3]
	v_cmp_eq_u16_sdwa s[4:5], v134, v1 src0_sel:BYTE_0 src1_sel:DWORD
	v_add_u32_e32 v5, v5, v7
	v_cndmask_b32_e64 v4, 0, v4, s[4:5]
	v_and_b32_sdwa v8, v123, s7 dst_sel:DWORD dst_unused:UNUSED_PAD src0_sel:WORD_1 src1_sel:DWORD
	v_add_u32_e32 v4, v4, v127
	v_cndmask_b32_e64 v5, 0, v5, s[4:5]
	v_cmp_eq_u16_e64 s[50:51], 0, v8
	v_add_u32_e32 v5, v5, v126
	v_cndmask_b32_e64 v4, 0, v4, s[50:51]
	v_add_u32_e32 v4, v4, v10
	v_cndmask_b32_e64 v5, 0, v5, s[50:51]
	v_cmp_eq_u16_sdwa s[8:9], v123, v1 src0_sel:BYTE_3 src1_sel:DWORD
	v_add_u32_e32 v5, v5, v11
	v_cndmask_b32_e64 v4, 0, v4, s[8:9]
	v_add_u32_e32 v4, v4, v125
	v_cndmask_b32_e64 v5, 0, v5, s[8:9]
	v_cmp_eq_u16_sdwa s[10:11], v106, v1 src0_sel:BYTE_0 src1_sel:DWORD
	v_add_u32_e32 v5, v5, v124
	v_cndmask_b32_e64 v4, 0, v4, s[10:11]
	v_add_u32_e32 v4, v4, v14
	v_cndmask_b32_e64 v5, 0, v5, s[10:11]
	v_cmp_eq_u16_sdwa s[12:13], v116, v1 src0_sel:BYTE_0 src1_sel:DWORD
	;; [unrolled: 5-line block ×3, first 2 shown]
	v_add_u32_e32 v5, v5, v121
	v_cndmask_b32_e64 v4, 0, v4, s[14:15]
	v_and_b32_sdwa v8, v116, s7 dst_sel:DWORD dst_unused:UNUSED_PAD src0_sel:WORD_1 src1_sel:DWORD
	v_add_u32_e32 v4, v4, v18
	v_cndmask_b32_e64 v5, 0, v5, s[14:15]
	v_cmp_eq_u16_e64 s[16:17], 0, v8
	v_add_u32_e32 v5, v5, v19
	v_cndmask_b32_e64 v4, 0, v4, s[16:17]
	v_add_u32_e32 v4, v4, v120
	v_cndmask_b32_e64 v5, 0, v5, s[16:17]
	v_cmp_eq_u16_sdwa s[18:19], v116, v1 src0_sel:BYTE_3 src1_sel:DWORD
	v_add_u32_e32 v5, v5, v119
	v_cndmask_b32_e64 v4, 0, v4, s[18:19]
	v_add_u32_e32 v4, v4, v22
	v_cndmask_b32_e64 v5, 0, v5, s[18:19]
	v_cmp_eq_u16_sdwa s[20:21], v107, v1 src0_sel:BYTE_0 src1_sel:DWORD
	v_add_u32_e32 v5, v5, v23
	v_cndmask_b32_e64 v4, 0, v4, s[20:21]
	v_add_u32_e32 v4, v4, v118
	v_cndmask_b32_e64 v5, 0, v5, s[20:21]
	v_cmp_eq_u16_sdwa s[22:23], v111, v1 src0_sel:BYTE_0 src1_sel:DWORD
	v_add_u32_e32 v5, v5, v117
	v_cndmask_b32_e64 v4, 0, v4, s[22:23]
	v_add_u32_e32 v4, v4, v30
	v_cndmask_b32_e64 v5, 0, v5, s[22:23]
	v_cmp_eq_u16_sdwa s[24:25], v132, v1 src0_sel:BYTE_0 src1_sel:DWORD
	v_add_u32_e32 v5, v5, v31
	v_cndmask_b32_e64 v4, 0, v4, s[24:25]
	v_and_b32_sdwa v8, v111, s7 dst_sel:DWORD dst_unused:UNUSED_PAD src0_sel:WORD_1 src1_sel:DWORD
	v_add_u32_e32 v4, v4, v115
	v_cndmask_b32_e64 v5, 0, v5, s[24:25]
	v_cmp_eq_u16_e64 s[26:27], 0, v8
	v_add_u32_e32 v5, v5, v114
	v_cndmask_b32_e64 v4, 0, v4, s[26:27]
	v_add_u32_e32 v4, v4, v38
	v_cndmask_b32_e64 v5, 0, v5, s[26:27]
	v_cmp_eq_u16_sdwa s[28:29], v111, v1 src0_sel:BYTE_3 src1_sel:DWORD
	v_add_u32_e32 v5, v5, v39
	v_cndmask_b32_e64 v4, 0, v4, s[28:29]
	v_and_b32_sdwa v8, v108, s7 dst_sel:DWORD dst_unused:UNUSED_PAD src0_sel:WORD_1 src1_sel:DWORD
	v_add_u32_e32 v4, v4, v113
	v_cndmask_b32_e64 v5, 0, v5, s[28:29]
	v_cmp_eq_u16_sdwa s[30:31], v105, v1 src0_sel:BYTE_0 src1_sel:DWORD
	v_cmp_eq_u16_e64 s[38:39], 0, v8
	v_and_b32_e32 v8, 1, v123
	v_add_u32_e32 v5, v5, v112
	v_cndmask_b32_e64 v4, 0, v4, s[30:31]
	v_cmp_eq_u32_e64 s[54:55], 1, v8
	v_and_b32_e32 v8, 0x100, v123
	v_add_u32_e32 v4, v4, v42
	v_cndmask_b32_e64 v5, 0, v5, s[30:31]
	v_cmp_eq_u16_sdwa s[34:35], v108, v1 src0_sel:BYTE_0 src1_sel:DWORD
	v_cmp_ne_u32_e64 s[56:57], 0, v8
	v_and_b32_e32 v8, 0x10000, v123
	v_add_u32_e32 v5, v5, v43
	v_cndmask_b32_e64 v4, 0, v4, s[34:35]
	v_cmp_ne_u32_e64 s[58:59], 0, v8
	v_and_b32_e32 v8, 0x1000000, v123
	v_add_u32_e32 v4, v4, v110
	v_cndmask_b32_e64 v5, 0, v5, s[34:35]
	v_cmp_eq_u16_sdwa s[36:37], v131, v1 src0_sel:BYTE_0 src1_sel:DWORD
	v_cmp_ne_u32_e64 s[60:61], 0, v8
	v_and_b32_e32 v8, 1, v116
	v_add_u32_e32 v5, v5, v109
	v_cndmask_b32_e64 v4, 0, v4, s[36:37]
	v_cmp_eq_u32_e64 s[62:63], 1, v8
	v_and_b32_e32 v8, 0x100, v116
	v_add_u32_e32 v4, v4, v46
	v_cndmask_b32_e64 v5, 0, v5, s[36:37]
	v_cmp_ne_u32_e64 s[64:65], 0, v8
	v_and_b32_e32 v8, 0x10000, v116
	v_add_u32_e32 v5, v5, v47
	v_cndmask_b32_e64 v4, 0, v4, s[38:39]
	v_cmp_ne_u32_e64 s[66:67], 0, v8
	v_and_b32_e32 v8, 0x1000000, v116
	v_add_u32_e32 v4, v4, v34
	v_cndmask_b32_e64 v5, 0, v5, s[38:39]
	v_cmp_eq_u16_sdwa s[40:41], v108, v1 src0_sel:BYTE_3 src1_sel:DWORD
	v_cmp_ne_u32_e64 s[68:69], 0, v8
	v_and_b32_e32 v8, 1, v111
	v_add_u32_e32 v5, v5, v35
	v_cndmask_b32_e64 v4, 0, v4, s[40:41]
	v_cmp_eq_u32_e64 s[70:71], 1, v8
	v_and_b32_e32 v8, 0x100, v111
	v_add_u32_e32 v4, v4, v26
	v_cndmask_b32_e64 v5, 0, v5, s[40:41]
	v_cmp_eq_u16_sdwa s[42:43], v40, v1 src0_sel:BYTE_0 src1_sel:DWORD
	v_cmp_ne_u32_e64 s[72:73], 0, v8
	v_and_b32_e32 v8, 0x10000, v111
	v_add_u32_e32 v5, v5, v27
	v_cndmask_b32_e64 v1, 0, v4, s[42:43]
	v_cmp_ne_u32_e64 s[74:75], 0, v8
	v_and_b32_e32 v8, 0x1000000, v111
	v_add_u32_e32 v4, v1, v25
	v_cndmask_b32_e64 v1, 0, v5, s[42:43]
	v_cmp_ne_u32_e64 s[76:77], 0, v8
	v_and_b32_e32 v8, 1, v108
	v_add_u32_e32 v5, v1, v33
	v_and_b32_e32 v1, 0x1000000, v108
	v_cmp_eq_u32_e64 s[78:79], 1, v8
	v_and_b32_e32 v8, 0x100, v108
	v_cmp_ne_u32_e64 s[52:53], 0, v1
	v_cmp_ne_u32_e64 s[80:81], 0, v8
	v_and_b32_e32 v8, 0x10000, v108
	v_cmp_ne_u32_e64 s[82:83], 0, v8
	s_or_b64 s[48:49], s[48:49], s[52:53]
	s_or_b64 s[48:49], s[48:49], s[82:83]
	;; [unrolled: 1-line block ×14, first 2 shown]
	s_or_b64 s[44:45], s[44:45], vcc
	s_or_b64 s[44:45], s[44:45], s[60:61]
	s_or_b64 s[44:45], s[44:45], s[58:59]
	;; [unrolled: 1-line block ×3, first 2 shown]
	v_and_b32_e32 v1, 0xff, v104
	s_or_b64 s[44:45], s[44:45], s[54:55]
	v_mbcnt_hi_u32_b32 v9, -1, v37
	v_cndmask_b32_e64 v1, v1, 1, s[44:45]
	v_and_b32_e32 v8, 15, v9
	v_mov_b32_dpp v12, v4 row_shr:1 row_mask:0xf bank_mask:0xf
	v_mov_b32_dpp v13, v5 row_shr:1 row_mask:0xf bank_mask:0xf
	;; [unrolled: 1-line block ×3, first 2 shown]
	v_cmp_ne_u32_e32 vcc, 0, v8
	s_and_saveexec_b64 s[44:45], vcc
; %bb.143:
	v_cmp_eq_u32_e32 vcc, 0, v1
	v_cndmask_b32_e32 v12, 0, v12, vcc
	v_add_u32_e32 v4, v12, v4
	v_cndmask_b32_e32 v12, 0, v13, vcc
	v_add_u32_e32 v5, v12, v5
	v_and_or_b32 v1, v16, 1, v1
; %bb.144:
	s_or_b64 exec, exec, s[44:45]
	v_mov_b32_dpp v13, v4 row_shr:2 row_mask:0xf bank_mask:0xf
	v_mov_b32_dpp v16, v5 row_shr:2 row_mask:0xf bank_mask:0xf
	v_mov_b32_dpp v12, v1 row_shr:2 row_mask:0xf bank_mask:0xf
	v_cmp_lt_u32_e32 vcc, 1, v8
	s_and_saveexec_b64 s[44:45], vcc
; %bb.145:
	v_add_u32_e32 v13, v13, v4
	v_add_u32_e32 v16, v16, v5
	v_cmp_eq_u32_e32 vcc, 0, v1
	v_or_b32_e32 v1, v12, v1
	v_cndmask_b32_e32 v4, v4, v13, vcc
	v_cndmask_b32_e32 v5, v5, v16, vcc
	v_and_b32_e32 v1, 1, v1
; %bb.146:
	s_or_b64 exec, exec, s[44:45]
	v_mov_b32_dpp v13, v4 row_shr:4 row_mask:0xf bank_mask:0xf
	v_mov_b32_dpp v16, v5 row_shr:4 row_mask:0xf bank_mask:0xf
	v_mov_b32_dpp v12, v1 row_shr:4 row_mask:0xf bank_mask:0xf
	v_cmp_lt_u32_e32 vcc, 3, v8
	s_and_saveexec_b64 s[44:45], vcc
; %bb.147:
	v_add_u32_e32 v13, v13, v4
	v_add_u32_e32 v16, v16, v5
	v_cmp_eq_u32_e32 vcc, 0, v1
	v_or_b32_e32 v1, v12, v1
	v_cndmask_b32_e32 v4, v4, v13, vcc
	v_cndmask_b32_e32 v5, v5, v16, vcc
	v_and_b32_e32 v1, 1, v1
	;; [unrolled: 15-line block ×3, first 2 shown]
; %bb.150:
	s_or_b64 exec, exec, s[44:45]
	v_and_b32_e32 v16, 16, v9
	v_mov_b32_dpp v12, v4 row_bcast:15 row_mask:0xf bank_mask:0xf
	v_mov_b32_dpp v13, v5 row_bcast:15 row_mask:0xf bank_mask:0xf
	;; [unrolled: 1-line block ×3, first 2 shown]
	v_cmp_ne_u32_e32 vcc, 0, v16
	s_and_saveexec_b64 s[44:45], vcc
; %bb.151:
	v_add_u32_e32 v12, v12, v4
	v_add_u32_e32 v13, v13, v5
	v_cmp_eq_u32_e32 vcc, 0, v1
	v_or_b32_e32 v1, v8, v1
	v_cndmask_b32_e32 v4, v4, v12, vcc
	v_cndmask_b32_e32 v5, v5, v13, vcc
	v_and_b32_e32 v1, 1, v1
; %bb.152:
	s_or_b64 exec, exec, s[44:45]
	v_mov_b32_dpp v12, v4 row_bcast:31 row_mask:0xf bank_mask:0xf
	v_mov_b32_dpp v13, v5 row_bcast:31 row_mask:0xf bank_mask:0xf
	;; [unrolled: 1-line block ×3, first 2 shown]
	v_cmp_lt_u32_e32 vcc, 31, v9
	s_and_saveexec_b64 s[44:45], vcc
; %bb.153:
	v_add_u32_e32 v12, v12, v4
	v_add_u32_e32 v13, v13, v5
	v_cmp_eq_u32_e32 vcc, 0, v1
	v_or_b32_e32 v1, v8, v1
	v_cndmask_b32_e32 v4, v4, v12, vcc
	v_cndmask_b32_e32 v5, v5, v13, vcc
	v_and_b32_e32 v1, 1, v1
; %bb.154:
	s_or_b64 exec, exec, s[44:45]
	v_cmp_eq_u32_e32 vcc, 63, v0
	s_and_saveexec_b64 s[44:45], vcc
	s_cbranch_execz .LBB1954_156
; %bb.155:
	v_mov_b32_e32 v8, 0
	ds_write_b64 v8, v[4:5]
	ds_write_b8 v8, v1 offset:8
.LBB1954_156:
	s_or_b64 exec, exec, s[44:45]
	v_add_u32_e32 v8, -1, v9
	v_and_b32_e32 v12, 64, v9
	v_cmp_lt_i32_e32 vcc, v8, v12
	v_cndmask_b32_e32 v8, v8, v9, vcc
	v_lshlrev_b32_e32 v8, 2, v8
	ds_bpermute_b32 v52, v8, v4
	ds_bpermute_b32 v45, v8, v5
	;; [unrolled: 1-line block ×3, first 2 shown]
	v_cmp_gt_u32_e32 vcc, 64, v0
	s_waitcnt lgkmcnt(0)
	; wave barrier
	s_waitcnt lgkmcnt(0)
	s_and_saveexec_b64 s[48:49], vcc
	s_cbranch_execz .LBB1954_197
; %bb.157:
	v_mov_b32_e32 v13, 0
	ds_read_b64 v[4:5], v13
	ds_read_b32 v53, v13 offset:8
	s_mov_b32 s53, 0
	v_cmp_eq_u32_e64 s[44:45], 0, v9
	s_waitcnt lgkmcnt(1)
	v_readfirstlane_b32 s7, v5
	s_and_saveexec_b64 s[46:47], s[44:45]
	s_cbranch_execz .LBB1954_159
; %bb.158:
	s_add_i32 s52, s6, 64
	s_lshl_b64 s[54:55], s[52:53], 4
	s_add_u32 s54, s88, s54
	s_waitcnt lgkmcnt(0)
	v_and_b32_e32 v8, 0xff00, v53
	s_addc_u32 s55, s89, s55
	v_and_b32_e32 v5, 0xff0000, v53
	v_or_b32_sdwa v8, v8, v53 dst_sel:DWORD dst_unused:UNUSED_PAD src0_sel:DWORD src1_sel:BYTE_0
	s_and_b32 s57, s7, 0xff000000
	s_mov_b32 s56, s53
	s_and_b32 s59, s7, 0xff0000
	s_mov_b32 s58, s53
	v_and_b32_e32 v1, 0xff000000, v53
	v_or_b32_e32 v5, v8, v5
	s_and_b32 s61, s7, 0xff00
	s_mov_b32 s60, s53
	s_and_b32 s62, s7, 0xff
	s_or_b64 s[52:53], s[56:57], s[58:59]
	v_or_b32_e32 v50, v5, v1
	s_or_b64 s[52:53], s[52:53], s[60:61]
	v_mov_b32_e32 v1, s62
	v_or_b32_e32 v48, s52, v4
	v_or_b32_e32 v49, s53, v1
	v_mov_b32_e32 v51, 1
	v_pk_mov_b32 v[16:17], s[54:55], s[54:55] op_sel:[0,1]
	;;#ASMSTART
	global_store_dwordx4 v[16:17], v[48:51] off	
s_waitcnt vmcnt(0)
	;;#ASMEND
.LBB1954_159:
	s_or_b64 exec, exec, s[46:47]
	v_xad_u32 v8, v9, -1, s6
	v_add_u32_e32 v12, 64, v8
	v_lshlrev_b64 v[16:17], 4, v[12:13]
	v_mov_b32_e32 v1, s89
	v_add_co_u32_e32 v20, vcc, s88, v16
	v_addc_co_u32_e32 v21, vcc, v1, v17, vcc
	;;#ASMSTART
	global_load_dwordx4 v[48:51], v[20:21] off glc	
s_waitcnt vmcnt(0)
	;;#ASMEND
	v_lshlrev_b64 v[54:55], 24, v[50:51]
	v_lshrrev_b32_e32 v1, 8, v49
	v_or_b32_e32 v16, v1, v54
	v_lshlrev_b64 v[54:55], 16, v[50:51]
	v_or_b32_sdwa v24, v49, v54 dst_sel:DWORD dst_unused:UNUSED_PAD src0_sel:WORD_1 src1_sel:DWORD
	v_lshlrev_b64 v[54:55], 8, v[50:51]
	v_alignbit_b32 v5, v49, v48, 8
	v_alignbit_b32 v29, v49, v48, 16
	;; [unrolled: 1-line block ×3, first 2 shown]
	v_mov_b32_e32 v12, v49
	v_or_b32_sdwa v28, v49, v54 dst_sel:DWORD dst_unused:UNUSED_PAD src0_sel:BYTE_3 src1_sel:DWORD
	v_cmp_eq_u16_sdwa s[52:53], v51, v13 src0_sel:BYTE_0 src1_sel:DWORD
	s_and_saveexec_b64 s[46:47], s[52:53]
	s_cbranch_execz .LBB1954_163
; %bb.160:
	s_mov_b64 s[52:53], 0
	v_mov_b32_e32 v1, 0
.LBB1954_161:                           ; =>This Inner Loop Header: Depth=1
	;;#ASMSTART
	global_load_dwordx4 v[48:51], v[20:21] off glc	
s_waitcnt vmcnt(0)
	;;#ASMEND
	v_cmp_ne_u16_sdwa s[54:55], v51, v1 src0_sel:BYTE_0 src1_sel:DWORD
	s_or_b64 s[52:53], s[54:55], s[52:53]
	s_andn2_b64 exec, exec, s[52:53]
	s_cbranch_execnz .LBB1954_161
; %bb.162:
	s_or_b64 exec, exec, s[52:53]
	v_lshlrev_b64 v[20:21], 24, v[50:51]
	v_lshrrev_b32_e32 v1, 8, v49
	v_or_b32_e32 v16, v1, v20
	v_lshlrev_b64 v[20:21], 16, v[50:51]
	v_or_b32_sdwa v24, v49, v20 dst_sel:DWORD dst_unused:UNUSED_PAD src0_sel:WORD_1 src1_sel:DWORD
	v_lshlrev_b64 v[20:21], 8, v[50:51]
	v_alignbit_b32 v5, v49, v48, 8
	v_alignbit_b32 v29, v49, v48, 16
	;; [unrolled: 1-line block ×3, first 2 shown]
	v_mov_b32_e32 v12, v49
	v_or_b32_sdwa v28, v49, v20 dst_sel:DWORD dst_unused:UNUSED_PAD src0_sel:BYTE_3 src1_sel:DWORD
.LBB1954_163:
	s_or_b64 exec, exec, s[46:47]
	v_lshlrev_b32_e32 v13, 16, v24
	v_lshlrev_b32_e32 v1, 24, v28
	v_and_b32_e32 v13, 0xff0000, v13
	v_or_b32_e32 v1, v13, v1
	v_lshlrev_b32_e32 v13, 8, v16
	v_and_b32_e32 v13, 0xff00, v13
	v_and_b32_e32 v12, 0xff, v12
	v_or3_b32 v1, v1, v13, v12
	v_lshlrev_b32_e32 v12, 16, v29
	s_mov_b32 s46, 0x4020c0c
	v_lshlrev_b32_e32 v5, 8, v5
	v_perm_b32 v12, v17, v12, s46
	s_mov_b32 s46, 0xc0c0500
	v_perm_b32 v5, v5, v48, s46
	v_or_b32_e32 v20, v5, v12
	v_mov_b32_e32 v5, 2
	v_cmp_eq_u16_sdwa s[46:47], v51, v5 src0_sel:BYTE_0 src1_sel:DWORD
	v_lshlrev_b64 v[12:13], v9, -1
	v_and_b32_e32 v5, s47, v13
	v_or_b32_e32 v5, 0x80000000, v5
	v_ffbl_b32_e32 v29, v5
	v_and_b32_e32 v5, 63, v9
	v_cmp_ne_u32_e32 vcc, 63, v5
	v_addc_co_u32_e32 v17, vcc, 0, v9, vcc
	v_and_b32_e32 v24, 0xff, v50
	v_lshlrev_b32_e32 v54, 2, v17
	ds_bpermute_b32 v28, v54, v20
	ds_bpermute_b32 v21, v54, v1
	ds_bpermute_b32 v17, v54, v24
	v_and_b32_e32 v16, s46, v12
	v_add_u32_e32 v29, 32, v29
	v_ffbl_b32_e32 v16, v16
	v_min_u32_e32 v16, v16, v29
	v_cmp_lt_u32_e32 vcc, v5, v16
	s_and_saveexec_b64 s[46:47], vcc
	s_cbranch_execz .LBB1954_165
; %bb.164:
	v_mov_b32_e32 v24, 0
	v_cmp_eq_u16_sdwa vcc, v50, v24 src0_sel:BYTE_0 src1_sel:DWORD
	s_waitcnt lgkmcnt(0)
	v_or_b32_e32 v17, v50, v17
	v_cndmask_b32_e32 v24, 0, v28, vcc
	v_cndmask_b32_e32 v21, 0, v21, vcc
	v_and_b32_e32 v50, 1, v17
	v_add_u32_e32 v20, v24, v20
	v_add_u32_e32 v1, v21, v1
	v_and_b32_e32 v24, 0xffff, v50
.LBB1954_165:
	s_or_b64 exec, exec, s[46:47]
	v_cmp_gt_u32_e32 vcc, 62, v5
	s_waitcnt lgkmcnt(0)
	v_cndmask_b32_e64 v17, 0, 1, vcc
	v_lshlrev_b32_e32 v17, 1, v17
	v_add_lshl_u32 v55, v17, v9, 2
	ds_bpermute_b32 v21, v55, v20
	ds_bpermute_b32 v28, v55, v1
	ds_bpermute_b32 v17, v55, v24
	v_add_u32_e32 v56, 2, v5
	v_cmp_le_u32_e32 vcc, v56, v16
	s_and_saveexec_b64 s[46:47], vcc
	s_cbranch_execz .LBB1954_167
; %bb.166:
	v_mov_b32_e32 v24, 0
	s_waitcnt lgkmcnt(0)
	v_or_b32_e32 v17, v17, v50
	v_add_u32_e32 v21, v21, v20
	v_add_u32_e32 v28, v28, v1
	v_cmp_eq_u16_sdwa vcc, v50, v24 src0_sel:BYTE_0 src1_sel:DWORD
	v_and_b32_e32 v24, 1, v17
	v_cndmask_b32_e32 v20, v20, v21, vcc
	v_cndmask_b32_e32 v1, v1, v28, vcc
	v_mov_b32_e32 v50, v24
.LBB1954_167:
	s_or_b64 exec, exec, s[46:47]
	v_cmp_gt_u32_e32 vcc, 60, v5
	s_waitcnt lgkmcnt(0)
	v_cndmask_b32_e64 v17, 0, 1, vcc
	v_lshlrev_b32_e32 v17, 2, v17
	v_add_lshl_u32 v57, v17, v9, 2
	ds_bpermute_b32 v21, v57, v20
	ds_bpermute_b32 v28, v57, v1
	ds_bpermute_b32 v17, v57, v24
	v_add_u32_e32 v58, 4, v5
	v_cmp_le_u32_e32 vcc, v58, v16
	s_and_saveexec_b64 s[46:47], vcc
	s_cbranch_execz .LBB1954_169
; %bb.168:
	v_mov_b32_e32 v24, 0
	s_waitcnt lgkmcnt(0)
	v_or_b32_e32 v17, v17, v50
	v_add_u32_e32 v21, v21, v20
	v_add_u32_e32 v28, v28, v1
	v_cmp_eq_u16_sdwa vcc, v50, v24 src0_sel:BYTE_0 src1_sel:DWORD
	v_and_b32_e32 v24, 1, v17
	v_cndmask_b32_e32 v20, v20, v21, vcc
	v_cndmask_b32_e32 v1, v1, v28, vcc
	v_mov_b32_e32 v50, v24
.LBB1954_169:
	;; [unrolled: 25-line block ×4, first 2 shown]
	s_or_b64 exec, exec, s[46:47]
	v_cmp_gt_u32_e32 vcc, 32, v5
	s_waitcnt lgkmcnt(0)
	v_cndmask_b32_e64 v17, 0, 1, vcc
	v_lshlrev_b32_e32 v17, 5, v17
	v_add_lshl_u32 v64, v17, v9, 2
	ds_bpermute_b32 v17, v64, v20
	ds_bpermute_b32 v21, v64, v1
	;; [unrolled: 1-line block ×3, first 2 shown]
	v_add_u32_e32 v65, 32, v5
	v_cmp_le_u32_e32 vcc, v65, v16
	s_and_saveexec_b64 s[46:47], vcc
	s_cbranch_execz .LBB1954_175
; %bb.174:
	v_mov_b32_e32 v16, 0
	s_waitcnt lgkmcnt(2)
	v_add_u32_e32 v17, v17, v20
	s_waitcnt lgkmcnt(1)
	v_add_u32_e32 v21, v21, v1
	v_cmp_eq_u16_sdwa vcc, v50, v16 src0_sel:BYTE_0 src1_sel:DWORD
	s_waitcnt lgkmcnt(0)
	v_or_b32_e32 v9, v9, v50
	v_cndmask_b32_e32 v20, v20, v17, vcc
	v_cndmask_b32_e32 v1, v1, v21, vcc
	v_and_b32_e32 v24, 1, v9
.LBB1954_175:
	s_or_b64 exec, exec, s[46:47]
	s_movk_i32 s54, 0xff
	s_waitcnt lgkmcnt(0)
	v_mov_b32_e32 v9, 0
	s_mov_b32 s55, 0x4020c0c
	s_mov_b32 s56, 0xc0c0500
	v_mov_b32_e32 v66, 2
	s_branch .LBB1954_177
.LBB1954_176:                           ;   in Loop: Header=BB1954_177 Depth=1
	s_or_b64 exec, exec, s[46:47]
	s_waitcnt lgkmcnt(0)
	ds_bpermute_b32 v28, v64, v20
	ds_bpermute_b32 v29, v64, v1
	;; [unrolled: 1-line block ×3, first 2 shown]
	v_cmp_eq_u16_sdwa vcc, v50, v9 src0_sel:BYTE_0 src1_sel:DWORD
	v_subrev_u32_e32 v8, 64, v8
	s_waitcnt lgkmcnt(2)
	v_add_u32_e32 v28, v28, v20
	s_waitcnt lgkmcnt(1)
	v_add_u32_e32 v29, v29, v1
	v_cndmask_b32_e32 v28, v20, v28, vcc
	v_cndmask_b32_e32 v29, v1, v29, vcc
	s_waitcnt lgkmcnt(0)
	v_and_or_b32 v32, v50, s54, v32
	v_cmp_gt_u32_e32 vcc, v65, v21
	v_cndmask_b32_e32 v21, v32, v24, vcc
	v_cndmask_b32_e32 v20, v28, v20, vcc
	;; [unrolled: 1-line block ×3, first 2 shown]
	v_cmp_eq_u16_sdwa vcc, v63, v9 src0_sel:BYTE_0 src1_sel:DWORD
	v_and_b32_e32 v24, 1, v63
	v_and_b32_e32 v21, 1, v21
	v_cndmask_b32_e32 v20, 0, v20, vcc
	v_cndmask_b32_e32 v1, 0, v1, vcc
	v_cmp_eq_u32_e32 vcc, 1, v24
	v_cmp_eq_u32_e64 s[46:47], 1, v21
	s_or_b64 s[46:47], vcc, s[46:47]
	v_add_u32_e32 v20, v20, v16
	v_add_u32_e32 v1, v1, v17
	v_cndmask_b32_e64 v24, 0, 1, s[46:47]
.LBB1954_177:                           ; =>This Loop Header: Depth=1
                                        ;     Child Loop BB1954_180 Depth 2
	v_cmp_ne_u16_sdwa s[46:47], v51, v66 src0_sel:BYTE_0 src1_sel:DWORD
	v_mov_b32_e32 v17, v1
	v_cndmask_b32_e64 v1, 0, 1, s[46:47]
	;;#ASMSTART
	;;#ASMEND
	v_cmp_ne_u32_e32 vcc, 0, v1
	v_mov_b32_e32 v63, v24
	s_cmp_lg_u64 vcc, exec
	v_mov_b32_e32 v16, v20
	s_cbranch_scc1 .LBB1954_192
; %bb.178:                              ;   in Loop: Header=BB1954_177 Depth=1
	v_lshlrev_b64 v[20:21], 4, v[8:9]
	v_mov_b32_e32 v1, s89
	v_add_co_u32_e32 v28, vcc, s88, v20
	v_addc_co_u32_e32 v29, vcc, v1, v21, vcc
	;;#ASMSTART
	global_load_dwordx4 v[48:51], v[28:29] off glc	
s_waitcnt vmcnt(0)
	;;#ASMEND
	v_lshlrev_b64 v[70:71], 24, v[50:51]
	v_lshrrev_b32_e32 v1, 8, v49
	v_or_b32_e32 v24, v1, v70
	v_lshlrev_b64 v[70:71], 16, v[50:51]
	v_or_b32_sdwa v32, v49, v70 dst_sel:DWORD dst_unused:UNUSED_PAD src0_sel:WORD_1 src1_sel:DWORD
	v_lshlrev_b64 v[70:71], 8, v[50:51]
	v_alignbit_b32 v21, v49, v48, 8
	v_alignbit_b32 v67, v49, v48, 16
	v_alignbit_b32 v68, v49, v48, 24
	v_mov_b32_e32 v20, v49
	v_or_b32_sdwa v36, v49, v70 dst_sel:DWORD dst_unused:UNUSED_PAD src0_sel:BYTE_3 src1_sel:DWORD
	v_cmp_eq_u16_sdwa s[52:53], v51, v9 src0_sel:BYTE_0 src1_sel:DWORD
	s_and_saveexec_b64 s[46:47], s[52:53]
	s_cbranch_execz .LBB1954_182
; %bb.179:                              ;   in Loop: Header=BB1954_177 Depth=1
	s_mov_b64 s[52:53], 0
.LBB1954_180:                           ;   Parent Loop BB1954_177 Depth=1
                                        ; =>  This Inner Loop Header: Depth=2
	;;#ASMSTART
	global_load_dwordx4 v[48:51], v[28:29] off glc	
s_waitcnt vmcnt(0)
	;;#ASMEND
	v_cmp_ne_u16_sdwa s[58:59], v51, v9 src0_sel:BYTE_0 src1_sel:DWORD
	s_or_b64 s[52:53], s[58:59], s[52:53]
	s_andn2_b64 exec, exec, s[52:53]
	s_cbranch_execnz .LBB1954_180
; %bb.181:                              ;   in Loop: Header=BB1954_177 Depth=1
	s_or_b64 exec, exec, s[52:53]
	v_lshlrev_b64 v[28:29], 24, v[50:51]
	v_lshrrev_b32_e32 v1, 8, v49
	v_or_b32_e32 v24, v1, v28
	v_lshlrev_b64 v[28:29], 16, v[50:51]
	v_or_b32_sdwa v32, v49, v28 dst_sel:DWORD dst_unused:UNUSED_PAD src0_sel:WORD_1 src1_sel:DWORD
	v_lshlrev_b64 v[28:29], 8, v[50:51]
	v_alignbit_b32 v21, v49, v48, 8
	v_alignbit_b32 v67, v49, v48, 16
	;; [unrolled: 1-line block ×3, first 2 shown]
	v_mov_b32_e32 v20, v49
	v_or_b32_sdwa v36, v49, v28 dst_sel:DWORD dst_unused:UNUSED_PAD src0_sel:BYTE_3 src1_sel:DWORD
.LBB1954_182:                           ;   in Loop: Header=BB1954_177 Depth=1
	s_or_b64 exec, exec, s[46:47]
	v_lshlrev_b32_e32 v28, 16, v32
	v_lshlrev_b32_e32 v1, 24, v36
	v_and_b32_e32 v28, 0xff0000, v28
	v_lshlrev_b32_e32 v24, 8, v24
	v_or_b32_e32 v1, v28, v1
	v_and_b32_e32 v24, 0xff00, v24
	v_and_b32_e32 v20, 0xff, v20
	v_or3_b32 v1, v1, v24, v20
	v_lshlrev_b32_e32 v20, 16, v67
	v_lshlrev_b32_e32 v21, 8, v21
	v_perm_b32 v20, v68, v20, s55
	v_perm_b32 v21, v21, v48, s56
	v_cmp_eq_u16_sdwa s[46:47], v51, v66 src0_sel:BYTE_0 src1_sel:DWORD
	v_or_b32_e32 v20, v21, v20
	v_and_b32_e32 v21, s47, v13
	v_and_b32_e32 v24, 0xff, v50
	v_or_b32_e32 v21, 0x80000000, v21
	ds_bpermute_b32 v32, v54, v20
	ds_bpermute_b32 v29, v54, v1
	;; [unrolled: 1-line block ×3, first 2 shown]
	v_and_b32_e32 v36, s46, v12
	v_ffbl_b32_e32 v21, v21
	v_add_u32_e32 v21, 32, v21
	v_ffbl_b32_e32 v36, v36
	v_min_u32_e32 v21, v36, v21
	v_cmp_lt_u32_e32 vcc, v5, v21
	s_and_saveexec_b64 s[46:47], vcc
	s_cbranch_execz .LBB1954_184
; %bb.183:                              ;   in Loop: Header=BB1954_177 Depth=1
	v_cmp_eq_u16_sdwa vcc, v50, v9 src0_sel:BYTE_0 src1_sel:DWORD
	s_waitcnt lgkmcnt(2)
	v_cndmask_b32_e32 v24, 0, v32, vcc
	v_add_u32_e32 v20, v24, v20
	s_waitcnt lgkmcnt(1)
	v_cndmask_b32_e32 v24, 0, v29, vcc
	v_add_u32_e32 v1, v24, v1
	s_waitcnt lgkmcnt(0)
	v_or_b32_e32 v24, v28, v50
	v_and_b32_e32 v24, 1, v24
	v_mov_b32_e32 v50, v24
.LBB1954_184:                           ;   in Loop: Header=BB1954_177 Depth=1
	s_or_b64 exec, exec, s[46:47]
	s_waitcnt lgkmcnt(1)
	ds_bpermute_b32 v29, v55, v20
	ds_bpermute_b32 v32, v55, v1
	s_waitcnt lgkmcnt(2)
	ds_bpermute_b32 v28, v55, v24
	v_cmp_le_u32_e32 vcc, v56, v21
	s_and_saveexec_b64 s[46:47], vcc
	s_cbranch_execz .LBB1954_186
; %bb.185:                              ;   in Loop: Header=BB1954_177 Depth=1
	s_waitcnt lgkmcnt(2)
	v_add_u32_e32 v24, v29, v20
	v_cmp_eq_u16_sdwa vcc, v50, v9 src0_sel:BYTE_0 src1_sel:DWORD
	v_cndmask_b32_e32 v20, v20, v24, vcc
	s_waitcnt lgkmcnt(0)
	v_or_b32_e32 v24, v28, v50
	v_add_u32_e32 v29, v32, v1
	v_and_b32_e32 v24, 1, v24
	v_cndmask_b32_e32 v1, v1, v29, vcc
	v_mov_b32_e32 v50, v24
.LBB1954_186:                           ;   in Loop: Header=BB1954_177 Depth=1
	s_or_b64 exec, exec, s[46:47]
	s_waitcnt lgkmcnt(2)
	ds_bpermute_b32 v29, v57, v20
	s_waitcnt lgkmcnt(2)
	ds_bpermute_b32 v32, v57, v1
	s_waitcnt lgkmcnt(2)
	ds_bpermute_b32 v28, v57, v24
	v_cmp_le_u32_e32 vcc, v58, v21
	s_and_saveexec_b64 s[46:47], vcc
	s_cbranch_execz .LBB1954_188
; %bb.187:                              ;   in Loop: Header=BB1954_177 Depth=1
	s_waitcnt lgkmcnt(2)
	v_add_u32_e32 v24, v29, v20
	v_cmp_eq_u16_sdwa vcc, v50, v9 src0_sel:BYTE_0 src1_sel:DWORD
	v_cndmask_b32_e32 v20, v20, v24, vcc
	s_waitcnt lgkmcnt(0)
	v_or_b32_e32 v24, v28, v50
	v_add_u32_e32 v29, v32, v1
	v_and_b32_e32 v24, 1, v24
	v_cndmask_b32_e32 v1, v1, v29, vcc
	v_mov_b32_e32 v50, v24
.LBB1954_188:                           ;   in Loop: Header=BB1954_177 Depth=1
	s_or_b64 exec, exec, s[46:47]
	s_waitcnt lgkmcnt(2)
	ds_bpermute_b32 v29, v59, v20
	s_waitcnt lgkmcnt(2)
	;; [unrolled: 22-line block ×3, first 2 shown]
	ds_bpermute_b32 v32, v61, v1
	s_waitcnt lgkmcnt(2)
	ds_bpermute_b32 v28, v61, v24
	v_cmp_le_u32_e32 vcc, v62, v21
	s_and_saveexec_b64 s[46:47], vcc
	s_cbranch_execz .LBB1954_176
; %bb.191:                              ;   in Loop: Header=BB1954_177 Depth=1
	s_waitcnt lgkmcnt(2)
	v_add_u32_e32 v24, v29, v20
	v_cmp_eq_u16_sdwa vcc, v50, v9 src0_sel:BYTE_0 src1_sel:DWORD
	v_cndmask_b32_e32 v20, v20, v24, vcc
	s_waitcnt lgkmcnt(0)
	v_or_b32_e32 v24, v28, v50
	v_add_u32_e32 v29, v32, v1
	v_and_b32_e32 v24, 1, v24
	v_cndmask_b32_e32 v1, v1, v29, vcc
	v_mov_b32_e32 v50, v24
	s_branch .LBB1954_176
.LBB1954_192:                           ;   in Loop: Header=BB1954_177 Depth=1
                                        ; implicit-def: $vgpr24
                                        ; implicit-def: $vgpr1
                                        ; implicit-def: $vgpr51
                                        ; implicit-def: $vgpr20_vgpr21
	s_cbranch_execz .LBB1954_177
; %bb.193:
	s_and_saveexec_b64 s[46:47], s[44:45]
	s_cbranch_execz .LBB1954_195
; %bb.194:
	v_mov_b32_e32 v1, 0
	v_cmp_eq_u16_sdwa vcc, v53, v1 src0_sel:BYTE_0 src1_sel:DWORD
	v_cndmask_b32_e32 v1, 0, v16, vcc
	s_mov_b32 s45, 0
	v_add_u32_e32 v1, v1, v4
	v_cndmask_b32_e32 v4, 0, v17, vcc
	v_or_b32_e32 v5, v53, v63
	s_add_i32 s44, s6, 64
	v_add_u32_e32 v4, s7, v4
	v_and_b32_e32 v5, 1, v5
	s_lshl_b64 s[6:7], s[44:45], 4
	s_add_u32 s6, s88, s6
	v_cmp_eq_u32_e32 vcc, 1, v5
	v_and_b32_e32 v5, 0xff000000, v4
	v_and_b32_e32 v8, 0xff0000, v4
	s_addc_u32 s7, s89, s7
	v_and_b32_e32 v9, 0xff00, v4
	v_and_b32_e32 v4, 0xff, v4
	v_or_b32_e32 v5, v5, v8
	v_cndmask_b32_e64 v50, 0, 1, vcc
	v_or3_b32 v49, v5, v9, v4
	v_or3_b32 v48, 0, 0, v1
	v_mov_b32_e32 v51, 2
	v_pk_mov_b32 v[4:5], s[6:7], s[6:7] op_sel:[0,1]
	;;#ASMSTART
	global_store_dwordx4 v[4:5], v[48:51] off	
s_waitcnt vmcnt(0)
	;;#ASMEND
.LBB1954_195:
	s_or_b64 exec, exec, s[46:47]
	v_cmp_eq_u32_e32 vcc, 0, v0
	s_and_b64 exec, exec, vcc
	s_cbranch_execz .LBB1954_197
; %bb.196:
	v_mov_b32_e32 v1, 0
	ds_write_b64 v1, v[16:17]
	ds_write_b8 v1, v63 offset:8
.LBB1954_197:
	s_or_b64 exec, exec, s[48:49]
	v_mov_b32_e32 v1, 0
	s_waitcnt lgkmcnt(0)
	; wave barrier
	s_waitcnt lgkmcnt(0)
	ds_read_b64 v[4:5], v1
	v_cmp_ne_u32_e32 vcc, 0, v0
	v_mov_b32_e32 v8, v3
	v_mov_b32_e32 v9, v2
	v_mov_b32_e32 v12, v104
	s_and_saveexec_b64 s[44:45], vcc
; %bb.198:
	v_cmp_eq_u16_sdwa vcc, v104, v1 src0_sel:BYTE_0 src1_sel:DWORD
	v_cndmask_b32_e32 v8, 0, v52, vcc
	v_and_b32_e32 v12, 1, v104
	v_add_u32_e32 v9, v8, v2
	v_cndmask_b32_e32 v8, 0, v45, vcc
	v_cmp_eq_u32_e32 vcc, 1, v12
	v_and_b32_e32 v12, 1, v44
	v_cmp_eq_u32_e64 s[6:7], 1, v12
	s_or_b64 s[6:7], vcc, s[6:7]
	v_add_u32_e32 v8, v8, v3
	v_cndmask_b32_e64 v12, 0, 1, s[6:7]
; %bb.199:
	s_or_b64 exec, exec, s[44:45]
	v_cmp_eq_u16_sdwa vcc, v12, v1 src0_sel:BYTE_0 src1_sel:DWORD
	s_waitcnt lgkmcnt(0)
	v_cndmask_b32_e32 v1, 0, v4, vcc
	v_add_u32_e32 v82, v1, v9
	v_cndmask_b32_e32 v1, 0, v5, vcc
	v_add_u32_e32 v83, v1, v8
	v_cndmask_b32_e64 v1, 0, v82, s[2:3]
	v_add_u32_e32 v44, v1, v6
	v_cndmask_b32_e64 v1, 0, v83, s[2:3]
	v_add_u32_e32 v45, v1, v7
	v_cndmask_b32_e64 v1, 0, v44, s[4:5]
	v_add_u32_e32 v48, v1, v127
	v_cndmask_b32_e64 v1, 0, v45, s[4:5]
	v_add_u32_e32 v49, v1, v126
	v_cndmask_b32_e64 v1, 0, v48, s[50:51]
	v_add_u32_e32 v86, v1, v10
	v_cndmask_b32_e64 v1, 0, v49, s[50:51]
	v_add_u32_e32 v87, v1, v11
	v_cndmask_b32_e64 v1, 0, v86, s[8:9]
	v_add_u32_e32 v52, v1, v125
	v_cndmask_b32_e64 v1, 0, v87, s[8:9]
	v_add_u32_e32 v53, v1, v124
	v_cndmask_b32_e64 v1, 0, v52, s[10:11]
	v_add_u32_e32 v88, v1, v14
	v_cndmask_b32_e64 v1, 0, v53, s[10:11]
	v_add_u32_e32 v89, v1, v15
	v_cndmask_b32_e64 v1, 0, v88, s[12:13]
	v_add_u32_e32 v56, v1, v122
	v_cndmask_b32_e64 v1, 0, v89, s[12:13]
	v_add_u32_e32 v57, v1, v121
	v_cndmask_b32_e64 v1, 0, v56, s[14:15]
	v_add_u32_e32 v90, v1, v18
	v_cndmask_b32_e64 v1, 0, v57, s[14:15]
	v_add_u32_e32 v91, v1, v19
	v_cndmask_b32_e64 v1, 0, v90, s[16:17]
	v_add_u32_e32 v60, v1, v120
	v_cndmask_b32_e64 v1, 0, v91, s[16:17]
	v_add_u32_e32 v61, v1, v119
	v_cndmask_b32_e64 v1, 0, v60, s[18:19]
	v_add_u32_e32 v92, v1, v22
	v_cndmask_b32_e64 v1, 0, v61, s[18:19]
	v_add_u32_e32 v93, v1, v23
	v_cndmask_b32_e64 v1, 0, v92, s[20:21]
	v_add_u32_e32 v64, v1, v118
	v_cndmask_b32_e64 v1, 0, v93, s[20:21]
	v_add_u32_e32 v65, v1, v117
	v_cndmask_b32_e64 v1, 0, v64, s[22:23]
	v_add_u32_e32 v94, v1, v30
	v_cndmask_b32_e64 v1, 0, v65, s[22:23]
	v_add_u32_e32 v95, v1, v31
	v_cndmask_b32_e64 v1, 0, v94, s[24:25]
	v_add_u32_e32 v68, v1, v115
	v_cndmask_b32_e64 v1, 0, v95, s[24:25]
	v_add_u32_e32 v69, v1, v114
	v_cndmask_b32_e64 v1, 0, v68, s[26:27]
	v_add_u32_e32 v96, v1, v38
	v_cndmask_b32_e64 v1, 0, v69, s[26:27]
	v_add_u32_e32 v97, v1, v39
	v_cndmask_b32_e64 v1, 0, v96, s[28:29]
	v_add_u32_e32 v72, v1, v113
	v_cndmask_b32_e64 v1, 0, v97, s[28:29]
	v_add_u32_e32 v73, v1, v112
	v_cndmask_b32_e64 v1, 0, v72, s[30:31]
	v_add_u32_e32 v98, v1, v42
	v_cndmask_b32_e64 v1, 0, v73, s[30:31]
	v_add_u32_e32 v99, v1, v43
	v_cndmask_b32_e64 v1, 0, v98, s[34:35]
	v_add_u32_e32 v76, v1, v110
	v_cndmask_b32_e64 v1, 0, v99, s[34:35]
	v_add_u32_e32 v77, v1, v109
	v_cndmask_b32_e64 v1, 0, v76, s[36:37]
	v_add_u32_e32 v100, v1, v46
	v_cndmask_b32_e64 v1, 0, v77, s[36:37]
	v_add_u32_e32 v101, v1, v47
	v_cndmask_b32_e64 v1, 0, v100, s[38:39]
	v_add_u32_e32 v80, v1, v34
	v_cndmask_b32_e64 v1, 0, v101, s[38:39]
	v_add_u32_e32 v81, v1, v35
	v_cndmask_b32_e64 v1, 0, v80, s[40:41]
	v_add_u32_e32 v102, v1, v26
	v_cndmask_b32_e64 v1, 0, v81, s[40:41]
	v_add_u32_e32 v103, v1, v27
	v_cndmask_b32_e64 v1, 0, v102, s[42:43]
	v_cndmask_b32_e64 v8, 0, v103, s[42:43]
	s_branch .LBB1954_224
.LBB1954_200:
                                        ; implicit-def: $vgpr80_vgpr81_vgpr82_vgpr83
                                        ; implicit-def: $vgpr8
                                        ; implicit-def: $vgpr1
                                        ; implicit-def: $vgpr103
                                        ; implicit-def: $vgpr101
                                        ; implicit-def: $vgpr99
                                        ; implicit-def: $vgpr97
                                        ; implicit-def: $vgpr95
                                        ; implicit-def: $vgpr93
                                        ; implicit-def: $vgpr91
                                        ; implicit-def: $vgpr89
                                        ; implicit-def: $vgpr87
                                        ; implicit-def: $vgpr45
                                        ; implicit-def: $vgpr76_vgpr77_vgpr78_vgpr79
                                        ; implicit-def: $vgpr72_vgpr73_vgpr74_vgpr75
                                        ; implicit-def: $vgpr68_vgpr69_vgpr70_vgpr71
                                        ; implicit-def: $vgpr64_vgpr65_vgpr66_vgpr67
                                        ; implicit-def: $vgpr60_vgpr61_vgpr62_vgpr63
                                        ; implicit-def: $vgpr56_vgpr57_vgpr58_vgpr59
                                        ; implicit-def: $vgpr52_vgpr53_vgpr54_vgpr55
                                        ; implicit-def: $vgpr48_vgpr49_vgpr50_vgpr51
                                        ; implicit-def: $vgpr82_vgpr83_vgpr84_vgpr85
	s_cbranch_execz .LBB1954_224
; %bb.201:
	v_readlane_b32 s4, v135, 0
	v_readlane_b32 s6, v135, 2
	;; [unrolled: 1-line block ×3, first 2 shown]
	s_cmp_lg_u64 s[94:95], 0
	v_readlane_b32 s5, v135, 1
	s_mov_b64 s[2:3], s[6:7]
	s_cselect_b32 s5, s3, 0
	s_cselect_b32 s4, s2, 0
	s_cmp_lg_u64 s[4:5], 0
	v_readlane_b32 s8, v135, 4
	v_readlane_b32 s9, v135, 5
	s_cselect_b64 s[6:7], -1, 0
	v_cmp_eq_u32_e32 vcc, 0, v0
	v_cmp_ne_u32_e64 s[2:3], 0, v0
	s_and_b64 s[8:9], vcc, s[6:7]
	v_readlane_b32 s10, v135, 6
	v_readlane_b32 s11, v135, 7
	s_and_saveexec_b64 s[6:7], s[8:9]
	s_cbranch_execz .LBB1954_205
; %bb.202:
	v_mov_b32_e32 v1, 0
	v_cmp_eq_u16_sdwa s[10:11], v104, v1 src0_sel:BYTE_0 src1_sel:DWORD
	s_and_saveexec_b64 s[8:9], s[10:11]
	s_cbranch_execz .LBB1954_204
; %bb.203:
	global_load_dwordx2 v[4:5], v1, s[4:5]
	s_waitcnt vmcnt(0)
	v_add_u32_e32 v2, v4, v2
	v_add_u32_e32 v3, v5, v3
.LBB1954_204:
	s_or_b64 exec, exec, s[8:9]
	global_load_ubyte v1, v1, s[4:5] offset:8
	s_waitcnt vmcnt(0)
	v_or_b32_e32 v1, v104, v1
	v_and_b32_e32 v104, 1, v1
.LBB1954_205:
	s_or_b64 exec, exec, s[6:7]
	v_mov_b32_e32 v1, 0
	v_cmp_eq_u16_sdwa s[4:5], v123, v1 src0_sel:BYTE_0 src1_sel:DWORD
	v_cndmask_b32_e64 v4, 0, v2, s[4:5]
	v_add_u32_e32 v44, v4, v6
	v_cndmask_b32_e64 v4, 0, v3, s[4:5]
	v_cmp_eq_u16_sdwa s[6:7], v134, v1 src0_sel:BYTE_0 src1_sel:DWORD
	v_add_u32_e32 v45, v4, v7
	v_cndmask_b32_e64 v4, 0, v44, s[6:7]
	s_movk_i32 s40, 0xff
	v_add_u32_e32 v48, v4, v127
	v_cndmask_b32_e64 v4, 0, v45, s[6:7]
	v_add_u32_e32 v49, v4, v126
	v_and_b32_sdwa v4, v123, s40 dst_sel:DWORD dst_unused:UNUSED_PAD src0_sel:WORD_1 src1_sel:DWORD
	v_cmp_eq_u16_e64 s[8:9], 0, v4
	v_cndmask_b32_e64 v4, 0, v48, s[8:9]
	v_add_u32_e32 v86, v4, v10
	v_cndmask_b32_e64 v4, 0, v49, s[8:9]
	v_cmp_eq_u16_sdwa s[10:11], v123, v1 src0_sel:BYTE_3 src1_sel:DWORD
	v_add_u32_e32 v87, v4, v11
	v_cndmask_b32_e64 v4, 0, v86, s[10:11]
	v_add_u32_e32 v52, v4, v125
	v_cndmask_b32_e64 v4, 0, v87, s[10:11]
	v_cmp_eq_u16_sdwa s[12:13], v106, v1 src0_sel:BYTE_0 src1_sel:DWORD
	v_add_u32_e32 v53, v4, v124
	v_cndmask_b32_e64 v4, 0, v52, s[12:13]
	v_add_u32_e32 v88, v4, v14
	v_cndmask_b32_e64 v4, 0, v53, s[12:13]
	v_cmp_eq_u16_sdwa s[14:15], v116, v1 src0_sel:BYTE_0 src1_sel:DWORD
	;; [unrolled: 5-line block ×3, first 2 shown]
	v_add_u32_e32 v57, v4, v121
	v_cndmask_b32_e64 v4, 0, v56, s[16:17]
	v_add_u32_e32 v90, v4, v18
	v_cndmask_b32_e64 v4, 0, v57, s[16:17]
	v_add_u32_e32 v91, v4, v19
	v_and_b32_sdwa v4, v116, s40 dst_sel:DWORD dst_unused:UNUSED_PAD src0_sel:WORD_1 src1_sel:DWORD
	v_cmp_eq_u16_e64 s[18:19], 0, v4
	v_cndmask_b32_e64 v4, 0, v90, s[18:19]
	v_add_u32_e32 v60, v4, v120
	v_cndmask_b32_e64 v4, 0, v91, s[18:19]
	v_cmp_eq_u16_sdwa s[20:21], v116, v1 src0_sel:BYTE_3 src1_sel:DWORD
	v_add_u32_e32 v61, v4, v119
	v_cndmask_b32_e64 v4, 0, v60, s[20:21]
	v_add_u32_e32 v92, v4, v22
	v_cndmask_b32_e64 v4, 0, v61, s[20:21]
	v_cmp_eq_u16_sdwa s[22:23], v107, v1 src0_sel:BYTE_0 src1_sel:DWORD
	v_add_u32_e32 v93, v4, v23
	v_cndmask_b32_e64 v4, 0, v92, s[22:23]
	v_add_u32_e32 v64, v4, v118
	v_cndmask_b32_e64 v4, 0, v93, s[22:23]
	v_cmp_eq_u16_sdwa s[24:25], v111, v1 src0_sel:BYTE_0 src1_sel:DWORD
	v_add_u32_e32 v65, v4, v117
	v_cndmask_b32_e64 v4, 0, v64, s[24:25]
	v_add_u32_e32 v94, v4, v30
	v_cndmask_b32_e64 v4, 0, v65, s[24:25]
	v_cmp_eq_u16_sdwa s[26:27], v132, v1 src0_sel:BYTE_0 src1_sel:DWORD
	v_add_u32_e32 v95, v4, v31
	v_cndmask_b32_e64 v4, 0, v94, s[26:27]
	v_add_u32_e32 v68, v4, v115
	v_cndmask_b32_e64 v4, 0, v95, s[26:27]
	v_add_u32_e32 v69, v4, v114
	v_and_b32_sdwa v4, v111, s40 dst_sel:DWORD dst_unused:UNUSED_PAD src0_sel:WORD_1 src1_sel:DWORD
	v_cmp_eq_u16_e64 s[28:29], 0, v4
	v_cndmask_b32_e64 v4, 0, v68, s[28:29]
	v_add_u32_e32 v96, v4, v38
	v_cndmask_b32_e64 v4, 0, v69, s[28:29]
	v_cmp_eq_u16_sdwa s[30:31], v111, v1 src0_sel:BYTE_3 src1_sel:DWORD
	v_add_u32_e32 v97, v4, v39
	v_cndmask_b32_e64 v4, 0, v96, s[30:31]
	v_add_u32_e32 v72, v4, v113
	v_cndmask_b32_e64 v4, 0, v97, s[30:31]
	v_cmp_eq_u16_sdwa s[34:35], v105, v1 src0_sel:BYTE_0 src1_sel:DWORD
	v_or_b32_e32 v12, v108, v111
	v_add_u32_e32 v73, v4, v112
	v_cndmask_b32_e64 v4, 0, v72, s[34:35]
	v_or3_b32 v12, v12, v116, v123
	v_add_u32_e32 v98, v4, v42
	v_cndmask_b32_e64 v4, 0, v73, s[34:35]
	v_cmp_eq_u16_sdwa s[36:37], v108, v1 src0_sel:BYTE_0 src1_sel:DWORD
	v_lshrrev_b16_e32 v16, 7, v12
	v_add_u32_e32 v99, v4, v43
	v_cndmask_b32_e64 v4, 0, v98, s[36:37]
	v_and_b32_e32 v13, 1, v12
	v_and_b32_e32 v16, 2, v16
	v_add_u32_e32 v76, v4, v110
	v_cndmask_b32_e64 v4, 0, v99, s[36:37]
	v_cmp_eq_u16_sdwa s[38:39], v131, v1 src0_sel:BYTE_0 src1_sel:DWORD
	v_or_b32_e32 v13, v13, v16
	v_lshrrev_b32_e32 v16, 23, v12
	v_mov_b32_e32 v17, 1
	v_add_u32_e32 v77, v4, v109
	v_cndmask_b32_e64 v4, 0, v76, s[38:39]
	v_and_b32_e32 v16, 2, v16
	v_and_b32_sdwa v12, v12, v17 dst_sel:DWORD dst_unused:UNUSED_PAD src0_sel:WORD_1 src1_sel:DWORD
	v_add_u32_e32 v100, v4, v46
	v_cndmask_b32_e64 v4, 0, v77, s[38:39]
	v_or_b32_e32 v12, v12, v16
	v_add_u32_e32 v101, v4, v47
	v_and_b32_sdwa v4, v108, s40 dst_sel:DWORD dst_unused:UNUSED_PAD src0_sel:WORD_1 src1_sel:DWORD
	v_lshlrev_b16_e32 v12, 2, v12
	v_cmp_eq_u16_e64 s[40:41], 0, v4
	v_or_b32_e32 v12, v13, v12
	v_cndmask_b32_e64 v4, 0, v100, s[40:41]
	v_cmp_eq_u32_e64 s[52:53], 1, v130
	v_cmp_ne_u16_e64 s[54:55], 0, v12
	v_add_u32_e32 v80, v4, v34
	v_cndmask_b32_e64 v4, 0, v101, s[40:41]
	v_cmp_eq_u16_sdwa s[42:43], v108, v1 src0_sel:BYTE_3 src1_sel:DWORD
	v_cmp_eq_u32_e64 s[50:51], 1, v129
	s_or_b64 s[52:53], s[54:55], s[52:53]
	v_add_u32_e32 v81, v4, v35
	v_cndmask_b32_e64 v4, 0, v80, s[42:43]
	v_cmp_eq_u32_e64 s[48:49], 1, v128
	s_or_b64 s[50:51], s[52:53], s[50:51]
	v_add_u32_e32 v102, v4, v26
	v_cndmask_b32_e64 v4, 0, v81, s[42:43]
	v_cmp_eq_u32_e64 s[46:47], 1, v41
	s_or_b64 s[48:49], s[50:51], s[48:49]
	v_add_u32_e32 v103, v4, v27
	v_cmp_eq_u16_sdwa s[44:45], v40, v1 src0_sel:BYTE_0 src1_sel:DWORD
	v_and_b32_e32 v9, 0xff, v104
	s_or_b64 s[46:47], s[48:49], s[46:47]
	v_cndmask_b32_e64 v1, 0, v102, s[44:45]
	v_cndmask_b32_e64 v8, 0, v103, s[44:45]
	;; [unrolled: 1-line block ×3, first 2 shown]
	v_mbcnt_hi_u32_b32 v9, -1, v37
	v_add_u32_e32 v4, v1, v25
	v_add_u32_e32 v5, v8, v33
	v_and_b32_e32 v13, 15, v9
	v_mov_b32_dpp v16, v4 row_shr:1 row_mask:0xf bank_mask:0xf
	v_mov_b32_dpp v17, v5 row_shr:1 row_mask:0xf bank_mask:0xf
	;; [unrolled: 1-line block ×3, first 2 shown]
	v_cmp_ne_u32_e64 s[46:47], 0, v13
	s_and_saveexec_b64 s[48:49], s[46:47]
; %bb.206:
	v_cmp_eq_u32_e64 s[46:47], 0, v12
	v_cndmask_b32_e64 v16, 0, v16, s[46:47]
	v_add_u32_e32 v4, v4, v16
	v_cndmask_b32_e64 v16, 0, v17, s[46:47]
	v_add_u32_e32 v5, v5, v16
	v_and_or_b32 v12, v20, 1, v12
; %bb.207:
	s_or_b64 exec, exec, s[48:49]
	v_mov_b32_dpp v17, v4 row_shr:2 row_mask:0xf bank_mask:0xf
	v_mov_b32_dpp v20, v5 row_shr:2 row_mask:0xf bank_mask:0xf
	v_mov_b32_dpp v16, v12 row_shr:2 row_mask:0xf bank_mask:0xf
	v_cmp_lt_u32_e64 s[46:47], 1, v13
	s_and_saveexec_b64 s[48:49], s[46:47]
; %bb.208:
	v_add_u32_e32 v17, v17, v4
	v_add_u32_e32 v20, v20, v5
	v_cmp_eq_u32_e64 s[46:47], 0, v12
	v_or_b32_e32 v12, v16, v12
	v_cndmask_b32_e64 v4, v4, v17, s[46:47]
	v_cndmask_b32_e64 v5, v5, v20, s[46:47]
	v_and_b32_e32 v12, 1, v12
; %bb.209:
	s_or_b64 exec, exec, s[48:49]
	v_mov_b32_dpp v17, v4 row_shr:4 row_mask:0xf bank_mask:0xf
	v_mov_b32_dpp v20, v5 row_shr:4 row_mask:0xf bank_mask:0xf
	v_mov_b32_dpp v16, v12 row_shr:4 row_mask:0xf bank_mask:0xf
	v_cmp_lt_u32_e64 s[46:47], 3, v13
	s_and_saveexec_b64 s[48:49], s[46:47]
; %bb.210:
	v_add_u32_e32 v17, v17, v4
	v_add_u32_e32 v20, v20, v5
	v_cmp_eq_u32_e64 s[46:47], 0, v12
	v_or_b32_e32 v12, v16, v12
	v_cndmask_b32_e64 v4, v4, v17, s[46:47]
	v_cndmask_b32_e64 v5, v5, v20, s[46:47]
	v_and_b32_e32 v12, 1, v12
	;; [unrolled: 15-line block ×3, first 2 shown]
; %bb.213:
	s_or_b64 exec, exec, s[48:49]
	v_and_b32_e32 v20, 16, v9
	v_mov_b32_dpp v16, v4 row_bcast:15 row_mask:0xf bank_mask:0xf
	v_mov_b32_dpp v17, v5 row_bcast:15 row_mask:0xf bank_mask:0xf
	;; [unrolled: 1-line block ×3, first 2 shown]
	v_cmp_ne_u32_e64 s[46:47], 0, v20
	s_and_saveexec_b64 s[48:49], s[46:47]
; %bb.214:
	v_add_u32_e32 v16, v16, v4
	v_add_u32_e32 v17, v17, v5
	v_cmp_eq_u32_e64 s[46:47], 0, v12
	v_or_b32_e32 v12, v13, v12
	v_cndmask_b32_e64 v4, v4, v16, s[46:47]
	v_cndmask_b32_e64 v5, v5, v17, s[46:47]
	v_and_b32_e32 v12, 1, v12
; %bb.215:
	s_or_b64 exec, exec, s[48:49]
	v_mov_b32_dpp v16, v4 row_bcast:31 row_mask:0xf bank_mask:0xf
	v_mov_b32_dpp v17, v5 row_bcast:31 row_mask:0xf bank_mask:0xf
	;; [unrolled: 1-line block ×3, first 2 shown]
	v_cmp_lt_u32_e64 s[46:47], 31, v9
	s_and_saveexec_b64 s[48:49], s[46:47]
; %bb.216:
	v_add_u32_e32 v16, v16, v4
	v_add_u32_e32 v17, v17, v5
	v_cmp_eq_u32_e64 s[46:47], 0, v12
	v_or_b32_e32 v12, v13, v12
	v_cndmask_b32_e64 v4, v4, v16, s[46:47]
	v_cndmask_b32_e64 v5, v5, v17, s[46:47]
	v_and_b32_e32 v12, 1, v12
; %bb.217:
	s_or_b64 exec, exec, s[48:49]
	v_cmp_eq_u32_e64 s[46:47], 63, v0
	s_and_saveexec_b64 s[48:49], s[46:47]
	s_cbranch_execz .LBB1954_219
; %bb.218:
	v_mov_b32_e32 v13, 0
	ds_write_b64 v13, v[4:5]
	ds_write_b8 v13, v12 offset:8
.LBB1954_219:
	s_or_b64 exec, exec, s[48:49]
	v_add_u32_e32 v12, -1, v9
	v_and_b32_e32 v13, 64, v9
	v_cmp_lt_i32_e64 s[46:47], v12, v13
	v_cndmask_b32_e64 v9, v12, v9, s[46:47]
	v_lshlrev_b32_e32 v9, 2, v9
	ds_bpermute_b32 v4, v9, v4
	ds_bpermute_b32 v5, v9, v5
	s_waitcnt lgkmcnt(0)
	; wave barrier
	s_waitcnt lgkmcnt(0)
	s_and_saveexec_b64 s[46:47], s[2:3]
	s_cbranch_execz .LBB1954_221
; %bb.220:
	v_mov_b32_e32 v1, 0
	v_cmp_eq_u16_sdwa s[2:3], v104, v1 src0_sel:BYTE_0 src1_sel:DWORD
	v_cndmask_b32_e64 v1, 0, v5, s[2:3]
	v_add_u32_e32 v3, v1, v3
	v_cndmask_b32_e64 v1, 0, v4, s[2:3]
	v_add_u32_e32 v2, v1, v2
	;; [unrolled: 2-line block ×40, first 2 shown]
	v_cndmask_b32_e64 v1, 0, v102, s[44:45]
	v_cndmask_b32_e64 v8, 0, v103, s[44:45]
	;;#ASMSTART
	;;#ASMEND
.LBB1954_221:
	s_or_b64 exec, exec, s[46:47]
	s_and_saveexec_b64 s[2:3], vcc
	s_cbranch_execz .LBB1954_223
; %bb.222:
	v_mov_b32_e32 v6, 0
	ds_read_b64 v[4:5], v6
	s_add_u32 s4, s88, 0x400
	s_mov_b32 s6, 0
	s_addc_u32 s5, s89, 0
	s_mov_b32 s10, s6
	s_waitcnt lgkmcnt(0)
	v_readfirstlane_b32 s12, v5
	s_bfe_u32 s8, s12, 0x80010
	s_and_b32 s7, s12, 0xff000000
	s_lshl_b32 s9, s8, 16
	s_mov_b32 s8, s6
	s_and_b32 s11, s12, 0xff00
	s_and_b32 s12, s12, 0xff
	s_or_b64 s[6:7], s[6:7], s[8:9]
	s_or_b64 s[6:7], s[6:7], s[10:11]
	v_mov_b32_e32 v5, s12
	ds_read_u8 v6, v6 offset:8
	v_or_b32_e32 v4, s6, v4
	v_or_b32_e32 v5, s7, v5
	v_mov_b32_e32 v7, 2
	v_pk_mov_b32 v[10:11], s[4:5], s[4:5] op_sel:[0,1]
	s_waitcnt lgkmcnt(0)
	;;#ASMSTART
	global_store_dwordx4 v[10:11], v[4:7] off	
s_waitcnt vmcnt(0)
	;;#ASMEND
.LBB1954_223:
	s_or_b64 exec, exec, s[2:3]
	v_mov_b32_e32 v83, v3
	v_mov_b32_e32 v82, v2
.LBB1954_224:
	s_add_u32 s2, s86, s92
	s_addc_u32 s3, s87, s93
	s_add_u32 s42, s2, s84
	v_add_u32_e32 v43, v8, v33
	v_add_u32_e32 v42, v1, v25
	s_addc_u32 s43, s3, s85
	s_and_b64 vcc, exec, s[0:1]
	s_cbranch_vccz .LBB1954_306
; %bb.225:
	s_add_i32 s33, s33, s90
	v_mul_u32_u24_e32 v1, 21, v0
	v_pk_mov_b32 v[8:9], 0, 0
	v_cmp_gt_u32_e32 vcc, s33, v1
	v_pk_mov_b32 v[4:5], v[8:9], v[8:9] op_sel:[0,1]
	v_pk_mov_b32 v[2:3], v[8:9], v[8:9] op_sel:[0,1]
	v_pk_mov_b32 v[6:7], v[8:9], v[8:9] op_sel:[0,1]
	v_pk_mov_b32 v[10:11], v[8:9], v[8:9] op_sel:[0,1]
	v_pk_mov_b32 v[12:13], v[8:9], v[8:9] op_sel:[0,1]
	v_pk_mov_b32 v[14:15], v[8:9], v[8:9] op_sel:[0,1]
	v_pk_mov_b32 v[16:17], v[8:9], v[8:9] op_sel:[0,1]
	v_pk_mov_b32 v[18:19], v[8:9], v[8:9] op_sel:[0,1]
	v_pk_mov_b32 v[20:21], v[8:9], v[8:9] op_sel:[0,1]
	v_pk_mov_b32 v[22:23], v[8:9], v[8:9] op_sel:[0,1]
	v_pk_mov_b32 v[24:25], v[8:9], v[8:9] op_sel:[0,1]
	v_pk_mov_b32 v[26:27], v[8:9], v[8:9] op_sel:[0,1]
	v_pk_mov_b32 v[28:29], v[8:9], v[8:9] op_sel:[0,1]
	v_pk_mov_b32 v[30:31], v[8:9], v[8:9] op_sel:[0,1]
	v_pk_mov_b32 v[32:33], v[8:9], v[8:9] op_sel:[0,1]
	v_pk_mov_b32 v[34:35], v[8:9], v[8:9] op_sel:[0,1]
	v_pk_mov_b32 v[36:37], v[8:9], v[8:9] op_sel:[0,1]
	v_pk_mov_b32 v[38:39], v[8:9], v[8:9] op_sel:[0,1]
	v_pk_mov_b32 v[40:41], v[8:9], v[8:9] op_sel:[0,1]
	v_pk_mov_b32 v[46:47], v[8:9], v[8:9] op_sel:[0,1]
	s_and_saveexec_b64 s[0:1], vcc
	s_cbranch_execz .LBB1954_265
; %bb.226:
	v_add_u32_e32 v2, 1, v1
	v_pk_mov_b32 v[40:41], 0, 0
	v_cmp_gt_u32_e32 vcc, s33, v2
	v_pk_mov_b32 v[38:39], v[40:41], v[40:41] op_sel:[0,1]
	v_pk_mov_b32 v[36:37], v[40:41], v[40:41] op_sel:[0,1]
	;; [unrolled: 1-line block ×19, first 2 shown]
	s_and_saveexec_b64 s[2:3], vcc
	s_cbranch_execz .LBB1954_264
; %bb.227:
	v_add_u32_e32 v2, 2, v1
	v_pk_mov_b32 v[38:39], 0, 0
	v_cmp_gt_u32_e32 vcc, s33, v2
	v_pk_mov_b32 v[36:37], v[38:39], v[38:39] op_sel:[0,1]
	v_pk_mov_b32 v[34:35], v[38:39], v[38:39] op_sel:[0,1]
	v_pk_mov_b32 v[32:33], v[38:39], v[38:39] op_sel:[0,1]
	v_pk_mov_b32 v[30:31], v[38:39], v[38:39] op_sel:[0,1]
	v_pk_mov_b32 v[28:29], v[38:39], v[38:39] op_sel:[0,1]
	v_pk_mov_b32 v[26:27], v[38:39], v[38:39] op_sel:[0,1]
	v_pk_mov_b32 v[24:25], v[38:39], v[38:39] op_sel:[0,1]
	v_pk_mov_b32 v[22:23], v[38:39], v[38:39] op_sel:[0,1]
	v_pk_mov_b32 v[20:21], v[38:39], v[38:39] op_sel:[0,1]
	v_pk_mov_b32 v[18:19], v[38:39], v[38:39] op_sel:[0,1]
	v_pk_mov_b32 v[16:17], v[38:39], v[38:39] op_sel:[0,1]
	v_pk_mov_b32 v[14:15], v[38:39], v[38:39] op_sel:[0,1]
	v_pk_mov_b32 v[12:13], v[38:39], v[38:39] op_sel:[0,1]
	v_pk_mov_b32 v[10:11], v[38:39], v[38:39] op_sel:[0,1]
	v_pk_mov_b32 v[6:7], v[38:39], v[38:39] op_sel:[0,1]
	v_pk_mov_b32 v[2:3], v[38:39], v[38:39] op_sel:[0,1]
	v_pk_mov_b32 v[4:5], v[38:39], v[38:39] op_sel:[0,1]
	v_pk_mov_b32 v[8:9], v[38:39], v[38:39] op_sel:[0,1]
	s_and_saveexec_b64 s[4:5], vcc
	s_cbranch_execz .LBB1954_263
; %bb.228:
	v_add_u32_e32 v2, 3, v1
	v_pk_mov_b32 v[36:37], 0, 0
	v_cmp_gt_u32_e32 vcc, s33, v2
	v_pk_mov_b32 v[34:35], v[36:37], v[36:37] op_sel:[0,1]
	v_pk_mov_b32 v[32:33], v[36:37], v[36:37] op_sel:[0,1]
	;; [unrolled: 1-line block ×17, first 2 shown]
	s_and_saveexec_b64 s[6:7], vcc
	s_cbranch_execz .LBB1954_262
; %bb.229:
	v_add_u32_e32 v2, 4, v1
	v_pk_mov_b32 v[34:35], 0, 0
	v_cmp_gt_u32_e32 vcc, s33, v2
	v_pk_mov_b32 v[32:33], v[34:35], v[34:35] op_sel:[0,1]
	v_pk_mov_b32 v[30:31], v[34:35], v[34:35] op_sel:[0,1]
	;; [unrolled: 1-line block ×16, first 2 shown]
	s_and_saveexec_b64 s[8:9], vcc
	s_cbranch_execz .LBB1954_261
; %bb.230:
	v_add_u32_e32 v2, 5, v1
	v_pk_mov_b32 v[32:33], 0, 0
	v_cmp_gt_u32_e32 vcc, s33, v2
	v_pk_mov_b32 v[30:31], v[32:33], v[32:33] op_sel:[0,1]
	v_pk_mov_b32 v[28:29], v[32:33], v[32:33] op_sel:[0,1]
	;; [unrolled: 1-line block ×15, first 2 shown]
	s_and_saveexec_b64 s[10:11], vcc
	s_cbranch_execz .LBB1954_260
; %bb.231:
	v_add_u32_e32 v2, 6, v1
	v_pk_mov_b32 v[30:31], 0, 0
	v_cmp_gt_u32_e32 vcc, s33, v2
	v_pk_mov_b32 v[28:29], v[30:31], v[30:31] op_sel:[0,1]
	v_pk_mov_b32 v[26:27], v[30:31], v[30:31] op_sel:[0,1]
	v_pk_mov_b32 v[24:25], v[30:31], v[30:31] op_sel:[0,1]
	v_pk_mov_b32 v[22:23], v[30:31], v[30:31] op_sel:[0,1]
	v_pk_mov_b32 v[20:21], v[30:31], v[30:31] op_sel:[0,1]
	v_pk_mov_b32 v[18:19], v[30:31], v[30:31] op_sel:[0,1]
	v_pk_mov_b32 v[16:17], v[30:31], v[30:31] op_sel:[0,1]
	v_pk_mov_b32 v[14:15], v[30:31], v[30:31] op_sel:[0,1]
	v_pk_mov_b32 v[12:13], v[30:31], v[30:31] op_sel:[0,1]
	v_pk_mov_b32 v[10:11], v[30:31], v[30:31] op_sel:[0,1]
	v_pk_mov_b32 v[6:7], v[30:31], v[30:31] op_sel:[0,1]
	v_pk_mov_b32 v[2:3], v[30:31], v[30:31] op_sel:[0,1]
	v_pk_mov_b32 v[4:5], v[30:31], v[30:31] op_sel:[0,1]
	v_pk_mov_b32 v[8:9], v[30:31], v[30:31] op_sel:[0,1]
	s_and_saveexec_b64 s[12:13], vcc
	s_cbranch_execz .LBB1954_259
; %bb.232:
	v_add_u32_e32 v2, 7, v1
	v_pk_mov_b32 v[28:29], 0, 0
	v_cmp_gt_u32_e32 vcc, s33, v2
	v_pk_mov_b32 v[26:27], v[28:29], v[28:29] op_sel:[0,1]
	v_pk_mov_b32 v[24:25], v[28:29], v[28:29] op_sel:[0,1]
	;; [unrolled: 1-line block ×13, first 2 shown]
	s_and_saveexec_b64 s[14:15], vcc
	s_cbranch_execz .LBB1954_258
; %bb.233:
	v_add_u32_e32 v2, 8, v1
	v_pk_mov_b32 v[26:27], 0, 0
	v_cmp_gt_u32_e32 vcc, s33, v2
	v_pk_mov_b32 v[24:25], v[26:27], v[26:27] op_sel:[0,1]
	v_pk_mov_b32 v[22:23], v[26:27], v[26:27] op_sel:[0,1]
	;; [unrolled: 1-line block ×12, first 2 shown]
	s_and_saveexec_b64 s[16:17], vcc
	s_cbranch_execz .LBB1954_257
; %bb.234:
	v_add_u32_e32 v2, 9, v1
	v_pk_mov_b32 v[24:25], 0, 0
	v_cmp_gt_u32_e32 vcc, s33, v2
	v_pk_mov_b32 v[22:23], v[24:25], v[24:25] op_sel:[0,1]
	v_pk_mov_b32 v[20:21], v[24:25], v[24:25] op_sel:[0,1]
	v_pk_mov_b32 v[18:19], v[24:25], v[24:25] op_sel:[0,1]
	v_pk_mov_b32 v[16:17], v[24:25], v[24:25] op_sel:[0,1]
	v_pk_mov_b32 v[14:15], v[24:25], v[24:25] op_sel:[0,1]
	v_pk_mov_b32 v[12:13], v[24:25], v[24:25] op_sel:[0,1]
	v_pk_mov_b32 v[10:11], v[24:25], v[24:25] op_sel:[0,1]
	v_pk_mov_b32 v[6:7], v[24:25], v[24:25] op_sel:[0,1]
	v_pk_mov_b32 v[2:3], v[24:25], v[24:25] op_sel:[0,1]
	v_pk_mov_b32 v[4:5], v[24:25], v[24:25] op_sel:[0,1]
	v_pk_mov_b32 v[8:9], v[24:25], v[24:25] op_sel:[0,1]
	s_and_saveexec_b64 s[18:19], vcc
	s_cbranch_execz .LBB1954_256
; %bb.235:
	v_add_u32_e32 v2, 10, v1
	v_pk_mov_b32 v[22:23], 0, 0
	v_cmp_gt_u32_e32 vcc, s33, v2
	v_pk_mov_b32 v[20:21], v[22:23], v[22:23] op_sel:[0,1]
	v_pk_mov_b32 v[18:19], v[22:23], v[22:23] op_sel:[0,1]
	;; [unrolled: 1-line block ×10, first 2 shown]
	s_and_saveexec_b64 s[20:21], vcc
	s_cbranch_execz .LBB1954_255
; %bb.236:
	v_add_u32_e32 v2, 11, v1
	v_pk_mov_b32 v[20:21], 0, 0
	v_cmp_gt_u32_e32 vcc, s33, v2
	v_pk_mov_b32 v[18:19], v[20:21], v[20:21] op_sel:[0,1]
	v_pk_mov_b32 v[16:17], v[20:21], v[20:21] op_sel:[0,1]
	;; [unrolled: 1-line block ×9, first 2 shown]
	s_and_saveexec_b64 s[22:23], vcc
	s_cbranch_execz .LBB1954_254
; %bb.237:
	v_add_u32_e32 v2, 12, v1
	v_pk_mov_b32 v[18:19], 0, 0
	v_cmp_gt_u32_e32 vcc, s33, v2
	v_pk_mov_b32 v[16:17], v[18:19], v[18:19] op_sel:[0,1]
	v_pk_mov_b32 v[14:15], v[18:19], v[18:19] op_sel:[0,1]
	;; [unrolled: 1-line block ×8, first 2 shown]
	s_and_saveexec_b64 s[24:25], vcc
	s_cbranch_execz .LBB1954_253
; %bb.238:
	v_add_u32_e32 v2, 13, v1
	v_pk_mov_b32 v[16:17], 0, 0
	v_cmp_gt_u32_e32 vcc, s33, v2
	v_pk_mov_b32 v[14:15], v[16:17], v[16:17] op_sel:[0,1]
	v_pk_mov_b32 v[12:13], v[16:17], v[16:17] op_sel:[0,1]
	;; [unrolled: 1-line block ×7, first 2 shown]
	s_and_saveexec_b64 s[26:27], vcc
	s_cbranch_execz .LBB1954_252
; %bb.239:
	v_add_u32_e32 v2, 14, v1
	v_pk_mov_b32 v[14:15], 0, 0
	v_cmp_gt_u32_e32 vcc, s33, v2
	v_pk_mov_b32 v[12:13], v[14:15], v[14:15] op_sel:[0,1]
	v_pk_mov_b32 v[10:11], v[14:15], v[14:15] op_sel:[0,1]
	;; [unrolled: 1-line block ×6, first 2 shown]
	s_and_saveexec_b64 s[28:29], vcc
	s_cbranch_execz .LBB1954_251
; %bb.240:
	v_add_u32_e32 v2, 15, v1
	v_pk_mov_b32 v[12:13], 0, 0
	v_cmp_gt_u32_e32 vcc, s33, v2
	v_pk_mov_b32 v[10:11], v[12:13], v[12:13] op_sel:[0,1]
	v_pk_mov_b32 v[6:7], v[12:13], v[12:13] op_sel:[0,1]
	;; [unrolled: 1-line block ×5, first 2 shown]
	s_and_saveexec_b64 s[30:31], vcc
	s_cbranch_execz .LBB1954_250
; %bb.241:
	v_add_u32_e32 v2, 16, v1
	v_pk_mov_b32 v[10:11], 0, 0
	v_cmp_gt_u32_e32 vcc, s33, v2
	v_pk_mov_b32 v[6:7], v[10:11], v[10:11] op_sel:[0,1]
	v_pk_mov_b32 v[2:3], v[10:11], v[10:11] op_sel:[0,1]
	;; [unrolled: 1-line block ×4, first 2 shown]
	s_and_saveexec_b64 s[34:35], vcc
	s_cbranch_execz .LBB1954_249
; %bb.242:
	v_add_u32_e32 v2, 17, v1
	v_pk_mov_b32 v[6:7], 0, 0
	v_cmp_gt_u32_e32 vcc, s33, v2
	v_pk_mov_b32 v[2:3], v[6:7], v[6:7] op_sel:[0,1]
	v_pk_mov_b32 v[4:5], v[6:7], v[6:7] op_sel:[0,1]
	;; [unrolled: 1-line block ×3, first 2 shown]
	s_and_saveexec_b64 s[36:37], vcc
	s_cbranch_execz .LBB1954_248
; %bb.243:
	v_add_u32_e32 v2, 18, v1
	v_cmp_gt_u32_e32 vcc, s33, v2
	v_pk_mov_b32 v[2:3], 0, 0
	v_pk_mov_b32 v[4:5], v[2:3], v[2:3] op_sel:[0,1]
	v_pk_mov_b32 v[8:9], v[2:3], v[2:3] op_sel:[0,1]
	s_and_saveexec_b64 s[38:39], vcc
	s_cbranch_execz .LBB1954_247
; %bb.244:
	v_add_u32_e32 v2, 19, v1
	v_pk_mov_b32 v[4:5], 0, 0
	v_cmp_gt_u32_e32 vcc, s33, v2
	v_pk_mov_b32 v[8:9], v[4:5], v[4:5] op_sel:[0,1]
	s_and_saveexec_b64 s[40:41], vcc
; %bb.245:
	v_add_u32_e32 v2, 20, v1
	v_cmp_gt_u32_e32 vcc, s33, v2
	v_cndmask_b32_e32 v9, 0, v43, vcc
	v_cndmask_b32_e32 v8, 0, v42, vcc
	v_pk_mov_b32 v[4:5], v[102:103], v[102:103] op_sel:[0,1]
; %bb.246:
	s_or_b64 exec, exec, s[40:41]
	v_pk_mov_b32 v[2:3], v[80:81], v[80:81] op_sel:[0,1]
.LBB1954_247:
	s_or_b64 exec, exec, s[38:39]
	v_pk_mov_b32 v[6:7], v[100:101], v[100:101] op_sel:[0,1]
.LBB1954_248:
	s_or_b64 exec, exec, s[36:37]
	v_pk_mov_b32 v[10:11], v[76:77], v[76:77] op_sel:[0,1]
.LBB1954_249:
	s_or_b64 exec, exec, s[34:35]
	v_pk_mov_b32 v[12:13], v[98:99], v[98:99] op_sel:[0,1]
.LBB1954_250:
	s_or_b64 exec, exec, s[30:31]
	v_pk_mov_b32 v[14:15], v[72:73], v[72:73] op_sel:[0,1]
.LBB1954_251:
	s_or_b64 exec, exec, s[28:29]
	v_pk_mov_b32 v[16:17], v[96:97], v[96:97] op_sel:[0,1]
.LBB1954_252:
	s_or_b64 exec, exec, s[26:27]
	v_pk_mov_b32 v[18:19], v[68:69], v[68:69] op_sel:[0,1]
.LBB1954_253:
	s_or_b64 exec, exec, s[24:25]
	v_pk_mov_b32 v[20:21], v[94:95], v[94:95] op_sel:[0,1]
.LBB1954_254:
	s_or_b64 exec, exec, s[22:23]
	v_pk_mov_b32 v[22:23], v[64:65], v[64:65] op_sel:[0,1]
.LBB1954_255:
	s_or_b64 exec, exec, s[20:21]
	v_pk_mov_b32 v[24:25], v[92:93], v[92:93] op_sel:[0,1]
.LBB1954_256:
	s_or_b64 exec, exec, s[18:19]
	v_pk_mov_b32 v[26:27], v[60:61], v[60:61] op_sel:[0,1]
.LBB1954_257:
	s_or_b64 exec, exec, s[16:17]
	v_pk_mov_b32 v[28:29], v[90:91], v[90:91] op_sel:[0,1]
.LBB1954_258:
	s_or_b64 exec, exec, s[14:15]
	v_pk_mov_b32 v[30:31], v[56:57], v[56:57] op_sel:[0,1]
.LBB1954_259:
	s_or_b64 exec, exec, s[12:13]
	v_pk_mov_b32 v[32:33], v[88:89], v[88:89] op_sel:[0,1]
.LBB1954_260:
	s_or_b64 exec, exec, s[10:11]
	v_pk_mov_b32 v[34:35], v[52:53], v[52:53] op_sel:[0,1]
.LBB1954_261:
	s_or_b64 exec, exec, s[8:9]
	v_pk_mov_b32 v[36:37], v[86:87], v[86:87] op_sel:[0,1]
.LBB1954_262:
	s_or_b64 exec, exec, s[6:7]
	v_pk_mov_b32 v[38:39], v[48:49], v[48:49] op_sel:[0,1]
.LBB1954_263:
	s_or_b64 exec, exec, s[4:5]
	v_pk_mov_b32 v[40:41], v[44:45], v[44:45] op_sel:[0,1]
.LBB1954_264:
	s_or_b64 exec, exec, s[2:3]
	v_pk_mov_b32 v[46:47], v[82:83], v[82:83] op_sel:[0,1]
.LBB1954_265:
	s_or_b64 exec, exec, s[0:1]
	v_lshlrev_b32_e32 v50, 3, v1
	s_movk_i32 s0, 0xff60
	s_waitcnt lgkmcnt(0)
	; wave barrier
	ds_write2_b64 v50, v[46:47], v[40:41] offset1:1
	ds_write2_b64 v50, v[38:39], v[36:37] offset0:2 offset1:3
	ds_write2_b64 v50, v[34:35], v[32:33] offset0:4 offset1:5
	;; [unrolled: 1-line block ×9, first 2 shown]
	ds_write_b64 v50, v[8:9] offset:160
	v_mad_i32_i24 v2, v0, s0, v50
	s_waitcnt lgkmcnt(0)
	; wave barrier
	s_waitcnt lgkmcnt(0)
	ds_read2st64_b64 v[38:41], v2 offset0:1 offset1:2
	ds_read2st64_b64 v[34:37], v2 offset0:3 offset1:4
	;; [unrolled: 1-line block ×10, first 2 shown]
	v_lshlrev_b32_e32 v46, 3, v0
	v_mov_b32_e32 v47, s43
	v_add_co_u32_e32 v46, vcc, s42, v46
	v_addc_co_u32_e32 v47, vcc, 0, v47, vcc
	v_mov_b32_e32 v1, 0
	v_cmp_gt_u32_e32 vcc, s33, v0
	s_and_saveexec_b64 s[0:1], vcc
	s_cbranch_execz .LBB1954_267
; %bb.266:
	v_mul_i32_i24_e32 v51, 0xffffff60, v0
	v_add_u32_e32 v50, v50, v51
	ds_read_b64 v[50:51], v50
	s_waitcnt lgkmcnt(0)
	flat_store_dwordx2 v[46:47], v[50:51]
.LBB1954_267:
	s_or_b64 exec, exec, s[0:1]
	v_or_b32_e32 v50, 64, v0
	v_cmp_gt_u32_e32 vcc, s33, v50
	s_and_saveexec_b64 s[0:1], vcc
	s_cbranch_execz .LBB1954_269
; %bb.268:
	s_waitcnt lgkmcnt(0)
	flat_store_dwordx2 v[46:47], v[38:39] offset:512
.LBB1954_269:
	s_or_b64 exec, exec, s[0:1]
	s_waitcnt lgkmcnt(0)
	v_or_b32_e32 v38, 0x80, v0
	v_cmp_gt_u32_e32 vcc, s33, v38
	s_and_saveexec_b64 s[0:1], vcc
	s_cbranch_execz .LBB1954_271
; %bb.270:
	flat_store_dwordx2 v[46:47], v[40:41] offset:1024
.LBB1954_271:
	s_or_b64 exec, exec, s[0:1]
	v_or_b32_e32 v38, 0xc0, v0
	v_cmp_gt_u32_e32 vcc, s33, v38
	s_and_saveexec_b64 s[0:1], vcc
	s_cbranch_execz .LBB1954_273
; %bb.272:
	flat_store_dwordx2 v[46:47], v[34:35] offset:1536
.LBB1954_273:
	s_or_b64 exec, exec, s[0:1]
	;; [unrolled: 8-line block ×6, first 2 shown]
	v_or_b32_e32 v26, 0x200, v0
	v_cmp_gt_u32_e32 vcc, s33, v26
	s_and_saveexec_b64 s[0:1], vcc
	s_cbranch_execz .LBB1954_283
; %bb.282:
	v_add_co_u32_e32 v26, vcc, 0x1000, v46
	v_addc_co_u32_e32 v27, vcc, 0, v47, vcc
	flat_store_dwordx2 v[26:27], v[28:29]
.LBB1954_283:
	s_or_b64 exec, exec, s[0:1]
	v_or_b32_e32 v26, 0x240, v0
	v_cmp_gt_u32_e32 vcc, s33, v26
	s_and_saveexec_b64 s[0:1], vcc
	s_cbranch_execz .LBB1954_285
; %bb.284:
	v_add_co_u32_e32 v26, vcc, 0x1000, v46
	v_addc_co_u32_e32 v27, vcc, 0, v47, vcc
	flat_store_dwordx2 v[26:27], v[22:23] offset:512
.LBB1954_285:
	s_or_b64 exec, exec, s[0:1]
	v_or_b32_e32 v22, 0x280, v0
	v_cmp_gt_u32_e32 vcc, s33, v22
	s_and_saveexec_b64 s[0:1], vcc
	s_cbranch_execz .LBB1954_287
; %bb.286:
	v_add_co_u32_e32 v22, vcc, 0x1000, v46
	v_addc_co_u32_e32 v23, vcc, 0, v47, vcc
	flat_store_dwordx2 v[22:23], v[24:25] offset:1024
.LBB1954_287:
	;; [unrolled: 10-line block ×7, first 2 shown]
	s_or_b64 exec, exec, s[0:1]
	v_or_b32_e32 v10, 0x400, v0
	v_cmp_gt_u32_e32 vcc, s33, v10
	s_and_saveexec_b64 s[0:1], vcc
	s_cbranch_execz .LBB1954_299
; %bb.298:
	v_add_co_u32_e32 v10, vcc, 0x2000, v46
	v_addc_co_u32_e32 v11, vcc, 0, v47, vcc
	flat_store_dwordx2 v[10:11], v[12:13]
.LBB1954_299:
	s_or_b64 exec, exec, s[0:1]
	v_or_b32_e32 v10, 0x440, v0
	v_cmp_gt_u32_e32 vcc, s33, v10
	s_and_saveexec_b64 s[0:1], vcc
	s_cbranch_execz .LBB1954_301
; %bb.300:
	v_add_co_u32_e32 v10, vcc, 0x2000, v46
	v_addc_co_u32_e32 v11, vcc, 0, v47, vcc
	flat_store_dwordx2 v[10:11], v[6:7] offset:512
.LBB1954_301:
	s_or_b64 exec, exec, s[0:1]
	v_or_b32_e32 v6, 0x480, v0
	v_cmp_gt_u32_e32 vcc, s33, v6
	s_and_saveexec_b64 s[0:1], vcc
	s_cbranch_execz .LBB1954_303
; %bb.302:
	v_add_co_u32_e32 v6, vcc, 0x2000, v46
	v_addc_co_u32_e32 v7, vcc, 0, v47, vcc
	flat_store_dwordx2 v[6:7], v[8:9] offset:1024
.LBB1954_303:
	;; [unrolled: 10-line block ×3, first 2 shown]
	s_or_b64 exec, exec, s[0:1]
	v_or_b32_e32 v2, 0x500, v0
	v_cmp_gt_u32_e64 s[0:1], s33, v2
	s_branch .LBB1954_308
.LBB1954_306:
	s_mov_b64 s[0:1], 0
                                        ; kill: def $vgpr2_vgpr3 killed $sgpr0_sgpr1 killed $exec
                                        ; implicit-def: $vgpr4_vgpr5
	s_cbranch_execz .LBB1954_308
; %bb.307:
	s_movk_i32 s2, 0xa8
	v_mul_i32_i24_e32 v2, 0xffffff60, v0
	v_mul_u32_u24_e32 v1, 0xa8, v0
	v_mad_u32_u24 v2, v0, s2, v2
	s_waitcnt lgkmcnt(0)
	; wave barrier
	s_waitcnt lgkmcnt(0)
	ds_write2_b64 v1, v[82:83], v[44:45] offset1:1
	ds_write2_b64 v1, v[48:49], v[86:87] offset0:2 offset1:3
	ds_write2_b64 v1, v[52:53], v[88:89] offset0:4 offset1:5
	;; [unrolled: 1-line block ×9, first 2 shown]
	ds_write_b64 v1, v[42:43] offset:160
	s_waitcnt lgkmcnt(0)
	; wave barrier
	s_waitcnt lgkmcnt(0)
	ds_read2st64_b64 v[6:9], v2 offset1:1
	ds_read2st64_b64 v[10:13], v2 offset0:2 offset1:3
	ds_read2st64_b64 v[14:17], v2 offset0:4 offset1:5
	;; [unrolled: 1-line block ×9, first 2 shown]
	ds_read_b64 v[4:5], v2 offset:10240
	v_lshlrev_b32_e32 v2, 3, v0
	v_mov_b32_e32 v3, s43
	v_add_co_u32_e32 v2, vcc, s42, v2
	v_addc_co_u32_e32 v3, vcc, 0, v3, vcc
	s_movk_i32 s2, 0x1000
	s_waitcnt lgkmcnt(0)
	flat_store_dwordx2 v[2:3], v[6:7]
	flat_store_dwordx2 v[2:3], v[8:9] offset:512
	flat_store_dwordx2 v[2:3], v[10:11] offset:1024
	;; [unrolled: 1-line block ×7, first 2 shown]
	v_add_co_u32_e32 v6, vcc, s2, v2
	v_addc_co_u32_e32 v7, vcc, 0, v3, vcc
	v_add_co_u32_e32 v2, vcc, 0x2000, v2
	v_mov_b32_e32 v1, 0
	v_addc_co_u32_e32 v3, vcc, 0, v3, vcc
	s_or_b64 s[0:1], s[0:1], exec
	flat_store_dwordx2 v[6:7], v[22:23]
	flat_store_dwordx2 v[6:7], v[24:25] offset:512
	flat_store_dwordx2 v[6:7], v[26:27] offset:1024
	;; [unrolled: 1-line block ×7, first 2 shown]
	flat_store_dwordx2 v[2:3], v[38:39]
	flat_store_dwordx2 v[2:3], v[40:41] offset:512
	flat_store_dwordx2 v[2:3], v[42:43] offset:1024
	;; [unrolled: 1-line block ×3, first 2 shown]
.LBB1954_308:
	s_and_saveexec_b64 s[2:3], s[0:1]
	s_cbranch_execnz .LBB1954_310
; %bb.309:
	s_endpgm
.LBB1954_310:
	v_lshlrev_b64 v[0:1], 3, v[0:1]
	v_mov_b32_e32 v2, s43
	v_add_co_u32_e32 v0, vcc, s42, v0
	v_addc_co_u32_e32 v1, vcc, v2, v1, vcc
	v_add_co_u32_e32 v0, vcc, 0x2000, v0
	v_addc_co_u32_e32 v1, vcc, 0, v1, vcc
	flat_store_dwordx2 v[0:1], v[4:5] offset:2048
	s_endpgm
.LBB1954_311:
	v_lshlrev_b32_e32 v1, 3, v62
	v_mov_b32_e32 v61, s60
	v_add_co_u32_e32 v60, vcc, s7, v1
	v_addc_co_u32_e32 v61, vcc, 0, v61, vcc
	flat_load_dwordx2 v[60:61], v[60:61]
	s_or_b64 exec, exec, s[2:3]
	s_and_saveexec_b64 s[2:3], s[42:43]
	s_cbranch_execz .LBB1954_87
.LBB1954_312:
	v_lshlrev_b32_e32 v1, 3, v63
	v_mov_b32_e32 v59, s60
	v_add_co_u32_e32 v58, vcc, s7, v1
	v_addc_co_u32_e32 v59, vcc, 0, v59, vcc
	flat_load_dwordx2 v[58:59], v[58:59]
	s_or_b64 exec, exec, s[2:3]
	v_pk_mov_b32 v[62:63], 0, 0
	s_and_saveexec_b64 s[2:3], s[44:45]
	s_cbranch_execnz .LBB1954_88
	s_branch .LBB1954_89
.LBB1954_313:
                                        ; implicit-def: $sgpr54_sgpr55
	s_branch .LBB1954_46
.LBB1954_314:
                                        ; implicit-def: $sgpr2_sgpr3
	s_branch .LBB1954_134
	.section	.rodata,"a",@progbits
	.p2align	6, 0x0
	.amdhsa_kernel _ZN7rocprim17ROCPRIM_400000_NS6detail17trampoline_kernelINS0_14default_configENS1_27scan_by_key_config_selectorIj11FixedVectorIiLj2EEEEZZNS1_16scan_by_key_implILNS1_25lookback_scan_determinismE0ELb0ES3_N6thrust23THRUST_200600_302600_NS6detail15normal_iteratorINSB_10device_ptrIjEEEENSD_INSE_IS6_EEEESI_S6_NSB_4plusIvEENSB_8equal_toIvEES6_EE10hipError_tPvRmT2_T3_T4_T5_mT6_T7_P12ihipStream_tbENKUlT_T0_E_clISt17integral_constantIbLb0EES13_EEDaSY_SZ_EUlSY_E_NS1_11comp_targetILNS1_3genE4ELNS1_11target_archE910ELNS1_3gpuE8ELNS1_3repE0EEENS1_30default_config_static_selectorELNS0_4arch9wavefront6targetE1EEEvT1_
		.amdhsa_group_segment_fixed_size 10752
		.amdhsa_private_segment_fixed_size 0
		.amdhsa_kernarg_size 120
		.amdhsa_user_sgpr_count 6
		.amdhsa_user_sgpr_private_segment_buffer 1
		.amdhsa_user_sgpr_dispatch_ptr 0
		.amdhsa_user_sgpr_queue_ptr 0
		.amdhsa_user_sgpr_kernarg_segment_ptr 1
		.amdhsa_user_sgpr_dispatch_id 0
		.amdhsa_user_sgpr_flat_scratch_init 0
		.amdhsa_user_sgpr_kernarg_preload_length 0
		.amdhsa_user_sgpr_kernarg_preload_offset 0
		.amdhsa_user_sgpr_private_segment_size 0
		.amdhsa_uses_dynamic_stack 0
		.amdhsa_system_sgpr_private_segment_wavefront_offset 0
		.amdhsa_system_sgpr_workgroup_id_x 1
		.amdhsa_system_sgpr_workgroup_id_y 0
		.amdhsa_system_sgpr_workgroup_id_z 0
		.amdhsa_system_sgpr_workgroup_info 0
		.amdhsa_system_vgpr_workitem_id 0
		.amdhsa_next_free_vgpr 136
		.amdhsa_next_free_sgpr 96
		.amdhsa_accum_offset 136
		.amdhsa_reserve_vcc 1
		.amdhsa_reserve_flat_scratch 0
		.amdhsa_float_round_mode_32 0
		.amdhsa_float_round_mode_16_64 0
		.amdhsa_float_denorm_mode_32 3
		.amdhsa_float_denorm_mode_16_64 3
		.amdhsa_dx10_clamp 1
		.amdhsa_ieee_mode 1
		.amdhsa_fp16_overflow 0
		.amdhsa_tg_split 0
		.amdhsa_exception_fp_ieee_invalid_op 0
		.amdhsa_exception_fp_denorm_src 0
		.amdhsa_exception_fp_ieee_div_zero 0
		.amdhsa_exception_fp_ieee_overflow 0
		.amdhsa_exception_fp_ieee_underflow 0
		.amdhsa_exception_fp_ieee_inexact 0
		.amdhsa_exception_int_div_zero 0
	.end_amdhsa_kernel
	.section	.text._ZN7rocprim17ROCPRIM_400000_NS6detail17trampoline_kernelINS0_14default_configENS1_27scan_by_key_config_selectorIj11FixedVectorIiLj2EEEEZZNS1_16scan_by_key_implILNS1_25lookback_scan_determinismE0ELb0ES3_N6thrust23THRUST_200600_302600_NS6detail15normal_iteratorINSB_10device_ptrIjEEEENSD_INSE_IS6_EEEESI_S6_NSB_4plusIvEENSB_8equal_toIvEES6_EE10hipError_tPvRmT2_T3_T4_T5_mT6_T7_P12ihipStream_tbENKUlT_T0_E_clISt17integral_constantIbLb0EES13_EEDaSY_SZ_EUlSY_E_NS1_11comp_targetILNS1_3genE4ELNS1_11target_archE910ELNS1_3gpuE8ELNS1_3repE0EEENS1_30default_config_static_selectorELNS0_4arch9wavefront6targetE1EEEvT1_,"axG",@progbits,_ZN7rocprim17ROCPRIM_400000_NS6detail17trampoline_kernelINS0_14default_configENS1_27scan_by_key_config_selectorIj11FixedVectorIiLj2EEEEZZNS1_16scan_by_key_implILNS1_25lookback_scan_determinismE0ELb0ES3_N6thrust23THRUST_200600_302600_NS6detail15normal_iteratorINSB_10device_ptrIjEEEENSD_INSE_IS6_EEEESI_S6_NSB_4plusIvEENSB_8equal_toIvEES6_EE10hipError_tPvRmT2_T3_T4_T5_mT6_T7_P12ihipStream_tbENKUlT_T0_E_clISt17integral_constantIbLb0EES13_EEDaSY_SZ_EUlSY_E_NS1_11comp_targetILNS1_3genE4ELNS1_11target_archE910ELNS1_3gpuE8ELNS1_3repE0EEENS1_30default_config_static_selectorELNS0_4arch9wavefront6targetE1EEEvT1_,comdat
.Lfunc_end1954:
	.size	_ZN7rocprim17ROCPRIM_400000_NS6detail17trampoline_kernelINS0_14default_configENS1_27scan_by_key_config_selectorIj11FixedVectorIiLj2EEEEZZNS1_16scan_by_key_implILNS1_25lookback_scan_determinismE0ELb0ES3_N6thrust23THRUST_200600_302600_NS6detail15normal_iteratorINSB_10device_ptrIjEEEENSD_INSE_IS6_EEEESI_S6_NSB_4plusIvEENSB_8equal_toIvEES6_EE10hipError_tPvRmT2_T3_T4_T5_mT6_T7_P12ihipStream_tbENKUlT_T0_E_clISt17integral_constantIbLb0EES13_EEDaSY_SZ_EUlSY_E_NS1_11comp_targetILNS1_3genE4ELNS1_11target_archE910ELNS1_3gpuE8ELNS1_3repE0EEENS1_30default_config_static_selectorELNS0_4arch9wavefront6targetE1EEEvT1_, .Lfunc_end1954-_ZN7rocprim17ROCPRIM_400000_NS6detail17trampoline_kernelINS0_14default_configENS1_27scan_by_key_config_selectorIj11FixedVectorIiLj2EEEEZZNS1_16scan_by_key_implILNS1_25lookback_scan_determinismE0ELb0ES3_N6thrust23THRUST_200600_302600_NS6detail15normal_iteratorINSB_10device_ptrIjEEEENSD_INSE_IS6_EEEESI_S6_NSB_4plusIvEENSB_8equal_toIvEES6_EE10hipError_tPvRmT2_T3_T4_T5_mT6_T7_P12ihipStream_tbENKUlT_T0_E_clISt17integral_constantIbLb0EES13_EEDaSY_SZ_EUlSY_E_NS1_11comp_targetILNS1_3genE4ELNS1_11target_archE910ELNS1_3gpuE8ELNS1_3repE0EEENS1_30default_config_static_selectorELNS0_4arch9wavefront6targetE1EEEvT1_
                                        ; -- End function
	.section	.AMDGPU.csdata,"",@progbits
; Kernel info:
; codeLenInByte = 19036
; NumSgprs: 100
; NumVgprs: 136
; NumAgprs: 0
; TotalNumVgprs: 136
; ScratchSize: 0
; MemoryBound: 0
; FloatMode: 240
; IeeeMode: 1
; LDSByteSize: 10752 bytes/workgroup (compile time only)
; SGPRBlocks: 12
; VGPRBlocks: 16
; NumSGPRsForWavesPerEU: 100
; NumVGPRsForWavesPerEU: 136
; AccumOffset: 136
; Occupancy: 2
; WaveLimiterHint : 1
; COMPUTE_PGM_RSRC2:SCRATCH_EN: 0
; COMPUTE_PGM_RSRC2:USER_SGPR: 6
; COMPUTE_PGM_RSRC2:TRAP_HANDLER: 0
; COMPUTE_PGM_RSRC2:TGID_X_EN: 1
; COMPUTE_PGM_RSRC2:TGID_Y_EN: 0
; COMPUTE_PGM_RSRC2:TGID_Z_EN: 0
; COMPUTE_PGM_RSRC2:TIDIG_COMP_CNT: 0
; COMPUTE_PGM_RSRC3_GFX90A:ACCUM_OFFSET: 33
; COMPUTE_PGM_RSRC3_GFX90A:TG_SPLIT: 0
	.section	.text._ZN7rocprim17ROCPRIM_400000_NS6detail17trampoline_kernelINS0_14default_configENS1_27scan_by_key_config_selectorIj11FixedVectorIiLj2EEEEZZNS1_16scan_by_key_implILNS1_25lookback_scan_determinismE0ELb0ES3_N6thrust23THRUST_200600_302600_NS6detail15normal_iteratorINSB_10device_ptrIjEEEENSD_INSE_IS6_EEEESI_S6_NSB_4plusIvEENSB_8equal_toIvEES6_EE10hipError_tPvRmT2_T3_T4_T5_mT6_T7_P12ihipStream_tbENKUlT_T0_E_clISt17integral_constantIbLb0EES13_EEDaSY_SZ_EUlSY_E_NS1_11comp_targetILNS1_3genE3ELNS1_11target_archE908ELNS1_3gpuE7ELNS1_3repE0EEENS1_30default_config_static_selectorELNS0_4arch9wavefront6targetE1EEEvT1_,"axG",@progbits,_ZN7rocprim17ROCPRIM_400000_NS6detail17trampoline_kernelINS0_14default_configENS1_27scan_by_key_config_selectorIj11FixedVectorIiLj2EEEEZZNS1_16scan_by_key_implILNS1_25lookback_scan_determinismE0ELb0ES3_N6thrust23THRUST_200600_302600_NS6detail15normal_iteratorINSB_10device_ptrIjEEEENSD_INSE_IS6_EEEESI_S6_NSB_4plusIvEENSB_8equal_toIvEES6_EE10hipError_tPvRmT2_T3_T4_T5_mT6_T7_P12ihipStream_tbENKUlT_T0_E_clISt17integral_constantIbLb0EES13_EEDaSY_SZ_EUlSY_E_NS1_11comp_targetILNS1_3genE3ELNS1_11target_archE908ELNS1_3gpuE7ELNS1_3repE0EEENS1_30default_config_static_selectorELNS0_4arch9wavefront6targetE1EEEvT1_,comdat
	.protected	_ZN7rocprim17ROCPRIM_400000_NS6detail17trampoline_kernelINS0_14default_configENS1_27scan_by_key_config_selectorIj11FixedVectorIiLj2EEEEZZNS1_16scan_by_key_implILNS1_25lookback_scan_determinismE0ELb0ES3_N6thrust23THRUST_200600_302600_NS6detail15normal_iteratorINSB_10device_ptrIjEEEENSD_INSE_IS6_EEEESI_S6_NSB_4plusIvEENSB_8equal_toIvEES6_EE10hipError_tPvRmT2_T3_T4_T5_mT6_T7_P12ihipStream_tbENKUlT_T0_E_clISt17integral_constantIbLb0EES13_EEDaSY_SZ_EUlSY_E_NS1_11comp_targetILNS1_3genE3ELNS1_11target_archE908ELNS1_3gpuE7ELNS1_3repE0EEENS1_30default_config_static_selectorELNS0_4arch9wavefront6targetE1EEEvT1_ ; -- Begin function _ZN7rocprim17ROCPRIM_400000_NS6detail17trampoline_kernelINS0_14default_configENS1_27scan_by_key_config_selectorIj11FixedVectorIiLj2EEEEZZNS1_16scan_by_key_implILNS1_25lookback_scan_determinismE0ELb0ES3_N6thrust23THRUST_200600_302600_NS6detail15normal_iteratorINSB_10device_ptrIjEEEENSD_INSE_IS6_EEEESI_S6_NSB_4plusIvEENSB_8equal_toIvEES6_EE10hipError_tPvRmT2_T3_T4_T5_mT6_T7_P12ihipStream_tbENKUlT_T0_E_clISt17integral_constantIbLb0EES13_EEDaSY_SZ_EUlSY_E_NS1_11comp_targetILNS1_3genE3ELNS1_11target_archE908ELNS1_3gpuE7ELNS1_3repE0EEENS1_30default_config_static_selectorELNS0_4arch9wavefront6targetE1EEEvT1_
	.globl	_ZN7rocprim17ROCPRIM_400000_NS6detail17trampoline_kernelINS0_14default_configENS1_27scan_by_key_config_selectorIj11FixedVectorIiLj2EEEEZZNS1_16scan_by_key_implILNS1_25lookback_scan_determinismE0ELb0ES3_N6thrust23THRUST_200600_302600_NS6detail15normal_iteratorINSB_10device_ptrIjEEEENSD_INSE_IS6_EEEESI_S6_NSB_4plusIvEENSB_8equal_toIvEES6_EE10hipError_tPvRmT2_T3_T4_T5_mT6_T7_P12ihipStream_tbENKUlT_T0_E_clISt17integral_constantIbLb0EES13_EEDaSY_SZ_EUlSY_E_NS1_11comp_targetILNS1_3genE3ELNS1_11target_archE908ELNS1_3gpuE7ELNS1_3repE0EEENS1_30default_config_static_selectorELNS0_4arch9wavefront6targetE1EEEvT1_
	.p2align	8
	.type	_ZN7rocprim17ROCPRIM_400000_NS6detail17trampoline_kernelINS0_14default_configENS1_27scan_by_key_config_selectorIj11FixedVectorIiLj2EEEEZZNS1_16scan_by_key_implILNS1_25lookback_scan_determinismE0ELb0ES3_N6thrust23THRUST_200600_302600_NS6detail15normal_iteratorINSB_10device_ptrIjEEEENSD_INSE_IS6_EEEESI_S6_NSB_4plusIvEENSB_8equal_toIvEES6_EE10hipError_tPvRmT2_T3_T4_T5_mT6_T7_P12ihipStream_tbENKUlT_T0_E_clISt17integral_constantIbLb0EES13_EEDaSY_SZ_EUlSY_E_NS1_11comp_targetILNS1_3genE3ELNS1_11target_archE908ELNS1_3gpuE7ELNS1_3repE0EEENS1_30default_config_static_selectorELNS0_4arch9wavefront6targetE1EEEvT1_,@function
_ZN7rocprim17ROCPRIM_400000_NS6detail17trampoline_kernelINS0_14default_configENS1_27scan_by_key_config_selectorIj11FixedVectorIiLj2EEEEZZNS1_16scan_by_key_implILNS1_25lookback_scan_determinismE0ELb0ES3_N6thrust23THRUST_200600_302600_NS6detail15normal_iteratorINSB_10device_ptrIjEEEENSD_INSE_IS6_EEEESI_S6_NSB_4plusIvEENSB_8equal_toIvEES6_EE10hipError_tPvRmT2_T3_T4_T5_mT6_T7_P12ihipStream_tbENKUlT_T0_E_clISt17integral_constantIbLb0EES13_EEDaSY_SZ_EUlSY_E_NS1_11comp_targetILNS1_3genE3ELNS1_11target_archE908ELNS1_3gpuE7ELNS1_3repE0EEENS1_30default_config_static_selectorELNS0_4arch9wavefront6targetE1EEEvT1_: ; @_ZN7rocprim17ROCPRIM_400000_NS6detail17trampoline_kernelINS0_14default_configENS1_27scan_by_key_config_selectorIj11FixedVectorIiLj2EEEEZZNS1_16scan_by_key_implILNS1_25lookback_scan_determinismE0ELb0ES3_N6thrust23THRUST_200600_302600_NS6detail15normal_iteratorINSB_10device_ptrIjEEEENSD_INSE_IS6_EEEESI_S6_NSB_4plusIvEENSB_8equal_toIvEES6_EE10hipError_tPvRmT2_T3_T4_T5_mT6_T7_P12ihipStream_tbENKUlT_T0_E_clISt17integral_constantIbLb0EES13_EEDaSY_SZ_EUlSY_E_NS1_11comp_targetILNS1_3genE3ELNS1_11target_archE908ELNS1_3gpuE7ELNS1_3repE0EEENS1_30default_config_static_selectorELNS0_4arch9wavefront6targetE1EEEvT1_
; %bb.0:
	.section	.rodata,"a",@progbits
	.p2align	6, 0x0
	.amdhsa_kernel _ZN7rocprim17ROCPRIM_400000_NS6detail17trampoline_kernelINS0_14default_configENS1_27scan_by_key_config_selectorIj11FixedVectorIiLj2EEEEZZNS1_16scan_by_key_implILNS1_25lookback_scan_determinismE0ELb0ES3_N6thrust23THRUST_200600_302600_NS6detail15normal_iteratorINSB_10device_ptrIjEEEENSD_INSE_IS6_EEEESI_S6_NSB_4plusIvEENSB_8equal_toIvEES6_EE10hipError_tPvRmT2_T3_T4_T5_mT6_T7_P12ihipStream_tbENKUlT_T0_E_clISt17integral_constantIbLb0EES13_EEDaSY_SZ_EUlSY_E_NS1_11comp_targetILNS1_3genE3ELNS1_11target_archE908ELNS1_3gpuE7ELNS1_3repE0EEENS1_30default_config_static_selectorELNS0_4arch9wavefront6targetE1EEEvT1_
		.amdhsa_group_segment_fixed_size 0
		.amdhsa_private_segment_fixed_size 0
		.amdhsa_kernarg_size 120
		.amdhsa_user_sgpr_count 6
		.amdhsa_user_sgpr_private_segment_buffer 1
		.amdhsa_user_sgpr_dispatch_ptr 0
		.amdhsa_user_sgpr_queue_ptr 0
		.amdhsa_user_sgpr_kernarg_segment_ptr 1
		.amdhsa_user_sgpr_dispatch_id 0
		.amdhsa_user_sgpr_flat_scratch_init 0
		.amdhsa_user_sgpr_kernarg_preload_length 0
		.amdhsa_user_sgpr_kernarg_preload_offset 0
		.amdhsa_user_sgpr_private_segment_size 0
		.amdhsa_uses_dynamic_stack 0
		.amdhsa_system_sgpr_private_segment_wavefront_offset 0
		.amdhsa_system_sgpr_workgroup_id_x 1
		.amdhsa_system_sgpr_workgroup_id_y 0
		.amdhsa_system_sgpr_workgroup_id_z 0
		.amdhsa_system_sgpr_workgroup_info 0
		.amdhsa_system_vgpr_workitem_id 0
		.amdhsa_next_free_vgpr 1
		.amdhsa_next_free_sgpr 0
		.amdhsa_accum_offset 4
		.amdhsa_reserve_vcc 0
		.amdhsa_reserve_flat_scratch 0
		.amdhsa_float_round_mode_32 0
		.amdhsa_float_round_mode_16_64 0
		.amdhsa_float_denorm_mode_32 3
		.amdhsa_float_denorm_mode_16_64 3
		.amdhsa_dx10_clamp 1
		.amdhsa_ieee_mode 1
		.amdhsa_fp16_overflow 0
		.amdhsa_tg_split 0
		.amdhsa_exception_fp_ieee_invalid_op 0
		.amdhsa_exception_fp_denorm_src 0
		.amdhsa_exception_fp_ieee_div_zero 0
		.amdhsa_exception_fp_ieee_overflow 0
		.amdhsa_exception_fp_ieee_underflow 0
		.amdhsa_exception_fp_ieee_inexact 0
		.amdhsa_exception_int_div_zero 0
	.end_amdhsa_kernel
	.section	.text._ZN7rocprim17ROCPRIM_400000_NS6detail17trampoline_kernelINS0_14default_configENS1_27scan_by_key_config_selectorIj11FixedVectorIiLj2EEEEZZNS1_16scan_by_key_implILNS1_25lookback_scan_determinismE0ELb0ES3_N6thrust23THRUST_200600_302600_NS6detail15normal_iteratorINSB_10device_ptrIjEEEENSD_INSE_IS6_EEEESI_S6_NSB_4plusIvEENSB_8equal_toIvEES6_EE10hipError_tPvRmT2_T3_T4_T5_mT6_T7_P12ihipStream_tbENKUlT_T0_E_clISt17integral_constantIbLb0EES13_EEDaSY_SZ_EUlSY_E_NS1_11comp_targetILNS1_3genE3ELNS1_11target_archE908ELNS1_3gpuE7ELNS1_3repE0EEENS1_30default_config_static_selectorELNS0_4arch9wavefront6targetE1EEEvT1_,"axG",@progbits,_ZN7rocprim17ROCPRIM_400000_NS6detail17trampoline_kernelINS0_14default_configENS1_27scan_by_key_config_selectorIj11FixedVectorIiLj2EEEEZZNS1_16scan_by_key_implILNS1_25lookback_scan_determinismE0ELb0ES3_N6thrust23THRUST_200600_302600_NS6detail15normal_iteratorINSB_10device_ptrIjEEEENSD_INSE_IS6_EEEESI_S6_NSB_4plusIvEENSB_8equal_toIvEES6_EE10hipError_tPvRmT2_T3_T4_T5_mT6_T7_P12ihipStream_tbENKUlT_T0_E_clISt17integral_constantIbLb0EES13_EEDaSY_SZ_EUlSY_E_NS1_11comp_targetILNS1_3genE3ELNS1_11target_archE908ELNS1_3gpuE7ELNS1_3repE0EEENS1_30default_config_static_selectorELNS0_4arch9wavefront6targetE1EEEvT1_,comdat
.Lfunc_end1955:
	.size	_ZN7rocprim17ROCPRIM_400000_NS6detail17trampoline_kernelINS0_14default_configENS1_27scan_by_key_config_selectorIj11FixedVectorIiLj2EEEEZZNS1_16scan_by_key_implILNS1_25lookback_scan_determinismE0ELb0ES3_N6thrust23THRUST_200600_302600_NS6detail15normal_iteratorINSB_10device_ptrIjEEEENSD_INSE_IS6_EEEESI_S6_NSB_4plusIvEENSB_8equal_toIvEES6_EE10hipError_tPvRmT2_T3_T4_T5_mT6_T7_P12ihipStream_tbENKUlT_T0_E_clISt17integral_constantIbLb0EES13_EEDaSY_SZ_EUlSY_E_NS1_11comp_targetILNS1_3genE3ELNS1_11target_archE908ELNS1_3gpuE7ELNS1_3repE0EEENS1_30default_config_static_selectorELNS0_4arch9wavefront6targetE1EEEvT1_, .Lfunc_end1955-_ZN7rocprim17ROCPRIM_400000_NS6detail17trampoline_kernelINS0_14default_configENS1_27scan_by_key_config_selectorIj11FixedVectorIiLj2EEEEZZNS1_16scan_by_key_implILNS1_25lookback_scan_determinismE0ELb0ES3_N6thrust23THRUST_200600_302600_NS6detail15normal_iteratorINSB_10device_ptrIjEEEENSD_INSE_IS6_EEEESI_S6_NSB_4plusIvEENSB_8equal_toIvEES6_EE10hipError_tPvRmT2_T3_T4_T5_mT6_T7_P12ihipStream_tbENKUlT_T0_E_clISt17integral_constantIbLb0EES13_EEDaSY_SZ_EUlSY_E_NS1_11comp_targetILNS1_3genE3ELNS1_11target_archE908ELNS1_3gpuE7ELNS1_3repE0EEENS1_30default_config_static_selectorELNS0_4arch9wavefront6targetE1EEEvT1_
                                        ; -- End function
	.section	.AMDGPU.csdata,"",@progbits
; Kernel info:
; codeLenInByte = 0
; NumSgprs: 4
; NumVgprs: 0
; NumAgprs: 0
; TotalNumVgprs: 0
; ScratchSize: 0
; MemoryBound: 0
; FloatMode: 240
; IeeeMode: 1
; LDSByteSize: 0 bytes/workgroup (compile time only)
; SGPRBlocks: 0
; VGPRBlocks: 0
; NumSGPRsForWavesPerEU: 4
; NumVGPRsForWavesPerEU: 1
; AccumOffset: 4
; Occupancy: 8
; WaveLimiterHint : 0
; COMPUTE_PGM_RSRC2:SCRATCH_EN: 0
; COMPUTE_PGM_RSRC2:USER_SGPR: 6
; COMPUTE_PGM_RSRC2:TRAP_HANDLER: 0
; COMPUTE_PGM_RSRC2:TGID_X_EN: 1
; COMPUTE_PGM_RSRC2:TGID_Y_EN: 0
; COMPUTE_PGM_RSRC2:TGID_Z_EN: 0
; COMPUTE_PGM_RSRC2:TIDIG_COMP_CNT: 0
; COMPUTE_PGM_RSRC3_GFX90A:ACCUM_OFFSET: 0
; COMPUTE_PGM_RSRC3_GFX90A:TG_SPLIT: 0
	.section	.text._ZN7rocprim17ROCPRIM_400000_NS6detail17trampoline_kernelINS0_14default_configENS1_27scan_by_key_config_selectorIj11FixedVectorIiLj2EEEEZZNS1_16scan_by_key_implILNS1_25lookback_scan_determinismE0ELb0ES3_N6thrust23THRUST_200600_302600_NS6detail15normal_iteratorINSB_10device_ptrIjEEEENSD_INSE_IS6_EEEESI_S6_NSB_4plusIvEENSB_8equal_toIvEES6_EE10hipError_tPvRmT2_T3_T4_T5_mT6_T7_P12ihipStream_tbENKUlT_T0_E_clISt17integral_constantIbLb0EES13_EEDaSY_SZ_EUlSY_E_NS1_11comp_targetILNS1_3genE2ELNS1_11target_archE906ELNS1_3gpuE6ELNS1_3repE0EEENS1_30default_config_static_selectorELNS0_4arch9wavefront6targetE1EEEvT1_,"axG",@progbits,_ZN7rocprim17ROCPRIM_400000_NS6detail17trampoline_kernelINS0_14default_configENS1_27scan_by_key_config_selectorIj11FixedVectorIiLj2EEEEZZNS1_16scan_by_key_implILNS1_25lookback_scan_determinismE0ELb0ES3_N6thrust23THRUST_200600_302600_NS6detail15normal_iteratorINSB_10device_ptrIjEEEENSD_INSE_IS6_EEEESI_S6_NSB_4plusIvEENSB_8equal_toIvEES6_EE10hipError_tPvRmT2_T3_T4_T5_mT6_T7_P12ihipStream_tbENKUlT_T0_E_clISt17integral_constantIbLb0EES13_EEDaSY_SZ_EUlSY_E_NS1_11comp_targetILNS1_3genE2ELNS1_11target_archE906ELNS1_3gpuE6ELNS1_3repE0EEENS1_30default_config_static_selectorELNS0_4arch9wavefront6targetE1EEEvT1_,comdat
	.protected	_ZN7rocprim17ROCPRIM_400000_NS6detail17trampoline_kernelINS0_14default_configENS1_27scan_by_key_config_selectorIj11FixedVectorIiLj2EEEEZZNS1_16scan_by_key_implILNS1_25lookback_scan_determinismE0ELb0ES3_N6thrust23THRUST_200600_302600_NS6detail15normal_iteratorINSB_10device_ptrIjEEEENSD_INSE_IS6_EEEESI_S6_NSB_4plusIvEENSB_8equal_toIvEES6_EE10hipError_tPvRmT2_T3_T4_T5_mT6_T7_P12ihipStream_tbENKUlT_T0_E_clISt17integral_constantIbLb0EES13_EEDaSY_SZ_EUlSY_E_NS1_11comp_targetILNS1_3genE2ELNS1_11target_archE906ELNS1_3gpuE6ELNS1_3repE0EEENS1_30default_config_static_selectorELNS0_4arch9wavefront6targetE1EEEvT1_ ; -- Begin function _ZN7rocprim17ROCPRIM_400000_NS6detail17trampoline_kernelINS0_14default_configENS1_27scan_by_key_config_selectorIj11FixedVectorIiLj2EEEEZZNS1_16scan_by_key_implILNS1_25lookback_scan_determinismE0ELb0ES3_N6thrust23THRUST_200600_302600_NS6detail15normal_iteratorINSB_10device_ptrIjEEEENSD_INSE_IS6_EEEESI_S6_NSB_4plusIvEENSB_8equal_toIvEES6_EE10hipError_tPvRmT2_T3_T4_T5_mT6_T7_P12ihipStream_tbENKUlT_T0_E_clISt17integral_constantIbLb0EES13_EEDaSY_SZ_EUlSY_E_NS1_11comp_targetILNS1_3genE2ELNS1_11target_archE906ELNS1_3gpuE6ELNS1_3repE0EEENS1_30default_config_static_selectorELNS0_4arch9wavefront6targetE1EEEvT1_
	.globl	_ZN7rocprim17ROCPRIM_400000_NS6detail17trampoline_kernelINS0_14default_configENS1_27scan_by_key_config_selectorIj11FixedVectorIiLj2EEEEZZNS1_16scan_by_key_implILNS1_25lookback_scan_determinismE0ELb0ES3_N6thrust23THRUST_200600_302600_NS6detail15normal_iteratorINSB_10device_ptrIjEEEENSD_INSE_IS6_EEEESI_S6_NSB_4plusIvEENSB_8equal_toIvEES6_EE10hipError_tPvRmT2_T3_T4_T5_mT6_T7_P12ihipStream_tbENKUlT_T0_E_clISt17integral_constantIbLb0EES13_EEDaSY_SZ_EUlSY_E_NS1_11comp_targetILNS1_3genE2ELNS1_11target_archE906ELNS1_3gpuE6ELNS1_3repE0EEENS1_30default_config_static_selectorELNS0_4arch9wavefront6targetE1EEEvT1_
	.p2align	8
	.type	_ZN7rocprim17ROCPRIM_400000_NS6detail17trampoline_kernelINS0_14default_configENS1_27scan_by_key_config_selectorIj11FixedVectorIiLj2EEEEZZNS1_16scan_by_key_implILNS1_25lookback_scan_determinismE0ELb0ES3_N6thrust23THRUST_200600_302600_NS6detail15normal_iteratorINSB_10device_ptrIjEEEENSD_INSE_IS6_EEEESI_S6_NSB_4plusIvEENSB_8equal_toIvEES6_EE10hipError_tPvRmT2_T3_T4_T5_mT6_T7_P12ihipStream_tbENKUlT_T0_E_clISt17integral_constantIbLb0EES13_EEDaSY_SZ_EUlSY_E_NS1_11comp_targetILNS1_3genE2ELNS1_11target_archE906ELNS1_3gpuE6ELNS1_3repE0EEENS1_30default_config_static_selectorELNS0_4arch9wavefront6targetE1EEEvT1_,@function
_ZN7rocprim17ROCPRIM_400000_NS6detail17trampoline_kernelINS0_14default_configENS1_27scan_by_key_config_selectorIj11FixedVectorIiLj2EEEEZZNS1_16scan_by_key_implILNS1_25lookback_scan_determinismE0ELb0ES3_N6thrust23THRUST_200600_302600_NS6detail15normal_iteratorINSB_10device_ptrIjEEEENSD_INSE_IS6_EEEESI_S6_NSB_4plusIvEENSB_8equal_toIvEES6_EE10hipError_tPvRmT2_T3_T4_T5_mT6_T7_P12ihipStream_tbENKUlT_T0_E_clISt17integral_constantIbLb0EES13_EEDaSY_SZ_EUlSY_E_NS1_11comp_targetILNS1_3genE2ELNS1_11target_archE906ELNS1_3gpuE6ELNS1_3repE0EEENS1_30default_config_static_selectorELNS0_4arch9wavefront6targetE1EEEvT1_: ; @_ZN7rocprim17ROCPRIM_400000_NS6detail17trampoline_kernelINS0_14default_configENS1_27scan_by_key_config_selectorIj11FixedVectorIiLj2EEEEZZNS1_16scan_by_key_implILNS1_25lookback_scan_determinismE0ELb0ES3_N6thrust23THRUST_200600_302600_NS6detail15normal_iteratorINSB_10device_ptrIjEEEENSD_INSE_IS6_EEEESI_S6_NSB_4plusIvEENSB_8equal_toIvEES6_EE10hipError_tPvRmT2_T3_T4_T5_mT6_T7_P12ihipStream_tbENKUlT_T0_E_clISt17integral_constantIbLb0EES13_EEDaSY_SZ_EUlSY_E_NS1_11comp_targetILNS1_3genE2ELNS1_11target_archE906ELNS1_3gpuE6ELNS1_3repE0EEENS1_30default_config_static_selectorELNS0_4arch9wavefront6targetE1EEEvT1_
; %bb.0:
	.section	.rodata,"a",@progbits
	.p2align	6, 0x0
	.amdhsa_kernel _ZN7rocprim17ROCPRIM_400000_NS6detail17trampoline_kernelINS0_14default_configENS1_27scan_by_key_config_selectorIj11FixedVectorIiLj2EEEEZZNS1_16scan_by_key_implILNS1_25lookback_scan_determinismE0ELb0ES3_N6thrust23THRUST_200600_302600_NS6detail15normal_iteratorINSB_10device_ptrIjEEEENSD_INSE_IS6_EEEESI_S6_NSB_4plusIvEENSB_8equal_toIvEES6_EE10hipError_tPvRmT2_T3_T4_T5_mT6_T7_P12ihipStream_tbENKUlT_T0_E_clISt17integral_constantIbLb0EES13_EEDaSY_SZ_EUlSY_E_NS1_11comp_targetILNS1_3genE2ELNS1_11target_archE906ELNS1_3gpuE6ELNS1_3repE0EEENS1_30default_config_static_selectorELNS0_4arch9wavefront6targetE1EEEvT1_
		.amdhsa_group_segment_fixed_size 0
		.amdhsa_private_segment_fixed_size 0
		.amdhsa_kernarg_size 120
		.amdhsa_user_sgpr_count 6
		.amdhsa_user_sgpr_private_segment_buffer 1
		.amdhsa_user_sgpr_dispatch_ptr 0
		.amdhsa_user_sgpr_queue_ptr 0
		.amdhsa_user_sgpr_kernarg_segment_ptr 1
		.amdhsa_user_sgpr_dispatch_id 0
		.amdhsa_user_sgpr_flat_scratch_init 0
		.amdhsa_user_sgpr_kernarg_preload_length 0
		.amdhsa_user_sgpr_kernarg_preload_offset 0
		.amdhsa_user_sgpr_private_segment_size 0
		.amdhsa_uses_dynamic_stack 0
		.amdhsa_system_sgpr_private_segment_wavefront_offset 0
		.amdhsa_system_sgpr_workgroup_id_x 1
		.amdhsa_system_sgpr_workgroup_id_y 0
		.amdhsa_system_sgpr_workgroup_id_z 0
		.amdhsa_system_sgpr_workgroup_info 0
		.amdhsa_system_vgpr_workitem_id 0
		.amdhsa_next_free_vgpr 1
		.amdhsa_next_free_sgpr 0
		.amdhsa_accum_offset 4
		.amdhsa_reserve_vcc 0
		.amdhsa_reserve_flat_scratch 0
		.amdhsa_float_round_mode_32 0
		.amdhsa_float_round_mode_16_64 0
		.amdhsa_float_denorm_mode_32 3
		.amdhsa_float_denorm_mode_16_64 3
		.amdhsa_dx10_clamp 1
		.amdhsa_ieee_mode 1
		.amdhsa_fp16_overflow 0
		.amdhsa_tg_split 0
		.amdhsa_exception_fp_ieee_invalid_op 0
		.amdhsa_exception_fp_denorm_src 0
		.amdhsa_exception_fp_ieee_div_zero 0
		.amdhsa_exception_fp_ieee_overflow 0
		.amdhsa_exception_fp_ieee_underflow 0
		.amdhsa_exception_fp_ieee_inexact 0
		.amdhsa_exception_int_div_zero 0
	.end_amdhsa_kernel
	.section	.text._ZN7rocprim17ROCPRIM_400000_NS6detail17trampoline_kernelINS0_14default_configENS1_27scan_by_key_config_selectorIj11FixedVectorIiLj2EEEEZZNS1_16scan_by_key_implILNS1_25lookback_scan_determinismE0ELb0ES3_N6thrust23THRUST_200600_302600_NS6detail15normal_iteratorINSB_10device_ptrIjEEEENSD_INSE_IS6_EEEESI_S6_NSB_4plusIvEENSB_8equal_toIvEES6_EE10hipError_tPvRmT2_T3_T4_T5_mT6_T7_P12ihipStream_tbENKUlT_T0_E_clISt17integral_constantIbLb0EES13_EEDaSY_SZ_EUlSY_E_NS1_11comp_targetILNS1_3genE2ELNS1_11target_archE906ELNS1_3gpuE6ELNS1_3repE0EEENS1_30default_config_static_selectorELNS0_4arch9wavefront6targetE1EEEvT1_,"axG",@progbits,_ZN7rocprim17ROCPRIM_400000_NS6detail17trampoline_kernelINS0_14default_configENS1_27scan_by_key_config_selectorIj11FixedVectorIiLj2EEEEZZNS1_16scan_by_key_implILNS1_25lookback_scan_determinismE0ELb0ES3_N6thrust23THRUST_200600_302600_NS6detail15normal_iteratorINSB_10device_ptrIjEEEENSD_INSE_IS6_EEEESI_S6_NSB_4plusIvEENSB_8equal_toIvEES6_EE10hipError_tPvRmT2_T3_T4_T5_mT6_T7_P12ihipStream_tbENKUlT_T0_E_clISt17integral_constantIbLb0EES13_EEDaSY_SZ_EUlSY_E_NS1_11comp_targetILNS1_3genE2ELNS1_11target_archE906ELNS1_3gpuE6ELNS1_3repE0EEENS1_30default_config_static_selectorELNS0_4arch9wavefront6targetE1EEEvT1_,comdat
.Lfunc_end1956:
	.size	_ZN7rocprim17ROCPRIM_400000_NS6detail17trampoline_kernelINS0_14default_configENS1_27scan_by_key_config_selectorIj11FixedVectorIiLj2EEEEZZNS1_16scan_by_key_implILNS1_25lookback_scan_determinismE0ELb0ES3_N6thrust23THRUST_200600_302600_NS6detail15normal_iteratorINSB_10device_ptrIjEEEENSD_INSE_IS6_EEEESI_S6_NSB_4plusIvEENSB_8equal_toIvEES6_EE10hipError_tPvRmT2_T3_T4_T5_mT6_T7_P12ihipStream_tbENKUlT_T0_E_clISt17integral_constantIbLb0EES13_EEDaSY_SZ_EUlSY_E_NS1_11comp_targetILNS1_3genE2ELNS1_11target_archE906ELNS1_3gpuE6ELNS1_3repE0EEENS1_30default_config_static_selectorELNS0_4arch9wavefront6targetE1EEEvT1_, .Lfunc_end1956-_ZN7rocprim17ROCPRIM_400000_NS6detail17trampoline_kernelINS0_14default_configENS1_27scan_by_key_config_selectorIj11FixedVectorIiLj2EEEEZZNS1_16scan_by_key_implILNS1_25lookback_scan_determinismE0ELb0ES3_N6thrust23THRUST_200600_302600_NS6detail15normal_iteratorINSB_10device_ptrIjEEEENSD_INSE_IS6_EEEESI_S6_NSB_4plusIvEENSB_8equal_toIvEES6_EE10hipError_tPvRmT2_T3_T4_T5_mT6_T7_P12ihipStream_tbENKUlT_T0_E_clISt17integral_constantIbLb0EES13_EEDaSY_SZ_EUlSY_E_NS1_11comp_targetILNS1_3genE2ELNS1_11target_archE906ELNS1_3gpuE6ELNS1_3repE0EEENS1_30default_config_static_selectorELNS0_4arch9wavefront6targetE1EEEvT1_
                                        ; -- End function
	.section	.AMDGPU.csdata,"",@progbits
; Kernel info:
; codeLenInByte = 0
; NumSgprs: 4
; NumVgprs: 0
; NumAgprs: 0
; TotalNumVgprs: 0
; ScratchSize: 0
; MemoryBound: 0
; FloatMode: 240
; IeeeMode: 1
; LDSByteSize: 0 bytes/workgroup (compile time only)
; SGPRBlocks: 0
; VGPRBlocks: 0
; NumSGPRsForWavesPerEU: 4
; NumVGPRsForWavesPerEU: 1
; AccumOffset: 4
; Occupancy: 8
; WaveLimiterHint : 0
; COMPUTE_PGM_RSRC2:SCRATCH_EN: 0
; COMPUTE_PGM_RSRC2:USER_SGPR: 6
; COMPUTE_PGM_RSRC2:TRAP_HANDLER: 0
; COMPUTE_PGM_RSRC2:TGID_X_EN: 1
; COMPUTE_PGM_RSRC2:TGID_Y_EN: 0
; COMPUTE_PGM_RSRC2:TGID_Z_EN: 0
; COMPUTE_PGM_RSRC2:TIDIG_COMP_CNT: 0
; COMPUTE_PGM_RSRC3_GFX90A:ACCUM_OFFSET: 0
; COMPUTE_PGM_RSRC3_GFX90A:TG_SPLIT: 0
	.section	.text._ZN7rocprim17ROCPRIM_400000_NS6detail17trampoline_kernelINS0_14default_configENS1_27scan_by_key_config_selectorIj11FixedVectorIiLj2EEEEZZNS1_16scan_by_key_implILNS1_25lookback_scan_determinismE0ELb0ES3_N6thrust23THRUST_200600_302600_NS6detail15normal_iteratorINSB_10device_ptrIjEEEENSD_INSE_IS6_EEEESI_S6_NSB_4plusIvEENSB_8equal_toIvEES6_EE10hipError_tPvRmT2_T3_T4_T5_mT6_T7_P12ihipStream_tbENKUlT_T0_E_clISt17integral_constantIbLb0EES13_EEDaSY_SZ_EUlSY_E_NS1_11comp_targetILNS1_3genE10ELNS1_11target_archE1200ELNS1_3gpuE4ELNS1_3repE0EEENS1_30default_config_static_selectorELNS0_4arch9wavefront6targetE1EEEvT1_,"axG",@progbits,_ZN7rocprim17ROCPRIM_400000_NS6detail17trampoline_kernelINS0_14default_configENS1_27scan_by_key_config_selectorIj11FixedVectorIiLj2EEEEZZNS1_16scan_by_key_implILNS1_25lookback_scan_determinismE0ELb0ES3_N6thrust23THRUST_200600_302600_NS6detail15normal_iteratorINSB_10device_ptrIjEEEENSD_INSE_IS6_EEEESI_S6_NSB_4plusIvEENSB_8equal_toIvEES6_EE10hipError_tPvRmT2_T3_T4_T5_mT6_T7_P12ihipStream_tbENKUlT_T0_E_clISt17integral_constantIbLb0EES13_EEDaSY_SZ_EUlSY_E_NS1_11comp_targetILNS1_3genE10ELNS1_11target_archE1200ELNS1_3gpuE4ELNS1_3repE0EEENS1_30default_config_static_selectorELNS0_4arch9wavefront6targetE1EEEvT1_,comdat
	.protected	_ZN7rocprim17ROCPRIM_400000_NS6detail17trampoline_kernelINS0_14default_configENS1_27scan_by_key_config_selectorIj11FixedVectorIiLj2EEEEZZNS1_16scan_by_key_implILNS1_25lookback_scan_determinismE0ELb0ES3_N6thrust23THRUST_200600_302600_NS6detail15normal_iteratorINSB_10device_ptrIjEEEENSD_INSE_IS6_EEEESI_S6_NSB_4plusIvEENSB_8equal_toIvEES6_EE10hipError_tPvRmT2_T3_T4_T5_mT6_T7_P12ihipStream_tbENKUlT_T0_E_clISt17integral_constantIbLb0EES13_EEDaSY_SZ_EUlSY_E_NS1_11comp_targetILNS1_3genE10ELNS1_11target_archE1200ELNS1_3gpuE4ELNS1_3repE0EEENS1_30default_config_static_selectorELNS0_4arch9wavefront6targetE1EEEvT1_ ; -- Begin function _ZN7rocprim17ROCPRIM_400000_NS6detail17trampoline_kernelINS0_14default_configENS1_27scan_by_key_config_selectorIj11FixedVectorIiLj2EEEEZZNS1_16scan_by_key_implILNS1_25lookback_scan_determinismE0ELb0ES3_N6thrust23THRUST_200600_302600_NS6detail15normal_iteratorINSB_10device_ptrIjEEEENSD_INSE_IS6_EEEESI_S6_NSB_4plusIvEENSB_8equal_toIvEES6_EE10hipError_tPvRmT2_T3_T4_T5_mT6_T7_P12ihipStream_tbENKUlT_T0_E_clISt17integral_constantIbLb0EES13_EEDaSY_SZ_EUlSY_E_NS1_11comp_targetILNS1_3genE10ELNS1_11target_archE1200ELNS1_3gpuE4ELNS1_3repE0EEENS1_30default_config_static_selectorELNS0_4arch9wavefront6targetE1EEEvT1_
	.globl	_ZN7rocprim17ROCPRIM_400000_NS6detail17trampoline_kernelINS0_14default_configENS1_27scan_by_key_config_selectorIj11FixedVectorIiLj2EEEEZZNS1_16scan_by_key_implILNS1_25lookback_scan_determinismE0ELb0ES3_N6thrust23THRUST_200600_302600_NS6detail15normal_iteratorINSB_10device_ptrIjEEEENSD_INSE_IS6_EEEESI_S6_NSB_4plusIvEENSB_8equal_toIvEES6_EE10hipError_tPvRmT2_T3_T4_T5_mT6_T7_P12ihipStream_tbENKUlT_T0_E_clISt17integral_constantIbLb0EES13_EEDaSY_SZ_EUlSY_E_NS1_11comp_targetILNS1_3genE10ELNS1_11target_archE1200ELNS1_3gpuE4ELNS1_3repE0EEENS1_30default_config_static_selectorELNS0_4arch9wavefront6targetE1EEEvT1_
	.p2align	8
	.type	_ZN7rocprim17ROCPRIM_400000_NS6detail17trampoline_kernelINS0_14default_configENS1_27scan_by_key_config_selectorIj11FixedVectorIiLj2EEEEZZNS1_16scan_by_key_implILNS1_25lookback_scan_determinismE0ELb0ES3_N6thrust23THRUST_200600_302600_NS6detail15normal_iteratorINSB_10device_ptrIjEEEENSD_INSE_IS6_EEEESI_S6_NSB_4plusIvEENSB_8equal_toIvEES6_EE10hipError_tPvRmT2_T3_T4_T5_mT6_T7_P12ihipStream_tbENKUlT_T0_E_clISt17integral_constantIbLb0EES13_EEDaSY_SZ_EUlSY_E_NS1_11comp_targetILNS1_3genE10ELNS1_11target_archE1200ELNS1_3gpuE4ELNS1_3repE0EEENS1_30default_config_static_selectorELNS0_4arch9wavefront6targetE1EEEvT1_,@function
_ZN7rocprim17ROCPRIM_400000_NS6detail17trampoline_kernelINS0_14default_configENS1_27scan_by_key_config_selectorIj11FixedVectorIiLj2EEEEZZNS1_16scan_by_key_implILNS1_25lookback_scan_determinismE0ELb0ES3_N6thrust23THRUST_200600_302600_NS6detail15normal_iteratorINSB_10device_ptrIjEEEENSD_INSE_IS6_EEEESI_S6_NSB_4plusIvEENSB_8equal_toIvEES6_EE10hipError_tPvRmT2_T3_T4_T5_mT6_T7_P12ihipStream_tbENKUlT_T0_E_clISt17integral_constantIbLb0EES13_EEDaSY_SZ_EUlSY_E_NS1_11comp_targetILNS1_3genE10ELNS1_11target_archE1200ELNS1_3gpuE4ELNS1_3repE0EEENS1_30default_config_static_selectorELNS0_4arch9wavefront6targetE1EEEvT1_: ; @_ZN7rocprim17ROCPRIM_400000_NS6detail17trampoline_kernelINS0_14default_configENS1_27scan_by_key_config_selectorIj11FixedVectorIiLj2EEEEZZNS1_16scan_by_key_implILNS1_25lookback_scan_determinismE0ELb0ES3_N6thrust23THRUST_200600_302600_NS6detail15normal_iteratorINSB_10device_ptrIjEEEENSD_INSE_IS6_EEEESI_S6_NSB_4plusIvEENSB_8equal_toIvEES6_EE10hipError_tPvRmT2_T3_T4_T5_mT6_T7_P12ihipStream_tbENKUlT_T0_E_clISt17integral_constantIbLb0EES13_EEDaSY_SZ_EUlSY_E_NS1_11comp_targetILNS1_3genE10ELNS1_11target_archE1200ELNS1_3gpuE4ELNS1_3repE0EEENS1_30default_config_static_selectorELNS0_4arch9wavefront6targetE1EEEvT1_
; %bb.0:
	.section	.rodata,"a",@progbits
	.p2align	6, 0x0
	.amdhsa_kernel _ZN7rocprim17ROCPRIM_400000_NS6detail17trampoline_kernelINS0_14default_configENS1_27scan_by_key_config_selectorIj11FixedVectorIiLj2EEEEZZNS1_16scan_by_key_implILNS1_25lookback_scan_determinismE0ELb0ES3_N6thrust23THRUST_200600_302600_NS6detail15normal_iteratorINSB_10device_ptrIjEEEENSD_INSE_IS6_EEEESI_S6_NSB_4plusIvEENSB_8equal_toIvEES6_EE10hipError_tPvRmT2_T3_T4_T5_mT6_T7_P12ihipStream_tbENKUlT_T0_E_clISt17integral_constantIbLb0EES13_EEDaSY_SZ_EUlSY_E_NS1_11comp_targetILNS1_3genE10ELNS1_11target_archE1200ELNS1_3gpuE4ELNS1_3repE0EEENS1_30default_config_static_selectorELNS0_4arch9wavefront6targetE1EEEvT1_
		.amdhsa_group_segment_fixed_size 0
		.amdhsa_private_segment_fixed_size 0
		.amdhsa_kernarg_size 120
		.amdhsa_user_sgpr_count 6
		.amdhsa_user_sgpr_private_segment_buffer 1
		.amdhsa_user_sgpr_dispatch_ptr 0
		.amdhsa_user_sgpr_queue_ptr 0
		.amdhsa_user_sgpr_kernarg_segment_ptr 1
		.amdhsa_user_sgpr_dispatch_id 0
		.amdhsa_user_sgpr_flat_scratch_init 0
		.amdhsa_user_sgpr_kernarg_preload_length 0
		.amdhsa_user_sgpr_kernarg_preload_offset 0
		.amdhsa_user_sgpr_private_segment_size 0
		.amdhsa_uses_dynamic_stack 0
		.amdhsa_system_sgpr_private_segment_wavefront_offset 0
		.amdhsa_system_sgpr_workgroup_id_x 1
		.amdhsa_system_sgpr_workgroup_id_y 0
		.amdhsa_system_sgpr_workgroup_id_z 0
		.amdhsa_system_sgpr_workgroup_info 0
		.amdhsa_system_vgpr_workitem_id 0
		.amdhsa_next_free_vgpr 1
		.amdhsa_next_free_sgpr 0
		.amdhsa_accum_offset 4
		.amdhsa_reserve_vcc 0
		.amdhsa_reserve_flat_scratch 0
		.amdhsa_float_round_mode_32 0
		.amdhsa_float_round_mode_16_64 0
		.amdhsa_float_denorm_mode_32 3
		.amdhsa_float_denorm_mode_16_64 3
		.amdhsa_dx10_clamp 1
		.amdhsa_ieee_mode 1
		.amdhsa_fp16_overflow 0
		.amdhsa_tg_split 0
		.amdhsa_exception_fp_ieee_invalid_op 0
		.amdhsa_exception_fp_denorm_src 0
		.amdhsa_exception_fp_ieee_div_zero 0
		.amdhsa_exception_fp_ieee_overflow 0
		.amdhsa_exception_fp_ieee_underflow 0
		.amdhsa_exception_fp_ieee_inexact 0
		.amdhsa_exception_int_div_zero 0
	.end_amdhsa_kernel
	.section	.text._ZN7rocprim17ROCPRIM_400000_NS6detail17trampoline_kernelINS0_14default_configENS1_27scan_by_key_config_selectorIj11FixedVectorIiLj2EEEEZZNS1_16scan_by_key_implILNS1_25lookback_scan_determinismE0ELb0ES3_N6thrust23THRUST_200600_302600_NS6detail15normal_iteratorINSB_10device_ptrIjEEEENSD_INSE_IS6_EEEESI_S6_NSB_4plusIvEENSB_8equal_toIvEES6_EE10hipError_tPvRmT2_T3_T4_T5_mT6_T7_P12ihipStream_tbENKUlT_T0_E_clISt17integral_constantIbLb0EES13_EEDaSY_SZ_EUlSY_E_NS1_11comp_targetILNS1_3genE10ELNS1_11target_archE1200ELNS1_3gpuE4ELNS1_3repE0EEENS1_30default_config_static_selectorELNS0_4arch9wavefront6targetE1EEEvT1_,"axG",@progbits,_ZN7rocprim17ROCPRIM_400000_NS6detail17trampoline_kernelINS0_14default_configENS1_27scan_by_key_config_selectorIj11FixedVectorIiLj2EEEEZZNS1_16scan_by_key_implILNS1_25lookback_scan_determinismE0ELb0ES3_N6thrust23THRUST_200600_302600_NS6detail15normal_iteratorINSB_10device_ptrIjEEEENSD_INSE_IS6_EEEESI_S6_NSB_4plusIvEENSB_8equal_toIvEES6_EE10hipError_tPvRmT2_T3_T4_T5_mT6_T7_P12ihipStream_tbENKUlT_T0_E_clISt17integral_constantIbLb0EES13_EEDaSY_SZ_EUlSY_E_NS1_11comp_targetILNS1_3genE10ELNS1_11target_archE1200ELNS1_3gpuE4ELNS1_3repE0EEENS1_30default_config_static_selectorELNS0_4arch9wavefront6targetE1EEEvT1_,comdat
.Lfunc_end1957:
	.size	_ZN7rocprim17ROCPRIM_400000_NS6detail17trampoline_kernelINS0_14default_configENS1_27scan_by_key_config_selectorIj11FixedVectorIiLj2EEEEZZNS1_16scan_by_key_implILNS1_25lookback_scan_determinismE0ELb0ES3_N6thrust23THRUST_200600_302600_NS6detail15normal_iteratorINSB_10device_ptrIjEEEENSD_INSE_IS6_EEEESI_S6_NSB_4plusIvEENSB_8equal_toIvEES6_EE10hipError_tPvRmT2_T3_T4_T5_mT6_T7_P12ihipStream_tbENKUlT_T0_E_clISt17integral_constantIbLb0EES13_EEDaSY_SZ_EUlSY_E_NS1_11comp_targetILNS1_3genE10ELNS1_11target_archE1200ELNS1_3gpuE4ELNS1_3repE0EEENS1_30default_config_static_selectorELNS0_4arch9wavefront6targetE1EEEvT1_, .Lfunc_end1957-_ZN7rocprim17ROCPRIM_400000_NS6detail17trampoline_kernelINS0_14default_configENS1_27scan_by_key_config_selectorIj11FixedVectorIiLj2EEEEZZNS1_16scan_by_key_implILNS1_25lookback_scan_determinismE0ELb0ES3_N6thrust23THRUST_200600_302600_NS6detail15normal_iteratorINSB_10device_ptrIjEEEENSD_INSE_IS6_EEEESI_S6_NSB_4plusIvEENSB_8equal_toIvEES6_EE10hipError_tPvRmT2_T3_T4_T5_mT6_T7_P12ihipStream_tbENKUlT_T0_E_clISt17integral_constantIbLb0EES13_EEDaSY_SZ_EUlSY_E_NS1_11comp_targetILNS1_3genE10ELNS1_11target_archE1200ELNS1_3gpuE4ELNS1_3repE0EEENS1_30default_config_static_selectorELNS0_4arch9wavefront6targetE1EEEvT1_
                                        ; -- End function
	.section	.AMDGPU.csdata,"",@progbits
; Kernel info:
; codeLenInByte = 0
; NumSgprs: 4
; NumVgprs: 0
; NumAgprs: 0
; TotalNumVgprs: 0
; ScratchSize: 0
; MemoryBound: 0
; FloatMode: 240
; IeeeMode: 1
; LDSByteSize: 0 bytes/workgroup (compile time only)
; SGPRBlocks: 0
; VGPRBlocks: 0
; NumSGPRsForWavesPerEU: 4
; NumVGPRsForWavesPerEU: 1
; AccumOffset: 4
; Occupancy: 8
; WaveLimiterHint : 0
; COMPUTE_PGM_RSRC2:SCRATCH_EN: 0
; COMPUTE_PGM_RSRC2:USER_SGPR: 6
; COMPUTE_PGM_RSRC2:TRAP_HANDLER: 0
; COMPUTE_PGM_RSRC2:TGID_X_EN: 1
; COMPUTE_PGM_RSRC2:TGID_Y_EN: 0
; COMPUTE_PGM_RSRC2:TGID_Z_EN: 0
; COMPUTE_PGM_RSRC2:TIDIG_COMP_CNT: 0
; COMPUTE_PGM_RSRC3_GFX90A:ACCUM_OFFSET: 0
; COMPUTE_PGM_RSRC3_GFX90A:TG_SPLIT: 0
	.section	.text._ZN7rocprim17ROCPRIM_400000_NS6detail17trampoline_kernelINS0_14default_configENS1_27scan_by_key_config_selectorIj11FixedVectorIiLj2EEEEZZNS1_16scan_by_key_implILNS1_25lookback_scan_determinismE0ELb0ES3_N6thrust23THRUST_200600_302600_NS6detail15normal_iteratorINSB_10device_ptrIjEEEENSD_INSE_IS6_EEEESI_S6_NSB_4plusIvEENSB_8equal_toIvEES6_EE10hipError_tPvRmT2_T3_T4_T5_mT6_T7_P12ihipStream_tbENKUlT_T0_E_clISt17integral_constantIbLb0EES13_EEDaSY_SZ_EUlSY_E_NS1_11comp_targetILNS1_3genE9ELNS1_11target_archE1100ELNS1_3gpuE3ELNS1_3repE0EEENS1_30default_config_static_selectorELNS0_4arch9wavefront6targetE1EEEvT1_,"axG",@progbits,_ZN7rocprim17ROCPRIM_400000_NS6detail17trampoline_kernelINS0_14default_configENS1_27scan_by_key_config_selectorIj11FixedVectorIiLj2EEEEZZNS1_16scan_by_key_implILNS1_25lookback_scan_determinismE0ELb0ES3_N6thrust23THRUST_200600_302600_NS6detail15normal_iteratorINSB_10device_ptrIjEEEENSD_INSE_IS6_EEEESI_S6_NSB_4plusIvEENSB_8equal_toIvEES6_EE10hipError_tPvRmT2_T3_T4_T5_mT6_T7_P12ihipStream_tbENKUlT_T0_E_clISt17integral_constantIbLb0EES13_EEDaSY_SZ_EUlSY_E_NS1_11comp_targetILNS1_3genE9ELNS1_11target_archE1100ELNS1_3gpuE3ELNS1_3repE0EEENS1_30default_config_static_selectorELNS0_4arch9wavefront6targetE1EEEvT1_,comdat
	.protected	_ZN7rocprim17ROCPRIM_400000_NS6detail17trampoline_kernelINS0_14default_configENS1_27scan_by_key_config_selectorIj11FixedVectorIiLj2EEEEZZNS1_16scan_by_key_implILNS1_25lookback_scan_determinismE0ELb0ES3_N6thrust23THRUST_200600_302600_NS6detail15normal_iteratorINSB_10device_ptrIjEEEENSD_INSE_IS6_EEEESI_S6_NSB_4plusIvEENSB_8equal_toIvEES6_EE10hipError_tPvRmT2_T3_T4_T5_mT6_T7_P12ihipStream_tbENKUlT_T0_E_clISt17integral_constantIbLb0EES13_EEDaSY_SZ_EUlSY_E_NS1_11comp_targetILNS1_3genE9ELNS1_11target_archE1100ELNS1_3gpuE3ELNS1_3repE0EEENS1_30default_config_static_selectorELNS0_4arch9wavefront6targetE1EEEvT1_ ; -- Begin function _ZN7rocprim17ROCPRIM_400000_NS6detail17trampoline_kernelINS0_14default_configENS1_27scan_by_key_config_selectorIj11FixedVectorIiLj2EEEEZZNS1_16scan_by_key_implILNS1_25lookback_scan_determinismE0ELb0ES3_N6thrust23THRUST_200600_302600_NS6detail15normal_iteratorINSB_10device_ptrIjEEEENSD_INSE_IS6_EEEESI_S6_NSB_4plusIvEENSB_8equal_toIvEES6_EE10hipError_tPvRmT2_T3_T4_T5_mT6_T7_P12ihipStream_tbENKUlT_T0_E_clISt17integral_constantIbLb0EES13_EEDaSY_SZ_EUlSY_E_NS1_11comp_targetILNS1_3genE9ELNS1_11target_archE1100ELNS1_3gpuE3ELNS1_3repE0EEENS1_30default_config_static_selectorELNS0_4arch9wavefront6targetE1EEEvT1_
	.globl	_ZN7rocprim17ROCPRIM_400000_NS6detail17trampoline_kernelINS0_14default_configENS1_27scan_by_key_config_selectorIj11FixedVectorIiLj2EEEEZZNS1_16scan_by_key_implILNS1_25lookback_scan_determinismE0ELb0ES3_N6thrust23THRUST_200600_302600_NS6detail15normal_iteratorINSB_10device_ptrIjEEEENSD_INSE_IS6_EEEESI_S6_NSB_4plusIvEENSB_8equal_toIvEES6_EE10hipError_tPvRmT2_T3_T4_T5_mT6_T7_P12ihipStream_tbENKUlT_T0_E_clISt17integral_constantIbLb0EES13_EEDaSY_SZ_EUlSY_E_NS1_11comp_targetILNS1_3genE9ELNS1_11target_archE1100ELNS1_3gpuE3ELNS1_3repE0EEENS1_30default_config_static_selectorELNS0_4arch9wavefront6targetE1EEEvT1_
	.p2align	8
	.type	_ZN7rocprim17ROCPRIM_400000_NS6detail17trampoline_kernelINS0_14default_configENS1_27scan_by_key_config_selectorIj11FixedVectorIiLj2EEEEZZNS1_16scan_by_key_implILNS1_25lookback_scan_determinismE0ELb0ES3_N6thrust23THRUST_200600_302600_NS6detail15normal_iteratorINSB_10device_ptrIjEEEENSD_INSE_IS6_EEEESI_S6_NSB_4plusIvEENSB_8equal_toIvEES6_EE10hipError_tPvRmT2_T3_T4_T5_mT6_T7_P12ihipStream_tbENKUlT_T0_E_clISt17integral_constantIbLb0EES13_EEDaSY_SZ_EUlSY_E_NS1_11comp_targetILNS1_3genE9ELNS1_11target_archE1100ELNS1_3gpuE3ELNS1_3repE0EEENS1_30default_config_static_selectorELNS0_4arch9wavefront6targetE1EEEvT1_,@function
_ZN7rocprim17ROCPRIM_400000_NS6detail17trampoline_kernelINS0_14default_configENS1_27scan_by_key_config_selectorIj11FixedVectorIiLj2EEEEZZNS1_16scan_by_key_implILNS1_25lookback_scan_determinismE0ELb0ES3_N6thrust23THRUST_200600_302600_NS6detail15normal_iteratorINSB_10device_ptrIjEEEENSD_INSE_IS6_EEEESI_S6_NSB_4plusIvEENSB_8equal_toIvEES6_EE10hipError_tPvRmT2_T3_T4_T5_mT6_T7_P12ihipStream_tbENKUlT_T0_E_clISt17integral_constantIbLb0EES13_EEDaSY_SZ_EUlSY_E_NS1_11comp_targetILNS1_3genE9ELNS1_11target_archE1100ELNS1_3gpuE3ELNS1_3repE0EEENS1_30default_config_static_selectorELNS0_4arch9wavefront6targetE1EEEvT1_: ; @_ZN7rocprim17ROCPRIM_400000_NS6detail17trampoline_kernelINS0_14default_configENS1_27scan_by_key_config_selectorIj11FixedVectorIiLj2EEEEZZNS1_16scan_by_key_implILNS1_25lookback_scan_determinismE0ELb0ES3_N6thrust23THRUST_200600_302600_NS6detail15normal_iteratorINSB_10device_ptrIjEEEENSD_INSE_IS6_EEEESI_S6_NSB_4plusIvEENSB_8equal_toIvEES6_EE10hipError_tPvRmT2_T3_T4_T5_mT6_T7_P12ihipStream_tbENKUlT_T0_E_clISt17integral_constantIbLb0EES13_EEDaSY_SZ_EUlSY_E_NS1_11comp_targetILNS1_3genE9ELNS1_11target_archE1100ELNS1_3gpuE3ELNS1_3repE0EEENS1_30default_config_static_selectorELNS0_4arch9wavefront6targetE1EEEvT1_
; %bb.0:
	.section	.rodata,"a",@progbits
	.p2align	6, 0x0
	.amdhsa_kernel _ZN7rocprim17ROCPRIM_400000_NS6detail17trampoline_kernelINS0_14default_configENS1_27scan_by_key_config_selectorIj11FixedVectorIiLj2EEEEZZNS1_16scan_by_key_implILNS1_25lookback_scan_determinismE0ELb0ES3_N6thrust23THRUST_200600_302600_NS6detail15normal_iteratorINSB_10device_ptrIjEEEENSD_INSE_IS6_EEEESI_S6_NSB_4plusIvEENSB_8equal_toIvEES6_EE10hipError_tPvRmT2_T3_T4_T5_mT6_T7_P12ihipStream_tbENKUlT_T0_E_clISt17integral_constantIbLb0EES13_EEDaSY_SZ_EUlSY_E_NS1_11comp_targetILNS1_3genE9ELNS1_11target_archE1100ELNS1_3gpuE3ELNS1_3repE0EEENS1_30default_config_static_selectorELNS0_4arch9wavefront6targetE1EEEvT1_
		.amdhsa_group_segment_fixed_size 0
		.amdhsa_private_segment_fixed_size 0
		.amdhsa_kernarg_size 120
		.amdhsa_user_sgpr_count 6
		.amdhsa_user_sgpr_private_segment_buffer 1
		.amdhsa_user_sgpr_dispatch_ptr 0
		.amdhsa_user_sgpr_queue_ptr 0
		.amdhsa_user_sgpr_kernarg_segment_ptr 1
		.amdhsa_user_sgpr_dispatch_id 0
		.amdhsa_user_sgpr_flat_scratch_init 0
		.amdhsa_user_sgpr_kernarg_preload_length 0
		.amdhsa_user_sgpr_kernarg_preload_offset 0
		.amdhsa_user_sgpr_private_segment_size 0
		.amdhsa_uses_dynamic_stack 0
		.amdhsa_system_sgpr_private_segment_wavefront_offset 0
		.amdhsa_system_sgpr_workgroup_id_x 1
		.amdhsa_system_sgpr_workgroup_id_y 0
		.amdhsa_system_sgpr_workgroup_id_z 0
		.amdhsa_system_sgpr_workgroup_info 0
		.amdhsa_system_vgpr_workitem_id 0
		.amdhsa_next_free_vgpr 1
		.amdhsa_next_free_sgpr 0
		.amdhsa_accum_offset 4
		.amdhsa_reserve_vcc 0
		.amdhsa_reserve_flat_scratch 0
		.amdhsa_float_round_mode_32 0
		.amdhsa_float_round_mode_16_64 0
		.amdhsa_float_denorm_mode_32 3
		.amdhsa_float_denorm_mode_16_64 3
		.amdhsa_dx10_clamp 1
		.amdhsa_ieee_mode 1
		.amdhsa_fp16_overflow 0
		.amdhsa_tg_split 0
		.amdhsa_exception_fp_ieee_invalid_op 0
		.amdhsa_exception_fp_denorm_src 0
		.amdhsa_exception_fp_ieee_div_zero 0
		.amdhsa_exception_fp_ieee_overflow 0
		.amdhsa_exception_fp_ieee_underflow 0
		.amdhsa_exception_fp_ieee_inexact 0
		.amdhsa_exception_int_div_zero 0
	.end_amdhsa_kernel
	.section	.text._ZN7rocprim17ROCPRIM_400000_NS6detail17trampoline_kernelINS0_14default_configENS1_27scan_by_key_config_selectorIj11FixedVectorIiLj2EEEEZZNS1_16scan_by_key_implILNS1_25lookback_scan_determinismE0ELb0ES3_N6thrust23THRUST_200600_302600_NS6detail15normal_iteratorINSB_10device_ptrIjEEEENSD_INSE_IS6_EEEESI_S6_NSB_4plusIvEENSB_8equal_toIvEES6_EE10hipError_tPvRmT2_T3_T4_T5_mT6_T7_P12ihipStream_tbENKUlT_T0_E_clISt17integral_constantIbLb0EES13_EEDaSY_SZ_EUlSY_E_NS1_11comp_targetILNS1_3genE9ELNS1_11target_archE1100ELNS1_3gpuE3ELNS1_3repE0EEENS1_30default_config_static_selectorELNS0_4arch9wavefront6targetE1EEEvT1_,"axG",@progbits,_ZN7rocprim17ROCPRIM_400000_NS6detail17trampoline_kernelINS0_14default_configENS1_27scan_by_key_config_selectorIj11FixedVectorIiLj2EEEEZZNS1_16scan_by_key_implILNS1_25lookback_scan_determinismE0ELb0ES3_N6thrust23THRUST_200600_302600_NS6detail15normal_iteratorINSB_10device_ptrIjEEEENSD_INSE_IS6_EEEESI_S6_NSB_4plusIvEENSB_8equal_toIvEES6_EE10hipError_tPvRmT2_T3_T4_T5_mT6_T7_P12ihipStream_tbENKUlT_T0_E_clISt17integral_constantIbLb0EES13_EEDaSY_SZ_EUlSY_E_NS1_11comp_targetILNS1_3genE9ELNS1_11target_archE1100ELNS1_3gpuE3ELNS1_3repE0EEENS1_30default_config_static_selectorELNS0_4arch9wavefront6targetE1EEEvT1_,comdat
.Lfunc_end1958:
	.size	_ZN7rocprim17ROCPRIM_400000_NS6detail17trampoline_kernelINS0_14default_configENS1_27scan_by_key_config_selectorIj11FixedVectorIiLj2EEEEZZNS1_16scan_by_key_implILNS1_25lookback_scan_determinismE0ELb0ES3_N6thrust23THRUST_200600_302600_NS6detail15normal_iteratorINSB_10device_ptrIjEEEENSD_INSE_IS6_EEEESI_S6_NSB_4plusIvEENSB_8equal_toIvEES6_EE10hipError_tPvRmT2_T3_T4_T5_mT6_T7_P12ihipStream_tbENKUlT_T0_E_clISt17integral_constantIbLb0EES13_EEDaSY_SZ_EUlSY_E_NS1_11comp_targetILNS1_3genE9ELNS1_11target_archE1100ELNS1_3gpuE3ELNS1_3repE0EEENS1_30default_config_static_selectorELNS0_4arch9wavefront6targetE1EEEvT1_, .Lfunc_end1958-_ZN7rocprim17ROCPRIM_400000_NS6detail17trampoline_kernelINS0_14default_configENS1_27scan_by_key_config_selectorIj11FixedVectorIiLj2EEEEZZNS1_16scan_by_key_implILNS1_25lookback_scan_determinismE0ELb0ES3_N6thrust23THRUST_200600_302600_NS6detail15normal_iteratorINSB_10device_ptrIjEEEENSD_INSE_IS6_EEEESI_S6_NSB_4plusIvEENSB_8equal_toIvEES6_EE10hipError_tPvRmT2_T3_T4_T5_mT6_T7_P12ihipStream_tbENKUlT_T0_E_clISt17integral_constantIbLb0EES13_EEDaSY_SZ_EUlSY_E_NS1_11comp_targetILNS1_3genE9ELNS1_11target_archE1100ELNS1_3gpuE3ELNS1_3repE0EEENS1_30default_config_static_selectorELNS0_4arch9wavefront6targetE1EEEvT1_
                                        ; -- End function
	.section	.AMDGPU.csdata,"",@progbits
; Kernel info:
; codeLenInByte = 0
; NumSgprs: 4
; NumVgprs: 0
; NumAgprs: 0
; TotalNumVgprs: 0
; ScratchSize: 0
; MemoryBound: 0
; FloatMode: 240
; IeeeMode: 1
; LDSByteSize: 0 bytes/workgroup (compile time only)
; SGPRBlocks: 0
; VGPRBlocks: 0
; NumSGPRsForWavesPerEU: 4
; NumVGPRsForWavesPerEU: 1
; AccumOffset: 4
; Occupancy: 8
; WaveLimiterHint : 0
; COMPUTE_PGM_RSRC2:SCRATCH_EN: 0
; COMPUTE_PGM_RSRC2:USER_SGPR: 6
; COMPUTE_PGM_RSRC2:TRAP_HANDLER: 0
; COMPUTE_PGM_RSRC2:TGID_X_EN: 1
; COMPUTE_PGM_RSRC2:TGID_Y_EN: 0
; COMPUTE_PGM_RSRC2:TGID_Z_EN: 0
; COMPUTE_PGM_RSRC2:TIDIG_COMP_CNT: 0
; COMPUTE_PGM_RSRC3_GFX90A:ACCUM_OFFSET: 0
; COMPUTE_PGM_RSRC3_GFX90A:TG_SPLIT: 0
	.section	.text._ZN7rocprim17ROCPRIM_400000_NS6detail17trampoline_kernelINS0_14default_configENS1_27scan_by_key_config_selectorIj11FixedVectorIiLj2EEEEZZNS1_16scan_by_key_implILNS1_25lookback_scan_determinismE0ELb0ES3_N6thrust23THRUST_200600_302600_NS6detail15normal_iteratorINSB_10device_ptrIjEEEENSD_INSE_IS6_EEEESI_S6_NSB_4plusIvEENSB_8equal_toIvEES6_EE10hipError_tPvRmT2_T3_T4_T5_mT6_T7_P12ihipStream_tbENKUlT_T0_E_clISt17integral_constantIbLb0EES13_EEDaSY_SZ_EUlSY_E_NS1_11comp_targetILNS1_3genE8ELNS1_11target_archE1030ELNS1_3gpuE2ELNS1_3repE0EEENS1_30default_config_static_selectorELNS0_4arch9wavefront6targetE1EEEvT1_,"axG",@progbits,_ZN7rocprim17ROCPRIM_400000_NS6detail17trampoline_kernelINS0_14default_configENS1_27scan_by_key_config_selectorIj11FixedVectorIiLj2EEEEZZNS1_16scan_by_key_implILNS1_25lookback_scan_determinismE0ELb0ES3_N6thrust23THRUST_200600_302600_NS6detail15normal_iteratorINSB_10device_ptrIjEEEENSD_INSE_IS6_EEEESI_S6_NSB_4plusIvEENSB_8equal_toIvEES6_EE10hipError_tPvRmT2_T3_T4_T5_mT6_T7_P12ihipStream_tbENKUlT_T0_E_clISt17integral_constantIbLb0EES13_EEDaSY_SZ_EUlSY_E_NS1_11comp_targetILNS1_3genE8ELNS1_11target_archE1030ELNS1_3gpuE2ELNS1_3repE0EEENS1_30default_config_static_selectorELNS0_4arch9wavefront6targetE1EEEvT1_,comdat
	.protected	_ZN7rocprim17ROCPRIM_400000_NS6detail17trampoline_kernelINS0_14default_configENS1_27scan_by_key_config_selectorIj11FixedVectorIiLj2EEEEZZNS1_16scan_by_key_implILNS1_25lookback_scan_determinismE0ELb0ES3_N6thrust23THRUST_200600_302600_NS6detail15normal_iteratorINSB_10device_ptrIjEEEENSD_INSE_IS6_EEEESI_S6_NSB_4plusIvEENSB_8equal_toIvEES6_EE10hipError_tPvRmT2_T3_T4_T5_mT6_T7_P12ihipStream_tbENKUlT_T0_E_clISt17integral_constantIbLb0EES13_EEDaSY_SZ_EUlSY_E_NS1_11comp_targetILNS1_3genE8ELNS1_11target_archE1030ELNS1_3gpuE2ELNS1_3repE0EEENS1_30default_config_static_selectorELNS0_4arch9wavefront6targetE1EEEvT1_ ; -- Begin function _ZN7rocprim17ROCPRIM_400000_NS6detail17trampoline_kernelINS0_14default_configENS1_27scan_by_key_config_selectorIj11FixedVectorIiLj2EEEEZZNS1_16scan_by_key_implILNS1_25lookback_scan_determinismE0ELb0ES3_N6thrust23THRUST_200600_302600_NS6detail15normal_iteratorINSB_10device_ptrIjEEEENSD_INSE_IS6_EEEESI_S6_NSB_4plusIvEENSB_8equal_toIvEES6_EE10hipError_tPvRmT2_T3_T4_T5_mT6_T7_P12ihipStream_tbENKUlT_T0_E_clISt17integral_constantIbLb0EES13_EEDaSY_SZ_EUlSY_E_NS1_11comp_targetILNS1_3genE8ELNS1_11target_archE1030ELNS1_3gpuE2ELNS1_3repE0EEENS1_30default_config_static_selectorELNS0_4arch9wavefront6targetE1EEEvT1_
	.globl	_ZN7rocprim17ROCPRIM_400000_NS6detail17trampoline_kernelINS0_14default_configENS1_27scan_by_key_config_selectorIj11FixedVectorIiLj2EEEEZZNS1_16scan_by_key_implILNS1_25lookback_scan_determinismE0ELb0ES3_N6thrust23THRUST_200600_302600_NS6detail15normal_iteratorINSB_10device_ptrIjEEEENSD_INSE_IS6_EEEESI_S6_NSB_4plusIvEENSB_8equal_toIvEES6_EE10hipError_tPvRmT2_T3_T4_T5_mT6_T7_P12ihipStream_tbENKUlT_T0_E_clISt17integral_constantIbLb0EES13_EEDaSY_SZ_EUlSY_E_NS1_11comp_targetILNS1_3genE8ELNS1_11target_archE1030ELNS1_3gpuE2ELNS1_3repE0EEENS1_30default_config_static_selectorELNS0_4arch9wavefront6targetE1EEEvT1_
	.p2align	8
	.type	_ZN7rocprim17ROCPRIM_400000_NS6detail17trampoline_kernelINS0_14default_configENS1_27scan_by_key_config_selectorIj11FixedVectorIiLj2EEEEZZNS1_16scan_by_key_implILNS1_25lookback_scan_determinismE0ELb0ES3_N6thrust23THRUST_200600_302600_NS6detail15normal_iteratorINSB_10device_ptrIjEEEENSD_INSE_IS6_EEEESI_S6_NSB_4plusIvEENSB_8equal_toIvEES6_EE10hipError_tPvRmT2_T3_T4_T5_mT6_T7_P12ihipStream_tbENKUlT_T0_E_clISt17integral_constantIbLb0EES13_EEDaSY_SZ_EUlSY_E_NS1_11comp_targetILNS1_3genE8ELNS1_11target_archE1030ELNS1_3gpuE2ELNS1_3repE0EEENS1_30default_config_static_selectorELNS0_4arch9wavefront6targetE1EEEvT1_,@function
_ZN7rocprim17ROCPRIM_400000_NS6detail17trampoline_kernelINS0_14default_configENS1_27scan_by_key_config_selectorIj11FixedVectorIiLj2EEEEZZNS1_16scan_by_key_implILNS1_25lookback_scan_determinismE0ELb0ES3_N6thrust23THRUST_200600_302600_NS6detail15normal_iteratorINSB_10device_ptrIjEEEENSD_INSE_IS6_EEEESI_S6_NSB_4plusIvEENSB_8equal_toIvEES6_EE10hipError_tPvRmT2_T3_T4_T5_mT6_T7_P12ihipStream_tbENKUlT_T0_E_clISt17integral_constantIbLb0EES13_EEDaSY_SZ_EUlSY_E_NS1_11comp_targetILNS1_3genE8ELNS1_11target_archE1030ELNS1_3gpuE2ELNS1_3repE0EEENS1_30default_config_static_selectorELNS0_4arch9wavefront6targetE1EEEvT1_: ; @_ZN7rocprim17ROCPRIM_400000_NS6detail17trampoline_kernelINS0_14default_configENS1_27scan_by_key_config_selectorIj11FixedVectorIiLj2EEEEZZNS1_16scan_by_key_implILNS1_25lookback_scan_determinismE0ELb0ES3_N6thrust23THRUST_200600_302600_NS6detail15normal_iteratorINSB_10device_ptrIjEEEENSD_INSE_IS6_EEEESI_S6_NSB_4plusIvEENSB_8equal_toIvEES6_EE10hipError_tPvRmT2_T3_T4_T5_mT6_T7_P12ihipStream_tbENKUlT_T0_E_clISt17integral_constantIbLb0EES13_EEDaSY_SZ_EUlSY_E_NS1_11comp_targetILNS1_3genE8ELNS1_11target_archE1030ELNS1_3gpuE2ELNS1_3repE0EEENS1_30default_config_static_selectorELNS0_4arch9wavefront6targetE1EEEvT1_
; %bb.0:
	.section	.rodata,"a",@progbits
	.p2align	6, 0x0
	.amdhsa_kernel _ZN7rocprim17ROCPRIM_400000_NS6detail17trampoline_kernelINS0_14default_configENS1_27scan_by_key_config_selectorIj11FixedVectorIiLj2EEEEZZNS1_16scan_by_key_implILNS1_25lookback_scan_determinismE0ELb0ES3_N6thrust23THRUST_200600_302600_NS6detail15normal_iteratorINSB_10device_ptrIjEEEENSD_INSE_IS6_EEEESI_S6_NSB_4plusIvEENSB_8equal_toIvEES6_EE10hipError_tPvRmT2_T3_T4_T5_mT6_T7_P12ihipStream_tbENKUlT_T0_E_clISt17integral_constantIbLb0EES13_EEDaSY_SZ_EUlSY_E_NS1_11comp_targetILNS1_3genE8ELNS1_11target_archE1030ELNS1_3gpuE2ELNS1_3repE0EEENS1_30default_config_static_selectorELNS0_4arch9wavefront6targetE1EEEvT1_
		.amdhsa_group_segment_fixed_size 0
		.amdhsa_private_segment_fixed_size 0
		.amdhsa_kernarg_size 120
		.amdhsa_user_sgpr_count 6
		.amdhsa_user_sgpr_private_segment_buffer 1
		.amdhsa_user_sgpr_dispatch_ptr 0
		.amdhsa_user_sgpr_queue_ptr 0
		.amdhsa_user_sgpr_kernarg_segment_ptr 1
		.amdhsa_user_sgpr_dispatch_id 0
		.amdhsa_user_sgpr_flat_scratch_init 0
		.amdhsa_user_sgpr_kernarg_preload_length 0
		.amdhsa_user_sgpr_kernarg_preload_offset 0
		.amdhsa_user_sgpr_private_segment_size 0
		.amdhsa_uses_dynamic_stack 0
		.amdhsa_system_sgpr_private_segment_wavefront_offset 0
		.amdhsa_system_sgpr_workgroup_id_x 1
		.amdhsa_system_sgpr_workgroup_id_y 0
		.amdhsa_system_sgpr_workgroup_id_z 0
		.amdhsa_system_sgpr_workgroup_info 0
		.amdhsa_system_vgpr_workitem_id 0
		.amdhsa_next_free_vgpr 1
		.amdhsa_next_free_sgpr 0
		.amdhsa_accum_offset 4
		.amdhsa_reserve_vcc 0
		.amdhsa_reserve_flat_scratch 0
		.amdhsa_float_round_mode_32 0
		.amdhsa_float_round_mode_16_64 0
		.amdhsa_float_denorm_mode_32 3
		.amdhsa_float_denorm_mode_16_64 3
		.amdhsa_dx10_clamp 1
		.amdhsa_ieee_mode 1
		.amdhsa_fp16_overflow 0
		.amdhsa_tg_split 0
		.amdhsa_exception_fp_ieee_invalid_op 0
		.amdhsa_exception_fp_denorm_src 0
		.amdhsa_exception_fp_ieee_div_zero 0
		.amdhsa_exception_fp_ieee_overflow 0
		.amdhsa_exception_fp_ieee_underflow 0
		.amdhsa_exception_fp_ieee_inexact 0
		.amdhsa_exception_int_div_zero 0
	.end_amdhsa_kernel
	.section	.text._ZN7rocprim17ROCPRIM_400000_NS6detail17trampoline_kernelINS0_14default_configENS1_27scan_by_key_config_selectorIj11FixedVectorIiLj2EEEEZZNS1_16scan_by_key_implILNS1_25lookback_scan_determinismE0ELb0ES3_N6thrust23THRUST_200600_302600_NS6detail15normal_iteratorINSB_10device_ptrIjEEEENSD_INSE_IS6_EEEESI_S6_NSB_4plusIvEENSB_8equal_toIvEES6_EE10hipError_tPvRmT2_T3_T4_T5_mT6_T7_P12ihipStream_tbENKUlT_T0_E_clISt17integral_constantIbLb0EES13_EEDaSY_SZ_EUlSY_E_NS1_11comp_targetILNS1_3genE8ELNS1_11target_archE1030ELNS1_3gpuE2ELNS1_3repE0EEENS1_30default_config_static_selectorELNS0_4arch9wavefront6targetE1EEEvT1_,"axG",@progbits,_ZN7rocprim17ROCPRIM_400000_NS6detail17trampoline_kernelINS0_14default_configENS1_27scan_by_key_config_selectorIj11FixedVectorIiLj2EEEEZZNS1_16scan_by_key_implILNS1_25lookback_scan_determinismE0ELb0ES3_N6thrust23THRUST_200600_302600_NS6detail15normal_iteratorINSB_10device_ptrIjEEEENSD_INSE_IS6_EEEESI_S6_NSB_4plusIvEENSB_8equal_toIvEES6_EE10hipError_tPvRmT2_T3_T4_T5_mT6_T7_P12ihipStream_tbENKUlT_T0_E_clISt17integral_constantIbLb0EES13_EEDaSY_SZ_EUlSY_E_NS1_11comp_targetILNS1_3genE8ELNS1_11target_archE1030ELNS1_3gpuE2ELNS1_3repE0EEENS1_30default_config_static_selectorELNS0_4arch9wavefront6targetE1EEEvT1_,comdat
.Lfunc_end1959:
	.size	_ZN7rocprim17ROCPRIM_400000_NS6detail17trampoline_kernelINS0_14default_configENS1_27scan_by_key_config_selectorIj11FixedVectorIiLj2EEEEZZNS1_16scan_by_key_implILNS1_25lookback_scan_determinismE0ELb0ES3_N6thrust23THRUST_200600_302600_NS6detail15normal_iteratorINSB_10device_ptrIjEEEENSD_INSE_IS6_EEEESI_S6_NSB_4plusIvEENSB_8equal_toIvEES6_EE10hipError_tPvRmT2_T3_T4_T5_mT6_T7_P12ihipStream_tbENKUlT_T0_E_clISt17integral_constantIbLb0EES13_EEDaSY_SZ_EUlSY_E_NS1_11comp_targetILNS1_3genE8ELNS1_11target_archE1030ELNS1_3gpuE2ELNS1_3repE0EEENS1_30default_config_static_selectorELNS0_4arch9wavefront6targetE1EEEvT1_, .Lfunc_end1959-_ZN7rocprim17ROCPRIM_400000_NS6detail17trampoline_kernelINS0_14default_configENS1_27scan_by_key_config_selectorIj11FixedVectorIiLj2EEEEZZNS1_16scan_by_key_implILNS1_25lookback_scan_determinismE0ELb0ES3_N6thrust23THRUST_200600_302600_NS6detail15normal_iteratorINSB_10device_ptrIjEEEENSD_INSE_IS6_EEEESI_S6_NSB_4plusIvEENSB_8equal_toIvEES6_EE10hipError_tPvRmT2_T3_T4_T5_mT6_T7_P12ihipStream_tbENKUlT_T0_E_clISt17integral_constantIbLb0EES13_EEDaSY_SZ_EUlSY_E_NS1_11comp_targetILNS1_3genE8ELNS1_11target_archE1030ELNS1_3gpuE2ELNS1_3repE0EEENS1_30default_config_static_selectorELNS0_4arch9wavefront6targetE1EEEvT1_
                                        ; -- End function
	.section	.AMDGPU.csdata,"",@progbits
; Kernel info:
; codeLenInByte = 0
; NumSgprs: 4
; NumVgprs: 0
; NumAgprs: 0
; TotalNumVgprs: 0
; ScratchSize: 0
; MemoryBound: 0
; FloatMode: 240
; IeeeMode: 1
; LDSByteSize: 0 bytes/workgroup (compile time only)
; SGPRBlocks: 0
; VGPRBlocks: 0
; NumSGPRsForWavesPerEU: 4
; NumVGPRsForWavesPerEU: 1
; AccumOffset: 4
; Occupancy: 8
; WaveLimiterHint : 0
; COMPUTE_PGM_RSRC2:SCRATCH_EN: 0
; COMPUTE_PGM_RSRC2:USER_SGPR: 6
; COMPUTE_PGM_RSRC2:TRAP_HANDLER: 0
; COMPUTE_PGM_RSRC2:TGID_X_EN: 1
; COMPUTE_PGM_RSRC2:TGID_Y_EN: 0
; COMPUTE_PGM_RSRC2:TGID_Z_EN: 0
; COMPUTE_PGM_RSRC2:TIDIG_COMP_CNT: 0
; COMPUTE_PGM_RSRC3_GFX90A:ACCUM_OFFSET: 0
; COMPUTE_PGM_RSRC3_GFX90A:TG_SPLIT: 0
	.section	.text._ZN7rocprim17ROCPRIM_400000_NS6detail30init_device_scan_by_key_kernelINS1_19lookback_scan_stateINS0_5tupleIJ11FixedVectorIiLj2EEbEEELb1ELb1EEEN6thrust23THRUST_200600_302600_NS6detail15normal_iteratorINSA_10device_ptrIjEEEEjNS1_16block_id_wrapperIjLb1EEEEEvT_jjPNSI_10value_typeET0_PNSt15iterator_traitsISL_E10value_typeEmT1_T2_,"axG",@progbits,_ZN7rocprim17ROCPRIM_400000_NS6detail30init_device_scan_by_key_kernelINS1_19lookback_scan_stateINS0_5tupleIJ11FixedVectorIiLj2EEbEEELb1ELb1EEEN6thrust23THRUST_200600_302600_NS6detail15normal_iteratorINSA_10device_ptrIjEEEEjNS1_16block_id_wrapperIjLb1EEEEEvT_jjPNSI_10value_typeET0_PNSt15iterator_traitsISL_E10value_typeEmT1_T2_,comdat
	.protected	_ZN7rocprim17ROCPRIM_400000_NS6detail30init_device_scan_by_key_kernelINS1_19lookback_scan_stateINS0_5tupleIJ11FixedVectorIiLj2EEbEEELb1ELb1EEEN6thrust23THRUST_200600_302600_NS6detail15normal_iteratorINSA_10device_ptrIjEEEEjNS1_16block_id_wrapperIjLb1EEEEEvT_jjPNSI_10value_typeET0_PNSt15iterator_traitsISL_E10value_typeEmT1_T2_ ; -- Begin function _ZN7rocprim17ROCPRIM_400000_NS6detail30init_device_scan_by_key_kernelINS1_19lookback_scan_stateINS0_5tupleIJ11FixedVectorIiLj2EEbEEELb1ELb1EEEN6thrust23THRUST_200600_302600_NS6detail15normal_iteratorINSA_10device_ptrIjEEEEjNS1_16block_id_wrapperIjLb1EEEEEvT_jjPNSI_10value_typeET0_PNSt15iterator_traitsISL_E10value_typeEmT1_T2_
	.globl	_ZN7rocprim17ROCPRIM_400000_NS6detail30init_device_scan_by_key_kernelINS1_19lookback_scan_stateINS0_5tupleIJ11FixedVectorIiLj2EEbEEELb1ELb1EEEN6thrust23THRUST_200600_302600_NS6detail15normal_iteratorINSA_10device_ptrIjEEEEjNS1_16block_id_wrapperIjLb1EEEEEvT_jjPNSI_10value_typeET0_PNSt15iterator_traitsISL_E10value_typeEmT1_T2_
	.p2align	8
	.type	_ZN7rocprim17ROCPRIM_400000_NS6detail30init_device_scan_by_key_kernelINS1_19lookback_scan_stateINS0_5tupleIJ11FixedVectorIiLj2EEbEEELb1ELb1EEEN6thrust23THRUST_200600_302600_NS6detail15normal_iteratorINSA_10device_ptrIjEEEEjNS1_16block_id_wrapperIjLb1EEEEEvT_jjPNSI_10value_typeET0_PNSt15iterator_traitsISL_E10value_typeEmT1_T2_,@function
_ZN7rocprim17ROCPRIM_400000_NS6detail30init_device_scan_by_key_kernelINS1_19lookback_scan_stateINS0_5tupleIJ11FixedVectorIiLj2EEbEEELb1ELb1EEEN6thrust23THRUST_200600_302600_NS6detail15normal_iteratorINSA_10device_ptrIjEEEEjNS1_16block_id_wrapperIjLb1EEEEEvT_jjPNSI_10value_typeET0_PNSt15iterator_traitsISL_E10value_typeEmT1_T2_: ; @_ZN7rocprim17ROCPRIM_400000_NS6detail30init_device_scan_by_key_kernelINS1_19lookback_scan_stateINS0_5tupleIJ11FixedVectorIiLj2EEbEEELb1ELb1EEEN6thrust23THRUST_200600_302600_NS6detail15normal_iteratorINSA_10device_ptrIjEEEEjNS1_16block_id_wrapperIjLb1EEEEEvT_jjPNSI_10value_typeET0_PNSt15iterator_traitsISL_E10value_typeEmT1_T2_
; %bb.0:
	s_load_dword s0, s[4:5], 0x4c
	s_load_dwordx8 s[8:15], s[4:5], 0x0
	s_load_dword s18, s[4:5], 0x40
	s_waitcnt lgkmcnt(0)
	s_and_b32 s19, s0, 0xffff
	s_mul_i32 s6, s6, s19
	s_cmp_eq_u64 s[12:13], 0
	v_add_u32_e32 v4, s6, v0
	s_cbranch_scc1 .LBB1960_10
; %bb.1:
	s_cmp_lt_u32 s11, s10
	s_cselect_b32 s0, s11, 0
	s_mov_b32 s3, 0
	v_cmp_eq_u32_e32 vcc, s0, v4
	s_and_saveexec_b64 s[0:1], vcc
	s_cbranch_execz .LBB1960_9
; %bb.2:
	s_add_i32 s2, s11, 64
	s_lshl_b64 s[2:3], s[2:3], 4
	s_add_u32 s6, s8, s2
	s_addc_u32 s7, s9, s3
	v_pk_mov_b32 v[0:1], s[6:7], s[6:7] op_sel:[0,1]
	v_mov_b32_e32 v12, 0
	;;#ASMSTART
	global_load_dwordx4 v[0:3], v[0:1] off glc	
s_waitcnt vmcnt(0)
	;;#ASMEND
	v_lshlrev_b64 v[16:17], 24, v[2:3]
	v_lshrrev_b32_e32 v5, 8, v1
	v_lshlrev_b64 v[18:19], 16, v[2:3]
	v_lshlrev_b64 v[20:21], 8, v[2:3]
	v_and_b32_e32 v13, 0xff, v3
	v_lshrrev_b64 v[6:7], 8, v[0:1]
	v_lshrrev_b64 v[8:9], 16, v[0:1]
	;; [unrolled: 1-line block ×3, first 2 shown]
	v_mov_b32_e32 v14, v1
	v_or_b32_e32 v16, v5, v16
	v_or_b32_sdwa v18, v1, v18 dst_sel:DWORD dst_unused:UNUSED_PAD src0_sel:WORD_1 src1_sel:DWORD
	v_or_b32_sdwa v20, v1, v20 dst_sel:DWORD dst_unused:UNUSED_PAD src0_sel:BYTE_3 src1_sel:DWORD
	s_mov_b64 s[16:17], 0
	v_cmp_eq_u64_e32 vcc, 0, v[12:13]
	s_and_saveexec_b64 s[2:3], vcc
	s_cbranch_execz .LBB1960_8
; %bb.3:
	s_mov_b32 s11, 1
	v_pk_mov_b32 v[6:7], s[6:7], s[6:7] op_sel:[0,1]
.LBB1960_4:                             ; =>This Loop Header: Depth=1
                                        ;     Child Loop BB1960_5 Depth 2
	s_max_u32 s6, s11, 1
.LBB1960_5:                             ;   Parent Loop BB1960_4 Depth=1
                                        ; =>  This Inner Loop Header: Depth=2
	s_add_i32 s6, s6, -1
	s_cmp_eq_u32 s6, 0
	s_sleep 1
	s_cbranch_scc0 .LBB1960_5
; %bb.6:                                ;   in Loop: Header=BB1960_4 Depth=1
	s_cmp_lt_u32 s11, 32
	s_cselect_b64 s[6:7], -1, 0
	s_cmp_lg_u64 s[6:7], 0
	;;#ASMSTART
	global_load_dwordx4 v[0:3], v[6:7] off glc	
s_waitcnt vmcnt(0)
	;;#ASMEND
	v_and_b32_e32 v13, 0xff, v3
	s_addc_u32 s11, s11, 0
	v_cmp_ne_u64_e32 vcc, 0, v[12:13]
	s_or_b64 s[16:17], vcc, s[16:17]
	s_andn2_b64 exec, exec, s[16:17]
	s_cbranch_execnz .LBB1960_4
; %bb.7:
	s_or_b64 exec, exec, s[16:17]
	v_lshlrev_b64 v[12:13], 24, v[2:3]
	v_lshrrev_b32_e32 v5, 8, v1
	v_or_b32_e32 v16, v5, v12
	v_lshlrev_b64 v[12:13], 16, v[2:3]
	v_or_b32_sdwa v18, v1, v12 dst_sel:DWORD dst_unused:UNUSED_PAD src0_sel:WORD_1 src1_sel:DWORD
	v_lshlrev_b64 v[12:13], 8, v[2:3]
	v_lshrrev_b64 v[6:7], 8, v[0:1]
	v_lshrrev_b64 v[8:9], 16, v[0:1]
	;; [unrolled: 1-line block ×3, first 2 shown]
	v_mov_b32_e32 v14, v1
	v_or_b32_sdwa v20, v1, v12 dst_sel:DWORD dst_unused:UNUSED_PAD src0_sel:BYTE_3 src1_sel:DWORD
.LBB1960_8:
	s_or_b64 exec, exec, s[2:3]
	v_lshlrev_b32_e32 v3, 16, v18
	v_lshlrev_b32_e32 v1, 24, v20
	v_and_b32_e32 v3, 0xff0000, v3
	v_lshlrev_b32_e32 v8, 16, v8
	s_mov_b32 s2, 0x4020c0c
	v_lshlrev_b32_e32 v5, 8, v16
	v_lshlrev_b32_e32 v6, 8, v6
	v_or_b32_e32 v1, v3, v1
	v_perm_b32 v3, v10, v8, s2
	v_and_b32_e32 v5, 0xff00, v5
	v_and_b32_e32 v7, 0xff, v14
	;; [unrolled: 1-line block ×3, first 2 shown]
	v_or_b32_sdwa v0, v3, v0 dst_sel:DWORD dst_unused:UNUSED_PAD src0_sel:DWORD src1_sel:BYTE_0
	v_or3_b32 v1, v1, v5, v7
	v_add_co_u32_e32 v0, vcc, v0, v6
	v_mov_b32_e32 v9, 0
	v_addc_co_u32_e32 v1, vcc, 0, v1, vcc
	global_store_dwordx2 v9, v[0:1], s[12:13]
	global_store_byte v9, v2, s[12:13] offset:8
.LBB1960_9:
	s_or_b64 exec, exec, s[0:1]
.LBB1960_10:
	v_cmp_eq_u32_e32 vcc, 0, v4
	s_and_saveexec_b64 s[0:1], vcc
	s_cbranch_execz .LBB1960_12
; %bb.11:
	s_load_dwordx2 s[2:3], s[4:5], 0x38
	v_mov_b32_e32 v0, 0
	s_waitcnt lgkmcnt(0)
	global_store_dword v0, v0, s[2:3]
.LBB1960_12:
	s_or_b64 exec, exec, s[0:1]
	v_cmp_gt_u32_e32 vcc, s10, v4
	s_and_saveexec_b64 s[0:1], vcc
	s_cbranch_execz .LBB1960_14
; %bb.13:
	v_add_u32_e32 v0, 64, v4
	v_mov_b32_e32 v1, 0
	v_lshlrev_b64 v[2:3], 4, v[0:1]
	v_mov_b32_e32 v0, s9
	v_add_co_u32_e32 v6, vcc, s8, v2
	v_addc_co_u32_e32 v7, vcc, v0, v3, vcc
	v_mov_b32_e32 v0, v1
	v_mov_b32_e32 v2, v1
	;; [unrolled: 1-line block ×3, first 2 shown]
	global_store_dwordx4 v[6:7], v[0:3], off
.LBB1960_14:
	s_or_b64 exec, exec, s[0:1]
	v_cmp_gt_u32_e32 vcc, 64, v4
	v_mov_b32_e32 v5, 0
	s_and_saveexec_b64 s[0:1], vcc
	s_cbranch_execz .LBB1960_16
; %bb.15:
	v_lshlrev_b64 v[0:1], 4, v[4:5]
	v_mov_b32_e32 v2, s9
	v_add_co_u32_e32 v6, vcc, s8, v0
	v_addc_co_u32_e32 v7, vcc, v2, v1, vcc
	v_mov_b32_e32 v3, 0xff
	v_mov_b32_e32 v0, v5
	;; [unrolled: 1-line block ×4, first 2 shown]
	global_store_dwordx4 v[6:7], v[0:3], off
.LBB1960_16:
	s_or_b64 exec, exec, s[0:1]
	s_load_dwordx2 s[0:1], s[4:5], 0x28
	s_waitcnt lgkmcnt(0)
	v_cmp_gt_u64_e32 vcc, s[0:1], v[4:5]
	s_and_saveexec_b64 s[2:3], vcc
	s_cbranch_execz .LBB1960_19
; %bb.17:
	s_load_dword s10, s[4:5], 0x30
	s_load_dwordx2 s[6:7], s[4:5], 0x20
	s_mov_b32 s5, 0
	s_mov_b32 s3, s5
	s_mul_i32 s2, s18, s19
	s_waitcnt lgkmcnt(0)
	s_add_i32 s4, s10, -1
	s_lshl_b64 s[4:5], s[4:5], 2
	v_mad_u64_u32 v[0:1], s[8:9], s10, v4, 0
	s_add_u32 s4, s14, s4
	v_lshlrev_b64 v[0:1], 2, v[0:1]
	s_addc_u32 s5, s15, s5
	v_mov_b32_e32 v2, s5
	v_add_co_u32_e32 v0, vcc, s4, v0
	v_addc_co_u32_e32 v1, vcc, v2, v1, vcc
	s_mul_hi_u32 s5, s10, s2
	s_mul_i32 s4, s10, s2
	v_lshlrev_b64 v[2:3], 2, v[4:5]
	s_lshl_b64 s[4:5], s[4:5], 2
	v_mov_b32_e32 v6, s7
	v_add_co_u32_e32 v2, vcc, s6, v2
	s_lshl_b64 s[6:7], s[2:3], 2
	v_addc_co_u32_e32 v3, vcc, v6, v3, vcc
	s_mov_b64 s[8:9], 0
	v_mov_b32_e32 v6, s3
	v_mov_b32_e32 v7, s5
	;; [unrolled: 1-line block ×3, first 2 shown]
.LBB1960_18:                            ; =>This Inner Loop Header: Depth=1
	global_load_dword v9, v[0:1], off
	v_add_co_u32_e32 v4, vcc, s2, v4
	v_addc_co_u32_e32 v5, vcc, v5, v6, vcc
	v_add_co_u32_e32 v0, vcc, s4, v0
	v_addc_co_u32_e32 v1, vcc, v1, v7, vcc
	v_cmp_le_u64_e32 vcc, s[0:1], v[4:5]
	s_or_b64 s[8:9], vcc, s[8:9]
	s_waitcnt vmcnt(0)
	global_store_dword v[2:3], v9, off
	v_add_co_u32_e32 v2, vcc, s6, v2
	v_addc_co_u32_e32 v3, vcc, v3, v8, vcc
	s_andn2_b64 exec, exec, s[8:9]
	s_cbranch_execnz .LBB1960_18
.LBB1960_19:
	s_endpgm
	.section	.rodata,"a",@progbits
	.p2align	6, 0x0
	.amdhsa_kernel _ZN7rocprim17ROCPRIM_400000_NS6detail30init_device_scan_by_key_kernelINS1_19lookback_scan_stateINS0_5tupleIJ11FixedVectorIiLj2EEbEEELb1ELb1EEEN6thrust23THRUST_200600_302600_NS6detail15normal_iteratorINSA_10device_ptrIjEEEEjNS1_16block_id_wrapperIjLb1EEEEEvT_jjPNSI_10value_typeET0_PNSt15iterator_traitsISL_E10value_typeEmT1_T2_
		.amdhsa_group_segment_fixed_size 0
		.amdhsa_private_segment_fixed_size 0
		.amdhsa_kernarg_size 320
		.amdhsa_user_sgpr_count 6
		.amdhsa_user_sgpr_private_segment_buffer 1
		.amdhsa_user_sgpr_dispatch_ptr 0
		.amdhsa_user_sgpr_queue_ptr 0
		.amdhsa_user_sgpr_kernarg_segment_ptr 1
		.amdhsa_user_sgpr_dispatch_id 0
		.amdhsa_user_sgpr_flat_scratch_init 0
		.amdhsa_user_sgpr_kernarg_preload_length 0
		.amdhsa_user_sgpr_kernarg_preload_offset 0
		.amdhsa_user_sgpr_private_segment_size 0
		.amdhsa_uses_dynamic_stack 0
		.amdhsa_system_sgpr_private_segment_wavefront_offset 0
		.amdhsa_system_sgpr_workgroup_id_x 1
		.amdhsa_system_sgpr_workgroup_id_y 0
		.amdhsa_system_sgpr_workgroup_id_z 0
		.amdhsa_system_sgpr_workgroup_info 0
		.amdhsa_system_vgpr_workitem_id 0
		.amdhsa_next_free_vgpr 22
		.amdhsa_next_free_sgpr 20
		.amdhsa_accum_offset 24
		.amdhsa_reserve_vcc 1
		.amdhsa_reserve_flat_scratch 0
		.amdhsa_float_round_mode_32 0
		.amdhsa_float_round_mode_16_64 0
		.amdhsa_float_denorm_mode_32 3
		.amdhsa_float_denorm_mode_16_64 3
		.amdhsa_dx10_clamp 1
		.amdhsa_ieee_mode 1
		.amdhsa_fp16_overflow 0
		.amdhsa_tg_split 0
		.amdhsa_exception_fp_ieee_invalid_op 0
		.amdhsa_exception_fp_denorm_src 0
		.amdhsa_exception_fp_ieee_div_zero 0
		.amdhsa_exception_fp_ieee_overflow 0
		.amdhsa_exception_fp_ieee_underflow 0
		.amdhsa_exception_fp_ieee_inexact 0
		.amdhsa_exception_int_div_zero 0
	.end_amdhsa_kernel
	.section	.text._ZN7rocprim17ROCPRIM_400000_NS6detail30init_device_scan_by_key_kernelINS1_19lookback_scan_stateINS0_5tupleIJ11FixedVectorIiLj2EEbEEELb1ELb1EEEN6thrust23THRUST_200600_302600_NS6detail15normal_iteratorINSA_10device_ptrIjEEEEjNS1_16block_id_wrapperIjLb1EEEEEvT_jjPNSI_10value_typeET0_PNSt15iterator_traitsISL_E10value_typeEmT1_T2_,"axG",@progbits,_ZN7rocprim17ROCPRIM_400000_NS6detail30init_device_scan_by_key_kernelINS1_19lookback_scan_stateINS0_5tupleIJ11FixedVectorIiLj2EEbEEELb1ELb1EEEN6thrust23THRUST_200600_302600_NS6detail15normal_iteratorINSA_10device_ptrIjEEEEjNS1_16block_id_wrapperIjLb1EEEEEvT_jjPNSI_10value_typeET0_PNSt15iterator_traitsISL_E10value_typeEmT1_T2_,comdat
.Lfunc_end1960:
	.size	_ZN7rocprim17ROCPRIM_400000_NS6detail30init_device_scan_by_key_kernelINS1_19lookback_scan_stateINS0_5tupleIJ11FixedVectorIiLj2EEbEEELb1ELb1EEEN6thrust23THRUST_200600_302600_NS6detail15normal_iteratorINSA_10device_ptrIjEEEEjNS1_16block_id_wrapperIjLb1EEEEEvT_jjPNSI_10value_typeET0_PNSt15iterator_traitsISL_E10value_typeEmT1_T2_, .Lfunc_end1960-_ZN7rocprim17ROCPRIM_400000_NS6detail30init_device_scan_by_key_kernelINS1_19lookback_scan_stateINS0_5tupleIJ11FixedVectorIiLj2EEbEEELb1ELb1EEEN6thrust23THRUST_200600_302600_NS6detail15normal_iteratorINSA_10device_ptrIjEEEEjNS1_16block_id_wrapperIjLb1EEEEEvT_jjPNSI_10value_typeET0_PNSt15iterator_traitsISL_E10value_typeEmT1_T2_
                                        ; -- End function
	.section	.AMDGPU.csdata,"",@progbits
; Kernel info:
; codeLenInByte = 900
; NumSgprs: 24
; NumVgprs: 22
; NumAgprs: 0
; TotalNumVgprs: 22
; ScratchSize: 0
; MemoryBound: 0
; FloatMode: 240
; IeeeMode: 1
; LDSByteSize: 0 bytes/workgroup (compile time only)
; SGPRBlocks: 2
; VGPRBlocks: 2
; NumSGPRsForWavesPerEU: 24
; NumVGPRsForWavesPerEU: 22
; AccumOffset: 24
; Occupancy: 8
; WaveLimiterHint : 0
; COMPUTE_PGM_RSRC2:SCRATCH_EN: 0
; COMPUTE_PGM_RSRC2:USER_SGPR: 6
; COMPUTE_PGM_RSRC2:TRAP_HANDLER: 0
; COMPUTE_PGM_RSRC2:TGID_X_EN: 1
; COMPUTE_PGM_RSRC2:TGID_Y_EN: 0
; COMPUTE_PGM_RSRC2:TGID_Z_EN: 0
; COMPUTE_PGM_RSRC2:TIDIG_COMP_CNT: 0
; COMPUTE_PGM_RSRC3_GFX90A:ACCUM_OFFSET: 5
; COMPUTE_PGM_RSRC3_GFX90A:TG_SPLIT: 0
	.section	.text._ZN7rocprim17ROCPRIM_400000_NS6detail30init_device_scan_by_key_kernelINS1_19lookback_scan_stateINS0_5tupleIJ11FixedVectorIiLj2EEbEEELb1ELb1EEENS1_16block_id_wrapperIjLb1EEEEEvT_jjPNSB_10value_typeET0_,"axG",@progbits,_ZN7rocprim17ROCPRIM_400000_NS6detail30init_device_scan_by_key_kernelINS1_19lookback_scan_stateINS0_5tupleIJ11FixedVectorIiLj2EEbEEELb1ELb1EEENS1_16block_id_wrapperIjLb1EEEEEvT_jjPNSB_10value_typeET0_,comdat
	.protected	_ZN7rocprim17ROCPRIM_400000_NS6detail30init_device_scan_by_key_kernelINS1_19lookback_scan_stateINS0_5tupleIJ11FixedVectorIiLj2EEbEEELb1ELb1EEENS1_16block_id_wrapperIjLb1EEEEEvT_jjPNSB_10value_typeET0_ ; -- Begin function _ZN7rocprim17ROCPRIM_400000_NS6detail30init_device_scan_by_key_kernelINS1_19lookback_scan_stateINS0_5tupleIJ11FixedVectorIiLj2EEbEEELb1ELb1EEENS1_16block_id_wrapperIjLb1EEEEEvT_jjPNSB_10value_typeET0_
	.globl	_ZN7rocprim17ROCPRIM_400000_NS6detail30init_device_scan_by_key_kernelINS1_19lookback_scan_stateINS0_5tupleIJ11FixedVectorIiLj2EEbEEELb1ELb1EEENS1_16block_id_wrapperIjLb1EEEEEvT_jjPNSB_10value_typeET0_
	.p2align	8
	.type	_ZN7rocprim17ROCPRIM_400000_NS6detail30init_device_scan_by_key_kernelINS1_19lookback_scan_stateINS0_5tupleIJ11FixedVectorIiLj2EEbEEELb1ELb1EEENS1_16block_id_wrapperIjLb1EEEEEvT_jjPNSB_10value_typeET0_,@function
_ZN7rocprim17ROCPRIM_400000_NS6detail30init_device_scan_by_key_kernelINS1_19lookback_scan_stateINS0_5tupleIJ11FixedVectorIiLj2EEbEEELb1ELb1EEENS1_16block_id_wrapperIjLb1EEEEEvT_jjPNSB_10value_typeET0_: ; @_ZN7rocprim17ROCPRIM_400000_NS6detail30init_device_scan_by_key_kernelINS1_19lookback_scan_stateINS0_5tupleIJ11FixedVectorIiLj2EEbEEELb1ELb1EEENS1_16block_id_wrapperIjLb1EEEEEvT_jjPNSB_10value_typeET0_
; %bb.0:
	s_load_dword s0, s[4:5], 0x2c
	s_load_dwordx8 s[8:15], s[4:5], 0x0
	s_waitcnt lgkmcnt(0)
	s_and_b32 s0, s0, 0xffff
	s_mul_i32 s6, s6, s0
	s_cmp_eq_u64 s[12:13], 0
	v_add_u32_e32 v0, s6, v0
	s_cbranch_scc1 .LBB1961_10
; %bb.1:
	s_cmp_lt_u32 s11, s10
	s_cselect_b32 s0, s11, 0
	s_mov_b32 s3, 0
	v_cmp_eq_u32_e32 vcc, s0, v0
	s_and_saveexec_b64 s[0:1], vcc
	s_cbranch_execz .LBB1961_9
; %bb.2:
	s_add_i32 s2, s11, 64
	s_lshl_b64 s[2:3], s[2:3], 4
	s_add_u32 s4, s8, s2
	s_addc_u32 s5, s9, s3
	v_pk_mov_b32 v[2:3], s[4:5], s[4:5] op_sel:[0,1]
	v_mov_b32_e32 v12, 0
	;;#ASMSTART
	global_load_dwordx4 v[2:5], v[2:3] off glc	
s_waitcnt vmcnt(0)
	;;#ASMEND
	v_lshlrev_b64 v[16:17], 24, v[4:5]
	v_lshrrev_b32_e32 v1, 8, v3
	v_lshlrev_b64 v[18:19], 16, v[4:5]
	v_lshlrev_b64 v[20:21], 8, v[4:5]
	v_and_b32_e32 v13, 0xff, v5
	v_lshrrev_b64 v[6:7], 8, v[2:3]
	v_lshrrev_b64 v[8:9], 16, v[2:3]
	;; [unrolled: 1-line block ×3, first 2 shown]
	v_mov_b32_e32 v14, v3
	v_or_b32_e32 v16, v1, v16
	v_or_b32_sdwa v18, v3, v18 dst_sel:DWORD dst_unused:UNUSED_PAD src0_sel:WORD_1 src1_sel:DWORD
	v_or_b32_sdwa v20, v3, v20 dst_sel:DWORD dst_unused:UNUSED_PAD src0_sel:BYTE_3 src1_sel:DWORD
	s_mov_b64 s[6:7], 0
	v_cmp_eq_u64_e32 vcc, 0, v[12:13]
	s_and_saveexec_b64 s[2:3], vcc
	s_cbranch_execz .LBB1961_8
; %bb.3:
	s_mov_b32 s11, 1
	v_pk_mov_b32 v[6:7], s[4:5], s[4:5] op_sel:[0,1]
.LBB1961_4:                             ; =>This Loop Header: Depth=1
                                        ;     Child Loop BB1961_5 Depth 2
	s_max_u32 s4, s11, 1
.LBB1961_5:                             ;   Parent Loop BB1961_4 Depth=1
                                        ; =>  This Inner Loop Header: Depth=2
	s_add_i32 s4, s4, -1
	s_cmp_eq_u32 s4, 0
	s_sleep 1
	s_cbranch_scc0 .LBB1961_5
; %bb.6:                                ;   in Loop: Header=BB1961_4 Depth=1
	s_cmp_lt_u32 s11, 32
	s_cselect_b64 s[4:5], -1, 0
	s_cmp_lg_u64 s[4:5], 0
	;;#ASMSTART
	global_load_dwordx4 v[2:5], v[6:7] off glc	
s_waitcnt vmcnt(0)
	;;#ASMEND
	v_and_b32_e32 v13, 0xff, v5
	s_addc_u32 s11, s11, 0
	v_cmp_ne_u64_e32 vcc, 0, v[12:13]
	s_or_b64 s[6:7], vcc, s[6:7]
	s_andn2_b64 exec, exec, s[6:7]
	s_cbranch_execnz .LBB1961_4
; %bb.7:
	s_or_b64 exec, exec, s[6:7]
	v_lshlrev_b64 v[12:13], 24, v[4:5]
	v_lshrrev_b32_e32 v1, 8, v3
	v_or_b32_e32 v16, v1, v12
	v_lshlrev_b64 v[12:13], 16, v[4:5]
	v_or_b32_sdwa v18, v3, v12 dst_sel:DWORD dst_unused:UNUSED_PAD src0_sel:WORD_1 src1_sel:DWORD
	v_lshlrev_b64 v[12:13], 8, v[4:5]
	v_lshrrev_b64 v[6:7], 8, v[2:3]
	v_lshrrev_b64 v[8:9], 16, v[2:3]
	;; [unrolled: 1-line block ×3, first 2 shown]
	v_mov_b32_e32 v14, v3
	v_or_b32_sdwa v20, v3, v12 dst_sel:DWORD dst_unused:UNUSED_PAD src0_sel:BYTE_3 src1_sel:DWORD
.LBB1961_8:
	s_or_b64 exec, exec, s[2:3]
	v_lshlrev_b32_e32 v3, 16, v18
	v_lshlrev_b32_e32 v1, 24, v20
	v_and_b32_e32 v3, 0xff0000, v3
	v_lshlrev_b32_e32 v8, 16, v8
	s_mov_b32 s2, 0x4020c0c
	v_lshlrev_b32_e32 v5, 8, v16
	v_lshlrev_b32_e32 v6, 8, v6
	v_or_b32_e32 v1, v3, v1
	v_perm_b32 v3, v10, v8, s2
	v_and_b32_e32 v5, 0xff00, v5
	v_and_b32_e32 v7, 0xff, v14
	;; [unrolled: 1-line block ×3, first 2 shown]
	v_or_b32_sdwa v2, v3, v2 dst_sel:DWORD dst_unused:UNUSED_PAD src0_sel:DWORD src1_sel:BYTE_0
	v_or3_b32 v1, v1, v5, v7
	v_add_co_u32_e32 v2, vcc, v2, v6
	v_mov_b32_e32 v9, 0
	v_addc_co_u32_e32 v3, vcc, 0, v1, vcc
	global_store_dwordx2 v9, v[2:3], s[12:13]
	global_store_byte v9, v4, s[12:13] offset:8
.LBB1961_9:
	s_or_b64 exec, exec, s[0:1]
.LBB1961_10:
	v_cmp_eq_u32_e32 vcc, 0, v0
	s_and_saveexec_b64 s[0:1], vcc
	s_cbranch_execnz .LBB1961_14
; %bb.11:
	s_or_b64 exec, exec, s[0:1]
	v_cmp_gt_u32_e32 vcc, s10, v0
	s_and_saveexec_b64 s[0:1], vcc
	s_cbranch_execnz .LBB1961_15
.LBB1961_12:
	s_or_b64 exec, exec, s[0:1]
	v_cmp_gt_u32_e32 vcc, 64, v0
	s_and_saveexec_b64 s[0:1], vcc
	s_cbranch_execnz .LBB1961_16
.LBB1961_13:
	s_endpgm
.LBB1961_14:
	v_mov_b32_e32 v1, 0
	global_store_dword v1, v1, s[14:15]
	s_or_b64 exec, exec, s[0:1]
	v_cmp_gt_u32_e32 vcc, s10, v0
	s_and_saveexec_b64 s[0:1], vcc
	s_cbranch_execz .LBB1961_12
.LBB1961_15:
	v_add_u32_e32 v2, 64, v0
	v_mov_b32_e32 v3, 0
	v_lshlrev_b64 v[4:5], 4, v[2:3]
	v_mov_b32_e32 v1, s9
	v_add_co_u32_e32 v6, vcc, s8, v4
	v_addc_co_u32_e32 v7, vcc, v1, v5, vcc
	v_mov_b32_e32 v2, v3
	v_mov_b32_e32 v4, v3
	;; [unrolled: 1-line block ×3, first 2 shown]
	global_store_dwordx4 v[6:7], v[2:5], off
	s_or_b64 exec, exec, s[0:1]
	v_cmp_gt_u32_e32 vcc, 64, v0
	s_and_saveexec_b64 s[0:1], vcc
	s_cbranch_execz .LBB1961_13
.LBB1961_16:
	v_mov_b32_e32 v1, 0
	v_lshlrev_b64 v[2:3], 4, v[0:1]
	v_mov_b32_e32 v0, s9
	v_add_co_u32_e32 v4, vcc, s8, v2
	v_addc_co_u32_e32 v5, vcc, v0, v3, vcc
	v_mov_b32_e32 v3, 0xff
	v_mov_b32_e32 v0, v1
	;; [unrolled: 1-line block ×3, first 2 shown]
	global_store_dwordx4 v[4:5], v[0:3], off
	s_endpgm
	.section	.rodata,"a",@progbits
	.p2align	6, 0x0
	.amdhsa_kernel _ZN7rocprim17ROCPRIM_400000_NS6detail30init_device_scan_by_key_kernelINS1_19lookback_scan_stateINS0_5tupleIJ11FixedVectorIiLj2EEbEEELb1ELb1EEENS1_16block_id_wrapperIjLb1EEEEEvT_jjPNSB_10value_typeET0_
		.amdhsa_group_segment_fixed_size 0
		.amdhsa_private_segment_fixed_size 0
		.amdhsa_kernarg_size 288
		.amdhsa_user_sgpr_count 6
		.amdhsa_user_sgpr_private_segment_buffer 1
		.amdhsa_user_sgpr_dispatch_ptr 0
		.amdhsa_user_sgpr_queue_ptr 0
		.amdhsa_user_sgpr_kernarg_segment_ptr 1
		.amdhsa_user_sgpr_dispatch_id 0
		.amdhsa_user_sgpr_flat_scratch_init 0
		.amdhsa_user_sgpr_kernarg_preload_length 0
		.amdhsa_user_sgpr_kernarg_preload_offset 0
		.amdhsa_user_sgpr_private_segment_size 0
		.amdhsa_uses_dynamic_stack 0
		.amdhsa_system_sgpr_private_segment_wavefront_offset 0
		.amdhsa_system_sgpr_workgroup_id_x 1
		.amdhsa_system_sgpr_workgroup_id_y 0
		.amdhsa_system_sgpr_workgroup_id_z 0
		.amdhsa_system_sgpr_workgroup_info 0
		.amdhsa_system_vgpr_workitem_id 0
		.amdhsa_next_free_vgpr 22
		.amdhsa_next_free_sgpr 16
		.amdhsa_accum_offset 24
		.amdhsa_reserve_vcc 1
		.amdhsa_reserve_flat_scratch 0
		.amdhsa_float_round_mode_32 0
		.amdhsa_float_round_mode_16_64 0
		.amdhsa_float_denorm_mode_32 3
		.amdhsa_float_denorm_mode_16_64 3
		.amdhsa_dx10_clamp 1
		.amdhsa_ieee_mode 1
		.amdhsa_fp16_overflow 0
		.amdhsa_tg_split 0
		.amdhsa_exception_fp_ieee_invalid_op 0
		.amdhsa_exception_fp_denorm_src 0
		.amdhsa_exception_fp_ieee_div_zero 0
		.amdhsa_exception_fp_ieee_overflow 0
		.amdhsa_exception_fp_ieee_underflow 0
		.amdhsa_exception_fp_ieee_inexact 0
		.amdhsa_exception_int_div_zero 0
	.end_amdhsa_kernel
	.section	.text._ZN7rocprim17ROCPRIM_400000_NS6detail30init_device_scan_by_key_kernelINS1_19lookback_scan_stateINS0_5tupleIJ11FixedVectorIiLj2EEbEEELb1ELb1EEENS1_16block_id_wrapperIjLb1EEEEEvT_jjPNSB_10value_typeET0_,"axG",@progbits,_ZN7rocprim17ROCPRIM_400000_NS6detail30init_device_scan_by_key_kernelINS1_19lookback_scan_stateINS0_5tupleIJ11FixedVectorIiLj2EEbEEELb1ELb1EEENS1_16block_id_wrapperIjLb1EEEEEvT_jjPNSB_10value_typeET0_,comdat
.Lfunc_end1961:
	.size	_ZN7rocprim17ROCPRIM_400000_NS6detail30init_device_scan_by_key_kernelINS1_19lookback_scan_stateINS0_5tupleIJ11FixedVectorIiLj2EEbEEELb1ELb1EEENS1_16block_id_wrapperIjLb1EEEEEvT_jjPNSB_10value_typeET0_, .Lfunc_end1961-_ZN7rocprim17ROCPRIM_400000_NS6detail30init_device_scan_by_key_kernelINS1_19lookback_scan_stateINS0_5tupleIJ11FixedVectorIiLj2EEbEEELb1ELb1EEENS1_16block_id_wrapperIjLb1EEEEEvT_jjPNSB_10value_typeET0_
                                        ; -- End function
	.section	.AMDGPU.csdata,"",@progbits
; Kernel info:
; codeLenInByte = 696
; NumSgprs: 20
; NumVgprs: 22
; NumAgprs: 0
; TotalNumVgprs: 22
; ScratchSize: 0
; MemoryBound: 0
; FloatMode: 240
; IeeeMode: 1
; LDSByteSize: 0 bytes/workgroup (compile time only)
; SGPRBlocks: 2
; VGPRBlocks: 2
; NumSGPRsForWavesPerEU: 20
; NumVGPRsForWavesPerEU: 22
; AccumOffset: 24
; Occupancy: 8
; WaveLimiterHint : 0
; COMPUTE_PGM_RSRC2:SCRATCH_EN: 0
; COMPUTE_PGM_RSRC2:USER_SGPR: 6
; COMPUTE_PGM_RSRC2:TRAP_HANDLER: 0
; COMPUTE_PGM_RSRC2:TGID_X_EN: 1
; COMPUTE_PGM_RSRC2:TGID_Y_EN: 0
; COMPUTE_PGM_RSRC2:TGID_Z_EN: 0
; COMPUTE_PGM_RSRC2:TIDIG_COMP_CNT: 0
; COMPUTE_PGM_RSRC3_GFX90A:ACCUM_OFFSET: 5
; COMPUTE_PGM_RSRC3_GFX90A:TG_SPLIT: 0
	.section	.text._ZN7rocprim17ROCPRIM_400000_NS6detail17trampoline_kernelINS0_14default_configENS1_27scan_by_key_config_selectorIj11FixedVectorIiLj2EEEEZZNS1_16scan_by_key_implILNS1_25lookback_scan_determinismE0ELb0ES3_N6thrust23THRUST_200600_302600_NS6detail15normal_iteratorINSB_10device_ptrIjEEEENSD_INSE_IS6_EEEESI_S6_NSB_4plusIvEENSB_8equal_toIvEES6_EE10hipError_tPvRmT2_T3_T4_T5_mT6_T7_P12ihipStream_tbENKUlT_T0_E_clISt17integral_constantIbLb1EES13_EEDaSY_SZ_EUlSY_E_NS1_11comp_targetILNS1_3genE0ELNS1_11target_archE4294967295ELNS1_3gpuE0ELNS1_3repE0EEENS1_30default_config_static_selectorELNS0_4arch9wavefront6targetE1EEEvT1_,"axG",@progbits,_ZN7rocprim17ROCPRIM_400000_NS6detail17trampoline_kernelINS0_14default_configENS1_27scan_by_key_config_selectorIj11FixedVectorIiLj2EEEEZZNS1_16scan_by_key_implILNS1_25lookback_scan_determinismE0ELb0ES3_N6thrust23THRUST_200600_302600_NS6detail15normal_iteratorINSB_10device_ptrIjEEEENSD_INSE_IS6_EEEESI_S6_NSB_4plusIvEENSB_8equal_toIvEES6_EE10hipError_tPvRmT2_T3_T4_T5_mT6_T7_P12ihipStream_tbENKUlT_T0_E_clISt17integral_constantIbLb1EES13_EEDaSY_SZ_EUlSY_E_NS1_11comp_targetILNS1_3genE0ELNS1_11target_archE4294967295ELNS1_3gpuE0ELNS1_3repE0EEENS1_30default_config_static_selectorELNS0_4arch9wavefront6targetE1EEEvT1_,comdat
	.protected	_ZN7rocprim17ROCPRIM_400000_NS6detail17trampoline_kernelINS0_14default_configENS1_27scan_by_key_config_selectorIj11FixedVectorIiLj2EEEEZZNS1_16scan_by_key_implILNS1_25lookback_scan_determinismE0ELb0ES3_N6thrust23THRUST_200600_302600_NS6detail15normal_iteratorINSB_10device_ptrIjEEEENSD_INSE_IS6_EEEESI_S6_NSB_4plusIvEENSB_8equal_toIvEES6_EE10hipError_tPvRmT2_T3_T4_T5_mT6_T7_P12ihipStream_tbENKUlT_T0_E_clISt17integral_constantIbLb1EES13_EEDaSY_SZ_EUlSY_E_NS1_11comp_targetILNS1_3genE0ELNS1_11target_archE4294967295ELNS1_3gpuE0ELNS1_3repE0EEENS1_30default_config_static_selectorELNS0_4arch9wavefront6targetE1EEEvT1_ ; -- Begin function _ZN7rocprim17ROCPRIM_400000_NS6detail17trampoline_kernelINS0_14default_configENS1_27scan_by_key_config_selectorIj11FixedVectorIiLj2EEEEZZNS1_16scan_by_key_implILNS1_25lookback_scan_determinismE0ELb0ES3_N6thrust23THRUST_200600_302600_NS6detail15normal_iteratorINSB_10device_ptrIjEEEENSD_INSE_IS6_EEEESI_S6_NSB_4plusIvEENSB_8equal_toIvEES6_EE10hipError_tPvRmT2_T3_T4_T5_mT6_T7_P12ihipStream_tbENKUlT_T0_E_clISt17integral_constantIbLb1EES13_EEDaSY_SZ_EUlSY_E_NS1_11comp_targetILNS1_3genE0ELNS1_11target_archE4294967295ELNS1_3gpuE0ELNS1_3repE0EEENS1_30default_config_static_selectorELNS0_4arch9wavefront6targetE1EEEvT1_
	.globl	_ZN7rocprim17ROCPRIM_400000_NS6detail17trampoline_kernelINS0_14default_configENS1_27scan_by_key_config_selectorIj11FixedVectorIiLj2EEEEZZNS1_16scan_by_key_implILNS1_25lookback_scan_determinismE0ELb0ES3_N6thrust23THRUST_200600_302600_NS6detail15normal_iteratorINSB_10device_ptrIjEEEENSD_INSE_IS6_EEEESI_S6_NSB_4plusIvEENSB_8equal_toIvEES6_EE10hipError_tPvRmT2_T3_T4_T5_mT6_T7_P12ihipStream_tbENKUlT_T0_E_clISt17integral_constantIbLb1EES13_EEDaSY_SZ_EUlSY_E_NS1_11comp_targetILNS1_3genE0ELNS1_11target_archE4294967295ELNS1_3gpuE0ELNS1_3repE0EEENS1_30default_config_static_selectorELNS0_4arch9wavefront6targetE1EEEvT1_
	.p2align	8
	.type	_ZN7rocprim17ROCPRIM_400000_NS6detail17trampoline_kernelINS0_14default_configENS1_27scan_by_key_config_selectorIj11FixedVectorIiLj2EEEEZZNS1_16scan_by_key_implILNS1_25lookback_scan_determinismE0ELb0ES3_N6thrust23THRUST_200600_302600_NS6detail15normal_iteratorINSB_10device_ptrIjEEEENSD_INSE_IS6_EEEESI_S6_NSB_4plusIvEENSB_8equal_toIvEES6_EE10hipError_tPvRmT2_T3_T4_T5_mT6_T7_P12ihipStream_tbENKUlT_T0_E_clISt17integral_constantIbLb1EES13_EEDaSY_SZ_EUlSY_E_NS1_11comp_targetILNS1_3genE0ELNS1_11target_archE4294967295ELNS1_3gpuE0ELNS1_3repE0EEENS1_30default_config_static_selectorELNS0_4arch9wavefront6targetE1EEEvT1_,@function
_ZN7rocprim17ROCPRIM_400000_NS6detail17trampoline_kernelINS0_14default_configENS1_27scan_by_key_config_selectorIj11FixedVectorIiLj2EEEEZZNS1_16scan_by_key_implILNS1_25lookback_scan_determinismE0ELb0ES3_N6thrust23THRUST_200600_302600_NS6detail15normal_iteratorINSB_10device_ptrIjEEEENSD_INSE_IS6_EEEESI_S6_NSB_4plusIvEENSB_8equal_toIvEES6_EE10hipError_tPvRmT2_T3_T4_T5_mT6_T7_P12ihipStream_tbENKUlT_T0_E_clISt17integral_constantIbLb1EES13_EEDaSY_SZ_EUlSY_E_NS1_11comp_targetILNS1_3genE0ELNS1_11target_archE4294967295ELNS1_3gpuE0ELNS1_3repE0EEENS1_30default_config_static_selectorELNS0_4arch9wavefront6targetE1EEEvT1_: ; @_ZN7rocprim17ROCPRIM_400000_NS6detail17trampoline_kernelINS0_14default_configENS1_27scan_by_key_config_selectorIj11FixedVectorIiLj2EEEEZZNS1_16scan_by_key_implILNS1_25lookback_scan_determinismE0ELb0ES3_N6thrust23THRUST_200600_302600_NS6detail15normal_iteratorINSB_10device_ptrIjEEEENSD_INSE_IS6_EEEESI_S6_NSB_4plusIvEENSB_8equal_toIvEES6_EE10hipError_tPvRmT2_T3_T4_T5_mT6_T7_P12ihipStream_tbENKUlT_T0_E_clISt17integral_constantIbLb1EES13_EEDaSY_SZ_EUlSY_E_NS1_11comp_targetILNS1_3genE0ELNS1_11target_archE4294967295ELNS1_3gpuE0ELNS1_3repE0EEENS1_30default_config_static_selectorELNS0_4arch9wavefront6targetE1EEEvT1_
; %bb.0:
	.section	.rodata,"a",@progbits
	.p2align	6, 0x0
	.amdhsa_kernel _ZN7rocprim17ROCPRIM_400000_NS6detail17trampoline_kernelINS0_14default_configENS1_27scan_by_key_config_selectorIj11FixedVectorIiLj2EEEEZZNS1_16scan_by_key_implILNS1_25lookback_scan_determinismE0ELb0ES3_N6thrust23THRUST_200600_302600_NS6detail15normal_iteratorINSB_10device_ptrIjEEEENSD_INSE_IS6_EEEESI_S6_NSB_4plusIvEENSB_8equal_toIvEES6_EE10hipError_tPvRmT2_T3_T4_T5_mT6_T7_P12ihipStream_tbENKUlT_T0_E_clISt17integral_constantIbLb1EES13_EEDaSY_SZ_EUlSY_E_NS1_11comp_targetILNS1_3genE0ELNS1_11target_archE4294967295ELNS1_3gpuE0ELNS1_3repE0EEENS1_30default_config_static_selectorELNS0_4arch9wavefront6targetE1EEEvT1_
		.amdhsa_group_segment_fixed_size 0
		.amdhsa_private_segment_fixed_size 0
		.amdhsa_kernarg_size 120
		.amdhsa_user_sgpr_count 6
		.amdhsa_user_sgpr_private_segment_buffer 1
		.amdhsa_user_sgpr_dispatch_ptr 0
		.amdhsa_user_sgpr_queue_ptr 0
		.amdhsa_user_sgpr_kernarg_segment_ptr 1
		.amdhsa_user_sgpr_dispatch_id 0
		.amdhsa_user_sgpr_flat_scratch_init 0
		.amdhsa_user_sgpr_kernarg_preload_length 0
		.amdhsa_user_sgpr_kernarg_preload_offset 0
		.amdhsa_user_sgpr_private_segment_size 0
		.amdhsa_uses_dynamic_stack 0
		.amdhsa_system_sgpr_private_segment_wavefront_offset 0
		.amdhsa_system_sgpr_workgroup_id_x 1
		.amdhsa_system_sgpr_workgroup_id_y 0
		.amdhsa_system_sgpr_workgroup_id_z 0
		.amdhsa_system_sgpr_workgroup_info 0
		.amdhsa_system_vgpr_workitem_id 0
		.amdhsa_next_free_vgpr 1
		.amdhsa_next_free_sgpr 0
		.amdhsa_accum_offset 4
		.amdhsa_reserve_vcc 0
		.amdhsa_reserve_flat_scratch 0
		.amdhsa_float_round_mode_32 0
		.amdhsa_float_round_mode_16_64 0
		.amdhsa_float_denorm_mode_32 3
		.amdhsa_float_denorm_mode_16_64 3
		.amdhsa_dx10_clamp 1
		.amdhsa_ieee_mode 1
		.amdhsa_fp16_overflow 0
		.amdhsa_tg_split 0
		.amdhsa_exception_fp_ieee_invalid_op 0
		.amdhsa_exception_fp_denorm_src 0
		.amdhsa_exception_fp_ieee_div_zero 0
		.amdhsa_exception_fp_ieee_overflow 0
		.amdhsa_exception_fp_ieee_underflow 0
		.amdhsa_exception_fp_ieee_inexact 0
		.amdhsa_exception_int_div_zero 0
	.end_amdhsa_kernel
	.section	.text._ZN7rocprim17ROCPRIM_400000_NS6detail17trampoline_kernelINS0_14default_configENS1_27scan_by_key_config_selectorIj11FixedVectorIiLj2EEEEZZNS1_16scan_by_key_implILNS1_25lookback_scan_determinismE0ELb0ES3_N6thrust23THRUST_200600_302600_NS6detail15normal_iteratorINSB_10device_ptrIjEEEENSD_INSE_IS6_EEEESI_S6_NSB_4plusIvEENSB_8equal_toIvEES6_EE10hipError_tPvRmT2_T3_T4_T5_mT6_T7_P12ihipStream_tbENKUlT_T0_E_clISt17integral_constantIbLb1EES13_EEDaSY_SZ_EUlSY_E_NS1_11comp_targetILNS1_3genE0ELNS1_11target_archE4294967295ELNS1_3gpuE0ELNS1_3repE0EEENS1_30default_config_static_selectorELNS0_4arch9wavefront6targetE1EEEvT1_,"axG",@progbits,_ZN7rocprim17ROCPRIM_400000_NS6detail17trampoline_kernelINS0_14default_configENS1_27scan_by_key_config_selectorIj11FixedVectorIiLj2EEEEZZNS1_16scan_by_key_implILNS1_25lookback_scan_determinismE0ELb0ES3_N6thrust23THRUST_200600_302600_NS6detail15normal_iteratorINSB_10device_ptrIjEEEENSD_INSE_IS6_EEEESI_S6_NSB_4plusIvEENSB_8equal_toIvEES6_EE10hipError_tPvRmT2_T3_T4_T5_mT6_T7_P12ihipStream_tbENKUlT_T0_E_clISt17integral_constantIbLb1EES13_EEDaSY_SZ_EUlSY_E_NS1_11comp_targetILNS1_3genE0ELNS1_11target_archE4294967295ELNS1_3gpuE0ELNS1_3repE0EEENS1_30default_config_static_selectorELNS0_4arch9wavefront6targetE1EEEvT1_,comdat
.Lfunc_end1962:
	.size	_ZN7rocprim17ROCPRIM_400000_NS6detail17trampoline_kernelINS0_14default_configENS1_27scan_by_key_config_selectorIj11FixedVectorIiLj2EEEEZZNS1_16scan_by_key_implILNS1_25lookback_scan_determinismE0ELb0ES3_N6thrust23THRUST_200600_302600_NS6detail15normal_iteratorINSB_10device_ptrIjEEEENSD_INSE_IS6_EEEESI_S6_NSB_4plusIvEENSB_8equal_toIvEES6_EE10hipError_tPvRmT2_T3_T4_T5_mT6_T7_P12ihipStream_tbENKUlT_T0_E_clISt17integral_constantIbLb1EES13_EEDaSY_SZ_EUlSY_E_NS1_11comp_targetILNS1_3genE0ELNS1_11target_archE4294967295ELNS1_3gpuE0ELNS1_3repE0EEENS1_30default_config_static_selectorELNS0_4arch9wavefront6targetE1EEEvT1_, .Lfunc_end1962-_ZN7rocprim17ROCPRIM_400000_NS6detail17trampoline_kernelINS0_14default_configENS1_27scan_by_key_config_selectorIj11FixedVectorIiLj2EEEEZZNS1_16scan_by_key_implILNS1_25lookback_scan_determinismE0ELb0ES3_N6thrust23THRUST_200600_302600_NS6detail15normal_iteratorINSB_10device_ptrIjEEEENSD_INSE_IS6_EEEESI_S6_NSB_4plusIvEENSB_8equal_toIvEES6_EE10hipError_tPvRmT2_T3_T4_T5_mT6_T7_P12ihipStream_tbENKUlT_T0_E_clISt17integral_constantIbLb1EES13_EEDaSY_SZ_EUlSY_E_NS1_11comp_targetILNS1_3genE0ELNS1_11target_archE4294967295ELNS1_3gpuE0ELNS1_3repE0EEENS1_30default_config_static_selectorELNS0_4arch9wavefront6targetE1EEEvT1_
                                        ; -- End function
	.section	.AMDGPU.csdata,"",@progbits
; Kernel info:
; codeLenInByte = 0
; NumSgprs: 4
; NumVgprs: 0
; NumAgprs: 0
; TotalNumVgprs: 0
; ScratchSize: 0
; MemoryBound: 0
; FloatMode: 240
; IeeeMode: 1
; LDSByteSize: 0 bytes/workgroup (compile time only)
; SGPRBlocks: 0
; VGPRBlocks: 0
; NumSGPRsForWavesPerEU: 4
; NumVGPRsForWavesPerEU: 1
; AccumOffset: 4
; Occupancy: 8
; WaveLimiterHint : 0
; COMPUTE_PGM_RSRC2:SCRATCH_EN: 0
; COMPUTE_PGM_RSRC2:USER_SGPR: 6
; COMPUTE_PGM_RSRC2:TRAP_HANDLER: 0
; COMPUTE_PGM_RSRC2:TGID_X_EN: 1
; COMPUTE_PGM_RSRC2:TGID_Y_EN: 0
; COMPUTE_PGM_RSRC2:TGID_Z_EN: 0
; COMPUTE_PGM_RSRC2:TIDIG_COMP_CNT: 0
; COMPUTE_PGM_RSRC3_GFX90A:ACCUM_OFFSET: 0
; COMPUTE_PGM_RSRC3_GFX90A:TG_SPLIT: 0
	.section	.text._ZN7rocprim17ROCPRIM_400000_NS6detail17trampoline_kernelINS0_14default_configENS1_27scan_by_key_config_selectorIj11FixedVectorIiLj2EEEEZZNS1_16scan_by_key_implILNS1_25lookback_scan_determinismE0ELb0ES3_N6thrust23THRUST_200600_302600_NS6detail15normal_iteratorINSB_10device_ptrIjEEEENSD_INSE_IS6_EEEESI_S6_NSB_4plusIvEENSB_8equal_toIvEES6_EE10hipError_tPvRmT2_T3_T4_T5_mT6_T7_P12ihipStream_tbENKUlT_T0_E_clISt17integral_constantIbLb1EES13_EEDaSY_SZ_EUlSY_E_NS1_11comp_targetILNS1_3genE10ELNS1_11target_archE1201ELNS1_3gpuE5ELNS1_3repE0EEENS1_30default_config_static_selectorELNS0_4arch9wavefront6targetE1EEEvT1_,"axG",@progbits,_ZN7rocprim17ROCPRIM_400000_NS6detail17trampoline_kernelINS0_14default_configENS1_27scan_by_key_config_selectorIj11FixedVectorIiLj2EEEEZZNS1_16scan_by_key_implILNS1_25lookback_scan_determinismE0ELb0ES3_N6thrust23THRUST_200600_302600_NS6detail15normal_iteratorINSB_10device_ptrIjEEEENSD_INSE_IS6_EEEESI_S6_NSB_4plusIvEENSB_8equal_toIvEES6_EE10hipError_tPvRmT2_T3_T4_T5_mT6_T7_P12ihipStream_tbENKUlT_T0_E_clISt17integral_constantIbLb1EES13_EEDaSY_SZ_EUlSY_E_NS1_11comp_targetILNS1_3genE10ELNS1_11target_archE1201ELNS1_3gpuE5ELNS1_3repE0EEENS1_30default_config_static_selectorELNS0_4arch9wavefront6targetE1EEEvT1_,comdat
	.protected	_ZN7rocprim17ROCPRIM_400000_NS6detail17trampoline_kernelINS0_14default_configENS1_27scan_by_key_config_selectorIj11FixedVectorIiLj2EEEEZZNS1_16scan_by_key_implILNS1_25lookback_scan_determinismE0ELb0ES3_N6thrust23THRUST_200600_302600_NS6detail15normal_iteratorINSB_10device_ptrIjEEEENSD_INSE_IS6_EEEESI_S6_NSB_4plusIvEENSB_8equal_toIvEES6_EE10hipError_tPvRmT2_T3_T4_T5_mT6_T7_P12ihipStream_tbENKUlT_T0_E_clISt17integral_constantIbLb1EES13_EEDaSY_SZ_EUlSY_E_NS1_11comp_targetILNS1_3genE10ELNS1_11target_archE1201ELNS1_3gpuE5ELNS1_3repE0EEENS1_30default_config_static_selectorELNS0_4arch9wavefront6targetE1EEEvT1_ ; -- Begin function _ZN7rocprim17ROCPRIM_400000_NS6detail17trampoline_kernelINS0_14default_configENS1_27scan_by_key_config_selectorIj11FixedVectorIiLj2EEEEZZNS1_16scan_by_key_implILNS1_25lookback_scan_determinismE0ELb0ES3_N6thrust23THRUST_200600_302600_NS6detail15normal_iteratorINSB_10device_ptrIjEEEENSD_INSE_IS6_EEEESI_S6_NSB_4plusIvEENSB_8equal_toIvEES6_EE10hipError_tPvRmT2_T3_T4_T5_mT6_T7_P12ihipStream_tbENKUlT_T0_E_clISt17integral_constantIbLb1EES13_EEDaSY_SZ_EUlSY_E_NS1_11comp_targetILNS1_3genE10ELNS1_11target_archE1201ELNS1_3gpuE5ELNS1_3repE0EEENS1_30default_config_static_selectorELNS0_4arch9wavefront6targetE1EEEvT1_
	.globl	_ZN7rocprim17ROCPRIM_400000_NS6detail17trampoline_kernelINS0_14default_configENS1_27scan_by_key_config_selectorIj11FixedVectorIiLj2EEEEZZNS1_16scan_by_key_implILNS1_25lookback_scan_determinismE0ELb0ES3_N6thrust23THRUST_200600_302600_NS6detail15normal_iteratorINSB_10device_ptrIjEEEENSD_INSE_IS6_EEEESI_S6_NSB_4plusIvEENSB_8equal_toIvEES6_EE10hipError_tPvRmT2_T3_T4_T5_mT6_T7_P12ihipStream_tbENKUlT_T0_E_clISt17integral_constantIbLb1EES13_EEDaSY_SZ_EUlSY_E_NS1_11comp_targetILNS1_3genE10ELNS1_11target_archE1201ELNS1_3gpuE5ELNS1_3repE0EEENS1_30default_config_static_selectorELNS0_4arch9wavefront6targetE1EEEvT1_
	.p2align	8
	.type	_ZN7rocprim17ROCPRIM_400000_NS6detail17trampoline_kernelINS0_14default_configENS1_27scan_by_key_config_selectorIj11FixedVectorIiLj2EEEEZZNS1_16scan_by_key_implILNS1_25lookback_scan_determinismE0ELb0ES3_N6thrust23THRUST_200600_302600_NS6detail15normal_iteratorINSB_10device_ptrIjEEEENSD_INSE_IS6_EEEESI_S6_NSB_4plusIvEENSB_8equal_toIvEES6_EE10hipError_tPvRmT2_T3_T4_T5_mT6_T7_P12ihipStream_tbENKUlT_T0_E_clISt17integral_constantIbLb1EES13_EEDaSY_SZ_EUlSY_E_NS1_11comp_targetILNS1_3genE10ELNS1_11target_archE1201ELNS1_3gpuE5ELNS1_3repE0EEENS1_30default_config_static_selectorELNS0_4arch9wavefront6targetE1EEEvT1_,@function
_ZN7rocprim17ROCPRIM_400000_NS6detail17trampoline_kernelINS0_14default_configENS1_27scan_by_key_config_selectorIj11FixedVectorIiLj2EEEEZZNS1_16scan_by_key_implILNS1_25lookback_scan_determinismE0ELb0ES3_N6thrust23THRUST_200600_302600_NS6detail15normal_iteratorINSB_10device_ptrIjEEEENSD_INSE_IS6_EEEESI_S6_NSB_4plusIvEENSB_8equal_toIvEES6_EE10hipError_tPvRmT2_T3_T4_T5_mT6_T7_P12ihipStream_tbENKUlT_T0_E_clISt17integral_constantIbLb1EES13_EEDaSY_SZ_EUlSY_E_NS1_11comp_targetILNS1_3genE10ELNS1_11target_archE1201ELNS1_3gpuE5ELNS1_3repE0EEENS1_30default_config_static_selectorELNS0_4arch9wavefront6targetE1EEEvT1_: ; @_ZN7rocprim17ROCPRIM_400000_NS6detail17trampoline_kernelINS0_14default_configENS1_27scan_by_key_config_selectorIj11FixedVectorIiLj2EEEEZZNS1_16scan_by_key_implILNS1_25lookback_scan_determinismE0ELb0ES3_N6thrust23THRUST_200600_302600_NS6detail15normal_iteratorINSB_10device_ptrIjEEEENSD_INSE_IS6_EEEESI_S6_NSB_4plusIvEENSB_8equal_toIvEES6_EE10hipError_tPvRmT2_T3_T4_T5_mT6_T7_P12ihipStream_tbENKUlT_T0_E_clISt17integral_constantIbLb1EES13_EEDaSY_SZ_EUlSY_E_NS1_11comp_targetILNS1_3genE10ELNS1_11target_archE1201ELNS1_3gpuE5ELNS1_3repE0EEENS1_30default_config_static_selectorELNS0_4arch9wavefront6targetE1EEEvT1_
; %bb.0:
	.section	.rodata,"a",@progbits
	.p2align	6, 0x0
	.amdhsa_kernel _ZN7rocprim17ROCPRIM_400000_NS6detail17trampoline_kernelINS0_14default_configENS1_27scan_by_key_config_selectorIj11FixedVectorIiLj2EEEEZZNS1_16scan_by_key_implILNS1_25lookback_scan_determinismE0ELb0ES3_N6thrust23THRUST_200600_302600_NS6detail15normal_iteratorINSB_10device_ptrIjEEEENSD_INSE_IS6_EEEESI_S6_NSB_4plusIvEENSB_8equal_toIvEES6_EE10hipError_tPvRmT2_T3_T4_T5_mT6_T7_P12ihipStream_tbENKUlT_T0_E_clISt17integral_constantIbLb1EES13_EEDaSY_SZ_EUlSY_E_NS1_11comp_targetILNS1_3genE10ELNS1_11target_archE1201ELNS1_3gpuE5ELNS1_3repE0EEENS1_30default_config_static_selectorELNS0_4arch9wavefront6targetE1EEEvT1_
		.amdhsa_group_segment_fixed_size 0
		.amdhsa_private_segment_fixed_size 0
		.amdhsa_kernarg_size 120
		.amdhsa_user_sgpr_count 6
		.amdhsa_user_sgpr_private_segment_buffer 1
		.amdhsa_user_sgpr_dispatch_ptr 0
		.amdhsa_user_sgpr_queue_ptr 0
		.amdhsa_user_sgpr_kernarg_segment_ptr 1
		.amdhsa_user_sgpr_dispatch_id 0
		.amdhsa_user_sgpr_flat_scratch_init 0
		.amdhsa_user_sgpr_kernarg_preload_length 0
		.amdhsa_user_sgpr_kernarg_preload_offset 0
		.amdhsa_user_sgpr_private_segment_size 0
		.amdhsa_uses_dynamic_stack 0
		.amdhsa_system_sgpr_private_segment_wavefront_offset 0
		.amdhsa_system_sgpr_workgroup_id_x 1
		.amdhsa_system_sgpr_workgroup_id_y 0
		.amdhsa_system_sgpr_workgroup_id_z 0
		.amdhsa_system_sgpr_workgroup_info 0
		.amdhsa_system_vgpr_workitem_id 0
		.amdhsa_next_free_vgpr 1
		.amdhsa_next_free_sgpr 0
		.amdhsa_accum_offset 4
		.amdhsa_reserve_vcc 0
		.amdhsa_reserve_flat_scratch 0
		.amdhsa_float_round_mode_32 0
		.amdhsa_float_round_mode_16_64 0
		.amdhsa_float_denorm_mode_32 3
		.amdhsa_float_denorm_mode_16_64 3
		.amdhsa_dx10_clamp 1
		.amdhsa_ieee_mode 1
		.amdhsa_fp16_overflow 0
		.amdhsa_tg_split 0
		.amdhsa_exception_fp_ieee_invalid_op 0
		.amdhsa_exception_fp_denorm_src 0
		.amdhsa_exception_fp_ieee_div_zero 0
		.amdhsa_exception_fp_ieee_overflow 0
		.amdhsa_exception_fp_ieee_underflow 0
		.amdhsa_exception_fp_ieee_inexact 0
		.amdhsa_exception_int_div_zero 0
	.end_amdhsa_kernel
	.section	.text._ZN7rocprim17ROCPRIM_400000_NS6detail17trampoline_kernelINS0_14default_configENS1_27scan_by_key_config_selectorIj11FixedVectorIiLj2EEEEZZNS1_16scan_by_key_implILNS1_25lookback_scan_determinismE0ELb0ES3_N6thrust23THRUST_200600_302600_NS6detail15normal_iteratorINSB_10device_ptrIjEEEENSD_INSE_IS6_EEEESI_S6_NSB_4plusIvEENSB_8equal_toIvEES6_EE10hipError_tPvRmT2_T3_T4_T5_mT6_T7_P12ihipStream_tbENKUlT_T0_E_clISt17integral_constantIbLb1EES13_EEDaSY_SZ_EUlSY_E_NS1_11comp_targetILNS1_3genE10ELNS1_11target_archE1201ELNS1_3gpuE5ELNS1_3repE0EEENS1_30default_config_static_selectorELNS0_4arch9wavefront6targetE1EEEvT1_,"axG",@progbits,_ZN7rocprim17ROCPRIM_400000_NS6detail17trampoline_kernelINS0_14default_configENS1_27scan_by_key_config_selectorIj11FixedVectorIiLj2EEEEZZNS1_16scan_by_key_implILNS1_25lookback_scan_determinismE0ELb0ES3_N6thrust23THRUST_200600_302600_NS6detail15normal_iteratorINSB_10device_ptrIjEEEENSD_INSE_IS6_EEEESI_S6_NSB_4plusIvEENSB_8equal_toIvEES6_EE10hipError_tPvRmT2_T3_T4_T5_mT6_T7_P12ihipStream_tbENKUlT_T0_E_clISt17integral_constantIbLb1EES13_EEDaSY_SZ_EUlSY_E_NS1_11comp_targetILNS1_3genE10ELNS1_11target_archE1201ELNS1_3gpuE5ELNS1_3repE0EEENS1_30default_config_static_selectorELNS0_4arch9wavefront6targetE1EEEvT1_,comdat
.Lfunc_end1963:
	.size	_ZN7rocprim17ROCPRIM_400000_NS6detail17trampoline_kernelINS0_14default_configENS1_27scan_by_key_config_selectorIj11FixedVectorIiLj2EEEEZZNS1_16scan_by_key_implILNS1_25lookback_scan_determinismE0ELb0ES3_N6thrust23THRUST_200600_302600_NS6detail15normal_iteratorINSB_10device_ptrIjEEEENSD_INSE_IS6_EEEESI_S6_NSB_4plusIvEENSB_8equal_toIvEES6_EE10hipError_tPvRmT2_T3_T4_T5_mT6_T7_P12ihipStream_tbENKUlT_T0_E_clISt17integral_constantIbLb1EES13_EEDaSY_SZ_EUlSY_E_NS1_11comp_targetILNS1_3genE10ELNS1_11target_archE1201ELNS1_3gpuE5ELNS1_3repE0EEENS1_30default_config_static_selectorELNS0_4arch9wavefront6targetE1EEEvT1_, .Lfunc_end1963-_ZN7rocprim17ROCPRIM_400000_NS6detail17trampoline_kernelINS0_14default_configENS1_27scan_by_key_config_selectorIj11FixedVectorIiLj2EEEEZZNS1_16scan_by_key_implILNS1_25lookback_scan_determinismE0ELb0ES3_N6thrust23THRUST_200600_302600_NS6detail15normal_iteratorINSB_10device_ptrIjEEEENSD_INSE_IS6_EEEESI_S6_NSB_4plusIvEENSB_8equal_toIvEES6_EE10hipError_tPvRmT2_T3_T4_T5_mT6_T7_P12ihipStream_tbENKUlT_T0_E_clISt17integral_constantIbLb1EES13_EEDaSY_SZ_EUlSY_E_NS1_11comp_targetILNS1_3genE10ELNS1_11target_archE1201ELNS1_3gpuE5ELNS1_3repE0EEENS1_30default_config_static_selectorELNS0_4arch9wavefront6targetE1EEEvT1_
                                        ; -- End function
	.section	.AMDGPU.csdata,"",@progbits
; Kernel info:
; codeLenInByte = 0
; NumSgprs: 4
; NumVgprs: 0
; NumAgprs: 0
; TotalNumVgprs: 0
; ScratchSize: 0
; MemoryBound: 0
; FloatMode: 240
; IeeeMode: 1
; LDSByteSize: 0 bytes/workgroup (compile time only)
; SGPRBlocks: 0
; VGPRBlocks: 0
; NumSGPRsForWavesPerEU: 4
; NumVGPRsForWavesPerEU: 1
; AccumOffset: 4
; Occupancy: 8
; WaveLimiterHint : 0
; COMPUTE_PGM_RSRC2:SCRATCH_EN: 0
; COMPUTE_PGM_RSRC2:USER_SGPR: 6
; COMPUTE_PGM_RSRC2:TRAP_HANDLER: 0
; COMPUTE_PGM_RSRC2:TGID_X_EN: 1
; COMPUTE_PGM_RSRC2:TGID_Y_EN: 0
; COMPUTE_PGM_RSRC2:TGID_Z_EN: 0
; COMPUTE_PGM_RSRC2:TIDIG_COMP_CNT: 0
; COMPUTE_PGM_RSRC3_GFX90A:ACCUM_OFFSET: 0
; COMPUTE_PGM_RSRC3_GFX90A:TG_SPLIT: 0
	.section	.text._ZN7rocprim17ROCPRIM_400000_NS6detail17trampoline_kernelINS0_14default_configENS1_27scan_by_key_config_selectorIj11FixedVectorIiLj2EEEEZZNS1_16scan_by_key_implILNS1_25lookback_scan_determinismE0ELb0ES3_N6thrust23THRUST_200600_302600_NS6detail15normal_iteratorINSB_10device_ptrIjEEEENSD_INSE_IS6_EEEESI_S6_NSB_4plusIvEENSB_8equal_toIvEES6_EE10hipError_tPvRmT2_T3_T4_T5_mT6_T7_P12ihipStream_tbENKUlT_T0_E_clISt17integral_constantIbLb1EES13_EEDaSY_SZ_EUlSY_E_NS1_11comp_targetILNS1_3genE5ELNS1_11target_archE942ELNS1_3gpuE9ELNS1_3repE0EEENS1_30default_config_static_selectorELNS0_4arch9wavefront6targetE1EEEvT1_,"axG",@progbits,_ZN7rocprim17ROCPRIM_400000_NS6detail17trampoline_kernelINS0_14default_configENS1_27scan_by_key_config_selectorIj11FixedVectorIiLj2EEEEZZNS1_16scan_by_key_implILNS1_25lookback_scan_determinismE0ELb0ES3_N6thrust23THRUST_200600_302600_NS6detail15normal_iteratorINSB_10device_ptrIjEEEENSD_INSE_IS6_EEEESI_S6_NSB_4plusIvEENSB_8equal_toIvEES6_EE10hipError_tPvRmT2_T3_T4_T5_mT6_T7_P12ihipStream_tbENKUlT_T0_E_clISt17integral_constantIbLb1EES13_EEDaSY_SZ_EUlSY_E_NS1_11comp_targetILNS1_3genE5ELNS1_11target_archE942ELNS1_3gpuE9ELNS1_3repE0EEENS1_30default_config_static_selectorELNS0_4arch9wavefront6targetE1EEEvT1_,comdat
	.protected	_ZN7rocprim17ROCPRIM_400000_NS6detail17trampoline_kernelINS0_14default_configENS1_27scan_by_key_config_selectorIj11FixedVectorIiLj2EEEEZZNS1_16scan_by_key_implILNS1_25lookback_scan_determinismE0ELb0ES3_N6thrust23THRUST_200600_302600_NS6detail15normal_iteratorINSB_10device_ptrIjEEEENSD_INSE_IS6_EEEESI_S6_NSB_4plusIvEENSB_8equal_toIvEES6_EE10hipError_tPvRmT2_T3_T4_T5_mT6_T7_P12ihipStream_tbENKUlT_T0_E_clISt17integral_constantIbLb1EES13_EEDaSY_SZ_EUlSY_E_NS1_11comp_targetILNS1_3genE5ELNS1_11target_archE942ELNS1_3gpuE9ELNS1_3repE0EEENS1_30default_config_static_selectorELNS0_4arch9wavefront6targetE1EEEvT1_ ; -- Begin function _ZN7rocprim17ROCPRIM_400000_NS6detail17trampoline_kernelINS0_14default_configENS1_27scan_by_key_config_selectorIj11FixedVectorIiLj2EEEEZZNS1_16scan_by_key_implILNS1_25lookback_scan_determinismE0ELb0ES3_N6thrust23THRUST_200600_302600_NS6detail15normal_iteratorINSB_10device_ptrIjEEEENSD_INSE_IS6_EEEESI_S6_NSB_4plusIvEENSB_8equal_toIvEES6_EE10hipError_tPvRmT2_T3_T4_T5_mT6_T7_P12ihipStream_tbENKUlT_T0_E_clISt17integral_constantIbLb1EES13_EEDaSY_SZ_EUlSY_E_NS1_11comp_targetILNS1_3genE5ELNS1_11target_archE942ELNS1_3gpuE9ELNS1_3repE0EEENS1_30default_config_static_selectorELNS0_4arch9wavefront6targetE1EEEvT1_
	.globl	_ZN7rocprim17ROCPRIM_400000_NS6detail17trampoline_kernelINS0_14default_configENS1_27scan_by_key_config_selectorIj11FixedVectorIiLj2EEEEZZNS1_16scan_by_key_implILNS1_25lookback_scan_determinismE0ELb0ES3_N6thrust23THRUST_200600_302600_NS6detail15normal_iteratorINSB_10device_ptrIjEEEENSD_INSE_IS6_EEEESI_S6_NSB_4plusIvEENSB_8equal_toIvEES6_EE10hipError_tPvRmT2_T3_T4_T5_mT6_T7_P12ihipStream_tbENKUlT_T0_E_clISt17integral_constantIbLb1EES13_EEDaSY_SZ_EUlSY_E_NS1_11comp_targetILNS1_3genE5ELNS1_11target_archE942ELNS1_3gpuE9ELNS1_3repE0EEENS1_30default_config_static_selectorELNS0_4arch9wavefront6targetE1EEEvT1_
	.p2align	8
	.type	_ZN7rocprim17ROCPRIM_400000_NS6detail17trampoline_kernelINS0_14default_configENS1_27scan_by_key_config_selectorIj11FixedVectorIiLj2EEEEZZNS1_16scan_by_key_implILNS1_25lookback_scan_determinismE0ELb0ES3_N6thrust23THRUST_200600_302600_NS6detail15normal_iteratorINSB_10device_ptrIjEEEENSD_INSE_IS6_EEEESI_S6_NSB_4plusIvEENSB_8equal_toIvEES6_EE10hipError_tPvRmT2_T3_T4_T5_mT6_T7_P12ihipStream_tbENKUlT_T0_E_clISt17integral_constantIbLb1EES13_EEDaSY_SZ_EUlSY_E_NS1_11comp_targetILNS1_3genE5ELNS1_11target_archE942ELNS1_3gpuE9ELNS1_3repE0EEENS1_30default_config_static_selectorELNS0_4arch9wavefront6targetE1EEEvT1_,@function
_ZN7rocprim17ROCPRIM_400000_NS6detail17trampoline_kernelINS0_14default_configENS1_27scan_by_key_config_selectorIj11FixedVectorIiLj2EEEEZZNS1_16scan_by_key_implILNS1_25lookback_scan_determinismE0ELb0ES3_N6thrust23THRUST_200600_302600_NS6detail15normal_iteratorINSB_10device_ptrIjEEEENSD_INSE_IS6_EEEESI_S6_NSB_4plusIvEENSB_8equal_toIvEES6_EE10hipError_tPvRmT2_T3_T4_T5_mT6_T7_P12ihipStream_tbENKUlT_T0_E_clISt17integral_constantIbLb1EES13_EEDaSY_SZ_EUlSY_E_NS1_11comp_targetILNS1_3genE5ELNS1_11target_archE942ELNS1_3gpuE9ELNS1_3repE0EEENS1_30default_config_static_selectorELNS0_4arch9wavefront6targetE1EEEvT1_: ; @_ZN7rocprim17ROCPRIM_400000_NS6detail17trampoline_kernelINS0_14default_configENS1_27scan_by_key_config_selectorIj11FixedVectorIiLj2EEEEZZNS1_16scan_by_key_implILNS1_25lookback_scan_determinismE0ELb0ES3_N6thrust23THRUST_200600_302600_NS6detail15normal_iteratorINSB_10device_ptrIjEEEENSD_INSE_IS6_EEEESI_S6_NSB_4plusIvEENSB_8equal_toIvEES6_EE10hipError_tPvRmT2_T3_T4_T5_mT6_T7_P12ihipStream_tbENKUlT_T0_E_clISt17integral_constantIbLb1EES13_EEDaSY_SZ_EUlSY_E_NS1_11comp_targetILNS1_3genE5ELNS1_11target_archE942ELNS1_3gpuE9ELNS1_3repE0EEENS1_30default_config_static_selectorELNS0_4arch9wavefront6targetE1EEEvT1_
; %bb.0:
	.section	.rodata,"a",@progbits
	.p2align	6, 0x0
	.amdhsa_kernel _ZN7rocprim17ROCPRIM_400000_NS6detail17trampoline_kernelINS0_14default_configENS1_27scan_by_key_config_selectorIj11FixedVectorIiLj2EEEEZZNS1_16scan_by_key_implILNS1_25lookback_scan_determinismE0ELb0ES3_N6thrust23THRUST_200600_302600_NS6detail15normal_iteratorINSB_10device_ptrIjEEEENSD_INSE_IS6_EEEESI_S6_NSB_4plusIvEENSB_8equal_toIvEES6_EE10hipError_tPvRmT2_T3_T4_T5_mT6_T7_P12ihipStream_tbENKUlT_T0_E_clISt17integral_constantIbLb1EES13_EEDaSY_SZ_EUlSY_E_NS1_11comp_targetILNS1_3genE5ELNS1_11target_archE942ELNS1_3gpuE9ELNS1_3repE0EEENS1_30default_config_static_selectorELNS0_4arch9wavefront6targetE1EEEvT1_
		.amdhsa_group_segment_fixed_size 0
		.amdhsa_private_segment_fixed_size 0
		.amdhsa_kernarg_size 120
		.amdhsa_user_sgpr_count 6
		.amdhsa_user_sgpr_private_segment_buffer 1
		.amdhsa_user_sgpr_dispatch_ptr 0
		.amdhsa_user_sgpr_queue_ptr 0
		.amdhsa_user_sgpr_kernarg_segment_ptr 1
		.amdhsa_user_sgpr_dispatch_id 0
		.amdhsa_user_sgpr_flat_scratch_init 0
		.amdhsa_user_sgpr_kernarg_preload_length 0
		.amdhsa_user_sgpr_kernarg_preload_offset 0
		.amdhsa_user_sgpr_private_segment_size 0
		.amdhsa_uses_dynamic_stack 0
		.amdhsa_system_sgpr_private_segment_wavefront_offset 0
		.amdhsa_system_sgpr_workgroup_id_x 1
		.amdhsa_system_sgpr_workgroup_id_y 0
		.amdhsa_system_sgpr_workgroup_id_z 0
		.amdhsa_system_sgpr_workgroup_info 0
		.amdhsa_system_vgpr_workitem_id 0
		.amdhsa_next_free_vgpr 1
		.amdhsa_next_free_sgpr 0
		.amdhsa_accum_offset 4
		.amdhsa_reserve_vcc 0
		.amdhsa_reserve_flat_scratch 0
		.amdhsa_float_round_mode_32 0
		.amdhsa_float_round_mode_16_64 0
		.amdhsa_float_denorm_mode_32 3
		.amdhsa_float_denorm_mode_16_64 3
		.amdhsa_dx10_clamp 1
		.amdhsa_ieee_mode 1
		.amdhsa_fp16_overflow 0
		.amdhsa_tg_split 0
		.amdhsa_exception_fp_ieee_invalid_op 0
		.amdhsa_exception_fp_denorm_src 0
		.amdhsa_exception_fp_ieee_div_zero 0
		.amdhsa_exception_fp_ieee_overflow 0
		.amdhsa_exception_fp_ieee_underflow 0
		.amdhsa_exception_fp_ieee_inexact 0
		.amdhsa_exception_int_div_zero 0
	.end_amdhsa_kernel
	.section	.text._ZN7rocprim17ROCPRIM_400000_NS6detail17trampoline_kernelINS0_14default_configENS1_27scan_by_key_config_selectorIj11FixedVectorIiLj2EEEEZZNS1_16scan_by_key_implILNS1_25lookback_scan_determinismE0ELb0ES3_N6thrust23THRUST_200600_302600_NS6detail15normal_iteratorINSB_10device_ptrIjEEEENSD_INSE_IS6_EEEESI_S6_NSB_4plusIvEENSB_8equal_toIvEES6_EE10hipError_tPvRmT2_T3_T4_T5_mT6_T7_P12ihipStream_tbENKUlT_T0_E_clISt17integral_constantIbLb1EES13_EEDaSY_SZ_EUlSY_E_NS1_11comp_targetILNS1_3genE5ELNS1_11target_archE942ELNS1_3gpuE9ELNS1_3repE0EEENS1_30default_config_static_selectorELNS0_4arch9wavefront6targetE1EEEvT1_,"axG",@progbits,_ZN7rocprim17ROCPRIM_400000_NS6detail17trampoline_kernelINS0_14default_configENS1_27scan_by_key_config_selectorIj11FixedVectorIiLj2EEEEZZNS1_16scan_by_key_implILNS1_25lookback_scan_determinismE0ELb0ES3_N6thrust23THRUST_200600_302600_NS6detail15normal_iteratorINSB_10device_ptrIjEEEENSD_INSE_IS6_EEEESI_S6_NSB_4plusIvEENSB_8equal_toIvEES6_EE10hipError_tPvRmT2_T3_T4_T5_mT6_T7_P12ihipStream_tbENKUlT_T0_E_clISt17integral_constantIbLb1EES13_EEDaSY_SZ_EUlSY_E_NS1_11comp_targetILNS1_3genE5ELNS1_11target_archE942ELNS1_3gpuE9ELNS1_3repE0EEENS1_30default_config_static_selectorELNS0_4arch9wavefront6targetE1EEEvT1_,comdat
.Lfunc_end1964:
	.size	_ZN7rocprim17ROCPRIM_400000_NS6detail17trampoline_kernelINS0_14default_configENS1_27scan_by_key_config_selectorIj11FixedVectorIiLj2EEEEZZNS1_16scan_by_key_implILNS1_25lookback_scan_determinismE0ELb0ES3_N6thrust23THRUST_200600_302600_NS6detail15normal_iteratorINSB_10device_ptrIjEEEENSD_INSE_IS6_EEEESI_S6_NSB_4plusIvEENSB_8equal_toIvEES6_EE10hipError_tPvRmT2_T3_T4_T5_mT6_T7_P12ihipStream_tbENKUlT_T0_E_clISt17integral_constantIbLb1EES13_EEDaSY_SZ_EUlSY_E_NS1_11comp_targetILNS1_3genE5ELNS1_11target_archE942ELNS1_3gpuE9ELNS1_3repE0EEENS1_30default_config_static_selectorELNS0_4arch9wavefront6targetE1EEEvT1_, .Lfunc_end1964-_ZN7rocprim17ROCPRIM_400000_NS6detail17trampoline_kernelINS0_14default_configENS1_27scan_by_key_config_selectorIj11FixedVectorIiLj2EEEEZZNS1_16scan_by_key_implILNS1_25lookback_scan_determinismE0ELb0ES3_N6thrust23THRUST_200600_302600_NS6detail15normal_iteratorINSB_10device_ptrIjEEEENSD_INSE_IS6_EEEESI_S6_NSB_4plusIvEENSB_8equal_toIvEES6_EE10hipError_tPvRmT2_T3_T4_T5_mT6_T7_P12ihipStream_tbENKUlT_T0_E_clISt17integral_constantIbLb1EES13_EEDaSY_SZ_EUlSY_E_NS1_11comp_targetILNS1_3genE5ELNS1_11target_archE942ELNS1_3gpuE9ELNS1_3repE0EEENS1_30default_config_static_selectorELNS0_4arch9wavefront6targetE1EEEvT1_
                                        ; -- End function
	.section	.AMDGPU.csdata,"",@progbits
; Kernel info:
; codeLenInByte = 0
; NumSgprs: 4
; NumVgprs: 0
; NumAgprs: 0
; TotalNumVgprs: 0
; ScratchSize: 0
; MemoryBound: 0
; FloatMode: 240
; IeeeMode: 1
; LDSByteSize: 0 bytes/workgroup (compile time only)
; SGPRBlocks: 0
; VGPRBlocks: 0
; NumSGPRsForWavesPerEU: 4
; NumVGPRsForWavesPerEU: 1
; AccumOffset: 4
; Occupancy: 8
; WaveLimiterHint : 0
; COMPUTE_PGM_RSRC2:SCRATCH_EN: 0
; COMPUTE_PGM_RSRC2:USER_SGPR: 6
; COMPUTE_PGM_RSRC2:TRAP_HANDLER: 0
; COMPUTE_PGM_RSRC2:TGID_X_EN: 1
; COMPUTE_PGM_RSRC2:TGID_Y_EN: 0
; COMPUTE_PGM_RSRC2:TGID_Z_EN: 0
; COMPUTE_PGM_RSRC2:TIDIG_COMP_CNT: 0
; COMPUTE_PGM_RSRC3_GFX90A:ACCUM_OFFSET: 0
; COMPUTE_PGM_RSRC3_GFX90A:TG_SPLIT: 0
	.section	.text._ZN7rocprim17ROCPRIM_400000_NS6detail17trampoline_kernelINS0_14default_configENS1_27scan_by_key_config_selectorIj11FixedVectorIiLj2EEEEZZNS1_16scan_by_key_implILNS1_25lookback_scan_determinismE0ELb0ES3_N6thrust23THRUST_200600_302600_NS6detail15normal_iteratorINSB_10device_ptrIjEEEENSD_INSE_IS6_EEEESI_S6_NSB_4plusIvEENSB_8equal_toIvEES6_EE10hipError_tPvRmT2_T3_T4_T5_mT6_T7_P12ihipStream_tbENKUlT_T0_E_clISt17integral_constantIbLb1EES13_EEDaSY_SZ_EUlSY_E_NS1_11comp_targetILNS1_3genE4ELNS1_11target_archE910ELNS1_3gpuE8ELNS1_3repE0EEENS1_30default_config_static_selectorELNS0_4arch9wavefront6targetE1EEEvT1_,"axG",@progbits,_ZN7rocprim17ROCPRIM_400000_NS6detail17trampoline_kernelINS0_14default_configENS1_27scan_by_key_config_selectorIj11FixedVectorIiLj2EEEEZZNS1_16scan_by_key_implILNS1_25lookback_scan_determinismE0ELb0ES3_N6thrust23THRUST_200600_302600_NS6detail15normal_iteratorINSB_10device_ptrIjEEEENSD_INSE_IS6_EEEESI_S6_NSB_4plusIvEENSB_8equal_toIvEES6_EE10hipError_tPvRmT2_T3_T4_T5_mT6_T7_P12ihipStream_tbENKUlT_T0_E_clISt17integral_constantIbLb1EES13_EEDaSY_SZ_EUlSY_E_NS1_11comp_targetILNS1_3genE4ELNS1_11target_archE910ELNS1_3gpuE8ELNS1_3repE0EEENS1_30default_config_static_selectorELNS0_4arch9wavefront6targetE1EEEvT1_,comdat
	.protected	_ZN7rocprim17ROCPRIM_400000_NS6detail17trampoline_kernelINS0_14default_configENS1_27scan_by_key_config_selectorIj11FixedVectorIiLj2EEEEZZNS1_16scan_by_key_implILNS1_25lookback_scan_determinismE0ELb0ES3_N6thrust23THRUST_200600_302600_NS6detail15normal_iteratorINSB_10device_ptrIjEEEENSD_INSE_IS6_EEEESI_S6_NSB_4plusIvEENSB_8equal_toIvEES6_EE10hipError_tPvRmT2_T3_T4_T5_mT6_T7_P12ihipStream_tbENKUlT_T0_E_clISt17integral_constantIbLb1EES13_EEDaSY_SZ_EUlSY_E_NS1_11comp_targetILNS1_3genE4ELNS1_11target_archE910ELNS1_3gpuE8ELNS1_3repE0EEENS1_30default_config_static_selectorELNS0_4arch9wavefront6targetE1EEEvT1_ ; -- Begin function _ZN7rocprim17ROCPRIM_400000_NS6detail17trampoline_kernelINS0_14default_configENS1_27scan_by_key_config_selectorIj11FixedVectorIiLj2EEEEZZNS1_16scan_by_key_implILNS1_25lookback_scan_determinismE0ELb0ES3_N6thrust23THRUST_200600_302600_NS6detail15normal_iteratorINSB_10device_ptrIjEEEENSD_INSE_IS6_EEEESI_S6_NSB_4plusIvEENSB_8equal_toIvEES6_EE10hipError_tPvRmT2_T3_T4_T5_mT6_T7_P12ihipStream_tbENKUlT_T0_E_clISt17integral_constantIbLb1EES13_EEDaSY_SZ_EUlSY_E_NS1_11comp_targetILNS1_3genE4ELNS1_11target_archE910ELNS1_3gpuE8ELNS1_3repE0EEENS1_30default_config_static_selectorELNS0_4arch9wavefront6targetE1EEEvT1_
	.globl	_ZN7rocprim17ROCPRIM_400000_NS6detail17trampoline_kernelINS0_14default_configENS1_27scan_by_key_config_selectorIj11FixedVectorIiLj2EEEEZZNS1_16scan_by_key_implILNS1_25lookback_scan_determinismE0ELb0ES3_N6thrust23THRUST_200600_302600_NS6detail15normal_iteratorINSB_10device_ptrIjEEEENSD_INSE_IS6_EEEESI_S6_NSB_4plusIvEENSB_8equal_toIvEES6_EE10hipError_tPvRmT2_T3_T4_T5_mT6_T7_P12ihipStream_tbENKUlT_T0_E_clISt17integral_constantIbLb1EES13_EEDaSY_SZ_EUlSY_E_NS1_11comp_targetILNS1_3genE4ELNS1_11target_archE910ELNS1_3gpuE8ELNS1_3repE0EEENS1_30default_config_static_selectorELNS0_4arch9wavefront6targetE1EEEvT1_
	.p2align	8
	.type	_ZN7rocprim17ROCPRIM_400000_NS6detail17trampoline_kernelINS0_14default_configENS1_27scan_by_key_config_selectorIj11FixedVectorIiLj2EEEEZZNS1_16scan_by_key_implILNS1_25lookback_scan_determinismE0ELb0ES3_N6thrust23THRUST_200600_302600_NS6detail15normal_iteratorINSB_10device_ptrIjEEEENSD_INSE_IS6_EEEESI_S6_NSB_4plusIvEENSB_8equal_toIvEES6_EE10hipError_tPvRmT2_T3_T4_T5_mT6_T7_P12ihipStream_tbENKUlT_T0_E_clISt17integral_constantIbLb1EES13_EEDaSY_SZ_EUlSY_E_NS1_11comp_targetILNS1_3genE4ELNS1_11target_archE910ELNS1_3gpuE8ELNS1_3repE0EEENS1_30default_config_static_selectorELNS0_4arch9wavefront6targetE1EEEvT1_,@function
_ZN7rocprim17ROCPRIM_400000_NS6detail17trampoline_kernelINS0_14default_configENS1_27scan_by_key_config_selectorIj11FixedVectorIiLj2EEEEZZNS1_16scan_by_key_implILNS1_25lookback_scan_determinismE0ELb0ES3_N6thrust23THRUST_200600_302600_NS6detail15normal_iteratorINSB_10device_ptrIjEEEENSD_INSE_IS6_EEEESI_S6_NSB_4plusIvEENSB_8equal_toIvEES6_EE10hipError_tPvRmT2_T3_T4_T5_mT6_T7_P12ihipStream_tbENKUlT_T0_E_clISt17integral_constantIbLb1EES13_EEDaSY_SZ_EUlSY_E_NS1_11comp_targetILNS1_3genE4ELNS1_11target_archE910ELNS1_3gpuE8ELNS1_3repE0EEENS1_30default_config_static_selectorELNS0_4arch9wavefront6targetE1EEEvT1_: ; @_ZN7rocprim17ROCPRIM_400000_NS6detail17trampoline_kernelINS0_14default_configENS1_27scan_by_key_config_selectorIj11FixedVectorIiLj2EEEEZZNS1_16scan_by_key_implILNS1_25lookback_scan_determinismE0ELb0ES3_N6thrust23THRUST_200600_302600_NS6detail15normal_iteratorINSB_10device_ptrIjEEEENSD_INSE_IS6_EEEESI_S6_NSB_4plusIvEENSB_8equal_toIvEES6_EE10hipError_tPvRmT2_T3_T4_T5_mT6_T7_P12ihipStream_tbENKUlT_T0_E_clISt17integral_constantIbLb1EES13_EEDaSY_SZ_EUlSY_E_NS1_11comp_targetILNS1_3genE4ELNS1_11target_archE910ELNS1_3gpuE8ELNS1_3repE0EEENS1_30default_config_static_selectorELNS0_4arch9wavefront6targetE1EEEvT1_
; %bb.0:
	s_load_dwordx4 s[80:83], s[4:5], 0x30
	s_load_dwordx2 s[14:15], s[4:5], 0x40
	v_cmp_ne_u32_e64 s[54:55], 0, v0
	v_cmp_eq_u32_e64 s[86:87], 0, v0
	s_and_saveexec_b64 s[0:1], s[86:87]
	s_cbranch_execz .LBB1965_4
; %bb.1:
	s_mov_b64 s[8:9], exec
	v_mbcnt_lo_u32_b32 v1, s8, 0
	v_mbcnt_hi_u32_b32 v1, s9, v1
	v_cmp_eq_u32_e32 vcc, 0, v1
                                        ; implicit-def: $vgpr2
	s_and_saveexec_b64 s[6:7], vcc
	s_cbranch_execz .LBB1965_3
; %bb.2:
	s_load_dwordx2 s[10:11], s[4:5], 0x70
	s_bcnt1_i32_b64 s8, s[8:9]
	v_mov_b32_e32 v2, 0
	v_mov_b32_e32 v3, s8
	s_waitcnt lgkmcnt(0)
	global_atomic_add v2, v2, v3, s[10:11] glc
.LBB1965_3:
	s_or_b64 exec, exec, s[6:7]
	s_waitcnt vmcnt(0)
	v_readfirstlane_b32 s6, v2
	v_add_u32_e32 v1, s6, v1
	v_mov_b32_e32 v2, 0
	ds_write_b32 v2, v1
.LBB1965_4:
	s_or_b64 exec, exec, s[0:1]
	s_load_dwordx8 s[72:79], s[4:5], 0x0
	s_load_dword s0, s[4:5], 0x48
	s_load_dwordx8 s[64:71], s[4:5], 0x50
	v_mov_b32_e32 v1, 0
	s_waitcnt lgkmcnt(0)
	; wave barrier
	s_waitcnt lgkmcnt(0)
	ds_read_b32 v1, v1
	s_lshl_b64 s[4:5], s[74:75], 2
	s_add_u32 s8, s72, s4
	s_addc_u32 s9, s73, s5
	s_lshl_b64 s[72:73], s[74:75], 3
	s_add_u32 s10, s76, s72
	s_mul_i32 s1, s15, s0
	s_mul_hi_u32 s4, s14, s0
	s_addc_u32 s11, s77, s73
	s_add_i32 s12, s4, s1
                                        ; implicit-def: $vgpr134 : SGPR spill to VGPR lane
	s_waitcnt lgkmcnt(0)
	v_readfirstlane_b32 s33, v1
	v_writelane_b32 v134, s14, 0
	s_mul_i32 s13, s14, s0
	s_cmp_lg_u64 s[68:69], 0
	s_mov_b32 s1, 0
	s_mul_i32 s0, s33, 0x540
	s_cselect_b64 s[52:53], -1, 0
	s_lshl_b64 s[4:5], s[0:1], 2
	s_add_u32 s50, s8, s4
	s_addc_u32 s51, s9, s5
	s_lshl_b64 s[92:93], s[0:1], 3
	s_add_u32 s62, s10, s92
	s_addc_u32 s63, s11, s93
	s_add_u32 s56, s13, s33
	s_addc_u32 s57, s12, 0
	s_add_u32 s4, s64, -1
	s_addc_u32 s5, s65, -1
	v_pk_mov_b32 v[2:3], s[4:5], s[4:5] op_sel:[0,1]
	v_cmp_ge_u64_e64 s[68:69], s[56:57], v[2:3]
	s_mov_b64 s[6:7], 0
	s_mov_b64 s[12:13], -1
	s_and_b64 vcc, exec, s[68:69]
	s_mul_i32 s74, s4, 0xfffffac0
	v_writelane_b32 v134, s15, 1
	s_waitcnt lgkmcnt(0)
	; wave barrier
	s_waitcnt lgkmcnt(0)
	s_waitcnt lgkmcnt(0)
	; wave barrier
	s_cbranch_vccz .LBB1965_134
; %bb.5:
	v_pk_mov_b32 v[2:3], s[50:51], s[50:51] op_sel:[0,1]
	flat_load_dword v2, v[2:3]
	s_add_i32 s65, s74, s82
	v_cmp_gt_u32_e64 s[6:7], s65, v0
	s_waitcnt vmcnt(0) lgkmcnt(0)
	v_mov_b32_e32 v3, v2
	s_and_saveexec_b64 s[4:5], s[6:7]
	s_cbranch_execz .LBB1965_7
; %bb.6:
	v_lshlrev_b32_e32 v1, 2, v0
	v_mov_b32_e32 v3, s51
	v_add_co_u32_e32 v4, vcc, s50, v1
	v_addc_co_u32_e32 v5, vcc, 0, v3, vcc
	flat_load_dword v3, v[4:5]
.LBB1965_7:
	s_or_b64 exec, exec, s[4:5]
	v_or_b32_e32 v1, 64, v0
	v_cmp_gt_u32_e64 s[8:9], s65, v1
	v_mov_b32_e32 v4, v2
	s_and_saveexec_b64 s[4:5], s[8:9]
	s_cbranch_execz .LBB1965_9
; %bb.8:
	v_lshlrev_b32_e32 v1, 2, v0
	v_mov_b32_e32 v5, s51
	v_add_co_u32_e32 v4, vcc, s50, v1
	v_addc_co_u32_e32 v5, vcc, 0, v5, vcc
	flat_load_dword v4, v[4:5] offset:256
.LBB1965_9:
	s_or_b64 exec, exec, s[4:5]
	v_or_b32_e32 v1, 0x80, v0
	v_cmp_gt_u32_e64 s[10:11], s65, v1
	v_mov_b32_e32 v5, v2
	s_and_saveexec_b64 s[4:5], s[10:11]
	s_cbranch_execz .LBB1965_11
; %bb.10:
	v_lshlrev_b32_e32 v1, 2, v0
	v_mov_b32_e32 v5, s51
	v_add_co_u32_e32 v6, vcc, s50, v1
	v_addc_co_u32_e32 v7, vcc, 0, v5, vcc
	flat_load_dword v5, v[6:7] offset:512
.LBB1965_11:
	;; [unrolled: 13-line block ×15, first 2 shown]
	s_or_b64 exec, exec, s[4:5]
	v_or_b32_e32 v58, 0x400, v0
	v_cmp_gt_u32_e64 s[40:41], s65, v58
	v_mov_b32_e32 v19, v2
	s_and_saveexec_b64 s[4:5], s[40:41]
	s_cbranch_execz .LBB1965_39
; %bb.38:
	v_lshlrev_b32_e32 v19, 2, v58
	v_mov_b32_e32 v21, s51
	v_add_co_u32_e32 v20, vcc, s50, v19
	v_addc_co_u32_e32 v21, vcc, 0, v21, vcc
	flat_load_dword v19, v[20:21]
.LBB1965_39:
	s_or_b64 exec, exec, s[4:5]
	v_or_b32_e32 v59, 0x440, v0
	v_cmp_gt_u32_e64 s[42:43], s65, v59
	v_mov_b32_e32 v20, v2
	s_and_saveexec_b64 s[4:5], s[42:43]
	s_cbranch_execz .LBB1965_41
; %bb.40:
	v_lshlrev_b32_e32 v20, 2, v59
	v_mov_b32_e32 v21, s51
	v_add_co_u32_e32 v20, vcc, s50, v20
	v_addc_co_u32_e32 v21, vcc, 0, v21, vcc
	flat_load_dword v20, v[20:21]
.LBB1965_41:
	;; [unrolled: 13-line block ×4, first 2 shown]
	s_or_b64 exec, exec, s[4:5]
	v_or_b32_e32 v65, 0x500, v0
	v_cmp_gt_u32_e64 s[48:49], s65, v65
	s_and_saveexec_b64 s[4:5], s[48:49]
	s_cbranch_execz .LBB1965_47
; %bb.46:
	v_lshlrev_b32_e32 v2, 2, v65
	v_mov_b32_e32 v23, s51
	v_add_co_u32_e32 v24, vcc, s50, v2
	v_addc_co_u32_e32 v25, vcc, 0, v23, vcc
	flat_load_dword v2, v[24:25]
.LBB1965_47:
	s_or_b64 exec, exec, s[4:5]
	v_lshlrev_b32_e32 v23, 2, v0
	s_movk_i32 s4, 0x50
	s_waitcnt vmcnt(0) lgkmcnt(0)
	ds_write2st64_b32 v23, v3, v4 offset1:1
	ds_write2st64_b32 v23, v5, v6 offset0:2 offset1:3
	ds_write2st64_b32 v23, v7, v8 offset0:4 offset1:5
	;; [unrolled: 1-line block ×9, first 2 shown]
	ds_write_b32 v23, v2 offset:5120
	v_mad_u32_u24 v2, v0, s4, v23
	s_waitcnt lgkmcnt(0)
	; wave barrier
	s_waitcnt lgkmcnt(0)
	ds_read2_b32 v[20:21], v2 offset0:7 offset1:8
	ds_read2_b32 v[24:25], v2 offset0:5 offset1:6
	;; [unrolled: 1-line block ×3, first 2 shown]
	ds_read2_b32 v[16:17], v2 offset1:1
	ds_read2_b32 v[32:33], v2 offset0:4 offset1:9
	ds_read2_b32 v[28:29], v2 offset0:15 offset1:16
	ds_read_b32 v64, v2 offset:56
	ds_read2_b32 v[40:41], v2 offset0:12 offset1:13
	ds_read2_b32 v[44:45], v2 offset0:10 offset1:11
	;; [unrolled: 1-line block ×4, first 2 shown]
	s_cmp_eq_u64 s[56:57], 0
	s_mov_b64 s[4:5], s[50:51]
	s_cbranch_scc1 .LBB1965_51
; %bb.48:
	s_andn2_b64 vcc, exec, s[52:53]
	s_cbranch_vccnz .LBB1965_321
; %bb.49:
	s_lshl_b64 s[4:5], s[56:57], 2
	s_add_u32 s4, s70, s4
	s_addc_u32 s5, s71, s5
	s_add_u32 s4, s4, -4
	s_addc_u32 s5, s5, -1
	s_cbranch_execnz .LBB1965_51
.LBB1965_50:
	s_add_u32 s4, s50, -4
	s_addc_u32 s5, s51, -1
.LBB1965_51:
	v_pk_mov_b32 v[6:7], s[4:5], s[4:5] op_sel:[0,1]
	flat_load_dword v66, v[6:7]
	s_movk_i32 s4, 0xffb0
	v_mad_i32_i24 v67, v0, s4, v2
	s_waitcnt lgkmcnt(0)
	ds_write_b32 v67, v5 offset:5376
	s_waitcnt lgkmcnt(0)
	; wave barrier
	s_waitcnt lgkmcnt(0)
	s_and_saveexec_b64 s[4:5], s[54:55]
	s_cbranch_execz .LBB1965_53
; %bb.52:
	s_waitcnt vmcnt(0)
	ds_read_b32 v66, v67 offset:5372
.LBB1965_53:
	s_or_b64 exec, exec, s[4:5]
	v_pk_mov_b32 v[2:3], 0, 0
	v_pk_mov_b32 v[6:7], v[2:3], v[2:3] op_sel:[0,1]
	s_waitcnt lgkmcnt(0)
	; wave barrier
	s_waitcnt lgkmcnt(0)
	s_and_saveexec_b64 s[4:5], s[6:7]
	s_cbranch_execz .LBB1965_55
; %bb.54:
	v_lshlrev_b32_e32 v6, 3, v0
	v_mov_b32_e32 v7, s63
	v_add_co_u32_e32 v6, vcc, s62, v6
	v_addc_co_u32_e32 v7, vcc, 0, v7, vcc
	flat_load_dwordx2 v[6:7], v[6:7]
.LBB1965_55:
	s_or_b64 exec, exec, s[4:5]
	s_and_saveexec_b64 s[4:5], s[8:9]
	s_cbranch_execz .LBB1965_57
; %bb.56:
	v_lshlrev_b32_e32 v2, 3, v0
	v_mov_b32_e32 v3, s63
	v_add_co_u32_e32 v2, vcc, s62, v2
	v_addc_co_u32_e32 v3, vcc, 0, v3, vcc
	flat_load_dwordx2 v[2:3], v[2:3] offset:512
.LBB1965_57:
	s_or_b64 exec, exec, s[4:5]
	v_pk_mov_b32 v[8:9], 0, 0
	v_pk_mov_b32 v[10:11], v[8:9], v[8:9] op_sel:[0,1]
	s_and_saveexec_b64 s[4:5], s[10:11]
	s_cbranch_execz .LBB1965_59
; %bb.58:
	v_lshlrev_b32_e32 v10, 3, v0
	v_mov_b32_e32 v11, s63
	v_add_co_u32_e32 v10, vcc, s62, v10
	v_addc_co_u32_e32 v11, vcc, 0, v11, vcc
	flat_load_dwordx2 v[10:11], v[10:11] offset:1024
.LBB1965_59:
	s_or_b64 exec, exec, s[4:5]
	s_and_saveexec_b64 s[4:5], s[12:13]
	s_cbranch_execz .LBB1965_61
; %bb.60:
	v_lshlrev_b32_e32 v8, 3, v0
	v_mov_b32_e32 v9, s63
	v_add_co_u32_e32 v8, vcc, s62, v8
	v_addc_co_u32_e32 v9, vcc, 0, v9, vcc
	flat_load_dwordx2 v[8:9], v[8:9] offset:1536
.LBB1965_61:
	s_or_b64 exec, exec, s[4:5]
	v_pk_mov_b32 v[14:15], 0, 0
	v_pk_mov_b32 v[18:19], v[14:15], v[14:15] op_sel:[0,1]
	s_and_saveexec_b64 s[4:5], s[14:15]
	s_cbranch_execz .LBB1965_63
; %bb.62:
	v_lshlrev_b32_e32 v18, 3, v0
	v_mov_b32_e32 v19, s63
	v_add_co_u32_e32 v18, vcc, s62, v18
	v_addc_co_u32_e32 v19, vcc, 0, v19, vcc
	flat_load_dwordx2 v[18:19], v[18:19] offset:2048
.LBB1965_63:
	;; [unrolled: 22-line block ×3, first 2 shown]
	s_or_b64 exec, exec, s[4:5]
	s_and_saveexec_b64 s[4:5], s[20:21]
	s_cbranch_execz .LBB1965_69
; %bb.68:
	v_lshlrev_b32_e32 v22, 3, v0
	v_mov_b32_e32 v23, s63
	v_add_co_u32_e32 v22, vcc, s62, v22
	v_addc_co_u32_e32 v23, vcc, 0, v23, vcc
	flat_load_dwordx2 v[22:23], v[22:23] offset:3584
.LBB1965_69:
	s_or_b64 exec, exec, s[4:5]
	v_pk_mov_b32 v[30:31], 0, 0
	v_pk_mov_b32 v[34:35], v[30:31], v[30:31] op_sel:[0,1]
	s_and_saveexec_b64 s[4:5], s[22:23]
	s_cbranch_execz .LBB1965_71
; %bb.70:
	v_lshlrev_b32_e32 v1, 3, v1
	v_mov_b32_e32 v35, s63
	v_add_co_u32_e32 v34, vcc, s62, v1
	v_addc_co_u32_e32 v35, vcc, 0, v35, vcc
	flat_load_dwordx2 v[34:35], v[34:35]
.LBB1965_71:
	s_or_b64 exec, exec, s[4:5]
	s_and_saveexec_b64 s[4:5], s[24:25]
	s_cbranch_execz .LBB1965_73
; %bb.72:
	v_lshlrev_b32_e32 v1, 3, v38
	v_mov_b32_e32 v31, s63
	v_add_co_u32_e32 v30, vcc, s62, v1
	v_addc_co_u32_e32 v31, vcc, 0, v31, vcc
	flat_load_dwordx2 v[30:31], v[30:31]
.LBB1965_73:
	s_or_b64 exec, exec, s[4:5]
	v_pk_mov_b32 v[38:39], 0, 0
	v_pk_mov_b32 v[42:43], v[38:39], v[38:39] op_sel:[0,1]
	s_and_saveexec_b64 s[4:5], s[26:27]
	s_cbranch_execz .LBB1965_75
; %bb.74:
	v_lshlrev_b32_e32 v1, 3, v46
	v_mov_b32_e32 v43, s63
	v_add_co_u32_e32 v42, vcc, s62, v1
	v_addc_co_u32_e32 v43, vcc, 0, v43, vcc
	flat_load_dwordx2 v[42:43], v[42:43]
.LBB1965_75:
	s_or_b64 exec, exec, s[4:5]
	s_and_saveexec_b64 s[4:5], s[28:29]
	s_cbranch_execz .LBB1965_77
; %bb.76:
	v_lshlrev_b32_e32 v1, 3, v47
	v_mov_b32_e32 v39, s63
	v_add_co_u32_e32 v38, vcc, s62, v1
	v_addc_co_u32_e32 v39, vcc, 0, v39, vcc
	flat_load_dwordx2 v[38:39], v[38:39]
.LBB1965_77:
	;; [unrolled: 22-line block ×5, first 2 shown]
	s_or_b64 exec, exec, s[4:5]
	v_pk_mov_b32 v[58:59], 0, 0
	v_pk_mov_b32 v[60:61], v[58:59], v[58:59] op_sel:[0,1]
	s_and_saveexec_b64 s[4:5], s[44:45]
	s_cbranch_execnz .LBB1965_319
; %bb.90:
	s_or_b64 exec, exec, s[4:5]
	s_and_saveexec_b64 s[4:5], s[46:47]
	s_cbranch_execnz .LBB1965_320
.LBB1965_91:
	s_or_b64 exec, exec, s[4:5]
	v_pk_mov_b32 v[62:63], 0, 0
	s_and_saveexec_b64 s[4:5], s[48:49]
	s_cbranch_execz .LBB1965_93
.LBB1965_92:
	v_lshlrev_b32_e32 v1, 3, v65
	v_mov_b32_e32 v63, s63
	v_add_co_u32_e32 v62, vcc, s62, v1
	v_addc_co_u32_e32 v63, vcc, 0, v63, vcc
	flat_load_dwordx2 v[62:63], v[62:63]
.LBB1965_93:
	s_or_b64 exec, exec, s[4:5]
	v_mul_u32_u24_e32 v65, 21, v0
	v_lshl_add_u32 v68, v0, 2, v67
	s_waitcnt vmcnt(0) lgkmcnt(0)
	ds_write2st64_b64 v68, v[6:7], v[2:3] offset1:1
	ds_write2st64_b64 v68, v[10:11], v[8:9] offset0:2 offset1:3
	ds_write2st64_b64 v68, v[18:19], v[14:15] offset0:4 offset1:5
	;; [unrolled: 1-line block ×9, first 2 shown]
	ds_write_b64 v68, v[62:63] offset:10240
	v_cmp_gt_u32_e32 vcc, s65, v65
	s_mov_b64 s[12:13], 0
	s_mov_b32 s64, 0
	v_mov_b32_e32 v123, 0
	v_mov_b32_e32 v105, 0
	s_mov_b64 s[6:7], 0
	v_mov_b32_e32 v116, 0
	v_mov_b32_e32 v111, 0
	;; [unrolled: 1-line block ×46, first 2 shown]
	s_waitcnt lgkmcnt(0)
	; wave barrier
	s_waitcnt lgkmcnt(0)
                                        ; implicit-def: $sgpr4_sgpr5
                                        ; implicit-def: $vgpr1
                                        ; implicit-def: $vgpr80
                                        ; implicit-def: $vgpr81
                                        ; implicit-def: $vgpr82
                                        ; implicit-def: $vgpr51
                                        ; implicit-def: $vgpr55
                                        ; implicit-def: $vgpr59
                                        ; implicit-def: $vgpr63
                                        ; implicit-def: $vgpr67
                                        ; implicit-def: $vgpr71
                                        ; implicit-def: $vgpr75
                                        ; implicit-def: $vgpr79
	s_and_saveexec_b64 s[14:15], vcc
	s_cbranch_execz .LBB1965_133
; %bb.94:
	s_movk_i32 s4, 0xa0
	v_mad_u32_u24 v2, v0, s4, v68
	ds_read_b64 v[2:3], v2
	v_cmp_ne_u32_e32 vcc, v66, v16
	v_add_u32_e32 v1, 1, v65
	v_mov_b32_e32 v123, 0
	v_cndmask_b32_e64 v104, 0, 1, vcc
	v_cmp_gt_u32_e32 vcc, s65, v1
	v_mov_b32_e32 v105, 0
	v_mov_b32_e32 v116, 0
	;; [unrolled: 1-line block ×44, first 2 shown]
                                        ; implicit-def: $sgpr8_sgpr9
                                        ; implicit-def: $vgpr1
                                        ; implicit-def: $vgpr80
                                        ; implicit-def: $vgpr81
                                        ; implicit-def: $vgpr82
                                        ; implicit-def: $vgpr51
                                        ; implicit-def: $vgpr55
                                        ; implicit-def: $vgpr59
                                        ; implicit-def: $vgpr63
                                        ; implicit-def: $vgpr67
                                        ; implicit-def: $vgpr71
                                        ; implicit-def: $vgpr75
                                        ; implicit-def: $vgpr79
	s_and_saveexec_b64 s[16:17], vcc
	s_cbranch_execz .LBB1965_132
; %bb.95:
	v_mul_u32_u24_e32 v1, 0xa0, v0
	v_add_u32_e32 v50, v68, v1
	ds_read2_b64 v[6:9], v50 offset0:1 offset1:2
	v_cmp_ne_u32_e64 s[4:5], v16, v17
	v_add_u32_e32 v1, 2, v65
	v_cmp_ne_u32_e32 vcc, v12, v13
	v_cmp_ne_u32_e64 s[6:7], v13, v32
	v_cmp_ne_u32_e64 s[8:9], v17, v12
	v_cndmask_b32_e64 v123, 0, 1, s[4:5]
	v_cmp_gt_u32_e64 s[10:11], s65, v1
	s_mov_b64 s[4:5], 0
	v_mov_b32_e32 v116, 0
	v_mov_b32_e32 v105, 0
	;; [unrolled: 1-line block ×42, first 2 shown]
                                        ; implicit-def: $sgpr20_sgpr21
                                        ; implicit-def: $vgpr1
                                        ; implicit-def: $vgpr80
                                        ; implicit-def: $vgpr81
                                        ; implicit-def: $vgpr82
                                        ; implicit-def: $vgpr51
                                        ; implicit-def: $vgpr55
                                        ; implicit-def: $vgpr59
                                        ; implicit-def: $vgpr63
                                        ; implicit-def: $vgpr67
                                        ; implicit-def: $vgpr71
                                        ; implicit-def: $vgpr75
                                        ; implicit-def: $vgpr79
	s_and_saveexec_b64 s[18:19], s[10:11]
	s_cbranch_execz .LBB1965_131
; %bb.96:
	v_cndmask_b32_e64 v1, 0, 1, s[8:9]
	v_cndmask_b32_e64 v10, 0, 1, s[6:7]
	v_lshlrev_b16_e32 v1, 8, v1
	v_lshlrev_b16_e32 v10, 8, v10
	v_cndmask_b32_e64 v11, 0, 1, vcc
	v_or_b32_e32 v1, v123, v1
	v_or_b32_sdwa v10, v11, v10 dst_sel:WORD_1 dst_unused:UNUSED_PAD src0_sel:DWORD src1_sel:DWORD
	v_or_b32_sdwa v1, v1, v10 dst_sel:DWORD dst_unused:UNUSED_PAD src0_sel:WORD_0 src1_sel:DWORD
	v_add_u32_e32 v10, 3, v65
	v_mov_b32_e32 v116, 0
	v_and_b32_e32 v123, 0xffff, v1
	v_cmp_gt_u32_e32 vcc, s65, v10
	v_mov_b32_e32 v105, 0
	v_mov_b32_e32 v111, 0
	;; [unrolled: 1-line block ×39, first 2 shown]
                                        ; implicit-def: $sgpr6_sgpr7
                                        ; implicit-def: $vgpr80
                                        ; implicit-def: $vgpr81
                                        ; implicit-def: $vgpr82
                                        ; implicit-def: $vgpr51
                                        ; implicit-def: $vgpr55
                                        ; implicit-def: $vgpr59
                                        ; implicit-def: $vgpr63
                                        ; implicit-def: $vgpr67
                                        ; implicit-def: $vgpr71
                                        ; implicit-def: $vgpr75
                                        ; implicit-def: $vgpr79
	s_and_saveexec_b64 s[10:11], vcc
	s_cbranch_execz .LBB1965_130
; %bb.97:
	ds_read2_b64 v[10:13], v50 offset0:3 offset1:4
	v_add_u32_e32 v14, 4, v65
	v_cmp_gt_u32_e32 vcc, s65, v14
	v_and_b32_e32 v123, 0xffffff, v1
	v_mov_b32_e32 v116, 0
	v_mov_b32_e32 v105, 0
	;; [unrolled: 1-line block ×38, first 2 shown]
                                        ; implicit-def: $sgpr6_sgpr7
                                        ; implicit-def: $vgpr80
                                        ; implicit-def: $vgpr81
                                        ; implicit-def: $vgpr82
                                        ; implicit-def: $vgpr51
                                        ; implicit-def: $vgpr55
                                        ; implicit-def: $vgpr59
                                        ; implicit-def: $vgpr63
                                        ; implicit-def: $vgpr67
                                        ; implicit-def: $vgpr71
                                        ; implicit-def: $vgpr75
                                        ; implicit-def: $vgpr79
	s_and_saveexec_b64 s[20:21], vcc
	s_cbranch_execz .LBB1965_129
; %bb.98:
	v_add_u32_e32 v14, 5, v65
	v_mov_b32_e32 v116, 0
	v_cmp_gt_u32_e32 vcc, s65, v14
	v_mov_b32_e32 v105, 0
	v_mov_b32_e32 v111, 0
	;; [unrolled: 1-line block ×35, first 2 shown]
                                        ; implicit-def: $sgpr6_sgpr7
                                        ; implicit-def: $vgpr80
                                        ; implicit-def: $vgpr81
                                        ; implicit-def: $vgpr82
                                        ; implicit-def: $vgpr51
                                        ; implicit-def: $vgpr55
                                        ; implicit-def: $vgpr59
                                        ; implicit-def: $vgpr63
                                        ; implicit-def: $vgpr67
                                        ; implicit-def: $vgpr71
                                        ; implicit-def: $vgpr75
                                        ; implicit-def: $vgpr79
	s_and_saveexec_b64 s[22:23], vcc
	s_cbranch_execz .LBB1965_128
; %bb.99:
	ds_read2_b64 v[14:17], v50 offset0:5 offset1:6
	v_cmp_ne_u32_e32 vcc, v32, v24
	v_add_u32_e32 v18, 6, v65
	v_cndmask_b32_e64 v106, 0, 1, vcc
	v_cmp_gt_u32_e32 vcc, s65, v18
	v_mov_b32_e32 v116, 0
	v_mov_b32_e32 v105, 0
	;; [unrolled: 1-line block ×33, first 2 shown]
                                        ; implicit-def: $sgpr6_sgpr7
                                        ; implicit-def: $vgpr80
                                        ; implicit-def: $vgpr81
                                        ; implicit-def: $vgpr82
                                        ; implicit-def: $vgpr51
                                        ; implicit-def: $vgpr55
                                        ; implicit-def: $vgpr59
                                        ; implicit-def: $vgpr63
                                        ; implicit-def: $vgpr67
                                        ; implicit-def: $vgpr71
                                        ; implicit-def: $vgpr75
                                        ; implicit-def: $vgpr79
	s_and_saveexec_b64 s[24:25], vcc
	s_cbranch_execz .LBB1965_127
; %bb.100:
	v_cmp_ne_u32_e64 s[4:5], v24, v25
	v_add_u32_e32 v18, 7, v65
	v_mov_b32_e32 v111, 0
	v_cmp_ne_u32_e32 vcc, v20, v21
	v_cmp_ne_u32_e64 s[6:7], v21, v33
	v_cmp_ne_u32_e64 s[8:9], v25, v20
	v_cndmask_b32_e64 v116, 0, 1, s[4:5]
	v_cmp_gt_u32_e64 s[4:5], s65, v18
	s_mov_b64 s[28:29], 0
	v_mov_b32_e32 v105, 0
	v_mov_b32_e32 v108, 0
	;; [unrolled: 1-line block ×29, first 2 shown]
                                        ; implicit-def: $sgpr30_sgpr31
                                        ; implicit-def: $vgpr80
                                        ; implicit-def: $vgpr81
                                        ; implicit-def: $vgpr82
                                        ; implicit-def: $vgpr51
                                        ; implicit-def: $vgpr55
                                        ; implicit-def: $vgpr59
                                        ; implicit-def: $vgpr63
                                        ; implicit-def: $vgpr67
                                        ; implicit-def: $vgpr71
                                        ; implicit-def: $vgpr75
                                        ; implicit-def: $vgpr79
	s_and_saveexec_b64 s[26:27], s[4:5]
	s_cbranch_execz .LBB1965_126
; %bb.101:
	v_cndmask_b32_e64 v18, 0, 1, s[8:9]
	v_cndmask_b32_e64 v19, 0, 1, s[6:7]
	v_lshlrev_b16_e32 v18, 8, v18
	v_lshlrev_b16_e32 v19, 8, v19
	v_cndmask_b32_e64 v20, 0, 1, vcc
	v_or_b32_e32 v18, v116, v18
	v_or_b32_sdwa v19, v20, v19 dst_sel:WORD_1 dst_unused:UNUSED_PAD src0_sel:DWORD src1_sel:DWORD
	v_or_b32_sdwa v80, v18, v19 dst_sel:DWORD dst_unused:UNUSED_PAD src0_sel:WORD_0 src1_sel:DWORD
	ds_read2_b64 v[18:21], v50 offset0:7 offset1:8
	v_add_u32_e32 v22, 8, v65
	v_and_b32_e32 v116, 0xffff, v80
	v_cmp_gt_u32_e32 vcc, s65, v22
	s_mov_b64 s[4:5], 0
	v_mov_b32_e32 v111, 0
	v_mov_b32_e32 v105, 0
	v_mov_b32_e32 v108, 0
	v_mov_b32_e32 v27, 0
	v_mov_b32_e32 v26, 0
	v_mov_b32_e32 v35, 0
	v_mov_b32_e32 v34, 0
	v_mov_b32_e32 v47, 0
	v_mov_b32_e32 v46, 0
	v_mov_b32_e32 v109, 0
	v_mov_b32_e32 v110, 0
	v_mov_b32_e32 v43, 0
	v_mov_b32_e32 v42, 0
	v_mov_b32_e32 v112, 0
	v_mov_b32_e32 v113, 0
	v_mov_b32_e32 v39, 0
	v_mov_b32_e32 v38, 0
	v_mov_b32_e32 v114, 0
	v_mov_b32_e32 v115, 0
	v_mov_b32_e32 v31, 0
	v_mov_b32_e32 v30, 0
	v_mov_b32_e32 v107, 0
	v_mov_b32_e32 v117, 0
	v_mov_b32_e32 v118, 0
	v_mov_b32_e32 v23, 0
	v_mov_b32_e32 v22, 0
	v_mov_b32_e32 v119, 0
	v_mov_b32_e32 v120, 0
                                        ; implicit-def: $sgpr6_sgpr7
                                        ; implicit-def: $vgpr81
                                        ; implicit-def: $vgpr82
                                        ; implicit-def: $vgpr51
                                        ; implicit-def: $vgpr55
                                        ; implicit-def: $vgpr59
                                        ; implicit-def: $vgpr63
                                        ; implicit-def: $vgpr67
                                        ; implicit-def: $vgpr71
                                        ; implicit-def: $vgpr75
                                        ; implicit-def: $vgpr79
	s_and_saveexec_b64 s[28:29], vcc
	s_cbranch_execz .LBB1965_125
; %bb.102:
	v_add_u32_e32 v22, 9, v65
	v_mov_b32_e32 v111, 0
	v_cmp_gt_u32_e32 vcc, s65, v22
	v_and_b32_e32 v116, 0xffffff, v80
	v_mov_b32_e32 v105, 0
	v_mov_b32_e32 v108, 0
	;; [unrolled: 1-line block ×25, first 2 shown]
                                        ; implicit-def: $sgpr6_sgpr7
                                        ; implicit-def: $vgpr81
                                        ; implicit-def: $vgpr82
                                        ; implicit-def: $vgpr51
                                        ; implicit-def: $vgpr55
                                        ; implicit-def: $vgpr59
                                        ; implicit-def: $vgpr63
                                        ; implicit-def: $vgpr67
                                        ; implicit-def: $vgpr71
                                        ; implicit-def: $vgpr75
                                        ; implicit-def: $vgpr79
	s_and_saveexec_b64 s[30:31], vcc
	s_cbranch_execz .LBB1965_124
; %bb.103:
	ds_read2_b64 v[22:25], v50 offset0:9 offset1:10
	v_add_u32_e32 v26, 10, v65
	v_cmp_gt_u32_e32 vcc, s65, v26
	v_mov_b32_e32 v111, 0
	v_mov_b32_e32 v105, 0
	;; [unrolled: 1-line block ×24, first 2 shown]
                                        ; implicit-def: $sgpr6_sgpr7
                                        ; implicit-def: $vgpr81
                                        ; implicit-def: $vgpr82
                                        ; implicit-def: $vgpr51
                                        ; implicit-def: $vgpr55
                                        ; implicit-def: $vgpr59
                                        ; implicit-def: $vgpr63
                                        ; implicit-def: $vgpr67
                                        ; implicit-def: $vgpr71
                                        ; implicit-def: $vgpr75
                                        ; implicit-def: $vgpr79
	s_and_saveexec_b64 s[34:35], vcc
	s_cbranch_execz .LBB1965_123
; %bb.104:
	v_cmp_ne_u32_e32 vcc, v33, v44
	v_add_u32_e32 v26, 11, v65
	v_mov_b32_e32 v111, 0
	v_cndmask_b32_e64 v107, 0, 1, vcc
	v_cmp_gt_u32_e32 vcc, s65, v26
	v_mov_b32_e32 v105, 0
	v_mov_b32_e32 v108, 0
	;; [unrolled: 1-line block ×20, first 2 shown]
                                        ; implicit-def: $sgpr6_sgpr7
                                        ; implicit-def: $vgpr81
                                        ; implicit-def: $vgpr82
                                        ; implicit-def: $vgpr51
                                        ; implicit-def: $vgpr55
                                        ; implicit-def: $vgpr59
                                        ; implicit-def: $vgpr63
                                        ; implicit-def: $vgpr67
                                        ; implicit-def: $vgpr71
                                        ; implicit-def: $vgpr75
                                        ; implicit-def: $vgpr79
	s_and_saveexec_b64 s[36:37], vcc
	s_cbranch_execz .LBB1965_122
; %bb.105:
	ds_read2_b64 v[30:33], v50 offset0:11 offset1:12
	v_cmp_ne_u32_e64 s[4:5], v44, v45
	v_add_u32_e32 v26, 12, v65
	v_cmp_ne_u32_e32 vcc, v40, v41
	v_cmp_ne_u32_e64 s[6:7], v41, v64
	v_cmp_ne_u32_e64 s[8:9], v45, v40
	v_cndmask_b32_e64 v111, 0, 1, s[4:5]
	v_cmp_gt_u32_e64 s[4:5], s65, v26
	s_mov_b64 s[40:41], 0
	v_mov_b32_e32 v108, 0
	v_mov_b32_e32 v105, 0
	;; [unrolled: 1-line block ×18, first 2 shown]
                                        ; implicit-def: $sgpr42_sgpr43
                                        ; implicit-def: $vgpr81
                                        ; implicit-def: $vgpr82
                                        ; implicit-def: $vgpr51
                                        ; implicit-def: $vgpr55
                                        ; implicit-def: $vgpr59
                                        ; implicit-def: $vgpr63
                                        ; implicit-def: $vgpr67
                                        ; implicit-def: $vgpr71
                                        ; implicit-def: $vgpr75
                                        ; implicit-def: $vgpr79
	s_and_saveexec_b64 s[38:39], s[4:5]
	s_cbranch_execz .LBB1965_121
; %bb.106:
	v_cndmask_b32_e64 v26, 0, 1, s[8:9]
	v_cndmask_b32_e64 v27, 0, 1, s[6:7]
	v_lshlrev_b16_e32 v26, 8, v26
	v_lshlrev_b16_e32 v27, 8, v27
	v_cndmask_b32_e64 v34, 0, 1, vcc
	v_or_b32_e32 v26, v111, v26
	v_or_b32_sdwa v27, v34, v27 dst_sel:WORD_1 dst_unused:UNUSED_PAD src0_sel:DWORD src1_sel:DWORD
	v_or_b32_sdwa v81, v26, v27 dst_sel:DWORD dst_unused:UNUSED_PAD src0_sel:WORD_0 src1_sel:DWORD
	v_add_u32_e32 v26, 13, v65
	v_mov_b32_e32 v108, 0
	v_and_b32_e32 v111, 0xffff, v81
	v_cmp_gt_u32_e32 vcc, s65, v26
	s_mov_b64 s[4:5], 0
	v_mov_b32_e32 v105, 0
	v_mov_b32_e32 v27, 0
	;; [unrolled: 1-line block ×15, first 2 shown]
                                        ; implicit-def: $sgpr6_sgpr7
                                        ; implicit-def: $vgpr82
                                        ; implicit-def: $vgpr51
                                        ; implicit-def: $vgpr55
                                        ; implicit-def: $vgpr59
                                        ; implicit-def: $vgpr63
                                        ; implicit-def: $vgpr67
                                        ; implicit-def: $vgpr71
                                        ; implicit-def: $vgpr75
                                        ; implicit-def: $vgpr79
	s_and_saveexec_b64 s[40:41], vcc
	s_cbranch_execz .LBB1965_120
; %bb.107:
	ds_read2_b64 v[38:41], v50 offset0:13 offset1:14
	v_add_u32_e32 v26, 14, v65
	v_cmp_gt_u32_e32 vcc, s65, v26
	v_and_b32_e32 v111, 0xffffff, v81
	v_mov_b32_e32 v108, 0
	v_mov_b32_e32 v105, 0
	;; [unrolled: 1-line block ×14, first 2 shown]
                                        ; implicit-def: $sgpr6_sgpr7
                                        ; implicit-def: $vgpr82
                                        ; implicit-def: $vgpr51
                                        ; implicit-def: $vgpr55
                                        ; implicit-def: $vgpr59
                                        ; implicit-def: $vgpr63
                                        ; implicit-def: $vgpr67
                                        ; implicit-def: $vgpr71
                                        ; implicit-def: $vgpr75
                                        ; implicit-def: $vgpr79
	s_and_saveexec_b64 s[42:43], vcc
	s_cbranch_execz .LBB1965_119
; %bb.108:
	v_add_u32_e32 v26, 15, v65
	v_mov_b32_e32 v108, 0
	v_cmp_gt_u32_e32 vcc, s65, v26
	v_mov_b32_e32 v105, 0
	v_mov_b32_e32 v27, 0
	v_mov_b32_e32 v26, 0
	v_mov_b32_e32 v35, 0
	v_mov_b32_e32 v34, 0
	v_mov_b32_e32 v47, 0
	v_mov_b32_e32 v46, 0
	v_mov_b32_e32 v109, 0
	v_mov_b32_e32 v110, 0
	v_mov_b32_e32 v43, 0
	v_mov_b32_e32 v42, v108
                                        ; implicit-def: $sgpr6_sgpr7
                                        ; implicit-def: $vgpr82
                                        ; implicit-def: $vgpr51
                                        ; implicit-def: $vgpr55
                                        ; implicit-def: $vgpr59
                                        ; implicit-def: $vgpr63
                                        ; implicit-def: $vgpr67
                                        ; implicit-def: $vgpr71
                                        ; implicit-def: $vgpr75
                                        ; implicit-def: $vgpr79
	s_and_saveexec_b64 s[44:45], vcc
	s_cbranch_execz .LBB1965_118
; %bb.109:
	ds_read2_b64 v[42:45], v50 offset0:15 offset1:16
	v_cmp_ne_u32_e32 vcc, v64, v28
	v_add_u32_e32 v26, 16, v65
	v_cndmask_b32_e64 v105, 0, 1, vcc
	v_cmp_gt_u32_e32 vcc, s65, v26
	v_mov_b32_e32 v108, 0
	v_mov_b32_e32 v27, 0
	;; [unrolled: 1-line block ×9, first 2 shown]
                                        ; implicit-def: $sgpr6_sgpr7
                                        ; implicit-def: $vgpr82
                                        ; implicit-def: $vgpr51
                                        ; implicit-def: $vgpr55
                                        ; implicit-def: $vgpr59
                                        ; implicit-def: $vgpr63
                                        ; implicit-def: $vgpr67
                                        ; implicit-def: $vgpr71
                                        ; implicit-def: $vgpr75
                                        ; implicit-def: $vgpr79
	s_and_saveexec_b64 s[46:47], vcc
	s_cbranch_execz .LBB1965_117
; %bb.110:
	v_cmp_ne_u32_e64 s[4:5], v28, v29
	v_add_u32_e32 v26, 17, v65
	v_mov_b32_e32 v27, 0
	v_cmp_ne_u32_e32 vcc, v36, v37
	v_cmp_ne_u32_e64 s[6:7], v37, v4
	v_cmp_ne_u32_e64 s[8:9], v29, v36
	v_cndmask_b32_e64 v108, 0, 1, s[4:5]
	v_cmp_gt_u32_e64 s[4:5], s65, v26
	s_mov_b64 s[58:59], 0
	v_mov_b32_e32 v26, 0
	v_mov_b32_e32 v35, 0
	;; [unrolled: 1-line block ×5, first 2 shown]
                                        ; implicit-def: $sgpr60_sgpr61
                                        ; implicit-def: $vgpr82
                                        ; implicit-def: $vgpr51
                                        ; implicit-def: $vgpr55
                                        ; implicit-def: $vgpr59
                                        ; implicit-def: $vgpr63
                                        ; implicit-def: $vgpr67
                                        ; implicit-def: $vgpr71
                                        ; implicit-def: $vgpr75
                                        ; implicit-def: $vgpr79
	s_and_saveexec_b64 s[48:49], s[4:5]
	s_cbranch_execz .LBB1965_116
; %bb.111:
	v_cndmask_b32_e64 v26, 0, 1, s[8:9]
	v_cndmask_b32_e64 v27, 0, 1, s[6:7]
	ds_read2_b64 v[46:49], v50 offset0:17 offset1:18
	v_lshlrev_b16_e32 v26, 8, v26
	v_lshlrev_b16_e32 v27, 8, v27
	v_cndmask_b32_e64 v28, 0, 1, vcc
	v_or_b32_e32 v26, v108, v26
	v_or_b32_sdwa v27, v28, v27 dst_sel:WORD_1 dst_unused:UNUSED_PAD src0_sel:DWORD src1_sel:DWORD
	v_or_b32_sdwa v82, v26, v27 dst_sel:DWORD dst_unused:UNUSED_PAD src0_sel:WORD_0 src1_sel:DWORD
	v_add_u32_e32 v26, 18, v65
	v_and_b32_e32 v108, 0xffff, v82
	v_cmp_gt_u32_e32 vcc, s65, v26
	s_mov_b64 s[4:5], 0
	v_mov_b32_e32 v27, 0
	v_mov_b32_e32 v26, 0
	;; [unrolled: 1-line block ×4, first 2 shown]
                                        ; implicit-def: $sgpr8_sgpr9
	s_and_saveexec_b64 s[6:7], vcc
	s_cbranch_execz .LBB1965_115
; %bb.112:
	v_add_u32_e32 v26, 19, v65
	s_waitcnt lgkmcnt(0)
	v_mov_b32_e32 v34, v48
	v_mov_b32_e32 v35, v49
	v_cmp_gt_u32_e32 vcc, s65, v26
	v_and_b32_e32 v108, 0xffffff, v82
	v_mov_b32_e32 v27, 0
	v_mov_b32_e32 v26, 0
                                        ; implicit-def: $sgpr8_sgpr9
	s_and_saveexec_b64 s[58:59], vcc
	s_xor_b64 s[58:59], exec, s[58:59]
	s_cbranch_execz .LBB1965_114
; %bb.113:
	ds_read2_b64 v[26:29], v50 offset0:19 offset1:20
	v_cmp_ne_u32_e32 vcc, v4, v5
	v_add_u32_e32 v4, 20, v65
	v_cmp_gt_u32_e64 s[4:5], s65, v4
	s_and_b64 s[8:9], vcc, exec
	s_and_b64 s[4:5], s[4:5], exec
	s_waitcnt lgkmcnt(0)
	v_mov_b32_e32 v37, v27
	v_mov_b32_e32 v36, v26
	;; [unrolled: 1-line block ×3, first 2 shown]
.LBB1965_114:
	s_or_b64 exec, exec, s[58:59]
	s_and_b64 s[8:9], s[8:9], exec
	s_and_b64 s[4:5], s[4:5], exec
.LBB1965_115:
	s_or_b64 exec, exec, s[6:7]
	s_and_b64 s[60:61], s[8:9], exec
	s_and_b64 s[58:59], s[4:5], exec
	s_waitcnt lgkmcnt(0)
	v_mov_b32_e32 v51, v47
	v_mov_b32_e32 v50, v46
	;; [unrolled: 1-line block ×34, first 2 shown]
.LBB1965_116:
	s_or_b64 exec, exec, s[48:49]
	s_and_b64 s[6:7], s[60:61], exec
	s_and_b64 s[4:5], s[58:59], exec
	s_waitcnt lgkmcnt(0)
	v_mov_b32_e32 v109, v45
	v_mov_b32_e32 v110, v44
.LBB1965_117:
	s_or_b64 exec, exec, s[46:47]
	s_and_b64 s[6:7], s[6:7], exec
	s_and_b64 s[4:5], s[4:5], exec
.LBB1965_118:
	s_or_b64 exec, exec, s[44:45]
	s_and_b64 s[6:7], s[6:7], exec
	s_and_b64 s[4:5], s[4:5], exec
	v_mov_b32_e32 v111, v81
	s_waitcnt lgkmcnt(0)
	v_mov_b32_e32 v112, v41
	v_mov_b32_e32 v113, v40
.LBB1965_119:
	s_or_b64 exec, exec, s[42:43]
	s_and_b64 s[6:7], s[6:7], exec
	s_and_b64 s[4:5], s[4:5], exec
.LBB1965_120:
	s_or_b64 exec, exec, s[40:41]
	s_and_b64 s[42:43], s[6:7], exec
	s_and_b64 s[40:41], s[4:5], exec
	s_waitcnt lgkmcnt(0)
	v_mov_b32_e32 v114, v33
	v_mov_b32_e32 v115, v32
.LBB1965_121:
	s_or_b64 exec, exec, s[38:39]
	s_and_b64 s[6:7], s[42:43], exec
	s_and_b64 s[4:5], s[40:41], exec
.LBB1965_122:
	s_or_b64 exec, exec, s[36:37]
	s_and_b64 s[6:7], s[6:7], exec
	s_and_b64 s[4:5], s[4:5], exec
	s_waitcnt lgkmcnt(0)
	v_mov_b32_e32 v117, v25
	v_mov_b32_e32 v118, v24
.LBB1965_123:
	s_or_b64 exec, exec, s[34:35]
	s_and_b64 s[6:7], s[6:7], exec
	s_and_b64 s[4:5], s[4:5], exec
	v_mov_b32_e32 v116, v80
.LBB1965_124:
	s_or_b64 exec, exec, s[30:31]
	s_and_b64 s[6:7], s[6:7], exec
	s_and_b64 s[4:5], s[4:5], exec
	s_waitcnt lgkmcnt(0)
	v_mov_b32_e32 v119, v21
	v_mov_b32_e32 v120, v20
.LBB1965_125:
	s_or_b64 exec, exec, s[28:29]
	s_and_b64 s[30:31], s[6:7], exec
	s_and_b64 s[28:29], s[4:5], exec
.LBB1965_126:
	s_or_b64 exec, exec, s[26:27]
	s_and_b64 s[6:7], s[30:31], exec
	s_and_b64 s[4:5], s[28:29], exec
	s_waitcnt lgkmcnt(0)
	v_mov_b32_e32 v121, v17
	v_mov_b32_e32 v122, v16
.LBB1965_127:
	s_or_b64 exec, exec, s[24:25]
	s_and_b64 s[6:7], s[6:7], exec
	s_and_b64 s[4:5], s[4:5], exec
.LBB1965_128:
	s_or_b64 exec, exec, s[22:23]
	s_and_b64 s[6:7], s[6:7], exec
	s_and_b64 s[4:5], s[4:5], exec
	v_mov_b32_e32 v123, v1
	s_waitcnt lgkmcnt(0)
	v_mov_b32_e32 v124, v13
	v_mov_b32_e32 v125, v12
.LBB1965_129:
	s_or_b64 exec, exec, s[20:21]
	s_and_b64 s[6:7], s[6:7], exec
	s_and_b64 s[4:5], s[4:5], exec
.LBB1965_130:
	s_or_b64 exec, exec, s[10:11]
	s_and_b64 s[20:21], s[6:7], exec
	s_and_b64 s[4:5], s[4:5], exec
	s_waitcnt lgkmcnt(0)
	v_mov_b32_e32 v126, v9
	v_mov_b32_e32 v127, v8
.LBB1965_131:
	s_or_b64 exec, exec, s[18:19]
	s_and_b64 s[8:9], s[20:21], exec
	s_and_b64 s[6:7], s[4:5], exec
.LBB1965_132:
	s_or_b64 exec, exec, s[16:17]
	s_and_b64 s[4:5], s[8:9], exec
	s_and_b64 s[6:7], s[6:7], exec
.LBB1965_133:
	s_or_b64 exec, exec, s[14:15]
	s_mov_b32 s8, 0
	s_and_b64 vcc, exec, s[12:13]
	s_cbranch_vccnz .LBB1965_135
	s_branch .LBB1965_143
.LBB1965_134:
                                        ; kill: def $vgpr2_vgpr3 killed $sgpr0_sgpr1 killed $exec
                                        ; implicit-def: $sgpr4_sgpr5
                                        ; implicit-def: $vgpr1
                                        ; implicit-def: $vgpr80
                                        ; implicit-def: $vgpr81
                                        ; implicit-def: $vgpr82
                                        ; implicit-def: $vgpr28_vgpr29
                                        ; implicit-def: $vgpr37
                                        ; implicit-def: $vgpr51
                                        ; implicit-def: $vgpr105
                                        ; implicit-def: $vgpr55
                                        ; implicit-def: $vgpr59
                                        ; implicit-def: $vgpr63
                                        ; implicit-def: $vgpr107
                                        ; implicit-def: $vgpr67
                                        ; implicit-def: $vgpr71
                                        ; implicit-def: $vgpr106
                                        ; implicit-def: $vgpr75
                                        ; implicit-def: $vgpr79
                                        ; implicit-def: $vgpr5
                                        ; implicit-def: $vgpr104
                                        ; implicit-def: $vgpr123
                                        ; implicit-def: $vgpr116
                                        ; implicit-def: $vgpr111
                                        ; implicit-def: $vgpr108
                                        ; implicit-def: $sgpr8
                                        ; implicit-def: $sgpr64
                                        ; implicit-def: $vgpr47
                                        ; implicit-def: $vgpr109
                                        ; implicit-def: $vgpr110
                                        ; implicit-def: $vgpr43
                                        ; implicit-def: $vgpr112
                                        ; implicit-def: $vgpr113
                                        ; implicit-def: $vgpr39
                                        ; implicit-def: $vgpr114
                                        ; implicit-def: $vgpr115
                                        ; implicit-def: $vgpr31
                                        ; implicit-def: $vgpr117
                                        ; implicit-def: $vgpr118
                                        ; implicit-def: $vgpr23
                                        ; implicit-def: $vgpr119
                                        ; implicit-def: $vgpr120
                                        ; implicit-def: $vgpr19
                                        ; implicit-def: $vgpr121
                                        ; implicit-def: $vgpr122
                                        ; implicit-def: $vgpr15
                                        ; implicit-def: $vgpr124
                                        ; implicit-def: $vgpr125
                                        ; implicit-def: $vgpr11
                                        ; implicit-def: $vgpr126
                                        ; implicit-def: $vgpr127
                                        ; implicit-def: $vgpr7
	s_and_b64 vcc, exec, s[12:13]
	s_cbranch_vccz .LBB1965_143
.LBB1965_135:
	v_lshlrev_b32_e32 v1, 2, v0
	s_waitcnt lgkmcnt(0)
	v_mov_b32_e32 v3, s51
	v_add_co_u32_e32 v2, vcc, s50, v1
	v_addc_co_u32_e32 v3, vcc, 0, v3, vcc
	s_movk_i32 s4, 0x1000
	flat_load_dword v4, v[2:3]
	flat_load_dword v5, v[2:3] offset:256
	flat_load_dword v6, v[2:3] offset:512
	;; [unrolled: 1-line block ×15, first 2 shown]
	v_add_co_u32_e32 v2, vcc, s4, v2
	v_addc_co_u32_e32 v3, vcc, 0, v3, vcc
	flat_load_dword v20, v[2:3]
	flat_load_dword v21, v[2:3] offset:256
	flat_load_dword v22, v[2:3] offset:512
	;; [unrolled: 1-line block ×4, first 2 shown]
	s_movk_i32 s4, 0x50
	v_mad_u32_u24 v23, v0, s4, v1
	s_cmp_eq_u64 s[56:57], 0
	s_waitcnt vmcnt(0) lgkmcnt(0)
	ds_write2st64_b32 v1, v4, v5 offset1:1
	ds_write2st64_b32 v1, v6, v7 offset0:2 offset1:3
	ds_write2st64_b32 v1, v8, v9 offset0:4 offset1:5
	;; [unrolled: 1-line block ×9, first 2 shown]
	ds_write_b32 v1, v25 offset:5120
	s_waitcnt lgkmcnt(0)
	; wave barrier
	s_waitcnt lgkmcnt(0)
	ds_read2_b32 v[10:11], v23 offset0:7 offset1:8
	ds_read2_b32 v[8:9], v23 offset0:5 offset1:6
	;; [unrolled: 1-line block ×3, first 2 shown]
	ds_read2_b32 v[6:7], v23 offset1:1
	ds_read2_b32 v[4:5], v23 offset0:4 offset1:9
	ds_read2_b32 v[16:17], v23 offset0:15 offset1:16
	ds_read_b32 v1, v23 offset:56
	ds_read2_b32 v[14:15], v23 offset0:12 offset1:13
	ds_read2_b32 v[12:13], v23 offset0:10 offset1:11
	;; [unrolled: 1-line block ×4, first 2 shown]
	s_cbranch_scc1 .LBB1965_140
; %bb.136:
	s_andn2_b64 vcc, exec, s[52:53]
	s_cbranch_vccnz .LBB1965_322
; %bb.137:
	s_lshl_b64 s[4:5], s[56:57], 2
	s_add_u32 s4, s70, s4
	s_addc_u32 s5, s71, s5
	s_add_u32 s4, s4, -4
	s_addc_u32 s5, s5, -1
	s_cbranch_execnz .LBB1965_139
.LBB1965_138:
	s_add_u32 s4, s50, -4
	s_addc_u32 s5, s51, -1
.LBB1965_139:
	s_mov_b64 s[50:51], s[4:5]
.LBB1965_140:
	v_pk_mov_b32 v[24:25], s[50:51], s[50:51] op_sel:[0,1]
	flat_load_dword v22, v[24:25]
	s_movk_i32 s4, 0xffb0
	v_mad_i32_i24 v23, v0, s4, v23
	s_waitcnt lgkmcnt(0)
	ds_write_b32 v23, v21 offset:5376
	s_waitcnt lgkmcnt(0)
	; wave barrier
	s_waitcnt lgkmcnt(0)
	s_and_saveexec_b64 s[4:5], s[54:55]
	s_cbranch_execz .LBB1965_142
; %bb.141:
	s_waitcnt vmcnt(0)
	ds_read_b32 v22, v23 offset:5372
.LBB1965_142:
	s_or_b64 exec, exec, s[4:5]
	v_lshlrev_b32_e32 v24, 3, v0
	v_mov_b32_e32 v25, s63
	v_add_co_u32_e32 v24, vcc, s62, v24
	v_addc_co_u32_e32 v25, vcc, 0, v25, vcc
	s_movk_i32 s4, 0x1000
	v_add_co_u32_e32 v42, vcc, s4, v24
	v_addc_co_u32_e32 v43, vcc, 0, v25, vcc
	s_movk_i32 s4, 0x2000
	s_waitcnt lgkmcnt(0)
	; wave barrier
	s_waitcnt lgkmcnt(0)
	flat_load_dwordx2 v[26:27], v[24:25]
	flat_load_dwordx2 v[28:29], v[24:25] offset:512
	flat_load_dwordx2 v[30:31], v[24:25] offset:1024
	;; [unrolled: 1-line block ×7, first 2 shown]
	v_add_co_u32_e32 v24, vcc, s4, v24
	v_addc_co_u32_e32 v25, vcc, 0, v25, vcc
	flat_load_dwordx2 v[44:45], v[42:43]
	flat_load_dwordx2 v[46:47], v[42:43] offset:512
	flat_load_dwordx2 v[48:49], v[42:43] offset:1024
	;; [unrolled: 1-line block ×7, first 2 shown]
	s_nop 0
	flat_load_dwordx2 v[42:43], v[24:25]
	flat_load_dwordx2 v[60:61], v[24:25] offset:512
	flat_load_dwordx2 v[62:63], v[24:25] offset:1024
	;; [unrolled: 1-line block ×4, first 2 shown]
	v_cmp_ne_u32_e32 vcc, v17, v18
	v_cmp_ne_u32_e64 s[4:5], v20, v21
	v_cndmask_b32_e64 v21, 0, 1, vcc
	v_cmp_ne_u32_e32 vcc, v16, v17
	v_cndmask_b32_e64 v17, 0, 1, vcc
	v_cmp_ne_u32_e32 vcc, v19, v20
	;; [unrolled: 2-line block ×8, first 2 shown]
	v_lshlrev_b16_e32 v16, 8, v16
	v_lshlrev_b16_e32 v1, 8, v1
	v_cndmask_b32_e64 v14, 0, 1, vcc
	v_cmp_ne_u32_e32 vcc, v5, v12
	v_or_b32_e32 v13, v13, v16
	v_or_b32_sdwa v1, v14, v1 dst_sel:WORD_1 dst_unused:UNUSED_PAD src0_sel:DWORD src1_sel:DWORD
	v_cndmask_b32_e64 v107, 0, 1, vcc
	v_cmp_ne_u32_e32 vcc, v9, v10
	v_or_b32_sdwa v81, v13, v1 dst_sel:DWORD dst_unused:UNUSED_PAD src0_sel:WORD_0 src1_sel:DWORD
	v_cndmask_b32_e64 v1, 0, 1, vcc
	v_cmp_ne_u32_e32 vcc, v8, v9
	v_cndmask_b32_e64 v9, 0, 1, vcc
	v_cmp_ne_u32_e32 vcc, v11, v5
	v_lshlrev_b16_e32 v1, 8, v1
	v_cndmask_b32_e64 v5, 0, 1, vcc
	v_cmp_ne_u32_e32 vcc, v10, v11
	v_or_b32_e32 v1, v9, v1
	v_lshlrev_b16_e32 v5, 8, v5
	v_cndmask_b32_e64 v9, 0, 1, vcc
	v_cmp_ne_u32_e32 vcc, v4, v8
	v_or_b32_sdwa v5, v9, v5 dst_sel:WORD_1 dst_unused:UNUSED_PAD src0_sel:DWORD src1_sel:DWORD
	v_cndmask_b32_e64 v106, 0, 1, vcc
	v_cmp_ne_u32_e32 vcc, v7, v2
	v_or_b32_sdwa v80, v1, v5 dst_sel:DWORD dst_unused:UNUSED_PAD src0_sel:WORD_0 src1_sel:DWORD
	v_cndmask_b32_e64 v1, 0, 1, vcc
	v_cmp_ne_u32_e32 vcc, v6, v7
	v_cndmask_b32_e64 v5, 0, 1, vcc
	v_cmp_ne_u32_e32 vcc, v3, v4
	;; [unrolled: 2-line block ×3, first 2 shown]
	v_lshlrev_b16_e32 v1, 8, v1
	v_lshlrev_b16_e32 v4, 8, v4
	v_cndmask_b32_e64 v2, 0, 1, vcc
	v_or_b32_e32 v1, v5, v1
	v_or_b32_sdwa v2, v2, v4 dst_sel:WORD_1 dst_unused:UNUSED_PAD src0_sel:DWORD src1_sel:DWORD
	v_or_b32_sdwa v1, v1, v2 dst_sel:DWORD dst_unused:UNUSED_PAD src0_sel:WORD_0 src1_sel:DWORD
	v_lshl_add_u32 v2, v0, 2, v23
	s_movk_i32 s6, 0xa0
	v_mad_u32_u24 v7, v0, s6, v2
	v_lshlrev_b16_e32 v21, 8, v21
	v_lshlrev_b16_e32 v20, 8, v20
	v_or_b32_e32 v17, v17, v21
	v_or_b32_sdwa v18, v18, v20 dst_sel:WORD_1 dst_unused:UNUSED_PAD src0_sel:DWORD src1_sel:DWORD
	s_waitcnt vmcnt(0)
	v_cmp_ne_u32_e32 vcc, v22, v6
	v_or_b32_sdwa v82, v17, v18 dst_sel:DWORD dst_unused:UNUSED_PAD src0_sel:WORD_0 src1_sel:DWORD
	v_cndmask_b32_e64 v104, 0, 1, vcc
	s_mov_b64 s[6:7], -1
                                        ; kill: def $vgpr6 killed $sgpr0 killed $exec
                                        ; implicit-def: $vgpr123
                                        ; implicit-def: $vgpr116
                                        ; implicit-def: $vgpr111
                                        ; implicit-def: $vgpr108
                                        ; implicit-def: $sgpr8
                                        ; implicit-def: $sgpr64
                                        ; implicit-def: $vgpr109
                                        ; implicit-def: $vgpr110
                                        ; implicit-def: $vgpr112
                                        ; implicit-def: $vgpr113
                                        ; implicit-def: $vgpr114
                                        ; implicit-def: $vgpr115
                                        ; implicit-def: $vgpr117
                                        ; implicit-def: $vgpr118
                                        ; implicit-def: $vgpr23
                                        ; implicit-def: $vgpr119
                                        ; implicit-def: $vgpr120
                                        ; implicit-def: $vgpr19
                                        ; implicit-def: $vgpr121
                                        ; implicit-def: $vgpr122
                                        ; implicit-def: $vgpr15
                                        ; implicit-def: $vgpr124
                                        ; implicit-def: $vgpr125
                                        ; implicit-def: $vgpr11
                                        ; implicit-def: $vgpr126
                                        ; implicit-def: $vgpr127
	s_waitcnt lgkmcnt(0)
	ds_write2st64_b64 v2, v[26:27], v[28:29] offset1:1
	ds_write2st64_b64 v2, v[30:31], v[32:33] offset0:2 offset1:3
	ds_write2st64_b64 v2, v[34:35], v[36:37] offset0:4 offset1:5
	;; [unrolled: 1-line block ×9, first 2 shown]
	ds_write_b64 v2, v[66:67] offset:10240
	s_waitcnt lgkmcnt(0)
	; wave barrier
	s_waitcnt lgkmcnt(0)
	ds_read2_b64 v[2:5], v7 offset1:1
	ds_read2_b64 v[76:79], v7 offset0:2 offset1:3
	ds_read2_b64 v[72:75], v7 offset0:4 offset1:5
	;; [unrolled: 1-line block ×9, first 2 shown]
	ds_read_b64 v[28:29], v7 offset:160
                                        ; implicit-def: $vgpr47
                                        ; implicit-def: $vgpr43
                                        ; implicit-def: $vgpr39
                                        ; implicit-def: $vgpr31
                                        ; implicit-def: $vgpr7
.LBB1965_143:
	s_mov_b64 s[90:91], s[66:67]
	v_mov_b32_e32 v25, s64
	v_mov_b32_e32 v33, s64
	;; [unrolled: 1-line block ×3, first 2 shown]
	s_and_saveexec_b64 s[8:9], s[6:7]
	s_cbranch_execz .LBB1965_145
; %bb.144:
	v_cndmask_b32_e64 v40, 0, 1, s[4:5]
	s_waitcnt lgkmcnt(0)
	v_mov_b32_e32 v6, v4
	v_mov_b32_e32 v7, v5
	;; [unrolled: 1-line block ×42, first 2 shown]
.LBB1965_145:
	s_or_b64 exec, exec, s[8:9]
	s_waitcnt lgkmcnt(1)
	v_and_b32_e32 v37, 1, v106
	v_and_b32_e32 v41, 1, v107
	;; [unrolled: 1-line block ×4, first 2 shown]
	s_cmp_lg_u32 s33, 0
	v_lshrrev_b32_e32 v133, 8, v123
	v_lshrrev_b32_e32 v132, 8, v116
	v_lshrrev_b32_e32 v131, 8, v111
	v_lshrrev_b32_e32 v130, 8, v108
	v_cmp_eq_u32_e32 vcc, 1, v37
	v_cmp_eq_u32_e64 s[48:49], 1, v41
	v_cmp_eq_u32_e64 s[50:51], 1, v128
	;; [unrolled: 1-line block ×3, first 2 shown]
	s_waitcnt lgkmcnt(0)
	v_mbcnt_lo_u32_b32 v29, -1, 0
	s_waitcnt lgkmcnt(0)
	; wave barrier
	s_cbranch_scc0 .LBB1965_208
; %bb.146:
	v_mov_b32_e32 v1, 0
	v_cmp_eq_u16_sdwa s[6:7], v123, v1 src0_sel:BYTE_0 src1_sel:DWORD
	v_cndmask_b32_e64 v4, 0, v2, s[6:7]
	s_movk_i32 s4, 0xff
	v_add_u32_e32 v4, v4, v6
	v_writelane_b32 v134, s6, 2
	v_cndmask_b32_e64 v5, 0, v3, s[6:7]
	v_cmp_eq_u16_sdwa s[94:95], v133, v1 src0_sel:BYTE_0 src1_sel:DWORD
	v_add_u32_e32 v5, v5, v7
	v_cndmask_b32_e64 v4, 0, v4, s[94:95]
	v_and_b32_sdwa v8, v123, s4 dst_sel:DWORD dst_unused:UNUSED_PAD src0_sel:WORD_1 src1_sel:DWORD
	v_writelane_b32 v134, s7, 3
	v_add_u32_e32 v4, v4, v127
	v_cndmask_b32_e64 v5, 0, v5, s[94:95]
	v_cmp_eq_u16_e64 s[6:7], 0, v8
	v_add_u32_e32 v5, v5, v126
	v_cndmask_b32_e64 v4, 0, v4, s[6:7]
	v_add_u32_e32 v4, v4, v10
	v_cndmask_b32_e64 v5, 0, v5, s[6:7]
	v_cmp_eq_u16_sdwa s[12:13], v123, v1 src0_sel:BYTE_3 src1_sel:DWORD
	v_add_u32_e32 v5, v5, v11
	v_cndmask_b32_e64 v4, 0, v4, s[12:13]
	v_add_u32_e32 v4, v4, v125
	v_cndmask_b32_e64 v5, 0, v5, s[12:13]
	v_cmp_eq_u16_sdwa s[88:89], v106, v1 src0_sel:BYTE_0 src1_sel:DWORD
	v_add_u32_e32 v5, v5, v124
	v_cndmask_b32_e64 v4, 0, v4, s[88:89]
	v_add_u32_e32 v4, v4, v14
	v_cndmask_b32_e64 v5, 0, v5, s[88:89]
	v_cmp_eq_u16_sdwa s[16:17], v116, v1 src0_sel:BYTE_0 src1_sel:DWORD
	;; [unrolled: 5-line block ×3, first 2 shown]
	v_add_u32_e32 v5, v5, v121
	v_cndmask_b32_e64 v4, 0, v4, s[18:19]
	v_and_b32_sdwa v8, v116, s4 dst_sel:DWORD dst_unused:UNUSED_PAD src0_sel:WORD_1 src1_sel:DWORD
	v_add_u32_e32 v4, v4, v18
	v_cndmask_b32_e64 v5, 0, v5, s[18:19]
	v_cmp_eq_u16_e64 s[20:21], 0, v8
	v_add_u32_e32 v5, v5, v19
	v_cndmask_b32_e64 v4, 0, v4, s[20:21]
	v_add_u32_e32 v4, v4, v120
	v_cndmask_b32_e64 v5, 0, v5, s[20:21]
	v_cmp_eq_u16_sdwa s[22:23], v116, v1 src0_sel:BYTE_3 src1_sel:DWORD
	v_add_u32_e32 v5, v5, v119
	v_cndmask_b32_e64 v4, 0, v4, s[22:23]
	v_add_u32_e32 v4, v4, v22
	v_cndmask_b32_e64 v5, 0, v5, s[22:23]
	v_cmp_eq_u16_sdwa s[24:25], v107, v1 src0_sel:BYTE_0 src1_sel:DWORD
	v_add_u32_e32 v5, v5, v23
	v_cndmask_b32_e64 v4, 0, v4, s[24:25]
	v_add_u32_e32 v4, v4, v118
	v_cndmask_b32_e64 v5, 0, v5, s[24:25]
	v_cmp_eq_u16_sdwa s[26:27], v111, v1 src0_sel:BYTE_0 src1_sel:DWORD
	;; [unrolled: 5-line block ×3, first 2 shown]
	v_add_u32_e32 v5, v5, v31
	v_cndmask_b32_e64 v4, 0, v4, s[28:29]
	v_and_b32_sdwa v8, v111, s4 dst_sel:DWORD dst_unused:UNUSED_PAD src0_sel:WORD_1 src1_sel:DWORD
	v_add_u32_e32 v4, v4, v115
	v_cndmask_b32_e64 v5, 0, v5, s[28:29]
	v_cmp_eq_u16_e64 s[30:31], 0, v8
	v_add_u32_e32 v5, v5, v114
	v_cndmask_b32_e64 v4, 0, v4, s[30:31]
	v_add_u32_e32 v4, v4, v38
	v_cndmask_b32_e64 v5, 0, v5, s[30:31]
	v_cmp_eq_u16_sdwa s[34:35], v111, v1 src0_sel:BYTE_3 src1_sel:DWORD
	v_add_u32_e32 v5, v5, v39
	v_cndmask_b32_e64 v4, 0, v4, s[34:35]
	v_and_b32_sdwa v8, v108, s4 dst_sel:DWORD dst_unused:UNUSED_PAD src0_sel:WORD_1 src1_sel:DWORD
	v_add_u32_e32 v4, v4, v113
	v_cndmask_b32_e64 v5, 0, v5, s[34:35]
	v_cmp_eq_u16_sdwa s[36:37], v105, v1 src0_sel:BYTE_0 src1_sel:DWORD
	v_cmp_eq_u16_e64 s[42:43], 0, v8
	v_and_b32_e32 v8, 1, v123
	v_add_u32_e32 v5, v5, v112
	v_cndmask_b32_e64 v4, 0, v4, s[36:37]
	v_cmp_eq_u32_e64 s[56:57], 1, v8
	v_and_b32_e32 v8, 0x100, v123
	v_add_u32_e32 v4, v4, v42
	v_cndmask_b32_e64 v5, 0, v5, s[36:37]
	v_cmp_eq_u16_sdwa s[38:39], v108, v1 src0_sel:BYTE_0 src1_sel:DWORD
	v_cmp_ne_u32_e64 s[58:59], 0, v8
	v_and_b32_e32 v8, 0x10000, v123
	v_add_u32_e32 v5, v5, v43
	v_cndmask_b32_e64 v4, 0, v4, s[38:39]
	v_cmp_ne_u32_e64 s[60:61], 0, v8
	v_and_b32_e32 v8, 0x1000000, v123
	v_add_u32_e32 v4, v4, v110
	v_cndmask_b32_e64 v5, 0, v5, s[38:39]
	v_cmp_eq_u16_sdwa s[40:41], v130, v1 src0_sel:BYTE_0 src1_sel:DWORD
	v_cmp_ne_u32_e64 s[62:63], 0, v8
	v_and_b32_e32 v8, 1, v116
	v_add_u32_e32 v5, v5, v109
	v_cndmask_b32_e64 v4, 0, v4, s[40:41]
	v_cmp_eq_u32_e64 s[64:65], 1, v8
	v_and_b32_e32 v8, 0x100, v116
	v_add_u32_e32 v4, v4, v46
	v_cndmask_b32_e64 v5, 0, v5, s[40:41]
	v_cmp_ne_u32_e64 s[66:67], 0, v8
	v_and_b32_e32 v8, 0x10000, v116
	s_mov_b64 s[2:3], s[54:55]
	s_mov_b64 s[54:55], s[68:69]
	v_add_u32_e32 v5, v5, v47
	v_cndmask_b32_e64 v4, 0, v4, s[42:43]
	v_cmp_ne_u32_e64 s[68:69], 0, v8
	v_and_b32_e32 v8, 0x1000000, v116
	v_add_u32_e32 v4, v4, v34
	v_cndmask_b32_e64 v5, 0, v5, s[42:43]
	v_cmp_eq_u16_sdwa s[44:45], v108, v1 src0_sel:BYTE_3 src1_sel:DWORD
	v_cmp_ne_u32_e64 s[70:71], 0, v8
	v_and_b32_e32 v8, 1, v111
	s_mov_b64 s[0:1], s[72:73]
	v_add_u32_e32 v5, v5, v35
	v_cndmask_b32_e64 v4, 0, v4, s[44:45]
	v_cmp_eq_u32_e64 s[72:73], 1, v8
	v_and_b32_e32 v8, 0x100, v111
	s_mov_b32 s11, s74
	v_add_u32_e32 v4, v4, v26
	v_cndmask_b32_e64 v5, 0, v5, s[44:45]
	v_cmp_eq_u16_sdwa s[46:47], v40, v1 src0_sel:BYTE_0 src1_sel:DWORD
	v_cmp_ne_u32_e64 s[74:75], 0, v8
	v_and_b32_e32 v8, 0x10000, v111
	v_add_u32_e32 v5, v5, v27
	v_cndmask_b32_e64 v1, 0, v4, s[46:47]
	v_cmp_ne_u32_e64 s[76:77], 0, v8
	v_and_b32_e32 v8, 0x1000000, v111
	s_mov_b64 s[8:9], s[80:81]
	s_mov_b64 s[14:15], s[78:79]
	v_add_u32_e32 v4, v1, v25
	v_cndmask_b32_e64 v1, 0, v5, s[46:47]
	v_cmp_ne_u32_e64 s[78:79], 0, v8
	v_and_b32_e32 v8, 1, v108
	s_mov_b32 s10, s82
	v_add_u32_e32 v5, v1, v33
	v_and_b32_e32 v1, 0x1000000, v108
	v_cmp_eq_u32_e64 s[80:81], 1, v8
	v_and_b32_e32 v8, 0x100, v108
	v_cmp_ne_u32_e64 s[4:5], 0, v1
	v_cmp_ne_u32_e64 s[82:83], 0, v8
	v_and_b32_e32 v8, 0x10000, v108
	v_cmp_ne_u32_e64 s[84:85], 0, v8
	s_or_b64 s[4:5], s[52:53], s[4:5]
	s_or_b64 s[4:5], s[4:5], s[84:85]
	;; [unrolled: 1-line block ×14, first 2 shown]
	s_or_b64 s[4:5], s[4:5], vcc
	s_or_b64 s[4:5], s[4:5], s[62:63]
	s_or_b64 s[4:5], s[4:5], s[60:61]
	;; [unrolled: 1-line block ×3, first 2 shown]
	v_and_b32_e32 v1, 0xff, v104
	s_or_b64 s[4:5], s[4:5], s[56:57]
	v_mbcnt_hi_u32_b32 v9, -1, v29
	v_cndmask_b32_e64 v1, v1, 1, s[4:5]
	v_and_b32_e32 v8, 15, v9
	v_mov_b32_dpp v12, v4 row_shr:1 row_mask:0xf bank_mask:0xf
	v_mov_b32_dpp v13, v5 row_shr:1 row_mask:0xf bank_mask:0xf
	;; [unrolled: 1-line block ×3, first 2 shown]
	v_cmp_ne_u32_e32 vcc, 0, v8
	s_and_saveexec_b64 s[4:5], vcc
; %bb.147:
	v_cmp_eq_u32_e32 vcc, 0, v1
	v_cndmask_b32_e32 v12, 0, v12, vcc
	v_add_u32_e32 v4, v12, v4
	v_cndmask_b32_e32 v12, 0, v13, vcc
	v_add_u32_e32 v5, v12, v5
	v_and_or_b32 v1, v16, 1, v1
; %bb.148:
	s_or_b64 exec, exec, s[4:5]
	v_mov_b32_dpp v13, v4 row_shr:2 row_mask:0xf bank_mask:0xf
	v_mov_b32_dpp v16, v5 row_shr:2 row_mask:0xf bank_mask:0xf
	v_mov_b32_dpp v12, v1 row_shr:2 row_mask:0xf bank_mask:0xf
	v_cmp_lt_u32_e32 vcc, 1, v8
	s_and_saveexec_b64 s[4:5], vcc
; %bb.149:
	v_add_u32_e32 v13, v13, v4
	v_add_u32_e32 v16, v16, v5
	v_cmp_eq_u32_e32 vcc, 0, v1
	v_or_b32_e32 v1, v12, v1
	v_cndmask_b32_e32 v4, v4, v13, vcc
	v_cndmask_b32_e32 v5, v5, v16, vcc
	v_and_b32_e32 v1, 1, v1
; %bb.150:
	s_or_b64 exec, exec, s[4:5]
	v_mov_b32_dpp v13, v4 row_shr:4 row_mask:0xf bank_mask:0xf
	v_mov_b32_dpp v16, v5 row_shr:4 row_mask:0xf bank_mask:0xf
	;; [unrolled: 1-line block ×3, first 2 shown]
	v_cmp_lt_u32_e32 vcc, 3, v8
	s_and_saveexec_b64 s[4:5], vcc
	s_mov_b32 s82, s10
	s_mov_b64 s[66:67], s[90:91]
	s_mov_b64 s[68:69], s[54:55]
	s_mov_b64 s[54:55], s[2:3]
	s_mov_b64 s[78:79], s[14:15]
	s_mov_b64 s[72:73], s[0:1]
	s_mov_b64 s[80:81], s[8:9]
	s_mov_b32 s74, s11
; %bb.151:
	v_add_u32_e32 v13, v13, v4
	v_add_u32_e32 v16, v16, v5
	v_cmp_eq_u32_e32 vcc, 0, v1
	v_or_b32_e32 v1, v12, v1
	v_cndmask_b32_e32 v4, v4, v13, vcc
	v_cndmask_b32_e32 v5, v5, v16, vcc
	v_and_b32_e32 v1, 1, v1
; %bb.152:
	s_or_b64 exec, exec, s[4:5]
	v_mov_b32_dpp v13, v4 row_shr:8 row_mask:0xf bank_mask:0xf
	v_mov_b32_dpp v16, v5 row_shr:8 row_mask:0xf bank_mask:0xf
	;; [unrolled: 1-line block ×3, first 2 shown]
	v_cmp_lt_u32_e32 vcc, 7, v8
	s_and_saveexec_b64 s[4:5], vcc
; %bb.153:
	v_add_u32_e32 v8, v13, v4
	v_add_u32_e32 v13, v16, v5
	v_cmp_eq_u32_e32 vcc, 0, v1
	v_or_b32_e32 v1, v12, v1
	v_cndmask_b32_e32 v4, v4, v8, vcc
	v_cndmask_b32_e32 v5, v5, v13, vcc
	v_and_b32_e32 v1, 1, v1
; %bb.154:
	s_or_b64 exec, exec, s[4:5]
	v_and_b32_e32 v16, 16, v9
	v_mov_b32_dpp v12, v4 row_bcast:15 row_mask:0xf bank_mask:0xf
	v_mov_b32_dpp v13, v5 row_bcast:15 row_mask:0xf bank_mask:0xf
	;; [unrolled: 1-line block ×3, first 2 shown]
	v_cmp_ne_u32_e32 vcc, 0, v16
	s_and_saveexec_b64 s[4:5], vcc
; %bb.155:
	v_add_u32_e32 v12, v12, v4
	v_add_u32_e32 v13, v13, v5
	v_cmp_eq_u32_e32 vcc, 0, v1
	v_or_b32_e32 v1, v8, v1
	v_cndmask_b32_e32 v4, v4, v12, vcc
	v_cndmask_b32_e32 v5, v5, v13, vcc
	v_and_b32_e32 v1, 1, v1
; %bb.156:
	s_or_b64 exec, exec, s[4:5]
	v_mov_b32_dpp v12, v4 row_bcast:31 row_mask:0xf bank_mask:0xf
	v_mov_b32_dpp v13, v5 row_bcast:31 row_mask:0xf bank_mask:0xf
	;; [unrolled: 1-line block ×3, first 2 shown]
	v_cmp_lt_u32_e32 vcc, 31, v9
	s_and_saveexec_b64 s[4:5], vcc
; %bb.157:
	v_add_u32_e32 v12, v12, v4
	v_add_u32_e32 v13, v13, v5
	v_cmp_eq_u32_e32 vcc, 0, v1
	v_or_b32_e32 v1, v8, v1
	v_cndmask_b32_e32 v4, v4, v12, vcc
	v_cndmask_b32_e32 v5, v5, v13, vcc
	v_and_b32_e32 v1, 1, v1
; %bb.158:
	s_or_b64 exec, exec, s[4:5]
	v_cmp_eq_u32_e32 vcc, 63, v0
	s_and_saveexec_b64 s[4:5], vcc
	s_cbranch_execz .LBB1965_160
; %bb.159:
	v_mov_b32_e32 v8, 0
	ds_write_b64 v8, v[4:5]
	ds_write_b8 v8, v1 offset:8
.LBB1965_160:
	s_or_b64 exec, exec, s[4:5]
	v_add_u32_e32 v8, -1, v9
	v_and_b32_e32 v12, 64, v9
	v_cmp_lt_i32_e32 vcc, v8, v12
	v_cndmask_b32_e32 v8, v8, v9, vcc
	v_lshlrev_b32_e32 v8, 2, v8
	ds_bpermute_b32 v52, v8, v4
	ds_bpermute_b32 v45, v8, v5
	;; [unrolled: 1-line block ×3, first 2 shown]
	v_cmp_gt_u32_e32 vcc, 64, v0
	s_waitcnt lgkmcnt(0)
	; wave barrier
	s_waitcnt lgkmcnt(0)
	s_and_saveexec_b64 s[50:51], vcc
	s_cbranch_execz .LBB1965_205
; %bb.161:
	v_mov_b32_e32 v13, 0
	ds_read_b64 v[4:5], v13
	ds_read_b32 v53, v13 offset:8
	s_mov_b32 s53, 0
	v_cmp_eq_u32_e64 s[48:49], 0, v9
	s_waitcnt lgkmcnt(1)
	v_readfirstlane_b32 s56, v5
	s_and_saveexec_b64 s[4:5], s[48:49]
	s_cbranch_execz .LBB1965_163
; %bb.162:
	s_add_i32 s52, s33, 64
	s_lshl_b64 s[58:59], s[52:53], 4
	s_add_u32 s58, s80, s58
	s_waitcnt lgkmcnt(0)
	v_and_b32_e32 v8, 0xff00, v53
	s_addc_u32 s59, s81, s59
	v_and_b32_e32 v5, 0xff0000, v53
	v_or_b32_sdwa v8, v8, v53 dst_sel:DWORD dst_unused:UNUSED_PAD src0_sel:DWORD src1_sel:BYTE_0
	s_and_b32 s61, s56, 0xff000000
	s_mov_b32 s60, s53
	s_and_b32 s63, s56, 0xff0000
	s_mov_b32 s62, s53
	v_and_b32_e32 v1, 0xff000000, v53
	v_or_b32_e32 v5, v8, v5
	s_and_b32 s65, s56, 0xff00
	s_mov_b32 s64, s53
	s_and_b32 s57, s56, 0xff
	s_or_b64 s[52:53], s[60:61], s[62:63]
	v_or_b32_e32 v50, v5, v1
	s_or_b64 s[52:53], s[52:53], s[64:65]
	v_mov_b32_e32 v1, s57
	v_or_b32_e32 v48, s52, v4
	v_or_b32_e32 v49, s53, v1
	v_mov_b32_e32 v51, 1
	v_pk_mov_b32 v[16:17], s[58:59], s[58:59] op_sel:[0,1]
	;;#ASMSTART
	global_store_dwordx4 v[16:17], v[48:51] off	
s_waitcnt vmcnt(0)
	;;#ASMEND
.LBB1965_163:
	s_or_b64 exec, exec, s[4:5]
	v_xad_u32 v8, v9, -1, s33
	v_add_u32_e32 v12, 64, v8
	v_lshlrev_b64 v[16:17], 4, v[12:13]
	v_mov_b32_e32 v1, s81
	v_add_co_u32_e32 v16, vcc, s80, v16
	v_addc_co_u32_e32 v17, vcc, v1, v17, vcc
	;;#ASMSTART
	global_load_dwordx4 v[48:51], v[16:17] off glc	
s_waitcnt vmcnt(0)
	;;#ASMEND
	v_lshlrev_b64 v[54:55], 24, v[50:51]
	v_lshrrev_b32_e32 v1, 8, v49
	v_or_b32_e32 v20, v1, v54
	v_lshlrev_b64 v[54:55], 16, v[50:51]
	v_or_b32_sdwa v24, v49, v54 dst_sel:DWORD dst_unused:UNUSED_PAD src0_sel:WORD_1 src1_sel:DWORD
	v_lshlrev_b64 v[54:55], 8, v[50:51]
	v_alignbit_b32 v5, v49, v48, 8
	v_alignbit_b32 v32, v49, v48, 16
	;; [unrolled: 1-line block ×3, first 2 shown]
	v_mov_b32_e32 v12, v49
	v_or_b32_sdwa v28, v49, v54 dst_sel:DWORD dst_unused:UNUSED_PAD src0_sel:BYTE_3 src1_sel:DWORD
	v_cmp_eq_u16_sdwa s[52:53], v51, v13 src0_sel:BYTE_0 src1_sel:DWORD
	s_and_saveexec_b64 s[4:5], s[52:53]
	s_cbranch_execz .LBB1965_169
; %bb.164:
	s_mov_b32 s57, 1
	s_mov_b64 s[52:53], 0
	v_mov_b32_e32 v1, 0
.LBB1965_165:                           ; =>This Loop Header: Depth=1
                                        ;     Child Loop BB1965_166 Depth 2
	s_max_u32 s58, s57, 1
.LBB1965_166:                           ;   Parent Loop BB1965_165 Depth=1
                                        ; =>  This Inner Loop Header: Depth=2
	s_add_i32 s58, s58, -1
	s_cmp_eq_u32 s58, 0
	s_sleep 1
	s_cbranch_scc0 .LBB1965_166
; %bb.167:                              ;   in Loop: Header=BB1965_165 Depth=1
	s_cmp_lt_u32 s57, 32
	s_cselect_b64 s[58:59], -1, 0
	s_cmp_lg_u64 s[58:59], 0
	s_addc_u32 s57, s57, 0
	;;#ASMSTART
	global_load_dwordx4 v[48:51], v[16:17] off glc	
s_waitcnt vmcnt(0)
	;;#ASMEND
	v_cmp_ne_u16_sdwa s[58:59], v51, v1 src0_sel:BYTE_0 src1_sel:DWORD
	s_or_b64 s[52:53], s[58:59], s[52:53]
	s_andn2_b64 exec, exec, s[52:53]
	s_cbranch_execnz .LBB1965_165
; %bb.168:
	s_or_b64 exec, exec, s[52:53]
	v_lshlrev_b64 v[16:17], 24, v[50:51]
	v_lshrrev_b32_e32 v1, 8, v49
	v_or_b32_e32 v20, v1, v16
	v_lshlrev_b64 v[16:17], 16, v[50:51]
	v_or_b32_sdwa v24, v49, v16 dst_sel:DWORD dst_unused:UNUSED_PAD src0_sel:WORD_1 src1_sel:DWORD
	v_lshlrev_b64 v[16:17], 8, v[50:51]
	v_alignbit_b32 v5, v49, v48, 8
	v_alignbit_b32 v32, v49, v48, 16
	;; [unrolled: 1-line block ×3, first 2 shown]
	v_mov_b32_e32 v12, v49
	v_or_b32_sdwa v28, v49, v16 dst_sel:DWORD dst_unused:UNUSED_PAD src0_sel:BYTE_3 src1_sel:DWORD
.LBB1965_169:
	s_or_b64 exec, exec, s[4:5]
	v_lshlrev_b32_e32 v13, 16, v24
	v_lshlrev_b32_e32 v1, 24, v28
	v_and_b32_e32 v13, 0xff0000, v13
	v_or_b32_e32 v1, v13, v1
	v_lshlrev_b32_e32 v13, 8, v20
	v_and_b32_e32 v13, 0xff00, v13
	v_and_b32_e32 v12, 0xff, v12
	v_or3_b32 v1, v1, v13, v12
	v_lshlrev_b32_e32 v12, 16, v32
	s_mov_b32 s4, 0x4020c0c
	v_lshlrev_b32_e32 v5, 8, v5
	v_perm_b32 v12, v21, v12, s4
	s_mov_b32 s4, 0xc0c0500
	v_perm_b32 v5, v5, v48, s4
	v_or_b32_e32 v20, v5, v12
	v_mov_b32_e32 v5, 2
	v_cmp_eq_u16_sdwa s[4:5], v51, v5 src0_sel:BYTE_0 src1_sel:DWORD
	v_lshlrev_b64 v[12:13], v9, -1
	v_and_b32_e32 v5, s5, v13
	v_or_b32_e32 v5, 0x80000000, v5
	v_ffbl_b32_e32 v32, v5
	v_and_b32_e32 v5, 63, v9
	v_cmp_ne_u32_e32 vcc, 63, v5
	v_addc_co_u32_e32 v17, vcc, 0, v9, vcc
	v_and_b32_e32 v24, 0xff, v50
	v_lshlrev_b32_e32 v54, 2, v17
	ds_bpermute_b32 v28, v54, v20
	ds_bpermute_b32 v21, v54, v1
	;; [unrolled: 1-line block ×3, first 2 shown]
	v_and_b32_e32 v16, s4, v12
	v_add_u32_e32 v32, 32, v32
	v_ffbl_b32_e32 v16, v16
	v_min_u32_e32 v16, v16, v32
	v_cmp_lt_u32_e32 vcc, v5, v16
	s_and_saveexec_b64 s[4:5], vcc
	s_cbranch_execz .LBB1965_171
; %bb.170:
	v_mov_b32_e32 v24, 0
	v_cmp_eq_u16_sdwa vcc, v50, v24 src0_sel:BYTE_0 src1_sel:DWORD
	s_waitcnt lgkmcnt(0)
	v_or_b32_e32 v17, v50, v17
	v_cndmask_b32_e32 v24, 0, v28, vcc
	v_cndmask_b32_e32 v21, 0, v21, vcc
	v_and_b32_e32 v50, 1, v17
	v_add_u32_e32 v20, v24, v20
	v_add_u32_e32 v1, v21, v1
	v_and_b32_e32 v24, 0xffff, v50
.LBB1965_171:
	s_or_b64 exec, exec, s[4:5]
	v_cmp_gt_u32_e32 vcc, 62, v5
	s_waitcnt lgkmcnt(0)
	v_cndmask_b32_e64 v17, 0, 1, vcc
	v_lshlrev_b32_e32 v17, 1, v17
	v_add_lshl_u32 v55, v17, v9, 2
	ds_bpermute_b32 v21, v55, v20
	ds_bpermute_b32 v28, v55, v1
	ds_bpermute_b32 v17, v55, v24
	v_add_u32_e32 v56, 2, v5
	v_cmp_le_u32_e32 vcc, v56, v16
	s_and_saveexec_b64 s[4:5], vcc
	s_cbranch_execz .LBB1965_173
; %bb.172:
	v_mov_b32_e32 v24, 0
	s_waitcnt lgkmcnt(0)
	v_or_b32_e32 v17, v17, v50
	v_add_u32_e32 v21, v21, v20
	v_add_u32_e32 v28, v28, v1
	v_cmp_eq_u16_sdwa vcc, v50, v24 src0_sel:BYTE_0 src1_sel:DWORD
	v_and_b32_e32 v24, 1, v17
	v_cndmask_b32_e32 v20, v20, v21, vcc
	v_cndmask_b32_e32 v1, v1, v28, vcc
	v_mov_b32_e32 v50, v24
.LBB1965_173:
	s_or_b64 exec, exec, s[4:5]
	v_cmp_gt_u32_e32 vcc, 60, v5
	s_waitcnt lgkmcnt(0)
	v_cndmask_b32_e64 v17, 0, 1, vcc
	v_lshlrev_b32_e32 v17, 2, v17
	v_add_lshl_u32 v57, v17, v9, 2
	ds_bpermute_b32 v21, v57, v20
	ds_bpermute_b32 v28, v57, v1
	ds_bpermute_b32 v17, v57, v24
	v_add_u32_e32 v58, 4, v5
	v_cmp_le_u32_e32 vcc, v58, v16
	s_and_saveexec_b64 s[4:5], vcc
	s_cbranch_execz .LBB1965_175
; %bb.174:
	v_mov_b32_e32 v24, 0
	s_waitcnt lgkmcnt(0)
	v_or_b32_e32 v17, v17, v50
	v_add_u32_e32 v21, v21, v20
	v_add_u32_e32 v28, v28, v1
	v_cmp_eq_u16_sdwa vcc, v50, v24 src0_sel:BYTE_0 src1_sel:DWORD
	v_and_b32_e32 v24, 1, v17
	v_cndmask_b32_e32 v20, v20, v21, vcc
	v_cndmask_b32_e32 v1, v1, v28, vcc
	v_mov_b32_e32 v50, v24
.LBB1965_175:
	;; [unrolled: 25-line block ×4, first 2 shown]
	s_or_b64 exec, exec, s[4:5]
	v_cmp_gt_u32_e32 vcc, 32, v5
	s_waitcnt lgkmcnt(0)
	v_cndmask_b32_e64 v17, 0, 1, vcc
	v_lshlrev_b32_e32 v17, 5, v17
	v_add_lshl_u32 v64, v17, v9, 2
	ds_bpermute_b32 v17, v64, v20
	ds_bpermute_b32 v21, v64, v1
	;; [unrolled: 1-line block ×3, first 2 shown]
	v_add_u32_e32 v65, 32, v5
	v_cmp_le_u32_e32 vcc, v65, v16
	s_and_saveexec_b64 s[4:5], vcc
	s_cbranch_execz .LBB1965_181
; %bb.180:
	v_mov_b32_e32 v16, 0
	s_waitcnt lgkmcnt(2)
	v_add_u32_e32 v17, v17, v20
	s_waitcnt lgkmcnt(1)
	v_add_u32_e32 v21, v21, v1
	v_cmp_eq_u16_sdwa vcc, v50, v16 src0_sel:BYTE_0 src1_sel:DWORD
	s_waitcnt lgkmcnt(0)
	v_or_b32_e32 v9, v9, v50
	v_cndmask_b32_e32 v20, v20, v17, vcc
	v_cndmask_b32_e32 v1, v1, v21, vcc
	v_and_b32_e32 v24, 1, v9
.LBB1965_181:
	s_or_b64 exec, exec, s[4:5]
	s_movk_i32 s57, 0xff
	s_waitcnt lgkmcnt(0)
	v_mov_b32_e32 v9, 0
	s_mov_b32 s58, 0x4020c0c
	s_mov_b32 s59, 0xc0c0500
	v_mov_b32_e32 v66, 2
	s_branch .LBB1965_183
.LBB1965_182:                           ;   in Loop: Header=BB1965_183 Depth=1
	s_or_b64 exec, exec, s[4:5]
	s_waitcnt lgkmcnt(0)
	ds_bpermute_b32 v28, v64, v20
	ds_bpermute_b32 v32, v64, v1
	;; [unrolled: 1-line block ×3, first 2 shown]
	v_cmp_eq_u16_sdwa vcc, v50, v9 src0_sel:BYTE_0 src1_sel:DWORD
	v_subrev_u32_e32 v8, 64, v8
	s_waitcnt lgkmcnt(2)
	v_add_u32_e32 v28, v28, v20
	s_waitcnt lgkmcnt(1)
	v_add_u32_e32 v32, v32, v1
	v_cndmask_b32_e32 v28, v20, v28, vcc
	v_cndmask_b32_e32 v32, v1, v32, vcc
	s_waitcnt lgkmcnt(0)
	v_and_or_b32 v36, v50, s57, v36
	v_cmp_gt_u32_e32 vcc, v65, v21
	v_cndmask_b32_e32 v21, v36, v24, vcc
	v_cndmask_b32_e32 v20, v28, v20, vcc
	;; [unrolled: 1-line block ×3, first 2 shown]
	v_cmp_eq_u16_sdwa vcc, v63, v9 src0_sel:BYTE_0 src1_sel:DWORD
	v_and_b32_e32 v24, 1, v63
	v_and_b32_e32 v21, 1, v21
	v_cndmask_b32_e32 v20, 0, v20, vcc
	v_cndmask_b32_e32 v1, 0, v1, vcc
	v_cmp_eq_u32_e32 vcc, 1, v24
	v_cmp_eq_u32_e64 s[4:5], 1, v21
	s_or_b64 s[4:5], vcc, s[4:5]
	v_add_u32_e32 v20, v20, v16
	v_add_u32_e32 v1, v1, v17
	v_cndmask_b32_e64 v24, 0, 1, s[4:5]
.LBB1965_183:                           ; =>This Loop Header: Depth=1
                                        ;     Child Loop BB1965_186 Depth 2
                                        ;       Child Loop BB1965_187 Depth 3
	v_cmp_ne_u16_sdwa s[4:5], v51, v66 src0_sel:BYTE_0 src1_sel:DWORD
	v_mov_b32_e32 v17, v1
	v_cndmask_b32_e64 v1, 0, 1, s[4:5]
	;;#ASMSTART
	;;#ASMEND
	v_cmp_ne_u32_e32 vcc, 0, v1
	v_mov_b32_e32 v63, v24
	s_cmp_lg_u64 vcc, exec
	v_mov_b32_e32 v16, v20
	s_cbranch_scc1 .LBB1965_200
; %bb.184:                              ;   in Loop: Header=BB1965_183 Depth=1
	v_lshlrev_b64 v[20:21], 4, v[8:9]
	v_mov_b32_e32 v1, s81
	v_add_co_u32_e32 v20, vcc, s80, v20
	v_addc_co_u32_e32 v21, vcc, v1, v21, vcc
	;;#ASMSTART
	global_load_dwordx4 v[48:51], v[20:21] off glc	
s_waitcnt vmcnt(0)
	;;#ASMEND
	v_lshlrev_b64 v[70:71], 24, v[50:51]
	v_lshrrev_b32_e32 v1, 8, v49
	v_or_b32_e32 v28, v1, v70
	v_lshlrev_b64 v[70:71], 16, v[50:51]
	v_or_b32_sdwa v32, v49, v70 dst_sel:DWORD dst_unused:UNUSED_PAD src0_sel:WORD_1 src1_sel:DWORD
	v_lshlrev_b64 v[70:71], 8, v[50:51]
	v_alignbit_b32 v67, v49, v48, 8
	v_alignbit_b32 v68, v49, v48, 16
	;; [unrolled: 1-line block ×3, first 2 shown]
	v_mov_b32_e32 v24, v49
	v_or_b32_sdwa v36, v49, v70 dst_sel:DWORD dst_unused:UNUSED_PAD src0_sel:BYTE_3 src1_sel:DWORD
	v_cmp_eq_u16_sdwa s[52:53], v51, v9 src0_sel:BYTE_0 src1_sel:DWORD
	s_and_saveexec_b64 s[4:5], s[52:53]
	s_cbranch_execz .LBB1965_190
; %bb.185:                              ;   in Loop: Header=BB1965_183 Depth=1
	s_mov_b32 s60, 1
	s_mov_b64 s[52:53], 0
.LBB1965_186:                           ;   Parent Loop BB1965_183 Depth=1
                                        ; =>  This Loop Header: Depth=2
                                        ;       Child Loop BB1965_187 Depth 3
	s_max_u32 s61, s60, 1
.LBB1965_187:                           ;   Parent Loop BB1965_183 Depth=1
                                        ;     Parent Loop BB1965_186 Depth=2
                                        ; =>    This Inner Loop Header: Depth=3
	s_add_i32 s61, s61, -1
	s_cmp_eq_u32 s61, 0
	s_sleep 1
	s_cbranch_scc0 .LBB1965_187
; %bb.188:                              ;   in Loop: Header=BB1965_186 Depth=2
	s_cmp_lt_u32 s60, 32
	s_cselect_b64 s[62:63], -1, 0
	s_cmp_lg_u64 s[62:63], 0
	s_addc_u32 s60, s60, 0
	;;#ASMSTART
	global_load_dwordx4 v[48:51], v[20:21] off glc	
s_waitcnt vmcnt(0)
	;;#ASMEND
	v_cmp_ne_u16_sdwa s[62:63], v51, v9 src0_sel:BYTE_0 src1_sel:DWORD
	s_or_b64 s[52:53], s[62:63], s[52:53]
	s_andn2_b64 exec, exec, s[52:53]
	s_cbranch_execnz .LBB1965_186
; %bb.189:                              ;   in Loop: Header=BB1965_183 Depth=1
	s_or_b64 exec, exec, s[52:53]
	v_lshlrev_b64 v[20:21], 24, v[50:51]
	v_lshrrev_b32_e32 v1, 8, v49
	v_or_b32_e32 v28, v1, v20
	v_lshlrev_b64 v[20:21], 16, v[50:51]
	v_or_b32_sdwa v32, v49, v20 dst_sel:DWORD dst_unused:UNUSED_PAD src0_sel:WORD_1 src1_sel:DWORD
	v_lshlrev_b64 v[20:21], 8, v[50:51]
	v_alignbit_b32 v67, v49, v48, 8
	v_alignbit_b32 v68, v49, v48, 16
	;; [unrolled: 1-line block ×3, first 2 shown]
	v_mov_b32_e32 v24, v49
	v_or_b32_sdwa v36, v49, v20 dst_sel:DWORD dst_unused:UNUSED_PAD src0_sel:BYTE_3 src1_sel:DWORD
.LBB1965_190:                           ;   in Loop: Header=BB1965_183 Depth=1
	s_or_b64 exec, exec, s[4:5]
	v_lshlrev_b32_e32 v20, 16, v32
	v_lshlrev_b32_e32 v1, 24, v36
	v_and_b32_e32 v20, 0xff0000, v20
	v_or_b32_e32 v1, v20, v1
	v_lshlrev_b32_e32 v20, 8, v28
	v_and_b32_e32 v20, 0xff00, v20
	v_and_b32_e32 v21, 0xff, v24
	v_or3_b32 v1, v1, v20, v21
	v_lshlrev_b32_e32 v20, 16, v68
	v_lshlrev_b32_e32 v21, 8, v67
	v_perm_b32 v20, v69, v20, s58
	v_perm_b32 v21, v21, v48, s59
	v_cmp_eq_u16_sdwa s[4:5], v51, v66 src0_sel:BYTE_0 src1_sel:DWORD
	v_or_b32_e32 v20, v21, v20
	v_and_b32_e32 v21, s5, v13
	v_and_b32_e32 v24, 0xff, v50
	v_or_b32_e32 v21, 0x80000000, v21
	ds_bpermute_b32 v36, v54, v20
	ds_bpermute_b32 v32, v54, v1
	;; [unrolled: 1-line block ×3, first 2 shown]
	v_and_b32_e32 v48, s4, v12
	v_ffbl_b32_e32 v21, v21
	v_add_u32_e32 v21, 32, v21
	v_ffbl_b32_e32 v48, v48
	v_min_u32_e32 v21, v48, v21
	v_cmp_lt_u32_e32 vcc, v5, v21
	s_and_saveexec_b64 s[4:5], vcc
	s_cbranch_execz .LBB1965_192
; %bb.191:                              ;   in Loop: Header=BB1965_183 Depth=1
	v_cmp_eq_u16_sdwa vcc, v50, v9 src0_sel:BYTE_0 src1_sel:DWORD
	s_waitcnt lgkmcnt(2)
	v_cndmask_b32_e32 v24, 0, v36, vcc
	v_add_u32_e32 v20, v24, v20
	s_waitcnt lgkmcnt(1)
	v_cndmask_b32_e32 v24, 0, v32, vcc
	v_add_u32_e32 v1, v24, v1
	s_waitcnt lgkmcnt(0)
	v_or_b32_e32 v24, v28, v50
	v_and_b32_e32 v24, 1, v24
	v_mov_b32_e32 v50, v24
.LBB1965_192:                           ;   in Loop: Header=BB1965_183 Depth=1
	s_or_b64 exec, exec, s[4:5]
	s_waitcnt lgkmcnt(1)
	ds_bpermute_b32 v32, v55, v20
	ds_bpermute_b32 v36, v55, v1
	s_waitcnt lgkmcnt(2)
	ds_bpermute_b32 v28, v55, v24
	v_cmp_le_u32_e32 vcc, v56, v21
	s_and_saveexec_b64 s[4:5], vcc
	s_cbranch_execz .LBB1965_194
; %bb.193:                              ;   in Loop: Header=BB1965_183 Depth=1
	s_waitcnt lgkmcnt(2)
	v_add_u32_e32 v24, v32, v20
	v_cmp_eq_u16_sdwa vcc, v50, v9 src0_sel:BYTE_0 src1_sel:DWORD
	v_cndmask_b32_e32 v20, v20, v24, vcc
	s_waitcnt lgkmcnt(0)
	v_or_b32_e32 v24, v28, v50
	v_add_u32_e32 v32, v36, v1
	v_and_b32_e32 v24, 1, v24
	v_cndmask_b32_e32 v1, v1, v32, vcc
	v_mov_b32_e32 v50, v24
.LBB1965_194:                           ;   in Loop: Header=BB1965_183 Depth=1
	s_or_b64 exec, exec, s[4:5]
	s_waitcnt lgkmcnt(2)
	ds_bpermute_b32 v32, v57, v20
	s_waitcnt lgkmcnt(2)
	ds_bpermute_b32 v36, v57, v1
	s_waitcnt lgkmcnt(2)
	ds_bpermute_b32 v28, v57, v24
	v_cmp_le_u32_e32 vcc, v58, v21
	s_and_saveexec_b64 s[4:5], vcc
	s_cbranch_execz .LBB1965_196
; %bb.195:                              ;   in Loop: Header=BB1965_183 Depth=1
	s_waitcnt lgkmcnt(2)
	v_add_u32_e32 v24, v32, v20
	v_cmp_eq_u16_sdwa vcc, v50, v9 src0_sel:BYTE_0 src1_sel:DWORD
	v_cndmask_b32_e32 v20, v20, v24, vcc
	s_waitcnt lgkmcnt(0)
	v_or_b32_e32 v24, v28, v50
	v_add_u32_e32 v32, v36, v1
	v_and_b32_e32 v24, 1, v24
	v_cndmask_b32_e32 v1, v1, v32, vcc
	v_mov_b32_e32 v50, v24
.LBB1965_196:                           ;   in Loop: Header=BB1965_183 Depth=1
	s_or_b64 exec, exec, s[4:5]
	s_waitcnt lgkmcnt(2)
	ds_bpermute_b32 v32, v59, v20
	s_waitcnt lgkmcnt(2)
	ds_bpermute_b32 v36, v59, v1
	s_waitcnt lgkmcnt(2)
	ds_bpermute_b32 v28, v59, v24
	v_cmp_le_u32_e32 vcc, v60, v21
	s_and_saveexec_b64 s[4:5], vcc
	s_cbranch_execz .LBB1965_198
; %bb.197:                              ;   in Loop: Header=BB1965_183 Depth=1
	s_waitcnt lgkmcnt(2)
	v_add_u32_e32 v24, v32, v20
	v_cmp_eq_u16_sdwa vcc, v50, v9 src0_sel:BYTE_0 src1_sel:DWORD
	v_cndmask_b32_e32 v20, v20, v24, vcc
	s_waitcnt lgkmcnt(0)
	v_or_b32_e32 v24, v28, v50
	v_add_u32_e32 v32, v36, v1
	v_and_b32_e32 v24, 1, v24
	v_cndmask_b32_e32 v1, v1, v32, vcc
	v_mov_b32_e32 v50, v24
.LBB1965_198:                           ;   in Loop: Header=BB1965_183 Depth=1
	s_or_b64 exec, exec, s[4:5]
	s_waitcnt lgkmcnt(2)
	ds_bpermute_b32 v32, v61, v20
	s_waitcnt lgkmcnt(2)
	ds_bpermute_b32 v36, v61, v1
	s_waitcnt lgkmcnt(2)
	ds_bpermute_b32 v28, v61, v24
	v_cmp_le_u32_e32 vcc, v62, v21
	s_and_saveexec_b64 s[4:5], vcc
	s_cbranch_execz .LBB1965_182
; %bb.199:                              ;   in Loop: Header=BB1965_183 Depth=1
	s_waitcnt lgkmcnt(2)
	v_add_u32_e32 v24, v32, v20
	v_cmp_eq_u16_sdwa vcc, v50, v9 src0_sel:BYTE_0 src1_sel:DWORD
	v_cndmask_b32_e32 v20, v20, v24, vcc
	s_waitcnt lgkmcnt(0)
	v_or_b32_e32 v24, v28, v50
	v_add_u32_e32 v32, v36, v1
	v_and_b32_e32 v24, 1, v24
	v_cndmask_b32_e32 v1, v1, v32, vcc
	v_mov_b32_e32 v50, v24
	s_branch .LBB1965_182
.LBB1965_200:                           ;   in Loop: Header=BB1965_183 Depth=1
                                        ; implicit-def: $vgpr24
                                        ; implicit-def: $vgpr1
                                        ; implicit-def: $vgpr51
                                        ; implicit-def: $vgpr20_vgpr21
	s_cbranch_execz .LBB1965_183
; %bb.201:
	s_and_saveexec_b64 s[4:5], s[48:49]
	s_cbranch_execz .LBB1965_203
; %bb.202:
	v_mov_b32_e32 v1, 0
	v_cmp_eq_u16_sdwa vcc, v53, v1 src0_sel:BYTE_0 src1_sel:DWORD
	v_cndmask_b32_e32 v1, 0, v16, vcc
	s_mov_b32 s49, 0
	v_add_u32_e32 v1, v1, v4
	v_cndmask_b32_e32 v4, 0, v17, vcc
	v_or_b32_e32 v5, v53, v63
	s_add_i32 s48, s33, 64
	v_add_u32_e32 v4, s56, v4
	v_and_b32_e32 v5, 1, v5
	s_lshl_b64 s[48:49], s[48:49], 4
	s_add_u32 s48, s80, s48
	v_cmp_eq_u32_e32 vcc, 1, v5
	v_and_b32_e32 v5, 0xff000000, v4
	v_and_b32_e32 v8, 0xff0000, v4
	s_addc_u32 s49, s81, s49
	v_and_b32_e32 v9, 0xff00, v4
	v_and_b32_e32 v4, 0xff, v4
	v_or_b32_e32 v5, v5, v8
	v_cndmask_b32_e64 v50, 0, 1, vcc
	v_or3_b32 v49, v5, v9, v4
	v_or3_b32 v48, 0, 0, v1
	v_mov_b32_e32 v51, 2
	v_pk_mov_b32 v[4:5], s[48:49], s[48:49] op_sel:[0,1]
	;;#ASMSTART
	global_store_dwordx4 v[4:5], v[48:51] off	
s_waitcnt vmcnt(0)
	;;#ASMEND
.LBB1965_203:
	s_or_b64 exec, exec, s[4:5]
	s_and_b64 exec, exec, s[86:87]
	s_cbranch_execz .LBB1965_205
; %bb.204:
	v_mov_b32_e32 v1, 0
	ds_write_b64 v1, v[16:17]
	ds_write_b8 v1, v63 offset:8
.LBB1965_205:
	s_or_b64 exec, exec, s[50:51]
	v_mov_b32_e32 v1, 0
	s_waitcnt lgkmcnt(0)
	; wave barrier
	s_waitcnt lgkmcnt(0)
	ds_read_b64 v[4:5], v1
	v_mov_b32_e32 v8, v3
	v_mov_b32_e32 v9, v2
	;; [unrolled: 1-line block ×3, first 2 shown]
	s_and_saveexec_b64 s[48:49], s[54:55]
; %bb.206:
	v_cmp_eq_u16_sdwa vcc, v104, v1 src0_sel:BYTE_0 src1_sel:DWORD
	v_cndmask_b32_e32 v8, 0, v52, vcc
	v_and_b32_e32 v12, 1, v104
	v_add_u32_e32 v9, v8, v2
	v_cndmask_b32_e32 v8, 0, v45, vcc
	v_cmp_eq_u32_e32 vcc, 1, v12
	v_and_b32_e32 v12, 1, v44
	v_cmp_eq_u32_e64 s[4:5], 1, v12
	s_or_b64 s[4:5], vcc, s[4:5]
	v_add_u32_e32 v8, v8, v3
	v_cndmask_b32_e64 v12, 0, 1, s[4:5]
; %bb.207:
	s_or_b64 exec, exec, s[48:49]
	v_cmp_eq_u16_sdwa vcc, v12, v1 src0_sel:BYTE_0 src1_sel:DWORD
	s_waitcnt lgkmcnt(0)
	v_cndmask_b32_e32 v1, 0, v4, vcc
	v_readlane_b32 s4, v134, 2
	v_add_u32_e32 v82, v1, v9
	v_cndmask_b32_e32 v1, 0, v5, vcc
	v_readlane_b32 s5, v134, 3
	v_add_u32_e32 v83, v1, v8
	v_cndmask_b32_e64 v1, 0, v82, s[4:5]
	v_add_u32_e32 v44, v1, v6
	v_cndmask_b32_e64 v1, 0, v83, s[4:5]
	;; [unrolled: 2-line block ×39, first 2 shown]
	v_cndmask_b32_e64 v8, 0, v103, s[46:47]
	s_branch .LBB1965_232
.LBB1965_208:
                                        ; implicit-def: $vgpr80_vgpr81_vgpr82_vgpr83
                                        ; implicit-def: $vgpr8
                                        ; implicit-def: $vgpr1
                                        ; implicit-def: $vgpr103
                                        ; implicit-def: $vgpr101
                                        ; implicit-def: $vgpr99
                                        ; implicit-def: $vgpr97
                                        ; implicit-def: $vgpr95
                                        ; implicit-def: $vgpr93
                                        ; implicit-def: $vgpr91
                                        ; implicit-def: $vgpr89
                                        ; implicit-def: $vgpr87
                                        ; implicit-def: $vgpr45
                                        ; implicit-def: $vgpr76_vgpr77_vgpr78_vgpr79
                                        ; implicit-def: $vgpr72_vgpr73_vgpr74_vgpr75
                                        ; implicit-def: $vgpr68_vgpr69_vgpr70_vgpr71
                                        ; implicit-def: $vgpr64_vgpr65_vgpr66_vgpr67
                                        ; implicit-def: $vgpr60_vgpr61_vgpr62_vgpr63
                                        ; implicit-def: $vgpr56_vgpr57_vgpr58_vgpr59
                                        ; implicit-def: $vgpr52_vgpr53_vgpr54_vgpr55
                                        ; implicit-def: $vgpr48_vgpr49_vgpr50_vgpr51
                                        ; implicit-def: $vgpr82_vgpr83_vgpr84_vgpr85
	s_mov_b64 s[66:67], s[90:91]
	s_cbranch_execz .LBB1965_232
; %bb.209:
	v_readlane_b32 s4, v134, 0
	v_readlane_b32 s5, v134, 1
	s_cmp_lg_u64 s[4:5], 0
	s_cselect_b32 s5, s67, 0
	s_cselect_b32 s4, s66, 0
	s_cmp_lg_u64 s[4:5], 0
	s_cselect_b64 s[6:7], -1, 0
	s_and_b64 s[8:9], s[86:87], s[6:7]
	s_and_saveexec_b64 s[6:7], s[8:9]
	s_cbranch_execz .LBB1965_213
; %bb.210:
	v_mov_b32_e32 v1, 0
	v_cmp_eq_u16_sdwa s[10:11], v104, v1 src0_sel:BYTE_0 src1_sel:DWORD
	s_and_saveexec_b64 s[8:9], s[10:11]
	s_cbranch_execz .LBB1965_212
; %bb.211:
	global_load_dwordx2 v[4:5], v1, s[4:5]
	s_waitcnt vmcnt(0)
	v_add_u32_e32 v2, v4, v2
	v_add_u32_e32 v3, v5, v3
.LBB1965_212:
	s_or_b64 exec, exec, s[8:9]
	global_load_ubyte v1, v1, s[4:5] offset:8
	s_waitcnt vmcnt(0)
	v_or_b32_e32 v1, v104, v1
	v_and_b32_e32 v104, 1, v1
.LBB1965_213:
	s_or_b64 exec, exec, s[6:7]
	v_mov_b32_e32 v1, 0
	v_cmp_eq_u16_sdwa vcc, v123, v1 src0_sel:BYTE_0 src1_sel:DWORD
	v_cndmask_b32_e32 v4, 0, v2, vcc
	v_add_u32_e32 v44, v4, v6
	v_cndmask_b32_e32 v4, 0, v3, vcc
	v_cmp_eq_u16_sdwa s[6:7], v133, v1 src0_sel:BYTE_0 src1_sel:DWORD
	v_add_u32_e32 v45, v4, v7
	v_cndmask_b32_e64 v4, 0, v44, s[6:7]
	s_movk_i32 s4, 0xff
	v_add_u32_e32 v48, v4, v127
	v_cndmask_b32_e64 v4, 0, v45, s[6:7]
	v_add_u32_e32 v49, v4, v126
	v_and_b32_sdwa v4, v123, s4 dst_sel:DWORD dst_unused:UNUSED_PAD src0_sel:WORD_1 src1_sel:DWORD
	v_cmp_eq_u16_e64 s[8:9], 0, v4
	v_cndmask_b32_e64 v4, 0, v48, s[8:9]
	v_add_u32_e32 v86, v4, v10
	v_cndmask_b32_e64 v4, 0, v49, s[8:9]
	v_cmp_eq_u16_sdwa s[10:11], v123, v1 src0_sel:BYTE_3 src1_sel:DWORD
	v_add_u32_e32 v87, v4, v11
	v_cndmask_b32_e64 v4, 0, v86, s[10:11]
	v_add_u32_e32 v52, v4, v125
	v_cndmask_b32_e64 v4, 0, v87, s[10:11]
	v_cmp_eq_u16_sdwa s[12:13], v106, v1 src0_sel:BYTE_0 src1_sel:DWORD
	v_add_u32_e32 v53, v4, v124
	v_cndmask_b32_e64 v4, 0, v52, s[12:13]
	v_add_u32_e32 v88, v4, v14
	v_cndmask_b32_e64 v4, 0, v53, s[12:13]
	v_cmp_eq_u16_sdwa s[14:15], v116, v1 src0_sel:BYTE_0 src1_sel:DWORD
	;; [unrolled: 5-line block ×3, first 2 shown]
	v_add_u32_e32 v57, v4, v121
	v_cndmask_b32_e64 v4, 0, v56, s[16:17]
	v_add_u32_e32 v90, v4, v18
	v_cndmask_b32_e64 v4, 0, v57, s[16:17]
	v_add_u32_e32 v91, v4, v19
	v_and_b32_sdwa v4, v116, s4 dst_sel:DWORD dst_unused:UNUSED_PAD src0_sel:WORD_1 src1_sel:DWORD
	v_cmp_eq_u16_e64 s[18:19], 0, v4
	v_cndmask_b32_e64 v4, 0, v90, s[18:19]
	v_add_u32_e32 v60, v4, v120
	v_cndmask_b32_e64 v4, 0, v91, s[18:19]
	v_cmp_eq_u16_sdwa s[20:21], v116, v1 src0_sel:BYTE_3 src1_sel:DWORD
	v_add_u32_e32 v61, v4, v119
	v_cndmask_b32_e64 v4, 0, v60, s[20:21]
	v_add_u32_e32 v92, v4, v22
	v_cndmask_b32_e64 v4, 0, v61, s[20:21]
	v_cmp_eq_u16_sdwa s[22:23], v107, v1 src0_sel:BYTE_0 src1_sel:DWORD
	v_add_u32_e32 v93, v4, v23
	v_cndmask_b32_e64 v4, 0, v92, s[22:23]
	v_add_u32_e32 v64, v4, v118
	v_cndmask_b32_e64 v4, 0, v93, s[22:23]
	v_cmp_eq_u16_sdwa s[24:25], v111, v1 src0_sel:BYTE_0 src1_sel:DWORD
	;; [unrolled: 5-line block ×3, first 2 shown]
	v_add_u32_e32 v95, v4, v31
	v_cndmask_b32_e64 v4, 0, v94, s[26:27]
	v_add_u32_e32 v68, v4, v115
	v_cndmask_b32_e64 v4, 0, v95, s[26:27]
	v_add_u32_e32 v69, v4, v114
	v_and_b32_sdwa v4, v111, s4 dst_sel:DWORD dst_unused:UNUSED_PAD src0_sel:WORD_1 src1_sel:DWORD
	v_cmp_eq_u16_e64 s[28:29], 0, v4
	v_cndmask_b32_e64 v4, 0, v68, s[28:29]
	v_add_u32_e32 v96, v4, v38
	v_cndmask_b32_e64 v4, 0, v69, s[28:29]
	v_cmp_eq_u16_sdwa s[30:31], v111, v1 src0_sel:BYTE_3 src1_sel:DWORD
	v_add_u32_e32 v97, v4, v39
	v_cndmask_b32_e64 v4, 0, v96, s[30:31]
	v_add_u32_e32 v72, v4, v113
	v_cndmask_b32_e64 v4, 0, v97, s[30:31]
	v_cmp_eq_u16_sdwa s[34:35], v105, v1 src0_sel:BYTE_0 src1_sel:DWORD
	v_or_b32_e32 v12, v108, v111
	v_add_u32_e32 v73, v4, v112
	v_cndmask_b32_e64 v4, 0, v72, s[34:35]
	v_or3_b32 v12, v12, v116, v123
	v_add_u32_e32 v98, v4, v42
	v_cndmask_b32_e64 v4, 0, v73, s[34:35]
	v_cmp_eq_u16_sdwa s[36:37], v108, v1 src0_sel:BYTE_0 src1_sel:DWORD
	v_lshrrev_b16_e32 v16, 7, v12
	v_add_u32_e32 v99, v4, v43
	v_cndmask_b32_e64 v4, 0, v98, s[36:37]
	v_and_b32_e32 v13, 1, v12
	v_and_b32_e32 v16, 2, v16
	v_add_u32_e32 v76, v4, v110
	v_cndmask_b32_e64 v4, 0, v99, s[36:37]
	v_cmp_eq_u16_sdwa s[38:39], v130, v1 src0_sel:BYTE_0 src1_sel:DWORD
	v_or_b32_e32 v13, v13, v16
	v_lshrrev_b32_e32 v16, 23, v12
	v_mov_b32_e32 v17, 1
	v_add_u32_e32 v77, v4, v109
	v_cndmask_b32_e64 v4, 0, v76, s[38:39]
	v_and_b32_e32 v16, 2, v16
	v_and_b32_sdwa v12, v12, v17 dst_sel:DWORD dst_unused:UNUSED_PAD src0_sel:WORD_1 src1_sel:DWORD
	v_add_u32_e32 v100, v4, v46
	v_cndmask_b32_e64 v4, 0, v77, s[38:39]
	v_or_b32_e32 v12, v12, v16
	v_add_u32_e32 v101, v4, v47
	v_and_b32_sdwa v4, v108, s4 dst_sel:DWORD dst_unused:UNUSED_PAD src0_sel:WORD_1 src1_sel:DWORD
	v_lshlrev_b16_e32 v12, 2, v12
	v_cmp_eq_u16_e64 s[40:41], 0, v4
	v_or_b32_e32 v12, v13, v12
	v_cndmask_b32_e64 v4, 0, v100, s[40:41]
	v_cmp_eq_u32_e64 s[50:51], 1, v129
	v_cmp_ne_u16_e64 s[52:53], 0, v12
	v_add_u32_e32 v80, v4, v34
	v_cndmask_b32_e64 v4, 0, v101, s[40:41]
	v_cmp_eq_u16_sdwa s[42:43], v108, v1 src0_sel:BYTE_3 src1_sel:DWORD
	v_cmp_eq_u32_e64 s[48:49], 1, v128
	s_or_b64 s[50:51], s[52:53], s[50:51]
	v_add_u32_e32 v81, v4, v35
	v_cndmask_b32_e64 v4, 0, v80, s[42:43]
	v_cmp_eq_u32_e64 s[46:47], 1, v41
	s_or_b64 s[48:49], s[50:51], s[48:49]
	v_add_u32_e32 v102, v4, v26
	v_cndmask_b32_e64 v4, 0, v81, s[42:43]
	v_cmp_eq_u32_e64 s[4:5], 1, v37
	s_or_b64 s[46:47], s[48:49], s[46:47]
	v_add_u32_e32 v103, v4, v27
	v_cmp_eq_u16_sdwa s[44:45], v40, v1 src0_sel:BYTE_0 src1_sel:DWORD
	v_and_b32_e32 v9, 0xff, v104
	s_or_b64 s[4:5], s[46:47], s[4:5]
	v_cndmask_b32_e64 v1, 0, v102, s[44:45]
	v_cndmask_b32_e64 v8, 0, v103, s[44:45]
	;; [unrolled: 1-line block ×3, first 2 shown]
	v_mbcnt_hi_u32_b32 v9, -1, v29
	v_add_u32_e32 v4, v1, v25
	v_add_u32_e32 v5, v8, v33
	v_and_b32_e32 v13, 15, v9
	v_mov_b32_dpp v16, v4 row_shr:1 row_mask:0xf bank_mask:0xf
	v_mov_b32_dpp v17, v5 row_shr:1 row_mask:0xf bank_mask:0xf
	;; [unrolled: 1-line block ×3, first 2 shown]
	v_cmp_ne_u32_e64 s[4:5], 0, v13
	s_and_saveexec_b64 s[46:47], s[4:5]
; %bb.214:
	v_cmp_eq_u32_e64 s[4:5], 0, v12
	v_cndmask_b32_e64 v16, 0, v16, s[4:5]
	v_add_u32_e32 v4, v4, v16
	v_cndmask_b32_e64 v16, 0, v17, s[4:5]
	v_add_u32_e32 v5, v5, v16
	v_and_or_b32 v12, v20, 1, v12
; %bb.215:
	s_or_b64 exec, exec, s[46:47]
	v_mov_b32_dpp v17, v4 row_shr:2 row_mask:0xf bank_mask:0xf
	v_mov_b32_dpp v20, v5 row_shr:2 row_mask:0xf bank_mask:0xf
	v_mov_b32_dpp v16, v12 row_shr:2 row_mask:0xf bank_mask:0xf
	v_cmp_lt_u32_e64 s[4:5], 1, v13
	s_and_saveexec_b64 s[46:47], s[4:5]
; %bb.216:
	v_add_u32_e32 v17, v17, v4
	v_add_u32_e32 v20, v20, v5
	v_cmp_eq_u32_e64 s[4:5], 0, v12
	v_or_b32_e32 v12, v16, v12
	v_cndmask_b32_e64 v4, v4, v17, s[4:5]
	v_cndmask_b32_e64 v5, v5, v20, s[4:5]
	v_and_b32_e32 v12, 1, v12
; %bb.217:
	s_or_b64 exec, exec, s[46:47]
	v_mov_b32_dpp v17, v4 row_shr:4 row_mask:0xf bank_mask:0xf
	v_mov_b32_dpp v20, v5 row_shr:4 row_mask:0xf bank_mask:0xf
	v_mov_b32_dpp v16, v12 row_shr:4 row_mask:0xf bank_mask:0xf
	v_cmp_lt_u32_e64 s[4:5], 3, v13
	s_and_saveexec_b64 s[46:47], s[4:5]
; %bb.218:
	v_add_u32_e32 v17, v17, v4
	v_add_u32_e32 v20, v20, v5
	v_cmp_eq_u32_e64 s[4:5], 0, v12
	v_or_b32_e32 v12, v16, v12
	v_cndmask_b32_e64 v4, v4, v17, s[4:5]
	v_cndmask_b32_e64 v5, v5, v20, s[4:5]
	v_and_b32_e32 v12, 1, v12
; %bb.219:
	s_or_b64 exec, exec, s[46:47]
	v_mov_b32_dpp v17, v4 row_shr:8 row_mask:0xf bank_mask:0xf
	v_mov_b32_dpp v20, v5 row_shr:8 row_mask:0xf bank_mask:0xf
	v_mov_b32_dpp v16, v12 row_shr:8 row_mask:0xf bank_mask:0xf
	v_cmp_lt_u32_e64 s[4:5], 7, v13
	s_and_saveexec_b64 s[46:47], s[4:5]
; %bb.220:
	v_add_u32_e32 v13, v17, v4
	v_add_u32_e32 v17, v20, v5
	v_cmp_eq_u32_e64 s[4:5], 0, v12
	v_or_b32_e32 v12, v16, v12
	v_cndmask_b32_e64 v4, v4, v13, s[4:5]
	v_cndmask_b32_e64 v5, v5, v17, s[4:5]
	v_and_b32_e32 v12, 1, v12
; %bb.221:
	s_or_b64 exec, exec, s[46:47]
	v_and_b32_e32 v20, 16, v9
	v_mov_b32_dpp v16, v4 row_bcast:15 row_mask:0xf bank_mask:0xf
	v_mov_b32_dpp v17, v5 row_bcast:15 row_mask:0xf bank_mask:0xf
	;; [unrolled: 1-line block ×3, first 2 shown]
	v_cmp_ne_u32_e64 s[4:5], 0, v20
	s_and_saveexec_b64 s[46:47], s[4:5]
; %bb.222:
	v_add_u32_e32 v16, v16, v4
	v_add_u32_e32 v17, v17, v5
	v_cmp_eq_u32_e64 s[4:5], 0, v12
	v_or_b32_e32 v12, v13, v12
	v_cndmask_b32_e64 v4, v4, v16, s[4:5]
	v_cndmask_b32_e64 v5, v5, v17, s[4:5]
	v_and_b32_e32 v12, 1, v12
; %bb.223:
	s_or_b64 exec, exec, s[46:47]
	v_mov_b32_dpp v16, v4 row_bcast:31 row_mask:0xf bank_mask:0xf
	v_mov_b32_dpp v17, v5 row_bcast:31 row_mask:0xf bank_mask:0xf
	;; [unrolled: 1-line block ×3, first 2 shown]
	v_cmp_lt_u32_e64 s[4:5], 31, v9
	s_and_saveexec_b64 s[46:47], s[4:5]
; %bb.224:
	v_add_u32_e32 v16, v16, v4
	v_add_u32_e32 v17, v17, v5
	v_cmp_eq_u32_e64 s[4:5], 0, v12
	v_or_b32_e32 v12, v13, v12
	v_cndmask_b32_e64 v4, v4, v16, s[4:5]
	v_cndmask_b32_e64 v5, v5, v17, s[4:5]
	v_and_b32_e32 v12, 1, v12
; %bb.225:
	s_or_b64 exec, exec, s[46:47]
	v_cmp_eq_u32_e64 s[4:5], 63, v0
	s_and_saveexec_b64 s[46:47], s[4:5]
	s_cbranch_execz .LBB1965_227
; %bb.226:
	v_mov_b32_e32 v13, 0
	ds_write_b64 v13, v[4:5]
	ds_write_b8 v13, v12 offset:8
.LBB1965_227:
	s_or_b64 exec, exec, s[46:47]
	v_add_u32_e32 v12, -1, v9
	v_and_b32_e32 v13, 64, v9
	v_cmp_lt_i32_e64 s[4:5], v12, v13
	v_cndmask_b32_e64 v9, v12, v9, s[4:5]
	v_lshlrev_b32_e32 v9, 2, v9
	ds_bpermute_b32 v4, v9, v4
	ds_bpermute_b32 v5, v9, v5
	s_waitcnt lgkmcnt(0)
	; wave barrier
	s_waitcnt lgkmcnt(0)
	s_and_saveexec_b64 s[46:47], s[54:55]
	s_cbranch_execz .LBB1965_229
; %bb.228:
	v_mov_b32_e32 v1, 0
	v_cmp_eq_u16_sdwa s[4:5], v104, v1 src0_sel:BYTE_0 src1_sel:DWORD
	v_cndmask_b32_e64 v1, 0, v5, s[4:5]
	v_add_u32_e32 v3, v1, v3
	v_cndmask_b32_e64 v1, 0, v4, s[4:5]
	v_add_u32_e32 v2, v1, v2
	v_cndmask_b32_e32 v1, 0, v2, vcc
	v_add_u32_e32 v44, v1, v6
	v_cndmask_b32_e32 v1, 0, v3, vcc
	v_add_u32_e32 v45, v1, v7
	v_cndmask_b32_e64 v1, 0, v44, s[6:7]
	v_add_u32_e32 v48, v1, v127
	v_cndmask_b32_e64 v1, 0, v45, s[6:7]
	v_add_u32_e32 v49, v1, v126
	v_cndmask_b32_e64 v1, 0, v48, s[8:9]
	v_add_u32_e32 v86, v1, v10
	v_cndmask_b32_e64 v1, 0, v49, s[8:9]
	v_add_u32_e32 v87, v1, v11
	v_cndmask_b32_e64 v1, 0, v86, s[10:11]
	v_add_u32_e32 v52, v1, v125
	v_cndmask_b32_e64 v1, 0, v87, s[10:11]
	v_add_u32_e32 v53, v1, v124
	v_cndmask_b32_e64 v1, 0, v52, s[12:13]
	v_add_u32_e32 v88, v1, v14
	v_cndmask_b32_e64 v1, 0, v53, s[12:13]
	v_add_u32_e32 v89, v1, v15
	v_cndmask_b32_e64 v1, 0, v88, s[14:15]
	v_add_u32_e32 v56, v1, v122
	v_cndmask_b32_e64 v1, 0, v89, s[14:15]
	v_add_u32_e32 v57, v1, v121
	v_cndmask_b32_e64 v1, 0, v56, s[16:17]
	v_add_u32_e32 v90, v1, v18
	v_cndmask_b32_e64 v1, 0, v57, s[16:17]
	v_add_u32_e32 v91, v1, v19
	v_cndmask_b32_e64 v1, 0, v90, s[18:19]
	v_add_u32_e32 v60, v1, v120
	v_cndmask_b32_e64 v1, 0, v91, s[18:19]
	v_add_u32_e32 v61, v1, v119
	v_cndmask_b32_e64 v1, 0, v60, s[20:21]
	v_add_u32_e32 v92, v1, v22
	v_cndmask_b32_e64 v1, 0, v61, s[20:21]
	v_add_u32_e32 v93, v1, v23
	v_cndmask_b32_e64 v1, 0, v92, s[22:23]
	v_add_u32_e32 v64, v1, v118
	v_cndmask_b32_e64 v1, 0, v93, s[22:23]
	v_add_u32_e32 v65, v1, v117
	v_cndmask_b32_e64 v1, 0, v64, s[24:25]
	v_add_u32_e32 v94, v1, v30
	v_cndmask_b32_e64 v1, 0, v65, s[24:25]
	v_add_u32_e32 v95, v1, v31
	v_cndmask_b32_e64 v1, 0, v94, s[26:27]
	v_add_u32_e32 v68, v1, v115
	v_cndmask_b32_e64 v1, 0, v95, s[26:27]
	v_add_u32_e32 v69, v1, v114
	v_cndmask_b32_e64 v1, 0, v68, s[28:29]
	v_add_u32_e32 v96, v1, v38
	v_cndmask_b32_e64 v1, 0, v69, s[28:29]
	v_add_u32_e32 v97, v1, v39
	v_cndmask_b32_e64 v1, 0, v96, s[30:31]
	v_add_u32_e32 v72, v1, v113
	v_cndmask_b32_e64 v1, 0, v97, s[30:31]
	v_add_u32_e32 v73, v1, v112
	v_cndmask_b32_e64 v1, 0, v72, s[34:35]
	v_add_u32_e32 v98, v1, v42
	v_cndmask_b32_e64 v1, 0, v73, s[34:35]
	v_add_u32_e32 v99, v1, v43
	v_cndmask_b32_e64 v1, 0, v98, s[36:37]
	v_add_u32_e32 v76, v1, v110
	v_cndmask_b32_e64 v1, 0, v99, s[36:37]
	v_add_u32_e32 v77, v1, v109
	v_cndmask_b32_e64 v1, 0, v76, s[38:39]
	v_add_u32_e32 v100, v1, v46
	v_cndmask_b32_e64 v1, 0, v77, s[38:39]
	v_add_u32_e32 v101, v1, v47
	v_cndmask_b32_e64 v1, 0, v100, s[40:41]
	v_add_u32_e32 v80, v1, v34
	v_cndmask_b32_e64 v1, 0, v101, s[40:41]
	v_add_u32_e32 v81, v1, v35
	v_cndmask_b32_e64 v1, 0, v80, s[42:43]
	v_add_u32_e32 v102, v1, v26
	v_cndmask_b32_e64 v1, 0, v81, s[42:43]
	v_add_u32_e32 v103, v1, v27
	v_cndmask_b32_e64 v1, 0, v102, s[44:45]
	v_cndmask_b32_e64 v8, 0, v103, s[44:45]
	;;#ASMSTART
	;;#ASMEND
.LBB1965_229:
	s_or_b64 exec, exec, s[46:47]
	s_and_saveexec_b64 s[4:5], s[86:87]
	s_cbranch_execz .LBB1965_231
; %bb.230:
	v_mov_b32_e32 v6, 0
	ds_read_b64 v[4:5], v6
	s_add_u32 s2, s80, 0x400
	s_mov_b32 s6, 0
	s_addc_u32 s3, s81, 0
	s_mov_b32 s10, s6
	s_waitcnt lgkmcnt(0)
	v_readfirstlane_b32 s12, v5
	s_bfe_u32 s8, s12, 0x80010
	s_and_b32 s7, s12, 0xff000000
	s_lshl_b32 s9, s8, 16
	s_mov_b32 s8, s6
	s_and_b32 s11, s12, 0xff00
	s_and_b32 s12, s12, 0xff
	s_or_b64 s[6:7], s[6:7], s[8:9]
	s_or_b64 s[6:7], s[6:7], s[10:11]
	v_mov_b32_e32 v5, s12
	ds_read_u8 v6, v6 offset:8
	v_or_b32_e32 v4, s6, v4
	v_or_b32_e32 v5, s7, v5
	v_mov_b32_e32 v7, 2
	v_pk_mov_b32 v[10:11], s[2:3], s[2:3] op_sel:[0,1]
	s_waitcnt lgkmcnt(0)
	;;#ASMSTART
	global_store_dwordx4 v[10:11], v[4:7] off	
s_waitcnt vmcnt(0)
	;;#ASMEND
.LBB1965_231:
	s_or_b64 exec, exec, s[4:5]
	v_mov_b32_e32 v83, v3
	v_mov_b32_e32 v82, v2
.LBB1965_232:
	s_add_u32 s2, s78, s72
	s_addc_u32 s3, s79, s73
	s_add_u32 s42, s2, s92
	v_add_u32_e32 v43, v8, v33
	v_add_u32_e32 v42, v1, v25
	s_addc_u32 s43, s3, s93
	s_and_b64 vcc, exec, s[68:69]
	s_cbranch_vccz .LBB1965_314
; %bb.233:
	s_add_i32 s33, s74, s82
	v_mul_u32_u24_e32 v1, 21, v0
	v_pk_mov_b32 v[8:9], 0, 0
	v_cmp_gt_u32_e32 vcc, s33, v1
	v_pk_mov_b32 v[4:5], v[8:9], v[8:9] op_sel:[0,1]
	v_pk_mov_b32 v[2:3], v[8:9], v[8:9] op_sel:[0,1]
	;; [unrolled: 1-line block ×20, first 2 shown]
	s_and_saveexec_b64 s[0:1], vcc
	s_cbranch_execz .LBB1965_273
; %bb.234:
	v_add_u32_e32 v2, 1, v1
	v_pk_mov_b32 v[40:41], 0, 0
	v_cmp_gt_u32_e32 vcc, s33, v2
	v_pk_mov_b32 v[38:39], v[40:41], v[40:41] op_sel:[0,1]
	v_pk_mov_b32 v[36:37], v[40:41], v[40:41] op_sel:[0,1]
	;; [unrolled: 1-line block ×19, first 2 shown]
	s_and_saveexec_b64 s[2:3], vcc
	s_cbranch_execz .LBB1965_272
; %bb.235:
	v_add_u32_e32 v2, 2, v1
	v_pk_mov_b32 v[38:39], 0, 0
	v_cmp_gt_u32_e32 vcc, s33, v2
	v_pk_mov_b32 v[36:37], v[38:39], v[38:39] op_sel:[0,1]
	v_pk_mov_b32 v[34:35], v[38:39], v[38:39] op_sel:[0,1]
	;; [unrolled: 1-line block ×18, first 2 shown]
	s_and_saveexec_b64 s[4:5], vcc
	s_cbranch_execz .LBB1965_271
; %bb.236:
	v_add_u32_e32 v2, 3, v1
	v_pk_mov_b32 v[36:37], 0, 0
	v_cmp_gt_u32_e32 vcc, s33, v2
	v_pk_mov_b32 v[34:35], v[36:37], v[36:37] op_sel:[0,1]
	v_pk_mov_b32 v[32:33], v[36:37], v[36:37] op_sel:[0,1]
	;; [unrolled: 1-line block ×17, first 2 shown]
	s_and_saveexec_b64 s[6:7], vcc
	s_cbranch_execz .LBB1965_270
; %bb.237:
	v_add_u32_e32 v2, 4, v1
	v_pk_mov_b32 v[34:35], 0, 0
	v_cmp_gt_u32_e32 vcc, s33, v2
	v_pk_mov_b32 v[32:33], v[34:35], v[34:35] op_sel:[0,1]
	v_pk_mov_b32 v[30:31], v[34:35], v[34:35] op_sel:[0,1]
	;; [unrolled: 1-line block ×16, first 2 shown]
	s_and_saveexec_b64 s[8:9], vcc
	s_cbranch_execz .LBB1965_269
; %bb.238:
	v_add_u32_e32 v2, 5, v1
	v_pk_mov_b32 v[32:33], 0, 0
	v_cmp_gt_u32_e32 vcc, s33, v2
	v_pk_mov_b32 v[30:31], v[32:33], v[32:33] op_sel:[0,1]
	v_pk_mov_b32 v[28:29], v[32:33], v[32:33] op_sel:[0,1]
	v_pk_mov_b32 v[26:27], v[32:33], v[32:33] op_sel:[0,1]
	v_pk_mov_b32 v[24:25], v[32:33], v[32:33] op_sel:[0,1]
	v_pk_mov_b32 v[22:23], v[32:33], v[32:33] op_sel:[0,1]
	v_pk_mov_b32 v[20:21], v[32:33], v[32:33] op_sel:[0,1]
	v_pk_mov_b32 v[18:19], v[32:33], v[32:33] op_sel:[0,1]
	v_pk_mov_b32 v[16:17], v[32:33], v[32:33] op_sel:[0,1]
	v_pk_mov_b32 v[14:15], v[32:33], v[32:33] op_sel:[0,1]
	v_pk_mov_b32 v[12:13], v[32:33], v[32:33] op_sel:[0,1]
	v_pk_mov_b32 v[10:11], v[32:33], v[32:33] op_sel:[0,1]
	v_pk_mov_b32 v[6:7], v[32:33], v[32:33] op_sel:[0,1]
	v_pk_mov_b32 v[2:3], v[32:33], v[32:33] op_sel:[0,1]
	v_pk_mov_b32 v[4:5], v[32:33], v[32:33] op_sel:[0,1]
	v_pk_mov_b32 v[8:9], v[32:33], v[32:33] op_sel:[0,1]
	s_and_saveexec_b64 s[10:11], vcc
	s_cbranch_execz .LBB1965_268
; %bb.239:
	v_add_u32_e32 v2, 6, v1
	v_pk_mov_b32 v[30:31], 0, 0
	v_cmp_gt_u32_e32 vcc, s33, v2
	v_pk_mov_b32 v[28:29], v[30:31], v[30:31] op_sel:[0,1]
	v_pk_mov_b32 v[26:27], v[30:31], v[30:31] op_sel:[0,1]
	;; [unrolled: 1-line block ×14, first 2 shown]
	s_and_saveexec_b64 s[12:13], vcc
	s_cbranch_execz .LBB1965_267
; %bb.240:
	v_add_u32_e32 v2, 7, v1
	v_pk_mov_b32 v[28:29], 0, 0
	v_cmp_gt_u32_e32 vcc, s33, v2
	v_pk_mov_b32 v[26:27], v[28:29], v[28:29] op_sel:[0,1]
	v_pk_mov_b32 v[24:25], v[28:29], v[28:29] op_sel:[0,1]
	;; [unrolled: 1-line block ×13, first 2 shown]
	s_and_saveexec_b64 s[14:15], vcc
	s_cbranch_execz .LBB1965_266
; %bb.241:
	v_add_u32_e32 v2, 8, v1
	v_pk_mov_b32 v[26:27], 0, 0
	v_cmp_gt_u32_e32 vcc, s33, v2
	v_pk_mov_b32 v[24:25], v[26:27], v[26:27] op_sel:[0,1]
	v_pk_mov_b32 v[22:23], v[26:27], v[26:27] op_sel:[0,1]
	;; [unrolled: 1-line block ×12, first 2 shown]
	s_and_saveexec_b64 s[16:17], vcc
	s_cbranch_execz .LBB1965_265
; %bb.242:
	v_add_u32_e32 v2, 9, v1
	v_pk_mov_b32 v[24:25], 0, 0
	v_cmp_gt_u32_e32 vcc, s33, v2
	v_pk_mov_b32 v[22:23], v[24:25], v[24:25] op_sel:[0,1]
	v_pk_mov_b32 v[20:21], v[24:25], v[24:25] op_sel:[0,1]
	;; [unrolled: 1-line block ×11, first 2 shown]
	s_and_saveexec_b64 s[18:19], vcc
	s_cbranch_execz .LBB1965_264
; %bb.243:
	v_add_u32_e32 v2, 10, v1
	v_pk_mov_b32 v[22:23], 0, 0
	v_cmp_gt_u32_e32 vcc, s33, v2
	v_pk_mov_b32 v[20:21], v[22:23], v[22:23] op_sel:[0,1]
	v_pk_mov_b32 v[18:19], v[22:23], v[22:23] op_sel:[0,1]
	;; [unrolled: 1-line block ×10, first 2 shown]
	s_and_saveexec_b64 s[20:21], vcc
	s_cbranch_execz .LBB1965_263
; %bb.244:
	v_add_u32_e32 v2, 11, v1
	v_pk_mov_b32 v[20:21], 0, 0
	v_cmp_gt_u32_e32 vcc, s33, v2
	v_pk_mov_b32 v[18:19], v[20:21], v[20:21] op_sel:[0,1]
	v_pk_mov_b32 v[16:17], v[20:21], v[20:21] op_sel:[0,1]
	;; [unrolled: 1-line block ×9, first 2 shown]
	s_and_saveexec_b64 s[22:23], vcc
	s_cbranch_execz .LBB1965_262
; %bb.245:
	v_add_u32_e32 v2, 12, v1
	v_pk_mov_b32 v[18:19], 0, 0
	v_cmp_gt_u32_e32 vcc, s33, v2
	v_pk_mov_b32 v[16:17], v[18:19], v[18:19] op_sel:[0,1]
	v_pk_mov_b32 v[14:15], v[18:19], v[18:19] op_sel:[0,1]
	;; [unrolled: 1-line block ×8, first 2 shown]
	s_and_saveexec_b64 s[24:25], vcc
	s_cbranch_execz .LBB1965_261
; %bb.246:
	v_add_u32_e32 v2, 13, v1
	v_pk_mov_b32 v[16:17], 0, 0
	v_cmp_gt_u32_e32 vcc, s33, v2
	v_pk_mov_b32 v[14:15], v[16:17], v[16:17] op_sel:[0,1]
	v_pk_mov_b32 v[12:13], v[16:17], v[16:17] op_sel:[0,1]
	;; [unrolled: 1-line block ×7, first 2 shown]
	s_and_saveexec_b64 s[26:27], vcc
	s_cbranch_execz .LBB1965_260
; %bb.247:
	v_add_u32_e32 v2, 14, v1
	v_pk_mov_b32 v[14:15], 0, 0
	v_cmp_gt_u32_e32 vcc, s33, v2
	v_pk_mov_b32 v[12:13], v[14:15], v[14:15] op_sel:[0,1]
	v_pk_mov_b32 v[10:11], v[14:15], v[14:15] op_sel:[0,1]
	;; [unrolled: 1-line block ×6, first 2 shown]
	s_and_saveexec_b64 s[28:29], vcc
	s_cbranch_execz .LBB1965_259
; %bb.248:
	v_add_u32_e32 v2, 15, v1
	v_pk_mov_b32 v[12:13], 0, 0
	v_cmp_gt_u32_e32 vcc, s33, v2
	v_pk_mov_b32 v[10:11], v[12:13], v[12:13] op_sel:[0,1]
	v_pk_mov_b32 v[6:7], v[12:13], v[12:13] op_sel:[0,1]
	;; [unrolled: 1-line block ×5, first 2 shown]
	s_and_saveexec_b64 s[30:31], vcc
	s_cbranch_execz .LBB1965_258
; %bb.249:
	v_add_u32_e32 v2, 16, v1
	v_pk_mov_b32 v[10:11], 0, 0
	v_cmp_gt_u32_e32 vcc, s33, v2
	v_pk_mov_b32 v[6:7], v[10:11], v[10:11] op_sel:[0,1]
	v_pk_mov_b32 v[2:3], v[10:11], v[10:11] op_sel:[0,1]
	;; [unrolled: 1-line block ×4, first 2 shown]
	s_and_saveexec_b64 s[34:35], vcc
	s_cbranch_execz .LBB1965_257
; %bb.250:
	v_add_u32_e32 v2, 17, v1
	v_pk_mov_b32 v[6:7], 0, 0
	v_cmp_gt_u32_e32 vcc, s33, v2
	v_pk_mov_b32 v[2:3], v[6:7], v[6:7] op_sel:[0,1]
	v_pk_mov_b32 v[4:5], v[6:7], v[6:7] op_sel:[0,1]
	;; [unrolled: 1-line block ×3, first 2 shown]
	s_and_saveexec_b64 s[36:37], vcc
	s_cbranch_execz .LBB1965_256
; %bb.251:
	v_add_u32_e32 v2, 18, v1
	v_cmp_gt_u32_e32 vcc, s33, v2
	v_pk_mov_b32 v[2:3], 0, 0
	v_pk_mov_b32 v[4:5], v[2:3], v[2:3] op_sel:[0,1]
	v_pk_mov_b32 v[8:9], v[2:3], v[2:3] op_sel:[0,1]
	s_and_saveexec_b64 s[38:39], vcc
	s_cbranch_execz .LBB1965_255
; %bb.252:
	v_add_u32_e32 v2, 19, v1
	v_pk_mov_b32 v[4:5], 0, 0
	v_cmp_gt_u32_e32 vcc, s33, v2
	v_pk_mov_b32 v[8:9], v[4:5], v[4:5] op_sel:[0,1]
	s_and_saveexec_b64 s[40:41], vcc
; %bb.253:
	v_add_u32_e32 v2, 20, v1
	v_cmp_gt_u32_e32 vcc, s33, v2
	v_cndmask_b32_e32 v9, 0, v43, vcc
	v_cndmask_b32_e32 v8, 0, v42, vcc
	v_pk_mov_b32 v[4:5], v[102:103], v[102:103] op_sel:[0,1]
; %bb.254:
	s_or_b64 exec, exec, s[40:41]
	v_pk_mov_b32 v[2:3], v[80:81], v[80:81] op_sel:[0,1]
.LBB1965_255:
	s_or_b64 exec, exec, s[38:39]
	v_pk_mov_b32 v[6:7], v[100:101], v[100:101] op_sel:[0,1]
.LBB1965_256:
	s_or_b64 exec, exec, s[36:37]
	v_pk_mov_b32 v[10:11], v[76:77], v[76:77] op_sel:[0,1]
.LBB1965_257:
	s_or_b64 exec, exec, s[34:35]
	v_pk_mov_b32 v[12:13], v[98:99], v[98:99] op_sel:[0,1]
.LBB1965_258:
	s_or_b64 exec, exec, s[30:31]
	v_pk_mov_b32 v[14:15], v[72:73], v[72:73] op_sel:[0,1]
.LBB1965_259:
	s_or_b64 exec, exec, s[28:29]
	v_pk_mov_b32 v[16:17], v[96:97], v[96:97] op_sel:[0,1]
.LBB1965_260:
	s_or_b64 exec, exec, s[26:27]
	v_pk_mov_b32 v[18:19], v[68:69], v[68:69] op_sel:[0,1]
.LBB1965_261:
	s_or_b64 exec, exec, s[24:25]
	v_pk_mov_b32 v[20:21], v[94:95], v[94:95] op_sel:[0,1]
.LBB1965_262:
	s_or_b64 exec, exec, s[22:23]
	v_pk_mov_b32 v[22:23], v[64:65], v[64:65] op_sel:[0,1]
.LBB1965_263:
	s_or_b64 exec, exec, s[20:21]
	v_pk_mov_b32 v[24:25], v[92:93], v[92:93] op_sel:[0,1]
.LBB1965_264:
	s_or_b64 exec, exec, s[18:19]
	v_pk_mov_b32 v[26:27], v[60:61], v[60:61] op_sel:[0,1]
.LBB1965_265:
	s_or_b64 exec, exec, s[16:17]
	v_pk_mov_b32 v[28:29], v[90:91], v[90:91] op_sel:[0,1]
.LBB1965_266:
	s_or_b64 exec, exec, s[14:15]
	v_pk_mov_b32 v[30:31], v[56:57], v[56:57] op_sel:[0,1]
.LBB1965_267:
	s_or_b64 exec, exec, s[12:13]
	v_pk_mov_b32 v[32:33], v[88:89], v[88:89] op_sel:[0,1]
.LBB1965_268:
	s_or_b64 exec, exec, s[10:11]
	v_pk_mov_b32 v[34:35], v[52:53], v[52:53] op_sel:[0,1]
.LBB1965_269:
	s_or_b64 exec, exec, s[8:9]
	v_pk_mov_b32 v[36:37], v[86:87], v[86:87] op_sel:[0,1]
.LBB1965_270:
	s_or_b64 exec, exec, s[6:7]
	v_pk_mov_b32 v[38:39], v[48:49], v[48:49] op_sel:[0,1]
.LBB1965_271:
	s_or_b64 exec, exec, s[4:5]
	v_pk_mov_b32 v[40:41], v[44:45], v[44:45] op_sel:[0,1]
.LBB1965_272:
	s_or_b64 exec, exec, s[2:3]
	v_pk_mov_b32 v[46:47], v[82:83], v[82:83] op_sel:[0,1]
.LBB1965_273:
	s_or_b64 exec, exec, s[0:1]
	v_lshlrev_b32_e32 v50, 3, v1
	s_movk_i32 s0, 0xff60
	s_waitcnt lgkmcnt(0)
	; wave barrier
	ds_write2_b64 v50, v[46:47], v[40:41] offset1:1
	ds_write2_b64 v50, v[38:39], v[36:37] offset0:2 offset1:3
	ds_write2_b64 v50, v[34:35], v[32:33] offset0:4 offset1:5
	;; [unrolled: 1-line block ×9, first 2 shown]
	ds_write_b64 v50, v[8:9] offset:160
	v_mad_i32_i24 v2, v0, s0, v50
	s_waitcnt lgkmcnt(0)
	; wave barrier
	s_waitcnt lgkmcnt(0)
	ds_read2st64_b64 v[38:41], v2 offset0:1 offset1:2
	ds_read2st64_b64 v[34:37], v2 offset0:3 offset1:4
	;; [unrolled: 1-line block ×10, first 2 shown]
	v_lshlrev_b32_e32 v46, 3, v0
	v_mov_b32_e32 v47, s43
	v_add_co_u32_e32 v46, vcc, s42, v46
	v_addc_co_u32_e32 v47, vcc, 0, v47, vcc
	v_mov_b32_e32 v1, 0
	v_cmp_gt_u32_e32 vcc, s33, v0
	s_and_saveexec_b64 s[0:1], vcc
	s_cbranch_execz .LBB1965_275
; %bb.274:
	v_mul_i32_i24_e32 v51, 0xffffff60, v0
	v_add_u32_e32 v50, v50, v51
	ds_read_b64 v[50:51], v50
	s_waitcnt lgkmcnt(0)
	flat_store_dwordx2 v[46:47], v[50:51]
.LBB1965_275:
	s_or_b64 exec, exec, s[0:1]
	v_or_b32_e32 v50, 64, v0
	v_cmp_gt_u32_e32 vcc, s33, v50
	s_and_saveexec_b64 s[0:1], vcc
	s_cbranch_execz .LBB1965_277
; %bb.276:
	s_waitcnt lgkmcnt(0)
	flat_store_dwordx2 v[46:47], v[38:39] offset:512
.LBB1965_277:
	s_or_b64 exec, exec, s[0:1]
	s_waitcnt lgkmcnt(0)
	v_or_b32_e32 v38, 0x80, v0
	v_cmp_gt_u32_e32 vcc, s33, v38
	s_and_saveexec_b64 s[0:1], vcc
	s_cbranch_execz .LBB1965_279
; %bb.278:
	flat_store_dwordx2 v[46:47], v[40:41] offset:1024
.LBB1965_279:
	s_or_b64 exec, exec, s[0:1]
	v_or_b32_e32 v38, 0xc0, v0
	v_cmp_gt_u32_e32 vcc, s33, v38
	s_and_saveexec_b64 s[0:1], vcc
	s_cbranch_execz .LBB1965_281
; %bb.280:
	flat_store_dwordx2 v[46:47], v[34:35] offset:1536
.LBB1965_281:
	s_or_b64 exec, exec, s[0:1]
	;; [unrolled: 8-line block ×6, first 2 shown]
	v_or_b32_e32 v26, 0x200, v0
	v_cmp_gt_u32_e32 vcc, s33, v26
	s_and_saveexec_b64 s[0:1], vcc
	s_cbranch_execz .LBB1965_291
; %bb.290:
	v_add_co_u32_e32 v26, vcc, 0x1000, v46
	v_addc_co_u32_e32 v27, vcc, 0, v47, vcc
	flat_store_dwordx2 v[26:27], v[28:29]
.LBB1965_291:
	s_or_b64 exec, exec, s[0:1]
	v_or_b32_e32 v26, 0x240, v0
	v_cmp_gt_u32_e32 vcc, s33, v26
	s_and_saveexec_b64 s[0:1], vcc
	s_cbranch_execz .LBB1965_293
; %bb.292:
	v_add_co_u32_e32 v26, vcc, 0x1000, v46
	v_addc_co_u32_e32 v27, vcc, 0, v47, vcc
	flat_store_dwordx2 v[26:27], v[22:23] offset:512
.LBB1965_293:
	s_or_b64 exec, exec, s[0:1]
	v_or_b32_e32 v22, 0x280, v0
	v_cmp_gt_u32_e32 vcc, s33, v22
	s_and_saveexec_b64 s[0:1], vcc
	s_cbranch_execz .LBB1965_295
; %bb.294:
	v_add_co_u32_e32 v22, vcc, 0x1000, v46
	v_addc_co_u32_e32 v23, vcc, 0, v47, vcc
	flat_store_dwordx2 v[22:23], v[24:25] offset:1024
.LBB1965_295:
	;; [unrolled: 10-line block ×7, first 2 shown]
	s_or_b64 exec, exec, s[0:1]
	v_or_b32_e32 v10, 0x400, v0
	v_cmp_gt_u32_e32 vcc, s33, v10
	s_and_saveexec_b64 s[0:1], vcc
	s_cbranch_execz .LBB1965_307
; %bb.306:
	v_add_co_u32_e32 v10, vcc, 0x2000, v46
	v_addc_co_u32_e32 v11, vcc, 0, v47, vcc
	flat_store_dwordx2 v[10:11], v[12:13]
.LBB1965_307:
	s_or_b64 exec, exec, s[0:1]
	v_or_b32_e32 v10, 0x440, v0
	v_cmp_gt_u32_e32 vcc, s33, v10
	s_and_saveexec_b64 s[0:1], vcc
	s_cbranch_execz .LBB1965_309
; %bb.308:
	v_add_co_u32_e32 v10, vcc, 0x2000, v46
	v_addc_co_u32_e32 v11, vcc, 0, v47, vcc
	flat_store_dwordx2 v[10:11], v[6:7] offset:512
.LBB1965_309:
	s_or_b64 exec, exec, s[0:1]
	v_or_b32_e32 v6, 0x480, v0
	v_cmp_gt_u32_e32 vcc, s33, v6
	s_and_saveexec_b64 s[0:1], vcc
	s_cbranch_execz .LBB1965_311
; %bb.310:
	v_add_co_u32_e32 v6, vcc, 0x2000, v46
	v_addc_co_u32_e32 v7, vcc, 0, v47, vcc
	flat_store_dwordx2 v[6:7], v[8:9] offset:1024
.LBB1965_311:
	;; [unrolled: 10-line block ×3, first 2 shown]
	s_or_b64 exec, exec, s[0:1]
	v_or_b32_e32 v2, 0x500, v0
	v_cmp_gt_u32_e64 s[0:1], s33, v2
	s_branch .LBB1965_316
.LBB1965_314:
	s_mov_b64 s[0:1], 0
                                        ; kill: def $vgpr2_vgpr3 killed $sgpr0_sgpr1 killed $exec
                                        ; implicit-def: $vgpr4_vgpr5
	s_cbranch_execz .LBB1965_316
; %bb.315:
	s_movk_i32 s2, 0xa8
	v_mul_i32_i24_e32 v2, 0xffffff60, v0
	v_mul_u32_u24_e32 v1, 0xa8, v0
	v_mad_u32_u24 v2, v0, s2, v2
	s_waitcnt lgkmcnt(0)
	; wave barrier
	s_waitcnt lgkmcnt(0)
	ds_write2_b64 v1, v[82:83], v[44:45] offset1:1
	ds_write2_b64 v1, v[48:49], v[86:87] offset0:2 offset1:3
	ds_write2_b64 v1, v[52:53], v[88:89] offset0:4 offset1:5
	;; [unrolled: 1-line block ×9, first 2 shown]
	ds_write_b64 v1, v[42:43] offset:160
	s_waitcnt lgkmcnt(0)
	; wave barrier
	s_waitcnt lgkmcnt(0)
	ds_read2st64_b64 v[6:9], v2 offset1:1
	ds_read2st64_b64 v[10:13], v2 offset0:2 offset1:3
	ds_read2st64_b64 v[14:17], v2 offset0:4 offset1:5
	;; [unrolled: 1-line block ×9, first 2 shown]
	ds_read_b64 v[4:5], v2 offset:10240
	v_lshlrev_b32_e32 v2, 3, v0
	v_mov_b32_e32 v3, s43
	v_add_co_u32_e32 v2, vcc, s42, v2
	v_addc_co_u32_e32 v3, vcc, 0, v3, vcc
	s_movk_i32 s2, 0x1000
	s_waitcnt lgkmcnt(0)
	flat_store_dwordx2 v[2:3], v[6:7]
	flat_store_dwordx2 v[2:3], v[8:9] offset:512
	flat_store_dwordx2 v[2:3], v[10:11] offset:1024
	;; [unrolled: 1-line block ×7, first 2 shown]
	v_add_co_u32_e32 v6, vcc, s2, v2
	v_addc_co_u32_e32 v7, vcc, 0, v3, vcc
	v_add_co_u32_e32 v2, vcc, 0x2000, v2
	v_mov_b32_e32 v1, 0
	v_addc_co_u32_e32 v3, vcc, 0, v3, vcc
	s_or_b64 s[0:1], s[0:1], exec
	flat_store_dwordx2 v[6:7], v[22:23]
	flat_store_dwordx2 v[6:7], v[24:25] offset:512
	flat_store_dwordx2 v[6:7], v[26:27] offset:1024
	;; [unrolled: 1-line block ×7, first 2 shown]
	flat_store_dwordx2 v[2:3], v[38:39]
	flat_store_dwordx2 v[2:3], v[40:41] offset:512
	flat_store_dwordx2 v[2:3], v[42:43] offset:1024
	;; [unrolled: 1-line block ×3, first 2 shown]
.LBB1965_316:
	s_and_saveexec_b64 s[2:3], s[0:1]
	s_cbranch_execnz .LBB1965_318
; %bb.317:
	s_endpgm
.LBB1965_318:
	v_lshlrev_b64 v[0:1], 3, v[0:1]
	v_mov_b32_e32 v2, s43
	v_add_co_u32_e32 v0, vcc, s42, v0
	v_addc_co_u32_e32 v1, vcc, v2, v1, vcc
	v_add_co_u32_e32 v0, vcc, 0x2000, v0
	v_addc_co_u32_e32 v1, vcc, 0, v1, vcc
	flat_store_dwordx2 v[0:1], v[4:5] offset:2048
	s_endpgm
.LBB1965_319:
	v_lshlrev_b32_e32 v1, 3, v62
	v_mov_b32_e32 v61, s63
	v_add_co_u32_e32 v60, vcc, s62, v1
	v_addc_co_u32_e32 v61, vcc, 0, v61, vcc
	flat_load_dwordx2 v[60:61], v[60:61]
	s_or_b64 exec, exec, s[4:5]
	s_and_saveexec_b64 s[4:5], s[46:47]
	s_cbranch_execz .LBB1965_91
.LBB1965_320:
	v_lshlrev_b32_e32 v1, 3, v63
	v_mov_b32_e32 v59, s63
	v_add_co_u32_e32 v58, vcc, s62, v1
	v_addc_co_u32_e32 v59, vcc, 0, v59, vcc
	flat_load_dwordx2 v[58:59], v[58:59]
	s_or_b64 exec, exec, s[4:5]
	v_pk_mov_b32 v[62:63], 0, 0
	s_and_saveexec_b64 s[4:5], s[48:49]
	s_cbranch_execnz .LBB1965_92
	s_branch .LBB1965_93
.LBB1965_321:
                                        ; implicit-def: $sgpr4_sgpr5
	s_branch .LBB1965_50
.LBB1965_322:
                                        ; implicit-def: $sgpr4_sgpr5
	s_branch .LBB1965_138
	.section	.rodata,"a",@progbits
	.p2align	6, 0x0
	.amdhsa_kernel _ZN7rocprim17ROCPRIM_400000_NS6detail17trampoline_kernelINS0_14default_configENS1_27scan_by_key_config_selectorIj11FixedVectorIiLj2EEEEZZNS1_16scan_by_key_implILNS1_25lookback_scan_determinismE0ELb0ES3_N6thrust23THRUST_200600_302600_NS6detail15normal_iteratorINSB_10device_ptrIjEEEENSD_INSE_IS6_EEEESI_S6_NSB_4plusIvEENSB_8equal_toIvEES6_EE10hipError_tPvRmT2_T3_T4_T5_mT6_T7_P12ihipStream_tbENKUlT_T0_E_clISt17integral_constantIbLb1EES13_EEDaSY_SZ_EUlSY_E_NS1_11comp_targetILNS1_3genE4ELNS1_11target_archE910ELNS1_3gpuE8ELNS1_3repE0EEENS1_30default_config_static_selectorELNS0_4arch9wavefront6targetE1EEEvT1_
		.amdhsa_group_segment_fixed_size 10752
		.amdhsa_private_segment_fixed_size 0
		.amdhsa_kernarg_size 120
		.amdhsa_user_sgpr_count 6
		.amdhsa_user_sgpr_private_segment_buffer 1
		.amdhsa_user_sgpr_dispatch_ptr 0
		.amdhsa_user_sgpr_queue_ptr 0
		.amdhsa_user_sgpr_kernarg_segment_ptr 1
		.amdhsa_user_sgpr_dispatch_id 0
		.amdhsa_user_sgpr_flat_scratch_init 0
		.amdhsa_user_sgpr_kernarg_preload_length 0
		.amdhsa_user_sgpr_kernarg_preload_offset 0
		.amdhsa_user_sgpr_private_segment_size 0
		.amdhsa_uses_dynamic_stack 0
		.amdhsa_system_sgpr_private_segment_wavefront_offset 0
		.amdhsa_system_sgpr_workgroup_id_x 1
		.amdhsa_system_sgpr_workgroup_id_y 0
		.amdhsa_system_sgpr_workgroup_id_z 0
		.amdhsa_system_sgpr_workgroup_info 0
		.amdhsa_system_vgpr_workitem_id 0
		.amdhsa_next_free_vgpr 135
		.amdhsa_next_free_sgpr 96
		.amdhsa_accum_offset 136
		.amdhsa_reserve_vcc 1
		.amdhsa_reserve_flat_scratch 0
		.amdhsa_float_round_mode_32 0
		.amdhsa_float_round_mode_16_64 0
		.amdhsa_float_denorm_mode_32 3
		.amdhsa_float_denorm_mode_16_64 3
		.amdhsa_dx10_clamp 1
		.amdhsa_ieee_mode 1
		.amdhsa_fp16_overflow 0
		.amdhsa_tg_split 0
		.amdhsa_exception_fp_ieee_invalid_op 0
		.amdhsa_exception_fp_denorm_src 0
		.amdhsa_exception_fp_ieee_div_zero 0
		.amdhsa_exception_fp_ieee_overflow 0
		.amdhsa_exception_fp_ieee_underflow 0
		.amdhsa_exception_fp_ieee_inexact 0
		.amdhsa_exception_int_div_zero 0
	.end_amdhsa_kernel
	.section	.text._ZN7rocprim17ROCPRIM_400000_NS6detail17trampoline_kernelINS0_14default_configENS1_27scan_by_key_config_selectorIj11FixedVectorIiLj2EEEEZZNS1_16scan_by_key_implILNS1_25lookback_scan_determinismE0ELb0ES3_N6thrust23THRUST_200600_302600_NS6detail15normal_iteratorINSB_10device_ptrIjEEEENSD_INSE_IS6_EEEESI_S6_NSB_4plusIvEENSB_8equal_toIvEES6_EE10hipError_tPvRmT2_T3_T4_T5_mT6_T7_P12ihipStream_tbENKUlT_T0_E_clISt17integral_constantIbLb1EES13_EEDaSY_SZ_EUlSY_E_NS1_11comp_targetILNS1_3genE4ELNS1_11target_archE910ELNS1_3gpuE8ELNS1_3repE0EEENS1_30default_config_static_selectorELNS0_4arch9wavefront6targetE1EEEvT1_,"axG",@progbits,_ZN7rocprim17ROCPRIM_400000_NS6detail17trampoline_kernelINS0_14default_configENS1_27scan_by_key_config_selectorIj11FixedVectorIiLj2EEEEZZNS1_16scan_by_key_implILNS1_25lookback_scan_determinismE0ELb0ES3_N6thrust23THRUST_200600_302600_NS6detail15normal_iteratorINSB_10device_ptrIjEEEENSD_INSE_IS6_EEEESI_S6_NSB_4plusIvEENSB_8equal_toIvEES6_EE10hipError_tPvRmT2_T3_T4_T5_mT6_T7_P12ihipStream_tbENKUlT_T0_E_clISt17integral_constantIbLb1EES13_EEDaSY_SZ_EUlSY_E_NS1_11comp_targetILNS1_3genE4ELNS1_11target_archE910ELNS1_3gpuE8ELNS1_3repE0EEENS1_30default_config_static_selectorELNS0_4arch9wavefront6targetE1EEEvT1_,comdat
.Lfunc_end1965:
	.size	_ZN7rocprim17ROCPRIM_400000_NS6detail17trampoline_kernelINS0_14default_configENS1_27scan_by_key_config_selectorIj11FixedVectorIiLj2EEEEZZNS1_16scan_by_key_implILNS1_25lookback_scan_determinismE0ELb0ES3_N6thrust23THRUST_200600_302600_NS6detail15normal_iteratorINSB_10device_ptrIjEEEENSD_INSE_IS6_EEEESI_S6_NSB_4plusIvEENSB_8equal_toIvEES6_EE10hipError_tPvRmT2_T3_T4_T5_mT6_T7_P12ihipStream_tbENKUlT_T0_E_clISt17integral_constantIbLb1EES13_EEDaSY_SZ_EUlSY_E_NS1_11comp_targetILNS1_3genE4ELNS1_11target_archE910ELNS1_3gpuE8ELNS1_3repE0EEENS1_30default_config_static_selectorELNS0_4arch9wavefront6targetE1EEEvT1_, .Lfunc_end1965-_ZN7rocprim17ROCPRIM_400000_NS6detail17trampoline_kernelINS0_14default_configENS1_27scan_by_key_config_selectorIj11FixedVectorIiLj2EEEEZZNS1_16scan_by_key_implILNS1_25lookback_scan_determinismE0ELb0ES3_N6thrust23THRUST_200600_302600_NS6detail15normal_iteratorINSB_10device_ptrIjEEEENSD_INSE_IS6_EEEESI_S6_NSB_4plusIvEENSB_8equal_toIvEES6_EE10hipError_tPvRmT2_T3_T4_T5_mT6_T7_P12ihipStream_tbENKUlT_T0_E_clISt17integral_constantIbLb1EES13_EEDaSY_SZ_EUlSY_E_NS1_11comp_targetILNS1_3genE4ELNS1_11target_archE910ELNS1_3gpuE8ELNS1_3repE0EEENS1_30default_config_static_selectorELNS0_4arch9wavefront6targetE1EEEvT1_
                                        ; -- End function
	.section	.AMDGPU.csdata,"",@progbits
; Kernel info:
; codeLenInByte = 19084
; NumSgprs: 100
; NumVgprs: 135
; NumAgprs: 0
; TotalNumVgprs: 135
; ScratchSize: 0
; MemoryBound: 0
; FloatMode: 240
; IeeeMode: 1
; LDSByteSize: 10752 bytes/workgroup (compile time only)
; SGPRBlocks: 12
; VGPRBlocks: 16
; NumSGPRsForWavesPerEU: 100
; NumVGPRsForWavesPerEU: 135
; AccumOffset: 136
; Occupancy: 2
; WaveLimiterHint : 1
; COMPUTE_PGM_RSRC2:SCRATCH_EN: 0
; COMPUTE_PGM_RSRC2:USER_SGPR: 6
; COMPUTE_PGM_RSRC2:TRAP_HANDLER: 0
; COMPUTE_PGM_RSRC2:TGID_X_EN: 1
; COMPUTE_PGM_RSRC2:TGID_Y_EN: 0
; COMPUTE_PGM_RSRC2:TGID_Z_EN: 0
; COMPUTE_PGM_RSRC2:TIDIG_COMP_CNT: 0
; COMPUTE_PGM_RSRC3_GFX90A:ACCUM_OFFSET: 33
; COMPUTE_PGM_RSRC3_GFX90A:TG_SPLIT: 0
	.section	.text._ZN7rocprim17ROCPRIM_400000_NS6detail17trampoline_kernelINS0_14default_configENS1_27scan_by_key_config_selectorIj11FixedVectorIiLj2EEEEZZNS1_16scan_by_key_implILNS1_25lookback_scan_determinismE0ELb0ES3_N6thrust23THRUST_200600_302600_NS6detail15normal_iteratorINSB_10device_ptrIjEEEENSD_INSE_IS6_EEEESI_S6_NSB_4plusIvEENSB_8equal_toIvEES6_EE10hipError_tPvRmT2_T3_T4_T5_mT6_T7_P12ihipStream_tbENKUlT_T0_E_clISt17integral_constantIbLb1EES13_EEDaSY_SZ_EUlSY_E_NS1_11comp_targetILNS1_3genE3ELNS1_11target_archE908ELNS1_3gpuE7ELNS1_3repE0EEENS1_30default_config_static_selectorELNS0_4arch9wavefront6targetE1EEEvT1_,"axG",@progbits,_ZN7rocprim17ROCPRIM_400000_NS6detail17trampoline_kernelINS0_14default_configENS1_27scan_by_key_config_selectorIj11FixedVectorIiLj2EEEEZZNS1_16scan_by_key_implILNS1_25lookback_scan_determinismE0ELb0ES3_N6thrust23THRUST_200600_302600_NS6detail15normal_iteratorINSB_10device_ptrIjEEEENSD_INSE_IS6_EEEESI_S6_NSB_4plusIvEENSB_8equal_toIvEES6_EE10hipError_tPvRmT2_T3_T4_T5_mT6_T7_P12ihipStream_tbENKUlT_T0_E_clISt17integral_constantIbLb1EES13_EEDaSY_SZ_EUlSY_E_NS1_11comp_targetILNS1_3genE3ELNS1_11target_archE908ELNS1_3gpuE7ELNS1_3repE0EEENS1_30default_config_static_selectorELNS0_4arch9wavefront6targetE1EEEvT1_,comdat
	.protected	_ZN7rocprim17ROCPRIM_400000_NS6detail17trampoline_kernelINS0_14default_configENS1_27scan_by_key_config_selectorIj11FixedVectorIiLj2EEEEZZNS1_16scan_by_key_implILNS1_25lookback_scan_determinismE0ELb0ES3_N6thrust23THRUST_200600_302600_NS6detail15normal_iteratorINSB_10device_ptrIjEEEENSD_INSE_IS6_EEEESI_S6_NSB_4plusIvEENSB_8equal_toIvEES6_EE10hipError_tPvRmT2_T3_T4_T5_mT6_T7_P12ihipStream_tbENKUlT_T0_E_clISt17integral_constantIbLb1EES13_EEDaSY_SZ_EUlSY_E_NS1_11comp_targetILNS1_3genE3ELNS1_11target_archE908ELNS1_3gpuE7ELNS1_3repE0EEENS1_30default_config_static_selectorELNS0_4arch9wavefront6targetE1EEEvT1_ ; -- Begin function _ZN7rocprim17ROCPRIM_400000_NS6detail17trampoline_kernelINS0_14default_configENS1_27scan_by_key_config_selectorIj11FixedVectorIiLj2EEEEZZNS1_16scan_by_key_implILNS1_25lookback_scan_determinismE0ELb0ES3_N6thrust23THRUST_200600_302600_NS6detail15normal_iteratorINSB_10device_ptrIjEEEENSD_INSE_IS6_EEEESI_S6_NSB_4plusIvEENSB_8equal_toIvEES6_EE10hipError_tPvRmT2_T3_T4_T5_mT6_T7_P12ihipStream_tbENKUlT_T0_E_clISt17integral_constantIbLb1EES13_EEDaSY_SZ_EUlSY_E_NS1_11comp_targetILNS1_3genE3ELNS1_11target_archE908ELNS1_3gpuE7ELNS1_3repE0EEENS1_30default_config_static_selectorELNS0_4arch9wavefront6targetE1EEEvT1_
	.globl	_ZN7rocprim17ROCPRIM_400000_NS6detail17trampoline_kernelINS0_14default_configENS1_27scan_by_key_config_selectorIj11FixedVectorIiLj2EEEEZZNS1_16scan_by_key_implILNS1_25lookback_scan_determinismE0ELb0ES3_N6thrust23THRUST_200600_302600_NS6detail15normal_iteratorINSB_10device_ptrIjEEEENSD_INSE_IS6_EEEESI_S6_NSB_4plusIvEENSB_8equal_toIvEES6_EE10hipError_tPvRmT2_T3_T4_T5_mT6_T7_P12ihipStream_tbENKUlT_T0_E_clISt17integral_constantIbLb1EES13_EEDaSY_SZ_EUlSY_E_NS1_11comp_targetILNS1_3genE3ELNS1_11target_archE908ELNS1_3gpuE7ELNS1_3repE0EEENS1_30default_config_static_selectorELNS0_4arch9wavefront6targetE1EEEvT1_
	.p2align	8
	.type	_ZN7rocprim17ROCPRIM_400000_NS6detail17trampoline_kernelINS0_14default_configENS1_27scan_by_key_config_selectorIj11FixedVectorIiLj2EEEEZZNS1_16scan_by_key_implILNS1_25lookback_scan_determinismE0ELb0ES3_N6thrust23THRUST_200600_302600_NS6detail15normal_iteratorINSB_10device_ptrIjEEEENSD_INSE_IS6_EEEESI_S6_NSB_4plusIvEENSB_8equal_toIvEES6_EE10hipError_tPvRmT2_T3_T4_T5_mT6_T7_P12ihipStream_tbENKUlT_T0_E_clISt17integral_constantIbLb1EES13_EEDaSY_SZ_EUlSY_E_NS1_11comp_targetILNS1_3genE3ELNS1_11target_archE908ELNS1_3gpuE7ELNS1_3repE0EEENS1_30default_config_static_selectorELNS0_4arch9wavefront6targetE1EEEvT1_,@function
_ZN7rocprim17ROCPRIM_400000_NS6detail17trampoline_kernelINS0_14default_configENS1_27scan_by_key_config_selectorIj11FixedVectorIiLj2EEEEZZNS1_16scan_by_key_implILNS1_25lookback_scan_determinismE0ELb0ES3_N6thrust23THRUST_200600_302600_NS6detail15normal_iteratorINSB_10device_ptrIjEEEENSD_INSE_IS6_EEEESI_S6_NSB_4plusIvEENSB_8equal_toIvEES6_EE10hipError_tPvRmT2_T3_T4_T5_mT6_T7_P12ihipStream_tbENKUlT_T0_E_clISt17integral_constantIbLb1EES13_EEDaSY_SZ_EUlSY_E_NS1_11comp_targetILNS1_3genE3ELNS1_11target_archE908ELNS1_3gpuE7ELNS1_3repE0EEENS1_30default_config_static_selectorELNS0_4arch9wavefront6targetE1EEEvT1_: ; @_ZN7rocprim17ROCPRIM_400000_NS6detail17trampoline_kernelINS0_14default_configENS1_27scan_by_key_config_selectorIj11FixedVectorIiLj2EEEEZZNS1_16scan_by_key_implILNS1_25lookback_scan_determinismE0ELb0ES3_N6thrust23THRUST_200600_302600_NS6detail15normal_iteratorINSB_10device_ptrIjEEEENSD_INSE_IS6_EEEESI_S6_NSB_4plusIvEENSB_8equal_toIvEES6_EE10hipError_tPvRmT2_T3_T4_T5_mT6_T7_P12ihipStream_tbENKUlT_T0_E_clISt17integral_constantIbLb1EES13_EEDaSY_SZ_EUlSY_E_NS1_11comp_targetILNS1_3genE3ELNS1_11target_archE908ELNS1_3gpuE7ELNS1_3repE0EEENS1_30default_config_static_selectorELNS0_4arch9wavefront6targetE1EEEvT1_
; %bb.0:
	.section	.rodata,"a",@progbits
	.p2align	6, 0x0
	.amdhsa_kernel _ZN7rocprim17ROCPRIM_400000_NS6detail17trampoline_kernelINS0_14default_configENS1_27scan_by_key_config_selectorIj11FixedVectorIiLj2EEEEZZNS1_16scan_by_key_implILNS1_25lookback_scan_determinismE0ELb0ES3_N6thrust23THRUST_200600_302600_NS6detail15normal_iteratorINSB_10device_ptrIjEEEENSD_INSE_IS6_EEEESI_S6_NSB_4plusIvEENSB_8equal_toIvEES6_EE10hipError_tPvRmT2_T3_T4_T5_mT6_T7_P12ihipStream_tbENKUlT_T0_E_clISt17integral_constantIbLb1EES13_EEDaSY_SZ_EUlSY_E_NS1_11comp_targetILNS1_3genE3ELNS1_11target_archE908ELNS1_3gpuE7ELNS1_3repE0EEENS1_30default_config_static_selectorELNS0_4arch9wavefront6targetE1EEEvT1_
		.amdhsa_group_segment_fixed_size 0
		.amdhsa_private_segment_fixed_size 0
		.amdhsa_kernarg_size 120
		.amdhsa_user_sgpr_count 6
		.amdhsa_user_sgpr_private_segment_buffer 1
		.amdhsa_user_sgpr_dispatch_ptr 0
		.amdhsa_user_sgpr_queue_ptr 0
		.amdhsa_user_sgpr_kernarg_segment_ptr 1
		.amdhsa_user_sgpr_dispatch_id 0
		.amdhsa_user_sgpr_flat_scratch_init 0
		.amdhsa_user_sgpr_kernarg_preload_length 0
		.amdhsa_user_sgpr_kernarg_preload_offset 0
		.amdhsa_user_sgpr_private_segment_size 0
		.amdhsa_uses_dynamic_stack 0
		.amdhsa_system_sgpr_private_segment_wavefront_offset 0
		.amdhsa_system_sgpr_workgroup_id_x 1
		.amdhsa_system_sgpr_workgroup_id_y 0
		.amdhsa_system_sgpr_workgroup_id_z 0
		.amdhsa_system_sgpr_workgroup_info 0
		.amdhsa_system_vgpr_workitem_id 0
		.amdhsa_next_free_vgpr 1
		.amdhsa_next_free_sgpr 0
		.amdhsa_accum_offset 4
		.amdhsa_reserve_vcc 0
		.amdhsa_reserve_flat_scratch 0
		.amdhsa_float_round_mode_32 0
		.amdhsa_float_round_mode_16_64 0
		.amdhsa_float_denorm_mode_32 3
		.amdhsa_float_denorm_mode_16_64 3
		.amdhsa_dx10_clamp 1
		.amdhsa_ieee_mode 1
		.amdhsa_fp16_overflow 0
		.amdhsa_tg_split 0
		.amdhsa_exception_fp_ieee_invalid_op 0
		.amdhsa_exception_fp_denorm_src 0
		.amdhsa_exception_fp_ieee_div_zero 0
		.amdhsa_exception_fp_ieee_overflow 0
		.amdhsa_exception_fp_ieee_underflow 0
		.amdhsa_exception_fp_ieee_inexact 0
		.amdhsa_exception_int_div_zero 0
	.end_amdhsa_kernel
	.section	.text._ZN7rocprim17ROCPRIM_400000_NS6detail17trampoline_kernelINS0_14default_configENS1_27scan_by_key_config_selectorIj11FixedVectorIiLj2EEEEZZNS1_16scan_by_key_implILNS1_25lookback_scan_determinismE0ELb0ES3_N6thrust23THRUST_200600_302600_NS6detail15normal_iteratorINSB_10device_ptrIjEEEENSD_INSE_IS6_EEEESI_S6_NSB_4plusIvEENSB_8equal_toIvEES6_EE10hipError_tPvRmT2_T3_T4_T5_mT6_T7_P12ihipStream_tbENKUlT_T0_E_clISt17integral_constantIbLb1EES13_EEDaSY_SZ_EUlSY_E_NS1_11comp_targetILNS1_3genE3ELNS1_11target_archE908ELNS1_3gpuE7ELNS1_3repE0EEENS1_30default_config_static_selectorELNS0_4arch9wavefront6targetE1EEEvT1_,"axG",@progbits,_ZN7rocprim17ROCPRIM_400000_NS6detail17trampoline_kernelINS0_14default_configENS1_27scan_by_key_config_selectorIj11FixedVectorIiLj2EEEEZZNS1_16scan_by_key_implILNS1_25lookback_scan_determinismE0ELb0ES3_N6thrust23THRUST_200600_302600_NS6detail15normal_iteratorINSB_10device_ptrIjEEEENSD_INSE_IS6_EEEESI_S6_NSB_4plusIvEENSB_8equal_toIvEES6_EE10hipError_tPvRmT2_T3_T4_T5_mT6_T7_P12ihipStream_tbENKUlT_T0_E_clISt17integral_constantIbLb1EES13_EEDaSY_SZ_EUlSY_E_NS1_11comp_targetILNS1_3genE3ELNS1_11target_archE908ELNS1_3gpuE7ELNS1_3repE0EEENS1_30default_config_static_selectorELNS0_4arch9wavefront6targetE1EEEvT1_,comdat
.Lfunc_end1966:
	.size	_ZN7rocprim17ROCPRIM_400000_NS6detail17trampoline_kernelINS0_14default_configENS1_27scan_by_key_config_selectorIj11FixedVectorIiLj2EEEEZZNS1_16scan_by_key_implILNS1_25lookback_scan_determinismE0ELb0ES3_N6thrust23THRUST_200600_302600_NS6detail15normal_iteratorINSB_10device_ptrIjEEEENSD_INSE_IS6_EEEESI_S6_NSB_4plusIvEENSB_8equal_toIvEES6_EE10hipError_tPvRmT2_T3_T4_T5_mT6_T7_P12ihipStream_tbENKUlT_T0_E_clISt17integral_constantIbLb1EES13_EEDaSY_SZ_EUlSY_E_NS1_11comp_targetILNS1_3genE3ELNS1_11target_archE908ELNS1_3gpuE7ELNS1_3repE0EEENS1_30default_config_static_selectorELNS0_4arch9wavefront6targetE1EEEvT1_, .Lfunc_end1966-_ZN7rocprim17ROCPRIM_400000_NS6detail17trampoline_kernelINS0_14default_configENS1_27scan_by_key_config_selectorIj11FixedVectorIiLj2EEEEZZNS1_16scan_by_key_implILNS1_25lookback_scan_determinismE0ELb0ES3_N6thrust23THRUST_200600_302600_NS6detail15normal_iteratorINSB_10device_ptrIjEEEENSD_INSE_IS6_EEEESI_S6_NSB_4plusIvEENSB_8equal_toIvEES6_EE10hipError_tPvRmT2_T3_T4_T5_mT6_T7_P12ihipStream_tbENKUlT_T0_E_clISt17integral_constantIbLb1EES13_EEDaSY_SZ_EUlSY_E_NS1_11comp_targetILNS1_3genE3ELNS1_11target_archE908ELNS1_3gpuE7ELNS1_3repE0EEENS1_30default_config_static_selectorELNS0_4arch9wavefront6targetE1EEEvT1_
                                        ; -- End function
	.section	.AMDGPU.csdata,"",@progbits
; Kernel info:
; codeLenInByte = 0
; NumSgprs: 4
; NumVgprs: 0
; NumAgprs: 0
; TotalNumVgprs: 0
; ScratchSize: 0
; MemoryBound: 0
; FloatMode: 240
; IeeeMode: 1
; LDSByteSize: 0 bytes/workgroup (compile time only)
; SGPRBlocks: 0
; VGPRBlocks: 0
; NumSGPRsForWavesPerEU: 4
; NumVGPRsForWavesPerEU: 1
; AccumOffset: 4
; Occupancy: 8
; WaveLimiterHint : 0
; COMPUTE_PGM_RSRC2:SCRATCH_EN: 0
; COMPUTE_PGM_RSRC2:USER_SGPR: 6
; COMPUTE_PGM_RSRC2:TRAP_HANDLER: 0
; COMPUTE_PGM_RSRC2:TGID_X_EN: 1
; COMPUTE_PGM_RSRC2:TGID_Y_EN: 0
; COMPUTE_PGM_RSRC2:TGID_Z_EN: 0
; COMPUTE_PGM_RSRC2:TIDIG_COMP_CNT: 0
; COMPUTE_PGM_RSRC3_GFX90A:ACCUM_OFFSET: 0
; COMPUTE_PGM_RSRC3_GFX90A:TG_SPLIT: 0
	.section	.text._ZN7rocprim17ROCPRIM_400000_NS6detail17trampoline_kernelINS0_14default_configENS1_27scan_by_key_config_selectorIj11FixedVectorIiLj2EEEEZZNS1_16scan_by_key_implILNS1_25lookback_scan_determinismE0ELb0ES3_N6thrust23THRUST_200600_302600_NS6detail15normal_iteratorINSB_10device_ptrIjEEEENSD_INSE_IS6_EEEESI_S6_NSB_4plusIvEENSB_8equal_toIvEES6_EE10hipError_tPvRmT2_T3_T4_T5_mT6_T7_P12ihipStream_tbENKUlT_T0_E_clISt17integral_constantIbLb1EES13_EEDaSY_SZ_EUlSY_E_NS1_11comp_targetILNS1_3genE2ELNS1_11target_archE906ELNS1_3gpuE6ELNS1_3repE0EEENS1_30default_config_static_selectorELNS0_4arch9wavefront6targetE1EEEvT1_,"axG",@progbits,_ZN7rocprim17ROCPRIM_400000_NS6detail17trampoline_kernelINS0_14default_configENS1_27scan_by_key_config_selectorIj11FixedVectorIiLj2EEEEZZNS1_16scan_by_key_implILNS1_25lookback_scan_determinismE0ELb0ES3_N6thrust23THRUST_200600_302600_NS6detail15normal_iteratorINSB_10device_ptrIjEEEENSD_INSE_IS6_EEEESI_S6_NSB_4plusIvEENSB_8equal_toIvEES6_EE10hipError_tPvRmT2_T3_T4_T5_mT6_T7_P12ihipStream_tbENKUlT_T0_E_clISt17integral_constantIbLb1EES13_EEDaSY_SZ_EUlSY_E_NS1_11comp_targetILNS1_3genE2ELNS1_11target_archE906ELNS1_3gpuE6ELNS1_3repE0EEENS1_30default_config_static_selectorELNS0_4arch9wavefront6targetE1EEEvT1_,comdat
	.protected	_ZN7rocprim17ROCPRIM_400000_NS6detail17trampoline_kernelINS0_14default_configENS1_27scan_by_key_config_selectorIj11FixedVectorIiLj2EEEEZZNS1_16scan_by_key_implILNS1_25lookback_scan_determinismE0ELb0ES3_N6thrust23THRUST_200600_302600_NS6detail15normal_iteratorINSB_10device_ptrIjEEEENSD_INSE_IS6_EEEESI_S6_NSB_4plusIvEENSB_8equal_toIvEES6_EE10hipError_tPvRmT2_T3_T4_T5_mT6_T7_P12ihipStream_tbENKUlT_T0_E_clISt17integral_constantIbLb1EES13_EEDaSY_SZ_EUlSY_E_NS1_11comp_targetILNS1_3genE2ELNS1_11target_archE906ELNS1_3gpuE6ELNS1_3repE0EEENS1_30default_config_static_selectorELNS0_4arch9wavefront6targetE1EEEvT1_ ; -- Begin function _ZN7rocprim17ROCPRIM_400000_NS6detail17trampoline_kernelINS0_14default_configENS1_27scan_by_key_config_selectorIj11FixedVectorIiLj2EEEEZZNS1_16scan_by_key_implILNS1_25lookback_scan_determinismE0ELb0ES3_N6thrust23THRUST_200600_302600_NS6detail15normal_iteratorINSB_10device_ptrIjEEEENSD_INSE_IS6_EEEESI_S6_NSB_4plusIvEENSB_8equal_toIvEES6_EE10hipError_tPvRmT2_T3_T4_T5_mT6_T7_P12ihipStream_tbENKUlT_T0_E_clISt17integral_constantIbLb1EES13_EEDaSY_SZ_EUlSY_E_NS1_11comp_targetILNS1_3genE2ELNS1_11target_archE906ELNS1_3gpuE6ELNS1_3repE0EEENS1_30default_config_static_selectorELNS0_4arch9wavefront6targetE1EEEvT1_
	.globl	_ZN7rocprim17ROCPRIM_400000_NS6detail17trampoline_kernelINS0_14default_configENS1_27scan_by_key_config_selectorIj11FixedVectorIiLj2EEEEZZNS1_16scan_by_key_implILNS1_25lookback_scan_determinismE0ELb0ES3_N6thrust23THRUST_200600_302600_NS6detail15normal_iteratorINSB_10device_ptrIjEEEENSD_INSE_IS6_EEEESI_S6_NSB_4plusIvEENSB_8equal_toIvEES6_EE10hipError_tPvRmT2_T3_T4_T5_mT6_T7_P12ihipStream_tbENKUlT_T0_E_clISt17integral_constantIbLb1EES13_EEDaSY_SZ_EUlSY_E_NS1_11comp_targetILNS1_3genE2ELNS1_11target_archE906ELNS1_3gpuE6ELNS1_3repE0EEENS1_30default_config_static_selectorELNS0_4arch9wavefront6targetE1EEEvT1_
	.p2align	8
	.type	_ZN7rocprim17ROCPRIM_400000_NS6detail17trampoline_kernelINS0_14default_configENS1_27scan_by_key_config_selectorIj11FixedVectorIiLj2EEEEZZNS1_16scan_by_key_implILNS1_25lookback_scan_determinismE0ELb0ES3_N6thrust23THRUST_200600_302600_NS6detail15normal_iteratorINSB_10device_ptrIjEEEENSD_INSE_IS6_EEEESI_S6_NSB_4plusIvEENSB_8equal_toIvEES6_EE10hipError_tPvRmT2_T3_T4_T5_mT6_T7_P12ihipStream_tbENKUlT_T0_E_clISt17integral_constantIbLb1EES13_EEDaSY_SZ_EUlSY_E_NS1_11comp_targetILNS1_3genE2ELNS1_11target_archE906ELNS1_3gpuE6ELNS1_3repE0EEENS1_30default_config_static_selectorELNS0_4arch9wavefront6targetE1EEEvT1_,@function
_ZN7rocprim17ROCPRIM_400000_NS6detail17trampoline_kernelINS0_14default_configENS1_27scan_by_key_config_selectorIj11FixedVectorIiLj2EEEEZZNS1_16scan_by_key_implILNS1_25lookback_scan_determinismE0ELb0ES3_N6thrust23THRUST_200600_302600_NS6detail15normal_iteratorINSB_10device_ptrIjEEEENSD_INSE_IS6_EEEESI_S6_NSB_4plusIvEENSB_8equal_toIvEES6_EE10hipError_tPvRmT2_T3_T4_T5_mT6_T7_P12ihipStream_tbENKUlT_T0_E_clISt17integral_constantIbLb1EES13_EEDaSY_SZ_EUlSY_E_NS1_11comp_targetILNS1_3genE2ELNS1_11target_archE906ELNS1_3gpuE6ELNS1_3repE0EEENS1_30default_config_static_selectorELNS0_4arch9wavefront6targetE1EEEvT1_: ; @_ZN7rocprim17ROCPRIM_400000_NS6detail17trampoline_kernelINS0_14default_configENS1_27scan_by_key_config_selectorIj11FixedVectorIiLj2EEEEZZNS1_16scan_by_key_implILNS1_25lookback_scan_determinismE0ELb0ES3_N6thrust23THRUST_200600_302600_NS6detail15normal_iteratorINSB_10device_ptrIjEEEENSD_INSE_IS6_EEEESI_S6_NSB_4plusIvEENSB_8equal_toIvEES6_EE10hipError_tPvRmT2_T3_T4_T5_mT6_T7_P12ihipStream_tbENKUlT_T0_E_clISt17integral_constantIbLb1EES13_EEDaSY_SZ_EUlSY_E_NS1_11comp_targetILNS1_3genE2ELNS1_11target_archE906ELNS1_3gpuE6ELNS1_3repE0EEENS1_30default_config_static_selectorELNS0_4arch9wavefront6targetE1EEEvT1_
; %bb.0:
	.section	.rodata,"a",@progbits
	.p2align	6, 0x0
	.amdhsa_kernel _ZN7rocprim17ROCPRIM_400000_NS6detail17trampoline_kernelINS0_14default_configENS1_27scan_by_key_config_selectorIj11FixedVectorIiLj2EEEEZZNS1_16scan_by_key_implILNS1_25lookback_scan_determinismE0ELb0ES3_N6thrust23THRUST_200600_302600_NS6detail15normal_iteratorINSB_10device_ptrIjEEEENSD_INSE_IS6_EEEESI_S6_NSB_4plusIvEENSB_8equal_toIvEES6_EE10hipError_tPvRmT2_T3_T4_T5_mT6_T7_P12ihipStream_tbENKUlT_T0_E_clISt17integral_constantIbLb1EES13_EEDaSY_SZ_EUlSY_E_NS1_11comp_targetILNS1_3genE2ELNS1_11target_archE906ELNS1_3gpuE6ELNS1_3repE0EEENS1_30default_config_static_selectorELNS0_4arch9wavefront6targetE1EEEvT1_
		.amdhsa_group_segment_fixed_size 0
		.amdhsa_private_segment_fixed_size 0
		.amdhsa_kernarg_size 120
		.amdhsa_user_sgpr_count 6
		.amdhsa_user_sgpr_private_segment_buffer 1
		.amdhsa_user_sgpr_dispatch_ptr 0
		.amdhsa_user_sgpr_queue_ptr 0
		.amdhsa_user_sgpr_kernarg_segment_ptr 1
		.amdhsa_user_sgpr_dispatch_id 0
		.amdhsa_user_sgpr_flat_scratch_init 0
		.amdhsa_user_sgpr_kernarg_preload_length 0
		.amdhsa_user_sgpr_kernarg_preload_offset 0
		.amdhsa_user_sgpr_private_segment_size 0
		.amdhsa_uses_dynamic_stack 0
		.amdhsa_system_sgpr_private_segment_wavefront_offset 0
		.amdhsa_system_sgpr_workgroup_id_x 1
		.amdhsa_system_sgpr_workgroup_id_y 0
		.amdhsa_system_sgpr_workgroup_id_z 0
		.amdhsa_system_sgpr_workgroup_info 0
		.amdhsa_system_vgpr_workitem_id 0
		.amdhsa_next_free_vgpr 1
		.amdhsa_next_free_sgpr 0
		.amdhsa_accum_offset 4
		.amdhsa_reserve_vcc 0
		.amdhsa_reserve_flat_scratch 0
		.amdhsa_float_round_mode_32 0
		.amdhsa_float_round_mode_16_64 0
		.amdhsa_float_denorm_mode_32 3
		.amdhsa_float_denorm_mode_16_64 3
		.amdhsa_dx10_clamp 1
		.amdhsa_ieee_mode 1
		.amdhsa_fp16_overflow 0
		.amdhsa_tg_split 0
		.amdhsa_exception_fp_ieee_invalid_op 0
		.amdhsa_exception_fp_denorm_src 0
		.amdhsa_exception_fp_ieee_div_zero 0
		.amdhsa_exception_fp_ieee_overflow 0
		.amdhsa_exception_fp_ieee_underflow 0
		.amdhsa_exception_fp_ieee_inexact 0
		.amdhsa_exception_int_div_zero 0
	.end_amdhsa_kernel
	.section	.text._ZN7rocprim17ROCPRIM_400000_NS6detail17trampoline_kernelINS0_14default_configENS1_27scan_by_key_config_selectorIj11FixedVectorIiLj2EEEEZZNS1_16scan_by_key_implILNS1_25lookback_scan_determinismE0ELb0ES3_N6thrust23THRUST_200600_302600_NS6detail15normal_iteratorINSB_10device_ptrIjEEEENSD_INSE_IS6_EEEESI_S6_NSB_4plusIvEENSB_8equal_toIvEES6_EE10hipError_tPvRmT2_T3_T4_T5_mT6_T7_P12ihipStream_tbENKUlT_T0_E_clISt17integral_constantIbLb1EES13_EEDaSY_SZ_EUlSY_E_NS1_11comp_targetILNS1_3genE2ELNS1_11target_archE906ELNS1_3gpuE6ELNS1_3repE0EEENS1_30default_config_static_selectorELNS0_4arch9wavefront6targetE1EEEvT1_,"axG",@progbits,_ZN7rocprim17ROCPRIM_400000_NS6detail17trampoline_kernelINS0_14default_configENS1_27scan_by_key_config_selectorIj11FixedVectorIiLj2EEEEZZNS1_16scan_by_key_implILNS1_25lookback_scan_determinismE0ELb0ES3_N6thrust23THRUST_200600_302600_NS6detail15normal_iteratorINSB_10device_ptrIjEEEENSD_INSE_IS6_EEEESI_S6_NSB_4plusIvEENSB_8equal_toIvEES6_EE10hipError_tPvRmT2_T3_T4_T5_mT6_T7_P12ihipStream_tbENKUlT_T0_E_clISt17integral_constantIbLb1EES13_EEDaSY_SZ_EUlSY_E_NS1_11comp_targetILNS1_3genE2ELNS1_11target_archE906ELNS1_3gpuE6ELNS1_3repE0EEENS1_30default_config_static_selectorELNS0_4arch9wavefront6targetE1EEEvT1_,comdat
.Lfunc_end1967:
	.size	_ZN7rocprim17ROCPRIM_400000_NS6detail17trampoline_kernelINS0_14default_configENS1_27scan_by_key_config_selectorIj11FixedVectorIiLj2EEEEZZNS1_16scan_by_key_implILNS1_25lookback_scan_determinismE0ELb0ES3_N6thrust23THRUST_200600_302600_NS6detail15normal_iteratorINSB_10device_ptrIjEEEENSD_INSE_IS6_EEEESI_S6_NSB_4plusIvEENSB_8equal_toIvEES6_EE10hipError_tPvRmT2_T3_T4_T5_mT6_T7_P12ihipStream_tbENKUlT_T0_E_clISt17integral_constantIbLb1EES13_EEDaSY_SZ_EUlSY_E_NS1_11comp_targetILNS1_3genE2ELNS1_11target_archE906ELNS1_3gpuE6ELNS1_3repE0EEENS1_30default_config_static_selectorELNS0_4arch9wavefront6targetE1EEEvT1_, .Lfunc_end1967-_ZN7rocprim17ROCPRIM_400000_NS6detail17trampoline_kernelINS0_14default_configENS1_27scan_by_key_config_selectorIj11FixedVectorIiLj2EEEEZZNS1_16scan_by_key_implILNS1_25lookback_scan_determinismE0ELb0ES3_N6thrust23THRUST_200600_302600_NS6detail15normal_iteratorINSB_10device_ptrIjEEEENSD_INSE_IS6_EEEESI_S6_NSB_4plusIvEENSB_8equal_toIvEES6_EE10hipError_tPvRmT2_T3_T4_T5_mT6_T7_P12ihipStream_tbENKUlT_T0_E_clISt17integral_constantIbLb1EES13_EEDaSY_SZ_EUlSY_E_NS1_11comp_targetILNS1_3genE2ELNS1_11target_archE906ELNS1_3gpuE6ELNS1_3repE0EEENS1_30default_config_static_selectorELNS0_4arch9wavefront6targetE1EEEvT1_
                                        ; -- End function
	.section	.AMDGPU.csdata,"",@progbits
; Kernel info:
; codeLenInByte = 0
; NumSgprs: 4
; NumVgprs: 0
; NumAgprs: 0
; TotalNumVgprs: 0
; ScratchSize: 0
; MemoryBound: 0
; FloatMode: 240
; IeeeMode: 1
; LDSByteSize: 0 bytes/workgroup (compile time only)
; SGPRBlocks: 0
; VGPRBlocks: 0
; NumSGPRsForWavesPerEU: 4
; NumVGPRsForWavesPerEU: 1
; AccumOffset: 4
; Occupancy: 8
; WaveLimiterHint : 0
; COMPUTE_PGM_RSRC2:SCRATCH_EN: 0
; COMPUTE_PGM_RSRC2:USER_SGPR: 6
; COMPUTE_PGM_RSRC2:TRAP_HANDLER: 0
; COMPUTE_PGM_RSRC2:TGID_X_EN: 1
; COMPUTE_PGM_RSRC2:TGID_Y_EN: 0
; COMPUTE_PGM_RSRC2:TGID_Z_EN: 0
; COMPUTE_PGM_RSRC2:TIDIG_COMP_CNT: 0
; COMPUTE_PGM_RSRC3_GFX90A:ACCUM_OFFSET: 0
; COMPUTE_PGM_RSRC3_GFX90A:TG_SPLIT: 0
	.section	.text._ZN7rocprim17ROCPRIM_400000_NS6detail17trampoline_kernelINS0_14default_configENS1_27scan_by_key_config_selectorIj11FixedVectorIiLj2EEEEZZNS1_16scan_by_key_implILNS1_25lookback_scan_determinismE0ELb0ES3_N6thrust23THRUST_200600_302600_NS6detail15normal_iteratorINSB_10device_ptrIjEEEENSD_INSE_IS6_EEEESI_S6_NSB_4plusIvEENSB_8equal_toIvEES6_EE10hipError_tPvRmT2_T3_T4_T5_mT6_T7_P12ihipStream_tbENKUlT_T0_E_clISt17integral_constantIbLb1EES13_EEDaSY_SZ_EUlSY_E_NS1_11comp_targetILNS1_3genE10ELNS1_11target_archE1200ELNS1_3gpuE4ELNS1_3repE0EEENS1_30default_config_static_selectorELNS0_4arch9wavefront6targetE1EEEvT1_,"axG",@progbits,_ZN7rocprim17ROCPRIM_400000_NS6detail17trampoline_kernelINS0_14default_configENS1_27scan_by_key_config_selectorIj11FixedVectorIiLj2EEEEZZNS1_16scan_by_key_implILNS1_25lookback_scan_determinismE0ELb0ES3_N6thrust23THRUST_200600_302600_NS6detail15normal_iteratorINSB_10device_ptrIjEEEENSD_INSE_IS6_EEEESI_S6_NSB_4plusIvEENSB_8equal_toIvEES6_EE10hipError_tPvRmT2_T3_T4_T5_mT6_T7_P12ihipStream_tbENKUlT_T0_E_clISt17integral_constantIbLb1EES13_EEDaSY_SZ_EUlSY_E_NS1_11comp_targetILNS1_3genE10ELNS1_11target_archE1200ELNS1_3gpuE4ELNS1_3repE0EEENS1_30default_config_static_selectorELNS0_4arch9wavefront6targetE1EEEvT1_,comdat
	.protected	_ZN7rocprim17ROCPRIM_400000_NS6detail17trampoline_kernelINS0_14default_configENS1_27scan_by_key_config_selectorIj11FixedVectorIiLj2EEEEZZNS1_16scan_by_key_implILNS1_25lookback_scan_determinismE0ELb0ES3_N6thrust23THRUST_200600_302600_NS6detail15normal_iteratorINSB_10device_ptrIjEEEENSD_INSE_IS6_EEEESI_S6_NSB_4plusIvEENSB_8equal_toIvEES6_EE10hipError_tPvRmT2_T3_T4_T5_mT6_T7_P12ihipStream_tbENKUlT_T0_E_clISt17integral_constantIbLb1EES13_EEDaSY_SZ_EUlSY_E_NS1_11comp_targetILNS1_3genE10ELNS1_11target_archE1200ELNS1_3gpuE4ELNS1_3repE0EEENS1_30default_config_static_selectorELNS0_4arch9wavefront6targetE1EEEvT1_ ; -- Begin function _ZN7rocprim17ROCPRIM_400000_NS6detail17trampoline_kernelINS0_14default_configENS1_27scan_by_key_config_selectorIj11FixedVectorIiLj2EEEEZZNS1_16scan_by_key_implILNS1_25lookback_scan_determinismE0ELb0ES3_N6thrust23THRUST_200600_302600_NS6detail15normal_iteratorINSB_10device_ptrIjEEEENSD_INSE_IS6_EEEESI_S6_NSB_4plusIvEENSB_8equal_toIvEES6_EE10hipError_tPvRmT2_T3_T4_T5_mT6_T7_P12ihipStream_tbENKUlT_T0_E_clISt17integral_constantIbLb1EES13_EEDaSY_SZ_EUlSY_E_NS1_11comp_targetILNS1_3genE10ELNS1_11target_archE1200ELNS1_3gpuE4ELNS1_3repE0EEENS1_30default_config_static_selectorELNS0_4arch9wavefront6targetE1EEEvT1_
	.globl	_ZN7rocprim17ROCPRIM_400000_NS6detail17trampoline_kernelINS0_14default_configENS1_27scan_by_key_config_selectorIj11FixedVectorIiLj2EEEEZZNS1_16scan_by_key_implILNS1_25lookback_scan_determinismE0ELb0ES3_N6thrust23THRUST_200600_302600_NS6detail15normal_iteratorINSB_10device_ptrIjEEEENSD_INSE_IS6_EEEESI_S6_NSB_4plusIvEENSB_8equal_toIvEES6_EE10hipError_tPvRmT2_T3_T4_T5_mT6_T7_P12ihipStream_tbENKUlT_T0_E_clISt17integral_constantIbLb1EES13_EEDaSY_SZ_EUlSY_E_NS1_11comp_targetILNS1_3genE10ELNS1_11target_archE1200ELNS1_3gpuE4ELNS1_3repE0EEENS1_30default_config_static_selectorELNS0_4arch9wavefront6targetE1EEEvT1_
	.p2align	8
	.type	_ZN7rocprim17ROCPRIM_400000_NS6detail17trampoline_kernelINS0_14default_configENS1_27scan_by_key_config_selectorIj11FixedVectorIiLj2EEEEZZNS1_16scan_by_key_implILNS1_25lookback_scan_determinismE0ELb0ES3_N6thrust23THRUST_200600_302600_NS6detail15normal_iteratorINSB_10device_ptrIjEEEENSD_INSE_IS6_EEEESI_S6_NSB_4plusIvEENSB_8equal_toIvEES6_EE10hipError_tPvRmT2_T3_T4_T5_mT6_T7_P12ihipStream_tbENKUlT_T0_E_clISt17integral_constantIbLb1EES13_EEDaSY_SZ_EUlSY_E_NS1_11comp_targetILNS1_3genE10ELNS1_11target_archE1200ELNS1_3gpuE4ELNS1_3repE0EEENS1_30default_config_static_selectorELNS0_4arch9wavefront6targetE1EEEvT1_,@function
_ZN7rocprim17ROCPRIM_400000_NS6detail17trampoline_kernelINS0_14default_configENS1_27scan_by_key_config_selectorIj11FixedVectorIiLj2EEEEZZNS1_16scan_by_key_implILNS1_25lookback_scan_determinismE0ELb0ES3_N6thrust23THRUST_200600_302600_NS6detail15normal_iteratorINSB_10device_ptrIjEEEENSD_INSE_IS6_EEEESI_S6_NSB_4plusIvEENSB_8equal_toIvEES6_EE10hipError_tPvRmT2_T3_T4_T5_mT6_T7_P12ihipStream_tbENKUlT_T0_E_clISt17integral_constantIbLb1EES13_EEDaSY_SZ_EUlSY_E_NS1_11comp_targetILNS1_3genE10ELNS1_11target_archE1200ELNS1_3gpuE4ELNS1_3repE0EEENS1_30default_config_static_selectorELNS0_4arch9wavefront6targetE1EEEvT1_: ; @_ZN7rocprim17ROCPRIM_400000_NS6detail17trampoline_kernelINS0_14default_configENS1_27scan_by_key_config_selectorIj11FixedVectorIiLj2EEEEZZNS1_16scan_by_key_implILNS1_25lookback_scan_determinismE0ELb0ES3_N6thrust23THRUST_200600_302600_NS6detail15normal_iteratorINSB_10device_ptrIjEEEENSD_INSE_IS6_EEEESI_S6_NSB_4plusIvEENSB_8equal_toIvEES6_EE10hipError_tPvRmT2_T3_T4_T5_mT6_T7_P12ihipStream_tbENKUlT_T0_E_clISt17integral_constantIbLb1EES13_EEDaSY_SZ_EUlSY_E_NS1_11comp_targetILNS1_3genE10ELNS1_11target_archE1200ELNS1_3gpuE4ELNS1_3repE0EEENS1_30default_config_static_selectorELNS0_4arch9wavefront6targetE1EEEvT1_
; %bb.0:
	.section	.rodata,"a",@progbits
	.p2align	6, 0x0
	.amdhsa_kernel _ZN7rocprim17ROCPRIM_400000_NS6detail17trampoline_kernelINS0_14default_configENS1_27scan_by_key_config_selectorIj11FixedVectorIiLj2EEEEZZNS1_16scan_by_key_implILNS1_25lookback_scan_determinismE0ELb0ES3_N6thrust23THRUST_200600_302600_NS6detail15normal_iteratorINSB_10device_ptrIjEEEENSD_INSE_IS6_EEEESI_S6_NSB_4plusIvEENSB_8equal_toIvEES6_EE10hipError_tPvRmT2_T3_T4_T5_mT6_T7_P12ihipStream_tbENKUlT_T0_E_clISt17integral_constantIbLb1EES13_EEDaSY_SZ_EUlSY_E_NS1_11comp_targetILNS1_3genE10ELNS1_11target_archE1200ELNS1_3gpuE4ELNS1_3repE0EEENS1_30default_config_static_selectorELNS0_4arch9wavefront6targetE1EEEvT1_
		.amdhsa_group_segment_fixed_size 0
		.amdhsa_private_segment_fixed_size 0
		.amdhsa_kernarg_size 120
		.amdhsa_user_sgpr_count 6
		.amdhsa_user_sgpr_private_segment_buffer 1
		.amdhsa_user_sgpr_dispatch_ptr 0
		.amdhsa_user_sgpr_queue_ptr 0
		.amdhsa_user_sgpr_kernarg_segment_ptr 1
		.amdhsa_user_sgpr_dispatch_id 0
		.amdhsa_user_sgpr_flat_scratch_init 0
		.amdhsa_user_sgpr_kernarg_preload_length 0
		.amdhsa_user_sgpr_kernarg_preload_offset 0
		.amdhsa_user_sgpr_private_segment_size 0
		.amdhsa_uses_dynamic_stack 0
		.amdhsa_system_sgpr_private_segment_wavefront_offset 0
		.amdhsa_system_sgpr_workgroup_id_x 1
		.amdhsa_system_sgpr_workgroup_id_y 0
		.amdhsa_system_sgpr_workgroup_id_z 0
		.amdhsa_system_sgpr_workgroup_info 0
		.amdhsa_system_vgpr_workitem_id 0
		.amdhsa_next_free_vgpr 1
		.amdhsa_next_free_sgpr 0
		.amdhsa_accum_offset 4
		.amdhsa_reserve_vcc 0
		.amdhsa_reserve_flat_scratch 0
		.amdhsa_float_round_mode_32 0
		.amdhsa_float_round_mode_16_64 0
		.amdhsa_float_denorm_mode_32 3
		.amdhsa_float_denorm_mode_16_64 3
		.amdhsa_dx10_clamp 1
		.amdhsa_ieee_mode 1
		.amdhsa_fp16_overflow 0
		.amdhsa_tg_split 0
		.amdhsa_exception_fp_ieee_invalid_op 0
		.amdhsa_exception_fp_denorm_src 0
		.amdhsa_exception_fp_ieee_div_zero 0
		.amdhsa_exception_fp_ieee_overflow 0
		.amdhsa_exception_fp_ieee_underflow 0
		.amdhsa_exception_fp_ieee_inexact 0
		.amdhsa_exception_int_div_zero 0
	.end_amdhsa_kernel
	.section	.text._ZN7rocprim17ROCPRIM_400000_NS6detail17trampoline_kernelINS0_14default_configENS1_27scan_by_key_config_selectorIj11FixedVectorIiLj2EEEEZZNS1_16scan_by_key_implILNS1_25lookback_scan_determinismE0ELb0ES3_N6thrust23THRUST_200600_302600_NS6detail15normal_iteratorINSB_10device_ptrIjEEEENSD_INSE_IS6_EEEESI_S6_NSB_4plusIvEENSB_8equal_toIvEES6_EE10hipError_tPvRmT2_T3_T4_T5_mT6_T7_P12ihipStream_tbENKUlT_T0_E_clISt17integral_constantIbLb1EES13_EEDaSY_SZ_EUlSY_E_NS1_11comp_targetILNS1_3genE10ELNS1_11target_archE1200ELNS1_3gpuE4ELNS1_3repE0EEENS1_30default_config_static_selectorELNS0_4arch9wavefront6targetE1EEEvT1_,"axG",@progbits,_ZN7rocprim17ROCPRIM_400000_NS6detail17trampoline_kernelINS0_14default_configENS1_27scan_by_key_config_selectorIj11FixedVectorIiLj2EEEEZZNS1_16scan_by_key_implILNS1_25lookback_scan_determinismE0ELb0ES3_N6thrust23THRUST_200600_302600_NS6detail15normal_iteratorINSB_10device_ptrIjEEEENSD_INSE_IS6_EEEESI_S6_NSB_4plusIvEENSB_8equal_toIvEES6_EE10hipError_tPvRmT2_T3_T4_T5_mT6_T7_P12ihipStream_tbENKUlT_T0_E_clISt17integral_constantIbLb1EES13_EEDaSY_SZ_EUlSY_E_NS1_11comp_targetILNS1_3genE10ELNS1_11target_archE1200ELNS1_3gpuE4ELNS1_3repE0EEENS1_30default_config_static_selectorELNS0_4arch9wavefront6targetE1EEEvT1_,comdat
.Lfunc_end1968:
	.size	_ZN7rocprim17ROCPRIM_400000_NS6detail17trampoline_kernelINS0_14default_configENS1_27scan_by_key_config_selectorIj11FixedVectorIiLj2EEEEZZNS1_16scan_by_key_implILNS1_25lookback_scan_determinismE0ELb0ES3_N6thrust23THRUST_200600_302600_NS6detail15normal_iteratorINSB_10device_ptrIjEEEENSD_INSE_IS6_EEEESI_S6_NSB_4plusIvEENSB_8equal_toIvEES6_EE10hipError_tPvRmT2_T3_T4_T5_mT6_T7_P12ihipStream_tbENKUlT_T0_E_clISt17integral_constantIbLb1EES13_EEDaSY_SZ_EUlSY_E_NS1_11comp_targetILNS1_3genE10ELNS1_11target_archE1200ELNS1_3gpuE4ELNS1_3repE0EEENS1_30default_config_static_selectorELNS0_4arch9wavefront6targetE1EEEvT1_, .Lfunc_end1968-_ZN7rocprim17ROCPRIM_400000_NS6detail17trampoline_kernelINS0_14default_configENS1_27scan_by_key_config_selectorIj11FixedVectorIiLj2EEEEZZNS1_16scan_by_key_implILNS1_25lookback_scan_determinismE0ELb0ES3_N6thrust23THRUST_200600_302600_NS6detail15normal_iteratorINSB_10device_ptrIjEEEENSD_INSE_IS6_EEEESI_S6_NSB_4plusIvEENSB_8equal_toIvEES6_EE10hipError_tPvRmT2_T3_T4_T5_mT6_T7_P12ihipStream_tbENKUlT_T0_E_clISt17integral_constantIbLb1EES13_EEDaSY_SZ_EUlSY_E_NS1_11comp_targetILNS1_3genE10ELNS1_11target_archE1200ELNS1_3gpuE4ELNS1_3repE0EEENS1_30default_config_static_selectorELNS0_4arch9wavefront6targetE1EEEvT1_
                                        ; -- End function
	.section	.AMDGPU.csdata,"",@progbits
; Kernel info:
; codeLenInByte = 0
; NumSgprs: 4
; NumVgprs: 0
; NumAgprs: 0
; TotalNumVgprs: 0
; ScratchSize: 0
; MemoryBound: 0
; FloatMode: 240
; IeeeMode: 1
; LDSByteSize: 0 bytes/workgroup (compile time only)
; SGPRBlocks: 0
; VGPRBlocks: 0
; NumSGPRsForWavesPerEU: 4
; NumVGPRsForWavesPerEU: 1
; AccumOffset: 4
; Occupancy: 8
; WaveLimiterHint : 0
; COMPUTE_PGM_RSRC2:SCRATCH_EN: 0
; COMPUTE_PGM_RSRC2:USER_SGPR: 6
; COMPUTE_PGM_RSRC2:TRAP_HANDLER: 0
; COMPUTE_PGM_RSRC2:TGID_X_EN: 1
; COMPUTE_PGM_RSRC2:TGID_Y_EN: 0
; COMPUTE_PGM_RSRC2:TGID_Z_EN: 0
; COMPUTE_PGM_RSRC2:TIDIG_COMP_CNT: 0
; COMPUTE_PGM_RSRC3_GFX90A:ACCUM_OFFSET: 0
; COMPUTE_PGM_RSRC3_GFX90A:TG_SPLIT: 0
	.section	.text._ZN7rocprim17ROCPRIM_400000_NS6detail17trampoline_kernelINS0_14default_configENS1_27scan_by_key_config_selectorIj11FixedVectorIiLj2EEEEZZNS1_16scan_by_key_implILNS1_25lookback_scan_determinismE0ELb0ES3_N6thrust23THRUST_200600_302600_NS6detail15normal_iteratorINSB_10device_ptrIjEEEENSD_INSE_IS6_EEEESI_S6_NSB_4plusIvEENSB_8equal_toIvEES6_EE10hipError_tPvRmT2_T3_T4_T5_mT6_T7_P12ihipStream_tbENKUlT_T0_E_clISt17integral_constantIbLb1EES13_EEDaSY_SZ_EUlSY_E_NS1_11comp_targetILNS1_3genE9ELNS1_11target_archE1100ELNS1_3gpuE3ELNS1_3repE0EEENS1_30default_config_static_selectorELNS0_4arch9wavefront6targetE1EEEvT1_,"axG",@progbits,_ZN7rocprim17ROCPRIM_400000_NS6detail17trampoline_kernelINS0_14default_configENS1_27scan_by_key_config_selectorIj11FixedVectorIiLj2EEEEZZNS1_16scan_by_key_implILNS1_25lookback_scan_determinismE0ELb0ES3_N6thrust23THRUST_200600_302600_NS6detail15normal_iteratorINSB_10device_ptrIjEEEENSD_INSE_IS6_EEEESI_S6_NSB_4plusIvEENSB_8equal_toIvEES6_EE10hipError_tPvRmT2_T3_T4_T5_mT6_T7_P12ihipStream_tbENKUlT_T0_E_clISt17integral_constantIbLb1EES13_EEDaSY_SZ_EUlSY_E_NS1_11comp_targetILNS1_3genE9ELNS1_11target_archE1100ELNS1_3gpuE3ELNS1_3repE0EEENS1_30default_config_static_selectorELNS0_4arch9wavefront6targetE1EEEvT1_,comdat
	.protected	_ZN7rocprim17ROCPRIM_400000_NS6detail17trampoline_kernelINS0_14default_configENS1_27scan_by_key_config_selectorIj11FixedVectorIiLj2EEEEZZNS1_16scan_by_key_implILNS1_25lookback_scan_determinismE0ELb0ES3_N6thrust23THRUST_200600_302600_NS6detail15normal_iteratorINSB_10device_ptrIjEEEENSD_INSE_IS6_EEEESI_S6_NSB_4plusIvEENSB_8equal_toIvEES6_EE10hipError_tPvRmT2_T3_T4_T5_mT6_T7_P12ihipStream_tbENKUlT_T0_E_clISt17integral_constantIbLb1EES13_EEDaSY_SZ_EUlSY_E_NS1_11comp_targetILNS1_3genE9ELNS1_11target_archE1100ELNS1_3gpuE3ELNS1_3repE0EEENS1_30default_config_static_selectorELNS0_4arch9wavefront6targetE1EEEvT1_ ; -- Begin function _ZN7rocprim17ROCPRIM_400000_NS6detail17trampoline_kernelINS0_14default_configENS1_27scan_by_key_config_selectorIj11FixedVectorIiLj2EEEEZZNS1_16scan_by_key_implILNS1_25lookback_scan_determinismE0ELb0ES3_N6thrust23THRUST_200600_302600_NS6detail15normal_iteratorINSB_10device_ptrIjEEEENSD_INSE_IS6_EEEESI_S6_NSB_4plusIvEENSB_8equal_toIvEES6_EE10hipError_tPvRmT2_T3_T4_T5_mT6_T7_P12ihipStream_tbENKUlT_T0_E_clISt17integral_constantIbLb1EES13_EEDaSY_SZ_EUlSY_E_NS1_11comp_targetILNS1_3genE9ELNS1_11target_archE1100ELNS1_3gpuE3ELNS1_3repE0EEENS1_30default_config_static_selectorELNS0_4arch9wavefront6targetE1EEEvT1_
	.globl	_ZN7rocprim17ROCPRIM_400000_NS6detail17trampoline_kernelINS0_14default_configENS1_27scan_by_key_config_selectorIj11FixedVectorIiLj2EEEEZZNS1_16scan_by_key_implILNS1_25lookback_scan_determinismE0ELb0ES3_N6thrust23THRUST_200600_302600_NS6detail15normal_iteratorINSB_10device_ptrIjEEEENSD_INSE_IS6_EEEESI_S6_NSB_4plusIvEENSB_8equal_toIvEES6_EE10hipError_tPvRmT2_T3_T4_T5_mT6_T7_P12ihipStream_tbENKUlT_T0_E_clISt17integral_constantIbLb1EES13_EEDaSY_SZ_EUlSY_E_NS1_11comp_targetILNS1_3genE9ELNS1_11target_archE1100ELNS1_3gpuE3ELNS1_3repE0EEENS1_30default_config_static_selectorELNS0_4arch9wavefront6targetE1EEEvT1_
	.p2align	8
	.type	_ZN7rocprim17ROCPRIM_400000_NS6detail17trampoline_kernelINS0_14default_configENS1_27scan_by_key_config_selectorIj11FixedVectorIiLj2EEEEZZNS1_16scan_by_key_implILNS1_25lookback_scan_determinismE0ELb0ES3_N6thrust23THRUST_200600_302600_NS6detail15normal_iteratorINSB_10device_ptrIjEEEENSD_INSE_IS6_EEEESI_S6_NSB_4plusIvEENSB_8equal_toIvEES6_EE10hipError_tPvRmT2_T3_T4_T5_mT6_T7_P12ihipStream_tbENKUlT_T0_E_clISt17integral_constantIbLb1EES13_EEDaSY_SZ_EUlSY_E_NS1_11comp_targetILNS1_3genE9ELNS1_11target_archE1100ELNS1_3gpuE3ELNS1_3repE0EEENS1_30default_config_static_selectorELNS0_4arch9wavefront6targetE1EEEvT1_,@function
_ZN7rocprim17ROCPRIM_400000_NS6detail17trampoline_kernelINS0_14default_configENS1_27scan_by_key_config_selectorIj11FixedVectorIiLj2EEEEZZNS1_16scan_by_key_implILNS1_25lookback_scan_determinismE0ELb0ES3_N6thrust23THRUST_200600_302600_NS6detail15normal_iteratorINSB_10device_ptrIjEEEENSD_INSE_IS6_EEEESI_S6_NSB_4plusIvEENSB_8equal_toIvEES6_EE10hipError_tPvRmT2_T3_T4_T5_mT6_T7_P12ihipStream_tbENKUlT_T0_E_clISt17integral_constantIbLb1EES13_EEDaSY_SZ_EUlSY_E_NS1_11comp_targetILNS1_3genE9ELNS1_11target_archE1100ELNS1_3gpuE3ELNS1_3repE0EEENS1_30default_config_static_selectorELNS0_4arch9wavefront6targetE1EEEvT1_: ; @_ZN7rocprim17ROCPRIM_400000_NS6detail17trampoline_kernelINS0_14default_configENS1_27scan_by_key_config_selectorIj11FixedVectorIiLj2EEEEZZNS1_16scan_by_key_implILNS1_25lookback_scan_determinismE0ELb0ES3_N6thrust23THRUST_200600_302600_NS6detail15normal_iteratorINSB_10device_ptrIjEEEENSD_INSE_IS6_EEEESI_S6_NSB_4plusIvEENSB_8equal_toIvEES6_EE10hipError_tPvRmT2_T3_T4_T5_mT6_T7_P12ihipStream_tbENKUlT_T0_E_clISt17integral_constantIbLb1EES13_EEDaSY_SZ_EUlSY_E_NS1_11comp_targetILNS1_3genE9ELNS1_11target_archE1100ELNS1_3gpuE3ELNS1_3repE0EEENS1_30default_config_static_selectorELNS0_4arch9wavefront6targetE1EEEvT1_
; %bb.0:
	.section	.rodata,"a",@progbits
	.p2align	6, 0x0
	.amdhsa_kernel _ZN7rocprim17ROCPRIM_400000_NS6detail17trampoline_kernelINS0_14default_configENS1_27scan_by_key_config_selectorIj11FixedVectorIiLj2EEEEZZNS1_16scan_by_key_implILNS1_25lookback_scan_determinismE0ELb0ES3_N6thrust23THRUST_200600_302600_NS6detail15normal_iteratorINSB_10device_ptrIjEEEENSD_INSE_IS6_EEEESI_S6_NSB_4plusIvEENSB_8equal_toIvEES6_EE10hipError_tPvRmT2_T3_T4_T5_mT6_T7_P12ihipStream_tbENKUlT_T0_E_clISt17integral_constantIbLb1EES13_EEDaSY_SZ_EUlSY_E_NS1_11comp_targetILNS1_3genE9ELNS1_11target_archE1100ELNS1_3gpuE3ELNS1_3repE0EEENS1_30default_config_static_selectorELNS0_4arch9wavefront6targetE1EEEvT1_
		.amdhsa_group_segment_fixed_size 0
		.amdhsa_private_segment_fixed_size 0
		.amdhsa_kernarg_size 120
		.amdhsa_user_sgpr_count 6
		.amdhsa_user_sgpr_private_segment_buffer 1
		.amdhsa_user_sgpr_dispatch_ptr 0
		.amdhsa_user_sgpr_queue_ptr 0
		.amdhsa_user_sgpr_kernarg_segment_ptr 1
		.amdhsa_user_sgpr_dispatch_id 0
		.amdhsa_user_sgpr_flat_scratch_init 0
		.amdhsa_user_sgpr_kernarg_preload_length 0
		.amdhsa_user_sgpr_kernarg_preload_offset 0
		.amdhsa_user_sgpr_private_segment_size 0
		.amdhsa_uses_dynamic_stack 0
		.amdhsa_system_sgpr_private_segment_wavefront_offset 0
		.amdhsa_system_sgpr_workgroup_id_x 1
		.amdhsa_system_sgpr_workgroup_id_y 0
		.amdhsa_system_sgpr_workgroup_id_z 0
		.amdhsa_system_sgpr_workgroup_info 0
		.amdhsa_system_vgpr_workitem_id 0
		.amdhsa_next_free_vgpr 1
		.amdhsa_next_free_sgpr 0
		.amdhsa_accum_offset 4
		.amdhsa_reserve_vcc 0
		.amdhsa_reserve_flat_scratch 0
		.amdhsa_float_round_mode_32 0
		.amdhsa_float_round_mode_16_64 0
		.amdhsa_float_denorm_mode_32 3
		.amdhsa_float_denorm_mode_16_64 3
		.amdhsa_dx10_clamp 1
		.amdhsa_ieee_mode 1
		.amdhsa_fp16_overflow 0
		.amdhsa_tg_split 0
		.amdhsa_exception_fp_ieee_invalid_op 0
		.amdhsa_exception_fp_denorm_src 0
		.amdhsa_exception_fp_ieee_div_zero 0
		.amdhsa_exception_fp_ieee_overflow 0
		.amdhsa_exception_fp_ieee_underflow 0
		.amdhsa_exception_fp_ieee_inexact 0
		.amdhsa_exception_int_div_zero 0
	.end_amdhsa_kernel
	.section	.text._ZN7rocprim17ROCPRIM_400000_NS6detail17trampoline_kernelINS0_14default_configENS1_27scan_by_key_config_selectorIj11FixedVectorIiLj2EEEEZZNS1_16scan_by_key_implILNS1_25lookback_scan_determinismE0ELb0ES3_N6thrust23THRUST_200600_302600_NS6detail15normal_iteratorINSB_10device_ptrIjEEEENSD_INSE_IS6_EEEESI_S6_NSB_4plusIvEENSB_8equal_toIvEES6_EE10hipError_tPvRmT2_T3_T4_T5_mT6_T7_P12ihipStream_tbENKUlT_T0_E_clISt17integral_constantIbLb1EES13_EEDaSY_SZ_EUlSY_E_NS1_11comp_targetILNS1_3genE9ELNS1_11target_archE1100ELNS1_3gpuE3ELNS1_3repE0EEENS1_30default_config_static_selectorELNS0_4arch9wavefront6targetE1EEEvT1_,"axG",@progbits,_ZN7rocprim17ROCPRIM_400000_NS6detail17trampoline_kernelINS0_14default_configENS1_27scan_by_key_config_selectorIj11FixedVectorIiLj2EEEEZZNS1_16scan_by_key_implILNS1_25lookback_scan_determinismE0ELb0ES3_N6thrust23THRUST_200600_302600_NS6detail15normal_iteratorINSB_10device_ptrIjEEEENSD_INSE_IS6_EEEESI_S6_NSB_4plusIvEENSB_8equal_toIvEES6_EE10hipError_tPvRmT2_T3_T4_T5_mT6_T7_P12ihipStream_tbENKUlT_T0_E_clISt17integral_constantIbLb1EES13_EEDaSY_SZ_EUlSY_E_NS1_11comp_targetILNS1_3genE9ELNS1_11target_archE1100ELNS1_3gpuE3ELNS1_3repE0EEENS1_30default_config_static_selectorELNS0_4arch9wavefront6targetE1EEEvT1_,comdat
.Lfunc_end1969:
	.size	_ZN7rocprim17ROCPRIM_400000_NS6detail17trampoline_kernelINS0_14default_configENS1_27scan_by_key_config_selectorIj11FixedVectorIiLj2EEEEZZNS1_16scan_by_key_implILNS1_25lookback_scan_determinismE0ELb0ES3_N6thrust23THRUST_200600_302600_NS6detail15normal_iteratorINSB_10device_ptrIjEEEENSD_INSE_IS6_EEEESI_S6_NSB_4plusIvEENSB_8equal_toIvEES6_EE10hipError_tPvRmT2_T3_T4_T5_mT6_T7_P12ihipStream_tbENKUlT_T0_E_clISt17integral_constantIbLb1EES13_EEDaSY_SZ_EUlSY_E_NS1_11comp_targetILNS1_3genE9ELNS1_11target_archE1100ELNS1_3gpuE3ELNS1_3repE0EEENS1_30default_config_static_selectorELNS0_4arch9wavefront6targetE1EEEvT1_, .Lfunc_end1969-_ZN7rocprim17ROCPRIM_400000_NS6detail17trampoline_kernelINS0_14default_configENS1_27scan_by_key_config_selectorIj11FixedVectorIiLj2EEEEZZNS1_16scan_by_key_implILNS1_25lookback_scan_determinismE0ELb0ES3_N6thrust23THRUST_200600_302600_NS6detail15normal_iteratorINSB_10device_ptrIjEEEENSD_INSE_IS6_EEEESI_S6_NSB_4plusIvEENSB_8equal_toIvEES6_EE10hipError_tPvRmT2_T3_T4_T5_mT6_T7_P12ihipStream_tbENKUlT_T0_E_clISt17integral_constantIbLb1EES13_EEDaSY_SZ_EUlSY_E_NS1_11comp_targetILNS1_3genE9ELNS1_11target_archE1100ELNS1_3gpuE3ELNS1_3repE0EEENS1_30default_config_static_selectorELNS0_4arch9wavefront6targetE1EEEvT1_
                                        ; -- End function
	.section	.AMDGPU.csdata,"",@progbits
; Kernel info:
; codeLenInByte = 0
; NumSgprs: 4
; NumVgprs: 0
; NumAgprs: 0
; TotalNumVgprs: 0
; ScratchSize: 0
; MemoryBound: 0
; FloatMode: 240
; IeeeMode: 1
; LDSByteSize: 0 bytes/workgroup (compile time only)
; SGPRBlocks: 0
; VGPRBlocks: 0
; NumSGPRsForWavesPerEU: 4
; NumVGPRsForWavesPerEU: 1
; AccumOffset: 4
; Occupancy: 8
; WaveLimiterHint : 0
; COMPUTE_PGM_RSRC2:SCRATCH_EN: 0
; COMPUTE_PGM_RSRC2:USER_SGPR: 6
; COMPUTE_PGM_RSRC2:TRAP_HANDLER: 0
; COMPUTE_PGM_RSRC2:TGID_X_EN: 1
; COMPUTE_PGM_RSRC2:TGID_Y_EN: 0
; COMPUTE_PGM_RSRC2:TGID_Z_EN: 0
; COMPUTE_PGM_RSRC2:TIDIG_COMP_CNT: 0
; COMPUTE_PGM_RSRC3_GFX90A:ACCUM_OFFSET: 0
; COMPUTE_PGM_RSRC3_GFX90A:TG_SPLIT: 0
	.section	.text._ZN7rocprim17ROCPRIM_400000_NS6detail17trampoline_kernelINS0_14default_configENS1_27scan_by_key_config_selectorIj11FixedVectorIiLj2EEEEZZNS1_16scan_by_key_implILNS1_25lookback_scan_determinismE0ELb0ES3_N6thrust23THRUST_200600_302600_NS6detail15normal_iteratorINSB_10device_ptrIjEEEENSD_INSE_IS6_EEEESI_S6_NSB_4plusIvEENSB_8equal_toIvEES6_EE10hipError_tPvRmT2_T3_T4_T5_mT6_T7_P12ihipStream_tbENKUlT_T0_E_clISt17integral_constantIbLb1EES13_EEDaSY_SZ_EUlSY_E_NS1_11comp_targetILNS1_3genE8ELNS1_11target_archE1030ELNS1_3gpuE2ELNS1_3repE0EEENS1_30default_config_static_selectorELNS0_4arch9wavefront6targetE1EEEvT1_,"axG",@progbits,_ZN7rocprim17ROCPRIM_400000_NS6detail17trampoline_kernelINS0_14default_configENS1_27scan_by_key_config_selectorIj11FixedVectorIiLj2EEEEZZNS1_16scan_by_key_implILNS1_25lookback_scan_determinismE0ELb0ES3_N6thrust23THRUST_200600_302600_NS6detail15normal_iteratorINSB_10device_ptrIjEEEENSD_INSE_IS6_EEEESI_S6_NSB_4plusIvEENSB_8equal_toIvEES6_EE10hipError_tPvRmT2_T3_T4_T5_mT6_T7_P12ihipStream_tbENKUlT_T0_E_clISt17integral_constantIbLb1EES13_EEDaSY_SZ_EUlSY_E_NS1_11comp_targetILNS1_3genE8ELNS1_11target_archE1030ELNS1_3gpuE2ELNS1_3repE0EEENS1_30default_config_static_selectorELNS0_4arch9wavefront6targetE1EEEvT1_,comdat
	.protected	_ZN7rocprim17ROCPRIM_400000_NS6detail17trampoline_kernelINS0_14default_configENS1_27scan_by_key_config_selectorIj11FixedVectorIiLj2EEEEZZNS1_16scan_by_key_implILNS1_25lookback_scan_determinismE0ELb0ES3_N6thrust23THRUST_200600_302600_NS6detail15normal_iteratorINSB_10device_ptrIjEEEENSD_INSE_IS6_EEEESI_S6_NSB_4plusIvEENSB_8equal_toIvEES6_EE10hipError_tPvRmT2_T3_T4_T5_mT6_T7_P12ihipStream_tbENKUlT_T0_E_clISt17integral_constantIbLb1EES13_EEDaSY_SZ_EUlSY_E_NS1_11comp_targetILNS1_3genE8ELNS1_11target_archE1030ELNS1_3gpuE2ELNS1_3repE0EEENS1_30default_config_static_selectorELNS0_4arch9wavefront6targetE1EEEvT1_ ; -- Begin function _ZN7rocprim17ROCPRIM_400000_NS6detail17trampoline_kernelINS0_14default_configENS1_27scan_by_key_config_selectorIj11FixedVectorIiLj2EEEEZZNS1_16scan_by_key_implILNS1_25lookback_scan_determinismE0ELb0ES3_N6thrust23THRUST_200600_302600_NS6detail15normal_iteratorINSB_10device_ptrIjEEEENSD_INSE_IS6_EEEESI_S6_NSB_4plusIvEENSB_8equal_toIvEES6_EE10hipError_tPvRmT2_T3_T4_T5_mT6_T7_P12ihipStream_tbENKUlT_T0_E_clISt17integral_constantIbLb1EES13_EEDaSY_SZ_EUlSY_E_NS1_11comp_targetILNS1_3genE8ELNS1_11target_archE1030ELNS1_3gpuE2ELNS1_3repE0EEENS1_30default_config_static_selectorELNS0_4arch9wavefront6targetE1EEEvT1_
	.globl	_ZN7rocprim17ROCPRIM_400000_NS6detail17trampoline_kernelINS0_14default_configENS1_27scan_by_key_config_selectorIj11FixedVectorIiLj2EEEEZZNS1_16scan_by_key_implILNS1_25lookback_scan_determinismE0ELb0ES3_N6thrust23THRUST_200600_302600_NS6detail15normal_iteratorINSB_10device_ptrIjEEEENSD_INSE_IS6_EEEESI_S6_NSB_4plusIvEENSB_8equal_toIvEES6_EE10hipError_tPvRmT2_T3_T4_T5_mT6_T7_P12ihipStream_tbENKUlT_T0_E_clISt17integral_constantIbLb1EES13_EEDaSY_SZ_EUlSY_E_NS1_11comp_targetILNS1_3genE8ELNS1_11target_archE1030ELNS1_3gpuE2ELNS1_3repE0EEENS1_30default_config_static_selectorELNS0_4arch9wavefront6targetE1EEEvT1_
	.p2align	8
	.type	_ZN7rocprim17ROCPRIM_400000_NS6detail17trampoline_kernelINS0_14default_configENS1_27scan_by_key_config_selectorIj11FixedVectorIiLj2EEEEZZNS1_16scan_by_key_implILNS1_25lookback_scan_determinismE0ELb0ES3_N6thrust23THRUST_200600_302600_NS6detail15normal_iteratorINSB_10device_ptrIjEEEENSD_INSE_IS6_EEEESI_S6_NSB_4plusIvEENSB_8equal_toIvEES6_EE10hipError_tPvRmT2_T3_T4_T5_mT6_T7_P12ihipStream_tbENKUlT_T0_E_clISt17integral_constantIbLb1EES13_EEDaSY_SZ_EUlSY_E_NS1_11comp_targetILNS1_3genE8ELNS1_11target_archE1030ELNS1_3gpuE2ELNS1_3repE0EEENS1_30default_config_static_selectorELNS0_4arch9wavefront6targetE1EEEvT1_,@function
_ZN7rocprim17ROCPRIM_400000_NS6detail17trampoline_kernelINS0_14default_configENS1_27scan_by_key_config_selectorIj11FixedVectorIiLj2EEEEZZNS1_16scan_by_key_implILNS1_25lookback_scan_determinismE0ELb0ES3_N6thrust23THRUST_200600_302600_NS6detail15normal_iteratorINSB_10device_ptrIjEEEENSD_INSE_IS6_EEEESI_S6_NSB_4plusIvEENSB_8equal_toIvEES6_EE10hipError_tPvRmT2_T3_T4_T5_mT6_T7_P12ihipStream_tbENKUlT_T0_E_clISt17integral_constantIbLb1EES13_EEDaSY_SZ_EUlSY_E_NS1_11comp_targetILNS1_3genE8ELNS1_11target_archE1030ELNS1_3gpuE2ELNS1_3repE0EEENS1_30default_config_static_selectorELNS0_4arch9wavefront6targetE1EEEvT1_: ; @_ZN7rocprim17ROCPRIM_400000_NS6detail17trampoline_kernelINS0_14default_configENS1_27scan_by_key_config_selectorIj11FixedVectorIiLj2EEEEZZNS1_16scan_by_key_implILNS1_25lookback_scan_determinismE0ELb0ES3_N6thrust23THRUST_200600_302600_NS6detail15normal_iteratorINSB_10device_ptrIjEEEENSD_INSE_IS6_EEEESI_S6_NSB_4plusIvEENSB_8equal_toIvEES6_EE10hipError_tPvRmT2_T3_T4_T5_mT6_T7_P12ihipStream_tbENKUlT_T0_E_clISt17integral_constantIbLb1EES13_EEDaSY_SZ_EUlSY_E_NS1_11comp_targetILNS1_3genE8ELNS1_11target_archE1030ELNS1_3gpuE2ELNS1_3repE0EEENS1_30default_config_static_selectorELNS0_4arch9wavefront6targetE1EEEvT1_
; %bb.0:
	.section	.rodata,"a",@progbits
	.p2align	6, 0x0
	.amdhsa_kernel _ZN7rocprim17ROCPRIM_400000_NS6detail17trampoline_kernelINS0_14default_configENS1_27scan_by_key_config_selectorIj11FixedVectorIiLj2EEEEZZNS1_16scan_by_key_implILNS1_25lookback_scan_determinismE0ELb0ES3_N6thrust23THRUST_200600_302600_NS6detail15normal_iteratorINSB_10device_ptrIjEEEENSD_INSE_IS6_EEEESI_S6_NSB_4plusIvEENSB_8equal_toIvEES6_EE10hipError_tPvRmT2_T3_T4_T5_mT6_T7_P12ihipStream_tbENKUlT_T0_E_clISt17integral_constantIbLb1EES13_EEDaSY_SZ_EUlSY_E_NS1_11comp_targetILNS1_3genE8ELNS1_11target_archE1030ELNS1_3gpuE2ELNS1_3repE0EEENS1_30default_config_static_selectorELNS0_4arch9wavefront6targetE1EEEvT1_
		.amdhsa_group_segment_fixed_size 0
		.amdhsa_private_segment_fixed_size 0
		.amdhsa_kernarg_size 120
		.amdhsa_user_sgpr_count 6
		.amdhsa_user_sgpr_private_segment_buffer 1
		.amdhsa_user_sgpr_dispatch_ptr 0
		.amdhsa_user_sgpr_queue_ptr 0
		.amdhsa_user_sgpr_kernarg_segment_ptr 1
		.amdhsa_user_sgpr_dispatch_id 0
		.amdhsa_user_sgpr_flat_scratch_init 0
		.amdhsa_user_sgpr_kernarg_preload_length 0
		.amdhsa_user_sgpr_kernarg_preload_offset 0
		.amdhsa_user_sgpr_private_segment_size 0
		.amdhsa_uses_dynamic_stack 0
		.amdhsa_system_sgpr_private_segment_wavefront_offset 0
		.amdhsa_system_sgpr_workgroup_id_x 1
		.amdhsa_system_sgpr_workgroup_id_y 0
		.amdhsa_system_sgpr_workgroup_id_z 0
		.amdhsa_system_sgpr_workgroup_info 0
		.amdhsa_system_vgpr_workitem_id 0
		.amdhsa_next_free_vgpr 1
		.amdhsa_next_free_sgpr 0
		.amdhsa_accum_offset 4
		.amdhsa_reserve_vcc 0
		.amdhsa_reserve_flat_scratch 0
		.amdhsa_float_round_mode_32 0
		.amdhsa_float_round_mode_16_64 0
		.amdhsa_float_denorm_mode_32 3
		.amdhsa_float_denorm_mode_16_64 3
		.amdhsa_dx10_clamp 1
		.amdhsa_ieee_mode 1
		.amdhsa_fp16_overflow 0
		.amdhsa_tg_split 0
		.amdhsa_exception_fp_ieee_invalid_op 0
		.amdhsa_exception_fp_denorm_src 0
		.amdhsa_exception_fp_ieee_div_zero 0
		.amdhsa_exception_fp_ieee_overflow 0
		.amdhsa_exception_fp_ieee_underflow 0
		.amdhsa_exception_fp_ieee_inexact 0
		.amdhsa_exception_int_div_zero 0
	.end_amdhsa_kernel
	.section	.text._ZN7rocprim17ROCPRIM_400000_NS6detail17trampoline_kernelINS0_14default_configENS1_27scan_by_key_config_selectorIj11FixedVectorIiLj2EEEEZZNS1_16scan_by_key_implILNS1_25lookback_scan_determinismE0ELb0ES3_N6thrust23THRUST_200600_302600_NS6detail15normal_iteratorINSB_10device_ptrIjEEEENSD_INSE_IS6_EEEESI_S6_NSB_4plusIvEENSB_8equal_toIvEES6_EE10hipError_tPvRmT2_T3_T4_T5_mT6_T7_P12ihipStream_tbENKUlT_T0_E_clISt17integral_constantIbLb1EES13_EEDaSY_SZ_EUlSY_E_NS1_11comp_targetILNS1_3genE8ELNS1_11target_archE1030ELNS1_3gpuE2ELNS1_3repE0EEENS1_30default_config_static_selectorELNS0_4arch9wavefront6targetE1EEEvT1_,"axG",@progbits,_ZN7rocprim17ROCPRIM_400000_NS6detail17trampoline_kernelINS0_14default_configENS1_27scan_by_key_config_selectorIj11FixedVectorIiLj2EEEEZZNS1_16scan_by_key_implILNS1_25lookback_scan_determinismE0ELb0ES3_N6thrust23THRUST_200600_302600_NS6detail15normal_iteratorINSB_10device_ptrIjEEEENSD_INSE_IS6_EEEESI_S6_NSB_4plusIvEENSB_8equal_toIvEES6_EE10hipError_tPvRmT2_T3_T4_T5_mT6_T7_P12ihipStream_tbENKUlT_T0_E_clISt17integral_constantIbLb1EES13_EEDaSY_SZ_EUlSY_E_NS1_11comp_targetILNS1_3genE8ELNS1_11target_archE1030ELNS1_3gpuE2ELNS1_3repE0EEENS1_30default_config_static_selectorELNS0_4arch9wavefront6targetE1EEEvT1_,comdat
.Lfunc_end1970:
	.size	_ZN7rocprim17ROCPRIM_400000_NS6detail17trampoline_kernelINS0_14default_configENS1_27scan_by_key_config_selectorIj11FixedVectorIiLj2EEEEZZNS1_16scan_by_key_implILNS1_25lookback_scan_determinismE0ELb0ES3_N6thrust23THRUST_200600_302600_NS6detail15normal_iteratorINSB_10device_ptrIjEEEENSD_INSE_IS6_EEEESI_S6_NSB_4plusIvEENSB_8equal_toIvEES6_EE10hipError_tPvRmT2_T3_T4_T5_mT6_T7_P12ihipStream_tbENKUlT_T0_E_clISt17integral_constantIbLb1EES13_EEDaSY_SZ_EUlSY_E_NS1_11comp_targetILNS1_3genE8ELNS1_11target_archE1030ELNS1_3gpuE2ELNS1_3repE0EEENS1_30default_config_static_selectorELNS0_4arch9wavefront6targetE1EEEvT1_, .Lfunc_end1970-_ZN7rocprim17ROCPRIM_400000_NS6detail17trampoline_kernelINS0_14default_configENS1_27scan_by_key_config_selectorIj11FixedVectorIiLj2EEEEZZNS1_16scan_by_key_implILNS1_25lookback_scan_determinismE0ELb0ES3_N6thrust23THRUST_200600_302600_NS6detail15normal_iteratorINSB_10device_ptrIjEEEENSD_INSE_IS6_EEEESI_S6_NSB_4plusIvEENSB_8equal_toIvEES6_EE10hipError_tPvRmT2_T3_T4_T5_mT6_T7_P12ihipStream_tbENKUlT_T0_E_clISt17integral_constantIbLb1EES13_EEDaSY_SZ_EUlSY_E_NS1_11comp_targetILNS1_3genE8ELNS1_11target_archE1030ELNS1_3gpuE2ELNS1_3repE0EEENS1_30default_config_static_selectorELNS0_4arch9wavefront6targetE1EEEvT1_
                                        ; -- End function
	.section	.AMDGPU.csdata,"",@progbits
; Kernel info:
; codeLenInByte = 0
; NumSgprs: 4
; NumVgprs: 0
; NumAgprs: 0
; TotalNumVgprs: 0
; ScratchSize: 0
; MemoryBound: 0
; FloatMode: 240
; IeeeMode: 1
; LDSByteSize: 0 bytes/workgroup (compile time only)
; SGPRBlocks: 0
; VGPRBlocks: 0
; NumSGPRsForWavesPerEU: 4
; NumVGPRsForWavesPerEU: 1
; AccumOffset: 4
; Occupancy: 8
; WaveLimiterHint : 0
; COMPUTE_PGM_RSRC2:SCRATCH_EN: 0
; COMPUTE_PGM_RSRC2:USER_SGPR: 6
; COMPUTE_PGM_RSRC2:TRAP_HANDLER: 0
; COMPUTE_PGM_RSRC2:TGID_X_EN: 1
; COMPUTE_PGM_RSRC2:TGID_Y_EN: 0
; COMPUTE_PGM_RSRC2:TGID_Z_EN: 0
; COMPUTE_PGM_RSRC2:TIDIG_COMP_CNT: 0
; COMPUTE_PGM_RSRC3_GFX90A:ACCUM_OFFSET: 0
; COMPUTE_PGM_RSRC3_GFX90A:TG_SPLIT: 0
	.section	.text._ZN7rocprim17ROCPRIM_400000_NS6detail30init_device_scan_by_key_kernelINS1_19lookback_scan_stateINS0_5tupleIJ11FixedVectorIiLj2EEbEEELb1ELb1EEEN6thrust23THRUST_200600_302600_NS6detail15normal_iteratorINSA_10device_ptrIjEEEEjNS1_16block_id_wrapperIjLb0EEEEEvT_jjPNSI_10value_typeET0_PNSt15iterator_traitsISL_E10value_typeEmT1_T2_,"axG",@progbits,_ZN7rocprim17ROCPRIM_400000_NS6detail30init_device_scan_by_key_kernelINS1_19lookback_scan_stateINS0_5tupleIJ11FixedVectorIiLj2EEbEEELb1ELb1EEEN6thrust23THRUST_200600_302600_NS6detail15normal_iteratorINSA_10device_ptrIjEEEEjNS1_16block_id_wrapperIjLb0EEEEEvT_jjPNSI_10value_typeET0_PNSt15iterator_traitsISL_E10value_typeEmT1_T2_,comdat
	.protected	_ZN7rocprim17ROCPRIM_400000_NS6detail30init_device_scan_by_key_kernelINS1_19lookback_scan_stateINS0_5tupleIJ11FixedVectorIiLj2EEbEEELb1ELb1EEEN6thrust23THRUST_200600_302600_NS6detail15normal_iteratorINSA_10device_ptrIjEEEEjNS1_16block_id_wrapperIjLb0EEEEEvT_jjPNSI_10value_typeET0_PNSt15iterator_traitsISL_E10value_typeEmT1_T2_ ; -- Begin function _ZN7rocprim17ROCPRIM_400000_NS6detail30init_device_scan_by_key_kernelINS1_19lookback_scan_stateINS0_5tupleIJ11FixedVectorIiLj2EEbEEELb1ELb1EEEN6thrust23THRUST_200600_302600_NS6detail15normal_iteratorINSA_10device_ptrIjEEEEjNS1_16block_id_wrapperIjLb0EEEEEvT_jjPNSI_10value_typeET0_PNSt15iterator_traitsISL_E10value_typeEmT1_T2_
	.globl	_ZN7rocprim17ROCPRIM_400000_NS6detail30init_device_scan_by_key_kernelINS1_19lookback_scan_stateINS0_5tupleIJ11FixedVectorIiLj2EEbEEELb1ELb1EEEN6thrust23THRUST_200600_302600_NS6detail15normal_iteratorINSA_10device_ptrIjEEEEjNS1_16block_id_wrapperIjLb0EEEEEvT_jjPNSI_10value_typeET0_PNSt15iterator_traitsISL_E10value_typeEmT1_T2_
	.p2align	8
	.type	_ZN7rocprim17ROCPRIM_400000_NS6detail30init_device_scan_by_key_kernelINS1_19lookback_scan_stateINS0_5tupleIJ11FixedVectorIiLj2EEbEEELb1ELb1EEEN6thrust23THRUST_200600_302600_NS6detail15normal_iteratorINSA_10device_ptrIjEEEEjNS1_16block_id_wrapperIjLb0EEEEEvT_jjPNSI_10value_typeET0_PNSt15iterator_traitsISL_E10value_typeEmT1_T2_,@function
_ZN7rocprim17ROCPRIM_400000_NS6detail30init_device_scan_by_key_kernelINS1_19lookback_scan_stateINS0_5tupleIJ11FixedVectorIiLj2EEbEEELb1ELb1EEEN6thrust23THRUST_200600_302600_NS6detail15normal_iteratorINSA_10device_ptrIjEEEEjNS1_16block_id_wrapperIjLb0EEEEEvT_jjPNSI_10value_typeET0_PNSt15iterator_traitsISL_E10value_typeEmT1_T2_: ; @_ZN7rocprim17ROCPRIM_400000_NS6detail30init_device_scan_by_key_kernelINS1_19lookback_scan_stateINS0_5tupleIJ11FixedVectorIiLj2EEbEEELb1ELb1EEEN6thrust23THRUST_200600_302600_NS6detail15normal_iteratorINSA_10device_ptrIjEEEEjNS1_16block_id_wrapperIjLb0EEEEEvT_jjPNSI_10value_typeET0_PNSt15iterator_traitsISL_E10value_typeEmT1_T2_
; %bb.0:
	s_load_dword s0, s[4:5], 0x44
	s_load_dwordx8 s[8:15], s[4:5], 0x0
	s_load_dword s18, s[4:5], 0x38
	s_waitcnt lgkmcnt(0)
	s_and_b32 s19, s0, 0xffff
	s_mul_i32 s6, s6, s19
	s_cmp_eq_u64 s[12:13], 0
	v_add_u32_e32 v4, s6, v0
	s_cbranch_scc1 .LBB1971_10
; %bb.1:
	s_cmp_lt_u32 s11, s10
	s_cselect_b32 s0, s11, 0
	s_mov_b32 s3, 0
	v_cmp_eq_u32_e32 vcc, s0, v4
	s_and_saveexec_b64 s[0:1], vcc
	s_cbranch_execz .LBB1971_9
; %bb.2:
	s_add_i32 s2, s11, 64
	s_lshl_b64 s[2:3], s[2:3], 4
	s_add_u32 s6, s8, s2
	s_addc_u32 s7, s9, s3
	v_pk_mov_b32 v[0:1], s[6:7], s[6:7] op_sel:[0,1]
	v_mov_b32_e32 v12, 0
	;;#ASMSTART
	global_load_dwordx4 v[0:3], v[0:1] off glc	
s_waitcnt vmcnt(0)
	;;#ASMEND
	v_lshlrev_b64 v[16:17], 24, v[2:3]
	v_lshrrev_b32_e32 v5, 8, v1
	v_lshlrev_b64 v[18:19], 16, v[2:3]
	v_lshlrev_b64 v[20:21], 8, v[2:3]
	v_and_b32_e32 v13, 0xff, v3
	v_lshrrev_b64 v[6:7], 8, v[0:1]
	v_lshrrev_b64 v[8:9], 16, v[0:1]
	;; [unrolled: 1-line block ×3, first 2 shown]
	v_mov_b32_e32 v14, v1
	v_or_b32_e32 v16, v5, v16
	v_or_b32_sdwa v18, v1, v18 dst_sel:DWORD dst_unused:UNUSED_PAD src0_sel:WORD_1 src1_sel:DWORD
	v_or_b32_sdwa v20, v1, v20 dst_sel:DWORD dst_unused:UNUSED_PAD src0_sel:BYTE_3 src1_sel:DWORD
	s_mov_b64 s[16:17], 0
	v_cmp_eq_u64_e32 vcc, 0, v[12:13]
	s_and_saveexec_b64 s[2:3], vcc
	s_cbranch_execz .LBB1971_8
; %bb.3:
	s_mov_b32 s11, 1
	v_pk_mov_b32 v[6:7], s[6:7], s[6:7] op_sel:[0,1]
.LBB1971_4:                             ; =>This Loop Header: Depth=1
                                        ;     Child Loop BB1971_5 Depth 2
	s_max_u32 s6, s11, 1
.LBB1971_5:                             ;   Parent Loop BB1971_4 Depth=1
                                        ; =>  This Inner Loop Header: Depth=2
	s_add_i32 s6, s6, -1
	s_cmp_eq_u32 s6, 0
	s_sleep 1
	s_cbranch_scc0 .LBB1971_5
; %bb.6:                                ;   in Loop: Header=BB1971_4 Depth=1
	s_cmp_lt_u32 s11, 32
	s_cselect_b64 s[6:7], -1, 0
	s_cmp_lg_u64 s[6:7], 0
	;;#ASMSTART
	global_load_dwordx4 v[0:3], v[6:7] off glc	
s_waitcnt vmcnt(0)
	;;#ASMEND
	v_and_b32_e32 v13, 0xff, v3
	s_addc_u32 s11, s11, 0
	v_cmp_ne_u64_e32 vcc, 0, v[12:13]
	s_or_b64 s[16:17], vcc, s[16:17]
	s_andn2_b64 exec, exec, s[16:17]
	s_cbranch_execnz .LBB1971_4
; %bb.7:
	s_or_b64 exec, exec, s[16:17]
	v_lshlrev_b64 v[12:13], 24, v[2:3]
	v_lshrrev_b32_e32 v5, 8, v1
	v_or_b32_e32 v16, v5, v12
	v_lshlrev_b64 v[12:13], 16, v[2:3]
	v_or_b32_sdwa v18, v1, v12 dst_sel:DWORD dst_unused:UNUSED_PAD src0_sel:WORD_1 src1_sel:DWORD
	v_lshlrev_b64 v[12:13], 8, v[2:3]
	v_lshrrev_b64 v[6:7], 8, v[0:1]
	v_lshrrev_b64 v[8:9], 16, v[0:1]
	;; [unrolled: 1-line block ×3, first 2 shown]
	v_mov_b32_e32 v14, v1
	v_or_b32_sdwa v20, v1, v12 dst_sel:DWORD dst_unused:UNUSED_PAD src0_sel:BYTE_3 src1_sel:DWORD
.LBB1971_8:
	s_or_b64 exec, exec, s[2:3]
	v_lshlrev_b32_e32 v3, 16, v18
	v_lshlrev_b32_e32 v1, 24, v20
	v_and_b32_e32 v3, 0xff0000, v3
	v_lshlrev_b32_e32 v8, 16, v8
	s_mov_b32 s2, 0x4020c0c
	v_lshlrev_b32_e32 v5, 8, v16
	v_lshlrev_b32_e32 v6, 8, v6
	v_or_b32_e32 v1, v3, v1
	v_perm_b32 v3, v10, v8, s2
	v_and_b32_e32 v5, 0xff00, v5
	v_and_b32_e32 v7, 0xff, v14
	v_and_b32_e32 v6, 0xff00, v6
	v_or_b32_sdwa v0, v3, v0 dst_sel:DWORD dst_unused:UNUSED_PAD src0_sel:DWORD src1_sel:BYTE_0
	v_or3_b32 v1, v1, v5, v7
	v_add_co_u32_e32 v0, vcc, v0, v6
	v_mov_b32_e32 v9, 0
	v_addc_co_u32_e32 v1, vcc, 0, v1, vcc
	global_store_dwordx2 v9, v[0:1], s[12:13]
	global_store_byte v9, v2, s[12:13] offset:8
.LBB1971_9:
	s_or_b64 exec, exec, s[0:1]
.LBB1971_10:
	v_cmp_gt_u32_e32 vcc, s10, v4
	s_and_saveexec_b64 s[0:1], vcc
	s_cbranch_execz .LBB1971_12
; %bb.11:
	v_add_u32_e32 v0, 64, v4
	v_mov_b32_e32 v1, 0
	v_lshlrev_b64 v[2:3], 4, v[0:1]
	v_mov_b32_e32 v0, s9
	v_add_co_u32_e32 v6, vcc, s8, v2
	v_addc_co_u32_e32 v7, vcc, v0, v3, vcc
	v_mov_b32_e32 v0, v1
	v_mov_b32_e32 v2, v1
	;; [unrolled: 1-line block ×3, first 2 shown]
	global_store_dwordx4 v[6:7], v[0:3], off
.LBB1971_12:
	s_or_b64 exec, exec, s[0:1]
	v_cmp_gt_u32_e32 vcc, 64, v4
	v_mov_b32_e32 v5, 0
	s_and_saveexec_b64 s[0:1], vcc
	s_cbranch_execz .LBB1971_14
; %bb.13:
	v_lshlrev_b64 v[0:1], 4, v[4:5]
	v_mov_b32_e32 v2, s9
	v_add_co_u32_e32 v6, vcc, s8, v0
	v_addc_co_u32_e32 v7, vcc, v2, v1, vcc
	v_mov_b32_e32 v3, 0xff
	v_mov_b32_e32 v0, v5
	;; [unrolled: 1-line block ×4, first 2 shown]
	global_store_dwordx4 v[6:7], v[0:3], off
.LBB1971_14:
	s_or_b64 exec, exec, s[0:1]
	s_load_dwordx2 s[0:1], s[4:5], 0x28
	s_waitcnt lgkmcnt(0)
	v_cmp_gt_u64_e32 vcc, s[0:1], v[4:5]
	s_and_saveexec_b64 s[2:3], vcc
	s_cbranch_execz .LBB1971_17
; %bb.15:
	s_load_dword s10, s[4:5], 0x30
	s_load_dwordx2 s[6:7], s[4:5], 0x20
	s_mov_b32 s5, 0
	s_mov_b32 s3, s5
	s_mul_i32 s2, s18, s19
	s_waitcnt lgkmcnt(0)
	s_add_i32 s4, s10, -1
	s_lshl_b64 s[4:5], s[4:5], 2
	v_mad_u64_u32 v[0:1], s[8:9], s10, v4, 0
	s_add_u32 s4, s14, s4
	v_lshlrev_b64 v[0:1], 2, v[0:1]
	s_addc_u32 s5, s15, s5
	v_mov_b32_e32 v2, s5
	v_add_co_u32_e32 v0, vcc, s4, v0
	v_addc_co_u32_e32 v1, vcc, v2, v1, vcc
	s_mul_hi_u32 s5, s10, s2
	s_mul_i32 s4, s10, s2
	v_lshlrev_b64 v[2:3], 2, v[4:5]
	s_lshl_b64 s[4:5], s[4:5], 2
	v_mov_b32_e32 v6, s7
	v_add_co_u32_e32 v2, vcc, s6, v2
	s_lshl_b64 s[6:7], s[2:3], 2
	v_addc_co_u32_e32 v3, vcc, v6, v3, vcc
	s_mov_b64 s[8:9], 0
	v_mov_b32_e32 v6, s3
	v_mov_b32_e32 v7, s5
	;; [unrolled: 1-line block ×3, first 2 shown]
.LBB1971_16:                            ; =>This Inner Loop Header: Depth=1
	global_load_dword v9, v[0:1], off
	v_add_co_u32_e32 v4, vcc, s2, v4
	v_addc_co_u32_e32 v5, vcc, v5, v6, vcc
	v_add_co_u32_e32 v0, vcc, s4, v0
	v_addc_co_u32_e32 v1, vcc, v1, v7, vcc
	v_cmp_le_u64_e32 vcc, s[0:1], v[4:5]
	s_or_b64 s[8:9], vcc, s[8:9]
	s_waitcnt vmcnt(0)
	global_store_dword v[2:3], v9, off
	v_add_co_u32_e32 v2, vcc, s6, v2
	v_addc_co_u32_e32 v3, vcc, v3, v8, vcc
	s_andn2_b64 exec, exec, s[8:9]
	s_cbranch_execnz .LBB1971_16
.LBB1971_17:
	s_endpgm
	.section	.rodata,"a",@progbits
	.p2align	6, 0x0
	.amdhsa_kernel _ZN7rocprim17ROCPRIM_400000_NS6detail30init_device_scan_by_key_kernelINS1_19lookback_scan_stateINS0_5tupleIJ11FixedVectorIiLj2EEbEEELb1ELb1EEEN6thrust23THRUST_200600_302600_NS6detail15normal_iteratorINSA_10device_ptrIjEEEEjNS1_16block_id_wrapperIjLb0EEEEEvT_jjPNSI_10value_typeET0_PNSt15iterator_traitsISL_E10value_typeEmT1_T2_
		.amdhsa_group_segment_fixed_size 0
		.amdhsa_private_segment_fixed_size 0
		.amdhsa_kernarg_size 312
		.amdhsa_user_sgpr_count 6
		.amdhsa_user_sgpr_private_segment_buffer 1
		.amdhsa_user_sgpr_dispatch_ptr 0
		.amdhsa_user_sgpr_queue_ptr 0
		.amdhsa_user_sgpr_kernarg_segment_ptr 1
		.amdhsa_user_sgpr_dispatch_id 0
		.amdhsa_user_sgpr_flat_scratch_init 0
		.amdhsa_user_sgpr_kernarg_preload_length 0
		.amdhsa_user_sgpr_kernarg_preload_offset 0
		.amdhsa_user_sgpr_private_segment_size 0
		.amdhsa_uses_dynamic_stack 0
		.amdhsa_system_sgpr_private_segment_wavefront_offset 0
		.amdhsa_system_sgpr_workgroup_id_x 1
		.amdhsa_system_sgpr_workgroup_id_y 0
		.amdhsa_system_sgpr_workgroup_id_z 0
		.amdhsa_system_sgpr_workgroup_info 0
		.amdhsa_system_vgpr_workitem_id 0
		.amdhsa_next_free_vgpr 22
		.amdhsa_next_free_sgpr 20
		.amdhsa_accum_offset 24
		.amdhsa_reserve_vcc 1
		.amdhsa_reserve_flat_scratch 0
		.amdhsa_float_round_mode_32 0
		.amdhsa_float_round_mode_16_64 0
		.amdhsa_float_denorm_mode_32 3
		.amdhsa_float_denorm_mode_16_64 3
		.amdhsa_dx10_clamp 1
		.amdhsa_ieee_mode 1
		.amdhsa_fp16_overflow 0
		.amdhsa_tg_split 0
		.amdhsa_exception_fp_ieee_invalid_op 0
		.amdhsa_exception_fp_denorm_src 0
		.amdhsa_exception_fp_ieee_div_zero 0
		.amdhsa_exception_fp_ieee_overflow 0
		.amdhsa_exception_fp_ieee_underflow 0
		.amdhsa_exception_fp_ieee_inexact 0
		.amdhsa_exception_int_div_zero 0
	.end_amdhsa_kernel
	.section	.text._ZN7rocprim17ROCPRIM_400000_NS6detail30init_device_scan_by_key_kernelINS1_19lookback_scan_stateINS0_5tupleIJ11FixedVectorIiLj2EEbEEELb1ELb1EEEN6thrust23THRUST_200600_302600_NS6detail15normal_iteratorINSA_10device_ptrIjEEEEjNS1_16block_id_wrapperIjLb0EEEEEvT_jjPNSI_10value_typeET0_PNSt15iterator_traitsISL_E10value_typeEmT1_T2_,"axG",@progbits,_ZN7rocprim17ROCPRIM_400000_NS6detail30init_device_scan_by_key_kernelINS1_19lookback_scan_stateINS0_5tupleIJ11FixedVectorIiLj2EEbEEELb1ELb1EEEN6thrust23THRUST_200600_302600_NS6detail15normal_iteratorINSA_10device_ptrIjEEEEjNS1_16block_id_wrapperIjLb0EEEEEvT_jjPNSI_10value_typeET0_PNSt15iterator_traitsISL_E10value_typeEmT1_T2_,comdat
.Lfunc_end1971:
	.size	_ZN7rocprim17ROCPRIM_400000_NS6detail30init_device_scan_by_key_kernelINS1_19lookback_scan_stateINS0_5tupleIJ11FixedVectorIiLj2EEbEEELb1ELb1EEEN6thrust23THRUST_200600_302600_NS6detail15normal_iteratorINSA_10device_ptrIjEEEEjNS1_16block_id_wrapperIjLb0EEEEEvT_jjPNSI_10value_typeET0_PNSt15iterator_traitsISL_E10value_typeEmT1_T2_, .Lfunc_end1971-_ZN7rocprim17ROCPRIM_400000_NS6detail30init_device_scan_by_key_kernelINS1_19lookback_scan_stateINS0_5tupleIJ11FixedVectorIiLj2EEbEEELb1ELb1EEEN6thrust23THRUST_200600_302600_NS6detail15normal_iteratorINSA_10device_ptrIjEEEEjNS1_16block_id_wrapperIjLb0EEEEEvT_jjPNSI_10value_typeET0_PNSt15iterator_traitsISL_E10value_typeEmT1_T2_
                                        ; -- End function
	.section	.AMDGPU.csdata,"",@progbits
; Kernel info:
; codeLenInByte = 860
; NumSgprs: 24
; NumVgprs: 22
; NumAgprs: 0
; TotalNumVgprs: 22
; ScratchSize: 0
; MemoryBound: 0
; FloatMode: 240
; IeeeMode: 1
; LDSByteSize: 0 bytes/workgroup (compile time only)
; SGPRBlocks: 2
; VGPRBlocks: 2
; NumSGPRsForWavesPerEU: 24
; NumVGPRsForWavesPerEU: 22
; AccumOffset: 24
; Occupancy: 8
; WaveLimiterHint : 0
; COMPUTE_PGM_RSRC2:SCRATCH_EN: 0
; COMPUTE_PGM_RSRC2:USER_SGPR: 6
; COMPUTE_PGM_RSRC2:TRAP_HANDLER: 0
; COMPUTE_PGM_RSRC2:TGID_X_EN: 1
; COMPUTE_PGM_RSRC2:TGID_Y_EN: 0
; COMPUTE_PGM_RSRC2:TGID_Z_EN: 0
; COMPUTE_PGM_RSRC2:TIDIG_COMP_CNT: 0
; COMPUTE_PGM_RSRC3_GFX90A:ACCUM_OFFSET: 5
; COMPUTE_PGM_RSRC3_GFX90A:TG_SPLIT: 0
	.section	.text._ZN7rocprim17ROCPRIM_400000_NS6detail30init_device_scan_by_key_kernelINS1_19lookback_scan_stateINS0_5tupleIJ11FixedVectorIiLj2EEbEEELb1ELb1EEENS1_16block_id_wrapperIjLb0EEEEEvT_jjPNSB_10value_typeET0_,"axG",@progbits,_ZN7rocprim17ROCPRIM_400000_NS6detail30init_device_scan_by_key_kernelINS1_19lookback_scan_stateINS0_5tupleIJ11FixedVectorIiLj2EEbEEELb1ELb1EEENS1_16block_id_wrapperIjLb0EEEEEvT_jjPNSB_10value_typeET0_,comdat
	.protected	_ZN7rocprim17ROCPRIM_400000_NS6detail30init_device_scan_by_key_kernelINS1_19lookback_scan_stateINS0_5tupleIJ11FixedVectorIiLj2EEbEEELb1ELb1EEENS1_16block_id_wrapperIjLb0EEEEEvT_jjPNSB_10value_typeET0_ ; -- Begin function _ZN7rocprim17ROCPRIM_400000_NS6detail30init_device_scan_by_key_kernelINS1_19lookback_scan_stateINS0_5tupleIJ11FixedVectorIiLj2EEbEEELb1ELb1EEENS1_16block_id_wrapperIjLb0EEEEEvT_jjPNSB_10value_typeET0_
	.globl	_ZN7rocprim17ROCPRIM_400000_NS6detail30init_device_scan_by_key_kernelINS1_19lookback_scan_stateINS0_5tupleIJ11FixedVectorIiLj2EEbEEELb1ELb1EEENS1_16block_id_wrapperIjLb0EEEEEvT_jjPNSB_10value_typeET0_
	.p2align	8
	.type	_ZN7rocprim17ROCPRIM_400000_NS6detail30init_device_scan_by_key_kernelINS1_19lookback_scan_stateINS0_5tupleIJ11FixedVectorIiLj2EEbEEELb1ELb1EEENS1_16block_id_wrapperIjLb0EEEEEvT_jjPNSB_10value_typeET0_,@function
_ZN7rocprim17ROCPRIM_400000_NS6detail30init_device_scan_by_key_kernelINS1_19lookback_scan_stateINS0_5tupleIJ11FixedVectorIiLj2EEbEEELb1ELb1EEENS1_16block_id_wrapperIjLb0EEEEEvT_jjPNSB_10value_typeET0_: ; @_ZN7rocprim17ROCPRIM_400000_NS6detail30init_device_scan_by_key_kernelINS1_19lookback_scan_stateINS0_5tupleIJ11FixedVectorIiLj2EEbEEELb1ELb1EEENS1_16block_id_wrapperIjLb0EEEEEvT_jjPNSB_10value_typeET0_
; %bb.0:
	s_load_dword s7, s[4:5], 0x2c
	s_load_dwordx2 s[8:9], s[4:5], 0x10
	s_load_dwordx4 s[0:3], s[4:5], 0x0
	s_waitcnt lgkmcnt(0)
	s_and_b32 s4, s7, 0xffff
	s_mul_i32 s6, s6, s4
	s_cmp_eq_u64 s[8:9], 0
	v_add_u32_e32 v0, s6, v0
	s_cbranch_scc1 .LBB1972_10
; %bb.1:
	s_cmp_lt_u32 s3, s2
	s_cselect_b32 s4, s3, 0
	s_mov_b32 s7, 0
	v_cmp_eq_u32_e32 vcc, s4, v0
	s_and_saveexec_b64 s[4:5], vcc
	s_cbranch_execz .LBB1972_9
; %bb.2:
	s_add_i32 s6, s3, 64
	s_lshl_b64 s[6:7], s[6:7], 4
	s_add_u32 s10, s0, s6
	s_addc_u32 s11, s1, s7
	v_pk_mov_b32 v[2:3], s[10:11], s[10:11] op_sel:[0,1]
	v_mov_b32_e32 v12, 0
	;;#ASMSTART
	global_load_dwordx4 v[2:5], v[2:3] off glc	
s_waitcnt vmcnt(0)
	;;#ASMEND
	v_lshlrev_b64 v[16:17], 24, v[4:5]
	v_lshrrev_b32_e32 v1, 8, v3
	v_lshlrev_b64 v[18:19], 16, v[4:5]
	v_lshlrev_b64 v[20:21], 8, v[4:5]
	v_and_b32_e32 v13, 0xff, v5
	v_lshrrev_b64 v[6:7], 8, v[2:3]
	v_lshrrev_b64 v[8:9], 16, v[2:3]
	;; [unrolled: 1-line block ×3, first 2 shown]
	v_mov_b32_e32 v14, v3
	v_or_b32_e32 v16, v1, v16
	v_or_b32_sdwa v18, v3, v18 dst_sel:DWORD dst_unused:UNUSED_PAD src0_sel:WORD_1 src1_sel:DWORD
	v_or_b32_sdwa v20, v3, v20 dst_sel:DWORD dst_unused:UNUSED_PAD src0_sel:BYTE_3 src1_sel:DWORD
	s_mov_b64 s[12:13], 0
	v_cmp_eq_u64_e32 vcc, 0, v[12:13]
	s_and_saveexec_b64 s[6:7], vcc
	s_cbranch_execz .LBB1972_8
; %bb.3:
	s_mov_b32 s3, 1
	v_pk_mov_b32 v[6:7], s[10:11], s[10:11] op_sel:[0,1]
.LBB1972_4:                             ; =>This Loop Header: Depth=1
                                        ;     Child Loop BB1972_5 Depth 2
	s_max_u32 s10, s3, 1
.LBB1972_5:                             ;   Parent Loop BB1972_4 Depth=1
                                        ; =>  This Inner Loop Header: Depth=2
	s_add_i32 s10, s10, -1
	s_cmp_eq_u32 s10, 0
	s_sleep 1
	s_cbranch_scc0 .LBB1972_5
; %bb.6:                                ;   in Loop: Header=BB1972_4 Depth=1
	s_cmp_lt_u32 s3, 32
	s_cselect_b64 s[10:11], -1, 0
	s_cmp_lg_u64 s[10:11], 0
	;;#ASMSTART
	global_load_dwordx4 v[2:5], v[6:7] off glc	
s_waitcnt vmcnt(0)
	;;#ASMEND
	v_and_b32_e32 v13, 0xff, v5
	s_addc_u32 s3, s3, 0
	v_cmp_ne_u64_e32 vcc, 0, v[12:13]
	s_or_b64 s[12:13], vcc, s[12:13]
	s_andn2_b64 exec, exec, s[12:13]
	s_cbranch_execnz .LBB1972_4
; %bb.7:
	s_or_b64 exec, exec, s[12:13]
	v_lshlrev_b64 v[12:13], 24, v[4:5]
	v_lshrrev_b32_e32 v1, 8, v3
	v_or_b32_e32 v16, v1, v12
	v_lshlrev_b64 v[12:13], 16, v[4:5]
	v_or_b32_sdwa v18, v3, v12 dst_sel:DWORD dst_unused:UNUSED_PAD src0_sel:WORD_1 src1_sel:DWORD
	v_lshlrev_b64 v[12:13], 8, v[4:5]
	v_lshrrev_b64 v[6:7], 8, v[2:3]
	v_lshrrev_b64 v[8:9], 16, v[2:3]
	;; [unrolled: 1-line block ×3, first 2 shown]
	v_mov_b32_e32 v14, v3
	v_or_b32_sdwa v20, v3, v12 dst_sel:DWORD dst_unused:UNUSED_PAD src0_sel:BYTE_3 src1_sel:DWORD
.LBB1972_8:
	s_or_b64 exec, exec, s[6:7]
	v_lshlrev_b32_e32 v3, 16, v18
	v_lshlrev_b32_e32 v1, 24, v20
	v_and_b32_e32 v3, 0xff0000, v3
	v_lshlrev_b32_e32 v8, 16, v8
	s_mov_b32 s3, 0x4020c0c
	v_lshlrev_b32_e32 v5, 8, v16
	v_lshlrev_b32_e32 v6, 8, v6
	v_or_b32_e32 v1, v3, v1
	v_perm_b32 v3, v10, v8, s3
	v_and_b32_e32 v5, 0xff00, v5
	v_and_b32_e32 v7, 0xff, v14
	;; [unrolled: 1-line block ×3, first 2 shown]
	v_or_b32_sdwa v2, v3, v2 dst_sel:DWORD dst_unused:UNUSED_PAD src0_sel:DWORD src1_sel:BYTE_0
	v_or3_b32 v1, v1, v5, v7
	v_add_co_u32_e32 v2, vcc, v2, v6
	v_mov_b32_e32 v9, 0
	v_addc_co_u32_e32 v3, vcc, 0, v1, vcc
	global_store_dwordx2 v9, v[2:3], s[8:9]
	global_store_byte v9, v4, s[8:9] offset:8
.LBB1972_9:
	s_or_b64 exec, exec, s[4:5]
.LBB1972_10:
	v_cmp_gt_u32_e32 vcc, s2, v0
	s_and_saveexec_b64 s[2:3], vcc
	s_cbranch_execnz .LBB1972_13
; %bb.11:
	s_or_b64 exec, exec, s[2:3]
	v_cmp_gt_u32_e32 vcc, 64, v0
	s_and_saveexec_b64 s[2:3], vcc
	s_cbranch_execnz .LBB1972_14
.LBB1972_12:
	s_endpgm
.LBB1972_13:
	v_add_u32_e32 v2, 64, v0
	v_mov_b32_e32 v3, 0
	v_lshlrev_b64 v[4:5], 4, v[2:3]
	v_mov_b32_e32 v1, s1
	v_add_co_u32_e32 v6, vcc, s0, v4
	v_addc_co_u32_e32 v7, vcc, v1, v5, vcc
	v_mov_b32_e32 v2, v3
	v_mov_b32_e32 v4, v3
	v_mov_b32_e32 v5, v3
	global_store_dwordx4 v[6:7], v[2:5], off
	s_or_b64 exec, exec, s[2:3]
	v_cmp_gt_u32_e32 vcc, 64, v0
	s_and_saveexec_b64 s[2:3], vcc
	s_cbranch_execz .LBB1972_12
.LBB1972_14:
	v_mov_b32_e32 v1, 0
	v_lshlrev_b64 v[2:3], 4, v[0:1]
	v_mov_b32_e32 v0, s1
	v_add_co_u32_e32 v4, vcc, s0, v2
	v_addc_co_u32_e32 v5, vcc, v0, v3, vcc
	v_mov_b32_e32 v3, 0xff
	v_mov_b32_e32 v0, v1
	;; [unrolled: 1-line block ×3, first 2 shown]
	global_store_dwordx4 v[4:5], v[0:3], off
	s_endpgm
	.section	.rodata,"a",@progbits
	.p2align	6, 0x0
	.amdhsa_kernel _ZN7rocprim17ROCPRIM_400000_NS6detail30init_device_scan_by_key_kernelINS1_19lookback_scan_stateINS0_5tupleIJ11FixedVectorIiLj2EEbEEELb1ELb1EEENS1_16block_id_wrapperIjLb0EEEEEvT_jjPNSB_10value_typeET0_
		.amdhsa_group_segment_fixed_size 0
		.amdhsa_private_segment_fixed_size 0
		.amdhsa_kernarg_size 288
		.amdhsa_user_sgpr_count 6
		.amdhsa_user_sgpr_private_segment_buffer 1
		.amdhsa_user_sgpr_dispatch_ptr 0
		.amdhsa_user_sgpr_queue_ptr 0
		.amdhsa_user_sgpr_kernarg_segment_ptr 1
		.amdhsa_user_sgpr_dispatch_id 0
		.amdhsa_user_sgpr_flat_scratch_init 0
		.amdhsa_user_sgpr_kernarg_preload_length 0
		.amdhsa_user_sgpr_kernarg_preload_offset 0
		.amdhsa_user_sgpr_private_segment_size 0
		.amdhsa_uses_dynamic_stack 0
		.amdhsa_system_sgpr_private_segment_wavefront_offset 0
		.amdhsa_system_sgpr_workgroup_id_x 1
		.amdhsa_system_sgpr_workgroup_id_y 0
		.amdhsa_system_sgpr_workgroup_id_z 0
		.amdhsa_system_sgpr_workgroup_info 0
		.amdhsa_system_vgpr_workitem_id 0
		.amdhsa_next_free_vgpr 22
		.amdhsa_next_free_sgpr 14
		.amdhsa_accum_offset 24
		.amdhsa_reserve_vcc 1
		.amdhsa_reserve_flat_scratch 0
		.amdhsa_float_round_mode_32 0
		.amdhsa_float_round_mode_16_64 0
		.amdhsa_float_denorm_mode_32 3
		.amdhsa_float_denorm_mode_16_64 3
		.amdhsa_dx10_clamp 1
		.amdhsa_ieee_mode 1
		.amdhsa_fp16_overflow 0
		.amdhsa_tg_split 0
		.amdhsa_exception_fp_ieee_invalid_op 0
		.amdhsa_exception_fp_denorm_src 0
		.amdhsa_exception_fp_ieee_div_zero 0
		.amdhsa_exception_fp_ieee_overflow 0
		.amdhsa_exception_fp_ieee_underflow 0
		.amdhsa_exception_fp_ieee_inexact 0
		.amdhsa_exception_int_div_zero 0
	.end_amdhsa_kernel
	.section	.text._ZN7rocprim17ROCPRIM_400000_NS6detail30init_device_scan_by_key_kernelINS1_19lookback_scan_stateINS0_5tupleIJ11FixedVectorIiLj2EEbEEELb1ELb1EEENS1_16block_id_wrapperIjLb0EEEEEvT_jjPNSB_10value_typeET0_,"axG",@progbits,_ZN7rocprim17ROCPRIM_400000_NS6detail30init_device_scan_by_key_kernelINS1_19lookback_scan_stateINS0_5tupleIJ11FixedVectorIiLj2EEbEEELb1ELb1EEENS1_16block_id_wrapperIjLb0EEEEEvT_jjPNSB_10value_typeET0_,comdat
.Lfunc_end1972:
	.size	_ZN7rocprim17ROCPRIM_400000_NS6detail30init_device_scan_by_key_kernelINS1_19lookback_scan_stateINS0_5tupleIJ11FixedVectorIiLj2EEbEEELb1ELb1EEENS1_16block_id_wrapperIjLb0EEEEEvT_jjPNSB_10value_typeET0_, .Lfunc_end1972-_ZN7rocprim17ROCPRIM_400000_NS6detail30init_device_scan_by_key_kernelINS1_19lookback_scan_stateINS0_5tupleIJ11FixedVectorIiLj2EEbEEELb1ELb1EEENS1_16block_id_wrapperIjLb0EEEEEvT_jjPNSB_10value_typeET0_
                                        ; -- End function
	.section	.AMDGPU.csdata,"",@progbits
; Kernel info:
; codeLenInByte = 660
; NumSgprs: 18
; NumVgprs: 22
; NumAgprs: 0
; TotalNumVgprs: 22
; ScratchSize: 0
; MemoryBound: 0
; FloatMode: 240
; IeeeMode: 1
; LDSByteSize: 0 bytes/workgroup (compile time only)
; SGPRBlocks: 2
; VGPRBlocks: 2
; NumSGPRsForWavesPerEU: 18
; NumVGPRsForWavesPerEU: 22
; AccumOffset: 24
; Occupancy: 8
; WaveLimiterHint : 0
; COMPUTE_PGM_RSRC2:SCRATCH_EN: 0
; COMPUTE_PGM_RSRC2:USER_SGPR: 6
; COMPUTE_PGM_RSRC2:TRAP_HANDLER: 0
; COMPUTE_PGM_RSRC2:TGID_X_EN: 1
; COMPUTE_PGM_RSRC2:TGID_Y_EN: 0
; COMPUTE_PGM_RSRC2:TGID_Z_EN: 0
; COMPUTE_PGM_RSRC2:TIDIG_COMP_CNT: 0
; COMPUTE_PGM_RSRC3_GFX90A:ACCUM_OFFSET: 5
; COMPUTE_PGM_RSRC3_GFX90A:TG_SPLIT: 0
	.section	.text._ZN7rocprim17ROCPRIM_400000_NS6detail17trampoline_kernelINS0_14default_configENS1_27scan_by_key_config_selectorIj11FixedVectorIiLj2EEEEZZNS1_16scan_by_key_implILNS1_25lookback_scan_determinismE0ELb0ES3_N6thrust23THRUST_200600_302600_NS6detail15normal_iteratorINSB_10device_ptrIjEEEENSD_INSE_IS6_EEEESI_S6_NSB_4plusIvEENSB_8equal_toIvEES6_EE10hipError_tPvRmT2_T3_T4_T5_mT6_T7_P12ihipStream_tbENKUlT_T0_E_clISt17integral_constantIbLb1EES12_IbLb0EEEEDaSY_SZ_EUlSY_E_NS1_11comp_targetILNS1_3genE0ELNS1_11target_archE4294967295ELNS1_3gpuE0ELNS1_3repE0EEENS1_30default_config_static_selectorELNS0_4arch9wavefront6targetE1EEEvT1_,"axG",@progbits,_ZN7rocprim17ROCPRIM_400000_NS6detail17trampoline_kernelINS0_14default_configENS1_27scan_by_key_config_selectorIj11FixedVectorIiLj2EEEEZZNS1_16scan_by_key_implILNS1_25lookback_scan_determinismE0ELb0ES3_N6thrust23THRUST_200600_302600_NS6detail15normal_iteratorINSB_10device_ptrIjEEEENSD_INSE_IS6_EEEESI_S6_NSB_4plusIvEENSB_8equal_toIvEES6_EE10hipError_tPvRmT2_T3_T4_T5_mT6_T7_P12ihipStream_tbENKUlT_T0_E_clISt17integral_constantIbLb1EES12_IbLb0EEEEDaSY_SZ_EUlSY_E_NS1_11comp_targetILNS1_3genE0ELNS1_11target_archE4294967295ELNS1_3gpuE0ELNS1_3repE0EEENS1_30default_config_static_selectorELNS0_4arch9wavefront6targetE1EEEvT1_,comdat
	.protected	_ZN7rocprim17ROCPRIM_400000_NS6detail17trampoline_kernelINS0_14default_configENS1_27scan_by_key_config_selectorIj11FixedVectorIiLj2EEEEZZNS1_16scan_by_key_implILNS1_25lookback_scan_determinismE0ELb0ES3_N6thrust23THRUST_200600_302600_NS6detail15normal_iteratorINSB_10device_ptrIjEEEENSD_INSE_IS6_EEEESI_S6_NSB_4plusIvEENSB_8equal_toIvEES6_EE10hipError_tPvRmT2_T3_T4_T5_mT6_T7_P12ihipStream_tbENKUlT_T0_E_clISt17integral_constantIbLb1EES12_IbLb0EEEEDaSY_SZ_EUlSY_E_NS1_11comp_targetILNS1_3genE0ELNS1_11target_archE4294967295ELNS1_3gpuE0ELNS1_3repE0EEENS1_30default_config_static_selectorELNS0_4arch9wavefront6targetE1EEEvT1_ ; -- Begin function _ZN7rocprim17ROCPRIM_400000_NS6detail17trampoline_kernelINS0_14default_configENS1_27scan_by_key_config_selectorIj11FixedVectorIiLj2EEEEZZNS1_16scan_by_key_implILNS1_25lookback_scan_determinismE0ELb0ES3_N6thrust23THRUST_200600_302600_NS6detail15normal_iteratorINSB_10device_ptrIjEEEENSD_INSE_IS6_EEEESI_S6_NSB_4plusIvEENSB_8equal_toIvEES6_EE10hipError_tPvRmT2_T3_T4_T5_mT6_T7_P12ihipStream_tbENKUlT_T0_E_clISt17integral_constantIbLb1EES12_IbLb0EEEEDaSY_SZ_EUlSY_E_NS1_11comp_targetILNS1_3genE0ELNS1_11target_archE4294967295ELNS1_3gpuE0ELNS1_3repE0EEENS1_30default_config_static_selectorELNS0_4arch9wavefront6targetE1EEEvT1_
	.globl	_ZN7rocprim17ROCPRIM_400000_NS6detail17trampoline_kernelINS0_14default_configENS1_27scan_by_key_config_selectorIj11FixedVectorIiLj2EEEEZZNS1_16scan_by_key_implILNS1_25lookback_scan_determinismE0ELb0ES3_N6thrust23THRUST_200600_302600_NS6detail15normal_iteratorINSB_10device_ptrIjEEEENSD_INSE_IS6_EEEESI_S6_NSB_4plusIvEENSB_8equal_toIvEES6_EE10hipError_tPvRmT2_T3_T4_T5_mT6_T7_P12ihipStream_tbENKUlT_T0_E_clISt17integral_constantIbLb1EES12_IbLb0EEEEDaSY_SZ_EUlSY_E_NS1_11comp_targetILNS1_3genE0ELNS1_11target_archE4294967295ELNS1_3gpuE0ELNS1_3repE0EEENS1_30default_config_static_selectorELNS0_4arch9wavefront6targetE1EEEvT1_
	.p2align	8
	.type	_ZN7rocprim17ROCPRIM_400000_NS6detail17trampoline_kernelINS0_14default_configENS1_27scan_by_key_config_selectorIj11FixedVectorIiLj2EEEEZZNS1_16scan_by_key_implILNS1_25lookback_scan_determinismE0ELb0ES3_N6thrust23THRUST_200600_302600_NS6detail15normal_iteratorINSB_10device_ptrIjEEEENSD_INSE_IS6_EEEESI_S6_NSB_4plusIvEENSB_8equal_toIvEES6_EE10hipError_tPvRmT2_T3_T4_T5_mT6_T7_P12ihipStream_tbENKUlT_T0_E_clISt17integral_constantIbLb1EES12_IbLb0EEEEDaSY_SZ_EUlSY_E_NS1_11comp_targetILNS1_3genE0ELNS1_11target_archE4294967295ELNS1_3gpuE0ELNS1_3repE0EEENS1_30default_config_static_selectorELNS0_4arch9wavefront6targetE1EEEvT1_,@function
_ZN7rocprim17ROCPRIM_400000_NS6detail17trampoline_kernelINS0_14default_configENS1_27scan_by_key_config_selectorIj11FixedVectorIiLj2EEEEZZNS1_16scan_by_key_implILNS1_25lookback_scan_determinismE0ELb0ES3_N6thrust23THRUST_200600_302600_NS6detail15normal_iteratorINSB_10device_ptrIjEEEENSD_INSE_IS6_EEEESI_S6_NSB_4plusIvEENSB_8equal_toIvEES6_EE10hipError_tPvRmT2_T3_T4_T5_mT6_T7_P12ihipStream_tbENKUlT_T0_E_clISt17integral_constantIbLb1EES12_IbLb0EEEEDaSY_SZ_EUlSY_E_NS1_11comp_targetILNS1_3genE0ELNS1_11target_archE4294967295ELNS1_3gpuE0ELNS1_3repE0EEENS1_30default_config_static_selectorELNS0_4arch9wavefront6targetE1EEEvT1_: ; @_ZN7rocprim17ROCPRIM_400000_NS6detail17trampoline_kernelINS0_14default_configENS1_27scan_by_key_config_selectorIj11FixedVectorIiLj2EEEEZZNS1_16scan_by_key_implILNS1_25lookback_scan_determinismE0ELb0ES3_N6thrust23THRUST_200600_302600_NS6detail15normal_iteratorINSB_10device_ptrIjEEEENSD_INSE_IS6_EEEESI_S6_NSB_4plusIvEENSB_8equal_toIvEES6_EE10hipError_tPvRmT2_T3_T4_T5_mT6_T7_P12ihipStream_tbENKUlT_T0_E_clISt17integral_constantIbLb1EES12_IbLb0EEEEDaSY_SZ_EUlSY_E_NS1_11comp_targetILNS1_3genE0ELNS1_11target_archE4294967295ELNS1_3gpuE0ELNS1_3repE0EEENS1_30default_config_static_selectorELNS0_4arch9wavefront6targetE1EEEvT1_
; %bb.0:
	.section	.rodata,"a",@progbits
	.p2align	6, 0x0
	.amdhsa_kernel _ZN7rocprim17ROCPRIM_400000_NS6detail17trampoline_kernelINS0_14default_configENS1_27scan_by_key_config_selectorIj11FixedVectorIiLj2EEEEZZNS1_16scan_by_key_implILNS1_25lookback_scan_determinismE0ELb0ES3_N6thrust23THRUST_200600_302600_NS6detail15normal_iteratorINSB_10device_ptrIjEEEENSD_INSE_IS6_EEEESI_S6_NSB_4plusIvEENSB_8equal_toIvEES6_EE10hipError_tPvRmT2_T3_T4_T5_mT6_T7_P12ihipStream_tbENKUlT_T0_E_clISt17integral_constantIbLb1EES12_IbLb0EEEEDaSY_SZ_EUlSY_E_NS1_11comp_targetILNS1_3genE0ELNS1_11target_archE4294967295ELNS1_3gpuE0ELNS1_3repE0EEENS1_30default_config_static_selectorELNS0_4arch9wavefront6targetE1EEEvT1_
		.amdhsa_group_segment_fixed_size 0
		.amdhsa_private_segment_fixed_size 0
		.amdhsa_kernarg_size 120
		.amdhsa_user_sgpr_count 6
		.amdhsa_user_sgpr_private_segment_buffer 1
		.amdhsa_user_sgpr_dispatch_ptr 0
		.amdhsa_user_sgpr_queue_ptr 0
		.amdhsa_user_sgpr_kernarg_segment_ptr 1
		.amdhsa_user_sgpr_dispatch_id 0
		.amdhsa_user_sgpr_flat_scratch_init 0
		.amdhsa_user_sgpr_kernarg_preload_length 0
		.amdhsa_user_sgpr_kernarg_preload_offset 0
		.amdhsa_user_sgpr_private_segment_size 0
		.amdhsa_uses_dynamic_stack 0
		.amdhsa_system_sgpr_private_segment_wavefront_offset 0
		.amdhsa_system_sgpr_workgroup_id_x 1
		.amdhsa_system_sgpr_workgroup_id_y 0
		.amdhsa_system_sgpr_workgroup_id_z 0
		.amdhsa_system_sgpr_workgroup_info 0
		.amdhsa_system_vgpr_workitem_id 0
		.amdhsa_next_free_vgpr 1
		.amdhsa_next_free_sgpr 0
		.amdhsa_accum_offset 4
		.amdhsa_reserve_vcc 0
		.amdhsa_reserve_flat_scratch 0
		.amdhsa_float_round_mode_32 0
		.amdhsa_float_round_mode_16_64 0
		.amdhsa_float_denorm_mode_32 3
		.amdhsa_float_denorm_mode_16_64 3
		.amdhsa_dx10_clamp 1
		.amdhsa_ieee_mode 1
		.amdhsa_fp16_overflow 0
		.amdhsa_tg_split 0
		.amdhsa_exception_fp_ieee_invalid_op 0
		.amdhsa_exception_fp_denorm_src 0
		.amdhsa_exception_fp_ieee_div_zero 0
		.amdhsa_exception_fp_ieee_overflow 0
		.amdhsa_exception_fp_ieee_underflow 0
		.amdhsa_exception_fp_ieee_inexact 0
		.amdhsa_exception_int_div_zero 0
	.end_amdhsa_kernel
	.section	.text._ZN7rocprim17ROCPRIM_400000_NS6detail17trampoline_kernelINS0_14default_configENS1_27scan_by_key_config_selectorIj11FixedVectorIiLj2EEEEZZNS1_16scan_by_key_implILNS1_25lookback_scan_determinismE0ELb0ES3_N6thrust23THRUST_200600_302600_NS6detail15normal_iteratorINSB_10device_ptrIjEEEENSD_INSE_IS6_EEEESI_S6_NSB_4plusIvEENSB_8equal_toIvEES6_EE10hipError_tPvRmT2_T3_T4_T5_mT6_T7_P12ihipStream_tbENKUlT_T0_E_clISt17integral_constantIbLb1EES12_IbLb0EEEEDaSY_SZ_EUlSY_E_NS1_11comp_targetILNS1_3genE0ELNS1_11target_archE4294967295ELNS1_3gpuE0ELNS1_3repE0EEENS1_30default_config_static_selectorELNS0_4arch9wavefront6targetE1EEEvT1_,"axG",@progbits,_ZN7rocprim17ROCPRIM_400000_NS6detail17trampoline_kernelINS0_14default_configENS1_27scan_by_key_config_selectorIj11FixedVectorIiLj2EEEEZZNS1_16scan_by_key_implILNS1_25lookback_scan_determinismE0ELb0ES3_N6thrust23THRUST_200600_302600_NS6detail15normal_iteratorINSB_10device_ptrIjEEEENSD_INSE_IS6_EEEESI_S6_NSB_4plusIvEENSB_8equal_toIvEES6_EE10hipError_tPvRmT2_T3_T4_T5_mT6_T7_P12ihipStream_tbENKUlT_T0_E_clISt17integral_constantIbLb1EES12_IbLb0EEEEDaSY_SZ_EUlSY_E_NS1_11comp_targetILNS1_3genE0ELNS1_11target_archE4294967295ELNS1_3gpuE0ELNS1_3repE0EEENS1_30default_config_static_selectorELNS0_4arch9wavefront6targetE1EEEvT1_,comdat
.Lfunc_end1973:
	.size	_ZN7rocprim17ROCPRIM_400000_NS6detail17trampoline_kernelINS0_14default_configENS1_27scan_by_key_config_selectorIj11FixedVectorIiLj2EEEEZZNS1_16scan_by_key_implILNS1_25lookback_scan_determinismE0ELb0ES3_N6thrust23THRUST_200600_302600_NS6detail15normal_iteratorINSB_10device_ptrIjEEEENSD_INSE_IS6_EEEESI_S6_NSB_4plusIvEENSB_8equal_toIvEES6_EE10hipError_tPvRmT2_T3_T4_T5_mT6_T7_P12ihipStream_tbENKUlT_T0_E_clISt17integral_constantIbLb1EES12_IbLb0EEEEDaSY_SZ_EUlSY_E_NS1_11comp_targetILNS1_3genE0ELNS1_11target_archE4294967295ELNS1_3gpuE0ELNS1_3repE0EEENS1_30default_config_static_selectorELNS0_4arch9wavefront6targetE1EEEvT1_, .Lfunc_end1973-_ZN7rocprim17ROCPRIM_400000_NS6detail17trampoline_kernelINS0_14default_configENS1_27scan_by_key_config_selectorIj11FixedVectorIiLj2EEEEZZNS1_16scan_by_key_implILNS1_25lookback_scan_determinismE0ELb0ES3_N6thrust23THRUST_200600_302600_NS6detail15normal_iteratorINSB_10device_ptrIjEEEENSD_INSE_IS6_EEEESI_S6_NSB_4plusIvEENSB_8equal_toIvEES6_EE10hipError_tPvRmT2_T3_T4_T5_mT6_T7_P12ihipStream_tbENKUlT_T0_E_clISt17integral_constantIbLb1EES12_IbLb0EEEEDaSY_SZ_EUlSY_E_NS1_11comp_targetILNS1_3genE0ELNS1_11target_archE4294967295ELNS1_3gpuE0ELNS1_3repE0EEENS1_30default_config_static_selectorELNS0_4arch9wavefront6targetE1EEEvT1_
                                        ; -- End function
	.section	.AMDGPU.csdata,"",@progbits
; Kernel info:
; codeLenInByte = 0
; NumSgprs: 4
; NumVgprs: 0
; NumAgprs: 0
; TotalNumVgprs: 0
; ScratchSize: 0
; MemoryBound: 0
; FloatMode: 240
; IeeeMode: 1
; LDSByteSize: 0 bytes/workgroup (compile time only)
; SGPRBlocks: 0
; VGPRBlocks: 0
; NumSGPRsForWavesPerEU: 4
; NumVGPRsForWavesPerEU: 1
; AccumOffset: 4
; Occupancy: 8
; WaveLimiterHint : 0
; COMPUTE_PGM_RSRC2:SCRATCH_EN: 0
; COMPUTE_PGM_RSRC2:USER_SGPR: 6
; COMPUTE_PGM_RSRC2:TRAP_HANDLER: 0
; COMPUTE_PGM_RSRC2:TGID_X_EN: 1
; COMPUTE_PGM_RSRC2:TGID_Y_EN: 0
; COMPUTE_PGM_RSRC2:TGID_Z_EN: 0
; COMPUTE_PGM_RSRC2:TIDIG_COMP_CNT: 0
; COMPUTE_PGM_RSRC3_GFX90A:ACCUM_OFFSET: 0
; COMPUTE_PGM_RSRC3_GFX90A:TG_SPLIT: 0
	.section	.text._ZN7rocprim17ROCPRIM_400000_NS6detail17trampoline_kernelINS0_14default_configENS1_27scan_by_key_config_selectorIj11FixedVectorIiLj2EEEEZZNS1_16scan_by_key_implILNS1_25lookback_scan_determinismE0ELb0ES3_N6thrust23THRUST_200600_302600_NS6detail15normal_iteratorINSB_10device_ptrIjEEEENSD_INSE_IS6_EEEESI_S6_NSB_4plusIvEENSB_8equal_toIvEES6_EE10hipError_tPvRmT2_T3_T4_T5_mT6_T7_P12ihipStream_tbENKUlT_T0_E_clISt17integral_constantIbLb1EES12_IbLb0EEEEDaSY_SZ_EUlSY_E_NS1_11comp_targetILNS1_3genE10ELNS1_11target_archE1201ELNS1_3gpuE5ELNS1_3repE0EEENS1_30default_config_static_selectorELNS0_4arch9wavefront6targetE1EEEvT1_,"axG",@progbits,_ZN7rocprim17ROCPRIM_400000_NS6detail17trampoline_kernelINS0_14default_configENS1_27scan_by_key_config_selectorIj11FixedVectorIiLj2EEEEZZNS1_16scan_by_key_implILNS1_25lookback_scan_determinismE0ELb0ES3_N6thrust23THRUST_200600_302600_NS6detail15normal_iteratorINSB_10device_ptrIjEEEENSD_INSE_IS6_EEEESI_S6_NSB_4plusIvEENSB_8equal_toIvEES6_EE10hipError_tPvRmT2_T3_T4_T5_mT6_T7_P12ihipStream_tbENKUlT_T0_E_clISt17integral_constantIbLb1EES12_IbLb0EEEEDaSY_SZ_EUlSY_E_NS1_11comp_targetILNS1_3genE10ELNS1_11target_archE1201ELNS1_3gpuE5ELNS1_3repE0EEENS1_30default_config_static_selectorELNS0_4arch9wavefront6targetE1EEEvT1_,comdat
	.protected	_ZN7rocprim17ROCPRIM_400000_NS6detail17trampoline_kernelINS0_14default_configENS1_27scan_by_key_config_selectorIj11FixedVectorIiLj2EEEEZZNS1_16scan_by_key_implILNS1_25lookback_scan_determinismE0ELb0ES3_N6thrust23THRUST_200600_302600_NS6detail15normal_iteratorINSB_10device_ptrIjEEEENSD_INSE_IS6_EEEESI_S6_NSB_4plusIvEENSB_8equal_toIvEES6_EE10hipError_tPvRmT2_T3_T4_T5_mT6_T7_P12ihipStream_tbENKUlT_T0_E_clISt17integral_constantIbLb1EES12_IbLb0EEEEDaSY_SZ_EUlSY_E_NS1_11comp_targetILNS1_3genE10ELNS1_11target_archE1201ELNS1_3gpuE5ELNS1_3repE0EEENS1_30default_config_static_selectorELNS0_4arch9wavefront6targetE1EEEvT1_ ; -- Begin function _ZN7rocprim17ROCPRIM_400000_NS6detail17trampoline_kernelINS0_14default_configENS1_27scan_by_key_config_selectorIj11FixedVectorIiLj2EEEEZZNS1_16scan_by_key_implILNS1_25lookback_scan_determinismE0ELb0ES3_N6thrust23THRUST_200600_302600_NS6detail15normal_iteratorINSB_10device_ptrIjEEEENSD_INSE_IS6_EEEESI_S6_NSB_4plusIvEENSB_8equal_toIvEES6_EE10hipError_tPvRmT2_T3_T4_T5_mT6_T7_P12ihipStream_tbENKUlT_T0_E_clISt17integral_constantIbLb1EES12_IbLb0EEEEDaSY_SZ_EUlSY_E_NS1_11comp_targetILNS1_3genE10ELNS1_11target_archE1201ELNS1_3gpuE5ELNS1_3repE0EEENS1_30default_config_static_selectorELNS0_4arch9wavefront6targetE1EEEvT1_
	.globl	_ZN7rocprim17ROCPRIM_400000_NS6detail17trampoline_kernelINS0_14default_configENS1_27scan_by_key_config_selectorIj11FixedVectorIiLj2EEEEZZNS1_16scan_by_key_implILNS1_25lookback_scan_determinismE0ELb0ES3_N6thrust23THRUST_200600_302600_NS6detail15normal_iteratorINSB_10device_ptrIjEEEENSD_INSE_IS6_EEEESI_S6_NSB_4plusIvEENSB_8equal_toIvEES6_EE10hipError_tPvRmT2_T3_T4_T5_mT6_T7_P12ihipStream_tbENKUlT_T0_E_clISt17integral_constantIbLb1EES12_IbLb0EEEEDaSY_SZ_EUlSY_E_NS1_11comp_targetILNS1_3genE10ELNS1_11target_archE1201ELNS1_3gpuE5ELNS1_3repE0EEENS1_30default_config_static_selectorELNS0_4arch9wavefront6targetE1EEEvT1_
	.p2align	8
	.type	_ZN7rocprim17ROCPRIM_400000_NS6detail17trampoline_kernelINS0_14default_configENS1_27scan_by_key_config_selectorIj11FixedVectorIiLj2EEEEZZNS1_16scan_by_key_implILNS1_25lookback_scan_determinismE0ELb0ES3_N6thrust23THRUST_200600_302600_NS6detail15normal_iteratorINSB_10device_ptrIjEEEENSD_INSE_IS6_EEEESI_S6_NSB_4plusIvEENSB_8equal_toIvEES6_EE10hipError_tPvRmT2_T3_T4_T5_mT6_T7_P12ihipStream_tbENKUlT_T0_E_clISt17integral_constantIbLb1EES12_IbLb0EEEEDaSY_SZ_EUlSY_E_NS1_11comp_targetILNS1_3genE10ELNS1_11target_archE1201ELNS1_3gpuE5ELNS1_3repE0EEENS1_30default_config_static_selectorELNS0_4arch9wavefront6targetE1EEEvT1_,@function
_ZN7rocprim17ROCPRIM_400000_NS6detail17trampoline_kernelINS0_14default_configENS1_27scan_by_key_config_selectorIj11FixedVectorIiLj2EEEEZZNS1_16scan_by_key_implILNS1_25lookback_scan_determinismE0ELb0ES3_N6thrust23THRUST_200600_302600_NS6detail15normal_iteratorINSB_10device_ptrIjEEEENSD_INSE_IS6_EEEESI_S6_NSB_4plusIvEENSB_8equal_toIvEES6_EE10hipError_tPvRmT2_T3_T4_T5_mT6_T7_P12ihipStream_tbENKUlT_T0_E_clISt17integral_constantIbLb1EES12_IbLb0EEEEDaSY_SZ_EUlSY_E_NS1_11comp_targetILNS1_3genE10ELNS1_11target_archE1201ELNS1_3gpuE5ELNS1_3repE0EEENS1_30default_config_static_selectorELNS0_4arch9wavefront6targetE1EEEvT1_: ; @_ZN7rocprim17ROCPRIM_400000_NS6detail17trampoline_kernelINS0_14default_configENS1_27scan_by_key_config_selectorIj11FixedVectorIiLj2EEEEZZNS1_16scan_by_key_implILNS1_25lookback_scan_determinismE0ELb0ES3_N6thrust23THRUST_200600_302600_NS6detail15normal_iteratorINSB_10device_ptrIjEEEENSD_INSE_IS6_EEEESI_S6_NSB_4plusIvEENSB_8equal_toIvEES6_EE10hipError_tPvRmT2_T3_T4_T5_mT6_T7_P12ihipStream_tbENKUlT_T0_E_clISt17integral_constantIbLb1EES12_IbLb0EEEEDaSY_SZ_EUlSY_E_NS1_11comp_targetILNS1_3genE10ELNS1_11target_archE1201ELNS1_3gpuE5ELNS1_3repE0EEENS1_30default_config_static_selectorELNS0_4arch9wavefront6targetE1EEEvT1_
; %bb.0:
	.section	.rodata,"a",@progbits
	.p2align	6, 0x0
	.amdhsa_kernel _ZN7rocprim17ROCPRIM_400000_NS6detail17trampoline_kernelINS0_14default_configENS1_27scan_by_key_config_selectorIj11FixedVectorIiLj2EEEEZZNS1_16scan_by_key_implILNS1_25lookback_scan_determinismE0ELb0ES3_N6thrust23THRUST_200600_302600_NS6detail15normal_iteratorINSB_10device_ptrIjEEEENSD_INSE_IS6_EEEESI_S6_NSB_4plusIvEENSB_8equal_toIvEES6_EE10hipError_tPvRmT2_T3_T4_T5_mT6_T7_P12ihipStream_tbENKUlT_T0_E_clISt17integral_constantIbLb1EES12_IbLb0EEEEDaSY_SZ_EUlSY_E_NS1_11comp_targetILNS1_3genE10ELNS1_11target_archE1201ELNS1_3gpuE5ELNS1_3repE0EEENS1_30default_config_static_selectorELNS0_4arch9wavefront6targetE1EEEvT1_
		.amdhsa_group_segment_fixed_size 0
		.amdhsa_private_segment_fixed_size 0
		.amdhsa_kernarg_size 120
		.amdhsa_user_sgpr_count 6
		.amdhsa_user_sgpr_private_segment_buffer 1
		.amdhsa_user_sgpr_dispatch_ptr 0
		.amdhsa_user_sgpr_queue_ptr 0
		.amdhsa_user_sgpr_kernarg_segment_ptr 1
		.amdhsa_user_sgpr_dispatch_id 0
		.amdhsa_user_sgpr_flat_scratch_init 0
		.amdhsa_user_sgpr_kernarg_preload_length 0
		.amdhsa_user_sgpr_kernarg_preload_offset 0
		.amdhsa_user_sgpr_private_segment_size 0
		.amdhsa_uses_dynamic_stack 0
		.amdhsa_system_sgpr_private_segment_wavefront_offset 0
		.amdhsa_system_sgpr_workgroup_id_x 1
		.amdhsa_system_sgpr_workgroup_id_y 0
		.amdhsa_system_sgpr_workgroup_id_z 0
		.amdhsa_system_sgpr_workgroup_info 0
		.amdhsa_system_vgpr_workitem_id 0
		.amdhsa_next_free_vgpr 1
		.amdhsa_next_free_sgpr 0
		.amdhsa_accum_offset 4
		.amdhsa_reserve_vcc 0
		.amdhsa_reserve_flat_scratch 0
		.amdhsa_float_round_mode_32 0
		.amdhsa_float_round_mode_16_64 0
		.amdhsa_float_denorm_mode_32 3
		.amdhsa_float_denorm_mode_16_64 3
		.amdhsa_dx10_clamp 1
		.amdhsa_ieee_mode 1
		.amdhsa_fp16_overflow 0
		.amdhsa_tg_split 0
		.amdhsa_exception_fp_ieee_invalid_op 0
		.amdhsa_exception_fp_denorm_src 0
		.amdhsa_exception_fp_ieee_div_zero 0
		.amdhsa_exception_fp_ieee_overflow 0
		.amdhsa_exception_fp_ieee_underflow 0
		.amdhsa_exception_fp_ieee_inexact 0
		.amdhsa_exception_int_div_zero 0
	.end_amdhsa_kernel
	.section	.text._ZN7rocprim17ROCPRIM_400000_NS6detail17trampoline_kernelINS0_14default_configENS1_27scan_by_key_config_selectorIj11FixedVectorIiLj2EEEEZZNS1_16scan_by_key_implILNS1_25lookback_scan_determinismE0ELb0ES3_N6thrust23THRUST_200600_302600_NS6detail15normal_iteratorINSB_10device_ptrIjEEEENSD_INSE_IS6_EEEESI_S6_NSB_4plusIvEENSB_8equal_toIvEES6_EE10hipError_tPvRmT2_T3_T4_T5_mT6_T7_P12ihipStream_tbENKUlT_T0_E_clISt17integral_constantIbLb1EES12_IbLb0EEEEDaSY_SZ_EUlSY_E_NS1_11comp_targetILNS1_3genE10ELNS1_11target_archE1201ELNS1_3gpuE5ELNS1_3repE0EEENS1_30default_config_static_selectorELNS0_4arch9wavefront6targetE1EEEvT1_,"axG",@progbits,_ZN7rocprim17ROCPRIM_400000_NS6detail17trampoline_kernelINS0_14default_configENS1_27scan_by_key_config_selectorIj11FixedVectorIiLj2EEEEZZNS1_16scan_by_key_implILNS1_25lookback_scan_determinismE0ELb0ES3_N6thrust23THRUST_200600_302600_NS6detail15normal_iteratorINSB_10device_ptrIjEEEENSD_INSE_IS6_EEEESI_S6_NSB_4plusIvEENSB_8equal_toIvEES6_EE10hipError_tPvRmT2_T3_T4_T5_mT6_T7_P12ihipStream_tbENKUlT_T0_E_clISt17integral_constantIbLb1EES12_IbLb0EEEEDaSY_SZ_EUlSY_E_NS1_11comp_targetILNS1_3genE10ELNS1_11target_archE1201ELNS1_3gpuE5ELNS1_3repE0EEENS1_30default_config_static_selectorELNS0_4arch9wavefront6targetE1EEEvT1_,comdat
.Lfunc_end1974:
	.size	_ZN7rocprim17ROCPRIM_400000_NS6detail17trampoline_kernelINS0_14default_configENS1_27scan_by_key_config_selectorIj11FixedVectorIiLj2EEEEZZNS1_16scan_by_key_implILNS1_25lookback_scan_determinismE0ELb0ES3_N6thrust23THRUST_200600_302600_NS6detail15normal_iteratorINSB_10device_ptrIjEEEENSD_INSE_IS6_EEEESI_S6_NSB_4plusIvEENSB_8equal_toIvEES6_EE10hipError_tPvRmT2_T3_T4_T5_mT6_T7_P12ihipStream_tbENKUlT_T0_E_clISt17integral_constantIbLb1EES12_IbLb0EEEEDaSY_SZ_EUlSY_E_NS1_11comp_targetILNS1_3genE10ELNS1_11target_archE1201ELNS1_3gpuE5ELNS1_3repE0EEENS1_30default_config_static_selectorELNS0_4arch9wavefront6targetE1EEEvT1_, .Lfunc_end1974-_ZN7rocprim17ROCPRIM_400000_NS6detail17trampoline_kernelINS0_14default_configENS1_27scan_by_key_config_selectorIj11FixedVectorIiLj2EEEEZZNS1_16scan_by_key_implILNS1_25lookback_scan_determinismE0ELb0ES3_N6thrust23THRUST_200600_302600_NS6detail15normal_iteratorINSB_10device_ptrIjEEEENSD_INSE_IS6_EEEESI_S6_NSB_4plusIvEENSB_8equal_toIvEES6_EE10hipError_tPvRmT2_T3_T4_T5_mT6_T7_P12ihipStream_tbENKUlT_T0_E_clISt17integral_constantIbLb1EES12_IbLb0EEEEDaSY_SZ_EUlSY_E_NS1_11comp_targetILNS1_3genE10ELNS1_11target_archE1201ELNS1_3gpuE5ELNS1_3repE0EEENS1_30default_config_static_selectorELNS0_4arch9wavefront6targetE1EEEvT1_
                                        ; -- End function
	.section	.AMDGPU.csdata,"",@progbits
; Kernel info:
; codeLenInByte = 0
; NumSgprs: 4
; NumVgprs: 0
; NumAgprs: 0
; TotalNumVgprs: 0
; ScratchSize: 0
; MemoryBound: 0
; FloatMode: 240
; IeeeMode: 1
; LDSByteSize: 0 bytes/workgroup (compile time only)
; SGPRBlocks: 0
; VGPRBlocks: 0
; NumSGPRsForWavesPerEU: 4
; NumVGPRsForWavesPerEU: 1
; AccumOffset: 4
; Occupancy: 8
; WaveLimiterHint : 0
; COMPUTE_PGM_RSRC2:SCRATCH_EN: 0
; COMPUTE_PGM_RSRC2:USER_SGPR: 6
; COMPUTE_PGM_RSRC2:TRAP_HANDLER: 0
; COMPUTE_PGM_RSRC2:TGID_X_EN: 1
; COMPUTE_PGM_RSRC2:TGID_Y_EN: 0
; COMPUTE_PGM_RSRC2:TGID_Z_EN: 0
; COMPUTE_PGM_RSRC2:TIDIG_COMP_CNT: 0
; COMPUTE_PGM_RSRC3_GFX90A:ACCUM_OFFSET: 0
; COMPUTE_PGM_RSRC3_GFX90A:TG_SPLIT: 0
	.section	.text._ZN7rocprim17ROCPRIM_400000_NS6detail17trampoline_kernelINS0_14default_configENS1_27scan_by_key_config_selectorIj11FixedVectorIiLj2EEEEZZNS1_16scan_by_key_implILNS1_25lookback_scan_determinismE0ELb0ES3_N6thrust23THRUST_200600_302600_NS6detail15normal_iteratorINSB_10device_ptrIjEEEENSD_INSE_IS6_EEEESI_S6_NSB_4plusIvEENSB_8equal_toIvEES6_EE10hipError_tPvRmT2_T3_T4_T5_mT6_T7_P12ihipStream_tbENKUlT_T0_E_clISt17integral_constantIbLb1EES12_IbLb0EEEEDaSY_SZ_EUlSY_E_NS1_11comp_targetILNS1_3genE5ELNS1_11target_archE942ELNS1_3gpuE9ELNS1_3repE0EEENS1_30default_config_static_selectorELNS0_4arch9wavefront6targetE1EEEvT1_,"axG",@progbits,_ZN7rocprim17ROCPRIM_400000_NS6detail17trampoline_kernelINS0_14default_configENS1_27scan_by_key_config_selectorIj11FixedVectorIiLj2EEEEZZNS1_16scan_by_key_implILNS1_25lookback_scan_determinismE0ELb0ES3_N6thrust23THRUST_200600_302600_NS6detail15normal_iteratorINSB_10device_ptrIjEEEENSD_INSE_IS6_EEEESI_S6_NSB_4plusIvEENSB_8equal_toIvEES6_EE10hipError_tPvRmT2_T3_T4_T5_mT6_T7_P12ihipStream_tbENKUlT_T0_E_clISt17integral_constantIbLb1EES12_IbLb0EEEEDaSY_SZ_EUlSY_E_NS1_11comp_targetILNS1_3genE5ELNS1_11target_archE942ELNS1_3gpuE9ELNS1_3repE0EEENS1_30default_config_static_selectorELNS0_4arch9wavefront6targetE1EEEvT1_,comdat
	.protected	_ZN7rocprim17ROCPRIM_400000_NS6detail17trampoline_kernelINS0_14default_configENS1_27scan_by_key_config_selectorIj11FixedVectorIiLj2EEEEZZNS1_16scan_by_key_implILNS1_25lookback_scan_determinismE0ELb0ES3_N6thrust23THRUST_200600_302600_NS6detail15normal_iteratorINSB_10device_ptrIjEEEENSD_INSE_IS6_EEEESI_S6_NSB_4plusIvEENSB_8equal_toIvEES6_EE10hipError_tPvRmT2_T3_T4_T5_mT6_T7_P12ihipStream_tbENKUlT_T0_E_clISt17integral_constantIbLb1EES12_IbLb0EEEEDaSY_SZ_EUlSY_E_NS1_11comp_targetILNS1_3genE5ELNS1_11target_archE942ELNS1_3gpuE9ELNS1_3repE0EEENS1_30default_config_static_selectorELNS0_4arch9wavefront6targetE1EEEvT1_ ; -- Begin function _ZN7rocprim17ROCPRIM_400000_NS6detail17trampoline_kernelINS0_14default_configENS1_27scan_by_key_config_selectorIj11FixedVectorIiLj2EEEEZZNS1_16scan_by_key_implILNS1_25lookback_scan_determinismE0ELb0ES3_N6thrust23THRUST_200600_302600_NS6detail15normal_iteratorINSB_10device_ptrIjEEEENSD_INSE_IS6_EEEESI_S6_NSB_4plusIvEENSB_8equal_toIvEES6_EE10hipError_tPvRmT2_T3_T4_T5_mT6_T7_P12ihipStream_tbENKUlT_T0_E_clISt17integral_constantIbLb1EES12_IbLb0EEEEDaSY_SZ_EUlSY_E_NS1_11comp_targetILNS1_3genE5ELNS1_11target_archE942ELNS1_3gpuE9ELNS1_3repE0EEENS1_30default_config_static_selectorELNS0_4arch9wavefront6targetE1EEEvT1_
	.globl	_ZN7rocprim17ROCPRIM_400000_NS6detail17trampoline_kernelINS0_14default_configENS1_27scan_by_key_config_selectorIj11FixedVectorIiLj2EEEEZZNS1_16scan_by_key_implILNS1_25lookback_scan_determinismE0ELb0ES3_N6thrust23THRUST_200600_302600_NS6detail15normal_iteratorINSB_10device_ptrIjEEEENSD_INSE_IS6_EEEESI_S6_NSB_4plusIvEENSB_8equal_toIvEES6_EE10hipError_tPvRmT2_T3_T4_T5_mT6_T7_P12ihipStream_tbENKUlT_T0_E_clISt17integral_constantIbLb1EES12_IbLb0EEEEDaSY_SZ_EUlSY_E_NS1_11comp_targetILNS1_3genE5ELNS1_11target_archE942ELNS1_3gpuE9ELNS1_3repE0EEENS1_30default_config_static_selectorELNS0_4arch9wavefront6targetE1EEEvT1_
	.p2align	8
	.type	_ZN7rocprim17ROCPRIM_400000_NS6detail17trampoline_kernelINS0_14default_configENS1_27scan_by_key_config_selectorIj11FixedVectorIiLj2EEEEZZNS1_16scan_by_key_implILNS1_25lookback_scan_determinismE0ELb0ES3_N6thrust23THRUST_200600_302600_NS6detail15normal_iteratorINSB_10device_ptrIjEEEENSD_INSE_IS6_EEEESI_S6_NSB_4plusIvEENSB_8equal_toIvEES6_EE10hipError_tPvRmT2_T3_T4_T5_mT6_T7_P12ihipStream_tbENKUlT_T0_E_clISt17integral_constantIbLb1EES12_IbLb0EEEEDaSY_SZ_EUlSY_E_NS1_11comp_targetILNS1_3genE5ELNS1_11target_archE942ELNS1_3gpuE9ELNS1_3repE0EEENS1_30default_config_static_selectorELNS0_4arch9wavefront6targetE1EEEvT1_,@function
_ZN7rocprim17ROCPRIM_400000_NS6detail17trampoline_kernelINS0_14default_configENS1_27scan_by_key_config_selectorIj11FixedVectorIiLj2EEEEZZNS1_16scan_by_key_implILNS1_25lookback_scan_determinismE0ELb0ES3_N6thrust23THRUST_200600_302600_NS6detail15normal_iteratorINSB_10device_ptrIjEEEENSD_INSE_IS6_EEEESI_S6_NSB_4plusIvEENSB_8equal_toIvEES6_EE10hipError_tPvRmT2_T3_T4_T5_mT6_T7_P12ihipStream_tbENKUlT_T0_E_clISt17integral_constantIbLb1EES12_IbLb0EEEEDaSY_SZ_EUlSY_E_NS1_11comp_targetILNS1_3genE5ELNS1_11target_archE942ELNS1_3gpuE9ELNS1_3repE0EEENS1_30default_config_static_selectorELNS0_4arch9wavefront6targetE1EEEvT1_: ; @_ZN7rocprim17ROCPRIM_400000_NS6detail17trampoline_kernelINS0_14default_configENS1_27scan_by_key_config_selectorIj11FixedVectorIiLj2EEEEZZNS1_16scan_by_key_implILNS1_25lookback_scan_determinismE0ELb0ES3_N6thrust23THRUST_200600_302600_NS6detail15normal_iteratorINSB_10device_ptrIjEEEENSD_INSE_IS6_EEEESI_S6_NSB_4plusIvEENSB_8equal_toIvEES6_EE10hipError_tPvRmT2_T3_T4_T5_mT6_T7_P12ihipStream_tbENKUlT_T0_E_clISt17integral_constantIbLb1EES12_IbLb0EEEEDaSY_SZ_EUlSY_E_NS1_11comp_targetILNS1_3genE5ELNS1_11target_archE942ELNS1_3gpuE9ELNS1_3repE0EEENS1_30default_config_static_selectorELNS0_4arch9wavefront6targetE1EEEvT1_
; %bb.0:
	.section	.rodata,"a",@progbits
	.p2align	6, 0x0
	.amdhsa_kernel _ZN7rocprim17ROCPRIM_400000_NS6detail17trampoline_kernelINS0_14default_configENS1_27scan_by_key_config_selectorIj11FixedVectorIiLj2EEEEZZNS1_16scan_by_key_implILNS1_25lookback_scan_determinismE0ELb0ES3_N6thrust23THRUST_200600_302600_NS6detail15normal_iteratorINSB_10device_ptrIjEEEENSD_INSE_IS6_EEEESI_S6_NSB_4plusIvEENSB_8equal_toIvEES6_EE10hipError_tPvRmT2_T3_T4_T5_mT6_T7_P12ihipStream_tbENKUlT_T0_E_clISt17integral_constantIbLb1EES12_IbLb0EEEEDaSY_SZ_EUlSY_E_NS1_11comp_targetILNS1_3genE5ELNS1_11target_archE942ELNS1_3gpuE9ELNS1_3repE0EEENS1_30default_config_static_selectorELNS0_4arch9wavefront6targetE1EEEvT1_
		.amdhsa_group_segment_fixed_size 0
		.amdhsa_private_segment_fixed_size 0
		.amdhsa_kernarg_size 120
		.amdhsa_user_sgpr_count 6
		.amdhsa_user_sgpr_private_segment_buffer 1
		.amdhsa_user_sgpr_dispatch_ptr 0
		.amdhsa_user_sgpr_queue_ptr 0
		.amdhsa_user_sgpr_kernarg_segment_ptr 1
		.amdhsa_user_sgpr_dispatch_id 0
		.amdhsa_user_sgpr_flat_scratch_init 0
		.amdhsa_user_sgpr_kernarg_preload_length 0
		.amdhsa_user_sgpr_kernarg_preload_offset 0
		.amdhsa_user_sgpr_private_segment_size 0
		.amdhsa_uses_dynamic_stack 0
		.amdhsa_system_sgpr_private_segment_wavefront_offset 0
		.amdhsa_system_sgpr_workgroup_id_x 1
		.amdhsa_system_sgpr_workgroup_id_y 0
		.amdhsa_system_sgpr_workgroup_id_z 0
		.amdhsa_system_sgpr_workgroup_info 0
		.amdhsa_system_vgpr_workitem_id 0
		.amdhsa_next_free_vgpr 1
		.amdhsa_next_free_sgpr 0
		.amdhsa_accum_offset 4
		.amdhsa_reserve_vcc 0
		.amdhsa_reserve_flat_scratch 0
		.amdhsa_float_round_mode_32 0
		.amdhsa_float_round_mode_16_64 0
		.amdhsa_float_denorm_mode_32 3
		.amdhsa_float_denorm_mode_16_64 3
		.amdhsa_dx10_clamp 1
		.amdhsa_ieee_mode 1
		.amdhsa_fp16_overflow 0
		.amdhsa_tg_split 0
		.amdhsa_exception_fp_ieee_invalid_op 0
		.amdhsa_exception_fp_denorm_src 0
		.amdhsa_exception_fp_ieee_div_zero 0
		.amdhsa_exception_fp_ieee_overflow 0
		.amdhsa_exception_fp_ieee_underflow 0
		.amdhsa_exception_fp_ieee_inexact 0
		.amdhsa_exception_int_div_zero 0
	.end_amdhsa_kernel
	.section	.text._ZN7rocprim17ROCPRIM_400000_NS6detail17trampoline_kernelINS0_14default_configENS1_27scan_by_key_config_selectorIj11FixedVectorIiLj2EEEEZZNS1_16scan_by_key_implILNS1_25lookback_scan_determinismE0ELb0ES3_N6thrust23THRUST_200600_302600_NS6detail15normal_iteratorINSB_10device_ptrIjEEEENSD_INSE_IS6_EEEESI_S6_NSB_4plusIvEENSB_8equal_toIvEES6_EE10hipError_tPvRmT2_T3_T4_T5_mT6_T7_P12ihipStream_tbENKUlT_T0_E_clISt17integral_constantIbLb1EES12_IbLb0EEEEDaSY_SZ_EUlSY_E_NS1_11comp_targetILNS1_3genE5ELNS1_11target_archE942ELNS1_3gpuE9ELNS1_3repE0EEENS1_30default_config_static_selectorELNS0_4arch9wavefront6targetE1EEEvT1_,"axG",@progbits,_ZN7rocprim17ROCPRIM_400000_NS6detail17trampoline_kernelINS0_14default_configENS1_27scan_by_key_config_selectorIj11FixedVectorIiLj2EEEEZZNS1_16scan_by_key_implILNS1_25lookback_scan_determinismE0ELb0ES3_N6thrust23THRUST_200600_302600_NS6detail15normal_iteratorINSB_10device_ptrIjEEEENSD_INSE_IS6_EEEESI_S6_NSB_4plusIvEENSB_8equal_toIvEES6_EE10hipError_tPvRmT2_T3_T4_T5_mT6_T7_P12ihipStream_tbENKUlT_T0_E_clISt17integral_constantIbLb1EES12_IbLb0EEEEDaSY_SZ_EUlSY_E_NS1_11comp_targetILNS1_3genE5ELNS1_11target_archE942ELNS1_3gpuE9ELNS1_3repE0EEENS1_30default_config_static_selectorELNS0_4arch9wavefront6targetE1EEEvT1_,comdat
.Lfunc_end1975:
	.size	_ZN7rocprim17ROCPRIM_400000_NS6detail17trampoline_kernelINS0_14default_configENS1_27scan_by_key_config_selectorIj11FixedVectorIiLj2EEEEZZNS1_16scan_by_key_implILNS1_25lookback_scan_determinismE0ELb0ES3_N6thrust23THRUST_200600_302600_NS6detail15normal_iteratorINSB_10device_ptrIjEEEENSD_INSE_IS6_EEEESI_S6_NSB_4plusIvEENSB_8equal_toIvEES6_EE10hipError_tPvRmT2_T3_T4_T5_mT6_T7_P12ihipStream_tbENKUlT_T0_E_clISt17integral_constantIbLb1EES12_IbLb0EEEEDaSY_SZ_EUlSY_E_NS1_11comp_targetILNS1_3genE5ELNS1_11target_archE942ELNS1_3gpuE9ELNS1_3repE0EEENS1_30default_config_static_selectorELNS0_4arch9wavefront6targetE1EEEvT1_, .Lfunc_end1975-_ZN7rocprim17ROCPRIM_400000_NS6detail17trampoline_kernelINS0_14default_configENS1_27scan_by_key_config_selectorIj11FixedVectorIiLj2EEEEZZNS1_16scan_by_key_implILNS1_25lookback_scan_determinismE0ELb0ES3_N6thrust23THRUST_200600_302600_NS6detail15normal_iteratorINSB_10device_ptrIjEEEENSD_INSE_IS6_EEEESI_S6_NSB_4plusIvEENSB_8equal_toIvEES6_EE10hipError_tPvRmT2_T3_T4_T5_mT6_T7_P12ihipStream_tbENKUlT_T0_E_clISt17integral_constantIbLb1EES12_IbLb0EEEEDaSY_SZ_EUlSY_E_NS1_11comp_targetILNS1_3genE5ELNS1_11target_archE942ELNS1_3gpuE9ELNS1_3repE0EEENS1_30default_config_static_selectorELNS0_4arch9wavefront6targetE1EEEvT1_
                                        ; -- End function
	.section	.AMDGPU.csdata,"",@progbits
; Kernel info:
; codeLenInByte = 0
; NumSgprs: 4
; NumVgprs: 0
; NumAgprs: 0
; TotalNumVgprs: 0
; ScratchSize: 0
; MemoryBound: 0
; FloatMode: 240
; IeeeMode: 1
; LDSByteSize: 0 bytes/workgroup (compile time only)
; SGPRBlocks: 0
; VGPRBlocks: 0
; NumSGPRsForWavesPerEU: 4
; NumVGPRsForWavesPerEU: 1
; AccumOffset: 4
; Occupancy: 8
; WaveLimiterHint : 0
; COMPUTE_PGM_RSRC2:SCRATCH_EN: 0
; COMPUTE_PGM_RSRC2:USER_SGPR: 6
; COMPUTE_PGM_RSRC2:TRAP_HANDLER: 0
; COMPUTE_PGM_RSRC2:TGID_X_EN: 1
; COMPUTE_PGM_RSRC2:TGID_Y_EN: 0
; COMPUTE_PGM_RSRC2:TGID_Z_EN: 0
; COMPUTE_PGM_RSRC2:TIDIG_COMP_CNT: 0
; COMPUTE_PGM_RSRC3_GFX90A:ACCUM_OFFSET: 0
; COMPUTE_PGM_RSRC3_GFX90A:TG_SPLIT: 0
	.section	.text._ZN7rocprim17ROCPRIM_400000_NS6detail17trampoline_kernelINS0_14default_configENS1_27scan_by_key_config_selectorIj11FixedVectorIiLj2EEEEZZNS1_16scan_by_key_implILNS1_25lookback_scan_determinismE0ELb0ES3_N6thrust23THRUST_200600_302600_NS6detail15normal_iteratorINSB_10device_ptrIjEEEENSD_INSE_IS6_EEEESI_S6_NSB_4plusIvEENSB_8equal_toIvEES6_EE10hipError_tPvRmT2_T3_T4_T5_mT6_T7_P12ihipStream_tbENKUlT_T0_E_clISt17integral_constantIbLb1EES12_IbLb0EEEEDaSY_SZ_EUlSY_E_NS1_11comp_targetILNS1_3genE4ELNS1_11target_archE910ELNS1_3gpuE8ELNS1_3repE0EEENS1_30default_config_static_selectorELNS0_4arch9wavefront6targetE1EEEvT1_,"axG",@progbits,_ZN7rocprim17ROCPRIM_400000_NS6detail17trampoline_kernelINS0_14default_configENS1_27scan_by_key_config_selectorIj11FixedVectorIiLj2EEEEZZNS1_16scan_by_key_implILNS1_25lookback_scan_determinismE0ELb0ES3_N6thrust23THRUST_200600_302600_NS6detail15normal_iteratorINSB_10device_ptrIjEEEENSD_INSE_IS6_EEEESI_S6_NSB_4plusIvEENSB_8equal_toIvEES6_EE10hipError_tPvRmT2_T3_T4_T5_mT6_T7_P12ihipStream_tbENKUlT_T0_E_clISt17integral_constantIbLb1EES12_IbLb0EEEEDaSY_SZ_EUlSY_E_NS1_11comp_targetILNS1_3genE4ELNS1_11target_archE910ELNS1_3gpuE8ELNS1_3repE0EEENS1_30default_config_static_selectorELNS0_4arch9wavefront6targetE1EEEvT1_,comdat
	.protected	_ZN7rocprim17ROCPRIM_400000_NS6detail17trampoline_kernelINS0_14default_configENS1_27scan_by_key_config_selectorIj11FixedVectorIiLj2EEEEZZNS1_16scan_by_key_implILNS1_25lookback_scan_determinismE0ELb0ES3_N6thrust23THRUST_200600_302600_NS6detail15normal_iteratorINSB_10device_ptrIjEEEENSD_INSE_IS6_EEEESI_S6_NSB_4plusIvEENSB_8equal_toIvEES6_EE10hipError_tPvRmT2_T3_T4_T5_mT6_T7_P12ihipStream_tbENKUlT_T0_E_clISt17integral_constantIbLb1EES12_IbLb0EEEEDaSY_SZ_EUlSY_E_NS1_11comp_targetILNS1_3genE4ELNS1_11target_archE910ELNS1_3gpuE8ELNS1_3repE0EEENS1_30default_config_static_selectorELNS0_4arch9wavefront6targetE1EEEvT1_ ; -- Begin function _ZN7rocprim17ROCPRIM_400000_NS6detail17trampoline_kernelINS0_14default_configENS1_27scan_by_key_config_selectorIj11FixedVectorIiLj2EEEEZZNS1_16scan_by_key_implILNS1_25lookback_scan_determinismE0ELb0ES3_N6thrust23THRUST_200600_302600_NS6detail15normal_iteratorINSB_10device_ptrIjEEEENSD_INSE_IS6_EEEESI_S6_NSB_4plusIvEENSB_8equal_toIvEES6_EE10hipError_tPvRmT2_T3_T4_T5_mT6_T7_P12ihipStream_tbENKUlT_T0_E_clISt17integral_constantIbLb1EES12_IbLb0EEEEDaSY_SZ_EUlSY_E_NS1_11comp_targetILNS1_3genE4ELNS1_11target_archE910ELNS1_3gpuE8ELNS1_3repE0EEENS1_30default_config_static_selectorELNS0_4arch9wavefront6targetE1EEEvT1_
	.globl	_ZN7rocprim17ROCPRIM_400000_NS6detail17trampoline_kernelINS0_14default_configENS1_27scan_by_key_config_selectorIj11FixedVectorIiLj2EEEEZZNS1_16scan_by_key_implILNS1_25lookback_scan_determinismE0ELb0ES3_N6thrust23THRUST_200600_302600_NS6detail15normal_iteratorINSB_10device_ptrIjEEEENSD_INSE_IS6_EEEESI_S6_NSB_4plusIvEENSB_8equal_toIvEES6_EE10hipError_tPvRmT2_T3_T4_T5_mT6_T7_P12ihipStream_tbENKUlT_T0_E_clISt17integral_constantIbLb1EES12_IbLb0EEEEDaSY_SZ_EUlSY_E_NS1_11comp_targetILNS1_3genE4ELNS1_11target_archE910ELNS1_3gpuE8ELNS1_3repE0EEENS1_30default_config_static_selectorELNS0_4arch9wavefront6targetE1EEEvT1_
	.p2align	8
	.type	_ZN7rocprim17ROCPRIM_400000_NS6detail17trampoline_kernelINS0_14default_configENS1_27scan_by_key_config_selectorIj11FixedVectorIiLj2EEEEZZNS1_16scan_by_key_implILNS1_25lookback_scan_determinismE0ELb0ES3_N6thrust23THRUST_200600_302600_NS6detail15normal_iteratorINSB_10device_ptrIjEEEENSD_INSE_IS6_EEEESI_S6_NSB_4plusIvEENSB_8equal_toIvEES6_EE10hipError_tPvRmT2_T3_T4_T5_mT6_T7_P12ihipStream_tbENKUlT_T0_E_clISt17integral_constantIbLb1EES12_IbLb0EEEEDaSY_SZ_EUlSY_E_NS1_11comp_targetILNS1_3genE4ELNS1_11target_archE910ELNS1_3gpuE8ELNS1_3repE0EEENS1_30default_config_static_selectorELNS0_4arch9wavefront6targetE1EEEvT1_,@function
_ZN7rocprim17ROCPRIM_400000_NS6detail17trampoline_kernelINS0_14default_configENS1_27scan_by_key_config_selectorIj11FixedVectorIiLj2EEEEZZNS1_16scan_by_key_implILNS1_25lookback_scan_determinismE0ELb0ES3_N6thrust23THRUST_200600_302600_NS6detail15normal_iteratorINSB_10device_ptrIjEEEENSD_INSE_IS6_EEEESI_S6_NSB_4plusIvEENSB_8equal_toIvEES6_EE10hipError_tPvRmT2_T3_T4_T5_mT6_T7_P12ihipStream_tbENKUlT_T0_E_clISt17integral_constantIbLb1EES12_IbLb0EEEEDaSY_SZ_EUlSY_E_NS1_11comp_targetILNS1_3genE4ELNS1_11target_archE910ELNS1_3gpuE8ELNS1_3repE0EEENS1_30default_config_static_selectorELNS0_4arch9wavefront6targetE1EEEvT1_: ; @_ZN7rocprim17ROCPRIM_400000_NS6detail17trampoline_kernelINS0_14default_configENS1_27scan_by_key_config_selectorIj11FixedVectorIiLj2EEEEZZNS1_16scan_by_key_implILNS1_25lookback_scan_determinismE0ELb0ES3_N6thrust23THRUST_200600_302600_NS6detail15normal_iteratorINSB_10device_ptrIjEEEENSD_INSE_IS6_EEEESI_S6_NSB_4plusIvEENSB_8equal_toIvEES6_EE10hipError_tPvRmT2_T3_T4_T5_mT6_T7_P12ihipStream_tbENKUlT_T0_E_clISt17integral_constantIbLb1EES12_IbLb0EEEEDaSY_SZ_EUlSY_E_NS1_11comp_targetILNS1_3genE4ELNS1_11target_archE910ELNS1_3gpuE8ELNS1_3repE0EEENS1_30default_config_static_selectorELNS0_4arch9wavefront6targetE1EEEvT1_
; %bb.0:
	s_load_dwordx8 s[80:87], s[4:5], 0x0
	s_load_dwordx4 s[88:91], s[4:5], 0x30
	s_load_dwordx2 s[94:95], s[4:5], 0x40
	s_load_dword s2, s[4:5], 0x48
	s_load_dwordx8 s[16:23], s[4:5], 0x50
	s_waitcnt lgkmcnt(0)
	s_lshl_b64 s[0:1], s[82:83], 2
	s_add_u32 s7, s80, s0
	s_addc_u32 s8, s81, s1
	s_lshl_b64 s[92:93], s[82:83], 3
	s_add_u32 s9, s84, s92
	s_mul_i32 s0, s95, s2
	s_mul_hi_u32 s1, s94, s2
	s_addc_u32 s10, s85, s93
	s_add_i32 s11, s1, s0
	s_cmp_lg_u64 s[20:21], 0
	s_mul_i32 s0, s6, 0x540
	s_mov_b32 s1, 0
	s_mul_i32 s12, s94, s2
	s_cselect_b64 s[50:51], -1, 0
	s_lshl_b64 s[2:3], s[0:1], 2
	s_add_u32 s48, s7, s2
	s_addc_u32 s49, s8, s3
	s_lshl_b64 s[84:85], s[0:1], 3
	s_add_u32 s7, s9, s84
	s_addc_u32 s60, s10, s85
	s_add_u32 s52, s12, s6
	s_addc_u32 s53, s11, 0
	s_mov_b64 s[14:15], s[18:19]
	s_mov_b64 s[18:19], s[22:23]
                                        ; implicit-def: $vgpr134 : SGPR spill to VGPR lane
	s_add_u32 s2, s16, -1
	v_writelane_b32 v134, s12, 0
	v_writelane_b32 v134, s13, 1
	;; [unrolled: 1-line block ×4, first 2 shown]
	s_addc_u32 s3, s17, -1
	v_writelane_b32 v134, s16, 4
	v_pk_mov_b32 v[2:3], s[2:3], s[2:3] op_sel:[0,1]
	v_writelane_b32 v134, s17, 5
	v_cmp_ge_u64_e64 s[0:1], s[52:53], v[2:3]
	s_mov_b64 s[4:5], 0
	s_mov_b64 s[10:11], -1
	v_writelane_b32 v134, s18, 6
	s_and_b64 vcc, exec, s[0:1]
	s_mul_i32 s33, s2, 0xfffffac0
	s_waitcnt lgkmcnt(0)
	; wave barrier
	v_writelane_b32 v134, s19, 7
	s_cbranch_vccz .LBB1976_130
; %bb.1:
	v_pk_mov_b32 v[2:3], s[48:49], s[48:49] op_sel:[0,1]
	flat_load_dword v2, v[2:3]
	s_add_i32 s62, s33, s90
	v_cmp_gt_u32_e64 s[2:3], s62, v0
	s_waitcnt vmcnt(0) lgkmcnt(0)
	v_mov_b32_e32 v3, v2
	s_and_saveexec_b64 s[4:5], s[2:3]
	s_cbranch_execz .LBB1976_3
; %bb.2:
	v_lshlrev_b32_e32 v1, 2, v0
	v_mov_b32_e32 v3, s49
	v_add_co_u32_e32 v4, vcc, s48, v1
	v_addc_co_u32_e32 v5, vcc, 0, v3, vcc
	flat_load_dword v3, v[4:5]
.LBB1976_3:
	s_or_b64 exec, exec, s[4:5]
	v_or_b32_e32 v1, 64, v0
	v_cmp_gt_u32_e64 s[4:5], s62, v1
	v_mov_b32_e32 v4, v2
	s_and_saveexec_b64 s[8:9], s[4:5]
	s_cbranch_execz .LBB1976_5
; %bb.4:
	v_lshlrev_b32_e32 v1, 2, v0
	v_mov_b32_e32 v5, s49
	v_add_co_u32_e32 v4, vcc, s48, v1
	v_addc_co_u32_e32 v5, vcc, 0, v5, vcc
	flat_load_dword v4, v[4:5] offset:256
.LBB1976_5:
	s_or_b64 exec, exec, s[8:9]
	v_or_b32_e32 v1, 0x80, v0
	v_cmp_gt_u32_e64 s[46:47], s62, v1
	v_mov_b32_e32 v5, v2
	s_and_saveexec_b64 s[8:9], s[46:47]
	s_cbranch_execz .LBB1976_7
; %bb.6:
	v_lshlrev_b32_e32 v1, 2, v0
	v_mov_b32_e32 v5, s49
	v_add_co_u32_e32 v6, vcc, s48, v1
	v_addc_co_u32_e32 v7, vcc, 0, v5, vcc
	flat_load_dword v5, v[6:7] offset:512
.LBB1976_7:
	;; [unrolled: 13-line block ×15, first 2 shown]
	s_or_b64 exec, exec, s[36:37]
	v_or_b32_e32 v58, 0x400, v0
	v_cmp_gt_u32_e64 s[36:37], s62, v58
	v_mov_b32_e32 v19, v2
	s_and_saveexec_b64 s[38:39], s[36:37]
	s_cbranch_execz .LBB1976_35
; %bb.34:
	v_lshlrev_b32_e32 v19, 2, v58
	v_mov_b32_e32 v21, s49
	v_add_co_u32_e32 v20, vcc, s48, v19
	v_addc_co_u32_e32 v21, vcc, 0, v21, vcc
	flat_load_dword v19, v[20:21]
.LBB1976_35:
	s_or_b64 exec, exec, s[38:39]
	v_or_b32_e32 v59, 0x440, v0
	v_cmp_gt_u32_e64 s[38:39], s62, v59
	v_mov_b32_e32 v20, v2
	s_and_saveexec_b64 s[40:41], s[38:39]
	s_cbranch_execz .LBB1976_37
; %bb.36:
	v_lshlrev_b32_e32 v20, 2, v59
	v_mov_b32_e32 v21, s49
	v_add_co_u32_e32 v20, vcc, s48, v20
	v_addc_co_u32_e32 v21, vcc, 0, v21, vcc
	flat_load_dword v20, v[20:21]
.LBB1976_37:
	s_or_b64 exec, exec, s[40:41]
	v_or_b32_e32 v62, 0x480, v0
	v_cmp_gt_u32_e64 s[40:41], s62, v62
	v_mov_b32_e32 v21, v2
	s_and_saveexec_b64 s[42:43], s[40:41]
	s_cbranch_execz .LBB1976_39
; %bb.38:
	v_lshlrev_b32_e32 v21, 2, v62
	v_mov_b32_e32 v23, s49
	v_add_co_u32_e32 v22, vcc, s48, v21
	v_addc_co_u32_e32 v23, vcc, 0, v23, vcc
	flat_load_dword v21, v[22:23]
.LBB1976_39:
	s_or_b64 exec, exec, s[42:43]
	v_or_b32_e32 v63, 0x4c0, v0
	v_cmp_gt_u32_e64 s[42:43], s62, v63
	v_mov_b32_e32 v22, v2
	s_and_saveexec_b64 s[44:45], s[42:43]
	s_cbranch_execz .LBB1976_41
; %bb.40:
	v_lshlrev_b32_e32 v22, 2, v63
	v_mov_b32_e32 v23, s49
	v_add_co_u32_e32 v22, vcc, s48, v22
	v_addc_co_u32_e32 v23, vcc, 0, v23, vcc
	flat_load_dword v22, v[22:23]
.LBB1976_41:
	s_or_b64 exec, exec, s[44:45]
	v_or_b32_e32 v65, 0x500, v0
	v_cmp_gt_u32_e64 s[44:45], s62, v65
	s_and_saveexec_b64 s[54:55], s[44:45]
	s_cbranch_execz .LBB1976_43
; %bb.42:
	v_lshlrev_b32_e32 v2, 2, v65
	v_mov_b32_e32 v23, s49
	v_add_co_u32_e32 v24, vcc, s48, v2
	v_addc_co_u32_e32 v25, vcc, 0, v23, vcc
	flat_load_dword v2, v[24:25]
.LBB1976_43:
	s_or_b64 exec, exec, s[54:55]
	v_lshlrev_b32_e32 v23, 2, v0
	s_movk_i32 s54, 0x50
	s_waitcnt vmcnt(0) lgkmcnt(0)
	ds_write2st64_b32 v23, v3, v4 offset1:1
	ds_write2st64_b32 v23, v5, v6 offset0:2 offset1:3
	ds_write2st64_b32 v23, v7, v8 offset0:4 offset1:5
	;; [unrolled: 1-line block ×9, first 2 shown]
	ds_write_b32 v23, v2 offset:5120
	v_mad_u32_u24 v2, v0, s54, v23
	s_waitcnt lgkmcnt(0)
	; wave barrier
	s_waitcnt lgkmcnt(0)
	ds_read2_b32 v[20:21], v2 offset0:7 offset1:8
	ds_read2_b32 v[24:25], v2 offset0:5 offset1:6
	;; [unrolled: 1-line block ×3, first 2 shown]
	ds_read2_b32 v[16:17], v2 offset1:1
	ds_read2_b32 v[32:33], v2 offset0:4 offset1:9
	ds_read2_b32 v[28:29], v2 offset0:15 offset1:16
	ds_read_b32 v64, v2 offset:56
	ds_read2_b32 v[40:41], v2 offset0:12 offset1:13
	ds_read2_b32 v[44:45], v2 offset0:10 offset1:11
	;; [unrolled: 1-line block ×4, first 2 shown]
	s_cmp_eq_u64 s[52:53], 0
	s_mov_b64 s[54:55], s[48:49]
	s_cbranch_scc1 .LBB1976_47
; %bb.44:
	s_andn2_b64 vcc, exec, s[50:51]
	s_cbranch_vccnz .LBB1976_317
; %bb.45:
	v_readlane_b32 s64, v134, 0
	s_lshl_b64 s[54:55], s[52:53], 2
	v_readlane_b32 s70, v134, 6
	v_readlane_b32 s71, v134, 7
	s_add_u32 s54, s70, s54
	s_addc_u32 s55, s71, s55
	s_add_u32 s54, s54, -4
	s_addc_u32 s55, s55, -1
	v_readlane_b32 s65, v134, 1
	v_readlane_b32 s66, v134, 2
	;; [unrolled: 1-line block ×5, first 2 shown]
	s_cbranch_execnz .LBB1976_47
.LBB1976_46:
	s_add_u32 s54, s48, -4
	s_addc_u32 s55, s49, -1
.LBB1976_47:
	v_pk_mov_b32 v[6:7], s[54:55], s[54:55] op_sel:[0,1]
	flat_load_dword v66, v[6:7]
	s_movk_i32 s54, 0xffb0
	v_mad_i32_i24 v67, v0, s54, v2
	v_cmp_ne_u32_e32 vcc, 0, v0
	s_waitcnt lgkmcnt(0)
	ds_write_b32 v67, v5 offset:5376
	s_waitcnt lgkmcnt(0)
	; wave barrier
	s_waitcnt lgkmcnt(0)
	s_and_saveexec_b64 s[54:55], vcc
	s_cbranch_execz .LBB1976_49
; %bb.48:
	s_waitcnt vmcnt(0)
	ds_read_b32 v66, v67 offset:5372
.LBB1976_49:
	s_or_b64 exec, exec, s[54:55]
	v_pk_mov_b32 v[2:3], 0, 0
	v_pk_mov_b32 v[6:7], v[2:3], v[2:3] op_sel:[0,1]
	s_waitcnt lgkmcnt(0)
	; wave barrier
	s_waitcnt lgkmcnt(0)
	s_and_saveexec_b64 s[54:55], s[2:3]
	s_cbranch_execz .LBB1976_51
; %bb.50:
	v_lshlrev_b32_e32 v6, 3, v0
	v_mov_b32_e32 v7, s60
	v_add_co_u32_e32 v6, vcc, s7, v6
	v_addc_co_u32_e32 v7, vcc, 0, v7, vcc
	flat_load_dwordx2 v[6:7], v[6:7]
.LBB1976_51:
	s_or_b64 exec, exec, s[54:55]
	s_and_saveexec_b64 s[2:3], s[4:5]
	s_cbranch_execz .LBB1976_53
; %bb.52:
	v_lshlrev_b32_e32 v2, 3, v0
	v_mov_b32_e32 v3, s60
	v_add_co_u32_e32 v2, vcc, s7, v2
	v_addc_co_u32_e32 v3, vcc, 0, v3, vcc
	flat_load_dwordx2 v[2:3], v[2:3] offset:512
.LBB1976_53:
	s_or_b64 exec, exec, s[2:3]
	v_pk_mov_b32 v[8:9], 0, 0
	v_pk_mov_b32 v[10:11], v[8:9], v[8:9] op_sel:[0,1]
	s_and_saveexec_b64 s[2:3], s[46:47]
	s_cbranch_execz .LBB1976_55
; %bb.54:
	v_lshlrev_b32_e32 v10, 3, v0
	v_mov_b32_e32 v11, s60
	v_add_co_u32_e32 v10, vcc, s7, v10
	v_addc_co_u32_e32 v11, vcc, 0, v11, vcc
	flat_load_dwordx2 v[10:11], v[10:11] offset:1024
.LBB1976_55:
	s_or_b64 exec, exec, s[2:3]
	s_and_saveexec_b64 s[2:3], s[8:9]
	s_cbranch_execz .LBB1976_57
; %bb.56:
	v_lshlrev_b32_e32 v8, 3, v0
	v_mov_b32_e32 v9, s60
	v_add_co_u32_e32 v8, vcc, s7, v8
	v_addc_co_u32_e32 v9, vcc, 0, v9, vcc
	flat_load_dwordx2 v[8:9], v[8:9] offset:1536
.LBB1976_57:
	s_or_b64 exec, exec, s[2:3]
	v_pk_mov_b32 v[14:15], 0, 0
	v_pk_mov_b32 v[18:19], v[14:15], v[14:15] op_sel:[0,1]
	s_and_saveexec_b64 s[2:3], s[10:11]
	s_cbranch_execz .LBB1976_59
; %bb.58:
	v_lshlrev_b32_e32 v18, 3, v0
	v_mov_b32_e32 v19, s60
	v_add_co_u32_e32 v18, vcc, s7, v18
	v_addc_co_u32_e32 v19, vcc, 0, v19, vcc
	flat_load_dwordx2 v[18:19], v[18:19] offset:2048
.LBB1976_59:
	;; [unrolled: 22-line block ×3, first 2 shown]
	s_or_b64 exec, exec, s[2:3]
	s_and_saveexec_b64 s[2:3], s[16:17]
	s_cbranch_execz .LBB1976_65
; %bb.64:
	v_lshlrev_b32_e32 v22, 3, v0
	v_mov_b32_e32 v23, s60
	v_add_co_u32_e32 v22, vcc, s7, v22
	v_addc_co_u32_e32 v23, vcc, 0, v23, vcc
	flat_load_dwordx2 v[22:23], v[22:23] offset:3584
.LBB1976_65:
	s_or_b64 exec, exec, s[2:3]
	v_pk_mov_b32 v[30:31], 0, 0
	v_pk_mov_b32 v[34:35], v[30:31], v[30:31] op_sel:[0,1]
	s_and_saveexec_b64 s[2:3], s[18:19]
	s_cbranch_execz .LBB1976_67
; %bb.66:
	v_lshlrev_b32_e32 v1, 3, v1
	v_mov_b32_e32 v35, s60
	v_add_co_u32_e32 v34, vcc, s7, v1
	v_addc_co_u32_e32 v35, vcc, 0, v35, vcc
	flat_load_dwordx2 v[34:35], v[34:35]
.LBB1976_67:
	s_or_b64 exec, exec, s[2:3]
	s_and_saveexec_b64 s[2:3], s[20:21]
	s_cbranch_execz .LBB1976_69
; %bb.68:
	v_lshlrev_b32_e32 v1, 3, v38
	v_mov_b32_e32 v31, s60
	v_add_co_u32_e32 v30, vcc, s7, v1
	v_addc_co_u32_e32 v31, vcc, 0, v31, vcc
	flat_load_dwordx2 v[30:31], v[30:31]
.LBB1976_69:
	s_or_b64 exec, exec, s[2:3]
	v_pk_mov_b32 v[38:39], 0, 0
	v_pk_mov_b32 v[42:43], v[38:39], v[38:39] op_sel:[0,1]
	s_and_saveexec_b64 s[2:3], s[22:23]
	s_cbranch_execz .LBB1976_71
; %bb.70:
	v_lshlrev_b32_e32 v1, 3, v46
	v_mov_b32_e32 v43, s60
	v_add_co_u32_e32 v42, vcc, s7, v1
	v_addc_co_u32_e32 v43, vcc, 0, v43, vcc
	flat_load_dwordx2 v[42:43], v[42:43]
.LBB1976_71:
	s_or_b64 exec, exec, s[2:3]
	s_and_saveexec_b64 s[2:3], s[24:25]
	s_cbranch_execz .LBB1976_73
; %bb.72:
	v_lshlrev_b32_e32 v1, 3, v47
	v_mov_b32_e32 v39, s60
	v_add_co_u32_e32 v38, vcc, s7, v1
	v_addc_co_u32_e32 v39, vcc, 0, v39, vcc
	flat_load_dwordx2 v[38:39], v[38:39]
.LBB1976_73:
	;; [unrolled: 22-line block ×5, first 2 shown]
	s_or_b64 exec, exec, s[2:3]
	v_pk_mov_b32 v[58:59], 0, 0
	v_pk_mov_b32 v[60:61], v[58:59], v[58:59] op_sel:[0,1]
	s_and_saveexec_b64 s[2:3], s[40:41]
	s_cbranch_execnz .LBB1976_315
; %bb.86:
	s_or_b64 exec, exec, s[2:3]
	s_and_saveexec_b64 s[2:3], s[42:43]
	s_cbranch_execnz .LBB1976_316
.LBB1976_87:
	s_or_b64 exec, exec, s[2:3]
	v_pk_mov_b32 v[62:63], 0, 0
	s_and_saveexec_b64 s[2:3], s[44:45]
	s_cbranch_execz .LBB1976_89
.LBB1976_88:
	v_lshlrev_b32_e32 v1, 3, v65
	v_mov_b32_e32 v63, s60
	v_add_co_u32_e32 v62, vcc, s7, v1
	v_addc_co_u32_e32 v63, vcc, 0, v63, vcc
	flat_load_dwordx2 v[62:63], v[62:63]
.LBB1976_89:
	s_or_b64 exec, exec, s[2:3]
	v_mul_u32_u24_e32 v65, 21, v0
	v_lshl_add_u32 v68, v0, 2, v67
	s_waitcnt vmcnt(0) lgkmcnt(0)
	ds_write2st64_b64 v68, v[6:7], v[2:3] offset1:1
	ds_write2st64_b64 v68, v[10:11], v[8:9] offset0:2 offset1:3
	ds_write2st64_b64 v68, v[18:19], v[14:15] offset0:4 offset1:5
	;; [unrolled: 1-line block ×9, first 2 shown]
	ds_write_b64 v68, v[62:63] offset:10240
	v_cmp_gt_u32_e32 vcc, s62, v65
	s_mov_b64 s[10:11], 0
	s_mov_b32 s61, 0
	v_mov_b32_e32 v123, 0
	v_mov_b32_e32 v105, 0
	s_mov_b64 s[4:5], 0
	v_mov_b32_e32 v116, 0
	v_mov_b32_e32 v111, 0
	;; [unrolled: 1-line block ×46, first 2 shown]
	s_waitcnt lgkmcnt(0)
	; wave barrier
	s_waitcnt lgkmcnt(0)
                                        ; implicit-def: $sgpr2_sgpr3
                                        ; implicit-def: $vgpr1
                                        ; implicit-def: $vgpr80
                                        ; implicit-def: $vgpr81
                                        ; implicit-def: $vgpr82
                                        ; implicit-def: $vgpr51
                                        ; implicit-def: $vgpr55
                                        ; implicit-def: $vgpr59
                                        ; implicit-def: $vgpr63
                                        ; implicit-def: $vgpr67
                                        ; implicit-def: $vgpr71
                                        ; implicit-def: $vgpr75
                                        ; implicit-def: $vgpr79
	s_and_saveexec_b64 s[12:13], vcc
	s_cbranch_execz .LBB1976_129
; %bb.90:
	s_movk_i32 s2, 0xa0
	v_mad_u32_u24 v2, v0, s2, v68
	ds_read_b64 v[2:3], v2
	v_cmp_ne_u32_e32 vcc, v66, v16
	v_add_u32_e32 v1, 1, v65
	v_mov_b32_e32 v123, 0
	v_cndmask_b32_e64 v104, 0, 1, vcc
	v_cmp_gt_u32_e32 vcc, s62, v1
	v_mov_b32_e32 v105, 0
	v_mov_b32_e32 v116, 0
	;; [unrolled: 1-line block ×44, first 2 shown]
                                        ; implicit-def: $sgpr2_sgpr3
                                        ; implicit-def: $vgpr1
                                        ; implicit-def: $vgpr80
                                        ; implicit-def: $vgpr81
                                        ; implicit-def: $vgpr82
                                        ; implicit-def: $vgpr51
                                        ; implicit-def: $vgpr55
                                        ; implicit-def: $vgpr59
                                        ; implicit-def: $vgpr63
                                        ; implicit-def: $vgpr67
                                        ; implicit-def: $vgpr71
                                        ; implicit-def: $vgpr75
                                        ; implicit-def: $vgpr79
	s_and_saveexec_b64 s[14:15], vcc
	s_cbranch_execz .LBB1976_128
; %bb.91:
	v_mul_u32_u24_e32 v1, 0xa0, v0
	v_add_u32_e32 v50, v68, v1
	ds_read2_b64 v[6:9], v50 offset0:1 offset1:2
	v_cmp_ne_u32_e64 s[8:9], v16, v17
	v_add_u32_e32 v1, 2, v65
	v_cmp_ne_u32_e32 vcc, v12, v13
	v_cmp_ne_u32_e64 s[2:3], v13, v32
	v_cmp_ne_u32_e64 s[4:5], v17, v12
	v_cndmask_b32_e64 v123, 0, 1, s[8:9]
	v_cmp_gt_u32_e64 s[8:9], s62, v1
	s_mov_b64 s[18:19], 0
	v_mov_b32_e32 v116, 0
	v_mov_b32_e32 v105, 0
	;; [unrolled: 1-line block ×42, first 2 shown]
                                        ; implicit-def: $sgpr20_sgpr21
                                        ; implicit-def: $vgpr1
                                        ; implicit-def: $vgpr80
                                        ; implicit-def: $vgpr81
                                        ; implicit-def: $vgpr82
                                        ; implicit-def: $vgpr51
                                        ; implicit-def: $vgpr55
                                        ; implicit-def: $vgpr59
                                        ; implicit-def: $vgpr63
                                        ; implicit-def: $vgpr67
                                        ; implicit-def: $vgpr71
                                        ; implicit-def: $vgpr75
                                        ; implicit-def: $vgpr79
	s_and_saveexec_b64 s[16:17], s[8:9]
	s_cbranch_execz .LBB1976_127
; %bb.92:
	v_cndmask_b32_e64 v1, 0, 1, s[4:5]
	v_cndmask_b32_e64 v10, 0, 1, s[2:3]
	v_lshlrev_b16_e32 v1, 8, v1
	v_lshlrev_b16_e32 v10, 8, v10
	v_cndmask_b32_e64 v11, 0, 1, vcc
	v_or_b32_e32 v1, v123, v1
	v_or_b32_sdwa v10, v11, v10 dst_sel:WORD_1 dst_unused:UNUSED_PAD src0_sel:DWORD src1_sel:DWORD
	v_or_b32_sdwa v1, v1, v10 dst_sel:DWORD dst_unused:UNUSED_PAD src0_sel:WORD_0 src1_sel:DWORD
	v_add_u32_e32 v10, 3, v65
	v_mov_b32_e32 v116, 0
	v_and_b32_e32 v123, 0xffff, v1
	v_cmp_gt_u32_e32 vcc, s62, v10
	s_mov_b64 s[2:3], 0
	v_mov_b32_e32 v105, 0
	v_mov_b32_e32 v111, 0
	v_mov_b32_e32 v108, 0
	v_mov_b32_e32 v27, 0
	v_mov_b32_e32 v26, 0
	v_mov_b32_e32 v35, 0
	v_mov_b32_e32 v34, 0
	v_mov_b32_e32 v47, 0
	v_mov_b32_e32 v46, 0
	v_mov_b32_e32 v109, 0
	v_mov_b32_e32 v110, 0
	v_mov_b32_e32 v43, 0
	v_mov_b32_e32 v42, 0
	v_mov_b32_e32 v112, 0
	v_mov_b32_e32 v113, 0
	v_mov_b32_e32 v39, 0
	v_mov_b32_e32 v38, 0
	v_mov_b32_e32 v114, 0
	v_mov_b32_e32 v115, 0
	v_mov_b32_e32 v31, 0
	v_mov_b32_e32 v30, 0
	v_mov_b32_e32 v107, 0
	v_mov_b32_e32 v117, 0
	v_mov_b32_e32 v118, 0
	v_mov_b32_e32 v23, 0
	v_mov_b32_e32 v22, 0
	v_mov_b32_e32 v119, 0
	v_mov_b32_e32 v120, 0
	v_mov_b32_e32 v19, 0
	v_mov_b32_e32 v18, 0
	v_mov_b32_e32 v121, 0
	v_mov_b32_e32 v122, 0
	v_mov_b32_e32 v106, 0
	v_mov_b32_e32 v15, 0
	v_mov_b32_e32 v14, 0
	v_mov_b32_e32 v124, 0
	v_mov_b32_e32 v125, 0
	v_mov_b32_e32 v11, 0
	v_mov_b32_e32 v10, v116
                                        ; implicit-def: $sgpr4_sgpr5
                                        ; implicit-def: $vgpr80
                                        ; implicit-def: $vgpr81
                                        ; implicit-def: $vgpr82
                                        ; implicit-def: $vgpr51
                                        ; implicit-def: $vgpr55
                                        ; implicit-def: $vgpr59
                                        ; implicit-def: $vgpr63
                                        ; implicit-def: $vgpr67
                                        ; implicit-def: $vgpr71
                                        ; implicit-def: $vgpr75
                                        ; implicit-def: $vgpr79
	s_and_saveexec_b64 s[18:19], vcc
	s_cbranch_execz .LBB1976_126
; %bb.93:
	ds_read2_b64 v[10:13], v50 offset0:3 offset1:4
	v_add_u32_e32 v14, 4, v65
	v_cmp_gt_u32_e32 vcc, s62, v14
	v_and_b32_e32 v123, 0xffffff, v1
	v_mov_b32_e32 v116, 0
	v_mov_b32_e32 v105, 0
	v_mov_b32_e32 v111, 0
	v_mov_b32_e32 v108, 0
	v_mov_b32_e32 v27, 0
	v_mov_b32_e32 v26, 0
	v_mov_b32_e32 v35, 0
	v_mov_b32_e32 v34, 0
	v_mov_b32_e32 v47, 0
	v_mov_b32_e32 v46, 0
	v_mov_b32_e32 v109, 0
	v_mov_b32_e32 v110, 0
	v_mov_b32_e32 v43, 0
	v_mov_b32_e32 v42, 0
	v_mov_b32_e32 v112, 0
	v_mov_b32_e32 v113, 0
	v_mov_b32_e32 v39, 0
	v_mov_b32_e32 v38, 0
	v_mov_b32_e32 v114, 0
	v_mov_b32_e32 v115, 0
	v_mov_b32_e32 v31, 0
	v_mov_b32_e32 v30, 0
	v_mov_b32_e32 v107, 0
	v_mov_b32_e32 v117, 0
	v_mov_b32_e32 v118, 0
	v_mov_b32_e32 v23, 0
	v_mov_b32_e32 v22, 0
	v_mov_b32_e32 v119, 0
	v_mov_b32_e32 v120, 0
	v_mov_b32_e32 v19, 0
	v_mov_b32_e32 v18, 0
	v_mov_b32_e32 v121, 0
	v_mov_b32_e32 v122, 0
	v_mov_b32_e32 v106, 0
	v_mov_b32_e32 v15, 0
	v_mov_b32_e32 v14, 0
	v_mov_b32_e32 v124, 0
	v_mov_b32_e32 v125, 0
                                        ; implicit-def: $sgpr4_sgpr5
                                        ; implicit-def: $vgpr80
                                        ; implicit-def: $vgpr81
                                        ; implicit-def: $vgpr82
                                        ; implicit-def: $vgpr51
                                        ; implicit-def: $vgpr55
                                        ; implicit-def: $vgpr59
                                        ; implicit-def: $vgpr63
                                        ; implicit-def: $vgpr67
                                        ; implicit-def: $vgpr71
                                        ; implicit-def: $vgpr75
                                        ; implicit-def: $vgpr79
	s_and_saveexec_b64 s[20:21], vcc
	s_cbranch_execz .LBB1976_125
; %bb.94:
	v_add_u32_e32 v14, 5, v65
	v_mov_b32_e32 v116, 0
	v_cmp_gt_u32_e32 vcc, s62, v14
	v_mov_b32_e32 v105, 0
	v_mov_b32_e32 v111, 0
	;; [unrolled: 1-line block ×35, first 2 shown]
                                        ; implicit-def: $sgpr4_sgpr5
                                        ; implicit-def: $vgpr80
                                        ; implicit-def: $vgpr81
                                        ; implicit-def: $vgpr82
                                        ; implicit-def: $vgpr51
                                        ; implicit-def: $vgpr55
                                        ; implicit-def: $vgpr59
                                        ; implicit-def: $vgpr63
                                        ; implicit-def: $vgpr67
                                        ; implicit-def: $vgpr71
                                        ; implicit-def: $vgpr75
                                        ; implicit-def: $vgpr79
	s_and_saveexec_b64 s[22:23], vcc
	s_cbranch_execz .LBB1976_124
; %bb.95:
	ds_read2_b64 v[14:17], v50 offset0:5 offset1:6
	v_cmp_ne_u32_e32 vcc, v32, v24
	v_add_u32_e32 v18, 6, v65
	v_cndmask_b32_e64 v106, 0, 1, vcc
	v_cmp_gt_u32_e32 vcc, s62, v18
	v_mov_b32_e32 v116, 0
	v_mov_b32_e32 v105, 0
	;; [unrolled: 1-line block ×33, first 2 shown]
                                        ; implicit-def: $sgpr4_sgpr5
                                        ; implicit-def: $vgpr80
                                        ; implicit-def: $vgpr81
                                        ; implicit-def: $vgpr82
                                        ; implicit-def: $vgpr51
                                        ; implicit-def: $vgpr55
                                        ; implicit-def: $vgpr59
                                        ; implicit-def: $vgpr63
                                        ; implicit-def: $vgpr67
                                        ; implicit-def: $vgpr71
                                        ; implicit-def: $vgpr75
                                        ; implicit-def: $vgpr79
	s_and_saveexec_b64 s[24:25], vcc
	s_cbranch_execz .LBB1976_123
; %bb.96:
	v_cmp_ne_u32_e64 s[8:9], v24, v25
	v_add_u32_e32 v18, 7, v65
	v_mov_b32_e32 v111, 0
	v_cmp_ne_u32_e32 vcc, v20, v21
	v_cmp_ne_u32_e64 s[2:3], v21, v33
	v_cmp_ne_u32_e64 s[4:5], v25, v20
	v_cndmask_b32_e64 v116, 0, 1, s[8:9]
	v_cmp_gt_u32_e64 s[8:9], s62, v18
	s_mov_b64 s[28:29], 0
	v_mov_b32_e32 v105, 0
	v_mov_b32_e32 v108, 0
	;; [unrolled: 1-line block ×29, first 2 shown]
                                        ; implicit-def: $sgpr30_sgpr31
                                        ; implicit-def: $vgpr80
                                        ; implicit-def: $vgpr81
                                        ; implicit-def: $vgpr82
                                        ; implicit-def: $vgpr51
                                        ; implicit-def: $vgpr55
                                        ; implicit-def: $vgpr59
                                        ; implicit-def: $vgpr63
                                        ; implicit-def: $vgpr67
                                        ; implicit-def: $vgpr71
                                        ; implicit-def: $vgpr75
                                        ; implicit-def: $vgpr79
	s_and_saveexec_b64 s[26:27], s[8:9]
	s_cbranch_execz .LBB1976_122
; %bb.97:
	v_cndmask_b32_e64 v18, 0, 1, s[4:5]
	v_cndmask_b32_e64 v19, 0, 1, s[2:3]
	v_lshlrev_b16_e32 v18, 8, v18
	v_lshlrev_b16_e32 v19, 8, v19
	v_cndmask_b32_e64 v20, 0, 1, vcc
	v_or_b32_e32 v18, v116, v18
	v_or_b32_sdwa v19, v20, v19 dst_sel:WORD_1 dst_unused:UNUSED_PAD src0_sel:DWORD src1_sel:DWORD
	v_or_b32_sdwa v80, v18, v19 dst_sel:DWORD dst_unused:UNUSED_PAD src0_sel:WORD_0 src1_sel:DWORD
	ds_read2_b64 v[18:21], v50 offset0:7 offset1:8
	v_add_u32_e32 v22, 8, v65
	v_and_b32_e32 v116, 0xffff, v80
	v_cmp_gt_u32_e32 vcc, s62, v22
	s_mov_b64 s[2:3], 0
	v_mov_b32_e32 v111, 0
	v_mov_b32_e32 v105, 0
	;; [unrolled: 1-line block ×28, first 2 shown]
                                        ; implicit-def: $sgpr4_sgpr5
                                        ; implicit-def: $vgpr81
                                        ; implicit-def: $vgpr82
                                        ; implicit-def: $vgpr51
                                        ; implicit-def: $vgpr55
                                        ; implicit-def: $vgpr59
                                        ; implicit-def: $vgpr63
                                        ; implicit-def: $vgpr67
                                        ; implicit-def: $vgpr71
                                        ; implicit-def: $vgpr75
                                        ; implicit-def: $vgpr79
	s_and_saveexec_b64 s[28:29], vcc
	s_cbranch_execz .LBB1976_121
; %bb.98:
	v_add_u32_e32 v22, 9, v65
	v_mov_b32_e32 v111, 0
	v_cmp_gt_u32_e32 vcc, s62, v22
	v_and_b32_e32 v116, 0xffffff, v80
	v_mov_b32_e32 v105, 0
	v_mov_b32_e32 v108, 0
	;; [unrolled: 1-line block ×25, first 2 shown]
                                        ; implicit-def: $sgpr4_sgpr5
                                        ; implicit-def: $vgpr81
                                        ; implicit-def: $vgpr82
                                        ; implicit-def: $vgpr51
                                        ; implicit-def: $vgpr55
                                        ; implicit-def: $vgpr59
                                        ; implicit-def: $vgpr63
                                        ; implicit-def: $vgpr67
                                        ; implicit-def: $vgpr71
                                        ; implicit-def: $vgpr75
                                        ; implicit-def: $vgpr79
	s_and_saveexec_b64 s[30:31], vcc
	s_cbranch_execz .LBB1976_120
; %bb.99:
	ds_read2_b64 v[22:25], v50 offset0:9 offset1:10
	v_add_u32_e32 v26, 10, v65
	v_cmp_gt_u32_e32 vcc, s62, v26
	v_mov_b32_e32 v111, 0
	v_mov_b32_e32 v105, 0
	;; [unrolled: 1-line block ×24, first 2 shown]
                                        ; implicit-def: $sgpr4_sgpr5
                                        ; implicit-def: $vgpr81
                                        ; implicit-def: $vgpr82
                                        ; implicit-def: $vgpr51
                                        ; implicit-def: $vgpr55
                                        ; implicit-def: $vgpr59
                                        ; implicit-def: $vgpr63
                                        ; implicit-def: $vgpr67
                                        ; implicit-def: $vgpr71
                                        ; implicit-def: $vgpr75
                                        ; implicit-def: $vgpr79
	s_and_saveexec_b64 s[34:35], vcc
	s_cbranch_execz .LBB1976_119
; %bb.100:
	v_cmp_ne_u32_e32 vcc, v33, v44
	v_add_u32_e32 v26, 11, v65
	v_mov_b32_e32 v111, 0
	v_cndmask_b32_e64 v107, 0, 1, vcc
	v_cmp_gt_u32_e32 vcc, s62, v26
	v_mov_b32_e32 v105, 0
	v_mov_b32_e32 v108, 0
	v_mov_b32_e32 v27, 0
	v_mov_b32_e32 v26, 0
	v_mov_b32_e32 v35, 0
	v_mov_b32_e32 v34, 0
	v_mov_b32_e32 v47, 0
	v_mov_b32_e32 v46, 0
	v_mov_b32_e32 v109, 0
	v_mov_b32_e32 v110, 0
	v_mov_b32_e32 v43, 0
	v_mov_b32_e32 v42, 0
	v_mov_b32_e32 v112, 0
	v_mov_b32_e32 v113, 0
	v_mov_b32_e32 v39, 0
	v_mov_b32_e32 v38, 0
	v_mov_b32_e32 v114, 0
	v_mov_b32_e32 v115, 0
	v_mov_b32_e32 v31, 0
	v_mov_b32_e32 v30, v111
                                        ; implicit-def: $sgpr4_sgpr5
                                        ; implicit-def: $vgpr81
                                        ; implicit-def: $vgpr82
                                        ; implicit-def: $vgpr51
                                        ; implicit-def: $vgpr55
                                        ; implicit-def: $vgpr59
                                        ; implicit-def: $vgpr63
                                        ; implicit-def: $vgpr67
                                        ; implicit-def: $vgpr71
                                        ; implicit-def: $vgpr75
                                        ; implicit-def: $vgpr79
	s_and_saveexec_b64 s[36:37], vcc
	s_cbranch_execz .LBB1976_118
; %bb.101:
	ds_read2_b64 v[30:33], v50 offset0:11 offset1:12
	v_cmp_ne_u32_e64 s[8:9], v44, v45
	v_add_u32_e32 v26, 12, v65
	v_cmp_ne_u32_e32 vcc, v40, v41
	v_cmp_ne_u32_e64 s[2:3], v41, v64
	v_cmp_ne_u32_e64 s[4:5], v45, v40
	v_cndmask_b32_e64 v111, 0, 1, s[8:9]
	v_cmp_gt_u32_e64 s[8:9], s62, v26
	s_mov_b64 s[40:41], 0
	v_mov_b32_e32 v108, 0
	v_mov_b32_e32 v105, 0
	;; [unrolled: 1-line block ×18, first 2 shown]
                                        ; implicit-def: $sgpr42_sgpr43
                                        ; implicit-def: $vgpr81
                                        ; implicit-def: $vgpr82
                                        ; implicit-def: $vgpr51
                                        ; implicit-def: $vgpr55
                                        ; implicit-def: $vgpr59
                                        ; implicit-def: $vgpr63
                                        ; implicit-def: $vgpr67
                                        ; implicit-def: $vgpr71
                                        ; implicit-def: $vgpr75
                                        ; implicit-def: $vgpr79
	s_and_saveexec_b64 s[38:39], s[8:9]
	s_cbranch_execz .LBB1976_117
; %bb.102:
	v_cndmask_b32_e64 v26, 0, 1, s[4:5]
	v_cndmask_b32_e64 v27, 0, 1, s[2:3]
	v_lshlrev_b16_e32 v26, 8, v26
	v_lshlrev_b16_e32 v27, 8, v27
	v_cndmask_b32_e64 v34, 0, 1, vcc
	v_or_b32_e32 v26, v111, v26
	v_or_b32_sdwa v27, v34, v27 dst_sel:WORD_1 dst_unused:UNUSED_PAD src0_sel:DWORD src1_sel:DWORD
	v_or_b32_sdwa v81, v26, v27 dst_sel:DWORD dst_unused:UNUSED_PAD src0_sel:WORD_0 src1_sel:DWORD
	v_add_u32_e32 v26, 13, v65
	v_mov_b32_e32 v108, 0
	v_and_b32_e32 v111, 0xffff, v81
	v_cmp_gt_u32_e32 vcc, s62, v26
	s_mov_b64 s[2:3], 0
	v_mov_b32_e32 v105, 0
	v_mov_b32_e32 v27, 0
	;; [unrolled: 1-line block ×15, first 2 shown]
                                        ; implicit-def: $sgpr4_sgpr5
                                        ; implicit-def: $vgpr82
                                        ; implicit-def: $vgpr51
                                        ; implicit-def: $vgpr55
                                        ; implicit-def: $vgpr59
                                        ; implicit-def: $vgpr63
                                        ; implicit-def: $vgpr67
                                        ; implicit-def: $vgpr71
                                        ; implicit-def: $vgpr75
                                        ; implicit-def: $vgpr79
	s_and_saveexec_b64 s[40:41], vcc
	s_cbranch_execz .LBB1976_116
; %bb.103:
	ds_read2_b64 v[38:41], v50 offset0:13 offset1:14
	v_add_u32_e32 v26, 14, v65
	v_cmp_gt_u32_e32 vcc, s62, v26
	v_and_b32_e32 v111, 0xffffff, v81
	v_mov_b32_e32 v108, 0
	v_mov_b32_e32 v105, 0
	;; [unrolled: 1-line block ×14, first 2 shown]
                                        ; implicit-def: $sgpr4_sgpr5
                                        ; implicit-def: $vgpr82
                                        ; implicit-def: $vgpr51
                                        ; implicit-def: $vgpr55
                                        ; implicit-def: $vgpr59
                                        ; implicit-def: $vgpr63
                                        ; implicit-def: $vgpr67
                                        ; implicit-def: $vgpr71
                                        ; implicit-def: $vgpr75
                                        ; implicit-def: $vgpr79
	s_and_saveexec_b64 s[42:43], vcc
	s_cbranch_execz .LBB1976_115
; %bb.104:
	v_add_u32_e32 v26, 15, v65
	v_mov_b32_e32 v108, 0
	v_cmp_gt_u32_e32 vcc, s62, v26
	v_mov_b32_e32 v105, 0
	v_mov_b32_e32 v27, 0
	;; [unrolled: 1-line block ×11, first 2 shown]
                                        ; implicit-def: $sgpr4_sgpr5
                                        ; implicit-def: $vgpr82
                                        ; implicit-def: $vgpr51
                                        ; implicit-def: $vgpr55
                                        ; implicit-def: $vgpr59
                                        ; implicit-def: $vgpr63
                                        ; implicit-def: $vgpr67
                                        ; implicit-def: $vgpr71
                                        ; implicit-def: $vgpr75
                                        ; implicit-def: $vgpr79
	s_and_saveexec_b64 s[44:45], vcc
	s_cbranch_execz .LBB1976_114
; %bb.105:
	ds_read2_b64 v[42:45], v50 offset0:15 offset1:16
	v_cmp_ne_u32_e32 vcc, v64, v28
	v_add_u32_e32 v26, 16, v65
	v_cndmask_b32_e64 v105, 0, 1, vcc
	v_cmp_gt_u32_e32 vcc, s62, v26
	v_mov_b32_e32 v108, 0
	v_mov_b32_e32 v27, 0
	;; [unrolled: 1-line block ×9, first 2 shown]
                                        ; implicit-def: $sgpr4_sgpr5
                                        ; implicit-def: $vgpr82
                                        ; implicit-def: $vgpr51
                                        ; implicit-def: $vgpr55
                                        ; implicit-def: $vgpr59
                                        ; implicit-def: $vgpr63
                                        ; implicit-def: $vgpr67
                                        ; implicit-def: $vgpr71
                                        ; implicit-def: $vgpr75
                                        ; implicit-def: $vgpr79
	s_and_saveexec_b64 s[46:47], vcc
	s_cbranch_execz .LBB1976_113
; %bb.106:
	v_cmp_ne_u32_e64 s[8:9], v28, v29
	v_add_u32_e32 v26, 17, v65
	v_mov_b32_e32 v27, 0
	v_cmp_ne_u32_e32 vcc, v36, v37
	v_cmp_ne_u32_e64 s[2:3], v37, v4
	v_cmp_ne_u32_e64 s[4:5], v29, v36
	v_cndmask_b32_e64 v108, 0, 1, s[8:9]
	v_cmp_gt_u32_e64 s[8:9], s62, v26
	s_mov_b64 s[56:57], 0
	v_mov_b32_e32 v26, 0
	v_mov_b32_e32 v35, 0
	;; [unrolled: 1-line block ×5, first 2 shown]
                                        ; implicit-def: $sgpr58_sgpr59
                                        ; implicit-def: $vgpr82
                                        ; implicit-def: $vgpr51
                                        ; implicit-def: $vgpr55
                                        ; implicit-def: $vgpr59
                                        ; implicit-def: $vgpr63
                                        ; implicit-def: $vgpr67
                                        ; implicit-def: $vgpr71
                                        ; implicit-def: $vgpr75
                                        ; implicit-def: $vgpr79
	s_and_saveexec_b64 s[54:55], s[8:9]
	s_cbranch_execz .LBB1976_112
; %bb.107:
	v_cndmask_b32_e64 v26, 0, 1, s[4:5]
	v_cndmask_b32_e64 v27, 0, 1, s[2:3]
	ds_read2_b64 v[46:49], v50 offset0:17 offset1:18
	v_lshlrev_b16_e32 v26, 8, v26
	v_lshlrev_b16_e32 v27, 8, v27
	v_cndmask_b32_e64 v28, 0, 1, vcc
	v_or_b32_e32 v26, v108, v26
	v_or_b32_sdwa v27, v28, v27 dst_sel:WORD_1 dst_unused:UNUSED_PAD src0_sel:DWORD src1_sel:DWORD
	v_or_b32_sdwa v82, v26, v27 dst_sel:DWORD dst_unused:UNUSED_PAD src0_sel:WORD_0 src1_sel:DWORD
	v_add_u32_e32 v26, 18, v65
	v_and_b32_e32 v108, 0xffff, v82
	v_cmp_gt_u32_e32 vcc, s62, v26
	s_mov_b64 s[2:3], 0
	v_mov_b32_e32 v27, 0
	v_mov_b32_e32 v26, 0
	;; [unrolled: 1-line block ×4, first 2 shown]
                                        ; implicit-def: $sgpr8_sgpr9
	s_and_saveexec_b64 s[4:5], vcc
	s_cbranch_execz .LBB1976_111
; %bb.108:
	v_add_u32_e32 v26, 19, v65
	s_waitcnt lgkmcnt(0)
	v_mov_b32_e32 v34, v48
	v_mov_b32_e32 v35, v49
	v_cmp_gt_u32_e32 vcc, s62, v26
	v_and_b32_e32 v108, 0xffffff, v82
	v_mov_b32_e32 v27, 0
	v_mov_b32_e32 v26, 0
                                        ; implicit-def: $sgpr8_sgpr9
	s_and_saveexec_b64 s[56:57], vcc
	s_xor_b64 s[56:57], exec, s[56:57]
	s_cbranch_execz .LBB1976_110
; %bb.109:
	ds_read2_b64 v[26:29], v50 offset0:19 offset1:20
	v_cmp_ne_u32_e32 vcc, v4, v5
	v_add_u32_e32 v4, 20, v65
	v_cmp_gt_u32_e64 s[2:3], s62, v4
	s_and_b64 s[8:9], vcc, exec
	s_and_b64 s[2:3], s[2:3], exec
	s_waitcnt lgkmcnt(0)
	v_mov_b32_e32 v37, v27
	v_mov_b32_e32 v36, v26
	;; [unrolled: 1-line block ×3, first 2 shown]
.LBB1976_110:
	s_or_b64 exec, exec, s[56:57]
	s_and_b64 s[8:9], s[8:9], exec
	s_and_b64 s[2:3], s[2:3], exec
.LBB1976_111:
	s_or_b64 exec, exec, s[4:5]
	s_and_b64 s[58:59], s[8:9], exec
	s_and_b64 s[56:57], s[2:3], exec
	s_waitcnt lgkmcnt(0)
	v_mov_b32_e32 v51, v47
	v_mov_b32_e32 v50, v46
	;; [unrolled: 1-line block ×34, first 2 shown]
.LBB1976_112:
	s_or_b64 exec, exec, s[54:55]
	s_and_b64 s[4:5], s[58:59], exec
	s_and_b64 s[2:3], s[56:57], exec
	s_waitcnt lgkmcnt(0)
	v_mov_b32_e32 v109, v45
	v_mov_b32_e32 v110, v44
.LBB1976_113:
	s_or_b64 exec, exec, s[46:47]
	s_and_b64 s[4:5], s[4:5], exec
	s_and_b64 s[2:3], s[2:3], exec
.LBB1976_114:
	s_or_b64 exec, exec, s[44:45]
	s_and_b64 s[4:5], s[4:5], exec
	s_and_b64 s[2:3], s[2:3], exec
	v_mov_b32_e32 v111, v81
	s_waitcnt lgkmcnt(0)
	v_mov_b32_e32 v112, v41
	v_mov_b32_e32 v113, v40
.LBB1976_115:
	s_or_b64 exec, exec, s[42:43]
	s_and_b64 s[4:5], s[4:5], exec
	s_and_b64 s[2:3], s[2:3], exec
.LBB1976_116:
	s_or_b64 exec, exec, s[40:41]
	s_and_b64 s[42:43], s[4:5], exec
	s_and_b64 s[40:41], s[2:3], exec
	s_waitcnt lgkmcnt(0)
	v_mov_b32_e32 v114, v33
	v_mov_b32_e32 v115, v32
.LBB1976_117:
	s_or_b64 exec, exec, s[38:39]
	s_and_b64 s[4:5], s[42:43], exec
	s_and_b64 s[2:3], s[40:41], exec
.LBB1976_118:
	s_or_b64 exec, exec, s[36:37]
	s_and_b64 s[4:5], s[4:5], exec
	s_and_b64 s[2:3], s[2:3], exec
	s_waitcnt lgkmcnt(0)
	v_mov_b32_e32 v117, v25
	v_mov_b32_e32 v118, v24
.LBB1976_119:
	s_or_b64 exec, exec, s[34:35]
	s_and_b64 s[4:5], s[4:5], exec
	s_and_b64 s[2:3], s[2:3], exec
	v_mov_b32_e32 v116, v80
.LBB1976_120:
	s_or_b64 exec, exec, s[30:31]
	s_and_b64 s[4:5], s[4:5], exec
	s_and_b64 s[2:3], s[2:3], exec
	s_waitcnt lgkmcnt(0)
	v_mov_b32_e32 v119, v21
	v_mov_b32_e32 v120, v20
.LBB1976_121:
	s_or_b64 exec, exec, s[28:29]
	s_and_b64 s[30:31], s[4:5], exec
	s_and_b64 s[28:29], s[2:3], exec
.LBB1976_122:
	s_or_b64 exec, exec, s[26:27]
	s_and_b64 s[4:5], s[30:31], exec
	s_and_b64 s[2:3], s[28:29], exec
	s_waitcnt lgkmcnt(0)
	v_mov_b32_e32 v121, v17
	v_mov_b32_e32 v122, v16
.LBB1976_123:
	s_or_b64 exec, exec, s[24:25]
	s_and_b64 s[4:5], s[4:5], exec
	s_and_b64 s[2:3], s[2:3], exec
.LBB1976_124:
	s_or_b64 exec, exec, s[22:23]
	s_and_b64 s[4:5], s[4:5], exec
	s_and_b64 s[2:3], s[2:3], exec
	v_mov_b32_e32 v123, v1
	s_waitcnt lgkmcnt(0)
	v_mov_b32_e32 v124, v13
	v_mov_b32_e32 v125, v12
.LBB1976_125:
	s_or_b64 exec, exec, s[20:21]
	s_and_b64 s[4:5], s[4:5], exec
	s_and_b64 s[2:3], s[2:3], exec
.LBB1976_126:
	s_or_b64 exec, exec, s[18:19]
	s_and_b64 s[20:21], s[4:5], exec
	s_and_b64 s[18:19], s[2:3], exec
	s_waitcnt lgkmcnt(0)
	v_mov_b32_e32 v126, v9
	v_mov_b32_e32 v127, v8
.LBB1976_127:
	s_or_b64 exec, exec, s[16:17]
	s_and_b64 s[2:3], s[20:21], exec
	s_and_b64 s[4:5], s[18:19], exec
.LBB1976_128:
	s_or_b64 exec, exec, s[14:15]
	s_and_b64 s[2:3], s[2:3], exec
	s_and_b64 s[4:5], s[4:5], exec
.LBB1976_129:
	s_or_b64 exec, exec, s[12:13]
	s_mov_b32 s8, 0
	s_and_b64 vcc, exec, s[10:11]
	s_cbranch_vccnz .LBB1976_131
	s_branch .LBB1976_139
.LBB1976_130:
                                        ; kill: def $vgpr2_vgpr3 killed $sgpr0_sgpr1 killed $exec
                                        ; implicit-def: $sgpr2_sgpr3
                                        ; implicit-def: $vgpr1
                                        ; implicit-def: $vgpr80
                                        ; implicit-def: $vgpr81
                                        ; implicit-def: $vgpr82
                                        ; implicit-def: $vgpr28_vgpr29
                                        ; implicit-def: $vgpr37
                                        ; implicit-def: $vgpr51
                                        ; implicit-def: $vgpr105
                                        ; implicit-def: $vgpr55
                                        ; implicit-def: $vgpr59
                                        ; implicit-def: $vgpr63
                                        ; implicit-def: $vgpr107
                                        ; implicit-def: $vgpr67
                                        ; implicit-def: $vgpr71
                                        ; implicit-def: $vgpr106
                                        ; implicit-def: $vgpr75
                                        ; implicit-def: $vgpr79
                                        ; implicit-def: $vgpr5
                                        ; implicit-def: $vgpr104
                                        ; implicit-def: $vgpr123
                                        ; implicit-def: $vgpr116
                                        ; implicit-def: $vgpr111
                                        ; implicit-def: $vgpr108
                                        ; implicit-def: $sgpr8
                                        ; implicit-def: $sgpr61
                                        ; implicit-def: $vgpr47
                                        ; implicit-def: $vgpr109
                                        ; implicit-def: $vgpr110
                                        ; implicit-def: $vgpr43
                                        ; implicit-def: $vgpr112
                                        ; implicit-def: $vgpr113
                                        ; implicit-def: $vgpr39
                                        ; implicit-def: $vgpr114
                                        ; implicit-def: $vgpr115
                                        ; implicit-def: $vgpr31
                                        ; implicit-def: $vgpr117
                                        ; implicit-def: $vgpr118
                                        ; implicit-def: $vgpr23
                                        ; implicit-def: $vgpr119
                                        ; implicit-def: $vgpr120
                                        ; implicit-def: $vgpr19
                                        ; implicit-def: $vgpr121
                                        ; implicit-def: $vgpr122
                                        ; implicit-def: $vgpr15
                                        ; implicit-def: $vgpr124
                                        ; implicit-def: $vgpr125
                                        ; implicit-def: $vgpr11
                                        ; implicit-def: $vgpr126
                                        ; implicit-def: $vgpr127
                                        ; implicit-def: $vgpr7
	s_and_b64 vcc, exec, s[10:11]
	s_cbranch_vccz .LBB1976_139
.LBB1976_131:
	v_lshlrev_b32_e32 v1, 2, v0
	s_waitcnt lgkmcnt(0)
	v_mov_b32_e32 v3, s49
	v_add_co_u32_e32 v2, vcc, s48, v1
	v_addc_co_u32_e32 v3, vcc, 0, v3, vcc
	s_movk_i32 s2, 0x1000
	flat_load_dword v4, v[2:3]
	flat_load_dword v5, v[2:3] offset:256
	flat_load_dword v6, v[2:3] offset:512
	;; [unrolled: 1-line block ×15, first 2 shown]
	v_add_co_u32_e32 v2, vcc, s2, v2
	v_addc_co_u32_e32 v3, vcc, 0, v3, vcc
	flat_load_dword v20, v[2:3]
	flat_load_dword v21, v[2:3] offset:256
	flat_load_dword v22, v[2:3] offset:512
	;; [unrolled: 1-line block ×4, first 2 shown]
	s_movk_i32 s2, 0x50
	v_mad_u32_u24 v23, v0, s2, v1
	s_cmp_eq_u64 s[52:53], 0
	s_waitcnt vmcnt(0) lgkmcnt(0)
	ds_write2st64_b32 v1, v4, v5 offset1:1
	ds_write2st64_b32 v1, v6, v7 offset0:2 offset1:3
	ds_write2st64_b32 v1, v8, v9 offset0:4 offset1:5
	;; [unrolled: 1-line block ×9, first 2 shown]
	ds_write_b32 v1, v25 offset:5120
	s_waitcnt lgkmcnt(0)
	; wave barrier
	s_waitcnt lgkmcnt(0)
	ds_read2_b32 v[10:11], v23 offset0:7 offset1:8
	ds_read2_b32 v[8:9], v23 offset0:5 offset1:6
	;; [unrolled: 1-line block ×3, first 2 shown]
	ds_read2_b32 v[6:7], v23 offset1:1
	ds_read2_b32 v[4:5], v23 offset0:4 offset1:9
	ds_read2_b32 v[16:17], v23 offset0:15 offset1:16
	ds_read_b32 v1, v23 offset:56
	ds_read2_b32 v[14:15], v23 offset0:12 offset1:13
	ds_read2_b32 v[12:13], v23 offset0:10 offset1:11
	;; [unrolled: 1-line block ×4, first 2 shown]
	s_cbranch_scc1 .LBB1976_136
; %bb.132:
	s_andn2_b64 vcc, exec, s[50:51]
	s_cbranch_vccnz .LBB1976_318
; %bb.133:
	v_readlane_b32 s8, v134, 0
	s_lshl_b64 s[2:3], s[52:53], 2
	v_readlane_b32 s14, v134, 6
	v_readlane_b32 s15, v134, 7
	s_add_u32 s2, s14, s2
	s_addc_u32 s3, s15, s3
	s_add_u32 s2, s2, -4
	s_addc_u32 s3, s3, -1
	v_readlane_b32 s9, v134, 1
	v_readlane_b32 s10, v134, 2
	;; [unrolled: 1-line block ×5, first 2 shown]
	s_cbranch_execnz .LBB1976_135
.LBB1976_134:
	s_add_u32 s2, s48, -4
	s_addc_u32 s3, s49, -1
.LBB1976_135:
	s_mov_b64 s[48:49], s[2:3]
.LBB1976_136:
	v_pk_mov_b32 v[24:25], s[48:49], s[48:49] op_sel:[0,1]
	flat_load_dword v22, v[24:25]
	s_movk_i32 s2, 0xffb0
	v_mad_i32_i24 v23, v0, s2, v23
	v_cmp_ne_u32_e32 vcc, 0, v0
	s_waitcnt lgkmcnt(0)
	ds_write_b32 v23, v21 offset:5376
	s_waitcnt lgkmcnt(0)
	; wave barrier
	s_waitcnt lgkmcnt(0)
	s_and_saveexec_b64 s[2:3], vcc
	s_cbranch_execz .LBB1976_138
; %bb.137:
	s_waitcnt vmcnt(0)
	ds_read_b32 v22, v23 offset:5372
.LBB1976_138:
	s_or_b64 exec, exec, s[2:3]
	v_lshlrev_b32_e32 v24, 3, v0
	v_mov_b32_e32 v25, s60
	v_add_co_u32_e32 v24, vcc, s7, v24
	v_addc_co_u32_e32 v25, vcc, 0, v25, vcc
	s_movk_i32 s2, 0x1000
	v_add_co_u32_e32 v42, vcc, s2, v24
	v_addc_co_u32_e32 v43, vcc, 0, v25, vcc
	s_movk_i32 s2, 0x2000
	s_waitcnt lgkmcnt(0)
	; wave barrier
	s_waitcnt lgkmcnt(0)
	flat_load_dwordx2 v[26:27], v[24:25]
	flat_load_dwordx2 v[28:29], v[24:25] offset:512
	flat_load_dwordx2 v[30:31], v[24:25] offset:1024
	;; [unrolled: 1-line block ×7, first 2 shown]
	v_add_co_u32_e32 v24, vcc, s2, v24
	v_addc_co_u32_e32 v25, vcc, 0, v25, vcc
	flat_load_dwordx2 v[44:45], v[42:43]
	flat_load_dwordx2 v[46:47], v[42:43] offset:512
	flat_load_dwordx2 v[48:49], v[42:43] offset:1024
	;; [unrolled: 1-line block ×7, first 2 shown]
	s_nop 0
	flat_load_dwordx2 v[42:43], v[24:25]
	flat_load_dwordx2 v[60:61], v[24:25] offset:512
	flat_load_dwordx2 v[62:63], v[24:25] offset:1024
	;; [unrolled: 1-line block ×4, first 2 shown]
	v_cmp_ne_u32_e32 vcc, v17, v18
	v_cmp_ne_u32_e64 s[2:3], v20, v21
	v_cndmask_b32_e64 v21, 0, 1, vcc
	v_cmp_ne_u32_e32 vcc, v16, v17
	v_cndmask_b32_e64 v17, 0, 1, vcc
	v_cmp_ne_u32_e32 vcc, v19, v20
	;; [unrolled: 2-line block ×8, first 2 shown]
	v_lshlrev_b16_e32 v16, 8, v16
	v_lshlrev_b16_e32 v1, 8, v1
	v_cndmask_b32_e64 v14, 0, 1, vcc
	v_cmp_ne_u32_e32 vcc, v5, v12
	v_or_b32_e32 v13, v13, v16
	v_or_b32_sdwa v1, v14, v1 dst_sel:WORD_1 dst_unused:UNUSED_PAD src0_sel:DWORD src1_sel:DWORD
	v_cndmask_b32_e64 v107, 0, 1, vcc
	v_cmp_ne_u32_e32 vcc, v9, v10
	v_or_b32_sdwa v81, v13, v1 dst_sel:DWORD dst_unused:UNUSED_PAD src0_sel:WORD_0 src1_sel:DWORD
	v_cndmask_b32_e64 v1, 0, 1, vcc
	v_cmp_ne_u32_e32 vcc, v8, v9
	v_cndmask_b32_e64 v9, 0, 1, vcc
	v_cmp_ne_u32_e32 vcc, v11, v5
	v_lshlrev_b16_e32 v1, 8, v1
	v_cndmask_b32_e64 v5, 0, 1, vcc
	v_cmp_ne_u32_e32 vcc, v10, v11
	v_or_b32_e32 v1, v9, v1
	v_lshlrev_b16_e32 v5, 8, v5
	v_cndmask_b32_e64 v9, 0, 1, vcc
	v_cmp_ne_u32_e32 vcc, v4, v8
	v_or_b32_sdwa v5, v9, v5 dst_sel:WORD_1 dst_unused:UNUSED_PAD src0_sel:DWORD src1_sel:DWORD
	v_cndmask_b32_e64 v106, 0, 1, vcc
	v_cmp_ne_u32_e32 vcc, v7, v2
	v_or_b32_sdwa v80, v1, v5 dst_sel:DWORD dst_unused:UNUSED_PAD src0_sel:WORD_0 src1_sel:DWORD
	v_cndmask_b32_e64 v1, 0, 1, vcc
	v_cmp_ne_u32_e32 vcc, v6, v7
	v_cndmask_b32_e64 v5, 0, 1, vcc
	v_cmp_ne_u32_e32 vcc, v3, v4
	;; [unrolled: 2-line block ×3, first 2 shown]
	v_lshlrev_b16_e32 v1, 8, v1
	v_lshlrev_b16_e32 v4, 8, v4
	v_cndmask_b32_e64 v2, 0, 1, vcc
	v_or_b32_e32 v1, v5, v1
	v_or_b32_sdwa v2, v2, v4 dst_sel:WORD_1 dst_unused:UNUSED_PAD src0_sel:DWORD src1_sel:DWORD
	v_or_b32_sdwa v1, v1, v2 dst_sel:DWORD dst_unused:UNUSED_PAD src0_sel:WORD_0 src1_sel:DWORD
	v_lshl_add_u32 v2, v0, 2, v23
	s_movk_i32 s4, 0xa0
	v_mad_u32_u24 v7, v0, s4, v2
	v_lshlrev_b16_e32 v21, 8, v21
	v_lshlrev_b16_e32 v20, 8, v20
	v_or_b32_e32 v17, v17, v21
	v_or_b32_sdwa v18, v18, v20 dst_sel:WORD_1 dst_unused:UNUSED_PAD src0_sel:DWORD src1_sel:DWORD
	s_waitcnt vmcnt(0)
	v_cmp_ne_u32_e32 vcc, v22, v6
	v_or_b32_sdwa v82, v17, v18 dst_sel:DWORD dst_unused:UNUSED_PAD src0_sel:WORD_0 src1_sel:DWORD
	v_cndmask_b32_e64 v104, 0, 1, vcc
	s_mov_b64 s[4:5], -1
                                        ; kill: def $vgpr6 killed $sgpr0 killed $exec
                                        ; implicit-def: $vgpr123
                                        ; implicit-def: $vgpr116
                                        ; implicit-def: $vgpr111
                                        ; implicit-def: $vgpr108
                                        ; implicit-def: $sgpr8
                                        ; implicit-def: $sgpr61
                                        ; implicit-def: $vgpr109
                                        ; implicit-def: $vgpr110
                                        ; implicit-def: $vgpr112
                                        ; implicit-def: $vgpr113
                                        ; implicit-def: $vgpr114
                                        ; implicit-def: $vgpr115
                                        ; implicit-def: $vgpr117
                                        ; implicit-def: $vgpr118
                                        ; implicit-def: $vgpr23
                                        ; implicit-def: $vgpr119
                                        ; implicit-def: $vgpr120
                                        ; implicit-def: $vgpr19
                                        ; implicit-def: $vgpr121
                                        ; implicit-def: $vgpr122
                                        ; implicit-def: $vgpr15
                                        ; implicit-def: $vgpr124
                                        ; implicit-def: $vgpr125
                                        ; implicit-def: $vgpr11
                                        ; implicit-def: $vgpr126
                                        ; implicit-def: $vgpr127
	s_waitcnt lgkmcnt(0)
	ds_write2st64_b64 v2, v[26:27], v[28:29] offset1:1
	ds_write2st64_b64 v2, v[30:31], v[32:33] offset0:2 offset1:3
	ds_write2st64_b64 v2, v[34:35], v[36:37] offset0:4 offset1:5
	;; [unrolled: 1-line block ×9, first 2 shown]
	ds_write_b64 v2, v[66:67] offset:10240
	s_waitcnt lgkmcnt(0)
	; wave barrier
	s_waitcnt lgkmcnt(0)
	ds_read2_b64 v[2:5], v7 offset1:1
	ds_read2_b64 v[76:79], v7 offset0:2 offset1:3
	ds_read2_b64 v[72:75], v7 offset0:4 offset1:5
	;; [unrolled: 1-line block ×9, first 2 shown]
	ds_read_b64 v[28:29], v7 offset:160
                                        ; implicit-def: $vgpr47
                                        ; implicit-def: $vgpr43
                                        ; implicit-def: $vgpr39
                                        ; implicit-def: $vgpr31
                                        ; implicit-def: $vgpr7
.LBB1976_139:
	v_mov_b32_e32 v25, s61
	v_mov_b32_e32 v33, s61
	;; [unrolled: 1-line block ×3, first 2 shown]
	s_and_saveexec_b64 s[8:9], s[4:5]
	s_cbranch_execz .LBB1976_141
; %bb.140:
	v_cndmask_b32_e64 v40, 0, 1, s[2:3]
	s_waitcnt lgkmcnt(0)
	v_mov_b32_e32 v6, v4
	v_mov_b32_e32 v7, v5
	;; [unrolled: 1-line block ×42, first 2 shown]
.LBB1976_141:
	s_or_b64 exec, exec, s[8:9]
	s_waitcnt lgkmcnt(1)
	v_and_b32_e32 v37, 1, v106
	v_and_b32_e32 v41, 1, v107
	;; [unrolled: 1-line block ×4, first 2 shown]
	s_cmp_lg_u32 s6, 0
	v_lshrrev_b32_e32 v133, 8, v123
	v_lshrrev_b32_e32 v132, 8, v116
	;; [unrolled: 1-line block ×4, first 2 shown]
	v_cmp_eq_u32_e32 vcc, 1, v37
	v_cmp_eq_u32_e64 s[44:45], 1, v41
	v_cmp_eq_u32_e64 s[46:47], 1, v128
	;; [unrolled: 1-line block ×3, first 2 shown]
	s_waitcnt lgkmcnt(0)
	v_mbcnt_lo_u32_b32 v29, -1, 0
	s_waitcnt lgkmcnt(0)
	; wave barrier
	s_cbranch_scc0 .LBB1976_204
; %bb.142:
	v_mov_b32_e32 v1, 0
	v_cmp_eq_u16_sdwa s[2:3], v123, v1 src0_sel:BYTE_0 src1_sel:DWORD
	v_cndmask_b32_e64 v4, 0, v2, s[2:3]
	s_movk_i32 s7, 0xff
	v_add_u32_e32 v4, v4, v6
	v_cndmask_b32_e64 v5, 0, v3, s[2:3]
	v_cmp_eq_u16_sdwa s[4:5], v133, v1 src0_sel:BYTE_0 src1_sel:DWORD
	v_add_u32_e32 v5, v5, v7
	v_cndmask_b32_e64 v4, 0, v4, s[4:5]
	v_and_b32_sdwa v8, v123, s7 dst_sel:DWORD dst_unused:UNUSED_PAD src0_sel:WORD_1 src1_sel:DWORD
	v_add_u32_e32 v4, v4, v127
	v_cndmask_b32_e64 v5, 0, v5, s[4:5]
	v_cmp_eq_u16_e64 s[50:51], 0, v8
	v_add_u32_e32 v5, v5, v126
	v_cndmask_b32_e64 v4, 0, v4, s[50:51]
	v_add_u32_e32 v4, v4, v10
	v_cndmask_b32_e64 v5, 0, v5, s[50:51]
	v_cmp_eq_u16_sdwa s[8:9], v123, v1 src0_sel:BYTE_3 src1_sel:DWORD
	v_add_u32_e32 v5, v5, v11
	v_cndmask_b32_e64 v4, 0, v4, s[8:9]
	v_add_u32_e32 v4, v4, v125
	v_cndmask_b32_e64 v5, 0, v5, s[8:9]
	v_cmp_eq_u16_sdwa s[10:11], v106, v1 src0_sel:BYTE_0 src1_sel:DWORD
	v_add_u32_e32 v5, v5, v124
	v_cndmask_b32_e64 v4, 0, v4, s[10:11]
	v_add_u32_e32 v4, v4, v14
	v_cndmask_b32_e64 v5, 0, v5, s[10:11]
	v_cmp_eq_u16_sdwa s[12:13], v116, v1 src0_sel:BYTE_0 src1_sel:DWORD
	;; [unrolled: 5-line block ×3, first 2 shown]
	v_add_u32_e32 v5, v5, v121
	v_cndmask_b32_e64 v4, 0, v4, s[14:15]
	v_and_b32_sdwa v8, v116, s7 dst_sel:DWORD dst_unused:UNUSED_PAD src0_sel:WORD_1 src1_sel:DWORD
	v_add_u32_e32 v4, v4, v18
	v_cndmask_b32_e64 v5, 0, v5, s[14:15]
	v_cmp_eq_u16_e64 s[16:17], 0, v8
	v_add_u32_e32 v5, v5, v19
	v_cndmask_b32_e64 v4, 0, v4, s[16:17]
	v_add_u32_e32 v4, v4, v120
	v_cndmask_b32_e64 v5, 0, v5, s[16:17]
	v_cmp_eq_u16_sdwa s[18:19], v116, v1 src0_sel:BYTE_3 src1_sel:DWORD
	v_add_u32_e32 v5, v5, v119
	v_cndmask_b32_e64 v4, 0, v4, s[18:19]
	v_add_u32_e32 v4, v4, v22
	v_cndmask_b32_e64 v5, 0, v5, s[18:19]
	v_cmp_eq_u16_sdwa s[20:21], v107, v1 src0_sel:BYTE_0 src1_sel:DWORD
	v_add_u32_e32 v5, v5, v23
	v_cndmask_b32_e64 v4, 0, v4, s[20:21]
	v_add_u32_e32 v4, v4, v118
	v_cndmask_b32_e64 v5, 0, v5, s[20:21]
	v_cmp_eq_u16_sdwa s[22:23], v111, v1 src0_sel:BYTE_0 src1_sel:DWORD
	v_add_u32_e32 v5, v5, v117
	v_cndmask_b32_e64 v4, 0, v4, s[22:23]
	v_add_u32_e32 v4, v4, v30
	v_cndmask_b32_e64 v5, 0, v5, s[22:23]
	v_cmp_eq_u16_sdwa s[24:25], v131, v1 src0_sel:BYTE_0 src1_sel:DWORD
	v_add_u32_e32 v5, v5, v31
	v_cndmask_b32_e64 v4, 0, v4, s[24:25]
	v_and_b32_sdwa v8, v111, s7 dst_sel:DWORD dst_unused:UNUSED_PAD src0_sel:WORD_1 src1_sel:DWORD
	v_add_u32_e32 v4, v4, v115
	v_cndmask_b32_e64 v5, 0, v5, s[24:25]
	v_cmp_eq_u16_e64 s[26:27], 0, v8
	v_add_u32_e32 v5, v5, v114
	v_cndmask_b32_e64 v4, 0, v4, s[26:27]
	v_add_u32_e32 v4, v4, v38
	v_cndmask_b32_e64 v5, 0, v5, s[26:27]
	v_cmp_eq_u16_sdwa s[28:29], v111, v1 src0_sel:BYTE_3 src1_sel:DWORD
	v_add_u32_e32 v5, v5, v39
	v_cndmask_b32_e64 v4, 0, v4, s[28:29]
	v_and_b32_sdwa v8, v108, s7 dst_sel:DWORD dst_unused:UNUSED_PAD src0_sel:WORD_1 src1_sel:DWORD
	v_add_u32_e32 v4, v4, v113
	v_cndmask_b32_e64 v5, 0, v5, s[28:29]
	v_cmp_eq_u16_sdwa s[30:31], v105, v1 src0_sel:BYTE_0 src1_sel:DWORD
	v_cmp_eq_u16_e64 s[38:39], 0, v8
	v_and_b32_e32 v8, 1, v123
	v_add_u32_e32 v5, v5, v112
	v_cndmask_b32_e64 v4, 0, v4, s[30:31]
	v_cmp_eq_u32_e64 s[54:55], 1, v8
	v_and_b32_e32 v8, 0x100, v123
	v_add_u32_e32 v4, v4, v42
	v_cndmask_b32_e64 v5, 0, v5, s[30:31]
	v_cmp_eq_u16_sdwa s[34:35], v108, v1 src0_sel:BYTE_0 src1_sel:DWORD
	v_cmp_ne_u32_e64 s[56:57], 0, v8
	v_and_b32_e32 v8, 0x10000, v123
	v_add_u32_e32 v5, v5, v43
	v_cndmask_b32_e64 v4, 0, v4, s[34:35]
	v_cmp_ne_u32_e64 s[58:59], 0, v8
	v_and_b32_e32 v8, 0x1000000, v123
	v_add_u32_e32 v4, v4, v110
	v_cndmask_b32_e64 v5, 0, v5, s[34:35]
	v_cmp_eq_u16_sdwa s[36:37], v130, v1 src0_sel:BYTE_0 src1_sel:DWORD
	v_cmp_ne_u32_e64 s[60:61], 0, v8
	v_and_b32_e32 v8, 1, v116
	v_add_u32_e32 v5, v5, v109
	v_cndmask_b32_e64 v4, 0, v4, s[36:37]
	v_cmp_eq_u32_e64 s[62:63], 1, v8
	v_and_b32_e32 v8, 0x100, v116
	v_add_u32_e32 v4, v4, v46
	v_cndmask_b32_e64 v5, 0, v5, s[36:37]
	v_cmp_ne_u32_e64 s[64:65], 0, v8
	v_and_b32_e32 v8, 0x10000, v116
	v_add_u32_e32 v5, v5, v47
	v_cndmask_b32_e64 v4, 0, v4, s[38:39]
	v_cmp_ne_u32_e64 s[66:67], 0, v8
	v_and_b32_e32 v8, 0x1000000, v116
	v_add_u32_e32 v4, v4, v34
	v_cndmask_b32_e64 v5, 0, v5, s[38:39]
	v_cmp_eq_u16_sdwa s[40:41], v108, v1 src0_sel:BYTE_3 src1_sel:DWORD
	v_cmp_ne_u32_e64 s[68:69], 0, v8
	v_and_b32_e32 v8, 1, v111
	v_add_u32_e32 v5, v5, v35
	v_cndmask_b32_e64 v4, 0, v4, s[40:41]
	v_cmp_eq_u32_e64 s[70:71], 1, v8
	v_and_b32_e32 v8, 0x100, v111
	v_add_u32_e32 v4, v4, v26
	v_cndmask_b32_e64 v5, 0, v5, s[40:41]
	v_cmp_eq_u16_sdwa s[42:43], v40, v1 src0_sel:BYTE_0 src1_sel:DWORD
	v_cmp_ne_u32_e64 s[72:73], 0, v8
	v_and_b32_e32 v8, 0x10000, v111
	v_add_u32_e32 v5, v5, v27
	v_cndmask_b32_e64 v1, 0, v4, s[42:43]
	v_cmp_ne_u32_e64 s[74:75], 0, v8
	v_and_b32_e32 v8, 0x1000000, v111
	v_add_u32_e32 v4, v1, v25
	v_cndmask_b32_e64 v1, 0, v5, s[42:43]
	v_cmp_ne_u32_e64 s[76:77], 0, v8
	v_and_b32_e32 v8, 1, v108
	v_add_u32_e32 v5, v1, v33
	v_and_b32_e32 v1, 0x1000000, v108
	v_cmp_eq_u32_e64 s[78:79], 1, v8
	v_and_b32_e32 v8, 0x100, v108
	v_cmp_ne_u32_e64 s[52:53], 0, v1
	v_cmp_ne_u32_e64 s[80:81], 0, v8
	v_and_b32_e32 v8, 0x10000, v108
	v_cmp_ne_u32_e64 s[82:83], 0, v8
	s_or_b64 s[48:49], s[48:49], s[52:53]
	s_or_b64 s[48:49], s[48:49], s[82:83]
	;; [unrolled: 1-line block ×14, first 2 shown]
	s_or_b64 s[44:45], s[44:45], vcc
	s_or_b64 s[44:45], s[44:45], s[60:61]
	s_or_b64 s[44:45], s[44:45], s[58:59]
	;; [unrolled: 1-line block ×3, first 2 shown]
	v_and_b32_e32 v1, 0xff, v104
	s_or_b64 s[44:45], s[44:45], s[54:55]
	v_mbcnt_hi_u32_b32 v9, -1, v29
	v_cndmask_b32_e64 v1, v1, 1, s[44:45]
	v_and_b32_e32 v8, 15, v9
	v_mov_b32_dpp v12, v4 row_shr:1 row_mask:0xf bank_mask:0xf
	v_mov_b32_dpp v13, v5 row_shr:1 row_mask:0xf bank_mask:0xf
	v_mov_b32_dpp v16, v1 row_shr:1 row_mask:0xf bank_mask:0xf
	v_cmp_ne_u32_e32 vcc, 0, v8
	s_and_saveexec_b64 s[44:45], vcc
; %bb.143:
	v_cmp_eq_u32_e32 vcc, 0, v1
	v_cndmask_b32_e32 v12, 0, v12, vcc
	v_add_u32_e32 v4, v12, v4
	v_cndmask_b32_e32 v12, 0, v13, vcc
	v_add_u32_e32 v5, v12, v5
	v_and_or_b32 v1, v16, 1, v1
; %bb.144:
	s_or_b64 exec, exec, s[44:45]
	v_mov_b32_dpp v13, v4 row_shr:2 row_mask:0xf bank_mask:0xf
	v_mov_b32_dpp v16, v5 row_shr:2 row_mask:0xf bank_mask:0xf
	v_mov_b32_dpp v12, v1 row_shr:2 row_mask:0xf bank_mask:0xf
	v_cmp_lt_u32_e32 vcc, 1, v8
	s_and_saveexec_b64 s[44:45], vcc
; %bb.145:
	v_add_u32_e32 v13, v13, v4
	v_add_u32_e32 v16, v16, v5
	v_cmp_eq_u32_e32 vcc, 0, v1
	v_or_b32_e32 v1, v12, v1
	v_cndmask_b32_e32 v4, v4, v13, vcc
	v_cndmask_b32_e32 v5, v5, v16, vcc
	v_and_b32_e32 v1, 1, v1
; %bb.146:
	s_or_b64 exec, exec, s[44:45]
	v_mov_b32_dpp v13, v4 row_shr:4 row_mask:0xf bank_mask:0xf
	v_mov_b32_dpp v16, v5 row_shr:4 row_mask:0xf bank_mask:0xf
	v_mov_b32_dpp v12, v1 row_shr:4 row_mask:0xf bank_mask:0xf
	v_cmp_lt_u32_e32 vcc, 3, v8
	s_and_saveexec_b64 s[44:45], vcc
; %bb.147:
	v_add_u32_e32 v13, v13, v4
	v_add_u32_e32 v16, v16, v5
	v_cmp_eq_u32_e32 vcc, 0, v1
	v_or_b32_e32 v1, v12, v1
	v_cndmask_b32_e32 v4, v4, v13, vcc
	v_cndmask_b32_e32 v5, v5, v16, vcc
	v_and_b32_e32 v1, 1, v1
	;; [unrolled: 15-line block ×3, first 2 shown]
; %bb.150:
	s_or_b64 exec, exec, s[44:45]
	v_and_b32_e32 v16, 16, v9
	v_mov_b32_dpp v12, v4 row_bcast:15 row_mask:0xf bank_mask:0xf
	v_mov_b32_dpp v13, v5 row_bcast:15 row_mask:0xf bank_mask:0xf
	;; [unrolled: 1-line block ×3, first 2 shown]
	v_cmp_ne_u32_e32 vcc, 0, v16
	s_and_saveexec_b64 s[44:45], vcc
; %bb.151:
	v_add_u32_e32 v12, v12, v4
	v_add_u32_e32 v13, v13, v5
	v_cmp_eq_u32_e32 vcc, 0, v1
	v_or_b32_e32 v1, v8, v1
	v_cndmask_b32_e32 v4, v4, v12, vcc
	v_cndmask_b32_e32 v5, v5, v13, vcc
	v_and_b32_e32 v1, 1, v1
; %bb.152:
	s_or_b64 exec, exec, s[44:45]
	v_mov_b32_dpp v12, v4 row_bcast:31 row_mask:0xf bank_mask:0xf
	v_mov_b32_dpp v13, v5 row_bcast:31 row_mask:0xf bank_mask:0xf
	;; [unrolled: 1-line block ×3, first 2 shown]
	v_cmp_lt_u32_e32 vcc, 31, v9
	s_and_saveexec_b64 s[44:45], vcc
; %bb.153:
	v_add_u32_e32 v12, v12, v4
	v_add_u32_e32 v13, v13, v5
	v_cmp_eq_u32_e32 vcc, 0, v1
	v_or_b32_e32 v1, v8, v1
	v_cndmask_b32_e32 v4, v4, v12, vcc
	v_cndmask_b32_e32 v5, v5, v13, vcc
	v_and_b32_e32 v1, 1, v1
; %bb.154:
	s_or_b64 exec, exec, s[44:45]
	v_cmp_eq_u32_e32 vcc, 63, v0
	s_and_saveexec_b64 s[44:45], vcc
	s_cbranch_execz .LBB1976_156
; %bb.155:
	v_mov_b32_e32 v8, 0
	ds_write_b64 v8, v[4:5]
	ds_write_b8 v8, v1 offset:8
.LBB1976_156:
	s_or_b64 exec, exec, s[44:45]
	v_add_u32_e32 v8, -1, v9
	v_and_b32_e32 v12, 64, v9
	v_cmp_lt_i32_e32 vcc, v8, v12
	v_cndmask_b32_e32 v8, v8, v9, vcc
	v_lshlrev_b32_e32 v8, 2, v8
	ds_bpermute_b32 v52, v8, v4
	ds_bpermute_b32 v45, v8, v5
	;; [unrolled: 1-line block ×3, first 2 shown]
	v_cmp_gt_u32_e32 vcc, 64, v0
	s_waitcnt lgkmcnt(0)
	; wave barrier
	s_waitcnt lgkmcnt(0)
	s_and_saveexec_b64 s[48:49], vcc
	s_cbranch_execz .LBB1976_201
; %bb.157:
	v_mov_b32_e32 v13, 0
	ds_read_b64 v[4:5], v13
	ds_read_b32 v53, v13 offset:8
	s_mov_b32 s53, 0
	v_cmp_eq_u32_e64 s[44:45], 0, v9
	s_waitcnt lgkmcnt(1)
	v_readfirstlane_b32 s7, v5
	s_and_saveexec_b64 s[46:47], s[44:45]
	s_cbranch_execz .LBB1976_159
; %bb.158:
	s_add_i32 s52, s6, 64
	s_lshl_b64 s[54:55], s[52:53], 4
	s_add_u32 s54, s88, s54
	s_waitcnt lgkmcnt(0)
	v_and_b32_e32 v8, 0xff00, v53
	s_addc_u32 s55, s89, s55
	v_and_b32_e32 v5, 0xff0000, v53
	v_or_b32_sdwa v8, v8, v53 dst_sel:DWORD dst_unused:UNUSED_PAD src0_sel:DWORD src1_sel:BYTE_0
	s_and_b32 s57, s7, 0xff000000
	s_mov_b32 s56, s53
	s_and_b32 s59, s7, 0xff0000
	s_mov_b32 s58, s53
	v_and_b32_e32 v1, 0xff000000, v53
	v_or_b32_e32 v5, v8, v5
	s_and_b32 s61, s7, 0xff00
	s_mov_b32 s60, s53
	s_and_b32 s62, s7, 0xff
	s_or_b64 s[52:53], s[56:57], s[58:59]
	v_or_b32_e32 v50, v5, v1
	s_or_b64 s[52:53], s[52:53], s[60:61]
	v_mov_b32_e32 v1, s62
	v_or_b32_e32 v48, s52, v4
	v_or_b32_e32 v49, s53, v1
	v_mov_b32_e32 v51, 1
	v_pk_mov_b32 v[16:17], s[54:55], s[54:55] op_sel:[0,1]
	;;#ASMSTART
	global_store_dwordx4 v[16:17], v[48:51] off	
s_waitcnt vmcnt(0)
	;;#ASMEND
.LBB1976_159:
	s_or_b64 exec, exec, s[46:47]
	v_xad_u32 v8, v9, -1, s6
	v_add_u32_e32 v12, 64, v8
	v_lshlrev_b64 v[16:17], 4, v[12:13]
	v_mov_b32_e32 v1, s89
	v_add_co_u32_e32 v16, vcc, s88, v16
	v_addc_co_u32_e32 v17, vcc, v1, v17, vcc
	;;#ASMSTART
	global_load_dwordx4 v[48:51], v[16:17] off glc	
s_waitcnt vmcnt(0)
	;;#ASMEND
	v_lshlrev_b64 v[54:55], 24, v[50:51]
	v_lshrrev_b32_e32 v1, 8, v49
	v_or_b32_e32 v20, v1, v54
	v_lshlrev_b64 v[54:55], 16, v[50:51]
	v_or_b32_sdwa v24, v49, v54 dst_sel:DWORD dst_unused:UNUSED_PAD src0_sel:WORD_1 src1_sel:DWORD
	v_lshlrev_b64 v[54:55], 8, v[50:51]
	v_alignbit_b32 v5, v49, v48, 8
	v_alignbit_b32 v32, v49, v48, 16
	;; [unrolled: 1-line block ×3, first 2 shown]
	v_mov_b32_e32 v12, v49
	v_or_b32_sdwa v28, v49, v54 dst_sel:DWORD dst_unused:UNUSED_PAD src0_sel:BYTE_3 src1_sel:DWORD
	v_cmp_eq_u16_sdwa s[52:53], v51, v13 src0_sel:BYTE_0 src1_sel:DWORD
	s_and_saveexec_b64 s[46:47], s[52:53]
	s_cbranch_execz .LBB1976_165
; %bb.160:
	s_mov_b32 s54, 1
	s_mov_b64 s[52:53], 0
	v_mov_b32_e32 v1, 0
.LBB1976_161:                           ; =>This Loop Header: Depth=1
                                        ;     Child Loop BB1976_162 Depth 2
	s_max_u32 s55, s54, 1
.LBB1976_162:                           ;   Parent Loop BB1976_161 Depth=1
                                        ; =>  This Inner Loop Header: Depth=2
	s_add_i32 s55, s55, -1
	s_cmp_eq_u32 s55, 0
	s_sleep 1
	s_cbranch_scc0 .LBB1976_162
; %bb.163:                              ;   in Loop: Header=BB1976_161 Depth=1
	s_cmp_lt_u32 s54, 32
	s_cselect_b64 s[56:57], -1, 0
	s_cmp_lg_u64 s[56:57], 0
	s_addc_u32 s54, s54, 0
	;;#ASMSTART
	global_load_dwordx4 v[48:51], v[16:17] off glc	
s_waitcnt vmcnt(0)
	;;#ASMEND
	v_cmp_ne_u16_sdwa s[56:57], v51, v1 src0_sel:BYTE_0 src1_sel:DWORD
	s_or_b64 s[52:53], s[56:57], s[52:53]
	s_andn2_b64 exec, exec, s[52:53]
	s_cbranch_execnz .LBB1976_161
; %bb.164:
	s_or_b64 exec, exec, s[52:53]
	v_lshlrev_b64 v[16:17], 24, v[50:51]
	v_lshrrev_b32_e32 v1, 8, v49
	v_or_b32_e32 v20, v1, v16
	v_lshlrev_b64 v[16:17], 16, v[50:51]
	v_or_b32_sdwa v24, v49, v16 dst_sel:DWORD dst_unused:UNUSED_PAD src0_sel:WORD_1 src1_sel:DWORD
	v_lshlrev_b64 v[16:17], 8, v[50:51]
	v_alignbit_b32 v5, v49, v48, 8
	v_alignbit_b32 v32, v49, v48, 16
	;; [unrolled: 1-line block ×3, first 2 shown]
	v_mov_b32_e32 v12, v49
	v_or_b32_sdwa v28, v49, v16 dst_sel:DWORD dst_unused:UNUSED_PAD src0_sel:BYTE_3 src1_sel:DWORD
.LBB1976_165:
	s_or_b64 exec, exec, s[46:47]
	v_lshlrev_b32_e32 v13, 16, v24
	v_lshlrev_b32_e32 v1, 24, v28
	v_and_b32_e32 v13, 0xff0000, v13
	v_or_b32_e32 v1, v13, v1
	v_lshlrev_b32_e32 v13, 8, v20
	v_and_b32_e32 v13, 0xff00, v13
	v_and_b32_e32 v12, 0xff, v12
	v_or3_b32 v1, v1, v13, v12
	v_lshlrev_b32_e32 v12, 16, v32
	s_mov_b32 s46, 0x4020c0c
	v_lshlrev_b32_e32 v5, 8, v5
	v_perm_b32 v12, v21, v12, s46
	s_mov_b32 s46, 0xc0c0500
	v_perm_b32 v5, v5, v48, s46
	v_or_b32_e32 v20, v5, v12
	v_mov_b32_e32 v5, 2
	v_cmp_eq_u16_sdwa s[46:47], v51, v5 src0_sel:BYTE_0 src1_sel:DWORD
	v_lshlrev_b64 v[12:13], v9, -1
	v_and_b32_e32 v5, s47, v13
	v_or_b32_e32 v5, 0x80000000, v5
	v_ffbl_b32_e32 v32, v5
	v_and_b32_e32 v5, 63, v9
	v_cmp_ne_u32_e32 vcc, 63, v5
	v_addc_co_u32_e32 v17, vcc, 0, v9, vcc
	v_and_b32_e32 v24, 0xff, v50
	v_lshlrev_b32_e32 v54, 2, v17
	ds_bpermute_b32 v28, v54, v20
	ds_bpermute_b32 v21, v54, v1
	;; [unrolled: 1-line block ×3, first 2 shown]
	v_and_b32_e32 v16, s46, v12
	v_add_u32_e32 v32, 32, v32
	v_ffbl_b32_e32 v16, v16
	v_min_u32_e32 v16, v16, v32
	v_cmp_lt_u32_e32 vcc, v5, v16
	s_and_saveexec_b64 s[46:47], vcc
	s_cbranch_execz .LBB1976_167
; %bb.166:
	v_mov_b32_e32 v24, 0
	v_cmp_eq_u16_sdwa vcc, v50, v24 src0_sel:BYTE_0 src1_sel:DWORD
	s_waitcnt lgkmcnt(0)
	v_or_b32_e32 v17, v50, v17
	v_cndmask_b32_e32 v24, 0, v28, vcc
	v_cndmask_b32_e32 v21, 0, v21, vcc
	v_and_b32_e32 v50, 1, v17
	v_add_u32_e32 v20, v24, v20
	v_add_u32_e32 v1, v21, v1
	v_and_b32_e32 v24, 0xffff, v50
.LBB1976_167:
	s_or_b64 exec, exec, s[46:47]
	v_cmp_gt_u32_e32 vcc, 62, v5
	s_waitcnt lgkmcnt(0)
	v_cndmask_b32_e64 v17, 0, 1, vcc
	v_lshlrev_b32_e32 v17, 1, v17
	v_add_lshl_u32 v55, v17, v9, 2
	ds_bpermute_b32 v21, v55, v20
	ds_bpermute_b32 v28, v55, v1
	ds_bpermute_b32 v17, v55, v24
	v_add_u32_e32 v56, 2, v5
	v_cmp_le_u32_e32 vcc, v56, v16
	s_and_saveexec_b64 s[46:47], vcc
	s_cbranch_execz .LBB1976_169
; %bb.168:
	v_mov_b32_e32 v24, 0
	s_waitcnt lgkmcnt(0)
	v_or_b32_e32 v17, v17, v50
	v_add_u32_e32 v21, v21, v20
	v_add_u32_e32 v28, v28, v1
	v_cmp_eq_u16_sdwa vcc, v50, v24 src0_sel:BYTE_0 src1_sel:DWORD
	v_and_b32_e32 v24, 1, v17
	v_cndmask_b32_e32 v20, v20, v21, vcc
	v_cndmask_b32_e32 v1, v1, v28, vcc
	v_mov_b32_e32 v50, v24
.LBB1976_169:
	s_or_b64 exec, exec, s[46:47]
	v_cmp_gt_u32_e32 vcc, 60, v5
	s_waitcnt lgkmcnt(0)
	v_cndmask_b32_e64 v17, 0, 1, vcc
	v_lshlrev_b32_e32 v17, 2, v17
	v_add_lshl_u32 v57, v17, v9, 2
	ds_bpermute_b32 v21, v57, v20
	ds_bpermute_b32 v28, v57, v1
	ds_bpermute_b32 v17, v57, v24
	v_add_u32_e32 v58, 4, v5
	v_cmp_le_u32_e32 vcc, v58, v16
	s_and_saveexec_b64 s[46:47], vcc
	s_cbranch_execz .LBB1976_171
; %bb.170:
	v_mov_b32_e32 v24, 0
	s_waitcnt lgkmcnt(0)
	v_or_b32_e32 v17, v17, v50
	v_add_u32_e32 v21, v21, v20
	v_add_u32_e32 v28, v28, v1
	v_cmp_eq_u16_sdwa vcc, v50, v24 src0_sel:BYTE_0 src1_sel:DWORD
	v_and_b32_e32 v24, 1, v17
	v_cndmask_b32_e32 v20, v20, v21, vcc
	v_cndmask_b32_e32 v1, v1, v28, vcc
	v_mov_b32_e32 v50, v24
.LBB1976_171:
	;; [unrolled: 25-line block ×4, first 2 shown]
	s_or_b64 exec, exec, s[46:47]
	v_cmp_gt_u32_e32 vcc, 32, v5
	s_waitcnt lgkmcnt(0)
	v_cndmask_b32_e64 v17, 0, 1, vcc
	v_lshlrev_b32_e32 v17, 5, v17
	v_add_lshl_u32 v64, v17, v9, 2
	ds_bpermute_b32 v17, v64, v20
	ds_bpermute_b32 v21, v64, v1
	;; [unrolled: 1-line block ×3, first 2 shown]
	v_add_u32_e32 v65, 32, v5
	v_cmp_le_u32_e32 vcc, v65, v16
	s_and_saveexec_b64 s[46:47], vcc
	s_cbranch_execz .LBB1976_177
; %bb.176:
	v_mov_b32_e32 v16, 0
	s_waitcnt lgkmcnt(2)
	v_add_u32_e32 v17, v17, v20
	s_waitcnt lgkmcnt(1)
	v_add_u32_e32 v21, v21, v1
	v_cmp_eq_u16_sdwa vcc, v50, v16 src0_sel:BYTE_0 src1_sel:DWORD
	s_waitcnt lgkmcnt(0)
	v_or_b32_e32 v9, v9, v50
	v_cndmask_b32_e32 v20, v20, v17, vcc
	v_cndmask_b32_e32 v1, v1, v21, vcc
	v_and_b32_e32 v24, 1, v9
.LBB1976_177:
	s_or_b64 exec, exec, s[46:47]
	s_movk_i32 s54, 0xff
	s_waitcnt lgkmcnt(0)
	v_mov_b32_e32 v9, 0
	s_mov_b32 s55, 0x4020c0c
	s_mov_b32 s56, 0xc0c0500
	v_mov_b32_e32 v66, 2
	s_branch .LBB1976_179
.LBB1976_178:                           ;   in Loop: Header=BB1976_179 Depth=1
	s_or_b64 exec, exec, s[46:47]
	s_waitcnt lgkmcnt(0)
	ds_bpermute_b32 v28, v64, v20
	ds_bpermute_b32 v32, v64, v1
	ds_bpermute_b32 v36, v64, v24
	v_cmp_eq_u16_sdwa vcc, v50, v9 src0_sel:BYTE_0 src1_sel:DWORD
	v_subrev_u32_e32 v8, 64, v8
	s_waitcnt lgkmcnt(2)
	v_add_u32_e32 v28, v28, v20
	s_waitcnt lgkmcnt(1)
	v_add_u32_e32 v32, v32, v1
	v_cndmask_b32_e32 v28, v20, v28, vcc
	v_cndmask_b32_e32 v32, v1, v32, vcc
	s_waitcnt lgkmcnt(0)
	v_and_or_b32 v36, v50, s54, v36
	v_cmp_gt_u32_e32 vcc, v65, v21
	v_cndmask_b32_e32 v21, v36, v24, vcc
	v_cndmask_b32_e32 v20, v28, v20, vcc
	v_cndmask_b32_e32 v1, v32, v1, vcc
	v_cmp_eq_u16_sdwa vcc, v63, v9 src0_sel:BYTE_0 src1_sel:DWORD
	v_and_b32_e32 v24, 1, v63
	v_and_b32_e32 v21, 1, v21
	v_cndmask_b32_e32 v20, 0, v20, vcc
	v_cndmask_b32_e32 v1, 0, v1, vcc
	v_cmp_eq_u32_e32 vcc, 1, v24
	v_cmp_eq_u32_e64 s[46:47], 1, v21
	s_or_b64 s[46:47], vcc, s[46:47]
	v_add_u32_e32 v20, v20, v16
	v_add_u32_e32 v1, v1, v17
	v_cndmask_b32_e64 v24, 0, 1, s[46:47]
.LBB1976_179:                           ; =>This Loop Header: Depth=1
                                        ;     Child Loop BB1976_182 Depth 2
                                        ;       Child Loop BB1976_183 Depth 3
	v_cmp_ne_u16_sdwa s[46:47], v51, v66 src0_sel:BYTE_0 src1_sel:DWORD
	v_mov_b32_e32 v17, v1
	v_cndmask_b32_e64 v1, 0, 1, s[46:47]
	;;#ASMSTART
	;;#ASMEND
	v_cmp_ne_u32_e32 vcc, 0, v1
	v_mov_b32_e32 v63, v24
	s_cmp_lg_u64 vcc, exec
	v_mov_b32_e32 v16, v20
	s_cbranch_scc1 .LBB1976_196
; %bb.180:                              ;   in Loop: Header=BB1976_179 Depth=1
	v_lshlrev_b64 v[20:21], 4, v[8:9]
	v_mov_b32_e32 v1, s89
	v_add_co_u32_e32 v20, vcc, s88, v20
	v_addc_co_u32_e32 v21, vcc, v1, v21, vcc
	;;#ASMSTART
	global_load_dwordx4 v[48:51], v[20:21] off glc	
s_waitcnt vmcnt(0)
	;;#ASMEND
	v_lshlrev_b64 v[70:71], 24, v[50:51]
	v_lshrrev_b32_e32 v1, 8, v49
	v_or_b32_e32 v28, v1, v70
	v_lshlrev_b64 v[70:71], 16, v[50:51]
	v_or_b32_sdwa v32, v49, v70 dst_sel:DWORD dst_unused:UNUSED_PAD src0_sel:WORD_1 src1_sel:DWORD
	v_lshlrev_b64 v[70:71], 8, v[50:51]
	v_alignbit_b32 v67, v49, v48, 8
	v_alignbit_b32 v68, v49, v48, 16
	;; [unrolled: 1-line block ×3, first 2 shown]
	v_mov_b32_e32 v24, v49
	v_or_b32_sdwa v36, v49, v70 dst_sel:DWORD dst_unused:UNUSED_PAD src0_sel:BYTE_3 src1_sel:DWORD
	v_cmp_eq_u16_sdwa s[52:53], v51, v9 src0_sel:BYTE_0 src1_sel:DWORD
	s_and_saveexec_b64 s[46:47], s[52:53]
	s_cbranch_execz .LBB1976_186
; %bb.181:                              ;   in Loop: Header=BB1976_179 Depth=1
	s_mov_b32 s57, 1
	s_mov_b64 s[52:53], 0
.LBB1976_182:                           ;   Parent Loop BB1976_179 Depth=1
                                        ; =>  This Loop Header: Depth=2
                                        ;       Child Loop BB1976_183 Depth 3
	s_max_u32 s58, s57, 1
.LBB1976_183:                           ;   Parent Loop BB1976_179 Depth=1
                                        ;     Parent Loop BB1976_182 Depth=2
                                        ; =>    This Inner Loop Header: Depth=3
	s_add_i32 s58, s58, -1
	s_cmp_eq_u32 s58, 0
	s_sleep 1
	s_cbranch_scc0 .LBB1976_183
; %bb.184:                              ;   in Loop: Header=BB1976_182 Depth=2
	s_cmp_lt_u32 s57, 32
	s_cselect_b64 s[58:59], -1, 0
	s_cmp_lg_u64 s[58:59], 0
	s_addc_u32 s57, s57, 0
	;;#ASMSTART
	global_load_dwordx4 v[48:51], v[20:21] off glc	
s_waitcnt vmcnt(0)
	;;#ASMEND
	v_cmp_ne_u16_sdwa s[58:59], v51, v9 src0_sel:BYTE_0 src1_sel:DWORD
	s_or_b64 s[52:53], s[58:59], s[52:53]
	s_andn2_b64 exec, exec, s[52:53]
	s_cbranch_execnz .LBB1976_182
; %bb.185:                              ;   in Loop: Header=BB1976_179 Depth=1
	s_or_b64 exec, exec, s[52:53]
	v_lshlrev_b64 v[20:21], 24, v[50:51]
	v_lshrrev_b32_e32 v1, 8, v49
	v_or_b32_e32 v28, v1, v20
	v_lshlrev_b64 v[20:21], 16, v[50:51]
	v_or_b32_sdwa v32, v49, v20 dst_sel:DWORD dst_unused:UNUSED_PAD src0_sel:WORD_1 src1_sel:DWORD
	v_lshlrev_b64 v[20:21], 8, v[50:51]
	v_alignbit_b32 v67, v49, v48, 8
	v_alignbit_b32 v68, v49, v48, 16
	;; [unrolled: 1-line block ×3, first 2 shown]
	v_mov_b32_e32 v24, v49
	v_or_b32_sdwa v36, v49, v20 dst_sel:DWORD dst_unused:UNUSED_PAD src0_sel:BYTE_3 src1_sel:DWORD
.LBB1976_186:                           ;   in Loop: Header=BB1976_179 Depth=1
	s_or_b64 exec, exec, s[46:47]
	v_lshlrev_b32_e32 v20, 16, v32
	v_lshlrev_b32_e32 v1, 24, v36
	v_and_b32_e32 v20, 0xff0000, v20
	v_or_b32_e32 v1, v20, v1
	v_lshlrev_b32_e32 v20, 8, v28
	v_and_b32_e32 v20, 0xff00, v20
	v_and_b32_e32 v21, 0xff, v24
	v_or3_b32 v1, v1, v20, v21
	v_lshlrev_b32_e32 v20, 16, v68
	v_lshlrev_b32_e32 v21, 8, v67
	v_perm_b32 v20, v69, v20, s55
	v_perm_b32 v21, v21, v48, s56
	v_cmp_eq_u16_sdwa s[46:47], v51, v66 src0_sel:BYTE_0 src1_sel:DWORD
	v_or_b32_e32 v20, v21, v20
	v_and_b32_e32 v21, s47, v13
	v_and_b32_e32 v24, 0xff, v50
	v_or_b32_e32 v21, 0x80000000, v21
	ds_bpermute_b32 v36, v54, v20
	ds_bpermute_b32 v32, v54, v1
	;; [unrolled: 1-line block ×3, first 2 shown]
	v_and_b32_e32 v48, s46, v12
	v_ffbl_b32_e32 v21, v21
	v_add_u32_e32 v21, 32, v21
	v_ffbl_b32_e32 v48, v48
	v_min_u32_e32 v21, v48, v21
	v_cmp_lt_u32_e32 vcc, v5, v21
	s_and_saveexec_b64 s[46:47], vcc
	s_cbranch_execz .LBB1976_188
; %bb.187:                              ;   in Loop: Header=BB1976_179 Depth=1
	v_cmp_eq_u16_sdwa vcc, v50, v9 src0_sel:BYTE_0 src1_sel:DWORD
	s_waitcnt lgkmcnt(2)
	v_cndmask_b32_e32 v24, 0, v36, vcc
	v_add_u32_e32 v20, v24, v20
	s_waitcnt lgkmcnt(1)
	v_cndmask_b32_e32 v24, 0, v32, vcc
	v_add_u32_e32 v1, v24, v1
	s_waitcnt lgkmcnt(0)
	v_or_b32_e32 v24, v28, v50
	v_and_b32_e32 v24, 1, v24
	v_mov_b32_e32 v50, v24
.LBB1976_188:                           ;   in Loop: Header=BB1976_179 Depth=1
	s_or_b64 exec, exec, s[46:47]
	s_waitcnt lgkmcnt(1)
	ds_bpermute_b32 v32, v55, v20
	ds_bpermute_b32 v36, v55, v1
	s_waitcnt lgkmcnt(2)
	ds_bpermute_b32 v28, v55, v24
	v_cmp_le_u32_e32 vcc, v56, v21
	s_and_saveexec_b64 s[46:47], vcc
	s_cbranch_execz .LBB1976_190
; %bb.189:                              ;   in Loop: Header=BB1976_179 Depth=1
	s_waitcnt lgkmcnt(2)
	v_add_u32_e32 v24, v32, v20
	v_cmp_eq_u16_sdwa vcc, v50, v9 src0_sel:BYTE_0 src1_sel:DWORD
	v_cndmask_b32_e32 v20, v20, v24, vcc
	s_waitcnt lgkmcnt(0)
	v_or_b32_e32 v24, v28, v50
	v_add_u32_e32 v32, v36, v1
	v_and_b32_e32 v24, 1, v24
	v_cndmask_b32_e32 v1, v1, v32, vcc
	v_mov_b32_e32 v50, v24
.LBB1976_190:                           ;   in Loop: Header=BB1976_179 Depth=1
	s_or_b64 exec, exec, s[46:47]
	s_waitcnt lgkmcnt(2)
	ds_bpermute_b32 v32, v57, v20
	s_waitcnt lgkmcnt(2)
	ds_bpermute_b32 v36, v57, v1
	s_waitcnt lgkmcnt(2)
	ds_bpermute_b32 v28, v57, v24
	v_cmp_le_u32_e32 vcc, v58, v21
	s_and_saveexec_b64 s[46:47], vcc
	s_cbranch_execz .LBB1976_192
; %bb.191:                              ;   in Loop: Header=BB1976_179 Depth=1
	s_waitcnt lgkmcnt(2)
	v_add_u32_e32 v24, v32, v20
	v_cmp_eq_u16_sdwa vcc, v50, v9 src0_sel:BYTE_0 src1_sel:DWORD
	v_cndmask_b32_e32 v20, v20, v24, vcc
	s_waitcnt lgkmcnt(0)
	v_or_b32_e32 v24, v28, v50
	v_add_u32_e32 v32, v36, v1
	v_and_b32_e32 v24, 1, v24
	v_cndmask_b32_e32 v1, v1, v32, vcc
	v_mov_b32_e32 v50, v24
.LBB1976_192:                           ;   in Loop: Header=BB1976_179 Depth=1
	s_or_b64 exec, exec, s[46:47]
	s_waitcnt lgkmcnt(2)
	ds_bpermute_b32 v32, v59, v20
	s_waitcnt lgkmcnt(2)
	;; [unrolled: 22-line block ×3, first 2 shown]
	ds_bpermute_b32 v36, v61, v1
	s_waitcnt lgkmcnt(2)
	ds_bpermute_b32 v28, v61, v24
	v_cmp_le_u32_e32 vcc, v62, v21
	s_and_saveexec_b64 s[46:47], vcc
	s_cbranch_execz .LBB1976_178
; %bb.195:                              ;   in Loop: Header=BB1976_179 Depth=1
	s_waitcnt lgkmcnt(2)
	v_add_u32_e32 v24, v32, v20
	v_cmp_eq_u16_sdwa vcc, v50, v9 src0_sel:BYTE_0 src1_sel:DWORD
	v_cndmask_b32_e32 v20, v20, v24, vcc
	s_waitcnt lgkmcnt(0)
	v_or_b32_e32 v24, v28, v50
	v_add_u32_e32 v32, v36, v1
	v_and_b32_e32 v24, 1, v24
	v_cndmask_b32_e32 v1, v1, v32, vcc
	v_mov_b32_e32 v50, v24
	s_branch .LBB1976_178
.LBB1976_196:                           ;   in Loop: Header=BB1976_179 Depth=1
                                        ; implicit-def: $vgpr24
                                        ; implicit-def: $vgpr1
                                        ; implicit-def: $vgpr51
                                        ; implicit-def: $vgpr20_vgpr21
	s_cbranch_execz .LBB1976_179
; %bb.197:
	s_and_saveexec_b64 s[46:47], s[44:45]
	s_cbranch_execz .LBB1976_199
; %bb.198:
	v_mov_b32_e32 v1, 0
	v_cmp_eq_u16_sdwa vcc, v53, v1 src0_sel:BYTE_0 src1_sel:DWORD
	v_cndmask_b32_e32 v1, 0, v16, vcc
	s_mov_b32 s45, 0
	v_add_u32_e32 v1, v1, v4
	v_cndmask_b32_e32 v4, 0, v17, vcc
	v_or_b32_e32 v5, v53, v63
	s_add_i32 s44, s6, 64
	v_add_u32_e32 v4, s7, v4
	v_and_b32_e32 v5, 1, v5
	s_lshl_b64 s[6:7], s[44:45], 4
	s_add_u32 s6, s88, s6
	v_cmp_eq_u32_e32 vcc, 1, v5
	v_and_b32_e32 v5, 0xff000000, v4
	v_and_b32_e32 v8, 0xff0000, v4
	s_addc_u32 s7, s89, s7
	v_and_b32_e32 v9, 0xff00, v4
	v_and_b32_e32 v4, 0xff, v4
	v_or_b32_e32 v5, v5, v8
	v_cndmask_b32_e64 v50, 0, 1, vcc
	v_or3_b32 v49, v5, v9, v4
	v_or3_b32 v48, 0, 0, v1
	v_mov_b32_e32 v51, 2
	v_pk_mov_b32 v[4:5], s[6:7], s[6:7] op_sel:[0,1]
	;;#ASMSTART
	global_store_dwordx4 v[4:5], v[48:51] off	
s_waitcnt vmcnt(0)
	;;#ASMEND
.LBB1976_199:
	s_or_b64 exec, exec, s[46:47]
	v_cmp_eq_u32_e32 vcc, 0, v0
	s_and_b64 exec, exec, vcc
	s_cbranch_execz .LBB1976_201
; %bb.200:
	v_mov_b32_e32 v1, 0
	ds_write_b64 v1, v[16:17]
	ds_write_b8 v1, v63 offset:8
.LBB1976_201:
	s_or_b64 exec, exec, s[48:49]
	v_mov_b32_e32 v1, 0
	s_waitcnt lgkmcnt(0)
	; wave barrier
	s_waitcnt lgkmcnt(0)
	ds_read_b64 v[4:5], v1
	v_cmp_ne_u32_e32 vcc, 0, v0
	v_mov_b32_e32 v8, v3
	v_mov_b32_e32 v9, v2
	;; [unrolled: 1-line block ×3, first 2 shown]
	s_and_saveexec_b64 s[44:45], vcc
; %bb.202:
	v_cmp_eq_u16_sdwa vcc, v104, v1 src0_sel:BYTE_0 src1_sel:DWORD
	v_cndmask_b32_e32 v8, 0, v52, vcc
	v_and_b32_e32 v12, 1, v104
	v_add_u32_e32 v9, v8, v2
	v_cndmask_b32_e32 v8, 0, v45, vcc
	v_cmp_eq_u32_e32 vcc, 1, v12
	v_and_b32_e32 v12, 1, v44
	v_cmp_eq_u32_e64 s[6:7], 1, v12
	s_or_b64 s[6:7], vcc, s[6:7]
	v_add_u32_e32 v8, v8, v3
	v_cndmask_b32_e64 v12, 0, 1, s[6:7]
; %bb.203:
	s_or_b64 exec, exec, s[44:45]
	v_cmp_eq_u16_sdwa vcc, v12, v1 src0_sel:BYTE_0 src1_sel:DWORD
	s_waitcnt lgkmcnt(0)
	v_cndmask_b32_e32 v1, 0, v4, vcc
	v_add_u32_e32 v82, v1, v9
	v_cndmask_b32_e32 v1, 0, v5, vcc
	v_add_u32_e32 v83, v1, v8
	v_cndmask_b32_e64 v1, 0, v82, s[2:3]
	v_add_u32_e32 v44, v1, v6
	v_cndmask_b32_e64 v1, 0, v83, s[2:3]
	;; [unrolled: 2-line block ×39, first 2 shown]
	v_cndmask_b32_e64 v8, 0, v103, s[42:43]
	s_branch .LBB1976_228
.LBB1976_204:
                                        ; implicit-def: $vgpr80_vgpr81_vgpr82_vgpr83
                                        ; implicit-def: $vgpr8
                                        ; implicit-def: $vgpr1
                                        ; implicit-def: $vgpr103
                                        ; implicit-def: $vgpr101
                                        ; implicit-def: $vgpr99
                                        ; implicit-def: $vgpr97
                                        ; implicit-def: $vgpr95
                                        ; implicit-def: $vgpr93
                                        ; implicit-def: $vgpr91
                                        ; implicit-def: $vgpr89
                                        ; implicit-def: $vgpr87
                                        ; implicit-def: $vgpr45
                                        ; implicit-def: $vgpr76_vgpr77_vgpr78_vgpr79
                                        ; implicit-def: $vgpr72_vgpr73_vgpr74_vgpr75
                                        ; implicit-def: $vgpr68_vgpr69_vgpr70_vgpr71
                                        ; implicit-def: $vgpr64_vgpr65_vgpr66_vgpr67
                                        ; implicit-def: $vgpr60_vgpr61_vgpr62_vgpr63
                                        ; implicit-def: $vgpr56_vgpr57_vgpr58_vgpr59
                                        ; implicit-def: $vgpr52_vgpr53_vgpr54_vgpr55
                                        ; implicit-def: $vgpr48_vgpr49_vgpr50_vgpr51
                                        ; implicit-def: $vgpr82_vgpr83_vgpr84_vgpr85
	s_cbranch_execz .LBB1976_228
; %bb.205:
	v_readlane_b32 s4, v134, 0
	v_readlane_b32 s6, v134, 2
	;; [unrolled: 1-line block ×3, first 2 shown]
	s_cmp_lg_u64 s[94:95], 0
	v_readlane_b32 s5, v134, 1
	s_mov_b64 s[2:3], s[6:7]
	s_cselect_b32 s5, s3, 0
	s_cselect_b32 s4, s2, 0
	s_cmp_lg_u64 s[4:5], 0
	v_readlane_b32 s8, v134, 4
	v_readlane_b32 s9, v134, 5
	s_cselect_b64 s[6:7], -1, 0
	v_cmp_eq_u32_e32 vcc, 0, v0
	v_cmp_ne_u32_e64 s[2:3], 0, v0
	s_and_b64 s[8:9], vcc, s[6:7]
	v_readlane_b32 s10, v134, 6
	v_readlane_b32 s11, v134, 7
	s_and_saveexec_b64 s[6:7], s[8:9]
	s_cbranch_execz .LBB1976_209
; %bb.206:
	v_mov_b32_e32 v1, 0
	v_cmp_eq_u16_sdwa s[10:11], v104, v1 src0_sel:BYTE_0 src1_sel:DWORD
	s_and_saveexec_b64 s[8:9], s[10:11]
	s_cbranch_execz .LBB1976_208
; %bb.207:
	global_load_dwordx2 v[4:5], v1, s[4:5]
	s_waitcnt vmcnt(0)
	v_add_u32_e32 v2, v4, v2
	v_add_u32_e32 v3, v5, v3
.LBB1976_208:
	s_or_b64 exec, exec, s[8:9]
	global_load_ubyte v1, v1, s[4:5] offset:8
	s_waitcnt vmcnt(0)
	v_or_b32_e32 v1, v104, v1
	v_and_b32_e32 v104, 1, v1
.LBB1976_209:
	s_or_b64 exec, exec, s[6:7]
	v_mov_b32_e32 v1, 0
	v_cmp_eq_u16_sdwa s[4:5], v123, v1 src0_sel:BYTE_0 src1_sel:DWORD
	v_cndmask_b32_e64 v4, 0, v2, s[4:5]
	v_add_u32_e32 v44, v4, v6
	v_cndmask_b32_e64 v4, 0, v3, s[4:5]
	v_cmp_eq_u16_sdwa s[6:7], v133, v1 src0_sel:BYTE_0 src1_sel:DWORD
	v_add_u32_e32 v45, v4, v7
	v_cndmask_b32_e64 v4, 0, v44, s[6:7]
	s_movk_i32 s40, 0xff
	v_add_u32_e32 v48, v4, v127
	v_cndmask_b32_e64 v4, 0, v45, s[6:7]
	v_add_u32_e32 v49, v4, v126
	v_and_b32_sdwa v4, v123, s40 dst_sel:DWORD dst_unused:UNUSED_PAD src0_sel:WORD_1 src1_sel:DWORD
	v_cmp_eq_u16_e64 s[8:9], 0, v4
	v_cndmask_b32_e64 v4, 0, v48, s[8:9]
	v_add_u32_e32 v86, v4, v10
	v_cndmask_b32_e64 v4, 0, v49, s[8:9]
	v_cmp_eq_u16_sdwa s[10:11], v123, v1 src0_sel:BYTE_3 src1_sel:DWORD
	v_add_u32_e32 v87, v4, v11
	v_cndmask_b32_e64 v4, 0, v86, s[10:11]
	v_add_u32_e32 v52, v4, v125
	v_cndmask_b32_e64 v4, 0, v87, s[10:11]
	v_cmp_eq_u16_sdwa s[12:13], v106, v1 src0_sel:BYTE_0 src1_sel:DWORD
	v_add_u32_e32 v53, v4, v124
	v_cndmask_b32_e64 v4, 0, v52, s[12:13]
	v_add_u32_e32 v88, v4, v14
	v_cndmask_b32_e64 v4, 0, v53, s[12:13]
	v_cmp_eq_u16_sdwa s[14:15], v116, v1 src0_sel:BYTE_0 src1_sel:DWORD
	;; [unrolled: 5-line block ×3, first 2 shown]
	v_add_u32_e32 v57, v4, v121
	v_cndmask_b32_e64 v4, 0, v56, s[16:17]
	v_add_u32_e32 v90, v4, v18
	v_cndmask_b32_e64 v4, 0, v57, s[16:17]
	v_add_u32_e32 v91, v4, v19
	v_and_b32_sdwa v4, v116, s40 dst_sel:DWORD dst_unused:UNUSED_PAD src0_sel:WORD_1 src1_sel:DWORD
	v_cmp_eq_u16_e64 s[18:19], 0, v4
	v_cndmask_b32_e64 v4, 0, v90, s[18:19]
	v_add_u32_e32 v60, v4, v120
	v_cndmask_b32_e64 v4, 0, v91, s[18:19]
	v_cmp_eq_u16_sdwa s[20:21], v116, v1 src0_sel:BYTE_3 src1_sel:DWORD
	v_add_u32_e32 v61, v4, v119
	v_cndmask_b32_e64 v4, 0, v60, s[20:21]
	v_add_u32_e32 v92, v4, v22
	v_cndmask_b32_e64 v4, 0, v61, s[20:21]
	v_cmp_eq_u16_sdwa s[22:23], v107, v1 src0_sel:BYTE_0 src1_sel:DWORD
	v_add_u32_e32 v93, v4, v23
	v_cndmask_b32_e64 v4, 0, v92, s[22:23]
	v_add_u32_e32 v64, v4, v118
	v_cndmask_b32_e64 v4, 0, v93, s[22:23]
	v_cmp_eq_u16_sdwa s[24:25], v111, v1 src0_sel:BYTE_0 src1_sel:DWORD
	;; [unrolled: 5-line block ×3, first 2 shown]
	v_add_u32_e32 v95, v4, v31
	v_cndmask_b32_e64 v4, 0, v94, s[26:27]
	v_add_u32_e32 v68, v4, v115
	v_cndmask_b32_e64 v4, 0, v95, s[26:27]
	v_add_u32_e32 v69, v4, v114
	v_and_b32_sdwa v4, v111, s40 dst_sel:DWORD dst_unused:UNUSED_PAD src0_sel:WORD_1 src1_sel:DWORD
	v_cmp_eq_u16_e64 s[28:29], 0, v4
	v_cndmask_b32_e64 v4, 0, v68, s[28:29]
	v_add_u32_e32 v96, v4, v38
	v_cndmask_b32_e64 v4, 0, v69, s[28:29]
	v_cmp_eq_u16_sdwa s[30:31], v111, v1 src0_sel:BYTE_3 src1_sel:DWORD
	v_add_u32_e32 v97, v4, v39
	v_cndmask_b32_e64 v4, 0, v96, s[30:31]
	v_add_u32_e32 v72, v4, v113
	v_cndmask_b32_e64 v4, 0, v97, s[30:31]
	v_cmp_eq_u16_sdwa s[34:35], v105, v1 src0_sel:BYTE_0 src1_sel:DWORD
	v_or_b32_e32 v12, v108, v111
	v_add_u32_e32 v73, v4, v112
	v_cndmask_b32_e64 v4, 0, v72, s[34:35]
	v_or3_b32 v12, v12, v116, v123
	v_add_u32_e32 v98, v4, v42
	v_cndmask_b32_e64 v4, 0, v73, s[34:35]
	v_cmp_eq_u16_sdwa s[36:37], v108, v1 src0_sel:BYTE_0 src1_sel:DWORD
	v_lshrrev_b16_e32 v16, 7, v12
	v_add_u32_e32 v99, v4, v43
	v_cndmask_b32_e64 v4, 0, v98, s[36:37]
	v_and_b32_e32 v13, 1, v12
	v_and_b32_e32 v16, 2, v16
	v_add_u32_e32 v76, v4, v110
	v_cndmask_b32_e64 v4, 0, v99, s[36:37]
	v_cmp_eq_u16_sdwa s[38:39], v130, v1 src0_sel:BYTE_0 src1_sel:DWORD
	v_or_b32_e32 v13, v13, v16
	v_lshrrev_b32_e32 v16, 23, v12
	v_mov_b32_e32 v17, 1
	v_add_u32_e32 v77, v4, v109
	v_cndmask_b32_e64 v4, 0, v76, s[38:39]
	v_and_b32_e32 v16, 2, v16
	v_and_b32_sdwa v12, v12, v17 dst_sel:DWORD dst_unused:UNUSED_PAD src0_sel:WORD_1 src1_sel:DWORD
	v_add_u32_e32 v100, v4, v46
	v_cndmask_b32_e64 v4, 0, v77, s[38:39]
	v_or_b32_e32 v12, v12, v16
	v_add_u32_e32 v101, v4, v47
	v_and_b32_sdwa v4, v108, s40 dst_sel:DWORD dst_unused:UNUSED_PAD src0_sel:WORD_1 src1_sel:DWORD
	v_lshlrev_b16_e32 v12, 2, v12
	v_cmp_eq_u16_e64 s[40:41], 0, v4
	v_or_b32_e32 v12, v13, v12
	v_cndmask_b32_e64 v4, 0, v100, s[40:41]
	v_cmp_eq_u32_e64 s[52:53], 1, v129
	v_cmp_ne_u16_e64 s[54:55], 0, v12
	v_add_u32_e32 v80, v4, v34
	v_cndmask_b32_e64 v4, 0, v101, s[40:41]
	v_cmp_eq_u16_sdwa s[42:43], v108, v1 src0_sel:BYTE_3 src1_sel:DWORD
	v_cmp_eq_u32_e64 s[50:51], 1, v128
	s_or_b64 s[52:53], s[54:55], s[52:53]
	v_add_u32_e32 v81, v4, v35
	v_cndmask_b32_e64 v4, 0, v80, s[42:43]
	v_cmp_eq_u32_e64 s[48:49], 1, v41
	s_or_b64 s[50:51], s[52:53], s[50:51]
	v_add_u32_e32 v102, v4, v26
	v_cndmask_b32_e64 v4, 0, v81, s[42:43]
	v_cmp_eq_u32_e64 s[46:47], 1, v37
	s_or_b64 s[48:49], s[50:51], s[48:49]
	v_add_u32_e32 v103, v4, v27
	v_cmp_eq_u16_sdwa s[44:45], v40, v1 src0_sel:BYTE_0 src1_sel:DWORD
	v_and_b32_e32 v9, 0xff, v104
	s_or_b64 s[46:47], s[48:49], s[46:47]
	v_cndmask_b32_e64 v1, 0, v102, s[44:45]
	v_cndmask_b32_e64 v8, 0, v103, s[44:45]
	;; [unrolled: 1-line block ×3, first 2 shown]
	v_mbcnt_hi_u32_b32 v9, -1, v29
	v_add_u32_e32 v4, v1, v25
	v_add_u32_e32 v5, v8, v33
	v_and_b32_e32 v13, 15, v9
	v_mov_b32_dpp v16, v4 row_shr:1 row_mask:0xf bank_mask:0xf
	v_mov_b32_dpp v17, v5 row_shr:1 row_mask:0xf bank_mask:0xf
	;; [unrolled: 1-line block ×3, first 2 shown]
	v_cmp_ne_u32_e64 s[46:47], 0, v13
	s_and_saveexec_b64 s[48:49], s[46:47]
; %bb.210:
	v_cmp_eq_u32_e64 s[46:47], 0, v12
	v_cndmask_b32_e64 v16, 0, v16, s[46:47]
	v_add_u32_e32 v4, v4, v16
	v_cndmask_b32_e64 v16, 0, v17, s[46:47]
	v_add_u32_e32 v5, v5, v16
	v_and_or_b32 v12, v20, 1, v12
; %bb.211:
	s_or_b64 exec, exec, s[48:49]
	v_mov_b32_dpp v17, v4 row_shr:2 row_mask:0xf bank_mask:0xf
	v_mov_b32_dpp v20, v5 row_shr:2 row_mask:0xf bank_mask:0xf
	v_mov_b32_dpp v16, v12 row_shr:2 row_mask:0xf bank_mask:0xf
	v_cmp_lt_u32_e64 s[46:47], 1, v13
	s_and_saveexec_b64 s[48:49], s[46:47]
; %bb.212:
	v_add_u32_e32 v17, v17, v4
	v_add_u32_e32 v20, v20, v5
	v_cmp_eq_u32_e64 s[46:47], 0, v12
	v_or_b32_e32 v12, v16, v12
	v_cndmask_b32_e64 v4, v4, v17, s[46:47]
	v_cndmask_b32_e64 v5, v5, v20, s[46:47]
	v_and_b32_e32 v12, 1, v12
; %bb.213:
	s_or_b64 exec, exec, s[48:49]
	v_mov_b32_dpp v17, v4 row_shr:4 row_mask:0xf bank_mask:0xf
	v_mov_b32_dpp v20, v5 row_shr:4 row_mask:0xf bank_mask:0xf
	v_mov_b32_dpp v16, v12 row_shr:4 row_mask:0xf bank_mask:0xf
	v_cmp_lt_u32_e64 s[46:47], 3, v13
	s_and_saveexec_b64 s[48:49], s[46:47]
; %bb.214:
	v_add_u32_e32 v17, v17, v4
	v_add_u32_e32 v20, v20, v5
	v_cmp_eq_u32_e64 s[46:47], 0, v12
	v_or_b32_e32 v12, v16, v12
	v_cndmask_b32_e64 v4, v4, v17, s[46:47]
	v_cndmask_b32_e64 v5, v5, v20, s[46:47]
	v_and_b32_e32 v12, 1, v12
	;; [unrolled: 15-line block ×3, first 2 shown]
; %bb.217:
	s_or_b64 exec, exec, s[48:49]
	v_and_b32_e32 v20, 16, v9
	v_mov_b32_dpp v16, v4 row_bcast:15 row_mask:0xf bank_mask:0xf
	v_mov_b32_dpp v17, v5 row_bcast:15 row_mask:0xf bank_mask:0xf
	;; [unrolled: 1-line block ×3, first 2 shown]
	v_cmp_ne_u32_e64 s[46:47], 0, v20
	s_and_saveexec_b64 s[48:49], s[46:47]
; %bb.218:
	v_add_u32_e32 v16, v16, v4
	v_add_u32_e32 v17, v17, v5
	v_cmp_eq_u32_e64 s[46:47], 0, v12
	v_or_b32_e32 v12, v13, v12
	v_cndmask_b32_e64 v4, v4, v16, s[46:47]
	v_cndmask_b32_e64 v5, v5, v17, s[46:47]
	v_and_b32_e32 v12, 1, v12
; %bb.219:
	s_or_b64 exec, exec, s[48:49]
	v_mov_b32_dpp v16, v4 row_bcast:31 row_mask:0xf bank_mask:0xf
	v_mov_b32_dpp v17, v5 row_bcast:31 row_mask:0xf bank_mask:0xf
	;; [unrolled: 1-line block ×3, first 2 shown]
	v_cmp_lt_u32_e64 s[46:47], 31, v9
	s_and_saveexec_b64 s[48:49], s[46:47]
; %bb.220:
	v_add_u32_e32 v16, v16, v4
	v_add_u32_e32 v17, v17, v5
	v_cmp_eq_u32_e64 s[46:47], 0, v12
	v_or_b32_e32 v12, v13, v12
	v_cndmask_b32_e64 v4, v4, v16, s[46:47]
	v_cndmask_b32_e64 v5, v5, v17, s[46:47]
	v_and_b32_e32 v12, 1, v12
; %bb.221:
	s_or_b64 exec, exec, s[48:49]
	v_cmp_eq_u32_e64 s[46:47], 63, v0
	s_and_saveexec_b64 s[48:49], s[46:47]
	s_cbranch_execz .LBB1976_223
; %bb.222:
	v_mov_b32_e32 v13, 0
	ds_write_b64 v13, v[4:5]
	ds_write_b8 v13, v12 offset:8
.LBB1976_223:
	s_or_b64 exec, exec, s[48:49]
	v_add_u32_e32 v12, -1, v9
	v_and_b32_e32 v13, 64, v9
	v_cmp_lt_i32_e64 s[46:47], v12, v13
	v_cndmask_b32_e64 v9, v12, v9, s[46:47]
	v_lshlrev_b32_e32 v9, 2, v9
	ds_bpermute_b32 v4, v9, v4
	ds_bpermute_b32 v5, v9, v5
	s_waitcnt lgkmcnt(0)
	; wave barrier
	s_waitcnt lgkmcnt(0)
	s_and_saveexec_b64 s[46:47], s[2:3]
	s_cbranch_execz .LBB1976_225
; %bb.224:
	v_mov_b32_e32 v1, 0
	v_cmp_eq_u16_sdwa s[2:3], v104, v1 src0_sel:BYTE_0 src1_sel:DWORD
	v_cndmask_b32_e64 v1, 0, v5, s[2:3]
	v_add_u32_e32 v3, v1, v3
	v_cndmask_b32_e64 v1, 0, v4, s[2:3]
	v_add_u32_e32 v2, v1, v2
	;; [unrolled: 2-line block ×40, first 2 shown]
	v_cndmask_b32_e64 v1, 0, v102, s[44:45]
	v_cndmask_b32_e64 v8, 0, v103, s[44:45]
	;;#ASMSTART
	;;#ASMEND
.LBB1976_225:
	s_or_b64 exec, exec, s[46:47]
	s_and_saveexec_b64 s[2:3], vcc
	s_cbranch_execz .LBB1976_227
; %bb.226:
	v_mov_b32_e32 v6, 0
	ds_read_b64 v[4:5], v6
	s_add_u32 s4, s88, 0x400
	s_mov_b32 s6, 0
	s_addc_u32 s5, s89, 0
	s_mov_b32 s10, s6
	s_waitcnt lgkmcnt(0)
	v_readfirstlane_b32 s12, v5
	s_bfe_u32 s8, s12, 0x80010
	s_and_b32 s7, s12, 0xff000000
	s_lshl_b32 s9, s8, 16
	s_mov_b32 s8, s6
	s_and_b32 s11, s12, 0xff00
	s_and_b32 s12, s12, 0xff
	s_or_b64 s[6:7], s[6:7], s[8:9]
	s_or_b64 s[6:7], s[6:7], s[10:11]
	v_mov_b32_e32 v5, s12
	ds_read_u8 v6, v6 offset:8
	v_or_b32_e32 v4, s6, v4
	v_or_b32_e32 v5, s7, v5
	v_mov_b32_e32 v7, 2
	v_pk_mov_b32 v[10:11], s[4:5], s[4:5] op_sel:[0,1]
	s_waitcnt lgkmcnt(0)
	;;#ASMSTART
	global_store_dwordx4 v[10:11], v[4:7] off	
s_waitcnt vmcnt(0)
	;;#ASMEND
.LBB1976_227:
	s_or_b64 exec, exec, s[2:3]
	v_mov_b32_e32 v83, v3
	v_mov_b32_e32 v82, v2
.LBB1976_228:
	s_add_u32 s2, s86, s92
	s_addc_u32 s3, s87, s93
	s_add_u32 s42, s2, s84
	v_add_u32_e32 v43, v8, v33
	v_add_u32_e32 v42, v1, v25
	s_addc_u32 s43, s3, s85
	s_and_b64 vcc, exec, s[0:1]
	s_cbranch_vccz .LBB1976_310
; %bb.229:
	s_add_i32 s33, s33, s90
	v_mul_u32_u24_e32 v1, 21, v0
	v_pk_mov_b32 v[8:9], 0, 0
	v_cmp_gt_u32_e32 vcc, s33, v1
	v_pk_mov_b32 v[4:5], v[8:9], v[8:9] op_sel:[0,1]
	v_pk_mov_b32 v[2:3], v[8:9], v[8:9] op_sel:[0,1]
	v_pk_mov_b32 v[6:7], v[8:9], v[8:9] op_sel:[0,1]
	v_pk_mov_b32 v[10:11], v[8:9], v[8:9] op_sel:[0,1]
	v_pk_mov_b32 v[12:13], v[8:9], v[8:9] op_sel:[0,1]
	v_pk_mov_b32 v[14:15], v[8:9], v[8:9] op_sel:[0,1]
	v_pk_mov_b32 v[16:17], v[8:9], v[8:9] op_sel:[0,1]
	v_pk_mov_b32 v[18:19], v[8:9], v[8:9] op_sel:[0,1]
	v_pk_mov_b32 v[20:21], v[8:9], v[8:9] op_sel:[0,1]
	v_pk_mov_b32 v[22:23], v[8:9], v[8:9] op_sel:[0,1]
	v_pk_mov_b32 v[24:25], v[8:9], v[8:9] op_sel:[0,1]
	v_pk_mov_b32 v[26:27], v[8:9], v[8:9] op_sel:[0,1]
	v_pk_mov_b32 v[28:29], v[8:9], v[8:9] op_sel:[0,1]
	v_pk_mov_b32 v[30:31], v[8:9], v[8:9] op_sel:[0,1]
	v_pk_mov_b32 v[32:33], v[8:9], v[8:9] op_sel:[0,1]
	v_pk_mov_b32 v[34:35], v[8:9], v[8:9] op_sel:[0,1]
	v_pk_mov_b32 v[36:37], v[8:9], v[8:9] op_sel:[0,1]
	v_pk_mov_b32 v[38:39], v[8:9], v[8:9] op_sel:[0,1]
	v_pk_mov_b32 v[40:41], v[8:9], v[8:9] op_sel:[0,1]
	v_pk_mov_b32 v[46:47], v[8:9], v[8:9] op_sel:[0,1]
	s_and_saveexec_b64 s[0:1], vcc
	s_cbranch_execz .LBB1976_269
; %bb.230:
	v_add_u32_e32 v2, 1, v1
	v_pk_mov_b32 v[40:41], 0, 0
	v_cmp_gt_u32_e32 vcc, s33, v2
	v_pk_mov_b32 v[38:39], v[40:41], v[40:41] op_sel:[0,1]
	v_pk_mov_b32 v[36:37], v[40:41], v[40:41] op_sel:[0,1]
	;; [unrolled: 1-line block ×19, first 2 shown]
	s_and_saveexec_b64 s[2:3], vcc
	s_cbranch_execz .LBB1976_268
; %bb.231:
	v_add_u32_e32 v2, 2, v1
	v_pk_mov_b32 v[38:39], 0, 0
	v_cmp_gt_u32_e32 vcc, s33, v2
	v_pk_mov_b32 v[36:37], v[38:39], v[38:39] op_sel:[0,1]
	v_pk_mov_b32 v[34:35], v[38:39], v[38:39] op_sel:[0,1]
	;; [unrolled: 1-line block ×18, first 2 shown]
	s_and_saveexec_b64 s[4:5], vcc
	s_cbranch_execz .LBB1976_267
; %bb.232:
	v_add_u32_e32 v2, 3, v1
	v_pk_mov_b32 v[36:37], 0, 0
	v_cmp_gt_u32_e32 vcc, s33, v2
	v_pk_mov_b32 v[34:35], v[36:37], v[36:37] op_sel:[0,1]
	v_pk_mov_b32 v[32:33], v[36:37], v[36:37] op_sel:[0,1]
	;; [unrolled: 1-line block ×17, first 2 shown]
	s_and_saveexec_b64 s[6:7], vcc
	s_cbranch_execz .LBB1976_266
; %bb.233:
	v_add_u32_e32 v2, 4, v1
	v_pk_mov_b32 v[34:35], 0, 0
	v_cmp_gt_u32_e32 vcc, s33, v2
	v_pk_mov_b32 v[32:33], v[34:35], v[34:35] op_sel:[0,1]
	v_pk_mov_b32 v[30:31], v[34:35], v[34:35] op_sel:[0,1]
	;; [unrolled: 1-line block ×16, first 2 shown]
	s_and_saveexec_b64 s[8:9], vcc
	s_cbranch_execz .LBB1976_265
; %bb.234:
	v_add_u32_e32 v2, 5, v1
	v_pk_mov_b32 v[32:33], 0, 0
	v_cmp_gt_u32_e32 vcc, s33, v2
	v_pk_mov_b32 v[30:31], v[32:33], v[32:33] op_sel:[0,1]
	v_pk_mov_b32 v[28:29], v[32:33], v[32:33] op_sel:[0,1]
	;; [unrolled: 1-line block ×15, first 2 shown]
	s_and_saveexec_b64 s[10:11], vcc
	s_cbranch_execz .LBB1976_264
; %bb.235:
	v_add_u32_e32 v2, 6, v1
	v_pk_mov_b32 v[30:31], 0, 0
	v_cmp_gt_u32_e32 vcc, s33, v2
	v_pk_mov_b32 v[28:29], v[30:31], v[30:31] op_sel:[0,1]
	v_pk_mov_b32 v[26:27], v[30:31], v[30:31] op_sel:[0,1]
	;; [unrolled: 1-line block ×14, first 2 shown]
	s_and_saveexec_b64 s[12:13], vcc
	s_cbranch_execz .LBB1976_263
; %bb.236:
	v_add_u32_e32 v2, 7, v1
	v_pk_mov_b32 v[28:29], 0, 0
	v_cmp_gt_u32_e32 vcc, s33, v2
	v_pk_mov_b32 v[26:27], v[28:29], v[28:29] op_sel:[0,1]
	v_pk_mov_b32 v[24:25], v[28:29], v[28:29] op_sel:[0,1]
	;; [unrolled: 1-line block ×13, first 2 shown]
	s_and_saveexec_b64 s[14:15], vcc
	s_cbranch_execz .LBB1976_262
; %bb.237:
	v_add_u32_e32 v2, 8, v1
	v_pk_mov_b32 v[26:27], 0, 0
	v_cmp_gt_u32_e32 vcc, s33, v2
	v_pk_mov_b32 v[24:25], v[26:27], v[26:27] op_sel:[0,1]
	v_pk_mov_b32 v[22:23], v[26:27], v[26:27] op_sel:[0,1]
	;; [unrolled: 1-line block ×12, first 2 shown]
	s_and_saveexec_b64 s[16:17], vcc
	s_cbranch_execz .LBB1976_261
; %bb.238:
	v_add_u32_e32 v2, 9, v1
	v_pk_mov_b32 v[24:25], 0, 0
	v_cmp_gt_u32_e32 vcc, s33, v2
	v_pk_mov_b32 v[22:23], v[24:25], v[24:25] op_sel:[0,1]
	v_pk_mov_b32 v[20:21], v[24:25], v[24:25] op_sel:[0,1]
	;; [unrolled: 1-line block ×11, first 2 shown]
	s_and_saveexec_b64 s[18:19], vcc
	s_cbranch_execz .LBB1976_260
; %bb.239:
	v_add_u32_e32 v2, 10, v1
	v_pk_mov_b32 v[22:23], 0, 0
	v_cmp_gt_u32_e32 vcc, s33, v2
	v_pk_mov_b32 v[20:21], v[22:23], v[22:23] op_sel:[0,1]
	v_pk_mov_b32 v[18:19], v[22:23], v[22:23] op_sel:[0,1]
	;; [unrolled: 1-line block ×10, first 2 shown]
	s_and_saveexec_b64 s[20:21], vcc
	s_cbranch_execz .LBB1976_259
; %bb.240:
	v_add_u32_e32 v2, 11, v1
	v_pk_mov_b32 v[20:21], 0, 0
	v_cmp_gt_u32_e32 vcc, s33, v2
	v_pk_mov_b32 v[18:19], v[20:21], v[20:21] op_sel:[0,1]
	v_pk_mov_b32 v[16:17], v[20:21], v[20:21] op_sel:[0,1]
	;; [unrolled: 1-line block ×9, first 2 shown]
	s_and_saveexec_b64 s[22:23], vcc
	s_cbranch_execz .LBB1976_258
; %bb.241:
	v_add_u32_e32 v2, 12, v1
	v_pk_mov_b32 v[18:19], 0, 0
	v_cmp_gt_u32_e32 vcc, s33, v2
	v_pk_mov_b32 v[16:17], v[18:19], v[18:19] op_sel:[0,1]
	v_pk_mov_b32 v[14:15], v[18:19], v[18:19] op_sel:[0,1]
	;; [unrolled: 1-line block ×8, first 2 shown]
	s_and_saveexec_b64 s[24:25], vcc
	s_cbranch_execz .LBB1976_257
; %bb.242:
	v_add_u32_e32 v2, 13, v1
	v_pk_mov_b32 v[16:17], 0, 0
	v_cmp_gt_u32_e32 vcc, s33, v2
	v_pk_mov_b32 v[14:15], v[16:17], v[16:17] op_sel:[0,1]
	v_pk_mov_b32 v[12:13], v[16:17], v[16:17] op_sel:[0,1]
	;; [unrolled: 1-line block ×7, first 2 shown]
	s_and_saveexec_b64 s[26:27], vcc
	s_cbranch_execz .LBB1976_256
; %bb.243:
	v_add_u32_e32 v2, 14, v1
	v_pk_mov_b32 v[14:15], 0, 0
	v_cmp_gt_u32_e32 vcc, s33, v2
	v_pk_mov_b32 v[12:13], v[14:15], v[14:15] op_sel:[0,1]
	v_pk_mov_b32 v[10:11], v[14:15], v[14:15] op_sel:[0,1]
	;; [unrolled: 1-line block ×6, first 2 shown]
	s_and_saveexec_b64 s[28:29], vcc
	s_cbranch_execz .LBB1976_255
; %bb.244:
	v_add_u32_e32 v2, 15, v1
	v_pk_mov_b32 v[12:13], 0, 0
	v_cmp_gt_u32_e32 vcc, s33, v2
	v_pk_mov_b32 v[10:11], v[12:13], v[12:13] op_sel:[0,1]
	v_pk_mov_b32 v[6:7], v[12:13], v[12:13] op_sel:[0,1]
	;; [unrolled: 1-line block ×5, first 2 shown]
	s_and_saveexec_b64 s[30:31], vcc
	s_cbranch_execz .LBB1976_254
; %bb.245:
	v_add_u32_e32 v2, 16, v1
	v_pk_mov_b32 v[10:11], 0, 0
	v_cmp_gt_u32_e32 vcc, s33, v2
	v_pk_mov_b32 v[6:7], v[10:11], v[10:11] op_sel:[0,1]
	v_pk_mov_b32 v[2:3], v[10:11], v[10:11] op_sel:[0,1]
	;; [unrolled: 1-line block ×4, first 2 shown]
	s_and_saveexec_b64 s[34:35], vcc
	s_cbranch_execz .LBB1976_253
; %bb.246:
	v_add_u32_e32 v2, 17, v1
	v_pk_mov_b32 v[6:7], 0, 0
	v_cmp_gt_u32_e32 vcc, s33, v2
	v_pk_mov_b32 v[2:3], v[6:7], v[6:7] op_sel:[0,1]
	v_pk_mov_b32 v[4:5], v[6:7], v[6:7] op_sel:[0,1]
	;; [unrolled: 1-line block ×3, first 2 shown]
	s_and_saveexec_b64 s[36:37], vcc
	s_cbranch_execz .LBB1976_252
; %bb.247:
	v_add_u32_e32 v2, 18, v1
	v_cmp_gt_u32_e32 vcc, s33, v2
	v_pk_mov_b32 v[2:3], 0, 0
	v_pk_mov_b32 v[4:5], v[2:3], v[2:3] op_sel:[0,1]
	v_pk_mov_b32 v[8:9], v[2:3], v[2:3] op_sel:[0,1]
	s_and_saveexec_b64 s[38:39], vcc
	s_cbranch_execz .LBB1976_251
; %bb.248:
	v_add_u32_e32 v2, 19, v1
	v_pk_mov_b32 v[4:5], 0, 0
	v_cmp_gt_u32_e32 vcc, s33, v2
	v_pk_mov_b32 v[8:9], v[4:5], v[4:5] op_sel:[0,1]
	s_and_saveexec_b64 s[40:41], vcc
; %bb.249:
	v_add_u32_e32 v2, 20, v1
	v_cmp_gt_u32_e32 vcc, s33, v2
	v_cndmask_b32_e32 v9, 0, v43, vcc
	v_cndmask_b32_e32 v8, 0, v42, vcc
	v_pk_mov_b32 v[4:5], v[102:103], v[102:103] op_sel:[0,1]
; %bb.250:
	s_or_b64 exec, exec, s[40:41]
	v_pk_mov_b32 v[2:3], v[80:81], v[80:81] op_sel:[0,1]
.LBB1976_251:
	s_or_b64 exec, exec, s[38:39]
	v_pk_mov_b32 v[6:7], v[100:101], v[100:101] op_sel:[0,1]
.LBB1976_252:
	s_or_b64 exec, exec, s[36:37]
	v_pk_mov_b32 v[10:11], v[76:77], v[76:77] op_sel:[0,1]
.LBB1976_253:
	s_or_b64 exec, exec, s[34:35]
	v_pk_mov_b32 v[12:13], v[98:99], v[98:99] op_sel:[0,1]
.LBB1976_254:
	s_or_b64 exec, exec, s[30:31]
	v_pk_mov_b32 v[14:15], v[72:73], v[72:73] op_sel:[0,1]
.LBB1976_255:
	s_or_b64 exec, exec, s[28:29]
	v_pk_mov_b32 v[16:17], v[96:97], v[96:97] op_sel:[0,1]
.LBB1976_256:
	s_or_b64 exec, exec, s[26:27]
	v_pk_mov_b32 v[18:19], v[68:69], v[68:69] op_sel:[0,1]
.LBB1976_257:
	s_or_b64 exec, exec, s[24:25]
	v_pk_mov_b32 v[20:21], v[94:95], v[94:95] op_sel:[0,1]
.LBB1976_258:
	s_or_b64 exec, exec, s[22:23]
	v_pk_mov_b32 v[22:23], v[64:65], v[64:65] op_sel:[0,1]
.LBB1976_259:
	s_or_b64 exec, exec, s[20:21]
	v_pk_mov_b32 v[24:25], v[92:93], v[92:93] op_sel:[0,1]
.LBB1976_260:
	s_or_b64 exec, exec, s[18:19]
	v_pk_mov_b32 v[26:27], v[60:61], v[60:61] op_sel:[0,1]
.LBB1976_261:
	s_or_b64 exec, exec, s[16:17]
	v_pk_mov_b32 v[28:29], v[90:91], v[90:91] op_sel:[0,1]
.LBB1976_262:
	s_or_b64 exec, exec, s[14:15]
	v_pk_mov_b32 v[30:31], v[56:57], v[56:57] op_sel:[0,1]
.LBB1976_263:
	s_or_b64 exec, exec, s[12:13]
	v_pk_mov_b32 v[32:33], v[88:89], v[88:89] op_sel:[0,1]
.LBB1976_264:
	s_or_b64 exec, exec, s[10:11]
	v_pk_mov_b32 v[34:35], v[52:53], v[52:53] op_sel:[0,1]
.LBB1976_265:
	s_or_b64 exec, exec, s[8:9]
	v_pk_mov_b32 v[36:37], v[86:87], v[86:87] op_sel:[0,1]
.LBB1976_266:
	s_or_b64 exec, exec, s[6:7]
	v_pk_mov_b32 v[38:39], v[48:49], v[48:49] op_sel:[0,1]
.LBB1976_267:
	s_or_b64 exec, exec, s[4:5]
	v_pk_mov_b32 v[40:41], v[44:45], v[44:45] op_sel:[0,1]
.LBB1976_268:
	s_or_b64 exec, exec, s[2:3]
	v_pk_mov_b32 v[46:47], v[82:83], v[82:83] op_sel:[0,1]
.LBB1976_269:
	s_or_b64 exec, exec, s[0:1]
	v_lshlrev_b32_e32 v50, 3, v1
	s_movk_i32 s0, 0xff60
	s_waitcnt lgkmcnt(0)
	; wave barrier
	ds_write2_b64 v50, v[46:47], v[40:41] offset1:1
	ds_write2_b64 v50, v[38:39], v[36:37] offset0:2 offset1:3
	ds_write2_b64 v50, v[34:35], v[32:33] offset0:4 offset1:5
	;; [unrolled: 1-line block ×9, first 2 shown]
	ds_write_b64 v50, v[8:9] offset:160
	v_mad_i32_i24 v2, v0, s0, v50
	s_waitcnt lgkmcnt(0)
	; wave barrier
	s_waitcnt lgkmcnt(0)
	ds_read2st64_b64 v[38:41], v2 offset0:1 offset1:2
	ds_read2st64_b64 v[34:37], v2 offset0:3 offset1:4
	;; [unrolled: 1-line block ×10, first 2 shown]
	v_lshlrev_b32_e32 v46, 3, v0
	v_mov_b32_e32 v47, s43
	v_add_co_u32_e32 v46, vcc, s42, v46
	v_addc_co_u32_e32 v47, vcc, 0, v47, vcc
	v_mov_b32_e32 v1, 0
	v_cmp_gt_u32_e32 vcc, s33, v0
	s_and_saveexec_b64 s[0:1], vcc
	s_cbranch_execz .LBB1976_271
; %bb.270:
	v_mul_i32_i24_e32 v51, 0xffffff60, v0
	v_add_u32_e32 v50, v50, v51
	ds_read_b64 v[50:51], v50
	s_waitcnt lgkmcnt(0)
	flat_store_dwordx2 v[46:47], v[50:51]
.LBB1976_271:
	s_or_b64 exec, exec, s[0:1]
	v_or_b32_e32 v50, 64, v0
	v_cmp_gt_u32_e32 vcc, s33, v50
	s_and_saveexec_b64 s[0:1], vcc
	s_cbranch_execz .LBB1976_273
; %bb.272:
	s_waitcnt lgkmcnt(0)
	flat_store_dwordx2 v[46:47], v[38:39] offset:512
.LBB1976_273:
	s_or_b64 exec, exec, s[0:1]
	s_waitcnt lgkmcnt(0)
	v_or_b32_e32 v38, 0x80, v0
	v_cmp_gt_u32_e32 vcc, s33, v38
	s_and_saveexec_b64 s[0:1], vcc
	s_cbranch_execz .LBB1976_275
; %bb.274:
	flat_store_dwordx2 v[46:47], v[40:41] offset:1024
.LBB1976_275:
	s_or_b64 exec, exec, s[0:1]
	v_or_b32_e32 v38, 0xc0, v0
	v_cmp_gt_u32_e32 vcc, s33, v38
	s_and_saveexec_b64 s[0:1], vcc
	s_cbranch_execz .LBB1976_277
; %bb.276:
	flat_store_dwordx2 v[46:47], v[34:35] offset:1536
.LBB1976_277:
	s_or_b64 exec, exec, s[0:1]
	;; [unrolled: 8-line block ×6, first 2 shown]
	v_or_b32_e32 v26, 0x200, v0
	v_cmp_gt_u32_e32 vcc, s33, v26
	s_and_saveexec_b64 s[0:1], vcc
	s_cbranch_execz .LBB1976_287
; %bb.286:
	v_add_co_u32_e32 v26, vcc, 0x1000, v46
	v_addc_co_u32_e32 v27, vcc, 0, v47, vcc
	flat_store_dwordx2 v[26:27], v[28:29]
.LBB1976_287:
	s_or_b64 exec, exec, s[0:1]
	v_or_b32_e32 v26, 0x240, v0
	v_cmp_gt_u32_e32 vcc, s33, v26
	s_and_saveexec_b64 s[0:1], vcc
	s_cbranch_execz .LBB1976_289
; %bb.288:
	v_add_co_u32_e32 v26, vcc, 0x1000, v46
	v_addc_co_u32_e32 v27, vcc, 0, v47, vcc
	flat_store_dwordx2 v[26:27], v[22:23] offset:512
.LBB1976_289:
	s_or_b64 exec, exec, s[0:1]
	v_or_b32_e32 v22, 0x280, v0
	v_cmp_gt_u32_e32 vcc, s33, v22
	s_and_saveexec_b64 s[0:1], vcc
	s_cbranch_execz .LBB1976_291
; %bb.290:
	v_add_co_u32_e32 v22, vcc, 0x1000, v46
	v_addc_co_u32_e32 v23, vcc, 0, v47, vcc
	flat_store_dwordx2 v[22:23], v[24:25] offset:1024
.LBB1976_291:
	;; [unrolled: 10-line block ×7, first 2 shown]
	s_or_b64 exec, exec, s[0:1]
	v_or_b32_e32 v10, 0x400, v0
	v_cmp_gt_u32_e32 vcc, s33, v10
	s_and_saveexec_b64 s[0:1], vcc
	s_cbranch_execz .LBB1976_303
; %bb.302:
	v_add_co_u32_e32 v10, vcc, 0x2000, v46
	v_addc_co_u32_e32 v11, vcc, 0, v47, vcc
	flat_store_dwordx2 v[10:11], v[12:13]
.LBB1976_303:
	s_or_b64 exec, exec, s[0:1]
	v_or_b32_e32 v10, 0x440, v0
	v_cmp_gt_u32_e32 vcc, s33, v10
	s_and_saveexec_b64 s[0:1], vcc
	s_cbranch_execz .LBB1976_305
; %bb.304:
	v_add_co_u32_e32 v10, vcc, 0x2000, v46
	v_addc_co_u32_e32 v11, vcc, 0, v47, vcc
	flat_store_dwordx2 v[10:11], v[6:7] offset:512
.LBB1976_305:
	s_or_b64 exec, exec, s[0:1]
	v_or_b32_e32 v6, 0x480, v0
	v_cmp_gt_u32_e32 vcc, s33, v6
	s_and_saveexec_b64 s[0:1], vcc
	s_cbranch_execz .LBB1976_307
; %bb.306:
	v_add_co_u32_e32 v6, vcc, 0x2000, v46
	v_addc_co_u32_e32 v7, vcc, 0, v47, vcc
	flat_store_dwordx2 v[6:7], v[8:9] offset:1024
.LBB1976_307:
	;; [unrolled: 10-line block ×3, first 2 shown]
	s_or_b64 exec, exec, s[0:1]
	v_or_b32_e32 v2, 0x500, v0
	v_cmp_gt_u32_e64 s[0:1], s33, v2
	s_branch .LBB1976_312
.LBB1976_310:
	s_mov_b64 s[0:1], 0
                                        ; kill: def $vgpr2_vgpr3 killed $sgpr0_sgpr1 killed $exec
                                        ; implicit-def: $vgpr4_vgpr5
	s_cbranch_execz .LBB1976_312
; %bb.311:
	s_movk_i32 s2, 0xa8
	v_mul_i32_i24_e32 v2, 0xffffff60, v0
	v_mul_u32_u24_e32 v1, 0xa8, v0
	v_mad_u32_u24 v2, v0, s2, v2
	s_waitcnt lgkmcnt(0)
	; wave barrier
	s_waitcnt lgkmcnt(0)
	ds_write2_b64 v1, v[82:83], v[44:45] offset1:1
	ds_write2_b64 v1, v[48:49], v[86:87] offset0:2 offset1:3
	ds_write2_b64 v1, v[52:53], v[88:89] offset0:4 offset1:5
	;; [unrolled: 1-line block ×9, first 2 shown]
	ds_write_b64 v1, v[42:43] offset:160
	s_waitcnt lgkmcnt(0)
	; wave barrier
	s_waitcnt lgkmcnt(0)
	ds_read2st64_b64 v[6:9], v2 offset1:1
	ds_read2st64_b64 v[10:13], v2 offset0:2 offset1:3
	ds_read2st64_b64 v[14:17], v2 offset0:4 offset1:5
	;; [unrolled: 1-line block ×9, first 2 shown]
	ds_read_b64 v[4:5], v2 offset:10240
	v_lshlrev_b32_e32 v2, 3, v0
	v_mov_b32_e32 v3, s43
	v_add_co_u32_e32 v2, vcc, s42, v2
	v_addc_co_u32_e32 v3, vcc, 0, v3, vcc
	s_movk_i32 s2, 0x1000
	s_waitcnt lgkmcnt(0)
	flat_store_dwordx2 v[2:3], v[6:7]
	flat_store_dwordx2 v[2:3], v[8:9] offset:512
	flat_store_dwordx2 v[2:3], v[10:11] offset:1024
	;; [unrolled: 1-line block ×7, first 2 shown]
	v_add_co_u32_e32 v6, vcc, s2, v2
	v_addc_co_u32_e32 v7, vcc, 0, v3, vcc
	v_add_co_u32_e32 v2, vcc, 0x2000, v2
	v_mov_b32_e32 v1, 0
	v_addc_co_u32_e32 v3, vcc, 0, v3, vcc
	s_or_b64 s[0:1], s[0:1], exec
	flat_store_dwordx2 v[6:7], v[22:23]
	flat_store_dwordx2 v[6:7], v[24:25] offset:512
	flat_store_dwordx2 v[6:7], v[26:27] offset:1024
	;; [unrolled: 1-line block ×7, first 2 shown]
	flat_store_dwordx2 v[2:3], v[38:39]
	flat_store_dwordx2 v[2:3], v[40:41] offset:512
	flat_store_dwordx2 v[2:3], v[42:43] offset:1024
	;; [unrolled: 1-line block ×3, first 2 shown]
.LBB1976_312:
	s_and_saveexec_b64 s[2:3], s[0:1]
	s_cbranch_execnz .LBB1976_314
; %bb.313:
	s_endpgm
.LBB1976_314:
	v_lshlrev_b64 v[0:1], 3, v[0:1]
	v_mov_b32_e32 v2, s43
	v_add_co_u32_e32 v0, vcc, s42, v0
	v_addc_co_u32_e32 v1, vcc, v2, v1, vcc
	v_add_co_u32_e32 v0, vcc, 0x2000, v0
	v_addc_co_u32_e32 v1, vcc, 0, v1, vcc
	flat_store_dwordx2 v[0:1], v[4:5] offset:2048
	s_endpgm
.LBB1976_315:
	v_lshlrev_b32_e32 v1, 3, v62
	v_mov_b32_e32 v61, s60
	v_add_co_u32_e32 v60, vcc, s7, v1
	v_addc_co_u32_e32 v61, vcc, 0, v61, vcc
	flat_load_dwordx2 v[60:61], v[60:61]
	s_or_b64 exec, exec, s[2:3]
	s_and_saveexec_b64 s[2:3], s[42:43]
	s_cbranch_execz .LBB1976_87
.LBB1976_316:
	v_lshlrev_b32_e32 v1, 3, v63
	v_mov_b32_e32 v59, s60
	v_add_co_u32_e32 v58, vcc, s7, v1
	v_addc_co_u32_e32 v59, vcc, 0, v59, vcc
	flat_load_dwordx2 v[58:59], v[58:59]
	s_or_b64 exec, exec, s[2:3]
	v_pk_mov_b32 v[62:63], 0, 0
	s_and_saveexec_b64 s[2:3], s[44:45]
	s_cbranch_execnz .LBB1976_88
	s_branch .LBB1976_89
.LBB1976_317:
                                        ; implicit-def: $sgpr54_sgpr55
	s_branch .LBB1976_46
.LBB1976_318:
                                        ; implicit-def: $sgpr2_sgpr3
	s_branch .LBB1976_134
	.section	.rodata,"a",@progbits
	.p2align	6, 0x0
	.amdhsa_kernel _ZN7rocprim17ROCPRIM_400000_NS6detail17trampoline_kernelINS0_14default_configENS1_27scan_by_key_config_selectorIj11FixedVectorIiLj2EEEEZZNS1_16scan_by_key_implILNS1_25lookback_scan_determinismE0ELb0ES3_N6thrust23THRUST_200600_302600_NS6detail15normal_iteratorINSB_10device_ptrIjEEEENSD_INSE_IS6_EEEESI_S6_NSB_4plusIvEENSB_8equal_toIvEES6_EE10hipError_tPvRmT2_T3_T4_T5_mT6_T7_P12ihipStream_tbENKUlT_T0_E_clISt17integral_constantIbLb1EES12_IbLb0EEEEDaSY_SZ_EUlSY_E_NS1_11comp_targetILNS1_3genE4ELNS1_11target_archE910ELNS1_3gpuE8ELNS1_3repE0EEENS1_30default_config_static_selectorELNS0_4arch9wavefront6targetE1EEEvT1_
		.amdhsa_group_segment_fixed_size 10752
		.amdhsa_private_segment_fixed_size 0
		.amdhsa_kernarg_size 120
		.amdhsa_user_sgpr_count 6
		.amdhsa_user_sgpr_private_segment_buffer 1
		.amdhsa_user_sgpr_dispatch_ptr 0
		.amdhsa_user_sgpr_queue_ptr 0
		.amdhsa_user_sgpr_kernarg_segment_ptr 1
		.amdhsa_user_sgpr_dispatch_id 0
		.amdhsa_user_sgpr_flat_scratch_init 0
		.amdhsa_user_sgpr_kernarg_preload_length 0
		.amdhsa_user_sgpr_kernarg_preload_offset 0
		.amdhsa_user_sgpr_private_segment_size 0
		.amdhsa_uses_dynamic_stack 0
		.amdhsa_system_sgpr_private_segment_wavefront_offset 0
		.amdhsa_system_sgpr_workgroup_id_x 1
		.amdhsa_system_sgpr_workgroup_id_y 0
		.amdhsa_system_sgpr_workgroup_id_z 0
		.amdhsa_system_sgpr_workgroup_info 0
		.amdhsa_system_vgpr_workitem_id 0
		.amdhsa_next_free_vgpr 135
		.amdhsa_next_free_sgpr 96
		.amdhsa_accum_offset 136
		.amdhsa_reserve_vcc 1
		.amdhsa_reserve_flat_scratch 0
		.amdhsa_float_round_mode_32 0
		.amdhsa_float_round_mode_16_64 0
		.amdhsa_float_denorm_mode_32 3
		.amdhsa_float_denorm_mode_16_64 3
		.amdhsa_dx10_clamp 1
		.amdhsa_ieee_mode 1
		.amdhsa_fp16_overflow 0
		.amdhsa_tg_split 0
		.amdhsa_exception_fp_ieee_invalid_op 0
		.amdhsa_exception_fp_denorm_src 0
		.amdhsa_exception_fp_ieee_div_zero 0
		.amdhsa_exception_fp_ieee_overflow 0
		.amdhsa_exception_fp_ieee_underflow 0
		.amdhsa_exception_fp_ieee_inexact 0
		.amdhsa_exception_int_div_zero 0
	.end_amdhsa_kernel
	.section	.text._ZN7rocprim17ROCPRIM_400000_NS6detail17trampoline_kernelINS0_14default_configENS1_27scan_by_key_config_selectorIj11FixedVectorIiLj2EEEEZZNS1_16scan_by_key_implILNS1_25lookback_scan_determinismE0ELb0ES3_N6thrust23THRUST_200600_302600_NS6detail15normal_iteratorINSB_10device_ptrIjEEEENSD_INSE_IS6_EEEESI_S6_NSB_4plusIvEENSB_8equal_toIvEES6_EE10hipError_tPvRmT2_T3_T4_T5_mT6_T7_P12ihipStream_tbENKUlT_T0_E_clISt17integral_constantIbLb1EES12_IbLb0EEEEDaSY_SZ_EUlSY_E_NS1_11comp_targetILNS1_3genE4ELNS1_11target_archE910ELNS1_3gpuE8ELNS1_3repE0EEENS1_30default_config_static_selectorELNS0_4arch9wavefront6targetE1EEEvT1_,"axG",@progbits,_ZN7rocprim17ROCPRIM_400000_NS6detail17trampoline_kernelINS0_14default_configENS1_27scan_by_key_config_selectorIj11FixedVectorIiLj2EEEEZZNS1_16scan_by_key_implILNS1_25lookback_scan_determinismE0ELb0ES3_N6thrust23THRUST_200600_302600_NS6detail15normal_iteratorINSB_10device_ptrIjEEEENSD_INSE_IS6_EEEESI_S6_NSB_4plusIvEENSB_8equal_toIvEES6_EE10hipError_tPvRmT2_T3_T4_T5_mT6_T7_P12ihipStream_tbENKUlT_T0_E_clISt17integral_constantIbLb1EES12_IbLb0EEEEDaSY_SZ_EUlSY_E_NS1_11comp_targetILNS1_3genE4ELNS1_11target_archE910ELNS1_3gpuE8ELNS1_3repE0EEENS1_30default_config_static_selectorELNS0_4arch9wavefront6targetE1EEEvT1_,comdat
.Lfunc_end1976:
	.size	_ZN7rocprim17ROCPRIM_400000_NS6detail17trampoline_kernelINS0_14default_configENS1_27scan_by_key_config_selectorIj11FixedVectorIiLj2EEEEZZNS1_16scan_by_key_implILNS1_25lookback_scan_determinismE0ELb0ES3_N6thrust23THRUST_200600_302600_NS6detail15normal_iteratorINSB_10device_ptrIjEEEENSD_INSE_IS6_EEEESI_S6_NSB_4plusIvEENSB_8equal_toIvEES6_EE10hipError_tPvRmT2_T3_T4_T5_mT6_T7_P12ihipStream_tbENKUlT_T0_E_clISt17integral_constantIbLb1EES12_IbLb0EEEEDaSY_SZ_EUlSY_E_NS1_11comp_targetILNS1_3genE4ELNS1_11target_archE910ELNS1_3gpuE8ELNS1_3repE0EEENS1_30default_config_static_selectorELNS0_4arch9wavefront6targetE1EEEvT1_, .Lfunc_end1976-_ZN7rocprim17ROCPRIM_400000_NS6detail17trampoline_kernelINS0_14default_configENS1_27scan_by_key_config_selectorIj11FixedVectorIiLj2EEEEZZNS1_16scan_by_key_implILNS1_25lookback_scan_determinismE0ELb0ES3_N6thrust23THRUST_200600_302600_NS6detail15normal_iteratorINSB_10device_ptrIjEEEENSD_INSE_IS6_EEEESI_S6_NSB_4plusIvEENSB_8equal_toIvEES6_EE10hipError_tPvRmT2_T3_T4_T5_mT6_T7_P12ihipStream_tbENKUlT_T0_E_clISt17integral_constantIbLb1EES12_IbLb0EEEEDaSY_SZ_EUlSY_E_NS1_11comp_targetILNS1_3genE4ELNS1_11target_archE910ELNS1_3gpuE8ELNS1_3repE0EEENS1_30default_config_static_selectorELNS0_4arch9wavefront6targetE1EEEvT1_
                                        ; -- End function
	.section	.AMDGPU.csdata,"",@progbits
; Kernel info:
; codeLenInByte = 19116
; NumSgprs: 100
; NumVgprs: 135
; NumAgprs: 0
; TotalNumVgprs: 135
; ScratchSize: 0
; MemoryBound: 0
; FloatMode: 240
; IeeeMode: 1
; LDSByteSize: 10752 bytes/workgroup (compile time only)
; SGPRBlocks: 12
; VGPRBlocks: 16
; NumSGPRsForWavesPerEU: 100
; NumVGPRsForWavesPerEU: 135
; AccumOffset: 136
; Occupancy: 2
; WaveLimiterHint : 1
; COMPUTE_PGM_RSRC2:SCRATCH_EN: 0
; COMPUTE_PGM_RSRC2:USER_SGPR: 6
; COMPUTE_PGM_RSRC2:TRAP_HANDLER: 0
; COMPUTE_PGM_RSRC2:TGID_X_EN: 1
; COMPUTE_PGM_RSRC2:TGID_Y_EN: 0
; COMPUTE_PGM_RSRC2:TGID_Z_EN: 0
; COMPUTE_PGM_RSRC2:TIDIG_COMP_CNT: 0
; COMPUTE_PGM_RSRC3_GFX90A:ACCUM_OFFSET: 33
; COMPUTE_PGM_RSRC3_GFX90A:TG_SPLIT: 0
	.section	.text._ZN7rocprim17ROCPRIM_400000_NS6detail17trampoline_kernelINS0_14default_configENS1_27scan_by_key_config_selectorIj11FixedVectorIiLj2EEEEZZNS1_16scan_by_key_implILNS1_25lookback_scan_determinismE0ELb0ES3_N6thrust23THRUST_200600_302600_NS6detail15normal_iteratorINSB_10device_ptrIjEEEENSD_INSE_IS6_EEEESI_S6_NSB_4plusIvEENSB_8equal_toIvEES6_EE10hipError_tPvRmT2_T3_T4_T5_mT6_T7_P12ihipStream_tbENKUlT_T0_E_clISt17integral_constantIbLb1EES12_IbLb0EEEEDaSY_SZ_EUlSY_E_NS1_11comp_targetILNS1_3genE3ELNS1_11target_archE908ELNS1_3gpuE7ELNS1_3repE0EEENS1_30default_config_static_selectorELNS0_4arch9wavefront6targetE1EEEvT1_,"axG",@progbits,_ZN7rocprim17ROCPRIM_400000_NS6detail17trampoline_kernelINS0_14default_configENS1_27scan_by_key_config_selectorIj11FixedVectorIiLj2EEEEZZNS1_16scan_by_key_implILNS1_25lookback_scan_determinismE0ELb0ES3_N6thrust23THRUST_200600_302600_NS6detail15normal_iteratorINSB_10device_ptrIjEEEENSD_INSE_IS6_EEEESI_S6_NSB_4plusIvEENSB_8equal_toIvEES6_EE10hipError_tPvRmT2_T3_T4_T5_mT6_T7_P12ihipStream_tbENKUlT_T0_E_clISt17integral_constantIbLb1EES12_IbLb0EEEEDaSY_SZ_EUlSY_E_NS1_11comp_targetILNS1_3genE3ELNS1_11target_archE908ELNS1_3gpuE7ELNS1_3repE0EEENS1_30default_config_static_selectorELNS0_4arch9wavefront6targetE1EEEvT1_,comdat
	.protected	_ZN7rocprim17ROCPRIM_400000_NS6detail17trampoline_kernelINS0_14default_configENS1_27scan_by_key_config_selectorIj11FixedVectorIiLj2EEEEZZNS1_16scan_by_key_implILNS1_25lookback_scan_determinismE0ELb0ES3_N6thrust23THRUST_200600_302600_NS6detail15normal_iteratorINSB_10device_ptrIjEEEENSD_INSE_IS6_EEEESI_S6_NSB_4plusIvEENSB_8equal_toIvEES6_EE10hipError_tPvRmT2_T3_T4_T5_mT6_T7_P12ihipStream_tbENKUlT_T0_E_clISt17integral_constantIbLb1EES12_IbLb0EEEEDaSY_SZ_EUlSY_E_NS1_11comp_targetILNS1_3genE3ELNS1_11target_archE908ELNS1_3gpuE7ELNS1_3repE0EEENS1_30default_config_static_selectorELNS0_4arch9wavefront6targetE1EEEvT1_ ; -- Begin function _ZN7rocprim17ROCPRIM_400000_NS6detail17trampoline_kernelINS0_14default_configENS1_27scan_by_key_config_selectorIj11FixedVectorIiLj2EEEEZZNS1_16scan_by_key_implILNS1_25lookback_scan_determinismE0ELb0ES3_N6thrust23THRUST_200600_302600_NS6detail15normal_iteratorINSB_10device_ptrIjEEEENSD_INSE_IS6_EEEESI_S6_NSB_4plusIvEENSB_8equal_toIvEES6_EE10hipError_tPvRmT2_T3_T4_T5_mT6_T7_P12ihipStream_tbENKUlT_T0_E_clISt17integral_constantIbLb1EES12_IbLb0EEEEDaSY_SZ_EUlSY_E_NS1_11comp_targetILNS1_3genE3ELNS1_11target_archE908ELNS1_3gpuE7ELNS1_3repE0EEENS1_30default_config_static_selectorELNS0_4arch9wavefront6targetE1EEEvT1_
	.globl	_ZN7rocprim17ROCPRIM_400000_NS6detail17trampoline_kernelINS0_14default_configENS1_27scan_by_key_config_selectorIj11FixedVectorIiLj2EEEEZZNS1_16scan_by_key_implILNS1_25lookback_scan_determinismE0ELb0ES3_N6thrust23THRUST_200600_302600_NS6detail15normal_iteratorINSB_10device_ptrIjEEEENSD_INSE_IS6_EEEESI_S6_NSB_4plusIvEENSB_8equal_toIvEES6_EE10hipError_tPvRmT2_T3_T4_T5_mT6_T7_P12ihipStream_tbENKUlT_T0_E_clISt17integral_constantIbLb1EES12_IbLb0EEEEDaSY_SZ_EUlSY_E_NS1_11comp_targetILNS1_3genE3ELNS1_11target_archE908ELNS1_3gpuE7ELNS1_3repE0EEENS1_30default_config_static_selectorELNS0_4arch9wavefront6targetE1EEEvT1_
	.p2align	8
	.type	_ZN7rocprim17ROCPRIM_400000_NS6detail17trampoline_kernelINS0_14default_configENS1_27scan_by_key_config_selectorIj11FixedVectorIiLj2EEEEZZNS1_16scan_by_key_implILNS1_25lookback_scan_determinismE0ELb0ES3_N6thrust23THRUST_200600_302600_NS6detail15normal_iteratorINSB_10device_ptrIjEEEENSD_INSE_IS6_EEEESI_S6_NSB_4plusIvEENSB_8equal_toIvEES6_EE10hipError_tPvRmT2_T3_T4_T5_mT6_T7_P12ihipStream_tbENKUlT_T0_E_clISt17integral_constantIbLb1EES12_IbLb0EEEEDaSY_SZ_EUlSY_E_NS1_11comp_targetILNS1_3genE3ELNS1_11target_archE908ELNS1_3gpuE7ELNS1_3repE0EEENS1_30default_config_static_selectorELNS0_4arch9wavefront6targetE1EEEvT1_,@function
_ZN7rocprim17ROCPRIM_400000_NS6detail17trampoline_kernelINS0_14default_configENS1_27scan_by_key_config_selectorIj11FixedVectorIiLj2EEEEZZNS1_16scan_by_key_implILNS1_25lookback_scan_determinismE0ELb0ES3_N6thrust23THRUST_200600_302600_NS6detail15normal_iteratorINSB_10device_ptrIjEEEENSD_INSE_IS6_EEEESI_S6_NSB_4plusIvEENSB_8equal_toIvEES6_EE10hipError_tPvRmT2_T3_T4_T5_mT6_T7_P12ihipStream_tbENKUlT_T0_E_clISt17integral_constantIbLb1EES12_IbLb0EEEEDaSY_SZ_EUlSY_E_NS1_11comp_targetILNS1_3genE3ELNS1_11target_archE908ELNS1_3gpuE7ELNS1_3repE0EEENS1_30default_config_static_selectorELNS0_4arch9wavefront6targetE1EEEvT1_: ; @_ZN7rocprim17ROCPRIM_400000_NS6detail17trampoline_kernelINS0_14default_configENS1_27scan_by_key_config_selectorIj11FixedVectorIiLj2EEEEZZNS1_16scan_by_key_implILNS1_25lookback_scan_determinismE0ELb0ES3_N6thrust23THRUST_200600_302600_NS6detail15normal_iteratorINSB_10device_ptrIjEEEENSD_INSE_IS6_EEEESI_S6_NSB_4plusIvEENSB_8equal_toIvEES6_EE10hipError_tPvRmT2_T3_T4_T5_mT6_T7_P12ihipStream_tbENKUlT_T0_E_clISt17integral_constantIbLb1EES12_IbLb0EEEEDaSY_SZ_EUlSY_E_NS1_11comp_targetILNS1_3genE3ELNS1_11target_archE908ELNS1_3gpuE7ELNS1_3repE0EEENS1_30default_config_static_selectorELNS0_4arch9wavefront6targetE1EEEvT1_
; %bb.0:
	.section	.rodata,"a",@progbits
	.p2align	6, 0x0
	.amdhsa_kernel _ZN7rocprim17ROCPRIM_400000_NS6detail17trampoline_kernelINS0_14default_configENS1_27scan_by_key_config_selectorIj11FixedVectorIiLj2EEEEZZNS1_16scan_by_key_implILNS1_25lookback_scan_determinismE0ELb0ES3_N6thrust23THRUST_200600_302600_NS6detail15normal_iteratorINSB_10device_ptrIjEEEENSD_INSE_IS6_EEEESI_S6_NSB_4plusIvEENSB_8equal_toIvEES6_EE10hipError_tPvRmT2_T3_T4_T5_mT6_T7_P12ihipStream_tbENKUlT_T0_E_clISt17integral_constantIbLb1EES12_IbLb0EEEEDaSY_SZ_EUlSY_E_NS1_11comp_targetILNS1_3genE3ELNS1_11target_archE908ELNS1_3gpuE7ELNS1_3repE0EEENS1_30default_config_static_selectorELNS0_4arch9wavefront6targetE1EEEvT1_
		.amdhsa_group_segment_fixed_size 0
		.amdhsa_private_segment_fixed_size 0
		.amdhsa_kernarg_size 120
		.amdhsa_user_sgpr_count 6
		.amdhsa_user_sgpr_private_segment_buffer 1
		.amdhsa_user_sgpr_dispatch_ptr 0
		.amdhsa_user_sgpr_queue_ptr 0
		.amdhsa_user_sgpr_kernarg_segment_ptr 1
		.amdhsa_user_sgpr_dispatch_id 0
		.amdhsa_user_sgpr_flat_scratch_init 0
		.amdhsa_user_sgpr_kernarg_preload_length 0
		.amdhsa_user_sgpr_kernarg_preload_offset 0
		.amdhsa_user_sgpr_private_segment_size 0
		.amdhsa_uses_dynamic_stack 0
		.amdhsa_system_sgpr_private_segment_wavefront_offset 0
		.amdhsa_system_sgpr_workgroup_id_x 1
		.amdhsa_system_sgpr_workgroup_id_y 0
		.amdhsa_system_sgpr_workgroup_id_z 0
		.amdhsa_system_sgpr_workgroup_info 0
		.amdhsa_system_vgpr_workitem_id 0
		.amdhsa_next_free_vgpr 1
		.amdhsa_next_free_sgpr 0
		.amdhsa_accum_offset 4
		.amdhsa_reserve_vcc 0
		.amdhsa_reserve_flat_scratch 0
		.amdhsa_float_round_mode_32 0
		.amdhsa_float_round_mode_16_64 0
		.amdhsa_float_denorm_mode_32 3
		.amdhsa_float_denorm_mode_16_64 3
		.amdhsa_dx10_clamp 1
		.amdhsa_ieee_mode 1
		.amdhsa_fp16_overflow 0
		.amdhsa_tg_split 0
		.amdhsa_exception_fp_ieee_invalid_op 0
		.amdhsa_exception_fp_denorm_src 0
		.amdhsa_exception_fp_ieee_div_zero 0
		.amdhsa_exception_fp_ieee_overflow 0
		.amdhsa_exception_fp_ieee_underflow 0
		.amdhsa_exception_fp_ieee_inexact 0
		.amdhsa_exception_int_div_zero 0
	.end_amdhsa_kernel
	.section	.text._ZN7rocprim17ROCPRIM_400000_NS6detail17trampoline_kernelINS0_14default_configENS1_27scan_by_key_config_selectorIj11FixedVectorIiLj2EEEEZZNS1_16scan_by_key_implILNS1_25lookback_scan_determinismE0ELb0ES3_N6thrust23THRUST_200600_302600_NS6detail15normal_iteratorINSB_10device_ptrIjEEEENSD_INSE_IS6_EEEESI_S6_NSB_4plusIvEENSB_8equal_toIvEES6_EE10hipError_tPvRmT2_T3_T4_T5_mT6_T7_P12ihipStream_tbENKUlT_T0_E_clISt17integral_constantIbLb1EES12_IbLb0EEEEDaSY_SZ_EUlSY_E_NS1_11comp_targetILNS1_3genE3ELNS1_11target_archE908ELNS1_3gpuE7ELNS1_3repE0EEENS1_30default_config_static_selectorELNS0_4arch9wavefront6targetE1EEEvT1_,"axG",@progbits,_ZN7rocprim17ROCPRIM_400000_NS6detail17trampoline_kernelINS0_14default_configENS1_27scan_by_key_config_selectorIj11FixedVectorIiLj2EEEEZZNS1_16scan_by_key_implILNS1_25lookback_scan_determinismE0ELb0ES3_N6thrust23THRUST_200600_302600_NS6detail15normal_iteratorINSB_10device_ptrIjEEEENSD_INSE_IS6_EEEESI_S6_NSB_4plusIvEENSB_8equal_toIvEES6_EE10hipError_tPvRmT2_T3_T4_T5_mT6_T7_P12ihipStream_tbENKUlT_T0_E_clISt17integral_constantIbLb1EES12_IbLb0EEEEDaSY_SZ_EUlSY_E_NS1_11comp_targetILNS1_3genE3ELNS1_11target_archE908ELNS1_3gpuE7ELNS1_3repE0EEENS1_30default_config_static_selectorELNS0_4arch9wavefront6targetE1EEEvT1_,comdat
.Lfunc_end1977:
	.size	_ZN7rocprim17ROCPRIM_400000_NS6detail17trampoline_kernelINS0_14default_configENS1_27scan_by_key_config_selectorIj11FixedVectorIiLj2EEEEZZNS1_16scan_by_key_implILNS1_25lookback_scan_determinismE0ELb0ES3_N6thrust23THRUST_200600_302600_NS6detail15normal_iteratorINSB_10device_ptrIjEEEENSD_INSE_IS6_EEEESI_S6_NSB_4plusIvEENSB_8equal_toIvEES6_EE10hipError_tPvRmT2_T3_T4_T5_mT6_T7_P12ihipStream_tbENKUlT_T0_E_clISt17integral_constantIbLb1EES12_IbLb0EEEEDaSY_SZ_EUlSY_E_NS1_11comp_targetILNS1_3genE3ELNS1_11target_archE908ELNS1_3gpuE7ELNS1_3repE0EEENS1_30default_config_static_selectorELNS0_4arch9wavefront6targetE1EEEvT1_, .Lfunc_end1977-_ZN7rocprim17ROCPRIM_400000_NS6detail17trampoline_kernelINS0_14default_configENS1_27scan_by_key_config_selectorIj11FixedVectorIiLj2EEEEZZNS1_16scan_by_key_implILNS1_25lookback_scan_determinismE0ELb0ES3_N6thrust23THRUST_200600_302600_NS6detail15normal_iteratorINSB_10device_ptrIjEEEENSD_INSE_IS6_EEEESI_S6_NSB_4plusIvEENSB_8equal_toIvEES6_EE10hipError_tPvRmT2_T3_T4_T5_mT6_T7_P12ihipStream_tbENKUlT_T0_E_clISt17integral_constantIbLb1EES12_IbLb0EEEEDaSY_SZ_EUlSY_E_NS1_11comp_targetILNS1_3genE3ELNS1_11target_archE908ELNS1_3gpuE7ELNS1_3repE0EEENS1_30default_config_static_selectorELNS0_4arch9wavefront6targetE1EEEvT1_
                                        ; -- End function
	.section	.AMDGPU.csdata,"",@progbits
; Kernel info:
; codeLenInByte = 0
; NumSgprs: 4
; NumVgprs: 0
; NumAgprs: 0
; TotalNumVgprs: 0
; ScratchSize: 0
; MemoryBound: 0
; FloatMode: 240
; IeeeMode: 1
; LDSByteSize: 0 bytes/workgroup (compile time only)
; SGPRBlocks: 0
; VGPRBlocks: 0
; NumSGPRsForWavesPerEU: 4
; NumVGPRsForWavesPerEU: 1
; AccumOffset: 4
; Occupancy: 8
; WaveLimiterHint : 0
; COMPUTE_PGM_RSRC2:SCRATCH_EN: 0
; COMPUTE_PGM_RSRC2:USER_SGPR: 6
; COMPUTE_PGM_RSRC2:TRAP_HANDLER: 0
; COMPUTE_PGM_RSRC2:TGID_X_EN: 1
; COMPUTE_PGM_RSRC2:TGID_Y_EN: 0
; COMPUTE_PGM_RSRC2:TGID_Z_EN: 0
; COMPUTE_PGM_RSRC2:TIDIG_COMP_CNT: 0
; COMPUTE_PGM_RSRC3_GFX90A:ACCUM_OFFSET: 0
; COMPUTE_PGM_RSRC3_GFX90A:TG_SPLIT: 0
	.section	.text._ZN7rocprim17ROCPRIM_400000_NS6detail17trampoline_kernelINS0_14default_configENS1_27scan_by_key_config_selectorIj11FixedVectorIiLj2EEEEZZNS1_16scan_by_key_implILNS1_25lookback_scan_determinismE0ELb0ES3_N6thrust23THRUST_200600_302600_NS6detail15normal_iteratorINSB_10device_ptrIjEEEENSD_INSE_IS6_EEEESI_S6_NSB_4plusIvEENSB_8equal_toIvEES6_EE10hipError_tPvRmT2_T3_T4_T5_mT6_T7_P12ihipStream_tbENKUlT_T0_E_clISt17integral_constantIbLb1EES12_IbLb0EEEEDaSY_SZ_EUlSY_E_NS1_11comp_targetILNS1_3genE2ELNS1_11target_archE906ELNS1_3gpuE6ELNS1_3repE0EEENS1_30default_config_static_selectorELNS0_4arch9wavefront6targetE1EEEvT1_,"axG",@progbits,_ZN7rocprim17ROCPRIM_400000_NS6detail17trampoline_kernelINS0_14default_configENS1_27scan_by_key_config_selectorIj11FixedVectorIiLj2EEEEZZNS1_16scan_by_key_implILNS1_25lookback_scan_determinismE0ELb0ES3_N6thrust23THRUST_200600_302600_NS6detail15normal_iteratorINSB_10device_ptrIjEEEENSD_INSE_IS6_EEEESI_S6_NSB_4plusIvEENSB_8equal_toIvEES6_EE10hipError_tPvRmT2_T3_T4_T5_mT6_T7_P12ihipStream_tbENKUlT_T0_E_clISt17integral_constantIbLb1EES12_IbLb0EEEEDaSY_SZ_EUlSY_E_NS1_11comp_targetILNS1_3genE2ELNS1_11target_archE906ELNS1_3gpuE6ELNS1_3repE0EEENS1_30default_config_static_selectorELNS0_4arch9wavefront6targetE1EEEvT1_,comdat
	.protected	_ZN7rocprim17ROCPRIM_400000_NS6detail17trampoline_kernelINS0_14default_configENS1_27scan_by_key_config_selectorIj11FixedVectorIiLj2EEEEZZNS1_16scan_by_key_implILNS1_25lookback_scan_determinismE0ELb0ES3_N6thrust23THRUST_200600_302600_NS6detail15normal_iteratorINSB_10device_ptrIjEEEENSD_INSE_IS6_EEEESI_S6_NSB_4plusIvEENSB_8equal_toIvEES6_EE10hipError_tPvRmT2_T3_T4_T5_mT6_T7_P12ihipStream_tbENKUlT_T0_E_clISt17integral_constantIbLb1EES12_IbLb0EEEEDaSY_SZ_EUlSY_E_NS1_11comp_targetILNS1_3genE2ELNS1_11target_archE906ELNS1_3gpuE6ELNS1_3repE0EEENS1_30default_config_static_selectorELNS0_4arch9wavefront6targetE1EEEvT1_ ; -- Begin function _ZN7rocprim17ROCPRIM_400000_NS6detail17trampoline_kernelINS0_14default_configENS1_27scan_by_key_config_selectorIj11FixedVectorIiLj2EEEEZZNS1_16scan_by_key_implILNS1_25lookback_scan_determinismE0ELb0ES3_N6thrust23THRUST_200600_302600_NS6detail15normal_iteratorINSB_10device_ptrIjEEEENSD_INSE_IS6_EEEESI_S6_NSB_4plusIvEENSB_8equal_toIvEES6_EE10hipError_tPvRmT2_T3_T4_T5_mT6_T7_P12ihipStream_tbENKUlT_T0_E_clISt17integral_constantIbLb1EES12_IbLb0EEEEDaSY_SZ_EUlSY_E_NS1_11comp_targetILNS1_3genE2ELNS1_11target_archE906ELNS1_3gpuE6ELNS1_3repE0EEENS1_30default_config_static_selectorELNS0_4arch9wavefront6targetE1EEEvT1_
	.globl	_ZN7rocprim17ROCPRIM_400000_NS6detail17trampoline_kernelINS0_14default_configENS1_27scan_by_key_config_selectorIj11FixedVectorIiLj2EEEEZZNS1_16scan_by_key_implILNS1_25lookback_scan_determinismE0ELb0ES3_N6thrust23THRUST_200600_302600_NS6detail15normal_iteratorINSB_10device_ptrIjEEEENSD_INSE_IS6_EEEESI_S6_NSB_4plusIvEENSB_8equal_toIvEES6_EE10hipError_tPvRmT2_T3_T4_T5_mT6_T7_P12ihipStream_tbENKUlT_T0_E_clISt17integral_constantIbLb1EES12_IbLb0EEEEDaSY_SZ_EUlSY_E_NS1_11comp_targetILNS1_3genE2ELNS1_11target_archE906ELNS1_3gpuE6ELNS1_3repE0EEENS1_30default_config_static_selectorELNS0_4arch9wavefront6targetE1EEEvT1_
	.p2align	8
	.type	_ZN7rocprim17ROCPRIM_400000_NS6detail17trampoline_kernelINS0_14default_configENS1_27scan_by_key_config_selectorIj11FixedVectorIiLj2EEEEZZNS1_16scan_by_key_implILNS1_25lookback_scan_determinismE0ELb0ES3_N6thrust23THRUST_200600_302600_NS6detail15normal_iteratorINSB_10device_ptrIjEEEENSD_INSE_IS6_EEEESI_S6_NSB_4plusIvEENSB_8equal_toIvEES6_EE10hipError_tPvRmT2_T3_T4_T5_mT6_T7_P12ihipStream_tbENKUlT_T0_E_clISt17integral_constantIbLb1EES12_IbLb0EEEEDaSY_SZ_EUlSY_E_NS1_11comp_targetILNS1_3genE2ELNS1_11target_archE906ELNS1_3gpuE6ELNS1_3repE0EEENS1_30default_config_static_selectorELNS0_4arch9wavefront6targetE1EEEvT1_,@function
_ZN7rocprim17ROCPRIM_400000_NS6detail17trampoline_kernelINS0_14default_configENS1_27scan_by_key_config_selectorIj11FixedVectorIiLj2EEEEZZNS1_16scan_by_key_implILNS1_25lookback_scan_determinismE0ELb0ES3_N6thrust23THRUST_200600_302600_NS6detail15normal_iteratorINSB_10device_ptrIjEEEENSD_INSE_IS6_EEEESI_S6_NSB_4plusIvEENSB_8equal_toIvEES6_EE10hipError_tPvRmT2_T3_T4_T5_mT6_T7_P12ihipStream_tbENKUlT_T0_E_clISt17integral_constantIbLb1EES12_IbLb0EEEEDaSY_SZ_EUlSY_E_NS1_11comp_targetILNS1_3genE2ELNS1_11target_archE906ELNS1_3gpuE6ELNS1_3repE0EEENS1_30default_config_static_selectorELNS0_4arch9wavefront6targetE1EEEvT1_: ; @_ZN7rocprim17ROCPRIM_400000_NS6detail17trampoline_kernelINS0_14default_configENS1_27scan_by_key_config_selectorIj11FixedVectorIiLj2EEEEZZNS1_16scan_by_key_implILNS1_25lookback_scan_determinismE0ELb0ES3_N6thrust23THRUST_200600_302600_NS6detail15normal_iteratorINSB_10device_ptrIjEEEENSD_INSE_IS6_EEEESI_S6_NSB_4plusIvEENSB_8equal_toIvEES6_EE10hipError_tPvRmT2_T3_T4_T5_mT6_T7_P12ihipStream_tbENKUlT_T0_E_clISt17integral_constantIbLb1EES12_IbLb0EEEEDaSY_SZ_EUlSY_E_NS1_11comp_targetILNS1_3genE2ELNS1_11target_archE906ELNS1_3gpuE6ELNS1_3repE0EEENS1_30default_config_static_selectorELNS0_4arch9wavefront6targetE1EEEvT1_
; %bb.0:
	.section	.rodata,"a",@progbits
	.p2align	6, 0x0
	.amdhsa_kernel _ZN7rocprim17ROCPRIM_400000_NS6detail17trampoline_kernelINS0_14default_configENS1_27scan_by_key_config_selectorIj11FixedVectorIiLj2EEEEZZNS1_16scan_by_key_implILNS1_25lookback_scan_determinismE0ELb0ES3_N6thrust23THRUST_200600_302600_NS6detail15normal_iteratorINSB_10device_ptrIjEEEENSD_INSE_IS6_EEEESI_S6_NSB_4plusIvEENSB_8equal_toIvEES6_EE10hipError_tPvRmT2_T3_T4_T5_mT6_T7_P12ihipStream_tbENKUlT_T0_E_clISt17integral_constantIbLb1EES12_IbLb0EEEEDaSY_SZ_EUlSY_E_NS1_11comp_targetILNS1_3genE2ELNS1_11target_archE906ELNS1_3gpuE6ELNS1_3repE0EEENS1_30default_config_static_selectorELNS0_4arch9wavefront6targetE1EEEvT1_
		.amdhsa_group_segment_fixed_size 0
		.amdhsa_private_segment_fixed_size 0
		.amdhsa_kernarg_size 120
		.amdhsa_user_sgpr_count 6
		.amdhsa_user_sgpr_private_segment_buffer 1
		.amdhsa_user_sgpr_dispatch_ptr 0
		.amdhsa_user_sgpr_queue_ptr 0
		.amdhsa_user_sgpr_kernarg_segment_ptr 1
		.amdhsa_user_sgpr_dispatch_id 0
		.amdhsa_user_sgpr_flat_scratch_init 0
		.amdhsa_user_sgpr_kernarg_preload_length 0
		.amdhsa_user_sgpr_kernarg_preload_offset 0
		.amdhsa_user_sgpr_private_segment_size 0
		.amdhsa_uses_dynamic_stack 0
		.amdhsa_system_sgpr_private_segment_wavefront_offset 0
		.amdhsa_system_sgpr_workgroup_id_x 1
		.amdhsa_system_sgpr_workgroup_id_y 0
		.amdhsa_system_sgpr_workgroup_id_z 0
		.amdhsa_system_sgpr_workgroup_info 0
		.amdhsa_system_vgpr_workitem_id 0
		.amdhsa_next_free_vgpr 1
		.amdhsa_next_free_sgpr 0
		.amdhsa_accum_offset 4
		.amdhsa_reserve_vcc 0
		.amdhsa_reserve_flat_scratch 0
		.amdhsa_float_round_mode_32 0
		.amdhsa_float_round_mode_16_64 0
		.amdhsa_float_denorm_mode_32 3
		.amdhsa_float_denorm_mode_16_64 3
		.amdhsa_dx10_clamp 1
		.amdhsa_ieee_mode 1
		.amdhsa_fp16_overflow 0
		.amdhsa_tg_split 0
		.amdhsa_exception_fp_ieee_invalid_op 0
		.amdhsa_exception_fp_denorm_src 0
		.amdhsa_exception_fp_ieee_div_zero 0
		.amdhsa_exception_fp_ieee_overflow 0
		.amdhsa_exception_fp_ieee_underflow 0
		.amdhsa_exception_fp_ieee_inexact 0
		.amdhsa_exception_int_div_zero 0
	.end_amdhsa_kernel
	.section	.text._ZN7rocprim17ROCPRIM_400000_NS6detail17trampoline_kernelINS0_14default_configENS1_27scan_by_key_config_selectorIj11FixedVectorIiLj2EEEEZZNS1_16scan_by_key_implILNS1_25lookback_scan_determinismE0ELb0ES3_N6thrust23THRUST_200600_302600_NS6detail15normal_iteratorINSB_10device_ptrIjEEEENSD_INSE_IS6_EEEESI_S6_NSB_4plusIvEENSB_8equal_toIvEES6_EE10hipError_tPvRmT2_T3_T4_T5_mT6_T7_P12ihipStream_tbENKUlT_T0_E_clISt17integral_constantIbLb1EES12_IbLb0EEEEDaSY_SZ_EUlSY_E_NS1_11comp_targetILNS1_3genE2ELNS1_11target_archE906ELNS1_3gpuE6ELNS1_3repE0EEENS1_30default_config_static_selectorELNS0_4arch9wavefront6targetE1EEEvT1_,"axG",@progbits,_ZN7rocprim17ROCPRIM_400000_NS6detail17trampoline_kernelINS0_14default_configENS1_27scan_by_key_config_selectorIj11FixedVectorIiLj2EEEEZZNS1_16scan_by_key_implILNS1_25lookback_scan_determinismE0ELb0ES3_N6thrust23THRUST_200600_302600_NS6detail15normal_iteratorINSB_10device_ptrIjEEEENSD_INSE_IS6_EEEESI_S6_NSB_4plusIvEENSB_8equal_toIvEES6_EE10hipError_tPvRmT2_T3_T4_T5_mT6_T7_P12ihipStream_tbENKUlT_T0_E_clISt17integral_constantIbLb1EES12_IbLb0EEEEDaSY_SZ_EUlSY_E_NS1_11comp_targetILNS1_3genE2ELNS1_11target_archE906ELNS1_3gpuE6ELNS1_3repE0EEENS1_30default_config_static_selectorELNS0_4arch9wavefront6targetE1EEEvT1_,comdat
.Lfunc_end1978:
	.size	_ZN7rocprim17ROCPRIM_400000_NS6detail17trampoline_kernelINS0_14default_configENS1_27scan_by_key_config_selectorIj11FixedVectorIiLj2EEEEZZNS1_16scan_by_key_implILNS1_25lookback_scan_determinismE0ELb0ES3_N6thrust23THRUST_200600_302600_NS6detail15normal_iteratorINSB_10device_ptrIjEEEENSD_INSE_IS6_EEEESI_S6_NSB_4plusIvEENSB_8equal_toIvEES6_EE10hipError_tPvRmT2_T3_T4_T5_mT6_T7_P12ihipStream_tbENKUlT_T0_E_clISt17integral_constantIbLb1EES12_IbLb0EEEEDaSY_SZ_EUlSY_E_NS1_11comp_targetILNS1_3genE2ELNS1_11target_archE906ELNS1_3gpuE6ELNS1_3repE0EEENS1_30default_config_static_selectorELNS0_4arch9wavefront6targetE1EEEvT1_, .Lfunc_end1978-_ZN7rocprim17ROCPRIM_400000_NS6detail17trampoline_kernelINS0_14default_configENS1_27scan_by_key_config_selectorIj11FixedVectorIiLj2EEEEZZNS1_16scan_by_key_implILNS1_25lookback_scan_determinismE0ELb0ES3_N6thrust23THRUST_200600_302600_NS6detail15normal_iteratorINSB_10device_ptrIjEEEENSD_INSE_IS6_EEEESI_S6_NSB_4plusIvEENSB_8equal_toIvEES6_EE10hipError_tPvRmT2_T3_T4_T5_mT6_T7_P12ihipStream_tbENKUlT_T0_E_clISt17integral_constantIbLb1EES12_IbLb0EEEEDaSY_SZ_EUlSY_E_NS1_11comp_targetILNS1_3genE2ELNS1_11target_archE906ELNS1_3gpuE6ELNS1_3repE0EEENS1_30default_config_static_selectorELNS0_4arch9wavefront6targetE1EEEvT1_
                                        ; -- End function
	.section	.AMDGPU.csdata,"",@progbits
; Kernel info:
; codeLenInByte = 0
; NumSgprs: 4
; NumVgprs: 0
; NumAgprs: 0
; TotalNumVgprs: 0
; ScratchSize: 0
; MemoryBound: 0
; FloatMode: 240
; IeeeMode: 1
; LDSByteSize: 0 bytes/workgroup (compile time only)
; SGPRBlocks: 0
; VGPRBlocks: 0
; NumSGPRsForWavesPerEU: 4
; NumVGPRsForWavesPerEU: 1
; AccumOffset: 4
; Occupancy: 8
; WaveLimiterHint : 0
; COMPUTE_PGM_RSRC2:SCRATCH_EN: 0
; COMPUTE_PGM_RSRC2:USER_SGPR: 6
; COMPUTE_PGM_RSRC2:TRAP_HANDLER: 0
; COMPUTE_PGM_RSRC2:TGID_X_EN: 1
; COMPUTE_PGM_RSRC2:TGID_Y_EN: 0
; COMPUTE_PGM_RSRC2:TGID_Z_EN: 0
; COMPUTE_PGM_RSRC2:TIDIG_COMP_CNT: 0
; COMPUTE_PGM_RSRC3_GFX90A:ACCUM_OFFSET: 0
; COMPUTE_PGM_RSRC3_GFX90A:TG_SPLIT: 0
	.section	.text._ZN7rocprim17ROCPRIM_400000_NS6detail17trampoline_kernelINS0_14default_configENS1_27scan_by_key_config_selectorIj11FixedVectorIiLj2EEEEZZNS1_16scan_by_key_implILNS1_25lookback_scan_determinismE0ELb0ES3_N6thrust23THRUST_200600_302600_NS6detail15normal_iteratorINSB_10device_ptrIjEEEENSD_INSE_IS6_EEEESI_S6_NSB_4plusIvEENSB_8equal_toIvEES6_EE10hipError_tPvRmT2_T3_T4_T5_mT6_T7_P12ihipStream_tbENKUlT_T0_E_clISt17integral_constantIbLb1EES12_IbLb0EEEEDaSY_SZ_EUlSY_E_NS1_11comp_targetILNS1_3genE10ELNS1_11target_archE1200ELNS1_3gpuE4ELNS1_3repE0EEENS1_30default_config_static_selectorELNS0_4arch9wavefront6targetE1EEEvT1_,"axG",@progbits,_ZN7rocprim17ROCPRIM_400000_NS6detail17trampoline_kernelINS0_14default_configENS1_27scan_by_key_config_selectorIj11FixedVectorIiLj2EEEEZZNS1_16scan_by_key_implILNS1_25lookback_scan_determinismE0ELb0ES3_N6thrust23THRUST_200600_302600_NS6detail15normal_iteratorINSB_10device_ptrIjEEEENSD_INSE_IS6_EEEESI_S6_NSB_4plusIvEENSB_8equal_toIvEES6_EE10hipError_tPvRmT2_T3_T4_T5_mT6_T7_P12ihipStream_tbENKUlT_T0_E_clISt17integral_constantIbLb1EES12_IbLb0EEEEDaSY_SZ_EUlSY_E_NS1_11comp_targetILNS1_3genE10ELNS1_11target_archE1200ELNS1_3gpuE4ELNS1_3repE0EEENS1_30default_config_static_selectorELNS0_4arch9wavefront6targetE1EEEvT1_,comdat
	.protected	_ZN7rocprim17ROCPRIM_400000_NS6detail17trampoline_kernelINS0_14default_configENS1_27scan_by_key_config_selectorIj11FixedVectorIiLj2EEEEZZNS1_16scan_by_key_implILNS1_25lookback_scan_determinismE0ELb0ES3_N6thrust23THRUST_200600_302600_NS6detail15normal_iteratorINSB_10device_ptrIjEEEENSD_INSE_IS6_EEEESI_S6_NSB_4plusIvEENSB_8equal_toIvEES6_EE10hipError_tPvRmT2_T3_T4_T5_mT6_T7_P12ihipStream_tbENKUlT_T0_E_clISt17integral_constantIbLb1EES12_IbLb0EEEEDaSY_SZ_EUlSY_E_NS1_11comp_targetILNS1_3genE10ELNS1_11target_archE1200ELNS1_3gpuE4ELNS1_3repE0EEENS1_30default_config_static_selectorELNS0_4arch9wavefront6targetE1EEEvT1_ ; -- Begin function _ZN7rocprim17ROCPRIM_400000_NS6detail17trampoline_kernelINS0_14default_configENS1_27scan_by_key_config_selectorIj11FixedVectorIiLj2EEEEZZNS1_16scan_by_key_implILNS1_25lookback_scan_determinismE0ELb0ES3_N6thrust23THRUST_200600_302600_NS6detail15normal_iteratorINSB_10device_ptrIjEEEENSD_INSE_IS6_EEEESI_S6_NSB_4plusIvEENSB_8equal_toIvEES6_EE10hipError_tPvRmT2_T3_T4_T5_mT6_T7_P12ihipStream_tbENKUlT_T0_E_clISt17integral_constantIbLb1EES12_IbLb0EEEEDaSY_SZ_EUlSY_E_NS1_11comp_targetILNS1_3genE10ELNS1_11target_archE1200ELNS1_3gpuE4ELNS1_3repE0EEENS1_30default_config_static_selectorELNS0_4arch9wavefront6targetE1EEEvT1_
	.globl	_ZN7rocprim17ROCPRIM_400000_NS6detail17trampoline_kernelINS0_14default_configENS1_27scan_by_key_config_selectorIj11FixedVectorIiLj2EEEEZZNS1_16scan_by_key_implILNS1_25lookback_scan_determinismE0ELb0ES3_N6thrust23THRUST_200600_302600_NS6detail15normal_iteratorINSB_10device_ptrIjEEEENSD_INSE_IS6_EEEESI_S6_NSB_4plusIvEENSB_8equal_toIvEES6_EE10hipError_tPvRmT2_T3_T4_T5_mT6_T7_P12ihipStream_tbENKUlT_T0_E_clISt17integral_constantIbLb1EES12_IbLb0EEEEDaSY_SZ_EUlSY_E_NS1_11comp_targetILNS1_3genE10ELNS1_11target_archE1200ELNS1_3gpuE4ELNS1_3repE0EEENS1_30default_config_static_selectorELNS0_4arch9wavefront6targetE1EEEvT1_
	.p2align	8
	.type	_ZN7rocprim17ROCPRIM_400000_NS6detail17trampoline_kernelINS0_14default_configENS1_27scan_by_key_config_selectorIj11FixedVectorIiLj2EEEEZZNS1_16scan_by_key_implILNS1_25lookback_scan_determinismE0ELb0ES3_N6thrust23THRUST_200600_302600_NS6detail15normal_iteratorINSB_10device_ptrIjEEEENSD_INSE_IS6_EEEESI_S6_NSB_4plusIvEENSB_8equal_toIvEES6_EE10hipError_tPvRmT2_T3_T4_T5_mT6_T7_P12ihipStream_tbENKUlT_T0_E_clISt17integral_constantIbLb1EES12_IbLb0EEEEDaSY_SZ_EUlSY_E_NS1_11comp_targetILNS1_3genE10ELNS1_11target_archE1200ELNS1_3gpuE4ELNS1_3repE0EEENS1_30default_config_static_selectorELNS0_4arch9wavefront6targetE1EEEvT1_,@function
_ZN7rocprim17ROCPRIM_400000_NS6detail17trampoline_kernelINS0_14default_configENS1_27scan_by_key_config_selectorIj11FixedVectorIiLj2EEEEZZNS1_16scan_by_key_implILNS1_25lookback_scan_determinismE0ELb0ES3_N6thrust23THRUST_200600_302600_NS6detail15normal_iteratorINSB_10device_ptrIjEEEENSD_INSE_IS6_EEEESI_S6_NSB_4plusIvEENSB_8equal_toIvEES6_EE10hipError_tPvRmT2_T3_T4_T5_mT6_T7_P12ihipStream_tbENKUlT_T0_E_clISt17integral_constantIbLb1EES12_IbLb0EEEEDaSY_SZ_EUlSY_E_NS1_11comp_targetILNS1_3genE10ELNS1_11target_archE1200ELNS1_3gpuE4ELNS1_3repE0EEENS1_30default_config_static_selectorELNS0_4arch9wavefront6targetE1EEEvT1_: ; @_ZN7rocprim17ROCPRIM_400000_NS6detail17trampoline_kernelINS0_14default_configENS1_27scan_by_key_config_selectorIj11FixedVectorIiLj2EEEEZZNS1_16scan_by_key_implILNS1_25lookback_scan_determinismE0ELb0ES3_N6thrust23THRUST_200600_302600_NS6detail15normal_iteratorINSB_10device_ptrIjEEEENSD_INSE_IS6_EEEESI_S6_NSB_4plusIvEENSB_8equal_toIvEES6_EE10hipError_tPvRmT2_T3_T4_T5_mT6_T7_P12ihipStream_tbENKUlT_T0_E_clISt17integral_constantIbLb1EES12_IbLb0EEEEDaSY_SZ_EUlSY_E_NS1_11comp_targetILNS1_3genE10ELNS1_11target_archE1200ELNS1_3gpuE4ELNS1_3repE0EEENS1_30default_config_static_selectorELNS0_4arch9wavefront6targetE1EEEvT1_
; %bb.0:
	.section	.rodata,"a",@progbits
	.p2align	6, 0x0
	.amdhsa_kernel _ZN7rocprim17ROCPRIM_400000_NS6detail17trampoline_kernelINS0_14default_configENS1_27scan_by_key_config_selectorIj11FixedVectorIiLj2EEEEZZNS1_16scan_by_key_implILNS1_25lookback_scan_determinismE0ELb0ES3_N6thrust23THRUST_200600_302600_NS6detail15normal_iteratorINSB_10device_ptrIjEEEENSD_INSE_IS6_EEEESI_S6_NSB_4plusIvEENSB_8equal_toIvEES6_EE10hipError_tPvRmT2_T3_T4_T5_mT6_T7_P12ihipStream_tbENKUlT_T0_E_clISt17integral_constantIbLb1EES12_IbLb0EEEEDaSY_SZ_EUlSY_E_NS1_11comp_targetILNS1_3genE10ELNS1_11target_archE1200ELNS1_3gpuE4ELNS1_3repE0EEENS1_30default_config_static_selectorELNS0_4arch9wavefront6targetE1EEEvT1_
		.amdhsa_group_segment_fixed_size 0
		.amdhsa_private_segment_fixed_size 0
		.amdhsa_kernarg_size 120
		.amdhsa_user_sgpr_count 6
		.amdhsa_user_sgpr_private_segment_buffer 1
		.amdhsa_user_sgpr_dispatch_ptr 0
		.amdhsa_user_sgpr_queue_ptr 0
		.amdhsa_user_sgpr_kernarg_segment_ptr 1
		.amdhsa_user_sgpr_dispatch_id 0
		.amdhsa_user_sgpr_flat_scratch_init 0
		.amdhsa_user_sgpr_kernarg_preload_length 0
		.amdhsa_user_sgpr_kernarg_preload_offset 0
		.amdhsa_user_sgpr_private_segment_size 0
		.amdhsa_uses_dynamic_stack 0
		.amdhsa_system_sgpr_private_segment_wavefront_offset 0
		.amdhsa_system_sgpr_workgroup_id_x 1
		.amdhsa_system_sgpr_workgroup_id_y 0
		.amdhsa_system_sgpr_workgroup_id_z 0
		.amdhsa_system_sgpr_workgroup_info 0
		.amdhsa_system_vgpr_workitem_id 0
		.amdhsa_next_free_vgpr 1
		.amdhsa_next_free_sgpr 0
		.amdhsa_accum_offset 4
		.amdhsa_reserve_vcc 0
		.amdhsa_reserve_flat_scratch 0
		.amdhsa_float_round_mode_32 0
		.amdhsa_float_round_mode_16_64 0
		.amdhsa_float_denorm_mode_32 3
		.amdhsa_float_denorm_mode_16_64 3
		.amdhsa_dx10_clamp 1
		.amdhsa_ieee_mode 1
		.amdhsa_fp16_overflow 0
		.amdhsa_tg_split 0
		.amdhsa_exception_fp_ieee_invalid_op 0
		.amdhsa_exception_fp_denorm_src 0
		.amdhsa_exception_fp_ieee_div_zero 0
		.amdhsa_exception_fp_ieee_overflow 0
		.amdhsa_exception_fp_ieee_underflow 0
		.amdhsa_exception_fp_ieee_inexact 0
		.amdhsa_exception_int_div_zero 0
	.end_amdhsa_kernel
	.section	.text._ZN7rocprim17ROCPRIM_400000_NS6detail17trampoline_kernelINS0_14default_configENS1_27scan_by_key_config_selectorIj11FixedVectorIiLj2EEEEZZNS1_16scan_by_key_implILNS1_25lookback_scan_determinismE0ELb0ES3_N6thrust23THRUST_200600_302600_NS6detail15normal_iteratorINSB_10device_ptrIjEEEENSD_INSE_IS6_EEEESI_S6_NSB_4plusIvEENSB_8equal_toIvEES6_EE10hipError_tPvRmT2_T3_T4_T5_mT6_T7_P12ihipStream_tbENKUlT_T0_E_clISt17integral_constantIbLb1EES12_IbLb0EEEEDaSY_SZ_EUlSY_E_NS1_11comp_targetILNS1_3genE10ELNS1_11target_archE1200ELNS1_3gpuE4ELNS1_3repE0EEENS1_30default_config_static_selectorELNS0_4arch9wavefront6targetE1EEEvT1_,"axG",@progbits,_ZN7rocprim17ROCPRIM_400000_NS6detail17trampoline_kernelINS0_14default_configENS1_27scan_by_key_config_selectorIj11FixedVectorIiLj2EEEEZZNS1_16scan_by_key_implILNS1_25lookback_scan_determinismE0ELb0ES3_N6thrust23THRUST_200600_302600_NS6detail15normal_iteratorINSB_10device_ptrIjEEEENSD_INSE_IS6_EEEESI_S6_NSB_4plusIvEENSB_8equal_toIvEES6_EE10hipError_tPvRmT2_T3_T4_T5_mT6_T7_P12ihipStream_tbENKUlT_T0_E_clISt17integral_constantIbLb1EES12_IbLb0EEEEDaSY_SZ_EUlSY_E_NS1_11comp_targetILNS1_3genE10ELNS1_11target_archE1200ELNS1_3gpuE4ELNS1_3repE0EEENS1_30default_config_static_selectorELNS0_4arch9wavefront6targetE1EEEvT1_,comdat
.Lfunc_end1979:
	.size	_ZN7rocprim17ROCPRIM_400000_NS6detail17trampoline_kernelINS0_14default_configENS1_27scan_by_key_config_selectorIj11FixedVectorIiLj2EEEEZZNS1_16scan_by_key_implILNS1_25lookback_scan_determinismE0ELb0ES3_N6thrust23THRUST_200600_302600_NS6detail15normal_iteratorINSB_10device_ptrIjEEEENSD_INSE_IS6_EEEESI_S6_NSB_4plusIvEENSB_8equal_toIvEES6_EE10hipError_tPvRmT2_T3_T4_T5_mT6_T7_P12ihipStream_tbENKUlT_T0_E_clISt17integral_constantIbLb1EES12_IbLb0EEEEDaSY_SZ_EUlSY_E_NS1_11comp_targetILNS1_3genE10ELNS1_11target_archE1200ELNS1_3gpuE4ELNS1_3repE0EEENS1_30default_config_static_selectorELNS0_4arch9wavefront6targetE1EEEvT1_, .Lfunc_end1979-_ZN7rocprim17ROCPRIM_400000_NS6detail17trampoline_kernelINS0_14default_configENS1_27scan_by_key_config_selectorIj11FixedVectorIiLj2EEEEZZNS1_16scan_by_key_implILNS1_25lookback_scan_determinismE0ELb0ES3_N6thrust23THRUST_200600_302600_NS6detail15normal_iteratorINSB_10device_ptrIjEEEENSD_INSE_IS6_EEEESI_S6_NSB_4plusIvEENSB_8equal_toIvEES6_EE10hipError_tPvRmT2_T3_T4_T5_mT6_T7_P12ihipStream_tbENKUlT_T0_E_clISt17integral_constantIbLb1EES12_IbLb0EEEEDaSY_SZ_EUlSY_E_NS1_11comp_targetILNS1_3genE10ELNS1_11target_archE1200ELNS1_3gpuE4ELNS1_3repE0EEENS1_30default_config_static_selectorELNS0_4arch9wavefront6targetE1EEEvT1_
                                        ; -- End function
	.section	.AMDGPU.csdata,"",@progbits
; Kernel info:
; codeLenInByte = 0
; NumSgprs: 4
; NumVgprs: 0
; NumAgprs: 0
; TotalNumVgprs: 0
; ScratchSize: 0
; MemoryBound: 0
; FloatMode: 240
; IeeeMode: 1
; LDSByteSize: 0 bytes/workgroup (compile time only)
; SGPRBlocks: 0
; VGPRBlocks: 0
; NumSGPRsForWavesPerEU: 4
; NumVGPRsForWavesPerEU: 1
; AccumOffset: 4
; Occupancy: 8
; WaveLimiterHint : 0
; COMPUTE_PGM_RSRC2:SCRATCH_EN: 0
; COMPUTE_PGM_RSRC2:USER_SGPR: 6
; COMPUTE_PGM_RSRC2:TRAP_HANDLER: 0
; COMPUTE_PGM_RSRC2:TGID_X_EN: 1
; COMPUTE_PGM_RSRC2:TGID_Y_EN: 0
; COMPUTE_PGM_RSRC2:TGID_Z_EN: 0
; COMPUTE_PGM_RSRC2:TIDIG_COMP_CNT: 0
; COMPUTE_PGM_RSRC3_GFX90A:ACCUM_OFFSET: 0
; COMPUTE_PGM_RSRC3_GFX90A:TG_SPLIT: 0
	.section	.text._ZN7rocprim17ROCPRIM_400000_NS6detail17trampoline_kernelINS0_14default_configENS1_27scan_by_key_config_selectorIj11FixedVectorIiLj2EEEEZZNS1_16scan_by_key_implILNS1_25lookback_scan_determinismE0ELb0ES3_N6thrust23THRUST_200600_302600_NS6detail15normal_iteratorINSB_10device_ptrIjEEEENSD_INSE_IS6_EEEESI_S6_NSB_4plusIvEENSB_8equal_toIvEES6_EE10hipError_tPvRmT2_T3_T4_T5_mT6_T7_P12ihipStream_tbENKUlT_T0_E_clISt17integral_constantIbLb1EES12_IbLb0EEEEDaSY_SZ_EUlSY_E_NS1_11comp_targetILNS1_3genE9ELNS1_11target_archE1100ELNS1_3gpuE3ELNS1_3repE0EEENS1_30default_config_static_selectorELNS0_4arch9wavefront6targetE1EEEvT1_,"axG",@progbits,_ZN7rocprim17ROCPRIM_400000_NS6detail17trampoline_kernelINS0_14default_configENS1_27scan_by_key_config_selectorIj11FixedVectorIiLj2EEEEZZNS1_16scan_by_key_implILNS1_25lookback_scan_determinismE0ELb0ES3_N6thrust23THRUST_200600_302600_NS6detail15normal_iteratorINSB_10device_ptrIjEEEENSD_INSE_IS6_EEEESI_S6_NSB_4plusIvEENSB_8equal_toIvEES6_EE10hipError_tPvRmT2_T3_T4_T5_mT6_T7_P12ihipStream_tbENKUlT_T0_E_clISt17integral_constantIbLb1EES12_IbLb0EEEEDaSY_SZ_EUlSY_E_NS1_11comp_targetILNS1_3genE9ELNS1_11target_archE1100ELNS1_3gpuE3ELNS1_3repE0EEENS1_30default_config_static_selectorELNS0_4arch9wavefront6targetE1EEEvT1_,comdat
	.protected	_ZN7rocprim17ROCPRIM_400000_NS6detail17trampoline_kernelINS0_14default_configENS1_27scan_by_key_config_selectorIj11FixedVectorIiLj2EEEEZZNS1_16scan_by_key_implILNS1_25lookback_scan_determinismE0ELb0ES3_N6thrust23THRUST_200600_302600_NS6detail15normal_iteratorINSB_10device_ptrIjEEEENSD_INSE_IS6_EEEESI_S6_NSB_4plusIvEENSB_8equal_toIvEES6_EE10hipError_tPvRmT2_T3_T4_T5_mT6_T7_P12ihipStream_tbENKUlT_T0_E_clISt17integral_constantIbLb1EES12_IbLb0EEEEDaSY_SZ_EUlSY_E_NS1_11comp_targetILNS1_3genE9ELNS1_11target_archE1100ELNS1_3gpuE3ELNS1_3repE0EEENS1_30default_config_static_selectorELNS0_4arch9wavefront6targetE1EEEvT1_ ; -- Begin function _ZN7rocprim17ROCPRIM_400000_NS6detail17trampoline_kernelINS0_14default_configENS1_27scan_by_key_config_selectorIj11FixedVectorIiLj2EEEEZZNS1_16scan_by_key_implILNS1_25lookback_scan_determinismE0ELb0ES3_N6thrust23THRUST_200600_302600_NS6detail15normal_iteratorINSB_10device_ptrIjEEEENSD_INSE_IS6_EEEESI_S6_NSB_4plusIvEENSB_8equal_toIvEES6_EE10hipError_tPvRmT2_T3_T4_T5_mT6_T7_P12ihipStream_tbENKUlT_T0_E_clISt17integral_constantIbLb1EES12_IbLb0EEEEDaSY_SZ_EUlSY_E_NS1_11comp_targetILNS1_3genE9ELNS1_11target_archE1100ELNS1_3gpuE3ELNS1_3repE0EEENS1_30default_config_static_selectorELNS0_4arch9wavefront6targetE1EEEvT1_
	.globl	_ZN7rocprim17ROCPRIM_400000_NS6detail17trampoline_kernelINS0_14default_configENS1_27scan_by_key_config_selectorIj11FixedVectorIiLj2EEEEZZNS1_16scan_by_key_implILNS1_25lookback_scan_determinismE0ELb0ES3_N6thrust23THRUST_200600_302600_NS6detail15normal_iteratorINSB_10device_ptrIjEEEENSD_INSE_IS6_EEEESI_S6_NSB_4plusIvEENSB_8equal_toIvEES6_EE10hipError_tPvRmT2_T3_T4_T5_mT6_T7_P12ihipStream_tbENKUlT_T0_E_clISt17integral_constantIbLb1EES12_IbLb0EEEEDaSY_SZ_EUlSY_E_NS1_11comp_targetILNS1_3genE9ELNS1_11target_archE1100ELNS1_3gpuE3ELNS1_3repE0EEENS1_30default_config_static_selectorELNS0_4arch9wavefront6targetE1EEEvT1_
	.p2align	8
	.type	_ZN7rocprim17ROCPRIM_400000_NS6detail17trampoline_kernelINS0_14default_configENS1_27scan_by_key_config_selectorIj11FixedVectorIiLj2EEEEZZNS1_16scan_by_key_implILNS1_25lookback_scan_determinismE0ELb0ES3_N6thrust23THRUST_200600_302600_NS6detail15normal_iteratorINSB_10device_ptrIjEEEENSD_INSE_IS6_EEEESI_S6_NSB_4plusIvEENSB_8equal_toIvEES6_EE10hipError_tPvRmT2_T3_T4_T5_mT6_T7_P12ihipStream_tbENKUlT_T0_E_clISt17integral_constantIbLb1EES12_IbLb0EEEEDaSY_SZ_EUlSY_E_NS1_11comp_targetILNS1_3genE9ELNS1_11target_archE1100ELNS1_3gpuE3ELNS1_3repE0EEENS1_30default_config_static_selectorELNS0_4arch9wavefront6targetE1EEEvT1_,@function
_ZN7rocprim17ROCPRIM_400000_NS6detail17trampoline_kernelINS0_14default_configENS1_27scan_by_key_config_selectorIj11FixedVectorIiLj2EEEEZZNS1_16scan_by_key_implILNS1_25lookback_scan_determinismE0ELb0ES3_N6thrust23THRUST_200600_302600_NS6detail15normal_iteratorINSB_10device_ptrIjEEEENSD_INSE_IS6_EEEESI_S6_NSB_4plusIvEENSB_8equal_toIvEES6_EE10hipError_tPvRmT2_T3_T4_T5_mT6_T7_P12ihipStream_tbENKUlT_T0_E_clISt17integral_constantIbLb1EES12_IbLb0EEEEDaSY_SZ_EUlSY_E_NS1_11comp_targetILNS1_3genE9ELNS1_11target_archE1100ELNS1_3gpuE3ELNS1_3repE0EEENS1_30default_config_static_selectorELNS0_4arch9wavefront6targetE1EEEvT1_: ; @_ZN7rocprim17ROCPRIM_400000_NS6detail17trampoline_kernelINS0_14default_configENS1_27scan_by_key_config_selectorIj11FixedVectorIiLj2EEEEZZNS1_16scan_by_key_implILNS1_25lookback_scan_determinismE0ELb0ES3_N6thrust23THRUST_200600_302600_NS6detail15normal_iteratorINSB_10device_ptrIjEEEENSD_INSE_IS6_EEEESI_S6_NSB_4plusIvEENSB_8equal_toIvEES6_EE10hipError_tPvRmT2_T3_T4_T5_mT6_T7_P12ihipStream_tbENKUlT_T0_E_clISt17integral_constantIbLb1EES12_IbLb0EEEEDaSY_SZ_EUlSY_E_NS1_11comp_targetILNS1_3genE9ELNS1_11target_archE1100ELNS1_3gpuE3ELNS1_3repE0EEENS1_30default_config_static_selectorELNS0_4arch9wavefront6targetE1EEEvT1_
; %bb.0:
	.section	.rodata,"a",@progbits
	.p2align	6, 0x0
	.amdhsa_kernel _ZN7rocprim17ROCPRIM_400000_NS6detail17trampoline_kernelINS0_14default_configENS1_27scan_by_key_config_selectorIj11FixedVectorIiLj2EEEEZZNS1_16scan_by_key_implILNS1_25lookback_scan_determinismE0ELb0ES3_N6thrust23THRUST_200600_302600_NS6detail15normal_iteratorINSB_10device_ptrIjEEEENSD_INSE_IS6_EEEESI_S6_NSB_4plusIvEENSB_8equal_toIvEES6_EE10hipError_tPvRmT2_T3_T4_T5_mT6_T7_P12ihipStream_tbENKUlT_T0_E_clISt17integral_constantIbLb1EES12_IbLb0EEEEDaSY_SZ_EUlSY_E_NS1_11comp_targetILNS1_3genE9ELNS1_11target_archE1100ELNS1_3gpuE3ELNS1_3repE0EEENS1_30default_config_static_selectorELNS0_4arch9wavefront6targetE1EEEvT1_
		.amdhsa_group_segment_fixed_size 0
		.amdhsa_private_segment_fixed_size 0
		.amdhsa_kernarg_size 120
		.amdhsa_user_sgpr_count 6
		.amdhsa_user_sgpr_private_segment_buffer 1
		.amdhsa_user_sgpr_dispatch_ptr 0
		.amdhsa_user_sgpr_queue_ptr 0
		.amdhsa_user_sgpr_kernarg_segment_ptr 1
		.amdhsa_user_sgpr_dispatch_id 0
		.amdhsa_user_sgpr_flat_scratch_init 0
		.amdhsa_user_sgpr_kernarg_preload_length 0
		.amdhsa_user_sgpr_kernarg_preload_offset 0
		.amdhsa_user_sgpr_private_segment_size 0
		.amdhsa_uses_dynamic_stack 0
		.amdhsa_system_sgpr_private_segment_wavefront_offset 0
		.amdhsa_system_sgpr_workgroup_id_x 1
		.amdhsa_system_sgpr_workgroup_id_y 0
		.amdhsa_system_sgpr_workgroup_id_z 0
		.amdhsa_system_sgpr_workgroup_info 0
		.amdhsa_system_vgpr_workitem_id 0
		.amdhsa_next_free_vgpr 1
		.amdhsa_next_free_sgpr 0
		.amdhsa_accum_offset 4
		.amdhsa_reserve_vcc 0
		.amdhsa_reserve_flat_scratch 0
		.amdhsa_float_round_mode_32 0
		.amdhsa_float_round_mode_16_64 0
		.amdhsa_float_denorm_mode_32 3
		.amdhsa_float_denorm_mode_16_64 3
		.amdhsa_dx10_clamp 1
		.amdhsa_ieee_mode 1
		.amdhsa_fp16_overflow 0
		.amdhsa_tg_split 0
		.amdhsa_exception_fp_ieee_invalid_op 0
		.amdhsa_exception_fp_denorm_src 0
		.amdhsa_exception_fp_ieee_div_zero 0
		.amdhsa_exception_fp_ieee_overflow 0
		.amdhsa_exception_fp_ieee_underflow 0
		.amdhsa_exception_fp_ieee_inexact 0
		.amdhsa_exception_int_div_zero 0
	.end_amdhsa_kernel
	.section	.text._ZN7rocprim17ROCPRIM_400000_NS6detail17trampoline_kernelINS0_14default_configENS1_27scan_by_key_config_selectorIj11FixedVectorIiLj2EEEEZZNS1_16scan_by_key_implILNS1_25lookback_scan_determinismE0ELb0ES3_N6thrust23THRUST_200600_302600_NS6detail15normal_iteratorINSB_10device_ptrIjEEEENSD_INSE_IS6_EEEESI_S6_NSB_4plusIvEENSB_8equal_toIvEES6_EE10hipError_tPvRmT2_T3_T4_T5_mT6_T7_P12ihipStream_tbENKUlT_T0_E_clISt17integral_constantIbLb1EES12_IbLb0EEEEDaSY_SZ_EUlSY_E_NS1_11comp_targetILNS1_3genE9ELNS1_11target_archE1100ELNS1_3gpuE3ELNS1_3repE0EEENS1_30default_config_static_selectorELNS0_4arch9wavefront6targetE1EEEvT1_,"axG",@progbits,_ZN7rocprim17ROCPRIM_400000_NS6detail17trampoline_kernelINS0_14default_configENS1_27scan_by_key_config_selectorIj11FixedVectorIiLj2EEEEZZNS1_16scan_by_key_implILNS1_25lookback_scan_determinismE0ELb0ES3_N6thrust23THRUST_200600_302600_NS6detail15normal_iteratorINSB_10device_ptrIjEEEENSD_INSE_IS6_EEEESI_S6_NSB_4plusIvEENSB_8equal_toIvEES6_EE10hipError_tPvRmT2_T3_T4_T5_mT6_T7_P12ihipStream_tbENKUlT_T0_E_clISt17integral_constantIbLb1EES12_IbLb0EEEEDaSY_SZ_EUlSY_E_NS1_11comp_targetILNS1_3genE9ELNS1_11target_archE1100ELNS1_3gpuE3ELNS1_3repE0EEENS1_30default_config_static_selectorELNS0_4arch9wavefront6targetE1EEEvT1_,comdat
.Lfunc_end1980:
	.size	_ZN7rocprim17ROCPRIM_400000_NS6detail17trampoline_kernelINS0_14default_configENS1_27scan_by_key_config_selectorIj11FixedVectorIiLj2EEEEZZNS1_16scan_by_key_implILNS1_25lookback_scan_determinismE0ELb0ES3_N6thrust23THRUST_200600_302600_NS6detail15normal_iteratorINSB_10device_ptrIjEEEENSD_INSE_IS6_EEEESI_S6_NSB_4plusIvEENSB_8equal_toIvEES6_EE10hipError_tPvRmT2_T3_T4_T5_mT6_T7_P12ihipStream_tbENKUlT_T0_E_clISt17integral_constantIbLb1EES12_IbLb0EEEEDaSY_SZ_EUlSY_E_NS1_11comp_targetILNS1_3genE9ELNS1_11target_archE1100ELNS1_3gpuE3ELNS1_3repE0EEENS1_30default_config_static_selectorELNS0_4arch9wavefront6targetE1EEEvT1_, .Lfunc_end1980-_ZN7rocprim17ROCPRIM_400000_NS6detail17trampoline_kernelINS0_14default_configENS1_27scan_by_key_config_selectorIj11FixedVectorIiLj2EEEEZZNS1_16scan_by_key_implILNS1_25lookback_scan_determinismE0ELb0ES3_N6thrust23THRUST_200600_302600_NS6detail15normal_iteratorINSB_10device_ptrIjEEEENSD_INSE_IS6_EEEESI_S6_NSB_4plusIvEENSB_8equal_toIvEES6_EE10hipError_tPvRmT2_T3_T4_T5_mT6_T7_P12ihipStream_tbENKUlT_T0_E_clISt17integral_constantIbLb1EES12_IbLb0EEEEDaSY_SZ_EUlSY_E_NS1_11comp_targetILNS1_3genE9ELNS1_11target_archE1100ELNS1_3gpuE3ELNS1_3repE0EEENS1_30default_config_static_selectorELNS0_4arch9wavefront6targetE1EEEvT1_
                                        ; -- End function
	.section	.AMDGPU.csdata,"",@progbits
; Kernel info:
; codeLenInByte = 0
; NumSgprs: 4
; NumVgprs: 0
; NumAgprs: 0
; TotalNumVgprs: 0
; ScratchSize: 0
; MemoryBound: 0
; FloatMode: 240
; IeeeMode: 1
; LDSByteSize: 0 bytes/workgroup (compile time only)
; SGPRBlocks: 0
; VGPRBlocks: 0
; NumSGPRsForWavesPerEU: 4
; NumVGPRsForWavesPerEU: 1
; AccumOffset: 4
; Occupancy: 8
; WaveLimiterHint : 0
; COMPUTE_PGM_RSRC2:SCRATCH_EN: 0
; COMPUTE_PGM_RSRC2:USER_SGPR: 6
; COMPUTE_PGM_RSRC2:TRAP_HANDLER: 0
; COMPUTE_PGM_RSRC2:TGID_X_EN: 1
; COMPUTE_PGM_RSRC2:TGID_Y_EN: 0
; COMPUTE_PGM_RSRC2:TGID_Z_EN: 0
; COMPUTE_PGM_RSRC2:TIDIG_COMP_CNT: 0
; COMPUTE_PGM_RSRC3_GFX90A:ACCUM_OFFSET: 0
; COMPUTE_PGM_RSRC3_GFX90A:TG_SPLIT: 0
	.section	.text._ZN7rocprim17ROCPRIM_400000_NS6detail17trampoline_kernelINS0_14default_configENS1_27scan_by_key_config_selectorIj11FixedVectorIiLj2EEEEZZNS1_16scan_by_key_implILNS1_25lookback_scan_determinismE0ELb0ES3_N6thrust23THRUST_200600_302600_NS6detail15normal_iteratorINSB_10device_ptrIjEEEENSD_INSE_IS6_EEEESI_S6_NSB_4plusIvEENSB_8equal_toIvEES6_EE10hipError_tPvRmT2_T3_T4_T5_mT6_T7_P12ihipStream_tbENKUlT_T0_E_clISt17integral_constantIbLb1EES12_IbLb0EEEEDaSY_SZ_EUlSY_E_NS1_11comp_targetILNS1_3genE8ELNS1_11target_archE1030ELNS1_3gpuE2ELNS1_3repE0EEENS1_30default_config_static_selectorELNS0_4arch9wavefront6targetE1EEEvT1_,"axG",@progbits,_ZN7rocprim17ROCPRIM_400000_NS6detail17trampoline_kernelINS0_14default_configENS1_27scan_by_key_config_selectorIj11FixedVectorIiLj2EEEEZZNS1_16scan_by_key_implILNS1_25lookback_scan_determinismE0ELb0ES3_N6thrust23THRUST_200600_302600_NS6detail15normal_iteratorINSB_10device_ptrIjEEEENSD_INSE_IS6_EEEESI_S6_NSB_4plusIvEENSB_8equal_toIvEES6_EE10hipError_tPvRmT2_T3_T4_T5_mT6_T7_P12ihipStream_tbENKUlT_T0_E_clISt17integral_constantIbLb1EES12_IbLb0EEEEDaSY_SZ_EUlSY_E_NS1_11comp_targetILNS1_3genE8ELNS1_11target_archE1030ELNS1_3gpuE2ELNS1_3repE0EEENS1_30default_config_static_selectorELNS0_4arch9wavefront6targetE1EEEvT1_,comdat
	.protected	_ZN7rocprim17ROCPRIM_400000_NS6detail17trampoline_kernelINS0_14default_configENS1_27scan_by_key_config_selectorIj11FixedVectorIiLj2EEEEZZNS1_16scan_by_key_implILNS1_25lookback_scan_determinismE0ELb0ES3_N6thrust23THRUST_200600_302600_NS6detail15normal_iteratorINSB_10device_ptrIjEEEENSD_INSE_IS6_EEEESI_S6_NSB_4plusIvEENSB_8equal_toIvEES6_EE10hipError_tPvRmT2_T3_T4_T5_mT6_T7_P12ihipStream_tbENKUlT_T0_E_clISt17integral_constantIbLb1EES12_IbLb0EEEEDaSY_SZ_EUlSY_E_NS1_11comp_targetILNS1_3genE8ELNS1_11target_archE1030ELNS1_3gpuE2ELNS1_3repE0EEENS1_30default_config_static_selectorELNS0_4arch9wavefront6targetE1EEEvT1_ ; -- Begin function _ZN7rocprim17ROCPRIM_400000_NS6detail17trampoline_kernelINS0_14default_configENS1_27scan_by_key_config_selectorIj11FixedVectorIiLj2EEEEZZNS1_16scan_by_key_implILNS1_25lookback_scan_determinismE0ELb0ES3_N6thrust23THRUST_200600_302600_NS6detail15normal_iteratorINSB_10device_ptrIjEEEENSD_INSE_IS6_EEEESI_S6_NSB_4plusIvEENSB_8equal_toIvEES6_EE10hipError_tPvRmT2_T3_T4_T5_mT6_T7_P12ihipStream_tbENKUlT_T0_E_clISt17integral_constantIbLb1EES12_IbLb0EEEEDaSY_SZ_EUlSY_E_NS1_11comp_targetILNS1_3genE8ELNS1_11target_archE1030ELNS1_3gpuE2ELNS1_3repE0EEENS1_30default_config_static_selectorELNS0_4arch9wavefront6targetE1EEEvT1_
	.globl	_ZN7rocprim17ROCPRIM_400000_NS6detail17trampoline_kernelINS0_14default_configENS1_27scan_by_key_config_selectorIj11FixedVectorIiLj2EEEEZZNS1_16scan_by_key_implILNS1_25lookback_scan_determinismE0ELb0ES3_N6thrust23THRUST_200600_302600_NS6detail15normal_iteratorINSB_10device_ptrIjEEEENSD_INSE_IS6_EEEESI_S6_NSB_4plusIvEENSB_8equal_toIvEES6_EE10hipError_tPvRmT2_T3_T4_T5_mT6_T7_P12ihipStream_tbENKUlT_T0_E_clISt17integral_constantIbLb1EES12_IbLb0EEEEDaSY_SZ_EUlSY_E_NS1_11comp_targetILNS1_3genE8ELNS1_11target_archE1030ELNS1_3gpuE2ELNS1_3repE0EEENS1_30default_config_static_selectorELNS0_4arch9wavefront6targetE1EEEvT1_
	.p2align	8
	.type	_ZN7rocprim17ROCPRIM_400000_NS6detail17trampoline_kernelINS0_14default_configENS1_27scan_by_key_config_selectorIj11FixedVectorIiLj2EEEEZZNS1_16scan_by_key_implILNS1_25lookback_scan_determinismE0ELb0ES3_N6thrust23THRUST_200600_302600_NS6detail15normal_iteratorINSB_10device_ptrIjEEEENSD_INSE_IS6_EEEESI_S6_NSB_4plusIvEENSB_8equal_toIvEES6_EE10hipError_tPvRmT2_T3_T4_T5_mT6_T7_P12ihipStream_tbENKUlT_T0_E_clISt17integral_constantIbLb1EES12_IbLb0EEEEDaSY_SZ_EUlSY_E_NS1_11comp_targetILNS1_3genE8ELNS1_11target_archE1030ELNS1_3gpuE2ELNS1_3repE0EEENS1_30default_config_static_selectorELNS0_4arch9wavefront6targetE1EEEvT1_,@function
_ZN7rocprim17ROCPRIM_400000_NS6detail17trampoline_kernelINS0_14default_configENS1_27scan_by_key_config_selectorIj11FixedVectorIiLj2EEEEZZNS1_16scan_by_key_implILNS1_25lookback_scan_determinismE0ELb0ES3_N6thrust23THRUST_200600_302600_NS6detail15normal_iteratorINSB_10device_ptrIjEEEENSD_INSE_IS6_EEEESI_S6_NSB_4plusIvEENSB_8equal_toIvEES6_EE10hipError_tPvRmT2_T3_T4_T5_mT6_T7_P12ihipStream_tbENKUlT_T0_E_clISt17integral_constantIbLb1EES12_IbLb0EEEEDaSY_SZ_EUlSY_E_NS1_11comp_targetILNS1_3genE8ELNS1_11target_archE1030ELNS1_3gpuE2ELNS1_3repE0EEENS1_30default_config_static_selectorELNS0_4arch9wavefront6targetE1EEEvT1_: ; @_ZN7rocprim17ROCPRIM_400000_NS6detail17trampoline_kernelINS0_14default_configENS1_27scan_by_key_config_selectorIj11FixedVectorIiLj2EEEEZZNS1_16scan_by_key_implILNS1_25lookback_scan_determinismE0ELb0ES3_N6thrust23THRUST_200600_302600_NS6detail15normal_iteratorINSB_10device_ptrIjEEEENSD_INSE_IS6_EEEESI_S6_NSB_4plusIvEENSB_8equal_toIvEES6_EE10hipError_tPvRmT2_T3_T4_T5_mT6_T7_P12ihipStream_tbENKUlT_T0_E_clISt17integral_constantIbLb1EES12_IbLb0EEEEDaSY_SZ_EUlSY_E_NS1_11comp_targetILNS1_3genE8ELNS1_11target_archE1030ELNS1_3gpuE2ELNS1_3repE0EEENS1_30default_config_static_selectorELNS0_4arch9wavefront6targetE1EEEvT1_
; %bb.0:
	.section	.rodata,"a",@progbits
	.p2align	6, 0x0
	.amdhsa_kernel _ZN7rocprim17ROCPRIM_400000_NS6detail17trampoline_kernelINS0_14default_configENS1_27scan_by_key_config_selectorIj11FixedVectorIiLj2EEEEZZNS1_16scan_by_key_implILNS1_25lookback_scan_determinismE0ELb0ES3_N6thrust23THRUST_200600_302600_NS6detail15normal_iteratorINSB_10device_ptrIjEEEENSD_INSE_IS6_EEEESI_S6_NSB_4plusIvEENSB_8equal_toIvEES6_EE10hipError_tPvRmT2_T3_T4_T5_mT6_T7_P12ihipStream_tbENKUlT_T0_E_clISt17integral_constantIbLb1EES12_IbLb0EEEEDaSY_SZ_EUlSY_E_NS1_11comp_targetILNS1_3genE8ELNS1_11target_archE1030ELNS1_3gpuE2ELNS1_3repE0EEENS1_30default_config_static_selectorELNS0_4arch9wavefront6targetE1EEEvT1_
		.amdhsa_group_segment_fixed_size 0
		.amdhsa_private_segment_fixed_size 0
		.amdhsa_kernarg_size 120
		.amdhsa_user_sgpr_count 6
		.amdhsa_user_sgpr_private_segment_buffer 1
		.amdhsa_user_sgpr_dispatch_ptr 0
		.amdhsa_user_sgpr_queue_ptr 0
		.amdhsa_user_sgpr_kernarg_segment_ptr 1
		.amdhsa_user_sgpr_dispatch_id 0
		.amdhsa_user_sgpr_flat_scratch_init 0
		.amdhsa_user_sgpr_kernarg_preload_length 0
		.amdhsa_user_sgpr_kernarg_preload_offset 0
		.amdhsa_user_sgpr_private_segment_size 0
		.amdhsa_uses_dynamic_stack 0
		.amdhsa_system_sgpr_private_segment_wavefront_offset 0
		.amdhsa_system_sgpr_workgroup_id_x 1
		.amdhsa_system_sgpr_workgroup_id_y 0
		.amdhsa_system_sgpr_workgroup_id_z 0
		.amdhsa_system_sgpr_workgroup_info 0
		.amdhsa_system_vgpr_workitem_id 0
		.amdhsa_next_free_vgpr 1
		.amdhsa_next_free_sgpr 0
		.amdhsa_accum_offset 4
		.amdhsa_reserve_vcc 0
		.amdhsa_reserve_flat_scratch 0
		.amdhsa_float_round_mode_32 0
		.amdhsa_float_round_mode_16_64 0
		.amdhsa_float_denorm_mode_32 3
		.amdhsa_float_denorm_mode_16_64 3
		.amdhsa_dx10_clamp 1
		.amdhsa_ieee_mode 1
		.amdhsa_fp16_overflow 0
		.amdhsa_tg_split 0
		.amdhsa_exception_fp_ieee_invalid_op 0
		.amdhsa_exception_fp_denorm_src 0
		.amdhsa_exception_fp_ieee_div_zero 0
		.amdhsa_exception_fp_ieee_overflow 0
		.amdhsa_exception_fp_ieee_underflow 0
		.amdhsa_exception_fp_ieee_inexact 0
		.amdhsa_exception_int_div_zero 0
	.end_amdhsa_kernel
	.section	.text._ZN7rocprim17ROCPRIM_400000_NS6detail17trampoline_kernelINS0_14default_configENS1_27scan_by_key_config_selectorIj11FixedVectorIiLj2EEEEZZNS1_16scan_by_key_implILNS1_25lookback_scan_determinismE0ELb0ES3_N6thrust23THRUST_200600_302600_NS6detail15normal_iteratorINSB_10device_ptrIjEEEENSD_INSE_IS6_EEEESI_S6_NSB_4plusIvEENSB_8equal_toIvEES6_EE10hipError_tPvRmT2_T3_T4_T5_mT6_T7_P12ihipStream_tbENKUlT_T0_E_clISt17integral_constantIbLb1EES12_IbLb0EEEEDaSY_SZ_EUlSY_E_NS1_11comp_targetILNS1_3genE8ELNS1_11target_archE1030ELNS1_3gpuE2ELNS1_3repE0EEENS1_30default_config_static_selectorELNS0_4arch9wavefront6targetE1EEEvT1_,"axG",@progbits,_ZN7rocprim17ROCPRIM_400000_NS6detail17trampoline_kernelINS0_14default_configENS1_27scan_by_key_config_selectorIj11FixedVectorIiLj2EEEEZZNS1_16scan_by_key_implILNS1_25lookback_scan_determinismE0ELb0ES3_N6thrust23THRUST_200600_302600_NS6detail15normal_iteratorINSB_10device_ptrIjEEEENSD_INSE_IS6_EEEESI_S6_NSB_4plusIvEENSB_8equal_toIvEES6_EE10hipError_tPvRmT2_T3_T4_T5_mT6_T7_P12ihipStream_tbENKUlT_T0_E_clISt17integral_constantIbLb1EES12_IbLb0EEEEDaSY_SZ_EUlSY_E_NS1_11comp_targetILNS1_3genE8ELNS1_11target_archE1030ELNS1_3gpuE2ELNS1_3repE0EEENS1_30default_config_static_selectorELNS0_4arch9wavefront6targetE1EEEvT1_,comdat
.Lfunc_end1981:
	.size	_ZN7rocprim17ROCPRIM_400000_NS6detail17trampoline_kernelINS0_14default_configENS1_27scan_by_key_config_selectorIj11FixedVectorIiLj2EEEEZZNS1_16scan_by_key_implILNS1_25lookback_scan_determinismE0ELb0ES3_N6thrust23THRUST_200600_302600_NS6detail15normal_iteratorINSB_10device_ptrIjEEEENSD_INSE_IS6_EEEESI_S6_NSB_4plusIvEENSB_8equal_toIvEES6_EE10hipError_tPvRmT2_T3_T4_T5_mT6_T7_P12ihipStream_tbENKUlT_T0_E_clISt17integral_constantIbLb1EES12_IbLb0EEEEDaSY_SZ_EUlSY_E_NS1_11comp_targetILNS1_3genE8ELNS1_11target_archE1030ELNS1_3gpuE2ELNS1_3repE0EEENS1_30default_config_static_selectorELNS0_4arch9wavefront6targetE1EEEvT1_, .Lfunc_end1981-_ZN7rocprim17ROCPRIM_400000_NS6detail17trampoline_kernelINS0_14default_configENS1_27scan_by_key_config_selectorIj11FixedVectorIiLj2EEEEZZNS1_16scan_by_key_implILNS1_25lookback_scan_determinismE0ELb0ES3_N6thrust23THRUST_200600_302600_NS6detail15normal_iteratorINSB_10device_ptrIjEEEENSD_INSE_IS6_EEEESI_S6_NSB_4plusIvEENSB_8equal_toIvEES6_EE10hipError_tPvRmT2_T3_T4_T5_mT6_T7_P12ihipStream_tbENKUlT_T0_E_clISt17integral_constantIbLb1EES12_IbLb0EEEEDaSY_SZ_EUlSY_E_NS1_11comp_targetILNS1_3genE8ELNS1_11target_archE1030ELNS1_3gpuE2ELNS1_3repE0EEENS1_30default_config_static_selectorELNS0_4arch9wavefront6targetE1EEEvT1_
                                        ; -- End function
	.section	.AMDGPU.csdata,"",@progbits
; Kernel info:
; codeLenInByte = 0
; NumSgprs: 4
; NumVgprs: 0
; NumAgprs: 0
; TotalNumVgprs: 0
; ScratchSize: 0
; MemoryBound: 0
; FloatMode: 240
; IeeeMode: 1
; LDSByteSize: 0 bytes/workgroup (compile time only)
; SGPRBlocks: 0
; VGPRBlocks: 0
; NumSGPRsForWavesPerEU: 4
; NumVGPRsForWavesPerEU: 1
; AccumOffset: 4
; Occupancy: 8
; WaveLimiterHint : 0
; COMPUTE_PGM_RSRC2:SCRATCH_EN: 0
; COMPUTE_PGM_RSRC2:USER_SGPR: 6
; COMPUTE_PGM_RSRC2:TRAP_HANDLER: 0
; COMPUTE_PGM_RSRC2:TGID_X_EN: 1
; COMPUTE_PGM_RSRC2:TGID_Y_EN: 0
; COMPUTE_PGM_RSRC2:TGID_Z_EN: 0
; COMPUTE_PGM_RSRC2:TIDIG_COMP_CNT: 0
; COMPUTE_PGM_RSRC3_GFX90A:ACCUM_OFFSET: 0
; COMPUTE_PGM_RSRC3_GFX90A:TG_SPLIT: 0
	.section	.text._ZN7rocprim17ROCPRIM_400000_NS6detail30init_device_scan_by_key_kernelINS1_19lookback_scan_stateINS0_5tupleIJ11FixedVectorIiLj2EEbEEELb0ELb1EEEN6thrust23THRUST_200600_302600_NS6detail15normal_iteratorINSA_10device_ptrIjEEEEjNS1_16block_id_wrapperIjLb1EEEEEvT_jjPNSI_10value_typeET0_PNSt15iterator_traitsISL_E10value_typeEmT1_T2_,"axG",@progbits,_ZN7rocprim17ROCPRIM_400000_NS6detail30init_device_scan_by_key_kernelINS1_19lookback_scan_stateINS0_5tupleIJ11FixedVectorIiLj2EEbEEELb0ELb1EEEN6thrust23THRUST_200600_302600_NS6detail15normal_iteratorINSA_10device_ptrIjEEEEjNS1_16block_id_wrapperIjLb1EEEEEvT_jjPNSI_10value_typeET0_PNSt15iterator_traitsISL_E10value_typeEmT1_T2_,comdat
	.protected	_ZN7rocprim17ROCPRIM_400000_NS6detail30init_device_scan_by_key_kernelINS1_19lookback_scan_stateINS0_5tupleIJ11FixedVectorIiLj2EEbEEELb0ELb1EEEN6thrust23THRUST_200600_302600_NS6detail15normal_iteratorINSA_10device_ptrIjEEEEjNS1_16block_id_wrapperIjLb1EEEEEvT_jjPNSI_10value_typeET0_PNSt15iterator_traitsISL_E10value_typeEmT1_T2_ ; -- Begin function _ZN7rocprim17ROCPRIM_400000_NS6detail30init_device_scan_by_key_kernelINS1_19lookback_scan_stateINS0_5tupleIJ11FixedVectorIiLj2EEbEEELb0ELb1EEEN6thrust23THRUST_200600_302600_NS6detail15normal_iteratorINSA_10device_ptrIjEEEEjNS1_16block_id_wrapperIjLb1EEEEEvT_jjPNSI_10value_typeET0_PNSt15iterator_traitsISL_E10value_typeEmT1_T2_
	.globl	_ZN7rocprim17ROCPRIM_400000_NS6detail30init_device_scan_by_key_kernelINS1_19lookback_scan_stateINS0_5tupleIJ11FixedVectorIiLj2EEbEEELb0ELb1EEEN6thrust23THRUST_200600_302600_NS6detail15normal_iteratorINSA_10device_ptrIjEEEEjNS1_16block_id_wrapperIjLb1EEEEEvT_jjPNSI_10value_typeET0_PNSt15iterator_traitsISL_E10value_typeEmT1_T2_
	.p2align	8
	.type	_ZN7rocprim17ROCPRIM_400000_NS6detail30init_device_scan_by_key_kernelINS1_19lookback_scan_stateINS0_5tupleIJ11FixedVectorIiLj2EEbEEELb0ELb1EEEN6thrust23THRUST_200600_302600_NS6detail15normal_iteratorINSA_10device_ptrIjEEEEjNS1_16block_id_wrapperIjLb1EEEEEvT_jjPNSI_10value_typeET0_PNSt15iterator_traitsISL_E10value_typeEmT1_T2_,@function
_ZN7rocprim17ROCPRIM_400000_NS6detail30init_device_scan_by_key_kernelINS1_19lookback_scan_stateINS0_5tupleIJ11FixedVectorIiLj2EEbEEELb0ELb1EEEN6thrust23THRUST_200600_302600_NS6detail15normal_iteratorINSA_10device_ptrIjEEEEjNS1_16block_id_wrapperIjLb1EEEEEvT_jjPNSI_10value_typeET0_PNSt15iterator_traitsISL_E10value_typeEmT1_T2_: ; @_ZN7rocprim17ROCPRIM_400000_NS6detail30init_device_scan_by_key_kernelINS1_19lookback_scan_stateINS0_5tupleIJ11FixedVectorIiLj2EEbEEELb0ELb1EEEN6thrust23THRUST_200600_302600_NS6detail15normal_iteratorINSA_10device_ptrIjEEEEjNS1_16block_id_wrapperIjLb1EEEEEvT_jjPNSI_10value_typeET0_PNSt15iterator_traitsISL_E10value_typeEmT1_T2_
; %bb.0:
	s_load_dword s0, s[4:5], 0x4c
	s_load_dwordx8 s[8:15], s[4:5], 0x0
	s_load_dword s18, s[4:5], 0x40
	s_waitcnt lgkmcnt(0)
	s_and_b32 s19, s0, 0xffff
	s_mul_i32 s6, s6, s19
	s_cmp_eq_u64 s[12:13], 0
	v_add_u32_e32 v4, s6, v0
	s_cbranch_scc1 .LBB1982_8
; %bb.1:
	s_cmp_lt_u32 s11, s10
	s_cselect_b32 s0, s11, 0
	s_mov_b32 s3, 0
	v_cmp_eq_u32_e32 vcc, s0, v4
	s_and_saveexec_b64 s[0:1], vcc
	s_cbranch_execz .LBB1982_7
; %bb.2:
	s_add_i32 s2, s11, 64
	s_lshl_b64 s[2:3], s[2:3], 4
	s_add_u32 s6, s8, s2
	s_addc_u32 s7, s9, s3
	v_pk_mov_b32 v[0:1], s[6:7], s[6:7] op_sel:[0,1]
	v_mov_b32_e32 v16, 0
	;;#ASMSTART
	global_load_dwordx4 v[0:3], v[0:1] off glc	
s_waitcnt vmcnt(0)
	;;#ASMEND
	v_lshlrev_b64 v[14:15], 24, v[2:3]
	v_lshrrev_b32_e32 v5, 8, v1
	v_lshlrev_b64 v[18:19], 16, v[2:3]
	v_lshlrev_b64 v[20:21], 8, v[2:3]
	v_and_b32_e32 v17, 0xff, v3
	v_lshrrev_b64 v[6:7], 8, v[0:1]
	v_lshrrev_b64 v[8:9], 16, v[0:1]
	v_lshrrev_b64 v[10:11], 24, v[0:1]
	v_mov_b32_e32 v12, v1
	v_or_b32_e32 v14, v5, v14
	v_or_b32_sdwa v18, v1, v18 dst_sel:DWORD dst_unused:UNUSED_PAD src0_sel:WORD_1 src1_sel:DWORD
	v_or_b32_sdwa v20, v1, v20 dst_sel:DWORD dst_unused:UNUSED_PAD src0_sel:BYTE_3 src1_sel:DWORD
	s_mov_b64 s[16:17], 0
	v_cmp_eq_u64_e32 vcc, 0, v[16:17]
	s_and_saveexec_b64 s[2:3], vcc
	s_cbranch_execz .LBB1982_6
; %bb.3:
	v_pk_mov_b32 v[6:7], s[6:7], s[6:7] op_sel:[0,1]
.LBB1982_4:                             ; =>This Inner Loop Header: Depth=1
	;;#ASMSTART
	global_load_dwordx4 v[0:3], v[6:7] off glc	
s_waitcnt vmcnt(0)
	;;#ASMEND
	v_and_b32_e32 v17, 0xff, v3
	v_cmp_ne_u64_e32 vcc, 0, v[16:17]
	s_or_b64 s[16:17], vcc, s[16:17]
	s_andn2_b64 exec, exec, s[16:17]
	s_cbranch_execnz .LBB1982_4
; %bb.5:
	s_or_b64 exec, exec, s[16:17]
	v_lshlrev_b64 v[16:17], 16, v[2:3]
	v_lshlrev_b64 v[14:15], 24, v[2:3]
	v_lshrrev_b32_e32 v5, 8, v1
	v_or_b32_sdwa v18, v1, v16 dst_sel:DWORD dst_unused:UNUSED_PAD src0_sel:WORD_1 src1_sel:DWORD
	v_lshlrev_b64 v[16:17], 8, v[2:3]
	v_lshrrev_b64 v[6:7], 8, v[0:1]
	v_lshrrev_b64 v[8:9], 16, v[0:1]
	;; [unrolled: 1-line block ×3, first 2 shown]
	v_mov_b32_e32 v12, v1
	v_or_b32_e32 v14, v5, v14
	v_or_b32_sdwa v20, v1, v16 dst_sel:DWORD dst_unused:UNUSED_PAD src0_sel:BYTE_3 src1_sel:DWORD
.LBB1982_6:
	s_or_b64 exec, exec, s[2:3]
	v_lshlrev_b32_e32 v3, 16, v18
	v_lshlrev_b32_e32 v1, 24, v20
	v_and_b32_e32 v3, 0xff0000, v3
	v_lshlrev_b32_e32 v8, 16, v8
	s_mov_b32 s2, 0x4020c0c
	v_lshlrev_b32_e32 v5, 8, v14
	v_lshlrev_b32_e32 v6, 8, v6
	v_or_b32_e32 v1, v3, v1
	v_perm_b32 v3, v10, v8, s2
	v_and_b32_e32 v5, 0xff00, v5
	v_and_b32_e32 v7, 0xff, v12
	;; [unrolled: 1-line block ×3, first 2 shown]
	v_or_b32_sdwa v0, v3, v0 dst_sel:DWORD dst_unused:UNUSED_PAD src0_sel:DWORD src1_sel:BYTE_0
	v_or3_b32 v1, v1, v5, v7
	v_add_co_u32_e32 v0, vcc, v0, v6
	v_mov_b32_e32 v9, 0
	v_addc_co_u32_e32 v1, vcc, 0, v1, vcc
	global_store_dwordx2 v9, v[0:1], s[12:13]
	global_store_byte v9, v2, s[12:13] offset:8
.LBB1982_7:
	s_or_b64 exec, exec, s[0:1]
.LBB1982_8:
	v_cmp_eq_u32_e32 vcc, 0, v4
	s_and_saveexec_b64 s[0:1], vcc
	s_cbranch_execz .LBB1982_10
; %bb.9:
	s_load_dwordx2 s[2:3], s[4:5], 0x38
	v_mov_b32_e32 v0, 0
	s_waitcnt lgkmcnt(0)
	global_store_dword v0, v0, s[2:3]
.LBB1982_10:
	s_or_b64 exec, exec, s[0:1]
	v_cmp_gt_u32_e32 vcc, s10, v4
	s_and_saveexec_b64 s[0:1], vcc
	s_cbranch_execz .LBB1982_12
; %bb.11:
	v_add_u32_e32 v0, 64, v4
	v_mov_b32_e32 v1, 0
	v_lshlrev_b64 v[2:3], 4, v[0:1]
	v_mov_b32_e32 v0, s9
	v_add_co_u32_e32 v6, vcc, s8, v2
	v_addc_co_u32_e32 v7, vcc, v0, v3, vcc
	v_mov_b32_e32 v0, v1
	v_mov_b32_e32 v2, v1
	;; [unrolled: 1-line block ×3, first 2 shown]
	global_store_dwordx4 v[6:7], v[0:3], off
.LBB1982_12:
	s_or_b64 exec, exec, s[0:1]
	v_cmp_gt_u32_e32 vcc, 64, v4
	v_mov_b32_e32 v5, 0
	s_and_saveexec_b64 s[0:1], vcc
	s_cbranch_execz .LBB1982_14
; %bb.13:
	v_lshlrev_b64 v[0:1], 4, v[4:5]
	v_mov_b32_e32 v2, s9
	v_add_co_u32_e32 v6, vcc, s8, v0
	v_addc_co_u32_e32 v7, vcc, v2, v1, vcc
	v_mov_b32_e32 v3, 0xff
	v_mov_b32_e32 v0, v5
	v_mov_b32_e32 v1, v5
	v_mov_b32_e32 v2, v5
	global_store_dwordx4 v[6:7], v[0:3], off
.LBB1982_14:
	s_or_b64 exec, exec, s[0:1]
	s_load_dwordx2 s[0:1], s[4:5], 0x28
	s_waitcnt lgkmcnt(0)
	v_cmp_gt_u64_e32 vcc, s[0:1], v[4:5]
	s_and_saveexec_b64 s[2:3], vcc
	s_cbranch_execz .LBB1982_17
; %bb.15:
	s_load_dword s10, s[4:5], 0x30
	s_load_dwordx2 s[6:7], s[4:5], 0x20
	s_mov_b32 s5, 0
	s_mov_b32 s3, s5
	s_mul_i32 s2, s18, s19
	s_waitcnt lgkmcnt(0)
	s_add_i32 s4, s10, -1
	s_lshl_b64 s[4:5], s[4:5], 2
	v_mad_u64_u32 v[0:1], s[8:9], s10, v4, 0
	s_add_u32 s4, s14, s4
	v_lshlrev_b64 v[0:1], 2, v[0:1]
	s_addc_u32 s5, s15, s5
	v_mov_b32_e32 v2, s5
	v_add_co_u32_e32 v0, vcc, s4, v0
	v_addc_co_u32_e32 v1, vcc, v2, v1, vcc
	s_mul_hi_u32 s5, s10, s2
	s_mul_i32 s4, s10, s2
	v_lshlrev_b64 v[2:3], 2, v[4:5]
	s_lshl_b64 s[4:5], s[4:5], 2
	v_mov_b32_e32 v6, s7
	v_add_co_u32_e32 v2, vcc, s6, v2
	s_lshl_b64 s[6:7], s[2:3], 2
	v_addc_co_u32_e32 v3, vcc, v6, v3, vcc
	s_mov_b64 s[8:9], 0
	v_mov_b32_e32 v6, s3
	v_mov_b32_e32 v7, s5
	;; [unrolled: 1-line block ×3, first 2 shown]
.LBB1982_16:                            ; =>This Inner Loop Header: Depth=1
	global_load_dword v9, v[0:1], off
	v_add_co_u32_e32 v4, vcc, s2, v4
	v_addc_co_u32_e32 v5, vcc, v5, v6, vcc
	v_add_co_u32_e32 v0, vcc, s4, v0
	v_addc_co_u32_e32 v1, vcc, v1, v7, vcc
	v_cmp_le_u64_e32 vcc, s[0:1], v[4:5]
	s_or_b64 s[8:9], vcc, s[8:9]
	s_waitcnt vmcnt(0)
	global_store_dword v[2:3], v9, off
	v_add_co_u32_e32 v2, vcc, s6, v2
	v_addc_co_u32_e32 v3, vcc, v3, v8, vcc
	s_andn2_b64 exec, exec, s[8:9]
	s_cbranch_execnz .LBB1982_16
.LBB1982_17:
	s_endpgm
	.section	.rodata,"a",@progbits
	.p2align	6, 0x0
	.amdhsa_kernel _ZN7rocprim17ROCPRIM_400000_NS6detail30init_device_scan_by_key_kernelINS1_19lookback_scan_stateINS0_5tupleIJ11FixedVectorIiLj2EEbEEELb0ELb1EEEN6thrust23THRUST_200600_302600_NS6detail15normal_iteratorINSA_10device_ptrIjEEEEjNS1_16block_id_wrapperIjLb1EEEEEvT_jjPNSI_10value_typeET0_PNSt15iterator_traitsISL_E10value_typeEmT1_T2_
		.amdhsa_group_segment_fixed_size 0
		.amdhsa_private_segment_fixed_size 0
		.amdhsa_kernarg_size 320
		.amdhsa_user_sgpr_count 6
		.amdhsa_user_sgpr_private_segment_buffer 1
		.amdhsa_user_sgpr_dispatch_ptr 0
		.amdhsa_user_sgpr_queue_ptr 0
		.amdhsa_user_sgpr_kernarg_segment_ptr 1
		.amdhsa_user_sgpr_dispatch_id 0
		.amdhsa_user_sgpr_flat_scratch_init 0
		.amdhsa_user_sgpr_kernarg_preload_length 0
		.amdhsa_user_sgpr_kernarg_preload_offset 0
		.amdhsa_user_sgpr_private_segment_size 0
		.amdhsa_uses_dynamic_stack 0
		.amdhsa_system_sgpr_private_segment_wavefront_offset 0
		.amdhsa_system_sgpr_workgroup_id_x 1
		.amdhsa_system_sgpr_workgroup_id_y 0
		.amdhsa_system_sgpr_workgroup_id_z 0
		.amdhsa_system_sgpr_workgroup_info 0
		.amdhsa_system_vgpr_workitem_id 0
		.amdhsa_next_free_vgpr 22
		.amdhsa_next_free_sgpr 20
		.amdhsa_accum_offset 24
		.amdhsa_reserve_vcc 1
		.amdhsa_reserve_flat_scratch 0
		.amdhsa_float_round_mode_32 0
		.amdhsa_float_round_mode_16_64 0
		.amdhsa_float_denorm_mode_32 3
		.amdhsa_float_denorm_mode_16_64 3
		.amdhsa_dx10_clamp 1
		.amdhsa_ieee_mode 1
		.amdhsa_fp16_overflow 0
		.amdhsa_tg_split 0
		.amdhsa_exception_fp_ieee_invalid_op 0
		.amdhsa_exception_fp_denorm_src 0
		.amdhsa_exception_fp_ieee_div_zero 0
		.amdhsa_exception_fp_ieee_overflow 0
		.amdhsa_exception_fp_ieee_underflow 0
		.amdhsa_exception_fp_ieee_inexact 0
		.amdhsa_exception_int_div_zero 0
	.end_amdhsa_kernel
	.section	.text._ZN7rocprim17ROCPRIM_400000_NS6detail30init_device_scan_by_key_kernelINS1_19lookback_scan_stateINS0_5tupleIJ11FixedVectorIiLj2EEbEEELb0ELb1EEEN6thrust23THRUST_200600_302600_NS6detail15normal_iteratorINSA_10device_ptrIjEEEEjNS1_16block_id_wrapperIjLb1EEEEEvT_jjPNSI_10value_typeET0_PNSt15iterator_traitsISL_E10value_typeEmT1_T2_,"axG",@progbits,_ZN7rocprim17ROCPRIM_400000_NS6detail30init_device_scan_by_key_kernelINS1_19lookback_scan_stateINS0_5tupleIJ11FixedVectorIiLj2EEbEEELb0ELb1EEEN6thrust23THRUST_200600_302600_NS6detail15normal_iteratorINSA_10device_ptrIjEEEEjNS1_16block_id_wrapperIjLb1EEEEEvT_jjPNSI_10value_typeET0_PNSt15iterator_traitsISL_E10value_typeEmT1_T2_,comdat
.Lfunc_end1982:
	.size	_ZN7rocprim17ROCPRIM_400000_NS6detail30init_device_scan_by_key_kernelINS1_19lookback_scan_stateINS0_5tupleIJ11FixedVectorIiLj2EEbEEELb0ELb1EEEN6thrust23THRUST_200600_302600_NS6detail15normal_iteratorINSA_10device_ptrIjEEEEjNS1_16block_id_wrapperIjLb1EEEEEvT_jjPNSI_10value_typeET0_PNSt15iterator_traitsISL_E10value_typeEmT1_T2_, .Lfunc_end1982-_ZN7rocprim17ROCPRIM_400000_NS6detail30init_device_scan_by_key_kernelINS1_19lookback_scan_stateINS0_5tupleIJ11FixedVectorIiLj2EEbEEELb0ELb1EEEN6thrust23THRUST_200600_302600_NS6detail15normal_iteratorINSA_10device_ptrIjEEEEjNS1_16block_id_wrapperIjLb1EEEEEvT_jjPNSI_10value_typeET0_PNSt15iterator_traitsISL_E10value_typeEmT1_T2_
                                        ; -- End function
	.section	.AMDGPU.csdata,"",@progbits
; Kernel info:
; codeLenInByte = 860
; NumSgprs: 24
; NumVgprs: 22
; NumAgprs: 0
; TotalNumVgprs: 22
; ScratchSize: 0
; MemoryBound: 0
; FloatMode: 240
; IeeeMode: 1
; LDSByteSize: 0 bytes/workgroup (compile time only)
; SGPRBlocks: 2
; VGPRBlocks: 2
; NumSGPRsForWavesPerEU: 24
; NumVGPRsForWavesPerEU: 22
; AccumOffset: 24
; Occupancy: 8
; WaveLimiterHint : 0
; COMPUTE_PGM_RSRC2:SCRATCH_EN: 0
; COMPUTE_PGM_RSRC2:USER_SGPR: 6
; COMPUTE_PGM_RSRC2:TRAP_HANDLER: 0
; COMPUTE_PGM_RSRC2:TGID_X_EN: 1
; COMPUTE_PGM_RSRC2:TGID_Y_EN: 0
; COMPUTE_PGM_RSRC2:TGID_Z_EN: 0
; COMPUTE_PGM_RSRC2:TIDIG_COMP_CNT: 0
; COMPUTE_PGM_RSRC3_GFX90A:ACCUM_OFFSET: 5
; COMPUTE_PGM_RSRC3_GFX90A:TG_SPLIT: 0
	.section	.text._ZN7rocprim17ROCPRIM_400000_NS6detail30init_device_scan_by_key_kernelINS1_19lookback_scan_stateINS0_5tupleIJ11FixedVectorIiLj2EEbEEELb0ELb1EEENS1_16block_id_wrapperIjLb1EEEEEvT_jjPNSB_10value_typeET0_,"axG",@progbits,_ZN7rocprim17ROCPRIM_400000_NS6detail30init_device_scan_by_key_kernelINS1_19lookback_scan_stateINS0_5tupleIJ11FixedVectorIiLj2EEbEEELb0ELb1EEENS1_16block_id_wrapperIjLb1EEEEEvT_jjPNSB_10value_typeET0_,comdat
	.protected	_ZN7rocprim17ROCPRIM_400000_NS6detail30init_device_scan_by_key_kernelINS1_19lookback_scan_stateINS0_5tupleIJ11FixedVectorIiLj2EEbEEELb0ELb1EEENS1_16block_id_wrapperIjLb1EEEEEvT_jjPNSB_10value_typeET0_ ; -- Begin function _ZN7rocprim17ROCPRIM_400000_NS6detail30init_device_scan_by_key_kernelINS1_19lookback_scan_stateINS0_5tupleIJ11FixedVectorIiLj2EEbEEELb0ELb1EEENS1_16block_id_wrapperIjLb1EEEEEvT_jjPNSB_10value_typeET0_
	.globl	_ZN7rocprim17ROCPRIM_400000_NS6detail30init_device_scan_by_key_kernelINS1_19lookback_scan_stateINS0_5tupleIJ11FixedVectorIiLj2EEbEEELb0ELb1EEENS1_16block_id_wrapperIjLb1EEEEEvT_jjPNSB_10value_typeET0_
	.p2align	8
	.type	_ZN7rocprim17ROCPRIM_400000_NS6detail30init_device_scan_by_key_kernelINS1_19lookback_scan_stateINS0_5tupleIJ11FixedVectorIiLj2EEbEEELb0ELb1EEENS1_16block_id_wrapperIjLb1EEEEEvT_jjPNSB_10value_typeET0_,@function
_ZN7rocprim17ROCPRIM_400000_NS6detail30init_device_scan_by_key_kernelINS1_19lookback_scan_stateINS0_5tupleIJ11FixedVectorIiLj2EEbEEELb0ELb1EEENS1_16block_id_wrapperIjLb1EEEEEvT_jjPNSB_10value_typeET0_: ; @_ZN7rocprim17ROCPRIM_400000_NS6detail30init_device_scan_by_key_kernelINS1_19lookback_scan_stateINS0_5tupleIJ11FixedVectorIiLj2EEbEEELb0ELb1EEENS1_16block_id_wrapperIjLb1EEEEEvT_jjPNSB_10value_typeET0_
; %bb.0:
	s_load_dword s0, s[4:5], 0x2c
	s_load_dwordx8 s[8:15], s[4:5], 0x0
	s_waitcnt lgkmcnt(0)
	s_and_b32 s0, s0, 0xffff
	s_mul_i32 s6, s6, s0
	s_cmp_eq_u64 s[12:13], 0
	v_add_u32_e32 v0, s6, v0
	s_cbranch_scc1 .LBB1983_8
; %bb.1:
	s_cmp_lt_u32 s11, s10
	s_cselect_b32 s0, s11, 0
	s_mov_b32 s3, 0
	v_cmp_eq_u32_e32 vcc, s0, v0
	s_and_saveexec_b64 s[0:1], vcc
	s_cbranch_execz .LBB1983_7
; %bb.2:
	s_add_i32 s2, s11, 64
	s_lshl_b64 s[2:3], s[2:3], 4
	s_add_u32 s4, s8, s2
	s_addc_u32 s5, s9, s3
	v_pk_mov_b32 v[2:3], s[4:5], s[4:5] op_sel:[0,1]
	v_mov_b32_e32 v16, 0
	;;#ASMSTART
	global_load_dwordx4 v[2:5], v[2:3] off glc	
s_waitcnt vmcnt(0)
	;;#ASMEND
	v_lshlrev_b64 v[14:15], 24, v[4:5]
	v_lshrrev_b32_e32 v1, 8, v3
	v_lshlrev_b64 v[18:19], 16, v[4:5]
	v_lshlrev_b64 v[20:21], 8, v[4:5]
	v_and_b32_e32 v17, 0xff, v5
	v_lshrrev_b64 v[6:7], 8, v[2:3]
	v_lshrrev_b64 v[8:9], 16, v[2:3]
	;; [unrolled: 1-line block ×3, first 2 shown]
	v_mov_b32_e32 v12, v3
	v_or_b32_e32 v14, v1, v14
	v_or_b32_sdwa v18, v3, v18 dst_sel:DWORD dst_unused:UNUSED_PAD src0_sel:WORD_1 src1_sel:DWORD
	v_or_b32_sdwa v20, v3, v20 dst_sel:DWORD dst_unused:UNUSED_PAD src0_sel:BYTE_3 src1_sel:DWORD
	s_mov_b64 s[6:7], 0
	v_cmp_eq_u64_e32 vcc, 0, v[16:17]
	s_and_saveexec_b64 s[2:3], vcc
	s_cbranch_execz .LBB1983_6
; %bb.3:
	v_pk_mov_b32 v[6:7], s[4:5], s[4:5] op_sel:[0,1]
.LBB1983_4:                             ; =>This Inner Loop Header: Depth=1
	;;#ASMSTART
	global_load_dwordx4 v[2:5], v[6:7] off glc	
s_waitcnt vmcnt(0)
	;;#ASMEND
	v_and_b32_e32 v17, 0xff, v5
	v_cmp_ne_u64_e32 vcc, 0, v[16:17]
	s_or_b64 s[6:7], vcc, s[6:7]
	s_andn2_b64 exec, exec, s[6:7]
	s_cbranch_execnz .LBB1983_4
; %bb.5:
	s_or_b64 exec, exec, s[6:7]
	v_lshlrev_b64 v[16:17], 16, v[4:5]
	v_lshlrev_b64 v[14:15], 24, v[4:5]
	v_lshrrev_b32_e32 v1, 8, v3
	v_or_b32_sdwa v18, v3, v16 dst_sel:DWORD dst_unused:UNUSED_PAD src0_sel:WORD_1 src1_sel:DWORD
	v_lshlrev_b64 v[16:17], 8, v[4:5]
	v_lshrrev_b64 v[6:7], 8, v[2:3]
	v_lshrrev_b64 v[8:9], 16, v[2:3]
	v_lshrrev_b64 v[10:11], 24, v[2:3]
	v_mov_b32_e32 v12, v3
	v_or_b32_e32 v14, v1, v14
	v_or_b32_sdwa v20, v3, v16 dst_sel:DWORD dst_unused:UNUSED_PAD src0_sel:BYTE_3 src1_sel:DWORD
.LBB1983_6:
	s_or_b64 exec, exec, s[2:3]
	v_lshlrev_b32_e32 v3, 16, v18
	v_lshlrev_b32_e32 v1, 24, v20
	v_and_b32_e32 v3, 0xff0000, v3
	v_lshlrev_b32_e32 v8, 16, v8
	s_mov_b32 s2, 0x4020c0c
	v_lshlrev_b32_e32 v5, 8, v14
	v_lshlrev_b32_e32 v6, 8, v6
	v_or_b32_e32 v1, v3, v1
	v_perm_b32 v3, v10, v8, s2
	v_and_b32_e32 v5, 0xff00, v5
	v_and_b32_e32 v7, 0xff, v12
	;; [unrolled: 1-line block ×3, first 2 shown]
	v_or_b32_sdwa v2, v3, v2 dst_sel:DWORD dst_unused:UNUSED_PAD src0_sel:DWORD src1_sel:BYTE_0
	v_or3_b32 v1, v1, v5, v7
	v_add_co_u32_e32 v2, vcc, v2, v6
	v_mov_b32_e32 v9, 0
	v_addc_co_u32_e32 v3, vcc, 0, v1, vcc
	global_store_dwordx2 v9, v[2:3], s[12:13]
	global_store_byte v9, v4, s[12:13] offset:8
.LBB1983_7:
	s_or_b64 exec, exec, s[0:1]
.LBB1983_8:
	v_cmp_eq_u32_e32 vcc, 0, v0
	s_and_saveexec_b64 s[0:1], vcc
	s_cbranch_execnz .LBB1983_12
; %bb.9:
	s_or_b64 exec, exec, s[0:1]
	v_cmp_gt_u32_e32 vcc, s10, v0
	s_and_saveexec_b64 s[0:1], vcc
	s_cbranch_execnz .LBB1983_13
.LBB1983_10:
	s_or_b64 exec, exec, s[0:1]
	v_cmp_gt_u32_e32 vcc, 64, v0
	s_and_saveexec_b64 s[0:1], vcc
	s_cbranch_execnz .LBB1983_14
.LBB1983_11:
	s_endpgm
.LBB1983_12:
	v_mov_b32_e32 v1, 0
	global_store_dword v1, v1, s[14:15]
	s_or_b64 exec, exec, s[0:1]
	v_cmp_gt_u32_e32 vcc, s10, v0
	s_and_saveexec_b64 s[0:1], vcc
	s_cbranch_execz .LBB1983_10
.LBB1983_13:
	v_add_u32_e32 v2, 64, v0
	v_mov_b32_e32 v3, 0
	v_lshlrev_b64 v[4:5], 4, v[2:3]
	v_mov_b32_e32 v1, s9
	v_add_co_u32_e32 v6, vcc, s8, v4
	v_addc_co_u32_e32 v7, vcc, v1, v5, vcc
	v_mov_b32_e32 v2, v3
	v_mov_b32_e32 v4, v3
	v_mov_b32_e32 v5, v3
	global_store_dwordx4 v[6:7], v[2:5], off
	s_or_b64 exec, exec, s[0:1]
	v_cmp_gt_u32_e32 vcc, 64, v0
	s_and_saveexec_b64 s[0:1], vcc
	s_cbranch_execz .LBB1983_11
.LBB1983_14:
	v_mov_b32_e32 v1, 0
	v_lshlrev_b64 v[2:3], 4, v[0:1]
	v_mov_b32_e32 v0, s9
	v_add_co_u32_e32 v4, vcc, s8, v2
	v_addc_co_u32_e32 v5, vcc, v0, v3, vcc
	v_mov_b32_e32 v3, 0xff
	v_mov_b32_e32 v0, v1
	v_mov_b32_e32 v2, v1
	global_store_dwordx4 v[4:5], v[0:3], off
	s_endpgm
	.section	.rodata,"a",@progbits
	.p2align	6, 0x0
	.amdhsa_kernel _ZN7rocprim17ROCPRIM_400000_NS6detail30init_device_scan_by_key_kernelINS1_19lookback_scan_stateINS0_5tupleIJ11FixedVectorIiLj2EEbEEELb0ELb1EEENS1_16block_id_wrapperIjLb1EEEEEvT_jjPNSB_10value_typeET0_
		.amdhsa_group_segment_fixed_size 0
		.amdhsa_private_segment_fixed_size 0
		.amdhsa_kernarg_size 288
		.amdhsa_user_sgpr_count 6
		.amdhsa_user_sgpr_private_segment_buffer 1
		.amdhsa_user_sgpr_dispatch_ptr 0
		.amdhsa_user_sgpr_queue_ptr 0
		.amdhsa_user_sgpr_kernarg_segment_ptr 1
		.amdhsa_user_sgpr_dispatch_id 0
		.amdhsa_user_sgpr_flat_scratch_init 0
		.amdhsa_user_sgpr_kernarg_preload_length 0
		.amdhsa_user_sgpr_kernarg_preload_offset 0
		.amdhsa_user_sgpr_private_segment_size 0
		.amdhsa_uses_dynamic_stack 0
		.amdhsa_system_sgpr_private_segment_wavefront_offset 0
		.amdhsa_system_sgpr_workgroup_id_x 1
		.amdhsa_system_sgpr_workgroup_id_y 0
		.amdhsa_system_sgpr_workgroup_id_z 0
		.amdhsa_system_sgpr_workgroup_info 0
		.amdhsa_system_vgpr_workitem_id 0
		.amdhsa_next_free_vgpr 22
		.amdhsa_next_free_sgpr 16
		.amdhsa_accum_offset 24
		.amdhsa_reserve_vcc 1
		.amdhsa_reserve_flat_scratch 0
		.amdhsa_float_round_mode_32 0
		.amdhsa_float_round_mode_16_64 0
		.amdhsa_float_denorm_mode_32 3
		.amdhsa_float_denorm_mode_16_64 3
		.amdhsa_dx10_clamp 1
		.amdhsa_ieee_mode 1
		.amdhsa_fp16_overflow 0
		.amdhsa_tg_split 0
		.amdhsa_exception_fp_ieee_invalid_op 0
		.amdhsa_exception_fp_denorm_src 0
		.amdhsa_exception_fp_ieee_div_zero 0
		.amdhsa_exception_fp_ieee_overflow 0
		.amdhsa_exception_fp_ieee_underflow 0
		.amdhsa_exception_fp_ieee_inexact 0
		.amdhsa_exception_int_div_zero 0
	.end_amdhsa_kernel
	.section	.text._ZN7rocprim17ROCPRIM_400000_NS6detail30init_device_scan_by_key_kernelINS1_19lookback_scan_stateINS0_5tupleIJ11FixedVectorIiLj2EEbEEELb0ELb1EEENS1_16block_id_wrapperIjLb1EEEEEvT_jjPNSB_10value_typeET0_,"axG",@progbits,_ZN7rocprim17ROCPRIM_400000_NS6detail30init_device_scan_by_key_kernelINS1_19lookback_scan_stateINS0_5tupleIJ11FixedVectorIiLj2EEbEEELb0ELb1EEENS1_16block_id_wrapperIjLb1EEEEEvT_jjPNSB_10value_typeET0_,comdat
.Lfunc_end1983:
	.size	_ZN7rocprim17ROCPRIM_400000_NS6detail30init_device_scan_by_key_kernelINS1_19lookback_scan_stateINS0_5tupleIJ11FixedVectorIiLj2EEbEEELb0ELb1EEENS1_16block_id_wrapperIjLb1EEEEEvT_jjPNSB_10value_typeET0_, .Lfunc_end1983-_ZN7rocprim17ROCPRIM_400000_NS6detail30init_device_scan_by_key_kernelINS1_19lookback_scan_stateINS0_5tupleIJ11FixedVectorIiLj2EEbEEELb0ELb1EEENS1_16block_id_wrapperIjLb1EEEEEvT_jjPNSB_10value_typeET0_
                                        ; -- End function
	.section	.AMDGPU.csdata,"",@progbits
; Kernel info:
; codeLenInByte = 656
; NumSgprs: 20
; NumVgprs: 22
; NumAgprs: 0
; TotalNumVgprs: 22
; ScratchSize: 0
; MemoryBound: 0
; FloatMode: 240
; IeeeMode: 1
; LDSByteSize: 0 bytes/workgroup (compile time only)
; SGPRBlocks: 2
; VGPRBlocks: 2
; NumSGPRsForWavesPerEU: 20
; NumVGPRsForWavesPerEU: 22
; AccumOffset: 24
; Occupancy: 8
; WaveLimiterHint : 0
; COMPUTE_PGM_RSRC2:SCRATCH_EN: 0
; COMPUTE_PGM_RSRC2:USER_SGPR: 6
; COMPUTE_PGM_RSRC2:TRAP_HANDLER: 0
; COMPUTE_PGM_RSRC2:TGID_X_EN: 1
; COMPUTE_PGM_RSRC2:TGID_Y_EN: 0
; COMPUTE_PGM_RSRC2:TGID_Z_EN: 0
; COMPUTE_PGM_RSRC2:TIDIG_COMP_CNT: 0
; COMPUTE_PGM_RSRC3_GFX90A:ACCUM_OFFSET: 5
; COMPUTE_PGM_RSRC3_GFX90A:TG_SPLIT: 0
	.section	.text._ZN7rocprim17ROCPRIM_400000_NS6detail17trampoline_kernelINS0_14default_configENS1_27scan_by_key_config_selectorIj11FixedVectorIiLj2EEEEZZNS1_16scan_by_key_implILNS1_25lookback_scan_determinismE0ELb0ES3_N6thrust23THRUST_200600_302600_NS6detail15normal_iteratorINSB_10device_ptrIjEEEENSD_INSE_IS6_EEEESI_S6_NSB_4plusIvEENSB_8equal_toIvEES6_EE10hipError_tPvRmT2_T3_T4_T5_mT6_T7_P12ihipStream_tbENKUlT_T0_E_clISt17integral_constantIbLb0EES12_IbLb1EEEEDaSY_SZ_EUlSY_E_NS1_11comp_targetILNS1_3genE0ELNS1_11target_archE4294967295ELNS1_3gpuE0ELNS1_3repE0EEENS1_30default_config_static_selectorELNS0_4arch9wavefront6targetE1EEEvT1_,"axG",@progbits,_ZN7rocprim17ROCPRIM_400000_NS6detail17trampoline_kernelINS0_14default_configENS1_27scan_by_key_config_selectorIj11FixedVectorIiLj2EEEEZZNS1_16scan_by_key_implILNS1_25lookback_scan_determinismE0ELb0ES3_N6thrust23THRUST_200600_302600_NS6detail15normal_iteratorINSB_10device_ptrIjEEEENSD_INSE_IS6_EEEESI_S6_NSB_4plusIvEENSB_8equal_toIvEES6_EE10hipError_tPvRmT2_T3_T4_T5_mT6_T7_P12ihipStream_tbENKUlT_T0_E_clISt17integral_constantIbLb0EES12_IbLb1EEEEDaSY_SZ_EUlSY_E_NS1_11comp_targetILNS1_3genE0ELNS1_11target_archE4294967295ELNS1_3gpuE0ELNS1_3repE0EEENS1_30default_config_static_selectorELNS0_4arch9wavefront6targetE1EEEvT1_,comdat
	.protected	_ZN7rocprim17ROCPRIM_400000_NS6detail17trampoline_kernelINS0_14default_configENS1_27scan_by_key_config_selectorIj11FixedVectorIiLj2EEEEZZNS1_16scan_by_key_implILNS1_25lookback_scan_determinismE0ELb0ES3_N6thrust23THRUST_200600_302600_NS6detail15normal_iteratorINSB_10device_ptrIjEEEENSD_INSE_IS6_EEEESI_S6_NSB_4plusIvEENSB_8equal_toIvEES6_EE10hipError_tPvRmT2_T3_T4_T5_mT6_T7_P12ihipStream_tbENKUlT_T0_E_clISt17integral_constantIbLb0EES12_IbLb1EEEEDaSY_SZ_EUlSY_E_NS1_11comp_targetILNS1_3genE0ELNS1_11target_archE4294967295ELNS1_3gpuE0ELNS1_3repE0EEENS1_30default_config_static_selectorELNS0_4arch9wavefront6targetE1EEEvT1_ ; -- Begin function _ZN7rocprim17ROCPRIM_400000_NS6detail17trampoline_kernelINS0_14default_configENS1_27scan_by_key_config_selectorIj11FixedVectorIiLj2EEEEZZNS1_16scan_by_key_implILNS1_25lookback_scan_determinismE0ELb0ES3_N6thrust23THRUST_200600_302600_NS6detail15normal_iteratorINSB_10device_ptrIjEEEENSD_INSE_IS6_EEEESI_S6_NSB_4plusIvEENSB_8equal_toIvEES6_EE10hipError_tPvRmT2_T3_T4_T5_mT6_T7_P12ihipStream_tbENKUlT_T0_E_clISt17integral_constantIbLb0EES12_IbLb1EEEEDaSY_SZ_EUlSY_E_NS1_11comp_targetILNS1_3genE0ELNS1_11target_archE4294967295ELNS1_3gpuE0ELNS1_3repE0EEENS1_30default_config_static_selectorELNS0_4arch9wavefront6targetE1EEEvT1_
	.globl	_ZN7rocprim17ROCPRIM_400000_NS6detail17trampoline_kernelINS0_14default_configENS1_27scan_by_key_config_selectorIj11FixedVectorIiLj2EEEEZZNS1_16scan_by_key_implILNS1_25lookback_scan_determinismE0ELb0ES3_N6thrust23THRUST_200600_302600_NS6detail15normal_iteratorINSB_10device_ptrIjEEEENSD_INSE_IS6_EEEESI_S6_NSB_4plusIvEENSB_8equal_toIvEES6_EE10hipError_tPvRmT2_T3_T4_T5_mT6_T7_P12ihipStream_tbENKUlT_T0_E_clISt17integral_constantIbLb0EES12_IbLb1EEEEDaSY_SZ_EUlSY_E_NS1_11comp_targetILNS1_3genE0ELNS1_11target_archE4294967295ELNS1_3gpuE0ELNS1_3repE0EEENS1_30default_config_static_selectorELNS0_4arch9wavefront6targetE1EEEvT1_
	.p2align	8
	.type	_ZN7rocprim17ROCPRIM_400000_NS6detail17trampoline_kernelINS0_14default_configENS1_27scan_by_key_config_selectorIj11FixedVectorIiLj2EEEEZZNS1_16scan_by_key_implILNS1_25lookback_scan_determinismE0ELb0ES3_N6thrust23THRUST_200600_302600_NS6detail15normal_iteratorINSB_10device_ptrIjEEEENSD_INSE_IS6_EEEESI_S6_NSB_4plusIvEENSB_8equal_toIvEES6_EE10hipError_tPvRmT2_T3_T4_T5_mT6_T7_P12ihipStream_tbENKUlT_T0_E_clISt17integral_constantIbLb0EES12_IbLb1EEEEDaSY_SZ_EUlSY_E_NS1_11comp_targetILNS1_3genE0ELNS1_11target_archE4294967295ELNS1_3gpuE0ELNS1_3repE0EEENS1_30default_config_static_selectorELNS0_4arch9wavefront6targetE1EEEvT1_,@function
_ZN7rocprim17ROCPRIM_400000_NS6detail17trampoline_kernelINS0_14default_configENS1_27scan_by_key_config_selectorIj11FixedVectorIiLj2EEEEZZNS1_16scan_by_key_implILNS1_25lookback_scan_determinismE0ELb0ES3_N6thrust23THRUST_200600_302600_NS6detail15normal_iteratorINSB_10device_ptrIjEEEENSD_INSE_IS6_EEEESI_S6_NSB_4plusIvEENSB_8equal_toIvEES6_EE10hipError_tPvRmT2_T3_T4_T5_mT6_T7_P12ihipStream_tbENKUlT_T0_E_clISt17integral_constantIbLb0EES12_IbLb1EEEEDaSY_SZ_EUlSY_E_NS1_11comp_targetILNS1_3genE0ELNS1_11target_archE4294967295ELNS1_3gpuE0ELNS1_3repE0EEENS1_30default_config_static_selectorELNS0_4arch9wavefront6targetE1EEEvT1_: ; @_ZN7rocprim17ROCPRIM_400000_NS6detail17trampoline_kernelINS0_14default_configENS1_27scan_by_key_config_selectorIj11FixedVectorIiLj2EEEEZZNS1_16scan_by_key_implILNS1_25lookback_scan_determinismE0ELb0ES3_N6thrust23THRUST_200600_302600_NS6detail15normal_iteratorINSB_10device_ptrIjEEEENSD_INSE_IS6_EEEESI_S6_NSB_4plusIvEENSB_8equal_toIvEES6_EE10hipError_tPvRmT2_T3_T4_T5_mT6_T7_P12ihipStream_tbENKUlT_T0_E_clISt17integral_constantIbLb0EES12_IbLb1EEEEDaSY_SZ_EUlSY_E_NS1_11comp_targetILNS1_3genE0ELNS1_11target_archE4294967295ELNS1_3gpuE0ELNS1_3repE0EEENS1_30default_config_static_selectorELNS0_4arch9wavefront6targetE1EEEvT1_
; %bb.0:
	.section	.rodata,"a",@progbits
	.p2align	6, 0x0
	.amdhsa_kernel _ZN7rocprim17ROCPRIM_400000_NS6detail17trampoline_kernelINS0_14default_configENS1_27scan_by_key_config_selectorIj11FixedVectorIiLj2EEEEZZNS1_16scan_by_key_implILNS1_25lookback_scan_determinismE0ELb0ES3_N6thrust23THRUST_200600_302600_NS6detail15normal_iteratorINSB_10device_ptrIjEEEENSD_INSE_IS6_EEEESI_S6_NSB_4plusIvEENSB_8equal_toIvEES6_EE10hipError_tPvRmT2_T3_T4_T5_mT6_T7_P12ihipStream_tbENKUlT_T0_E_clISt17integral_constantIbLb0EES12_IbLb1EEEEDaSY_SZ_EUlSY_E_NS1_11comp_targetILNS1_3genE0ELNS1_11target_archE4294967295ELNS1_3gpuE0ELNS1_3repE0EEENS1_30default_config_static_selectorELNS0_4arch9wavefront6targetE1EEEvT1_
		.amdhsa_group_segment_fixed_size 0
		.amdhsa_private_segment_fixed_size 0
		.amdhsa_kernarg_size 120
		.amdhsa_user_sgpr_count 6
		.amdhsa_user_sgpr_private_segment_buffer 1
		.amdhsa_user_sgpr_dispatch_ptr 0
		.amdhsa_user_sgpr_queue_ptr 0
		.amdhsa_user_sgpr_kernarg_segment_ptr 1
		.amdhsa_user_sgpr_dispatch_id 0
		.amdhsa_user_sgpr_flat_scratch_init 0
		.amdhsa_user_sgpr_kernarg_preload_length 0
		.amdhsa_user_sgpr_kernarg_preload_offset 0
		.amdhsa_user_sgpr_private_segment_size 0
		.amdhsa_uses_dynamic_stack 0
		.amdhsa_system_sgpr_private_segment_wavefront_offset 0
		.amdhsa_system_sgpr_workgroup_id_x 1
		.amdhsa_system_sgpr_workgroup_id_y 0
		.amdhsa_system_sgpr_workgroup_id_z 0
		.amdhsa_system_sgpr_workgroup_info 0
		.amdhsa_system_vgpr_workitem_id 0
		.amdhsa_next_free_vgpr 1
		.amdhsa_next_free_sgpr 0
		.amdhsa_accum_offset 4
		.amdhsa_reserve_vcc 0
		.amdhsa_reserve_flat_scratch 0
		.amdhsa_float_round_mode_32 0
		.amdhsa_float_round_mode_16_64 0
		.amdhsa_float_denorm_mode_32 3
		.amdhsa_float_denorm_mode_16_64 3
		.amdhsa_dx10_clamp 1
		.amdhsa_ieee_mode 1
		.amdhsa_fp16_overflow 0
		.amdhsa_tg_split 0
		.amdhsa_exception_fp_ieee_invalid_op 0
		.amdhsa_exception_fp_denorm_src 0
		.amdhsa_exception_fp_ieee_div_zero 0
		.amdhsa_exception_fp_ieee_overflow 0
		.amdhsa_exception_fp_ieee_underflow 0
		.amdhsa_exception_fp_ieee_inexact 0
		.amdhsa_exception_int_div_zero 0
	.end_amdhsa_kernel
	.section	.text._ZN7rocprim17ROCPRIM_400000_NS6detail17trampoline_kernelINS0_14default_configENS1_27scan_by_key_config_selectorIj11FixedVectorIiLj2EEEEZZNS1_16scan_by_key_implILNS1_25lookback_scan_determinismE0ELb0ES3_N6thrust23THRUST_200600_302600_NS6detail15normal_iteratorINSB_10device_ptrIjEEEENSD_INSE_IS6_EEEESI_S6_NSB_4plusIvEENSB_8equal_toIvEES6_EE10hipError_tPvRmT2_T3_T4_T5_mT6_T7_P12ihipStream_tbENKUlT_T0_E_clISt17integral_constantIbLb0EES12_IbLb1EEEEDaSY_SZ_EUlSY_E_NS1_11comp_targetILNS1_3genE0ELNS1_11target_archE4294967295ELNS1_3gpuE0ELNS1_3repE0EEENS1_30default_config_static_selectorELNS0_4arch9wavefront6targetE1EEEvT1_,"axG",@progbits,_ZN7rocprim17ROCPRIM_400000_NS6detail17trampoline_kernelINS0_14default_configENS1_27scan_by_key_config_selectorIj11FixedVectorIiLj2EEEEZZNS1_16scan_by_key_implILNS1_25lookback_scan_determinismE0ELb0ES3_N6thrust23THRUST_200600_302600_NS6detail15normal_iteratorINSB_10device_ptrIjEEEENSD_INSE_IS6_EEEESI_S6_NSB_4plusIvEENSB_8equal_toIvEES6_EE10hipError_tPvRmT2_T3_T4_T5_mT6_T7_P12ihipStream_tbENKUlT_T0_E_clISt17integral_constantIbLb0EES12_IbLb1EEEEDaSY_SZ_EUlSY_E_NS1_11comp_targetILNS1_3genE0ELNS1_11target_archE4294967295ELNS1_3gpuE0ELNS1_3repE0EEENS1_30default_config_static_selectorELNS0_4arch9wavefront6targetE1EEEvT1_,comdat
.Lfunc_end1984:
	.size	_ZN7rocprim17ROCPRIM_400000_NS6detail17trampoline_kernelINS0_14default_configENS1_27scan_by_key_config_selectorIj11FixedVectorIiLj2EEEEZZNS1_16scan_by_key_implILNS1_25lookback_scan_determinismE0ELb0ES3_N6thrust23THRUST_200600_302600_NS6detail15normal_iteratorINSB_10device_ptrIjEEEENSD_INSE_IS6_EEEESI_S6_NSB_4plusIvEENSB_8equal_toIvEES6_EE10hipError_tPvRmT2_T3_T4_T5_mT6_T7_P12ihipStream_tbENKUlT_T0_E_clISt17integral_constantIbLb0EES12_IbLb1EEEEDaSY_SZ_EUlSY_E_NS1_11comp_targetILNS1_3genE0ELNS1_11target_archE4294967295ELNS1_3gpuE0ELNS1_3repE0EEENS1_30default_config_static_selectorELNS0_4arch9wavefront6targetE1EEEvT1_, .Lfunc_end1984-_ZN7rocprim17ROCPRIM_400000_NS6detail17trampoline_kernelINS0_14default_configENS1_27scan_by_key_config_selectorIj11FixedVectorIiLj2EEEEZZNS1_16scan_by_key_implILNS1_25lookback_scan_determinismE0ELb0ES3_N6thrust23THRUST_200600_302600_NS6detail15normal_iteratorINSB_10device_ptrIjEEEENSD_INSE_IS6_EEEESI_S6_NSB_4plusIvEENSB_8equal_toIvEES6_EE10hipError_tPvRmT2_T3_T4_T5_mT6_T7_P12ihipStream_tbENKUlT_T0_E_clISt17integral_constantIbLb0EES12_IbLb1EEEEDaSY_SZ_EUlSY_E_NS1_11comp_targetILNS1_3genE0ELNS1_11target_archE4294967295ELNS1_3gpuE0ELNS1_3repE0EEENS1_30default_config_static_selectorELNS0_4arch9wavefront6targetE1EEEvT1_
                                        ; -- End function
	.section	.AMDGPU.csdata,"",@progbits
; Kernel info:
; codeLenInByte = 0
; NumSgprs: 4
; NumVgprs: 0
; NumAgprs: 0
; TotalNumVgprs: 0
; ScratchSize: 0
; MemoryBound: 0
; FloatMode: 240
; IeeeMode: 1
; LDSByteSize: 0 bytes/workgroup (compile time only)
; SGPRBlocks: 0
; VGPRBlocks: 0
; NumSGPRsForWavesPerEU: 4
; NumVGPRsForWavesPerEU: 1
; AccumOffset: 4
; Occupancy: 8
; WaveLimiterHint : 0
; COMPUTE_PGM_RSRC2:SCRATCH_EN: 0
; COMPUTE_PGM_RSRC2:USER_SGPR: 6
; COMPUTE_PGM_RSRC2:TRAP_HANDLER: 0
; COMPUTE_PGM_RSRC2:TGID_X_EN: 1
; COMPUTE_PGM_RSRC2:TGID_Y_EN: 0
; COMPUTE_PGM_RSRC2:TGID_Z_EN: 0
; COMPUTE_PGM_RSRC2:TIDIG_COMP_CNT: 0
; COMPUTE_PGM_RSRC3_GFX90A:ACCUM_OFFSET: 0
; COMPUTE_PGM_RSRC3_GFX90A:TG_SPLIT: 0
	.section	.text._ZN7rocprim17ROCPRIM_400000_NS6detail17trampoline_kernelINS0_14default_configENS1_27scan_by_key_config_selectorIj11FixedVectorIiLj2EEEEZZNS1_16scan_by_key_implILNS1_25lookback_scan_determinismE0ELb0ES3_N6thrust23THRUST_200600_302600_NS6detail15normal_iteratorINSB_10device_ptrIjEEEENSD_INSE_IS6_EEEESI_S6_NSB_4plusIvEENSB_8equal_toIvEES6_EE10hipError_tPvRmT2_T3_T4_T5_mT6_T7_P12ihipStream_tbENKUlT_T0_E_clISt17integral_constantIbLb0EES12_IbLb1EEEEDaSY_SZ_EUlSY_E_NS1_11comp_targetILNS1_3genE10ELNS1_11target_archE1201ELNS1_3gpuE5ELNS1_3repE0EEENS1_30default_config_static_selectorELNS0_4arch9wavefront6targetE1EEEvT1_,"axG",@progbits,_ZN7rocprim17ROCPRIM_400000_NS6detail17trampoline_kernelINS0_14default_configENS1_27scan_by_key_config_selectorIj11FixedVectorIiLj2EEEEZZNS1_16scan_by_key_implILNS1_25lookback_scan_determinismE0ELb0ES3_N6thrust23THRUST_200600_302600_NS6detail15normal_iteratorINSB_10device_ptrIjEEEENSD_INSE_IS6_EEEESI_S6_NSB_4plusIvEENSB_8equal_toIvEES6_EE10hipError_tPvRmT2_T3_T4_T5_mT6_T7_P12ihipStream_tbENKUlT_T0_E_clISt17integral_constantIbLb0EES12_IbLb1EEEEDaSY_SZ_EUlSY_E_NS1_11comp_targetILNS1_3genE10ELNS1_11target_archE1201ELNS1_3gpuE5ELNS1_3repE0EEENS1_30default_config_static_selectorELNS0_4arch9wavefront6targetE1EEEvT1_,comdat
	.protected	_ZN7rocprim17ROCPRIM_400000_NS6detail17trampoline_kernelINS0_14default_configENS1_27scan_by_key_config_selectorIj11FixedVectorIiLj2EEEEZZNS1_16scan_by_key_implILNS1_25lookback_scan_determinismE0ELb0ES3_N6thrust23THRUST_200600_302600_NS6detail15normal_iteratorINSB_10device_ptrIjEEEENSD_INSE_IS6_EEEESI_S6_NSB_4plusIvEENSB_8equal_toIvEES6_EE10hipError_tPvRmT2_T3_T4_T5_mT6_T7_P12ihipStream_tbENKUlT_T0_E_clISt17integral_constantIbLb0EES12_IbLb1EEEEDaSY_SZ_EUlSY_E_NS1_11comp_targetILNS1_3genE10ELNS1_11target_archE1201ELNS1_3gpuE5ELNS1_3repE0EEENS1_30default_config_static_selectorELNS0_4arch9wavefront6targetE1EEEvT1_ ; -- Begin function _ZN7rocprim17ROCPRIM_400000_NS6detail17trampoline_kernelINS0_14default_configENS1_27scan_by_key_config_selectorIj11FixedVectorIiLj2EEEEZZNS1_16scan_by_key_implILNS1_25lookback_scan_determinismE0ELb0ES3_N6thrust23THRUST_200600_302600_NS6detail15normal_iteratorINSB_10device_ptrIjEEEENSD_INSE_IS6_EEEESI_S6_NSB_4plusIvEENSB_8equal_toIvEES6_EE10hipError_tPvRmT2_T3_T4_T5_mT6_T7_P12ihipStream_tbENKUlT_T0_E_clISt17integral_constantIbLb0EES12_IbLb1EEEEDaSY_SZ_EUlSY_E_NS1_11comp_targetILNS1_3genE10ELNS1_11target_archE1201ELNS1_3gpuE5ELNS1_3repE0EEENS1_30default_config_static_selectorELNS0_4arch9wavefront6targetE1EEEvT1_
	.globl	_ZN7rocprim17ROCPRIM_400000_NS6detail17trampoline_kernelINS0_14default_configENS1_27scan_by_key_config_selectorIj11FixedVectorIiLj2EEEEZZNS1_16scan_by_key_implILNS1_25lookback_scan_determinismE0ELb0ES3_N6thrust23THRUST_200600_302600_NS6detail15normal_iteratorINSB_10device_ptrIjEEEENSD_INSE_IS6_EEEESI_S6_NSB_4plusIvEENSB_8equal_toIvEES6_EE10hipError_tPvRmT2_T3_T4_T5_mT6_T7_P12ihipStream_tbENKUlT_T0_E_clISt17integral_constantIbLb0EES12_IbLb1EEEEDaSY_SZ_EUlSY_E_NS1_11comp_targetILNS1_3genE10ELNS1_11target_archE1201ELNS1_3gpuE5ELNS1_3repE0EEENS1_30default_config_static_selectorELNS0_4arch9wavefront6targetE1EEEvT1_
	.p2align	8
	.type	_ZN7rocprim17ROCPRIM_400000_NS6detail17trampoline_kernelINS0_14default_configENS1_27scan_by_key_config_selectorIj11FixedVectorIiLj2EEEEZZNS1_16scan_by_key_implILNS1_25lookback_scan_determinismE0ELb0ES3_N6thrust23THRUST_200600_302600_NS6detail15normal_iteratorINSB_10device_ptrIjEEEENSD_INSE_IS6_EEEESI_S6_NSB_4plusIvEENSB_8equal_toIvEES6_EE10hipError_tPvRmT2_T3_T4_T5_mT6_T7_P12ihipStream_tbENKUlT_T0_E_clISt17integral_constantIbLb0EES12_IbLb1EEEEDaSY_SZ_EUlSY_E_NS1_11comp_targetILNS1_3genE10ELNS1_11target_archE1201ELNS1_3gpuE5ELNS1_3repE0EEENS1_30default_config_static_selectorELNS0_4arch9wavefront6targetE1EEEvT1_,@function
_ZN7rocprim17ROCPRIM_400000_NS6detail17trampoline_kernelINS0_14default_configENS1_27scan_by_key_config_selectorIj11FixedVectorIiLj2EEEEZZNS1_16scan_by_key_implILNS1_25lookback_scan_determinismE0ELb0ES3_N6thrust23THRUST_200600_302600_NS6detail15normal_iteratorINSB_10device_ptrIjEEEENSD_INSE_IS6_EEEESI_S6_NSB_4plusIvEENSB_8equal_toIvEES6_EE10hipError_tPvRmT2_T3_T4_T5_mT6_T7_P12ihipStream_tbENKUlT_T0_E_clISt17integral_constantIbLb0EES12_IbLb1EEEEDaSY_SZ_EUlSY_E_NS1_11comp_targetILNS1_3genE10ELNS1_11target_archE1201ELNS1_3gpuE5ELNS1_3repE0EEENS1_30default_config_static_selectorELNS0_4arch9wavefront6targetE1EEEvT1_: ; @_ZN7rocprim17ROCPRIM_400000_NS6detail17trampoline_kernelINS0_14default_configENS1_27scan_by_key_config_selectorIj11FixedVectorIiLj2EEEEZZNS1_16scan_by_key_implILNS1_25lookback_scan_determinismE0ELb0ES3_N6thrust23THRUST_200600_302600_NS6detail15normal_iteratorINSB_10device_ptrIjEEEENSD_INSE_IS6_EEEESI_S6_NSB_4plusIvEENSB_8equal_toIvEES6_EE10hipError_tPvRmT2_T3_T4_T5_mT6_T7_P12ihipStream_tbENKUlT_T0_E_clISt17integral_constantIbLb0EES12_IbLb1EEEEDaSY_SZ_EUlSY_E_NS1_11comp_targetILNS1_3genE10ELNS1_11target_archE1201ELNS1_3gpuE5ELNS1_3repE0EEENS1_30default_config_static_selectorELNS0_4arch9wavefront6targetE1EEEvT1_
; %bb.0:
	.section	.rodata,"a",@progbits
	.p2align	6, 0x0
	.amdhsa_kernel _ZN7rocprim17ROCPRIM_400000_NS6detail17trampoline_kernelINS0_14default_configENS1_27scan_by_key_config_selectorIj11FixedVectorIiLj2EEEEZZNS1_16scan_by_key_implILNS1_25lookback_scan_determinismE0ELb0ES3_N6thrust23THRUST_200600_302600_NS6detail15normal_iteratorINSB_10device_ptrIjEEEENSD_INSE_IS6_EEEESI_S6_NSB_4plusIvEENSB_8equal_toIvEES6_EE10hipError_tPvRmT2_T3_T4_T5_mT6_T7_P12ihipStream_tbENKUlT_T0_E_clISt17integral_constantIbLb0EES12_IbLb1EEEEDaSY_SZ_EUlSY_E_NS1_11comp_targetILNS1_3genE10ELNS1_11target_archE1201ELNS1_3gpuE5ELNS1_3repE0EEENS1_30default_config_static_selectorELNS0_4arch9wavefront6targetE1EEEvT1_
		.amdhsa_group_segment_fixed_size 0
		.amdhsa_private_segment_fixed_size 0
		.amdhsa_kernarg_size 120
		.amdhsa_user_sgpr_count 6
		.amdhsa_user_sgpr_private_segment_buffer 1
		.amdhsa_user_sgpr_dispatch_ptr 0
		.amdhsa_user_sgpr_queue_ptr 0
		.amdhsa_user_sgpr_kernarg_segment_ptr 1
		.amdhsa_user_sgpr_dispatch_id 0
		.amdhsa_user_sgpr_flat_scratch_init 0
		.amdhsa_user_sgpr_kernarg_preload_length 0
		.amdhsa_user_sgpr_kernarg_preload_offset 0
		.amdhsa_user_sgpr_private_segment_size 0
		.amdhsa_uses_dynamic_stack 0
		.amdhsa_system_sgpr_private_segment_wavefront_offset 0
		.amdhsa_system_sgpr_workgroup_id_x 1
		.amdhsa_system_sgpr_workgroup_id_y 0
		.amdhsa_system_sgpr_workgroup_id_z 0
		.amdhsa_system_sgpr_workgroup_info 0
		.amdhsa_system_vgpr_workitem_id 0
		.amdhsa_next_free_vgpr 1
		.amdhsa_next_free_sgpr 0
		.amdhsa_accum_offset 4
		.amdhsa_reserve_vcc 0
		.amdhsa_reserve_flat_scratch 0
		.amdhsa_float_round_mode_32 0
		.amdhsa_float_round_mode_16_64 0
		.amdhsa_float_denorm_mode_32 3
		.amdhsa_float_denorm_mode_16_64 3
		.amdhsa_dx10_clamp 1
		.amdhsa_ieee_mode 1
		.amdhsa_fp16_overflow 0
		.amdhsa_tg_split 0
		.amdhsa_exception_fp_ieee_invalid_op 0
		.amdhsa_exception_fp_denorm_src 0
		.amdhsa_exception_fp_ieee_div_zero 0
		.amdhsa_exception_fp_ieee_overflow 0
		.amdhsa_exception_fp_ieee_underflow 0
		.amdhsa_exception_fp_ieee_inexact 0
		.amdhsa_exception_int_div_zero 0
	.end_amdhsa_kernel
	.section	.text._ZN7rocprim17ROCPRIM_400000_NS6detail17trampoline_kernelINS0_14default_configENS1_27scan_by_key_config_selectorIj11FixedVectorIiLj2EEEEZZNS1_16scan_by_key_implILNS1_25lookback_scan_determinismE0ELb0ES3_N6thrust23THRUST_200600_302600_NS6detail15normal_iteratorINSB_10device_ptrIjEEEENSD_INSE_IS6_EEEESI_S6_NSB_4plusIvEENSB_8equal_toIvEES6_EE10hipError_tPvRmT2_T3_T4_T5_mT6_T7_P12ihipStream_tbENKUlT_T0_E_clISt17integral_constantIbLb0EES12_IbLb1EEEEDaSY_SZ_EUlSY_E_NS1_11comp_targetILNS1_3genE10ELNS1_11target_archE1201ELNS1_3gpuE5ELNS1_3repE0EEENS1_30default_config_static_selectorELNS0_4arch9wavefront6targetE1EEEvT1_,"axG",@progbits,_ZN7rocprim17ROCPRIM_400000_NS6detail17trampoline_kernelINS0_14default_configENS1_27scan_by_key_config_selectorIj11FixedVectorIiLj2EEEEZZNS1_16scan_by_key_implILNS1_25lookback_scan_determinismE0ELb0ES3_N6thrust23THRUST_200600_302600_NS6detail15normal_iteratorINSB_10device_ptrIjEEEENSD_INSE_IS6_EEEESI_S6_NSB_4plusIvEENSB_8equal_toIvEES6_EE10hipError_tPvRmT2_T3_T4_T5_mT6_T7_P12ihipStream_tbENKUlT_T0_E_clISt17integral_constantIbLb0EES12_IbLb1EEEEDaSY_SZ_EUlSY_E_NS1_11comp_targetILNS1_3genE10ELNS1_11target_archE1201ELNS1_3gpuE5ELNS1_3repE0EEENS1_30default_config_static_selectorELNS0_4arch9wavefront6targetE1EEEvT1_,comdat
.Lfunc_end1985:
	.size	_ZN7rocprim17ROCPRIM_400000_NS6detail17trampoline_kernelINS0_14default_configENS1_27scan_by_key_config_selectorIj11FixedVectorIiLj2EEEEZZNS1_16scan_by_key_implILNS1_25lookback_scan_determinismE0ELb0ES3_N6thrust23THRUST_200600_302600_NS6detail15normal_iteratorINSB_10device_ptrIjEEEENSD_INSE_IS6_EEEESI_S6_NSB_4plusIvEENSB_8equal_toIvEES6_EE10hipError_tPvRmT2_T3_T4_T5_mT6_T7_P12ihipStream_tbENKUlT_T0_E_clISt17integral_constantIbLb0EES12_IbLb1EEEEDaSY_SZ_EUlSY_E_NS1_11comp_targetILNS1_3genE10ELNS1_11target_archE1201ELNS1_3gpuE5ELNS1_3repE0EEENS1_30default_config_static_selectorELNS0_4arch9wavefront6targetE1EEEvT1_, .Lfunc_end1985-_ZN7rocprim17ROCPRIM_400000_NS6detail17trampoline_kernelINS0_14default_configENS1_27scan_by_key_config_selectorIj11FixedVectorIiLj2EEEEZZNS1_16scan_by_key_implILNS1_25lookback_scan_determinismE0ELb0ES3_N6thrust23THRUST_200600_302600_NS6detail15normal_iteratorINSB_10device_ptrIjEEEENSD_INSE_IS6_EEEESI_S6_NSB_4plusIvEENSB_8equal_toIvEES6_EE10hipError_tPvRmT2_T3_T4_T5_mT6_T7_P12ihipStream_tbENKUlT_T0_E_clISt17integral_constantIbLb0EES12_IbLb1EEEEDaSY_SZ_EUlSY_E_NS1_11comp_targetILNS1_3genE10ELNS1_11target_archE1201ELNS1_3gpuE5ELNS1_3repE0EEENS1_30default_config_static_selectorELNS0_4arch9wavefront6targetE1EEEvT1_
                                        ; -- End function
	.section	.AMDGPU.csdata,"",@progbits
; Kernel info:
; codeLenInByte = 0
; NumSgprs: 4
; NumVgprs: 0
; NumAgprs: 0
; TotalNumVgprs: 0
; ScratchSize: 0
; MemoryBound: 0
; FloatMode: 240
; IeeeMode: 1
; LDSByteSize: 0 bytes/workgroup (compile time only)
; SGPRBlocks: 0
; VGPRBlocks: 0
; NumSGPRsForWavesPerEU: 4
; NumVGPRsForWavesPerEU: 1
; AccumOffset: 4
; Occupancy: 8
; WaveLimiterHint : 0
; COMPUTE_PGM_RSRC2:SCRATCH_EN: 0
; COMPUTE_PGM_RSRC2:USER_SGPR: 6
; COMPUTE_PGM_RSRC2:TRAP_HANDLER: 0
; COMPUTE_PGM_RSRC2:TGID_X_EN: 1
; COMPUTE_PGM_RSRC2:TGID_Y_EN: 0
; COMPUTE_PGM_RSRC2:TGID_Z_EN: 0
; COMPUTE_PGM_RSRC2:TIDIG_COMP_CNT: 0
; COMPUTE_PGM_RSRC3_GFX90A:ACCUM_OFFSET: 0
; COMPUTE_PGM_RSRC3_GFX90A:TG_SPLIT: 0
	.section	.text._ZN7rocprim17ROCPRIM_400000_NS6detail17trampoline_kernelINS0_14default_configENS1_27scan_by_key_config_selectorIj11FixedVectorIiLj2EEEEZZNS1_16scan_by_key_implILNS1_25lookback_scan_determinismE0ELb0ES3_N6thrust23THRUST_200600_302600_NS6detail15normal_iteratorINSB_10device_ptrIjEEEENSD_INSE_IS6_EEEESI_S6_NSB_4plusIvEENSB_8equal_toIvEES6_EE10hipError_tPvRmT2_T3_T4_T5_mT6_T7_P12ihipStream_tbENKUlT_T0_E_clISt17integral_constantIbLb0EES12_IbLb1EEEEDaSY_SZ_EUlSY_E_NS1_11comp_targetILNS1_3genE5ELNS1_11target_archE942ELNS1_3gpuE9ELNS1_3repE0EEENS1_30default_config_static_selectorELNS0_4arch9wavefront6targetE1EEEvT1_,"axG",@progbits,_ZN7rocprim17ROCPRIM_400000_NS6detail17trampoline_kernelINS0_14default_configENS1_27scan_by_key_config_selectorIj11FixedVectorIiLj2EEEEZZNS1_16scan_by_key_implILNS1_25lookback_scan_determinismE0ELb0ES3_N6thrust23THRUST_200600_302600_NS6detail15normal_iteratorINSB_10device_ptrIjEEEENSD_INSE_IS6_EEEESI_S6_NSB_4plusIvEENSB_8equal_toIvEES6_EE10hipError_tPvRmT2_T3_T4_T5_mT6_T7_P12ihipStream_tbENKUlT_T0_E_clISt17integral_constantIbLb0EES12_IbLb1EEEEDaSY_SZ_EUlSY_E_NS1_11comp_targetILNS1_3genE5ELNS1_11target_archE942ELNS1_3gpuE9ELNS1_3repE0EEENS1_30default_config_static_selectorELNS0_4arch9wavefront6targetE1EEEvT1_,comdat
	.protected	_ZN7rocprim17ROCPRIM_400000_NS6detail17trampoline_kernelINS0_14default_configENS1_27scan_by_key_config_selectorIj11FixedVectorIiLj2EEEEZZNS1_16scan_by_key_implILNS1_25lookback_scan_determinismE0ELb0ES3_N6thrust23THRUST_200600_302600_NS6detail15normal_iteratorINSB_10device_ptrIjEEEENSD_INSE_IS6_EEEESI_S6_NSB_4plusIvEENSB_8equal_toIvEES6_EE10hipError_tPvRmT2_T3_T4_T5_mT6_T7_P12ihipStream_tbENKUlT_T0_E_clISt17integral_constantIbLb0EES12_IbLb1EEEEDaSY_SZ_EUlSY_E_NS1_11comp_targetILNS1_3genE5ELNS1_11target_archE942ELNS1_3gpuE9ELNS1_3repE0EEENS1_30default_config_static_selectorELNS0_4arch9wavefront6targetE1EEEvT1_ ; -- Begin function _ZN7rocprim17ROCPRIM_400000_NS6detail17trampoline_kernelINS0_14default_configENS1_27scan_by_key_config_selectorIj11FixedVectorIiLj2EEEEZZNS1_16scan_by_key_implILNS1_25lookback_scan_determinismE0ELb0ES3_N6thrust23THRUST_200600_302600_NS6detail15normal_iteratorINSB_10device_ptrIjEEEENSD_INSE_IS6_EEEESI_S6_NSB_4plusIvEENSB_8equal_toIvEES6_EE10hipError_tPvRmT2_T3_T4_T5_mT6_T7_P12ihipStream_tbENKUlT_T0_E_clISt17integral_constantIbLb0EES12_IbLb1EEEEDaSY_SZ_EUlSY_E_NS1_11comp_targetILNS1_3genE5ELNS1_11target_archE942ELNS1_3gpuE9ELNS1_3repE0EEENS1_30default_config_static_selectorELNS0_4arch9wavefront6targetE1EEEvT1_
	.globl	_ZN7rocprim17ROCPRIM_400000_NS6detail17trampoline_kernelINS0_14default_configENS1_27scan_by_key_config_selectorIj11FixedVectorIiLj2EEEEZZNS1_16scan_by_key_implILNS1_25lookback_scan_determinismE0ELb0ES3_N6thrust23THRUST_200600_302600_NS6detail15normal_iteratorINSB_10device_ptrIjEEEENSD_INSE_IS6_EEEESI_S6_NSB_4plusIvEENSB_8equal_toIvEES6_EE10hipError_tPvRmT2_T3_T4_T5_mT6_T7_P12ihipStream_tbENKUlT_T0_E_clISt17integral_constantIbLb0EES12_IbLb1EEEEDaSY_SZ_EUlSY_E_NS1_11comp_targetILNS1_3genE5ELNS1_11target_archE942ELNS1_3gpuE9ELNS1_3repE0EEENS1_30default_config_static_selectorELNS0_4arch9wavefront6targetE1EEEvT1_
	.p2align	8
	.type	_ZN7rocprim17ROCPRIM_400000_NS6detail17trampoline_kernelINS0_14default_configENS1_27scan_by_key_config_selectorIj11FixedVectorIiLj2EEEEZZNS1_16scan_by_key_implILNS1_25lookback_scan_determinismE0ELb0ES3_N6thrust23THRUST_200600_302600_NS6detail15normal_iteratorINSB_10device_ptrIjEEEENSD_INSE_IS6_EEEESI_S6_NSB_4plusIvEENSB_8equal_toIvEES6_EE10hipError_tPvRmT2_T3_T4_T5_mT6_T7_P12ihipStream_tbENKUlT_T0_E_clISt17integral_constantIbLb0EES12_IbLb1EEEEDaSY_SZ_EUlSY_E_NS1_11comp_targetILNS1_3genE5ELNS1_11target_archE942ELNS1_3gpuE9ELNS1_3repE0EEENS1_30default_config_static_selectorELNS0_4arch9wavefront6targetE1EEEvT1_,@function
_ZN7rocprim17ROCPRIM_400000_NS6detail17trampoline_kernelINS0_14default_configENS1_27scan_by_key_config_selectorIj11FixedVectorIiLj2EEEEZZNS1_16scan_by_key_implILNS1_25lookback_scan_determinismE0ELb0ES3_N6thrust23THRUST_200600_302600_NS6detail15normal_iteratorINSB_10device_ptrIjEEEENSD_INSE_IS6_EEEESI_S6_NSB_4plusIvEENSB_8equal_toIvEES6_EE10hipError_tPvRmT2_T3_T4_T5_mT6_T7_P12ihipStream_tbENKUlT_T0_E_clISt17integral_constantIbLb0EES12_IbLb1EEEEDaSY_SZ_EUlSY_E_NS1_11comp_targetILNS1_3genE5ELNS1_11target_archE942ELNS1_3gpuE9ELNS1_3repE0EEENS1_30default_config_static_selectorELNS0_4arch9wavefront6targetE1EEEvT1_: ; @_ZN7rocprim17ROCPRIM_400000_NS6detail17trampoline_kernelINS0_14default_configENS1_27scan_by_key_config_selectorIj11FixedVectorIiLj2EEEEZZNS1_16scan_by_key_implILNS1_25lookback_scan_determinismE0ELb0ES3_N6thrust23THRUST_200600_302600_NS6detail15normal_iteratorINSB_10device_ptrIjEEEENSD_INSE_IS6_EEEESI_S6_NSB_4plusIvEENSB_8equal_toIvEES6_EE10hipError_tPvRmT2_T3_T4_T5_mT6_T7_P12ihipStream_tbENKUlT_T0_E_clISt17integral_constantIbLb0EES12_IbLb1EEEEDaSY_SZ_EUlSY_E_NS1_11comp_targetILNS1_3genE5ELNS1_11target_archE942ELNS1_3gpuE9ELNS1_3repE0EEENS1_30default_config_static_selectorELNS0_4arch9wavefront6targetE1EEEvT1_
; %bb.0:
	.section	.rodata,"a",@progbits
	.p2align	6, 0x0
	.amdhsa_kernel _ZN7rocprim17ROCPRIM_400000_NS6detail17trampoline_kernelINS0_14default_configENS1_27scan_by_key_config_selectorIj11FixedVectorIiLj2EEEEZZNS1_16scan_by_key_implILNS1_25lookback_scan_determinismE0ELb0ES3_N6thrust23THRUST_200600_302600_NS6detail15normal_iteratorINSB_10device_ptrIjEEEENSD_INSE_IS6_EEEESI_S6_NSB_4plusIvEENSB_8equal_toIvEES6_EE10hipError_tPvRmT2_T3_T4_T5_mT6_T7_P12ihipStream_tbENKUlT_T0_E_clISt17integral_constantIbLb0EES12_IbLb1EEEEDaSY_SZ_EUlSY_E_NS1_11comp_targetILNS1_3genE5ELNS1_11target_archE942ELNS1_3gpuE9ELNS1_3repE0EEENS1_30default_config_static_selectorELNS0_4arch9wavefront6targetE1EEEvT1_
		.amdhsa_group_segment_fixed_size 0
		.amdhsa_private_segment_fixed_size 0
		.amdhsa_kernarg_size 120
		.amdhsa_user_sgpr_count 6
		.amdhsa_user_sgpr_private_segment_buffer 1
		.amdhsa_user_sgpr_dispatch_ptr 0
		.amdhsa_user_sgpr_queue_ptr 0
		.amdhsa_user_sgpr_kernarg_segment_ptr 1
		.amdhsa_user_sgpr_dispatch_id 0
		.amdhsa_user_sgpr_flat_scratch_init 0
		.amdhsa_user_sgpr_kernarg_preload_length 0
		.amdhsa_user_sgpr_kernarg_preload_offset 0
		.amdhsa_user_sgpr_private_segment_size 0
		.amdhsa_uses_dynamic_stack 0
		.amdhsa_system_sgpr_private_segment_wavefront_offset 0
		.amdhsa_system_sgpr_workgroup_id_x 1
		.amdhsa_system_sgpr_workgroup_id_y 0
		.amdhsa_system_sgpr_workgroup_id_z 0
		.amdhsa_system_sgpr_workgroup_info 0
		.amdhsa_system_vgpr_workitem_id 0
		.amdhsa_next_free_vgpr 1
		.amdhsa_next_free_sgpr 0
		.amdhsa_accum_offset 4
		.amdhsa_reserve_vcc 0
		.amdhsa_reserve_flat_scratch 0
		.amdhsa_float_round_mode_32 0
		.amdhsa_float_round_mode_16_64 0
		.amdhsa_float_denorm_mode_32 3
		.amdhsa_float_denorm_mode_16_64 3
		.amdhsa_dx10_clamp 1
		.amdhsa_ieee_mode 1
		.amdhsa_fp16_overflow 0
		.amdhsa_tg_split 0
		.amdhsa_exception_fp_ieee_invalid_op 0
		.amdhsa_exception_fp_denorm_src 0
		.amdhsa_exception_fp_ieee_div_zero 0
		.amdhsa_exception_fp_ieee_overflow 0
		.amdhsa_exception_fp_ieee_underflow 0
		.amdhsa_exception_fp_ieee_inexact 0
		.amdhsa_exception_int_div_zero 0
	.end_amdhsa_kernel
	.section	.text._ZN7rocprim17ROCPRIM_400000_NS6detail17trampoline_kernelINS0_14default_configENS1_27scan_by_key_config_selectorIj11FixedVectorIiLj2EEEEZZNS1_16scan_by_key_implILNS1_25lookback_scan_determinismE0ELb0ES3_N6thrust23THRUST_200600_302600_NS6detail15normal_iteratorINSB_10device_ptrIjEEEENSD_INSE_IS6_EEEESI_S6_NSB_4plusIvEENSB_8equal_toIvEES6_EE10hipError_tPvRmT2_T3_T4_T5_mT6_T7_P12ihipStream_tbENKUlT_T0_E_clISt17integral_constantIbLb0EES12_IbLb1EEEEDaSY_SZ_EUlSY_E_NS1_11comp_targetILNS1_3genE5ELNS1_11target_archE942ELNS1_3gpuE9ELNS1_3repE0EEENS1_30default_config_static_selectorELNS0_4arch9wavefront6targetE1EEEvT1_,"axG",@progbits,_ZN7rocprim17ROCPRIM_400000_NS6detail17trampoline_kernelINS0_14default_configENS1_27scan_by_key_config_selectorIj11FixedVectorIiLj2EEEEZZNS1_16scan_by_key_implILNS1_25lookback_scan_determinismE0ELb0ES3_N6thrust23THRUST_200600_302600_NS6detail15normal_iteratorINSB_10device_ptrIjEEEENSD_INSE_IS6_EEEESI_S6_NSB_4plusIvEENSB_8equal_toIvEES6_EE10hipError_tPvRmT2_T3_T4_T5_mT6_T7_P12ihipStream_tbENKUlT_T0_E_clISt17integral_constantIbLb0EES12_IbLb1EEEEDaSY_SZ_EUlSY_E_NS1_11comp_targetILNS1_3genE5ELNS1_11target_archE942ELNS1_3gpuE9ELNS1_3repE0EEENS1_30default_config_static_selectorELNS0_4arch9wavefront6targetE1EEEvT1_,comdat
.Lfunc_end1986:
	.size	_ZN7rocprim17ROCPRIM_400000_NS6detail17trampoline_kernelINS0_14default_configENS1_27scan_by_key_config_selectorIj11FixedVectorIiLj2EEEEZZNS1_16scan_by_key_implILNS1_25lookback_scan_determinismE0ELb0ES3_N6thrust23THRUST_200600_302600_NS6detail15normal_iteratorINSB_10device_ptrIjEEEENSD_INSE_IS6_EEEESI_S6_NSB_4plusIvEENSB_8equal_toIvEES6_EE10hipError_tPvRmT2_T3_T4_T5_mT6_T7_P12ihipStream_tbENKUlT_T0_E_clISt17integral_constantIbLb0EES12_IbLb1EEEEDaSY_SZ_EUlSY_E_NS1_11comp_targetILNS1_3genE5ELNS1_11target_archE942ELNS1_3gpuE9ELNS1_3repE0EEENS1_30default_config_static_selectorELNS0_4arch9wavefront6targetE1EEEvT1_, .Lfunc_end1986-_ZN7rocprim17ROCPRIM_400000_NS6detail17trampoline_kernelINS0_14default_configENS1_27scan_by_key_config_selectorIj11FixedVectorIiLj2EEEEZZNS1_16scan_by_key_implILNS1_25lookback_scan_determinismE0ELb0ES3_N6thrust23THRUST_200600_302600_NS6detail15normal_iteratorINSB_10device_ptrIjEEEENSD_INSE_IS6_EEEESI_S6_NSB_4plusIvEENSB_8equal_toIvEES6_EE10hipError_tPvRmT2_T3_T4_T5_mT6_T7_P12ihipStream_tbENKUlT_T0_E_clISt17integral_constantIbLb0EES12_IbLb1EEEEDaSY_SZ_EUlSY_E_NS1_11comp_targetILNS1_3genE5ELNS1_11target_archE942ELNS1_3gpuE9ELNS1_3repE0EEENS1_30default_config_static_selectorELNS0_4arch9wavefront6targetE1EEEvT1_
                                        ; -- End function
	.section	.AMDGPU.csdata,"",@progbits
; Kernel info:
; codeLenInByte = 0
; NumSgprs: 4
; NumVgprs: 0
; NumAgprs: 0
; TotalNumVgprs: 0
; ScratchSize: 0
; MemoryBound: 0
; FloatMode: 240
; IeeeMode: 1
; LDSByteSize: 0 bytes/workgroup (compile time only)
; SGPRBlocks: 0
; VGPRBlocks: 0
; NumSGPRsForWavesPerEU: 4
; NumVGPRsForWavesPerEU: 1
; AccumOffset: 4
; Occupancy: 8
; WaveLimiterHint : 0
; COMPUTE_PGM_RSRC2:SCRATCH_EN: 0
; COMPUTE_PGM_RSRC2:USER_SGPR: 6
; COMPUTE_PGM_RSRC2:TRAP_HANDLER: 0
; COMPUTE_PGM_RSRC2:TGID_X_EN: 1
; COMPUTE_PGM_RSRC2:TGID_Y_EN: 0
; COMPUTE_PGM_RSRC2:TGID_Z_EN: 0
; COMPUTE_PGM_RSRC2:TIDIG_COMP_CNT: 0
; COMPUTE_PGM_RSRC3_GFX90A:ACCUM_OFFSET: 0
; COMPUTE_PGM_RSRC3_GFX90A:TG_SPLIT: 0
	.section	.text._ZN7rocprim17ROCPRIM_400000_NS6detail17trampoline_kernelINS0_14default_configENS1_27scan_by_key_config_selectorIj11FixedVectorIiLj2EEEEZZNS1_16scan_by_key_implILNS1_25lookback_scan_determinismE0ELb0ES3_N6thrust23THRUST_200600_302600_NS6detail15normal_iteratorINSB_10device_ptrIjEEEENSD_INSE_IS6_EEEESI_S6_NSB_4plusIvEENSB_8equal_toIvEES6_EE10hipError_tPvRmT2_T3_T4_T5_mT6_T7_P12ihipStream_tbENKUlT_T0_E_clISt17integral_constantIbLb0EES12_IbLb1EEEEDaSY_SZ_EUlSY_E_NS1_11comp_targetILNS1_3genE4ELNS1_11target_archE910ELNS1_3gpuE8ELNS1_3repE0EEENS1_30default_config_static_selectorELNS0_4arch9wavefront6targetE1EEEvT1_,"axG",@progbits,_ZN7rocprim17ROCPRIM_400000_NS6detail17trampoline_kernelINS0_14default_configENS1_27scan_by_key_config_selectorIj11FixedVectorIiLj2EEEEZZNS1_16scan_by_key_implILNS1_25lookback_scan_determinismE0ELb0ES3_N6thrust23THRUST_200600_302600_NS6detail15normal_iteratorINSB_10device_ptrIjEEEENSD_INSE_IS6_EEEESI_S6_NSB_4plusIvEENSB_8equal_toIvEES6_EE10hipError_tPvRmT2_T3_T4_T5_mT6_T7_P12ihipStream_tbENKUlT_T0_E_clISt17integral_constantIbLb0EES12_IbLb1EEEEDaSY_SZ_EUlSY_E_NS1_11comp_targetILNS1_3genE4ELNS1_11target_archE910ELNS1_3gpuE8ELNS1_3repE0EEENS1_30default_config_static_selectorELNS0_4arch9wavefront6targetE1EEEvT1_,comdat
	.protected	_ZN7rocprim17ROCPRIM_400000_NS6detail17trampoline_kernelINS0_14default_configENS1_27scan_by_key_config_selectorIj11FixedVectorIiLj2EEEEZZNS1_16scan_by_key_implILNS1_25lookback_scan_determinismE0ELb0ES3_N6thrust23THRUST_200600_302600_NS6detail15normal_iteratorINSB_10device_ptrIjEEEENSD_INSE_IS6_EEEESI_S6_NSB_4plusIvEENSB_8equal_toIvEES6_EE10hipError_tPvRmT2_T3_T4_T5_mT6_T7_P12ihipStream_tbENKUlT_T0_E_clISt17integral_constantIbLb0EES12_IbLb1EEEEDaSY_SZ_EUlSY_E_NS1_11comp_targetILNS1_3genE4ELNS1_11target_archE910ELNS1_3gpuE8ELNS1_3repE0EEENS1_30default_config_static_selectorELNS0_4arch9wavefront6targetE1EEEvT1_ ; -- Begin function _ZN7rocprim17ROCPRIM_400000_NS6detail17trampoline_kernelINS0_14default_configENS1_27scan_by_key_config_selectorIj11FixedVectorIiLj2EEEEZZNS1_16scan_by_key_implILNS1_25lookback_scan_determinismE0ELb0ES3_N6thrust23THRUST_200600_302600_NS6detail15normal_iteratorINSB_10device_ptrIjEEEENSD_INSE_IS6_EEEESI_S6_NSB_4plusIvEENSB_8equal_toIvEES6_EE10hipError_tPvRmT2_T3_T4_T5_mT6_T7_P12ihipStream_tbENKUlT_T0_E_clISt17integral_constantIbLb0EES12_IbLb1EEEEDaSY_SZ_EUlSY_E_NS1_11comp_targetILNS1_3genE4ELNS1_11target_archE910ELNS1_3gpuE8ELNS1_3repE0EEENS1_30default_config_static_selectorELNS0_4arch9wavefront6targetE1EEEvT1_
	.globl	_ZN7rocprim17ROCPRIM_400000_NS6detail17trampoline_kernelINS0_14default_configENS1_27scan_by_key_config_selectorIj11FixedVectorIiLj2EEEEZZNS1_16scan_by_key_implILNS1_25lookback_scan_determinismE0ELb0ES3_N6thrust23THRUST_200600_302600_NS6detail15normal_iteratorINSB_10device_ptrIjEEEENSD_INSE_IS6_EEEESI_S6_NSB_4plusIvEENSB_8equal_toIvEES6_EE10hipError_tPvRmT2_T3_T4_T5_mT6_T7_P12ihipStream_tbENKUlT_T0_E_clISt17integral_constantIbLb0EES12_IbLb1EEEEDaSY_SZ_EUlSY_E_NS1_11comp_targetILNS1_3genE4ELNS1_11target_archE910ELNS1_3gpuE8ELNS1_3repE0EEENS1_30default_config_static_selectorELNS0_4arch9wavefront6targetE1EEEvT1_
	.p2align	8
	.type	_ZN7rocprim17ROCPRIM_400000_NS6detail17trampoline_kernelINS0_14default_configENS1_27scan_by_key_config_selectorIj11FixedVectorIiLj2EEEEZZNS1_16scan_by_key_implILNS1_25lookback_scan_determinismE0ELb0ES3_N6thrust23THRUST_200600_302600_NS6detail15normal_iteratorINSB_10device_ptrIjEEEENSD_INSE_IS6_EEEESI_S6_NSB_4plusIvEENSB_8equal_toIvEES6_EE10hipError_tPvRmT2_T3_T4_T5_mT6_T7_P12ihipStream_tbENKUlT_T0_E_clISt17integral_constantIbLb0EES12_IbLb1EEEEDaSY_SZ_EUlSY_E_NS1_11comp_targetILNS1_3genE4ELNS1_11target_archE910ELNS1_3gpuE8ELNS1_3repE0EEENS1_30default_config_static_selectorELNS0_4arch9wavefront6targetE1EEEvT1_,@function
_ZN7rocprim17ROCPRIM_400000_NS6detail17trampoline_kernelINS0_14default_configENS1_27scan_by_key_config_selectorIj11FixedVectorIiLj2EEEEZZNS1_16scan_by_key_implILNS1_25lookback_scan_determinismE0ELb0ES3_N6thrust23THRUST_200600_302600_NS6detail15normal_iteratorINSB_10device_ptrIjEEEENSD_INSE_IS6_EEEESI_S6_NSB_4plusIvEENSB_8equal_toIvEES6_EE10hipError_tPvRmT2_T3_T4_T5_mT6_T7_P12ihipStream_tbENKUlT_T0_E_clISt17integral_constantIbLb0EES12_IbLb1EEEEDaSY_SZ_EUlSY_E_NS1_11comp_targetILNS1_3genE4ELNS1_11target_archE910ELNS1_3gpuE8ELNS1_3repE0EEENS1_30default_config_static_selectorELNS0_4arch9wavefront6targetE1EEEvT1_: ; @_ZN7rocprim17ROCPRIM_400000_NS6detail17trampoline_kernelINS0_14default_configENS1_27scan_by_key_config_selectorIj11FixedVectorIiLj2EEEEZZNS1_16scan_by_key_implILNS1_25lookback_scan_determinismE0ELb0ES3_N6thrust23THRUST_200600_302600_NS6detail15normal_iteratorINSB_10device_ptrIjEEEENSD_INSE_IS6_EEEESI_S6_NSB_4plusIvEENSB_8equal_toIvEES6_EE10hipError_tPvRmT2_T3_T4_T5_mT6_T7_P12ihipStream_tbENKUlT_T0_E_clISt17integral_constantIbLb0EES12_IbLb1EEEEDaSY_SZ_EUlSY_E_NS1_11comp_targetILNS1_3genE4ELNS1_11target_archE910ELNS1_3gpuE8ELNS1_3repE0EEENS1_30default_config_static_selectorELNS0_4arch9wavefront6targetE1EEEvT1_
; %bb.0:
	s_load_dwordx4 s[80:83], s[4:5], 0x30
	s_load_dwordx2 s[14:15], s[4:5], 0x40
	v_cmp_ne_u32_e64 s[54:55], 0, v0
	v_cmp_eq_u32_e64 s[86:87], 0, v0
	s_and_saveexec_b64 s[0:1], s[86:87]
	s_cbranch_execz .LBB1987_4
; %bb.1:
	s_mov_b64 s[8:9], exec
	v_mbcnt_lo_u32_b32 v1, s8, 0
	v_mbcnt_hi_u32_b32 v1, s9, v1
	v_cmp_eq_u32_e32 vcc, 0, v1
                                        ; implicit-def: $vgpr2
	s_and_saveexec_b64 s[6:7], vcc
	s_cbranch_execz .LBB1987_3
; %bb.2:
	s_load_dwordx2 s[10:11], s[4:5], 0x70
	s_bcnt1_i32_b64 s8, s[8:9]
	v_mov_b32_e32 v2, 0
	v_mov_b32_e32 v3, s8
	s_waitcnt lgkmcnt(0)
	global_atomic_add v2, v2, v3, s[10:11] glc
.LBB1987_3:
	s_or_b64 exec, exec, s[6:7]
	s_waitcnt vmcnt(0)
	v_readfirstlane_b32 s6, v2
	v_add_u32_e32 v1, s6, v1
	v_mov_b32_e32 v2, 0
	ds_write_b32 v2, v1
.LBB1987_4:
	s_or_b64 exec, exec, s[0:1]
	s_load_dwordx8 s[72:79], s[4:5], 0x0
	s_load_dword s0, s[4:5], 0x48
	s_load_dwordx8 s[64:71], s[4:5], 0x50
	v_mov_b32_e32 v1, 0
	s_waitcnt lgkmcnt(0)
	; wave barrier
	s_waitcnt lgkmcnt(0)
	ds_read_b32 v1, v1
	s_lshl_b64 s[4:5], s[74:75], 2
	s_add_u32 s8, s72, s4
	s_addc_u32 s9, s73, s5
	s_lshl_b64 s[72:73], s[74:75], 3
	s_add_u32 s10, s76, s72
	s_mul_i32 s1, s15, s0
	s_mul_hi_u32 s4, s14, s0
	s_addc_u32 s11, s77, s73
	s_add_i32 s12, s4, s1
                                        ; implicit-def: $vgpr135 : SGPR spill to VGPR lane
	s_waitcnt lgkmcnt(0)
	v_readfirstlane_b32 s33, v1
	v_writelane_b32 v135, s14, 0
	s_mul_i32 s13, s14, s0
	s_cmp_lg_u64 s[68:69], 0
	s_mov_b32 s1, 0
	s_mul_i32 s0, s33, 0x540
	s_cselect_b64 s[52:53], -1, 0
	s_lshl_b64 s[4:5], s[0:1], 2
	s_add_u32 s50, s8, s4
	s_addc_u32 s51, s9, s5
	s_lshl_b64 s[92:93], s[0:1], 3
	s_add_u32 s62, s10, s92
	s_addc_u32 s63, s11, s93
	s_add_u32 s56, s13, s33
	s_addc_u32 s57, s12, 0
	s_add_u32 s4, s64, -1
	s_addc_u32 s5, s65, -1
	v_pk_mov_b32 v[2:3], s[4:5], s[4:5] op_sel:[0,1]
	v_cmp_ge_u64_e64 s[68:69], s[56:57], v[2:3]
	s_mov_b64 s[6:7], 0
	s_mov_b64 s[12:13], -1
	s_and_b64 vcc, exec, s[68:69]
	s_mul_i32 s74, s4, 0xfffffac0
	v_writelane_b32 v135, s15, 1
	s_waitcnt lgkmcnt(0)
	; wave barrier
	s_waitcnt lgkmcnt(0)
	s_waitcnt lgkmcnt(0)
	; wave barrier
	s_cbranch_vccz .LBB1987_134
; %bb.5:
	v_pk_mov_b32 v[2:3], s[50:51], s[50:51] op_sel:[0,1]
	flat_load_dword v2, v[2:3]
	s_add_i32 s65, s74, s82
	v_cmp_gt_u32_e64 s[6:7], s65, v0
	s_waitcnt vmcnt(0) lgkmcnt(0)
	v_mov_b32_e32 v3, v2
	s_and_saveexec_b64 s[4:5], s[6:7]
	s_cbranch_execz .LBB1987_7
; %bb.6:
	v_lshlrev_b32_e32 v1, 2, v0
	v_mov_b32_e32 v3, s51
	v_add_co_u32_e32 v4, vcc, s50, v1
	v_addc_co_u32_e32 v5, vcc, 0, v3, vcc
	flat_load_dword v3, v[4:5]
.LBB1987_7:
	s_or_b64 exec, exec, s[4:5]
	v_or_b32_e32 v1, 64, v0
	v_cmp_gt_u32_e64 s[8:9], s65, v1
	v_mov_b32_e32 v4, v2
	s_and_saveexec_b64 s[4:5], s[8:9]
	s_cbranch_execz .LBB1987_9
; %bb.8:
	v_lshlrev_b32_e32 v1, 2, v0
	v_mov_b32_e32 v5, s51
	v_add_co_u32_e32 v4, vcc, s50, v1
	v_addc_co_u32_e32 v5, vcc, 0, v5, vcc
	flat_load_dword v4, v[4:5] offset:256
.LBB1987_9:
	s_or_b64 exec, exec, s[4:5]
	v_or_b32_e32 v1, 0x80, v0
	v_cmp_gt_u32_e64 s[10:11], s65, v1
	v_mov_b32_e32 v5, v2
	s_and_saveexec_b64 s[4:5], s[10:11]
	s_cbranch_execz .LBB1987_11
; %bb.10:
	v_lshlrev_b32_e32 v1, 2, v0
	v_mov_b32_e32 v5, s51
	v_add_co_u32_e32 v6, vcc, s50, v1
	v_addc_co_u32_e32 v7, vcc, 0, v5, vcc
	flat_load_dword v5, v[6:7] offset:512
.LBB1987_11:
	;; [unrolled: 13-line block ×15, first 2 shown]
	s_or_b64 exec, exec, s[4:5]
	v_or_b32_e32 v58, 0x400, v0
	v_cmp_gt_u32_e64 s[40:41], s65, v58
	v_mov_b32_e32 v19, v2
	s_and_saveexec_b64 s[4:5], s[40:41]
	s_cbranch_execz .LBB1987_39
; %bb.38:
	v_lshlrev_b32_e32 v19, 2, v58
	v_mov_b32_e32 v21, s51
	v_add_co_u32_e32 v20, vcc, s50, v19
	v_addc_co_u32_e32 v21, vcc, 0, v21, vcc
	flat_load_dword v19, v[20:21]
.LBB1987_39:
	s_or_b64 exec, exec, s[4:5]
	v_or_b32_e32 v59, 0x440, v0
	v_cmp_gt_u32_e64 s[42:43], s65, v59
	v_mov_b32_e32 v20, v2
	s_and_saveexec_b64 s[4:5], s[42:43]
	s_cbranch_execz .LBB1987_41
; %bb.40:
	v_lshlrev_b32_e32 v20, 2, v59
	v_mov_b32_e32 v21, s51
	v_add_co_u32_e32 v20, vcc, s50, v20
	v_addc_co_u32_e32 v21, vcc, 0, v21, vcc
	flat_load_dword v20, v[20:21]
.LBB1987_41:
	;; [unrolled: 13-line block ×4, first 2 shown]
	s_or_b64 exec, exec, s[4:5]
	v_or_b32_e32 v65, 0x500, v0
	v_cmp_gt_u32_e64 s[48:49], s65, v65
	s_and_saveexec_b64 s[4:5], s[48:49]
	s_cbranch_execz .LBB1987_47
; %bb.46:
	v_lshlrev_b32_e32 v2, 2, v65
	v_mov_b32_e32 v23, s51
	v_add_co_u32_e32 v24, vcc, s50, v2
	v_addc_co_u32_e32 v25, vcc, 0, v23, vcc
	flat_load_dword v2, v[24:25]
.LBB1987_47:
	s_or_b64 exec, exec, s[4:5]
	v_lshlrev_b32_e32 v23, 2, v0
	s_movk_i32 s4, 0x50
	s_waitcnt vmcnt(0) lgkmcnt(0)
	ds_write2st64_b32 v23, v3, v4 offset1:1
	ds_write2st64_b32 v23, v5, v6 offset0:2 offset1:3
	ds_write2st64_b32 v23, v7, v8 offset0:4 offset1:5
	;; [unrolled: 1-line block ×9, first 2 shown]
	ds_write_b32 v23, v2 offset:5120
	v_mad_u32_u24 v2, v0, s4, v23
	s_waitcnt lgkmcnt(0)
	; wave barrier
	s_waitcnt lgkmcnt(0)
	ds_read2_b32 v[20:21], v2 offset0:7 offset1:8
	ds_read2_b32 v[24:25], v2 offset0:5 offset1:6
	;; [unrolled: 1-line block ×3, first 2 shown]
	ds_read2_b32 v[16:17], v2 offset1:1
	ds_read2_b32 v[32:33], v2 offset0:4 offset1:9
	ds_read2_b32 v[28:29], v2 offset0:15 offset1:16
	ds_read_b32 v64, v2 offset:56
	ds_read2_b32 v[40:41], v2 offset0:12 offset1:13
	ds_read2_b32 v[44:45], v2 offset0:10 offset1:11
	;; [unrolled: 1-line block ×4, first 2 shown]
	s_cmp_eq_u64 s[56:57], 0
	s_mov_b64 s[4:5], s[50:51]
	s_cbranch_scc1 .LBB1987_51
; %bb.48:
	s_andn2_b64 vcc, exec, s[52:53]
	s_cbranch_vccnz .LBB1987_317
; %bb.49:
	s_lshl_b64 s[4:5], s[56:57], 2
	s_add_u32 s4, s70, s4
	s_addc_u32 s5, s71, s5
	s_add_u32 s4, s4, -4
	s_addc_u32 s5, s5, -1
	s_cbranch_execnz .LBB1987_51
.LBB1987_50:
	s_add_u32 s4, s50, -4
	s_addc_u32 s5, s51, -1
.LBB1987_51:
	v_pk_mov_b32 v[6:7], s[4:5], s[4:5] op_sel:[0,1]
	flat_load_dword v66, v[6:7]
	s_movk_i32 s4, 0xffb0
	v_mad_i32_i24 v67, v0, s4, v2
	s_waitcnt lgkmcnt(0)
	ds_write_b32 v67, v5 offset:5376
	s_waitcnt lgkmcnt(0)
	; wave barrier
	s_waitcnt lgkmcnt(0)
	s_and_saveexec_b64 s[4:5], s[54:55]
	s_cbranch_execz .LBB1987_53
; %bb.52:
	s_waitcnt vmcnt(0)
	ds_read_b32 v66, v67 offset:5372
.LBB1987_53:
	s_or_b64 exec, exec, s[4:5]
	v_pk_mov_b32 v[2:3], 0, 0
	v_pk_mov_b32 v[6:7], v[2:3], v[2:3] op_sel:[0,1]
	s_waitcnt lgkmcnt(0)
	; wave barrier
	s_waitcnt lgkmcnt(0)
	s_and_saveexec_b64 s[4:5], s[6:7]
	s_cbranch_execz .LBB1987_55
; %bb.54:
	v_lshlrev_b32_e32 v6, 3, v0
	v_mov_b32_e32 v7, s63
	v_add_co_u32_e32 v6, vcc, s62, v6
	v_addc_co_u32_e32 v7, vcc, 0, v7, vcc
	flat_load_dwordx2 v[6:7], v[6:7]
.LBB1987_55:
	s_or_b64 exec, exec, s[4:5]
	s_and_saveexec_b64 s[4:5], s[8:9]
	s_cbranch_execz .LBB1987_57
; %bb.56:
	v_lshlrev_b32_e32 v2, 3, v0
	v_mov_b32_e32 v3, s63
	v_add_co_u32_e32 v2, vcc, s62, v2
	v_addc_co_u32_e32 v3, vcc, 0, v3, vcc
	flat_load_dwordx2 v[2:3], v[2:3] offset:512
.LBB1987_57:
	s_or_b64 exec, exec, s[4:5]
	v_pk_mov_b32 v[8:9], 0, 0
	v_pk_mov_b32 v[10:11], v[8:9], v[8:9] op_sel:[0,1]
	s_and_saveexec_b64 s[4:5], s[10:11]
	s_cbranch_execz .LBB1987_59
; %bb.58:
	v_lshlrev_b32_e32 v10, 3, v0
	v_mov_b32_e32 v11, s63
	v_add_co_u32_e32 v10, vcc, s62, v10
	v_addc_co_u32_e32 v11, vcc, 0, v11, vcc
	flat_load_dwordx2 v[10:11], v[10:11] offset:1024
.LBB1987_59:
	s_or_b64 exec, exec, s[4:5]
	s_and_saveexec_b64 s[4:5], s[12:13]
	s_cbranch_execz .LBB1987_61
; %bb.60:
	v_lshlrev_b32_e32 v8, 3, v0
	v_mov_b32_e32 v9, s63
	v_add_co_u32_e32 v8, vcc, s62, v8
	v_addc_co_u32_e32 v9, vcc, 0, v9, vcc
	flat_load_dwordx2 v[8:9], v[8:9] offset:1536
.LBB1987_61:
	s_or_b64 exec, exec, s[4:5]
	v_pk_mov_b32 v[14:15], 0, 0
	v_pk_mov_b32 v[18:19], v[14:15], v[14:15] op_sel:[0,1]
	s_and_saveexec_b64 s[4:5], s[14:15]
	s_cbranch_execz .LBB1987_63
; %bb.62:
	v_lshlrev_b32_e32 v18, 3, v0
	v_mov_b32_e32 v19, s63
	v_add_co_u32_e32 v18, vcc, s62, v18
	v_addc_co_u32_e32 v19, vcc, 0, v19, vcc
	flat_load_dwordx2 v[18:19], v[18:19] offset:2048
.LBB1987_63:
	;; [unrolled: 22-line block ×3, first 2 shown]
	s_or_b64 exec, exec, s[4:5]
	s_and_saveexec_b64 s[4:5], s[20:21]
	s_cbranch_execz .LBB1987_69
; %bb.68:
	v_lshlrev_b32_e32 v22, 3, v0
	v_mov_b32_e32 v23, s63
	v_add_co_u32_e32 v22, vcc, s62, v22
	v_addc_co_u32_e32 v23, vcc, 0, v23, vcc
	flat_load_dwordx2 v[22:23], v[22:23] offset:3584
.LBB1987_69:
	s_or_b64 exec, exec, s[4:5]
	v_pk_mov_b32 v[30:31], 0, 0
	v_pk_mov_b32 v[34:35], v[30:31], v[30:31] op_sel:[0,1]
	s_and_saveexec_b64 s[4:5], s[22:23]
	s_cbranch_execz .LBB1987_71
; %bb.70:
	v_lshlrev_b32_e32 v1, 3, v1
	v_mov_b32_e32 v35, s63
	v_add_co_u32_e32 v34, vcc, s62, v1
	v_addc_co_u32_e32 v35, vcc, 0, v35, vcc
	flat_load_dwordx2 v[34:35], v[34:35]
.LBB1987_71:
	s_or_b64 exec, exec, s[4:5]
	s_and_saveexec_b64 s[4:5], s[24:25]
	s_cbranch_execz .LBB1987_73
; %bb.72:
	v_lshlrev_b32_e32 v1, 3, v38
	v_mov_b32_e32 v31, s63
	v_add_co_u32_e32 v30, vcc, s62, v1
	v_addc_co_u32_e32 v31, vcc, 0, v31, vcc
	flat_load_dwordx2 v[30:31], v[30:31]
.LBB1987_73:
	s_or_b64 exec, exec, s[4:5]
	v_pk_mov_b32 v[38:39], 0, 0
	v_pk_mov_b32 v[42:43], v[38:39], v[38:39] op_sel:[0,1]
	s_and_saveexec_b64 s[4:5], s[26:27]
	s_cbranch_execz .LBB1987_75
; %bb.74:
	v_lshlrev_b32_e32 v1, 3, v46
	v_mov_b32_e32 v43, s63
	v_add_co_u32_e32 v42, vcc, s62, v1
	v_addc_co_u32_e32 v43, vcc, 0, v43, vcc
	flat_load_dwordx2 v[42:43], v[42:43]
.LBB1987_75:
	s_or_b64 exec, exec, s[4:5]
	s_and_saveexec_b64 s[4:5], s[28:29]
	s_cbranch_execz .LBB1987_77
; %bb.76:
	v_lshlrev_b32_e32 v1, 3, v47
	v_mov_b32_e32 v39, s63
	v_add_co_u32_e32 v38, vcc, s62, v1
	v_addc_co_u32_e32 v39, vcc, 0, v39, vcc
	flat_load_dwordx2 v[38:39], v[38:39]
.LBB1987_77:
	;; [unrolled: 22-line block ×5, first 2 shown]
	s_or_b64 exec, exec, s[4:5]
	v_pk_mov_b32 v[58:59], 0, 0
	v_pk_mov_b32 v[60:61], v[58:59], v[58:59] op_sel:[0,1]
	s_and_saveexec_b64 s[4:5], s[44:45]
	s_cbranch_execnz .LBB1987_315
; %bb.90:
	s_or_b64 exec, exec, s[4:5]
	s_and_saveexec_b64 s[4:5], s[46:47]
	s_cbranch_execnz .LBB1987_316
.LBB1987_91:
	s_or_b64 exec, exec, s[4:5]
	v_pk_mov_b32 v[62:63], 0, 0
	s_and_saveexec_b64 s[4:5], s[48:49]
	s_cbranch_execz .LBB1987_93
.LBB1987_92:
	v_lshlrev_b32_e32 v1, 3, v65
	v_mov_b32_e32 v63, s63
	v_add_co_u32_e32 v62, vcc, s62, v1
	v_addc_co_u32_e32 v63, vcc, 0, v63, vcc
	flat_load_dwordx2 v[62:63], v[62:63]
.LBB1987_93:
	s_or_b64 exec, exec, s[4:5]
	v_mul_u32_u24_e32 v65, 21, v0
	v_lshl_add_u32 v68, v0, 2, v67
	s_waitcnt vmcnt(0) lgkmcnt(0)
	ds_write2st64_b64 v68, v[6:7], v[2:3] offset1:1
	ds_write2st64_b64 v68, v[10:11], v[8:9] offset0:2 offset1:3
	ds_write2st64_b64 v68, v[18:19], v[14:15] offset0:4 offset1:5
	;; [unrolled: 1-line block ×9, first 2 shown]
	ds_write_b64 v68, v[62:63] offset:10240
	v_cmp_gt_u32_e32 vcc, s65, v65
	s_mov_b64 s[12:13], 0
	s_mov_b32 s64, 0
	v_mov_b32_e32 v123, 0
	v_mov_b32_e32 v105, 0
	s_mov_b64 s[6:7], 0
	v_mov_b32_e32 v116, 0
	v_mov_b32_e32 v111, 0
	;; [unrolled: 1-line block ×46, first 2 shown]
	s_waitcnt lgkmcnt(0)
	; wave barrier
	s_waitcnt lgkmcnt(0)
                                        ; implicit-def: $sgpr4_sgpr5
                                        ; implicit-def: $vgpr1
                                        ; implicit-def: $vgpr80
                                        ; implicit-def: $vgpr81
                                        ; implicit-def: $vgpr82
                                        ; implicit-def: $vgpr51
                                        ; implicit-def: $vgpr55
                                        ; implicit-def: $vgpr59
                                        ; implicit-def: $vgpr63
                                        ; implicit-def: $vgpr67
                                        ; implicit-def: $vgpr71
                                        ; implicit-def: $vgpr75
                                        ; implicit-def: $vgpr79
	s_and_saveexec_b64 s[14:15], vcc
	s_cbranch_execz .LBB1987_133
; %bb.94:
	s_movk_i32 s4, 0xa0
	v_mad_u32_u24 v2, v0, s4, v68
	ds_read_b64 v[2:3], v2
	v_cmp_ne_u32_e32 vcc, v66, v16
	v_add_u32_e32 v1, 1, v65
	v_mov_b32_e32 v123, 0
	v_cndmask_b32_e64 v104, 0, 1, vcc
	v_cmp_gt_u32_e32 vcc, s65, v1
	v_mov_b32_e32 v105, 0
	v_mov_b32_e32 v116, 0
	;; [unrolled: 1-line block ×44, first 2 shown]
                                        ; implicit-def: $sgpr8_sgpr9
                                        ; implicit-def: $vgpr1
                                        ; implicit-def: $vgpr80
                                        ; implicit-def: $vgpr81
                                        ; implicit-def: $vgpr82
                                        ; implicit-def: $vgpr51
                                        ; implicit-def: $vgpr55
                                        ; implicit-def: $vgpr59
                                        ; implicit-def: $vgpr63
                                        ; implicit-def: $vgpr67
                                        ; implicit-def: $vgpr71
                                        ; implicit-def: $vgpr75
                                        ; implicit-def: $vgpr79
	s_and_saveexec_b64 s[16:17], vcc
	s_cbranch_execz .LBB1987_132
; %bb.95:
	v_mul_u32_u24_e32 v1, 0xa0, v0
	v_add_u32_e32 v50, v68, v1
	ds_read2_b64 v[6:9], v50 offset0:1 offset1:2
	v_cmp_ne_u32_e64 s[4:5], v16, v17
	v_add_u32_e32 v1, 2, v65
	v_cmp_ne_u32_e32 vcc, v12, v13
	v_cmp_ne_u32_e64 s[6:7], v13, v32
	v_cmp_ne_u32_e64 s[8:9], v17, v12
	v_cndmask_b32_e64 v123, 0, 1, s[4:5]
	v_cmp_gt_u32_e64 s[10:11], s65, v1
	s_mov_b64 s[4:5], 0
	v_mov_b32_e32 v116, 0
	v_mov_b32_e32 v105, 0
	;; [unrolled: 1-line block ×42, first 2 shown]
                                        ; implicit-def: $sgpr20_sgpr21
                                        ; implicit-def: $vgpr1
                                        ; implicit-def: $vgpr80
                                        ; implicit-def: $vgpr81
                                        ; implicit-def: $vgpr82
                                        ; implicit-def: $vgpr51
                                        ; implicit-def: $vgpr55
                                        ; implicit-def: $vgpr59
                                        ; implicit-def: $vgpr63
                                        ; implicit-def: $vgpr67
                                        ; implicit-def: $vgpr71
                                        ; implicit-def: $vgpr75
                                        ; implicit-def: $vgpr79
	s_and_saveexec_b64 s[18:19], s[10:11]
	s_cbranch_execz .LBB1987_131
; %bb.96:
	v_cndmask_b32_e64 v1, 0, 1, s[8:9]
	v_cndmask_b32_e64 v10, 0, 1, s[6:7]
	v_lshlrev_b16_e32 v1, 8, v1
	v_lshlrev_b16_e32 v10, 8, v10
	v_cndmask_b32_e64 v11, 0, 1, vcc
	v_or_b32_e32 v1, v123, v1
	v_or_b32_sdwa v10, v11, v10 dst_sel:WORD_1 dst_unused:UNUSED_PAD src0_sel:DWORD src1_sel:DWORD
	v_or_b32_sdwa v1, v1, v10 dst_sel:DWORD dst_unused:UNUSED_PAD src0_sel:WORD_0 src1_sel:DWORD
	v_add_u32_e32 v10, 3, v65
	v_mov_b32_e32 v116, 0
	v_and_b32_e32 v123, 0xffff, v1
	v_cmp_gt_u32_e32 vcc, s65, v10
	v_mov_b32_e32 v105, 0
	v_mov_b32_e32 v111, 0
	;; [unrolled: 1-line block ×39, first 2 shown]
                                        ; implicit-def: $sgpr6_sgpr7
                                        ; implicit-def: $vgpr80
                                        ; implicit-def: $vgpr81
                                        ; implicit-def: $vgpr82
                                        ; implicit-def: $vgpr51
                                        ; implicit-def: $vgpr55
                                        ; implicit-def: $vgpr59
                                        ; implicit-def: $vgpr63
                                        ; implicit-def: $vgpr67
                                        ; implicit-def: $vgpr71
                                        ; implicit-def: $vgpr75
                                        ; implicit-def: $vgpr79
	s_and_saveexec_b64 s[10:11], vcc
	s_cbranch_execz .LBB1987_130
; %bb.97:
	ds_read2_b64 v[10:13], v50 offset0:3 offset1:4
	v_add_u32_e32 v14, 4, v65
	v_cmp_gt_u32_e32 vcc, s65, v14
	v_and_b32_e32 v123, 0xffffff, v1
	v_mov_b32_e32 v116, 0
	v_mov_b32_e32 v105, 0
	;; [unrolled: 1-line block ×38, first 2 shown]
                                        ; implicit-def: $sgpr6_sgpr7
                                        ; implicit-def: $vgpr80
                                        ; implicit-def: $vgpr81
                                        ; implicit-def: $vgpr82
                                        ; implicit-def: $vgpr51
                                        ; implicit-def: $vgpr55
                                        ; implicit-def: $vgpr59
                                        ; implicit-def: $vgpr63
                                        ; implicit-def: $vgpr67
                                        ; implicit-def: $vgpr71
                                        ; implicit-def: $vgpr75
                                        ; implicit-def: $vgpr79
	s_and_saveexec_b64 s[20:21], vcc
	s_cbranch_execz .LBB1987_129
; %bb.98:
	v_add_u32_e32 v14, 5, v65
	v_mov_b32_e32 v116, 0
	v_cmp_gt_u32_e32 vcc, s65, v14
	v_mov_b32_e32 v105, 0
	v_mov_b32_e32 v111, 0
	;; [unrolled: 1-line block ×35, first 2 shown]
                                        ; implicit-def: $sgpr6_sgpr7
                                        ; implicit-def: $vgpr80
                                        ; implicit-def: $vgpr81
                                        ; implicit-def: $vgpr82
                                        ; implicit-def: $vgpr51
                                        ; implicit-def: $vgpr55
                                        ; implicit-def: $vgpr59
                                        ; implicit-def: $vgpr63
                                        ; implicit-def: $vgpr67
                                        ; implicit-def: $vgpr71
                                        ; implicit-def: $vgpr75
                                        ; implicit-def: $vgpr79
	s_and_saveexec_b64 s[22:23], vcc
	s_cbranch_execz .LBB1987_128
; %bb.99:
	ds_read2_b64 v[14:17], v50 offset0:5 offset1:6
	v_cmp_ne_u32_e32 vcc, v32, v24
	v_add_u32_e32 v18, 6, v65
	v_cndmask_b32_e64 v106, 0, 1, vcc
	v_cmp_gt_u32_e32 vcc, s65, v18
	v_mov_b32_e32 v116, 0
	v_mov_b32_e32 v105, 0
	;; [unrolled: 1-line block ×33, first 2 shown]
                                        ; implicit-def: $sgpr6_sgpr7
                                        ; implicit-def: $vgpr80
                                        ; implicit-def: $vgpr81
                                        ; implicit-def: $vgpr82
                                        ; implicit-def: $vgpr51
                                        ; implicit-def: $vgpr55
                                        ; implicit-def: $vgpr59
                                        ; implicit-def: $vgpr63
                                        ; implicit-def: $vgpr67
                                        ; implicit-def: $vgpr71
                                        ; implicit-def: $vgpr75
                                        ; implicit-def: $vgpr79
	s_and_saveexec_b64 s[24:25], vcc
	s_cbranch_execz .LBB1987_127
; %bb.100:
	v_cmp_ne_u32_e64 s[4:5], v24, v25
	v_add_u32_e32 v18, 7, v65
	v_mov_b32_e32 v111, 0
	v_cmp_ne_u32_e32 vcc, v20, v21
	v_cmp_ne_u32_e64 s[6:7], v21, v33
	v_cmp_ne_u32_e64 s[8:9], v25, v20
	v_cndmask_b32_e64 v116, 0, 1, s[4:5]
	v_cmp_gt_u32_e64 s[4:5], s65, v18
	s_mov_b64 s[28:29], 0
	v_mov_b32_e32 v105, 0
	v_mov_b32_e32 v108, 0
	;; [unrolled: 1-line block ×29, first 2 shown]
                                        ; implicit-def: $sgpr30_sgpr31
                                        ; implicit-def: $vgpr80
                                        ; implicit-def: $vgpr81
                                        ; implicit-def: $vgpr82
                                        ; implicit-def: $vgpr51
                                        ; implicit-def: $vgpr55
                                        ; implicit-def: $vgpr59
                                        ; implicit-def: $vgpr63
                                        ; implicit-def: $vgpr67
                                        ; implicit-def: $vgpr71
                                        ; implicit-def: $vgpr75
                                        ; implicit-def: $vgpr79
	s_and_saveexec_b64 s[26:27], s[4:5]
	s_cbranch_execz .LBB1987_126
; %bb.101:
	v_cndmask_b32_e64 v18, 0, 1, s[8:9]
	v_cndmask_b32_e64 v19, 0, 1, s[6:7]
	v_lshlrev_b16_e32 v18, 8, v18
	v_lshlrev_b16_e32 v19, 8, v19
	v_cndmask_b32_e64 v20, 0, 1, vcc
	v_or_b32_e32 v18, v116, v18
	v_or_b32_sdwa v19, v20, v19 dst_sel:WORD_1 dst_unused:UNUSED_PAD src0_sel:DWORD src1_sel:DWORD
	v_or_b32_sdwa v80, v18, v19 dst_sel:DWORD dst_unused:UNUSED_PAD src0_sel:WORD_0 src1_sel:DWORD
	ds_read2_b64 v[18:21], v50 offset0:7 offset1:8
	v_add_u32_e32 v22, 8, v65
	v_and_b32_e32 v116, 0xffff, v80
	v_cmp_gt_u32_e32 vcc, s65, v22
	s_mov_b64 s[4:5], 0
	v_mov_b32_e32 v111, 0
	v_mov_b32_e32 v105, 0
	;; [unrolled: 1-line block ×28, first 2 shown]
                                        ; implicit-def: $sgpr6_sgpr7
                                        ; implicit-def: $vgpr81
                                        ; implicit-def: $vgpr82
                                        ; implicit-def: $vgpr51
                                        ; implicit-def: $vgpr55
                                        ; implicit-def: $vgpr59
                                        ; implicit-def: $vgpr63
                                        ; implicit-def: $vgpr67
                                        ; implicit-def: $vgpr71
                                        ; implicit-def: $vgpr75
                                        ; implicit-def: $vgpr79
	s_and_saveexec_b64 s[28:29], vcc
	s_cbranch_execz .LBB1987_125
; %bb.102:
	v_add_u32_e32 v22, 9, v65
	v_mov_b32_e32 v111, 0
	v_cmp_gt_u32_e32 vcc, s65, v22
	v_and_b32_e32 v116, 0xffffff, v80
	v_mov_b32_e32 v105, 0
	v_mov_b32_e32 v108, 0
	v_mov_b32_e32 v27, 0
	v_mov_b32_e32 v26, 0
	v_mov_b32_e32 v35, 0
	v_mov_b32_e32 v34, 0
	v_mov_b32_e32 v47, 0
	v_mov_b32_e32 v46, 0
	v_mov_b32_e32 v109, 0
	v_mov_b32_e32 v110, 0
	v_mov_b32_e32 v43, 0
	v_mov_b32_e32 v42, 0
	v_mov_b32_e32 v112, 0
	v_mov_b32_e32 v113, 0
	v_mov_b32_e32 v39, 0
	v_mov_b32_e32 v38, 0
	v_mov_b32_e32 v114, 0
	v_mov_b32_e32 v115, 0
	v_mov_b32_e32 v31, 0
	v_mov_b32_e32 v30, 0
	v_mov_b32_e32 v107, 0
	v_mov_b32_e32 v117, 0
	v_mov_b32_e32 v118, 0
	v_mov_b32_e32 v23, 0
	v_mov_b32_e32 v22, v111
                                        ; implicit-def: $sgpr6_sgpr7
                                        ; implicit-def: $vgpr81
                                        ; implicit-def: $vgpr82
                                        ; implicit-def: $vgpr51
                                        ; implicit-def: $vgpr55
                                        ; implicit-def: $vgpr59
                                        ; implicit-def: $vgpr63
                                        ; implicit-def: $vgpr67
                                        ; implicit-def: $vgpr71
                                        ; implicit-def: $vgpr75
                                        ; implicit-def: $vgpr79
	s_and_saveexec_b64 s[30:31], vcc
	s_cbranch_execz .LBB1987_124
; %bb.103:
	ds_read2_b64 v[22:25], v50 offset0:9 offset1:10
	v_add_u32_e32 v26, 10, v65
	v_cmp_gt_u32_e32 vcc, s65, v26
	v_mov_b32_e32 v111, 0
	v_mov_b32_e32 v105, 0
	;; [unrolled: 1-line block ×24, first 2 shown]
                                        ; implicit-def: $sgpr6_sgpr7
                                        ; implicit-def: $vgpr81
                                        ; implicit-def: $vgpr82
                                        ; implicit-def: $vgpr51
                                        ; implicit-def: $vgpr55
                                        ; implicit-def: $vgpr59
                                        ; implicit-def: $vgpr63
                                        ; implicit-def: $vgpr67
                                        ; implicit-def: $vgpr71
                                        ; implicit-def: $vgpr75
                                        ; implicit-def: $vgpr79
	s_and_saveexec_b64 s[34:35], vcc
	s_cbranch_execz .LBB1987_123
; %bb.104:
	v_cmp_ne_u32_e32 vcc, v33, v44
	v_add_u32_e32 v26, 11, v65
	v_mov_b32_e32 v111, 0
	v_cndmask_b32_e64 v107, 0, 1, vcc
	v_cmp_gt_u32_e32 vcc, s65, v26
	v_mov_b32_e32 v105, 0
	v_mov_b32_e32 v108, 0
	;; [unrolled: 1-line block ×20, first 2 shown]
                                        ; implicit-def: $sgpr6_sgpr7
                                        ; implicit-def: $vgpr81
                                        ; implicit-def: $vgpr82
                                        ; implicit-def: $vgpr51
                                        ; implicit-def: $vgpr55
                                        ; implicit-def: $vgpr59
                                        ; implicit-def: $vgpr63
                                        ; implicit-def: $vgpr67
                                        ; implicit-def: $vgpr71
                                        ; implicit-def: $vgpr75
                                        ; implicit-def: $vgpr79
	s_and_saveexec_b64 s[36:37], vcc
	s_cbranch_execz .LBB1987_122
; %bb.105:
	ds_read2_b64 v[30:33], v50 offset0:11 offset1:12
	v_cmp_ne_u32_e64 s[4:5], v44, v45
	v_add_u32_e32 v26, 12, v65
	v_cmp_ne_u32_e32 vcc, v40, v41
	v_cmp_ne_u32_e64 s[6:7], v41, v64
	v_cmp_ne_u32_e64 s[8:9], v45, v40
	v_cndmask_b32_e64 v111, 0, 1, s[4:5]
	v_cmp_gt_u32_e64 s[4:5], s65, v26
	s_mov_b64 s[40:41], 0
	v_mov_b32_e32 v108, 0
	v_mov_b32_e32 v105, 0
	;; [unrolled: 1-line block ×18, first 2 shown]
                                        ; implicit-def: $sgpr42_sgpr43
                                        ; implicit-def: $vgpr81
                                        ; implicit-def: $vgpr82
                                        ; implicit-def: $vgpr51
                                        ; implicit-def: $vgpr55
                                        ; implicit-def: $vgpr59
                                        ; implicit-def: $vgpr63
                                        ; implicit-def: $vgpr67
                                        ; implicit-def: $vgpr71
                                        ; implicit-def: $vgpr75
                                        ; implicit-def: $vgpr79
	s_and_saveexec_b64 s[38:39], s[4:5]
	s_cbranch_execz .LBB1987_121
; %bb.106:
	v_cndmask_b32_e64 v26, 0, 1, s[8:9]
	v_cndmask_b32_e64 v27, 0, 1, s[6:7]
	v_lshlrev_b16_e32 v26, 8, v26
	v_lshlrev_b16_e32 v27, 8, v27
	v_cndmask_b32_e64 v34, 0, 1, vcc
	v_or_b32_e32 v26, v111, v26
	v_or_b32_sdwa v27, v34, v27 dst_sel:WORD_1 dst_unused:UNUSED_PAD src0_sel:DWORD src1_sel:DWORD
	v_or_b32_sdwa v81, v26, v27 dst_sel:DWORD dst_unused:UNUSED_PAD src0_sel:WORD_0 src1_sel:DWORD
	v_add_u32_e32 v26, 13, v65
	v_mov_b32_e32 v108, 0
	v_and_b32_e32 v111, 0xffff, v81
	v_cmp_gt_u32_e32 vcc, s65, v26
	s_mov_b64 s[4:5], 0
	v_mov_b32_e32 v105, 0
	v_mov_b32_e32 v27, 0
	;; [unrolled: 1-line block ×15, first 2 shown]
                                        ; implicit-def: $sgpr6_sgpr7
                                        ; implicit-def: $vgpr82
                                        ; implicit-def: $vgpr51
                                        ; implicit-def: $vgpr55
                                        ; implicit-def: $vgpr59
                                        ; implicit-def: $vgpr63
                                        ; implicit-def: $vgpr67
                                        ; implicit-def: $vgpr71
                                        ; implicit-def: $vgpr75
                                        ; implicit-def: $vgpr79
	s_and_saveexec_b64 s[40:41], vcc
	s_cbranch_execz .LBB1987_120
; %bb.107:
	ds_read2_b64 v[38:41], v50 offset0:13 offset1:14
	v_add_u32_e32 v26, 14, v65
	v_cmp_gt_u32_e32 vcc, s65, v26
	v_and_b32_e32 v111, 0xffffff, v81
	v_mov_b32_e32 v108, 0
	v_mov_b32_e32 v105, 0
	;; [unrolled: 1-line block ×14, first 2 shown]
                                        ; implicit-def: $sgpr6_sgpr7
                                        ; implicit-def: $vgpr82
                                        ; implicit-def: $vgpr51
                                        ; implicit-def: $vgpr55
                                        ; implicit-def: $vgpr59
                                        ; implicit-def: $vgpr63
                                        ; implicit-def: $vgpr67
                                        ; implicit-def: $vgpr71
                                        ; implicit-def: $vgpr75
                                        ; implicit-def: $vgpr79
	s_and_saveexec_b64 s[42:43], vcc
	s_cbranch_execz .LBB1987_119
; %bb.108:
	v_add_u32_e32 v26, 15, v65
	v_mov_b32_e32 v108, 0
	v_cmp_gt_u32_e32 vcc, s65, v26
	v_mov_b32_e32 v105, 0
	v_mov_b32_e32 v27, 0
	;; [unrolled: 1-line block ×11, first 2 shown]
                                        ; implicit-def: $sgpr6_sgpr7
                                        ; implicit-def: $vgpr82
                                        ; implicit-def: $vgpr51
                                        ; implicit-def: $vgpr55
                                        ; implicit-def: $vgpr59
                                        ; implicit-def: $vgpr63
                                        ; implicit-def: $vgpr67
                                        ; implicit-def: $vgpr71
                                        ; implicit-def: $vgpr75
                                        ; implicit-def: $vgpr79
	s_and_saveexec_b64 s[44:45], vcc
	s_cbranch_execz .LBB1987_118
; %bb.109:
	ds_read2_b64 v[42:45], v50 offset0:15 offset1:16
	v_cmp_ne_u32_e32 vcc, v64, v28
	v_add_u32_e32 v26, 16, v65
	v_cndmask_b32_e64 v105, 0, 1, vcc
	v_cmp_gt_u32_e32 vcc, s65, v26
	v_mov_b32_e32 v108, 0
	v_mov_b32_e32 v27, 0
	;; [unrolled: 1-line block ×9, first 2 shown]
                                        ; implicit-def: $sgpr6_sgpr7
                                        ; implicit-def: $vgpr82
                                        ; implicit-def: $vgpr51
                                        ; implicit-def: $vgpr55
                                        ; implicit-def: $vgpr59
                                        ; implicit-def: $vgpr63
                                        ; implicit-def: $vgpr67
                                        ; implicit-def: $vgpr71
                                        ; implicit-def: $vgpr75
                                        ; implicit-def: $vgpr79
	s_and_saveexec_b64 s[46:47], vcc
	s_cbranch_execz .LBB1987_117
; %bb.110:
	v_cmp_ne_u32_e64 s[4:5], v28, v29
	v_add_u32_e32 v26, 17, v65
	v_mov_b32_e32 v27, 0
	v_cmp_ne_u32_e32 vcc, v36, v37
	v_cmp_ne_u32_e64 s[6:7], v37, v4
	v_cmp_ne_u32_e64 s[8:9], v29, v36
	v_cndmask_b32_e64 v108, 0, 1, s[4:5]
	v_cmp_gt_u32_e64 s[4:5], s65, v26
	s_mov_b64 s[58:59], 0
	v_mov_b32_e32 v26, 0
	v_mov_b32_e32 v35, 0
	;; [unrolled: 1-line block ×5, first 2 shown]
                                        ; implicit-def: $sgpr60_sgpr61
                                        ; implicit-def: $vgpr82
                                        ; implicit-def: $vgpr51
                                        ; implicit-def: $vgpr55
                                        ; implicit-def: $vgpr59
                                        ; implicit-def: $vgpr63
                                        ; implicit-def: $vgpr67
                                        ; implicit-def: $vgpr71
                                        ; implicit-def: $vgpr75
                                        ; implicit-def: $vgpr79
	s_and_saveexec_b64 s[48:49], s[4:5]
	s_cbranch_execz .LBB1987_116
; %bb.111:
	v_cndmask_b32_e64 v26, 0, 1, s[8:9]
	v_cndmask_b32_e64 v27, 0, 1, s[6:7]
	ds_read2_b64 v[46:49], v50 offset0:17 offset1:18
	v_lshlrev_b16_e32 v26, 8, v26
	v_lshlrev_b16_e32 v27, 8, v27
	v_cndmask_b32_e64 v28, 0, 1, vcc
	v_or_b32_e32 v26, v108, v26
	v_or_b32_sdwa v27, v28, v27 dst_sel:WORD_1 dst_unused:UNUSED_PAD src0_sel:DWORD src1_sel:DWORD
	v_or_b32_sdwa v82, v26, v27 dst_sel:DWORD dst_unused:UNUSED_PAD src0_sel:WORD_0 src1_sel:DWORD
	v_add_u32_e32 v26, 18, v65
	v_and_b32_e32 v108, 0xffff, v82
	v_cmp_gt_u32_e32 vcc, s65, v26
	s_mov_b64 s[4:5], 0
	v_mov_b32_e32 v27, 0
	v_mov_b32_e32 v26, 0
	;; [unrolled: 1-line block ×4, first 2 shown]
                                        ; implicit-def: $sgpr8_sgpr9
	s_and_saveexec_b64 s[6:7], vcc
	s_cbranch_execz .LBB1987_115
; %bb.112:
	v_add_u32_e32 v26, 19, v65
	s_waitcnt lgkmcnt(0)
	v_mov_b32_e32 v34, v48
	v_mov_b32_e32 v35, v49
	v_cmp_gt_u32_e32 vcc, s65, v26
	v_and_b32_e32 v108, 0xffffff, v82
	v_mov_b32_e32 v27, 0
	v_mov_b32_e32 v26, 0
                                        ; implicit-def: $sgpr8_sgpr9
	s_and_saveexec_b64 s[58:59], vcc
	s_xor_b64 s[58:59], exec, s[58:59]
	s_cbranch_execz .LBB1987_114
; %bb.113:
	ds_read2_b64 v[26:29], v50 offset0:19 offset1:20
	v_cmp_ne_u32_e32 vcc, v4, v5
	v_add_u32_e32 v4, 20, v65
	v_cmp_gt_u32_e64 s[4:5], s65, v4
	s_and_b64 s[8:9], vcc, exec
	s_and_b64 s[4:5], s[4:5], exec
	s_waitcnt lgkmcnt(0)
	v_mov_b32_e32 v37, v27
	v_mov_b32_e32 v36, v26
	;; [unrolled: 1-line block ×3, first 2 shown]
.LBB1987_114:
	s_or_b64 exec, exec, s[58:59]
	s_and_b64 s[8:9], s[8:9], exec
	s_and_b64 s[4:5], s[4:5], exec
.LBB1987_115:
	s_or_b64 exec, exec, s[6:7]
	s_and_b64 s[60:61], s[8:9], exec
	s_and_b64 s[58:59], s[4:5], exec
	s_waitcnt lgkmcnt(0)
	v_mov_b32_e32 v51, v47
	v_mov_b32_e32 v50, v46
	;; [unrolled: 1-line block ×34, first 2 shown]
.LBB1987_116:
	s_or_b64 exec, exec, s[48:49]
	s_and_b64 s[6:7], s[60:61], exec
	s_and_b64 s[4:5], s[58:59], exec
	s_waitcnt lgkmcnt(0)
	v_mov_b32_e32 v109, v45
	v_mov_b32_e32 v110, v44
.LBB1987_117:
	s_or_b64 exec, exec, s[46:47]
	s_and_b64 s[6:7], s[6:7], exec
	s_and_b64 s[4:5], s[4:5], exec
.LBB1987_118:
	s_or_b64 exec, exec, s[44:45]
	s_and_b64 s[6:7], s[6:7], exec
	s_and_b64 s[4:5], s[4:5], exec
	v_mov_b32_e32 v111, v81
	s_waitcnt lgkmcnt(0)
	v_mov_b32_e32 v112, v41
	v_mov_b32_e32 v113, v40
.LBB1987_119:
	s_or_b64 exec, exec, s[42:43]
	s_and_b64 s[6:7], s[6:7], exec
	s_and_b64 s[4:5], s[4:5], exec
.LBB1987_120:
	s_or_b64 exec, exec, s[40:41]
	s_and_b64 s[42:43], s[6:7], exec
	s_and_b64 s[40:41], s[4:5], exec
	s_waitcnt lgkmcnt(0)
	v_mov_b32_e32 v114, v33
	v_mov_b32_e32 v115, v32
.LBB1987_121:
	s_or_b64 exec, exec, s[38:39]
	s_and_b64 s[6:7], s[42:43], exec
	s_and_b64 s[4:5], s[40:41], exec
.LBB1987_122:
	s_or_b64 exec, exec, s[36:37]
	s_and_b64 s[6:7], s[6:7], exec
	s_and_b64 s[4:5], s[4:5], exec
	s_waitcnt lgkmcnt(0)
	v_mov_b32_e32 v117, v25
	v_mov_b32_e32 v118, v24
.LBB1987_123:
	s_or_b64 exec, exec, s[34:35]
	s_and_b64 s[6:7], s[6:7], exec
	s_and_b64 s[4:5], s[4:5], exec
	v_mov_b32_e32 v116, v80
.LBB1987_124:
	s_or_b64 exec, exec, s[30:31]
	s_and_b64 s[6:7], s[6:7], exec
	s_and_b64 s[4:5], s[4:5], exec
	s_waitcnt lgkmcnt(0)
	v_mov_b32_e32 v119, v21
	v_mov_b32_e32 v120, v20
.LBB1987_125:
	s_or_b64 exec, exec, s[28:29]
	s_and_b64 s[30:31], s[6:7], exec
	s_and_b64 s[28:29], s[4:5], exec
.LBB1987_126:
	s_or_b64 exec, exec, s[26:27]
	s_and_b64 s[6:7], s[30:31], exec
	s_and_b64 s[4:5], s[28:29], exec
	s_waitcnt lgkmcnt(0)
	v_mov_b32_e32 v121, v17
	v_mov_b32_e32 v122, v16
.LBB1987_127:
	s_or_b64 exec, exec, s[24:25]
	s_and_b64 s[6:7], s[6:7], exec
	s_and_b64 s[4:5], s[4:5], exec
.LBB1987_128:
	s_or_b64 exec, exec, s[22:23]
	s_and_b64 s[6:7], s[6:7], exec
	s_and_b64 s[4:5], s[4:5], exec
	v_mov_b32_e32 v123, v1
	s_waitcnt lgkmcnt(0)
	v_mov_b32_e32 v124, v13
	v_mov_b32_e32 v125, v12
.LBB1987_129:
	s_or_b64 exec, exec, s[20:21]
	s_and_b64 s[6:7], s[6:7], exec
	s_and_b64 s[4:5], s[4:5], exec
.LBB1987_130:
	s_or_b64 exec, exec, s[10:11]
	s_and_b64 s[20:21], s[6:7], exec
	s_and_b64 s[4:5], s[4:5], exec
	s_waitcnt lgkmcnt(0)
	v_mov_b32_e32 v126, v9
	v_mov_b32_e32 v127, v8
.LBB1987_131:
	s_or_b64 exec, exec, s[18:19]
	s_and_b64 s[8:9], s[20:21], exec
	s_and_b64 s[6:7], s[4:5], exec
.LBB1987_132:
	s_or_b64 exec, exec, s[16:17]
	s_and_b64 s[4:5], s[8:9], exec
	s_and_b64 s[6:7], s[6:7], exec
.LBB1987_133:
	s_or_b64 exec, exec, s[14:15]
	s_mov_b32 s8, 0
	s_and_b64 vcc, exec, s[12:13]
	s_cbranch_vccnz .LBB1987_135
	s_branch .LBB1987_143
.LBB1987_134:
                                        ; kill: def $vgpr2_vgpr3 killed $sgpr0_sgpr1 killed $exec
                                        ; implicit-def: $sgpr4_sgpr5
                                        ; implicit-def: $vgpr1
                                        ; implicit-def: $vgpr80
                                        ; implicit-def: $vgpr81
                                        ; implicit-def: $vgpr82
                                        ; implicit-def: $vgpr28_vgpr29
                                        ; implicit-def: $vgpr37
                                        ; implicit-def: $vgpr51
                                        ; implicit-def: $vgpr105
                                        ; implicit-def: $vgpr55
                                        ; implicit-def: $vgpr59
                                        ; implicit-def: $vgpr63
                                        ; implicit-def: $vgpr107
                                        ; implicit-def: $vgpr67
                                        ; implicit-def: $vgpr71
                                        ; implicit-def: $vgpr106
                                        ; implicit-def: $vgpr75
                                        ; implicit-def: $vgpr79
                                        ; implicit-def: $vgpr5
                                        ; implicit-def: $vgpr104
                                        ; implicit-def: $vgpr123
                                        ; implicit-def: $vgpr116
                                        ; implicit-def: $vgpr111
                                        ; implicit-def: $vgpr108
                                        ; implicit-def: $sgpr8
                                        ; implicit-def: $sgpr64
                                        ; implicit-def: $vgpr47
                                        ; implicit-def: $vgpr109
                                        ; implicit-def: $vgpr110
                                        ; implicit-def: $vgpr43
                                        ; implicit-def: $vgpr112
                                        ; implicit-def: $vgpr113
                                        ; implicit-def: $vgpr39
                                        ; implicit-def: $vgpr114
                                        ; implicit-def: $vgpr115
                                        ; implicit-def: $vgpr31
                                        ; implicit-def: $vgpr117
                                        ; implicit-def: $vgpr118
                                        ; implicit-def: $vgpr23
                                        ; implicit-def: $vgpr119
                                        ; implicit-def: $vgpr120
                                        ; implicit-def: $vgpr19
                                        ; implicit-def: $vgpr121
                                        ; implicit-def: $vgpr122
                                        ; implicit-def: $vgpr15
                                        ; implicit-def: $vgpr124
                                        ; implicit-def: $vgpr125
                                        ; implicit-def: $vgpr11
                                        ; implicit-def: $vgpr126
                                        ; implicit-def: $vgpr127
                                        ; implicit-def: $vgpr7
	s_and_b64 vcc, exec, s[12:13]
	s_cbranch_vccz .LBB1987_143
.LBB1987_135:
	v_lshlrev_b32_e32 v1, 2, v0
	s_waitcnt lgkmcnt(0)
	v_mov_b32_e32 v3, s51
	v_add_co_u32_e32 v2, vcc, s50, v1
	v_addc_co_u32_e32 v3, vcc, 0, v3, vcc
	s_movk_i32 s4, 0x1000
	flat_load_dword v4, v[2:3]
	flat_load_dword v5, v[2:3] offset:256
	flat_load_dword v6, v[2:3] offset:512
	;; [unrolled: 1-line block ×15, first 2 shown]
	v_add_co_u32_e32 v2, vcc, s4, v2
	v_addc_co_u32_e32 v3, vcc, 0, v3, vcc
	flat_load_dword v20, v[2:3]
	flat_load_dword v21, v[2:3] offset:256
	flat_load_dword v22, v[2:3] offset:512
	;; [unrolled: 1-line block ×4, first 2 shown]
	s_movk_i32 s4, 0x50
	v_mad_u32_u24 v23, v0, s4, v1
	s_cmp_eq_u64 s[56:57], 0
	s_waitcnt vmcnt(0) lgkmcnt(0)
	ds_write2st64_b32 v1, v4, v5 offset1:1
	ds_write2st64_b32 v1, v6, v7 offset0:2 offset1:3
	ds_write2st64_b32 v1, v8, v9 offset0:4 offset1:5
	;; [unrolled: 1-line block ×9, first 2 shown]
	ds_write_b32 v1, v25 offset:5120
	s_waitcnt lgkmcnt(0)
	; wave barrier
	s_waitcnt lgkmcnt(0)
	ds_read2_b32 v[10:11], v23 offset0:7 offset1:8
	ds_read2_b32 v[8:9], v23 offset0:5 offset1:6
	;; [unrolled: 1-line block ×3, first 2 shown]
	ds_read2_b32 v[6:7], v23 offset1:1
	ds_read2_b32 v[4:5], v23 offset0:4 offset1:9
	ds_read2_b32 v[16:17], v23 offset0:15 offset1:16
	ds_read_b32 v1, v23 offset:56
	ds_read2_b32 v[14:15], v23 offset0:12 offset1:13
	ds_read2_b32 v[12:13], v23 offset0:10 offset1:11
	;; [unrolled: 1-line block ×4, first 2 shown]
	s_cbranch_scc1 .LBB1987_140
; %bb.136:
	s_andn2_b64 vcc, exec, s[52:53]
	s_cbranch_vccnz .LBB1987_318
; %bb.137:
	s_lshl_b64 s[4:5], s[56:57], 2
	s_add_u32 s4, s70, s4
	s_addc_u32 s5, s71, s5
	s_add_u32 s4, s4, -4
	s_addc_u32 s5, s5, -1
	s_cbranch_execnz .LBB1987_139
.LBB1987_138:
	s_add_u32 s4, s50, -4
	s_addc_u32 s5, s51, -1
.LBB1987_139:
	s_mov_b64 s[50:51], s[4:5]
.LBB1987_140:
	v_pk_mov_b32 v[24:25], s[50:51], s[50:51] op_sel:[0,1]
	flat_load_dword v22, v[24:25]
	s_movk_i32 s4, 0xffb0
	v_mad_i32_i24 v23, v0, s4, v23
	s_waitcnt lgkmcnt(0)
	ds_write_b32 v23, v21 offset:5376
	s_waitcnt lgkmcnt(0)
	; wave barrier
	s_waitcnt lgkmcnt(0)
	s_and_saveexec_b64 s[4:5], s[54:55]
	s_cbranch_execz .LBB1987_142
; %bb.141:
	s_waitcnt vmcnt(0)
	ds_read_b32 v22, v23 offset:5372
.LBB1987_142:
	s_or_b64 exec, exec, s[4:5]
	v_lshlrev_b32_e32 v24, 3, v0
	v_mov_b32_e32 v25, s63
	v_add_co_u32_e32 v24, vcc, s62, v24
	v_addc_co_u32_e32 v25, vcc, 0, v25, vcc
	s_movk_i32 s4, 0x1000
	v_add_co_u32_e32 v42, vcc, s4, v24
	v_addc_co_u32_e32 v43, vcc, 0, v25, vcc
	s_movk_i32 s4, 0x2000
	s_waitcnt lgkmcnt(0)
	; wave barrier
	s_waitcnt lgkmcnt(0)
	flat_load_dwordx2 v[26:27], v[24:25]
	flat_load_dwordx2 v[28:29], v[24:25] offset:512
	flat_load_dwordx2 v[30:31], v[24:25] offset:1024
	;; [unrolled: 1-line block ×7, first 2 shown]
	v_add_co_u32_e32 v24, vcc, s4, v24
	v_addc_co_u32_e32 v25, vcc, 0, v25, vcc
	flat_load_dwordx2 v[44:45], v[42:43]
	flat_load_dwordx2 v[46:47], v[42:43] offset:512
	flat_load_dwordx2 v[48:49], v[42:43] offset:1024
	;; [unrolled: 1-line block ×7, first 2 shown]
	s_nop 0
	flat_load_dwordx2 v[42:43], v[24:25]
	flat_load_dwordx2 v[60:61], v[24:25] offset:512
	flat_load_dwordx2 v[62:63], v[24:25] offset:1024
	;; [unrolled: 1-line block ×4, first 2 shown]
	v_cmp_ne_u32_e32 vcc, v17, v18
	v_cmp_ne_u32_e64 s[4:5], v20, v21
	v_cndmask_b32_e64 v21, 0, 1, vcc
	v_cmp_ne_u32_e32 vcc, v16, v17
	v_cndmask_b32_e64 v17, 0, 1, vcc
	v_cmp_ne_u32_e32 vcc, v19, v20
	;; [unrolled: 2-line block ×8, first 2 shown]
	v_lshlrev_b16_e32 v16, 8, v16
	v_lshlrev_b16_e32 v1, 8, v1
	v_cndmask_b32_e64 v14, 0, 1, vcc
	v_cmp_ne_u32_e32 vcc, v5, v12
	v_or_b32_e32 v13, v13, v16
	v_or_b32_sdwa v1, v14, v1 dst_sel:WORD_1 dst_unused:UNUSED_PAD src0_sel:DWORD src1_sel:DWORD
	v_cndmask_b32_e64 v107, 0, 1, vcc
	v_cmp_ne_u32_e32 vcc, v9, v10
	v_or_b32_sdwa v81, v13, v1 dst_sel:DWORD dst_unused:UNUSED_PAD src0_sel:WORD_0 src1_sel:DWORD
	v_cndmask_b32_e64 v1, 0, 1, vcc
	v_cmp_ne_u32_e32 vcc, v8, v9
	v_cndmask_b32_e64 v9, 0, 1, vcc
	v_cmp_ne_u32_e32 vcc, v11, v5
	v_lshlrev_b16_e32 v1, 8, v1
	v_cndmask_b32_e64 v5, 0, 1, vcc
	v_cmp_ne_u32_e32 vcc, v10, v11
	v_or_b32_e32 v1, v9, v1
	v_lshlrev_b16_e32 v5, 8, v5
	v_cndmask_b32_e64 v9, 0, 1, vcc
	v_cmp_ne_u32_e32 vcc, v4, v8
	v_or_b32_sdwa v5, v9, v5 dst_sel:WORD_1 dst_unused:UNUSED_PAD src0_sel:DWORD src1_sel:DWORD
	v_cndmask_b32_e64 v106, 0, 1, vcc
	v_cmp_ne_u32_e32 vcc, v7, v2
	v_or_b32_sdwa v80, v1, v5 dst_sel:DWORD dst_unused:UNUSED_PAD src0_sel:WORD_0 src1_sel:DWORD
	v_cndmask_b32_e64 v1, 0, 1, vcc
	v_cmp_ne_u32_e32 vcc, v6, v7
	v_cndmask_b32_e64 v5, 0, 1, vcc
	v_cmp_ne_u32_e32 vcc, v3, v4
	;; [unrolled: 2-line block ×3, first 2 shown]
	v_lshlrev_b16_e32 v1, 8, v1
	v_lshlrev_b16_e32 v4, 8, v4
	v_cndmask_b32_e64 v2, 0, 1, vcc
	v_or_b32_e32 v1, v5, v1
	v_or_b32_sdwa v2, v2, v4 dst_sel:WORD_1 dst_unused:UNUSED_PAD src0_sel:DWORD src1_sel:DWORD
	v_or_b32_sdwa v1, v1, v2 dst_sel:DWORD dst_unused:UNUSED_PAD src0_sel:WORD_0 src1_sel:DWORD
	v_lshl_add_u32 v2, v0, 2, v23
	s_movk_i32 s6, 0xa0
	v_mad_u32_u24 v7, v0, s6, v2
	v_lshlrev_b16_e32 v21, 8, v21
	v_lshlrev_b16_e32 v20, 8, v20
	v_or_b32_e32 v17, v17, v21
	v_or_b32_sdwa v18, v18, v20 dst_sel:WORD_1 dst_unused:UNUSED_PAD src0_sel:DWORD src1_sel:DWORD
	s_waitcnt vmcnt(0)
	v_cmp_ne_u32_e32 vcc, v22, v6
	v_or_b32_sdwa v82, v17, v18 dst_sel:DWORD dst_unused:UNUSED_PAD src0_sel:WORD_0 src1_sel:DWORD
	v_cndmask_b32_e64 v104, 0, 1, vcc
	s_mov_b64 s[6:7], -1
                                        ; kill: def $vgpr6 killed $sgpr0 killed $exec
                                        ; implicit-def: $vgpr123
                                        ; implicit-def: $vgpr116
                                        ; implicit-def: $vgpr111
                                        ; implicit-def: $vgpr108
                                        ; implicit-def: $sgpr8
                                        ; implicit-def: $sgpr64
                                        ; implicit-def: $vgpr109
                                        ; implicit-def: $vgpr110
                                        ; implicit-def: $vgpr112
                                        ; implicit-def: $vgpr113
                                        ; implicit-def: $vgpr114
                                        ; implicit-def: $vgpr115
                                        ; implicit-def: $vgpr117
                                        ; implicit-def: $vgpr118
                                        ; implicit-def: $vgpr23
                                        ; implicit-def: $vgpr119
                                        ; implicit-def: $vgpr120
                                        ; implicit-def: $vgpr19
                                        ; implicit-def: $vgpr121
                                        ; implicit-def: $vgpr122
                                        ; implicit-def: $vgpr15
                                        ; implicit-def: $vgpr124
                                        ; implicit-def: $vgpr125
                                        ; implicit-def: $vgpr11
                                        ; implicit-def: $vgpr126
                                        ; implicit-def: $vgpr127
	s_waitcnt lgkmcnt(0)
	ds_write2st64_b64 v2, v[26:27], v[28:29] offset1:1
	ds_write2st64_b64 v2, v[30:31], v[32:33] offset0:2 offset1:3
	ds_write2st64_b64 v2, v[34:35], v[36:37] offset0:4 offset1:5
	;; [unrolled: 1-line block ×9, first 2 shown]
	ds_write_b64 v2, v[66:67] offset:10240
	s_waitcnt lgkmcnt(0)
	; wave barrier
	s_waitcnt lgkmcnt(0)
	ds_read2_b64 v[2:5], v7 offset1:1
	ds_read2_b64 v[76:79], v7 offset0:2 offset1:3
	ds_read2_b64 v[72:75], v7 offset0:4 offset1:5
	;; [unrolled: 1-line block ×9, first 2 shown]
	ds_read_b64 v[28:29], v7 offset:160
                                        ; implicit-def: $vgpr47
                                        ; implicit-def: $vgpr43
                                        ; implicit-def: $vgpr39
                                        ; implicit-def: $vgpr31
                                        ; implicit-def: $vgpr7
.LBB1987_143:
	s_mov_b64 s[90:91], s[66:67]
	v_mov_b32_e32 v25, s64
	v_mov_b32_e32 v33, s64
	;; [unrolled: 1-line block ×3, first 2 shown]
	s_and_saveexec_b64 s[8:9], s[6:7]
	s_cbranch_execz .LBB1987_145
; %bb.144:
	v_cndmask_b32_e64 v40, 0, 1, s[4:5]
	s_waitcnt lgkmcnt(0)
	v_mov_b32_e32 v6, v4
	v_mov_b32_e32 v7, v5
	;; [unrolled: 1-line block ×42, first 2 shown]
.LBB1987_145:
	s_or_b64 exec, exec, s[8:9]
	v_and_b32_e32 v41, 1, v106
	v_and_b32_e32 v128, 1, v107
	;; [unrolled: 1-line block ×4, first 2 shown]
	s_cmp_lg_u32 s33, 0
	v_lshrrev_b32_e32 v134, 8, v123
	v_lshrrev_b32_e32 v133, 8, v116
	;; [unrolled: 1-line block ×4, first 2 shown]
	v_cmp_eq_u32_e32 vcc, 1, v41
	v_cmp_eq_u32_e64 s[48:49], 1, v128
	v_cmp_eq_u32_e64 s[50:51], 1, v129
	;; [unrolled: 1-line block ×3, first 2 shown]
	s_waitcnt lgkmcnt(1)
	v_mbcnt_lo_u32_b32 v37, -1, 0
	s_waitcnt lgkmcnt(0)
	; wave barrier
	s_waitcnt lgkmcnt(0)
	s_cbranch_scc0 .LBB1987_204
; %bb.146:
	v_mov_b32_e32 v1, 0
	v_cmp_eq_u16_sdwa s[6:7], v123, v1 src0_sel:BYTE_0 src1_sel:DWORD
	v_cndmask_b32_e64 v4, 0, v2, s[6:7]
	s_movk_i32 s4, 0xff
	v_add_u32_e32 v4, v4, v6
	v_writelane_b32 v135, s6, 2
	v_cndmask_b32_e64 v5, 0, v3, s[6:7]
	v_cmp_eq_u16_sdwa s[94:95], v134, v1 src0_sel:BYTE_0 src1_sel:DWORD
	v_add_u32_e32 v5, v5, v7
	v_cndmask_b32_e64 v4, 0, v4, s[94:95]
	v_and_b32_sdwa v8, v123, s4 dst_sel:DWORD dst_unused:UNUSED_PAD src0_sel:WORD_1 src1_sel:DWORD
	v_writelane_b32 v135, s7, 3
	v_add_u32_e32 v4, v4, v127
	v_cndmask_b32_e64 v5, 0, v5, s[94:95]
	v_cmp_eq_u16_e64 s[6:7], 0, v8
	v_add_u32_e32 v5, v5, v126
	v_cndmask_b32_e64 v4, 0, v4, s[6:7]
	v_add_u32_e32 v4, v4, v10
	v_cndmask_b32_e64 v5, 0, v5, s[6:7]
	v_cmp_eq_u16_sdwa s[12:13], v123, v1 src0_sel:BYTE_3 src1_sel:DWORD
	v_add_u32_e32 v5, v5, v11
	v_cndmask_b32_e64 v4, 0, v4, s[12:13]
	v_add_u32_e32 v4, v4, v125
	v_cndmask_b32_e64 v5, 0, v5, s[12:13]
	v_cmp_eq_u16_sdwa s[88:89], v106, v1 src0_sel:BYTE_0 src1_sel:DWORD
	v_add_u32_e32 v5, v5, v124
	v_cndmask_b32_e64 v4, 0, v4, s[88:89]
	v_add_u32_e32 v4, v4, v14
	v_cndmask_b32_e64 v5, 0, v5, s[88:89]
	v_cmp_eq_u16_sdwa s[16:17], v116, v1 src0_sel:BYTE_0 src1_sel:DWORD
	;; [unrolled: 5-line block ×3, first 2 shown]
	v_add_u32_e32 v5, v5, v121
	v_cndmask_b32_e64 v4, 0, v4, s[18:19]
	v_and_b32_sdwa v8, v116, s4 dst_sel:DWORD dst_unused:UNUSED_PAD src0_sel:WORD_1 src1_sel:DWORD
	v_add_u32_e32 v4, v4, v18
	v_cndmask_b32_e64 v5, 0, v5, s[18:19]
	v_cmp_eq_u16_e64 s[20:21], 0, v8
	v_add_u32_e32 v5, v5, v19
	v_cndmask_b32_e64 v4, 0, v4, s[20:21]
	v_add_u32_e32 v4, v4, v120
	v_cndmask_b32_e64 v5, 0, v5, s[20:21]
	v_cmp_eq_u16_sdwa s[22:23], v116, v1 src0_sel:BYTE_3 src1_sel:DWORD
	v_add_u32_e32 v5, v5, v119
	v_cndmask_b32_e64 v4, 0, v4, s[22:23]
	v_add_u32_e32 v4, v4, v22
	v_cndmask_b32_e64 v5, 0, v5, s[22:23]
	v_cmp_eq_u16_sdwa s[24:25], v107, v1 src0_sel:BYTE_0 src1_sel:DWORD
	v_add_u32_e32 v5, v5, v23
	v_cndmask_b32_e64 v4, 0, v4, s[24:25]
	v_add_u32_e32 v4, v4, v118
	v_cndmask_b32_e64 v5, 0, v5, s[24:25]
	v_cmp_eq_u16_sdwa s[26:27], v111, v1 src0_sel:BYTE_0 src1_sel:DWORD
	;; [unrolled: 5-line block ×3, first 2 shown]
	v_add_u32_e32 v5, v5, v31
	v_cndmask_b32_e64 v4, 0, v4, s[28:29]
	v_and_b32_sdwa v8, v111, s4 dst_sel:DWORD dst_unused:UNUSED_PAD src0_sel:WORD_1 src1_sel:DWORD
	v_add_u32_e32 v4, v4, v115
	v_cndmask_b32_e64 v5, 0, v5, s[28:29]
	v_cmp_eq_u16_e64 s[30:31], 0, v8
	v_add_u32_e32 v5, v5, v114
	v_cndmask_b32_e64 v4, 0, v4, s[30:31]
	v_add_u32_e32 v4, v4, v38
	v_cndmask_b32_e64 v5, 0, v5, s[30:31]
	v_cmp_eq_u16_sdwa s[34:35], v111, v1 src0_sel:BYTE_3 src1_sel:DWORD
	v_add_u32_e32 v5, v5, v39
	v_cndmask_b32_e64 v4, 0, v4, s[34:35]
	v_and_b32_sdwa v8, v108, s4 dst_sel:DWORD dst_unused:UNUSED_PAD src0_sel:WORD_1 src1_sel:DWORD
	v_add_u32_e32 v4, v4, v113
	v_cndmask_b32_e64 v5, 0, v5, s[34:35]
	v_cmp_eq_u16_sdwa s[36:37], v105, v1 src0_sel:BYTE_0 src1_sel:DWORD
	v_cmp_eq_u16_e64 s[42:43], 0, v8
	v_and_b32_e32 v8, 1, v123
	v_add_u32_e32 v5, v5, v112
	v_cndmask_b32_e64 v4, 0, v4, s[36:37]
	v_cmp_eq_u32_e64 s[56:57], 1, v8
	v_and_b32_e32 v8, 0x100, v123
	v_add_u32_e32 v4, v4, v42
	v_cndmask_b32_e64 v5, 0, v5, s[36:37]
	v_cmp_eq_u16_sdwa s[38:39], v108, v1 src0_sel:BYTE_0 src1_sel:DWORD
	v_cmp_ne_u32_e64 s[58:59], 0, v8
	v_and_b32_e32 v8, 0x10000, v123
	v_add_u32_e32 v5, v5, v43
	v_cndmask_b32_e64 v4, 0, v4, s[38:39]
	v_cmp_ne_u32_e64 s[60:61], 0, v8
	v_and_b32_e32 v8, 0x1000000, v123
	v_add_u32_e32 v4, v4, v110
	v_cndmask_b32_e64 v5, 0, v5, s[38:39]
	v_cmp_eq_u16_sdwa s[40:41], v131, v1 src0_sel:BYTE_0 src1_sel:DWORD
	v_cmp_ne_u32_e64 s[62:63], 0, v8
	v_and_b32_e32 v8, 1, v116
	v_add_u32_e32 v5, v5, v109
	v_cndmask_b32_e64 v4, 0, v4, s[40:41]
	v_cmp_eq_u32_e64 s[64:65], 1, v8
	v_and_b32_e32 v8, 0x100, v116
	v_add_u32_e32 v4, v4, v46
	v_cndmask_b32_e64 v5, 0, v5, s[40:41]
	v_cmp_ne_u32_e64 s[66:67], 0, v8
	v_and_b32_e32 v8, 0x10000, v116
	s_mov_b64 s[2:3], s[54:55]
	s_mov_b64 s[54:55], s[68:69]
	v_add_u32_e32 v5, v5, v47
	v_cndmask_b32_e64 v4, 0, v4, s[42:43]
	v_cmp_ne_u32_e64 s[68:69], 0, v8
	v_and_b32_e32 v8, 0x1000000, v116
	v_add_u32_e32 v4, v4, v34
	v_cndmask_b32_e64 v5, 0, v5, s[42:43]
	v_cmp_eq_u16_sdwa s[44:45], v108, v1 src0_sel:BYTE_3 src1_sel:DWORD
	v_cmp_ne_u32_e64 s[70:71], 0, v8
	v_and_b32_e32 v8, 1, v111
	s_mov_b64 s[0:1], s[72:73]
	v_add_u32_e32 v5, v5, v35
	v_cndmask_b32_e64 v4, 0, v4, s[44:45]
	v_cmp_eq_u32_e64 s[72:73], 1, v8
	v_and_b32_e32 v8, 0x100, v111
	s_mov_b32 s11, s74
	v_add_u32_e32 v4, v4, v26
	v_cndmask_b32_e64 v5, 0, v5, s[44:45]
	v_cmp_eq_u16_sdwa s[46:47], v40, v1 src0_sel:BYTE_0 src1_sel:DWORD
	v_cmp_ne_u32_e64 s[74:75], 0, v8
	v_and_b32_e32 v8, 0x10000, v111
	v_add_u32_e32 v5, v5, v27
	v_cndmask_b32_e64 v1, 0, v4, s[46:47]
	v_cmp_ne_u32_e64 s[76:77], 0, v8
	v_and_b32_e32 v8, 0x1000000, v111
	s_mov_b64 s[8:9], s[80:81]
	s_mov_b64 s[14:15], s[78:79]
	v_add_u32_e32 v4, v1, v25
	v_cndmask_b32_e64 v1, 0, v5, s[46:47]
	v_cmp_ne_u32_e64 s[78:79], 0, v8
	v_and_b32_e32 v8, 1, v108
	s_mov_b32 s10, s82
	v_add_u32_e32 v5, v1, v33
	v_and_b32_e32 v1, 0x1000000, v108
	v_cmp_eq_u32_e64 s[80:81], 1, v8
	v_and_b32_e32 v8, 0x100, v108
	v_cmp_ne_u32_e64 s[4:5], 0, v1
	v_cmp_ne_u32_e64 s[82:83], 0, v8
	v_and_b32_e32 v8, 0x10000, v108
	v_cmp_ne_u32_e64 s[84:85], 0, v8
	s_or_b64 s[4:5], s[52:53], s[4:5]
	s_or_b64 s[4:5], s[4:5], s[84:85]
	;; [unrolled: 1-line block ×14, first 2 shown]
	s_or_b64 s[4:5], s[4:5], vcc
	s_or_b64 s[4:5], s[4:5], s[62:63]
	s_or_b64 s[4:5], s[4:5], s[60:61]
	;; [unrolled: 1-line block ×3, first 2 shown]
	v_and_b32_e32 v1, 0xff, v104
	s_or_b64 s[4:5], s[4:5], s[56:57]
	v_mbcnt_hi_u32_b32 v9, -1, v37
	v_cndmask_b32_e64 v1, v1, 1, s[4:5]
	v_and_b32_e32 v8, 15, v9
	v_mov_b32_dpp v12, v4 row_shr:1 row_mask:0xf bank_mask:0xf
	v_mov_b32_dpp v13, v5 row_shr:1 row_mask:0xf bank_mask:0xf
	;; [unrolled: 1-line block ×3, first 2 shown]
	v_cmp_ne_u32_e32 vcc, 0, v8
	s_and_saveexec_b64 s[4:5], vcc
; %bb.147:
	v_cmp_eq_u32_e32 vcc, 0, v1
	v_cndmask_b32_e32 v12, 0, v12, vcc
	v_add_u32_e32 v4, v12, v4
	v_cndmask_b32_e32 v12, 0, v13, vcc
	v_add_u32_e32 v5, v12, v5
	v_and_or_b32 v1, v16, 1, v1
; %bb.148:
	s_or_b64 exec, exec, s[4:5]
	v_mov_b32_dpp v13, v4 row_shr:2 row_mask:0xf bank_mask:0xf
	v_mov_b32_dpp v16, v5 row_shr:2 row_mask:0xf bank_mask:0xf
	;; [unrolled: 1-line block ×3, first 2 shown]
	v_cmp_lt_u32_e32 vcc, 1, v8
	s_and_saveexec_b64 s[4:5], vcc
; %bb.149:
	v_add_u32_e32 v13, v13, v4
	v_add_u32_e32 v16, v16, v5
	v_cmp_eq_u32_e32 vcc, 0, v1
	v_or_b32_e32 v1, v12, v1
	v_cndmask_b32_e32 v4, v4, v13, vcc
	v_cndmask_b32_e32 v5, v5, v16, vcc
	v_and_b32_e32 v1, 1, v1
; %bb.150:
	s_or_b64 exec, exec, s[4:5]
	v_mov_b32_dpp v13, v4 row_shr:4 row_mask:0xf bank_mask:0xf
	v_mov_b32_dpp v16, v5 row_shr:4 row_mask:0xf bank_mask:0xf
	v_mov_b32_dpp v12, v1 row_shr:4 row_mask:0xf bank_mask:0xf
	v_cmp_lt_u32_e32 vcc, 3, v8
	s_and_saveexec_b64 s[4:5], vcc
	s_mov_b32 s82, s10
	s_mov_b64 s[66:67], s[90:91]
	s_mov_b64 s[68:69], s[54:55]
	;; [unrolled: 1-line block ×6, first 2 shown]
	s_mov_b32 s74, s11
; %bb.151:
	v_add_u32_e32 v13, v13, v4
	v_add_u32_e32 v16, v16, v5
	v_cmp_eq_u32_e32 vcc, 0, v1
	v_or_b32_e32 v1, v12, v1
	v_cndmask_b32_e32 v4, v4, v13, vcc
	v_cndmask_b32_e32 v5, v5, v16, vcc
	v_and_b32_e32 v1, 1, v1
; %bb.152:
	s_or_b64 exec, exec, s[4:5]
	v_mov_b32_dpp v13, v4 row_shr:8 row_mask:0xf bank_mask:0xf
	v_mov_b32_dpp v16, v5 row_shr:8 row_mask:0xf bank_mask:0xf
	;; [unrolled: 1-line block ×3, first 2 shown]
	v_cmp_lt_u32_e32 vcc, 7, v8
	s_and_saveexec_b64 s[4:5], vcc
; %bb.153:
	v_add_u32_e32 v8, v13, v4
	v_add_u32_e32 v13, v16, v5
	v_cmp_eq_u32_e32 vcc, 0, v1
	v_or_b32_e32 v1, v12, v1
	v_cndmask_b32_e32 v4, v4, v8, vcc
	v_cndmask_b32_e32 v5, v5, v13, vcc
	v_and_b32_e32 v1, 1, v1
; %bb.154:
	s_or_b64 exec, exec, s[4:5]
	v_and_b32_e32 v16, 16, v9
	v_mov_b32_dpp v12, v4 row_bcast:15 row_mask:0xf bank_mask:0xf
	v_mov_b32_dpp v13, v5 row_bcast:15 row_mask:0xf bank_mask:0xf
	v_mov_b32_dpp v8, v1 row_bcast:15 row_mask:0xf bank_mask:0xf
	v_cmp_ne_u32_e32 vcc, 0, v16
	s_and_saveexec_b64 s[4:5], vcc
; %bb.155:
	v_add_u32_e32 v12, v12, v4
	v_add_u32_e32 v13, v13, v5
	v_cmp_eq_u32_e32 vcc, 0, v1
	v_or_b32_e32 v1, v8, v1
	v_cndmask_b32_e32 v4, v4, v12, vcc
	v_cndmask_b32_e32 v5, v5, v13, vcc
	v_and_b32_e32 v1, 1, v1
; %bb.156:
	s_or_b64 exec, exec, s[4:5]
	v_mov_b32_dpp v12, v4 row_bcast:31 row_mask:0xf bank_mask:0xf
	v_mov_b32_dpp v13, v5 row_bcast:31 row_mask:0xf bank_mask:0xf
	;; [unrolled: 1-line block ×3, first 2 shown]
	v_cmp_lt_u32_e32 vcc, 31, v9
	s_and_saveexec_b64 s[4:5], vcc
; %bb.157:
	v_add_u32_e32 v12, v12, v4
	v_add_u32_e32 v13, v13, v5
	v_cmp_eq_u32_e32 vcc, 0, v1
	v_or_b32_e32 v1, v8, v1
	v_cndmask_b32_e32 v4, v4, v12, vcc
	v_cndmask_b32_e32 v5, v5, v13, vcc
	v_and_b32_e32 v1, 1, v1
; %bb.158:
	s_or_b64 exec, exec, s[4:5]
	v_cmp_eq_u32_e32 vcc, 63, v0
	s_and_saveexec_b64 s[4:5], vcc
	s_cbranch_execz .LBB1987_160
; %bb.159:
	v_mov_b32_e32 v8, 0
	ds_write_b64 v8, v[4:5]
	ds_write_b8 v8, v1 offset:8
.LBB1987_160:
	s_or_b64 exec, exec, s[4:5]
	v_add_u32_e32 v8, -1, v9
	v_and_b32_e32 v12, 64, v9
	v_cmp_lt_i32_e32 vcc, v8, v12
	v_cndmask_b32_e32 v8, v8, v9, vcc
	v_lshlrev_b32_e32 v8, 2, v8
	ds_bpermute_b32 v52, v8, v4
	ds_bpermute_b32 v45, v8, v5
	;; [unrolled: 1-line block ×3, first 2 shown]
	v_cmp_gt_u32_e32 vcc, 64, v0
	s_waitcnt lgkmcnt(0)
	; wave barrier
	s_waitcnt lgkmcnt(0)
	s_and_saveexec_b64 s[50:51], vcc
	s_cbranch_execz .LBB1987_201
; %bb.161:
	v_mov_b32_e32 v13, 0
	ds_read_b64 v[4:5], v13
	ds_read_b32 v53, v13 offset:8
	s_mov_b32 s53, 0
	v_cmp_eq_u32_e64 s[48:49], 0, v9
	s_waitcnt lgkmcnt(1)
	v_readfirstlane_b32 s56, v5
	s_and_saveexec_b64 s[4:5], s[48:49]
	s_cbranch_execz .LBB1987_163
; %bb.162:
	s_add_i32 s52, s33, 64
	s_lshl_b64 s[58:59], s[52:53], 4
	s_add_u32 s58, s80, s58
	s_waitcnt lgkmcnt(0)
	v_and_b32_e32 v8, 0xff00, v53
	s_addc_u32 s59, s81, s59
	v_and_b32_e32 v5, 0xff0000, v53
	v_or_b32_sdwa v8, v8, v53 dst_sel:DWORD dst_unused:UNUSED_PAD src0_sel:DWORD src1_sel:BYTE_0
	s_and_b32 s61, s56, 0xff000000
	s_mov_b32 s60, s53
	s_and_b32 s63, s56, 0xff0000
	s_mov_b32 s62, s53
	v_and_b32_e32 v1, 0xff000000, v53
	v_or_b32_e32 v5, v8, v5
	s_and_b32 s65, s56, 0xff00
	s_mov_b32 s64, s53
	s_and_b32 s57, s56, 0xff
	s_or_b64 s[52:53], s[60:61], s[62:63]
	v_or_b32_e32 v50, v5, v1
	s_or_b64 s[52:53], s[52:53], s[64:65]
	v_mov_b32_e32 v1, s57
	v_or_b32_e32 v48, s52, v4
	v_or_b32_e32 v49, s53, v1
	v_mov_b32_e32 v51, 1
	v_pk_mov_b32 v[16:17], s[58:59], s[58:59] op_sel:[0,1]
	;;#ASMSTART
	global_store_dwordx4 v[16:17], v[48:51] off	
s_waitcnt vmcnt(0)
	;;#ASMEND
.LBB1987_163:
	s_or_b64 exec, exec, s[4:5]
	v_xad_u32 v8, v9, -1, s33
	v_add_u32_e32 v12, 64, v8
	v_lshlrev_b64 v[16:17], 4, v[12:13]
	v_mov_b32_e32 v1, s81
	v_add_co_u32_e32 v20, vcc, s80, v16
	v_addc_co_u32_e32 v21, vcc, v1, v17, vcc
	;;#ASMSTART
	global_load_dwordx4 v[48:51], v[20:21] off glc	
s_waitcnt vmcnt(0)
	;;#ASMEND
	v_lshlrev_b64 v[54:55], 24, v[50:51]
	v_lshrrev_b32_e32 v1, 8, v49
	v_or_b32_e32 v16, v1, v54
	v_lshlrev_b64 v[54:55], 16, v[50:51]
	v_or_b32_sdwa v24, v49, v54 dst_sel:DWORD dst_unused:UNUSED_PAD src0_sel:WORD_1 src1_sel:DWORD
	v_lshlrev_b64 v[54:55], 8, v[50:51]
	v_alignbit_b32 v5, v49, v48, 8
	v_alignbit_b32 v29, v49, v48, 16
	v_alignbit_b32 v17, v49, v48, 24
	v_mov_b32_e32 v12, v49
	v_or_b32_sdwa v28, v49, v54 dst_sel:DWORD dst_unused:UNUSED_PAD src0_sel:BYTE_3 src1_sel:DWORD
	v_cmp_eq_u16_sdwa s[52:53], v51, v13 src0_sel:BYTE_0 src1_sel:DWORD
	s_and_saveexec_b64 s[4:5], s[52:53]
	s_cbranch_execz .LBB1987_167
; %bb.164:
	s_mov_b64 s[52:53], 0
	v_mov_b32_e32 v1, 0
.LBB1987_165:                           ; =>This Inner Loop Header: Depth=1
	;;#ASMSTART
	global_load_dwordx4 v[48:51], v[20:21] off glc	
s_waitcnt vmcnt(0)
	;;#ASMEND
	v_cmp_ne_u16_sdwa s[58:59], v51, v1 src0_sel:BYTE_0 src1_sel:DWORD
	s_or_b64 s[52:53], s[58:59], s[52:53]
	s_andn2_b64 exec, exec, s[52:53]
	s_cbranch_execnz .LBB1987_165
; %bb.166:
	s_or_b64 exec, exec, s[52:53]
	v_lshlrev_b64 v[20:21], 24, v[50:51]
	v_lshrrev_b32_e32 v1, 8, v49
	v_or_b32_e32 v16, v1, v20
	v_lshlrev_b64 v[20:21], 16, v[50:51]
	v_or_b32_sdwa v24, v49, v20 dst_sel:DWORD dst_unused:UNUSED_PAD src0_sel:WORD_1 src1_sel:DWORD
	v_lshlrev_b64 v[20:21], 8, v[50:51]
	v_alignbit_b32 v5, v49, v48, 8
	v_alignbit_b32 v29, v49, v48, 16
	;; [unrolled: 1-line block ×3, first 2 shown]
	v_mov_b32_e32 v12, v49
	v_or_b32_sdwa v28, v49, v20 dst_sel:DWORD dst_unused:UNUSED_PAD src0_sel:BYTE_3 src1_sel:DWORD
.LBB1987_167:
	s_or_b64 exec, exec, s[4:5]
	v_lshlrev_b32_e32 v13, 16, v24
	v_lshlrev_b32_e32 v1, 24, v28
	v_and_b32_e32 v13, 0xff0000, v13
	v_or_b32_e32 v1, v13, v1
	v_lshlrev_b32_e32 v13, 8, v16
	v_and_b32_e32 v13, 0xff00, v13
	v_and_b32_e32 v12, 0xff, v12
	v_or3_b32 v1, v1, v13, v12
	v_lshlrev_b32_e32 v12, 16, v29
	s_mov_b32 s4, 0x4020c0c
	v_lshlrev_b32_e32 v5, 8, v5
	v_perm_b32 v12, v17, v12, s4
	s_mov_b32 s4, 0xc0c0500
	v_perm_b32 v5, v5, v48, s4
	v_or_b32_e32 v20, v5, v12
	v_mov_b32_e32 v5, 2
	v_cmp_eq_u16_sdwa s[4:5], v51, v5 src0_sel:BYTE_0 src1_sel:DWORD
	v_lshlrev_b64 v[12:13], v9, -1
	v_and_b32_e32 v5, s5, v13
	v_or_b32_e32 v5, 0x80000000, v5
	v_ffbl_b32_e32 v29, v5
	v_and_b32_e32 v5, 63, v9
	v_cmp_ne_u32_e32 vcc, 63, v5
	v_addc_co_u32_e32 v17, vcc, 0, v9, vcc
	v_and_b32_e32 v24, 0xff, v50
	v_lshlrev_b32_e32 v54, 2, v17
	ds_bpermute_b32 v28, v54, v20
	ds_bpermute_b32 v21, v54, v1
	ds_bpermute_b32 v17, v54, v24
	v_and_b32_e32 v16, s4, v12
	v_add_u32_e32 v29, 32, v29
	v_ffbl_b32_e32 v16, v16
	v_min_u32_e32 v16, v16, v29
	v_cmp_lt_u32_e32 vcc, v5, v16
	s_and_saveexec_b64 s[4:5], vcc
	s_cbranch_execz .LBB1987_169
; %bb.168:
	v_mov_b32_e32 v24, 0
	v_cmp_eq_u16_sdwa vcc, v50, v24 src0_sel:BYTE_0 src1_sel:DWORD
	s_waitcnt lgkmcnt(0)
	v_or_b32_e32 v17, v50, v17
	v_cndmask_b32_e32 v24, 0, v28, vcc
	v_cndmask_b32_e32 v21, 0, v21, vcc
	v_and_b32_e32 v50, 1, v17
	v_add_u32_e32 v20, v24, v20
	v_add_u32_e32 v1, v21, v1
	v_and_b32_e32 v24, 0xffff, v50
.LBB1987_169:
	s_or_b64 exec, exec, s[4:5]
	v_cmp_gt_u32_e32 vcc, 62, v5
	s_waitcnt lgkmcnt(0)
	v_cndmask_b32_e64 v17, 0, 1, vcc
	v_lshlrev_b32_e32 v17, 1, v17
	v_add_lshl_u32 v55, v17, v9, 2
	ds_bpermute_b32 v21, v55, v20
	ds_bpermute_b32 v28, v55, v1
	ds_bpermute_b32 v17, v55, v24
	v_add_u32_e32 v56, 2, v5
	v_cmp_le_u32_e32 vcc, v56, v16
	s_and_saveexec_b64 s[4:5], vcc
	s_cbranch_execz .LBB1987_171
; %bb.170:
	v_mov_b32_e32 v24, 0
	s_waitcnt lgkmcnt(0)
	v_or_b32_e32 v17, v17, v50
	v_add_u32_e32 v21, v21, v20
	v_add_u32_e32 v28, v28, v1
	v_cmp_eq_u16_sdwa vcc, v50, v24 src0_sel:BYTE_0 src1_sel:DWORD
	v_and_b32_e32 v24, 1, v17
	v_cndmask_b32_e32 v20, v20, v21, vcc
	v_cndmask_b32_e32 v1, v1, v28, vcc
	v_mov_b32_e32 v50, v24
.LBB1987_171:
	s_or_b64 exec, exec, s[4:5]
	v_cmp_gt_u32_e32 vcc, 60, v5
	s_waitcnt lgkmcnt(0)
	v_cndmask_b32_e64 v17, 0, 1, vcc
	v_lshlrev_b32_e32 v17, 2, v17
	v_add_lshl_u32 v57, v17, v9, 2
	ds_bpermute_b32 v21, v57, v20
	ds_bpermute_b32 v28, v57, v1
	ds_bpermute_b32 v17, v57, v24
	v_add_u32_e32 v58, 4, v5
	v_cmp_le_u32_e32 vcc, v58, v16
	s_and_saveexec_b64 s[4:5], vcc
	s_cbranch_execz .LBB1987_173
; %bb.172:
	v_mov_b32_e32 v24, 0
	s_waitcnt lgkmcnt(0)
	v_or_b32_e32 v17, v17, v50
	v_add_u32_e32 v21, v21, v20
	v_add_u32_e32 v28, v28, v1
	v_cmp_eq_u16_sdwa vcc, v50, v24 src0_sel:BYTE_0 src1_sel:DWORD
	v_and_b32_e32 v24, 1, v17
	v_cndmask_b32_e32 v20, v20, v21, vcc
	v_cndmask_b32_e32 v1, v1, v28, vcc
	v_mov_b32_e32 v50, v24
.LBB1987_173:
	;; [unrolled: 25-line block ×4, first 2 shown]
	s_or_b64 exec, exec, s[4:5]
	v_cmp_gt_u32_e32 vcc, 32, v5
	s_waitcnt lgkmcnt(0)
	v_cndmask_b32_e64 v17, 0, 1, vcc
	v_lshlrev_b32_e32 v17, 5, v17
	v_add_lshl_u32 v64, v17, v9, 2
	ds_bpermute_b32 v17, v64, v20
	ds_bpermute_b32 v21, v64, v1
	;; [unrolled: 1-line block ×3, first 2 shown]
	v_add_u32_e32 v65, 32, v5
	v_cmp_le_u32_e32 vcc, v65, v16
	s_and_saveexec_b64 s[4:5], vcc
	s_cbranch_execz .LBB1987_179
; %bb.178:
	v_mov_b32_e32 v16, 0
	s_waitcnt lgkmcnt(2)
	v_add_u32_e32 v17, v17, v20
	s_waitcnt lgkmcnt(1)
	v_add_u32_e32 v21, v21, v1
	v_cmp_eq_u16_sdwa vcc, v50, v16 src0_sel:BYTE_0 src1_sel:DWORD
	s_waitcnt lgkmcnt(0)
	v_or_b32_e32 v9, v9, v50
	v_cndmask_b32_e32 v20, v20, v17, vcc
	v_cndmask_b32_e32 v1, v1, v21, vcc
	v_and_b32_e32 v24, 1, v9
.LBB1987_179:
	s_or_b64 exec, exec, s[4:5]
	s_movk_i32 s57, 0xff
	s_waitcnt lgkmcnt(0)
	v_mov_b32_e32 v9, 0
	s_mov_b32 s58, 0x4020c0c
	s_mov_b32 s59, 0xc0c0500
	v_mov_b32_e32 v66, 2
	s_branch .LBB1987_181
.LBB1987_180:                           ;   in Loop: Header=BB1987_181 Depth=1
	s_or_b64 exec, exec, s[4:5]
	s_waitcnt lgkmcnt(0)
	ds_bpermute_b32 v28, v64, v20
	ds_bpermute_b32 v29, v64, v1
	;; [unrolled: 1-line block ×3, first 2 shown]
	v_cmp_eq_u16_sdwa vcc, v50, v9 src0_sel:BYTE_0 src1_sel:DWORD
	v_subrev_u32_e32 v8, 64, v8
	s_waitcnt lgkmcnt(2)
	v_add_u32_e32 v28, v28, v20
	s_waitcnt lgkmcnt(1)
	v_add_u32_e32 v29, v29, v1
	v_cndmask_b32_e32 v28, v20, v28, vcc
	v_cndmask_b32_e32 v29, v1, v29, vcc
	s_waitcnt lgkmcnt(0)
	v_and_or_b32 v32, v50, s57, v32
	v_cmp_gt_u32_e32 vcc, v65, v21
	v_cndmask_b32_e32 v21, v32, v24, vcc
	v_cndmask_b32_e32 v20, v28, v20, vcc
	;; [unrolled: 1-line block ×3, first 2 shown]
	v_cmp_eq_u16_sdwa vcc, v63, v9 src0_sel:BYTE_0 src1_sel:DWORD
	v_and_b32_e32 v24, 1, v63
	v_and_b32_e32 v21, 1, v21
	v_cndmask_b32_e32 v20, 0, v20, vcc
	v_cndmask_b32_e32 v1, 0, v1, vcc
	v_cmp_eq_u32_e32 vcc, 1, v24
	v_cmp_eq_u32_e64 s[4:5], 1, v21
	s_or_b64 s[4:5], vcc, s[4:5]
	v_add_u32_e32 v20, v20, v16
	v_add_u32_e32 v1, v1, v17
	v_cndmask_b32_e64 v24, 0, 1, s[4:5]
.LBB1987_181:                           ; =>This Loop Header: Depth=1
                                        ;     Child Loop BB1987_184 Depth 2
	v_cmp_ne_u16_sdwa s[4:5], v51, v66 src0_sel:BYTE_0 src1_sel:DWORD
	v_mov_b32_e32 v17, v1
	v_cndmask_b32_e64 v1, 0, 1, s[4:5]
	;;#ASMSTART
	;;#ASMEND
	v_cmp_ne_u32_e32 vcc, 0, v1
	v_mov_b32_e32 v63, v24
	s_cmp_lg_u64 vcc, exec
	v_mov_b32_e32 v16, v20
	s_cbranch_scc1 .LBB1987_196
; %bb.182:                              ;   in Loop: Header=BB1987_181 Depth=1
	v_lshlrev_b64 v[20:21], 4, v[8:9]
	v_mov_b32_e32 v1, s81
	v_add_co_u32_e32 v28, vcc, s80, v20
	v_addc_co_u32_e32 v29, vcc, v1, v21, vcc
	;;#ASMSTART
	global_load_dwordx4 v[48:51], v[28:29] off glc	
s_waitcnt vmcnt(0)
	;;#ASMEND
	v_lshlrev_b64 v[70:71], 24, v[50:51]
	v_lshrrev_b32_e32 v1, 8, v49
	v_or_b32_e32 v24, v1, v70
	v_lshlrev_b64 v[70:71], 16, v[50:51]
	v_or_b32_sdwa v32, v49, v70 dst_sel:DWORD dst_unused:UNUSED_PAD src0_sel:WORD_1 src1_sel:DWORD
	v_lshlrev_b64 v[70:71], 8, v[50:51]
	v_alignbit_b32 v21, v49, v48, 8
	v_alignbit_b32 v67, v49, v48, 16
	;; [unrolled: 1-line block ×3, first 2 shown]
	v_mov_b32_e32 v20, v49
	v_or_b32_sdwa v36, v49, v70 dst_sel:DWORD dst_unused:UNUSED_PAD src0_sel:BYTE_3 src1_sel:DWORD
	v_cmp_eq_u16_sdwa s[52:53], v51, v9 src0_sel:BYTE_0 src1_sel:DWORD
	s_and_saveexec_b64 s[4:5], s[52:53]
	s_cbranch_execz .LBB1987_186
; %bb.183:                              ;   in Loop: Header=BB1987_181 Depth=1
	s_mov_b64 s[52:53], 0
.LBB1987_184:                           ;   Parent Loop BB1987_181 Depth=1
                                        ; =>  This Inner Loop Header: Depth=2
	;;#ASMSTART
	global_load_dwordx4 v[48:51], v[28:29] off glc	
s_waitcnt vmcnt(0)
	;;#ASMEND
	v_cmp_ne_u16_sdwa s[60:61], v51, v9 src0_sel:BYTE_0 src1_sel:DWORD
	s_or_b64 s[52:53], s[60:61], s[52:53]
	s_andn2_b64 exec, exec, s[52:53]
	s_cbranch_execnz .LBB1987_184
; %bb.185:                              ;   in Loop: Header=BB1987_181 Depth=1
	s_or_b64 exec, exec, s[52:53]
	v_lshlrev_b64 v[28:29], 24, v[50:51]
	v_lshrrev_b32_e32 v1, 8, v49
	v_or_b32_e32 v24, v1, v28
	v_lshlrev_b64 v[28:29], 16, v[50:51]
	v_or_b32_sdwa v32, v49, v28 dst_sel:DWORD dst_unused:UNUSED_PAD src0_sel:WORD_1 src1_sel:DWORD
	v_lshlrev_b64 v[28:29], 8, v[50:51]
	v_alignbit_b32 v21, v49, v48, 8
	v_alignbit_b32 v67, v49, v48, 16
	;; [unrolled: 1-line block ×3, first 2 shown]
	v_mov_b32_e32 v20, v49
	v_or_b32_sdwa v36, v49, v28 dst_sel:DWORD dst_unused:UNUSED_PAD src0_sel:BYTE_3 src1_sel:DWORD
.LBB1987_186:                           ;   in Loop: Header=BB1987_181 Depth=1
	s_or_b64 exec, exec, s[4:5]
	v_lshlrev_b32_e32 v28, 16, v32
	v_lshlrev_b32_e32 v1, 24, v36
	v_and_b32_e32 v28, 0xff0000, v28
	v_lshlrev_b32_e32 v24, 8, v24
	v_or_b32_e32 v1, v28, v1
	v_and_b32_e32 v24, 0xff00, v24
	v_and_b32_e32 v20, 0xff, v20
	v_or3_b32 v1, v1, v24, v20
	v_lshlrev_b32_e32 v20, 16, v67
	v_lshlrev_b32_e32 v21, 8, v21
	v_perm_b32 v20, v68, v20, s58
	v_perm_b32 v21, v21, v48, s59
	v_cmp_eq_u16_sdwa s[4:5], v51, v66 src0_sel:BYTE_0 src1_sel:DWORD
	v_or_b32_e32 v20, v21, v20
	v_and_b32_e32 v21, s5, v13
	v_and_b32_e32 v24, 0xff, v50
	v_or_b32_e32 v21, 0x80000000, v21
	ds_bpermute_b32 v32, v54, v20
	ds_bpermute_b32 v29, v54, v1
	ds_bpermute_b32 v28, v54, v24
	v_and_b32_e32 v36, s4, v12
	v_ffbl_b32_e32 v21, v21
	v_add_u32_e32 v21, 32, v21
	v_ffbl_b32_e32 v36, v36
	v_min_u32_e32 v21, v36, v21
	v_cmp_lt_u32_e32 vcc, v5, v21
	s_and_saveexec_b64 s[4:5], vcc
	s_cbranch_execz .LBB1987_188
; %bb.187:                              ;   in Loop: Header=BB1987_181 Depth=1
	v_cmp_eq_u16_sdwa vcc, v50, v9 src0_sel:BYTE_0 src1_sel:DWORD
	s_waitcnt lgkmcnt(2)
	v_cndmask_b32_e32 v24, 0, v32, vcc
	v_add_u32_e32 v20, v24, v20
	s_waitcnt lgkmcnt(1)
	v_cndmask_b32_e32 v24, 0, v29, vcc
	v_add_u32_e32 v1, v24, v1
	s_waitcnt lgkmcnt(0)
	v_or_b32_e32 v24, v28, v50
	v_and_b32_e32 v24, 1, v24
	v_mov_b32_e32 v50, v24
.LBB1987_188:                           ;   in Loop: Header=BB1987_181 Depth=1
	s_or_b64 exec, exec, s[4:5]
	s_waitcnt lgkmcnt(1)
	ds_bpermute_b32 v29, v55, v20
	ds_bpermute_b32 v32, v55, v1
	s_waitcnt lgkmcnt(2)
	ds_bpermute_b32 v28, v55, v24
	v_cmp_le_u32_e32 vcc, v56, v21
	s_and_saveexec_b64 s[4:5], vcc
	s_cbranch_execz .LBB1987_190
; %bb.189:                              ;   in Loop: Header=BB1987_181 Depth=1
	s_waitcnt lgkmcnt(2)
	v_add_u32_e32 v24, v29, v20
	v_cmp_eq_u16_sdwa vcc, v50, v9 src0_sel:BYTE_0 src1_sel:DWORD
	v_cndmask_b32_e32 v20, v20, v24, vcc
	s_waitcnt lgkmcnt(0)
	v_or_b32_e32 v24, v28, v50
	v_add_u32_e32 v29, v32, v1
	v_and_b32_e32 v24, 1, v24
	v_cndmask_b32_e32 v1, v1, v29, vcc
	v_mov_b32_e32 v50, v24
.LBB1987_190:                           ;   in Loop: Header=BB1987_181 Depth=1
	s_or_b64 exec, exec, s[4:5]
	s_waitcnt lgkmcnt(2)
	ds_bpermute_b32 v29, v57, v20
	s_waitcnt lgkmcnt(2)
	ds_bpermute_b32 v32, v57, v1
	s_waitcnt lgkmcnt(2)
	ds_bpermute_b32 v28, v57, v24
	v_cmp_le_u32_e32 vcc, v58, v21
	s_and_saveexec_b64 s[4:5], vcc
	s_cbranch_execz .LBB1987_192
; %bb.191:                              ;   in Loop: Header=BB1987_181 Depth=1
	s_waitcnt lgkmcnt(2)
	v_add_u32_e32 v24, v29, v20
	v_cmp_eq_u16_sdwa vcc, v50, v9 src0_sel:BYTE_0 src1_sel:DWORD
	v_cndmask_b32_e32 v20, v20, v24, vcc
	s_waitcnt lgkmcnt(0)
	v_or_b32_e32 v24, v28, v50
	v_add_u32_e32 v29, v32, v1
	v_and_b32_e32 v24, 1, v24
	v_cndmask_b32_e32 v1, v1, v29, vcc
	v_mov_b32_e32 v50, v24
.LBB1987_192:                           ;   in Loop: Header=BB1987_181 Depth=1
	s_or_b64 exec, exec, s[4:5]
	s_waitcnt lgkmcnt(2)
	ds_bpermute_b32 v29, v59, v20
	s_waitcnt lgkmcnt(2)
	;; [unrolled: 22-line block ×3, first 2 shown]
	ds_bpermute_b32 v32, v61, v1
	s_waitcnt lgkmcnt(2)
	ds_bpermute_b32 v28, v61, v24
	v_cmp_le_u32_e32 vcc, v62, v21
	s_and_saveexec_b64 s[4:5], vcc
	s_cbranch_execz .LBB1987_180
; %bb.195:                              ;   in Loop: Header=BB1987_181 Depth=1
	s_waitcnt lgkmcnt(2)
	v_add_u32_e32 v24, v29, v20
	v_cmp_eq_u16_sdwa vcc, v50, v9 src0_sel:BYTE_0 src1_sel:DWORD
	v_cndmask_b32_e32 v20, v20, v24, vcc
	s_waitcnt lgkmcnt(0)
	v_or_b32_e32 v24, v28, v50
	v_add_u32_e32 v29, v32, v1
	v_and_b32_e32 v24, 1, v24
	v_cndmask_b32_e32 v1, v1, v29, vcc
	v_mov_b32_e32 v50, v24
	s_branch .LBB1987_180
.LBB1987_196:                           ;   in Loop: Header=BB1987_181 Depth=1
                                        ; implicit-def: $vgpr24
                                        ; implicit-def: $vgpr1
                                        ; implicit-def: $vgpr51
                                        ; implicit-def: $vgpr20_vgpr21
	s_cbranch_execz .LBB1987_181
; %bb.197:
	s_and_saveexec_b64 s[4:5], s[48:49]
	s_cbranch_execz .LBB1987_199
; %bb.198:
	v_mov_b32_e32 v1, 0
	v_cmp_eq_u16_sdwa vcc, v53, v1 src0_sel:BYTE_0 src1_sel:DWORD
	v_cndmask_b32_e32 v1, 0, v16, vcc
	s_mov_b32 s49, 0
	v_add_u32_e32 v1, v1, v4
	v_cndmask_b32_e32 v4, 0, v17, vcc
	v_or_b32_e32 v5, v53, v63
	s_add_i32 s48, s33, 64
	v_add_u32_e32 v4, s56, v4
	v_and_b32_e32 v5, 1, v5
	s_lshl_b64 s[48:49], s[48:49], 4
	s_add_u32 s48, s80, s48
	v_cmp_eq_u32_e32 vcc, 1, v5
	v_and_b32_e32 v5, 0xff000000, v4
	v_and_b32_e32 v8, 0xff0000, v4
	s_addc_u32 s49, s81, s49
	v_and_b32_e32 v9, 0xff00, v4
	v_and_b32_e32 v4, 0xff, v4
	v_or_b32_e32 v5, v5, v8
	v_cndmask_b32_e64 v50, 0, 1, vcc
	v_or3_b32 v49, v5, v9, v4
	v_or3_b32 v48, 0, 0, v1
	v_mov_b32_e32 v51, 2
	v_pk_mov_b32 v[4:5], s[48:49], s[48:49] op_sel:[0,1]
	;;#ASMSTART
	global_store_dwordx4 v[4:5], v[48:51] off	
s_waitcnt vmcnt(0)
	;;#ASMEND
.LBB1987_199:
	s_or_b64 exec, exec, s[4:5]
	s_and_b64 exec, exec, s[86:87]
	s_cbranch_execz .LBB1987_201
; %bb.200:
	v_mov_b32_e32 v1, 0
	ds_write_b64 v1, v[16:17]
	ds_write_b8 v1, v63 offset:8
.LBB1987_201:
	s_or_b64 exec, exec, s[50:51]
	v_mov_b32_e32 v1, 0
	s_waitcnt lgkmcnt(0)
	; wave barrier
	s_waitcnt lgkmcnt(0)
	ds_read_b64 v[4:5], v1
	v_mov_b32_e32 v8, v3
	v_mov_b32_e32 v9, v2
	;; [unrolled: 1-line block ×3, first 2 shown]
	s_and_saveexec_b64 s[48:49], s[54:55]
; %bb.202:
	v_cmp_eq_u16_sdwa vcc, v104, v1 src0_sel:BYTE_0 src1_sel:DWORD
	v_cndmask_b32_e32 v8, 0, v52, vcc
	v_and_b32_e32 v12, 1, v104
	v_add_u32_e32 v9, v8, v2
	v_cndmask_b32_e32 v8, 0, v45, vcc
	v_cmp_eq_u32_e32 vcc, 1, v12
	v_and_b32_e32 v12, 1, v44
	v_cmp_eq_u32_e64 s[4:5], 1, v12
	s_or_b64 s[4:5], vcc, s[4:5]
	v_add_u32_e32 v8, v8, v3
	v_cndmask_b32_e64 v12, 0, 1, s[4:5]
; %bb.203:
	s_or_b64 exec, exec, s[48:49]
	v_cmp_eq_u16_sdwa vcc, v12, v1 src0_sel:BYTE_0 src1_sel:DWORD
	s_waitcnt lgkmcnt(0)
	v_cndmask_b32_e32 v1, 0, v4, vcc
	v_readlane_b32 s4, v135, 2
	v_add_u32_e32 v82, v1, v9
	v_cndmask_b32_e32 v1, 0, v5, vcc
	v_readlane_b32 s5, v135, 3
	v_add_u32_e32 v83, v1, v8
	v_cndmask_b32_e64 v1, 0, v82, s[4:5]
	v_add_u32_e32 v44, v1, v6
	v_cndmask_b32_e64 v1, 0, v83, s[4:5]
	;; [unrolled: 2-line block ×39, first 2 shown]
	v_cndmask_b32_e64 v8, 0, v103, s[46:47]
	s_branch .LBB1987_228
.LBB1987_204:
                                        ; implicit-def: $vgpr80_vgpr81_vgpr82_vgpr83
                                        ; implicit-def: $vgpr8
                                        ; implicit-def: $vgpr1
                                        ; implicit-def: $vgpr103
                                        ; implicit-def: $vgpr101
                                        ; implicit-def: $vgpr99
                                        ; implicit-def: $vgpr97
                                        ; implicit-def: $vgpr95
                                        ; implicit-def: $vgpr93
                                        ; implicit-def: $vgpr91
                                        ; implicit-def: $vgpr89
                                        ; implicit-def: $vgpr87
                                        ; implicit-def: $vgpr45
                                        ; implicit-def: $vgpr76_vgpr77_vgpr78_vgpr79
                                        ; implicit-def: $vgpr72_vgpr73_vgpr74_vgpr75
                                        ; implicit-def: $vgpr68_vgpr69_vgpr70_vgpr71
                                        ; implicit-def: $vgpr64_vgpr65_vgpr66_vgpr67
                                        ; implicit-def: $vgpr60_vgpr61_vgpr62_vgpr63
                                        ; implicit-def: $vgpr56_vgpr57_vgpr58_vgpr59
                                        ; implicit-def: $vgpr52_vgpr53_vgpr54_vgpr55
                                        ; implicit-def: $vgpr48_vgpr49_vgpr50_vgpr51
                                        ; implicit-def: $vgpr82_vgpr83_vgpr84_vgpr85
	s_mov_b64 s[66:67], s[90:91]
	s_cbranch_execz .LBB1987_228
; %bb.205:
	v_readlane_b32 s4, v135, 0
	v_readlane_b32 s5, v135, 1
	s_cmp_lg_u64 s[4:5], 0
	s_cselect_b32 s5, s67, 0
	s_cselect_b32 s4, s66, 0
	s_cmp_lg_u64 s[4:5], 0
	s_cselect_b64 s[6:7], -1, 0
	s_and_b64 s[8:9], s[86:87], s[6:7]
	s_and_saveexec_b64 s[6:7], s[8:9]
	s_cbranch_execz .LBB1987_209
; %bb.206:
	v_mov_b32_e32 v1, 0
	v_cmp_eq_u16_sdwa s[10:11], v104, v1 src0_sel:BYTE_0 src1_sel:DWORD
	s_and_saveexec_b64 s[8:9], s[10:11]
	s_cbranch_execz .LBB1987_208
; %bb.207:
	global_load_dwordx2 v[4:5], v1, s[4:5]
	s_waitcnt vmcnt(0)
	v_add_u32_e32 v2, v4, v2
	v_add_u32_e32 v3, v5, v3
.LBB1987_208:
	s_or_b64 exec, exec, s[8:9]
	global_load_ubyte v1, v1, s[4:5] offset:8
	s_waitcnt vmcnt(0)
	v_or_b32_e32 v1, v104, v1
	v_and_b32_e32 v104, 1, v1
.LBB1987_209:
	s_or_b64 exec, exec, s[6:7]
	v_mov_b32_e32 v1, 0
	v_cmp_eq_u16_sdwa vcc, v123, v1 src0_sel:BYTE_0 src1_sel:DWORD
	v_cndmask_b32_e32 v4, 0, v2, vcc
	v_add_u32_e32 v44, v4, v6
	v_cndmask_b32_e32 v4, 0, v3, vcc
	v_cmp_eq_u16_sdwa s[6:7], v134, v1 src0_sel:BYTE_0 src1_sel:DWORD
	v_add_u32_e32 v45, v4, v7
	v_cndmask_b32_e64 v4, 0, v44, s[6:7]
	s_movk_i32 s4, 0xff
	v_add_u32_e32 v48, v4, v127
	v_cndmask_b32_e64 v4, 0, v45, s[6:7]
	v_add_u32_e32 v49, v4, v126
	v_and_b32_sdwa v4, v123, s4 dst_sel:DWORD dst_unused:UNUSED_PAD src0_sel:WORD_1 src1_sel:DWORD
	v_cmp_eq_u16_e64 s[8:9], 0, v4
	v_cndmask_b32_e64 v4, 0, v48, s[8:9]
	v_add_u32_e32 v86, v4, v10
	v_cndmask_b32_e64 v4, 0, v49, s[8:9]
	v_cmp_eq_u16_sdwa s[10:11], v123, v1 src0_sel:BYTE_3 src1_sel:DWORD
	v_add_u32_e32 v87, v4, v11
	v_cndmask_b32_e64 v4, 0, v86, s[10:11]
	v_add_u32_e32 v52, v4, v125
	v_cndmask_b32_e64 v4, 0, v87, s[10:11]
	v_cmp_eq_u16_sdwa s[12:13], v106, v1 src0_sel:BYTE_0 src1_sel:DWORD
	v_add_u32_e32 v53, v4, v124
	v_cndmask_b32_e64 v4, 0, v52, s[12:13]
	v_add_u32_e32 v88, v4, v14
	v_cndmask_b32_e64 v4, 0, v53, s[12:13]
	v_cmp_eq_u16_sdwa s[14:15], v116, v1 src0_sel:BYTE_0 src1_sel:DWORD
	;; [unrolled: 5-line block ×3, first 2 shown]
	v_add_u32_e32 v57, v4, v121
	v_cndmask_b32_e64 v4, 0, v56, s[16:17]
	v_add_u32_e32 v90, v4, v18
	v_cndmask_b32_e64 v4, 0, v57, s[16:17]
	v_add_u32_e32 v91, v4, v19
	v_and_b32_sdwa v4, v116, s4 dst_sel:DWORD dst_unused:UNUSED_PAD src0_sel:WORD_1 src1_sel:DWORD
	v_cmp_eq_u16_e64 s[18:19], 0, v4
	v_cndmask_b32_e64 v4, 0, v90, s[18:19]
	v_add_u32_e32 v60, v4, v120
	v_cndmask_b32_e64 v4, 0, v91, s[18:19]
	v_cmp_eq_u16_sdwa s[20:21], v116, v1 src0_sel:BYTE_3 src1_sel:DWORD
	v_add_u32_e32 v61, v4, v119
	v_cndmask_b32_e64 v4, 0, v60, s[20:21]
	v_add_u32_e32 v92, v4, v22
	v_cndmask_b32_e64 v4, 0, v61, s[20:21]
	v_cmp_eq_u16_sdwa s[22:23], v107, v1 src0_sel:BYTE_0 src1_sel:DWORD
	v_add_u32_e32 v93, v4, v23
	v_cndmask_b32_e64 v4, 0, v92, s[22:23]
	v_add_u32_e32 v64, v4, v118
	v_cndmask_b32_e64 v4, 0, v93, s[22:23]
	v_cmp_eq_u16_sdwa s[24:25], v111, v1 src0_sel:BYTE_0 src1_sel:DWORD
	;; [unrolled: 5-line block ×3, first 2 shown]
	v_add_u32_e32 v95, v4, v31
	v_cndmask_b32_e64 v4, 0, v94, s[26:27]
	v_add_u32_e32 v68, v4, v115
	v_cndmask_b32_e64 v4, 0, v95, s[26:27]
	v_add_u32_e32 v69, v4, v114
	v_and_b32_sdwa v4, v111, s4 dst_sel:DWORD dst_unused:UNUSED_PAD src0_sel:WORD_1 src1_sel:DWORD
	v_cmp_eq_u16_e64 s[28:29], 0, v4
	v_cndmask_b32_e64 v4, 0, v68, s[28:29]
	v_add_u32_e32 v96, v4, v38
	v_cndmask_b32_e64 v4, 0, v69, s[28:29]
	v_cmp_eq_u16_sdwa s[30:31], v111, v1 src0_sel:BYTE_3 src1_sel:DWORD
	v_add_u32_e32 v97, v4, v39
	v_cndmask_b32_e64 v4, 0, v96, s[30:31]
	v_add_u32_e32 v72, v4, v113
	v_cndmask_b32_e64 v4, 0, v97, s[30:31]
	v_cmp_eq_u16_sdwa s[34:35], v105, v1 src0_sel:BYTE_0 src1_sel:DWORD
	v_or_b32_e32 v12, v108, v111
	v_add_u32_e32 v73, v4, v112
	v_cndmask_b32_e64 v4, 0, v72, s[34:35]
	v_or3_b32 v12, v12, v116, v123
	v_add_u32_e32 v98, v4, v42
	v_cndmask_b32_e64 v4, 0, v73, s[34:35]
	v_cmp_eq_u16_sdwa s[36:37], v108, v1 src0_sel:BYTE_0 src1_sel:DWORD
	v_lshrrev_b16_e32 v16, 7, v12
	v_add_u32_e32 v99, v4, v43
	v_cndmask_b32_e64 v4, 0, v98, s[36:37]
	v_and_b32_e32 v13, 1, v12
	v_and_b32_e32 v16, 2, v16
	v_add_u32_e32 v76, v4, v110
	v_cndmask_b32_e64 v4, 0, v99, s[36:37]
	v_cmp_eq_u16_sdwa s[38:39], v131, v1 src0_sel:BYTE_0 src1_sel:DWORD
	v_or_b32_e32 v13, v13, v16
	v_lshrrev_b32_e32 v16, 23, v12
	v_mov_b32_e32 v17, 1
	v_add_u32_e32 v77, v4, v109
	v_cndmask_b32_e64 v4, 0, v76, s[38:39]
	v_and_b32_e32 v16, 2, v16
	v_and_b32_sdwa v12, v12, v17 dst_sel:DWORD dst_unused:UNUSED_PAD src0_sel:WORD_1 src1_sel:DWORD
	v_add_u32_e32 v100, v4, v46
	v_cndmask_b32_e64 v4, 0, v77, s[38:39]
	v_or_b32_e32 v12, v12, v16
	v_add_u32_e32 v101, v4, v47
	v_and_b32_sdwa v4, v108, s4 dst_sel:DWORD dst_unused:UNUSED_PAD src0_sel:WORD_1 src1_sel:DWORD
	v_lshlrev_b16_e32 v12, 2, v12
	v_cmp_eq_u16_e64 s[40:41], 0, v4
	v_or_b32_e32 v12, v13, v12
	v_cndmask_b32_e64 v4, 0, v100, s[40:41]
	v_cmp_eq_u32_e64 s[50:51], 1, v130
	v_cmp_ne_u16_e64 s[52:53], 0, v12
	v_add_u32_e32 v80, v4, v34
	v_cndmask_b32_e64 v4, 0, v101, s[40:41]
	v_cmp_eq_u16_sdwa s[42:43], v108, v1 src0_sel:BYTE_3 src1_sel:DWORD
	v_cmp_eq_u32_e64 s[48:49], 1, v129
	s_or_b64 s[50:51], s[52:53], s[50:51]
	v_add_u32_e32 v81, v4, v35
	v_cndmask_b32_e64 v4, 0, v80, s[42:43]
	v_cmp_eq_u32_e64 s[46:47], 1, v128
	s_or_b64 s[48:49], s[50:51], s[48:49]
	v_add_u32_e32 v102, v4, v26
	v_cndmask_b32_e64 v4, 0, v81, s[42:43]
	v_cmp_eq_u32_e64 s[4:5], 1, v41
	s_or_b64 s[46:47], s[48:49], s[46:47]
	v_add_u32_e32 v103, v4, v27
	v_cmp_eq_u16_sdwa s[44:45], v40, v1 src0_sel:BYTE_0 src1_sel:DWORD
	v_and_b32_e32 v9, 0xff, v104
	s_or_b64 s[4:5], s[46:47], s[4:5]
	v_cndmask_b32_e64 v1, 0, v102, s[44:45]
	v_cndmask_b32_e64 v8, 0, v103, s[44:45]
	;; [unrolled: 1-line block ×3, first 2 shown]
	v_mbcnt_hi_u32_b32 v9, -1, v37
	v_add_u32_e32 v4, v1, v25
	v_add_u32_e32 v5, v8, v33
	v_and_b32_e32 v13, 15, v9
	v_mov_b32_dpp v16, v4 row_shr:1 row_mask:0xf bank_mask:0xf
	v_mov_b32_dpp v17, v5 row_shr:1 row_mask:0xf bank_mask:0xf
	;; [unrolled: 1-line block ×3, first 2 shown]
	v_cmp_ne_u32_e64 s[4:5], 0, v13
	s_and_saveexec_b64 s[46:47], s[4:5]
; %bb.210:
	v_cmp_eq_u32_e64 s[4:5], 0, v12
	v_cndmask_b32_e64 v16, 0, v16, s[4:5]
	v_add_u32_e32 v4, v4, v16
	v_cndmask_b32_e64 v16, 0, v17, s[4:5]
	v_add_u32_e32 v5, v5, v16
	v_and_or_b32 v12, v20, 1, v12
; %bb.211:
	s_or_b64 exec, exec, s[46:47]
	v_mov_b32_dpp v17, v4 row_shr:2 row_mask:0xf bank_mask:0xf
	v_mov_b32_dpp v20, v5 row_shr:2 row_mask:0xf bank_mask:0xf
	v_mov_b32_dpp v16, v12 row_shr:2 row_mask:0xf bank_mask:0xf
	v_cmp_lt_u32_e64 s[4:5], 1, v13
	s_and_saveexec_b64 s[46:47], s[4:5]
; %bb.212:
	v_add_u32_e32 v17, v17, v4
	v_add_u32_e32 v20, v20, v5
	v_cmp_eq_u32_e64 s[4:5], 0, v12
	v_or_b32_e32 v12, v16, v12
	v_cndmask_b32_e64 v4, v4, v17, s[4:5]
	v_cndmask_b32_e64 v5, v5, v20, s[4:5]
	v_and_b32_e32 v12, 1, v12
; %bb.213:
	s_or_b64 exec, exec, s[46:47]
	v_mov_b32_dpp v17, v4 row_shr:4 row_mask:0xf bank_mask:0xf
	v_mov_b32_dpp v20, v5 row_shr:4 row_mask:0xf bank_mask:0xf
	v_mov_b32_dpp v16, v12 row_shr:4 row_mask:0xf bank_mask:0xf
	v_cmp_lt_u32_e64 s[4:5], 3, v13
	s_and_saveexec_b64 s[46:47], s[4:5]
; %bb.214:
	v_add_u32_e32 v17, v17, v4
	v_add_u32_e32 v20, v20, v5
	v_cmp_eq_u32_e64 s[4:5], 0, v12
	v_or_b32_e32 v12, v16, v12
	v_cndmask_b32_e64 v4, v4, v17, s[4:5]
	v_cndmask_b32_e64 v5, v5, v20, s[4:5]
	v_and_b32_e32 v12, 1, v12
	;; [unrolled: 15-line block ×3, first 2 shown]
; %bb.217:
	s_or_b64 exec, exec, s[46:47]
	v_and_b32_e32 v20, 16, v9
	v_mov_b32_dpp v16, v4 row_bcast:15 row_mask:0xf bank_mask:0xf
	v_mov_b32_dpp v17, v5 row_bcast:15 row_mask:0xf bank_mask:0xf
	;; [unrolled: 1-line block ×3, first 2 shown]
	v_cmp_ne_u32_e64 s[4:5], 0, v20
	s_and_saveexec_b64 s[46:47], s[4:5]
; %bb.218:
	v_add_u32_e32 v16, v16, v4
	v_add_u32_e32 v17, v17, v5
	v_cmp_eq_u32_e64 s[4:5], 0, v12
	v_or_b32_e32 v12, v13, v12
	v_cndmask_b32_e64 v4, v4, v16, s[4:5]
	v_cndmask_b32_e64 v5, v5, v17, s[4:5]
	v_and_b32_e32 v12, 1, v12
; %bb.219:
	s_or_b64 exec, exec, s[46:47]
	v_mov_b32_dpp v16, v4 row_bcast:31 row_mask:0xf bank_mask:0xf
	v_mov_b32_dpp v17, v5 row_bcast:31 row_mask:0xf bank_mask:0xf
	;; [unrolled: 1-line block ×3, first 2 shown]
	v_cmp_lt_u32_e64 s[4:5], 31, v9
	s_and_saveexec_b64 s[46:47], s[4:5]
; %bb.220:
	v_add_u32_e32 v16, v16, v4
	v_add_u32_e32 v17, v17, v5
	v_cmp_eq_u32_e64 s[4:5], 0, v12
	v_or_b32_e32 v12, v13, v12
	v_cndmask_b32_e64 v4, v4, v16, s[4:5]
	v_cndmask_b32_e64 v5, v5, v17, s[4:5]
	v_and_b32_e32 v12, 1, v12
; %bb.221:
	s_or_b64 exec, exec, s[46:47]
	v_cmp_eq_u32_e64 s[4:5], 63, v0
	s_and_saveexec_b64 s[46:47], s[4:5]
	s_cbranch_execz .LBB1987_223
; %bb.222:
	v_mov_b32_e32 v13, 0
	ds_write_b64 v13, v[4:5]
	ds_write_b8 v13, v12 offset:8
.LBB1987_223:
	s_or_b64 exec, exec, s[46:47]
	v_add_u32_e32 v12, -1, v9
	v_and_b32_e32 v13, 64, v9
	v_cmp_lt_i32_e64 s[4:5], v12, v13
	v_cndmask_b32_e64 v9, v12, v9, s[4:5]
	v_lshlrev_b32_e32 v9, 2, v9
	ds_bpermute_b32 v4, v9, v4
	ds_bpermute_b32 v5, v9, v5
	s_waitcnt lgkmcnt(0)
	; wave barrier
	s_waitcnt lgkmcnt(0)
	s_and_saveexec_b64 s[46:47], s[54:55]
	s_cbranch_execz .LBB1987_225
; %bb.224:
	v_mov_b32_e32 v1, 0
	v_cmp_eq_u16_sdwa s[4:5], v104, v1 src0_sel:BYTE_0 src1_sel:DWORD
	v_cndmask_b32_e64 v1, 0, v5, s[4:5]
	v_add_u32_e32 v3, v1, v3
	v_cndmask_b32_e64 v1, 0, v4, s[4:5]
	v_add_u32_e32 v2, v1, v2
	v_cndmask_b32_e32 v1, 0, v2, vcc
	v_add_u32_e32 v44, v1, v6
	v_cndmask_b32_e32 v1, 0, v3, vcc
	v_add_u32_e32 v45, v1, v7
	v_cndmask_b32_e64 v1, 0, v44, s[6:7]
	v_add_u32_e32 v48, v1, v127
	v_cndmask_b32_e64 v1, 0, v45, s[6:7]
	;; [unrolled: 2-line block ×37, first 2 shown]
	v_cndmask_b32_e64 v8, 0, v103, s[44:45]
	;;#ASMSTART
	;;#ASMEND
.LBB1987_225:
	s_or_b64 exec, exec, s[46:47]
	s_and_saveexec_b64 s[4:5], s[86:87]
	s_cbranch_execz .LBB1987_227
; %bb.226:
	v_mov_b32_e32 v6, 0
	ds_read_b64 v[4:5], v6
	s_add_u32 s2, s80, 0x400
	s_mov_b32 s6, 0
	s_addc_u32 s3, s81, 0
	s_mov_b32 s10, s6
	s_waitcnt lgkmcnt(0)
	v_readfirstlane_b32 s12, v5
	s_bfe_u32 s8, s12, 0x80010
	s_and_b32 s7, s12, 0xff000000
	s_lshl_b32 s9, s8, 16
	s_mov_b32 s8, s6
	s_and_b32 s11, s12, 0xff00
	s_and_b32 s12, s12, 0xff
	s_or_b64 s[6:7], s[6:7], s[8:9]
	s_or_b64 s[6:7], s[6:7], s[10:11]
	v_mov_b32_e32 v5, s12
	ds_read_u8 v6, v6 offset:8
	v_or_b32_e32 v4, s6, v4
	v_or_b32_e32 v5, s7, v5
	v_mov_b32_e32 v7, 2
	v_pk_mov_b32 v[10:11], s[2:3], s[2:3] op_sel:[0,1]
	s_waitcnt lgkmcnt(0)
	;;#ASMSTART
	global_store_dwordx4 v[10:11], v[4:7] off	
s_waitcnt vmcnt(0)
	;;#ASMEND
.LBB1987_227:
	s_or_b64 exec, exec, s[4:5]
	v_mov_b32_e32 v83, v3
	v_mov_b32_e32 v82, v2
.LBB1987_228:
	s_add_u32 s2, s78, s72
	s_addc_u32 s3, s79, s73
	s_add_u32 s42, s2, s92
	v_add_u32_e32 v43, v8, v33
	v_add_u32_e32 v42, v1, v25
	s_addc_u32 s43, s3, s93
	s_and_b64 vcc, exec, s[68:69]
	s_cbranch_vccz .LBB1987_310
; %bb.229:
	s_add_i32 s33, s74, s82
	v_mul_u32_u24_e32 v1, 21, v0
	v_pk_mov_b32 v[8:9], 0, 0
	v_cmp_gt_u32_e32 vcc, s33, v1
	v_pk_mov_b32 v[4:5], v[8:9], v[8:9] op_sel:[0,1]
	v_pk_mov_b32 v[2:3], v[8:9], v[8:9] op_sel:[0,1]
	;; [unrolled: 1-line block ×20, first 2 shown]
	s_and_saveexec_b64 s[0:1], vcc
	s_cbranch_execz .LBB1987_269
; %bb.230:
	v_add_u32_e32 v2, 1, v1
	v_pk_mov_b32 v[40:41], 0, 0
	v_cmp_gt_u32_e32 vcc, s33, v2
	v_pk_mov_b32 v[38:39], v[40:41], v[40:41] op_sel:[0,1]
	v_pk_mov_b32 v[36:37], v[40:41], v[40:41] op_sel:[0,1]
	;; [unrolled: 1-line block ×19, first 2 shown]
	s_and_saveexec_b64 s[2:3], vcc
	s_cbranch_execz .LBB1987_268
; %bb.231:
	v_add_u32_e32 v2, 2, v1
	v_pk_mov_b32 v[38:39], 0, 0
	v_cmp_gt_u32_e32 vcc, s33, v2
	v_pk_mov_b32 v[36:37], v[38:39], v[38:39] op_sel:[0,1]
	v_pk_mov_b32 v[34:35], v[38:39], v[38:39] op_sel:[0,1]
	;; [unrolled: 1-line block ×18, first 2 shown]
	s_and_saveexec_b64 s[4:5], vcc
	s_cbranch_execz .LBB1987_267
; %bb.232:
	v_add_u32_e32 v2, 3, v1
	v_pk_mov_b32 v[36:37], 0, 0
	v_cmp_gt_u32_e32 vcc, s33, v2
	v_pk_mov_b32 v[34:35], v[36:37], v[36:37] op_sel:[0,1]
	v_pk_mov_b32 v[32:33], v[36:37], v[36:37] op_sel:[0,1]
	;; [unrolled: 1-line block ×17, first 2 shown]
	s_and_saveexec_b64 s[6:7], vcc
	s_cbranch_execz .LBB1987_266
; %bb.233:
	v_add_u32_e32 v2, 4, v1
	v_pk_mov_b32 v[34:35], 0, 0
	v_cmp_gt_u32_e32 vcc, s33, v2
	v_pk_mov_b32 v[32:33], v[34:35], v[34:35] op_sel:[0,1]
	v_pk_mov_b32 v[30:31], v[34:35], v[34:35] op_sel:[0,1]
	;; [unrolled: 1-line block ×16, first 2 shown]
	s_and_saveexec_b64 s[8:9], vcc
	s_cbranch_execz .LBB1987_265
; %bb.234:
	v_add_u32_e32 v2, 5, v1
	v_pk_mov_b32 v[32:33], 0, 0
	v_cmp_gt_u32_e32 vcc, s33, v2
	v_pk_mov_b32 v[30:31], v[32:33], v[32:33] op_sel:[0,1]
	v_pk_mov_b32 v[28:29], v[32:33], v[32:33] op_sel:[0,1]
	;; [unrolled: 1-line block ×15, first 2 shown]
	s_and_saveexec_b64 s[10:11], vcc
	s_cbranch_execz .LBB1987_264
; %bb.235:
	v_add_u32_e32 v2, 6, v1
	v_pk_mov_b32 v[30:31], 0, 0
	v_cmp_gt_u32_e32 vcc, s33, v2
	v_pk_mov_b32 v[28:29], v[30:31], v[30:31] op_sel:[0,1]
	v_pk_mov_b32 v[26:27], v[30:31], v[30:31] op_sel:[0,1]
	;; [unrolled: 1-line block ×14, first 2 shown]
	s_and_saveexec_b64 s[12:13], vcc
	s_cbranch_execz .LBB1987_263
; %bb.236:
	v_add_u32_e32 v2, 7, v1
	v_pk_mov_b32 v[28:29], 0, 0
	v_cmp_gt_u32_e32 vcc, s33, v2
	v_pk_mov_b32 v[26:27], v[28:29], v[28:29] op_sel:[0,1]
	v_pk_mov_b32 v[24:25], v[28:29], v[28:29] op_sel:[0,1]
	;; [unrolled: 1-line block ×13, first 2 shown]
	s_and_saveexec_b64 s[14:15], vcc
	s_cbranch_execz .LBB1987_262
; %bb.237:
	v_add_u32_e32 v2, 8, v1
	v_pk_mov_b32 v[26:27], 0, 0
	v_cmp_gt_u32_e32 vcc, s33, v2
	v_pk_mov_b32 v[24:25], v[26:27], v[26:27] op_sel:[0,1]
	v_pk_mov_b32 v[22:23], v[26:27], v[26:27] op_sel:[0,1]
	;; [unrolled: 1-line block ×12, first 2 shown]
	s_and_saveexec_b64 s[16:17], vcc
	s_cbranch_execz .LBB1987_261
; %bb.238:
	v_add_u32_e32 v2, 9, v1
	v_pk_mov_b32 v[24:25], 0, 0
	v_cmp_gt_u32_e32 vcc, s33, v2
	v_pk_mov_b32 v[22:23], v[24:25], v[24:25] op_sel:[0,1]
	v_pk_mov_b32 v[20:21], v[24:25], v[24:25] op_sel:[0,1]
	;; [unrolled: 1-line block ×11, first 2 shown]
	s_and_saveexec_b64 s[18:19], vcc
	s_cbranch_execz .LBB1987_260
; %bb.239:
	v_add_u32_e32 v2, 10, v1
	v_pk_mov_b32 v[22:23], 0, 0
	v_cmp_gt_u32_e32 vcc, s33, v2
	v_pk_mov_b32 v[20:21], v[22:23], v[22:23] op_sel:[0,1]
	v_pk_mov_b32 v[18:19], v[22:23], v[22:23] op_sel:[0,1]
	;; [unrolled: 1-line block ×10, first 2 shown]
	s_and_saveexec_b64 s[20:21], vcc
	s_cbranch_execz .LBB1987_259
; %bb.240:
	v_add_u32_e32 v2, 11, v1
	v_pk_mov_b32 v[20:21], 0, 0
	v_cmp_gt_u32_e32 vcc, s33, v2
	v_pk_mov_b32 v[18:19], v[20:21], v[20:21] op_sel:[0,1]
	v_pk_mov_b32 v[16:17], v[20:21], v[20:21] op_sel:[0,1]
	;; [unrolled: 1-line block ×9, first 2 shown]
	s_and_saveexec_b64 s[22:23], vcc
	s_cbranch_execz .LBB1987_258
; %bb.241:
	v_add_u32_e32 v2, 12, v1
	v_pk_mov_b32 v[18:19], 0, 0
	v_cmp_gt_u32_e32 vcc, s33, v2
	v_pk_mov_b32 v[16:17], v[18:19], v[18:19] op_sel:[0,1]
	v_pk_mov_b32 v[14:15], v[18:19], v[18:19] op_sel:[0,1]
	;; [unrolled: 1-line block ×8, first 2 shown]
	s_and_saveexec_b64 s[24:25], vcc
	s_cbranch_execz .LBB1987_257
; %bb.242:
	v_add_u32_e32 v2, 13, v1
	v_pk_mov_b32 v[16:17], 0, 0
	v_cmp_gt_u32_e32 vcc, s33, v2
	v_pk_mov_b32 v[14:15], v[16:17], v[16:17] op_sel:[0,1]
	v_pk_mov_b32 v[12:13], v[16:17], v[16:17] op_sel:[0,1]
	;; [unrolled: 1-line block ×7, first 2 shown]
	s_and_saveexec_b64 s[26:27], vcc
	s_cbranch_execz .LBB1987_256
; %bb.243:
	v_add_u32_e32 v2, 14, v1
	v_pk_mov_b32 v[14:15], 0, 0
	v_cmp_gt_u32_e32 vcc, s33, v2
	v_pk_mov_b32 v[12:13], v[14:15], v[14:15] op_sel:[0,1]
	v_pk_mov_b32 v[10:11], v[14:15], v[14:15] op_sel:[0,1]
	;; [unrolled: 1-line block ×6, first 2 shown]
	s_and_saveexec_b64 s[28:29], vcc
	s_cbranch_execz .LBB1987_255
; %bb.244:
	v_add_u32_e32 v2, 15, v1
	v_pk_mov_b32 v[12:13], 0, 0
	v_cmp_gt_u32_e32 vcc, s33, v2
	v_pk_mov_b32 v[10:11], v[12:13], v[12:13] op_sel:[0,1]
	v_pk_mov_b32 v[6:7], v[12:13], v[12:13] op_sel:[0,1]
	;; [unrolled: 1-line block ×5, first 2 shown]
	s_and_saveexec_b64 s[30:31], vcc
	s_cbranch_execz .LBB1987_254
; %bb.245:
	v_add_u32_e32 v2, 16, v1
	v_pk_mov_b32 v[10:11], 0, 0
	v_cmp_gt_u32_e32 vcc, s33, v2
	v_pk_mov_b32 v[6:7], v[10:11], v[10:11] op_sel:[0,1]
	v_pk_mov_b32 v[2:3], v[10:11], v[10:11] op_sel:[0,1]
	;; [unrolled: 1-line block ×4, first 2 shown]
	s_and_saveexec_b64 s[34:35], vcc
	s_cbranch_execz .LBB1987_253
; %bb.246:
	v_add_u32_e32 v2, 17, v1
	v_pk_mov_b32 v[6:7], 0, 0
	v_cmp_gt_u32_e32 vcc, s33, v2
	v_pk_mov_b32 v[2:3], v[6:7], v[6:7] op_sel:[0,1]
	v_pk_mov_b32 v[4:5], v[6:7], v[6:7] op_sel:[0,1]
	;; [unrolled: 1-line block ×3, first 2 shown]
	s_and_saveexec_b64 s[36:37], vcc
	s_cbranch_execz .LBB1987_252
; %bb.247:
	v_add_u32_e32 v2, 18, v1
	v_cmp_gt_u32_e32 vcc, s33, v2
	v_pk_mov_b32 v[2:3], 0, 0
	v_pk_mov_b32 v[4:5], v[2:3], v[2:3] op_sel:[0,1]
	v_pk_mov_b32 v[8:9], v[2:3], v[2:3] op_sel:[0,1]
	s_and_saveexec_b64 s[38:39], vcc
	s_cbranch_execz .LBB1987_251
; %bb.248:
	v_add_u32_e32 v2, 19, v1
	v_pk_mov_b32 v[4:5], 0, 0
	v_cmp_gt_u32_e32 vcc, s33, v2
	v_pk_mov_b32 v[8:9], v[4:5], v[4:5] op_sel:[0,1]
	s_and_saveexec_b64 s[40:41], vcc
; %bb.249:
	v_add_u32_e32 v2, 20, v1
	v_cmp_gt_u32_e32 vcc, s33, v2
	v_cndmask_b32_e32 v9, 0, v43, vcc
	v_cndmask_b32_e32 v8, 0, v42, vcc
	v_pk_mov_b32 v[4:5], v[102:103], v[102:103] op_sel:[0,1]
; %bb.250:
	s_or_b64 exec, exec, s[40:41]
	v_pk_mov_b32 v[2:3], v[80:81], v[80:81] op_sel:[0,1]
.LBB1987_251:
	s_or_b64 exec, exec, s[38:39]
	v_pk_mov_b32 v[6:7], v[100:101], v[100:101] op_sel:[0,1]
.LBB1987_252:
	s_or_b64 exec, exec, s[36:37]
	v_pk_mov_b32 v[10:11], v[76:77], v[76:77] op_sel:[0,1]
.LBB1987_253:
	s_or_b64 exec, exec, s[34:35]
	v_pk_mov_b32 v[12:13], v[98:99], v[98:99] op_sel:[0,1]
.LBB1987_254:
	s_or_b64 exec, exec, s[30:31]
	v_pk_mov_b32 v[14:15], v[72:73], v[72:73] op_sel:[0,1]
.LBB1987_255:
	s_or_b64 exec, exec, s[28:29]
	v_pk_mov_b32 v[16:17], v[96:97], v[96:97] op_sel:[0,1]
.LBB1987_256:
	s_or_b64 exec, exec, s[26:27]
	v_pk_mov_b32 v[18:19], v[68:69], v[68:69] op_sel:[0,1]
.LBB1987_257:
	s_or_b64 exec, exec, s[24:25]
	v_pk_mov_b32 v[20:21], v[94:95], v[94:95] op_sel:[0,1]
.LBB1987_258:
	s_or_b64 exec, exec, s[22:23]
	v_pk_mov_b32 v[22:23], v[64:65], v[64:65] op_sel:[0,1]
.LBB1987_259:
	s_or_b64 exec, exec, s[20:21]
	v_pk_mov_b32 v[24:25], v[92:93], v[92:93] op_sel:[0,1]
.LBB1987_260:
	s_or_b64 exec, exec, s[18:19]
	v_pk_mov_b32 v[26:27], v[60:61], v[60:61] op_sel:[0,1]
.LBB1987_261:
	s_or_b64 exec, exec, s[16:17]
	v_pk_mov_b32 v[28:29], v[90:91], v[90:91] op_sel:[0,1]
.LBB1987_262:
	s_or_b64 exec, exec, s[14:15]
	v_pk_mov_b32 v[30:31], v[56:57], v[56:57] op_sel:[0,1]
.LBB1987_263:
	s_or_b64 exec, exec, s[12:13]
	v_pk_mov_b32 v[32:33], v[88:89], v[88:89] op_sel:[0,1]
.LBB1987_264:
	s_or_b64 exec, exec, s[10:11]
	v_pk_mov_b32 v[34:35], v[52:53], v[52:53] op_sel:[0,1]
.LBB1987_265:
	s_or_b64 exec, exec, s[8:9]
	v_pk_mov_b32 v[36:37], v[86:87], v[86:87] op_sel:[0,1]
.LBB1987_266:
	s_or_b64 exec, exec, s[6:7]
	v_pk_mov_b32 v[38:39], v[48:49], v[48:49] op_sel:[0,1]
.LBB1987_267:
	s_or_b64 exec, exec, s[4:5]
	v_pk_mov_b32 v[40:41], v[44:45], v[44:45] op_sel:[0,1]
.LBB1987_268:
	s_or_b64 exec, exec, s[2:3]
	v_pk_mov_b32 v[46:47], v[82:83], v[82:83] op_sel:[0,1]
.LBB1987_269:
	s_or_b64 exec, exec, s[0:1]
	v_lshlrev_b32_e32 v50, 3, v1
	s_movk_i32 s0, 0xff60
	s_waitcnt lgkmcnt(0)
	; wave barrier
	ds_write2_b64 v50, v[46:47], v[40:41] offset1:1
	ds_write2_b64 v50, v[38:39], v[36:37] offset0:2 offset1:3
	ds_write2_b64 v50, v[34:35], v[32:33] offset0:4 offset1:5
	ds_write2_b64 v50, v[30:31], v[28:29] offset0:6 offset1:7
	ds_write2_b64 v50, v[26:27], v[24:25] offset0:8 offset1:9
	ds_write2_b64 v50, v[22:23], v[20:21] offset0:10 offset1:11
	ds_write2_b64 v50, v[18:19], v[16:17] offset0:12 offset1:13
	ds_write2_b64 v50, v[14:15], v[12:13] offset0:14 offset1:15
	ds_write2_b64 v50, v[10:11], v[6:7] offset0:16 offset1:17
	ds_write2_b64 v50, v[2:3], v[4:5] offset0:18 offset1:19
	ds_write_b64 v50, v[8:9] offset:160
	v_mad_i32_i24 v2, v0, s0, v50
	s_waitcnt lgkmcnt(0)
	; wave barrier
	s_waitcnt lgkmcnt(0)
	ds_read2st64_b64 v[38:41], v2 offset0:1 offset1:2
	ds_read2st64_b64 v[34:37], v2 offset0:3 offset1:4
	;; [unrolled: 1-line block ×10, first 2 shown]
	v_lshlrev_b32_e32 v46, 3, v0
	v_mov_b32_e32 v47, s43
	v_add_co_u32_e32 v46, vcc, s42, v46
	v_addc_co_u32_e32 v47, vcc, 0, v47, vcc
	v_mov_b32_e32 v1, 0
	v_cmp_gt_u32_e32 vcc, s33, v0
	s_and_saveexec_b64 s[0:1], vcc
	s_cbranch_execz .LBB1987_271
; %bb.270:
	v_mul_i32_i24_e32 v51, 0xffffff60, v0
	v_add_u32_e32 v50, v50, v51
	ds_read_b64 v[50:51], v50
	s_waitcnt lgkmcnt(0)
	flat_store_dwordx2 v[46:47], v[50:51]
.LBB1987_271:
	s_or_b64 exec, exec, s[0:1]
	v_or_b32_e32 v50, 64, v0
	v_cmp_gt_u32_e32 vcc, s33, v50
	s_and_saveexec_b64 s[0:1], vcc
	s_cbranch_execz .LBB1987_273
; %bb.272:
	s_waitcnt lgkmcnt(0)
	flat_store_dwordx2 v[46:47], v[38:39] offset:512
.LBB1987_273:
	s_or_b64 exec, exec, s[0:1]
	s_waitcnt lgkmcnt(0)
	v_or_b32_e32 v38, 0x80, v0
	v_cmp_gt_u32_e32 vcc, s33, v38
	s_and_saveexec_b64 s[0:1], vcc
	s_cbranch_execz .LBB1987_275
; %bb.274:
	flat_store_dwordx2 v[46:47], v[40:41] offset:1024
.LBB1987_275:
	s_or_b64 exec, exec, s[0:1]
	v_or_b32_e32 v38, 0xc0, v0
	v_cmp_gt_u32_e32 vcc, s33, v38
	s_and_saveexec_b64 s[0:1], vcc
	s_cbranch_execz .LBB1987_277
; %bb.276:
	flat_store_dwordx2 v[46:47], v[34:35] offset:1536
.LBB1987_277:
	s_or_b64 exec, exec, s[0:1]
	;; [unrolled: 8-line block ×6, first 2 shown]
	v_or_b32_e32 v26, 0x200, v0
	v_cmp_gt_u32_e32 vcc, s33, v26
	s_and_saveexec_b64 s[0:1], vcc
	s_cbranch_execz .LBB1987_287
; %bb.286:
	v_add_co_u32_e32 v26, vcc, 0x1000, v46
	v_addc_co_u32_e32 v27, vcc, 0, v47, vcc
	flat_store_dwordx2 v[26:27], v[28:29]
.LBB1987_287:
	s_or_b64 exec, exec, s[0:1]
	v_or_b32_e32 v26, 0x240, v0
	v_cmp_gt_u32_e32 vcc, s33, v26
	s_and_saveexec_b64 s[0:1], vcc
	s_cbranch_execz .LBB1987_289
; %bb.288:
	v_add_co_u32_e32 v26, vcc, 0x1000, v46
	v_addc_co_u32_e32 v27, vcc, 0, v47, vcc
	flat_store_dwordx2 v[26:27], v[22:23] offset:512
.LBB1987_289:
	s_or_b64 exec, exec, s[0:1]
	v_or_b32_e32 v22, 0x280, v0
	v_cmp_gt_u32_e32 vcc, s33, v22
	s_and_saveexec_b64 s[0:1], vcc
	s_cbranch_execz .LBB1987_291
; %bb.290:
	v_add_co_u32_e32 v22, vcc, 0x1000, v46
	v_addc_co_u32_e32 v23, vcc, 0, v47, vcc
	flat_store_dwordx2 v[22:23], v[24:25] offset:1024
.LBB1987_291:
	;; [unrolled: 10-line block ×7, first 2 shown]
	s_or_b64 exec, exec, s[0:1]
	v_or_b32_e32 v10, 0x400, v0
	v_cmp_gt_u32_e32 vcc, s33, v10
	s_and_saveexec_b64 s[0:1], vcc
	s_cbranch_execz .LBB1987_303
; %bb.302:
	v_add_co_u32_e32 v10, vcc, 0x2000, v46
	v_addc_co_u32_e32 v11, vcc, 0, v47, vcc
	flat_store_dwordx2 v[10:11], v[12:13]
.LBB1987_303:
	s_or_b64 exec, exec, s[0:1]
	v_or_b32_e32 v10, 0x440, v0
	v_cmp_gt_u32_e32 vcc, s33, v10
	s_and_saveexec_b64 s[0:1], vcc
	s_cbranch_execz .LBB1987_305
; %bb.304:
	v_add_co_u32_e32 v10, vcc, 0x2000, v46
	v_addc_co_u32_e32 v11, vcc, 0, v47, vcc
	flat_store_dwordx2 v[10:11], v[6:7] offset:512
.LBB1987_305:
	s_or_b64 exec, exec, s[0:1]
	v_or_b32_e32 v6, 0x480, v0
	v_cmp_gt_u32_e32 vcc, s33, v6
	s_and_saveexec_b64 s[0:1], vcc
	s_cbranch_execz .LBB1987_307
; %bb.306:
	v_add_co_u32_e32 v6, vcc, 0x2000, v46
	v_addc_co_u32_e32 v7, vcc, 0, v47, vcc
	flat_store_dwordx2 v[6:7], v[8:9] offset:1024
.LBB1987_307:
	;; [unrolled: 10-line block ×3, first 2 shown]
	s_or_b64 exec, exec, s[0:1]
	v_or_b32_e32 v2, 0x500, v0
	v_cmp_gt_u32_e64 s[0:1], s33, v2
	s_branch .LBB1987_312
.LBB1987_310:
	s_mov_b64 s[0:1], 0
                                        ; kill: def $vgpr2_vgpr3 killed $sgpr0_sgpr1 killed $exec
                                        ; implicit-def: $vgpr4_vgpr5
	s_cbranch_execz .LBB1987_312
; %bb.311:
	s_movk_i32 s2, 0xa8
	v_mul_i32_i24_e32 v2, 0xffffff60, v0
	v_mul_u32_u24_e32 v1, 0xa8, v0
	v_mad_u32_u24 v2, v0, s2, v2
	s_waitcnt lgkmcnt(0)
	; wave barrier
	s_waitcnt lgkmcnt(0)
	ds_write2_b64 v1, v[82:83], v[44:45] offset1:1
	ds_write2_b64 v1, v[48:49], v[86:87] offset0:2 offset1:3
	ds_write2_b64 v1, v[52:53], v[88:89] offset0:4 offset1:5
	;; [unrolled: 1-line block ×9, first 2 shown]
	ds_write_b64 v1, v[42:43] offset:160
	s_waitcnt lgkmcnt(0)
	; wave barrier
	s_waitcnt lgkmcnt(0)
	ds_read2st64_b64 v[6:9], v2 offset1:1
	ds_read2st64_b64 v[10:13], v2 offset0:2 offset1:3
	ds_read2st64_b64 v[14:17], v2 offset0:4 offset1:5
	;; [unrolled: 1-line block ×9, first 2 shown]
	ds_read_b64 v[4:5], v2 offset:10240
	v_lshlrev_b32_e32 v2, 3, v0
	v_mov_b32_e32 v3, s43
	v_add_co_u32_e32 v2, vcc, s42, v2
	v_addc_co_u32_e32 v3, vcc, 0, v3, vcc
	s_movk_i32 s2, 0x1000
	s_waitcnt lgkmcnt(0)
	flat_store_dwordx2 v[2:3], v[6:7]
	flat_store_dwordx2 v[2:3], v[8:9] offset:512
	flat_store_dwordx2 v[2:3], v[10:11] offset:1024
	;; [unrolled: 1-line block ×7, first 2 shown]
	v_add_co_u32_e32 v6, vcc, s2, v2
	v_addc_co_u32_e32 v7, vcc, 0, v3, vcc
	v_add_co_u32_e32 v2, vcc, 0x2000, v2
	v_mov_b32_e32 v1, 0
	v_addc_co_u32_e32 v3, vcc, 0, v3, vcc
	s_or_b64 s[0:1], s[0:1], exec
	flat_store_dwordx2 v[6:7], v[22:23]
	flat_store_dwordx2 v[6:7], v[24:25] offset:512
	flat_store_dwordx2 v[6:7], v[26:27] offset:1024
	;; [unrolled: 1-line block ×7, first 2 shown]
	flat_store_dwordx2 v[2:3], v[38:39]
	flat_store_dwordx2 v[2:3], v[40:41] offset:512
	flat_store_dwordx2 v[2:3], v[42:43] offset:1024
	;; [unrolled: 1-line block ×3, first 2 shown]
.LBB1987_312:
	s_and_saveexec_b64 s[2:3], s[0:1]
	s_cbranch_execnz .LBB1987_314
; %bb.313:
	s_endpgm
.LBB1987_314:
	v_lshlrev_b64 v[0:1], 3, v[0:1]
	v_mov_b32_e32 v2, s43
	v_add_co_u32_e32 v0, vcc, s42, v0
	v_addc_co_u32_e32 v1, vcc, v2, v1, vcc
	v_add_co_u32_e32 v0, vcc, 0x2000, v0
	v_addc_co_u32_e32 v1, vcc, 0, v1, vcc
	flat_store_dwordx2 v[0:1], v[4:5] offset:2048
	s_endpgm
.LBB1987_315:
	v_lshlrev_b32_e32 v1, 3, v62
	v_mov_b32_e32 v61, s63
	v_add_co_u32_e32 v60, vcc, s62, v1
	v_addc_co_u32_e32 v61, vcc, 0, v61, vcc
	flat_load_dwordx2 v[60:61], v[60:61]
	s_or_b64 exec, exec, s[4:5]
	s_and_saveexec_b64 s[4:5], s[46:47]
	s_cbranch_execz .LBB1987_91
.LBB1987_316:
	v_lshlrev_b32_e32 v1, 3, v63
	v_mov_b32_e32 v59, s63
	v_add_co_u32_e32 v58, vcc, s62, v1
	v_addc_co_u32_e32 v59, vcc, 0, v59, vcc
	flat_load_dwordx2 v[58:59], v[58:59]
	s_or_b64 exec, exec, s[4:5]
	v_pk_mov_b32 v[62:63], 0, 0
	s_and_saveexec_b64 s[4:5], s[48:49]
	s_cbranch_execnz .LBB1987_92
	s_branch .LBB1987_93
.LBB1987_317:
                                        ; implicit-def: $sgpr4_sgpr5
	s_branch .LBB1987_50
.LBB1987_318:
                                        ; implicit-def: $sgpr4_sgpr5
	s_branch .LBB1987_138
	.section	.rodata,"a",@progbits
	.p2align	6, 0x0
	.amdhsa_kernel _ZN7rocprim17ROCPRIM_400000_NS6detail17trampoline_kernelINS0_14default_configENS1_27scan_by_key_config_selectorIj11FixedVectorIiLj2EEEEZZNS1_16scan_by_key_implILNS1_25lookback_scan_determinismE0ELb0ES3_N6thrust23THRUST_200600_302600_NS6detail15normal_iteratorINSB_10device_ptrIjEEEENSD_INSE_IS6_EEEESI_S6_NSB_4plusIvEENSB_8equal_toIvEES6_EE10hipError_tPvRmT2_T3_T4_T5_mT6_T7_P12ihipStream_tbENKUlT_T0_E_clISt17integral_constantIbLb0EES12_IbLb1EEEEDaSY_SZ_EUlSY_E_NS1_11comp_targetILNS1_3genE4ELNS1_11target_archE910ELNS1_3gpuE8ELNS1_3repE0EEENS1_30default_config_static_selectorELNS0_4arch9wavefront6targetE1EEEvT1_
		.amdhsa_group_segment_fixed_size 10752
		.amdhsa_private_segment_fixed_size 0
		.amdhsa_kernarg_size 120
		.amdhsa_user_sgpr_count 6
		.amdhsa_user_sgpr_private_segment_buffer 1
		.amdhsa_user_sgpr_dispatch_ptr 0
		.amdhsa_user_sgpr_queue_ptr 0
		.amdhsa_user_sgpr_kernarg_segment_ptr 1
		.amdhsa_user_sgpr_dispatch_id 0
		.amdhsa_user_sgpr_flat_scratch_init 0
		.amdhsa_user_sgpr_kernarg_preload_length 0
		.amdhsa_user_sgpr_kernarg_preload_offset 0
		.amdhsa_user_sgpr_private_segment_size 0
		.amdhsa_uses_dynamic_stack 0
		.amdhsa_system_sgpr_private_segment_wavefront_offset 0
		.amdhsa_system_sgpr_workgroup_id_x 1
		.amdhsa_system_sgpr_workgroup_id_y 0
		.amdhsa_system_sgpr_workgroup_id_z 0
		.amdhsa_system_sgpr_workgroup_info 0
		.amdhsa_system_vgpr_workitem_id 0
		.amdhsa_next_free_vgpr 136
		.amdhsa_next_free_sgpr 96
		.amdhsa_accum_offset 136
		.amdhsa_reserve_vcc 1
		.amdhsa_reserve_flat_scratch 0
		.amdhsa_float_round_mode_32 0
		.amdhsa_float_round_mode_16_64 0
		.amdhsa_float_denorm_mode_32 3
		.amdhsa_float_denorm_mode_16_64 3
		.amdhsa_dx10_clamp 1
		.amdhsa_ieee_mode 1
		.amdhsa_fp16_overflow 0
		.amdhsa_tg_split 0
		.amdhsa_exception_fp_ieee_invalid_op 0
		.amdhsa_exception_fp_denorm_src 0
		.amdhsa_exception_fp_ieee_div_zero 0
		.amdhsa_exception_fp_ieee_overflow 0
		.amdhsa_exception_fp_ieee_underflow 0
		.amdhsa_exception_fp_ieee_inexact 0
		.amdhsa_exception_int_div_zero 0
	.end_amdhsa_kernel
	.section	.text._ZN7rocprim17ROCPRIM_400000_NS6detail17trampoline_kernelINS0_14default_configENS1_27scan_by_key_config_selectorIj11FixedVectorIiLj2EEEEZZNS1_16scan_by_key_implILNS1_25lookback_scan_determinismE0ELb0ES3_N6thrust23THRUST_200600_302600_NS6detail15normal_iteratorINSB_10device_ptrIjEEEENSD_INSE_IS6_EEEESI_S6_NSB_4plusIvEENSB_8equal_toIvEES6_EE10hipError_tPvRmT2_T3_T4_T5_mT6_T7_P12ihipStream_tbENKUlT_T0_E_clISt17integral_constantIbLb0EES12_IbLb1EEEEDaSY_SZ_EUlSY_E_NS1_11comp_targetILNS1_3genE4ELNS1_11target_archE910ELNS1_3gpuE8ELNS1_3repE0EEENS1_30default_config_static_selectorELNS0_4arch9wavefront6targetE1EEEvT1_,"axG",@progbits,_ZN7rocprim17ROCPRIM_400000_NS6detail17trampoline_kernelINS0_14default_configENS1_27scan_by_key_config_selectorIj11FixedVectorIiLj2EEEEZZNS1_16scan_by_key_implILNS1_25lookback_scan_determinismE0ELb0ES3_N6thrust23THRUST_200600_302600_NS6detail15normal_iteratorINSB_10device_ptrIjEEEENSD_INSE_IS6_EEEESI_S6_NSB_4plusIvEENSB_8equal_toIvEES6_EE10hipError_tPvRmT2_T3_T4_T5_mT6_T7_P12ihipStream_tbENKUlT_T0_E_clISt17integral_constantIbLb0EES12_IbLb1EEEEDaSY_SZ_EUlSY_E_NS1_11comp_targetILNS1_3genE4ELNS1_11target_archE910ELNS1_3gpuE8ELNS1_3repE0EEENS1_30default_config_static_selectorELNS0_4arch9wavefront6targetE1EEEvT1_,comdat
.Lfunc_end1987:
	.size	_ZN7rocprim17ROCPRIM_400000_NS6detail17trampoline_kernelINS0_14default_configENS1_27scan_by_key_config_selectorIj11FixedVectorIiLj2EEEEZZNS1_16scan_by_key_implILNS1_25lookback_scan_determinismE0ELb0ES3_N6thrust23THRUST_200600_302600_NS6detail15normal_iteratorINSB_10device_ptrIjEEEENSD_INSE_IS6_EEEESI_S6_NSB_4plusIvEENSB_8equal_toIvEES6_EE10hipError_tPvRmT2_T3_T4_T5_mT6_T7_P12ihipStream_tbENKUlT_T0_E_clISt17integral_constantIbLb0EES12_IbLb1EEEEDaSY_SZ_EUlSY_E_NS1_11comp_targetILNS1_3genE4ELNS1_11target_archE910ELNS1_3gpuE8ELNS1_3repE0EEENS1_30default_config_static_selectorELNS0_4arch9wavefront6targetE1EEEvT1_, .Lfunc_end1987-_ZN7rocprim17ROCPRIM_400000_NS6detail17trampoline_kernelINS0_14default_configENS1_27scan_by_key_config_selectorIj11FixedVectorIiLj2EEEEZZNS1_16scan_by_key_implILNS1_25lookback_scan_determinismE0ELb0ES3_N6thrust23THRUST_200600_302600_NS6detail15normal_iteratorINSB_10device_ptrIjEEEENSD_INSE_IS6_EEEESI_S6_NSB_4plusIvEENSB_8equal_toIvEES6_EE10hipError_tPvRmT2_T3_T4_T5_mT6_T7_P12ihipStream_tbENKUlT_T0_E_clISt17integral_constantIbLb0EES12_IbLb1EEEEDaSY_SZ_EUlSY_E_NS1_11comp_targetILNS1_3genE4ELNS1_11target_archE910ELNS1_3gpuE8ELNS1_3repE0EEENS1_30default_config_static_selectorELNS0_4arch9wavefront6targetE1EEEvT1_
                                        ; -- End function
	.section	.AMDGPU.csdata,"",@progbits
; Kernel info:
; codeLenInByte = 19004
; NumSgprs: 100
; NumVgprs: 136
; NumAgprs: 0
; TotalNumVgprs: 136
; ScratchSize: 0
; MemoryBound: 0
; FloatMode: 240
; IeeeMode: 1
; LDSByteSize: 10752 bytes/workgroup (compile time only)
; SGPRBlocks: 12
; VGPRBlocks: 16
; NumSGPRsForWavesPerEU: 100
; NumVGPRsForWavesPerEU: 136
; AccumOffset: 136
; Occupancy: 2
; WaveLimiterHint : 1
; COMPUTE_PGM_RSRC2:SCRATCH_EN: 0
; COMPUTE_PGM_RSRC2:USER_SGPR: 6
; COMPUTE_PGM_RSRC2:TRAP_HANDLER: 0
; COMPUTE_PGM_RSRC2:TGID_X_EN: 1
; COMPUTE_PGM_RSRC2:TGID_Y_EN: 0
; COMPUTE_PGM_RSRC2:TGID_Z_EN: 0
; COMPUTE_PGM_RSRC2:TIDIG_COMP_CNT: 0
; COMPUTE_PGM_RSRC3_GFX90A:ACCUM_OFFSET: 33
; COMPUTE_PGM_RSRC3_GFX90A:TG_SPLIT: 0
	.section	.text._ZN7rocprim17ROCPRIM_400000_NS6detail17trampoline_kernelINS0_14default_configENS1_27scan_by_key_config_selectorIj11FixedVectorIiLj2EEEEZZNS1_16scan_by_key_implILNS1_25lookback_scan_determinismE0ELb0ES3_N6thrust23THRUST_200600_302600_NS6detail15normal_iteratorINSB_10device_ptrIjEEEENSD_INSE_IS6_EEEESI_S6_NSB_4plusIvEENSB_8equal_toIvEES6_EE10hipError_tPvRmT2_T3_T4_T5_mT6_T7_P12ihipStream_tbENKUlT_T0_E_clISt17integral_constantIbLb0EES12_IbLb1EEEEDaSY_SZ_EUlSY_E_NS1_11comp_targetILNS1_3genE3ELNS1_11target_archE908ELNS1_3gpuE7ELNS1_3repE0EEENS1_30default_config_static_selectorELNS0_4arch9wavefront6targetE1EEEvT1_,"axG",@progbits,_ZN7rocprim17ROCPRIM_400000_NS6detail17trampoline_kernelINS0_14default_configENS1_27scan_by_key_config_selectorIj11FixedVectorIiLj2EEEEZZNS1_16scan_by_key_implILNS1_25lookback_scan_determinismE0ELb0ES3_N6thrust23THRUST_200600_302600_NS6detail15normal_iteratorINSB_10device_ptrIjEEEENSD_INSE_IS6_EEEESI_S6_NSB_4plusIvEENSB_8equal_toIvEES6_EE10hipError_tPvRmT2_T3_T4_T5_mT6_T7_P12ihipStream_tbENKUlT_T0_E_clISt17integral_constantIbLb0EES12_IbLb1EEEEDaSY_SZ_EUlSY_E_NS1_11comp_targetILNS1_3genE3ELNS1_11target_archE908ELNS1_3gpuE7ELNS1_3repE0EEENS1_30default_config_static_selectorELNS0_4arch9wavefront6targetE1EEEvT1_,comdat
	.protected	_ZN7rocprim17ROCPRIM_400000_NS6detail17trampoline_kernelINS0_14default_configENS1_27scan_by_key_config_selectorIj11FixedVectorIiLj2EEEEZZNS1_16scan_by_key_implILNS1_25lookback_scan_determinismE0ELb0ES3_N6thrust23THRUST_200600_302600_NS6detail15normal_iteratorINSB_10device_ptrIjEEEENSD_INSE_IS6_EEEESI_S6_NSB_4plusIvEENSB_8equal_toIvEES6_EE10hipError_tPvRmT2_T3_T4_T5_mT6_T7_P12ihipStream_tbENKUlT_T0_E_clISt17integral_constantIbLb0EES12_IbLb1EEEEDaSY_SZ_EUlSY_E_NS1_11comp_targetILNS1_3genE3ELNS1_11target_archE908ELNS1_3gpuE7ELNS1_3repE0EEENS1_30default_config_static_selectorELNS0_4arch9wavefront6targetE1EEEvT1_ ; -- Begin function _ZN7rocprim17ROCPRIM_400000_NS6detail17trampoline_kernelINS0_14default_configENS1_27scan_by_key_config_selectorIj11FixedVectorIiLj2EEEEZZNS1_16scan_by_key_implILNS1_25lookback_scan_determinismE0ELb0ES3_N6thrust23THRUST_200600_302600_NS6detail15normal_iteratorINSB_10device_ptrIjEEEENSD_INSE_IS6_EEEESI_S6_NSB_4plusIvEENSB_8equal_toIvEES6_EE10hipError_tPvRmT2_T3_T4_T5_mT6_T7_P12ihipStream_tbENKUlT_T0_E_clISt17integral_constantIbLb0EES12_IbLb1EEEEDaSY_SZ_EUlSY_E_NS1_11comp_targetILNS1_3genE3ELNS1_11target_archE908ELNS1_3gpuE7ELNS1_3repE0EEENS1_30default_config_static_selectorELNS0_4arch9wavefront6targetE1EEEvT1_
	.globl	_ZN7rocprim17ROCPRIM_400000_NS6detail17trampoline_kernelINS0_14default_configENS1_27scan_by_key_config_selectorIj11FixedVectorIiLj2EEEEZZNS1_16scan_by_key_implILNS1_25lookback_scan_determinismE0ELb0ES3_N6thrust23THRUST_200600_302600_NS6detail15normal_iteratorINSB_10device_ptrIjEEEENSD_INSE_IS6_EEEESI_S6_NSB_4plusIvEENSB_8equal_toIvEES6_EE10hipError_tPvRmT2_T3_T4_T5_mT6_T7_P12ihipStream_tbENKUlT_T0_E_clISt17integral_constantIbLb0EES12_IbLb1EEEEDaSY_SZ_EUlSY_E_NS1_11comp_targetILNS1_3genE3ELNS1_11target_archE908ELNS1_3gpuE7ELNS1_3repE0EEENS1_30default_config_static_selectorELNS0_4arch9wavefront6targetE1EEEvT1_
	.p2align	8
	.type	_ZN7rocprim17ROCPRIM_400000_NS6detail17trampoline_kernelINS0_14default_configENS1_27scan_by_key_config_selectorIj11FixedVectorIiLj2EEEEZZNS1_16scan_by_key_implILNS1_25lookback_scan_determinismE0ELb0ES3_N6thrust23THRUST_200600_302600_NS6detail15normal_iteratorINSB_10device_ptrIjEEEENSD_INSE_IS6_EEEESI_S6_NSB_4plusIvEENSB_8equal_toIvEES6_EE10hipError_tPvRmT2_T3_T4_T5_mT6_T7_P12ihipStream_tbENKUlT_T0_E_clISt17integral_constantIbLb0EES12_IbLb1EEEEDaSY_SZ_EUlSY_E_NS1_11comp_targetILNS1_3genE3ELNS1_11target_archE908ELNS1_3gpuE7ELNS1_3repE0EEENS1_30default_config_static_selectorELNS0_4arch9wavefront6targetE1EEEvT1_,@function
_ZN7rocprim17ROCPRIM_400000_NS6detail17trampoline_kernelINS0_14default_configENS1_27scan_by_key_config_selectorIj11FixedVectorIiLj2EEEEZZNS1_16scan_by_key_implILNS1_25lookback_scan_determinismE0ELb0ES3_N6thrust23THRUST_200600_302600_NS6detail15normal_iteratorINSB_10device_ptrIjEEEENSD_INSE_IS6_EEEESI_S6_NSB_4plusIvEENSB_8equal_toIvEES6_EE10hipError_tPvRmT2_T3_T4_T5_mT6_T7_P12ihipStream_tbENKUlT_T0_E_clISt17integral_constantIbLb0EES12_IbLb1EEEEDaSY_SZ_EUlSY_E_NS1_11comp_targetILNS1_3genE3ELNS1_11target_archE908ELNS1_3gpuE7ELNS1_3repE0EEENS1_30default_config_static_selectorELNS0_4arch9wavefront6targetE1EEEvT1_: ; @_ZN7rocprim17ROCPRIM_400000_NS6detail17trampoline_kernelINS0_14default_configENS1_27scan_by_key_config_selectorIj11FixedVectorIiLj2EEEEZZNS1_16scan_by_key_implILNS1_25lookback_scan_determinismE0ELb0ES3_N6thrust23THRUST_200600_302600_NS6detail15normal_iteratorINSB_10device_ptrIjEEEENSD_INSE_IS6_EEEESI_S6_NSB_4plusIvEENSB_8equal_toIvEES6_EE10hipError_tPvRmT2_T3_T4_T5_mT6_T7_P12ihipStream_tbENKUlT_T0_E_clISt17integral_constantIbLb0EES12_IbLb1EEEEDaSY_SZ_EUlSY_E_NS1_11comp_targetILNS1_3genE3ELNS1_11target_archE908ELNS1_3gpuE7ELNS1_3repE0EEENS1_30default_config_static_selectorELNS0_4arch9wavefront6targetE1EEEvT1_
; %bb.0:
	.section	.rodata,"a",@progbits
	.p2align	6, 0x0
	.amdhsa_kernel _ZN7rocprim17ROCPRIM_400000_NS6detail17trampoline_kernelINS0_14default_configENS1_27scan_by_key_config_selectorIj11FixedVectorIiLj2EEEEZZNS1_16scan_by_key_implILNS1_25lookback_scan_determinismE0ELb0ES3_N6thrust23THRUST_200600_302600_NS6detail15normal_iteratorINSB_10device_ptrIjEEEENSD_INSE_IS6_EEEESI_S6_NSB_4plusIvEENSB_8equal_toIvEES6_EE10hipError_tPvRmT2_T3_T4_T5_mT6_T7_P12ihipStream_tbENKUlT_T0_E_clISt17integral_constantIbLb0EES12_IbLb1EEEEDaSY_SZ_EUlSY_E_NS1_11comp_targetILNS1_3genE3ELNS1_11target_archE908ELNS1_3gpuE7ELNS1_3repE0EEENS1_30default_config_static_selectorELNS0_4arch9wavefront6targetE1EEEvT1_
		.amdhsa_group_segment_fixed_size 0
		.amdhsa_private_segment_fixed_size 0
		.amdhsa_kernarg_size 120
		.amdhsa_user_sgpr_count 6
		.amdhsa_user_sgpr_private_segment_buffer 1
		.amdhsa_user_sgpr_dispatch_ptr 0
		.amdhsa_user_sgpr_queue_ptr 0
		.amdhsa_user_sgpr_kernarg_segment_ptr 1
		.amdhsa_user_sgpr_dispatch_id 0
		.amdhsa_user_sgpr_flat_scratch_init 0
		.amdhsa_user_sgpr_kernarg_preload_length 0
		.amdhsa_user_sgpr_kernarg_preload_offset 0
		.amdhsa_user_sgpr_private_segment_size 0
		.amdhsa_uses_dynamic_stack 0
		.amdhsa_system_sgpr_private_segment_wavefront_offset 0
		.amdhsa_system_sgpr_workgroup_id_x 1
		.amdhsa_system_sgpr_workgroup_id_y 0
		.amdhsa_system_sgpr_workgroup_id_z 0
		.amdhsa_system_sgpr_workgroup_info 0
		.amdhsa_system_vgpr_workitem_id 0
		.amdhsa_next_free_vgpr 1
		.amdhsa_next_free_sgpr 0
		.amdhsa_accum_offset 4
		.amdhsa_reserve_vcc 0
		.amdhsa_reserve_flat_scratch 0
		.amdhsa_float_round_mode_32 0
		.amdhsa_float_round_mode_16_64 0
		.amdhsa_float_denorm_mode_32 3
		.amdhsa_float_denorm_mode_16_64 3
		.amdhsa_dx10_clamp 1
		.amdhsa_ieee_mode 1
		.amdhsa_fp16_overflow 0
		.amdhsa_tg_split 0
		.amdhsa_exception_fp_ieee_invalid_op 0
		.amdhsa_exception_fp_denorm_src 0
		.amdhsa_exception_fp_ieee_div_zero 0
		.amdhsa_exception_fp_ieee_overflow 0
		.amdhsa_exception_fp_ieee_underflow 0
		.amdhsa_exception_fp_ieee_inexact 0
		.amdhsa_exception_int_div_zero 0
	.end_amdhsa_kernel
	.section	.text._ZN7rocprim17ROCPRIM_400000_NS6detail17trampoline_kernelINS0_14default_configENS1_27scan_by_key_config_selectorIj11FixedVectorIiLj2EEEEZZNS1_16scan_by_key_implILNS1_25lookback_scan_determinismE0ELb0ES3_N6thrust23THRUST_200600_302600_NS6detail15normal_iteratorINSB_10device_ptrIjEEEENSD_INSE_IS6_EEEESI_S6_NSB_4plusIvEENSB_8equal_toIvEES6_EE10hipError_tPvRmT2_T3_T4_T5_mT6_T7_P12ihipStream_tbENKUlT_T0_E_clISt17integral_constantIbLb0EES12_IbLb1EEEEDaSY_SZ_EUlSY_E_NS1_11comp_targetILNS1_3genE3ELNS1_11target_archE908ELNS1_3gpuE7ELNS1_3repE0EEENS1_30default_config_static_selectorELNS0_4arch9wavefront6targetE1EEEvT1_,"axG",@progbits,_ZN7rocprim17ROCPRIM_400000_NS6detail17trampoline_kernelINS0_14default_configENS1_27scan_by_key_config_selectorIj11FixedVectorIiLj2EEEEZZNS1_16scan_by_key_implILNS1_25lookback_scan_determinismE0ELb0ES3_N6thrust23THRUST_200600_302600_NS6detail15normal_iteratorINSB_10device_ptrIjEEEENSD_INSE_IS6_EEEESI_S6_NSB_4plusIvEENSB_8equal_toIvEES6_EE10hipError_tPvRmT2_T3_T4_T5_mT6_T7_P12ihipStream_tbENKUlT_T0_E_clISt17integral_constantIbLb0EES12_IbLb1EEEEDaSY_SZ_EUlSY_E_NS1_11comp_targetILNS1_3genE3ELNS1_11target_archE908ELNS1_3gpuE7ELNS1_3repE0EEENS1_30default_config_static_selectorELNS0_4arch9wavefront6targetE1EEEvT1_,comdat
.Lfunc_end1988:
	.size	_ZN7rocprim17ROCPRIM_400000_NS6detail17trampoline_kernelINS0_14default_configENS1_27scan_by_key_config_selectorIj11FixedVectorIiLj2EEEEZZNS1_16scan_by_key_implILNS1_25lookback_scan_determinismE0ELb0ES3_N6thrust23THRUST_200600_302600_NS6detail15normal_iteratorINSB_10device_ptrIjEEEENSD_INSE_IS6_EEEESI_S6_NSB_4plusIvEENSB_8equal_toIvEES6_EE10hipError_tPvRmT2_T3_T4_T5_mT6_T7_P12ihipStream_tbENKUlT_T0_E_clISt17integral_constantIbLb0EES12_IbLb1EEEEDaSY_SZ_EUlSY_E_NS1_11comp_targetILNS1_3genE3ELNS1_11target_archE908ELNS1_3gpuE7ELNS1_3repE0EEENS1_30default_config_static_selectorELNS0_4arch9wavefront6targetE1EEEvT1_, .Lfunc_end1988-_ZN7rocprim17ROCPRIM_400000_NS6detail17trampoline_kernelINS0_14default_configENS1_27scan_by_key_config_selectorIj11FixedVectorIiLj2EEEEZZNS1_16scan_by_key_implILNS1_25lookback_scan_determinismE0ELb0ES3_N6thrust23THRUST_200600_302600_NS6detail15normal_iteratorINSB_10device_ptrIjEEEENSD_INSE_IS6_EEEESI_S6_NSB_4plusIvEENSB_8equal_toIvEES6_EE10hipError_tPvRmT2_T3_T4_T5_mT6_T7_P12ihipStream_tbENKUlT_T0_E_clISt17integral_constantIbLb0EES12_IbLb1EEEEDaSY_SZ_EUlSY_E_NS1_11comp_targetILNS1_3genE3ELNS1_11target_archE908ELNS1_3gpuE7ELNS1_3repE0EEENS1_30default_config_static_selectorELNS0_4arch9wavefront6targetE1EEEvT1_
                                        ; -- End function
	.section	.AMDGPU.csdata,"",@progbits
; Kernel info:
; codeLenInByte = 0
; NumSgprs: 4
; NumVgprs: 0
; NumAgprs: 0
; TotalNumVgprs: 0
; ScratchSize: 0
; MemoryBound: 0
; FloatMode: 240
; IeeeMode: 1
; LDSByteSize: 0 bytes/workgroup (compile time only)
; SGPRBlocks: 0
; VGPRBlocks: 0
; NumSGPRsForWavesPerEU: 4
; NumVGPRsForWavesPerEU: 1
; AccumOffset: 4
; Occupancy: 8
; WaveLimiterHint : 0
; COMPUTE_PGM_RSRC2:SCRATCH_EN: 0
; COMPUTE_PGM_RSRC2:USER_SGPR: 6
; COMPUTE_PGM_RSRC2:TRAP_HANDLER: 0
; COMPUTE_PGM_RSRC2:TGID_X_EN: 1
; COMPUTE_PGM_RSRC2:TGID_Y_EN: 0
; COMPUTE_PGM_RSRC2:TGID_Z_EN: 0
; COMPUTE_PGM_RSRC2:TIDIG_COMP_CNT: 0
; COMPUTE_PGM_RSRC3_GFX90A:ACCUM_OFFSET: 0
; COMPUTE_PGM_RSRC3_GFX90A:TG_SPLIT: 0
	.section	.text._ZN7rocprim17ROCPRIM_400000_NS6detail17trampoline_kernelINS0_14default_configENS1_27scan_by_key_config_selectorIj11FixedVectorIiLj2EEEEZZNS1_16scan_by_key_implILNS1_25lookback_scan_determinismE0ELb0ES3_N6thrust23THRUST_200600_302600_NS6detail15normal_iteratorINSB_10device_ptrIjEEEENSD_INSE_IS6_EEEESI_S6_NSB_4plusIvEENSB_8equal_toIvEES6_EE10hipError_tPvRmT2_T3_T4_T5_mT6_T7_P12ihipStream_tbENKUlT_T0_E_clISt17integral_constantIbLb0EES12_IbLb1EEEEDaSY_SZ_EUlSY_E_NS1_11comp_targetILNS1_3genE2ELNS1_11target_archE906ELNS1_3gpuE6ELNS1_3repE0EEENS1_30default_config_static_selectorELNS0_4arch9wavefront6targetE1EEEvT1_,"axG",@progbits,_ZN7rocprim17ROCPRIM_400000_NS6detail17trampoline_kernelINS0_14default_configENS1_27scan_by_key_config_selectorIj11FixedVectorIiLj2EEEEZZNS1_16scan_by_key_implILNS1_25lookback_scan_determinismE0ELb0ES3_N6thrust23THRUST_200600_302600_NS6detail15normal_iteratorINSB_10device_ptrIjEEEENSD_INSE_IS6_EEEESI_S6_NSB_4plusIvEENSB_8equal_toIvEES6_EE10hipError_tPvRmT2_T3_T4_T5_mT6_T7_P12ihipStream_tbENKUlT_T0_E_clISt17integral_constantIbLb0EES12_IbLb1EEEEDaSY_SZ_EUlSY_E_NS1_11comp_targetILNS1_3genE2ELNS1_11target_archE906ELNS1_3gpuE6ELNS1_3repE0EEENS1_30default_config_static_selectorELNS0_4arch9wavefront6targetE1EEEvT1_,comdat
	.protected	_ZN7rocprim17ROCPRIM_400000_NS6detail17trampoline_kernelINS0_14default_configENS1_27scan_by_key_config_selectorIj11FixedVectorIiLj2EEEEZZNS1_16scan_by_key_implILNS1_25lookback_scan_determinismE0ELb0ES3_N6thrust23THRUST_200600_302600_NS6detail15normal_iteratorINSB_10device_ptrIjEEEENSD_INSE_IS6_EEEESI_S6_NSB_4plusIvEENSB_8equal_toIvEES6_EE10hipError_tPvRmT2_T3_T4_T5_mT6_T7_P12ihipStream_tbENKUlT_T0_E_clISt17integral_constantIbLb0EES12_IbLb1EEEEDaSY_SZ_EUlSY_E_NS1_11comp_targetILNS1_3genE2ELNS1_11target_archE906ELNS1_3gpuE6ELNS1_3repE0EEENS1_30default_config_static_selectorELNS0_4arch9wavefront6targetE1EEEvT1_ ; -- Begin function _ZN7rocprim17ROCPRIM_400000_NS6detail17trampoline_kernelINS0_14default_configENS1_27scan_by_key_config_selectorIj11FixedVectorIiLj2EEEEZZNS1_16scan_by_key_implILNS1_25lookback_scan_determinismE0ELb0ES3_N6thrust23THRUST_200600_302600_NS6detail15normal_iteratorINSB_10device_ptrIjEEEENSD_INSE_IS6_EEEESI_S6_NSB_4plusIvEENSB_8equal_toIvEES6_EE10hipError_tPvRmT2_T3_T4_T5_mT6_T7_P12ihipStream_tbENKUlT_T0_E_clISt17integral_constantIbLb0EES12_IbLb1EEEEDaSY_SZ_EUlSY_E_NS1_11comp_targetILNS1_3genE2ELNS1_11target_archE906ELNS1_3gpuE6ELNS1_3repE0EEENS1_30default_config_static_selectorELNS0_4arch9wavefront6targetE1EEEvT1_
	.globl	_ZN7rocprim17ROCPRIM_400000_NS6detail17trampoline_kernelINS0_14default_configENS1_27scan_by_key_config_selectorIj11FixedVectorIiLj2EEEEZZNS1_16scan_by_key_implILNS1_25lookback_scan_determinismE0ELb0ES3_N6thrust23THRUST_200600_302600_NS6detail15normal_iteratorINSB_10device_ptrIjEEEENSD_INSE_IS6_EEEESI_S6_NSB_4plusIvEENSB_8equal_toIvEES6_EE10hipError_tPvRmT2_T3_T4_T5_mT6_T7_P12ihipStream_tbENKUlT_T0_E_clISt17integral_constantIbLb0EES12_IbLb1EEEEDaSY_SZ_EUlSY_E_NS1_11comp_targetILNS1_3genE2ELNS1_11target_archE906ELNS1_3gpuE6ELNS1_3repE0EEENS1_30default_config_static_selectorELNS0_4arch9wavefront6targetE1EEEvT1_
	.p2align	8
	.type	_ZN7rocprim17ROCPRIM_400000_NS6detail17trampoline_kernelINS0_14default_configENS1_27scan_by_key_config_selectorIj11FixedVectorIiLj2EEEEZZNS1_16scan_by_key_implILNS1_25lookback_scan_determinismE0ELb0ES3_N6thrust23THRUST_200600_302600_NS6detail15normal_iteratorINSB_10device_ptrIjEEEENSD_INSE_IS6_EEEESI_S6_NSB_4plusIvEENSB_8equal_toIvEES6_EE10hipError_tPvRmT2_T3_T4_T5_mT6_T7_P12ihipStream_tbENKUlT_T0_E_clISt17integral_constantIbLb0EES12_IbLb1EEEEDaSY_SZ_EUlSY_E_NS1_11comp_targetILNS1_3genE2ELNS1_11target_archE906ELNS1_3gpuE6ELNS1_3repE0EEENS1_30default_config_static_selectorELNS0_4arch9wavefront6targetE1EEEvT1_,@function
_ZN7rocprim17ROCPRIM_400000_NS6detail17trampoline_kernelINS0_14default_configENS1_27scan_by_key_config_selectorIj11FixedVectorIiLj2EEEEZZNS1_16scan_by_key_implILNS1_25lookback_scan_determinismE0ELb0ES3_N6thrust23THRUST_200600_302600_NS6detail15normal_iteratorINSB_10device_ptrIjEEEENSD_INSE_IS6_EEEESI_S6_NSB_4plusIvEENSB_8equal_toIvEES6_EE10hipError_tPvRmT2_T3_T4_T5_mT6_T7_P12ihipStream_tbENKUlT_T0_E_clISt17integral_constantIbLb0EES12_IbLb1EEEEDaSY_SZ_EUlSY_E_NS1_11comp_targetILNS1_3genE2ELNS1_11target_archE906ELNS1_3gpuE6ELNS1_3repE0EEENS1_30default_config_static_selectorELNS0_4arch9wavefront6targetE1EEEvT1_: ; @_ZN7rocprim17ROCPRIM_400000_NS6detail17trampoline_kernelINS0_14default_configENS1_27scan_by_key_config_selectorIj11FixedVectorIiLj2EEEEZZNS1_16scan_by_key_implILNS1_25lookback_scan_determinismE0ELb0ES3_N6thrust23THRUST_200600_302600_NS6detail15normal_iteratorINSB_10device_ptrIjEEEENSD_INSE_IS6_EEEESI_S6_NSB_4plusIvEENSB_8equal_toIvEES6_EE10hipError_tPvRmT2_T3_T4_T5_mT6_T7_P12ihipStream_tbENKUlT_T0_E_clISt17integral_constantIbLb0EES12_IbLb1EEEEDaSY_SZ_EUlSY_E_NS1_11comp_targetILNS1_3genE2ELNS1_11target_archE906ELNS1_3gpuE6ELNS1_3repE0EEENS1_30default_config_static_selectorELNS0_4arch9wavefront6targetE1EEEvT1_
; %bb.0:
	.section	.rodata,"a",@progbits
	.p2align	6, 0x0
	.amdhsa_kernel _ZN7rocprim17ROCPRIM_400000_NS6detail17trampoline_kernelINS0_14default_configENS1_27scan_by_key_config_selectorIj11FixedVectorIiLj2EEEEZZNS1_16scan_by_key_implILNS1_25lookback_scan_determinismE0ELb0ES3_N6thrust23THRUST_200600_302600_NS6detail15normal_iteratorINSB_10device_ptrIjEEEENSD_INSE_IS6_EEEESI_S6_NSB_4plusIvEENSB_8equal_toIvEES6_EE10hipError_tPvRmT2_T3_T4_T5_mT6_T7_P12ihipStream_tbENKUlT_T0_E_clISt17integral_constantIbLb0EES12_IbLb1EEEEDaSY_SZ_EUlSY_E_NS1_11comp_targetILNS1_3genE2ELNS1_11target_archE906ELNS1_3gpuE6ELNS1_3repE0EEENS1_30default_config_static_selectorELNS0_4arch9wavefront6targetE1EEEvT1_
		.amdhsa_group_segment_fixed_size 0
		.amdhsa_private_segment_fixed_size 0
		.amdhsa_kernarg_size 120
		.amdhsa_user_sgpr_count 6
		.amdhsa_user_sgpr_private_segment_buffer 1
		.amdhsa_user_sgpr_dispatch_ptr 0
		.amdhsa_user_sgpr_queue_ptr 0
		.amdhsa_user_sgpr_kernarg_segment_ptr 1
		.amdhsa_user_sgpr_dispatch_id 0
		.amdhsa_user_sgpr_flat_scratch_init 0
		.amdhsa_user_sgpr_kernarg_preload_length 0
		.amdhsa_user_sgpr_kernarg_preload_offset 0
		.amdhsa_user_sgpr_private_segment_size 0
		.amdhsa_uses_dynamic_stack 0
		.amdhsa_system_sgpr_private_segment_wavefront_offset 0
		.amdhsa_system_sgpr_workgroup_id_x 1
		.amdhsa_system_sgpr_workgroup_id_y 0
		.amdhsa_system_sgpr_workgroup_id_z 0
		.amdhsa_system_sgpr_workgroup_info 0
		.amdhsa_system_vgpr_workitem_id 0
		.amdhsa_next_free_vgpr 1
		.amdhsa_next_free_sgpr 0
		.amdhsa_accum_offset 4
		.amdhsa_reserve_vcc 0
		.amdhsa_reserve_flat_scratch 0
		.amdhsa_float_round_mode_32 0
		.amdhsa_float_round_mode_16_64 0
		.amdhsa_float_denorm_mode_32 3
		.amdhsa_float_denorm_mode_16_64 3
		.amdhsa_dx10_clamp 1
		.amdhsa_ieee_mode 1
		.amdhsa_fp16_overflow 0
		.amdhsa_tg_split 0
		.amdhsa_exception_fp_ieee_invalid_op 0
		.amdhsa_exception_fp_denorm_src 0
		.amdhsa_exception_fp_ieee_div_zero 0
		.amdhsa_exception_fp_ieee_overflow 0
		.amdhsa_exception_fp_ieee_underflow 0
		.amdhsa_exception_fp_ieee_inexact 0
		.amdhsa_exception_int_div_zero 0
	.end_amdhsa_kernel
	.section	.text._ZN7rocprim17ROCPRIM_400000_NS6detail17trampoline_kernelINS0_14default_configENS1_27scan_by_key_config_selectorIj11FixedVectorIiLj2EEEEZZNS1_16scan_by_key_implILNS1_25lookback_scan_determinismE0ELb0ES3_N6thrust23THRUST_200600_302600_NS6detail15normal_iteratorINSB_10device_ptrIjEEEENSD_INSE_IS6_EEEESI_S6_NSB_4plusIvEENSB_8equal_toIvEES6_EE10hipError_tPvRmT2_T3_T4_T5_mT6_T7_P12ihipStream_tbENKUlT_T0_E_clISt17integral_constantIbLb0EES12_IbLb1EEEEDaSY_SZ_EUlSY_E_NS1_11comp_targetILNS1_3genE2ELNS1_11target_archE906ELNS1_3gpuE6ELNS1_3repE0EEENS1_30default_config_static_selectorELNS0_4arch9wavefront6targetE1EEEvT1_,"axG",@progbits,_ZN7rocprim17ROCPRIM_400000_NS6detail17trampoline_kernelINS0_14default_configENS1_27scan_by_key_config_selectorIj11FixedVectorIiLj2EEEEZZNS1_16scan_by_key_implILNS1_25lookback_scan_determinismE0ELb0ES3_N6thrust23THRUST_200600_302600_NS6detail15normal_iteratorINSB_10device_ptrIjEEEENSD_INSE_IS6_EEEESI_S6_NSB_4plusIvEENSB_8equal_toIvEES6_EE10hipError_tPvRmT2_T3_T4_T5_mT6_T7_P12ihipStream_tbENKUlT_T0_E_clISt17integral_constantIbLb0EES12_IbLb1EEEEDaSY_SZ_EUlSY_E_NS1_11comp_targetILNS1_3genE2ELNS1_11target_archE906ELNS1_3gpuE6ELNS1_3repE0EEENS1_30default_config_static_selectorELNS0_4arch9wavefront6targetE1EEEvT1_,comdat
.Lfunc_end1989:
	.size	_ZN7rocprim17ROCPRIM_400000_NS6detail17trampoline_kernelINS0_14default_configENS1_27scan_by_key_config_selectorIj11FixedVectorIiLj2EEEEZZNS1_16scan_by_key_implILNS1_25lookback_scan_determinismE0ELb0ES3_N6thrust23THRUST_200600_302600_NS6detail15normal_iteratorINSB_10device_ptrIjEEEENSD_INSE_IS6_EEEESI_S6_NSB_4plusIvEENSB_8equal_toIvEES6_EE10hipError_tPvRmT2_T3_T4_T5_mT6_T7_P12ihipStream_tbENKUlT_T0_E_clISt17integral_constantIbLb0EES12_IbLb1EEEEDaSY_SZ_EUlSY_E_NS1_11comp_targetILNS1_3genE2ELNS1_11target_archE906ELNS1_3gpuE6ELNS1_3repE0EEENS1_30default_config_static_selectorELNS0_4arch9wavefront6targetE1EEEvT1_, .Lfunc_end1989-_ZN7rocprim17ROCPRIM_400000_NS6detail17trampoline_kernelINS0_14default_configENS1_27scan_by_key_config_selectorIj11FixedVectorIiLj2EEEEZZNS1_16scan_by_key_implILNS1_25lookback_scan_determinismE0ELb0ES3_N6thrust23THRUST_200600_302600_NS6detail15normal_iteratorINSB_10device_ptrIjEEEENSD_INSE_IS6_EEEESI_S6_NSB_4plusIvEENSB_8equal_toIvEES6_EE10hipError_tPvRmT2_T3_T4_T5_mT6_T7_P12ihipStream_tbENKUlT_T0_E_clISt17integral_constantIbLb0EES12_IbLb1EEEEDaSY_SZ_EUlSY_E_NS1_11comp_targetILNS1_3genE2ELNS1_11target_archE906ELNS1_3gpuE6ELNS1_3repE0EEENS1_30default_config_static_selectorELNS0_4arch9wavefront6targetE1EEEvT1_
                                        ; -- End function
	.section	.AMDGPU.csdata,"",@progbits
; Kernel info:
; codeLenInByte = 0
; NumSgprs: 4
; NumVgprs: 0
; NumAgprs: 0
; TotalNumVgprs: 0
; ScratchSize: 0
; MemoryBound: 0
; FloatMode: 240
; IeeeMode: 1
; LDSByteSize: 0 bytes/workgroup (compile time only)
; SGPRBlocks: 0
; VGPRBlocks: 0
; NumSGPRsForWavesPerEU: 4
; NumVGPRsForWavesPerEU: 1
; AccumOffset: 4
; Occupancy: 8
; WaveLimiterHint : 0
; COMPUTE_PGM_RSRC2:SCRATCH_EN: 0
; COMPUTE_PGM_RSRC2:USER_SGPR: 6
; COMPUTE_PGM_RSRC2:TRAP_HANDLER: 0
; COMPUTE_PGM_RSRC2:TGID_X_EN: 1
; COMPUTE_PGM_RSRC2:TGID_Y_EN: 0
; COMPUTE_PGM_RSRC2:TGID_Z_EN: 0
; COMPUTE_PGM_RSRC2:TIDIG_COMP_CNT: 0
; COMPUTE_PGM_RSRC3_GFX90A:ACCUM_OFFSET: 0
; COMPUTE_PGM_RSRC3_GFX90A:TG_SPLIT: 0
	.section	.text._ZN7rocprim17ROCPRIM_400000_NS6detail17trampoline_kernelINS0_14default_configENS1_27scan_by_key_config_selectorIj11FixedVectorIiLj2EEEEZZNS1_16scan_by_key_implILNS1_25lookback_scan_determinismE0ELb0ES3_N6thrust23THRUST_200600_302600_NS6detail15normal_iteratorINSB_10device_ptrIjEEEENSD_INSE_IS6_EEEESI_S6_NSB_4plusIvEENSB_8equal_toIvEES6_EE10hipError_tPvRmT2_T3_T4_T5_mT6_T7_P12ihipStream_tbENKUlT_T0_E_clISt17integral_constantIbLb0EES12_IbLb1EEEEDaSY_SZ_EUlSY_E_NS1_11comp_targetILNS1_3genE10ELNS1_11target_archE1200ELNS1_3gpuE4ELNS1_3repE0EEENS1_30default_config_static_selectorELNS0_4arch9wavefront6targetE1EEEvT1_,"axG",@progbits,_ZN7rocprim17ROCPRIM_400000_NS6detail17trampoline_kernelINS0_14default_configENS1_27scan_by_key_config_selectorIj11FixedVectorIiLj2EEEEZZNS1_16scan_by_key_implILNS1_25lookback_scan_determinismE0ELb0ES3_N6thrust23THRUST_200600_302600_NS6detail15normal_iteratorINSB_10device_ptrIjEEEENSD_INSE_IS6_EEEESI_S6_NSB_4plusIvEENSB_8equal_toIvEES6_EE10hipError_tPvRmT2_T3_T4_T5_mT6_T7_P12ihipStream_tbENKUlT_T0_E_clISt17integral_constantIbLb0EES12_IbLb1EEEEDaSY_SZ_EUlSY_E_NS1_11comp_targetILNS1_3genE10ELNS1_11target_archE1200ELNS1_3gpuE4ELNS1_3repE0EEENS1_30default_config_static_selectorELNS0_4arch9wavefront6targetE1EEEvT1_,comdat
	.protected	_ZN7rocprim17ROCPRIM_400000_NS6detail17trampoline_kernelINS0_14default_configENS1_27scan_by_key_config_selectorIj11FixedVectorIiLj2EEEEZZNS1_16scan_by_key_implILNS1_25lookback_scan_determinismE0ELb0ES3_N6thrust23THRUST_200600_302600_NS6detail15normal_iteratorINSB_10device_ptrIjEEEENSD_INSE_IS6_EEEESI_S6_NSB_4plusIvEENSB_8equal_toIvEES6_EE10hipError_tPvRmT2_T3_T4_T5_mT6_T7_P12ihipStream_tbENKUlT_T0_E_clISt17integral_constantIbLb0EES12_IbLb1EEEEDaSY_SZ_EUlSY_E_NS1_11comp_targetILNS1_3genE10ELNS1_11target_archE1200ELNS1_3gpuE4ELNS1_3repE0EEENS1_30default_config_static_selectorELNS0_4arch9wavefront6targetE1EEEvT1_ ; -- Begin function _ZN7rocprim17ROCPRIM_400000_NS6detail17trampoline_kernelINS0_14default_configENS1_27scan_by_key_config_selectorIj11FixedVectorIiLj2EEEEZZNS1_16scan_by_key_implILNS1_25lookback_scan_determinismE0ELb0ES3_N6thrust23THRUST_200600_302600_NS6detail15normal_iteratorINSB_10device_ptrIjEEEENSD_INSE_IS6_EEEESI_S6_NSB_4plusIvEENSB_8equal_toIvEES6_EE10hipError_tPvRmT2_T3_T4_T5_mT6_T7_P12ihipStream_tbENKUlT_T0_E_clISt17integral_constantIbLb0EES12_IbLb1EEEEDaSY_SZ_EUlSY_E_NS1_11comp_targetILNS1_3genE10ELNS1_11target_archE1200ELNS1_3gpuE4ELNS1_3repE0EEENS1_30default_config_static_selectorELNS0_4arch9wavefront6targetE1EEEvT1_
	.globl	_ZN7rocprim17ROCPRIM_400000_NS6detail17trampoline_kernelINS0_14default_configENS1_27scan_by_key_config_selectorIj11FixedVectorIiLj2EEEEZZNS1_16scan_by_key_implILNS1_25lookback_scan_determinismE0ELb0ES3_N6thrust23THRUST_200600_302600_NS6detail15normal_iteratorINSB_10device_ptrIjEEEENSD_INSE_IS6_EEEESI_S6_NSB_4plusIvEENSB_8equal_toIvEES6_EE10hipError_tPvRmT2_T3_T4_T5_mT6_T7_P12ihipStream_tbENKUlT_T0_E_clISt17integral_constantIbLb0EES12_IbLb1EEEEDaSY_SZ_EUlSY_E_NS1_11comp_targetILNS1_3genE10ELNS1_11target_archE1200ELNS1_3gpuE4ELNS1_3repE0EEENS1_30default_config_static_selectorELNS0_4arch9wavefront6targetE1EEEvT1_
	.p2align	8
	.type	_ZN7rocprim17ROCPRIM_400000_NS6detail17trampoline_kernelINS0_14default_configENS1_27scan_by_key_config_selectorIj11FixedVectorIiLj2EEEEZZNS1_16scan_by_key_implILNS1_25lookback_scan_determinismE0ELb0ES3_N6thrust23THRUST_200600_302600_NS6detail15normal_iteratorINSB_10device_ptrIjEEEENSD_INSE_IS6_EEEESI_S6_NSB_4plusIvEENSB_8equal_toIvEES6_EE10hipError_tPvRmT2_T3_T4_T5_mT6_T7_P12ihipStream_tbENKUlT_T0_E_clISt17integral_constantIbLb0EES12_IbLb1EEEEDaSY_SZ_EUlSY_E_NS1_11comp_targetILNS1_3genE10ELNS1_11target_archE1200ELNS1_3gpuE4ELNS1_3repE0EEENS1_30default_config_static_selectorELNS0_4arch9wavefront6targetE1EEEvT1_,@function
_ZN7rocprim17ROCPRIM_400000_NS6detail17trampoline_kernelINS0_14default_configENS1_27scan_by_key_config_selectorIj11FixedVectorIiLj2EEEEZZNS1_16scan_by_key_implILNS1_25lookback_scan_determinismE0ELb0ES3_N6thrust23THRUST_200600_302600_NS6detail15normal_iteratorINSB_10device_ptrIjEEEENSD_INSE_IS6_EEEESI_S6_NSB_4plusIvEENSB_8equal_toIvEES6_EE10hipError_tPvRmT2_T3_T4_T5_mT6_T7_P12ihipStream_tbENKUlT_T0_E_clISt17integral_constantIbLb0EES12_IbLb1EEEEDaSY_SZ_EUlSY_E_NS1_11comp_targetILNS1_3genE10ELNS1_11target_archE1200ELNS1_3gpuE4ELNS1_3repE0EEENS1_30default_config_static_selectorELNS0_4arch9wavefront6targetE1EEEvT1_: ; @_ZN7rocprim17ROCPRIM_400000_NS6detail17trampoline_kernelINS0_14default_configENS1_27scan_by_key_config_selectorIj11FixedVectorIiLj2EEEEZZNS1_16scan_by_key_implILNS1_25lookback_scan_determinismE0ELb0ES3_N6thrust23THRUST_200600_302600_NS6detail15normal_iteratorINSB_10device_ptrIjEEEENSD_INSE_IS6_EEEESI_S6_NSB_4plusIvEENSB_8equal_toIvEES6_EE10hipError_tPvRmT2_T3_T4_T5_mT6_T7_P12ihipStream_tbENKUlT_T0_E_clISt17integral_constantIbLb0EES12_IbLb1EEEEDaSY_SZ_EUlSY_E_NS1_11comp_targetILNS1_3genE10ELNS1_11target_archE1200ELNS1_3gpuE4ELNS1_3repE0EEENS1_30default_config_static_selectorELNS0_4arch9wavefront6targetE1EEEvT1_
; %bb.0:
	.section	.rodata,"a",@progbits
	.p2align	6, 0x0
	.amdhsa_kernel _ZN7rocprim17ROCPRIM_400000_NS6detail17trampoline_kernelINS0_14default_configENS1_27scan_by_key_config_selectorIj11FixedVectorIiLj2EEEEZZNS1_16scan_by_key_implILNS1_25lookback_scan_determinismE0ELb0ES3_N6thrust23THRUST_200600_302600_NS6detail15normal_iteratorINSB_10device_ptrIjEEEENSD_INSE_IS6_EEEESI_S6_NSB_4plusIvEENSB_8equal_toIvEES6_EE10hipError_tPvRmT2_T3_T4_T5_mT6_T7_P12ihipStream_tbENKUlT_T0_E_clISt17integral_constantIbLb0EES12_IbLb1EEEEDaSY_SZ_EUlSY_E_NS1_11comp_targetILNS1_3genE10ELNS1_11target_archE1200ELNS1_3gpuE4ELNS1_3repE0EEENS1_30default_config_static_selectorELNS0_4arch9wavefront6targetE1EEEvT1_
		.amdhsa_group_segment_fixed_size 0
		.amdhsa_private_segment_fixed_size 0
		.amdhsa_kernarg_size 120
		.amdhsa_user_sgpr_count 6
		.amdhsa_user_sgpr_private_segment_buffer 1
		.amdhsa_user_sgpr_dispatch_ptr 0
		.amdhsa_user_sgpr_queue_ptr 0
		.amdhsa_user_sgpr_kernarg_segment_ptr 1
		.amdhsa_user_sgpr_dispatch_id 0
		.amdhsa_user_sgpr_flat_scratch_init 0
		.amdhsa_user_sgpr_kernarg_preload_length 0
		.amdhsa_user_sgpr_kernarg_preload_offset 0
		.amdhsa_user_sgpr_private_segment_size 0
		.amdhsa_uses_dynamic_stack 0
		.amdhsa_system_sgpr_private_segment_wavefront_offset 0
		.amdhsa_system_sgpr_workgroup_id_x 1
		.amdhsa_system_sgpr_workgroup_id_y 0
		.amdhsa_system_sgpr_workgroup_id_z 0
		.amdhsa_system_sgpr_workgroup_info 0
		.amdhsa_system_vgpr_workitem_id 0
		.amdhsa_next_free_vgpr 1
		.amdhsa_next_free_sgpr 0
		.amdhsa_accum_offset 4
		.amdhsa_reserve_vcc 0
		.amdhsa_reserve_flat_scratch 0
		.amdhsa_float_round_mode_32 0
		.amdhsa_float_round_mode_16_64 0
		.amdhsa_float_denorm_mode_32 3
		.amdhsa_float_denorm_mode_16_64 3
		.amdhsa_dx10_clamp 1
		.amdhsa_ieee_mode 1
		.amdhsa_fp16_overflow 0
		.amdhsa_tg_split 0
		.amdhsa_exception_fp_ieee_invalid_op 0
		.amdhsa_exception_fp_denorm_src 0
		.amdhsa_exception_fp_ieee_div_zero 0
		.amdhsa_exception_fp_ieee_overflow 0
		.amdhsa_exception_fp_ieee_underflow 0
		.amdhsa_exception_fp_ieee_inexact 0
		.amdhsa_exception_int_div_zero 0
	.end_amdhsa_kernel
	.section	.text._ZN7rocprim17ROCPRIM_400000_NS6detail17trampoline_kernelINS0_14default_configENS1_27scan_by_key_config_selectorIj11FixedVectorIiLj2EEEEZZNS1_16scan_by_key_implILNS1_25lookback_scan_determinismE0ELb0ES3_N6thrust23THRUST_200600_302600_NS6detail15normal_iteratorINSB_10device_ptrIjEEEENSD_INSE_IS6_EEEESI_S6_NSB_4plusIvEENSB_8equal_toIvEES6_EE10hipError_tPvRmT2_T3_T4_T5_mT6_T7_P12ihipStream_tbENKUlT_T0_E_clISt17integral_constantIbLb0EES12_IbLb1EEEEDaSY_SZ_EUlSY_E_NS1_11comp_targetILNS1_3genE10ELNS1_11target_archE1200ELNS1_3gpuE4ELNS1_3repE0EEENS1_30default_config_static_selectorELNS0_4arch9wavefront6targetE1EEEvT1_,"axG",@progbits,_ZN7rocprim17ROCPRIM_400000_NS6detail17trampoline_kernelINS0_14default_configENS1_27scan_by_key_config_selectorIj11FixedVectorIiLj2EEEEZZNS1_16scan_by_key_implILNS1_25lookback_scan_determinismE0ELb0ES3_N6thrust23THRUST_200600_302600_NS6detail15normal_iteratorINSB_10device_ptrIjEEEENSD_INSE_IS6_EEEESI_S6_NSB_4plusIvEENSB_8equal_toIvEES6_EE10hipError_tPvRmT2_T3_T4_T5_mT6_T7_P12ihipStream_tbENKUlT_T0_E_clISt17integral_constantIbLb0EES12_IbLb1EEEEDaSY_SZ_EUlSY_E_NS1_11comp_targetILNS1_3genE10ELNS1_11target_archE1200ELNS1_3gpuE4ELNS1_3repE0EEENS1_30default_config_static_selectorELNS0_4arch9wavefront6targetE1EEEvT1_,comdat
.Lfunc_end1990:
	.size	_ZN7rocprim17ROCPRIM_400000_NS6detail17trampoline_kernelINS0_14default_configENS1_27scan_by_key_config_selectorIj11FixedVectorIiLj2EEEEZZNS1_16scan_by_key_implILNS1_25lookback_scan_determinismE0ELb0ES3_N6thrust23THRUST_200600_302600_NS6detail15normal_iteratorINSB_10device_ptrIjEEEENSD_INSE_IS6_EEEESI_S6_NSB_4plusIvEENSB_8equal_toIvEES6_EE10hipError_tPvRmT2_T3_T4_T5_mT6_T7_P12ihipStream_tbENKUlT_T0_E_clISt17integral_constantIbLb0EES12_IbLb1EEEEDaSY_SZ_EUlSY_E_NS1_11comp_targetILNS1_3genE10ELNS1_11target_archE1200ELNS1_3gpuE4ELNS1_3repE0EEENS1_30default_config_static_selectorELNS0_4arch9wavefront6targetE1EEEvT1_, .Lfunc_end1990-_ZN7rocprim17ROCPRIM_400000_NS6detail17trampoline_kernelINS0_14default_configENS1_27scan_by_key_config_selectorIj11FixedVectorIiLj2EEEEZZNS1_16scan_by_key_implILNS1_25lookback_scan_determinismE0ELb0ES3_N6thrust23THRUST_200600_302600_NS6detail15normal_iteratorINSB_10device_ptrIjEEEENSD_INSE_IS6_EEEESI_S6_NSB_4plusIvEENSB_8equal_toIvEES6_EE10hipError_tPvRmT2_T3_T4_T5_mT6_T7_P12ihipStream_tbENKUlT_T0_E_clISt17integral_constantIbLb0EES12_IbLb1EEEEDaSY_SZ_EUlSY_E_NS1_11comp_targetILNS1_3genE10ELNS1_11target_archE1200ELNS1_3gpuE4ELNS1_3repE0EEENS1_30default_config_static_selectorELNS0_4arch9wavefront6targetE1EEEvT1_
                                        ; -- End function
	.section	.AMDGPU.csdata,"",@progbits
; Kernel info:
; codeLenInByte = 0
; NumSgprs: 4
; NumVgprs: 0
; NumAgprs: 0
; TotalNumVgprs: 0
; ScratchSize: 0
; MemoryBound: 0
; FloatMode: 240
; IeeeMode: 1
; LDSByteSize: 0 bytes/workgroup (compile time only)
; SGPRBlocks: 0
; VGPRBlocks: 0
; NumSGPRsForWavesPerEU: 4
; NumVGPRsForWavesPerEU: 1
; AccumOffset: 4
; Occupancy: 8
; WaveLimiterHint : 0
; COMPUTE_PGM_RSRC2:SCRATCH_EN: 0
; COMPUTE_PGM_RSRC2:USER_SGPR: 6
; COMPUTE_PGM_RSRC2:TRAP_HANDLER: 0
; COMPUTE_PGM_RSRC2:TGID_X_EN: 1
; COMPUTE_PGM_RSRC2:TGID_Y_EN: 0
; COMPUTE_PGM_RSRC2:TGID_Z_EN: 0
; COMPUTE_PGM_RSRC2:TIDIG_COMP_CNT: 0
; COMPUTE_PGM_RSRC3_GFX90A:ACCUM_OFFSET: 0
; COMPUTE_PGM_RSRC3_GFX90A:TG_SPLIT: 0
	.section	.text._ZN7rocprim17ROCPRIM_400000_NS6detail17trampoline_kernelINS0_14default_configENS1_27scan_by_key_config_selectorIj11FixedVectorIiLj2EEEEZZNS1_16scan_by_key_implILNS1_25lookback_scan_determinismE0ELb0ES3_N6thrust23THRUST_200600_302600_NS6detail15normal_iteratorINSB_10device_ptrIjEEEENSD_INSE_IS6_EEEESI_S6_NSB_4plusIvEENSB_8equal_toIvEES6_EE10hipError_tPvRmT2_T3_T4_T5_mT6_T7_P12ihipStream_tbENKUlT_T0_E_clISt17integral_constantIbLb0EES12_IbLb1EEEEDaSY_SZ_EUlSY_E_NS1_11comp_targetILNS1_3genE9ELNS1_11target_archE1100ELNS1_3gpuE3ELNS1_3repE0EEENS1_30default_config_static_selectorELNS0_4arch9wavefront6targetE1EEEvT1_,"axG",@progbits,_ZN7rocprim17ROCPRIM_400000_NS6detail17trampoline_kernelINS0_14default_configENS1_27scan_by_key_config_selectorIj11FixedVectorIiLj2EEEEZZNS1_16scan_by_key_implILNS1_25lookback_scan_determinismE0ELb0ES3_N6thrust23THRUST_200600_302600_NS6detail15normal_iteratorINSB_10device_ptrIjEEEENSD_INSE_IS6_EEEESI_S6_NSB_4plusIvEENSB_8equal_toIvEES6_EE10hipError_tPvRmT2_T3_T4_T5_mT6_T7_P12ihipStream_tbENKUlT_T0_E_clISt17integral_constantIbLb0EES12_IbLb1EEEEDaSY_SZ_EUlSY_E_NS1_11comp_targetILNS1_3genE9ELNS1_11target_archE1100ELNS1_3gpuE3ELNS1_3repE0EEENS1_30default_config_static_selectorELNS0_4arch9wavefront6targetE1EEEvT1_,comdat
	.protected	_ZN7rocprim17ROCPRIM_400000_NS6detail17trampoline_kernelINS0_14default_configENS1_27scan_by_key_config_selectorIj11FixedVectorIiLj2EEEEZZNS1_16scan_by_key_implILNS1_25lookback_scan_determinismE0ELb0ES3_N6thrust23THRUST_200600_302600_NS6detail15normal_iteratorINSB_10device_ptrIjEEEENSD_INSE_IS6_EEEESI_S6_NSB_4plusIvEENSB_8equal_toIvEES6_EE10hipError_tPvRmT2_T3_T4_T5_mT6_T7_P12ihipStream_tbENKUlT_T0_E_clISt17integral_constantIbLb0EES12_IbLb1EEEEDaSY_SZ_EUlSY_E_NS1_11comp_targetILNS1_3genE9ELNS1_11target_archE1100ELNS1_3gpuE3ELNS1_3repE0EEENS1_30default_config_static_selectorELNS0_4arch9wavefront6targetE1EEEvT1_ ; -- Begin function _ZN7rocprim17ROCPRIM_400000_NS6detail17trampoline_kernelINS0_14default_configENS1_27scan_by_key_config_selectorIj11FixedVectorIiLj2EEEEZZNS1_16scan_by_key_implILNS1_25lookback_scan_determinismE0ELb0ES3_N6thrust23THRUST_200600_302600_NS6detail15normal_iteratorINSB_10device_ptrIjEEEENSD_INSE_IS6_EEEESI_S6_NSB_4plusIvEENSB_8equal_toIvEES6_EE10hipError_tPvRmT2_T3_T4_T5_mT6_T7_P12ihipStream_tbENKUlT_T0_E_clISt17integral_constantIbLb0EES12_IbLb1EEEEDaSY_SZ_EUlSY_E_NS1_11comp_targetILNS1_3genE9ELNS1_11target_archE1100ELNS1_3gpuE3ELNS1_3repE0EEENS1_30default_config_static_selectorELNS0_4arch9wavefront6targetE1EEEvT1_
	.globl	_ZN7rocprim17ROCPRIM_400000_NS6detail17trampoline_kernelINS0_14default_configENS1_27scan_by_key_config_selectorIj11FixedVectorIiLj2EEEEZZNS1_16scan_by_key_implILNS1_25lookback_scan_determinismE0ELb0ES3_N6thrust23THRUST_200600_302600_NS6detail15normal_iteratorINSB_10device_ptrIjEEEENSD_INSE_IS6_EEEESI_S6_NSB_4plusIvEENSB_8equal_toIvEES6_EE10hipError_tPvRmT2_T3_T4_T5_mT6_T7_P12ihipStream_tbENKUlT_T0_E_clISt17integral_constantIbLb0EES12_IbLb1EEEEDaSY_SZ_EUlSY_E_NS1_11comp_targetILNS1_3genE9ELNS1_11target_archE1100ELNS1_3gpuE3ELNS1_3repE0EEENS1_30default_config_static_selectorELNS0_4arch9wavefront6targetE1EEEvT1_
	.p2align	8
	.type	_ZN7rocprim17ROCPRIM_400000_NS6detail17trampoline_kernelINS0_14default_configENS1_27scan_by_key_config_selectorIj11FixedVectorIiLj2EEEEZZNS1_16scan_by_key_implILNS1_25lookback_scan_determinismE0ELb0ES3_N6thrust23THRUST_200600_302600_NS6detail15normal_iteratorINSB_10device_ptrIjEEEENSD_INSE_IS6_EEEESI_S6_NSB_4plusIvEENSB_8equal_toIvEES6_EE10hipError_tPvRmT2_T3_T4_T5_mT6_T7_P12ihipStream_tbENKUlT_T0_E_clISt17integral_constantIbLb0EES12_IbLb1EEEEDaSY_SZ_EUlSY_E_NS1_11comp_targetILNS1_3genE9ELNS1_11target_archE1100ELNS1_3gpuE3ELNS1_3repE0EEENS1_30default_config_static_selectorELNS0_4arch9wavefront6targetE1EEEvT1_,@function
_ZN7rocprim17ROCPRIM_400000_NS6detail17trampoline_kernelINS0_14default_configENS1_27scan_by_key_config_selectorIj11FixedVectorIiLj2EEEEZZNS1_16scan_by_key_implILNS1_25lookback_scan_determinismE0ELb0ES3_N6thrust23THRUST_200600_302600_NS6detail15normal_iteratorINSB_10device_ptrIjEEEENSD_INSE_IS6_EEEESI_S6_NSB_4plusIvEENSB_8equal_toIvEES6_EE10hipError_tPvRmT2_T3_T4_T5_mT6_T7_P12ihipStream_tbENKUlT_T0_E_clISt17integral_constantIbLb0EES12_IbLb1EEEEDaSY_SZ_EUlSY_E_NS1_11comp_targetILNS1_3genE9ELNS1_11target_archE1100ELNS1_3gpuE3ELNS1_3repE0EEENS1_30default_config_static_selectorELNS0_4arch9wavefront6targetE1EEEvT1_: ; @_ZN7rocprim17ROCPRIM_400000_NS6detail17trampoline_kernelINS0_14default_configENS1_27scan_by_key_config_selectorIj11FixedVectorIiLj2EEEEZZNS1_16scan_by_key_implILNS1_25lookback_scan_determinismE0ELb0ES3_N6thrust23THRUST_200600_302600_NS6detail15normal_iteratorINSB_10device_ptrIjEEEENSD_INSE_IS6_EEEESI_S6_NSB_4plusIvEENSB_8equal_toIvEES6_EE10hipError_tPvRmT2_T3_T4_T5_mT6_T7_P12ihipStream_tbENKUlT_T0_E_clISt17integral_constantIbLb0EES12_IbLb1EEEEDaSY_SZ_EUlSY_E_NS1_11comp_targetILNS1_3genE9ELNS1_11target_archE1100ELNS1_3gpuE3ELNS1_3repE0EEENS1_30default_config_static_selectorELNS0_4arch9wavefront6targetE1EEEvT1_
; %bb.0:
	.section	.rodata,"a",@progbits
	.p2align	6, 0x0
	.amdhsa_kernel _ZN7rocprim17ROCPRIM_400000_NS6detail17trampoline_kernelINS0_14default_configENS1_27scan_by_key_config_selectorIj11FixedVectorIiLj2EEEEZZNS1_16scan_by_key_implILNS1_25lookback_scan_determinismE0ELb0ES3_N6thrust23THRUST_200600_302600_NS6detail15normal_iteratorINSB_10device_ptrIjEEEENSD_INSE_IS6_EEEESI_S6_NSB_4plusIvEENSB_8equal_toIvEES6_EE10hipError_tPvRmT2_T3_T4_T5_mT6_T7_P12ihipStream_tbENKUlT_T0_E_clISt17integral_constantIbLb0EES12_IbLb1EEEEDaSY_SZ_EUlSY_E_NS1_11comp_targetILNS1_3genE9ELNS1_11target_archE1100ELNS1_3gpuE3ELNS1_3repE0EEENS1_30default_config_static_selectorELNS0_4arch9wavefront6targetE1EEEvT1_
		.amdhsa_group_segment_fixed_size 0
		.amdhsa_private_segment_fixed_size 0
		.amdhsa_kernarg_size 120
		.amdhsa_user_sgpr_count 6
		.amdhsa_user_sgpr_private_segment_buffer 1
		.amdhsa_user_sgpr_dispatch_ptr 0
		.amdhsa_user_sgpr_queue_ptr 0
		.amdhsa_user_sgpr_kernarg_segment_ptr 1
		.amdhsa_user_sgpr_dispatch_id 0
		.amdhsa_user_sgpr_flat_scratch_init 0
		.amdhsa_user_sgpr_kernarg_preload_length 0
		.amdhsa_user_sgpr_kernarg_preload_offset 0
		.amdhsa_user_sgpr_private_segment_size 0
		.amdhsa_uses_dynamic_stack 0
		.amdhsa_system_sgpr_private_segment_wavefront_offset 0
		.amdhsa_system_sgpr_workgroup_id_x 1
		.amdhsa_system_sgpr_workgroup_id_y 0
		.amdhsa_system_sgpr_workgroup_id_z 0
		.amdhsa_system_sgpr_workgroup_info 0
		.amdhsa_system_vgpr_workitem_id 0
		.amdhsa_next_free_vgpr 1
		.amdhsa_next_free_sgpr 0
		.amdhsa_accum_offset 4
		.amdhsa_reserve_vcc 0
		.amdhsa_reserve_flat_scratch 0
		.amdhsa_float_round_mode_32 0
		.amdhsa_float_round_mode_16_64 0
		.amdhsa_float_denorm_mode_32 3
		.amdhsa_float_denorm_mode_16_64 3
		.amdhsa_dx10_clamp 1
		.amdhsa_ieee_mode 1
		.amdhsa_fp16_overflow 0
		.amdhsa_tg_split 0
		.amdhsa_exception_fp_ieee_invalid_op 0
		.amdhsa_exception_fp_denorm_src 0
		.amdhsa_exception_fp_ieee_div_zero 0
		.amdhsa_exception_fp_ieee_overflow 0
		.amdhsa_exception_fp_ieee_underflow 0
		.amdhsa_exception_fp_ieee_inexact 0
		.amdhsa_exception_int_div_zero 0
	.end_amdhsa_kernel
	.section	.text._ZN7rocprim17ROCPRIM_400000_NS6detail17trampoline_kernelINS0_14default_configENS1_27scan_by_key_config_selectorIj11FixedVectorIiLj2EEEEZZNS1_16scan_by_key_implILNS1_25lookback_scan_determinismE0ELb0ES3_N6thrust23THRUST_200600_302600_NS6detail15normal_iteratorINSB_10device_ptrIjEEEENSD_INSE_IS6_EEEESI_S6_NSB_4plusIvEENSB_8equal_toIvEES6_EE10hipError_tPvRmT2_T3_T4_T5_mT6_T7_P12ihipStream_tbENKUlT_T0_E_clISt17integral_constantIbLb0EES12_IbLb1EEEEDaSY_SZ_EUlSY_E_NS1_11comp_targetILNS1_3genE9ELNS1_11target_archE1100ELNS1_3gpuE3ELNS1_3repE0EEENS1_30default_config_static_selectorELNS0_4arch9wavefront6targetE1EEEvT1_,"axG",@progbits,_ZN7rocprim17ROCPRIM_400000_NS6detail17trampoline_kernelINS0_14default_configENS1_27scan_by_key_config_selectorIj11FixedVectorIiLj2EEEEZZNS1_16scan_by_key_implILNS1_25lookback_scan_determinismE0ELb0ES3_N6thrust23THRUST_200600_302600_NS6detail15normal_iteratorINSB_10device_ptrIjEEEENSD_INSE_IS6_EEEESI_S6_NSB_4plusIvEENSB_8equal_toIvEES6_EE10hipError_tPvRmT2_T3_T4_T5_mT6_T7_P12ihipStream_tbENKUlT_T0_E_clISt17integral_constantIbLb0EES12_IbLb1EEEEDaSY_SZ_EUlSY_E_NS1_11comp_targetILNS1_3genE9ELNS1_11target_archE1100ELNS1_3gpuE3ELNS1_3repE0EEENS1_30default_config_static_selectorELNS0_4arch9wavefront6targetE1EEEvT1_,comdat
.Lfunc_end1991:
	.size	_ZN7rocprim17ROCPRIM_400000_NS6detail17trampoline_kernelINS0_14default_configENS1_27scan_by_key_config_selectorIj11FixedVectorIiLj2EEEEZZNS1_16scan_by_key_implILNS1_25lookback_scan_determinismE0ELb0ES3_N6thrust23THRUST_200600_302600_NS6detail15normal_iteratorINSB_10device_ptrIjEEEENSD_INSE_IS6_EEEESI_S6_NSB_4plusIvEENSB_8equal_toIvEES6_EE10hipError_tPvRmT2_T3_T4_T5_mT6_T7_P12ihipStream_tbENKUlT_T0_E_clISt17integral_constantIbLb0EES12_IbLb1EEEEDaSY_SZ_EUlSY_E_NS1_11comp_targetILNS1_3genE9ELNS1_11target_archE1100ELNS1_3gpuE3ELNS1_3repE0EEENS1_30default_config_static_selectorELNS0_4arch9wavefront6targetE1EEEvT1_, .Lfunc_end1991-_ZN7rocprim17ROCPRIM_400000_NS6detail17trampoline_kernelINS0_14default_configENS1_27scan_by_key_config_selectorIj11FixedVectorIiLj2EEEEZZNS1_16scan_by_key_implILNS1_25lookback_scan_determinismE0ELb0ES3_N6thrust23THRUST_200600_302600_NS6detail15normal_iteratorINSB_10device_ptrIjEEEENSD_INSE_IS6_EEEESI_S6_NSB_4plusIvEENSB_8equal_toIvEES6_EE10hipError_tPvRmT2_T3_T4_T5_mT6_T7_P12ihipStream_tbENKUlT_T0_E_clISt17integral_constantIbLb0EES12_IbLb1EEEEDaSY_SZ_EUlSY_E_NS1_11comp_targetILNS1_3genE9ELNS1_11target_archE1100ELNS1_3gpuE3ELNS1_3repE0EEENS1_30default_config_static_selectorELNS0_4arch9wavefront6targetE1EEEvT1_
                                        ; -- End function
	.section	.AMDGPU.csdata,"",@progbits
; Kernel info:
; codeLenInByte = 0
; NumSgprs: 4
; NumVgprs: 0
; NumAgprs: 0
; TotalNumVgprs: 0
; ScratchSize: 0
; MemoryBound: 0
; FloatMode: 240
; IeeeMode: 1
; LDSByteSize: 0 bytes/workgroup (compile time only)
; SGPRBlocks: 0
; VGPRBlocks: 0
; NumSGPRsForWavesPerEU: 4
; NumVGPRsForWavesPerEU: 1
; AccumOffset: 4
; Occupancy: 8
; WaveLimiterHint : 0
; COMPUTE_PGM_RSRC2:SCRATCH_EN: 0
; COMPUTE_PGM_RSRC2:USER_SGPR: 6
; COMPUTE_PGM_RSRC2:TRAP_HANDLER: 0
; COMPUTE_PGM_RSRC2:TGID_X_EN: 1
; COMPUTE_PGM_RSRC2:TGID_Y_EN: 0
; COMPUTE_PGM_RSRC2:TGID_Z_EN: 0
; COMPUTE_PGM_RSRC2:TIDIG_COMP_CNT: 0
; COMPUTE_PGM_RSRC3_GFX90A:ACCUM_OFFSET: 0
; COMPUTE_PGM_RSRC3_GFX90A:TG_SPLIT: 0
	.section	.text._ZN7rocprim17ROCPRIM_400000_NS6detail17trampoline_kernelINS0_14default_configENS1_27scan_by_key_config_selectorIj11FixedVectorIiLj2EEEEZZNS1_16scan_by_key_implILNS1_25lookback_scan_determinismE0ELb0ES3_N6thrust23THRUST_200600_302600_NS6detail15normal_iteratorINSB_10device_ptrIjEEEENSD_INSE_IS6_EEEESI_S6_NSB_4plusIvEENSB_8equal_toIvEES6_EE10hipError_tPvRmT2_T3_T4_T5_mT6_T7_P12ihipStream_tbENKUlT_T0_E_clISt17integral_constantIbLb0EES12_IbLb1EEEEDaSY_SZ_EUlSY_E_NS1_11comp_targetILNS1_3genE8ELNS1_11target_archE1030ELNS1_3gpuE2ELNS1_3repE0EEENS1_30default_config_static_selectorELNS0_4arch9wavefront6targetE1EEEvT1_,"axG",@progbits,_ZN7rocprim17ROCPRIM_400000_NS6detail17trampoline_kernelINS0_14default_configENS1_27scan_by_key_config_selectorIj11FixedVectorIiLj2EEEEZZNS1_16scan_by_key_implILNS1_25lookback_scan_determinismE0ELb0ES3_N6thrust23THRUST_200600_302600_NS6detail15normal_iteratorINSB_10device_ptrIjEEEENSD_INSE_IS6_EEEESI_S6_NSB_4plusIvEENSB_8equal_toIvEES6_EE10hipError_tPvRmT2_T3_T4_T5_mT6_T7_P12ihipStream_tbENKUlT_T0_E_clISt17integral_constantIbLb0EES12_IbLb1EEEEDaSY_SZ_EUlSY_E_NS1_11comp_targetILNS1_3genE8ELNS1_11target_archE1030ELNS1_3gpuE2ELNS1_3repE0EEENS1_30default_config_static_selectorELNS0_4arch9wavefront6targetE1EEEvT1_,comdat
	.protected	_ZN7rocprim17ROCPRIM_400000_NS6detail17trampoline_kernelINS0_14default_configENS1_27scan_by_key_config_selectorIj11FixedVectorIiLj2EEEEZZNS1_16scan_by_key_implILNS1_25lookback_scan_determinismE0ELb0ES3_N6thrust23THRUST_200600_302600_NS6detail15normal_iteratorINSB_10device_ptrIjEEEENSD_INSE_IS6_EEEESI_S6_NSB_4plusIvEENSB_8equal_toIvEES6_EE10hipError_tPvRmT2_T3_T4_T5_mT6_T7_P12ihipStream_tbENKUlT_T0_E_clISt17integral_constantIbLb0EES12_IbLb1EEEEDaSY_SZ_EUlSY_E_NS1_11comp_targetILNS1_3genE8ELNS1_11target_archE1030ELNS1_3gpuE2ELNS1_3repE0EEENS1_30default_config_static_selectorELNS0_4arch9wavefront6targetE1EEEvT1_ ; -- Begin function _ZN7rocprim17ROCPRIM_400000_NS6detail17trampoline_kernelINS0_14default_configENS1_27scan_by_key_config_selectorIj11FixedVectorIiLj2EEEEZZNS1_16scan_by_key_implILNS1_25lookback_scan_determinismE0ELb0ES3_N6thrust23THRUST_200600_302600_NS6detail15normal_iteratorINSB_10device_ptrIjEEEENSD_INSE_IS6_EEEESI_S6_NSB_4plusIvEENSB_8equal_toIvEES6_EE10hipError_tPvRmT2_T3_T4_T5_mT6_T7_P12ihipStream_tbENKUlT_T0_E_clISt17integral_constantIbLb0EES12_IbLb1EEEEDaSY_SZ_EUlSY_E_NS1_11comp_targetILNS1_3genE8ELNS1_11target_archE1030ELNS1_3gpuE2ELNS1_3repE0EEENS1_30default_config_static_selectorELNS0_4arch9wavefront6targetE1EEEvT1_
	.globl	_ZN7rocprim17ROCPRIM_400000_NS6detail17trampoline_kernelINS0_14default_configENS1_27scan_by_key_config_selectorIj11FixedVectorIiLj2EEEEZZNS1_16scan_by_key_implILNS1_25lookback_scan_determinismE0ELb0ES3_N6thrust23THRUST_200600_302600_NS6detail15normal_iteratorINSB_10device_ptrIjEEEENSD_INSE_IS6_EEEESI_S6_NSB_4plusIvEENSB_8equal_toIvEES6_EE10hipError_tPvRmT2_T3_T4_T5_mT6_T7_P12ihipStream_tbENKUlT_T0_E_clISt17integral_constantIbLb0EES12_IbLb1EEEEDaSY_SZ_EUlSY_E_NS1_11comp_targetILNS1_3genE8ELNS1_11target_archE1030ELNS1_3gpuE2ELNS1_3repE0EEENS1_30default_config_static_selectorELNS0_4arch9wavefront6targetE1EEEvT1_
	.p2align	8
	.type	_ZN7rocprim17ROCPRIM_400000_NS6detail17trampoline_kernelINS0_14default_configENS1_27scan_by_key_config_selectorIj11FixedVectorIiLj2EEEEZZNS1_16scan_by_key_implILNS1_25lookback_scan_determinismE0ELb0ES3_N6thrust23THRUST_200600_302600_NS6detail15normal_iteratorINSB_10device_ptrIjEEEENSD_INSE_IS6_EEEESI_S6_NSB_4plusIvEENSB_8equal_toIvEES6_EE10hipError_tPvRmT2_T3_T4_T5_mT6_T7_P12ihipStream_tbENKUlT_T0_E_clISt17integral_constantIbLb0EES12_IbLb1EEEEDaSY_SZ_EUlSY_E_NS1_11comp_targetILNS1_3genE8ELNS1_11target_archE1030ELNS1_3gpuE2ELNS1_3repE0EEENS1_30default_config_static_selectorELNS0_4arch9wavefront6targetE1EEEvT1_,@function
_ZN7rocprim17ROCPRIM_400000_NS6detail17trampoline_kernelINS0_14default_configENS1_27scan_by_key_config_selectorIj11FixedVectorIiLj2EEEEZZNS1_16scan_by_key_implILNS1_25lookback_scan_determinismE0ELb0ES3_N6thrust23THRUST_200600_302600_NS6detail15normal_iteratorINSB_10device_ptrIjEEEENSD_INSE_IS6_EEEESI_S6_NSB_4plusIvEENSB_8equal_toIvEES6_EE10hipError_tPvRmT2_T3_T4_T5_mT6_T7_P12ihipStream_tbENKUlT_T0_E_clISt17integral_constantIbLb0EES12_IbLb1EEEEDaSY_SZ_EUlSY_E_NS1_11comp_targetILNS1_3genE8ELNS1_11target_archE1030ELNS1_3gpuE2ELNS1_3repE0EEENS1_30default_config_static_selectorELNS0_4arch9wavefront6targetE1EEEvT1_: ; @_ZN7rocprim17ROCPRIM_400000_NS6detail17trampoline_kernelINS0_14default_configENS1_27scan_by_key_config_selectorIj11FixedVectorIiLj2EEEEZZNS1_16scan_by_key_implILNS1_25lookback_scan_determinismE0ELb0ES3_N6thrust23THRUST_200600_302600_NS6detail15normal_iteratorINSB_10device_ptrIjEEEENSD_INSE_IS6_EEEESI_S6_NSB_4plusIvEENSB_8equal_toIvEES6_EE10hipError_tPvRmT2_T3_T4_T5_mT6_T7_P12ihipStream_tbENKUlT_T0_E_clISt17integral_constantIbLb0EES12_IbLb1EEEEDaSY_SZ_EUlSY_E_NS1_11comp_targetILNS1_3genE8ELNS1_11target_archE1030ELNS1_3gpuE2ELNS1_3repE0EEENS1_30default_config_static_selectorELNS0_4arch9wavefront6targetE1EEEvT1_
; %bb.0:
	.section	.rodata,"a",@progbits
	.p2align	6, 0x0
	.amdhsa_kernel _ZN7rocprim17ROCPRIM_400000_NS6detail17trampoline_kernelINS0_14default_configENS1_27scan_by_key_config_selectorIj11FixedVectorIiLj2EEEEZZNS1_16scan_by_key_implILNS1_25lookback_scan_determinismE0ELb0ES3_N6thrust23THRUST_200600_302600_NS6detail15normal_iteratorINSB_10device_ptrIjEEEENSD_INSE_IS6_EEEESI_S6_NSB_4plusIvEENSB_8equal_toIvEES6_EE10hipError_tPvRmT2_T3_T4_T5_mT6_T7_P12ihipStream_tbENKUlT_T0_E_clISt17integral_constantIbLb0EES12_IbLb1EEEEDaSY_SZ_EUlSY_E_NS1_11comp_targetILNS1_3genE8ELNS1_11target_archE1030ELNS1_3gpuE2ELNS1_3repE0EEENS1_30default_config_static_selectorELNS0_4arch9wavefront6targetE1EEEvT1_
		.amdhsa_group_segment_fixed_size 0
		.amdhsa_private_segment_fixed_size 0
		.amdhsa_kernarg_size 120
		.amdhsa_user_sgpr_count 6
		.amdhsa_user_sgpr_private_segment_buffer 1
		.amdhsa_user_sgpr_dispatch_ptr 0
		.amdhsa_user_sgpr_queue_ptr 0
		.amdhsa_user_sgpr_kernarg_segment_ptr 1
		.amdhsa_user_sgpr_dispatch_id 0
		.amdhsa_user_sgpr_flat_scratch_init 0
		.amdhsa_user_sgpr_kernarg_preload_length 0
		.amdhsa_user_sgpr_kernarg_preload_offset 0
		.amdhsa_user_sgpr_private_segment_size 0
		.amdhsa_uses_dynamic_stack 0
		.amdhsa_system_sgpr_private_segment_wavefront_offset 0
		.amdhsa_system_sgpr_workgroup_id_x 1
		.amdhsa_system_sgpr_workgroup_id_y 0
		.amdhsa_system_sgpr_workgroup_id_z 0
		.amdhsa_system_sgpr_workgroup_info 0
		.amdhsa_system_vgpr_workitem_id 0
		.amdhsa_next_free_vgpr 1
		.amdhsa_next_free_sgpr 0
		.amdhsa_accum_offset 4
		.amdhsa_reserve_vcc 0
		.amdhsa_reserve_flat_scratch 0
		.amdhsa_float_round_mode_32 0
		.amdhsa_float_round_mode_16_64 0
		.amdhsa_float_denorm_mode_32 3
		.amdhsa_float_denorm_mode_16_64 3
		.amdhsa_dx10_clamp 1
		.amdhsa_ieee_mode 1
		.amdhsa_fp16_overflow 0
		.amdhsa_tg_split 0
		.amdhsa_exception_fp_ieee_invalid_op 0
		.amdhsa_exception_fp_denorm_src 0
		.amdhsa_exception_fp_ieee_div_zero 0
		.amdhsa_exception_fp_ieee_overflow 0
		.amdhsa_exception_fp_ieee_underflow 0
		.amdhsa_exception_fp_ieee_inexact 0
		.amdhsa_exception_int_div_zero 0
	.end_amdhsa_kernel
	.section	.text._ZN7rocprim17ROCPRIM_400000_NS6detail17trampoline_kernelINS0_14default_configENS1_27scan_by_key_config_selectorIj11FixedVectorIiLj2EEEEZZNS1_16scan_by_key_implILNS1_25lookback_scan_determinismE0ELb0ES3_N6thrust23THRUST_200600_302600_NS6detail15normal_iteratorINSB_10device_ptrIjEEEENSD_INSE_IS6_EEEESI_S6_NSB_4plusIvEENSB_8equal_toIvEES6_EE10hipError_tPvRmT2_T3_T4_T5_mT6_T7_P12ihipStream_tbENKUlT_T0_E_clISt17integral_constantIbLb0EES12_IbLb1EEEEDaSY_SZ_EUlSY_E_NS1_11comp_targetILNS1_3genE8ELNS1_11target_archE1030ELNS1_3gpuE2ELNS1_3repE0EEENS1_30default_config_static_selectorELNS0_4arch9wavefront6targetE1EEEvT1_,"axG",@progbits,_ZN7rocprim17ROCPRIM_400000_NS6detail17trampoline_kernelINS0_14default_configENS1_27scan_by_key_config_selectorIj11FixedVectorIiLj2EEEEZZNS1_16scan_by_key_implILNS1_25lookback_scan_determinismE0ELb0ES3_N6thrust23THRUST_200600_302600_NS6detail15normal_iteratorINSB_10device_ptrIjEEEENSD_INSE_IS6_EEEESI_S6_NSB_4plusIvEENSB_8equal_toIvEES6_EE10hipError_tPvRmT2_T3_T4_T5_mT6_T7_P12ihipStream_tbENKUlT_T0_E_clISt17integral_constantIbLb0EES12_IbLb1EEEEDaSY_SZ_EUlSY_E_NS1_11comp_targetILNS1_3genE8ELNS1_11target_archE1030ELNS1_3gpuE2ELNS1_3repE0EEENS1_30default_config_static_selectorELNS0_4arch9wavefront6targetE1EEEvT1_,comdat
.Lfunc_end1992:
	.size	_ZN7rocprim17ROCPRIM_400000_NS6detail17trampoline_kernelINS0_14default_configENS1_27scan_by_key_config_selectorIj11FixedVectorIiLj2EEEEZZNS1_16scan_by_key_implILNS1_25lookback_scan_determinismE0ELb0ES3_N6thrust23THRUST_200600_302600_NS6detail15normal_iteratorINSB_10device_ptrIjEEEENSD_INSE_IS6_EEEESI_S6_NSB_4plusIvEENSB_8equal_toIvEES6_EE10hipError_tPvRmT2_T3_T4_T5_mT6_T7_P12ihipStream_tbENKUlT_T0_E_clISt17integral_constantIbLb0EES12_IbLb1EEEEDaSY_SZ_EUlSY_E_NS1_11comp_targetILNS1_3genE8ELNS1_11target_archE1030ELNS1_3gpuE2ELNS1_3repE0EEENS1_30default_config_static_selectorELNS0_4arch9wavefront6targetE1EEEvT1_, .Lfunc_end1992-_ZN7rocprim17ROCPRIM_400000_NS6detail17trampoline_kernelINS0_14default_configENS1_27scan_by_key_config_selectorIj11FixedVectorIiLj2EEEEZZNS1_16scan_by_key_implILNS1_25lookback_scan_determinismE0ELb0ES3_N6thrust23THRUST_200600_302600_NS6detail15normal_iteratorINSB_10device_ptrIjEEEENSD_INSE_IS6_EEEESI_S6_NSB_4plusIvEENSB_8equal_toIvEES6_EE10hipError_tPvRmT2_T3_T4_T5_mT6_T7_P12ihipStream_tbENKUlT_T0_E_clISt17integral_constantIbLb0EES12_IbLb1EEEEDaSY_SZ_EUlSY_E_NS1_11comp_targetILNS1_3genE8ELNS1_11target_archE1030ELNS1_3gpuE2ELNS1_3repE0EEENS1_30default_config_static_selectorELNS0_4arch9wavefront6targetE1EEEvT1_
                                        ; -- End function
	.section	.AMDGPU.csdata,"",@progbits
; Kernel info:
; codeLenInByte = 0
; NumSgprs: 4
; NumVgprs: 0
; NumAgprs: 0
; TotalNumVgprs: 0
; ScratchSize: 0
; MemoryBound: 0
; FloatMode: 240
; IeeeMode: 1
; LDSByteSize: 0 bytes/workgroup (compile time only)
; SGPRBlocks: 0
; VGPRBlocks: 0
; NumSGPRsForWavesPerEU: 4
; NumVGPRsForWavesPerEU: 1
; AccumOffset: 4
; Occupancy: 8
; WaveLimiterHint : 0
; COMPUTE_PGM_RSRC2:SCRATCH_EN: 0
; COMPUTE_PGM_RSRC2:USER_SGPR: 6
; COMPUTE_PGM_RSRC2:TRAP_HANDLER: 0
; COMPUTE_PGM_RSRC2:TGID_X_EN: 1
; COMPUTE_PGM_RSRC2:TGID_Y_EN: 0
; COMPUTE_PGM_RSRC2:TGID_Z_EN: 0
; COMPUTE_PGM_RSRC2:TIDIG_COMP_CNT: 0
; COMPUTE_PGM_RSRC3_GFX90A:ACCUM_OFFSET: 0
; COMPUTE_PGM_RSRC3_GFX90A:TG_SPLIT: 0
	.section	.text._ZN7rocprim17ROCPRIM_400000_NS6detail17trampoline_kernelINS0_14default_configENS1_27scan_by_key_config_selectorIj11FixedVectorIiLj2EEEEZZNS1_16scan_by_key_implILNS1_25lookback_scan_determinismE0ELb1ES3_N6thrust23THRUST_200600_302600_NS6detail15normal_iteratorINSB_10device_ptrIjEEEENSD_INSE_IS6_EEEESI_S6_NSB_4plusIvEENSB_8equal_toIvEES6_EE10hipError_tPvRmT2_T3_T4_T5_mT6_T7_P12ihipStream_tbENKUlT_T0_E_clISt17integral_constantIbLb0EES13_EEDaSY_SZ_EUlSY_E_NS1_11comp_targetILNS1_3genE0ELNS1_11target_archE4294967295ELNS1_3gpuE0ELNS1_3repE0EEENS1_30default_config_static_selectorELNS0_4arch9wavefront6targetE1EEEvT1_,"axG",@progbits,_ZN7rocprim17ROCPRIM_400000_NS6detail17trampoline_kernelINS0_14default_configENS1_27scan_by_key_config_selectorIj11FixedVectorIiLj2EEEEZZNS1_16scan_by_key_implILNS1_25lookback_scan_determinismE0ELb1ES3_N6thrust23THRUST_200600_302600_NS6detail15normal_iteratorINSB_10device_ptrIjEEEENSD_INSE_IS6_EEEESI_S6_NSB_4plusIvEENSB_8equal_toIvEES6_EE10hipError_tPvRmT2_T3_T4_T5_mT6_T7_P12ihipStream_tbENKUlT_T0_E_clISt17integral_constantIbLb0EES13_EEDaSY_SZ_EUlSY_E_NS1_11comp_targetILNS1_3genE0ELNS1_11target_archE4294967295ELNS1_3gpuE0ELNS1_3repE0EEENS1_30default_config_static_selectorELNS0_4arch9wavefront6targetE1EEEvT1_,comdat
	.protected	_ZN7rocprim17ROCPRIM_400000_NS6detail17trampoline_kernelINS0_14default_configENS1_27scan_by_key_config_selectorIj11FixedVectorIiLj2EEEEZZNS1_16scan_by_key_implILNS1_25lookback_scan_determinismE0ELb1ES3_N6thrust23THRUST_200600_302600_NS6detail15normal_iteratorINSB_10device_ptrIjEEEENSD_INSE_IS6_EEEESI_S6_NSB_4plusIvEENSB_8equal_toIvEES6_EE10hipError_tPvRmT2_T3_T4_T5_mT6_T7_P12ihipStream_tbENKUlT_T0_E_clISt17integral_constantIbLb0EES13_EEDaSY_SZ_EUlSY_E_NS1_11comp_targetILNS1_3genE0ELNS1_11target_archE4294967295ELNS1_3gpuE0ELNS1_3repE0EEENS1_30default_config_static_selectorELNS0_4arch9wavefront6targetE1EEEvT1_ ; -- Begin function _ZN7rocprim17ROCPRIM_400000_NS6detail17trampoline_kernelINS0_14default_configENS1_27scan_by_key_config_selectorIj11FixedVectorIiLj2EEEEZZNS1_16scan_by_key_implILNS1_25lookback_scan_determinismE0ELb1ES3_N6thrust23THRUST_200600_302600_NS6detail15normal_iteratorINSB_10device_ptrIjEEEENSD_INSE_IS6_EEEESI_S6_NSB_4plusIvEENSB_8equal_toIvEES6_EE10hipError_tPvRmT2_T3_T4_T5_mT6_T7_P12ihipStream_tbENKUlT_T0_E_clISt17integral_constantIbLb0EES13_EEDaSY_SZ_EUlSY_E_NS1_11comp_targetILNS1_3genE0ELNS1_11target_archE4294967295ELNS1_3gpuE0ELNS1_3repE0EEENS1_30default_config_static_selectorELNS0_4arch9wavefront6targetE1EEEvT1_
	.globl	_ZN7rocprim17ROCPRIM_400000_NS6detail17trampoline_kernelINS0_14default_configENS1_27scan_by_key_config_selectorIj11FixedVectorIiLj2EEEEZZNS1_16scan_by_key_implILNS1_25lookback_scan_determinismE0ELb1ES3_N6thrust23THRUST_200600_302600_NS6detail15normal_iteratorINSB_10device_ptrIjEEEENSD_INSE_IS6_EEEESI_S6_NSB_4plusIvEENSB_8equal_toIvEES6_EE10hipError_tPvRmT2_T3_T4_T5_mT6_T7_P12ihipStream_tbENKUlT_T0_E_clISt17integral_constantIbLb0EES13_EEDaSY_SZ_EUlSY_E_NS1_11comp_targetILNS1_3genE0ELNS1_11target_archE4294967295ELNS1_3gpuE0ELNS1_3repE0EEENS1_30default_config_static_selectorELNS0_4arch9wavefront6targetE1EEEvT1_
	.p2align	8
	.type	_ZN7rocprim17ROCPRIM_400000_NS6detail17trampoline_kernelINS0_14default_configENS1_27scan_by_key_config_selectorIj11FixedVectorIiLj2EEEEZZNS1_16scan_by_key_implILNS1_25lookback_scan_determinismE0ELb1ES3_N6thrust23THRUST_200600_302600_NS6detail15normal_iteratorINSB_10device_ptrIjEEEENSD_INSE_IS6_EEEESI_S6_NSB_4plusIvEENSB_8equal_toIvEES6_EE10hipError_tPvRmT2_T3_T4_T5_mT6_T7_P12ihipStream_tbENKUlT_T0_E_clISt17integral_constantIbLb0EES13_EEDaSY_SZ_EUlSY_E_NS1_11comp_targetILNS1_3genE0ELNS1_11target_archE4294967295ELNS1_3gpuE0ELNS1_3repE0EEENS1_30default_config_static_selectorELNS0_4arch9wavefront6targetE1EEEvT1_,@function
_ZN7rocprim17ROCPRIM_400000_NS6detail17trampoline_kernelINS0_14default_configENS1_27scan_by_key_config_selectorIj11FixedVectorIiLj2EEEEZZNS1_16scan_by_key_implILNS1_25lookback_scan_determinismE0ELb1ES3_N6thrust23THRUST_200600_302600_NS6detail15normal_iteratorINSB_10device_ptrIjEEEENSD_INSE_IS6_EEEESI_S6_NSB_4plusIvEENSB_8equal_toIvEES6_EE10hipError_tPvRmT2_T3_T4_T5_mT6_T7_P12ihipStream_tbENKUlT_T0_E_clISt17integral_constantIbLb0EES13_EEDaSY_SZ_EUlSY_E_NS1_11comp_targetILNS1_3genE0ELNS1_11target_archE4294967295ELNS1_3gpuE0ELNS1_3repE0EEENS1_30default_config_static_selectorELNS0_4arch9wavefront6targetE1EEEvT1_: ; @_ZN7rocprim17ROCPRIM_400000_NS6detail17trampoline_kernelINS0_14default_configENS1_27scan_by_key_config_selectorIj11FixedVectorIiLj2EEEEZZNS1_16scan_by_key_implILNS1_25lookback_scan_determinismE0ELb1ES3_N6thrust23THRUST_200600_302600_NS6detail15normal_iteratorINSB_10device_ptrIjEEEENSD_INSE_IS6_EEEESI_S6_NSB_4plusIvEENSB_8equal_toIvEES6_EE10hipError_tPvRmT2_T3_T4_T5_mT6_T7_P12ihipStream_tbENKUlT_T0_E_clISt17integral_constantIbLb0EES13_EEDaSY_SZ_EUlSY_E_NS1_11comp_targetILNS1_3genE0ELNS1_11target_archE4294967295ELNS1_3gpuE0ELNS1_3repE0EEENS1_30default_config_static_selectorELNS0_4arch9wavefront6targetE1EEEvT1_
; %bb.0:
	.section	.rodata,"a",@progbits
	.p2align	6, 0x0
	.amdhsa_kernel _ZN7rocprim17ROCPRIM_400000_NS6detail17trampoline_kernelINS0_14default_configENS1_27scan_by_key_config_selectorIj11FixedVectorIiLj2EEEEZZNS1_16scan_by_key_implILNS1_25lookback_scan_determinismE0ELb1ES3_N6thrust23THRUST_200600_302600_NS6detail15normal_iteratorINSB_10device_ptrIjEEEENSD_INSE_IS6_EEEESI_S6_NSB_4plusIvEENSB_8equal_toIvEES6_EE10hipError_tPvRmT2_T3_T4_T5_mT6_T7_P12ihipStream_tbENKUlT_T0_E_clISt17integral_constantIbLb0EES13_EEDaSY_SZ_EUlSY_E_NS1_11comp_targetILNS1_3genE0ELNS1_11target_archE4294967295ELNS1_3gpuE0ELNS1_3repE0EEENS1_30default_config_static_selectorELNS0_4arch9wavefront6targetE1EEEvT1_
		.amdhsa_group_segment_fixed_size 0
		.amdhsa_private_segment_fixed_size 0
		.amdhsa_kernarg_size 120
		.amdhsa_user_sgpr_count 6
		.amdhsa_user_sgpr_private_segment_buffer 1
		.amdhsa_user_sgpr_dispatch_ptr 0
		.amdhsa_user_sgpr_queue_ptr 0
		.amdhsa_user_sgpr_kernarg_segment_ptr 1
		.amdhsa_user_sgpr_dispatch_id 0
		.amdhsa_user_sgpr_flat_scratch_init 0
		.amdhsa_user_sgpr_kernarg_preload_length 0
		.amdhsa_user_sgpr_kernarg_preload_offset 0
		.amdhsa_user_sgpr_private_segment_size 0
		.amdhsa_uses_dynamic_stack 0
		.amdhsa_system_sgpr_private_segment_wavefront_offset 0
		.amdhsa_system_sgpr_workgroup_id_x 1
		.amdhsa_system_sgpr_workgroup_id_y 0
		.amdhsa_system_sgpr_workgroup_id_z 0
		.amdhsa_system_sgpr_workgroup_info 0
		.amdhsa_system_vgpr_workitem_id 0
		.amdhsa_next_free_vgpr 1
		.amdhsa_next_free_sgpr 0
		.amdhsa_accum_offset 4
		.amdhsa_reserve_vcc 0
		.amdhsa_reserve_flat_scratch 0
		.amdhsa_float_round_mode_32 0
		.amdhsa_float_round_mode_16_64 0
		.amdhsa_float_denorm_mode_32 3
		.amdhsa_float_denorm_mode_16_64 3
		.amdhsa_dx10_clamp 1
		.amdhsa_ieee_mode 1
		.amdhsa_fp16_overflow 0
		.amdhsa_tg_split 0
		.amdhsa_exception_fp_ieee_invalid_op 0
		.amdhsa_exception_fp_denorm_src 0
		.amdhsa_exception_fp_ieee_div_zero 0
		.amdhsa_exception_fp_ieee_overflow 0
		.amdhsa_exception_fp_ieee_underflow 0
		.amdhsa_exception_fp_ieee_inexact 0
		.amdhsa_exception_int_div_zero 0
	.end_amdhsa_kernel
	.section	.text._ZN7rocprim17ROCPRIM_400000_NS6detail17trampoline_kernelINS0_14default_configENS1_27scan_by_key_config_selectorIj11FixedVectorIiLj2EEEEZZNS1_16scan_by_key_implILNS1_25lookback_scan_determinismE0ELb1ES3_N6thrust23THRUST_200600_302600_NS6detail15normal_iteratorINSB_10device_ptrIjEEEENSD_INSE_IS6_EEEESI_S6_NSB_4plusIvEENSB_8equal_toIvEES6_EE10hipError_tPvRmT2_T3_T4_T5_mT6_T7_P12ihipStream_tbENKUlT_T0_E_clISt17integral_constantIbLb0EES13_EEDaSY_SZ_EUlSY_E_NS1_11comp_targetILNS1_3genE0ELNS1_11target_archE4294967295ELNS1_3gpuE0ELNS1_3repE0EEENS1_30default_config_static_selectorELNS0_4arch9wavefront6targetE1EEEvT1_,"axG",@progbits,_ZN7rocprim17ROCPRIM_400000_NS6detail17trampoline_kernelINS0_14default_configENS1_27scan_by_key_config_selectorIj11FixedVectorIiLj2EEEEZZNS1_16scan_by_key_implILNS1_25lookback_scan_determinismE0ELb1ES3_N6thrust23THRUST_200600_302600_NS6detail15normal_iteratorINSB_10device_ptrIjEEEENSD_INSE_IS6_EEEESI_S6_NSB_4plusIvEENSB_8equal_toIvEES6_EE10hipError_tPvRmT2_T3_T4_T5_mT6_T7_P12ihipStream_tbENKUlT_T0_E_clISt17integral_constantIbLb0EES13_EEDaSY_SZ_EUlSY_E_NS1_11comp_targetILNS1_3genE0ELNS1_11target_archE4294967295ELNS1_3gpuE0ELNS1_3repE0EEENS1_30default_config_static_selectorELNS0_4arch9wavefront6targetE1EEEvT1_,comdat
.Lfunc_end1993:
	.size	_ZN7rocprim17ROCPRIM_400000_NS6detail17trampoline_kernelINS0_14default_configENS1_27scan_by_key_config_selectorIj11FixedVectorIiLj2EEEEZZNS1_16scan_by_key_implILNS1_25lookback_scan_determinismE0ELb1ES3_N6thrust23THRUST_200600_302600_NS6detail15normal_iteratorINSB_10device_ptrIjEEEENSD_INSE_IS6_EEEESI_S6_NSB_4plusIvEENSB_8equal_toIvEES6_EE10hipError_tPvRmT2_T3_T4_T5_mT6_T7_P12ihipStream_tbENKUlT_T0_E_clISt17integral_constantIbLb0EES13_EEDaSY_SZ_EUlSY_E_NS1_11comp_targetILNS1_3genE0ELNS1_11target_archE4294967295ELNS1_3gpuE0ELNS1_3repE0EEENS1_30default_config_static_selectorELNS0_4arch9wavefront6targetE1EEEvT1_, .Lfunc_end1993-_ZN7rocprim17ROCPRIM_400000_NS6detail17trampoline_kernelINS0_14default_configENS1_27scan_by_key_config_selectorIj11FixedVectorIiLj2EEEEZZNS1_16scan_by_key_implILNS1_25lookback_scan_determinismE0ELb1ES3_N6thrust23THRUST_200600_302600_NS6detail15normal_iteratorINSB_10device_ptrIjEEEENSD_INSE_IS6_EEEESI_S6_NSB_4plusIvEENSB_8equal_toIvEES6_EE10hipError_tPvRmT2_T3_T4_T5_mT6_T7_P12ihipStream_tbENKUlT_T0_E_clISt17integral_constantIbLb0EES13_EEDaSY_SZ_EUlSY_E_NS1_11comp_targetILNS1_3genE0ELNS1_11target_archE4294967295ELNS1_3gpuE0ELNS1_3repE0EEENS1_30default_config_static_selectorELNS0_4arch9wavefront6targetE1EEEvT1_
                                        ; -- End function
	.section	.AMDGPU.csdata,"",@progbits
; Kernel info:
; codeLenInByte = 0
; NumSgprs: 4
; NumVgprs: 0
; NumAgprs: 0
; TotalNumVgprs: 0
; ScratchSize: 0
; MemoryBound: 0
; FloatMode: 240
; IeeeMode: 1
; LDSByteSize: 0 bytes/workgroup (compile time only)
; SGPRBlocks: 0
; VGPRBlocks: 0
; NumSGPRsForWavesPerEU: 4
; NumVGPRsForWavesPerEU: 1
; AccumOffset: 4
; Occupancy: 8
; WaveLimiterHint : 0
; COMPUTE_PGM_RSRC2:SCRATCH_EN: 0
; COMPUTE_PGM_RSRC2:USER_SGPR: 6
; COMPUTE_PGM_RSRC2:TRAP_HANDLER: 0
; COMPUTE_PGM_RSRC2:TGID_X_EN: 1
; COMPUTE_PGM_RSRC2:TGID_Y_EN: 0
; COMPUTE_PGM_RSRC2:TGID_Z_EN: 0
; COMPUTE_PGM_RSRC2:TIDIG_COMP_CNT: 0
; COMPUTE_PGM_RSRC3_GFX90A:ACCUM_OFFSET: 0
; COMPUTE_PGM_RSRC3_GFX90A:TG_SPLIT: 0
	.section	.text._ZN7rocprim17ROCPRIM_400000_NS6detail17trampoline_kernelINS0_14default_configENS1_27scan_by_key_config_selectorIj11FixedVectorIiLj2EEEEZZNS1_16scan_by_key_implILNS1_25lookback_scan_determinismE0ELb1ES3_N6thrust23THRUST_200600_302600_NS6detail15normal_iteratorINSB_10device_ptrIjEEEENSD_INSE_IS6_EEEESI_S6_NSB_4plusIvEENSB_8equal_toIvEES6_EE10hipError_tPvRmT2_T3_T4_T5_mT6_T7_P12ihipStream_tbENKUlT_T0_E_clISt17integral_constantIbLb0EES13_EEDaSY_SZ_EUlSY_E_NS1_11comp_targetILNS1_3genE10ELNS1_11target_archE1201ELNS1_3gpuE5ELNS1_3repE0EEENS1_30default_config_static_selectorELNS0_4arch9wavefront6targetE1EEEvT1_,"axG",@progbits,_ZN7rocprim17ROCPRIM_400000_NS6detail17trampoline_kernelINS0_14default_configENS1_27scan_by_key_config_selectorIj11FixedVectorIiLj2EEEEZZNS1_16scan_by_key_implILNS1_25lookback_scan_determinismE0ELb1ES3_N6thrust23THRUST_200600_302600_NS6detail15normal_iteratorINSB_10device_ptrIjEEEENSD_INSE_IS6_EEEESI_S6_NSB_4plusIvEENSB_8equal_toIvEES6_EE10hipError_tPvRmT2_T3_T4_T5_mT6_T7_P12ihipStream_tbENKUlT_T0_E_clISt17integral_constantIbLb0EES13_EEDaSY_SZ_EUlSY_E_NS1_11comp_targetILNS1_3genE10ELNS1_11target_archE1201ELNS1_3gpuE5ELNS1_3repE0EEENS1_30default_config_static_selectorELNS0_4arch9wavefront6targetE1EEEvT1_,comdat
	.protected	_ZN7rocprim17ROCPRIM_400000_NS6detail17trampoline_kernelINS0_14default_configENS1_27scan_by_key_config_selectorIj11FixedVectorIiLj2EEEEZZNS1_16scan_by_key_implILNS1_25lookback_scan_determinismE0ELb1ES3_N6thrust23THRUST_200600_302600_NS6detail15normal_iteratorINSB_10device_ptrIjEEEENSD_INSE_IS6_EEEESI_S6_NSB_4plusIvEENSB_8equal_toIvEES6_EE10hipError_tPvRmT2_T3_T4_T5_mT6_T7_P12ihipStream_tbENKUlT_T0_E_clISt17integral_constantIbLb0EES13_EEDaSY_SZ_EUlSY_E_NS1_11comp_targetILNS1_3genE10ELNS1_11target_archE1201ELNS1_3gpuE5ELNS1_3repE0EEENS1_30default_config_static_selectorELNS0_4arch9wavefront6targetE1EEEvT1_ ; -- Begin function _ZN7rocprim17ROCPRIM_400000_NS6detail17trampoline_kernelINS0_14default_configENS1_27scan_by_key_config_selectorIj11FixedVectorIiLj2EEEEZZNS1_16scan_by_key_implILNS1_25lookback_scan_determinismE0ELb1ES3_N6thrust23THRUST_200600_302600_NS6detail15normal_iteratorINSB_10device_ptrIjEEEENSD_INSE_IS6_EEEESI_S6_NSB_4plusIvEENSB_8equal_toIvEES6_EE10hipError_tPvRmT2_T3_T4_T5_mT6_T7_P12ihipStream_tbENKUlT_T0_E_clISt17integral_constantIbLb0EES13_EEDaSY_SZ_EUlSY_E_NS1_11comp_targetILNS1_3genE10ELNS1_11target_archE1201ELNS1_3gpuE5ELNS1_3repE0EEENS1_30default_config_static_selectorELNS0_4arch9wavefront6targetE1EEEvT1_
	.globl	_ZN7rocprim17ROCPRIM_400000_NS6detail17trampoline_kernelINS0_14default_configENS1_27scan_by_key_config_selectorIj11FixedVectorIiLj2EEEEZZNS1_16scan_by_key_implILNS1_25lookback_scan_determinismE0ELb1ES3_N6thrust23THRUST_200600_302600_NS6detail15normal_iteratorINSB_10device_ptrIjEEEENSD_INSE_IS6_EEEESI_S6_NSB_4plusIvEENSB_8equal_toIvEES6_EE10hipError_tPvRmT2_T3_T4_T5_mT6_T7_P12ihipStream_tbENKUlT_T0_E_clISt17integral_constantIbLb0EES13_EEDaSY_SZ_EUlSY_E_NS1_11comp_targetILNS1_3genE10ELNS1_11target_archE1201ELNS1_3gpuE5ELNS1_3repE0EEENS1_30default_config_static_selectorELNS0_4arch9wavefront6targetE1EEEvT1_
	.p2align	8
	.type	_ZN7rocprim17ROCPRIM_400000_NS6detail17trampoline_kernelINS0_14default_configENS1_27scan_by_key_config_selectorIj11FixedVectorIiLj2EEEEZZNS1_16scan_by_key_implILNS1_25lookback_scan_determinismE0ELb1ES3_N6thrust23THRUST_200600_302600_NS6detail15normal_iteratorINSB_10device_ptrIjEEEENSD_INSE_IS6_EEEESI_S6_NSB_4plusIvEENSB_8equal_toIvEES6_EE10hipError_tPvRmT2_T3_T4_T5_mT6_T7_P12ihipStream_tbENKUlT_T0_E_clISt17integral_constantIbLb0EES13_EEDaSY_SZ_EUlSY_E_NS1_11comp_targetILNS1_3genE10ELNS1_11target_archE1201ELNS1_3gpuE5ELNS1_3repE0EEENS1_30default_config_static_selectorELNS0_4arch9wavefront6targetE1EEEvT1_,@function
_ZN7rocprim17ROCPRIM_400000_NS6detail17trampoline_kernelINS0_14default_configENS1_27scan_by_key_config_selectorIj11FixedVectorIiLj2EEEEZZNS1_16scan_by_key_implILNS1_25lookback_scan_determinismE0ELb1ES3_N6thrust23THRUST_200600_302600_NS6detail15normal_iteratorINSB_10device_ptrIjEEEENSD_INSE_IS6_EEEESI_S6_NSB_4plusIvEENSB_8equal_toIvEES6_EE10hipError_tPvRmT2_T3_T4_T5_mT6_T7_P12ihipStream_tbENKUlT_T0_E_clISt17integral_constantIbLb0EES13_EEDaSY_SZ_EUlSY_E_NS1_11comp_targetILNS1_3genE10ELNS1_11target_archE1201ELNS1_3gpuE5ELNS1_3repE0EEENS1_30default_config_static_selectorELNS0_4arch9wavefront6targetE1EEEvT1_: ; @_ZN7rocprim17ROCPRIM_400000_NS6detail17trampoline_kernelINS0_14default_configENS1_27scan_by_key_config_selectorIj11FixedVectorIiLj2EEEEZZNS1_16scan_by_key_implILNS1_25lookback_scan_determinismE0ELb1ES3_N6thrust23THRUST_200600_302600_NS6detail15normal_iteratorINSB_10device_ptrIjEEEENSD_INSE_IS6_EEEESI_S6_NSB_4plusIvEENSB_8equal_toIvEES6_EE10hipError_tPvRmT2_T3_T4_T5_mT6_T7_P12ihipStream_tbENKUlT_T0_E_clISt17integral_constantIbLb0EES13_EEDaSY_SZ_EUlSY_E_NS1_11comp_targetILNS1_3genE10ELNS1_11target_archE1201ELNS1_3gpuE5ELNS1_3repE0EEENS1_30default_config_static_selectorELNS0_4arch9wavefront6targetE1EEEvT1_
; %bb.0:
	.section	.rodata,"a",@progbits
	.p2align	6, 0x0
	.amdhsa_kernel _ZN7rocprim17ROCPRIM_400000_NS6detail17trampoline_kernelINS0_14default_configENS1_27scan_by_key_config_selectorIj11FixedVectorIiLj2EEEEZZNS1_16scan_by_key_implILNS1_25lookback_scan_determinismE0ELb1ES3_N6thrust23THRUST_200600_302600_NS6detail15normal_iteratorINSB_10device_ptrIjEEEENSD_INSE_IS6_EEEESI_S6_NSB_4plusIvEENSB_8equal_toIvEES6_EE10hipError_tPvRmT2_T3_T4_T5_mT6_T7_P12ihipStream_tbENKUlT_T0_E_clISt17integral_constantIbLb0EES13_EEDaSY_SZ_EUlSY_E_NS1_11comp_targetILNS1_3genE10ELNS1_11target_archE1201ELNS1_3gpuE5ELNS1_3repE0EEENS1_30default_config_static_selectorELNS0_4arch9wavefront6targetE1EEEvT1_
		.amdhsa_group_segment_fixed_size 0
		.amdhsa_private_segment_fixed_size 0
		.amdhsa_kernarg_size 120
		.amdhsa_user_sgpr_count 6
		.amdhsa_user_sgpr_private_segment_buffer 1
		.amdhsa_user_sgpr_dispatch_ptr 0
		.amdhsa_user_sgpr_queue_ptr 0
		.amdhsa_user_sgpr_kernarg_segment_ptr 1
		.amdhsa_user_sgpr_dispatch_id 0
		.amdhsa_user_sgpr_flat_scratch_init 0
		.amdhsa_user_sgpr_kernarg_preload_length 0
		.amdhsa_user_sgpr_kernarg_preload_offset 0
		.amdhsa_user_sgpr_private_segment_size 0
		.amdhsa_uses_dynamic_stack 0
		.amdhsa_system_sgpr_private_segment_wavefront_offset 0
		.amdhsa_system_sgpr_workgroup_id_x 1
		.amdhsa_system_sgpr_workgroup_id_y 0
		.amdhsa_system_sgpr_workgroup_id_z 0
		.amdhsa_system_sgpr_workgroup_info 0
		.amdhsa_system_vgpr_workitem_id 0
		.amdhsa_next_free_vgpr 1
		.amdhsa_next_free_sgpr 0
		.amdhsa_accum_offset 4
		.amdhsa_reserve_vcc 0
		.amdhsa_reserve_flat_scratch 0
		.amdhsa_float_round_mode_32 0
		.amdhsa_float_round_mode_16_64 0
		.amdhsa_float_denorm_mode_32 3
		.amdhsa_float_denorm_mode_16_64 3
		.amdhsa_dx10_clamp 1
		.amdhsa_ieee_mode 1
		.amdhsa_fp16_overflow 0
		.amdhsa_tg_split 0
		.amdhsa_exception_fp_ieee_invalid_op 0
		.amdhsa_exception_fp_denorm_src 0
		.amdhsa_exception_fp_ieee_div_zero 0
		.amdhsa_exception_fp_ieee_overflow 0
		.amdhsa_exception_fp_ieee_underflow 0
		.amdhsa_exception_fp_ieee_inexact 0
		.amdhsa_exception_int_div_zero 0
	.end_amdhsa_kernel
	.section	.text._ZN7rocprim17ROCPRIM_400000_NS6detail17trampoline_kernelINS0_14default_configENS1_27scan_by_key_config_selectorIj11FixedVectorIiLj2EEEEZZNS1_16scan_by_key_implILNS1_25lookback_scan_determinismE0ELb1ES3_N6thrust23THRUST_200600_302600_NS6detail15normal_iteratorINSB_10device_ptrIjEEEENSD_INSE_IS6_EEEESI_S6_NSB_4plusIvEENSB_8equal_toIvEES6_EE10hipError_tPvRmT2_T3_T4_T5_mT6_T7_P12ihipStream_tbENKUlT_T0_E_clISt17integral_constantIbLb0EES13_EEDaSY_SZ_EUlSY_E_NS1_11comp_targetILNS1_3genE10ELNS1_11target_archE1201ELNS1_3gpuE5ELNS1_3repE0EEENS1_30default_config_static_selectorELNS0_4arch9wavefront6targetE1EEEvT1_,"axG",@progbits,_ZN7rocprim17ROCPRIM_400000_NS6detail17trampoline_kernelINS0_14default_configENS1_27scan_by_key_config_selectorIj11FixedVectorIiLj2EEEEZZNS1_16scan_by_key_implILNS1_25lookback_scan_determinismE0ELb1ES3_N6thrust23THRUST_200600_302600_NS6detail15normal_iteratorINSB_10device_ptrIjEEEENSD_INSE_IS6_EEEESI_S6_NSB_4plusIvEENSB_8equal_toIvEES6_EE10hipError_tPvRmT2_T3_T4_T5_mT6_T7_P12ihipStream_tbENKUlT_T0_E_clISt17integral_constantIbLb0EES13_EEDaSY_SZ_EUlSY_E_NS1_11comp_targetILNS1_3genE10ELNS1_11target_archE1201ELNS1_3gpuE5ELNS1_3repE0EEENS1_30default_config_static_selectorELNS0_4arch9wavefront6targetE1EEEvT1_,comdat
.Lfunc_end1994:
	.size	_ZN7rocprim17ROCPRIM_400000_NS6detail17trampoline_kernelINS0_14default_configENS1_27scan_by_key_config_selectorIj11FixedVectorIiLj2EEEEZZNS1_16scan_by_key_implILNS1_25lookback_scan_determinismE0ELb1ES3_N6thrust23THRUST_200600_302600_NS6detail15normal_iteratorINSB_10device_ptrIjEEEENSD_INSE_IS6_EEEESI_S6_NSB_4plusIvEENSB_8equal_toIvEES6_EE10hipError_tPvRmT2_T3_T4_T5_mT6_T7_P12ihipStream_tbENKUlT_T0_E_clISt17integral_constantIbLb0EES13_EEDaSY_SZ_EUlSY_E_NS1_11comp_targetILNS1_3genE10ELNS1_11target_archE1201ELNS1_3gpuE5ELNS1_3repE0EEENS1_30default_config_static_selectorELNS0_4arch9wavefront6targetE1EEEvT1_, .Lfunc_end1994-_ZN7rocprim17ROCPRIM_400000_NS6detail17trampoline_kernelINS0_14default_configENS1_27scan_by_key_config_selectorIj11FixedVectorIiLj2EEEEZZNS1_16scan_by_key_implILNS1_25lookback_scan_determinismE0ELb1ES3_N6thrust23THRUST_200600_302600_NS6detail15normal_iteratorINSB_10device_ptrIjEEEENSD_INSE_IS6_EEEESI_S6_NSB_4plusIvEENSB_8equal_toIvEES6_EE10hipError_tPvRmT2_T3_T4_T5_mT6_T7_P12ihipStream_tbENKUlT_T0_E_clISt17integral_constantIbLb0EES13_EEDaSY_SZ_EUlSY_E_NS1_11comp_targetILNS1_3genE10ELNS1_11target_archE1201ELNS1_3gpuE5ELNS1_3repE0EEENS1_30default_config_static_selectorELNS0_4arch9wavefront6targetE1EEEvT1_
                                        ; -- End function
	.section	.AMDGPU.csdata,"",@progbits
; Kernel info:
; codeLenInByte = 0
; NumSgprs: 4
; NumVgprs: 0
; NumAgprs: 0
; TotalNumVgprs: 0
; ScratchSize: 0
; MemoryBound: 0
; FloatMode: 240
; IeeeMode: 1
; LDSByteSize: 0 bytes/workgroup (compile time only)
; SGPRBlocks: 0
; VGPRBlocks: 0
; NumSGPRsForWavesPerEU: 4
; NumVGPRsForWavesPerEU: 1
; AccumOffset: 4
; Occupancy: 8
; WaveLimiterHint : 0
; COMPUTE_PGM_RSRC2:SCRATCH_EN: 0
; COMPUTE_PGM_RSRC2:USER_SGPR: 6
; COMPUTE_PGM_RSRC2:TRAP_HANDLER: 0
; COMPUTE_PGM_RSRC2:TGID_X_EN: 1
; COMPUTE_PGM_RSRC2:TGID_Y_EN: 0
; COMPUTE_PGM_RSRC2:TGID_Z_EN: 0
; COMPUTE_PGM_RSRC2:TIDIG_COMP_CNT: 0
; COMPUTE_PGM_RSRC3_GFX90A:ACCUM_OFFSET: 0
; COMPUTE_PGM_RSRC3_GFX90A:TG_SPLIT: 0
	.section	.text._ZN7rocprim17ROCPRIM_400000_NS6detail17trampoline_kernelINS0_14default_configENS1_27scan_by_key_config_selectorIj11FixedVectorIiLj2EEEEZZNS1_16scan_by_key_implILNS1_25lookback_scan_determinismE0ELb1ES3_N6thrust23THRUST_200600_302600_NS6detail15normal_iteratorINSB_10device_ptrIjEEEENSD_INSE_IS6_EEEESI_S6_NSB_4plusIvEENSB_8equal_toIvEES6_EE10hipError_tPvRmT2_T3_T4_T5_mT6_T7_P12ihipStream_tbENKUlT_T0_E_clISt17integral_constantIbLb0EES13_EEDaSY_SZ_EUlSY_E_NS1_11comp_targetILNS1_3genE5ELNS1_11target_archE942ELNS1_3gpuE9ELNS1_3repE0EEENS1_30default_config_static_selectorELNS0_4arch9wavefront6targetE1EEEvT1_,"axG",@progbits,_ZN7rocprim17ROCPRIM_400000_NS6detail17trampoline_kernelINS0_14default_configENS1_27scan_by_key_config_selectorIj11FixedVectorIiLj2EEEEZZNS1_16scan_by_key_implILNS1_25lookback_scan_determinismE0ELb1ES3_N6thrust23THRUST_200600_302600_NS6detail15normal_iteratorINSB_10device_ptrIjEEEENSD_INSE_IS6_EEEESI_S6_NSB_4plusIvEENSB_8equal_toIvEES6_EE10hipError_tPvRmT2_T3_T4_T5_mT6_T7_P12ihipStream_tbENKUlT_T0_E_clISt17integral_constantIbLb0EES13_EEDaSY_SZ_EUlSY_E_NS1_11comp_targetILNS1_3genE5ELNS1_11target_archE942ELNS1_3gpuE9ELNS1_3repE0EEENS1_30default_config_static_selectorELNS0_4arch9wavefront6targetE1EEEvT1_,comdat
	.protected	_ZN7rocprim17ROCPRIM_400000_NS6detail17trampoline_kernelINS0_14default_configENS1_27scan_by_key_config_selectorIj11FixedVectorIiLj2EEEEZZNS1_16scan_by_key_implILNS1_25lookback_scan_determinismE0ELb1ES3_N6thrust23THRUST_200600_302600_NS6detail15normal_iteratorINSB_10device_ptrIjEEEENSD_INSE_IS6_EEEESI_S6_NSB_4plusIvEENSB_8equal_toIvEES6_EE10hipError_tPvRmT2_T3_T4_T5_mT6_T7_P12ihipStream_tbENKUlT_T0_E_clISt17integral_constantIbLb0EES13_EEDaSY_SZ_EUlSY_E_NS1_11comp_targetILNS1_3genE5ELNS1_11target_archE942ELNS1_3gpuE9ELNS1_3repE0EEENS1_30default_config_static_selectorELNS0_4arch9wavefront6targetE1EEEvT1_ ; -- Begin function _ZN7rocprim17ROCPRIM_400000_NS6detail17trampoline_kernelINS0_14default_configENS1_27scan_by_key_config_selectorIj11FixedVectorIiLj2EEEEZZNS1_16scan_by_key_implILNS1_25lookback_scan_determinismE0ELb1ES3_N6thrust23THRUST_200600_302600_NS6detail15normal_iteratorINSB_10device_ptrIjEEEENSD_INSE_IS6_EEEESI_S6_NSB_4plusIvEENSB_8equal_toIvEES6_EE10hipError_tPvRmT2_T3_T4_T5_mT6_T7_P12ihipStream_tbENKUlT_T0_E_clISt17integral_constantIbLb0EES13_EEDaSY_SZ_EUlSY_E_NS1_11comp_targetILNS1_3genE5ELNS1_11target_archE942ELNS1_3gpuE9ELNS1_3repE0EEENS1_30default_config_static_selectorELNS0_4arch9wavefront6targetE1EEEvT1_
	.globl	_ZN7rocprim17ROCPRIM_400000_NS6detail17trampoline_kernelINS0_14default_configENS1_27scan_by_key_config_selectorIj11FixedVectorIiLj2EEEEZZNS1_16scan_by_key_implILNS1_25lookback_scan_determinismE0ELb1ES3_N6thrust23THRUST_200600_302600_NS6detail15normal_iteratorINSB_10device_ptrIjEEEENSD_INSE_IS6_EEEESI_S6_NSB_4plusIvEENSB_8equal_toIvEES6_EE10hipError_tPvRmT2_T3_T4_T5_mT6_T7_P12ihipStream_tbENKUlT_T0_E_clISt17integral_constantIbLb0EES13_EEDaSY_SZ_EUlSY_E_NS1_11comp_targetILNS1_3genE5ELNS1_11target_archE942ELNS1_3gpuE9ELNS1_3repE0EEENS1_30default_config_static_selectorELNS0_4arch9wavefront6targetE1EEEvT1_
	.p2align	8
	.type	_ZN7rocprim17ROCPRIM_400000_NS6detail17trampoline_kernelINS0_14default_configENS1_27scan_by_key_config_selectorIj11FixedVectorIiLj2EEEEZZNS1_16scan_by_key_implILNS1_25lookback_scan_determinismE0ELb1ES3_N6thrust23THRUST_200600_302600_NS6detail15normal_iteratorINSB_10device_ptrIjEEEENSD_INSE_IS6_EEEESI_S6_NSB_4plusIvEENSB_8equal_toIvEES6_EE10hipError_tPvRmT2_T3_T4_T5_mT6_T7_P12ihipStream_tbENKUlT_T0_E_clISt17integral_constantIbLb0EES13_EEDaSY_SZ_EUlSY_E_NS1_11comp_targetILNS1_3genE5ELNS1_11target_archE942ELNS1_3gpuE9ELNS1_3repE0EEENS1_30default_config_static_selectorELNS0_4arch9wavefront6targetE1EEEvT1_,@function
_ZN7rocprim17ROCPRIM_400000_NS6detail17trampoline_kernelINS0_14default_configENS1_27scan_by_key_config_selectorIj11FixedVectorIiLj2EEEEZZNS1_16scan_by_key_implILNS1_25lookback_scan_determinismE0ELb1ES3_N6thrust23THRUST_200600_302600_NS6detail15normal_iteratorINSB_10device_ptrIjEEEENSD_INSE_IS6_EEEESI_S6_NSB_4plusIvEENSB_8equal_toIvEES6_EE10hipError_tPvRmT2_T3_T4_T5_mT6_T7_P12ihipStream_tbENKUlT_T0_E_clISt17integral_constantIbLb0EES13_EEDaSY_SZ_EUlSY_E_NS1_11comp_targetILNS1_3genE5ELNS1_11target_archE942ELNS1_3gpuE9ELNS1_3repE0EEENS1_30default_config_static_selectorELNS0_4arch9wavefront6targetE1EEEvT1_: ; @_ZN7rocprim17ROCPRIM_400000_NS6detail17trampoline_kernelINS0_14default_configENS1_27scan_by_key_config_selectorIj11FixedVectorIiLj2EEEEZZNS1_16scan_by_key_implILNS1_25lookback_scan_determinismE0ELb1ES3_N6thrust23THRUST_200600_302600_NS6detail15normal_iteratorINSB_10device_ptrIjEEEENSD_INSE_IS6_EEEESI_S6_NSB_4plusIvEENSB_8equal_toIvEES6_EE10hipError_tPvRmT2_T3_T4_T5_mT6_T7_P12ihipStream_tbENKUlT_T0_E_clISt17integral_constantIbLb0EES13_EEDaSY_SZ_EUlSY_E_NS1_11comp_targetILNS1_3genE5ELNS1_11target_archE942ELNS1_3gpuE9ELNS1_3repE0EEENS1_30default_config_static_selectorELNS0_4arch9wavefront6targetE1EEEvT1_
; %bb.0:
	.section	.rodata,"a",@progbits
	.p2align	6, 0x0
	.amdhsa_kernel _ZN7rocprim17ROCPRIM_400000_NS6detail17trampoline_kernelINS0_14default_configENS1_27scan_by_key_config_selectorIj11FixedVectorIiLj2EEEEZZNS1_16scan_by_key_implILNS1_25lookback_scan_determinismE0ELb1ES3_N6thrust23THRUST_200600_302600_NS6detail15normal_iteratorINSB_10device_ptrIjEEEENSD_INSE_IS6_EEEESI_S6_NSB_4plusIvEENSB_8equal_toIvEES6_EE10hipError_tPvRmT2_T3_T4_T5_mT6_T7_P12ihipStream_tbENKUlT_T0_E_clISt17integral_constantIbLb0EES13_EEDaSY_SZ_EUlSY_E_NS1_11comp_targetILNS1_3genE5ELNS1_11target_archE942ELNS1_3gpuE9ELNS1_3repE0EEENS1_30default_config_static_selectorELNS0_4arch9wavefront6targetE1EEEvT1_
		.amdhsa_group_segment_fixed_size 0
		.amdhsa_private_segment_fixed_size 0
		.amdhsa_kernarg_size 120
		.amdhsa_user_sgpr_count 6
		.amdhsa_user_sgpr_private_segment_buffer 1
		.amdhsa_user_sgpr_dispatch_ptr 0
		.amdhsa_user_sgpr_queue_ptr 0
		.amdhsa_user_sgpr_kernarg_segment_ptr 1
		.amdhsa_user_sgpr_dispatch_id 0
		.amdhsa_user_sgpr_flat_scratch_init 0
		.amdhsa_user_sgpr_kernarg_preload_length 0
		.amdhsa_user_sgpr_kernarg_preload_offset 0
		.amdhsa_user_sgpr_private_segment_size 0
		.amdhsa_uses_dynamic_stack 0
		.amdhsa_system_sgpr_private_segment_wavefront_offset 0
		.amdhsa_system_sgpr_workgroup_id_x 1
		.amdhsa_system_sgpr_workgroup_id_y 0
		.amdhsa_system_sgpr_workgroup_id_z 0
		.amdhsa_system_sgpr_workgroup_info 0
		.amdhsa_system_vgpr_workitem_id 0
		.amdhsa_next_free_vgpr 1
		.amdhsa_next_free_sgpr 0
		.amdhsa_accum_offset 4
		.amdhsa_reserve_vcc 0
		.amdhsa_reserve_flat_scratch 0
		.amdhsa_float_round_mode_32 0
		.amdhsa_float_round_mode_16_64 0
		.amdhsa_float_denorm_mode_32 3
		.amdhsa_float_denorm_mode_16_64 3
		.amdhsa_dx10_clamp 1
		.amdhsa_ieee_mode 1
		.amdhsa_fp16_overflow 0
		.amdhsa_tg_split 0
		.amdhsa_exception_fp_ieee_invalid_op 0
		.amdhsa_exception_fp_denorm_src 0
		.amdhsa_exception_fp_ieee_div_zero 0
		.amdhsa_exception_fp_ieee_overflow 0
		.amdhsa_exception_fp_ieee_underflow 0
		.amdhsa_exception_fp_ieee_inexact 0
		.amdhsa_exception_int_div_zero 0
	.end_amdhsa_kernel
	.section	.text._ZN7rocprim17ROCPRIM_400000_NS6detail17trampoline_kernelINS0_14default_configENS1_27scan_by_key_config_selectorIj11FixedVectorIiLj2EEEEZZNS1_16scan_by_key_implILNS1_25lookback_scan_determinismE0ELb1ES3_N6thrust23THRUST_200600_302600_NS6detail15normal_iteratorINSB_10device_ptrIjEEEENSD_INSE_IS6_EEEESI_S6_NSB_4plusIvEENSB_8equal_toIvEES6_EE10hipError_tPvRmT2_T3_T4_T5_mT6_T7_P12ihipStream_tbENKUlT_T0_E_clISt17integral_constantIbLb0EES13_EEDaSY_SZ_EUlSY_E_NS1_11comp_targetILNS1_3genE5ELNS1_11target_archE942ELNS1_3gpuE9ELNS1_3repE0EEENS1_30default_config_static_selectorELNS0_4arch9wavefront6targetE1EEEvT1_,"axG",@progbits,_ZN7rocprim17ROCPRIM_400000_NS6detail17trampoline_kernelINS0_14default_configENS1_27scan_by_key_config_selectorIj11FixedVectorIiLj2EEEEZZNS1_16scan_by_key_implILNS1_25lookback_scan_determinismE0ELb1ES3_N6thrust23THRUST_200600_302600_NS6detail15normal_iteratorINSB_10device_ptrIjEEEENSD_INSE_IS6_EEEESI_S6_NSB_4plusIvEENSB_8equal_toIvEES6_EE10hipError_tPvRmT2_T3_T4_T5_mT6_T7_P12ihipStream_tbENKUlT_T0_E_clISt17integral_constantIbLb0EES13_EEDaSY_SZ_EUlSY_E_NS1_11comp_targetILNS1_3genE5ELNS1_11target_archE942ELNS1_3gpuE9ELNS1_3repE0EEENS1_30default_config_static_selectorELNS0_4arch9wavefront6targetE1EEEvT1_,comdat
.Lfunc_end1995:
	.size	_ZN7rocprim17ROCPRIM_400000_NS6detail17trampoline_kernelINS0_14default_configENS1_27scan_by_key_config_selectorIj11FixedVectorIiLj2EEEEZZNS1_16scan_by_key_implILNS1_25lookback_scan_determinismE0ELb1ES3_N6thrust23THRUST_200600_302600_NS6detail15normal_iteratorINSB_10device_ptrIjEEEENSD_INSE_IS6_EEEESI_S6_NSB_4plusIvEENSB_8equal_toIvEES6_EE10hipError_tPvRmT2_T3_T4_T5_mT6_T7_P12ihipStream_tbENKUlT_T0_E_clISt17integral_constantIbLb0EES13_EEDaSY_SZ_EUlSY_E_NS1_11comp_targetILNS1_3genE5ELNS1_11target_archE942ELNS1_3gpuE9ELNS1_3repE0EEENS1_30default_config_static_selectorELNS0_4arch9wavefront6targetE1EEEvT1_, .Lfunc_end1995-_ZN7rocprim17ROCPRIM_400000_NS6detail17trampoline_kernelINS0_14default_configENS1_27scan_by_key_config_selectorIj11FixedVectorIiLj2EEEEZZNS1_16scan_by_key_implILNS1_25lookback_scan_determinismE0ELb1ES3_N6thrust23THRUST_200600_302600_NS6detail15normal_iteratorINSB_10device_ptrIjEEEENSD_INSE_IS6_EEEESI_S6_NSB_4plusIvEENSB_8equal_toIvEES6_EE10hipError_tPvRmT2_T3_T4_T5_mT6_T7_P12ihipStream_tbENKUlT_T0_E_clISt17integral_constantIbLb0EES13_EEDaSY_SZ_EUlSY_E_NS1_11comp_targetILNS1_3genE5ELNS1_11target_archE942ELNS1_3gpuE9ELNS1_3repE0EEENS1_30default_config_static_selectorELNS0_4arch9wavefront6targetE1EEEvT1_
                                        ; -- End function
	.section	.AMDGPU.csdata,"",@progbits
; Kernel info:
; codeLenInByte = 0
; NumSgprs: 4
; NumVgprs: 0
; NumAgprs: 0
; TotalNumVgprs: 0
; ScratchSize: 0
; MemoryBound: 0
; FloatMode: 240
; IeeeMode: 1
; LDSByteSize: 0 bytes/workgroup (compile time only)
; SGPRBlocks: 0
; VGPRBlocks: 0
; NumSGPRsForWavesPerEU: 4
; NumVGPRsForWavesPerEU: 1
; AccumOffset: 4
; Occupancy: 8
; WaveLimiterHint : 0
; COMPUTE_PGM_RSRC2:SCRATCH_EN: 0
; COMPUTE_PGM_RSRC2:USER_SGPR: 6
; COMPUTE_PGM_RSRC2:TRAP_HANDLER: 0
; COMPUTE_PGM_RSRC2:TGID_X_EN: 1
; COMPUTE_PGM_RSRC2:TGID_Y_EN: 0
; COMPUTE_PGM_RSRC2:TGID_Z_EN: 0
; COMPUTE_PGM_RSRC2:TIDIG_COMP_CNT: 0
; COMPUTE_PGM_RSRC3_GFX90A:ACCUM_OFFSET: 0
; COMPUTE_PGM_RSRC3_GFX90A:TG_SPLIT: 0
	.section	.text._ZN7rocprim17ROCPRIM_400000_NS6detail17trampoline_kernelINS0_14default_configENS1_27scan_by_key_config_selectorIj11FixedVectorIiLj2EEEEZZNS1_16scan_by_key_implILNS1_25lookback_scan_determinismE0ELb1ES3_N6thrust23THRUST_200600_302600_NS6detail15normal_iteratorINSB_10device_ptrIjEEEENSD_INSE_IS6_EEEESI_S6_NSB_4plusIvEENSB_8equal_toIvEES6_EE10hipError_tPvRmT2_T3_T4_T5_mT6_T7_P12ihipStream_tbENKUlT_T0_E_clISt17integral_constantIbLb0EES13_EEDaSY_SZ_EUlSY_E_NS1_11comp_targetILNS1_3genE4ELNS1_11target_archE910ELNS1_3gpuE8ELNS1_3repE0EEENS1_30default_config_static_selectorELNS0_4arch9wavefront6targetE1EEEvT1_,"axG",@progbits,_ZN7rocprim17ROCPRIM_400000_NS6detail17trampoline_kernelINS0_14default_configENS1_27scan_by_key_config_selectorIj11FixedVectorIiLj2EEEEZZNS1_16scan_by_key_implILNS1_25lookback_scan_determinismE0ELb1ES3_N6thrust23THRUST_200600_302600_NS6detail15normal_iteratorINSB_10device_ptrIjEEEENSD_INSE_IS6_EEEESI_S6_NSB_4plusIvEENSB_8equal_toIvEES6_EE10hipError_tPvRmT2_T3_T4_T5_mT6_T7_P12ihipStream_tbENKUlT_T0_E_clISt17integral_constantIbLb0EES13_EEDaSY_SZ_EUlSY_E_NS1_11comp_targetILNS1_3genE4ELNS1_11target_archE910ELNS1_3gpuE8ELNS1_3repE0EEENS1_30default_config_static_selectorELNS0_4arch9wavefront6targetE1EEEvT1_,comdat
	.protected	_ZN7rocprim17ROCPRIM_400000_NS6detail17trampoline_kernelINS0_14default_configENS1_27scan_by_key_config_selectorIj11FixedVectorIiLj2EEEEZZNS1_16scan_by_key_implILNS1_25lookback_scan_determinismE0ELb1ES3_N6thrust23THRUST_200600_302600_NS6detail15normal_iteratorINSB_10device_ptrIjEEEENSD_INSE_IS6_EEEESI_S6_NSB_4plusIvEENSB_8equal_toIvEES6_EE10hipError_tPvRmT2_T3_T4_T5_mT6_T7_P12ihipStream_tbENKUlT_T0_E_clISt17integral_constantIbLb0EES13_EEDaSY_SZ_EUlSY_E_NS1_11comp_targetILNS1_3genE4ELNS1_11target_archE910ELNS1_3gpuE8ELNS1_3repE0EEENS1_30default_config_static_selectorELNS0_4arch9wavefront6targetE1EEEvT1_ ; -- Begin function _ZN7rocprim17ROCPRIM_400000_NS6detail17trampoline_kernelINS0_14default_configENS1_27scan_by_key_config_selectorIj11FixedVectorIiLj2EEEEZZNS1_16scan_by_key_implILNS1_25lookback_scan_determinismE0ELb1ES3_N6thrust23THRUST_200600_302600_NS6detail15normal_iteratorINSB_10device_ptrIjEEEENSD_INSE_IS6_EEEESI_S6_NSB_4plusIvEENSB_8equal_toIvEES6_EE10hipError_tPvRmT2_T3_T4_T5_mT6_T7_P12ihipStream_tbENKUlT_T0_E_clISt17integral_constantIbLb0EES13_EEDaSY_SZ_EUlSY_E_NS1_11comp_targetILNS1_3genE4ELNS1_11target_archE910ELNS1_3gpuE8ELNS1_3repE0EEENS1_30default_config_static_selectorELNS0_4arch9wavefront6targetE1EEEvT1_
	.globl	_ZN7rocprim17ROCPRIM_400000_NS6detail17trampoline_kernelINS0_14default_configENS1_27scan_by_key_config_selectorIj11FixedVectorIiLj2EEEEZZNS1_16scan_by_key_implILNS1_25lookback_scan_determinismE0ELb1ES3_N6thrust23THRUST_200600_302600_NS6detail15normal_iteratorINSB_10device_ptrIjEEEENSD_INSE_IS6_EEEESI_S6_NSB_4plusIvEENSB_8equal_toIvEES6_EE10hipError_tPvRmT2_T3_T4_T5_mT6_T7_P12ihipStream_tbENKUlT_T0_E_clISt17integral_constantIbLb0EES13_EEDaSY_SZ_EUlSY_E_NS1_11comp_targetILNS1_3genE4ELNS1_11target_archE910ELNS1_3gpuE8ELNS1_3repE0EEENS1_30default_config_static_selectorELNS0_4arch9wavefront6targetE1EEEvT1_
	.p2align	8
	.type	_ZN7rocprim17ROCPRIM_400000_NS6detail17trampoline_kernelINS0_14default_configENS1_27scan_by_key_config_selectorIj11FixedVectorIiLj2EEEEZZNS1_16scan_by_key_implILNS1_25lookback_scan_determinismE0ELb1ES3_N6thrust23THRUST_200600_302600_NS6detail15normal_iteratorINSB_10device_ptrIjEEEENSD_INSE_IS6_EEEESI_S6_NSB_4plusIvEENSB_8equal_toIvEES6_EE10hipError_tPvRmT2_T3_T4_T5_mT6_T7_P12ihipStream_tbENKUlT_T0_E_clISt17integral_constantIbLb0EES13_EEDaSY_SZ_EUlSY_E_NS1_11comp_targetILNS1_3genE4ELNS1_11target_archE910ELNS1_3gpuE8ELNS1_3repE0EEENS1_30default_config_static_selectorELNS0_4arch9wavefront6targetE1EEEvT1_,@function
_ZN7rocprim17ROCPRIM_400000_NS6detail17trampoline_kernelINS0_14default_configENS1_27scan_by_key_config_selectorIj11FixedVectorIiLj2EEEEZZNS1_16scan_by_key_implILNS1_25lookback_scan_determinismE0ELb1ES3_N6thrust23THRUST_200600_302600_NS6detail15normal_iteratorINSB_10device_ptrIjEEEENSD_INSE_IS6_EEEESI_S6_NSB_4plusIvEENSB_8equal_toIvEES6_EE10hipError_tPvRmT2_T3_T4_T5_mT6_T7_P12ihipStream_tbENKUlT_T0_E_clISt17integral_constantIbLb0EES13_EEDaSY_SZ_EUlSY_E_NS1_11comp_targetILNS1_3genE4ELNS1_11target_archE910ELNS1_3gpuE8ELNS1_3repE0EEENS1_30default_config_static_selectorELNS0_4arch9wavefront6targetE1EEEvT1_: ; @_ZN7rocprim17ROCPRIM_400000_NS6detail17trampoline_kernelINS0_14default_configENS1_27scan_by_key_config_selectorIj11FixedVectorIiLj2EEEEZZNS1_16scan_by_key_implILNS1_25lookback_scan_determinismE0ELb1ES3_N6thrust23THRUST_200600_302600_NS6detail15normal_iteratorINSB_10device_ptrIjEEEENSD_INSE_IS6_EEEESI_S6_NSB_4plusIvEENSB_8equal_toIvEES6_EE10hipError_tPvRmT2_T3_T4_T5_mT6_T7_P12ihipStream_tbENKUlT_T0_E_clISt17integral_constantIbLb0EES13_EEDaSY_SZ_EUlSY_E_NS1_11comp_targetILNS1_3genE4ELNS1_11target_archE910ELNS1_3gpuE8ELNS1_3repE0EEENS1_30default_config_static_selectorELNS0_4arch9wavefront6targetE1EEEvT1_
; %bb.0:
	s_load_dwordx8 s[44:51], s[4:5], 0x0
	s_load_dwordx2 s[62:63], s[4:5], 0x20
	s_load_dwordx4 s[52:55], s[4:5], 0x30
	s_load_dwordx2 s[64:65], s[4:5], 0x40
	s_load_dword s2, s[4:5], 0x48
	s_load_dwordx4 s[56:59], s[4:5], 0x50
	s_waitcnt lgkmcnt(0)
	s_lshl_b64 s[0:1], s[46:47], 2
	s_add_u32 s4, s44, s0
	s_addc_u32 s5, s45, s1
	s_lshl_b64 s[60:61], s[46:47], 3
	s_add_u32 s7, s48, s60
	s_mul_i32 s0, s65, s2
	s_mul_hi_u32 s1, s64, s2
	s_addc_u32 s8, s49, s61
	s_add_i32 s9, s1, s0
	s_mul_i32 s0, s6, 0x540
	s_mov_b32 s1, 0
	s_mul_i32 s10, s64, s2
	s_lshl_b64 s[2:3], s[0:1], 2
	s_add_u32 s66, s4, s2
	s_addc_u32 s67, s5, s3
	s_lshl_b64 s[48:49], s[0:1], 3
	s_add_u32 s7, s7, s48
	s_addc_u32 s55, s8, s49
	s_add_u32 s0, s10, s6
	s_addc_u32 s1, s9, 0
	s_add_u32 s4, s56, -1
	s_addc_u32 s5, s57, -1
	v_pk_mov_b32 v[2:3], s[4:5], s[4:5] op_sel:[0,1]
	v_cmp_ge_u64_e64 s[0:1], s[0:1], v[2:3]
	s_mov_b64 s[2:3], -1
	s_and_b64 vcc, exec, s[0:1]
	s_mul_i32 s33, s4, 0xfffffac0
	s_waitcnt lgkmcnt(0)
	; wave barrier
	s_cbranch_vccz .LBB1996_130
; %bb.1:
	v_pk_mov_b32 v[2:3], s[66:67], s[66:67] op_sel:[0,1]
	flat_load_dword v1, v[2:3]
	s_add_i32 s70, s33, s54
	v_cmp_gt_u32_e64 s[42:43], s70, v0
	s_waitcnt vmcnt(0) lgkmcnt(0)
	v_mov_b32_e32 v2, v1
	s_and_saveexec_b64 s[2:3], s[42:43]
	s_cbranch_execz .LBB1996_3
; %bb.2:
	v_lshlrev_b32_e32 v2, 2, v0
	v_mov_b32_e32 v3, s67
	v_add_co_u32_e32 v2, vcc, s66, v2
	v_addc_co_u32_e32 v3, vcc, 0, v3, vcc
	flat_load_dword v2, v[2:3]
.LBB1996_3:
	s_or_b64 exec, exec, s[2:3]
	v_or_b32_e32 v3, 64, v0
	v_cmp_gt_u32_e64 s[40:41], s70, v3
	v_mov_b32_e32 v3, v1
	s_and_saveexec_b64 s[2:3], s[40:41]
	s_cbranch_execz .LBB1996_5
; %bb.4:
	v_lshlrev_b32_e32 v3, 2, v0
	v_mov_b32_e32 v5, s67
	v_add_co_u32_e32 v4, vcc, s66, v3
	v_addc_co_u32_e32 v5, vcc, 0, v5, vcc
	flat_load_dword v3, v[4:5] offset:256
.LBB1996_5:
	s_or_b64 exec, exec, s[2:3]
	v_or_b32_e32 v4, 0x80, v0
	v_cmp_gt_u32_e64 s[38:39], s70, v4
	v_mov_b32_e32 v4, v1
	s_and_saveexec_b64 s[2:3], s[38:39]
	s_cbranch_execz .LBB1996_7
; %bb.6:
	v_lshlrev_b32_e32 v4, 2, v0
	v_mov_b32_e32 v5, s67
	v_add_co_u32_e32 v4, vcc, s66, v4
	v_addc_co_u32_e32 v5, vcc, 0, v5, vcc
	flat_load_dword v4, v[4:5] offset:512
.LBB1996_7:
	;; [unrolled: 13-line block ×15, first 2 shown]
	s_or_b64 exec, exec, s[2:3]
	v_or_b32_e32 v55, 0x400, v0
	v_cmp_gt_u32_e64 s[8:9], s70, v55
	v_mov_b32_e32 v18, v1
	s_and_saveexec_b64 s[2:3], s[8:9]
	s_cbranch_execz .LBB1996_35
; %bb.34:
	v_lshlrev_b32_e32 v18, 2, v55
	v_mov_b32_e32 v19, s67
	v_add_co_u32_e32 v18, vcc, s66, v18
	v_addc_co_u32_e32 v19, vcc, 0, v19, vcc
	flat_load_dword v18, v[18:19]
.LBB1996_35:
	s_or_b64 exec, exec, s[2:3]
	v_or_b32_e32 v58, 0x440, v0
	v_cmp_gt_u32_e64 s[44:45], s70, v58
	v_mov_b32_e32 v19, v1
	s_and_saveexec_b64 s[2:3], s[44:45]
	s_cbranch_execz .LBB1996_37
; %bb.36:
	v_lshlrev_b32_e32 v19, 2, v58
	v_mov_b32_e32 v21, s67
	v_add_co_u32_e32 v20, vcc, s66, v19
	v_addc_co_u32_e32 v21, vcc, 0, v21, vcc
	flat_load_dword v19, v[20:21]
.LBB1996_37:
	;; [unrolled: 13-line block ×4, first 2 shown]
	s_or_b64 exec, exec, s[46:47]
	v_or_b32_e32 v65, 0x500, v0
	v_cmp_gt_u32_e32 vcc, s70, v65
	s_and_saveexec_b64 s[56:57], vcc
	s_cbranch_execz .LBB1996_43
; %bb.42:
	v_lshlrev_b32_e32 v1, 2, v65
	v_mov_b32_e32 v23, s67
	v_add_co_u32_e64 v22, s[46:47], s66, v1
	v_addc_co_u32_e64 v23, s[46:47], 0, v23, s[46:47]
	flat_load_dword v1, v[22:23]
.LBB1996_43:
	s_or_b64 exec, exec, s[56:57]
	v_lshlrev_b32_e32 v26, 2, v0
	s_waitcnt vmcnt(0) lgkmcnt(0)
	ds_write2st64_b32 v26, v2, v3 offset1:1
	ds_write2st64_b32 v26, v4, v5 offset0:2 offset1:3
	ds_write2st64_b32 v26, v6, v7 offset0:4 offset1:5
	;; [unrolled: 1-line block ×9, first 2 shown]
	ds_write_b32 v26, v1 offset:5120
	v_pk_mov_b32 v[2:3], s[66:67], s[66:67] op_sel:[0,1]
	s_waitcnt lgkmcnt(0)
	; wave barrier
	s_waitcnt lgkmcnt(0)
	flat_load_dword v1, v[2:3]
	s_movk_i32 s46, 0x50
	v_mad_u32_u24 v2, v0, s46, v26
	s_movk_i32 s46, 0xffb0
	v_mad_i32_i24 v66, v0, s46, v2
	v_cmp_ne_u32_e64 s[46:47], 63, v0
	ds_read_b32 v79, v2
	ds_read2_b32 v[24:25], v2 offset0:1 offset1:2
	ds_read2_b32 v[22:23], v2 offset0:3 offset1:4
	;; [unrolled: 1-line block ×10, first 2 shown]
	s_waitcnt lgkmcnt(0)
	ds_write_b32 v66, v79 offset:5632
	s_waitcnt lgkmcnt(0)
	; wave barrier
	s_waitcnt lgkmcnt(0)
	s_and_saveexec_b64 s[56:57], s[46:47]
	s_cbranch_execz .LBB1996_45
; %bb.44:
	s_waitcnt vmcnt(0)
	ds_read_b32 v1, v26 offset:5636
.LBB1996_45:
	s_or_b64 exec, exec, s[56:57]
	v_mov_b32_e32 v2, 0
	v_mov_b32_e32 v4, 0
	;; [unrolled: 1-line block ×3, first 2 shown]
	s_waitcnt lgkmcnt(0)
	; wave barrier
	s_waitcnt lgkmcnt(0)
	s_and_saveexec_b64 s[46:47], s[42:43]
	s_cbranch_execz .LBB1996_47
; %bb.46:
	v_lshlrev_b32_e32 v3, 3, v0
	v_mov_b32_e32 v5, s55
	v_add_co_u32_e64 v4, s[42:43], s7, v3
	v_addc_co_u32_e64 v5, s[42:43], 0, v5, s[42:43]
	flat_load_dwordx2 v[4:5], v[4:5]
.LBB1996_47:
	s_or_b64 exec, exec, s[46:47]
	v_mov_b32_e32 v3, 0
	s_and_saveexec_b64 s[42:43], s[40:41]
	s_cbranch_execz .LBB1996_49
; %bb.48:
	v_lshlrev_b32_e32 v2, 3, v0
	v_mov_b32_e32 v3, s55
	v_add_co_u32_e64 v2, s[40:41], s7, v2
	v_addc_co_u32_e64 v3, s[40:41], 0, v3, s[40:41]
	flat_load_dwordx2 v[2:3], v[2:3] offset:512
.LBB1996_49:
	s_or_b64 exec, exec, s[42:43]
	v_mov_b32_e32 v26, 0
	v_mov_b32_e32 v28, 0
	v_mov_b32_e32 v29, 0
	s_and_saveexec_b64 s[40:41], s[38:39]
	s_cbranch_execz .LBB1996_51
; %bb.50:
	v_lshlrev_b32_e32 v27, 3, v0
	v_mov_b32_e32 v29, s55
	v_add_co_u32_e64 v28, s[38:39], s7, v27
	v_addc_co_u32_e64 v29, s[38:39], 0, v29, s[38:39]
	flat_load_dwordx2 v[28:29], v[28:29] offset:1024
.LBB1996_51:
	s_or_b64 exec, exec, s[40:41]
	v_mov_b32_e32 v27, 0
	s_and_saveexec_b64 s[38:39], s[36:37]
	s_cbranch_execz .LBB1996_53
; %bb.52:
	v_lshlrev_b32_e32 v26, 3, v0
	v_mov_b32_e32 v27, s55
	v_add_co_u32_e64 v26, s[36:37], s7, v26
	v_addc_co_u32_e64 v27, s[36:37], 0, v27, s[36:37]
	flat_load_dwordx2 v[26:27], v[26:27] offset:1536
.LBB1996_53:
	s_or_b64 exec, exec, s[38:39]
	v_mov_b32_e32 v30, 0
	v_mov_b32_e32 v32, 0
	v_mov_b32_e32 v33, 0
	s_and_saveexec_b64 s[36:37], s[34:35]
	s_cbranch_execz .LBB1996_55
; %bb.54:
	v_lshlrev_b32_e32 v31, 3, v0
	v_mov_b32_e32 v33, s55
	v_add_co_u32_e64 v32, s[34:35], s7, v31
	v_addc_co_u32_e64 v33, s[34:35], 0, v33, s[34:35]
	flat_load_dwordx2 v[32:33], v[32:33] offset:2048
.LBB1996_55:
	;; [unrolled: 24-line block ×3, first 2 shown]
	s_or_b64 exec, exec, s[30:31]
	v_mov_b32_e32 v35, 0
	s_and_saveexec_b64 s[28:29], s[26:27]
	s_cbranch_execz .LBB1996_61
; %bb.60:
	v_lshlrev_b32_e32 v34, 3, v0
	v_mov_b32_e32 v35, s55
	v_add_co_u32_e64 v34, s[26:27], s7, v34
	v_addc_co_u32_e64 v35, s[26:27], 0, v35, s[26:27]
	flat_load_dwordx2 v[34:35], v[34:35] offset:3584
.LBB1996_61:
	s_or_b64 exec, exec, s[28:29]
	v_mov_b32_e32 v38, 0
	v_mov_b32_e32 v40, 0
	v_mov_b32_e32 v41, 0
	s_and_saveexec_b64 s[26:27], s[24:25]
	s_cbranch_execz .LBB1996_63
; %bb.62:
	v_lshlrev_b32_e32 v39, 3, v39
	v_mov_b32_e32 v41, s55
	v_add_co_u32_e64 v40, s[24:25], s7, v39
	v_addc_co_u32_e64 v41, s[24:25], 0, v41, s[24:25]
	flat_load_dwordx2 v[40:41], v[40:41]
.LBB1996_63:
	s_or_b64 exec, exec, s[26:27]
	v_mov_b32_e32 v39, 0
	s_and_saveexec_b64 s[24:25], s[22:23]
	s_cbranch_execz .LBB1996_65
; %bb.64:
	v_lshlrev_b32_e32 v38, 3, v42
	v_mov_b32_e32 v39, s55
	v_add_co_u32_e64 v38, s[22:23], s7, v38
	v_addc_co_u32_e64 v39, s[22:23], 0, v39, s[22:23]
	flat_load_dwordx2 v[38:39], v[38:39]
.LBB1996_65:
	s_or_b64 exec, exec, s[24:25]
	v_mov_b32_e32 v42, 0
	v_mov_b32_e32 v44, 0
	v_mov_b32_e32 v45, 0
	s_and_saveexec_b64 s[22:23], s[20:21]
	s_cbranch_execz .LBB1996_67
; %bb.66:
	v_lshlrev_b32_e32 v43, 3, v43
	v_mov_b32_e32 v45, s55
	v_add_co_u32_e64 v44, s[20:21], s7, v43
	v_addc_co_u32_e64 v45, s[20:21], 0, v45, s[20:21]
	flat_load_dwordx2 v[44:45], v[44:45]
.LBB1996_67:
	s_or_b64 exec, exec, s[22:23]
	v_mov_b32_e32 v43, 0
	s_and_saveexec_b64 s[20:21], s[18:19]
	s_cbranch_execz .LBB1996_69
; %bb.68:
	v_lshlrev_b32_e32 v42, 3, v46
	v_mov_b32_e32 v43, s55
	v_add_co_u32_e64 v42, s[18:19], s7, v42
	v_addc_co_u32_e64 v43, s[18:19], 0, v43, s[18:19]
	flat_load_dwordx2 v[42:43], v[42:43]
.LBB1996_69:
	;; [unrolled: 24-line block ×6, first 2 shown]
	s_or_b64 exec, exec, s[4:5]
	v_mul_u32_u24_e32 v78, 21, v0
	v_mov_b32_e32 v64, 0
	v_mov_b32_e32 v62, 0
	v_mov_b32_e32 v63, 0
	s_and_saveexec_b64 s[2:3], vcc
	s_cbranch_execz .LBB1996_87
; %bb.86:
	v_lshlrev_b32_e32 v62, 3, v65
	v_mov_b32_e32 v63, s55
	v_add_co_u32_e32 v62, vcc, s7, v62
	v_addc_co_u32_e32 v63, vcc, 0, v63, vcc
	flat_load_dwordx2 v[62:63], v[62:63]
.LBB1996_87:
	s_or_b64 exec, exec, s[2:3]
	v_lshl_add_u32 v80, v0, 2, v66
	s_waitcnt vmcnt(0) lgkmcnt(0)
	ds_write2st64_b64 v80, v[4:5], v[2:3] offset1:1
	ds_write2st64_b64 v80, v[28:29], v[26:27] offset0:2 offset1:3
	ds_write2st64_b64 v80, v[32:33], v[30:31] offset0:4 offset1:5
	;; [unrolled: 1-line block ×9, first 2 shown]
	ds_write_b64 v80, v[62:63] offset:10240
	v_cmp_gt_u32_e32 vcc, s70, v78
	s_mov_b64 s[2:3], 0
	s_mov_b32 s72, 0
	v_pk_mov_b32 v[40:41], 0, 0
	s_mov_b64 s[10:11], 0
	v_mov_b32_e32 v50, 0
	v_mov_b32_e32 v42, 0
	;; [unrolled: 1-line block ×57, first 2 shown]
	s_waitcnt lgkmcnt(0)
	; wave barrier
	s_waitcnt lgkmcnt(0)
                                        ; implicit-def: $sgpr8_sgpr9
                                        ; implicit-def: $vgpr2_vgpr3
	s_and_saveexec_b64 s[4:5], vcc
	s_cbranch_execz .LBB1996_129
; %bb.88:
	s_movk_i32 s8, 0xa0
	v_mad_u32_u24 v2, v0, s8, v80
	ds_read_b64 v[2:3], v2
	v_add_u32_e32 v4, 1, v78
	v_mov_b32_e32 v5, s63
	v_mov_b32_e32 v26, s62
	v_cmp_ne_u32_e32 vcc, v79, v24
	s_waitcnt lgkmcnt(0)
	v_cndmask_b32_e32 v41, v3, v5, vcc
	v_cndmask_b32_e32 v40, v2, v26, vcc
	v_cndmask_b32_e64 v64, 0, 1, vcc
	v_cmp_gt_u32_e32 vcc, s70, v4
	v_mov_b32_e32 v50, 0
	v_mov_b32_e32 v42, 0
	;; [unrolled: 1-line block ×57, first 2 shown]
                                        ; implicit-def: $sgpr12_sgpr13
                                        ; implicit-def: $vgpr2_vgpr3
	s_and_saveexec_b64 s[8:9], vcc
	s_cbranch_execz .LBB1996_128
; %bb.89:
	v_mul_u32_u24_e32 v2, 0xa0, v0
	v_add_u32_e32 v26, v80, v2
	ds_read2_b64 v[2:5], v26 offset0:1 offset1:2
	v_cmp_ne_u32_e32 vcc, v24, v25
	v_mov_b32_e32 v24, s62
	v_add_u32_e32 v27, 2, v78
	v_cndmask_b32_e64 v47, 0, 1, vcc
	s_waitcnt lgkmcnt(0)
	v_cndmask_b32_e32 v44, v2, v24, vcc
	v_mov_b32_e32 v2, s63
	v_cndmask_b32_e32 v43, v3, v2, vcc
	v_cmp_gt_u32_e32 vcc, s70, v27
	s_mov_b64 s[14:15], 0
	v_mov_b32_e32 v50, 0
	v_mov_b32_e32 v42, 0
	;; [unrolled: 1-line block ×54, first 2 shown]
                                        ; implicit-def: $sgpr12_sgpr13
                                        ; implicit-def: $vgpr2_vgpr3
	s_and_saveexec_b64 s[10:11], vcc
	s_cbranch_execz .LBB1996_127
; %bb.90:
	v_cmp_ne_u32_e32 vcc, v25, v22
	v_mov_b32_e32 v3, s62
	v_add_u32_e32 v2, 3, v78
	v_cndmask_b32_e32 v46, v4, v3, vcc
	v_mov_b32_e32 v3, s63
	v_cndmask_b32_e64 v51, 0, 1, vcc
	v_cndmask_b32_e32 v45, v5, v3, vcc
	v_cmp_gt_u32_e32 vcc, s70, v2
	v_mov_b32_e32 v50, 0
	v_mov_b32_e32 v42, 0
	v_mov_b32_e32 v103, 0
	v_mov_b32_e32 v119, 0
	v_mov_b32_e32 v111, 0
	v_mov_b32_e32 v112, 0
	v_mov_b32_e32 v118, 0
	v_mov_b32_e32 v109, 0
	v_mov_b32_e32 v110, 0
	v_mov_b32_e32 v117, 0
	v_mov_b32_e32 v106, 0
	v_mov_b32_e32 v108, 0
	v_mov_b32_e32 v116, 0
	v_mov_b32_e32 v104, 0
	v_mov_b32_e32 v105, 0
	v_mov_b32_e32 v115, 0
	v_mov_b32_e32 v100, 0
	v_mov_b32_e32 v101, 0
	v_mov_b32_e32 v114, 0
	v_mov_b32_e32 v98, 0
	v_mov_b32_e32 v99, 0
	v_mov_b32_e32 v113, 0
	v_mov_b32_e32 v75, 0
	v_mov_b32_e32 v76, 0
	v_mov_b32_e32 v107, 0
	v_mov_b32_e32 v72, 0
	v_mov_b32_e32 v73, 0
	v_mov_b32_e32 v102, 0
	v_mov_b32_e32 v70, 0
	v_mov_b32_e32 v71, 0
	v_mov_b32_e32 v77, 0
	v_mov_b32_e32 v67, 0
	v_mov_b32_e32 v68, 0
	v_mov_b32_e32 v74, 0
	v_mov_b32_e32 v63, 0
	v_mov_b32_e32 v65, 0
	v_mov_b32_e32 v69, 0
	v_mov_b32_e32 v60, 0
	v_mov_b32_e32 v61, 0
	v_mov_b32_e32 v66, 0
	v_mov_b32_e32 v57, 0
	v_mov_b32_e32 v58, 0
	v_mov_b32_e32 v62, 0
	v_mov_b32_e32 v54, 0
	v_mov_b32_e32 v56, 0
	v_mov_b32_e32 v59, 0
	v_mov_b32_e32 v52, 0
	v_mov_b32_e32 v53, 0
	v_mov_b32_e32 v55, 0
	v_mov_b32_e32 v48, 0
	v_mov_b32_e32 v49, 0
                                        ; implicit-def: $sgpr16_sgpr17
                                        ; implicit-def: $vgpr2_vgpr3
	s_and_saveexec_b64 s[12:13], vcc
	s_cbranch_execz .LBB1996_126
; %bb.91:
	ds_read2_b64 v[2:5], v26 offset0:3 offset1:4
	v_cmp_ne_u32_e32 vcc, v22, v23
	v_mov_b32_e32 v22, s62
	v_add_u32_e32 v24, 4, v78
	v_cndmask_b32_e64 v55, 0, 1, vcc
	s_waitcnt lgkmcnt(0)
	v_cndmask_b32_e32 v49, v2, v22, vcc
	v_mov_b32_e32 v2, s63
	v_cndmask_b32_e32 v48, v3, v2, vcc
	v_cmp_gt_u32_e32 vcc, s70, v24
	s_mov_b64 s[18:19], 0
	v_mov_b32_e32 v50, 0
	v_mov_b32_e32 v42, 0
	;; [unrolled: 1-line block ×48, first 2 shown]
                                        ; implicit-def: $sgpr16_sgpr17
                                        ; implicit-def: $vgpr2_vgpr3
	s_and_saveexec_b64 s[14:15], vcc
	s_cbranch_execz .LBB1996_125
; %bb.92:
	v_cmp_ne_u32_e32 vcc, v23, v20
	v_mov_b32_e32 v3, s62
	v_add_u32_e32 v2, 5, v78
	v_cndmask_b32_e32 v53, v4, v3, vcc
	v_mov_b32_e32 v3, s63
	v_cndmask_b32_e64 v59, 0, 1, vcc
	v_cndmask_b32_e32 v52, v5, v3, vcc
	v_cmp_gt_u32_e32 vcc, s70, v2
	v_mov_b32_e32 v50, 0
	v_mov_b32_e32 v42, 0
	;; [unrolled: 1-line block ×45, first 2 shown]
                                        ; implicit-def: $sgpr20_sgpr21
                                        ; implicit-def: $vgpr2_vgpr3
	s_and_saveexec_b64 s[16:17], vcc
	s_cbranch_execz .LBB1996_124
; %bb.93:
	ds_read2_b64 v[2:5], v26 offset0:5 offset1:6
	v_cmp_ne_u32_e32 vcc, v20, v21
	v_mov_b32_e32 v20, s62
	v_add_u32_e32 v22, 6, v78
	v_cndmask_b32_e64 v62, 0, 1, vcc
	s_waitcnt lgkmcnt(0)
	v_cndmask_b32_e32 v56, v2, v20, vcc
	v_mov_b32_e32 v2, s63
	v_cndmask_b32_e32 v54, v3, v2, vcc
	v_cmp_gt_u32_e32 vcc, s70, v22
	s_mov_b64 s[22:23], 0
	v_mov_b32_e32 v50, 0
	v_mov_b32_e32 v42, 0
	;; [unrolled: 1-line block ×42, first 2 shown]
                                        ; implicit-def: $sgpr20_sgpr21
                                        ; implicit-def: $vgpr2_vgpr3
	s_and_saveexec_b64 s[18:19], vcc
	s_cbranch_execz .LBB1996_123
; %bb.94:
	v_cmp_ne_u32_e32 vcc, v21, v18
	v_mov_b32_e32 v3, s62
	v_add_u32_e32 v2, 7, v78
	v_cndmask_b32_e32 v58, v4, v3, vcc
	v_mov_b32_e32 v3, s63
	v_cndmask_b32_e64 v66, 0, 1, vcc
	v_cndmask_b32_e32 v57, v5, v3, vcc
	v_cmp_gt_u32_e32 vcc, s70, v2
	v_mov_b32_e32 v50, 0
	v_mov_b32_e32 v42, 0
	;; [unrolled: 1-line block ×39, first 2 shown]
                                        ; implicit-def: $sgpr24_sgpr25
                                        ; implicit-def: $vgpr2_vgpr3
	s_and_saveexec_b64 s[20:21], vcc
	s_cbranch_execz .LBB1996_122
; %bb.95:
	ds_read2_b64 v[2:5], v26 offset0:7 offset1:8
	v_cmp_ne_u32_e32 vcc, v18, v19
	v_mov_b32_e32 v18, s62
	v_add_u32_e32 v20, 8, v78
	v_cndmask_b32_e64 v69, 0, 1, vcc
	s_waitcnt lgkmcnt(0)
	v_cndmask_b32_e32 v61, v2, v18, vcc
	v_mov_b32_e32 v2, s63
	v_cndmask_b32_e32 v60, v3, v2, vcc
	v_cmp_gt_u32_e32 vcc, s70, v20
	s_mov_b64 s[26:27], 0
	v_mov_b32_e32 v50, 0
	v_mov_b32_e32 v42, 0
	;; [unrolled: 1-line block ×36, first 2 shown]
                                        ; implicit-def: $sgpr24_sgpr25
                                        ; implicit-def: $vgpr2_vgpr3
	s_and_saveexec_b64 s[22:23], vcc
	s_cbranch_execz .LBB1996_121
; %bb.96:
	v_cmp_ne_u32_e32 vcc, v19, v16
	v_mov_b32_e32 v3, s62
	v_add_u32_e32 v2, 9, v78
	v_cndmask_b32_e32 v65, v4, v3, vcc
	v_mov_b32_e32 v3, s63
	v_cndmask_b32_e64 v74, 0, 1, vcc
	v_cndmask_b32_e32 v63, v5, v3, vcc
	v_cmp_gt_u32_e32 vcc, s70, v2
	v_mov_b32_e32 v50, 0
	v_mov_b32_e32 v42, 0
	;; [unrolled: 1-line block ×33, first 2 shown]
                                        ; implicit-def: $sgpr28_sgpr29
                                        ; implicit-def: $vgpr2_vgpr3
	s_and_saveexec_b64 s[24:25], vcc
	s_cbranch_execz .LBB1996_120
; %bb.97:
	ds_read2_b64 v[2:5], v26 offset0:9 offset1:10
	v_cmp_ne_u32_e32 vcc, v16, v17
	v_mov_b32_e32 v16, s62
	v_add_u32_e32 v18, 10, v78
	v_cndmask_b32_e64 v77, 0, 1, vcc
	s_waitcnt lgkmcnt(0)
	v_cndmask_b32_e32 v68, v2, v16, vcc
	v_mov_b32_e32 v2, s63
	v_cndmask_b32_e32 v67, v3, v2, vcc
	v_cmp_gt_u32_e32 vcc, s70, v18
	s_mov_b64 s[30:31], 0
	v_mov_b32_e32 v50, 0
	v_mov_b32_e32 v42, 0
	;; [unrolled: 1-line block ×30, first 2 shown]
                                        ; implicit-def: $sgpr28_sgpr29
                                        ; implicit-def: $vgpr2_vgpr3
	s_and_saveexec_b64 s[26:27], vcc
	s_cbranch_execz .LBB1996_119
; %bb.98:
	v_cmp_ne_u32_e32 vcc, v17, v14
	v_mov_b32_e32 v3, s62
	v_add_u32_e32 v2, 11, v78
	v_cndmask_b32_e32 v71, v4, v3, vcc
	v_mov_b32_e32 v3, s63
	v_cndmask_b32_e64 v102, 0, 1, vcc
	v_cndmask_b32_e32 v70, v5, v3, vcc
	v_cmp_gt_u32_e32 vcc, s70, v2
	v_mov_b32_e32 v50, 0
	v_mov_b32_e32 v42, 0
	;; [unrolled: 1-line block ×27, first 2 shown]
                                        ; implicit-def: $sgpr34_sgpr35
                                        ; implicit-def: $vgpr2_vgpr3
	s_and_saveexec_b64 s[28:29], vcc
	s_cbranch_execz .LBB1996_118
; %bb.99:
	ds_read2_b64 v[2:5], v26 offset0:11 offset1:12
	v_cmp_ne_u32_e32 vcc, v14, v15
	v_mov_b32_e32 v14, s62
	v_add_u32_e32 v16, 12, v78
	v_cndmask_b32_e64 v107, 0, 1, vcc
	s_waitcnt lgkmcnt(0)
	v_cndmask_b32_e32 v73, v2, v14, vcc
	v_mov_b32_e32 v2, s63
	v_cndmask_b32_e32 v72, v3, v2, vcc
	v_cmp_gt_u32_e32 vcc, s70, v16
	s_mov_b64 s[36:37], 0
	v_mov_b32_e32 v50, 0
	v_mov_b32_e32 v42, 0
	;; [unrolled: 1-line block ×24, first 2 shown]
                                        ; implicit-def: $sgpr34_sgpr35
                                        ; implicit-def: $vgpr2_vgpr3
	s_and_saveexec_b64 s[30:31], vcc
	s_cbranch_execz .LBB1996_117
; %bb.100:
	v_cmp_ne_u32_e32 vcc, v15, v12
	v_mov_b32_e32 v3, s62
	v_add_u32_e32 v2, 13, v78
	v_cndmask_b32_e32 v76, v4, v3, vcc
	v_mov_b32_e32 v3, s63
	v_cndmask_b32_e64 v113, 0, 1, vcc
	v_cndmask_b32_e32 v75, v5, v3, vcc
	v_cmp_gt_u32_e32 vcc, s70, v2
	v_mov_b32_e32 v50, 0
	v_mov_b32_e32 v42, 0
	;; [unrolled: 1-line block ×21, first 2 shown]
                                        ; implicit-def: $sgpr38_sgpr39
                                        ; implicit-def: $vgpr2_vgpr3
	s_and_saveexec_b64 s[34:35], vcc
	s_cbranch_execz .LBB1996_116
; %bb.101:
	ds_read2_b64 v[2:5], v26 offset0:13 offset1:14
	v_cmp_ne_u32_e32 vcc, v12, v13
	v_mov_b32_e32 v12, s62
	v_add_u32_e32 v14, 14, v78
	v_cndmask_b32_e64 v114, 0, 1, vcc
	s_waitcnt lgkmcnt(0)
	v_cndmask_b32_e32 v99, v2, v12, vcc
	v_mov_b32_e32 v2, s63
	v_cndmask_b32_e32 v98, v3, v2, vcc
	v_cmp_gt_u32_e32 vcc, s70, v14
	s_mov_b64 s[40:41], 0
	v_mov_b32_e32 v50, 0
	v_mov_b32_e32 v42, 0
	;; [unrolled: 1-line block ×18, first 2 shown]
                                        ; implicit-def: $sgpr38_sgpr39
                                        ; implicit-def: $vgpr2_vgpr3
	s_and_saveexec_b64 s[36:37], vcc
	s_cbranch_execz .LBB1996_115
; %bb.102:
	v_cmp_ne_u32_e32 vcc, v13, v10
	v_mov_b32_e32 v3, s62
	v_add_u32_e32 v2, 15, v78
	v_cndmask_b32_e32 v101, v4, v3, vcc
	v_mov_b32_e32 v3, s63
	v_cndmask_b32_e64 v115, 0, 1, vcc
	v_cndmask_b32_e32 v100, v5, v3, vcc
	v_cmp_gt_u32_e32 vcc, s70, v2
	v_mov_b32_e32 v50, 0
	v_mov_b32_e32 v42, 0
	;; [unrolled: 1-line block ×15, first 2 shown]
                                        ; implicit-def: $sgpr42_sgpr43
                                        ; implicit-def: $vgpr2_vgpr3
	s_and_saveexec_b64 s[38:39], vcc
	s_cbranch_execz .LBB1996_114
; %bb.103:
	ds_read2_b64 v[2:5], v26 offset0:15 offset1:16
	v_cmp_ne_u32_e32 vcc, v10, v11
	v_mov_b32_e32 v10, s62
	v_add_u32_e32 v12, 16, v78
	v_cndmask_b32_e64 v116, 0, 1, vcc
	s_waitcnt lgkmcnt(0)
	v_cndmask_b32_e32 v105, v2, v10, vcc
	v_mov_b32_e32 v2, s63
	v_cndmask_b32_e32 v104, v3, v2, vcc
	v_cmp_gt_u32_e32 vcc, s70, v12
	s_mov_b64 s[44:45], 0
	v_mov_b32_e32 v50, 0
	v_mov_b32_e32 v42, 0
	v_mov_b32_e32 v103, 0
	v_mov_b32_e32 v119, 0
	v_mov_b32_e32 v111, 0
	v_mov_b32_e32 v112, 0
	v_mov_b32_e32 v118, 0
	v_mov_b32_e32 v109, 0
	v_mov_b32_e32 v110, 0
	v_mov_b32_e32 v117, 0
	v_mov_b32_e32 v106, 0
	v_mov_b32_e32 v108, 0
                                        ; implicit-def: $sgpr42_sgpr43
                                        ; implicit-def: $vgpr2_vgpr3
	s_and_saveexec_b64 s[40:41], vcc
	s_cbranch_execz .LBB1996_113
; %bb.104:
	v_cmp_ne_u32_e32 vcc, v11, v8
	v_mov_b32_e32 v3, s62
	v_add_u32_e32 v2, 17, v78
	v_cndmask_b32_e32 v108, v4, v3, vcc
	v_mov_b32_e32 v3, s63
	v_cndmask_b32_e64 v117, 0, 1, vcc
	v_cndmask_b32_e32 v106, v5, v3, vcc
	v_cmp_gt_u32_e32 vcc, s70, v2
	v_mov_b32_e32 v50, 0
	v_mov_b32_e32 v42, 0
	;; [unrolled: 1-line block ×9, first 2 shown]
                                        ; implicit-def: $sgpr46_sgpr47
                                        ; implicit-def: $vgpr2_vgpr3
	s_and_saveexec_b64 s[42:43], vcc
	s_cbranch_execz .LBB1996_112
; %bb.105:
	ds_read2_b64 v[2:5], v26 offset0:17 offset1:18
	v_cmp_ne_u32_e32 vcc, v8, v9
	v_mov_b32_e32 v8, s62
	v_add_u32_e32 v10, 18, v78
	v_cndmask_b32_e64 v118, 0, 1, vcc
	s_waitcnt lgkmcnt(0)
	v_cndmask_b32_e32 v110, v2, v8, vcc
	v_mov_b32_e32 v2, s63
	v_cndmask_b32_e32 v109, v3, v2, vcc
	v_cmp_gt_u32_e32 vcc, s70, v10
	s_mov_b64 s[56:57], 0
	v_mov_b32_e32 v50, 0
	v_mov_b32_e32 v42, 0
	;; [unrolled: 1-line block ×6, first 2 shown]
                                        ; implicit-def: $sgpr46_sgpr47
                                        ; implicit-def: $vgpr2_vgpr3
	s_and_saveexec_b64 s[44:45], vcc
	s_cbranch_execz .LBB1996_111
; %bb.106:
	v_cmp_ne_u32_e32 vcc, v9, v6
	v_mov_b32_e32 v3, s62
	v_add_u32_e32 v2, 19, v78
	v_cndmask_b32_e32 v112, v4, v3, vcc
	v_mov_b32_e32 v3, s63
	v_cndmask_b32_e64 v119, 0, 1, vcc
	v_cndmask_b32_e32 v111, v5, v3, vcc
	v_cmp_gt_u32_e32 vcc, s70, v2
	v_mov_b32_e32 v50, 0
	v_mov_b32_e32 v42, 0
	;; [unrolled: 1-line block ×3, first 2 shown]
                                        ; implicit-def: $sgpr68_sgpr69
                                        ; implicit-def: $vgpr2_vgpr3
	s_and_saveexec_b64 s[46:47], vcc
	s_cbranch_execz .LBB1996_110
; %bb.107:
	ds_read2_b64 v[2:5], v26 offset0:19 offset1:20
	v_cmp_ne_u32_e32 vcc, v6, v7
	v_mov_b32_e32 v6, s62
	v_add_u32_e32 v8, 20, v78
	v_cndmask_b32_e64 v50, 0, 1, vcc
	s_waitcnt lgkmcnt(0)
	v_cndmask_b32_e32 v103, v2, v6, vcc
	v_mov_b32_e32 v2, s63
	v_cndmask_b32_e32 v42, v3, v2, vcc
	v_cmp_gt_u32_e32 vcc, s70, v8
                                        ; implicit-def: $sgpr68_sgpr69
                                        ; implicit-def: $vgpr2_vgpr3
	s_and_saveexec_b64 s[70:71], vcc
	s_xor_b64 s[70:71], exec, s[70:71]
; %bb.108:
	v_mov_b32_e32 v2, s63
	v_cmp_ne_u32_e32 vcc, v7, v1
	v_mov_b32_e32 v1, s62
	s_mov_b64 s[56:57], exec
	v_cndmask_b32_e32 v3, v5, v2, vcc
	v_cndmask_b32_e32 v2, v4, v1, vcc
	s_and_b64 s[68:69], vcc, exec
; %bb.109:
	s_or_b64 exec, exec, s[70:71]
	s_and_b64 s[68:69], s[68:69], exec
	s_and_b64 s[56:57], s[56:57], exec
.LBB1996_110:
	s_or_b64 exec, exec, s[46:47]
	s_and_b64 s[46:47], s[68:69], exec
	s_and_b64 s[56:57], s[56:57], exec
.LBB1996_111:
	s_or_b64 exec, exec, s[44:45]
	s_and_b64 s[46:47], s[46:47], exec
	s_and_b64 s[44:45], s[56:57], exec
.LBB1996_112:
	s_or_b64 exec, exec, s[42:43]
	s_and_b64 s[42:43], s[46:47], exec
	s_and_b64 s[44:45], s[44:45], exec
.LBB1996_113:
	s_or_b64 exec, exec, s[40:41]
	s_and_b64 s[42:43], s[42:43], exec
	s_and_b64 s[40:41], s[44:45], exec
.LBB1996_114:
	s_or_b64 exec, exec, s[38:39]
	s_and_b64 s[38:39], s[42:43], exec
	s_and_b64 s[40:41], s[40:41], exec
.LBB1996_115:
	s_or_b64 exec, exec, s[36:37]
	s_and_b64 s[38:39], s[38:39], exec
	s_and_b64 s[36:37], s[40:41], exec
.LBB1996_116:
	s_or_b64 exec, exec, s[34:35]
	s_and_b64 s[34:35], s[38:39], exec
	s_and_b64 s[36:37], s[36:37], exec
.LBB1996_117:
	s_or_b64 exec, exec, s[30:31]
	s_and_b64 s[34:35], s[34:35], exec
	s_and_b64 s[30:31], s[36:37], exec
.LBB1996_118:
	s_or_b64 exec, exec, s[28:29]
	s_and_b64 s[28:29], s[34:35], exec
	s_and_b64 s[30:31], s[30:31], exec
.LBB1996_119:
	s_or_b64 exec, exec, s[26:27]
	s_and_b64 s[28:29], s[28:29], exec
	s_and_b64 s[26:27], s[30:31], exec
.LBB1996_120:
	s_or_b64 exec, exec, s[24:25]
	s_and_b64 s[24:25], s[28:29], exec
	s_and_b64 s[26:27], s[26:27], exec
.LBB1996_121:
	s_or_b64 exec, exec, s[22:23]
	s_and_b64 s[24:25], s[24:25], exec
	s_and_b64 s[22:23], s[26:27], exec
.LBB1996_122:
	s_or_b64 exec, exec, s[20:21]
	s_and_b64 s[20:21], s[24:25], exec
	s_and_b64 s[22:23], s[22:23], exec
.LBB1996_123:
	s_or_b64 exec, exec, s[18:19]
	s_and_b64 s[20:21], s[20:21], exec
	s_and_b64 s[18:19], s[22:23], exec
.LBB1996_124:
	s_or_b64 exec, exec, s[16:17]
	s_and_b64 s[16:17], s[20:21], exec
	s_and_b64 s[18:19], s[18:19], exec
.LBB1996_125:
	s_or_b64 exec, exec, s[14:15]
	s_and_b64 s[16:17], s[16:17], exec
	s_and_b64 s[14:15], s[18:19], exec
.LBB1996_126:
	s_or_b64 exec, exec, s[12:13]
	s_and_b64 s[12:13], s[16:17], exec
	s_and_b64 s[14:15], s[14:15], exec
.LBB1996_127:
	s_or_b64 exec, exec, s[10:11]
	s_and_b64 s[12:13], s[12:13], exec
	s_and_b64 s[10:11], s[14:15], exec
.LBB1996_128:
	s_or_b64 exec, exec, s[8:9]
	s_and_b64 s[8:9], s[12:13], exec
	s_and_b64 s[10:11], s[10:11], exec
.LBB1996_129:
	s_or_b64 exec, exec, s[4:5]
	s_mov_b32 s4, 0
	s_and_b64 vcc, exec, s[2:3]
	s_cbranch_vccnz .LBB1996_131
	s_branch .LBB1996_134
.LBB1996_130:
	s_mov_b64 s[10:11], 0
                                        ; kill: def $vgpr1 killed $sgpr0 killed $exec
                                        ; implicit-def: $sgpr8_sgpr9
                                        ; implicit-def: $vgpr64
                                        ; implicit-def: $vgpr2_vgpr3
                                        ; implicit-def: $vgpr50
                                        ; implicit-def: $vgpr42
                                        ; implicit-def: $vgpr103
                                        ; implicit-def: $vgpr119
                                        ; implicit-def: $vgpr111
                                        ; implicit-def: $vgpr112
                                        ; implicit-def: $vgpr118
                                        ; implicit-def: $vgpr109
                                        ; implicit-def: $vgpr110
                                        ; implicit-def: $vgpr117
                                        ; implicit-def: $vgpr106
                                        ; implicit-def: $vgpr108
                                        ; implicit-def: $vgpr116
                                        ; implicit-def: $vgpr104
                                        ; implicit-def: $vgpr105
                                        ; implicit-def: $vgpr115
                                        ; implicit-def: $vgpr100
                                        ; implicit-def: $vgpr101
                                        ; implicit-def: $vgpr114
                                        ; implicit-def: $vgpr98
                                        ; implicit-def: $vgpr99
                                        ; implicit-def: $vgpr113
                                        ; implicit-def: $vgpr75
                                        ; implicit-def: $vgpr76
                                        ; implicit-def: $vgpr107
                                        ; implicit-def: $vgpr72
                                        ; implicit-def: $vgpr73
                                        ; implicit-def: $vgpr102
                                        ; implicit-def: $vgpr70
                                        ; implicit-def: $vgpr71
                                        ; implicit-def: $vgpr77
                                        ; implicit-def: $vgpr67
                                        ; implicit-def: $vgpr68
                                        ; implicit-def: $vgpr74
                                        ; implicit-def: $vgpr63
                                        ; implicit-def: $vgpr65
                                        ; implicit-def: $vgpr69
                                        ; implicit-def: $vgpr60
                                        ; implicit-def: $vgpr61
                                        ; implicit-def: $vgpr66
                                        ; implicit-def: $vgpr57
                                        ; implicit-def: $vgpr58
                                        ; implicit-def: $vgpr62
                                        ; implicit-def: $vgpr54
                                        ; implicit-def: $vgpr56
                                        ; implicit-def: $vgpr59
                                        ; implicit-def: $vgpr52
                                        ; implicit-def: $vgpr53
                                        ; implicit-def: $vgpr55
                                        ; implicit-def: $vgpr48
                                        ; implicit-def: $vgpr49
                                        ; implicit-def: $vgpr51
                                        ; implicit-def: $vgpr45
                                        ; implicit-def: $vgpr46
                                        ; implicit-def: $vgpr47
                                        ; implicit-def: $vgpr43
                                        ; implicit-def: $vgpr44
                                        ; implicit-def: $vgpr40_vgpr41
                                        ; implicit-def: $sgpr4
                                        ; implicit-def: $sgpr72
	s_and_b64 vcc, exec, s[2:3]
	s_cbranch_vccz .LBB1996_134
.LBB1996_131:
	v_lshlrev_b32_e32 v24, 2, v0
	v_mov_b32_e32 v1, s67
	v_add_co_u32_e32 v2, vcc, s66, v24
	v_addc_co_u32_e32 v3, vcc, 0, v1, vcc
	s_movk_i32 s4, 0x1000
	flat_load_dword v1, v[2:3]
	flat_load_dword v4, v[2:3] offset:256
	flat_load_dword v5, v[2:3] offset:512
	;; [unrolled: 1-line block ×15, first 2 shown]
	v_add_co_u32_e32 v2, vcc, s4, v2
	v_addc_co_u32_e32 v3, vcc, 0, v3, vcc
	flat_load_dword v19, v[2:3]
	flat_load_dword v20, v[2:3] offset:256
	flat_load_dword v21, v[2:3] offset:512
	;; [unrolled: 1-line block ×4, first 2 shown]
	v_mov_b32_e32 v2, s66
	v_mov_b32_e32 v3, s67
	v_add_co_u32_e32 v2, vcc, 0x1000, v2
	v_addc_co_u32_e32 v3, vcc, 0, v3, vcc
	s_movk_i32 s2, 0x50
	v_cmp_ne_u32_e32 vcc, 63, v0
	s_waitcnt vmcnt(0) lgkmcnt(0)
	ds_write2st64_b32 v24, v1, v4 offset1:1
	ds_write2st64_b32 v24, v5, v6 offset0:2 offset1:3
	ds_write2st64_b32 v24, v7, v8 offset0:4 offset1:5
	;; [unrolled: 1-line block ×9, first 2 shown]
	ds_write_b32 v24, v23 offset:5120
	s_waitcnt lgkmcnt(0)
	; wave barrier
	s_waitcnt lgkmcnt(0)
	flat_load_dword v1, v[2:3] offset:1280
	v_mad_u32_u24 v23, v0, s2, v24
	s_movk_i32 s2, 0xffb0
	ds_read_b32 v22, v23
	ds_read2_b32 v[4:5], v23 offset0:1 offset1:2
	ds_read2_b32 v[20:21], v23 offset0:3 offset1:4
	;; [unrolled: 1-line block ×10, first 2 shown]
	v_mad_i32_i24 v23, v0, s2, v23
	s_waitcnt lgkmcnt(0)
	ds_write_b32 v23, v22 offset:5632
	s_waitcnt lgkmcnt(0)
	; wave barrier
	s_waitcnt lgkmcnt(0)
	s_and_saveexec_b64 s[2:3], vcc
	s_cbranch_execz .LBB1996_133
; %bb.132:
	s_waitcnt vmcnt(0)
	ds_read_b32 v1, v24 offset:5636
.LBB1996_133:
	s_or_b64 exec, exec, s[2:3]
	v_lshlrev_b32_e32 v24, 3, v0
	v_mov_b32_e32 v25, s55
	v_add_co_u32_e32 v24, vcc, s7, v24
	v_addc_co_u32_e32 v25, vcc, 0, v25, vcc
	v_add_co_u32_e32 v42, vcc, s4, v24
	v_addc_co_u32_e32 v43, vcc, 0, v25, vcc
	s_movk_i32 s2, 0x2000
	s_waitcnt lgkmcnt(0)
	; wave barrier
	s_waitcnt lgkmcnt(0)
	flat_load_dwordx2 v[26:27], v[24:25]
	flat_load_dwordx2 v[28:29], v[24:25] offset:512
	flat_load_dwordx2 v[30:31], v[24:25] offset:1024
	;; [unrolled: 1-line block ×7, first 2 shown]
	v_add_co_u32_e32 v24, vcc, s2, v24
	v_addc_co_u32_e32 v25, vcc, 0, v25, vcc
	flat_load_dwordx2 v[44:45], v[42:43]
	flat_load_dwordx2 v[48:49], v[42:43] offset:512
	flat_load_dwordx2 v[52:53], v[42:43] offset:1024
	;; [unrolled: 1-line block ×7, first 2 shown]
	s_nop 0
	flat_load_dwordx2 v[42:43], v[24:25]
	flat_load_dwordx2 v[78:79], v[24:25] offset:512
	flat_load_dwordx2 v[80:81], v[24:25] offset:1024
	;; [unrolled: 1-line block ×4, first 2 shown]
	v_cmp_ne_u32_e64 s[38:39], v7, v2
	v_cmp_ne_u32_e64 s[40:41], v2, v3
	v_lshl_add_u32 v2, v0, 2, v23
	s_movk_i32 s7, 0xa0
	v_cmp_ne_u32_e64 s[2:3], v5, v20
	v_cmp_ne_u32_e64 s[4:5], v20, v21
	;; [unrolled: 1-line block ×16, first 2 shown]
	v_cmp_ne_u32_e32 vcc, v4, v5
	v_cmp_ne_u32_e64 s[42:43], v22, v4
	v_mov_b32_e32 v4, s62
	v_cndmask_b32_e64 v59, 0, 1, s[8:9]
	v_cndmask_b32_e64 v47, 0, 1, vcc
	v_cndmask_b32_e64 v51, 0, 1, s[2:3]
	v_cndmask_b32_e64 v55, 0, 1, s[4:5]
	;; [unrolled: 1-line block ×17, first 2 shown]
                                        ; implicit-def: $sgpr72
	s_waitcnt vmcnt(0) lgkmcnt(0)
	ds_write2st64_b64 v2, v[26:27], v[28:29] offset1:1
	ds_write2st64_b64 v2, v[30:31], v[32:33] offset0:2 offset1:3
	ds_write2st64_b64 v2, v[34:35], v[36:37] offset0:4 offset1:5
	;; [unrolled: 1-line block ×9, first 2 shown]
	ds_write_b64 v2, v[84:85] offset:10240
	v_mad_u32_u24 v2, v0, s7, v2
	s_waitcnt lgkmcnt(0)
	; wave barrier
	s_waitcnt lgkmcnt(0)
	ds_read2_b64 v[6:9], v2 offset1:1
	ds_read2_b64 v[10:13], v2 offset0:2 offset1:3
	ds_read2_b64 v[14:17], v2 offset0:4 offset1:5
	;; [unrolled: 1-line block ×9, first 2 shown]
	ds_read_b64 v[86:87], v2 offset:160
	v_mov_b32_e32 v2, s63
	s_waitcnt lgkmcnt(8)
	v_cndmask_b32_e64 v53, v14, v4, s[8:9]
	v_cndmask_b32_e64 v52, v15, v2, s[8:9]
	v_cmp_ne_u32_e64 s[8:9], v3, v1
	v_cndmask_b32_e64 v41, v7, v2, s[42:43]
	v_cndmask_b32_e64 v40, v6, v4, s[42:43]
	;; [unrolled: 1-line block ×3, first 2 shown]
	v_cndmask_b32_e32 v44, v8, v4, vcc
	v_cndmask_b32_e32 v43, v9, v2, vcc
	v_cndmask_b32_e64 v46, v10, v4, s[2:3]
	v_cndmask_b32_e64 v45, v11, v2, s[2:3]
	;; [unrolled: 1-line block ×6, first 2 shown]
	s_waitcnt lgkmcnt(7)
	v_cndmask_b32_e64 v58, v18, v4, s[12:13]
	v_cndmask_b32_e64 v57, v19, v2, s[12:13]
	v_cndmask_b32_e64 v61, v20, v4, s[14:15]
	v_cndmask_b32_e64 v60, v21, v2, s[14:15]
	s_waitcnt lgkmcnt(6)
	v_cndmask_b32_e64 v65, v24, v4, s[16:17]
	v_cndmask_b32_e64 v63, v25, v2, s[16:17]
	v_cndmask_b32_e64 v68, v26, v4, s[18:19]
	v_cndmask_b32_e64 v67, v27, v2, s[18:19]
	;; [unrolled: 5-line block ×7, first 2 shown]
	s_waitcnt lgkmcnt(0)
	v_cndmask_b32_e64 v3, v87, v2, s[8:9]
	v_cndmask_b32_e64 v2, v86, v4, s[8:9]
	s_mov_b64 s[10:11], -1
                                        ; kill: def $vgpr1 killed $sgpr0 killed $exec
                                        ; implicit-def: $sgpr4
.LBB1996_134:
	v_mov_b32_e32 v121, s72
	v_mov_b32_e32 v122, s72
	;; [unrolled: 1-line block ×3, first 2 shown]
	s_and_saveexec_b64 s[2:3], s[10:11]
; %bb.135:
	v_cndmask_b32_e64 v120, 0, 1, s[8:9]
	v_mov_b32_e32 v121, v2
	v_mov_b32_e32 v122, v3
; %bb.136:
	s_or_b64 exec, exec, s[2:3]
	v_or_b32_e32 v1, v120, v50
	s_cmp_lg_u32 s6, 0
	v_or_b32_e32 v124, v1, v119
	v_mbcnt_lo_u32_b32 v123, -1, 0
	s_waitcnt lgkmcnt(0)
	; wave barrier
	s_waitcnt lgkmcnt(0)
	s_cbranch_scc0 .LBB1996_193
; %bb.137:
	v_mov_b32_e32 v1, 0
	v_cmp_eq_u16_sdwa s[2:3], v47, v1 src0_sel:BYTE_0 src1_sel:DWORD
	v_cndmask_b32_e64 v2, 0, v40, s[2:3]
	v_add_u32_e32 v2, v2, v44
	v_cndmask_b32_e64 v3, 0, v41, s[2:3]
	v_cmp_eq_u16_sdwa s[4:5], v51, v1 src0_sel:BYTE_0 src1_sel:DWORD
	v_add_u32_e32 v3, v3, v43
	v_cndmask_b32_e64 v2, 0, v2, s[4:5]
	v_add_u32_e32 v2, v2, v46
	v_cndmask_b32_e64 v3, 0, v3, s[4:5]
	v_cmp_eq_u16_sdwa s[44:45], v55, v1 src0_sel:BYTE_0 src1_sel:DWORD
	v_add_u32_e32 v3, v3, v45
	;; [unrolled: 5-line block ×18, first 2 shown]
	v_cndmask_b32_e64 v2, 0, v2, s[40:41]
	v_add_u32_e32 v2, v2, v103
	v_cndmask_b32_e64 v3, 0, v3, s[40:41]
	v_cmp_eq_u16_sdwa vcc, v120, v1 src0_sel:BYTE_0 src1_sel:DWORD
	v_add_u32_e32 v3, v3, v42
	v_cndmask_b32_e32 v1, 0, v2, vcc
	v_add_u32_e32 v2, v1, v121
	v_cndmask_b32_e32 v1, 0, v3, vcc
	v_add_u32_e32 v3, v1, v122
	v_or_b32_e32 v1, v124, v118
	v_or_b32_e32 v1, v1, v117
	;; [unrolled: 1-line block ×17, first 2 shown]
	v_and_b32_e32 v1, 1, v1
	v_cmp_eq_u32_e32 vcc, 1, v1
	v_mbcnt_hi_u32_b32 v9, -1, v123
	v_cndmask_b32_e64 v1, v64, 1, vcc
	v_and_b32_e32 v4, 15, v9
	v_mov_b32_dpp v5, v2 row_shr:1 row_mask:0xf bank_mask:0xf
	v_mov_b32_dpp v6, v3 row_shr:1 row_mask:0xf bank_mask:0xf
	;; [unrolled: 1-line block ×3, first 2 shown]
	v_cmp_ne_u32_e32 vcc, 0, v4
	s_and_saveexec_b64 s[42:43], vcc
; %bb.138:
	v_cmp_eq_u32_e32 vcc, 0, v1
	v_cndmask_b32_e32 v5, 0, v5, vcc
	v_add_u32_e32 v2, v5, v2
	v_cndmask_b32_e32 v5, 0, v6, vcc
	v_add_u32_e32 v3, v5, v3
	v_and_or_b32 v1, v7, 1, v1
; %bb.139:
	s_or_b64 exec, exec, s[42:43]
	v_mov_b32_dpp v6, v2 row_shr:2 row_mask:0xf bank_mask:0xf
	v_mov_b32_dpp v7, v3 row_shr:2 row_mask:0xf bank_mask:0xf
	v_mov_b32_dpp v5, v1 row_shr:2 row_mask:0xf bank_mask:0xf
	v_cmp_lt_u32_e32 vcc, 1, v4
	s_and_saveexec_b64 s[42:43], vcc
; %bb.140:
	v_add_u32_e32 v6, v6, v2
	v_add_u32_e32 v7, v7, v3
	v_cmp_eq_u32_e32 vcc, 0, v1
	v_or_b32_e32 v1, v5, v1
	v_cndmask_b32_e32 v2, v2, v6, vcc
	v_cndmask_b32_e32 v3, v3, v7, vcc
	v_and_b32_e32 v1, 1, v1
; %bb.141:
	s_or_b64 exec, exec, s[42:43]
	v_mov_b32_dpp v6, v2 row_shr:4 row_mask:0xf bank_mask:0xf
	v_mov_b32_dpp v7, v3 row_shr:4 row_mask:0xf bank_mask:0xf
	v_mov_b32_dpp v5, v1 row_shr:4 row_mask:0xf bank_mask:0xf
	v_cmp_lt_u32_e32 vcc, 3, v4
	s_and_saveexec_b64 s[42:43], vcc
; %bb.142:
	v_add_u32_e32 v6, v6, v2
	v_add_u32_e32 v7, v7, v3
	v_cmp_eq_u32_e32 vcc, 0, v1
	v_or_b32_e32 v1, v5, v1
	v_cndmask_b32_e32 v2, v2, v6, vcc
	v_cndmask_b32_e32 v3, v3, v7, vcc
	v_and_b32_e32 v1, 1, v1
	;; [unrolled: 15-line block ×3, first 2 shown]
; %bb.145:
	s_or_b64 exec, exec, s[42:43]
	v_and_b32_e32 v7, 16, v9
	v_mov_b32_dpp v5, v2 row_bcast:15 row_mask:0xf bank_mask:0xf
	v_mov_b32_dpp v6, v3 row_bcast:15 row_mask:0xf bank_mask:0xf
	;; [unrolled: 1-line block ×3, first 2 shown]
	v_cmp_ne_u32_e32 vcc, 0, v7
	s_and_saveexec_b64 s[42:43], vcc
; %bb.146:
	v_add_u32_e32 v5, v5, v2
	v_add_u32_e32 v6, v6, v3
	v_cmp_eq_u32_e32 vcc, 0, v1
	v_or_b32_e32 v1, v4, v1
	v_cndmask_b32_e32 v2, v2, v5, vcc
	v_cndmask_b32_e32 v3, v3, v6, vcc
	v_and_b32_e32 v1, 1, v1
; %bb.147:
	s_or_b64 exec, exec, s[42:43]
	v_mov_b32_dpp v5, v2 row_bcast:31 row_mask:0xf bank_mask:0xf
	v_mov_b32_dpp v6, v3 row_bcast:31 row_mask:0xf bank_mask:0xf
	v_mov_b32_dpp v4, v1 row_bcast:31 row_mask:0xf bank_mask:0xf
	v_cmp_lt_u32_e32 vcc, 31, v9
	s_and_saveexec_b64 s[42:43], vcc
; %bb.148:
	v_add_u32_e32 v5, v5, v2
	v_add_u32_e32 v6, v6, v3
	v_cmp_eq_u32_e32 vcc, 0, v1
	v_or_b32_e32 v1, v4, v1
	v_cndmask_b32_e32 v2, v2, v5, vcc
	v_cndmask_b32_e32 v3, v3, v6, vcc
	v_and_b32_e32 v1, 1, v1
; %bb.149:
	s_or_b64 exec, exec, s[42:43]
	v_cmp_eq_u32_e32 vcc, 63, v0
	s_and_saveexec_b64 s[42:43], vcc
	s_cbranch_execz .LBB1996_151
; %bb.150:
	v_mov_b32_e32 v4, 0
	ds_write_b64 v4, v[2:3]
	ds_write_b8 v4, v1 offset:8
.LBB1996_151:
	s_or_b64 exec, exec, s[42:43]
	v_add_u32_e32 v4, -1, v9
	v_and_b32_e32 v5, 64, v9
	v_cmp_lt_i32_e32 vcc, v4, v5
	v_cndmask_b32_e32 v4, v4, v9, vcc
	v_lshlrev_b32_e32 v4, 2, v4
	ds_bpermute_b32 v17, v4, v2
	ds_bpermute_b32 v21, v4, v3
	;; [unrolled: 1-line block ×3, first 2 shown]
	v_cmp_gt_u32_e32 vcc, 64, v0
	s_waitcnt lgkmcnt(0)
	; wave barrier
	s_waitcnt lgkmcnt(0)
	s_and_saveexec_b64 s[56:57], vcc
	s_cbranch_execz .LBB1996_192
; %bb.152:
	v_mov_b32_e32 v11, 0
	ds_read_b64 v[6:7], v11
	ds_read_b32 v24, v11 offset:8
	s_mov_b32 s67, 0
	v_cmp_eq_u32_e64 s[42:43], 0, v9
	s_waitcnt lgkmcnt(1)
	v_readfirstlane_b32 s7, v7
	s_and_saveexec_b64 s[46:47], s[42:43]
	s_cbranch_execz .LBB1996_154
; %bb.153:
	s_add_i32 s66, s6, 64
	s_lshl_b64 s[68:69], s[66:67], 4
	s_add_u32 s68, s52, s68
	s_waitcnt lgkmcnt(0)
	v_and_b32_e32 v3, 0xff00, v24
	s_addc_u32 s69, s53, s69
	v_and_b32_e32 v2, 0xff0000, v24
	v_or_b32_sdwa v3, v3, v24 dst_sel:DWORD dst_unused:UNUSED_PAD src0_sel:DWORD src1_sel:BYTE_0
	s_and_b32 s71, s7, 0xff000000
	s_mov_b32 s70, s67
	s_and_b32 s73, s7, 0xff0000
	s_mov_b32 s72, s67
	v_and_b32_e32 v1, 0xff000000, v24
	v_or_b32_e32 v2, v3, v2
	s_and_b32 s75, s7, 0xff00
	s_mov_b32 s74, s67
	s_and_b32 s55, s7, 0xff
	s_or_b64 s[66:67], s[70:71], s[72:73]
	v_or_b32_e32 v4, v2, v1
	s_or_b64 s[66:67], s[66:67], s[74:75]
	v_mov_b32_e32 v1, s55
	v_or_b32_e32 v2, s66, v6
	v_or_b32_e32 v3, s67, v1
	v_mov_b32_e32 v5, 1
	v_pk_mov_b32 v[12:13], s[68:69], s[68:69] op_sel:[0,1]
	;;#ASMSTART
	global_store_dwordx4 v[12:13], v[2:5] off	
s_waitcnt vmcnt(0)
	;;#ASMEND
.LBB1996_154:
	s_or_b64 exec, exec, s[46:47]
	v_xad_u32 v8, v9, -1, s6
	v_add_u32_e32 v10, 64, v8
	v_lshlrev_b64 v[2:3], 4, v[10:11]
	v_mov_b32_e32 v1, s53
	v_add_co_u32_e32 v14, vcc, s52, v2
	v_addc_co_u32_e32 v15, vcc, v1, v3, vcc
	;;#ASMSTART
	global_load_dwordx4 v[2:5], v[14:15] off glc	
s_waitcnt vmcnt(0)
	;;#ASMEND
	v_lshlrev_b64 v[26:27], 24, v[4:5]
	v_lshrrev_b32_e32 v1, 8, v3
	v_or_b32_e32 v12, v1, v26
	v_lshlrev_b64 v[26:27], 16, v[4:5]
	v_or_b32_sdwa v16, v3, v26 dst_sel:DWORD dst_unused:UNUSED_PAD src0_sel:WORD_1 src1_sel:DWORD
	v_lshlrev_b64 v[26:27], 8, v[4:5]
	v_alignbit_b32 v7, v3, v2, 8
	v_alignbit_b32 v19, v3, v2, 16
	;; [unrolled: 1-line block ×3, first 2 shown]
	v_mov_b32_e32 v10, v3
	v_or_b32_sdwa v18, v3, v26 dst_sel:DWORD dst_unused:UNUSED_PAD src0_sel:BYTE_3 src1_sel:DWORD
	v_cmp_eq_u16_sdwa s[66:67], v5, v11 src0_sel:BYTE_0 src1_sel:DWORD
	s_and_saveexec_b64 s[46:47], s[66:67]
	s_cbranch_execz .LBB1996_158
; %bb.155:
	s_mov_b64 s[66:67], 0
	v_mov_b32_e32 v1, 0
.LBB1996_156:                           ; =>This Inner Loop Header: Depth=1
	;;#ASMSTART
	global_load_dwordx4 v[2:5], v[14:15] off glc	
s_waitcnt vmcnt(0)
	;;#ASMEND
	v_cmp_ne_u16_sdwa s[68:69], v5, v1 src0_sel:BYTE_0 src1_sel:DWORD
	s_or_b64 s[66:67], s[68:69], s[66:67]
	s_andn2_b64 exec, exec, s[66:67]
	s_cbranch_execnz .LBB1996_156
; %bb.157:
	s_or_b64 exec, exec, s[66:67]
	v_lshlrev_b64 v[14:15], 24, v[4:5]
	v_lshrrev_b32_e32 v1, 8, v3
	v_or_b32_e32 v12, v1, v14
	v_lshlrev_b64 v[14:15], 16, v[4:5]
	v_or_b32_sdwa v16, v3, v14 dst_sel:DWORD dst_unused:UNUSED_PAD src0_sel:WORD_1 src1_sel:DWORD
	v_lshlrev_b64 v[14:15], 8, v[4:5]
	v_alignbit_b32 v7, v3, v2, 8
	v_alignbit_b32 v19, v3, v2, 16
	;; [unrolled: 1-line block ×3, first 2 shown]
	v_mov_b32_e32 v10, v3
	v_or_b32_sdwa v18, v3, v14 dst_sel:DWORD dst_unused:UNUSED_PAD src0_sel:BYTE_3 src1_sel:DWORD
.LBB1996_158:
	s_or_b64 exec, exec, s[46:47]
	v_lshlrev_b32_e32 v3, 16, v16
	v_lshlrev_b32_e32 v1, 24, v18
	v_and_b32_e32 v3, 0xff0000, v3
	v_or_b32_e32 v1, v3, v1
	v_lshlrev_b32_e32 v3, 8, v12
	v_and_b32_e32 v3, 0xff00, v3
	v_and_b32_e32 v10, 0xff, v10
	v_or3_b32 v1, v1, v3, v10
	v_lshlrev_b32_e32 v3, 16, v19
	s_mov_b32 s46, 0x4020c0c
	v_lshlrev_b32_e32 v7, 8, v7
	v_perm_b32 v3, v13, v3, s46
	s_mov_b32 s46, 0xc0c0500
	v_perm_b32 v2, v7, v2, s46
	v_and_b32_e32 v7, 63, v9
	v_or_b32_e32 v2, v2, v3
	v_mov_b32_e32 v3, 2
	v_cmp_ne_u32_e32 vcc, 63, v7
	v_cmp_eq_u16_sdwa s[46:47], v5, v3 src0_sel:BYTE_0 src1_sel:DWORD
	v_lshlrev_b64 v[10:11], v9, -1
	v_addc_co_u32_e32 v12, vcc, 0, v9, vcc
	v_and_b32_e32 v3, s47, v11
	v_and_b32_e32 v14, 0xff, v4
	v_lshlrev_b32_e32 v15, 2, v12
	v_or_b32_e32 v3, 0x80000000, v3
	ds_bpermute_b32 v16, v15, v2
	ds_bpermute_b32 v13, v15, v1
	;; [unrolled: 1-line block ×3, first 2 shown]
	v_and_b32_e32 v18, s46, v10
	v_ffbl_b32_e32 v3, v3
	v_add_u32_e32 v3, 32, v3
	v_ffbl_b32_e32 v18, v18
	v_min_u32_e32 v3, v18, v3
	v_cmp_lt_u32_e32 vcc, v7, v3
	s_and_saveexec_b64 s[46:47], vcc
	s_cbranch_execz .LBB1996_160
; %bb.159:
	v_mov_b32_e32 v14, 0
	v_cmp_eq_u16_sdwa vcc, v4, v14 src0_sel:BYTE_0 src1_sel:DWORD
	s_waitcnt lgkmcnt(0)
	v_or_b32_e32 v4, v4, v12
	v_cndmask_b32_e32 v14, 0, v16, vcc
	v_cndmask_b32_e32 v13, 0, v13, vcc
	v_and_b32_e32 v4, 1, v4
	v_add_u32_e32 v2, v14, v2
	v_add_u32_e32 v1, v13, v1
	v_and_b32_e32 v14, 0xffff, v4
.LBB1996_160:
	s_or_b64 exec, exec, s[46:47]
	v_cmp_gt_u32_e32 vcc, 62, v7
	s_waitcnt lgkmcnt(0)
	v_cndmask_b32_e64 v12, 0, 1, vcc
	v_lshlrev_b32_e32 v12, 1, v12
	v_add_lshl_u32 v25, v12, v9, 2
	ds_bpermute_b32 v13, v25, v2
	ds_bpermute_b32 v16, v25, v1
	ds_bpermute_b32 v12, v25, v14
	v_add_u32_e32 v26, 2, v7
	v_cmp_le_u32_e32 vcc, v26, v3
	s_and_saveexec_b64 s[46:47], vcc
	s_cbranch_execz .LBB1996_162
; %bb.161:
	v_mov_b32_e32 v14, 0
	v_cmp_eq_u16_sdwa vcc, v4, v14 src0_sel:BYTE_0 src1_sel:DWORD
	s_waitcnt lgkmcnt(0)
	v_or_b32_e32 v4, v12, v4
	v_add_u32_e32 v13, v13, v2
	v_add_u32_e32 v16, v16, v1
	v_and_b32_e32 v14, 1, v4
	v_cndmask_b32_e32 v2, v2, v13, vcc
	v_cndmask_b32_e32 v1, v1, v16, vcc
	v_mov_b32_e32 v4, v14
.LBB1996_162:
	s_or_b64 exec, exec, s[46:47]
	v_cmp_gt_u32_e32 vcc, 60, v7
	s_waitcnt lgkmcnt(0)
	v_cndmask_b32_e64 v12, 0, 1, vcc
	v_lshlrev_b32_e32 v12, 2, v12
	v_add_lshl_u32 v27, v12, v9, 2
	ds_bpermute_b32 v13, v27, v2
	ds_bpermute_b32 v16, v27, v1
	ds_bpermute_b32 v12, v27, v14
	v_add_u32_e32 v28, 4, v7
	v_cmp_le_u32_e32 vcc, v28, v3
	s_and_saveexec_b64 s[46:47], vcc
	s_cbranch_execz .LBB1996_164
; %bb.163:
	v_mov_b32_e32 v14, 0
	v_cmp_eq_u16_sdwa vcc, v4, v14 src0_sel:BYTE_0 src1_sel:DWORD
	s_waitcnt lgkmcnt(0)
	v_or_b32_e32 v4, v12, v4
	v_add_u32_e32 v13, v13, v2
	v_add_u32_e32 v16, v16, v1
	v_and_b32_e32 v14, 1, v4
	v_cndmask_b32_e32 v2, v2, v13, vcc
	v_cndmask_b32_e32 v1, v1, v16, vcc
	v_mov_b32_e32 v4, v14
.LBB1996_164:
	;; [unrolled: 25-line block ×4, first 2 shown]
	s_or_b64 exec, exec, s[46:47]
	v_cmp_gt_u32_e32 vcc, 32, v7
	s_waitcnt lgkmcnt(0)
	v_cndmask_b32_e64 v12, 0, 1, vcc
	v_lshlrev_b32_e32 v12, 5, v12
	v_add_lshl_u32 v34, v12, v9, 2
	ds_bpermute_b32 v12, v34, v2
	ds_bpermute_b32 v13, v34, v1
	;; [unrolled: 1-line block ×3, first 2 shown]
	v_add_u32_e32 v35, 32, v7
	v_cmp_le_u32_e32 vcc, v35, v3
	s_and_saveexec_b64 s[46:47], vcc
	s_cbranch_execz .LBB1996_170
; %bb.169:
	v_mov_b32_e32 v3, 0
	s_waitcnt lgkmcnt(2)
	v_add_u32_e32 v12, v12, v2
	s_waitcnt lgkmcnt(1)
	v_add_u32_e32 v13, v13, v1
	v_cmp_eq_u16_sdwa vcc, v4, v3 src0_sel:BYTE_0 src1_sel:DWORD
	s_waitcnt lgkmcnt(0)
	v_or_b32_e32 v3, v9, v4
	v_cndmask_b32_e32 v2, v2, v12, vcc
	v_cndmask_b32_e32 v1, v1, v13, vcc
	v_and_b32_e32 v14, 1, v3
.LBB1996_170:
	s_or_b64 exec, exec, s[46:47]
	s_movk_i32 s55, 0xff
	s_waitcnt lgkmcnt(0)
	v_mov_b32_e32 v9, 0
	s_mov_b32 s68, 0x4020c0c
	s_mov_b32 s69, 0xc0c0500
	v_mov_b32_e32 v36, 2
	s_branch .LBB1996_172
.LBB1996_171:                           ;   in Loop: Header=BB1996_172 Depth=1
	s_or_b64 exec, exec, s[46:47]
	s_waitcnt lgkmcnt(0)
	ds_bpermute_b32 v16, v34, v2
	ds_bpermute_b32 v18, v34, v1
	;; [unrolled: 1-line block ×3, first 2 shown]
	v_cmp_eq_u16_sdwa vcc, v4, v9 src0_sel:BYTE_0 src1_sel:DWORD
	v_subrev_u32_e32 v8, 64, v8
	s_waitcnt lgkmcnt(2)
	v_add_u32_e32 v16, v16, v2
	s_waitcnt lgkmcnt(1)
	v_add_u32_e32 v18, v18, v1
	v_cndmask_b32_e32 v16, v2, v16, vcc
	v_cndmask_b32_e32 v18, v1, v18, vcc
	s_waitcnt lgkmcnt(0)
	v_and_or_b32 v4, v4, s55, v19
	v_cmp_gt_u32_e32 vcc, v35, v3
	v_cndmask_b32_e32 v3, v4, v14, vcc
	v_cndmask_b32_e32 v2, v16, v2, vcc
	;; [unrolled: 1-line block ×3, first 2 shown]
	v_cmp_eq_u16_sdwa vcc, v33, v9 src0_sel:BYTE_0 src1_sel:DWORD
	v_and_b32_e32 v4, 1, v33
	v_and_b32_e32 v3, 1, v3
	v_cndmask_b32_e32 v2, 0, v2, vcc
	v_cndmask_b32_e32 v1, 0, v1, vcc
	v_cmp_eq_u32_e32 vcc, 1, v4
	v_cmp_eq_u32_e64 s[46:47], 1, v3
	s_or_b64 s[46:47], vcc, s[46:47]
	v_add_u32_e32 v2, v2, v12
	v_add_u32_e32 v1, v1, v13
	v_cndmask_b32_e64 v14, 0, 1, s[46:47]
.LBB1996_172:                           ; =>This Loop Header: Depth=1
                                        ;     Child Loop BB1996_175 Depth 2
	v_cmp_ne_u16_sdwa s[46:47], v5, v36 src0_sel:BYTE_0 src1_sel:DWORD
	v_mov_b32_e32 v13, v1
	v_cndmask_b32_e64 v1, 0, 1, s[46:47]
	;;#ASMSTART
	;;#ASMEND
	v_cmp_ne_u32_e32 vcc, 0, v1
	v_mov_b32_e32 v33, v14
	s_cmp_lg_u64 vcc, exec
	v_mov_b32_e32 v12, v2
	s_cbranch_scc1 .LBB1996_187
; %bb.173:                              ;   in Loop: Header=BB1996_172 Depth=1
	v_lshlrev_b64 v[2:3], 4, v[8:9]
	v_mov_b32_e32 v1, s53
	v_add_co_u32_e32 v18, vcc, s52, v2
	v_addc_co_u32_e32 v19, vcc, v1, v3, vcc
	;;#ASMSTART
	global_load_dwordx4 v[2:5], v[18:19] off glc	
s_waitcnt vmcnt(0)
	;;#ASMEND
	v_lshlrev_b64 v[78:79], 24, v[4:5]
	v_lshrrev_b32_e32 v1, 8, v3
	v_or_b32_e32 v16, v1, v78
	v_lshlrev_b64 v[78:79], 16, v[4:5]
	v_or_b32_sdwa v20, v3, v78 dst_sel:DWORD dst_unused:UNUSED_PAD src0_sel:WORD_1 src1_sel:DWORD
	v_lshlrev_b64 v[78:79], 8, v[4:5]
	v_alignbit_b32 v37, v3, v2, 8
	v_alignbit_b32 v38, v3, v2, 16
	;; [unrolled: 1-line block ×3, first 2 shown]
	v_mov_b32_e32 v14, v3
	v_or_b32_sdwa v22, v3, v78 dst_sel:DWORD dst_unused:UNUSED_PAD src0_sel:BYTE_3 src1_sel:DWORD
	v_cmp_eq_u16_sdwa s[66:67], v5, v9 src0_sel:BYTE_0 src1_sel:DWORD
	s_and_saveexec_b64 s[46:47], s[66:67]
	s_cbranch_execz .LBB1996_177
; %bb.174:                              ;   in Loop: Header=BB1996_172 Depth=1
	s_mov_b64 s[66:67], 0
.LBB1996_175:                           ;   Parent Loop BB1996_172 Depth=1
                                        ; =>  This Inner Loop Header: Depth=2
	;;#ASMSTART
	global_load_dwordx4 v[2:5], v[18:19] off glc	
s_waitcnt vmcnt(0)
	;;#ASMEND
	v_cmp_ne_u16_sdwa s[70:71], v5, v9 src0_sel:BYTE_0 src1_sel:DWORD
	s_or_b64 s[66:67], s[70:71], s[66:67]
	s_andn2_b64 exec, exec, s[66:67]
	s_cbranch_execnz .LBB1996_175
; %bb.176:                              ;   in Loop: Header=BB1996_172 Depth=1
	s_or_b64 exec, exec, s[66:67]
	v_lshlrev_b64 v[18:19], 24, v[4:5]
	v_lshrrev_b32_e32 v1, 8, v3
	v_or_b32_e32 v16, v1, v18
	v_lshlrev_b64 v[18:19], 16, v[4:5]
	v_or_b32_sdwa v20, v3, v18 dst_sel:DWORD dst_unused:UNUSED_PAD src0_sel:WORD_1 src1_sel:DWORD
	v_lshlrev_b64 v[18:19], 8, v[4:5]
	v_alignbit_b32 v37, v3, v2, 8
	v_alignbit_b32 v38, v3, v2, 16
	;; [unrolled: 1-line block ×3, first 2 shown]
	v_mov_b32_e32 v14, v3
	v_or_b32_sdwa v22, v3, v18 dst_sel:DWORD dst_unused:UNUSED_PAD src0_sel:BYTE_3 src1_sel:DWORD
.LBB1996_177:                           ;   in Loop: Header=BB1996_172 Depth=1
	s_or_b64 exec, exec, s[46:47]
	v_lshlrev_b32_e32 v3, 16, v20
	v_lshlrev_b32_e32 v1, 24, v22
	v_and_b32_e32 v3, 0xff0000, v3
	v_or_b32_e32 v1, v3, v1
	v_lshlrev_b32_e32 v3, 8, v16
	v_and_b32_e32 v3, 0xff00, v3
	v_and_b32_e32 v14, 0xff, v14
	v_or3_b32 v1, v1, v3, v14
	v_lshlrev_b32_e32 v3, 16, v38
	v_lshlrev_b32_e32 v14, 8, v37
	v_perm_b32 v3, v39, v3, s68
	v_perm_b32 v2, v14, v2, s69
	v_cmp_eq_u16_sdwa s[46:47], v5, v36 src0_sel:BYTE_0 src1_sel:DWORD
	v_or_b32_e32 v2, v2, v3
	v_and_b32_e32 v3, s47, v11
	v_and_b32_e32 v14, 0xff, v4
	v_or_b32_e32 v3, 0x80000000, v3
	ds_bpermute_b32 v19, v15, v2
	ds_bpermute_b32 v18, v15, v1
	;; [unrolled: 1-line block ×3, first 2 shown]
	v_and_b32_e32 v20, s46, v10
	v_ffbl_b32_e32 v3, v3
	v_add_u32_e32 v3, 32, v3
	v_ffbl_b32_e32 v20, v20
	v_min_u32_e32 v3, v20, v3
	v_cmp_lt_u32_e32 vcc, v7, v3
	s_and_saveexec_b64 s[46:47], vcc
	s_cbranch_execz .LBB1996_179
; %bb.178:                              ;   in Loop: Header=BB1996_172 Depth=1
	v_cmp_eq_u16_sdwa vcc, v4, v9 src0_sel:BYTE_0 src1_sel:DWORD
	s_waitcnt lgkmcnt(2)
	v_cndmask_b32_e32 v14, 0, v19, vcc
	v_add_u32_e32 v2, v14, v2
	s_waitcnt lgkmcnt(1)
	v_cndmask_b32_e32 v14, 0, v18, vcc
	s_waitcnt lgkmcnt(0)
	v_or_b32_e32 v4, v16, v4
	v_add_u32_e32 v1, v14, v1
	v_and_b32_e32 v14, 1, v4
	v_mov_b32_e32 v4, v14
.LBB1996_179:                           ;   in Loop: Header=BB1996_172 Depth=1
	s_or_b64 exec, exec, s[46:47]
	s_waitcnt lgkmcnt(1)
	ds_bpermute_b32 v18, v25, v2
	ds_bpermute_b32 v19, v25, v1
	s_waitcnt lgkmcnt(2)
	ds_bpermute_b32 v16, v25, v14
	v_cmp_le_u32_e32 vcc, v26, v3
	s_and_saveexec_b64 s[46:47], vcc
	s_cbranch_execz .LBB1996_181
; %bb.180:                              ;   in Loop: Header=BB1996_172 Depth=1
	s_waitcnt lgkmcnt(2)
	v_add_u32_e32 v14, v18, v2
	v_cmp_eq_u16_sdwa vcc, v4, v9 src0_sel:BYTE_0 src1_sel:DWORD
	s_waitcnt lgkmcnt(0)
	v_or_b32_e32 v4, v16, v4
	v_add_u32_e32 v18, v19, v1
	v_cndmask_b32_e32 v2, v2, v14, vcc
	v_and_b32_e32 v14, 1, v4
	v_cndmask_b32_e32 v1, v1, v18, vcc
	v_mov_b32_e32 v4, v14
.LBB1996_181:                           ;   in Loop: Header=BB1996_172 Depth=1
	s_or_b64 exec, exec, s[46:47]
	s_waitcnt lgkmcnt(2)
	ds_bpermute_b32 v18, v27, v2
	s_waitcnt lgkmcnt(2)
	ds_bpermute_b32 v19, v27, v1
	s_waitcnt lgkmcnt(2)
	ds_bpermute_b32 v16, v27, v14
	v_cmp_le_u32_e32 vcc, v28, v3
	s_and_saveexec_b64 s[46:47], vcc
	s_cbranch_execz .LBB1996_183
; %bb.182:                              ;   in Loop: Header=BB1996_172 Depth=1
	s_waitcnt lgkmcnt(2)
	v_add_u32_e32 v14, v18, v2
	v_cmp_eq_u16_sdwa vcc, v4, v9 src0_sel:BYTE_0 src1_sel:DWORD
	s_waitcnt lgkmcnt(0)
	v_or_b32_e32 v4, v16, v4
	v_add_u32_e32 v18, v19, v1
	v_cndmask_b32_e32 v2, v2, v14, vcc
	v_and_b32_e32 v14, 1, v4
	v_cndmask_b32_e32 v1, v1, v18, vcc
	v_mov_b32_e32 v4, v14
.LBB1996_183:                           ;   in Loop: Header=BB1996_172 Depth=1
	s_or_b64 exec, exec, s[46:47]
	s_waitcnt lgkmcnt(2)
	ds_bpermute_b32 v18, v29, v2
	s_waitcnt lgkmcnt(2)
	;; [unrolled: 22-line block ×3, first 2 shown]
	ds_bpermute_b32 v19, v31, v1
	s_waitcnt lgkmcnt(2)
	ds_bpermute_b32 v16, v31, v14
	v_cmp_le_u32_e32 vcc, v32, v3
	s_and_saveexec_b64 s[46:47], vcc
	s_cbranch_execz .LBB1996_171
; %bb.186:                              ;   in Loop: Header=BB1996_172 Depth=1
	s_waitcnt lgkmcnt(2)
	v_add_u32_e32 v14, v18, v2
	v_cmp_eq_u16_sdwa vcc, v4, v9 src0_sel:BYTE_0 src1_sel:DWORD
	s_waitcnt lgkmcnt(0)
	v_or_b32_e32 v4, v16, v4
	v_add_u32_e32 v18, v19, v1
	v_cndmask_b32_e32 v2, v2, v14, vcc
	v_and_b32_e32 v14, 1, v4
	v_cndmask_b32_e32 v1, v1, v18, vcc
	v_mov_b32_e32 v4, v14
	s_branch .LBB1996_171
.LBB1996_187:                           ;   in Loop: Header=BB1996_172 Depth=1
                                        ; implicit-def: $vgpr14
                                        ; implicit-def: $vgpr1
                                        ; implicit-def: $vgpr5
                                        ; implicit-def: $vgpr2_vgpr3
	s_cbranch_execz .LBB1996_172
; %bb.188:
	s_and_saveexec_b64 s[46:47], s[42:43]
	s_cbranch_execz .LBB1996_190
; %bb.189:
	v_mov_b32_e32 v1, 0
	v_cmp_eq_u16_sdwa vcc, v24, v1 src0_sel:BYTE_0 src1_sel:DWORD
	s_mov_b32 s43, 0
	v_cndmask_b32_e32 v2, 0, v13, vcc
	v_or_b32_e32 v3, v24, v33
	s_add_i32 s42, s6, 64
	v_add_u32_e32 v2, s7, v2
	v_and_b32_e32 v3, 1, v3
	s_lshl_b64 s[6:7], s[42:43], 4
	v_cndmask_b32_e32 v1, 0, v12, vcc
	s_add_u32 s6, s52, s6
	v_cmp_eq_u32_e32 vcc, 1, v3
	v_and_b32_e32 v3, 0xff000000, v2
	v_and_b32_e32 v5, 0xff0000, v2
	v_add_u32_e32 v1, v1, v6
	s_addc_u32 s7, s53, s7
	v_and_b32_e32 v6, 0xff00, v2
	v_and_b32_e32 v2, 0xff, v2
	v_or_b32_e32 v3, v3, v5
	v_cndmask_b32_e64 v4, 0, 1, vcc
	v_or3_b32 v3, v3, v6, v2
	v_or3_b32 v2, 0, 0, v1
	v_mov_b32_e32 v5, 2
	v_pk_mov_b32 v[6:7], s[6:7], s[6:7] op_sel:[0,1]
	;;#ASMSTART
	global_store_dwordx4 v[6:7], v[2:5] off	
s_waitcnt vmcnt(0)
	;;#ASMEND
.LBB1996_190:
	s_or_b64 exec, exec, s[46:47]
	v_cmp_eq_u32_e32 vcc, 0, v0
	s_and_b64 exec, exec, vcc
	s_cbranch_execz .LBB1996_192
; %bb.191:
	v_mov_b32_e32 v1, 0
	ds_write_b64 v1, v[12:13]
	ds_write_b8 v1, v33 offset:8
.LBB1996_192:
	s_or_b64 exec, exec, s[56:57]
	v_mov_b32_e32 v1, 0
	s_waitcnt lgkmcnt(0)
	; wave barrier
	s_waitcnt lgkmcnt(0)
	ds_read_b64 v[2:3], v1
	v_cmp_eq_u32_sdwa vcc, v23, v1 src0_sel:BYTE_0 src1_sel:DWORD
	s_waitcnt lgkmcnt(0)
	v_cndmask_b32_e32 v1, 0, v2, vcc
	v_cndmask_b32_e32 v4, 0, v3, vcc
	v_add_u32_e32 v1, v1, v17
	v_add_u32_e32 v4, v4, v21
	v_cmp_eq_u32_e32 vcc, 0, v0
	v_cndmask_b32_e32 v9, v4, v3, vcc
	v_cndmask_b32_e32 v8, v1, v2, vcc
	v_cmp_eq_u32_e32 vcc, 0, v64
	v_cndmask_b32_e32 v1, 0, v8, vcc
	v_add_u32_e32 v78, v1, v40
	v_cndmask_b32_e32 v1, 0, v9, vcc
	v_add_u32_e32 v79, v1, v41
	v_cndmask_b32_e64 v1, 0, v78, s[2:3]
	v_add_u32_e32 v2, v1, v44
	v_cndmask_b32_e64 v1, 0, v79, s[2:3]
	;; [unrolled: 2-line block ×37, first 2 shown]
	v_cndmask_b32_e64 v125, 0, v97, s[40:41]
	s_branch .LBB1996_213
.LBB1996_193:
                                        ; implicit-def: $vgpr6_vgpr7_vgpr8_vgpr9
                                        ; implicit-def: $vgpr125
                                        ; implicit-def: $vgpr1
                                        ; implicit-def: $vgpr97
                                        ; implicit-def: $vgpr95
                                        ; implicit-def: $vgpr93
                                        ; implicit-def: $vgpr91
                                        ; implicit-def: $vgpr89
                                        ; implicit-def: $vgpr87
                                        ; implicit-def: $vgpr85
                                        ; implicit-def: $vgpr83
                                        ; implicit-def: $vgpr81
                                        ; implicit-def: $vgpr79
                                        ; implicit-def: $vgpr36_vgpr37_vgpr38_vgpr39
                                        ; implicit-def: $vgpr32_vgpr33_vgpr34_vgpr35
                                        ; implicit-def: $vgpr28_vgpr29_vgpr30_vgpr31
                                        ; implicit-def: $vgpr24_vgpr25_vgpr26_vgpr27
                                        ; implicit-def: $vgpr20_vgpr21_vgpr22_vgpr23
                                        ; implicit-def: $vgpr16_vgpr17_vgpr18_vgpr19
                                        ; implicit-def: $vgpr12_vgpr13_vgpr14_vgpr15
                                        ; implicit-def: $vgpr2_vgpr3_vgpr4_vgpr5
                                        ; implicit-def: $vgpr8_vgpr9_vgpr10_vgpr11
	s_cbranch_execz .LBB1996_213
; %bb.194:
	s_cmp_lg_u64 s[64:65], 0
	s_cselect_b32 s3, s59, 0
	s_cselect_b32 s2, s58, 0
	s_cmp_eq_u64 s[2:3], 0
	v_pk_mov_b32 v[4:5], s[62:63], s[62:63] op_sel:[0,1]
	s_cbranch_scc1 .LBB1996_196
; %bb.195:
	v_mov_b32_e32 v1, 0
	global_load_dwordx2 v[4:5], v1, s[2:3]
.LBB1996_196:
	v_mov_b32_e32 v1, 0
	v_cmp_eq_u16_sdwa s[2:3], v47, v1 src0_sel:BYTE_0 src1_sel:DWORD
	v_cndmask_b32_e64 v2, 0, v40, s[2:3]
	v_add_u32_e32 v2, v2, v44
	v_cndmask_b32_e64 v3, 0, v41, s[2:3]
	v_cmp_eq_u16_sdwa s[4:5], v51, v1 src0_sel:BYTE_0 src1_sel:DWORD
	v_add_u32_e32 v3, v3, v43
	v_cndmask_b32_e64 v2, 0, v2, s[4:5]
	v_add_u32_e32 v2, v2, v46
	v_cndmask_b32_e64 v3, 0, v3, s[4:5]
	v_cmp_eq_u16_sdwa s[6:7], v55, v1 src0_sel:BYTE_0 src1_sel:DWORD
	v_add_u32_e32 v3, v3, v45
	;; [unrolled: 5-line block ×17, first 2 shown]
	v_cndmask_b32_e64 v2, 0, v2, s[36:37]
	v_add_u32_e32 v2, v2, v112
	v_cndmask_b32_e64 v3, 0, v3, s[36:37]
	v_cmp_eq_u16_sdwa vcc, v50, v1 src0_sel:BYTE_0 src1_sel:DWORD
	v_add_u32_e32 v3, v3, v111
	v_cndmask_b32_e32 v2, 0, v2, vcc
	v_add_u32_e32 v2, v2, v103
	v_cndmask_b32_e32 v3, 0, v3, vcc
	v_cmp_eq_u16_sdwa s[40:41], v120, v1 src0_sel:BYTE_0 src1_sel:DWORD
	v_add_u32_e32 v3, v3, v42
	v_cndmask_b32_e64 v1, 0, v2, s[40:41]
	v_add_u32_e32 v2, v1, v121
	v_cndmask_b32_e64 v1, 0, v3, s[40:41]
	v_add_u32_e32 v3, v1, v122
	v_or_b32_e32 v1, v124, v118
	v_or_b32_e32 v1, v1, v117
	;; [unrolled: 1-line block ×17, first 2 shown]
	v_and_b32_e32 v1, 1, v1
	v_cmp_eq_u32_e64 s[40:41], 1, v1
	v_mbcnt_hi_u32_b32 v1, -1, v123
	v_cndmask_b32_e64 v7, v64, 1, s[40:41]
	v_and_b32_e32 v6, 15, v1
	v_mov_b32_dpp v8, v2 row_shr:1 row_mask:0xf bank_mask:0xf
	v_mov_b32_dpp v9, v3 row_shr:1 row_mask:0xf bank_mask:0xf
	;; [unrolled: 1-line block ×3, first 2 shown]
	v_cmp_ne_u32_e64 s[40:41], 0, v6
	s_and_saveexec_b64 s[42:43], s[40:41]
; %bb.197:
	v_cmp_eq_u32_e64 s[40:41], 0, v7
	v_cndmask_b32_e64 v8, 0, v8, s[40:41]
	v_add_u32_e32 v2, v8, v2
	v_cndmask_b32_e64 v8, 0, v9, s[40:41]
	v_add_u32_e32 v3, v8, v3
	v_and_or_b32 v7, v10, 1, v7
; %bb.198:
	s_or_b64 exec, exec, s[42:43]
	v_mov_b32_dpp v9, v2 row_shr:2 row_mask:0xf bank_mask:0xf
	v_mov_b32_dpp v10, v3 row_shr:2 row_mask:0xf bank_mask:0xf
	;; [unrolled: 1-line block ×3, first 2 shown]
	v_cmp_lt_u32_e64 s[40:41], 1, v6
	s_and_saveexec_b64 s[42:43], s[40:41]
; %bb.199:
	v_add_u32_e32 v9, v9, v2
	v_add_u32_e32 v10, v10, v3
	v_cmp_eq_u32_e64 s[40:41], 0, v7
	v_or_b32_e32 v7, v8, v7
	v_cndmask_b32_e64 v2, v2, v9, s[40:41]
	v_cndmask_b32_e64 v3, v3, v10, s[40:41]
	v_and_b32_e32 v7, 1, v7
; %bb.200:
	s_or_b64 exec, exec, s[42:43]
	v_mov_b32_dpp v9, v2 row_shr:4 row_mask:0xf bank_mask:0xf
	v_mov_b32_dpp v10, v3 row_shr:4 row_mask:0xf bank_mask:0xf
	;; [unrolled: 1-line block ×3, first 2 shown]
	v_cmp_lt_u32_e64 s[40:41], 3, v6
	s_and_saveexec_b64 s[42:43], s[40:41]
; %bb.201:
	v_add_u32_e32 v9, v9, v2
	v_add_u32_e32 v10, v10, v3
	v_cmp_eq_u32_e64 s[40:41], 0, v7
	v_or_b32_e32 v7, v8, v7
	v_cndmask_b32_e64 v2, v2, v9, s[40:41]
	v_cndmask_b32_e64 v3, v3, v10, s[40:41]
	v_and_b32_e32 v7, 1, v7
; %bb.202:
	s_or_b64 exec, exec, s[42:43]
	v_mov_b32_dpp v9, v2 row_shr:8 row_mask:0xf bank_mask:0xf
	v_mov_b32_dpp v10, v3 row_shr:8 row_mask:0xf bank_mask:0xf
	;; [unrolled: 1-line block ×3, first 2 shown]
	v_cmp_lt_u32_e64 s[40:41], 7, v6
	s_and_saveexec_b64 s[42:43], s[40:41]
; %bb.203:
	v_add_u32_e32 v6, v9, v2
	v_cmp_eq_u32_e64 s[40:41], 0, v7
	v_add_u32_e32 v9, v10, v3
	v_cndmask_b32_e64 v2, v2, v6, s[40:41]
	v_or_b32_e32 v6, v8, v7
	v_cndmask_b32_e64 v3, v3, v9, s[40:41]
	v_and_b32_e32 v7, 1, v6
; %bb.204:
	s_or_b64 exec, exec, s[42:43]
	v_and_b32_e32 v10, 16, v1
	v_mov_b32_dpp v8, v2 row_bcast:15 row_mask:0xf bank_mask:0xf
	v_mov_b32_dpp v9, v3 row_bcast:15 row_mask:0xf bank_mask:0xf
	v_mov_b32_dpp v6, v7 row_bcast:15 row_mask:0xf bank_mask:0xf
	v_cmp_ne_u32_e64 s[40:41], 0, v10
	s_and_saveexec_b64 s[42:43], s[40:41]
; %bb.205:
	v_add_u32_e32 v8, v8, v2
	v_add_u32_e32 v9, v9, v3
	v_cmp_eq_u32_e64 s[40:41], 0, v7
	v_or_b32_e32 v6, v6, v7
	v_cndmask_b32_e64 v2, v2, v8, s[40:41]
	v_cndmask_b32_e64 v3, v3, v9, s[40:41]
	v_and_b32_e32 v7, 1, v6
; %bb.206:
	s_or_b64 exec, exec, s[42:43]
	v_mov_b32_dpp v8, v2 row_bcast:31 row_mask:0xf bank_mask:0xf
	v_mov_b32_dpp v9, v3 row_bcast:31 row_mask:0xf bank_mask:0xf
	;; [unrolled: 1-line block ×3, first 2 shown]
	v_cmp_lt_u32_e64 s[40:41], 31, v1
	s_and_saveexec_b64 s[42:43], s[40:41]
; %bb.207:
	v_add_u32_e32 v8, v8, v2
	v_add_u32_e32 v9, v9, v3
	v_cmp_eq_u32_e64 s[40:41], 0, v7
	v_or_b32_e32 v6, v6, v7
	v_cndmask_b32_e64 v2, v2, v8, s[40:41]
	v_cndmask_b32_e64 v3, v3, v9, s[40:41]
	v_and_b32_e32 v7, 1, v6
; %bb.208:
	s_or_b64 exec, exec, s[42:43]
	v_mov_b32_e32 v6, v41
	v_cmp_eq_u32_e64 s[40:41], 63, v0
	s_and_saveexec_b64 s[42:43], s[40:41]
	s_cbranch_execz .LBB1996_210
; %bb.209:
	v_mov_b32_e32 v8, 0
	ds_write_b64 v8, v[2:3]
	ds_write_b8 v8, v7 offset:8
.LBB1996_210:
	s_or_b64 exec, exec, s[42:43]
	v_cmp_eq_u32_e64 s[40:41], 0, v7
	s_waitcnt vmcnt(0)
	v_cndmask_b32_e64 v7, 0, v4, s[40:41]
	v_add_u32_e32 v2, v7, v2
	v_cndmask_b32_e64 v7, 0, v5, s[40:41]
	v_add_u32_e32 v3, v7, v3
	v_add_u32_e32 v7, -1, v1
	v_and_b32_e32 v8, 64, v1
	v_cmp_lt_i32_e64 s[40:41], v7, v8
	v_cndmask_b32_e64 v7, v7, v1, s[40:41]
	v_lshlrev_b32_e32 v7, 2, v7
	ds_bpermute_b32 v2, v7, v2
	ds_bpermute_b32 v3, v7, v3
	v_cmp_eq_u32_e64 s[40:41], 0, v1
	v_cmp_eq_u32_e64 s[42:43], 0, v64
	s_waitcnt lgkmcnt(0)
	v_cndmask_b32_e64 v8, v2, v4, s[40:41]
	v_cndmask_b32_e64 v9, v3, v5, s[40:41]
	v_cmp_eq_u32_e64 s[40:41], 0, v0
	v_cndmask_b32_e64 v2, v8, v4, s[40:41]
	v_cndmask_b32_e64 v1, v9, v5, s[40:41]
	;; [unrolled: 1-line block ×3, first 2 shown]
	v_add_u32_e32 v78, v2, v40
	v_cndmask_b32_e64 v1, 0, v1, s[42:43]
	v_add_u32_e32 v79, v1, v6
	v_cndmask_b32_e64 v1, 0, v78, s[2:3]
	;; [unrolled: 2-line block ×27, first 2 shown]
	v_add_co_u32_e64 v10, s[2:3], 0, v99
	v_addc_co_u32_e64 v29, s[2:3], v1, v98, s[2:3]
	v_cndmask_b32_e64 v1, 0, v28, s[34:35]
	v_add_u32_e32 v92, v1, v101
	v_cndmask_b32_e64 v1, 0, v29, s[34:35]
	v_add_co_u32_e64 v10, s[2:3], 0, v101
	v_addc_co_u32_e64 v93, s[2:3], v1, v100, s[2:3]
	v_cndmask_b32_e64 v1, 0, v93, s[20:21]
	v_add_co_u32_e64 v10, s[2:3], 0, v105
	v_addc_co_u32_e64 v33, s[2:3], v1, v104, s[2:3]
	v_cndmask_b32_e64 v1, 0, v92, s[20:21]
	v_add_u32_e32 v32, v1, v105
	v_cndmask_b32_e64 v1, 0, v32, s[24:25]
	v_add_u32_e32 v94, v1, v108
	;; [unrolled: 2-line block ×7, first 2 shown]
	; wave barrier
	s_and_saveexec_b64 s[4:5], s[40:41]
	s_cbranch_execz .LBB1996_212
; %bb.211:
	v_mov_b32_e32 v1, 0
	ds_read_u8 v10, v1 offset:8
	ds_read_b64 v[8:9], v1
	s_add_u32 s6, s52, 0x400
	s_addc_u32 s7, s53, 0
	s_waitcnt lgkmcnt(1)
	v_cmp_eq_u16_e64 s[2:3], 0, v10
	v_cndmask_b32_e64 v1, 0, v4, s[2:3]
	s_waitcnt lgkmcnt(0)
	v_add_u32_e32 v8, v1, v8
	v_cndmask_b32_e64 v1, 0, v5, s[2:3]
	v_add_u32_e32 v1, v1, v9
	v_and_b32_e32 v9, 0xff000000, v1
	v_and_b32_e32 v11, 0xff0000, v1
	;; [unrolled: 1-line block ×3, first 2 shown]
	v_or_b32_e32 v9, v9, v11
	v_or_b32_e32 v9, v9, v14
	v_and_b32_e32 v10, 0xffff, v10
	v_or_b32_sdwa v9, v9, v1 dst_sel:DWORD dst_unused:UNUSED_PAD src0_sel:DWORD src1_sel:BYTE_0
	v_mov_b32_e32 v11, 2
	v_pk_mov_b32 v[14:15], s[6:7], s[6:7] op_sel:[0,1]
	;;#ASMSTART
	global_store_dwordx4 v[14:15], v[8:11] off	
s_waitcnt vmcnt(0)
	;;#ASMEND
	v_pk_mov_b32 v[8:9], v[4:5], v[4:5] op_sel:[0,1]
.LBB1996_212:
	s_or_b64 exec, exec, s[4:5]
	v_cndmask_b32_e32 v1, 0, v96, vcc
	v_cndmask_b32_e32 v125, 0, v97, vcc
.LBB1996_213:
	s_add_u32 s2, s50, s60
	s_addc_u32 s3, s51, s61
	s_add_u32 s42, s2, s48
	v_add_u32_e32 v5, v125, v42
	v_add_u32_e32 v4, v1, v103
	s_addc_u32 s43, s3, s49
	s_and_b64 vcc, exec, s[0:1]
	s_cbranch_vccz .LBB1996_295
; %bb.214:
	s_add_i32 s33, s33, s54
	v_mul_u32_u24_e32 v1, 21, v0
	v_pk_mov_b32 v[22:23], 0, 0
	v_cmp_gt_u32_e32 vcc, s33, v1
	v_pk_mov_b32 v[14:15], v[22:23], v[22:23] op_sel:[0,1]
	v_pk_mov_b32 v[10:11], v[22:23], v[22:23] op_sel:[0,1]
	;; [unrolled: 1-line block ×20, first 2 shown]
	s_and_saveexec_b64 s[0:1], vcc
	s_cbranch_execz .LBB1996_254
; %bb.215:
	v_add_u32_e32 v10, 1, v1
	v_pk_mov_b32 v[62:63], 0, 0
	v_cmp_gt_u32_e32 vcc, s33, v10
	v_pk_mov_b32 v[60:61], v[62:63], v[62:63] op_sel:[0,1]
	v_pk_mov_b32 v[58:59], v[62:63], v[62:63] op_sel:[0,1]
	;; [unrolled: 1-line block ×19, first 2 shown]
	s_and_saveexec_b64 s[2:3], vcc
	s_cbranch_execz .LBB1996_253
; %bb.216:
	v_add_u32_e32 v10, 2, v1
	v_pk_mov_b32 v[60:61], 0, 0
	v_cmp_gt_u32_e32 vcc, s33, v10
	v_pk_mov_b32 v[58:59], v[60:61], v[60:61] op_sel:[0,1]
	v_pk_mov_b32 v[56:57], v[60:61], v[60:61] op_sel:[0,1]
	;; [unrolled: 1-line block ×18, first 2 shown]
	s_and_saveexec_b64 s[4:5], vcc
	s_cbranch_execz .LBB1996_252
; %bb.217:
	v_add_u32_e32 v10, 3, v1
	v_pk_mov_b32 v[58:59], 0, 0
	v_cmp_gt_u32_e32 vcc, s33, v10
	v_pk_mov_b32 v[56:57], v[58:59], v[58:59] op_sel:[0,1]
	v_pk_mov_b32 v[54:55], v[58:59], v[58:59] op_sel:[0,1]
	;; [unrolled: 1-line block ×17, first 2 shown]
	s_and_saveexec_b64 s[6:7], vcc
	s_cbranch_execz .LBB1996_251
; %bb.218:
	v_add_u32_e32 v10, 4, v1
	v_pk_mov_b32 v[56:57], 0, 0
	v_cmp_gt_u32_e32 vcc, s33, v10
	v_pk_mov_b32 v[54:55], v[56:57], v[56:57] op_sel:[0,1]
	v_pk_mov_b32 v[52:53], v[56:57], v[56:57] op_sel:[0,1]
	;; [unrolled: 1-line block ×16, first 2 shown]
	s_and_saveexec_b64 s[8:9], vcc
	s_cbranch_execz .LBB1996_250
; %bb.219:
	v_add_u32_e32 v10, 5, v1
	v_pk_mov_b32 v[54:55], 0, 0
	v_cmp_gt_u32_e32 vcc, s33, v10
	v_pk_mov_b32 v[52:53], v[54:55], v[54:55] op_sel:[0,1]
	v_pk_mov_b32 v[50:51], v[54:55], v[54:55] op_sel:[0,1]
	;; [unrolled: 1-line block ×15, first 2 shown]
	s_and_saveexec_b64 s[10:11], vcc
	s_cbranch_execz .LBB1996_249
; %bb.220:
	v_add_u32_e32 v10, 6, v1
	v_pk_mov_b32 v[52:53], 0, 0
	v_cmp_gt_u32_e32 vcc, s33, v10
	v_pk_mov_b32 v[50:51], v[52:53], v[52:53] op_sel:[0,1]
	v_pk_mov_b32 v[48:49], v[52:53], v[52:53] op_sel:[0,1]
	;; [unrolled: 1-line block ×14, first 2 shown]
	s_and_saveexec_b64 s[12:13], vcc
	s_cbranch_execz .LBB1996_248
; %bb.221:
	v_add_u32_e32 v10, 7, v1
	v_pk_mov_b32 v[50:51], 0, 0
	v_cmp_gt_u32_e32 vcc, s33, v10
	v_pk_mov_b32 v[48:49], v[50:51], v[50:51] op_sel:[0,1]
	v_pk_mov_b32 v[46:47], v[50:51], v[50:51] op_sel:[0,1]
	v_pk_mov_b32 v[44:45], v[50:51], v[50:51] op_sel:[0,1]
	v_pk_mov_b32 v[42:43], v[50:51], v[50:51] op_sel:[0,1]
	v_pk_mov_b32 v[40:41], v[50:51], v[50:51] op_sel:[0,1]
	v_pk_mov_b32 v[38:39], v[50:51], v[50:51] op_sel:[0,1]
	v_pk_mov_b32 v[34:35], v[50:51], v[50:51] op_sel:[0,1]
	v_pk_mov_b32 v[30:31], v[50:51], v[50:51] op_sel:[0,1]
	v_pk_mov_b32 v[26:27], v[50:51], v[50:51] op_sel:[0,1]
	v_pk_mov_b32 v[18:19], v[50:51], v[50:51] op_sel:[0,1]
	v_pk_mov_b32 v[10:11], v[50:51], v[50:51] op_sel:[0,1]
	v_pk_mov_b32 v[14:15], v[50:51], v[50:51] op_sel:[0,1]
	v_pk_mov_b32 v[22:23], v[50:51], v[50:51] op_sel:[0,1]
	s_and_saveexec_b64 s[14:15], vcc
	s_cbranch_execz .LBB1996_247
; %bb.222:
	v_add_u32_e32 v10, 8, v1
	v_pk_mov_b32 v[48:49], 0, 0
	v_cmp_gt_u32_e32 vcc, s33, v10
	v_pk_mov_b32 v[46:47], v[48:49], v[48:49] op_sel:[0,1]
	v_pk_mov_b32 v[44:45], v[48:49], v[48:49] op_sel:[0,1]
	;; [unrolled: 1-line block ×12, first 2 shown]
	s_and_saveexec_b64 s[16:17], vcc
	s_cbranch_execz .LBB1996_246
; %bb.223:
	v_add_u32_e32 v10, 9, v1
	v_pk_mov_b32 v[46:47], 0, 0
	v_cmp_gt_u32_e32 vcc, s33, v10
	v_pk_mov_b32 v[44:45], v[46:47], v[46:47] op_sel:[0,1]
	v_pk_mov_b32 v[42:43], v[46:47], v[46:47] op_sel:[0,1]
	;; [unrolled: 1-line block ×11, first 2 shown]
	s_and_saveexec_b64 s[18:19], vcc
	s_cbranch_execz .LBB1996_245
; %bb.224:
	v_add_u32_e32 v10, 10, v1
	v_pk_mov_b32 v[44:45], 0, 0
	v_cmp_gt_u32_e32 vcc, s33, v10
	v_pk_mov_b32 v[42:43], v[44:45], v[44:45] op_sel:[0,1]
	v_pk_mov_b32 v[40:41], v[44:45], v[44:45] op_sel:[0,1]
	;; [unrolled: 1-line block ×10, first 2 shown]
	s_and_saveexec_b64 s[20:21], vcc
	s_cbranch_execz .LBB1996_244
; %bb.225:
	v_add_u32_e32 v10, 11, v1
	v_pk_mov_b32 v[42:43], 0, 0
	v_cmp_gt_u32_e32 vcc, s33, v10
	v_pk_mov_b32 v[40:41], v[42:43], v[42:43] op_sel:[0,1]
	v_pk_mov_b32 v[38:39], v[42:43], v[42:43] op_sel:[0,1]
	;; [unrolled: 1-line block ×9, first 2 shown]
	s_and_saveexec_b64 s[22:23], vcc
	s_cbranch_execz .LBB1996_243
; %bb.226:
	v_add_u32_e32 v10, 12, v1
	v_pk_mov_b32 v[40:41], 0, 0
	v_cmp_gt_u32_e32 vcc, s33, v10
	v_pk_mov_b32 v[38:39], v[40:41], v[40:41] op_sel:[0,1]
	v_pk_mov_b32 v[34:35], v[40:41], v[40:41] op_sel:[0,1]
	;; [unrolled: 1-line block ×8, first 2 shown]
	s_and_saveexec_b64 s[24:25], vcc
	s_cbranch_execz .LBB1996_242
; %bb.227:
	v_add_u32_e32 v10, 13, v1
	v_pk_mov_b32 v[38:39], 0, 0
	v_cmp_gt_u32_e32 vcc, s33, v10
	v_pk_mov_b32 v[34:35], v[38:39], v[38:39] op_sel:[0,1]
	v_pk_mov_b32 v[30:31], v[38:39], v[38:39] op_sel:[0,1]
	;; [unrolled: 1-line block ×7, first 2 shown]
	s_and_saveexec_b64 s[26:27], vcc
	s_cbranch_execz .LBB1996_241
; %bb.228:
	v_add_u32_e32 v10, 14, v1
	v_pk_mov_b32 v[34:35], 0, 0
	v_cmp_gt_u32_e32 vcc, s33, v10
	v_pk_mov_b32 v[30:31], v[34:35], v[34:35] op_sel:[0,1]
	v_pk_mov_b32 v[26:27], v[34:35], v[34:35] op_sel:[0,1]
	v_pk_mov_b32 v[18:19], v[34:35], v[34:35] op_sel:[0,1]
	v_pk_mov_b32 v[10:11], v[34:35], v[34:35] op_sel:[0,1]
	v_pk_mov_b32 v[14:15], v[34:35], v[34:35] op_sel:[0,1]
	v_pk_mov_b32 v[22:23], v[34:35], v[34:35] op_sel:[0,1]
	s_and_saveexec_b64 s[28:29], vcc
	s_cbranch_execz .LBB1996_240
; %bb.229:
	v_add_u32_e32 v10, 15, v1
	v_pk_mov_b32 v[30:31], 0, 0
	v_cmp_gt_u32_e32 vcc, s33, v10
	v_pk_mov_b32 v[26:27], v[30:31], v[30:31] op_sel:[0,1]
	v_pk_mov_b32 v[18:19], v[30:31], v[30:31] op_sel:[0,1]
	;; [unrolled: 1-line block ×5, first 2 shown]
	s_and_saveexec_b64 s[30:31], vcc
	s_cbranch_execz .LBB1996_239
; %bb.230:
	v_add_u32_e32 v10, 16, v1
	v_pk_mov_b32 v[26:27], 0, 0
	v_cmp_gt_u32_e32 vcc, s33, v10
	v_pk_mov_b32 v[18:19], v[26:27], v[26:27] op_sel:[0,1]
	v_pk_mov_b32 v[10:11], v[26:27], v[26:27] op_sel:[0,1]
	;; [unrolled: 1-line block ×4, first 2 shown]
	s_and_saveexec_b64 s[34:35], vcc
	s_cbranch_execz .LBB1996_238
; %bb.231:
	v_add_u32_e32 v10, 17, v1
	v_pk_mov_b32 v[18:19], 0, 0
	v_cmp_gt_u32_e32 vcc, s33, v10
	v_pk_mov_b32 v[10:11], v[18:19], v[18:19] op_sel:[0,1]
	v_pk_mov_b32 v[14:15], v[18:19], v[18:19] op_sel:[0,1]
	;; [unrolled: 1-line block ×3, first 2 shown]
	s_and_saveexec_b64 s[36:37], vcc
	s_cbranch_execz .LBB1996_237
; %bb.232:
	v_add_u32_e32 v10, 18, v1
	v_cmp_gt_u32_e32 vcc, s33, v10
	v_pk_mov_b32 v[10:11], 0, 0
	v_pk_mov_b32 v[14:15], v[10:11], v[10:11] op_sel:[0,1]
	v_pk_mov_b32 v[22:23], v[10:11], v[10:11] op_sel:[0,1]
	s_and_saveexec_b64 s[38:39], vcc
	s_cbranch_execz .LBB1996_236
; %bb.233:
	v_add_u32_e32 v10, 19, v1
	v_pk_mov_b32 v[14:15], 0, 0
	v_cmp_gt_u32_e32 vcc, s33, v10
	v_pk_mov_b32 v[22:23], v[14:15], v[14:15] op_sel:[0,1]
	s_and_saveexec_b64 s[40:41], vcc
; %bb.234:
	v_add_u32_e32 v10, 20, v1
	v_cmp_gt_u32_e32 vcc, s33, v10
	v_cndmask_b32_e32 v23, 0, v5, vcc
	v_cndmask_b32_e32 v22, 0, v4, vcc
	v_pk_mov_b32 v[14:15], v[96:97], v[96:97] op_sel:[0,1]
; %bb.235:
	s_or_b64 exec, exec, s[40:41]
	v_pk_mov_b32 v[10:11], v[36:37], v[36:37] op_sel:[0,1]
.LBB1996_236:
	s_or_b64 exec, exec, s[38:39]
	v_pk_mov_b32 v[18:19], v[94:95], v[94:95] op_sel:[0,1]
.LBB1996_237:
	s_or_b64 exec, exec, s[36:37]
	v_pk_mov_b32 v[26:27], v[32:33], v[32:33] op_sel:[0,1]
.LBB1996_238:
	s_or_b64 exec, exec, s[34:35]
	v_pk_mov_b32 v[30:31], v[92:93], v[92:93] op_sel:[0,1]
.LBB1996_239:
	s_or_b64 exec, exec, s[30:31]
	v_pk_mov_b32 v[34:35], v[28:29], v[28:29] op_sel:[0,1]
.LBB1996_240:
	s_or_b64 exec, exec, s[28:29]
	v_pk_mov_b32 v[38:39], v[90:91], v[90:91] op_sel:[0,1]
.LBB1996_241:
	s_or_b64 exec, exec, s[26:27]
	v_pk_mov_b32 v[40:41], v[24:25], v[24:25] op_sel:[0,1]
.LBB1996_242:
	s_or_b64 exec, exec, s[24:25]
	v_pk_mov_b32 v[42:43], v[88:89], v[88:89] op_sel:[0,1]
.LBB1996_243:
	s_or_b64 exec, exec, s[22:23]
	v_pk_mov_b32 v[44:45], v[20:21], v[20:21] op_sel:[0,1]
.LBB1996_244:
	s_or_b64 exec, exec, s[20:21]
	v_pk_mov_b32 v[46:47], v[86:87], v[86:87] op_sel:[0,1]
.LBB1996_245:
	s_or_b64 exec, exec, s[18:19]
	v_pk_mov_b32 v[48:49], v[16:17], v[16:17] op_sel:[0,1]
.LBB1996_246:
	s_or_b64 exec, exec, s[16:17]
	v_pk_mov_b32 v[50:51], v[84:85], v[84:85] op_sel:[0,1]
.LBB1996_247:
	s_or_b64 exec, exec, s[14:15]
	v_pk_mov_b32 v[52:53], v[12:13], v[12:13] op_sel:[0,1]
.LBB1996_248:
	s_or_b64 exec, exec, s[12:13]
	v_pk_mov_b32 v[54:55], v[82:83], v[82:83] op_sel:[0,1]
.LBB1996_249:
	s_or_b64 exec, exec, s[10:11]
	v_pk_mov_b32 v[56:57], v[6:7], v[6:7] op_sel:[0,1]
.LBB1996_250:
	s_or_b64 exec, exec, s[8:9]
	v_pk_mov_b32 v[58:59], v[80:81], v[80:81] op_sel:[0,1]
.LBB1996_251:
	s_or_b64 exec, exec, s[6:7]
	v_pk_mov_b32 v[60:61], v[2:3], v[2:3] op_sel:[0,1]
.LBB1996_252:
	s_or_b64 exec, exec, s[4:5]
	v_pk_mov_b32 v[62:63], v[78:79], v[78:79] op_sel:[0,1]
.LBB1996_253:
	s_or_b64 exec, exec, s[2:3]
	v_pk_mov_b32 v[64:65], v[8:9], v[8:9] op_sel:[0,1]
.LBB1996_254:
	s_or_b64 exec, exec, s[0:1]
	v_lshlrev_b32_e32 v98, 3, v1
	s_movk_i32 s0, 0xff60
	s_waitcnt lgkmcnt(0)
	; wave barrier
	ds_write2_b64 v98, v[64:65], v[62:63] offset1:1
	ds_write2_b64 v98, v[60:61], v[58:59] offset0:2 offset1:3
	ds_write2_b64 v98, v[56:57], v[54:55] offset0:4 offset1:5
	;; [unrolled: 1-line block ×9, first 2 shown]
	ds_write_b64 v98, v[22:23] offset:160
	v_mad_i32_i24 v10, v0, s0, v98
	s_waitcnt lgkmcnt(0)
	; wave barrier
	s_waitcnt lgkmcnt(0)
	ds_read2st64_b64 v[74:77], v10 offset0:1 offset1:2
	ds_read2st64_b64 v[70:73], v10 offset0:3 offset1:4
	;; [unrolled: 1-line block ×10, first 2 shown]
	v_lshlrev_b32_e32 v10, 3, v0
	v_mov_b32_e32 v11, s43
	v_add_co_u32_e32 v10, vcc, s42, v10
	v_addc_co_u32_e32 v11, vcc, 0, v11, vcc
	v_mov_b32_e32 v1, 0
	v_cmp_gt_u32_e32 vcc, s33, v0
	s_and_saveexec_b64 s[0:1], vcc
	s_cbranch_execz .LBB1996_256
; %bb.255:
	v_mul_i32_i24_e32 v14, 0xffffff60, v0
	v_add_u32_e32 v14, v98, v14
	ds_read_b64 v[14:15], v14
	s_waitcnt lgkmcnt(0)
	flat_store_dwordx2 v[10:11], v[14:15]
.LBB1996_256:
	s_or_b64 exec, exec, s[0:1]
	v_or_b32_e32 v14, 64, v0
	v_cmp_gt_u32_e32 vcc, s33, v14
	s_and_saveexec_b64 s[0:1], vcc
	s_cbranch_execz .LBB1996_258
; %bb.257:
	s_waitcnt lgkmcnt(0)
	flat_store_dwordx2 v[10:11], v[74:75] offset:512
.LBB1996_258:
	s_or_b64 exec, exec, s[0:1]
	v_or_b32_e32 v14, 0x80, v0
	v_cmp_gt_u32_e32 vcc, s33, v14
	s_and_saveexec_b64 s[0:1], vcc
	s_cbranch_execz .LBB1996_260
; %bb.259:
	s_waitcnt lgkmcnt(0)
	flat_store_dwordx2 v[10:11], v[76:77] offset:1024
.LBB1996_260:
	;; [unrolled: 9-line block ×7, first 2 shown]
	s_or_b64 exec, exec, s[0:1]
	v_or_b32_e32 v14, 0x200, v0
	v_cmp_gt_u32_e32 vcc, s33, v14
	s_and_saveexec_b64 s[0:1], vcc
	s_cbranch_execz .LBB1996_272
; %bb.271:
	v_add_co_u32_e32 v14, vcc, 0x1000, v10
	v_addc_co_u32_e32 v15, vcc, 0, v11, vcc
	s_waitcnt lgkmcnt(0)
	flat_store_dwordx2 v[14:15], v[64:65]
.LBB1996_272:
	s_or_b64 exec, exec, s[0:1]
	v_or_b32_e32 v14, 0x240, v0
	v_cmp_gt_u32_e32 vcc, s33, v14
	s_and_saveexec_b64 s[0:1], vcc
	s_cbranch_execz .LBB1996_274
; %bb.273:
	v_add_co_u32_e32 v14, vcc, 0x1000, v10
	v_addc_co_u32_e32 v15, vcc, 0, v11, vcc
	s_waitcnt lgkmcnt(0)
	flat_store_dwordx2 v[14:15], v[58:59] offset:512
.LBB1996_274:
	s_or_b64 exec, exec, s[0:1]
	v_or_b32_e32 v14, 0x280, v0
	v_cmp_gt_u32_e32 vcc, s33, v14
	s_and_saveexec_b64 s[0:1], vcc
	s_cbranch_execz .LBB1996_276
; %bb.275:
	v_add_co_u32_e32 v14, vcc, 0x1000, v10
	v_addc_co_u32_e32 v15, vcc, 0, v11, vcc
	s_waitcnt lgkmcnt(0)
	flat_store_dwordx2 v[14:15], v[60:61] offset:1024
.LBB1996_276:
	;; [unrolled: 11-line block ×7, first 2 shown]
	s_or_b64 exec, exec, s[0:1]
	v_or_b32_e32 v14, 0x400, v0
	v_cmp_gt_u32_e32 vcc, s33, v14
	s_and_saveexec_b64 s[0:1], vcc
	s_cbranch_execz .LBB1996_288
; %bb.287:
	v_add_co_u32_e32 v14, vcc, 0x2000, v10
	v_addc_co_u32_e32 v15, vcc, 0, v11, vcc
	s_waitcnt lgkmcnt(0)
	flat_store_dwordx2 v[14:15], v[48:49]
.LBB1996_288:
	s_or_b64 exec, exec, s[0:1]
	v_or_b32_e32 v14, 0x440, v0
	v_cmp_gt_u32_e32 vcc, s33, v14
	s_and_saveexec_b64 s[0:1], vcc
	s_cbranch_execz .LBB1996_290
; %bb.289:
	v_add_co_u32_e32 v14, vcc, 0x2000, v10
	v_addc_co_u32_e32 v15, vcc, 0, v11, vcc
	s_waitcnt lgkmcnt(0)
	flat_store_dwordx2 v[14:15], v[42:43] offset:512
.LBB1996_290:
	s_or_b64 exec, exec, s[0:1]
	v_or_b32_e32 v14, 0x480, v0
	v_cmp_gt_u32_e32 vcc, s33, v14
	s_and_saveexec_b64 s[0:1], vcc
	s_cbranch_execz .LBB1996_292
; %bb.291:
	v_add_co_u32_e32 v14, vcc, 0x2000, v10
	v_addc_co_u32_e32 v15, vcc, 0, v11, vcc
	s_waitcnt lgkmcnt(0)
	flat_store_dwordx2 v[14:15], v[44:45] offset:1024
.LBB1996_292:
	;; [unrolled: 11-line block ×3, first 2 shown]
	s_or_b64 exec, exec, s[0:1]
	v_or_b32_e32 v10, 0x500, v0
	v_cmp_gt_u32_e64 s[0:1], s33, v10
	s_branch .LBB1996_297
.LBB1996_295:
	s_mov_b64 s[0:1], 0
                                        ; kill: def $vgpr10_vgpr11 killed $sgpr0_sgpr1 killed $exec
                                        ; implicit-def: $vgpr40_vgpr41
	s_cbranch_execz .LBB1996_297
; %bb.296:
	v_mul_u32_u24_e32 v1, 0xa8, v0
	s_waitcnt lgkmcnt(0)
	; wave barrier
	s_waitcnt lgkmcnt(0)
	s_movk_i32 s2, 0xa8
	ds_write2_b64 v1, v[8:9], v[78:79] offset1:1
	ds_write2_b64 v1, v[2:3], v[80:81] offset0:2 offset1:3
	ds_write2_b64 v1, v[6:7], v[82:83] offset0:4 offset1:5
	;; [unrolled: 1-line block ×9, first 2 shown]
	ds_write_b64 v1, v[4:5] offset:160
	v_mul_i32_i24_e32 v2, 0xffffff60, v0
	v_mad_u32_u24 v38, v0, s2, v2
	s_waitcnt lgkmcnt(0)
	; wave barrier
	s_waitcnt lgkmcnt(0)
	ds_read2st64_b64 v[2:5], v38 offset1:1
	ds_read2st64_b64 v[6:9], v38 offset0:2 offset1:3
	ds_read2st64_b64 v[10:13], v38 offset0:4 offset1:5
	ds_read2st64_b64 v[14:17], v38 offset0:6 offset1:7
	ds_read2st64_b64 v[18:21], v38 offset0:8 offset1:9
	ds_read2st64_b64 v[22:25], v38 offset0:10 offset1:11
	ds_read2st64_b64 v[26:29], v38 offset0:12 offset1:13
	ds_read2st64_b64 v[30:33], v38 offset0:14 offset1:15
	ds_read2st64_b64 v[34:37], v38 offset0:16 offset1:17
	ds_read2st64_b64 v[42:45], v38 offset0:18 offset1:19
	ds_read_b64 v[40:41], v38 offset:10240
	v_lshlrev_b32_e32 v38, 3, v0
	v_mov_b32_e32 v39, s43
	v_add_co_u32_e32 v38, vcc, s42, v38
	v_addc_co_u32_e32 v39, vcc, 0, v39, vcc
	s_movk_i32 s2, 0x1000
	s_waitcnt lgkmcnt(0)
	flat_store_dwordx2 v[38:39], v[2:3]
	flat_store_dwordx2 v[38:39], v[4:5] offset:512
	flat_store_dwordx2 v[38:39], v[6:7] offset:1024
	;; [unrolled: 1-line block ×7, first 2 shown]
	v_add_co_u32_e32 v2, vcc, s2, v38
	v_addc_co_u32_e32 v3, vcc, 0, v39, vcc
	flat_store_dwordx2 v[2:3], v[18:19]
	flat_store_dwordx2 v[2:3], v[20:21] offset:512
	flat_store_dwordx2 v[2:3], v[22:23] offset:1024
	;; [unrolled: 1-line block ×7, first 2 shown]
	v_add_co_u32_e32 v2, vcc, 0x2000, v38
	v_mov_b32_e32 v1, 0
	v_addc_co_u32_e32 v3, vcc, 0, v39, vcc
	s_or_b64 s[0:1], s[0:1], exec
	flat_store_dwordx2 v[2:3], v[34:35]
	flat_store_dwordx2 v[2:3], v[36:37] offset:512
	flat_store_dwordx2 v[2:3], v[42:43] offset:1024
	;; [unrolled: 1-line block ×3, first 2 shown]
.LBB1996_297:
	s_and_saveexec_b64 s[2:3], s[0:1]
	s_cbranch_execnz .LBB1996_299
; %bb.298:
	s_endpgm
.LBB1996_299:
	v_lshlrev_b64 v[0:1], 3, v[0:1]
	v_mov_b32_e32 v2, s43
	v_add_co_u32_e32 v0, vcc, s42, v0
	v_addc_co_u32_e32 v1, vcc, v2, v1, vcc
	v_add_co_u32_e32 v0, vcc, 0x2000, v0
	v_addc_co_u32_e32 v1, vcc, 0, v1, vcc
	s_waitcnt lgkmcnt(0)
	flat_store_dwordx2 v[0:1], v[40:41] offset:2048
	s_endpgm
	.section	.rodata,"a",@progbits
	.p2align	6, 0x0
	.amdhsa_kernel _ZN7rocprim17ROCPRIM_400000_NS6detail17trampoline_kernelINS0_14default_configENS1_27scan_by_key_config_selectorIj11FixedVectorIiLj2EEEEZZNS1_16scan_by_key_implILNS1_25lookback_scan_determinismE0ELb1ES3_N6thrust23THRUST_200600_302600_NS6detail15normal_iteratorINSB_10device_ptrIjEEEENSD_INSE_IS6_EEEESI_S6_NSB_4plusIvEENSB_8equal_toIvEES6_EE10hipError_tPvRmT2_T3_T4_T5_mT6_T7_P12ihipStream_tbENKUlT_T0_E_clISt17integral_constantIbLb0EES13_EEDaSY_SZ_EUlSY_E_NS1_11comp_targetILNS1_3genE4ELNS1_11target_archE910ELNS1_3gpuE8ELNS1_3repE0EEENS1_30default_config_static_selectorELNS0_4arch9wavefront6targetE1EEEvT1_
		.amdhsa_group_segment_fixed_size 10752
		.amdhsa_private_segment_fixed_size 0
		.amdhsa_kernarg_size 120
		.amdhsa_user_sgpr_count 6
		.amdhsa_user_sgpr_private_segment_buffer 1
		.amdhsa_user_sgpr_dispatch_ptr 0
		.amdhsa_user_sgpr_queue_ptr 0
		.amdhsa_user_sgpr_kernarg_segment_ptr 1
		.amdhsa_user_sgpr_dispatch_id 0
		.amdhsa_user_sgpr_flat_scratch_init 0
		.amdhsa_user_sgpr_kernarg_preload_length 0
		.amdhsa_user_sgpr_kernarg_preload_offset 0
		.amdhsa_user_sgpr_private_segment_size 0
		.amdhsa_uses_dynamic_stack 0
		.amdhsa_system_sgpr_private_segment_wavefront_offset 0
		.amdhsa_system_sgpr_workgroup_id_x 1
		.amdhsa_system_sgpr_workgroup_id_y 0
		.amdhsa_system_sgpr_workgroup_id_z 0
		.amdhsa_system_sgpr_workgroup_info 0
		.amdhsa_system_vgpr_workitem_id 0
		.amdhsa_next_free_vgpr 126
		.amdhsa_next_free_sgpr 76
		.amdhsa_accum_offset 128
		.amdhsa_reserve_vcc 1
		.amdhsa_reserve_flat_scratch 0
		.amdhsa_float_round_mode_32 0
		.amdhsa_float_round_mode_16_64 0
		.amdhsa_float_denorm_mode_32 3
		.amdhsa_float_denorm_mode_16_64 3
		.amdhsa_dx10_clamp 1
		.amdhsa_ieee_mode 1
		.amdhsa_fp16_overflow 0
		.amdhsa_tg_split 0
		.amdhsa_exception_fp_ieee_invalid_op 0
		.amdhsa_exception_fp_denorm_src 0
		.amdhsa_exception_fp_ieee_div_zero 0
		.amdhsa_exception_fp_ieee_overflow 0
		.amdhsa_exception_fp_ieee_underflow 0
		.amdhsa_exception_fp_ieee_inexact 0
		.amdhsa_exception_int_div_zero 0
	.end_amdhsa_kernel
	.section	.text._ZN7rocprim17ROCPRIM_400000_NS6detail17trampoline_kernelINS0_14default_configENS1_27scan_by_key_config_selectorIj11FixedVectorIiLj2EEEEZZNS1_16scan_by_key_implILNS1_25lookback_scan_determinismE0ELb1ES3_N6thrust23THRUST_200600_302600_NS6detail15normal_iteratorINSB_10device_ptrIjEEEENSD_INSE_IS6_EEEESI_S6_NSB_4plusIvEENSB_8equal_toIvEES6_EE10hipError_tPvRmT2_T3_T4_T5_mT6_T7_P12ihipStream_tbENKUlT_T0_E_clISt17integral_constantIbLb0EES13_EEDaSY_SZ_EUlSY_E_NS1_11comp_targetILNS1_3genE4ELNS1_11target_archE910ELNS1_3gpuE8ELNS1_3repE0EEENS1_30default_config_static_selectorELNS0_4arch9wavefront6targetE1EEEvT1_,"axG",@progbits,_ZN7rocprim17ROCPRIM_400000_NS6detail17trampoline_kernelINS0_14default_configENS1_27scan_by_key_config_selectorIj11FixedVectorIiLj2EEEEZZNS1_16scan_by_key_implILNS1_25lookback_scan_determinismE0ELb1ES3_N6thrust23THRUST_200600_302600_NS6detail15normal_iteratorINSB_10device_ptrIjEEEENSD_INSE_IS6_EEEESI_S6_NSB_4plusIvEENSB_8equal_toIvEES6_EE10hipError_tPvRmT2_T3_T4_T5_mT6_T7_P12ihipStream_tbENKUlT_T0_E_clISt17integral_constantIbLb0EES13_EEDaSY_SZ_EUlSY_E_NS1_11comp_targetILNS1_3genE4ELNS1_11target_archE910ELNS1_3gpuE8ELNS1_3repE0EEENS1_30default_config_static_selectorELNS0_4arch9wavefront6targetE1EEEvT1_,comdat
.Lfunc_end1996:
	.size	_ZN7rocprim17ROCPRIM_400000_NS6detail17trampoline_kernelINS0_14default_configENS1_27scan_by_key_config_selectorIj11FixedVectorIiLj2EEEEZZNS1_16scan_by_key_implILNS1_25lookback_scan_determinismE0ELb1ES3_N6thrust23THRUST_200600_302600_NS6detail15normal_iteratorINSB_10device_ptrIjEEEENSD_INSE_IS6_EEEESI_S6_NSB_4plusIvEENSB_8equal_toIvEES6_EE10hipError_tPvRmT2_T3_T4_T5_mT6_T7_P12ihipStream_tbENKUlT_T0_E_clISt17integral_constantIbLb0EES13_EEDaSY_SZ_EUlSY_E_NS1_11comp_targetILNS1_3genE4ELNS1_11target_archE910ELNS1_3gpuE8ELNS1_3repE0EEENS1_30default_config_static_selectorELNS0_4arch9wavefront6targetE1EEEvT1_, .Lfunc_end1996-_ZN7rocprim17ROCPRIM_400000_NS6detail17trampoline_kernelINS0_14default_configENS1_27scan_by_key_config_selectorIj11FixedVectorIiLj2EEEEZZNS1_16scan_by_key_implILNS1_25lookback_scan_determinismE0ELb1ES3_N6thrust23THRUST_200600_302600_NS6detail15normal_iteratorINSB_10device_ptrIjEEEENSD_INSE_IS6_EEEESI_S6_NSB_4plusIvEENSB_8equal_toIvEES6_EE10hipError_tPvRmT2_T3_T4_T5_mT6_T7_P12ihipStream_tbENKUlT_T0_E_clISt17integral_constantIbLb0EES13_EEDaSY_SZ_EUlSY_E_NS1_11comp_targetILNS1_3genE4ELNS1_11target_archE910ELNS1_3gpuE8ELNS1_3repE0EEENS1_30default_config_static_selectorELNS0_4arch9wavefront6targetE1EEEvT1_
                                        ; -- End function
	.section	.AMDGPU.csdata,"",@progbits
; Kernel info:
; codeLenInByte = 18960
; NumSgprs: 80
; NumVgprs: 126
; NumAgprs: 0
; TotalNumVgprs: 126
; ScratchSize: 0
; MemoryBound: 0
; FloatMode: 240
; IeeeMode: 1
; LDSByteSize: 10752 bytes/workgroup (compile time only)
; SGPRBlocks: 9
; VGPRBlocks: 15
; NumSGPRsForWavesPerEU: 80
; NumVGPRsForWavesPerEU: 126
; AccumOffset: 128
; Occupancy: 2
; WaveLimiterHint : 1
; COMPUTE_PGM_RSRC2:SCRATCH_EN: 0
; COMPUTE_PGM_RSRC2:USER_SGPR: 6
; COMPUTE_PGM_RSRC2:TRAP_HANDLER: 0
; COMPUTE_PGM_RSRC2:TGID_X_EN: 1
; COMPUTE_PGM_RSRC2:TGID_Y_EN: 0
; COMPUTE_PGM_RSRC2:TGID_Z_EN: 0
; COMPUTE_PGM_RSRC2:TIDIG_COMP_CNT: 0
; COMPUTE_PGM_RSRC3_GFX90A:ACCUM_OFFSET: 31
; COMPUTE_PGM_RSRC3_GFX90A:TG_SPLIT: 0
	.section	.text._ZN7rocprim17ROCPRIM_400000_NS6detail17trampoline_kernelINS0_14default_configENS1_27scan_by_key_config_selectorIj11FixedVectorIiLj2EEEEZZNS1_16scan_by_key_implILNS1_25lookback_scan_determinismE0ELb1ES3_N6thrust23THRUST_200600_302600_NS6detail15normal_iteratorINSB_10device_ptrIjEEEENSD_INSE_IS6_EEEESI_S6_NSB_4plusIvEENSB_8equal_toIvEES6_EE10hipError_tPvRmT2_T3_T4_T5_mT6_T7_P12ihipStream_tbENKUlT_T0_E_clISt17integral_constantIbLb0EES13_EEDaSY_SZ_EUlSY_E_NS1_11comp_targetILNS1_3genE3ELNS1_11target_archE908ELNS1_3gpuE7ELNS1_3repE0EEENS1_30default_config_static_selectorELNS0_4arch9wavefront6targetE1EEEvT1_,"axG",@progbits,_ZN7rocprim17ROCPRIM_400000_NS6detail17trampoline_kernelINS0_14default_configENS1_27scan_by_key_config_selectorIj11FixedVectorIiLj2EEEEZZNS1_16scan_by_key_implILNS1_25lookback_scan_determinismE0ELb1ES3_N6thrust23THRUST_200600_302600_NS6detail15normal_iteratorINSB_10device_ptrIjEEEENSD_INSE_IS6_EEEESI_S6_NSB_4plusIvEENSB_8equal_toIvEES6_EE10hipError_tPvRmT2_T3_T4_T5_mT6_T7_P12ihipStream_tbENKUlT_T0_E_clISt17integral_constantIbLb0EES13_EEDaSY_SZ_EUlSY_E_NS1_11comp_targetILNS1_3genE3ELNS1_11target_archE908ELNS1_3gpuE7ELNS1_3repE0EEENS1_30default_config_static_selectorELNS0_4arch9wavefront6targetE1EEEvT1_,comdat
	.protected	_ZN7rocprim17ROCPRIM_400000_NS6detail17trampoline_kernelINS0_14default_configENS1_27scan_by_key_config_selectorIj11FixedVectorIiLj2EEEEZZNS1_16scan_by_key_implILNS1_25lookback_scan_determinismE0ELb1ES3_N6thrust23THRUST_200600_302600_NS6detail15normal_iteratorINSB_10device_ptrIjEEEENSD_INSE_IS6_EEEESI_S6_NSB_4plusIvEENSB_8equal_toIvEES6_EE10hipError_tPvRmT2_T3_T4_T5_mT6_T7_P12ihipStream_tbENKUlT_T0_E_clISt17integral_constantIbLb0EES13_EEDaSY_SZ_EUlSY_E_NS1_11comp_targetILNS1_3genE3ELNS1_11target_archE908ELNS1_3gpuE7ELNS1_3repE0EEENS1_30default_config_static_selectorELNS0_4arch9wavefront6targetE1EEEvT1_ ; -- Begin function _ZN7rocprim17ROCPRIM_400000_NS6detail17trampoline_kernelINS0_14default_configENS1_27scan_by_key_config_selectorIj11FixedVectorIiLj2EEEEZZNS1_16scan_by_key_implILNS1_25lookback_scan_determinismE0ELb1ES3_N6thrust23THRUST_200600_302600_NS6detail15normal_iteratorINSB_10device_ptrIjEEEENSD_INSE_IS6_EEEESI_S6_NSB_4plusIvEENSB_8equal_toIvEES6_EE10hipError_tPvRmT2_T3_T4_T5_mT6_T7_P12ihipStream_tbENKUlT_T0_E_clISt17integral_constantIbLb0EES13_EEDaSY_SZ_EUlSY_E_NS1_11comp_targetILNS1_3genE3ELNS1_11target_archE908ELNS1_3gpuE7ELNS1_3repE0EEENS1_30default_config_static_selectorELNS0_4arch9wavefront6targetE1EEEvT1_
	.globl	_ZN7rocprim17ROCPRIM_400000_NS6detail17trampoline_kernelINS0_14default_configENS1_27scan_by_key_config_selectorIj11FixedVectorIiLj2EEEEZZNS1_16scan_by_key_implILNS1_25lookback_scan_determinismE0ELb1ES3_N6thrust23THRUST_200600_302600_NS6detail15normal_iteratorINSB_10device_ptrIjEEEENSD_INSE_IS6_EEEESI_S6_NSB_4plusIvEENSB_8equal_toIvEES6_EE10hipError_tPvRmT2_T3_T4_T5_mT6_T7_P12ihipStream_tbENKUlT_T0_E_clISt17integral_constantIbLb0EES13_EEDaSY_SZ_EUlSY_E_NS1_11comp_targetILNS1_3genE3ELNS1_11target_archE908ELNS1_3gpuE7ELNS1_3repE0EEENS1_30default_config_static_selectorELNS0_4arch9wavefront6targetE1EEEvT1_
	.p2align	8
	.type	_ZN7rocprim17ROCPRIM_400000_NS6detail17trampoline_kernelINS0_14default_configENS1_27scan_by_key_config_selectorIj11FixedVectorIiLj2EEEEZZNS1_16scan_by_key_implILNS1_25lookback_scan_determinismE0ELb1ES3_N6thrust23THRUST_200600_302600_NS6detail15normal_iteratorINSB_10device_ptrIjEEEENSD_INSE_IS6_EEEESI_S6_NSB_4plusIvEENSB_8equal_toIvEES6_EE10hipError_tPvRmT2_T3_T4_T5_mT6_T7_P12ihipStream_tbENKUlT_T0_E_clISt17integral_constantIbLb0EES13_EEDaSY_SZ_EUlSY_E_NS1_11comp_targetILNS1_3genE3ELNS1_11target_archE908ELNS1_3gpuE7ELNS1_3repE0EEENS1_30default_config_static_selectorELNS0_4arch9wavefront6targetE1EEEvT1_,@function
_ZN7rocprim17ROCPRIM_400000_NS6detail17trampoline_kernelINS0_14default_configENS1_27scan_by_key_config_selectorIj11FixedVectorIiLj2EEEEZZNS1_16scan_by_key_implILNS1_25lookback_scan_determinismE0ELb1ES3_N6thrust23THRUST_200600_302600_NS6detail15normal_iteratorINSB_10device_ptrIjEEEENSD_INSE_IS6_EEEESI_S6_NSB_4plusIvEENSB_8equal_toIvEES6_EE10hipError_tPvRmT2_T3_T4_T5_mT6_T7_P12ihipStream_tbENKUlT_T0_E_clISt17integral_constantIbLb0EES13_EEDaSY_SZ_EUlSY_E_NS1_11comp_targetILNS1_3genE3ELNS1_11target_archE908ELNS1_3gpuE7ELNS1_3repE0EEENS1_30default_config_static_selectorELNS0_4arch9wavefront6targetE1EEEvT1_: ; @_ZN7rocprim17ROCPRIM_400000_NS6detail17trampoline_kernelINS0_14default_configENS1_27scan_by_key_config_selectorIj11FixedVectorIiLj2EEEEZZNS1_16scan_by_key_implILNS1_25lookback_scan_determinismE0ELb1ES3_N6thrust23THRUST_200600_302600_NS6detail15normal_iteratorINSB_10device_ptrIjEEEENSD_INSE_IS6_EEEESI_S6_NSB_4plusIvEENSB_8equal_toIvEES6_EE10hipError_tPvRmT2_T3_T4_T5_mT6_T7_P12ihipStream_tbENKUlT_T0_E_clISt17integral_constantIbLb0EES13_EEDaSY_SZ_EUlSY_E_NS1_11comp_targetILNS1_3genE3ELNS1_11target_archE908ELNS1_3gpuE7ELNS1_3repE0EEENS1_30default_config_static_selectorELNS0_4arch9wavefront6targetE1EEEvT1_
; %bb.0:
	.section	.rodata,"a",@progbits
	.p2align	6, 0x0
	.amdhsa_kernel _ZN7rocprim17ROCPRIM_400000_NS6detail17trampoline_kernelINS0_14default_configENS1_27scan_by_key_config_selectorIj11FixedVectorIiLj2EEEEZZNS1_16scan_by_key_implILNS1_25lookback_scan_determinismE0ELb1ES3_N6thrust23THRUST_200600_302600_NS6detail15normal_iteratorINSB_10device_ptrIjEEEENSD_INSE_IS6_EEEESI_S6_NSB_4plusIvEENSB_8equal_toIvEES6_EE10hipError_tPvRmT2_T3_T4_T5_mT6_T7_P12ihipStream_tbENKUlT_T0_E_clISt17integral_constantIbLb0EES13_EEDaSY_SZ_EUlSY_E_NS1_11comp_targetILNS1_3genE3ELNS1_11target_archE908ELNS1_3gpuE7ELNS1_3repE0EEENS1_30default_config_static_selectorELNS0_4arch9wavefront6targetE1EEEvT1_
		.amdhsa_group_segment_fixed_size 0
		.amdhsa_private_segment_fixed_size 0
		.amdhsa_kernarg_size 120
		.amdhsa_user_sgpr_count 6
		.amdhsa_user_sgpr_private_segment_buffer 1
		.amdhsa_user_sgpr_dispatch_ptr 0
		.amdhsa_user_sgpr_queue_ptr 0
		.amdhsa_user_sgpr_kernarg_segment_ptr 1
		.amdhsa_user_sgpr_dispatch_id 0
		.amdhsa_user_sgpr_flat_scratch_init 0
		.amdhsa_user_sgpr_kernarg_preload_length 0
		.amdhsa_user_sgpr_kernarg_preload_offset 0
		.amdhsa_user_sgpr_private_segment_size 0
		.amdhsa_uses_dynamic_stack 0
		.amdhsa_system_sgpr_private_segment_wavefront_offset 0
		.amdhsa_system_sgpr_workgroup_id_x 1
		.amdhsa_system_sgpr_workgroup_id_y 0
		.amdhsa_system_sgpr_workgroup_id_z 0
		.amdhsa_system_sgpr_workgroup_info 0
		.amdhsa_system_vgpr_workitem_id 0
		.amdhsa_next_free_vgpr 1
		.amdhsa_next_free_sgpr 0
		.amdhsa_accum_offset 4
		.amdhsa_reserve_vcc 0
		.amdhsa_reserve_flat_scratch 0
		.amdhsa_float_round_mode_32 0
		.amdhsa_float_round_mode_16_64 0
		.amdhsa_float_denorm_mode_32 3
		.amdhsa_float_denorm_mode_16_64 3
		.amdhsa_dx10_clamp 1
		.amdhsa_ieee_mode 1
		.amdhsa_fp16_overflow 0
		.amdhsa_tg_split 0
		.amdhsa_exception_fp_ieee_invalid_op 0
		.amdhsa_exception_fp_denorm_src 0
		.amdhsa_exception_fp_ieee_div_zero 0
		.amdhsa_exception_fp_ieee_overflow 0
		.amdhsa_exception_fp_ieee_underflow 0
		.amdhsa_exception_fp_ieee_inexact 0
		.amdhsa_exception_int_div_zero 0
	.end_amdhsa_kernel
	.section	.text._ZN7rocprim17ROCPRIM_400000_NS6detail17trampoline_kernelINS0_14default_configENS1_27scan_by_key_config_selectorIj11FixedVectorIiLj2EEEEZZNS1_16scan_by_key_implILNS1_25lookback_scan_determinismE0ELb1ES3_N6thrust23THRUST_200600_302600_NS6detail15normal_iteratorINSB_10device_ptrIjEEEENSD_INSE_IS6_EEEESI_S6_NSB_4plusIvEENSB_8equal_toIvEES6_EE10hipError_tPvRmT2_T3_T4_T5_mT6_T7_P12ihipStream_tbENKUlT_T0_E_clISt17integral_constantIbLb0EES13_EEDaSY_SZ_EUlSY_E_NS1_11comp_targetILNS1_3genE3ELNS1_11target_archE908ELNS1_3gpuE7ELNS1_3repE0EEENS1_30default_config_static_selectorELNS0_4arch9wavefront6targetE1EEEvT1_,"axG",@progbits,_ZN7rocprim17ROCPRIM_400000_NS6detail17trampoline_kernelINS0_14default_configENS1_27scan_by_key_config_selectorIj11FixedVectorIiLj2EEEEZZNS1_16scan_by_key_implILNS1_25lookback_scan_determinismE0ELb1ES3_N6thrust23THRUST_200600_302600_NS6detail15normal_iteratorINSB_10device_ptrIjEEEENSD_INSE_IS6_EEEESI_S6_NSB_4plusIvEENSB_8equal_toIvEES6_EE10hipError_tPvRmT2_T3_T4_T5_mT6_T7_P12ihipStream_tbENKUlT_T0_E_clISt17integral_constantIbLb0EES13_EEDaSY_SZ_EUlSY_E_NS1_11comp_targetILNS1_3genE3ELNS1_11target_archE908ELNS1_3gpuE7ELNS1_3repE0EEENS1_30default_config_static_selectorELNS0_4arch9wavefront6targetE1EEEvT1_,comdat
.Lfunc_end1997:
	.size	_ZN7rocprim17ROCPRIM_400000_NS6detail17trampoline_kernelINS0_14default_configENS1_27scan_by_key_config_selectorIj11FixedVectorIiLj2EEEEZZNS1_16scan_by_key_implILNS1_25lookback_scan_determinismE0ELb1ES3_N6thrust23THRUST_200600_302600_NS6detail15normal_iteratorINSB_10device_ptrIjEEEENSD_INSE_IS6_EEEESI_S6_NSB_4plusIvEENSB_8equal_toIvEES6_EE10hipError_tPvRmT2_T3_T4_T5_mT6_T7_P12ihipStream_tbENKUlT_T0_E_clISt17integral_constantIbLb0EES13_EEDaSY_SZ_EUlSY_E_NS1_11comp_targetILNS1_3genE3ELNS1_11target_archE908ELNS1_3gpuE7ELNS1_3repE0EEENS1_30default_config_static_selectorELNS0_4arch9wavefront6targetE1EEEvT1_, .Lfunc_end1997-_ZN7rocprim17ROCPRIM_400000_NS6detail17trampoline_kernelINS0_14default_configENS1_27scan_by_key_config_selectorIj11FixedVectorIiLj2EEEEZZNS1_16scan_by_key_implILNS1_25lookback_scan_determinismE0ELb1ES3_N6thrust23THRUST_200600_302600_NS6detail15normal_iteratorINSB_10device_ptrIjEEEENSD_INSE_IS6_EEEESI_S6_NSB_4plusIvEENSB_8equal_toIvEES6_EE10hipError_tPvRmT2_T3_T4_T5_mT6_T7_P12ihipStream_tbENKUlT_T0_E_clISt17integral_constantIbLb0EES13_EEDaSY_SZ_EUlSY_E_NS1_11comp_targetILNS1_3genE3ELNS1_11target_archE908ELNS1_3gpuE7ELNS1_3repE0EEENS1_30default_config_static_selectorELNS0_4arch9wavefront6targetE1EEEvT1_
                                        ; -- End function
	.section	.AMDGPU.csdata,"",@progbits
; Kernel info:
; codeLenInByte = 0
; NumSgprs: 4
; NumVgprs: 0
; NumAgprs: 0
; TotalNumVgprs: 0
; ScratchSize: 0
; MemoryBound: 0
; FloatMode: 240
; IeeeMode: 1
; LDSByteSize: 0 bytes/workgroup (compile time only)
; SGPRBlocks: 0
; VGPRBlocks: 0
; NumSGPRsForWavesPerEU: 4
; NumVGPRsForWavesPerEU: 1
; AccumOffset: 4
; Occupancy: 8
; WaveLimiterHint : 0
; COMPUTE_PGM_RSRC2:SCRATCH_EN: 0
; COMPUTE_PGM_RSRC2:USER_SGPR: 6
; COMPUTE_PGM_RSRC2:TRAP_HANDLER: 0
; COMPUTE_PGM_RSRC2:TGID_X_EN: 1
; COMPUTE_PGM_RSRC2:TGID_Y_EN: 0
; COMPUTE_PGM_RSRC2:TGID_Z_EN: 0
; COMPUTE_PGM_RSRC2:TIDIG_COMP_CNT: 0
; COMPUTE_PGM_RSRC3_GFX90A:ACCUM_OFFSET: 0
; COMPUTE_PGM_RSRC3_GFX90A:TG_SPLIT: 0
	.section	.text._ZN7rocprim17ROCPRIM_400000_NS6detail17trampoline_kernelINS0_14default_configENS1_27scan_by_key_config_selectorIj11FixedVectorIiLj2EEEEZZNS1_16scan_by_key_implILNS1_25lookback_scan_determinismE0ELb1ES3_N6thrust23THRUST_200600_302600_NS6detail15normal_iteratorINSB_10device_ptrIjEEEENSD_INSE_IS6_EEEESI_S6_NSB_4plusIvEENSB_8equal_toIvEES6_EE10hipError_tPvRmT2_T3_T4_T5_mT6_T7_P12ihipStream_tbENKUlT_T0_E_clISt17integral_constantIbLb0EES13_EEDaSY_SZ_EUlSY_E_NS1_11comp_targetILNS1_3genE2ELNS1_11target_archE906ELNS1_3gpuE6ELNS1_3repE0EEENS1_30default_config_static_selectorELNS0_4arch9wavefront6targetE1EEEvT1_,"axG",@progbits,_ZN7rocprim17ROCPRIM_400000_NS6detail17trampoline_kernelINS0_14default_configENS1_27scan_by_key_config_selectorIj11FixedVectorIiLj2EEEEZZNS1_16scan_by_key_implILNS1_25lookback_scan_determinismE0ELb1ES3_N6thrust23THRUST_200600_302600_NS6detail15normal_iteratorINSB_10device_ptrIjEEEENSD_INSE_IS6_EEEESI_S6_NSB_4plusIvEENSB_8equal_toIvEES6_EE10hipError_tPvRmT2_T3_T4_T5_mT6_T7_P12ihipStream_tbENKUlT_T0_E_clISt17integral_constantIbLb0EES13_EEDaSY_SZ_EUlSY_E_NS1_11comp_targetILNS1_3genE2ELNS1_11target_archE906ELNS1_3gpuE6ELNS1_3repE0EEENS1_30default_config_static_selectorELNS0_4arch9wavefront6targetE1EEEvT1_,comdat
	.protected	_ZN7rocprim17ROCPRIM_400000_NS6detail17trampoline_kernelINS0_14default_configENS1_27scan_by_key_config_selectorIj11FixedVectorIiLj2EEEEZZNS1_16scan_by_key_implILNS1_25lookback_scan_determinismE0ELb1ES3_N6thrust23THRUST_200600_302600_NS6detail15normal_iteratorINSB_10device_ptrIjEEEENSD_INSE_IS6_EEEESI_S6_NSB_4plusIvEENSB_8equal_toIvEES6_EE10hipError_tPvRmT2_T3_T4_T5_mT6_T7_P12ihipStream_tbENKUlT_T0_E_clISt17integral_constantIbLb0EES13_EEDaSY_SZ_EUlSY_E_NS1_11comp_targetILNS1_3genE2ELNS1_11target_archE906ELNS1_3gpuE6ELNS1_3repE0EEENS1_30default_config_static_selectorELNS0_4arch9wavefront6targetE1EEEvT1_ ; -- Begin function _ZN7rocprim17ROCPRIM_400000_NS6detail17trampoline_kernelINS0_14default_configENS1_27scan_by_key_config_selectorIj11FixedVectorIiLj2EEEEZZNS1_16scan_by_key_implILNS1_25lookback_scan_determinismE0ELb1ES3_N6thrust23THRUST_200600_302600_NS6detail15normal_iteratorINSB_10device_ptrIjEEEENSD_INSE_IS6_EEEESI_S6_NSB_4plusIvEENSB_8equal_toIvEES6_EE10hipError_tPvRmT2_T3_T4_T5_mT6_T7_P12ihipStream_tbENKUlT_T0_E_clISt17integral_constantIbLb0EES13_EEDaSY_SZ_EUlSY_E_NS1_11comp_targetILNS1_3genE2ELNS1_11target_archE906ELNS1_3gpuE6ELNS1_3repE0EEENS1_30default_config_static_selectorELNS0_4arch9wavefront6targetE1EEEvT1_
	.globl	_ZN7rocprim17ROCPRIM_400000_NS6detail17trampoline_kernelINS0_14default_configENS1_27scan_by_key_config_selectorIj11FixedVectorIiLj2EEEEZZNS1_16scan_by_key_implILNS1_25lookback_scan_determinismE0ELb1ES3_N6thrust23THRUST_200600_302600_NS6detail15normal_iteratorINSB_10device_ptrIjEEEENSD_INSE_IS6_EEEESI_S6_NSB_4plusIvEENSB_8equal_toIvEES6_EE10hipError_tPvRmT2_T3_T4_T5_mT6_T7_P12ihipStream_tbENKUlT_T0_E_clISt17integral_constantIbLb0EES13_EEDaSY_SZ_EUlSY_E_NS1_11comp_targetILNS1_3genE2ELNS1_11target_archE906ELNS1_3gpuE6ELNS1_3repE0EEENS1_30default_config_static_selectorELNS0_4arch9wavefront6targetE1EEEvT1_
	.p2align	8
	.type	_ZN7rocprim17ROCPRIM_400000_NS6detail17trampoline_kernelINS0_14default_configENS1_27scan_by_key_config_selectorIj11FixedVectorIiLj2EEEEZZNS1_16scan_by_key_implILNS1_25lookback_scan_determinismE0ELb1ES3_N6thrust23THRUST_200600_302600_NS6detail15normal_iteratorINSB_10device_ptrIjEEEENSD_INSE_IS6_EEEESI_S6_NSB_4plusIvEENSB_8equal_toIvEES6_EE10hipError_tPvRmT2_T3_T4_T5_mT6_T7_P12ihipStream_tbENKUlT_T0_E_clISt17integral_constantIbLb0EES13_EEDaSY_SZ_EUlSY_E_NS1_11comp_targetILNS1_3genE2ELNS1_11target_archE906ELNS1_3gpuE6ELNS1_3repE0EEENS1_30default_config_static_selectorELNS0_4arch9wavefront6targetE1EEEvT1_,@function
_ZN7rocprim17ROCPRIM_400000_NS6detail17trampoline_kernelINS0_14default_configENS1_27scan_by_key_config_selectorIj11FixedVectorIiLj2EEEEZZNS1_16scan_by_key_implILNS1_25lookback_scan_determinismE0ELb1ES3_N6thrust23THRUST_200600_302600_NS6detail15normal_iteratorINSB_10device_ptrIjEEEENSD_INSE_IS6_EEEESI_S6_NSB_4plusIvEENSB_8equal_toIvEES6_EE10hipError_tPvRmT2_T3_T4_T5_mT6_T7_P12ihipStream_tbENKUlT_T0_E_clISt17integral_constantIbLb0EES13_EEDaSY_SZ_EUlSY_E_NS1_11comp_targetILNS1_3genE2ELNS1_11target_archE906ELNS1_3gpuE6ELNS1_3repE0EEENS1_30default_config_static_selectorELNS0_4arch9wavefront6targetE1EEEvT1_: ; @_ZN7rocprim17ROCPRIM_400000_NS6detail17trampoline_kernelINS0_14default_configENS1_27scan_by_key_config_selectorIj11FixedVectorIiLj2EEEEZZNS1_16scan_by_key_implILNS1_25lookback_scan_determinismE0ELb1ES3_N6thrust23THRUST_200600_302600_NS6detail15normal_iteratorINSB_10device_ptrIjEEEENSD_INSE_IS6_EEEESI_S6_NSB_4plusIvEENSB_8equal_toIvEES6_EE10hipError_tPvRmT2_T3_T4_T5_mT6_T7_P12ihipStream_tbENKUlT_T0_E_clISt17integral_constantIbLb0EES13_EEDaSY_SZ_EUlSY_E_NS1_11comp_targetILNS1_3genE2ELNS1_11target_archE906ELNS1_3gpuE6ELNS1_3repE0EEENS1_30default_config_static_selectorELNS0_4arch9wavefront6targetE1EEEvT1_
; %bb.0:
	.section	.rodata,"a",@progbits
	.p2align	6, 0x0
	.amdhsa_kernel _ZN7rocprim17ROCPRIM_400000_NS6detail17trampoline_kernelINS0_14default_configENS1_27scan_by_key_config_selectorIj11FixedVectorIiLj2EEEEZZNS1_16scan_by_key_implILNS1_25lookback_scan_determinismE0ELb1ES3_N6thrust23THRUST_200600_302600_NS6detail15normal_iteratorINSB_10device_ptrIjEEEENSD_INSE_IS6_EEEESI_S6_NSB_4plusIvEENSB_8equal_toIvEES6_EE10hipError_tPvRmT2_T3_T4_T5_mT6_T7_P12ihipStream_tbENKUlT_T0_E_clISt17integral_constantIbLb0EES13_EEDaSY_SZ_EUlSY_E_NS1_11comp_targetILNS1_3genE2ELNS1_11target_archE906ELNS1_3gpuE6ELNS1_3repE0EEENS1_30default_config_static_selectorELNS0_4arch9wavefront6targetE1EEEvT1_
		.amdhsa_group_segment_fixed_size 0
		.amdhsa_private_segment_fixed_size 0
		.amdhsa_kernarg_size 120
		.amdhsa_user_sgpr_count 6
		.amdhsa_user_sgpr_private_segment_buffer 1
		.amdhsa_user_sgpr_dispatch_ptr 0
		.amdhsa_user_sgpr_queue_ptr 0
		.amdhsa_user_sgpr_kernarg_segment_ptr 1
		.amdhsa_user_sgpr_dispatch_id 0
		.amdhsa_user_sgpr_flat_scratch_init 0
		.amdhsa_user_sgpr_kernarg_preload_length 0
		.amdhsa_user_sgpr_kernarg_preload_offset 0
		.amdhsa_user_sgpr_private_segment_size 0
		.amdhsa_uses_dynamic_stack 0
		.amdhsa_system_sgpr_private_segment_wavefront_offset 0
		.amdhsa_system_sgpr_workgroup_id_x 1
		.amdhsa_system_sgpr_workgroup_id_y 0
		.amdhsa_system_sgpr_workgroup_id_z 0
		.amdhsa_system_sgpr_workgroup_info 0
		.amdhsa_system_vgpr_workitem_id 0
		.amdhsa_next_free_vgpr 1
		.amdhsa_next_free_sgpr 0
		.amdhsa_accum_offset 4
		.amdhsa_reserve_vcc 0
		.amdhsa_reserve_flat_scratch 0
		.amdhsa_float_round_mode_32 0
		.amdhsa_float_round_mode_16_64 0
		.amdhsa_float_denorm_mode_32 3
		.amdhsa_float_denorm_mode_16_64 3
		.amdhsa_dx10_clamp 1
		.amdhsa_ieee_mode 1
		.amdhsa_fp16_overflow 0
		.amdhsa_tg_split 0
		.amdhsa_exception_fp_ieee_invalid_op 0
		.amdhsa_exception_fp_denorm_src 0
		.amdhsa_exception_fp_ieee_div_zero 0
		.amdhsa_exception_fp_ieee_overflow 0
		.amdhsa_exception_fp_ieee_underflow 0
		.amdhsa_exception_fp_ieee_inexact 0
		.amdhsa_exception_int_div_zero 0
	.end_amdhsa_kernel
	.section	.text._ZN7rocprim17ROCPRIM_400000_NS6detail17trampoline_kernelINS0_14default_configENS1_27scan_by_key_config_selectorIj11FixedVectorIiLj2EEEEZZNS1_16scan_by_key_implILNS1_25lookback_scan_determinismE0ELb1ES3_N6thrust23THRUST_200600_302600_NS6detail15normal_iteratorINSB_10device_ptrIjEEEENSD_INSE_IS6_EEEESI_S6_NSB_4plusIvEENSB_8equal_toIvEES6_EE10hipError_tPvRmT2_T3_T4_T5_mT6_T7_P12ihipStream_tbENKUlT_T0_E_clISt17integral_constantIbLb0EES13_EEDaSY_SZ_EUlSY_E_NS1_11comp_targetILNS1_3genE2ELNS1_11target_archE906ELNS1_3gpuE6ELNS1_3repE0EEENS1_30default_config_static_selectorELNS0_4arch9wavefront6targetE1EEEvT1_,"axG",@progbits,_ZN7rocprim17ROCPRIM_400000_NS6detail17trampoline_kernelINS0_14default_configENS1_27scan_by_key_config_selectorIj11FixedVectorIiLj2EEEEZZNS1_16scan_by_key_implILNS1_25lookback_scan_determinismE0ELb1ES3_N6thrust23THRUST_200600_302600_NS6detail15normal_iteratorINSB_10device_ptrIjEEEENSD_INSE_IS6_EEEESI_S6_NSB_4plusIvEENSB_8equal_toIvEES6_EE10hipError_tPvRmT2_T3_T4_T5_mT6_T7_P12ihipStream_tbENKUlT_T0_E_clISt17integral_constantIbLb0EES13_EEDaSY_SZ_EUlSY_E_NS1_11comp_targetILNS1_3genE2ELNS1_11target_archE906ELNS1_3gpuE6ELNS1_3repE0EEENS1_30default_config_static_selectorELNS0_4arch9wavefront6targetE1EEEvT1_,comdat
.Lfunc_end1998:
	.size	_ZN7rocprim17ROCPRIM_400000_NS6detail17trampoline_kernelINS0_14default_configENS1_27scan_by_key_config_selectorIj11FixedVectorIiLj2EEEEZZNS1_16scan_by_key_implILNS1_25lookback_scan_determinismE0ELb1ES3_N6thrust23THRUST_200600_302600_NS6detail15normal_iteratorINSB_10device_ptrIjEEEENSD_INSE_IS6_EEEESI_S6_NSB_4plusIvEENSB_8equal_toIvEES6_EE10hipError_tPvRmT2_T3_T4_T5_mT6_T7_P12ihipStream_tbENKUlT_T0_E_clISt17integral_constantIbLb0EES13_EEDaSY_SZ_EUlSY_E_NS1_11comp_targetILNS1_3genE2ELNS1_11target_archE906ELNS1_3gpuE6ELNS1_3repE0EEENS1_30default_config_static_selectorELNS0_4arch9wavefront6targetE1EEEvT1_, .Lfunc_end1998-_ZN7rocprim17ROCPRIM_400000_NS6detail17trampoline_kernelINS0_14default_configENS1_27scan_by_key_config_selectorIj11FixedVectorIiLj2EEEEZZNS1_16scan_by_key_implILNS1_25lookback_scan_determinismE0ELb1ES3_N6thrust23THRUST_200600_302600_NS6detail15normal_iteratorINSB_10device_ptrIjEEEENSD_INSE_IS6_EEEESI_S6_NSB_4plusIvEENSB_8equal_toIvEES6_EE10hipError_tPvRmT2_T3_T4_T5_mT6_T7_P12ihipStream_tbENKUlT_T0_E_clISt17integral_constantIbLb0EES13_EEDaSY_SZ_EUlSY_E_NS1_11comp_targetILNS1_3genE2ELNS1_11target_archE906ELNS1_3gpuE6ELNS1_3repE0EEENS1_30default_config_static_selectorELNS0_4arch9wavefront6targetE1EEEvT1_
                                        ; -- End function
	.section	.AMDGPU.csdata,"",@progbits
; Kernel info:
; codeLenInByte = 0
; NumSgprs: 4
; NumVgprs: 0
; NumAgprs: 0
; TotalNumVgprs: 0
; ScratchSize: 0
; MemoryBound: 0
; FloatMode: 240
; IeeeMode: 1
; LDSByteSize: 0 bytes/workgroup (compile time only)
; SGPRBlocks: 0
; VGPRBlocks: 0
; NumSGPRsForWavesPerEU: 4
; NumVGPRsForWavesPerEU: 1
; AccumOffset: 4
; Occupancy: 8
; WaveLimiterHint : 0
; COMPUTE_PGM_RSRC2:SCRATCH_EN: 0
; COMPUTE_PGM_RSRC2:USER_SGPR: 6
; COMPUTE_PGM_RSRC2:TRAP_HANDLER: 0
; COMPUTE_PGM_RSRC2:TGID_X_EN: 1
; COMPUTE_PGM_RSRC2:TGID_Y_EN: 0
; COMPUTE_PGM_RSRC2:TGID_Z_EN: 0
; COMPUTE_PGM_RSRC2:TIDIG_COMP_CNT: 0
; COMPUTE_PGM_RSRC3_GFX90A:ACCUM_OFFSET: 0
; COMPUTE_PGM_RSRC3_GFX90A:TG_SPLIT: 0
	.section	.text._ZN7rocprim17ROCPRIM_400000_NS6detail17trampoline_kernelINS0_14default_configENS1_27scan_by_key_config_selectorIj11FixedVectorIiLj2EEEEZZNS1_16scan_by_key_implILNS1_25lookback_scan_determinismE0ELb1ES3_N6thrust23THRUST_200600_302600_NS6detail15normal_iteratorINSB_10device_ptrIjEEEENSD_INSE_IS6_EEEESI_S6_NSB_4plusIvEENSB_8equal_toIvEES6_EE10hipError_tPvRmT2_T3_T4_T5_mT6_T7_P12ihipStream_tbENKUlT_T0_E_clISt17integral_constantIbLb0EES13_EEDaSY_SZ_EUlSY_E_NS1_11comp_targetILNS1_3genE10ELNS1_11target_archE1200ELNS1_3gpuE4ELNS1_3repE0EEENS1_30default_config_static_selectorELNS0_4arch9wavefront6targetE1EEEvT1_,"axG",@progbits,_ZN7rocprim17ROCPRIM_400000_NS6detail17trampoline_kernelINS0_14default_configENS1_27scan_by_key_config_selectorIj11FixedVectorIiLj2EEEEZZNS1_16scan_by_key_implILNS1_25lookback_scan_determinismE0ELb1ES3_N6thrust23THRUST_200600_302600_NS6detail15normal_iteratorINSB_10device_ptrIjEEEENSD_INSE_IS6_EEEESI_S6_NSB_4plusIvEENSB_8equal_toIvEES6_EE10hipError_tPvRmT2_T3_T4_T5_mT6_T7_P12ihipStream_tbENKUlT_T0_E_clISt17integral_constantIbLb0EES13_EEDaSY_SZ_EUlSY_E_NS1_11comp_targetILNS1_3genE10ELNS1_11target_archE1200ELNS1_3gpuE4ELNS1_3repE0EEENS1_30default_config_static_selectorELNS0_4arch9wavefront6targetE1EEEvT1_,comdat
	.protected	_ZN7rocprim17ROCPRIM_400000_NS6detail17trampoline_kernelINS0_14default_configENS1_27scan_by_key_config_selectorIj11FixedVectorIiLj2EEEEZZNS1_16scan_by_key_implILNS1_25lookback_scan_determinismE0ELb1ES3_N6thrust23THRUST_200600_302600_NS6detail15normal_iteratorINSB_10device_ptrIjEEEENSD_INSE_IS6_EEEESI_S6_NSB_4plusIvEENSB_8equal_toIvEES6_EE10hipError_tPvRmT2_T3_T4_T5_mT6_T7_P12ihipStream_tbENKUlT_T0_E_clISt17integral_constantIbLb0EES13_EEDaSY_SZ_EUlSY_E_NS1_11comp_targetILNS1_3genE10ELNS1_11target_archE1200ELNS1_3gpuE4ELNS1_3repE0EEENS1_30default_config_static_selectorELNS0_4arch9wavefront6targetE1EEEvT1_ ; -- Begin function _ZN7rocprim17ROCPRIM_400000_NS6detail17trampoline_kernelINS0_14default_configENS1_27scan_by_key_config_selectorIj11FixedVectorIiLj2EEEEZZNS1_16scan_by_key_implILNS1_25lookback_scan_determinismE0ELb1ES3_N6thrust23THRUST_200600_302600_NS6detail15normal_iteratorINSB_10device_ptrIjEEEENSD_INSE_IS6_EEEESI_S6_NSB_4plusIvEENSB_8equal_toIvEES6_EE10hipError_tPvRmT2_T3_T4_T5_mT6_T7_P12ihipStream_tbENKUlT_T0_E_clISt17integral_constantIbLb0EES13_EEDaSY_SZ_EUlSY_E_NS1_11comp_targetILNS1_3genE10ELNS1_11target_archE1200ELNS1_3gpuE4ELNS1_3repE0EEENS1_30default_config_static_selectorELNS0_4arch9wavefront6targetE1EEEvT1_
	.globl	_ZN7rocprim17ROCPRIM_400000_NS6detail17trampoline_kernelINS0_14default_configENS1_27scan_by_key_config_selectorIj11FixedVectorIiLj2EEEEZZNS1_16scan_by_key_implILNS1_25lookback_scan_determinismE0ELb1ES3_N6thrust23THRUST_200600_302600_NS6detail15normal_iteratorINSB_10device_ptrIjEEEENSD_INSE_IS6_EEEESI_S6_NSB_4plusIvEENSB_8equal_toIvEES6_EE10hipError_tPvRmT2_T3_T4_T5_mT6_T7_P12ihipStream_tbENKUlT_T0_E_clISt17integral_constantIbLb0EES13_EEDaSY_SZ_EUlSY_E_NS1_11comp_targetILNS1_3genE10ELNS1_11target_archE1200ELNS1_3gpuE4ELNS1_3repE0EEENS1_30default_config_static_selectorELNS0_4arch9wavefront6targetE1EEEvT1_
	.p2align	8
	.type	_ZN7rocprim17ROCPRIM_400000_NS6detail17trampoline_kernelINS0_14default_configENS1_27scan_by_key_config_selectorIj11FixedVectorIiLj2EEEEZZNS1_16scan_by_key_implILNS1_25lookback_scan_determinismE0ELb1ES3_N6thrust23THRUST_200600_302600_NS6detail15normal_iteratorINSB_10device_ptrIjEEEENSD_INSE_IS6_EEEESI_S6_NSB_4plusIvEENSB_8equal_toIvEES6_EE10hipError_tPvRmT2_T3_T4_T5_mT6_T7_P12ihipStream_tbENKUlT_T0_E_clISt17integral_constantIbLb0EES13_EEDaSY_SZ_EUlSY_E_NS1_11comp_targetILNS1_3genE10ELNS1_11target_archE1200ELNS1_3gpuE4ELNS1_3repE0EEENS1_30default_config_static_selectorELNS0_4arch9wavefront6targetE1EEEvT1_,@function
_ZN7rocprim17ROCPRIM_400000_NS6detail17trampoline_kernelINS0_14default_configENS1_27scan_by_key_config_selectorIj11FixedVectorIiLj2EEEEZZNS1_16scan_by_key_implILNS1_25lookback_scan_determinismE0ELb1ES3_N6thrust23THRUST_200600_302600_NS6detail15normal_iteratorINSB_10device_ptrIjEEEENSD_INSE_IS6_EEEESI_S6_NSB_4plusIvEENSB_8equal_toIvEES6_EE10hipError_tPvRmT2_T3_T4_T5_mT6_T7_P12ihipStream_tbENKUlT_T0_E_clISt17integral_constantIbLb0EES13_EEDaSY_SZ_EUlSY_E_NS1_11comp_targetILNS1_3genE10ELNS1_11target_archE1200ELNS1_3gpuE4ELNS1_3repE0EEENS1_30default_config_static_selectorELNS0_4arch9wavefront6targetE1EEEvT1_: ; @_ZN7rocprim17ROCPRIM_400000_NS6detail17trampoline_kernelINS0_14default_configENS1_27scan_by_key_config_selectorIj11FixedVectorIiLj2EEEEZZNS1_16scan_by_key_implILNS1_25lookback_scan_determinismE0ELb1ES3_N6thrust23THRUST_200600_302600_NS6detail15normal_iteratorINSB_10device_ptrIjEEEENSD_INSE_IS6_EEEESI_S6_NSB_4plusIvEENSB_8equal_toIvEES6_EE10hipError_tPvRmT2_T3_T4_T5_mT6_T7_P12ihipStream_tbENKUlT_T0_E_clISt17integral_constantIbLb0EES13_EEDaSY_SZ_EUlSY_E_NS1_11comp_targetILNS1_3genE10ELNS1_11target_archE1200ELNS1_3gpuE4ELNS1_3repE0EEENS1_30default_config_static_selectorELNS0_4arch9wavefront6targetE1EEEvT1_
; %bb.0:
	.section	.rodata,"a",@progbits
	.p2align	6, 0x0
	.amdhsa_kernel _ZN7rocprim17ROCPRIM_400000_NS6detail17trampoline_kernelINS0_14default_configENS1_27scan_by_key_config_selectorIj11FixedVectorIiLj2EEEEZZNS1_16scan_by_key_implILNS1_25lookback_scan_determinismE0ELb1ES3_N6thrust23THRUST_200600_302600_NS6detail15normal_iteratorINSB_10device_ptrIjEEEENSD_INSE_IS6_EEEESI_S6_NSB_4plusIvEENSB_8equal_toIvEES6_EE10hipError_tPvRmT2_T3_T4_T5_mT6_T7_P12ihipStream_tbENKUlT_T0_E_clISt17integral_constantIbLb0EES13_EEDaSY_SZ_EUlSY_E_NS1_11comp_targetILNS1_3genE10ELNS1_11target_archE1200ELNS1_3gpuE4ELNS1_3repE0EEENS1_30default_config_static_selectorELNS0_4arch9wavefront6targetE1EEEvT1_
		.amdhsa_group_segment_fixed_size 0
		.amdhsa_private_segment_fixed_size 0
		.amdhsa_kernarg_size 120
		.amdhsa_user_sgpr_count 6
		.amdhsa_user_sgpr_private_segment_buffer 1
		.amdhsa_user_sgpr_dispatch_ptr 0
		.amdhsa_user_sgpr_queue_ptr 0
		.amdhsa_user_sgpr_kernarg_segment_ptr 1
		.amdhsa_user_sgpr_dispatch_id 0
		.amdhsa_user_sgpr_flat_scratch_init 0
		.amdhsa_user_sgpr_kernarg_preload_length 0
		.amdhsa_user_sgpr_kernarg_preload_offset 0
		.amdhsa_user_sgpr_private_segment_size 0
		.amdhsa_uses_dynamic_stack 0
		.amdhsa_system_sgpr_private_segment_wavefront_offset 0
		.amdhsa_system_sgpr_workgroup_id_x 1
		.amdhsa_system_sgpr_workgroup_id_y 0
		.amdhsa_system_sgpr_workgroup_id_z 0
		.amdhsa_system_sgpr_workgroup_info 0
		.amdhsa_system_vgpr_workitem_id 0
		.amdhsa_next_free_vgpr 1
		.amdhsa_next_free_sgpr 0
		.amdhsa_accum_offset 4
		.amdhsa_reserve_vcc 0
		.amdhsa_reserve_flat_scratch 0
		.amdhsa_float_round_mode_32 0
		.amdhsa_float_round_mode_16_64 0
		.amdhsa_float_denorm_mode_32 3
		.amdhsa_float_denorm_mode_16_64 3
		.amdhsa_dx10_clamp 1
		.amdhsa_ieee_mode 1
		.amdhsa_fp16_overflow 0
		.amdhsa_tg_split 0
		.amdhsa_exception_fp_ieee_invalid_op 0
		.amdhsa_exception_fp_denorm_src 0
		.amdhsa_exception_fp_ieee_div_zero 0
		.amdhsa_exception_fp_ieee_overflow 0
		.amdhsa_exception_fp_ieee_underflow 0
		.amdhsa_exception_fp_ieee_inexact 0
		.amdhsa_exception_int_div_zero 0
	.end_amdhsa_kernel
	.section	.text._ZN7rocprim17ROCPRIM_400000_NS6detail17trampoline_kernelINS0_14default_configENS1_27scan_by_key_config_selectorIj11FixedVectorIiLj2EEEEZZNS1_16scan_by_key_implILNS1_25lookback_scan_determinismE0ELb1ES3_N6thrust23THRUST_200600_302600_NS6detail15normal_iteratorINSB_10device_ptrIjEEEENSD_INSE_IS6_EEEESI_S6_NSB_4plusIvEENSB_8equal_toIvEES6_EE10hipError_tPvRmT2_T3_T4_T5_mT6_T7_P12ihipStream_tbENKUlT_T0_E_clISt17integral_constantIbLb0EES13_EEDaSY_SZ_EUlSY_E_NS1_11comp_targetILNS1_3genE10ELNS1_11target_archE1200ELNS1_3gpuE4ELNS1_3repE0EEENS1_30default_config_static_selectorELNS0_4arch9wavefront6targetE1EEEvT1_,"axG",@progbits,_ZN7rocprim17ROCPRIM_400000_NS6detail17trampoline_kernelINS0_14default_configENS1_27scan_by_key_config_selectorIj11FixedVectorIiLj2EEEEZZNS1_16scan_by_key_implILNS1_25lookback_scan_determinismE0ELb1ES3_N6thrust23THRUST_200600_302600_NS6detail15normal_iteratorINSB_10device_ptrIjEEEENSD_INSE_IS6_EEEESI_S6_NSB_4plusIvEENSB_8equal_toIvEES6_EE10hipError_tPvRmT2_T3_T4_T5_mT6_T7_P12ihipStream_tbENKUlT_T0_E_clISt17integral_constantIbLb0EES13_EEDaSY_SZ_EUlSY_E_NS1_11comp_targetILNS1_3genE10ELNS1_11target_archE1200ELNS1_3gpuE4ELNS1_3repE0EEENS1_30default_config_static_selectorELNS0_4arch9wavefront6targetE1EEEvT1_,comdat
.Lfunc_end1999:
	.size	_ZN7rocprim17ROCPRIM_400000_NS6detail17trampoline_kernelINS0_14default_configENS1_27scan_by_key_config_selectorIj11FixedVectorIiLj2EEEEZZNS1_16scan_by_key_implILNS1_25lookback_scan_determinismE0ELb1ES3_N6thrust23THRUST_200600_302600_NS6detail15normal_iteratorINSB_10device_ptrIjEEEENSD_INSE_IS6_EEEESI_S6_NSB_4plusIvEENSB_8equal_toIvEES6_EE10hipError_tPvRmT2_T3_T4_T5_mT6_T7_P12ihipStream_tbENKUlT_T0_E_clISt17integral_constantIbLb0EES13_EEDaSY_SZ_EUlSY_E_NS1_11comp_targetILNS1_3genE10ELNS1_11target_archE1200ELNS1_3gpuE4ELNS1_3repE0EEENS1_30default_config_static_selectorELNS0_4arch9wavefront6targetE1EEEvT1_, .Lfunc_end1999-_ZN7rocprim17ROCPRIM_400000_NS6detail17trampoline_kernelINS0_14default_configENS1_27scan_by_key_config_selectorIj11FixedVectorIiLj2EEEEZZNS1_16scan_by_key_implILNS1_25lookback_scan_determinismE0ELb1ES3_N6thrust23THRUST_200600_302600_NS6detail15normal_iteratorINSB_10device_ptrIjEEEENSD_INSE_IS6_EEEESI_S6_NSB_4plusIvEENSB_8equal_toIvEES6_EE10hipError_tPvRmT2_T3_T4_T5_mT6_T7_P12ihipStream_tbENKUlT_T0_E_clISt17integral_constantIbLb0EES13_EEDaSY_SZ_EUlSY_E_NS1_11comp_targetILNS1_3genE10ELNS1_11target_archE1200ELNS1_3gpuE4ELNS1_3repE0EEENS1_30default_config_static_selectorELNS0_4arch9wavefront6targetE1EEEvT1_
                                        ; -- End function
	.section	.AMDGPU.csdata,"",@progbits
; Kernel info:
; codeLenInByte = 0
; NumSgprs: 4
; NumVgprs: 0
; NumAgprs: 0
; TotalNumVgprs: 0
; ScratchSize: 0
; MemoryBound: 0
; FloatMode: 240
; IeeeMode: 1
; LDSByteSize: 0 bytes/workgroup (compile time only)
; SGPRBlocks: 0
; VGPRBlocks: 0
; NumSGPRsForWavesPerEU: 4
; NumVGPRsForWavesPerEU: 1
; AccumOffset: 4
; Occupancy: 8
; WaveLimiterHint : 0
; COMPUTE_PGM_RSRC2:SCRATCH_EN: 0
; COMPUTE_PGM_RSRC2:USER_SGPR: 6
; COMPUTE_PGM_RSRC2:TRAP_HANDLER: 0
; COMPUTE_PGM_RSRC2:TGID_X_EN: 1
; COMPUTE_PGM_RSRC2:TGID_Y_EN: 0
; COMPUTE_PGM_RSRC2:TGID_Z_EN: 0
; COMPUTE_PGM_RSRC2:TIDIG_COMP_CNT: 0
; COMPUTE_PGM_RSRC3_GFX90A:ACCUM_OFFSET: 0
; COMPUTE_PGM_RSRC3_GFX90A:TG_SPLIT: 0
	.section	.text._ZN7rocprim17ROCPRIM_400000_NS6detail17trampoline_kernelINS0_14default_configENS1_27scan_by_key_config_selectorIj11FixedVectorIiLj2EEEEZZNS1_16scan_by_key_implILNS1_25lookback_scan_determinismE0ELb1ES3_N6thrust23THRUST_200600_302600_NS6detail15normal_iteratorINSB_10device_ptrIjEEEENSD_INSE_IS6_EEEESI_S6_NSB_4plusIvEENSB_8equal_toIvEES6_EE10hipError_tPvRmT2_T3_T4_T5_mT6_T7_P12ihipStream_tbENKUlT_T0_E_clISt17integral_constantIbLb0EES13_EEDaSY_SZ_EUlSY_E_NS1_11comp_targetILNS1_3genE9ELNS1_11target_archE1100ELNS1_3gpuE3ELNS1_3repE0EEENS1_30default_config_static_selectorELNS0_4arch9wavefront6targetE1EEEvT1_,"axG",@progbits,_ZN7rocprim17ROCPRIM_400000_NS6detail17trampoline_kernelINS0_14default_configENS1_27scan_by_key_config_selectorIj11FixedVectorIiLj2EEEEZZNS1_16scan_by_key_implILNS1_25lookback_scan_determinismE0ELb1ES3_N6thrust23THRUST_200600_302600_NS6detail15normal_iteratorINSB_10device_ptrIjEEEENSD_INSE_IS6_EEEESI_S6_NSB_4plusIvEENSB_8equal_toIvEES6_EE10hipError_tPvRmT2_T3_T4_T5_mT6_T7_P12ihipStream_tbENKUlT_T0_E_clISt17integral_constantIbLb0EES13_EEDaSY_SZ_EUlSY_E_NS1_11comp_targetILNS1_3genE9ELNS1_11target_archE1100ELNS1_3gpuE3ELNS1_3repE0EEENS1_30default_config_static_selectorELNS0_4arch9wavefront6targetE1EEEvT1_,comdat
	.protected	_ZN7rocprim17ROCPRIM_400000_NS6detail17trampoline_kernelINS0_14default_configENS1_27scan_by_key_config_selectorIj11FixedVectorIiLj2EEEEZZNS1_16scan_by_key_implILNS1_25lookback_scan_determinismE0ELb1ES3_N6thrust23THRUST_200600_302600_NS6detail15normal_iteratorINSB_10device_ptrIjEEEENSD_INSE_IS6_EEEESI_S6_NSB_4plusIvEENSB_8equal_toIvEES6_EE10hipError_tPvRmT2_T3_T4_T5_mT6_T7_P12ihipStream_tbENKUlT_T0_E_clISt17integral_constantIbLb0EES13_EEDaSY_SZ_EUlSY_E_NS1_11comp_targetILNS1_3genE9ELNS1_11target_archE1100ELNS1_3gpuE3ELNS1_3repE0EEENS1_30default_config_static_selectorELNS0_4arch9wavefront6targetE1EEEvT1_ ; -- Begin function _ZN7rocprim17ROCPRIM_400000_NS6detail17trampoline_kernelINS0_14default_configENS1_27scan_by_key_config_selectorIj11FixedVectorIiLj2EEEEZZNS1_16scan_by_key_implILNS1_25lookback_scan_determinismE0ELb1ES3_N6thrust23THRUST_200600_302600_NS6detail15normal_iteratorINSB_10device_ptrIjEEEENSD_INSE_IS6_EEEESI_S6_NSB_4plusIvEENSB_8equal_toIvEES6_EE10hipError_tPvRmT2_T3_T4_T5_mT6_T7_P12ihipStream_tbENKUlT_T0_E_clISt17integral_constantIbLb0EES13_EEDaSY_SZ_EUlSY_E_NS1_11comp_targetILNS1_3genE9ELNS1_11target_archE1100ELNS1_3gpuE3ELNS1_3repE0EEENS1_30default_config_static_selectorELNS0_4arch9wavefront6targetE1EEEvT1_
	.globl	_ZN7rocprim17ROCPRIM_400000_NS6detail17trampoline_kernelINS0_14default_configENS1_27scan_by_key_config_selectorIj11FixedVectorIiLj2EEEEZZNS1_16scan_by_key_implILNS1_25lookback_scan_determinismE0ELb1ES3_N6thrust23THRUST_200600_302600_NS6detail15normal_iteratorINSB_10device_ptrIjEEEENSD_INSE_IS6_EEEESI_S6_NSB_4plusIvEENSB_8equal_toIvEES6_EE10hipError_tPvRmT2_T3_T4_T5_mT6_T7_P12ihipStream_tbENKUlT_T0_E_clISt17integral_constantIbLb0EES13_EEDaSY_SZ_EUlSY_E_NS1_11comp_targetILNS1_3genE9ELNS1_11target_archE1100ELNS1_3gpuE3ELNS1_3repE0EEENS1_30default_config_static_selectorELNS0_4arch9wavefront6targetE1EEEvT1_
	.p2align	8
	.type	_ZN7rocprim17ROCPRIM_400000_NS6detail17trampoline_kernelINS0_14default_configENS1_27scan_by_key_config_selectorIj11FixedVectorIiLj2EEEEZZNS1_16scan_by_key_implILNS1_25lookback_scan_determinismE0ELb1ES3_N6thrust23THRUST_200600_302600_NS6detail15normal_iteratorINSB_10device_ptrIjEEEENSD_INSE_IS6_EEEESI_S6_NSB_4plusIvEENSB_8equal_toIvEES6_EE10hipError_tPvRmT2_T3_T4_T5_mT6_T7_P12ihipStream_tbENKUlT_T0_E_clISt17integral_constantIbLb0EES13_EEDaSY_SZ_EUlSY_E_NS1_11comp_targetILNS1_3genE9ELNS1_11target_archE1100ELNS1_3gpuE3ELNS1_3repE0EEENS1_30default_config_static_selectorELNS0_4arch9wavefront6targetE1EEEvT1_,@function
_ZN7rocprim17ROCPRIM_400000_NS6detail17trampoline_kernelINS0_14default_configENS1_27scan_by_key_config_selectorIj11FixedVectorIiLj2EEEEZZNS1_16scan_by_key_implILNS1_25lookback_scan_determinismE0ELb1ES3_N6thrust23THRUST_200600_302600_NS6detail15normal_iteratorINSB_10device_ptrIjEEEENSD_INSE_IS6_EEEESI_S6_NSB_4plusIvEENSB_8equal_toIvEES6_EE10hipError_tPvRmT2_T3_T4_T5_mT6_T7_P12ihipStream_tbENKUlT_T0_E_clISt17integral_constantIbLb0EES13_EEDaSY_SZ_EUlSY_E_NS1_11comp_targetILNS1_3genE9ELNS1_11target_archE1100ELNS1_3gpuE3ELNS1_3repE0EEENS1_30default_config_static_selectorELNS0_4arch9wavefront6targetE1EEEvT1_: ; @_ZN7rocprim17ROCPRIM_400000_NS6detail17trampoline_kernelINS0_14default_configENS1_27scan_by_key_config_selectorIj11FixedVectorIiLj2EEEEZZNS1_16scan_by_key_implILNS1_25lookback_scan_determinismE0ELb1ES3_N6thrust23THRUST_200600_302600_NS6detail15normal_iteratorINSB_10device_ptrIjEEEENSD_INSE_IS6_EEEESI_S6_NSB_4plusIvEENSB_8equal_toIvEES6_EE10hipError_tPvRmT2_T3_T4_T5_mT6_T7_P12ihipStream_tbENKUlT_T0_E_clISt17integral_constantIbLb0EES13_EEDaSY_SZ_EUlSY_E_NS1_11comp_targetILNS1_3genE9ELNS1_11target_archE1100ELNS1_3gpuE3ELNS1_3repE0EEENS1_30default_config_static_selectorELNS0_4arch9wavefront6targetE1EEEvT1_
; %bb.0:
	.section	.rodata,"a",@progbits
	.p2align	6, 0x0
	.amdhsa_kernel _ZN7rocprim17ROCPRIM_400000_NS6detail17trampoline_kernelINS0_14default_configENS1_27scan_by_key_config_selectorIj11FixedVectorIiLj2EEEEZZNS1_16scan_by_key_implILNS1_25lookback_scan_determinismE0ELb1ES3_N6thrust23THRUST_200600_302600_NS6detail15normal_iteratorINSB_10device_ptrIjEEEENSD_INSE_IS6_EEEESI_S6_NSB_4plusIvEENSB_8equal_toIvEES6_EE10hipError_tPvRmT2_T3_T4_T5_mT6_T7_P12ihipStream_tbENKUlT_T0_E_clISt17integral_constantIbLb0EES13_EEDaSY_SZ_EUlSY_E_NS1_11comp_targetILNS1_3genE9ELNS1_11target_archE1100ELNS1_3gpuE3ELNS1_3repE0EEENS1_30default_config_static_selectorELNS0_4arch9wavefront6targetE1EEEvT1_
		.amdhsa_group_segment_fixed_size 0
		.amdhsa_private_segment_fixed_size 0
		.amdhsa_kernarg_size 120
		.amdhsa_user_sgpr_count 6
		.amdhsa_user_sgpr_private_segment_buffer 1
		.amdhsa_user_sgpr_dispatch_ptr 0
		.amdhsa_user_sgpr_queue_ptr 0
		.amdhsa_user_sgpr_kernarg_segment_ptr 1
		.amdhsa_user_sgpr_dispatch_id 0
		.amdhsa_user_sgpr_flat_scratch_init 0
		.amdhsa_user_sgpr_kernarg_preload_length 0
		.amdhsa_user_sgpr_kernarg_preload_offset 0
		.amdhsa_user_sgpr_private_segment_size 0
		.amdhsa_uses_dynamic_stack 0
		.amdhsa_system_sgpr_private_segment_wavefront_offset 0
		.amdhsa_system_sgpr_workgroup_id_x 1
		.amdhsa_system_sgpr_workgroup_id_y 0
		.amdhsa_system_sgpr_workgroup_id_z 0
		.amdhsa_system_sgpr_workgroup_info 0
		.amdhsa_system_vgpr_workitem_id 0
		.amdhsa_next_free_vgpr 1
		.amdhsa_next_free_sgpr 0
		.amdhsa_accum_offset 4
		.amdhsa_reserve_vcc 0
		.amdhsa_reserve_flat_scratch 0
		.amdhsa_float_round_mode_32 0
		.amdhsa_float_round_mode_16_64 0
		.amdhsa_float_denorm_mode_32 3
		.amdhsa_float_denorm_mode_16_64 3
		.amdhsa_dx10_clamp 1
		.amdhsa_ieee_mode 1
		.amdhsa_fp16_overflow 0
		.amdhsa_tg_split 0
		.amdhsa_exception_fp_ieee_invalid_op 0
		.amdhsa_exception_fp_denorm_src 0
		.amdhsa_exception_fp_ieee_div_zero 0
		.amdhsa_exception_fp_ieee_overflow 0
		.amdhsa_exception_fp_ieee_underflow 0
		.amdhsa_exception_fp_ieee_inexact 0
		.amdhsa_exception_int_div_zero 0
	.end_amdhsa_kernel
	.section	.text._ZN7rocprim17ROCPRIM_400000_NS6detail17trampoline_kernelINS0_14default_configENS1_27scan_by_key_config_selectorIj11FixedVectorIiLj2EEEEZZNS1_16scan_by_key_implILNS1_25lookback_scan_determinismE0ELb1ES3_N6thrust23THRUST_200600_302600_NS6detail15normal_iteratorINSB_10device_ptrIjEEEENSD_INSE_IS6_EEEESI_S6_NSB_4plusIvEENSB_8equal_toIvEES6_EE10hipError_tPvRmT2_T3_T4_T5_mT6_T7_P12ihipStream_tbENKUlT_T0_E_clISt17integral_constantIbLb0EES13_EEDaSY_SZ_EUlSY_E_NS1_11comp_targetILNS1_3genE9ELNS1_11target_archE1100ELNS1_3gpuE3ELNS1_3repE0EEENS1_30default_config_static_selectorELNS0_4arch9wavefront6targetE1EEEvT1_,"axG",@progbits,_ZN7rocprim17ROCPRIM_400000_NS6detail17trampoline_kernelINS0_14default_configENS1_27scan_by_key_config_selectorIj11FixedVectorIiLj2EEEEZZNS1_16scan_by_key_implILNS1_25lookback_scan_determinismE0ELb1ES3_N6thrust23THRUST_200600_302600_NS6detail15normal_iteratorINSB_10device_ptrIjEEEENSD_INSE_IS6_EEEESI_S6_NSB_4plusIvEENSB_8equal_toIvEES6_EE10hipError_tPvRmT2_T3_T4_T5_mT6_T7_P12ihipStream_tbENKUlT_T0_E_clISt17integral_constantIbLb0EES13_EEDaSY_SZ_EUlSY_E_NS1_11comp_targetILNS1_3genE9ELNS1_11target_archE1100ELNS1_3gpuE3ELNS1_3repE0EEENS1_30default_config_static_selectorELNS0_4arch9wavefront6targetE1EEEvT1_,comdat
.Lfunc_end2000:
	.size	_ZN7rocprim17ROCPRIM_400000_NS6detail17trampoline_kernelINS0_14default_configENS1_27scan_by_key_config_selectorIj11FixedVectorIiLj2EEEEZZNS1_16scan_by_key_implILNS1_25lookback_scan_determinismE0ELb1ES3_N6thrust23THRUST_200600_302600_NS6detail15normal_iteratorINSB_10device_ptrIjEEEENSD_INSE_IS6_EEEESI_S6_NSB_4plusIvEENSB_8equal_toIvEES6_EE10hipError_tPvRmT2_T3_T4_T5_mT6_T7_P12ihipStream_tbENKUlT_T0_E_clISt17integral_constantIbLb0EES13_EEDaSY_SZ_EUlSY_E_NS1_11comp_targetILNS1_3genE9ELNS1_11target_archE1100ELNS1_3gpuE3ELNS1_3repE0EEENS1_30default_config_static_selectorELNS0_4arch9wavefront6targetE1EEEvT1_, .Lfunc_end2000-_ZN7rocprim17ROCPRIM_400000_NS6detail17trampoline_kernelINS0_14default_configENS1_27scan_by_key_config_selectorIj11FixedVectorIiLj2EEEEZZNS1_16scan_by_key_implILNS1_25lookback_scan_determinismE0ELb1ES3_N6thrust23THRUST_200600_302600_NS6detail15normal_iteratorINSB_10device_ptrIjEEEENSD_INSE_IS6_EEEESI_S6_NSB_4plusIvEENSB_8equal_toIvEES6_EE10hipError_tPvRmT2_T3_T4_T5_mT6_T7_P12ihipStream_tbENKUlT_T0_E_clISt17integral_constantIbLb0EES13_EEDaSY_SZ_EUlSY_E_NS1_11comp_targetILNS1_3genE9ELNS1_11target_archE1100ELNS1_3gpuE3ELNS1_3repE0EEENS1_30default_config_static_selectorELNS0_4arch9wavefront6targetE1EEEvT1_
                                        ; -- End function
	.section	.AMDGPU.csdata,"",@progbits
; Kernel info:
; codeLenInByte = 0
; NumSgprs: 4
; NumVgprs: 0
; NumAgprs: 0
; TotalNumVgprs: 0
; ScratchSize: 0
; MemoryBound: 0
; FloatMode: 240
; IeeeMode: 1
; LDSByteSize: 0 bytes/workgroup (compile time only)
; SGPRBlocks: 0
; VGPRBlocks: 0
; NumSGPRsForWavesPerEU: 4
; NumVGPRsForWavesPerEU: 1
; AccumOffset: 4
; Occupancy: 8
; WaveLimiterHint : 0
; COMPUTE_PGM_RSRC2:SCRATCH_EN: 0
; COMPUTE_PGM_RSRC2:USER_SGPR: 6
; COMPUTE_PGM_RSRC2:TRAP_HANDLER: 0
; COMPUTE_PGM_RSRC2:TGID_X_EN: 1
; COMPUTE_PGM_RSRC2:TGID_Y_EN: 0
; COMPUTE_PGM_RSRC2:TGID_Z_EN: 0
; COMPUTE_PGM_RSRC2:TIDIG_COMP_CNT: 0
; COMPUTE_PGM_RSRC3_GFX90A:ACCUM_OFFSET: 0
; COMPUTE_PGM_RSRC3_GFX90A:TG_SPLIT: 0
	.section	.text._ZN7rocprim17ROCPRIM_400000_NS6detail17trampoline_kernelINS0_14default_configENS1_27scan_by_key_config_selectorIj11FixedVectorIiLj2EEEEZZNS1_16scan_by_key_implILNS1_25lookback_scan_determinismE0ELb1ES3_N6thrust23THRUST_200600_302600_NS6detail15normal_iteratorINSB_10device_ptrIjEEEENSD_INSE_IS6_EEEESI_S6_NSB_4plusIvEENSB_8equal_toIvEES6_EE10hipError_tPvRmT2_T3_T4_T5_mT6_T7_P12ihipStream_tbENKUlT_T0_E_clISt17integral_constantIbLb0EES13_EEDaSY_SZ_EUlSY_E_NS1_11comp_targetILNS1_3genE8ELNS1_11target_archE1030ELNS1_3gpuE2ELNS1_3repE0EEENS1_30default_config_static_selectorELNS0_4arch9wavefront6targetE1EEEvT1_,"axG",@progbits,_ZN7rocprim17ROCPRIM_400000_NS6detail17trampoline_kernelINS0_14default_configENS1_27scan_by_key_config_selectorIj11FixedVectorIiLj2EEEEZZNS1_16scan_by_key_implILNS1_25lookback_scan_determinismE0ELb1ES3_N6thrust23THRUST_200600_302600_NS6detail15normal_iteratorINSB_10device_ptrIjEEEENSD_INSE_IS6_EEEESI_S6_NSB_4plusIvEENSB_8equal_toIvEES6_EE10hipError_tPvRmT2_T3_T4_T5_mT6_T7_P12ihipStream_tbENKUlT_T0_E_clISt17integral_constantIbLb0EES13_EEDaSY_SZ_EUlSY_E_NS1_11comp_targetILNS1_3genE8ELNS1_11target_archE1030ELNS1_3gpuE2ELNS1_3repE0EEENS1_30default_config_static_selectorELNS0_4arch9wavefront6targetE1EEEvT1_,comdat
	.protected	_ZN7rocprim17ROCPRIM_400000_NS6detail17trampoline_kernelINS0_14default_configENS1_27scan_by_key_config_selectorIj11FixedVectorIiLj2EEEEZZNS1_16scan_by_key_implILNS1_25lookback_scan_determinismE0ELb1ES3_N6thrust23THRUST_200600_302600_NS6detail15normal_iteratorINSB_10device_ptrIjEEEENSD_INSE_IS6_EEEESI_S6_NSB_4plusIvEENSB_8equal_toIvEES6_EE10hipError_tPvRmT2_T3_T4_T5_mT6_T7_P12ihipStream_tbENKUlT_T0_E_clISt17integral_constantIbLb0EES13_EEDaSY_SZ_EUlSY_E_NS1_11comp_targetILNS1_3genE8ELNS1_11target_archE1030ELNS1_3gpuE2ELNS1_3repE0EEENS1_30default_config_static_selectorELNS0_4arch9wavefront6targetE1EEEvT1_ ; -- Begin function _ZN7rocprim17ROCPRIM_400000_NS6detail17trampoline_kernelINS0_14default_configENS1_27scan_by_key_config_selectorIj11FixedVectorIiLj2EEEEZZNS1_16scan_by_key_implILNS1_25lookback_scan_determinismE0ELb1ES3_N6thrust23THRUST_200600_302600_NS6detail15normal_iteratorINSB_10device_ptrIjEEEENSD_INSE_IS6_EEEESI_S6_NSB_4plusIvEENSB_8equal_toIvEES6_EE10hipError_tPvRmT2_T3_T4_T5_mT6_T7_P12ihipStream_tbENKUlT_T0_E_clISt17integral_constantIbLb0EES13_EEDaSY_SZ_EUlSY_E_NS1_11comp_targetILNS1_3genE8ELNS1_11target_archE1030ELNS1_3gpuE2ELNS1_3repE0EEENS1_30default_config_static_selectorELNS0_4arch9wavefront6targetE1EEEvT1_
	.globl	_ZN7rocprim17ROCPRIM_400000_NS6detail17trampoline_kernelINS0_14default_configENS1_27scan_by_key_config_selectorIj11FixedVectorIiLj2EEEEZZNS1_16scan_by_key_implILNS1_25lookback_scan_determinismE0ELb1ES3_N6thrust23THRUST_200600_302600_NS6detail15normal_iteratorINSB_10device_ptrIjEEEENSD_INSE_IS6_EEEESI_S6_NSB_4plusIvEENSB_8equal_toIvEES6_EE10hipError_tPvRmT2_T3_T4_T5_mT6_T7_P12ihipStream_tbENKUlT_T0_E_clISt17integral_constantIbLb0EES13_EEDaSY_SZ_EUlSY_E_NS1_11comp_targetILNS1_3genE8ELNS1_11target_archE1030ELNS1_3gpuE2ELNS1_3repE0EEENS1_30default_config_static_selectorELNS0_4arch9wavefront6targetE1EEEvT1_
	.p2align	8
	.type	_ZN7rocprim17ROCPRIM_400000_NS6detail17trampoline_kernelINS0_14default_configENS1_27scan_by_key_config_selectorIj11FixedVectorIiLj2EEEEZZNS1_16scan_by_key_implILNS1_25lookback_scan_determinismE0ELb1ES3_N6thrust23THRUST_200600_302600_NS6detail15normal_iteratorINSB_10device_ptrIjEEEENSD_INSE_IS6_EEEESI_S6_NSB_4plusIvEENSB_8equal_toIvEES6_EE10hipError_tPvRmT2_T3_T4_T5_mT6_T7_P12ihipStream_tbENKUlT_T0_E_clISt17integral_constantIbLb0EES13_EEDaSY_SZ_EUlSY_E_NS1_11comp_targetILNS1_3genE8ELNS1_11target_archE1030ELNS1_3gpuE2ELNS1_3repE0EEENS1_30default_config_static_selectorELNS0_4arch9wavefront6targetE1EEEvT1_,@function
_ZN7rocprim17ROCPRIM_400000_NS6detail17trampoline_kernelINS0_14default_configENS1_27scan_by_key_config_selectorIj11FixedVectorIiLj2EEEEZZNS1_16scan_by_key_implILNS1_25lookback_scan_determinismE0ELb1ES3_N6thrust23THRUST_200600_302600_NS6detail15normal_iteratorINSB_10device_ptrIjEEEENSD_INSE_IS6_EEEESI_S6_NSB_4plusIvEENSB_8equal_toIvEES6_EE10hipError_tPvRmT2_T3_T4_T5_mT6_T7_P12ihipStream_tbENKUlT_T0_E_clISt17integral_constantIbLb0EES13_EEDaSY_SZ_EUlSY_E_NS1_11comp_targetILNS1_3genE8ELNS1_11target_archE1030ELNS1_3gpuE2ELNS1_3repE0EEENS1_30default_config_static_selectorELNS0_4arch9wavefront6targetE1EEEvT1_: ; @_ZN7rocprim17ROCPRIM_400000_NS6detail17trampoline_kernelINS0_14default_configENS1_27scan_by_key_config_selectorIj11FixedVectorIiLj2EEEEZZNS1_16scan_by_key_implILNS1_25lookback_scan_determinismE0ELb1ES3_N6thrust23THRUST_200600_302600_NS6detail15normal_iteratorINSB_10device_ptrIjEEEENSD_INSE_IS6_EEEESI_S6_NSB_4plusIvEENSB_8equal_toIvEES6_EE10hipError_tPvRmT2_T3_T4_T5_mT6_T7_P12ihipStream_tbENKUlT_T0_E_clISt17integral_constantIbLb0EES13_EEDaSY_SZ_EUlSY_E_NS1_11comp_targetILNS1_3genE8ELNS1_11target_archE1030ELNS1_3gpuE2ELNS1_3repE0EEENS1_30default_config_static_selectorELNS0_4arch9wavefront6targetE1EEEvT1_
; %bb.0:
	.section	.rodata,"a",@progbits
	.p2align	6, 0x0
	.amdhsa_kernel _ZN7rocprim17ROCPRIM_400000_NS6detail17trampoline_kernelINS0_14default_configENS1_27scan_by_key_config_selectorIj11FixedVectorIiLj2EEEEZZNS1_16scan_by_key_implILNS1_25lookback_scan_determinismE0ELb1ES3_N6thrust23THRUST_200600_302600_NS6detail15normal_iteratorINSB_10device_ptrIjEEEENSD_INSE_IS6_EEEESI_S6_NSB_4plusIvEENSB_8equal_toIvEES6_EE10hipError_tPvRmT2_T3_T4_T5_mT6_T7_P12ihipStream_tbENKUlT_T0_E_clISt17integral_constantIbLb0EES13_EEDaSY_SZ_EUlSY_E_NS1_11comp_targetILNS1_3genE8ELNS1_11target_archE1030ELNS1_3gpuE2ELNS1_3repE0EEENS1_30default_config_static_selectorELNS0_4arch9wavefront6targetE1EEEvT1_
		.amdhsa_group_segment_fixed_size 0
		.amdhsa_private_segment_fixed_size 0
		.amdhsa_kernarg_size 120
		.amdhsa_user_sgpr_count 6
		.amdhsa_user_sgpr_private_segment_buffer 1
		.amdhsa_user_sgpr_dispatch_ptr 0
		.amdhsa_user_sgpr_queue_ptr 0
		.amdhsa_user_sgpr_kernarg_segment_ptr 1
		.amdhsa_user_sgpr_dispatch_id 0
		.amdhsa_user_sgpr_flat_scratch_init 0
		.amdhsa_user_sgpr_kernarg_preload_length 0
		.amdhsa_user_sgpr_kernarg_preload_offset 0
		.amdhsa_user_sgpr_private_segment_size 0
		.amdhsa_uses_dynamic_stack 0
		.amdhsa_system_sgpr_private_segment_wavefront_offset 0
		.amdhsa_system_sgpr_workgroup_id_x 1
		.amdhsa_system_sgpr_workgroup_id_y 0
		.amdhsa_system_sgpr_workgroup_id_z 0
		.amdhsa_system_sgpr_workgroup_info 0
		.amdhsa_system_vgpr_workitem_id 0
		.amdhsa_next_free_vgpr 1
		.amdhsa_next_free_sgpr 0
		.amdhsa_accum_offset 4
		.amdhsa_reserve_vcc 0
		.amdhsa_reserve_flat_scratch 0
		.amdhsa_float_round_mode_32 0
		.amdhsa_float_round_mode_16_64 0
		.amdhsa_float_denorm_mode_32 3
		.amdhsa_float_denorm_mode_16_64 3
		.amdhsa_dx10_clamp 1
		.amdhsa_ieee_mode 1
		.amdhsa_fp16_overflow 0
		.amdhsa_tg_split 0
		.amdhsa_exception_fp_ieee_invalid_op 0
		.amdhsa_exception_fp_denorm_src 0
		.amdhsa_exception_fp_ieee_div_zero 0
		.amdhsa_exception_fp_ieee_overflow 0
		.amdhsa_exception_fp_ieee_underflow 0
		.amdhsa_exception_fp_ieee_inexact 0
		.amdhsa_exception_int_div_zero 0
	.end_amdhsa_kernel
	.section	.text._ZN7rocprim17ROCPRIM_400000_NS6detail17trampoline_kernelINS0_14default_configENS1_27scan_by_key_config_selectorIj11FixedVectorIiLj2EEEEZZNS1_16scan_by_key_implILNS1_25lookback_scan_determinismE0ELb1ES3_N6thrust23THRUST_200600_302600_NS6detail15normal_iteratorINSB_10device_ptrIjEEEENSD_INSE_IS6_EEEESI_S6_NSB_4plusIvEENSB_8equal_toIvEES6_EE10hipError_tPvRmT2_T3_T4_T5_mT6_T7_P12ihipStream_tbENKUlT_T0_E_clISt17integral_constantIbLb0EES13_EEDaSY_SZ_EUlSY_E_NS1_11comp_targetILNS1_3genE8ELNS1_11target_archE1030ELNS1_3gpuE2ELNS1_3repE0EEENS1_30default_config_static_selectorELNS0_4arch9wavefront6targetE1EEEvT1_,"axG",@progbits,_ZN7rocprim17ROCPRIM_400000_NS6detail17trampoline_kernelINS0_14default_configENS1_27scan_by_key_config_selectorIj11FixedVectorIiLj2EEEEZZNS1_16scan_by_key_implILNS1_25lookback_scan_determinismE0ELb1ES3_N6thrust23THRUST_200600_302600_NS6detail15normal_iteratorINSB_10device_ptrIjEEEENSD_INSE_IS6_EEEESI_S6_NSB_4plusIvEENSB_8equal_toIvEES6_EE10hipError_tPvRmT2_T3_T4_T5_mT6_T7_P12ihipStream_tbENKUlT_T0_E_clISt17integral_constantIbLb0EES13_EEDaSY_SZ_EUlSY_E_NS1_11comp_targetILNS1_3genE8ELNS1_11target_archE1030ELNS1_3gpuE2ELNS1_3repE0EEENS1_30default_config_static_selectorELNS0_4arch9wavefront6targetE1EEEvT1_,comdat
.Lfunc_end2001:
	.size	_ZN7rocprim17ROCPRIM_400000_NS6detail17trampoline_kernelINS0_14default_configENS1_27scan_by_key_config_selectorIj11FixedVectorIiLj2EEEEZZNS1_16scan_by_key_implILNS1_25lookback_scan_determinismE0ELb1ES3_N6thrust23THRUST_200600_302600_NS6detail15normal_iteratorINSB_10device_ptrIjEEEENSD_INSE_IS6_EEEESI_S6_NSB_4plusIvEENSB_8equal_toIvEES6_EE10hipError_tPvRmT2_T3_T4_T5_mT6_T7_P12ihipStream_tbENKUlT_T0_E_clISt17integral_constantIbLb0EES13_EEDaSY_SZ_EUlSY_E_NS1_11comp_targetILNS1_3genE8ELNS1_11target_archE1030ELNS1_3gpuE2ELNS1_3repE0EEENS1_30default_config_static_selectorELNS0_4arch9wavefront6targetE1EEEvT1_, .Lfunc_end2001-_ZN7rocprim17ROCPRIM_400000_NS6detail17trampoline_kernelINS0_14default_configENS1_27scan_by_key_config_selectorIj11FixedVectorIiLj2EEEEZZNS1_16scan_by_key_implILNS1_25lookback_scan_determinismE0ELb1ES3_N6thrust23THRUST_200600_302600_NS6detail15normal_iteratorINSB_10device_ptrIjEEEENSD_INSE_IS6_EEEESI_S6_NSB_4plusIvEENSB_8equal_toIvEES6_EE10hipError_tPvRmT2_T3_T4_T5_mT6_T7_P12ihipStream_tbENKUlT_T0_E_clISt17integral_constantIbLb0EES13_EEDaSY_SZ_EUlSY_E_NS1_11comp_targetILNS1_3genE8ELNS1_11target_archE1030ELNS1_3gpuE2ELNS1_3repE0EEENS1_30default_config_static_selectorELNS0_4arch9wavefront6targetE1EEEvT1_
                                        ; -- End function
	.section	.AMDGPU.csdata,"",@progbits
; Kernel info:
; codeLenInByte = 0
; NumSgprs: 4
; NumVgprs: 0
; NumAgprs: 0
; TotalNumVgprs: 0
; ScratchSize: 0
; MemoryBound: 0
; FloatMode: 240
; IeeeMode: 1
; LDSByteSize: 0 bytes/workgroup (compile time only)
; SGPRBlocks: 0
; VGPRBlocks: 0
; NumSGPRsForWavesPerEU: 4
; NumVGPRsForWavesPerEU: 1
; AccumOffset: 4
; Occupancy: 8
; WaveLimiterHint : 0
; COMPUTE_PGM_RSRC2:SCRATCH_EN: 0
; COMPUTE_PGM_RSRC2:USER_SGPR: 6
; COMPUTE_PGM_RSRC2:TRAP_HANDLER: 0
; COMPUTE_PGM_RSRC2:TGID_X_EN: 1
; COMPUTE_PGM_RSRC2:TGID_Y_EN: 0
; COMPUTE_PGM_RSRC2:TGID_Z_EN: 0
; COMPUTE_PGM_RSRC2:TIDIG_COMP_CNT: 0
; COMPUTE_PGM_RSRC3_GFX90A:ACCUM_OFFSET: 0
; COMPUTE_PGM_RSRC3_GFX90A:TG_SPLIT: 0
	.section	.text._ZN7rocprim17ROCPRIM_400000_NS6detail17trampoline_kernelINS0_14default_configENS1_27scan_by_key_config_selectorIj11FixedVectorIiLj2EEEEZZNS1_16scan_by_key_implILNS1_25lookback_scan_determinismE0ELb1ES3_N6thrust23THRUST_200600_302600_NS6detail15normal_iteratorINSB_10device_ptrIjEEEENSD_INSE_IS6_EEEESI_S6_NSB_4plusIvEENSB_8equal_toIvEES6_EE10hipError_tPvRmT2_T3_T4_T5_mT6_T7_P12ihipStream_tbENKUlT_T0_E_clISt17integral_constantIbLb1EES13_EEDaSY_SZ_EUlSY_E_NS1_11comp_targetILNS1_3genE0ELNS1_11target_archE4294967295ELNS1_3gpuE0ELNS1_3repE0EEENS1_30default_config_static_selectorELNS0_4arch9wavefront6targetE1EEEvT1_,"axG",@progbits,_ZN7rocprim17ROCPRIM_400000_NS6detail17trampoline_kernelINS0_14default_configENS1_27scan_by_key_config_selectorIj11FixedVectorIiLj2EEEEZZNS1_16scan_by_key_implILNS1_25lookback_scan_determinismE0ELb1ES3_N6thrust23THRUST_200600_302600_NS6detail15normal_iteratorINSB_10device_ptrIjEEEENSD_INSE_IS6_EEEESI_S6_NSB_4plusIvEENSB_8equal_toIvEES6_EE10hipError_tPvRmT2_T3_T4_T5_mT6_T7_P12ihipStream_tbENKUlT_T0_E_clISt17integral_constantIbLb1EES13_EEDaSY_SZ_EUlSY_E_NS1_11comp_targetILNS1_3genE0ELNS1_11target_archE4294967295ELNS1_3gpuE0ELNS1_3repE0EEENS1_30default_config_static_selectorELNS0_4arch9wavefront6targetE1EEEvT1_,comdat
	.protected	_ZN7rocprim17ROCPRIM_400000_NS6detail17trampoline_kernelINS0_14default_configENS1_27scan_by_key_config_selectorIj11FixedVectorIiLj2EEEEZZNS1_16scan_by_key_implILNS1_25lookback_scan_determinismE0ELb1ES3_N6thrust23THRUST_200600_302600_NS6detail15normal_iteratorINSB_10device_ptrIjEEEENSD_INSE_IS6_EEEESI_S6_NSB_4plusIvEENSB_8equal_toIvEES6_EE10hipError_tPvRmT2_T3_T4_T5_mT6_T7_P12ihipStream_tbENKUlT_T0_E_clISt17integral_constantIbLb1EES13_EEDaSY_SZ_EUlSY_E_NS1_11comp_targetILNS1_3genE0ELNS1_11target_archE4294967295ELNS1_3gpuE0ELNS1_3repE0EEENS1_30default_config_static_selectorELNS0_4arch9wavefront6targetE1EEEvT1_ ; -- Begin function _ZN7rocprim17ROCPRIM_400000_NS6detail17trampoline_kernelINS0_14default_configENS1_27scan_by_key_config_selectorIj11FixedVectorIiLj2EEEEZZNS1_16scan_by_key_implILNS1_25lookback_scan_determinismE0ELb1ES3_N6thrust23THRUST_200600_302600_NS6detail15normal_iteratorINSB_10device_ptrIjEEEENSD_INSE_IS6_EEEESI_S6_NSB_4plusIvEENSB_8equal_toIvEES6_EE10hipError_tPvRmT2_T3_T4_T5_mT6_T7_P12ihipStream_tbENKUlT_T0_E_clISt17integral_constantIbLb1EES13_EEDaSY_SZ_EUlSY_E_NS1_11comp_targetILNS1_3genE0ELNS1_11target_archE4294967295ELNS1_3gpuE0ELNS1_3repE0EEENS1_30default_config_static_selectorELNS0_4arch9wavefront6targetE1EEEvT1_
	.globl	_ZN7rocprim17ROCPRIM_400000_NS6detail17trampoline_kernelINS0_14default_configENS1_27scan_by_key_config_selectorIj11FixedVectorIiLj2EEEEZZNS1_16scan_by_key_implILNS1_25lookback_scan_determinismE0ELb1ES3_N6thrust23THRUST_200600_302600_NS6detail15normal_iteratorINSB_10device_ptrIjEEEENSD_INSE_IS6_EEEESI_S6_NSB_4plusIvEENSB_8equal_toIvEES6_EE10hipError_tPvRmT2_T3_T4_T5_mT6_T7_P12ihipStream_tbENKUlT_T0_E_clISt17integral_constantIbLb1EES13_EEDaSY_SZ_EUlSY_E_NS1_11comp_targetILNS1_3genE0ELNS1_11target_archE4294967295ELNS1_3gpuE0ELNS1_3repE0EEENS1_30default_config_static_selectorELNS0_4arch9wavefront6targetE1EEEvT1_
	.p2align	8
	.type	_ZN7rocprim17ROCPRIM_400000_NS6detail17trampoline_kernelINS0_14default_configENS1_27scan_by_key_config_selectorIj11FixedVectorIiLj2EEEEZZNS1_16scan_by_key_implILNS1_25lookback_scan_determinismE0ELb1ES3_N6thrust23THRUST_200600_302600_NS6detail15normal_iteratorINSB_10device_ptrIjEEEENSD_INSE_IS6_EEEESI_S6_NSB_4plusIvEENSB_8equal_toIvEES6_EE10hipError_tPvRmT2_T3_T4_T5_mT6_T7_P12ihipStream_tbENKUlT_T0_E_clISt17integral_constantIbLb1EES13_EEDaSY_SZ_EUlSY_E_NS1_11comp_targetILNS1_3genE0ELNS1_11target_archE4294967295ELNS1_3gpuE0ELNS1_3repE0EEENS1_30default_config_static_selectorELNS0_4arch9wavefront6targetE1EEEvT1_,@function
_ZN7rocprim17ROCPRIM_400000_NS6detail17trampoline_kernelINS0_14default_configENS1_27scan_by_key_config_selectorIj11FixedVectorIiLj2EEEEZZNS1_16scan_by_key_implILNS1_25lookback_scan_determinismE0ELb1ES3_N6thrust23THRUST_200600_302600_NS6detail15normal_iteratorINSB_10device_ptrIjEEEENSD_INSE_IS6_EEEESI_S6_NSB_4plusIvEENSB_8equal_toIvEES6_EE10hipError_tPvRmT2_T3_T4_T5_mT6_T7_P12ihipStream_tbENKUlT_T0_E_clISt17integral_constantIbLb1EES13_EEDaSY_SZ_EUlSY_E_NS1_11comp_targetILNS1_3genE0ELNS1_11target_archE4294967295ELNS1_3gpuE0ELNS1_3repE0EEENS1_30default_config_static_selectorELNS0_4arch9wavefront6targetE1EEEvT1_: ; @_ZN7rocprim17ROCPRIM_400000_NS6detail17trampoline_kernelINS0_14default_configENS1_27scan_by_key_config_selectorIj11FixedVectorIiLj2EEEEZZNS1_16scan_by_key_implILNS1_25lookback_scan_determinismE0ELb1ES3_N6thrust23THRUST_200600_302600_NS6detail15normal_iteratorINSB_10device_ptrIjEEEENSD_INSE_IS6_EEEESI_S6_NSB_4plusIvEENSB_8equal_toIvEES6_EE10hipError_tPvRmT2_T3_T4_T5_mT6_T7_P12ihipStream_tbENKUlT_T0_E_clISt17integral_constantIbLb1EES13_EEDaSY_SZ_EUlSY_E_NS1_11comp_targetILNS1_3genE0ELNS1_11target_archE4294967295ELNS1_3gpuE0ELNS1_3repE0EEENS1_30default_config_static_selectorELNS0_4arch9wavefront6targetE1EEEvT1_
; %bb.0:
	.section	.rodata,"a",@progbits
	.p2align	6, 0x0
	.amdhsa_kernel _ZN7rocprim17ROCPRIM_400000_NS6detail17trampoline_kernelINS0_14default_configENS1_27scan_by_key_config_selectorIj11FixedVectorIiLj2EEEEZZNS1_16scan_by_key_implILNS1_25lookback_scan_determinismE0ELb1ES3_N6thrust23THRUST_200600_302600_NS6detail15normal_iteratorINSB_10device_ptrIjEEEENSD_INSE_IS6_EEEESI_S6_NSB_4plusIvEENSB_8equal_toIvEES6_EE10hipError_tPvRmT2_T3_T4_T5_mT6_T7_P12ihipStream_tbENKUlT_T0_E_clISt17integral_constantIbLb1EES13_EEDaSY_SZ_EUlSY_E_NS1_11comp_targetILNS1_3genE0ELNS1_11target_archE4294967295ELNS1_3gpuE0ELNS1_3repE0EEENS1_30default_config_static_selectorELNS0_4arch9wavefront6targetE1EEEvT1_
		.amdhsa_group_segment_fixed_size 0
		.amdhsa_private_segment_fixed_size 0
		.amdhsa_kernarg_size 120
		.amdhsa_user_sgpr_count 6
		.amdhsa_user_sgpr_private_segment_buffer 1
		.amdhsa_user_sgpr_dispatch_ptr 0
		.amdhsa_user_sgpr_queue_ptr 0
		.amdhsa_user_sgpr_kernarg_segment_ptr 1
		.amdhsa_user_sgpr_dispatch_id 0
		.amdhsa_user_sgpr_flat_scratch_init 0
		.amdhsa_user_sgpr_kernarg_preload_length 0
		.amdhsa_user_sgpr_kernarg_preload_offset 0
		.amdhsa_user_sgpr_private_segment_size 0
		.amdhsa_uses_dynamic_stack 0
		.amdhsa_system_sgpr_private_segment_wavefront_offset 0
		.amdhsa_system_sgpr_workgroup_id_x 1
		.amdhsa_system_sgpr_workgroup_id_y 0
		.amdhsa_system_sgpr_workgroup_id_z 0
		.amdhsa_system_sgpr_workgroup_info 0
		.amdhsa_system_vgpr_workitem_id 0
		.amdhsa_next_free_vgpr 1
		.amdhsa_next_free_sgpr 0
		.amdhsa_accum_offset 4
		.amdhsa_reserve_vcc 0
		.amdhsa_reserve_flat_scratch 0
		.amdhsa_float_round_mode_32 0
		.amdhsa_float_round_mode_16_64 0
		.amdhsa_float_denorm_mode_32 3
		.amdhsa_float_denorm_mode_16_64 3
		.amdhsa_dx10_clamp 1
		.amdhsa_ieee_mode 1
		.amdhsa_fp16_overflow 0
		.amdhsa_tg_split 0
		.amdhsa_exception_fp_ieee_invalid_op 0
		.amdhsa_exception_fp_denorm_src 0
		.amdhsa_exception_fp_ieee_div_zero 0
		.amdhsa_exception_fp_ieee_overflow 0
		.amdhsa_exception_fp_ieee_underflow 0
		.amdhsa_exception_fp_ieee_inexact 0
		.amdhsa_exception_int_div_zero 0
	.end_amdhsa_kernel
	.section	.text._ZN7rocprim17ROCPRIM_400000_NS6detail17trampoline_kernelINS0_14default_configENS1_27scan_by_key_config_selectorIj11FixedVectorIiLj2EEEEZZNS1_16scan_by_key_implILNS1_25lookback_scan_determinismE0ELb1ES3_N6thrust23THRUST_200600_302600_NS6detail15normal_iteratorINSB_10device_ptrIjEEEENSD_INSE_IS6_EEEESI_S6_NSB_4plusIvEENSB_8equal_toIvEES6_EE10hipError_tPvRmT2_T3_T4_T5_mT6_T7_P12ihipStream_tbENKUlT_T0_E_clISt17integral_constantIbLb1EES13_EEDaSY_SZ_EUlSY_E_NS1_11comp_targetILNS1_3genE0ELNS1_11target_archE4294967295ELNS1_3gpuE0ELNS1_3repE0EEENS1_30default_config_static_selectorELNS0_4arch9wavefront6targetE1EEEvT1_,"axG",@progbits,_ZN7rocprim17ROCPRIM_400000_NS6detail17trampoline_kernelINS0_14default_configENS1_27scan_by_key_config_selectorIj11FixedVectorIiLj2EEEEZZNS1_16scan_by_key_implILNS1_25lookback_scan_determinismE0ELb1ES3_N6thrust23THRUST_200600_302600_NS6detail15normal_iteratorINSB_10device_ptrIjEEEENSD_INSE_IS6_EEEESI_S6_NSB_4plusIvEENSB_8equal_toIvEES6_EE10hipError_tPvRmT2_T3_T4_T5_mT6_T7_P12ihipStream_tbENKUlT_T0_E_clISt17integral_constantIbLb1EES13_EEDaSY_SZ_EUlSY_E_NS1_11comp_targetILNS1_3genE0ELNS1_11target_archE4294967295ELNS1_3gpuE0ELNS1_3repE0EEENS1_30default_config_static_selectorELNS0_4arch9wavefront6targetE1EEEvT1_,comdat
.Lfunc_end2002:
	.size	_ZN7rocprim17ROCPRIM_400000_NS6detail17trampoline_kernelINS0_14default_configENS1_27scan_by_key_config_selectorIj11FixedVectorIiLj2EEEEZZNS1_16scan_by_key_implILNS1_25lookback_scan_determinismE0ELb1ES3_N6thrust23THRUST_200600_302600_NS6detail15normal_iteratorINSB_10device_ptrIjEEEENSD_INSE_IS6_EEEESI_S6_NSB_4plusIvEENSB_8equal_toIvEES6_EE10hipError_tPvRmT2_T3_T4_T5_mT6_T7_P12ihipStream_tbENKUlT_T0_E_clISt17integral_constantIbLb1EES13_EEDaSY_SZ_EUlSY_E_NS1_11comp_targetILNS1_3genE0ELNS1_11target_archE4294967295ELNS1_3gpuE0ELNS1_3repE0EEENS1_30default_config_static_selectorELNS0_4arch9wavefront6targetE1EEEvT1_, .Lfunc_end2002-_ZN7rocprim17ROCPRIM_400000_NS6detail17trampoline_kernelINS0_14default_configENS1_27scan_by_key_config_selectorIj11FixedVectorIiLj2EEEEZZNS1_16scan_by_key_implILNS1_25lookback_scan_determinismE0ELb1ES3_N6thrust23THRUST_200600_302600_NS6detail15normal_iteratorINSB_10device_ptrIjEEEENSD_INSE_IS6_EEEESI_S6_NSB_4plusIvEENSB_8equal_toIvEES6_EE10hipError_tPvRmT2_T3_T4_T5_mT6_T7_P12ihipStream_tbENKUlT_T0_E_clISt17integral_constantIbLb1EES13_EEDaSY_SZ_EUlSY_E_NS1_11comp_targetILNS1_3genE0ELNS1_11target_archE4294967295ELNS1_3gpuE0ELNS1_3repE0EEENS1_30default_config_static_selectorELNS0_4arch9wavefront6targetE1EEEvT1_
                                        ; -- End function
	.section	.AMDGPU.csdata,"",@progbits
; Kernel info:
; codeLenInByte = 0
; NumSgprs: 4
; NumVgprs: 0
; NumAgprs: 0
; TotalNumVgprs: 0
; ScratchSize: 0
; MemoryBound: 0
; FloatMode: 240
; IeeeMode: 1
; LDSByteSize: 0 bytes/workgroup (compile time only)
; SGPRBlocks: 0
; VGPRBlocks: 0
; NumSGPRsForWavesPerEU: 4
; NumVGPRsForWavesPerEU: 1
; AccumOffset: 4
; Occupancy: 8
; WaveLimiterHint : 0
; COMPUTE_PGM_RSRC2:SCRATCH_EN: 0
; COMPUTE_PGM_RSRC2:USER_SGPR: 6
; COMPUTE_PGM_RSRC2:TRAP_HANDLER: 0
; COMPUTE_PGM_RSRC2:TGID_X_EN: 1
; COMPUTE_PGM_RSRC2:TGID_Y_EN: 0
; COMPUTE_PGM_RSRC2:TGID_Z_EN: 0
; COMPUTE_PGM_RSRC2:TIDIG_COMP_CNT: 0
; COMPUTE_PGM_RSRC3_GFX90A:ACCUM_OFFSET: 0
; COMPUTE_PGM_RSRC3_GFX90A:TG_SPLIT: 0
	.section	.text._ZN7rocprim17ROCPRIM_400000_NS6detail17trampoline_kernelINS0_14default_configENS1_27scan_by_key_config_selectorIj11FixedVectorIiLj2EEEEZZNS1_16scan_by_key_implILNS1_25lookback_scan_determinismE0ELb1ES3_N6thrust23THRUST_200600_302600_NS6detail15normal_iteratorINSB_10device_ptrIjEEEENSD_INSE_IS6_EEEESI_S6_NSB_4plusIvEENSB_8equal_toIvEES6_EE10hipError_tPvRmT2_T3_T4_T5_mT6_T7_P12ihipStream_tbENKUlT_T0_E_clISt17integral_constantIbLb1EES13_EEDaSY_SZ_EUlSY_E_NS1_11comp_targetILNS1_3genE10ELNS1_11target_archE1201ELNS1_3gpuE5ELNS1_3repE0EEENS1_30default_config_static_selectorELNS0_4arch9wavefront6targetE1EEEvT1_,"axG",@progbits,_ZN7rocprim17ROCPRIM_400000_NS6detail17trampoline_kernelINS0_14default_configENS1_27scan_by_key_config_selectorIj11FixedVectorIiLj2EEEEZZNS1_16scan_by_key_implILNS1_25lookback_scan_determinismE0ELb1ES3_N6thrust23THRUST_200600_302600_NS6detail15normal_iteratorINSB_10device_ptrIjEEEENSD_INSE_IS6_EEEESI_S6_NSB_4plusIvEENSB_8equal_toIvEES6_EE10hipError_tPvRmT2_T3_T4_T5_mT6_T7_P12ihipStream_tbENKUlT_T0_E_clISt17integral_constantIbLb1EES13_EEDaSY_SZ_EUlSY_E_NS1_11comp_targetILNS1_3genE10ELNS1_11target_archE1201ELNS1_3gpuE5ELNS1_3repE0EEENS1_30default_config_static_selectorELNS0_4arch9wavefront6targetE1EEEvT1_,comdat
	.protected	_ZN7rocprim17ROCPRIM_400000_NS6detail17trampoline_kernelINS0_14default_configENS1_27scan_by_key_config_selectorIj11FixedVectorIiLj2EEEEZZNS1_16scan_by_key_implILNS1_25lookback_scan_determinismE0ELb1ES3_N6thrust23THRUST_200600_302600_NS6detail15normal_iteratorINSB_10device_ptrIjEEEENSD_INSE_IS6_EEEESI_S6_NSB_4plusIvEENSB_8equal_toIvEES6_EE10hipError_tPvRmT2_T3_T4_T5_mT6_T7_P12ihipStream_tbENKUlT_T0_E_clISt17integral_constantIbLb1EES13_EEDaSY_SZ_EUlSY_E_NS1_11comp_targetILNS1_3genE10ELNS1_11target_archE1201ELNS1_3gpuE5ELNS1_3repE0EEENS1_30default_config_static_selectorELNS0_4arch9wavefront6targetE1EEEvT1_ ; -- Begin function _ZN7rocprim17ROCPRIM_400000_NS6detail17trampoline_kernelINS0_14default_configENS1_27scan_by_key_config_selectorIj11FixedVectorIiLj2EEEEZZNS1_16scan_by_key_implILNS1_25lookback_scan_determinismE0ELb1ES3_N6thrust23THRUST_200600_302600_NS6detail15normal_iteratorINSB_10device_ptrIjEEEENSD_INSE_IS6_EEEESI_S6_NSB_4plusIvEENSB_8equal_toIvEES6_EE10hipError_tPvRmT2_T3_T4_T5_mT6_T7_P12ihipStream_tbENKUlT_T0_E_clISt17integral_constantIbLb1EES13_EEDaSY_SZ_EUlSY_E_NS1_11comp_targetILNS1_3genE10ELNS1_11target_archE1201ELNS1_3gpuE5ELNS1_3repE0EEENS1_30default_config_static_selectorELNS0_4arch9wavefront6targetE1EEEvT1_
	.globl	_ZN7rocprim17ROCPRIM_400000_NS6detail17trampoline_kernelINS0_14default_configENS1_27scan_by_key_config_selectorIj11FixedVectorIiLj2EEEEZZNS1_16scan_by_key_implILNS1_25lookback_scan_determinismE0ELb1ES3_N6thrust23THRUST_200600_302600_NS6detail15normal_iteratorINSB_10device_ptrIjEEEENSD_INSE_IS6_EEEESI_S6_NSB_4plusIvEENSB_8equal_toIvEES6_EE10hipError_tPvRmT2_T3_T4_T5_mT6_T7_P12ihipStream_tbENKUlT_T0_E_clISt17integral_constantIbLb1EES13_EEDaSY_SZ_EUlSY_E_NS1_11comp_targetILNS1_3genE10ELNS1_11target_archE1201ELNS1_3gpuE5ELNS1_3repE0EEENS1_30default_config_static_selectorELNS0_4arch9wavefront6targetE1EEEvT1_
	.p2align	8
	.type	_ZN7rocprim17ROCPRIM_400000_NS6detail17trampoline_kernelINS0_14default_configENS1_27scan_by_key_config_selectorIj11FixedVectorIiLj2EEEEZZNS1_16scan_by_key_implILNS1_25lookback_scan_determinismE0ELb1ES3_N6thrust23THRUST_200600_302600_NS6detail15normal_iteratorINSB_10device_ptrIjEEEENSD_INSE_IS6_EEEESI_S6_NSB_4plusIvEENSB_8equal_toIvEES6_EE10hipError_tPvRmT2_T3_T4_T5_mT6_T7_P12ihipStream_tbENKUlT_T0_E_clISt17integral_constantIbLb1EES13_EEDaSY_SZ_EUlSY_E_NS1_11comp_targetILNS1_3genE10ELNS1_11target_archE1201ELNS1_3gpuE5ELNS1_3repE0EEENS1_30default_config_static_selectorELNS0_4arch9wavefront6targetE1EEEvT1_,@function
_ZN7rocprim17ROCPRIM_400000_NS6detail17trampoline_kernelINS0_14default_configENS1_27scan_by_key_config_selectorIj11FixedVectorIiLj2EEEEZZNS1_16scan_by_key_implILNS1_25lookback_scan_determinismE0ELb1ES3_N6thrust23THRUST_200600_302600_NS6detail15normal_iteratorINSB_10device_ptrIjEEEENSD_INSE_IS6_EEEESI_S6_NSB_4plusIvEENSB_8equal_toIvEES6_EE10hipError_tPvRmT2_T3_T4_T5_mT6_T7_P12ihipStream_tbENKUlT_T0_E_clISt17integral_constantIbLb1EES13_EEDaSY_SZ_EUlSY_E_NS1_11comp_targetILNS1_3genE10ELNS1_11target_archE1201ELNS1_3gpuE5ELNS1_3repE0EEENS1_30default_config_static_selectorELNS0_4arch9wavefront6targetE1EEEvT1_: ; @_ZN7rocprim17ROCPRIM_400000_NS6detail17trampoline_kernelINS0_14default_configENS1_27scan_by_key_config_selectorIj11FixedVectorIiLj2EEEEZZNS1_16scan_by_key_implILNS1_25lookback_scan_determinismE0ELb1ES3_N6thrust23THRUST_200600_302600_NS6detail15normal_iteratorINSB_10device_ptrIjEEEENSD_INSE_IS6_EEEESI_S6_NSB_4plusIvEENSB_8equal_toIvEES6_EE10hipError_tPvRmT2_T3_T4_T5_mT6_T7_P12ihipStream_tbENKUlT_T0_E_clISt17integral_constantIbLb1EES13_EEDaSY_SZ_EUlSY_E_NS1_11comp_targetILNS1_3genE10ELNS1_11target_archE1201ELNS1_3gpuE5ELNS1_3repE0EEENS1_30default_config_static_selectorELNS0_4arch9wavefront6targetE1EEEvT1_
; %bb.0:
	.section	.rodata,"a",@progbits
	.p2align	6, 0x0
	.amdhsa_kernel _ZN7rocprim17ROCPRIM_400000_NS6detail17trampoline_kernelINS0_14default_configENS1_27scan_by_key_config_selectorIj11FixedVectorIiLj2EEEEZZNS1_16scan_by_key_implILNS1_25lookback_scan_determinismE0ELb1ES3_N6thrust23THRUST_200600_302600_NS6detail15normal_iteratorINSB_10device_ptrIjEEEENSD_INSE_IS6_EEEESI_S6_NSB_4plusIvEENSB_8equal_toIvEES6_EE10hipError_tPvRmT2_T3_T4_T5_mT6_T7_P12ihipStream_tbENKUlT_T0_E_clISt17integral_constantIbLb1EES13_EEDaSY_SZ_EUlSY_E_NS1_11comp_targetILNS1_3genE10ELNS1_11target_archE1201ELNS1_3gpuE5ELNS1_3repE0EEENS1_30default_config_static_selectorELNS0_4arch9wavefront6targetE1EEEvT1_
		.amdhsa_group_segment_fixed_size 0
		.amdhsa_private_segment_fixed_size 0
		.amdhsa_kernarg_size 120
		.amdhsa_user_sgpr_count 6
		.amdhsa_user_sgpr_private_segment_buffer 1
		.amdhsa_user_sgpr_dispatch_ptr 0
		.amdhsa_user_sgpr_queue_ptr 0
		.amdhsa_user_sgpr_kernarg_segment_ptr 1
		.amdhsa_user_sgpr_dispatch_id 0
		.amdhsa_user_sgpr_flat_scratch_init 0
		.amdhsa_user_sgpr_kernarg_preload_length 0
		.amdhsa_user_sgpr_kernarg_preload_offset 0
		.amdhsa_user_sgpr_private_segment_size 0
		.amdhsa_uses_dynamic_stack 0
		.amdhsa_system_sgpr_private_segment_wavefront_offset 0
		.amdhsa_system_sgpr_workgroup_id_x 1
		.amdhsa_system_sgpr_workgroup_id_y 0
		.amdhsa_system_sgpr_workgroup_id_z 0
		.amdhsa_system_sgpr_workgroup_info 0
		.amdhsa_system_vgpr_workitem_id 0
		.amdhsa_next_free_vgpr 1
		.amdhsa_next_free_sgpr 0
		.amdhsa_accum_offset 4
		.amdhsa_reserve_vcc 0
		.amdhsa_reserve_flat_scratch 0
		.amdhsa_float_round_mode_32 0
		.amdhsa_float_round_mode_16_64 0
		.amdhsa_float_denorm_mode_32 3
		.amdhsa_float_denorm_mode_16_64 3
		.amdhsa_dx10_clamp 1
		.amdhsa_ieee_mode 1
		.amdhsa_fp16_overflow 0
		.amdhsa_tg_split 0
		.amdhsa_exception_fp_ieee_invalid_op 0
		.amdhsa_exception_fp_denorm_src 0
		.amdhsa_exception_fp_ieee_div_zero 0
		.amdhsa_exception_fp_ieee_overflow 0
		.amdhsa_exception_fp_ieee_underflow 0
		.amdhsa_exception_fp_ieee_inexact 0
		.amdhsa_exception_int_div_zero 0
	.end_amdhsa_kernel
	.section	.text._ZN7rocprim17ROCPRIM_400000_NS6detail17trampoline_kernelINS0_14default_configENS1_27scan_by_key_config_selectorIj11FixedVectorIiLj2EEEEZZNS1_16scan_by_key_implILNS1_25lookback_scan_determinismE0ELb1ES3_N6thrust23THRUST_200600_302600_NS6detail15normal_iteratorINSB_10device_ptrIjEEEENSD_INSE_IS6_EEEESI_S6_NSB_4plusIvEENSB_8equal_toIvEES6_EE10hipError_tPvRmT2_T3_T4_T5_mT6_T7_P12ihipStream_tbENKUlT_T0_E_clISt17integral_constantIbLb1EES13_EEDaSY_SZ_EUlSY_E_NS1_11comp_targetILNS1_3genE10ELNS1_11target_archE1201ELNS1_3gpuE5ELNS1_3repE0EEENS1_30default_config_static_selectorELNS0_4arch9wavefront6targetE1EEEvT1_,"axG",@progbits,_ZN7rocprim17ROCPRIM_400000_NS6detail17trampoline_kernelINS0_14default_configENS1_27scan_by_key_config_selectorIj11FixedVectorIiLj2EEEEZZNS1_16scan_by_key_implILNS1_25lookback_scan_determinismE0ELb1ES3_N6thrust23THRUST_200600_302600_NS6detail15normal_iteratorINSB_10device_ptrIjEEEENSD_INSE_IS6_EEEESI_S6_NSB_4plusIvEENSB_8equal_toIvEES6_EE10hipError_tPvRmT2_T3_T4_T5_mT6_T7_P12ihipStream_tbENKUlT_T0_E_clISt17integral_constantIbLb1EES13_EEDaSY_SZ_EUlSY_E_NS1_11comp_targetILNS1_3genE10ELNS1_11target_archE1201ELNS1_3gpuE5ELNS1_3repE0EEENS1_30default_config_static_selectorELNS0_4arch9wavefront6targetE1EEEvT1_,comdat
.Lfunc_end2003:
	.size	_ZN7rocprim17ROCPRIM_400000_NS6detail17trampoline_kernelINS0_14default_configENS1_27scan_by_key_config_selectorIj11FixedVectorIiLj2EEEEZZNS1_16scan_by_key_implILNS1_25lookback_scan_determinismE0ELb1ES3_N6thrust23THRUST_200600_302600_NS6detail15normal_iteratorINSB_10device_ptrIjEEEENSD_INSE_IS6_EEEESI_S6_NSB_4plusIvEENSB_8equal_toIvEES6_EE10hipError_tPvRmT2_T3_T4_T5_mT6_T7_P12ihipStream_tbENKUlT_T0_E_clISt17integral_constantIbLb1EES13_EEDaSY_SZ_EUlSY_E_NS1_11comp_targetILNS1_3genE10ELNS1_11target_archE1201ELNS1_3gpuE5ELNS1_3repE0EEENS1_30default_config_static_selectorELNS0_4arch9wavefront6targetE1EEEvT1_, .Lfunc_end2003-_ZN7rocprim17ROCPRIM_400000_NS6detail17trampoline_kernelINS0_14default_configENS1_27scan_by_key_config_selectorIj11FixedVectorIiLj2EEEEZZNS1_16scan_by_key_implILNS1_25lookback_scan_determinismE0ELb1ES3_N6thrust23THRUST_200600_302600_NS6detail15normal_iteratorINSB_10device_ptrIjEEEENSD_INSE_IS6_EEEESI_S6_NSB_4plusIvEENSB_8equal_toIvEES6_EE10hipError_tPvRmT2_T3_T4_T5_mT6_T7_P12ihipStream_tbENKUlT_T0_E_clISt17integral_constantIbLb1EES13_EEDaSY_SZ_EUlSY_E_NS1_11comp_targetILNS1_3genE10ELNS1_11target_archE1201ELNS1_3gpuE5ELNS1_3repE0EEENS1_30default_config_static_selectorELNS0_4arch9wavefront6targetE1EEEvT1_
                                        ; -- End function
	.section	.AMDGPU.csdata,"",@progbits
; Kernel info:
; codeLenInByte = 0
; NumSgprs: 4
; NumVgprs: 0
; NumAgprs: 0
; TotalNumVgprs: 0
; ScratchSize: 0
; MemoryBound: 0
; FloatMode: 240
; IeeeMode: 1
; LDSByteSize: 0 bytes/workgroup (compile time only)
; SGPRBlocks: 0
; VGPRBlocks: 0
; NumSGPRsForWavesPerEU: 4
; NumVGPRsForWavesPerEU: 1
; AccumOffset: 4
; Occupancy: 8
; WaveLimiterHint : 0
; COMPUTE_PGM_RSRC2:SCRATCH_EN: 0
; COMPUTE_PGM_RSRC2:USER_SGPR: 6
; COMPUTE_PGM_RSRC2:TRAP_HANDLER: 0
; COMPUTE_PGM_RSRC2:TGID_X_EN: 1
; COMPUTE_PGM_RSRC2:TGID_Y_EN: 0
; COMPUTE_PGM_RSRC2:TGID_Z_EN: 0
; COMPUTE_PGM_RSRC2:TIDIG_COMP_CNT: 0
; COMPUTE_PGM_RSRC3_GFX90A:ACCUM_OFFSET: 0
; COMPUTE_PGM_RSRC3_GFX90A:TG_SPLIT: 0
	.section	.text._ZN7rocprim17ROCPRIM_400000_NS6detail17trampoline_kernelINS0_14default_configENS1_27scan_by_key_config_selectorIj11FixedVectorIiLj2EEEEZZNS1_16scan_by_key_implILNS1_25lookback_scan_determinismE0ELb1ES3_N6thrust23THRUST_200600_302600_NS6detail15normal_iteratorINSB_10device_ptrIjEEEENSD_INSE_IS6_EEEESI_S6_NSB_4plusIvEENSB_8equal_toIvEES6_EE10hipError_tPvRmT2_T3_T4_T5_mT6_T7_P12ihipStream_tbENKUlT_T0_E_clISt17integral_constantIbLb1EES13_EEDaSY_SZ_EUlSY_E_NS1_11comp_targetILNS1_3genE5ELNS1_11target_archE942ELNS1_3gpuE9ELNS1_3repE0EEENS1_30default_config_static_selectorELNS0_4arch9wavefront6targetE1EEEvT1_,"axG",@progbits,_ZN7rocprim17ROCPRIM_400000_NS6detail17trampoline_kernelINS0_14default_configENS1_27scan_by_key_config_selectorIj11FixedVectorIiLj2EEEEZZNS1_16scan_by_key_implILNS1_25lookback_scan_determinismE0ELb1ES3_N6thrust23THRUST_200600_302600_NS6detail15normal_iteratorINSB_10device_ptrIjEEEENSD_INSE_IS6_EEEESI_S6_NSB_4plusIvEENSB_8equal_toIvEES6_EE10hipError_tPvRmT2_T3_T4_T5_mT6_T7_P12ihipStream_tbENKUlT_T0_E_clISt17integral_constantIbLb1EES13_EEDaSY_SZ_EUlSY_E_NS1_11comp_targetILNS1_3genE5ELNS1_11target_archE942ELNS1_3gpuE9ELNS1_3repE0EEENS1_30default_config_static_selectorELNS0_4arch9wavefront6targetE1EEEvT1_,comdat
	.protected	_ZN7rocprim17ROCPRIM_400000_NS6detail17trampoline_kernelINS0_14default_configENS1_27scan_by_key_config_selectorIj11FixedVectorIiLj2EEEEZZNS1_16scan_by_key_implILNS1_25lookback_scan_determinismE0ELb1ES3_N6thrust23THRUST_200600_302600_NS6detail15normal_iteratorINSB_10device_ptrIjEEEENSD_INSE_IS6_EEEESI_S6_NSB_4plusIvEENSB_8equal_toIvEES6_EE10hipError_tPvRmT2_T3_T4_T5_mT6_T7_P12ihipStream_tbENKUlT_T0_E_clISt17integral_constantIbLb1EES13_EEDaSY_SZ_EUlSY_E_NS1_11comp_targetILNS1_3genE5ELNS1_11target_archE942ELNS1_3gpuE9ELNS1_3repE0EEENS1_30default_config_static_selectorELNS0_4arch9wavefront6targetE1EEEvT1_ ; -- Begin function _ZN7rocprim17ROCPRIM_400000_NS6detail17trampoline_kernelINS0_14default_configENS1_27scan_by_key_config_selectorIj11FixedVectorIiLj2EEEEZZNS1_16scan_by_key_implILNS1_25lookback_scan_determinismE0ELb1ES3_N6thrust23THRUST_200600_302600_NS6detail15normal_iteratorINSB_10device_ptrIjEEEENSD_INSE_IS6_EEEESI_S6_NSB_4plusIvEENSB_8equal_toIvEES6_EE10hipError_tPvRmT2_T3_T4_T5_mT6_T7_P12ihipStream_tbENKUlT_T0_E_clISt17integral_constantIbLb1EES13_EEDaSY_SZ_EUlSY_E_NS1_11comp_targetILNS1_3genE5ELNS1_11target_archE942ELNS1_3gpuE9ELNS1_3repE0EEENS1_30default_config_static_selectorELNS0_4arch9wavefront6targetE1EEEvT1_
	.globl	_ZN7rocprim17ROCPRIM_400000_NS6detail17trampoline_kernelINS0_14default_configENS1_27scan_by_key_config_selectorIj11FixedVectorIiLj2EEEEZZNS1_16scan_by_key_implILNS1_25lookback_scan_determinismE0ELb1ES3_N6thrust23THRUST_200600_302600_NS6detail15normal_iteratorINSB_10device_ptrIjEEEENSD_INSE_IS6_EEEESI_S6_NSB_4plusIvEENSB_8equal_toIvEES6_EE10hipError_tPvRmT2_T3_T4_T5_mT6_T7_P12ihipStream_tbENKUlT_T0_E_clISt17integral_constantIbLb1EES13_EEDaSY_SZ_EUlSY_E_NS1_11comp_targetILNS1_3genE5ELNS1_11target_archE942ELNS1_3gpuE9ELNS1_3repE0EEENS1_30default_config_static_selectorELNS0_4arch9wavefront6targetE1EEEvT1_
	.p2align	8
	.type	_ZN7rocprim17ROCPRIM_400000_NS6detail17trampoline_kernelINS0_14default_configENS1_27scan_by_key_config_selectorIj11FixedVectorIiLj2EEEEZZNS1_16scan_by_key_implILNS1_25lookback_scan_determinismE0ELb1ES3_N6thrust23THRUST_200600_302600_NS6detail15normal_iteratorINSB_10device_ptrIjEEEENSD_INSE_IS6_EEEESI_S6_NSB_4plusIvEENSB_8equal_toIvEES6_EE10hipError_tPvRmT2_T3_T4_T5_mT6_T7_P12ihipStream_tbENKUlT_T0_E_clISt17integral_constantIbLb1EES13_EEDaSY_SZ_EUlSY_E_NS1_11comp_targetILNS1_3genE5ELNS1_11target_archE942ELNS1_3gpuE9ELNS1_3repE0EEENS1_30default_config_static_selectorELNS0_4arch9wavefront6targetE1EEEvT1_,@function
_ZN7rocprim17ROCPRIM_400000_NS6detail17trampoline_kernelINS0_14default_configENS1_27scan_by_key_config_selectorIj11FixedVectorIiLj2EEEEZZNS1_16scan_by_key_implILNS1_25lookback_scan_determinismE0ELb1ES3_N6thrust23THRUST_200600_302600_NS6detail15normal_iteratorINSB_10device_ptrIjEEEENSD_INSE_IS6_EEEESI_S6_NSB_4plusIvEENSB_8equal_toIvEES6_EE10hipError_tPvRmT2_T3_T4_T5_mT6_T7_P12ihipStream_tbENKUlT_T0_E_clISt17integral_constantIbLb1EES13_EEDaSY_SZ_EUlSY_E_NS1_11comp_targetILNS1_3genE5ELNS1_11target_archE942ELNS1_3gpuE9ELNS1_3repE0EEENS1_30default_config_static_selectorELNS0_4arch9wavefront6targetE1EEEvT1_: ; @_ZN7rocprim17ROCPRIM_400000_NS6detail17trampoline_kernelINS0_14default_configENS1_27scan_by_key_config_selectorIj11FixedVectorIiLj2EEEEZZNS1_16scan_by_key_implILNS1_25lookback_scan_determinismE0ELb1ES3_N6thrust23THRUST_200600_302600_NS6detail15normal_iteratorINSB_10device_ptrIjEEEENSD_INSE_IS6_EEEESI_S6_NSB_4plusIvEENSB_8equal_toIvEES6_EE10hipError_tPvRmT2_T3_T4_T5_mT6_T7_P12ihipStream_tbENKUlT_T0_E_clISt17integral_constantIbLb1EES13_EEDaSY_SZ_EUlSY_E_NS1_11comp_targetILNS1_3genE5ELNS1_11target_archE942ELNS1_3gpuE9ELNS1_3repE0EEENS1_30default_config_static_selectorELNS0_4arch9wavefront6targetE1EEEvT1_
; %bb.0:
	.section	.rodata,"a",@progbits
	.p2align	6, 0x0
	.amdhsa_kernel _ZN7rocprim17ROCPRIM_400000_NS6detail17trampoline_kernelINS0_14default_configENS1_27scan_by_key_config_selectorIj11FixedVectorIiLj2EEEEZZNS1_16scan_by_key_implILNS1_25lookback_scan_determinismE0ELb1ES3_N6thrust23THRUST_200600_302600_NS6detail15normal_iteratorINSB_10device_ptrIjEEEENSD_INSE_IS6_EEEESI_S6_NSB_4plusIvEENSB_8equal_toIvEES6_EE10hipError_tPvRmT2_T3_T4_T5_mT6_T7_P12ihipStream_tbENKUlT_T0_E_clISt17integral_constantIbLb1EES13_EEDaSY_SZ_EUlSY_E_NS1_11comp_targetILNS1_3genE5ELNS1_11target_archE942ELNS1_3gpuE9ELNS1_3repE0EEENS1_30default_config_static_selectorELNS0_4arch9wavefront6targetE1EEEvT1_
		.amdhsa_group_segment_fixed_size 0
		.amdhsa_private_segment_fixed_size 0
		.amdhsa_kernarg_size 120
		.amdhsa_user_sgpr_count 6
		.amdhsa_user_sgpr_private_segment_buffer 1
		.amdhsa_user_sgpr_dispatch_ptr 0
		.amdhsa_user_sgpr_queue_ptr 0
		.amdhsa_user_sgpr_kernarg_segment_ptr 1
		.amdhsa_user_sgpr_dispatch_id 0
		.amdhsa_user_sgpr_flat_scratch_init 0
		.amdhsa_user_sgpr_kernarg_preload_length 0
		.amdhsa_user_sgpr_kernarg_preload_offset 0
		.amdhsa_user_sgpr_private_segment_size 0
		.amdhsa_uses_dynamic_stack 0
		.amdhsa_system_sgpr_private_segment_wavefront_offset 0
		.amdhsa_system_sgpr_workgroup_id_x 1
		.amdhsa_system_sgpr_workgroup_id_y 0
		.amdhsa_system_sgpr_workgroup_id_z 0
		.amdhsa_system_sgpr_workgroup_info 0
		.amdhsa_system_vgpr_workitem_id 0
		.amdhsa_next_free_vgpr 1
		.amdhsa_next_free_sgpr 0
		.amdhsa_accum_offset 4
		.amdhsa_reserve_vcc 0
		.amdhsa_reserve_flat_scratch 0
		.amdhsa_float_round_mode_32 0
		.amdhsa_float_round_mode_16_64 0
		.amdhsa_float_denorm_mode_32 3
		.amdhsa_float_denorm_mode_16_64 3
		.amdhsa_dx10_clamp 1
		.amdhsa_ieee_mode 1
		.amdhsa_fp16_overflow 0
		.amdhsa_tg_split 0
		.amdhsa_exception_fp_ieee_invalid_op 0
		.amdhsa_exception_fp_denorm_src 0
		.amdhsa_exception_fp_ieee_div_zero 0
		.amdhsa_exception_fp_ieee_overflow 0
		.amdhsa_exception_fp_ieee_underflow 0
		.amdhsa_exception_fp_ieee_inexact 0
		.amdhsa_exception_int_div_zero 0
	.end_amdhsa_kernel
	.section	.text._ZN7rocprim17ROCPRIM_400000_NS6detail17trampoline_kernelINS0_14default_configENS1_27scan_by_key_config_selectorIj11FixedVectorIiLj2EEEEZZNS1_16scan_by_key_implILNS1_25lookback_scan_determinismE0ELb1ES3_N6thrust23THRUST_200600_302600_NS6detail15normal_iteratorINSB_10device_ptrIjEEEENSD_INSE_IS6_EEEESI_S6_NSB_4plusIvEENSB_8equal_toIvEES6_EE10hipError_tPvRmT2_T3_T4_T5_mT6_T7_P12ihipStream_tbENKUlT_T0_E_clISt17integral_constantIbLb1EES13_EEDaSY_SZ_EUlSY_E_NS1_11comp_targetILNS1_3genE5ELNS1_11target_archE942ELNS1_3gpuE9ELNS1_3repE0EEENS1_30default_config_static_selectorELNS0_4arch9wavefront6targetE1EEEvT1_,"axG",@progbits,_ZN7rocprim17ROCPRIM_400000_NS6detail17trampoline_kernelINS0_14default_configENS1_27scan_by_key_config_selectorIj11FixedVectorIiLj2EEEEZZNS1_16scan_by_key_implILNS1_25lookback_scan_determinismE0ELb1ES3_N6thrust23THRUST_200600_302600_NS6detail15normal_iteratorINSB_10device_ptrIjEEEENSD_INSE_IS6_EEEESI_S6_NSB_4plusIvEENSB_8equal_toIvEES6_EE10hipError_tPvRmT2_T3_T4_T5_mT6_T7_P12ihipStream_tbENKUlT_T0_E_clISt17integral_constantIbLb1EES13_EEDaSY_SZ_EUlSY_E_NS1_11comp_targetILNS1_3genE5ELNS1_11target_archE942ELNS1_3gpuE9ELNS1_3repE0EEENS1_30default_config_static_selectorELNS0_4arch9wavefront6targetE1EEEvT1_,comdat
.Lfunc_end2004:
	.size	_ZN7rocprim17ROCPRIM_400000_NS6detail17trampoline_kernelINS0_14default_configENS1_27scan_by_key_config_selectorIj11FixedVectorIiLj2EEEEZZNS1_16scan_by_key_implILNS1_25lookback_scan_determinismE0ELb1ES3_N6thrust23THRUST_200600_302600_NS6detail15normal_iteratorINSB_10device_ptrIjEEEENSD_INSE_IS6_EEEESI_S6_NSB_4plusIvEENSB_8equal_toIvEES6_EE10hipError_tPvRmT2_T3_T4_T5_mT6_T7_P12ihipStream_tbENKUlT_T0_E_clISt17integral_constantIbLb1EES13_EEDaSY_SZ_EUlSY_E_NS1_11comp_targetILNS1_3genE5ELNS1_11target_archE942ELNS1_3gpuE9ELNS1_3repE0EEENS1_30default_config_static_selectorELNS0_4arch9wavefront6targetE1EEEvT1_, .Lfunc_end2004-_ZN7rocprim17ROCPRIM_400000_NS6detail17trampoline_kernelINS0_14default_configENS1_27scan_by_key_config_selectorIj11FixedVectorIiLj2EEEEZZNS1_16scan_by_key_implILNS1_25lookback_scan_determinismE0ELb1ES3_N6thrust23THRUST_200600_302600_NS6detail15normal_iteratorINSB_10device_ptrIjEEEENSD_INSE_IS6_EEEESI_S6_NSB_4plusIvEENSB_8equal_toIvEES6_EE10hipError_tPvRmT2_T3_T4_T5_mT6_T7_P12ihipStream_tbENKUlT_T0_E_clISt17integral_constantIbLb1EES13_EEDaSY_SZ_EUlSY_E_NS1_11comp_targetILNS1_3genE5ELNS1_11target_archE942ELNS1_3gpuE9ELNS1_3repE0EEENS1_30default_config_static_selectorELNS0_4arch9wavefront6targetE1EEEvT1_
                                        ; -- End function
	.section	.AMDGPU.csdata,"",@progbits
; Kernel info:
; codeLenInByte = 0
; NumSgprs: 4
; NumVgprs: 0
; NumAgprs: 0
; TotalNumVgprs: 0
; ScratchSize: 0
; MemoryBound: 0
; FloatMode: 240
; IeeeMode: 1
; LDSByteSize: 0 bytes/workgroup (compile time only)
; SGPRBlocks: 0
; VGPRBlocks: 0
; NumSGPRsForWavesPerEU: 4
; NumVGPRsForWavesPerEU: 1
; AccumOffset: 4
; Occupancy: 8
; WaveLimiterHint : 0
; COMPUTE_PGM_RSRC2:SCRATCH_EN: 0
; COMPUTE_PGM_RSRC2:USER_SGPR: 6
; COMPUTE_PGM_RSRC2:TRAP_HANDLER: 0
; COMPUTE_PGM_RSRC2:TGID_X_EN: 1
; COMPUTE_PGM_RSRC2:TGID_Y_EN: 0
; COMPUTE_PGM_RSRC2:TGID_Z_EN: 0
; COMPUTE_PGM_RSRC2:TIDIG_COMP_CNT: 0
; COMPUTE_PGM_RSRC3_GFX90A:ACCUM_OFFSET: 0
; COMPUTE_PGM_RSRC3_GFX90A:TG_SPLIT: 0
	.section	.text._ZN7rocprim17ROCPRIM_400000_NS6detail17trampoline_kernelINS0_14default_configENS1_27scan_by_key_config_selectorIj11FixedVectorIiLj2EEEEZZNS1_16scan_by_key_implILNS1_25lookback_scan_determinismE0ELb1ES3_N6thrust23THRUST_200600_302600_NS6detail15normal_iteratorINSB_10device_ptrIjEEEENSD_INSE_IS6_EEEESI_S6_NSB_4plusIvEENSB_8equal_toIvEES6_EE10hipError_tPvRmT2_T3_T4_T5_mT6_T7_P12ihipStream_tbENKUlT_T0_E_clISt17integral_constantIbLb1EES13_EEDaSY_SZ_EUlSY_E_NS1_11comp_targetILNS1_3genE4ELNS1_11target_archE910ELNS1_3gpuE8ELNS1_3repE0EEENS1_30default_config_static_selectorELNS0_4arch9wavefront6targetE1EEEvT1_,"axG",@progbits,_ZN7rocprim17ROCPRIM_400000_NS6detail17trampoline_kernelINS0_14default_configENS1_27scan_by_key_config_selectorIj11FixedVectorIiLj2EEEEZZNS1_16scan_by_key_implILNS1_25lookback_scan_determinismE0ELb1ES3_N6thrust23THRUST_200600_302600_NS6detail15normal_iteratorINSB_10device_ptrIjEEEENSD_INSE_IS6_EEEESI_S6_NSB_4plusIvEENSB_8equal_toIvEES6_EE10hipError_tPvRmT2_T3_T4_T5_mT6_T7_P12ihipStream_tbENKUlT_T0_E_clISt17integral_constantIbLb1EES13_EEDaSY_SZ_EUlSY_E_NS1_11comp_targetILNS1_3genE4ELNS1_11target_archE910ELNS1_3gpuE8ELNS1_3repE0EEENS1_30default_config_static_selectorELNS0_4arch9wavefront6targetE1EEEvT1_,comdat
	.protected	_ZN7rocprim17ROCPRIM_400000_NS6detail17trampoline_kernelINS0_14default_configENS1_27scan_by_key_config_selectorIj11FixedVectorIiLj2EEEEZZNS1_16scan_by_key_implILNS1_25lookback_scan_determinismE0ELb1ES3_N6thrust23THRUST_200600_302600_NS6detail15normal_iteratorINSB_10device_ptrIjEEEENSD_INSE_IS6_EEEESI_S6_NSB_4plusIvEENSB_8equal_toIvEES6_EE10hipError_tPvRmT2_T3_T4_T5_mT6_T7_P12ihipStream_tbENKUlT_T0_E_clISt17integral_constantIbLb1EES13_EEDaSY_SZ_EUlSY_E_NS1_11comp_targetILNS1_3genE4ELNS1_11target_archE910ELNS1_3gpuE8ELNS1_3repE0EEENS1_30default_config_static_selectorELNS0_4arch9wavefront6targetE1EEEvT1_ ; -- Begin function _ZN7rocprim17ROCPRIM_400000_NS6detail17trampoline_kernelINS0_14default_configENS1_27scan_by_key_config_selectorIj11FixedVectorIiLj2EEEEZZNS1_16scan_by_key_implILNS1_25lookback_scan_determinismE0ELb1ES3_N6thrust23THRUST_200600_302600_NS6detail15normal_iteratorINSB_10device_ptrIjEEEENSD_INSE_IS6_EEEESI_S6_NSB_4plusIvEENSB_8equal_toIvEES6_EE10hipError_tPvRmT2_T3_T4_T5_mT6_T7_P12ihipStream_tbENKUlT_T0_E_clISt17integral_constantIbLb1EES13_EEDaSY_SZ_EUlSY_E_NS1_11comp_targetILNS1_3genE4ELNS1_11target_archE910ELNS1_3gpuE8ELNS1_3repE0EEENS1_30default_config_static_selectorELNS0_4arch9wavefront6targetE1EEEvT1_
	.globl	_ZN7rocprim17ROCPRIM_400000_NS6detail17trampoline_kernelINS0_14default_configENS1_27scan_by_key_config_selectorIj11FixedVectorIiLj2EEEEZZNS1_16scan_by_key_implILNS1_25lookback_scan_determinismE0ELb1ES3_N6thrust23THRUST_200600_302600_NS6detail15normal_iteratorINSB_10device_ptrIjEEEENSD_INSE_IS6_EEEESI_S6_NSB_4plusIvEENSB_8equal_toIvEES6_EE10hipError_tPvRmT2_T3_T4_T5_mT6_T7_P12ihipStream_tbENKUlT_T0_E_clISt17integral_constantIbLb1EES13_EEDaSY_SZ_EUlSY_E_NS1_11comp_targetILNS1_3genE4ELNS1_11target_archE910ELNS1_3gpuE8ELNS1_3repE0EEENS1_30default_config_static_selectorELNS0_4arch9wavefront6targetE1EEEvT1_
	.p2align	8
	.type	_ZN7rocprim17ROCPRIM_400000_NS6detail17trampoline_kernelINS0_14default_configENS1_27scan_by_key_config_selectorIj11FixedVectorIiLj2EEEEZZNS1_16scan_by_key_implILNS1_25lookback_scan_determinismE0ELb1ES3_N6thrust23THRUST_200600_302600_NS6detail15normal_iteratorINSB_10device_ptrIjEEEENSD_INSE_IS6_EEEESI_S6_NSB_4plusIvEENSB_8equal_toIvEES6_EE10hipError_tPvRmT2_T3_T4_T5_mT6_T7_P12ihipStream_tbENKUlT_T0_E_clISt17integral_constantIbLb1EES13_EEDaSY_SZ_EUlSY_E_NS1_11comp_targetILNS1_3genE4ELNS1_11target_archE910ELNS1_3gpuE8ELNS1_3repE0EEENS1_30default_config_static_selectorELNS0_4arch9wavefront6targetE1EEEvT1_,@function
_ZN7rocprim17ROCPRIM_400000_NS6detail17trampoline_kernelINS0_14default_configENS1_27scan_by_key_config_selectorIj11FixedVectorIiLj2EEEEZZNS1_16scan_by_key_implILNS1_25lookback_scan_determinismE0ELb1ES3_N6thrust23THRUST_200600_302600_NS6detail15normal_iteratorINSB_10device_ptrIjEEEENSD_INSE_IS6_EEEESI_S6_NSB_4plusIvEENSB_8equal_toIvEES6_EE10hipError_tPvRmT2_T3_T4_T5_mT6_T7_P12ihipStream_tbENKUlT_T0_E_clISt17integral_constantIbLb1EES13_EEDaSY_SZ_EUlSY_E_NS1_11comp_targetILNS1_3genE4ELNS1_11target_archE910ELNS1_3gpuE8ELNS1_3repE0EEENS1_30default_config_static_selectorELNS0_4arch9wavefront6targetE1EEEvT1_: ; @_ZN7rocprim17ROCPRIM_400000_NS6detail17trampoline_kernelINS0_14default_configENS1_27scan_by_key_config_selectorIj11FixedVectorIiLj2EEEEZZNS1_16scan_by_key_implILNS1_25lookback_scan_determinismE0ELb1ES3_N6thrust23THRUST_200600_302600_NS6detail15normal_iteratorINSB_10device_ptrIjEEEENSD_INSE_IS6_EEEESI_S6_NSB_4plusIvEENSB_8equal_toIvEES6_EE10hipError_tPvRmT2_T3_T4_T5_mT6_T7_P12ihipStream_tbENKUlT_T0_E_clISt17integral_constantIbLb1EES13_EEDaSY_SZ_EUlSY_E_NS1_11comp_targetILNS1_3genE4ELNS1_11target_archE910ELNS1_3gpuE8ELNS1_3repE0EEENS1_30default_config_static_selectorELNS0_4arch9wavefront6targetE1EEEvT1_
; %bb.0:
	s_load_dwordx2 s[62:63], s[4:5], 0x20
	s_load_dwordx4 s[52:55], s[4:5], 0x30
	s_load_dwordx2 s[64:65], s[4:5], 0x40
	v_cmp_eq_u32_e64 s[2:3], 0, v0
	s_and_saveexec_b64 s[0:1], s[2:3]
	s_cbranch_execz .LBB2005_4
; %bb.1:
	s_mov_b64 s[8:9], exec
	v_mbcnt_lo_u32_b32 v1, s8, 0
	v_mbcnt_hi_u32_b32 v1, s9, v1
	v_cmp_eq_u32_e32 vcc, 0, v1
                                        ; implicit-def: $vgpr2
	s_and_saveexec_b64 s[6:7], vcc
	s_cbranch_execz .LBB2005_3
; %bb.2:
	s_load_dwordx2 s[10:11], s[4:5], 0x70
	s_bcnt1_i32_b64 s8, s[8:9]
	v_mov_b32_e32 v2, 0
	v_mov_b32_e32 v3, s8
	s_waitcnt lgkmcnt(0)
	global_atomic_add v2, v2, v3, s[10:11] glc
.LBB2005_3:
	s_or_b64 exec, exec, s[6:7]
	s_waitcnt vmcnt(0)
	v_readfirstlane_b32 s6, v2
	v_add_u32_e32 v1, s6, v1
	v_mov_b32_e32 v2, 0
	ds_write_b32 v2, v1
.LBB2005_4:
	s_or_b64 exec, exec, s[0:1]
	s_load_dwordx8 s[44:51], s[4:5], 0x0
	s_load_dword s0, s[4:5], 0x48
	s_load_dwordx4 s[56:59], s[4:5], 0x50
	v_mov_b32_e32 v3, 0
	s_waitcnt lgkmcnt(0)
	s_lshl_b64 s[4:5], s[46:47], 2
	; wave barrier
	ds_read_b32 v8, v3
	s_add_u32 s1, s44, s4
	s_addc_u32 s4, s45, s5
	s_lshl_b64 s[60:61], s[46:47], 3
	s_add_u32 s5, s48, s60
	s_mul_i32 s7, s65, s0
	s_mul_hi_u32 s8, s64, s0
	s_addc_u32 s6, s49, s61
	s_add_i32 s7, s8, s7
	s_movk_i32 s8, 0x540
	s_waitcnt lgkmcnt(0)
	v_mul_lo_u32 v2, v8, s8
	v_lshlrev_b64 v[4:5], 2, v[2:3]
	v_mov_b32_e32 v1, s4
	v_add_co_u32_e32 v6, vcc, s1, v4
	v_addc_co_u32_e32 v7, vcc, v1, v5, vcc
	v_lshlrev_b64 v[40:41], 3, v[2:3]
	v_mov_b32_e32 v2, s6
	v_add_co_u32_e32 v1, vcc, s5, v40
	s_mul_i32 s0, s64, s0
	v_addc_co_u32_e32 v78, vcc, v2, v41, vcc
	v_mov_b32_e32 v3, s7
	v_add_co_u32_e32 v2, vcc, s0, v8
	s_add_u32 s6, s56, -1
	v_addc_co_u32_e32 v3, vcc, 0, v3, vcc
	s_addc_u32 s7, s57, -1
	v_cmp_le_u64_e64 s[0:1], s[6:7], v[2:3]
	v_readfirstlane_b32 s55, v8
	s_mov_b64 s[4:5], -1
	s_and_b64 vcc, exec, s[0:1]
	s_mul_i32 s33, s6, 0xfffffac0
	s_waitcnt lgkmcnt(0)
	; wave barrier
	s_waitcnt lgkmcnt(0)
	s_waitcnt lgkmcnt(0)
	; wave barrier
	s_cbranch_vccz .LBB2005_134
; %bb.5:
	flat_load_dword v2, v[6:7]
	s_add_i32 s66, s33, s54
	v_cmp_gt_u32_e64 s[44:45], s66, v0
	s_waitcnt vmcnt(0) lgkmcnt(0)
	v_mov_b32_e32 v3, v2
	s_and_saveexec_b64 s[4:5], s[44:45]
	s_cbranch_execz .LBB2005_7
; %bb.6:
	v_lshlrev_b32_e32 v3, 2, v0
	v_add_co_u32_e32 v4, vcc, v6, v3
	v_addc_co_u32_e32 v5, vcc, 0, v7, vcc
	flat_load_dword v3, v[4:5]
.LBB2005_7:
	s_or_b64 exec, exec, s[4:5]
	v_or_b32_e32 v4, 64, v0
	v_cmp_gt_u32_e64 s[42:43], s66, v4
	v_mov_b32_e32 v4, v2
	s_and_saveexec_b64 s[4:5], s[42:43]
	s_cbranch_execz .LBB2005_9
; %bb.8:
	v_lshlrev_b32_e32 v4, 2, v0
	v_add_co_u32_e32 v4, vcc, v6, v4
	v_addc_co_u32_e32 v5, vcc, 0, v7, vcc
	flat_load_dword v4, v[4:5] offset:256
.LBB2005_9:
	s_or_b64 exec, exec, s[4:5]
	v_or_b32_e32 v5, 0x80, v0
	v_cmp_gt_u32_e64 s[40:41], s66, v5
	v_mov_b32_e32 v5, v2
	s_and_saveexec_b64 s[4:5], s[40:41]
	s_cbranch_execz .LBB2005_11
; %bb.10:
	v_lshlrev_b32_e32 v5, 2, v0
	v_add_co_u32_e32 v8, vcc, v6, v5
	v_addc_co_u32_e32 v9, vcc, 0, v7, vcc
	flat_load_dword v5, v[8:9] offset:512
.LBB2005_11:
	;; [unrolled: 12-line block ×15, first 2 shown]
	s_or_b64 exec, exec, s[4:5]
	v_or_b32_e32 v59, 0x400, v0
	v_cmp_gt_u32_e64 s[10:11], s66, v59
	v_mov_b32_e32 v21, v2
	s_and_saveexec_b64 s[4:5], s[10:11]
	s_cbranch_execz .LBB2005_39
; %bb.38:
	v_lshlrev_b32_e32 v21, 2, v59
	v_add_co_u32_e32 v22, vcc, v6, v21
	v_addc_co_u32_e32 v23, vcc, 0, v7, vcc
	flat_load_dword v21, v[22:23]
.LBB2005_39:
	s_or_b64 exec, exec, s[4:5]
	v_or_b32_e32 v62, 0x440, v0
	v_cmp_gt_u32_e64 s[8:9], s66, v62
	v_mov_b32_e32 v22, v2
	s_and_saveexec_b64 s[4:5], s[8:9]
	s_cbranch_execz .LBB2005_41
; %bb.40:
	v_lshlrev_b32_e32 v22, 2, v62
	v_add_co_u32_e32 v22, vcc, v6, v22
	v_addc_co_u32_e32 v23, vcc, 0, v7, vcc
	flat_load_dword v22, v[22:23]
.LBB2005_41:
	;; [unrolled: 12-line block ×4, first 2 shown]
	s_or_b64 exec, exec, s[46:47]
	v_or_b32_e32 v69, 0x500, v0
	v_cmp_gt_u32_e32 vcc, s66, v69
	s_and_saveexec_b64 s[48:49], vcc
	s_cbranch_execz .LBB2005_47
; %bb.46:
	v_lshlrev_b32_e32 v2, 2, v69
	v_add_co_u32_e64 v26, s[46:47], v6, v2
	v_addc_co_u32_e64 v27, s[46:47], 0, v7, s[46:47]
	flat_load_dword v2, v[26:27]
.LBB2005_47:
	s_or_b64 exec, exec, s[48:49]
	v_lshlrev_b32_e32 v28, 2, v0
	s_waitcnt vmcnt(0) lgkmcnt(0)
	ds_write2st64_b32 v28, v3, v4 offset1:1
	ds_write2st64_b32 v28, v5, v8 offset0:2 offset1:3
	ds_write2st64_b32 v28, v9, v10 offset0:4 offset1:5
	;; [unrolled: 1-line block ×9, first 2 shown]
	ds_write_b32 v28, v2 offset:5120
	s_waitcnt lgkmcnt(0)
	; wave barrier
	s_waitcnt lgkmcnt(0)
	flat_load_dword v79, v[6:7]
	s_movk_i32 s46, 0x50
	v_mad_u32_u24 v2, v0, s46, v28
	s_movk_i32 s46, 0xffb0
	v_mad_i32_i24 v70, v0, s46, v2
	v_cmp_ne_u32_e64 s[46:47], 63, v0
	ds_read_b32 v81, v2
	ds_read2_b32 v[26:27], v2 offset0:1 offset1:2
	ds_read2_b32 v[24:25], v2 offset0:3 offset1:4
	;; [unrolled: 1-line block ×10, first 2 shown]
	s_waitcnt lgkmcnt(0)
	ds_write_b32 v70, v81 offset:5632
	s_waitcnt lgkmcnt(0)
	; wave barrier
	s_waitcnt lgkmcnt(0)
	s_and_saveexec_b64 s[48:49], s[46:47]
	s_cbranch_execz .LBB2005_49
; %bb.48:
	s_waitcnt vmcnt(0)
	ds_read_b32 v79, v28 offset:5636
.LBB2005_49:
	s_or_b64 exec, exec, s[48:49]
	v_mov_b32_e32 v2, 0
	v_mov_b32_e32 v4, 0
	;; [unrolled: 1-line block ×3, first 2 shown]
	s_waitcnt lgkmcnt(0)
	; wave barrier
	s_waitcnt lgkmcnt(0)
	s_and_saveexec_b64 s[46:47], s[44:45]
	s_cbranch_execz .LBB2005_51
; %bb.50:
	v_lshlrev_b32_e32 v3, 3, v0
	v_add_co_u32_e64 v4, s[44:45], v1, v3
	v_addc_co_u32_e64 v5, s[44:45], 0, v78, s[44:45]
	flat_load_dwordx2 v[4:5], v[4:5]
.LBB2005_51:
	s_or_b64 exec, exec, s[46:47]
	v_mov_b32_e32 v3, 0
	s_and_saveexec_b64 s[44:45], s[42:43]
	s_cbranch_execz .LBB2005_53
; %bb.52:
	v_lshlrev_b32_e32 v2, 3, v0
	v_add_co_u32_e64 v2, s[42:43], v1, v2
	v_addc_co_u32_e64 v3, s[42:43], 0, v78, s[42:43]
	flat_load_dwordx2 v[2:3], v[2:3] offset:512
.LBB2005_53:
	s_or_b64 exec, exec, s[44:45]
	v_mov_b32_e32 v28, 0
	v_mov_b32_e32 v30, 0
	v_mov_b32_e32 v31, 0
	s_and_saveexec_b64 s[42:43], s[40:41]
	s_cbranch_execz .LBB2005_55
; %bb.54:
	v_lshlrev_b32_e32 v29, 3, v0
	v_add_co_u32_e64 v30, s[40:41], v1, v29
	v_addc_co_u32_e64 v31, s[40:41], 0, v78, s[40:41]
	flat_load_dwordx2 v[30:31], v[30:31] offset:1024
.LBB2005_55:
	s_or_b64 exec, exec, s[42:43]
	v_mov_b32_e32 v29, 0
	s_and_saveexec_b64 s[40:41], s[38:39]
	s_cbranch_execz .LBB2005_57
; %bb.56:
	v_lshlrev_b32_e32 v28, 3, v0
	v_add_co_u32_e64 v28, s[38:39], v1, v28
	v_addc_co_u32_e64 v29, s[38:39], 0, v78, s[38:39]
	flat_load_dwordx2 v[28:29], v[28:29] offset:1536
.LBB2005_57:
	s_or_b64 exec, exec, s[40:41]
	v_mov_b32_e32 v32, 0
	v_mov_b32_e32 v34, 0
	v_mov_b32_e32 v35, 0
	s_and_saveexec_b64 s[38:39], s[36:37]
	s_cbranch_execz .LBB2005_59
; %bb.58:
	v_lshlrev_b32_e32 v33, 3, v0
	v_add_co_u32_e64 v34, s[36:37], v1, v33
	v_addc_co_u32_e64 v35, s[36:37], 0, v78, s[36:37]
	flat_load_dwordx2 v[34:35], v[34:35] offset:2048
.LBB2005_59:
	;; [unrolled: 22-line block ×3, first 2 shown]
	s_or_b64 exec, exec, s[34:35]
	v_mov_b32_e32 v37, 0
	s_and_saveexec_b64 s[30:31], s[28:29]
	s_cbranch_execz .LBB2005_65
; %bb.64:
	v_lshlrev_b32_e32 v36, 3, v0
	v_add_co_u32_e64 v36, s[28:29], v1, v36
	v_addc_co_u32_e64 v37, s[28:29], 0, v78, s[28:29]
	flat_load_dwordx2 v[36:37], v[36:37] offset:3584
.LBB2005_65:
	s_or_b64 exec, exec, s[30:31]
	v_mov_b32_e32 v42, 0
	v_mov_b32_e32 v44, 0
	v_mov_b32_e32 v45, 0
	s_and_saveexec_b64 s[28:29], s[26:27]
	s_cbranch_execz .LBB2005_67
; %bb.66:
	v_lshlrev_b32_e32 v43, 3, v43
	v_add_co_u32_e64 v44, s[26:27], v1, v43
	v_addc_co_u32_e64 v45, s[26:27], 0, v78, s[26:27]
	flat_load_dwordx2 v[44:45], v[44:45]
.LBB2005_67:
	s_or_b64 exec, exec, s[28:29]
	v_mov_b32_e32 v43, 0
	s_and_saveexec_b64 s[26:27], s[24:25]
	s_cbranch_execz .LBB2005_69
; %bb.68:
	v_lshlrev_b32_e32 v42, 3, v46
	v_add_co_u32_e64 v42, s[24:25], v1, v42
	v_addc_co_u32_e64 v43, s[24:25], 0, v78, s[24:25]
	flat_load_dwordx2 v[42:43], v[42:43]
.LBB2005_69:
	s_or_b64 exec, exec, s[26:27]
	v_mov_b32_e32 v46, 0
	v_mov_b32_e32 v48, 0
	v_mov_b32_e32 v49, 0
	s_and_saveexec_b64 s[24:25], s[22:23]
	s_cbranch_execz .LBB2005_71
; %bb.70:
	v_lshlrev_b32_e32 v47, 3, v47
	v_add_co_u32_e64 v48, s[22:23], v1, v47
	v_addc_co_u32_e64 v49, s[22:23], 0, v78, s[22:23]
	flat_load_dwordx2 v[48:49], v[48:49]
.LBB2005_71:
	s_or_b64 exec, exec, s[24:25]
	v_mov_b32_e32 v47, 0
	s_and_saveexec_b64 s[22:23], s[20:21]
	s_cbranch_execz .LBB2005_73
; %bb.72:
	v_lshlrev_b32_e32 v46, 3, v50
	v_add_co_u32_e64 v46, s[20:21], v1, v46
	v_addc_co_u32_e64 v47, s[20:21], 0, v78, s[20:21]
	flat_load_dwordx2 v[46:47], v[46:47]
.LBB2005_73:
	;; [unrolled: 22-line block ×6, first 2 shown]
	s_or_b64 exec, exec, s[6:7]
	v_mul_u32_u24_e32 v80, 21, v0
	v_mov_b32_e32 v68, 0
	v_mov_b32_e32 v66, 0
	;; [unrolled: 1-line block ×3, first 2 shown]
	s_and_saveexec_b64 s[4:5], vcc
	s_cbranch_execz .LBB2005_91
; %bb.90:
	v_lshlrev_b32_e32 v66, 3, v69
	v_add_co_u32_e32 v66, vcc, v1, v66
	v_addc_co_u32_e32 v67, vcc, 0, v78, vcc
	flat_load_dwordx2 v[66:67], v[66:67]
.LBB2005_91:
	s_or_b64 exec, exec, s[4:5]
	v_lshl_add_u32 v82, v0, 2, v70
	s_waitcnt vmcnt(0) lgkmcnt(0)
	ds_write2st64_b64 v82, v[4:5], v[2:3] offset1:1
	ds_write2st64_b64 v82, v[30:31], v[28:29] offset0:2 offset1:3
	ds_write2st64_b64 v82, v[34:35], v[32:33] offset0:4 offset1:5
	;; [unrolled: 1-line block ×9, first 2 shown]
	ds_write_b64 v82, v[66:67] offset:10240
	v_cmp_gt_u32_e32 vcc, s66, v80
	s_mov_b64 s[4:5], 0
	s_mov_b32 s68, 0
	v_pk_mov_b32 v[42:43], 0, 0
	s_mov_b64 s[10:11], 0
	v_mov_b32_e32 v52, 0
	v_mov_b32_e32 v44, 0
	v_mov_b32_e32 v105, 0
	v_mov_b32_e32 v121, 0
	v_mov_b32_e32 v113, 0
	v_mov_b32_e32 v114, 0
	v_mov_b32_e32 v120, 0
	v_mov_b32_e32 v111, 0
	v_mov_b32_e32 v112, 0
	v_mov_b32_e32 v119, 0
	v_mov_b32_e32 v108, 0
	v_mov_b32_e32 v110, 0
	v_mov_b32_e32 v118, 0
	v_mov_b32_e32 v106, 0
	v_mov_b32_e32 v107, 0
	v_mov_b32_e32 v117, 0
	v_mov_b32_e32 v102, 0
	v_mov_b32_e32 v103, 0
	v_mov_b32_e32 v116, 0
	v_mov_b32_e32 v100, 0
	v_mov_b32_e32 v101, 0
	v_mov_b32_e32 v115, 0
	v_mov_b32_e32 v77, 0
	v_mov_b32_e32 v98, 0
	v_mov_b32_e32 v109, 0
	v_mov_b32_e32 v74, 0
	v_mov_b32_e32 v75, 0
	v_mov_b32_e32 v104, 0
	v_mov_b32_e32 v72, 0
	v_mov_b32_e32 v73, 0
	v_mov_b32_e32 v99, 0
	v_mov_b32_e32 v69, 0
	v_mov_b32_e32 v70, 0
	v_mov_b32_e32 v76, 0
	v_mov_b32_e32 v65, 0
	v_mov_b32_e32 v66, 0
	v_mov_b32_e32 v71, 0
	v_mov_b32_e32 v62, 0
	v_mov_b32_e32 v63, 0
	v_mov_b32_e32 v67, 0
	v_mov_b32_e32 v59, 0
	v_mov_b32_e32 v60, 0
	v_mov_b32_e32 v64, 0
	v_mov_b32_e32 v57, 0
	v_mov_b32_e32 v58, 0
	v_mov_b32_e32 v61, 0
	v_mov_b32_e32 v54, 0
	v_mov_b32_e32 v55, 0
	v_mov_b32_e32 v56, 0
	v_mov_b32_e32 v50, 0
	v_mov_b32_e32 v51, 0
	v_mov_b32_e32 v53, 0
	v_mov_b32_e32 v47, 0
	v_mov_b32_e32 v48, 0
	v_mov_b32_e32 v49, 0
	v_mov_b32_e32 v45, 0
	v_mov_b32_e32 v46, 0
	s_waitcnt lgkmcnt(0)
	; wave barrier
	s_waitcnt lgkmcnt(0)
                                        ; implicit-def: $sgpr8_sgpr9
                                        ; implicit-def: $vgpr2_vgpr3
	s_and_saveexec_b64 s[6:7], vcc
	s_cbranch_execz .LBB2005_133
; %bb.92:
	s_movk_i32 s8, 0xa0
	v_mad_u32_u24 v2, v0, s8, v82
	ds_read_b64 v[2:3], v2
	v_add_u32_e32 v4, 1, v80
	v_mov_b32_e32 v5, s63
	v_mov_b32_e32 v28, s62
	v_cmp_ne_u32_e32 vcc, v81, v26
	s_waitcnt lgkmcnt(0)
	v_cndmask_b32_e32 v43, v3, v5, vcc
	v_cndmask_b32_e32 v42, v2, v28, vcc
	v_cndmask_b32_e64 v68, 0, 1, vcc
	v_cmp_gt_u32_e32 vcc, s66, v4
	v_mov_b32_e32 v52, 0
	v_mov_b32_e32 v44, 0
	;; [unrolled: 1-line block ×57, first 2 shown]
                                        ; implicit-def: $sgpr12_sgpr13
                                        ; implicit-def: $vgpr2_vgpr3
	s_and_saveexec_b64 s[8:9], vcc
	s_cbranch_execz .LBB2005_132
; %bb.93:
	v_mul_u32_u24_e32 v2, 0xa0, v0
	v_add_u32_e32 v28, v82, v2
	ds_read2_b64 v[2:5], v28 offset0:1 offset1:2
	v_cmp_ne_u32_e32 vcc, v26, v27
	v_mov_b32_e32 v26, s62
	v_add_u32_e32 v29, 2, v80
	v_cndmask_b32_e64 v49, 0, 1, vcc
	s_waitcnt lgkmcnt(0)
	v_cndmask_b32_e32 v46, v2, v26, vcc
	v_mov_b32_e32 v2, s63
	v_cndmask_b32_e32 v45, v3, v2, vcc
	v_cmp_gt_u32_e32 vcc, s66, v29
	s_mov_b64 s[14:15], 0
	v_mov_b32_e32 v52, 0
	v_mov_b32_e32 v44, 0
	v_mov_b32_e32 v105, 0
	v_mov_b32_e32 v121, 0
	v_mov_b32_e32 v113, 0
	v_mov_b32_e32 v114, 0
	v_mov_b32_e32 v120, 0
	v_mov_b32_e32 v111, 0
	v_mov_b32_e32 v112, 0
	v_mov_b32_e32 v119, 0
	v_mov_b32_e32 v108, 0
	v_mov_b32_e32 v110, 0
	v_mov_b32_e32 v118, 0
	v_mov_b32_e32 v106, 0
	v_mov_b32_e32 v107, 0
	v_mov_b32_e32 v117, 0
	v_mov_b32_e32 v102, 0
	v_mov_b32_e32 v103, 0
	v_mov_b32_e32 v116, 0
	v_mov_b32_e32 v100, 0
	v_mov_b32_e32 v101, 0
	v_mov_b32_e32 v115, 0
	v_mov_b32_e32 v77, 0
	v_mov_b32_e32 v98, 0
	v_mov_b32_e32 v109, 0
	v_mov_b32_e32 v74, 0
	v_mov_b32_e32 v75, 0
	v_mov_b32_e32 v104, 0
	v_mov_b32_e32 v72, 0
	v_mov_b32_e32 v73, 0
	v_mov_b32_e32 v99, 0
	v_mov_b32_e32 v69, 0
	v_mov_b32_e32 v70, 0
	v_mov_b32_e32 v76, 0
	v_mov_b32_e32 v65, 0
	v_mov_b32_e32 v66, 0
	v_mov_b32_e32 v71, 0
	v_mov_b32_e32 v62, 0
	v_mov_b32_e32 v63, 0
	v_mov_b32_e32 v67, 0
	v_mov_b32_e32 v59, 0
	v_mov_b32_e32 v60, 0
	v_mov_b32_e32 v64, 0
	v_mov_b32_e32 v57, 0
	v_mov_b32_e32 v58, 0
	v_mov_b32_e32 v61, 0
	v_mov_b32_e32 v54, 0
	v_mov_b32_e32 v55, 0
	v_mov_b32_e32 v56, 0
	v_mov_b32_e32 v50, 0
	v_mov_b32_e32 v51, 0
	v_mov_b32_e32 v53, 0
	v_mov_b32_e32 v47, 0
	v_mov_b32_e32 v48, 0
                                        ; implicit-def: $sgpr12_sgpr13
                                        ; implicit-def: $vgpr2_vgpr3
	s_and_saveexec_b64 s[10:11], vcc
	s_cbranch_execz .LBB2005_131
; %bb.94:
	v_cmp_ne_u32_e32 vcc, v27, v24
	v_mov_b32_e32 v3, s62
	v_add_u32_e32 v2, 3, v80
	v_cndmask_b32_e32 v48, v4, v3, vcc
	v_mov_b32_e32 v3, s63
	v_cndmask_b32_e64 v53, 0, 1, vcc
	v_cndmask_b32_e32 v47, v5, v3, vcc
	v_cmp_gt_u32_e32 vcc, s66, v2
	v_mov_b32_e32 v52, 0
	v_mov_b32_e32 v44, 0
	;; [unrolled: 1-line block ×51, first 2 shown]
                                        ; implicit-def: $sgpr16_sgpr17
                                        ; implicit-def: $vgpr2_vgpr3
	s_and_saveexec_b64 s[12:13], vcc
	s_cbranch_execz .LBB2005_130
; %bb.95:
	ds_read2_b64 v[2:5], v28 offset0:3 offset1:4
	v_cmp_ne_u32_e32 vcc, v24, v25
	v_mov_b32_e32 v24, s62
	v_add_u32_e32 v26, 4, v80
	v_cndmask_b32_e64 v56, 0, 1, vcc
	s_waitcnt lgkmcnt(0)
	v_cndmask_b32_e32 v51, v2, v24, vcc
	v_mov_b32_e32 v2, s63
	v_cndmask_b32_e32 v50, v3, v2, vcc
	v_cmp_gt_u32_e32 vcc, s66, v26
	s_mov_b64 s[18:19], 0
	v_mov_b32_e32 v52, 0
	v_mov_b32_e32 v44, 0
	;; [unrolled: 1-line block ×48, first 2 shown]
                                        ; implicit-def: $sgpr16_sgpr17
                                        ; implicit-def: $vgpr2_vgpr3
	s_and_saveexec_b64 s[14:15], vcc
	s_cbranch_execz .LBB2005_129
; %bb.96:
	v_cmp_ne_u32_e32 vcc, v25, v22
	v_mov_b32_e32 v3, s62
	v_add_u32_e32 v2, 5, v80
	v_cndmask_b32_e32 v55, v4, v3, vcc
	v_mov_b32_e32 v3, s63
	v_cndmask_b32_e64 v61, 0, 1, vcc
	v_cndmask_b32_e32 v54, v5, v3, vcc
	v_cmp_gt_u32_e32 vcc, s66, v2
	v_mov_b32_e32 v52, 0
	v_mov_b32_e32 v44, 0
	;; [unrolled: 1-line block ×45, first 2 shown]
                                        ; implicit-def: $sgpr20_sgpr21
                                        ; implicit-def: $vgpr2_vgpr3
	s_and_saveexec_b64 s[16:17], vcc
	s_cbranch_execz .LBB2005_128
; %bb.97:
	ds_read2_b64 v[2:5], v28 offset0:5 offset1:6
	v_cmp_ne_u32_e32 vcc, v22, v23
	v_mov_b32_e32 v22, s62
	v_add_u32_e32 v24, 6, v80
	v_cndmask_b32_e64 v64, 0, 1, vcc
	s_waitcnt lgkmcnt(0)
	v_cndmask_b32_e32 v58, v2, v22, vcc
	v_mov_b32_e32 v2, s63
	v_cndmask_b32_e32 v57, v3, v2, vcc
	v_cmp_gt_u32_e32 vcc, s66, v24
	s_mov_b64 s[22:23], 0
	v_mov_b32_e32 v52, 0
	v_mov_b32_e32 v44, 0
	;; [unrolled: 1-line block ×42, first 2 shown]
                                        ; implicit-def: $sgpr20_sgpr21
                                        ; implicit-def: $vgpr2_vgpr3
	s_and_saveexec_b64 s[18:19], vcc
	s_cbranch_execz .LBB2005_127
; %bb.98:
	v_cmp_ne_u32_e32 vcc, v23, v20
	v_mov_b32_e32 v3, s62
	v_add_u32_e32 v2, 7, v80
	v_cndmask_b32_e32 v60, v4, v3, vcc
	v_mov_b32_e32 v3, s63
	v_cndmask_b32_e64 v67, 0, 1, vcc
	v_cndmask_b32_e32 v59, v5, v3, vcc
	v_cmp_gt_u32_e32 vcc, s66, v2
	v_mov_b32_e32 v52, 0
	v_mov_b32_e32 v44, 0
	;; [unrolled: 1-line block ×39, first 2 shown]
                                        ; implicit-def: $sgpr24_sgpr25
                                        ; implicit-def: $vgpr2_vgpr3
	s_and_saveexec_b64 s[20:21], vcc
	s_cbranch_execz .LBB2005_126
; %bb.99:
	ds_read2_b64 v[2:5], v28 offset0:7 offset1:8
	v_cmp_ne_u32_e32 vcc, v20, v21
	v_mov_b32_e32 v20, s62
	v_add_u32_e32 v22, 8, v80
	v_cndmask_b32_e64 v71, 0, 1, vcc
	s_waitcnt lgkmcnt(0)
	v_cndmask_b32_e32 v63, v2, v20, vcc
	v_mov_b32_e32 v2, s63
	v_cndmask_b32_e32 v62, v3, v2, vcc
	v_cmp_gt_u32_e32 vcc, s66, v22
	s_mov_b64 s[26:27], 0
	v_mov_b32_e32 v52, 0
	v_mov_b32_e32 v44, 0
	;; [unrolled: 1-line block ×36, first 2 shown]
                                        ; implicit-def: $sgpr24_sgpr25
                                        ; implicit-def: $vgpr2_vgpr3
	s_and_saveexec_b64 s[22:23], vcc
	s_cbranch_execz .LBB2005_125
; %bb.100:
	v_cmp_ne_u32_e32 vcc, v21, v18
	v_mov_b32_e32 v3, s62
	v_add_u32_e32 v2, 9, v80
	v_cndmask_b32_e32 v66, v4, v3, vcc
	v_mov_b32_e32 v3, s63
	v_cndmask_b32_e64 v76, 0, 1, vcc
	v_cndmask_b32_e32 v65, v5, v3, vcc
	v_cmp_gt_u32_e32 vcc, s66, v2
	v_mov_b32_e32 v52, 0
	v_mov_b32_e32 v44, 0
	v_mov_b32_e32 v105, 0
	v_mov_b32_e32 v121, 0
	v_mov_b32_e32 v113, 0
	v_mov_b32_e32 v114, 0
	v_mov_b32_e32 v120, 0
	v_mov_b32_e32 v111, 0
	v_mov_b32_e32 v112, 0
	v_mov_b32_e32 v119, 0
	v_mov_b32_e32 v108, 0
	v_mov_b32_e32 v110, 0
	v_mov_b32_e32 v118, 0
	v_mov_b32_e32 v106, 0
	v_mov_b32_e32 v107, 0
	v_mov_b32_e32 v117, 0
	v_mov_b32_e32 v102, 0
	v_mov_b32_e32 v103, 0
	v_mov_b32_e32 v116, 0
	v_mov_b32_e32 v100, 0
	v_mov_b32_e32 v101, 0
	v_mov_b32_e32 v115, 0
	v_mov_b32_e32 v77, 0
	v_mov_b32_e32 v98, 0
	v_mov_b32_e32 v109, 0
	v_mov_b32_e32 v74, 0
	v_mov_b32_e32 v75, 0
	v_mov_b32_e32 v104, 0
	v_mov_b32_e32 v72, 0
	v_mov_b32_e32 v73, 0
	v_mov_b32_e32 v99, 0
	v_mov_b32_e32 v69, 0
	v_mov_b32_e32 v70, 0
                                        ; implicit-def: $sgpr28_sgpr29
                                        ; implicit-def: $vgpr2_vgpr3
	s_and_saveexec_b64 s[24:25], vcc
	s_cbranch_execz .LBB2005_124
; %bb.101:
	ds_read2_b64 v[2:5], v28 offset0:9 offset1:10
	v_cmp_ne_u32_e32 vcc, v18, v19
	v_mov_b32_e32 v18, s62
	v_add_u32_e32 v20, 10, v80
	v_cndmask_b32_e64 v99, 0, 1, vcc
	s_waitcnt lgkmcnt(0)
	v_cndmask_b32_e32 v70, v2, v18, vcc
	v_mov_b32_e32 v2, s63
	v_cndmask_b32_e32 v69, v3, v2, vcc
	v_cmp_gt_u32_e32 vcc, s66, v20
	s_mov_b64 s[30:31], 0
	v_mov_b32_e32 v52, 0
	v_mov_b32_e32 v44, 0
	;; [unrolled: 1-line block ×30, first 2 shown]
                                        ; implicit-def: $sgpr28_sgpr29
                                        ; implicit-def: $vgpr2_vgpr3
	s_and_saveexec_b64 s[26:27], vcc
	s_cbranch_execz .LBB2005_123
; %bb.102:
	v_cmp_ne_u32_e32 vcc, v19, v16
	v_mov_b32_e32 v3, s62
	v_add_u32_e32 v2, 11, v80
	v_cndmask_b32_e32 v73, v4, v3, vcc
	v_mov_b32_e32 v3, s63
	v_cndmask_b32_e64 v104, 0, 1, vcc
	v_cndmask_b32_e32 v72, v5, v3, vcc
	v_cmp_gt_u32_e32 vcc, s66, v2
	v_mov_b32_e32 v52, 0
	v_mov_b32_e32 v44, 0
	;; [unrolled: 1-line block ×27, first 2 shown]
                                        ; implicit-def: $sgpr34_sgpr35
                                        ; implicit-def: $vgpr2_vgpr3
	s_and_saveexec_b64 s[28:29], vcc
	s_cbranch_execz .LBB2005_122
; %bb.103:
	ds_read2_b64 v[2:5], v28 offset0:11 offset1:12
	v_cmp_ne_u32_e32 vcc, v16, v17
	v_mov_b32_e32 v16, s62
	v_add_u32_e32 v18, 12, v80
	v_cndmask_b32_e64 v109, 0, 1, vcc
	s_waitcnt lgkmcnt(0)
	v_cndmask_b32_e32 v75, v2, v16, vcc
	v_mov_b32_e32 v2, s63
	v_cndmask_b32_e32 v74, v3, v2, vcc
	v_cmp_gt_u32_e32 vcc, s66, v18
	s_mov_b64 s[36:37], 0
	v_mov_b32_e32 v52, 0
	v_mov_b32_e32 v44, 0
	;; [unrolled: 1-line block ×24, first 2 shown]
                                        ; implicit-def: $sgpr34_sgpr35
                                        ; implicit-def: $vgpr2_vgpr3
	s_and_saveexec_b64 s[30:31], vcc
	s_cbranch_execz .LBB2005_121
; %bb.104:
	v_cmp_ne_u32_e32 vcc, v17, v14
	v_mov_b32_e32 v3, s62
	v_add_u32_e32 v2, 13, v80
	v_cndmask_b32_e32 v98, v4, v3, vcc
	v_mov_b32_e32 v3, s63
	v_cndmask_b32_e64 v115, 0, 1, vcc
	v_cndmask_b32_e32 v77, v5, v3, vcc
	v_cmp_gt_u32_e32 vcc, s66, v2
	v_mov_b32_e32 v52, 0
	v_mov_b32_e32 v44, 0
	v_mov_b32_e32 v105, 0
	v_mov_b32_e32 v121, 0
	v_mov_b32_e32 v113, 0
	v_mov_b32_e32 v114, 0
	v_mov_b32_e32 v120, 0
	v_mov_b32_e32 v111, 0
	v_mov_b32_e32 v112, 0
	v_mov_b32_e32 v119, 0
	v_mov_b32_e32 v108, 0
	v_mov_b32_e32 v110, 0
	v_mov_b32_e32 v118, 0
	v_mov_b32_e32 v106, 0
	v_mov_b32_e32 v107, 0
	v_mov_b32_e32 v117, 0
	v_mov_b32_e32 v102, 0
	v_mov_b32_e32 v103, 0
	v_mov_b32_e32 v116, 0
	v_mov_b32_e32 v100, 0
	v_mov_b32_e32 v101, 0
                                        ; implicit-def: $sgpr38_sgpr39
                                        ; implicit-def: $vgpr2_vgpr3
	s_and_saveexec_b64 s[34:35], vcc
	s_cbranch_execz .LBB2005_120
; %bb.105:
	ds_read2_b64 v[2:5], v28 offset0:13 offset1:14
	v_cmp_ne_u32_e32 vcc, v14, v15
	v_mov_b32_e32 v14, s62
	v_add_u32_e32 v16, 14, v80
	v_cndmask_b32_e64 v116, 0, 1, vcc
	s_waitcnt lgkmcnt(0)
	v_cndmask_b32_e32 v101, v2, v14, vcc
	v_mov_b32_e32 v2, s63
	v_cndmask_b32_e32 v100, v3, v2, vcc
	v_cmp_gt_u32_e32 vcc, s66, v16
	s_mov_b64 s[40:41], 0
	v_mov_b32_e32 v52, 0
	v_mov_b32_e32 v44, 0
	;; [unrolled: 1-line block ×18, first 2 shown]
                                        ; implicit-def: $sgpr38_sgpr39
                                        ; implicit-def: $vgpr2_vgpr3
	s_and_saveexec_b64 s[36:37], vcc
	s_cbranch_execz .LBB2005_119
; %bb.106:
	v_cmp_ne_u32_e32 vcc, v15, v12
	v_mov_b32_e32 v3, s62
	v_add_u32_e32 v2, 15, v80
	v_cndmask_b32_e32 v103, v4, v3, vcc
	v_mov_b32_e32 v3, s63
	v_cndmask_b32_e64 v117, 0, 1, vcc
	v_cndmask_b32_e32 v102, v5, v3, vcc
	v_cmp_gt_u32_e32 vcc, s66, v2
	v_mov_b32_e32 v52, 0
	v_mov_b32_e32 v44, 0
	;; [unrolled: 1-line block ×15, first 2 shown]
                                        ; implicit-def: $sgpr42_sgpr43
                                        ; implicit-def: $vgpr2_vgpr3
	s_and_saveexec_b64 s[38:39], vcc
	s_cbranch_execz .LBB2005_118
; %bb.107:
	ds_read2_b64 v[2:5], v28 offset0:15 offset1:16
	v_cmp_ne_u32_e32 vcc, v12, v13
	v_mov_b32_e32 v12, s62
	v_add_u32_e32 v14, 16, v80
	v_cndmask_b32_e64 v118, 0, 1, vcc
	s_waitcnt lgkmcnt(0)
	v_cndmask_b32_e32 v107, v2, v12, vcc
	v_mov_b32_e32 v2, s63
	v_cndmask_b32_e32 v106, v3, v2, vcc
	v_cmp_gt_u32_e32 vcc, s66, v14
	s_mov_b64 s[44:45], 0
	v_mov_b32_e32 v52, 0
	v_mov_b32_e32 v44, 0
	;; [unrolled: 1-line block ×12, first 2 shown]
                                        ; implicit-def: $sgpr42_sgpr43
                                        ; implicit-def: $vgpr2_vgpr3
	s_and_saveexec_b64 s[40:41], vcc
	s_cbranch_execz .LBB2005_117
; %bb.108:
	v_cmp_ne_u32_e32 vcc, v13, v10
	v_mov_b32_e32 v3, s62
	v_add_u32_e32 v2, 17, v80
	v_cndmask_b32_e32 v110, v4, v3, vcc
	v_mov_b32_e32 v3, s63
	v_cndmask_b32_e64 v119, 0, 1, vcc
	v_cndmask_b32_e32 v108, v5, v3, vcc
	v_cmp_gt_u32_e32 vcc, s66, v2
	v_mov_b32_e32 v52, 0
	v_mov_b32_e32 v44, 0
	;; [unrolled: 1-line block ×9, first 2 shown]
                                        ; implicit-def: $sgpr46_sgpr47
                                        ; implicit-def: $vgpr2_vgpr3
	s_and_saveexec_b64 s[42:43], vcc
	s_cbranch_execz .LBB2005_116
; %bb.109:
	ds_read2_b64 v[2:5], v28 offset0:17 offset1:18
	v_cmp_ne_u32_e32 vcc, v10, v11
	v_mov_b32_e32 v10, s62
	v_add_u32_e32 v12, 18, v80
	v_cndmask_b32_e64 v120, 0, 1, vcc
	s_waitcnt lgkmcnt(0)
	v_cndmask_b32_e32 v112, v2, v10, vcc
	v_mov_b32_e32 v2, s63
	v_cndmask_b32_e32 v111, v3, v2, vcc
	v_cmp_gt_u32_e32 vcc, s66, v12
	s_mov_b64 s[48:49], 0
	v_mov_b32_e32 v52, 0
	v_mov_b32_e32 v44, 0
	v_mov_b32_e32 v105, 0
	v_mov_b32_e32 v121, 0
	v_mov_b32_e32 v113, 0
	v_mov_b32_e32 v114, 0
                                        ; implicit-def: $sgpr46_sgpr47
                                        ; implicit-def: $vgpr2_vgpr3
	s_and_saveexec_b64 s[44:45], vcc
	s_cbranch_execz .LBB2005_115
; %bb.110:
	v_cmp_ne_u32_e32 vcc, v11, v8
	v_mov_b32_e32 v3, s62
	v_add_u32_e32 v2, 19, v80
	v_cndmask_b32_e32 v114, v4, v3, vcc
	v_mov_b32_e32 v3, s63
	v_cndmask_b32_e64 v121, 0, 1, vcc
	v_cndmask_b32_e32 v113, v5, v3, vcc
	v_cmp_gt_u32_e32 vcc, s66, v2
	v_mov_b32_e32 v52, 0
	v_mov_b32_e32 v44, 0
	;; [unrolled: 1-line block ×3, first 2 shown]
                                        ; implicit-def: $sgpr56_sgpr57
                                        ; implicit-def: $vgpr2_vgpr3
	s_and_saveexec_b64 s[46:47], vcc
	s_cbranch_execz .LBB2005_114
; %bb.111:
	ds_read2_b64 v[2:5], v28 offset0:19 offset1:20
	v_cmp_ne_u32_e32 vcc, v8, v9
	v_mov_b32_e32 v8, s62
	v_add_u32_e32 v10, 20, v80
	v_cndmask_b32_e64 v52, 0, 1, vcc
	s_waitcnt lgkmcnt(0)
	v_cndmask_b32_e32 v105, v2, v8, vcc
	v_mov_b32_e32 v2, s63
	v_cndmask_b32_e32 v44, v3, v2, vcc
	v_cmp_gt_u32_e32 vcc, s66, v10
                                        ; implicit-def: $sgpr56_sgpr57
                                        ; implicit-def: $vgpr2_vgpr3
	s_and_saveexec_b64 s[66:67], vcc
	s_xor_b64 s[66:67], exec, s[66:67]
; %bb.112:
	v_mov_b32_e32 v2, s63
	v_cmp_ne_u32_e32 vcc, v9, v79
	v_cndmask_b32_e32 v3, v5, v2, vcc
	v_mov_b32_e32 v2, s62
	s_mov_b64 s[48:49], exec
	v_cndmask_b32_e32 v2, v4, v2, vcc
	s_and_b64 s[56:57], vcc, exec
; %bb.113:
	s_or_b64 exec, exec, s[66:67]
	s_and_b64 s[56:57], s[56:57], exec
	s_and_b64 s[48:49], s[48:49], exec
.LBB2005_114:
	s_or_b64 exec, exec, s[46:47]
	s_and_b64 s[46:47], s[56:57], exec
	s_and_b64 s[48:49], s[48:49], exec
.LBB2005_115:
	s_or_b64 exec, exec, s[44:45]
	s_and_b64 s[46:47], s[46:47], exec
	s_and_b64 s[44:45], s[48:49], exec
.LBB2005_116:
	s_or_b64 exec, exec, s[42:43]
	s_and_b64 s[42:43], s[46:47], exec
	s_and_b64 s[44:45], s[44:45], exec
.LBB2005_117:
	s_or_b64 exec, exec, s[40:41]
	s_and_b64 s[42:43], s[42:43], exec
	s_and_b64 s[40:41], s[44:45], exec
.LBB2005_118:
	s_or_b64 exec, exec, s[38:39]
	s_and_b64 s[38:39], s[42:43], exec
	s_and_b64 s[40:41], s[40:41], exec
.LBB2005_119:
	s_or_b64 exec, exec, s[36:37]
	s_and_b64 s[38:39], s[38:39], exec
	s_and_b64 s[36:37], s[40:41], exec
.LBB2005_120:
	s_or_b64 exec, exec, s[34:35]
	s_and_b64 s[34:35], s[38:39], exec
	s_and_b64 s[36:37], s[36:37], exec
.LBB2005_121:
	s_or_b64 exec, exec, s[30:31]
	s_and_b64 s[34:35], s[34:35], exec
	s_and_b64 s[30:31], s[36:37], exec
.LBB2005_122:
	s_or_b64 exec, exec, s[28:29]
	s_and_b64 s[28:29], s[34:35], exec
	s_and_b64 s[30:31], s[30:31], exec
.LBB2005_123:
	s_or_b64 exec, exec, s[26:27]
	s_and_b64 s[28:29], s[28:29], exec
	s_and_b64 s[26:27], s[30:31], exec
.LBB2005_124:
	s_or_b64 exec, exec, s[24:25]
	s_and_b64 s[24:25], s[28:29], exec
	s_and_b64 s[26:27], s[26:27], exec
.LBB2005_125:
	s_or_b64 exec, exec, s[22:23]
	s_and_b64 s[24:25], s[24:25], exec
	s_and_b64 s[22:23], s[26:27], exec
.LBB2005_126:
	s_or_b64 exec, exec, s[20:21]
	s_and_b64 s[20:21], s[24:25], exec
	s_and_b64 s[22:23], s[22:23], exec
.LBB2005_127:
	s_or_b64 exec, exec, s[18:19]
	s_and_b64 s[20:21], s[20:21], exec
	s_and_b64 s[18:19], s[22:23], exec
.LBB2005_128:
	s_or_b64 exec, exec, s[16:17]
	s_and_b64 s[16:17], s[20:21], exec
	s_and_b64 s[18:19], s[18:19], exec
.LBB2005_129:
	s_or_b64 exec, exec, s[14:15]
	s_and_b64 s[16:17], s[16:17], exec
	s_and_b64 s[14:15], s[18:19], exec
.LBB2005_130:
	s_or_b64 exec, exec, s[12:13]
	s_and_b64 s[12:13], s[16:17], exec
	s_and_b64 s[14:15], s[14:15], exec
.LBB2005_131:
	s_or_b64 exec, exec, s[10:11]
	s_and_b64 s[12:13], s[12:13], exec
	s_and_b64 s[10:11], s[14:15], exec
.LBB2005_132:
	s_or_b64 exec, exec, s[8:9]
	s_and_b64 s[8:9], s[12:13], exec
	s_and_b64 s[10:11], s[10:11], exec
.LBB2005_133:
	s_or_b64 exec, exec, s[6:7]
	s_mov_b32 s6, 0
	s_and_b64 vcc, exec, s[4:5]
	s_cbranch_vccnz .LBB2005_135
	s_branch .LBB2005_138
.LBB2005_134:
	s_mov_b64 s[10:11], 0
                                        ; implicit-def: $sgpr8_sgpr9
                                        ; implicit-def: $vgpr68
                                        ; implicit-def: $vgpr2_vgpr3
                                        ; implicit-def: $vgpr52
                                        ; implicit-def: $vgpr44
                                        ; implicit-def: $vgpr105
                                        ; implicit-def: $vgpr121
                                        ; implicit-def: $vgpr113
                                        ; implicit-def: $vgpr114
                                        ; implicit-def: $vgpr120
                                        ; implicit-def: $vgpr111
                                        ; implicit-def: $vgpr112
                                        ; implicit-def: $vgpr119
                                        ; implicit-def: $vgpr108
                                        ; implicit-def: $vgpr110
                                        ; implicit-def: $vgpr118
                                        ; implicit-def: $vgpr106
                                        ; implicit-def: $vgpr107
                                        ; implicit-def: $vgpr117
                                        ; implicit-def: $vgpr102
                                        ; implicit-def: $vgpr103
                                        ; implicit-def: $vgpr116
                                        ; implicit-def: $vgpr100
                                        ; implicit-def: $vgpr101
                                        ; implicit-def: $vgpr115
                                        ; implicit-def: $vgpr77
                                        ; implicit-def: $vgpr98
                                        ; implicit-def: $vgpr109
                                        ; implicit-def: $vgpr74
                                        ; implicit-def: $vgpr75
                                        ; implicit-def: $vgpr104
                                        ; implicit-def: $vgpr72
                                        ; implicit-def: $vgpr73
                                        ; implicit-def: $vgpr99
                                        ; implicit-def: $vgpr69
                                        ; implicit-def: $vgpr70
                                        ; implicit-def: $vgpr76
                                        ; implicit-def: $vgpr65
                                        ; implicit-def: $vgpr66
                                        ; implicit-def: $vgpr71
                                        ; implicit-def: $vgpr62
                                        ; implicit-def: $vgpr63
                                        ; implicit-def: $vgpr67
                                        ; implicit-def: $vgpr59
                                        ; implicit-def: $vgpr60
                                        ; implicit-def: $vgpr64
                                        ; implicit-def: $vgpr57
                                        ; implicit-def: $vgpr58
                                        ; implicit-def: $vgpr61
                                        ; implicit-def: $vgpr54
                                        ; implicit-def: $vgpr55
                                        ; implicit-def: $vgpr56
                                        ; implicit-def: $vgpr50
                                        ; implicit-def: $vgpr51
                                        ; implicit-def: $vgpr53
                                        ; implicit-def: $vgpr47
                                        ; implicit-def: $vgpr48
                                        ; implicit-def: $vgpr49
                                        ; implicit-def: $vgpr45
                                        ; implicit-def: $vgpr46
                                        ; implicit-def: $vgpr42_vgpr43
                                        ; implicit-def: $sgpr6
                                        ; implicit-def: $sgpr68
	s_and_b64 vcc, exec, s[4:5]
	s_cbranch_vccz .LBB2005_138
.LBB2005_135:
	v_lshlrev_b32_e32 v25, 2, v0
	v_add_co_u32_e32 v2, vcc, v6, v25
	v_addc_co_u32_e32 v3, vcc, 0, v7, vcc
	s_movk_i32 s6, 0x1000
	flat_load_dword v4, v[2:3]
	flat_load_dword v5, v[2:3] offset:256
	flat_load_dword v8, v[2:3] offset:512
	;; [unrolled: 1-line block ×15, first 2 shown]
	v_add_co_u32_e32 v2, vcc, s6, v2
	v_addc_co_u32_e32 v3, vcc, 0, v3, vcc
	flat_load_dword v22, v[2:3]
	flat_load_dword v23, v[2:3] offset:256
	flat_load_dword v24, v[2:3] offset:512
	;; [unrolled: 1-line block ×4, first 2 shown]
	v_add_co_u32_e32 v2, vcc, 0x1000, v6
	v_addc_co_u32_e32 v3, vcc, 0, v7, vcc
	s_movk_i32 s4, 0x50
	v_cmp_ne_u32_e32 vcc, 63, v0
	s_waitcnt vmcnt(0) lgkmcnt(0)
	ds_write2st64_b32 v25, v4, v5 offset1:1
	ds_write2st64_b32 v25, v8, v9 offset0:2 offset1:3
	ds_write2st64_b32 v25, v10, v11 offset0:4 offset1:5
	;; [unrolled: 1-line block ×9, first 2 shown]
	ds_write_b32 v25, v27 offset:5120
	s_waitcnt lgkmcnt(0)
	; wave barrier
	s_waitcnt lgkmcnt(0)
	flat_load_dword v22, v[2:3] offset:1280
	v_mad_u32_u24 v24, v0, s4, v25
	s_movk_i32 s4, 0xffb0
	ds_read_b32 v23, v24
	ds_read2_b32 v[4:5], v24 offset0:1 offset1:2
	ds_read2_b32 v[20:21], v24 offset0:3 offset1:4
	;; [unrolled: 1-line block ×10, first 2 shown]
	v_mad_i32_i24 v24, v0, s4, v24
	s_waitcnt lgkmcnt(0)
	ds_write_b32 v24, v23 offset:5632
	s_waitcnt lgkmcnt(0)
	; wave barrier
	s_waitcnt lgkmcnt(0)
	s_and_saveexec_b64 s[4:5], vcc
	s_cbranch_execz .LBB2005_137
; %bb.136:
	s_waitcnt vmcnt(0)
	ds_read_b32 v22, v25 offset:5636
.LBB2005_137:
	s_or_b64 exec, exec, s[4:5]
	v_lshlrev_b32_e32 v25, 3, v0
	v_add_co_u32_e32 v26, vcc, v1, v25
	v_addc_co_u32_e32 v27, vcc, 0, v78, vcc
	v_add_co_u32_e32 v46, vcc, s6, v26
	v_addc_co_u32_e32 v47, vcc, 0, v27, vcc
	s_movk_i32 s4, 0x2000
	s_waitcnt lgkmcnt(0)
	; wave barrier
	s_waitcnt lgkmcnt(0)
	flat_load_dwordx2 v[28:29], v[26:27]
	flat_load_dwordx2 v[30:31], v[26:27] offset:512
	flat_load_dwordx2 v[32:33], v[26:27] offset:1024
	flat_load_dwordx2 v[34:35], v[26:27] offset:1536
	flat_load_dwordx2 v[36:37], v[26:27] offset:2048
	flat_load_dwordx2 v[38:39], v[26:27] offset:2560
	flat_load_dwordx2 v[42:43], v[26:27] offset:3072
	flat_load_dwordx2 v[44:45], v[26:27] offset:3584
	v_add_co_u32_e32 v26, vcc, s4, v26
	v_addc_co_u32_e32 v27, vcc, 0, v27, vcc
	flat_load_dwordx2 v[50:51], v[46:47]
	flat_load_dwordx2 v[54:55], v[46:47] offset:512
	flat_load_dwordx2 v[58:59], v[46:47] offset:1024
	;; [unrolled: 1-line block ×7, first 2 shown]
	s_nop 0
	flat_load_dwordx2 v[46:47], v[26:27]
	flat_load_dwordx2 v[80:81], v[26:27] offset:512
	flat_load_dwordx2 v[82:83], v[26:27] offset:1024
	flat_load_dwordx2 v[84:85], v[26:27] offset:1536
	flat_load_dwordx2 v[86:87], v[26:27] offset:2048
	v_lshl_add_u32 v1, v0, 2, v24
	s_movk_i32 s42, 0xa0
	v_cmp_ne_u32_e64 s[4:5], v5, v20
	v_cmp_ne_u32_e64 s[6:7], v20, v21
	;; [unrolled: 1-line block ×18, first 2 shown]
	v_mov_b32_e32 v2, s62
	v_cmp_ne_u32_e32 vcc, v4, v5
	v_cndmask_b32_e64 v61, 0, 1, s[8:9]
	v_cndmask_b32_e64 v49, 0, 1, vcc
	v_cndmask_b32_e64 v53, 0, 1, s[4:5]
	v_cndmask_b32_e64 v56, 0, 1, s[6:7]
	;; [unrolled: 1-line block ×17, first 2 shown]
                                        ; implicit-def: $sgpr68
	s_waitcnt vmcnt(0) lgkmcnt(0)
	ds_write2st64_b64 v1, v[28:29], v[30:31] offset1:1
	ds_write2st64_b64 v1, v[32:33], v[34:35] offset0:2 offset1:3
	ds_write2st64_b64 v1, v[36:37], v[38:39] offset0:4 offset1:5
	;; [unrolled: 1-line block ×9, first 2 shown]
	ds_write_b64 v1, v[86:87] offset:10240
	v_mad_u32_u24 v1, v0, s42, v1
	s_waitcnt lgkmcnt(0)
	; wave barrier
	s_waitcnt lgkmcnt(0)
	ds_read2_b64 v[6:9], v1 offset1:1
	ds_read2_b64 v[10:13], v1 offset0:2 offset1:3
	ds_read2_b64 v[14:17], v1 offset0:4 offset1:5
	;; [unrolled: 1-line block ×9, first 2 shown]
	ds_read_b64 v[86:87], v1 offset:160
	v_mov_b32_e32 v1, s63
	v_cmp_ne_u32_e64 s[42:43], v23, v4
	s_waitcnt lgkmcnt(8)
	v_cndmask_b32_e64 v55, v14, v2, s[8:9]
	v_cndmask_b32_e64 v54, v15, v1, s[8:9]
	v_cmp_ne_u32_e64 s[8:9], v3, v22
	v_cndmask_b32_e64 v43, v7, v1, s[42:43]
	v_cndmask_b32_e64 v42, v6, v2, s[42:43]
	;; [unrolled: 1-line block ×3, first 2 shown]
	v_cndmask_b32_e32 v46, v8, v2, vcc
	v_cndmask_b32_e32 v45, v9, v1, vcc
	v_cndmask_b32_e64 v48, v10, v2, s[4:5]
	v_cndmask_b32_e64 v47, v11, v1, s[4:5]
	;; [unrolled: 1-line block ×6, first 2 shown]
	s_waitcnt lgkmcnt(7)
	v_cndmask_b32_e64 v60, v18, v2, s[12:13]
	v_cndmask_b32_e64 v59, v19, v1, s[12:13]
	v_cndmask_b32_e64 v63, v20, v2, s[14:15]
	v_cndmask_b32_e64 v62, v21, v1, s[14:15]
	s_waitcnt lgkmcnt(6)
	v_cndmask_b32_e64 v66, v24, v2, s[16:17]
	v_cndmask_b32_e64 v65, v25, v1, s[16:17]
	v_cndmask_b32_e64 v70, v26, v2, s[18:19]
	v_cndmask_b32_e64 v69, v27, v1, s[18:19]
	;; [unrolled: 5-line block ×7, first 2 shown]
	s_waitcnt lgkmcnt(0)
	v_cndmask_b32_e64 v3, v87, v1, s[8:9]
	v_cndmask_b32_e64 v2, v86, v2, s[8:9]
	s_mov_b64 s[10:11], -1
                                        ; kill: def $vgpr1 killed $sgpr0 killed $exec
                                        ; implicit-def: $sgpr6
.LBB2005_138:
	v_mov_b32_e32 v123, s68
	v_mov_b32_e32 v124, s68
	;; [unrolled: 1-line block ×3, first 2 shown]
	s_and_saveexec_b64 s[4:5], s[10:11]
; %bb.139:
	v_cndmask_b32_e64 v122, 0, 1, s[8:9]
	v_mov_b32_e32 v123, v2
	v_mov_b32_e32 v124, v3
; %bb.140:
	s_or_b64 exec, exec, s[4:5]
	v_or_b32_e32 v1, v122, v52
	s_cmp_lg_u32 s55, 0
	v_or_b32_e32 v126, v1, v121
	v_mbcnt_lo_u32_b32 v125, -1, 0
	s_waitcnt lgkmcnt(0)
	; wave barrier
	s_waitcnt lgkmcnt(0)
	s_cbranch_scc0 .LBB2005_201
; %bb.141:
	v_mov_b32_e32 v1, 0
	v_cmp_eq_u16_sdwa s[4:5], v49, v1 src0_sel:BYTE_0 src1_sel:DWORD
	v_cndmask_b32_e64 v2, 0, v42, s[4:5]
	v_add_u32_e32 v2, v2, v46
	v_cndmask_b32_e64 v3, 0, v43, s[4:5]
	v_cmp_eq_u16_sdwa s[6:7], v53, v1 src0_sel:BYTE_0 src1_sel:DWORD
	v_add_u32_e32 v3, v3, v45
	v_cndmask_b32_e64 v2, 0, v2, s[6:7]
	v_add_u32_e32 v2, v2, v48
	v_cndmask_b32_e64 v3, 0, v3, s[6:7]
	v_cmp_eq_u16_sdwa s[8:9], v56, v1 src0_sel:BYTE_0 src1_sel:DWORD
	v_add_u32_e32 v3, v3, v47
	;; [unrolled: 5-line block ×18, first 2 shown]
	v_cndmask_b32_e64 v2, 0, v2, s[42:43]
	v_add_u32_e32 v2, v2, v105
	v_cndmask_b32_e64 v3, 0, v3, s[42:43]
	v_cmp_eq_u16_sdwa vcc, v122, v1 src0_sel:BYTE_0 src1_sel:DWORD
	v_add_u32_e32 v3, v3, v44
	v_cndmask_b32_e32 v1, 0, v2, vcc
	v_add_u32_e32 v2, v1, v123
	v_cndmask_b32_e32 v1, 0, v3, vcc
	v_add_u32_e32 v3, v1, v124
	v_or_b32_e32 v1, v126, v120
	v_or_b32_e32 v1, v1, v119
	;; [unrolled: 1-line block ×17, first 2 shown]
	v_and_b32_e32 v1, 1, v1
	v_cmp_eq_u32_e32 vcc, 1, v1
	v_mbcnt_hi_u32_b32 v9, -1, v125
	v_cndmask_b32_e64 v1, v68, 1, vcc
	v_and_b32_e32 v4, 15, v9
	v_mov_b32_dpp v5, v2 row_shr:1 row_mask:0xf bank_mask:0xf
	v_mov_b32_dpp v6, v3 row_shr:1 row_mask:0xf bank_mask:0xf
	;; [unrolled: 1-line block ×3, first 2 shown]
	v_cmp_ne_u32_e32 vcc, 0, v4
	s_and_saveexec_b64 s[44:45], vcc
; %bb.142:
	v_cmp_eq_u32_e32 vcc, 0, v1
	v_cndmask_b32_e32 v5, 0, v5, vcc
	v_add_u32_e32 v2, v5, v2
	v_cndmask_b32_e32 v5, 0, v6, vcc
	v_add_u32_e32 v3, v5, v3
	v_and_or_b32 v1, v7, 1, v1
; %bb.143:
	s_or_b64 exec, exec, s[44:45]
	v_mov_b32_dpp v6, v2 row_shr:2 row_mask:0xf bank_mask:0xf
	v_mov_b32_dpp v7, v3 row_shr:2 row_mask:0xf bank_mask:0xf
	v_mov_b32_dpp v5, v1 row_shr:2 row_mask:0xf bank_mask:0xf
	v_cmp_lt_u32_e32 vcc, 1, v4
	s_and_saveexec_b64 s[44:45], vcc
; %bb.144:
	v_add_u32_e32 v6, v6, v2
	v_add_u32_e32 v7, v7, v3
	v_cmp_eq_u32_e32 vcc, 0, v1
	v_or_b32_e32 v1, v5, v1
	v_cndmask_b32_e32 v2, v2, v6, vcc
	v_cndmask_b32_e32 v3, v3, v7, vcc
	v_and_b32_e32 v1, 1, v1
; %bb.145:
	s_or_b64 exec, exec, s[44:45]
	v_mov_b32_dpp v6, v2 row_shr:4 row_mask:0xf bank_mask:0xf
	v_mov_b32_dpp v7, v3 row_shr:4 row_mask:0xf bank_mask:0xf
	v_mov_b32_dpp v5, v1 row_shr:4 row_mask:0xf bank_mask:0xf
	v_cmp_lt_u32_e32 vcc, 3, v4
	s_and_saveexec_b64 s[44:45], vcc
; %bb.146:
	v_add_u32_e32 v6, v6, v2
	v_add_u32_e32 v7, v7, v3
	v_cmp_eq_u32_e32 vcc, 0, v1
	v_or_b32_e32 v1, v5, v1
	v_cndmask_b32_e32 v2, v2, v6, vcc
	v_cndmask_b32_e32 v3, v3, v7, vcc
	v_and_b32_e32 v1, 1, v1
	;; [unrolled: 15-line block ×3, first 2 shown]
; %bb.149:
	s_or_b64 exec, exec, s[44:45]
	v_and_b32_e32 v7, 16, v9
	v_mov_b32_dpp v5, v2 row_bcast:15 row_mask:0xf bank_mask:0xf
	v_mov_b32_dpp v6, v3 row_bcast:15 row_mask:0xf bank_mask:0xf
	;; [unrolled: 1-line block ×3, first 2 shown]
	v_cmp_ne_u32_e32 vcc, 0, v7
	s_and_saveexec_b64 s[44:45], vcc
; %bb.150:
	v_add_u32_e32 v5, v5, v2
	v_add_u32_e32 v6, v6, v3
	v_cmp_eq_u32_e32 vcc, 0, v1
	v_or_b32_e32 v1, v4, v1
	v_cndmask_b32_e32 v2, v2, v5, vcc
	v_cndmask_b32_e32 v3, v3, v6, vcc
	v_and_b32_e32 v1, 1, v1
; %bb.151:
	s_or_b64 exec, exec, s[44:45]
	v_mov_b32_dpp v5, v2 row_bcast:31 row_mask:0xf bank_mask:0xf
	v_mov_b32_dpp v6, v3 row_bcast:31 row_mask:0xf bank_mask:0xf
	;; [unrolled: 1-line block ×3, first 2 shown]
	v_cmp_lt_u32_e32 vcc, 31, v9
	s_and_saveexec_b64 s[44:45], vcc
; %bb.152:
	v_add_u32_e32 v5, v5, v2
	v_add_u32_e32 v6, v6, v3
	v_cmp_eq_u32_e32 vcc, 0, v1
	v_or_b32_e32 v1, v4, v1
	v_cndmask_b32_e32 v2, v2, v5, vcc
	v_cndmask_b32_e32 v3, v3, v6, vcc
	v_and_b32_e32 v1, 1, v1
; %bb.153:
	s_or_b64 exec, exec, s[44:45]
	v_cmp_eq_u32_e32 vcc, 63, v0
	s_and_saveexec_b64 s[44:45], vcc
	s_cbranch_execz .LBB2005_155
; %bb.154:
	v_mov_b32_e32 v4, 0
	ds_write_b64 v4, v[2:3]
	ds_write_b8 v4, v1 offset:8
.LBB2005_155:
	s_or_b64 exec, exec, s[44:45]
	v_add_u32_e32 v4, -1, v9
	v_and_b32_e32 v5, 64, v9
	v_cmp_lt_i32_e32 vcc, v4, v5
	v_cndmask_b32_e32 v4, v4, v9, vcc
	v_lshlrev_b32_e32 v4, 2, v4
	ds_bpermute_b32 v17, v4, v2
	ds_bpermute_b32 v19, v4, v3
	;; [unrolled: 1-line block ×3, first 2 shown]
	v_cmp_gt_u32_e32 vcc, 64, v0
	s_waitcnt lgkmcnt(0)
	; wave barrier
	s_waitcnt lgkmcnt(0)
	s_and_saveexec_b64 s[48:49], vcc
	s_cbranch_execz .LBB2005_200
; %bb.156:
	v_mov_b32_e32 v11, 0
	ds_read_b64 v[6:7], v11
	ds_read_b32 v23, v11 offset:8
	s_mov_b32 s57, 0
	v_cmp_eq_u32_e64 s[44:45], 0, v9
	s_waitcnt lgkmcnt(1)
	v_readfirstlane_b32 s66, v7
	s_and_saveexec_b64 s[46:47], s[44:45]
	s_cbranch_execz .LBB2005_158
; %bb.157:
	s_add_i32 s56, s55, 64
	s_lshl_b64 s[68:69], s[56:57], 4
	s_add_u32 s68, s52, s68
	s_waitcnt lgkmcnt(0)
	v_and_b32_e32 v3, 0xff00, v23
	s_addc_u32 s69, s53, s69
	v_and_b32_e32 v2, 0xff0000, v23
	v_or_b32_sdwa v3, v3, v23 dst_sel:DWORD dst_unused:UNUSED_PAD src0_sel:DWORD src1_sel:BYTE_0
	s_and_b32 s71, s66, 0xff000000
	s_mov_b32 s70, s57
	s_and_b32 s73, s66, 0xff0000
	s_mov_b32 s72, s57
	v_and_b32_e32 v1, 0xff000000, v23
	v_or_b32_e32 v2, v3, v2
	s_and_b32 s75, s66, 0xff00
	s_mov_b32 s74, s57
	s_and_b32 s67, s66, 0xff
	s_or_b64 s[56:57], s[70:71], s[72:73]
	v_or_b32_e32 v4, v2, v1
	s_or_b64 s[56:57], s[56:57], s[74:75]
	v_mov_b32_e32 v1, s67
	v_or_b32_e32 v2, s56, v6
	v_or_b32_e32 v3, s57, v1
	v_mov_b32_e32 v5, 1
	v_pk_mov_b32 v[12:13], s[68:69], s[68:69] op_sel:[0,1]
	;;#ASMSTART
	global_store_dwordx4 v[12:13], v[2:5] off	
s_waitcnt vmcnt(0)
	;;#ASMEND
.LBB2005_158:
	s_or_b64 exec, exec, s[46:47]
	v_xad_u32 v8, v9, -1, s55
	v_add_u32_e32 v10, 64, v8
	v_lshlrev_b64 v[2:3], 4, v[10:11]
	v_mov_b32_e32 v1, s53
	v_add_co_u32_e32 v12, vcc, s52, v2
	v_addc_co_u32_e32 v13, vcc, v1, v3, vcc
	;;#ASMSTART
	global_load_dwordx4 v[2:5], v[12:13] off glc	
s_waitcnt vmcnt(0)
	;;#ASMEND
	v_lshlrev_b64 v[24:25], 24, v[4:5]
	v_lshrrev_b32_e32 v1, 8, v3
	v_or_b32_e32 v14, v1, v24
	v_lshlrev_b64 v[24:25], 16, v[4:5]
	v_or_b32_sdwa v16, v3, v24 dst_sel:DWORD dst_unused:UNUSED_PAD src0_sel:WORD_1 src1_sel:DWORD
	v_lshlrev_b64 v[24:25], 8, v[4:5]
	v_alignbit_b32 v7, v3, v2, 8
	v_alignbit_b32 v20, v3, v2, 16
	;; [unrolled: 1-line block ×3, first 2 shown]
	v_mov_b32_e32 v10, v3
	v_or_b32_sdwa v18, v3, v24 dst_sel:DWORD dst_unused:UNUSED_PAD src0_sel:BYTE_3 src1_sel:DWORD
	v_cmp_eq_u16_sdwa s[56:57], v5, v11 src0_sel:BYTE_0 src1_sel:DWORD
	s_and_saveexec_b64 s[46:47], s[56:57]
	s_cbranch_execz .LBB2005_164
; %bb.159:
	s_mov_b32 s67, 1
	s_mov_b64 s[56:57], 0
	v_mov_b32_e32 v1, 0
.LBB2005_160:                           ; =>This Loop Header: Depth=1
                                        ;     Child Loop BB2005_161 Depth 2
	s_max_u32 s68, s67, 1
.LBB2005_161:                           ;   Parent Loop BB2005_160 Depth=1
                                        ; =>  This Inner Loop Header: Depth=2
	s_add_i32 s68, s68, -1
	s_cmp_eq_u32 s68, 0
	s_sleep 1
	s_cbranch_scc0 .LBB2005_161
; %bb.162:                              ;   in Loop: Header=BB2005_160 Depth=1
	s_cmp_lt_u32 s67, 32
	s_cselect_b64 s[68:69], -1, 0
	s_cmp_lg_u64 s[68:69], 0
	s_addc_u32 s67, s67, 0
	;;#ASMSTART
	global_load_dwordx4 v[2:5], v[12:13] off glc	
s_waitcnt vmcnt(0)
	;;#ASMEND
	v_cmp_ne_u16_sdwa s[68:69], v5, v1 src0_sel:BYTE_0 src1_sel:DWORD
	s_or_b64 s[56:57], s[68:69], s[56:57]
	s_andn2_b64 exec, exec, s[56:57]
	s_cbranch_execnz .LBB2005_160
; %bb.163:
	s_or_b64 exec, exec, s[56:57]
	v_lshlrev_b64 v[12:13], 24, v[4:5]
	v_lshrrev_b32_e32 v1, 8, v3
	v_or_b32_e32 v14, v1, v12
	v_lshlrev_b64 v[12:13], 16, v[4:5]
	v_or_b32_sdwa v16, v3, v12 dst_sel:DWORD dst_unused:UNUSED_PAD src0_sel:WORD_1 src1_sel:DWORD
	v_lshlrev_b64 v[12:13], 8, v[4:5]
	v_alignbit_b32 v7, v3, v2, 8
	v_alignbit_b32 v20, v3, v2, 16
	;; [unrolled: 1-line block ×3, first 2 shown]
	v_mov_b32_e32 v10, v3
	v_or_b32_sdwa v18, v3, v12 dst_sel:DWORD dst_unused:UNUSED_PAD src0_sel:BYTE_3 src1_sel:DWORD
.LBB2005_164:
	s_or_b64 exec, exec, s[46:47]
	v_lshlrev_b32_e32 v3, 16, v16
	v_lshlrev_b32_e32 v1, 24, v18
	v_and_b32_e32 v3, 0xff0000, v3
	v_or_b32_e32 v1, v3, v1
	v_lshlrev_b32_e32 v3, 8, v14
	v_and_b32_e32 v3, 0xff00, v3
	v_and_b32_e32 v10, 0xff, v10
	v_or3_b32 v1, v1, v3, v10
	v_lshlrev_b32_e32 v3, 16, v20
	s_mov_b32 s46, 0x4020c0c
	v_lshlrev_b32_e32 v7, 8, v7
	v_perm_b32 v3, v15, v3, s46
	s_mov_b32 s46, 0xc0c0500
	v_perm_b32 v2, v7, v2, s46
	v_and_b32_e32 v7, 63, v9
	v_or_b32_e32 v2, v2, v3
	v_mov_b32_e32 v3, 2
	v_cmp_ne_u32_e32 vcc, 63, v7
	v_cmp_eq_u16_sdwa s[46:47], v5, v3 src0_sel:BYTE_0 src1_sel:DWORD
	v_lshlrev_b64 v[10:11], v9, -1
	v_addc_co_u32_e32 v12, vcc, 0, v9, vcc
	v_and_b32_e32 v3, s47, v11
	v_and_b32_e32 v14, 0xff, v4
	v_lshlrev_b32_e32 v24, 2, v12
	v_or_b32_e32 v3, 0x80000000, v3
	ds_bpermute_b32 v15, v24, v2
	ds_bpermute_b32 v13, v24, v1
	;; [unrolled: 1-line block ×3, first 2 shown]
	v_and_b32_e32 v16, s46, v10
	v_ffbl_b32_e32 v3, v3
	v_add_u32_e32 v3, 32, v3
	v_ffbl_b32_e32 v16, v16
	v_min_u32_e32 v3, v16, v3
	v_cmp_lt_u32_e32 vcc, v7, v3
	s_and_saveexec_b64 s[46:47], vcc
	s_cbranch_execz .LBB2005_166
; %bb.165:
	v_mov_b32_e32 v14, 0
	v_cmp_eq_u16_sdwa vcc, v4, v14 src0_sel:BYTE_0 src1_sel:DWORD
	s_waitcnt lgkmcnt(0)
	v_or_b32_e32 v4, v4, v12
	v_cndmask_b32_e32 v14, 0, v15, vcc
	v_cndmask_b32_e32 v13, 0, v13, vcc
	v_and_b32_e32 v4, 1, v4
	v_add_u32_e32 v2, v14, v2
	v_add_u32_e32 v1, v13, v1
	v_and_b32_e32 v14, 0xffff, v4
.LBB2005_166:
	s_or_b64 exec, exec, s[46:47]
	v_cmp_gt_u32_e32 vcc, 62, v7
	s_waitcnt lgkmcnt(0)
	v_cndmask_b32_e64 v12, 0, 1, vcc
	v_lshlrev_b32_e32 v12, 1, v12
	v_add_lshl_u32 v25, v12, v9, 2
	ds_bpermute_b32 v13, v25, v2
	ds_bpermute_b32 v15, v25, v1
	ds_bpermute_b32 v12, v25, v14
	v_add_u32_e32 v26, 2, v7
	v_cmp_le_u32_e32 vcc, v26, v3
	s_and_saveexec_b64 s[46:47], vcc
	s_cbranch_execz .LBB2005_168
; %bb.167:
	v_mov_b32_e32 v14, 0
	v_cmp_eq_u16_sdwa vcc, v4, v14 src0_sel:BYTE_0 src1_sel:DWORD
	s_waitcnt lgkmcnt(0)
	v_or_b32_e32 v4, v12, v4
	v_add_u32_e32 v13, v13, v2
	v_add_u32_e32 v15, v15, v1
	v_and_b32_e32 v14, 1, v4
	v_cndmask_b32_e32 v2, v2, v13, vcc
	v_cndmask_b32_e32 v1, v1, v15, vcc
	v_mov_b32_e32 v4, v14
.LBB2005_168:
	s_or_b64 exec, exec, s[46:47]
	v_cmp_gt_u32_e32 vcc, 60, v7
	s_waitcnt lgkmcnt(0)
	v_cndmask_b32_e64 v12, 0, 1, vcc
	v_lshlrev_b32_e32 v12, 2, v12
	v_add_lshl_u32 v27, v12, v9, 2
	ds_bpermute_b32 v13, v27, v2
	ds_bpermute_b32 v15, v27, v1
	ds_bpermute_b32 v12, v27, v14
	v_add_u32_e32 v28, 4, v7
	v_cmp_le_u32_e32 vcc, v28, v3
	s_and_saveexec_b64 s[46:47], vcc
	s_cbranch_execz .LBB2005_170
; %bb.169:
	v_mov_b32_e32 v14, 0
	v_cmp_eq_u16_sdwa vcc, v4, v14 src0_sel:BYTE_0 src1_sel:DWORD
	s_waitcnt lgkmcnt(0)
	v_or_b32_e32 v4, v12, v4
	v_add_u32_e32 v13, v13, v2
	v_add_u32_e32 v15, v15, v1
	v_and_b32_e32 v14, 1, v4
	v_cndmask_b32_e32 v2, v2, v13, vcc
	v_cndmask_b32_e32 v1, v1, v15, vcc
	v_mov_b32_e32 v4, v14
.LBB2005_170:
	;; [unrolled: 25-line block ×4, first 2 shown]
	s_or_b64 exec, exec, s[46:47]
	v_cmp_gt_u32_e32 vcc, 32, v7
	s_waitcnt lgkmcnt(0)
	v_cndmask_b32_e64 v12, 0, 1, vcc
	v_lshlrev_b32_e32 v12, 5, v12
	v_add_lshl_u32 v34, v12, v9, 2
	ds_bpermute_b32 v12, v34, v2
	ds_bpermute_b32 v13, v34, v1
	ds_bpermute_b32 v9, v34, v14
	v_add_u32_e32 v35, 32, v7
	v_cmp_le_u32_e32 vcc, v35, v3
	s_and_saveexec_b64 s[46:47], vcc
	s_cbranch_execz .LBB2005_176
; %bb.175:
	v_mov_b32_e32 v3, 0
	s_waitcnt lgkmcnt(2)
	v_add_u32_e32 v12, v12, v2
	s_waitcnt lgkmcnt(1)
	v_add_u32_e32 v13, v13, v1
	v_cmp_eq_u16_sdwa vcc, v4, v3 src0_sel:BYTE_0 src1_sel:DWORD
	s_waitcnt lgkmcnt(0)
	v_or_b32_e32 v3, v9, v4
	v_cndmask_b32_e32 v2, v2, v12, vcc
	v_cndmask_b32_e32 v1, v1, v13, vcc
	v_and_b32_e32 v14, 1, v3
.LBB2005_176:
	s_or_b64 exec, exec, s[46:47]
	s_movk_i32 s67, 0xff
	s_waitcnt lgkmcnt(0)
	v_mov_b32_e32 v9, 0
	s_mov_b32 s68, 0x4020c0c
	s_mov_b32 s69, 0xc0c0500
	v_mov_b32_e32 v36, 2
	s_branch .LBB2005_178
.LBB2005_177:                           ;   in Loop: Header=BB2005_178 Depth=1
	s_or_b64 exec, exec, s[46:47]
	s_waitcnt lgkmcnt(0)
	ds_bpermute_b32 v15, v34, v2
	ds_bpermute_b32 v16, v34, v1
	ds_bpermute_b32 v18, v34, v14
	v_cmp_eq_u16_sdwa vcc, v4, v9 src0_sel:BYTE_0 src1_sel:DWORD
	v_subrev_u32_e32 v8, 64, v8
	s_waitcnt lgkmcnt(2)
	v_add_u32_e32 v15, v15, v2
	s_waitcnt lgkmcnt(1)
	v_add_u32_e32 v16, v16, v1
	v_cndmask_b32_e32 v15, v2, v15, vcc
	v_cndmask_b32_e32 v16, v1, v16, vcc
	s_waitcnt lgkmcnt(0)
	v_and_or_b32 v4, v4, s67, v18
	v_cmp_gt_u32_e32 vcc, v35, v3
	v_cndmask_b32_e32 v3, v4, v14, vcc
	v_cndmask_b32_e32 v2, v15, v2, vcc
	;; [unrolled: 1-line block ×3, first 2 shown]
	v_cmp_eq_u16_sdwa vcc, v33, v9 src0_sel:BYTE_0 src1_sel:DWORD
	v_and_b32_e32 v4, 1, v33
	v_and_b32_e32 v3, 1, v3
	v_cndmask_b32_e32 v2, 0, v2, vcc
	v_cndmask_b32_e32 v1, 0, v1, vcc
	v_cmp_eq_u32_e32 vcc, 1, v4
	v_cmp_eq_u32_e64 s[46:47], 1, v3
	s_or_b64 s[46:47], vcc, s[46:47]
	v_add_u32_e32 v2, v2, v12
	v_add_u32_e32 v1, v1, v13
	v_cndmask_b32_e64 v14, 0, 1, s[46:47]
.LBB2005_178:                           ; =>This Loop Header: Depth=1
                                        ;     Child Loop BB2005_181 Depth 2
                                        ;       Child Loop BB2005_182 Depth 3
	v_cmp_ne_u16_sdwa s[46:47], v5, v36 src0_sel:BYTE_0 src1_sel:DWORD
	v_mov_b32_e32 v13, v1
	v_cndmask_b32_e64 v1, 0, 1, s[46:47]
	;;#ASMSTART
	;;#ASMEND
	v_cmp_ne_u32_e32 vcc, 0, v1
	v_mov_b32_e32 v33, v14
	s_cmp_lg_u64 vcc, exec
	v_mov_b32_e32 v12, v2
	s_cbranch_scc1 .LBB2005_195
; %bb.179:                              ;   in Loop: Header=BB2005_178 Depth=1
	v_lshlrev_b64 v[2:3], 4, v[8:9]
	v_mov_b32_e32 v1, s53
	v_add_co_u32_e32 v14, vcc, s52, v2
	v_addc_co_u32_e32 v15, vcc, v1, v3, vcc
	;;#ASMSTART
	global_load_dwordx4 v[2:5], v[14:15] off glc	
s_waitcnt vmcnt(0)
	;;#ASMEND
	v_lshlrev_b64 v[78:79], 24, v[4:5]
	v_lshrrev_b32_e32 v1, 8, v3
	v_or_b32_e32 v18, v1, v78
	v_lshlrev_b64 v[78:79], 16, v[4:5]
	v_or_b32_sdwa v20, v3, v78 dst_sel:DWORD dst_unused:UNUSED_PAD src0_sel:WORD_1 src1_sel:DWORD
	v_lshlrev_b64 v[78:79], 8, v[4:5]
	v_alignbit_b32 v37, v3, v2, 8
	v_alignbit_b32 v38, v3, v2, 16
	v_alignbit_b32 v39, v3, v2, 24
	v_mov_b32_e32 v16, v3
	v_or_b32_sdwa v22, v3, v78 dst_sel:DWORD dst_unused:UNUSED_PAD src0_sel:BYTE_3 src1_sel:DWORD
	v_cmp_eq_u16_sdwa s[56:57], v5, v9 src0_sel:BYTE_0 src1_sel:DWORD
	s_and_saveexec_b64 s[46:47], s[56:57]
	s_cbranch_execz .LBB2005_185
; %bb.180:                              ;   in Loop: Header=BB2005_178 Depth=1
	s_mov_b32 s70, 1
	s_mov_b64 s[56:57], 0
.LBB2005_181:                           ;   Parent Loop BB2005_178 Depth=1
                                        ; =>  This Loop Header: Depth=2
                                        ;       Child Loop BB2005_182 Depth 3
	s_max_u32 s71, s70, 1
.LBB2005_182:                           ;   Parent Loop BB2005_178 Depth=1
                                        ;     Parent Loop BB2005_181 Depth=2
                                        ; =>    This Inner Loop Header: Depth=3
	s_add_i32 s71, s71, -1
	s_cmp_eq_u32 s71, 0
	s_sleep 1
	s_cbranch_scc0 .LBB2005_182
; %bb.183:                              ;   in Loop: Header=BB2005_181 Depth=2
	s_cmp_lt_u32 s70, 32
	s_cselect_b64 s[72:73], -1, 0
	s_cmp_lg_u64 s[72:73], 0
	s_addc_u32 s70, s70, 0
	;;#ASMSTART
	global_load_dwordx4 v[2:5], v[14:15] off glc	
s_waitcnt vmcnt(0)
	;;#ASMEND
	v_cmp_ne_u16_sdwa s[72:73], v5, v9 src0_sel:BYTE_0 src1_sel:DWORD
	s_or_b64 s[56:57], s[72:73], s[56:57]
	s_andn2_b64 exec, exec, s[56:57]
	s_cbranch_execnz .LBB2005_181
; %bb.184:                              ;   in Loop: Header=BB2005_178 Depth=1
	s_or_b64 exec, exec, s[56:57]
	v_lshlrev_b64 v[14:15], 24, v[4:5]
	v_lshrrev_b32_e32 v1, 8, v3
	v_or_b32_e32 v18, v1, v14
	v_lshlrev_b64 v[14:15], 16, v[4:5]
	v_or_b32_sdwa v20, v3, v14 dst_sel:DWORD dst_unused:UNUSED_PAD src0_sel:WORD_1 src1_sel:DWORD
	v_lshlrev_b64 v[14:15], 8, v[4:5]
	v_alignbit_b32 v37, v3, v2, 8
	v_alignbit_b32 v38, v3, v2, 16
	v_alignbit_b32 v39, v3, v2, 24
	v_mov_b32_e32 v16, v3
	v_or_b32_sdwa v22, v3, v14 dst_sel:DWORD dst_unused:UNUSED_PAD src0_sel:BYTE_3 src1_sel:DWORD
.LBB2005_185:                           ;   in Loop: Header=BB2005_178 Depth=1
	s_or_b64 exec, exec, s[46:47]
	v_lshlrev_b32_e32 v3, 16, v20
	v_lshlrev_b32_e32 v1, 24, v22
	v_and_b32_e32 v3, 0xff0000, v3
	v_or_b32_e32 v1, v3, v1
	v_lshlrev_b32_e32 v3, 8, v18
	v_and_b32_e32 v3, 0xff00, v3
	v_and_b32_e32 v14, 0xff, v16
	v_or3_b32 v1, v1, v3, v14
	v_lshlrev_b32_e32 v3, 16, v38
	v_lshlrev_b32_e32 v14, 8, v37
	v_perm_b32 v3, v39, v3, s68
	v_perm_b32 v2, v14, v2, s69
	v_cmp_eq_u16_sdwa s[46:47], v5, v36 src0_sel:BYTE_0 src1_sel:DWORD
	v_or_b32_e32 v2, v2, v3
	v_and_b32_e32 v3, s47, v11
	v_and_b32_e32 v14, 0xff, v4
	v_or_b32_e32 v3, 0x80000000, v3
	ds_bpermute_b32 v18, v24, v2
	ds_bpermute_b32 v16, v24, v1
	;; [unrolled: 1-line block ×3, first 2 shown]
	v_and_b32_e32 v20, s46, v10
	v_ffbl_b32_e32 v3, v3
	v_add_u32_e32 v3, 32, v3
	v_ffbl_b32_e32 v20, v20
	v_min_u32_e32 v3, v20, v3
	v_cmp_lt_u32_e32 vcc, v7, v3
	s_and_saveexec_b64 s[46:47], vcc
	s_cbranch_execz .LBB2005_187
; %bb.186:                              ;   in Loop: Header=BB2005_178 Depth=1
	v_cmp_eq_u16_sdwa vcc, v4, v9 src0_sel:BYTE_0 src1_sel:DWORD
	s_waitcnt lgkmcnt(2)
	v_cndmask_b32_e32 v14, 0, v18, vcc
	v_add_u32_e32 v2, v14, v2
	s_waitcnt lgkmcnt(1)
	v_cndmask_b32_e32 v14, 0, v16, vcc
	s_waitcnt lgkmcnt(0)
	v_or_b32_e32 v4, v15, v4
	v_add_u32_e32 v1, v14, v1
	v_and_b32_e32 v14, 1, v4
	v_mov_b32_e32 v4, v14
.LBB2005_187:                           ;   in Loop: Header=BB2005_178 Depth=1
	s_or_b64 exec, exec, s[46:47]
	s_waitcnt lgkmcnt(1)
	ds_bpermute_b32 v16, v25, v2
	ds_bpermute_b32 v18, v25, v1
	s_waitcnt lgkmcnt(2)
	ds_bpermute_b32 v15, v25, v14
	v_cmp_le_u32_e32 vcc, v26, v3
	s_and_saveexec_b64 s[46:47], vcc
	s_cbranch_execz .LBB2005_189
; %bb.188:                              ;   in Loop: Header=BB2005_178 Depth=1
	s_waitcnt lgkmcnt(2)
	v_add_u32_e32 v14, v16, v2
	v_cmp_eq_u16_sdwa vcc, v4, v9 src0_sel:BYTE_0 src1_sel:DWORD
	s_waitcnt lgkmcnt(0)
	v_or_b32_e32 v4, v15, v4
	v_add_u32_e32 v16, v18, v1
	v_cndmask_b32_e32 v2, v2, v14, vcc
	v_and_b32_e32 v14, 1, v4
	v_cndmask_b32_e32 v1, v1, v16, vcc
	v_mov_b32_e32 v4, v14
.LBB2005_189:                           ;   in Loop: Header=BB2005_178 Depth=1
	s_or_b64 exec, exec, s[46:47]
	s_waitcnt lgkmcnt(2)
	ds_bpermute_b32 v16, v27, v2
	s_waitcnt lgkmcnt(2)
	ds_bpermute_b32 v18, v27, v1
	s_waitcnt lgkmcnt(2)
	ds_bpermute_b32 v15, v27, v14
	v_cmp_le_u32_e32 vcc, v28, v3
	s_and_saveexec_b64 s[46:47], vcc
	s_cbranch_execz .LBB2005_191
; %bb.190:                              ;   in Loop: Header=BB2005_178 Depth=1
	s_waitcnt lgkmcnt(2)
	v_add_u32_e32 v14, v16, v2
	v_cmp_eq_u16_sdwa vcc, v4, v9 src0_sel:BYTE_0 src1_sel:DWORD
	s_waitcnt lgkmcnt(0)
	v_or_b32_e32 v4, v15, v4
	v_add_u32_e32 v16, v18, v1
	v_cndmask_b32_e32 v2, v2, v14, vcc
	v_and_b32_e32 v14, 1, v4
	v_cndmask_b32_e32 v1, v1, v16, vcc
	v_mov_b32_e32 v4, v14
.LBB2005_191:                           ;   in Loop: Header=BB2005_178 Depth=1
	s_or_b64 exec, exec, s[46:47]
	s_waitcnt lgkmcnt(2)
	ds_bpermute_b32 v16, v29, v2
	s_waitcnt lgkmcnt(2)
	;; [unrolled: 22-line block ×3, first 2 shown]
	ds_bpermute_b32 v18, v31, v1
	s_waitcnt lgkmcnt(2)
	ds_bpermute_b32 v15, v31, v14
	v_cmp_le_u32_e32 vcc, v32, v3
	s_and_saveexec_b64 s[46:47], vcc
	s_cbranch_execz .LBB2005_177
; %bb.194:                              ;   in Loop: Header=BB2005_178 Depth=1
	s_waitcnt lgkmcnt(2)
	v_add_u32_e32 v14, v16, v2
	v_cmp_eq_u16_sdwa vcc, v4, v9 src0_sel:BYTE_0 src1_sel:DWORD
	s_waitcnt lgkmcnt(0)
	v_or_b32_e32 v4, v15, v4
	v_add_u32_e32 v16, v18, v1
	v_cndmask_b32_e32 v2, v2, v14, vcc
	v_and_b32_e32 v14, 1, v4
	v_cndmask_b32_e32 v1, v1, v16, vcc
	v_mov_b32_e32 v4, v14
	s_branch .LBB2005_177
.LBB2005_195:                           ;   in Loop: Header=BB2005_178 Depth=1
                                        ; implicit-def: $vgpr14
                                        ; implicit-def: $vgpr1
                                        ; implicit-def: $vgpr5
                                        ; implicit-def: $vgpr2_vgpr3
	s_cbranch_execz .LBB2005_178
; %bb.196:
	s_and_saveexec_b64 s[46:47], s[44:45]
	s_cbranch_execz .LBB2005_198
; %bb.197:
	v_mov_b32_e32 v1, 0
	v_cmp_eq_u16_sdwa vcc, v23, v1 src0_sel:BYTE_0 src1_sel:DWORD
	s_mov_b32 s45, 0
	v_cndmask_b32_e32 v2, 0, v13, vcc
	v_or_b32_e32 v3, v23, v33
	s_add_i32 s44, s55, 64
	v_add_u32_e32 v2, s66, v2
	v_and_b32_e32 v3, 1, v3
	s_lshl_b64 s[44:45], s[44:45], 4
	v_cndmask_b32_e32 v1, 0, v12, vcc
	s_add_u32 s44, s52, s44
	v_cmp_eq_u32_e32 vcc, 1, v3
	v_and_b32_e32 v3, 0xff000000, v2
	v_and_b32_e32 v5, 0xff0000, v2
	v_add_u32_e32 v1, v1, v6
	s_addc_u32 s45, s53, s45
	v_and_b32_e32 v6, 0xff00, v2
	v_and_b32_e32 v2, 0xff, v2
	v_or_b32_e32 v3, v3, v5
	v_cndmask_b32_e64 v4, 0, 1, vcc
	v_or3_b32 v3, v3, v6, v2
	v_or3_b32 v2, 0, 0, v1
	v_mov_b32_e32 v5, 2
	v_pk_mov_b32 v[6:7], s[44:45], s[44:45] op_sel:[0,1]
	;;#ASMSTART
	global_store_dwordx4 v[6:7], v[2:5] off	
s_waitcnt vmcnt(0)
	;;#ASMEND
.LBB2005_198:
	s_or_b64 exec, exec, s[46:47]
	s_and_b64 exec, exec, s[2:3]
	s_cbranch_execz .LBB2005_200
; %bb.199:
	v_mov_b32_e32 v1, 0
	ds_write_b64 v1, v[12:13]
	ds_write_b8 v1, v33 offset:8
.LBB2005_200:
	s_or_b64 exec, exec, s[48:49]
	v_mov_b32_e32 v1, 0
	s_waitcnt lgkmcnt(0)
	; wave barrier
	s_waitcnt lgkmcnt(0)
	ds_read_b64 v[2:3], v1
	v_cmp_eq_u32_sdwa vcc, v21, v1 src0_sel:BYTE_0 src1_sel:DWORD
	s_waitcnt lgkmcnt(0)
	v_cndmask_b32_e32 v1, 0, v2, vcc
	v_cndmask_b32_e32 v4, 0, v3, vcc
	v_add_u32_e32 v1, v1, v17
	v_add_u32_e32 v4, v4, v19
	v_cndmask_b32_e64 v8, v1, v2, s[2:3]
	v_cmp_eq_u32_e32 vcc, 0, v68
	v_cndmask_b32_e64 v9, v4, v3, s[2:3]
	v_cndmask_b32_e32 v1, 0, v8, vcc
	v_add_u32_e32 v78, v1, v42
	v_cndmask_b32_e32 v1, 0, v9, vcc
	v_add_u32_e32 v79, v1, v43
	v_cndmask_b32_e64 v1, 0, v78, s[4:5]
	v_add_u32_e32 v2, v1, v46
	v_cndmask_b32_e64 v1, 0, v79, s[4:5]
	;; [unrolled: 2-line block ×37, first 2 shown]
	v_cndmask_b32_e64 v127, 0, v97, s[42:43]
	s_branch .LBB2005_221
.LBB2005_201:
                                        ; implicit-def: $vgpr6_vgpr7_vgpr8_vgpr9
                                        ; implicit-def: $vgpr127
                                        ; implicit-def: $vgpr1
                                        ; implicit-def: $vgpr97
                                        ; implicit-def: $vgpr95
                                        ; implicit-def: $vgpr93
                                        ; implicit-def: $vgpr91
                                        ; implicit-def: $vgpr89
                                        ; implicit-def: $vgpr87
                                        ; implicit-def: $vgpr85
                                        ; implicit-def: $vgpr83
                                        ; implicit-def: $vgpr81
                                        ; implicit-def: $vgpr79
                                        ; implicit-def: $vgpr36_vgpr37_vgpr38_vgpr39
                                        ; implicit-def: $vgpr32_vgpr33_vgpr34_vgpr35
                                        ; implicit-def: $vgpr28_vgpr29_vgpr30_vgpr31
                                        ; implicit-def: $vgpr24_vgpr25_vgpr26_vgpr27
                                        ; implicit-def: $vgpr20_vgpr21_vgpr22_vgpr23
                                        ; implicit-def: $vgpr16_vgpr17_vgpr18_vgpr19
                                        ; implicit-def: $vgpr12_vgpr13_vgpr14_vgpr15
                                        ; implicit-def: $vgpr2_vgpr3_vgpr4_vgpr5
                                        ; implicit-def: $vgpr8_vgpr9_vgpr10_vgpr11
	s_cbranch_execz .LBB2005_221
; %bb.202:
	s_cmp_lg_u64 s[64:65], 0
	s_cselect_b32 s5, s59, 0
	s_cselect_b32 s4, s58, 0
	s_cmp_eq_u64 s[4:5], 0
	v_pk_mov_b32 v[4:5], s[62:63], s[62:63] op_sel:[0,1]
	s_cbranch_scc1 .LBB2005_204
; %bb.203:
	v_mov_b32_e32 v1, 0
	global_load_dwordx2 v[4:5], v1, s[4:5]
.LBB2005_204:
	v_mov_b32_e32 v1, 0
	v_cmp_eq_u16_sdwa s[4:5], v49, v1 src0_sel:BYTE_0 src1_sel:DWORD
	v_cndmask_b32_e64 v2, 0, v42, s[4:5]
	v_add_u32_e32 v2, v2, v46
	v_cndmask_b32_e64 v3, 0, v43, s[4:5]
	v_cmp_eq_u16_sdwa s[6:7], v53, v1 src0_sel:BYTE_0 src1_sel:DWORD
	v_add_u32_e32 v3, v3, v45
	v_cndmask_b32_e64 v2, 0, v2, s[6:7]
	v_add_u32_e32 v2, v2, v48
	v_cndmask_b32_e64 v3, 0, v3, s[6:7]
	v_cmp_eq_u16_sdwa s[8:9], v56, v1 src0_sel:BYTE_0 src1_sel:DWORD
	v_add_u32_e32 v3, v3, v47
	;; [unrolled: 5-line block ×17, first 2 shown]
	v_cndmask_b32_e64 v2, 0, v2, s[38:39]
	v_add_u32_e32 v2, v2, v114
	v_cndmask_b32_e64 v3, 0, v3, s[38:39]
	v_cmp_eq_u16_sdwa vcc, v52, v1 src0_sel:BYTE_0 src1_sel:DWORD
	v_add_u32_e32 v3, v3, v113
	v_cndmask_b32_e32 v2, 0, v2, vcc
	v_add_u32_e32 v2, v2, v105
	v_cndmask_b32_e32 v3, 0, v3, vcc
	v_cmp_eq_u16_sdwa s[42:43], v122, v1 src0_sel:BYTE_0 src1_sel:DWORD
	v_add_u32_e32 v3, v3, v44
	v_cndmask_b32_e64 v1, 0, v2, s[42:43]
	v_add_u32_e32 v2, v1, v123
	v_cndmask_b32_e64 v1, 0, v3, s[42:43]
	v_add_u32_e32 v3, v1, v124
	v_or_b32_e32 v1, v126, v120
	v_or_b32_e32 v1, v1, v119
	;; [unrolled: 1-line block ×17, first 2 shown]
	v_and_b32_e32 v1, 1, v1
	v_cmp_eq_u32_e64 s[42:43], 1, v1
	v_mbcnt_hi_u32_b32 v1, -1, v125
	v_cndmask_b32_e64 v7, v68, 1, s[42:43]
	v_and_b32_e32 v6, 15, v1
	v_mov_b32_dpp v8, v2 row_shr:1 row_mask:0xf bank_mask:0xf
	v_mov_b32_dpp v9, v3 row_shr:1 row_mask:0xf bank_mask:0xf
	;; [unrolled: 1-line block ×3, first 2 shown]
	v_cmp_ne_u32_e64 s[42:43], 0, v6
	s_and_saveexec_b64 s[44:45], s[42:43]
; %bb.205:
	v_cmp_eq_u32_e64 s[42:43], 0, v7
	v_cndmask_b32_e64 v8, 0, v8, s[42:43]
	v_add_u32_e32 v2, v8, v2
	v_cndmask_b32_e64 v8, 0, v9, s[42:43]
	v_add_u32_e32 v3, v8, v3
	v_and_or_b32 v7, v10, 1, v7
; %bb.206:
	s_or_b64 exec, exec, s[44:45]
	v_mov_b32_dpp v9, v2 row_shr:2 row_mask:0xf bank_mask:0xf
	v_mov_b32_dpp v10, v3 row_shr:2 row_mask:0xf bank_mask:0xf
	;; [unrolled: 1-line block ×3, first 2 shown]
	v_cmp_lt_u32_e64 s[42:43], 1, v6
	s_and_saveexec_b64 s[44:45], s[42:43]
; %bb.207:
	v_add_u32_e32 v9, v9, v2
	v_add_u32_e32 v10, v10, v3
	v_cmp_eq_u32_e64 s[42:43], 0, v7
	v_or_b32_e32 v7, v8, v7
	v_cndmask_b32_e64 v2, v2, v9, s[42:43]
	v_cndmask_b32_e64 v3, v3, v10, s[42:43]
	v_and_b32_e32 v7, 1, v7
; %bb.208:
	s_or_b64 exec, exec, s[44:45]
	v_mov_b32_dpp v9, v2 row_shr:4 row_mask:0xf bank_mask:0xf
	v_mov_b32_dpp v10, v3 row_shr:4 row_mask:0xf bank_mask:0xf
	;; [unrolled: 1-line block ×3, first 2 shown]
	v_cmp_lt_u32_e64 s[42:43], 3, v6
	s_and_saveexec_b64 s[44:45], s[42:43]
; %bb.209:
	v_add_u32_e32 v9, v9, v2
	v_add_u32_e32 v10, v10, v3
	v_cmp_eq_u32_e64 s[42:43], 0, v7
	v_or_b32_e32 v7, v8, v7
	v_cndmask_b32_e64 v2, v2, v9, s[42:43]
	v_cndmask_b32_e64 v3, v3, v10, s[42:43]
	v_and_b32_e32 v7, 1, v7
; %bb.210:
	s_or_b64 exec, exec, s[44:45]
	v_mov_b32_dpp v9, v2 row_shr:8 row_mask:0xf bank_mask:0xf
	v_mov_b32_dpp v10, v3 row_shr:8 row_mask:0xf bank_mask:0xf
	;; [unrolled: 1-line block ×3, first 2 shown]
	v_cmp_lt_u32_e64 s[42:43], 7, v6
	s_and_saveexec_b64 s[44:45], s[42:43]
; %bb.211:
	v_add_u32_e32 v6, v9, v2
	v_cmp_eq_u32_e64 s[42:43], 0, v7
	v_add_u32_e32 v9, v10, v3
	v_cndmask_b32_e64 v2, v2, v6, s[42:43]
	v_or_b32_e32 v6, v8, v7
	v_cndmask_b32_e64 v3, v3, v9, s[42:43]
	v_and_b32_e32 v7, 1, v6
; %bb.212:
	s_or_b64 exec, exec, s[44:45]
	v_and_b32_e32 v10, 16, v1
	v_mov_b32_dpp v8, v2 row_bcast:15 row_mask:0xf bank_mask:0xf
	v_mov_b32_dpp v9, v3 row_bcast:15 row_mask:0xf bank_mask:0xf
	;; [unrolled: 1-line block ×3, first 2 shown]
	v_cmp_ne_u32_e64 s[42:43], 0, v10
	s_and_saveexec_b64 s[44:45], s[42:43]
; %bb.213:
	v_add_u32_e32 v8, v8, v2
	v_add_u32_e32 v9, v9, v3
	v_cmp_eq_u32_e64 s[42:43], 0, v7
	v_or_b32_e32 v6, v6, v7
	v_cndmask_b32_e64 v2, v2, v8, s[42:43]
	v_cndmask_b32_e64 v3, v3, v9, s[42:43]
	v_and_b32_e32 v7, 1, v6
; %bb.214:
	s_or_b64 exec, exec, s[44:45]
	v_mov_b32_dpp v8, v2 row_bcast:31 row_mask:0xf bank_mask:0xf
	v_mov_b32_dpp v9, v3 row_bcast:31 row_mask:0xf bank_mask:0xf
	;; [unrolled: 1-line block ×3, first 2 shown]
	v_cmp_lt_u32_e64 s[42:43], 31, v1
	s_and_saveexec_b64 s[44:45], s[42:43]
; %bb.215:
	v_add_u32_e32 v8, v8, v2
	v_add_u32_e32 v9, v9, v3
	v_cmp_eq_u32_e64 s[42:43], 0, v7
	v_or_b32_e32 v6, v6, v7
	v_cndmask_b32_e64 v2, v2, v8, s[42:43]
	v_cndmask_b32_e64 v3, v3, v9, s[42:43]
	v_and_b32_e32 v7, 1, v6
; %bb.216:
	s_or_b64 exec, exec, s[44:45]
	v_mov_b32_e32 v6, v43
	v_cmp_eq_u32_e64 s[42:43], 63, v0
	s_and_saveexec_b64 s[44:45], s[42:43]
	s_cbranch_execz .LBB2005_218
; %bb.217:
	v_mov_b32_e32 v8, 0
	ds_write_b64 v8, v[2:3]
	ds_write_b8 v8, v7 offset:8
.LBB2005_218:
	s_or_b64 exec, exec, s[44:45]
	v_cmp_eq_u32_e64 s[42:43], 0, v7
	s_waitcnt vmcnt(0)
	v_cndmask_b32_e64 v7, 0, v4, s[42:43]
	v_add_u32_e32 v2, v7, v2
	v_cndmask_b32_e64 v7, 0, v5, s[42:43]
	v_add_u32_e32 v3, v7, v3
	v_add_u32_e32 v7, -1, v1
	v_and_b32_e32 v8, 64, v1
	v_cmp_lt_i32_e64 s[42:43], v7, v8
	v_cndmask_b32_e64 v7, v7, v1, s[42:43]
	v_lshlrev_b32_e32 v7, 2, v7
	ds_bpermute_b32 v2, v7, v2
	ds_bpermute_b32 v3, v7, v3
	v_cmp_eq_u32_e64 s[42:43], 0, v1
	s_waitcnt lgkmcnt(0)
	; wave barrier
	s_waitcnt lgkmcnt(0)
	v_cndmask_b32_e64 v8, v2, v4, s[42:43]
	v_cndmask_b32_e64 v9, v3, v5, s[42:43]
	v_cndmask_b32_e64 v2, v8, v4, s[2:3]
	v_cmp_eq_u32_e64 s[42:43], 0, v68
	v_cndmask_b32_e64 v1, v9, v5, s[2:3]
	v_cndmask_b32_e64 v2, 0, v2, s[42:43]
	v_add_u32_e32 v78, v2, v42
	v_cndmask_b32_e64 v1, 0, v1, s[42:43]
	v_add_u32_e32 v79, v1, v6
	;; [unrolled: 2-line block ×27, first 2 shown]
	v_cndmask_b32_e64 v1, 0, v91, s[40:41]
	v_add_co_u32_e64 v10, s[4:5], 0, v101
	v_addc_co_u32_e64 v29, s[4:5], v1, v100, s[4:5]
	v_cndmask_b32_e64 v1, 0, v28, s[36:37]
	v_add_u32_e32 v92, v1, v103
	v_cndmask_b32_e64 v1, 0, v29, s[36:37]
	v_add_co_u32_e64 v10, s[4:5], 0, v103
	v_addc_co_u32_e64 v93, s[4:5], v1, v102, s[4:5]
	v_cndmask_b32_e64 v1, 0, v93, s[22:23]
	v_add_co_u32_e64 v10, s[4:5], 0, v107
	v_addc_co_u32_e64 v33, s[4:5], v1, v106, s[4:5]
	v_cndmask_b32_e64 v1, 0, v92, s[22:23]
	v_add_u32_e32 v32, v1, v107
	v_cndmask_b32_e64 v1, 0, v32, s[26:27]
	v_add_u32_e32 v94, v1, v110
	;; [unrolled: 2-line block ×7, first 2 shown]
	s_and_saveexec_b64 s[4:5], s[2:3]
	s_cbranch_execz .LBB2005_220
; %bb.219:
	v_mov_b32_e32 v1, 0
	ds_read_u8 v10, v1 offset:8
	ds_read_b64 v[8:9], v1
	s_add_u32 s6, s52, 0x400
	s_addc_u32 s7, s53, 0
	s_waitcnt lgkmcnt(1)
	v_cmp_eq_u16_e64 s[2:3], 0, v10
	v_cndmask_b32_e64 v1, 0, v4, s[2:3]
	s_waitcnt lgkmcnt(0)
	v_add_u32_e32 v8, v1, v8
	v_cndmask_b32_e64 v1, 0, v5, s[2:3]
	v_add_u32_e32 v1, v1, v9
	v_and_b32_e32 v9, 0xff000000, v1
	v_and_b32_e32 v11, 0xff0000, v1
	;; [unrolled: 1-line block ×3, first 2 shown]
	v_or_b32_e32 v9, v9, v11
	v_or_b32_e32 v9, v9, v14
	v_and_b32_e32 v10, 0xffff, v10
	v_or_b32_sdwa v9, v9, v1 dst_sel:DWORD dst_unused:UNUSED_PAD src0_sel:DWORD src1_sel:BYTE_0
	v_mov_b32_e32 v11, 2
	v_pk_mov_b32 v[14:15], s[6:7], s[6:7] op_sel:[0,1]
	;;#ASMSTART
	global_store_dwordx4 v[14:15], v[8:11] off	
s_waitcnt vmcnt(0)
	;;#ASMEND
	v_pk_mov_b32 v[8:9], v[4:5], v[4:5] op_sel:[0,1]
.LBB2005_220:
	s_or_b64 exec, exec, s[4:5]
	v_cndmask_b32_e32 v1, 0, v96, vcc
	v_cndmask_b32_e32 v127, 0, v97, vcc
.LBB2005_221:
	s_add_u32 s2, s50, s60
	s_addc_u32 s3, s51, s61
	v_add_u32_e32 v4, v1, v105
	v_mov_b32_e32 v1, s3
	v_add_co_u32_e32 v98, vcc, s2, v40
	v_addc_co_u32_e32 v99, vcc, v1, v41, vcc
	v_add_u32_e32 v5, v127, v44
	s_and_b64 vcc, exec, s[0:1]
	s_cbranch_vccz .LBB2005_303
; %bb.222:
	s_add_i32 s33, s33, s54
	v_mul_u32_u24_e32 v1, 21, v0
	v_pk_mov_b32 v[22:23], 0, 0
	v_cmp_gt_u32_e32 vcc, s33, v1
	v_pk_mov_b32 v[14:15], v[22:23], v[22:23] op_sel:[0,1]
	v_pk_mov_b32 v[10:11], v[22:23], v[22:23] op_sel:[0,1]
	;; [unrolled: 1-line block ×20, first 2 shown]
	s_and_saveexec_b64 s[0:1], vcc
	s_cbranch_execz .LBB2005_262
; %bb.223:
	v_add_u32_e32 v10, 1, v1
	v_pk_mov_b32 v[62:63], 0, 0
	v_cmp_gt_u32_e32 vcc, s33, v10
	v_pk_mov_b32 v[60:61], v[62:63], v[62:63] op_sel:[0,1]
	v_pk_mov_b32 v[58:59], v[62:63], v[62:63] op_sel:[0,1]
	;; [unrolled: 1-line block ×19, first 2 shown]
	s_and_saveexec_b64 s[2:3], vcc
	s_cbranch_execz .LBB2005_261
; %bb.224:
	v_add_u32_e32 v10, 2, v1
	v_pk_mov_b32 v[60:61], 0, 0
	v_cmp_gt_u32_e32 vcc, s33, v10
	v_pk_mov_b32 v[58:59], v[60:61], v[60:61] op_sel:[0,1]
	v_pk_mov_b32 v[56:57], v[60:61], v[60:61] op_sel:[0,1]
	;; [unrolled: 1-line block ×18, first 2 shown]
	s_and_saveexec_b64 s[4:5], vcc
	s_cbranch_execz .LBB2005_260
; %bb.225:
	v_add_u32_e32 v10, 3, v1
	v_pk_mov_b32 v[58:59], 0, 0
	v_cmp_gt_u32_e32 vcc, s33, v10
	v_pk_mov_b32 v[56:57], v[58:59], v[58:59] op_sel:[0,1]
	v_pk_mov_b32 v[54:55], v[58:59], v[58:59] op_sel:[0,1]
	;; [unrolled: 1-line block ×17, first 2 shown]
	s_and_saveexec_b64 s[6:7], vcc
	s_cbranch_execz .LBB2005_259
; %bb.226:
	v_add_u32_e32 v10, 4, v1
	v_pk_mov_b32 v[56:57], 0, 0
	v_cmp_gt_u32_e32 vcc, s33, v10
	v_pk_mov_b32 v[54:55], v[56:57], v[56:57] op_sel:[0,1]
	v_pk_mov_b32 v[52:53], v[56:57], v[56:57] op_sel:[0,1]
	;; [unrolled: 1-line block ×16, first 2 shown]
	s_and_saveexec_b64 s[8:9], vcc
	s_cbranch_execz .LBB2005_258
; %bb.227:
	v_add_u32_e32 v10, 5, v1
	v_pk_mov_b32 v[54:55], 0, 0
	v_cmp_gt_u32_e32 vcc, s33, v10
	v_pk_mov_b32 v[52:53], v[54:55], v[54:55] op_sel:[0,1]
	v_pk_mov_b32 v[50:51], v[54:55], v[54:55] op_sel:[0,1]
	v_pk_mov_b32 v[48:49], v[54:55], v[54:55] op_sel:[0,1]
	v_pk_mov_b32 v[46:47], v[54:55], v[54:55] op_sel:[0,1]
	v_pk_mov_b32 v[44:45], v[54:55], v[54:55] op_sel:[0,1]
	v_pk_mov_b32 v[42:43], v[54:55], v[54:55] op_sel:[0,1]
	v_pk_mov_b32 v[40:41], v[54:55], v[54:55] op_sel:[0,1]
	v_pk_mov_b32 v[38:39], v[54:55], v[54:55] op_sel:[0,1]
	v_pk_mov_b32 v[34:35], v[54:55], v[54:55] op_sel:[0,1]
	v_pk_mov_b32 v[30:31], v[54:55], v[54:55] op_sel:[0,1]
	v_pk_mov_b32 v[26:27], v[54:55], v[54:55] op_sel:[0,1]
	v_pk_mov_b32 v[18:19], v[54:55], v[54:55] op_sel:[0,1]
	v_pk_mov_b32 v[10:11], v[54:55], v[54:55] op_sel:[0,1]
	v_pk_mov_b32 v[14:15], v[54:55], v[54:55] op_sel:[0,1]
	v_pk_mov_b32 v[22:23], v[54:55], v[54:55] op_sel:[0,1]
	s_and_saveexec_b64 s[10:11], vcc
	s_cbranch_execz .LBB2005_257
; %bb.228:
	v_add_u32_e32 v10, 6, v1
	v_pk_mov_b32 v[52:53], 0, 0
	v_cmp_gt_u32_e32 vcc, s33, v10
	v_pk_mov_b32 v[50:51], v[52:53], v[52:53] op_sel:[0,1]
	v_pk_mov_b32 v[48:49], v[52:53], v[52:53] op_sel:[0,1]
	;; [unrolled: 1-line block ×14, first 2 shown]
	s_and_saveexec_b64 s[12:13], vcc
	s_cbranch_execz .LBB2005_256
; %bb.229:
	v_add_u32_e32 v10, 7, v1
	v_pk_mov_b32 v[50:51], 0, 0
	v_cmp_gt_u32_e32 vcc, s33, v10
	v_pk_mov_b32 v[48:49], v[50:51], v[50:51] op_sel:[0,1]
	v_pk_mov_b32 v[46:47], v[50:51], v[50:51] op_sel:[0,1]
	v_pk_mov_b32 v[44:45], v[50:51], v[50:51] op_sel:[0,1]
	v_pk_mov_b32 v[42:43], v[50:51], v[50:51] op_sel:[0,1]
	v_pk_mov_b32 v[40:41], v[50:51], v[50:51] op_sel:[0,1]
	v_pk_mov_b32 v[38:39], v[50:51], v[50:51] op_sel:[0,1]
	v_pk_mov_b32 v[34:35], v[50:51], v[50:51] op_sel:[0,1]
	v_pk_mov_b32 v[30:31], v[50:51], v[50:51] op_sel:[0,1]
	v_pk_mov_b32 v[26:27], v[50:51], v[50:51] op_sel:[0,1]
	v_pk_mov_b32 v[18:19], v[50:51], v[50:51] op_sel:[0,1]
	v_pk_mov_b32 v[10:11], v[50:51], v[50:51] op_sel:[0,1]
	v_pk_mov_b32 v[14:15], v[50:51], v[50:51] op_sel:[0,1]
	v_pk_mov_b32 v[22:23], v[50:51], v[50:51] op_sel:[0,1]
	s_and_saveexec_b64 s[14:15], vcc
	s_cbranch_execz .LBB2005_255
; %bb.230:
	v_add_u32_e32 v10, 8, v1
	v_pk_mov_b32 v[48:49], 0, 0
	v_cmp_gt_u32_e32 vcc, s33, v10
	v_pk_mov_b32 v[46:47], v[48:49], v[48:49] op_sel:[0,1]
	v_pk_mov_b32 v[44:45], v[48:49], v[48:49] op_sel:[0,1]
	;; [unrolled: 1-line block ×12, first 2 shown]
	s_and_saveexec_b64 s[16:17], vcc
	s_cbranch_execz .LBB2005_254
; %bb.231:
	v_add_u32_e32 v10, 9, v1
	v_pk_mov_b32 v[46:47], 0, 0
	v_cmp_gt_u32_e32 vcc, s33, v10
	v_pk_mov_b32 v[44:45], v[46:47], v[46:47] op_sel:[0,1]
	v_pk_mov_b32 v[42:43], v[46:47], v[46:47] op_sel:[0,1]
	v_pk_mov_b32 v[40:41], v[46:47], v[46:47] op_sel:[0,1]
	v_pk_mov_b32 v[38:39], v[46:47], v[46:47] op_sel:[0,1]
	v_pk_mov_b32 v[34:35], v[46:47], v[46:47] op_sel:[0,1]
	v_pk_mov_b32 v[30:31], v[46:47], v[46:47] op_sel:[0,1]
	v_pk_mov_b32 v[26:27], v[46:47], v[46:47] op_sel:[0,1]
	v_pk_mov_b32 v[18:19], v[46:47], v[46:47] op_sel:[0,1]
	v_pk_mov_b32 v[10:11], v[46:47], v[46:47] op_sel:[0,1]
	v_pk_mov_b32 v[14:15], v[46:47], v[46:47] op_sel:[0,1]
	v_pk_mov_b32 v[22:23], v[46:47], v[46:47] op_sel:[0,1]
	s_and_saveexec_b64 s[18:19], vcc
	s_cbranch_execz .LBB2005_253
; %bb.232:
	v_add_u32_e32 v10, 10, v1
	v_pk_mov_b32 v[44:45], 0, 0
	v_cmp_gt_u32_e32 vcc, s33, v10
	v_pk_mov_b32 v[42:43], v[44:45], v[44:45] op_sel:[0,1]
	v_pk_mov_b32 v[40:41], v[44:45], v[44:45] op_sel:[0,1]
	;; [unrolled: 1-line block ×10, first 2 shown]
	s_and_saveexec_b64 s[20:21], vcc
	s_cbranch_execz .LBB2005_252
; %bb.233:
	v_add_u32_e32 v10, 11, v1
	v_pk_mov_b32 v[42:43], 0, 0
	v_cmp_gt_u32_e32 vcc, s33, v10
	v_pk_mov_b32 v[40:41], v[42:43], v[42:43] op_sel:[0,1]
	v_pk_mov_b32 v[38:39], v[42:43], v[42:43] op_sel:[0,1]
	;; [unrolled: 1-line block ×9, first 2 shown]
	s_and_saveexec_b64 s[22:23], vcc
	s_cbranch_execz .LBB2005_251
; %bb.234:
	v_add_u32_e32 v10, 12, v1
	v_pk_mov_b32 v[40:41], 0, 0
	v_cmp_gt_u32_e32 vcc, s33, v10
	v_pk_mov_b32 v[38:39], v[40:41], v[40:41] op_sel:[0,1]
	v_pk_mov_b32 v[34:35], v[40:41], v[40:41] op_sel:[0,1]
	;; [unrolled: 1-line block ×8, first 2 shown]
	s_and_saveexec_b64 s[24:25], vcc
	s_cbranch_execz .LBB2005_250
; %bb.235:
	v_add_u32_e32 v10, 13, v1
	v_pk_mov_b32 v[38:39], 0, 0
	v_cmp_gt_u32_e32 vcc, s33, v10
	v_pk_mov_b32 v[34:35], v[38:39], v[38:39] op_sel:[0,1]
	v_pk_mov_b32 v[30:31], v[38:39], v[38:39] op_sel:[0,1]
	;; [unrolled: 1-line block ×7, first 2 shown]
	s_and_saveexec_b64 s[26:27], vcc
	s_cbranch_execz .LBB2005_249
; %bb.236:
	v_add_u32_e32 v10, 14, v1
	v_pk_mov_b32 v[34:35], 0, 0
	v_cmp_gt_u32_e32 vcc, s33, v10
	v_pk_mov_b32 v[30:31], v[34:35], v[34:35] op_sel:[0,1]
	v_pk_mov_b32 v[26:27], v[34:35], v[34:35] op_sel:[0,1]
	;; [unrolled: 1-line block ×6, first 2 shown]
	s_and_saveexec_b64 s[28:29], vcc
	s_cbranch_execz .LBB2005_248
; %bb.237:
	v_add_u32_e32 v10, 15, v1
	v_pk_mov_b32 v[30:31], 0, 0
	v_cmp_gt_u32_e32 vcc, s33, v10
	v_pk_mov_b32 v[26:27], v[30:31], v[30:31] op_sel:[0,1]
	v_pk_mov_b32 v[18:19], v[30:31], v[30:31] op_sel:[0,1]
	;; [unrolled: 1-line block ×5, first 2 shown]
	s_and_saveexec_b64 s[30:31], vcc
	s_cbranch_execz .LBB2005_247
; %bb.238:
	v_add_u32_e32 v10, 16, v1
	v_pk_mov_b32 v[26:27], 0, 0
	v_cmp_gt_u32_e32 vcc, s33, v10
	v_pk_mov_b32 v[18:19], v[26:27], v[26:27] op_sel:[0,1]
	v_pk_mov_b32 v[10:11], v[26:27], v[26:27] op_sel:[0,1]
	;; [unrolled: 1-line block ×4, first 2 shown]
	s_and_saveexec_b64 s[34:35], vcc
	s_cbranch_execz .LBB2005_246
; %bb.239:
	v_add_u32_e32 v10, 17, v1
	v_pk_mov_b32 v[18:19], 0, 0
	v_cmp_gt_u32_e32 vcc, s33, v10
	v_pk_mov_b32 v[10:11], v[18:19], v[18:19] op_sel:[0,1]
	v_pk_mov_b32 v[14:15], v[18:19], v[18:19] op_sel:[0,1]
	;; [unrolled: 1-line block ×3, first 2 shown]
	s_and_saveexec_b64 s[36:37], vcc
	s_cbranch_execz .LBB2005_245
; %bb.240:
	v_add_u32_e32 v10, 18, v1
	v_cmp_gt_u32_e32 vcc, s33, v10
	v_pk_mov_b32 v[10:11], 0, 0
	v_pk_mov_b32 v[14:15], v[10:11], v[10:11] op_sel:[0,1]
	v_pk_mov_b32 v[22:23], v[10:11], v[10:11] op_sel:[0,1]
	s_and_saveexec_b64 s[38:39], vcc
	s_cbranch_execz .LBB2005_244
; %bb.241:
	v_add_u32_e32 v10, 19, v1
	v_pk_mov_b32 v[14:15], 0, 0
	v_cmp_gt_u32_e32 vcc, s33, v10
	v_pk_mov_b32 v[22:23], v[14:15], v[14:15] op_sel:[0,1]
	s_and_saveexec_b64 s[40:41], vcc
; %bb.242:
	v_add_u32_e32 v10, 20, v1
	v_cmp_gt_u32_e32 vcc, s33, v10
	v_cndmask_b32_e32 v23, 0, v5, vcc
	v_cndmask_b32_e32 v22, 0, v4, vcc
	v_pk_mov_b32 v[14:15], v[96:97], v[96:97] op_sel:[0,1]
; %bb.243:
	s_or_b64 exec, exec, s[40:41]
	v_pk_mov_b32 v[10:11], v[36:37], v[36:37] op_sel:[0,1]
.LBB2005_244:
	s_or_b64 exec, exec, s[38:39]
	v_pk_mov_b32 v[18:19], v[94:95], v[94:95] op_sel:[0,1]
.LBB2005_245:
	s_or_b64 exec, exec, s[36:37]
	v_pk_mov_b32 v[26:27], v[32:33], v[32:33] op_sel:[0,1]
.LBB2005_246:
	s_or_b64 exec, exec, s[34:35]
	v_pk_mov_b32 v[30:31], v[92:93], v[92:93] op_sel:[0,1]
.LBB2005_247:
	s_or_b64 exec, exec, s[30:31]
	v_pk_mov_b32 v[34:35], v[28:29], v[28:29] op_sel:[0,1]
.LBB2005_248:
	s_or_b64 exec, exec, s[28:29]
	v_pk_mov_b32 v[38:39], v[90:91], v[90:91] op_sel:[0,1]
.LBB2005_249:
	s_or_b64 exec, exec, s[26:27]
	v_pk_mov_b32 v[40:41], v[24:25], v[24:25] op_sel:[0,1]
.LBB2005_250:
	s_or_b64 exec, exec, s[24:25]
	v_pk_mov_b32 v[42:43], v[88:89], v[88:89] op_sel:[0,1]
.LBB2005_251:
	s_or_b64 exec, exec, s[22:23]
	v_pk_mov_b32 v[44:45], v[20:21], v[20:21] op_sel:[0,1]
.LBB2005_252:
	s_or_b64 exec, exec, s[20:21]
	v_pk_mov_b32 v[46:47], v[86:87], v[86:87] op_sel:[0,1]
.LBB2005_253:
	s_or_b64 exec, exec, s[18:19]
	v_pk_mov_b32 v[48:49], v[16:17], v[16:17] op_sel:[0,1]
.LBB2005_254:
	s_or_b64 exec, exec, s[16:17]
	v_pk_mov_b32 v[50:51], v[84:85], v[84:85] op_sel:[0,1]
.LBB2005_255:
	s_or_b64 exec, exec, s[14:15]
	v_pk_mov_b32 v[52:53], v[12:13], v[12:13] op_sel:[0,1]
.LBB2005_256:
	s_or_b64 exec, exec, s[12:13]
	v_pk_mov_b32 v[54:55], v[82:83], v[82:83] op_sel:[0,1]
.LBB2005_257:
	s_or_b64 exec, exec, s[10:11]
	v_pk_mov_b32 v[56:57], v[6:7], v[6:7] op_sel:[0,1]
.LBB2005_258:
	s_or_b64 exec, exec, s[8:9]
	v_pk_mov_b32 v[58:59], v[80:81], v[80:81] op_sel:[0,1]
.LBB2005_259:
	s_or_b64 exec, exec, s[6:7]
	v_pk_mov_b32 v[60:61], v[2:3], v[2:3] op_sel:[0,1]
.LBB2005_260:
	s_or_b64 exec, exec, s[4:5]
	v_pk_mov_b32 v[62:63], v[78:79], v[78:79] op_sel:[0,1]
.LBB2005_261:
	s_or_b64 exec, exec, s[2:3]
	v_pk_mov_b32 v[64:65], v[8:9], v[8:9] op_sel:[0,1]
.LBB2005_262:
	s_or_b64 exec, exec, s[0:1]
	v_lshlrev_b32_e32 v100, 3, v1
	s_movk_i32 s0, 0xff60
	s_waitcnt lgkmcnt(0)
	; wave barrier
	ds_write2_b64 v100, v[64:65], v[62:63] offset1:1
	ds_write2_b64 v100, v[60:61], v[58:59] offset0:2 offset1:3
	ds_write2_b64 v100, v[56:57], v[54:55] offset0:4 offset1:5
	;; [unrolled: 1-line block ×9, first 2 shown]
	ds_write_b64 v100, v[22:23] offset:160
	v_mad_i32_i24 v10, v0, s0, v100
	s_waitcnt lgkmcnt(0)
	; wave barrier
	s_waitcnt lgkmcnt(0)
	ds_read2st64_b64 v[74:77], v10 offset0:1 offset1:2
	ds_read2st64_b64 v[70:73], v10 offset0:3 offset1:4
	;; [unrolled: 1-line block ×10, first 2 shown]
	v_lshlrev_b32_e32 v10, 3, v0
	v_add_co_u32_e32 v10, vcc, v98, v10
	v_addc_co_u32_e32 v11, vcc, 0, v99, vcc
	v_mov_b32_e32 v1, 0
	v_cmp_gt_u32_e32 vcc, s33, v0
	s_and_saveexec_b64 s[0:1], vcc
	s_cbranch_execz .LBB2005_264
; %bb.263:
	v_mul_i32_i24_e32 v14, 0xffffff60, v0
	v_add_u32_e32 v14, v100, v14
	ds_read_b64 v[14:15], v14
	s_waitcnt lgkmcnt(0)
	flat_store_dwordx2 v[10:11], v[14:15]
.LBB2005_264:
	s_or_b64 exec, exec, s[0:1]
	v_or_b32_e32 v14, 64, v0
	v_cmp_gt_u32_e32 vcc, s33, v14
	s_and_saveexec_b64 s[0:1], vcc
	s_cbranch_execz .LBB2005_266
; %bb.265:
	s_waitcnt lgkmcnt(0)
	flat_store_dwordx2 v[10:11], v[74:75] offset:512
.LBB2005_266:
	s_or_b64 exec, exec, s[0:1]
	v_or_b32_e32 v14, 0x80, v0
	v_cmp_gt_u32_e32 vcc, s33, v14
	s_and_saveexec_b64 s[0:1], vcc
	s_cbranch_execz .LBB2005_268
; %bb.267:
	s_waitcnt lgkmcnt(0)
	flat_store_dwordx2 v[10:11], v[76:77] offset:1024
.LBB2005_268:
	s_or_b64 exec, exec, s[0:1]
	v_or_b32_e32 v14, 0xc0, v0
	v_cmp_gt_u32_e32 vcc, s33, v14
	s_and_saveexec_b64 s[0:1], vcc
	s_cbranch_execz .LBB2005_270
; %bb.269:
	s_waitcnt lgkmcnt(0)
	flat_store_dwordx2 v[10:11], v[70:71] offset:1536
.LBB2005_270:
	s_or_b64 exec, exec, s[0:1]
	v_or_b32_e32 v14, 0x100, v0
	v_cmp_gt_u32_e32 vcc, s33, v14
	s_and_saveexec_b64 s[0:1], vcc
	s_cbranch_execz .LBB2005_272
; %bb.271:
	s_waitcnt lgkmcnt(0)
	flat_store_dwordx2 v[10:11], v[72:73] offset:2048
.LBB2005_272:
	s_or_b64 exec, exec, s[0:1]
	v_or_b32_e32 v14, 0x140, v0
	v_cmp_gt_u32_e32 vcc, s33, v14
	s_and_saveexec_b64 s[0:1], vcc
	s_cbranch_execz .LBB2005_274
; %bb.273:
	s_waitcnt lgkmcnt(0)
	flat_store_dwordx2 v[10:11], v[66:67] offset:2560
.LBB2005_274:
	s_or_b64 exec, exec, s[0:1]
	v_or_b32_e32 v14, 0x180, v0
	v_cmp_gt_u32_e32 vcc, s33, v14
	s_and_saveexec_b64 s[0:1], vcc
	s_cbranch_execz .LBB2005_276
; %bb.275:
	s_waitcnt lgkmcnt(0)
	flat_store_dwordx2 v[10:11], v[68:69] offset:3072
.LBB2005_276:
	s_or_b64 exec, exec, s[0:1]
	v_or_b32_e32 v14, 0x1c0, v0
	v_cmp_gt_u32_e32 vcc, s33, v14
	s_and_saveexec_b64 s[0:1], vcc
	s_cbranch_execz .LBB2005_278
; %bb.277:
	s_waitcnt lgkmcnt(0)
	flat_store_dwordx2 v[10:11], v[62:63] offset:3584
.LBB2005_278:
	s_or_b64 exec, exec, s[0:1]
	v_or_b32_e32 v14, 0x200, v0
	v_cmp_gt_u32_e32 vcc, s33, v14
	s_and_saveexec_b64 s[0:1], vcc
	s_cbranch_execz .LBB2005_280
; %bb.279:
	v_add_co_u32_e32 v14, vcc, 0x1000, v10
	v_addc_co_u32_e32 v15, vcc, 0, v11, vcc
	s_waitcnt lgkmcnt(0)
	flat_store_dwordx2 v[14:15], v[64:65]
.LBB2005_280:
	s_or_b64 exec, exec, s[0:1]
	v_or_b32_e32 v14, 0x240, v0
	v_cmp_gt_u32_e32 vcc, s33, v14
	s_and_saveexec_b64 s[0:1], vcc
	s_cbranch_execz .LBB2005_282
; %bb.281:
	v_add_co_u32_e32 v14, vcc, 0x1000, v10
	v_addc_co_u32_e32 v15, vcc, 0, v11, vcc
	s_waitcnt lgkmcnt(0)
	flat_store_dwordx2 v[14:15], v[58:59] offset:512
.LBB2005_282:
	s_or_b64 exec, exec, s[0:1]
	v_or_b32_e32 v14, 0x280, v0
	v_cmp_gt_u32_e32 vcc, s33, v14
	s_and_saveexec_b64 s[0:1], vcc
	s_cbranch_execz .LBB2005_284
; %bb.283:
	v_add_co_u32_e32 v14, vcc, 0x1000, v10
	v_addc_co_u32_e32 v15, vcc, 0, v11, vcc
	s_waitcnt lgkmcnt(0)
	flat_store_dwordx2 v[14:15], v[60:61] offset:1024
.LBB2005_284:
	;; [unrolled: 11-line block ×7, first 2 shown]
	s_or_b64 exec, exec, s[0:1]
	v_or_b32_e32 v14, 0x400, v0
	v_cmp_gt_u32_e32 vcc, s33, v14
	s_and_saveexec_b64 s[0:1], vcc
	s_cbranch_execz .LBB2005_296
; %bb.295:
	v_add_co_u32_e32 v14, vcc, 0x2000, v10
	v_addc_co_u32_e32 v15, vcc, 0, v11, vcc
	s_waitcnt lgkmcnt(0)
	flat_store_dwordx2 v[14:15], v[48:49]
.LBB2005_296:
	s_or_b64 exec, exec, s[0:1]
	v_or_b32_e32 v14, 0x440, v0
	v_cmp_gt_u32_e32 vcc, s33, v14
	s_and_saveexec_b64 s[0:1], vcc
	s_cbranch_execz .LBB2005_298
; %bb.297:
	v_add_co_u32_e32 v14, vcc, 0x2000, v10
	v_addc_co_u32_e32 v15, vcc, 0, v11, vcc
	s_waitcnt lgkmcnt(0)
	flat_store_dwordx2 v[14:15], v[42:43] offset:512
.LBB2005_298:
	s_or_b64 exec, exec, s[0:1]
	v_or_b32_e32 v14, 0x480, v0
	v_cmp_gt_u32_e32 vcc, s33, v14
	s_and_saveexec_b64 s[0:1], vcc
	s_cbranch_execz .LBB2005_300
; %bb.299:
	v_add_co_u32_e32 v14, vcc, 0x2000, v10
	v_addc_co_u32_e32 v15, vcc, 0, v11, vcc
	s_waitcnt lgkmcnt(0)
	flat_store_dwordx2 v[14:15], v[44:45] offset:1024
.LBB2005_300:
	;; [unrolled: 11-line block ×3, first 2 shown]
	s_or_b64 exec, exec, s[0:1]
	v_or_b32_e32 v10, 0x500, v0
	v_cmp_gt_u32_e64 s[0:1], s33, v10
	s_branch .LBB2005_305
.LBB2005_303:
	s_mov_b64 s[0:1], 0
                                        ; kill: def $vgpr10_vgpr11 killed $sgpr0_sgpr1 killed $exec
                                        ; implicit-def: $vgpr40_vgpr41
	s_cbranch_execz .LBB2005_305
; %bb.304:
	v_mul_u32_u24_e32 v1, 0xa8, v0
	s_waitcnt lgkmcnt(0)
	; wave barrier
	s_waitcnt lgkmcnt(0)
	s_movk_i32 s2, 0xa8
	ds_write2_b64 v1, v[8:9], v[78:79] offset1:1
	ds_write2_b64 v1, v[2:3], v[80:81] offset0:2 offset1:3
	ds_write2_b64 v1, v[6:7], v[82:83] offset0:4 offset1:5
	;; [unrolled: 1-line block ×9, first 2 shown]
	ds_write_b64 v1, v[4:5] offset:160
	v_mul_i32_i24_e32 v2, 0xffffff60, v0
	v_mad_u32_u24 v38, v0, s2, v2
	s_waitcnt lgkmcnt(0)
	; wave barrier
	s_waitcnt lgkmcnt(0)
	ds_read2st64_b64 v[2:5], v38 offset1:1
	ds_read2st64_b64 v[6:9], v38 offset0:2 offset1:3
	ds_read2st64_b64 v[10:13], v38 offset0:4 offset1:5
	;; [unrolled: 1-line block ×9, first 2 shown]
	ds_read_b64 v[40:41], v38 offset:10240
	v_lshlrev_b32_e32 v38, 3, v0
	v_add_co_u32_e32 v38, vcc, v98, v38
	v_addc_co_u32_e32 v39, vcc, 0, v99, vcc
	s_movk_i32 s2, 0x1000
	s_waitcnt lgkmcnt(0)
	flat_store_dwordx2 v[38:39], v[2:3]
	flat_store_dwordx2 v[38:39], v[4:5] offset:512
	flat_store_dwordx2 v[38:39], v[6:7] offset:1024
	;; [unrolled: 1-line block ×7, first 2 shown]
	v_add_co_u32_e32 v2, vcc, s2, v38
	v_addc_co_u32_e32 v3, vcc, 0, v39, vcc
	flat_store_dwordx2 v[2:3], v[18:19]
	flat_store_dwordx2 v[2:3], v[20:21] offset:512
	flat_store_dwordx2 v[2:3], v[22:23] offset:1024
	;; [unrolled: 1-line block ×7, first 2 shown]
	v_add_co_u32_e32 v2, vcc, 0x2000, v38
	v_mov_b32_e32 v1, 0
	v_addc_co_u32_e32 v3, vcc, 0, v39, vcc
	s_or_b64 s[0:1], s[0:1], exec
	flat_store_dwordx2 v[2:3], v[34:35]
	flat_store_dwordx2 v[2:3], v[36:37] offset:512
	flat_store_dwordx2 v[2:3], v[42:43] offset:1024
	;; [unrolled: 1-line block ×3, first 2 shown]
.LBB2005_305:
	s_and_saveexec_b64 s[2:3], s[0:1]
	s_cbranch_execnz .LBB2005_307
; %bb.306:
	s_endpgm
.LBB2005_307:
	v_lshlrev_b64 v[0:1], 3, v[0:1]
	v_add_co_u32_e32 v0, vcc, v98, v0
	v_addc_co_u32_e32 v1, vcc, v99, v1, vcc
	v_add_co_u32_e32 v0, vcc, 0x2000, v0
	v_addc_co_u32_e32 v1, vcc, 0, v1, vcc
	s_waitcnt lgkmcnt(0)
	flat_store_dwordx2 v[0:1], v[40:41] offset:2048
	s_endpgm
	.section	.rodata,"a",@progbits
	.p2align	6, 0x0
	.amdhsa_kernel _ZN7rocprim17ROCPRIM_400000_NS6detail17trampoline_kernelINS0_14default_configENS1_27scan_by_key_config_selectorIj11FixedVectorIiLj2EEEEZZNS1_16scan_by_key_implILNS1_25lookback_scan_determinismE0ELb1ES3_N6thrust23THRUST_200600_302600_NS6detail15normal_iteratorINSB_10device_ptrIjEEEENSD_INSE_IS6_EEEESI_S6_NSB_4plusIvEENSB_8equal_toIvEES6_EE10hipError_tPvRmT2_T3_T4_T5_mT6_T7_P12ihipStream_tbENKUlT_T0_E_clISt17integral_constantIbLb1EES13_EEDaSY_SZ_EUlSY_E_NS1_11comp_targetILNS1_3genE4ELNS1_11target_archE910ELNS1_3gpuE8ELNS1_3repE0EEENS1_30default_config_static_selectorELNS0_4arch9wavefront6targetE1EEEvT1_
		.amdhsa_group_segment_fixed_size 10752
		.amdhsa_private_segment_fixed_size 0
		.amdhsa_kernarg_size 120
		.amdhsa_user_sgpr_count 6
		.amdhsa_user_sgpr_private_segment_buffer 1
		.amdhsa_user_sgpr_dispatch_ptr 0
		.amdhsa_user_sgpr_queue_ptr 0
		.amdhsa_user_sgpr_kernarg_segment_ptr 1
		.amdhsa_user_sgpr_dispatch_id 0
		.amdhsa_user_sgpr_flat_scratch_init 0
		.amdhsa_user_sgpr_kernarg_preload_length 0
		.amdhsa_user_sgpr_kernarg_preload_offset 0
		.amdhsa_user_sgpr_private_segment_size 0
		.amdhsa_uses_dynamic_stack 0
		.amdhsa_system_sgpr_private_segment_wavefront_offset 0
		.amdhsa_system_sgpr_workgroup_id_x 1
		.amdhsa_system_sgpr_workgroup_id_y 0
		.amdhsa_system_sgpr_workgroup_id_z 0
		.amdhsa_system_sgpr_workgroup_info 0
		.amdhsa_system_vgpr_workitem_id 0
		.amdhsa_next_free_vgpr 128
		.amdhsa_next_free_sgpr 76
		.amdhsa_accum_offset 128
		.amdhsa_reserve_vcc 1
		.amdhsa_reserve_flat_scratch 0
		.amdhsa_float_round_mode_32 0
		.amdhsa_float_round_mode_16_64 0
		.amdhsa_float_denorm_mode_32 3
		.amdhsa_float_denorm_mode_16_64 3
		.amdhsa_dx10_clamp 1
		.amdhsa_ieee_mode 1
		.amdhsa_fp16_overflow 0
		.amdhsa_tg_split 0
		.amdhsa_exception_fp_ieee_invalid_op 0
		.amdhsa_exception_fp_denorm_src 0
		.amdhsa_exception_fp_ieee_div_zero 0
		.amdhsa_exception_fp_ieee_overflow 0
		.amdhsa_exception_fp_ieee_underflow 0
		.amdhsa_exception_fp_ieee_inexact 0
		.amdhsa_exception_int_div_zero 0
	.end_amdhsa_kernel
	.section	.text._ZN7rocprim17ROCPRIM_400000_NS6detail17trampoline_kernelINS0_14default_configENS1_27scan_by_key_config_selectorIj11FixedVectorIiLj2EEEEZZNS1_16scan_by_key_implILNS1_25lookback_scan_determinismE0ELb1ES3_N6thrust23THRUST_200600_302600_NS6detail15normal_iteratorINSB_10device_ptrIjEEEENSD_INSE_IS6_EEEESI_S6_NSB_4plusIvEENSB_8equal_toIvEES6_EE10hipError_tPvRmT2_T3_T4_T5_mT6_T7_P12ihipStream_tbENKUlT_T0_E_clISt17integral_constantIbLb1EES13_EEDaSY_SZ_EUlSY_E_NS1_11comp_targetILNS1_3genE4ELNS1_11target_archE910ELNS1_3gpuE8ELNS1_3repE0EEENS1_30default_config_static_selectorELNS0_4arch9wavefront6targetE1EEEvT1_,"axG",@progbits,_ZN7rocprim17ROCPRIM_400000_NS6detail17trampoline_kernelINS0_14default_configENS1_27scan_by_key_config_selectorIj11FixedVectorIiLj2EEEEZZNS1_16scan_by_key_implILNS1_25lookback_scan_determinismE0ELb1ES3_N6thrust23THRUST_200600_302600_NS6detail15normal_iteratorINSB_10device_ptrIjEEEENSD_INSE_IS6_EEEESI_S6_NSB_4plusIvEENSB_8equal_toIvEES6_EE10hipError_tPvRmT2_T3_T4_T5_mT6_T7_P12ihipStream_tbENKUlT_T0_E_clISt17integral_constantIbLb1EES13_EEDaSY_SZ_EUlSY_E_NS1_11comp_targetILNS1_3genE4ELNS1_11target_archE910ELNS1_3gpuE8ELNS1_3repE0EEENS1_30default_config_static_selectorELNS0_4arch9wavefront6targetE1EEEvT1_,comdat
.Lfunc_end2005:
	.size	_ZN7rocprim17ROCPRIM_400000_NS6detail17trampoline_kernelINS0_14default_configENS1_27scan_by_key_config_selectorIj11FixedVectorIiLj2EEEEZZNS1_16scan_by_key_implILNS1_25lookback_scan_determinismE0ELb1ES3_N6thrust23THRUST_200600_302600_NS6detail15normal_iteratorINSB_10device_ptrIjEEEENSD_INSE_IS6_EEEESI_S6_NSB_4plusIvEENSB_8equal_toIvEES6_EE10hipError_tPvRmT2_T3_T4_T5_mT6_T7_P12ihipStream_tbENKUlT_T0_E_clISt17integral_constantIbLb1EES13_EEDaSY_SZ_EUlSY_E_NS1_11comp_targetILNS1_3genE4ELNS1_11target_archE910ELNS1_3gpuE8ELNS1_3repE0EEENS1_30default_config_static_selectorELNS0_4arch9wavefront6targetE1EEEvT1_, .Lfunc_end2005-_ZN7rocprim17ROCPRIM_400000_NS6detail17trampoline_kernelINS0_14default_configENS1_27scan_by_key_config_selectorIj11FixedVectorIiLj2EEEEZZNS1_16scan_by_key_implILNS1_25lookback_scan_determinismE0ELb1ES3_N6thrust23THRUST_200600_302600_NS6detail15normal_iteratorINSB_10device_ptrIjEEEENSD_INSE_IS6_EEEESI_S6_NSB_4plusIvEENSB_8equal_toIvEES6_EE10hipError_tPvRmT2_T3_T4_T5_mT6_T7_P12ihipStream_tbENKUlT_T0_E_clISt17integral_constantIbLb1EES13_EEDaSY_SZ_EUlSY_E_NS1_11comp_targetILNS1_3genE4ELNS1_11target_archE910ELNS1_3gpuE8ELNS1_3repE0EEENS1_30default_config_static_selectorELNS0_4arch9wavefront6targetE1EEEvT1_
                                        ; -- End function
	.section	.AMDGPU.csdata,"",@progbits
; Kernel info:
; codeLenInByte = 18980
; NumSgprs: 80
; NumVgprs: 128
; NumAgprs: 0
; TotalNumVgprs: 128
; ScratchSize: 0
; MemoryBound: 0
; FloatMode: 240
; IeeeMode: 1
; LDSByteSize: 10752 bytes/workgroup (compile time only)
; SGPRBlocks: 9
; VGPRBlocks: 15
; NumSGPRsForWavesPerEU: 80
; NumVGPRsForWavesPerEU: 128
; AccumOffset: 128
; Occupancy: 2
; WaveLimiterHint : 1
; COMPUTE_PGM_RSRC2:SCRATCH_EN: 0
; COMPUTE_PGM_RSRC2:USER_SGPR: 6
; COMPUTE_PGM_RSRC2:TRAP_HANDLER: 0
; COMPUTE_PGM_RSRC2:TGID_X_EN: 1
; COMPUTE_PGM_RSRC2:TGID_Y_EN: 0
; COMPUTE_PGM_RSRC2:TGID_Z_EN: 0
; COMPUTE_PGM_RSRC2:TIDIG_COMP_CNT: 0
; COMPUTE_PGM_RSRC3_GFX90A:ACCUM_OFFSET: 31
; COMPUTE_PGM_RSRC3_GFX90A:TG_SPLIT: 0
	.section	.text._ZN7rocprim17ROCPRIM_400000_NS6detail17trampoline_kernelINS0_14default_configENS1_27scan_by_key_config_selectorIj11FixedVectorIiLj2EEEEZZNS1_16scan_by_key_implILNS1_25lookback_scan_determinismE0ELb1ES3_N6thrust23THRUST_200600_302600_NS6detail15normal_iteratorINSB_10device_ptrIjEEEENSD_INSE_IS6_EEEESI_S6_NSB_4plusIvEENSB_8equal_toIvEES6_EE10hipError_tPvRmT2_T3_T4_T5_mT6_T7_P12ihipStream_tbENKUlT_T0_E_clISt17integral_constantIbLb1EES13_EEDaSY_SZ_EUlSY_E_NS1_11comp_targetILNS1_3genE3ELNS1_11target_archE908ELNS1_3gpuE7ELNS1_3repE0EEENS1_30default_config_static_selectorELNS0_4arch9wavefront6targetE1EEEvT1_,"axG",@progbits,_ZN7rocprim17ROCPRIM_400000_NS6detail17trampoline_kernelINS0_14default_configENS1_27scan_by_key_config_selectorIj11FixedVectorIiLj2EEEEZZNS1_16scan_by_key_implILNS1_25lookback_scan_determinismE0ELb1ES3_N6thrust23THRUST_200600_302600_NS6detail15normal_iteratorINSB_10device_ptrIjEEEENSD_INSE_IS6_EEEESI_S6_NSB_4plusIvEENSB_8equal_toIvEES6_EE10hipError_tPvRmT2_T3_T4_T5_mT6_T7_P12ihipStream_tbENKUlT_T0_E_clISt17integral_constantIbLb1EES13_EEDaSY_SZ_EUlSY_E_NS1_11comp_targetILNS1_3genE3ELNS1_11target_archE908ELNS1_3gpuE7ELNS1_3repE0EEENS1_30default_config_static_selectorELNS0_4arch9wavefront6targetE1EEEvT1_,comdat
	.protected	_ZN7rocprim17ROCPRIM_400000_NS6detail17trampoline_kernelINS0_14default_configENS1_27scan_by_key_config_selectorIj11FixedVectorIiLj2EEEEZZNS1_16scan_by_key_implILNS1_25lookback_scan_determinismE0ELb1ES3_N6thrust23THRUST_200600_302600_NS6detail15normal_iteratorINSB_10device_ptrIjEEEENSD_INSE_IS6_EEEESI_S6_NSB_4plusIvEENSB_8equal_toIvEES6_EE10hipError_tPvRmT2_T3_T4_T5_mT6_T7_P12ihipStream_tbENKUlT_T0_E_clISt17integral_constantIbLb1EES13_EEDaSY_SZ_EUlSY_E_NS1_11comp_targetILNS1_3genE3ELNS1_11target_archE908ELNS1_3gpuE7ELNS1_3repE0EEENS1_30default_config_static_selectorELNS0_4arch9wavefront6targetE1EEEvT1_ ; -- Begin function _ZN7rocprim17ROCPRIM_400000_NS6detail17trampoline_kernelINS0_14default_configENS1_27scan_by_key_config_selectorIj11FixedVectorIiLj2EEEEZZNS1_16scan_by_key_implILNS1_25lookback_scan_determinismE0ELb1ES3_N6thrust23THRUST_200600_302600_NS6detail15normal_iteratorINSB_10device_ptrIjEEEENSD_INSE_IS6_EEEESI_S6_NSB_4plusIvEENSB_8equal_toIvEES6_EE10hipError_tPvRmT2_T3_T4_T5_mT6_T7_P12ihipStream_tbENKUlT_T0_E_clISt17integral_constantIbLb1EES13_EEDaSY_SZ_EUlSY_E_NS1_11comp_targetILNS1_3genE3ELNS1_11target_archE908ELNS1_3gpuE7ELNS1_3repE0EEENS1_30default_config_static_selectorELNS0_4arch9wavefront6targetE1EEEvT1_
	.globl	_ZN7rocprim17ROCPRIM_400000_NS6detail17trampoline_kernelINS0_14default_configENS1_27scan_by_key_config_selectorIj11FixedVectorIiLj2EEEEZZNS1_16scan_by_key_implILNS1_25lookback_scan_determinismE0ELb1ES3_N6thrust23THRUST_200600_302600_NS6detail15normal_iteratorINSB_10device_ptrIjEEEENSD_INSE_IS6_EEEESI_S6_NSB_4plusIvEENSB_8equal_toIvEES6_EE10hipError_tPvRmT2_T3_T4_T5_mT6_T7_P12ihipStream_tbENKUlT_T0_E_clISt17integral_constantIbLb1EES13_EEDaSY_SZ_EUlSY_E_NS1_11comp_targetILNS1_3genE3ELNS1_11target_archE908ELNS1_3gpuE7ELNS1_3repE0EEENS1_30default_config_static_selectorELNS0_4arch9wavefront6targetE1EEEvT1_
	.p2align	8
	.type	_ZN7rocprim17ROCPRIM_400000_NS6detail17trampoline_kernelINS0_14default_configENS1_27scan_by_key_config_selectorIj11FixedVectorIiLj2EEEEZZNS1_16scan_by_key_implILNS1_25lookback_scan_determinismE0ELb1ES3_N6thrust23THRUST_200600_302600_NS6detail15normal_iteratorINSB_10device_ptrIjEEEENSD_INSE_IS6_EEEESI_S6_NSB_4plusIvEENSB_8equal_toIvEES6_EE10hipError_tPvRmT2_T3_T4_T5_mT6_T7_P12ihipStream_tbENKUlT_T0_E_clISt17integral_constantIbLb1EES13_EEDaSY_SZ_EUlSY_E_NS1_11comp_targetILNS1_3genE3ELNS1_11target_archE908ELNS1_3gpuE7ELNS1_3repE0EEENS1_30default_config_static_selectorELNS0_4arch9wavefront6targetE1EEEvT1_,@function
_ZN7rocprim17ROCPRIM_400000_NS6detail17trampoline_kernelINS0_14default_configENS1_27scan_by_key_config_selectorIj11FixedVectorIiLj2EEEEZZNS1_16scan_by_key_implILNS1_25lookback_scan_determinismE0ELb1ES3_N6thrust23THRUST_200600_302600_NS6detail15normal_iteratorINSB_10device_ptrIjEEEENSD_INSE_IS6_EEEESI_S6_NSB_4plusIvEENSB_8equal_toIvEES6_EE10hipError_tPvRmT2_T3_T4_T5_mT6_T7_P12ihipStream_tbENKUlT_T0_E_clISt17integral_constantIbLb1EES13_EEDaSY_SZ_EUlSY_E_NS1_11comp_targetILNS1_3genE3ELNS1_11target_archE908ELNS1_3gpuE7ELNS1_3repE0EEENS1_30default_config_static_selectorELNS0_4arch9wavefront6targetE1EEEvT1_: ; @_ZN7rocprim17ROCPRIM_400000_NS6detail17trampoline_kernelINS0_14default_configENS1_27scan_by_key_config_selectorIj11FixedVectorIiLj2EEEEZZNS1_16scan_by_key_implILNS1_25lookback_scan_determinismE0ELb1ES3_N6thrust23THRUST_200600_302600_NS6detail15normal_iteratorINSB_10device_ptrIjEEEENSD_INSE_IS6_EEEESI_S6_NSB_4plusIvEENSB_8equal_toIvEES6_EE10hipError_tPvRmT2_T3_T4_T5_mT6_T7_P12ihipStream_tbENKUlT_T0_E_clISt17integral_constantIbLb1EES13_EEDaSY_SZ_EUlSY_E_NS1_11comp_targetILNS1_3genE3ELNS1_11target_archE908ELNS1_3gpuE7ELNS1_3repE0EEENS1_30default_config_static_selectorELNS0_4arch9wavefront6targetE1EEEvT1_
; %bb.0:
	.section	.rodata,"a",@progbits
	.p2align	6, 0x0
	.amdhsa_kernel _ZN7rocprim17ROCPRIM_400000_NS6detail17trampoline_kernelINS0_14default_configENS1_27scan_by_key_config_selectorIj11FixedVectorIiLj2EEEEZZNS1_16scan_by_key_implILNS1_25lookback_scan_determinismE0ELb1ES3_N6thrust23THRUST_200600_302600_NS6detail15normal_iteratorINSB_10device_ptrIjEEEENSD_INSE_IS6_EEEESI_S6_NSB_4plusIvEENSB_8equal_toIvEES6_EE10hipError_tPvRmT2_T3_T4_T5_mT6_T7_P12ihipStream_tbENKUlT_T0_E_clISt17integral_constantIbLb1EES13_EEDaSY_SZ_EUlSY_E_NS1_11comp_targetILNS1_3genE3ELNS1_11target_archE908ELNS1_3gpuE7ELNS1_3repE0EEENS1_30default_config_static_selectorELNS0_4arch9wavefront6targetE1EEEvT1_
		.amdhsa_group_segment_fixed_size 0
		.amdhsa_private_segment_fixed_size 0
		.amdhsa_kernarg_size 120
		.amdhsa_user_sgpr_count 6
		.amdhsa_user_sgpr_private_segment_buffer 1
		.amdhsa_user_sgpr_dispatch_ptr 0
		.amdhsa_user_sgpr_queue_ptr 0
		.amdhsa_user_sgpr_kernarg_segment_ptr 1
		.amdhsa_user_sgpr_dispatch_id 0
		.amdhsa_user_sgpr_flat_scratch_init 0
		.amdhsa_user_sgpr_kernarg_preload_length 0
		.amdhsa_user_sgpr_kernarg_preload_offset 0
		.amdhsa_user_sgpr_private_segment_size 0
		.amdhsa_uses_dynamic_stack 0
		.amdhsa_system_sgpr_private_segment_wavefront_offset 0
		.amdhsa_system_sgpr_workgroup_id_x 1
		.amdhsa_system_sgpr_workgroup_id_y 0
		.amdhsa_system_sgpr_workgroup_id_z 0
		.amdhsa_system_sgpr_workgroup_info 0
		.amdhsa_system_vgpr_workitem_id 0
		.amdhsa_next_free_vgpr 1
		.amdhsa_next_free_sgpr 0
		.amdhsa_accum_offset 4
		.amdhsa_reserve_vcc 0
		.amdhsa_reserve_flat_scratch 0
		.amdhsa_float_round_mode_32 0
		.amdhsa_float_round_mode_16_64 0
		.amdhsa_float_denorm_mode_32 3
		.amdhsa_float_denorm_mode_16_64 3
		.amdhsa_dx10_clamp 1
		.amdhsa_ieee_mode 1
		.amdhsa_fp16_overflow 0
		.amdhsa_tg_split 0
		.amdhsa_exception_fp_ieee_invalid_op 0
		.amdhsa_exception_fp_denorm_src 0
		.amdhsa_exception_fp_ieee_div_zero 0
		.amdhsa_exception_fp_ieee_overflow 0
		.amdhsa_exception_fp_ieee_underflow 0
		.amdhsa_exception_fp_ieee_inexact 0
		.amdhsa_exception_int_div_zero 0
	.end_amdhsa_kernel
	.section	.text._ZN7rocprim17ROCPRIM_400000_NS6detail17trampoline_kernelINS0_14default_configENS1_27scan_by_key_config_selectorIj11FixedVectorIiLj2EEEEZZNS1_16scan_by_key_implILNS1_25lookback_scan_determinismE0ELb1ES3_N6thrust23THRUST_200600_302600_NS6detail15normal_iteratorINSB_10device_ptrIjEEEENSD_INSE_IS6_EEEESI_S6_NSB_4plusIvEENSB_8equal_toIvEES6_EE10hipError_tPvRmT2_T3_T4_T5_mT6_T7_P12ihipStream_tbENKUlT_T0_E_clISt17integral_constantIbLb1EES13_EEDaSY_SZ_EUlSY_E_NS1_11comp_targetILNS1_3genE3ELNS1_11target_archE908ELNS1_3gpuE7ELNS1_3repE0EEENS1_30default_config_static_selectorELNS0_4arch9wavefront6targetE1EEEvT1_,"axG",@progbits,_ZN7rocprim17ROCPRIM_400000_NS6detail17trampoline_kernelINS0_14default_configENS1_27scan_by_key_config_selectorIj11FixedVectorIiLj2EEEEZZNS1_16scan_by_key_implILNS1_25lookback_scan_determinismE0ELb1ES3_N6thrust23THRUST_200600_302600_NS6detail15normal_iteratorINSB_10device_ptrIjEEEENSD_INSE_IS6_EEEESI_S6_NSB_4plusIvEENSB_8equal_toIvEES6_EE10hipError_tPvRmT2_T3_T4_T5_mT6_T7_P12ihipStream_tbENKUlT_T0_E_clISt17integral_constantIbLb1EES13_EEDaSY_SZ_EUlSY_E_NS1_11comp_targetILNS1_3genE3ELNS1_11target_archE908ELNS1_3gpuE7ELNS1_3repE0EEENS1_30default_config_static_selectorELNS0_4arch9wavefront6targetE1EEEvT1_,comdat
.Lfunc_end2006:
	.size	_ZN7rocprim17ROCPRIM_400000_NS6detail17trampoline_kernelINS0_14default_configENS1_27scan_by_key_config_selectorIj11FixedVectorIiLj2EEEEZZNS1_16scan_by_key_implILNS1_25lookback_scan_determinismE0ELb1ES3_N6thrust23THRUST_200600_302600_NS6detail15normal_iteratorINSB_10device_ptrIjEEEENSD_INSE_IS6_EEEESI_S6_NSB_4plusIvEENSB_8equal_toIvEES6_EE10hipError_tPvRmT2_T3_T4_T5_mT6_T7_P12ihipStream_tbENKUlT_T0_E_clISt17integral_constantIbLb1EES13_EEDaSY_SZ_EUlSY_E_NS1_11comp_targetILNS1_3genE3ELNS1_11target_archE908ELNS1_3gpuE7ELNS1_3repE0EEENS1_30default_config_static_selectorELNS0_4arch9wavefront6targetE1EEEvT1_, .Lfunc_end2006-_ZN7rocprim17ROCPRIM_400000_NS6detail17trampoline_kernelINS0_14default_configENS1_27scan_by_key_config_selectorIj11FixedVectorIiLj2EEEEZZNS1_16scan_by_key_implILNS1_25lookback_scan_determinismE0ELb1ES3_N6thrust23THRUST_200600_302600_NS6detail15normal_iteratorINSB_10device_ptrIjEEEENSD_INSE_IS6_EEEESI_S6_NSB_4plusIvEENSB_8equal_toIvEES6_EE10hipError_tPvRmT2_T3_T4_T5_mT6_T7_P12ihipStream_tbENKUlT_T0_E_clISt17integral_constantIbLb1EES13_EEDaSY_SZ_EUlSY_E_NS1_11comp_targetILNS1_3genE3ELNS1_11target_archE908ELNS1_3gpuE7ELNS1_3repE0EEENS1_30default_config_static_selectorELNS0_4arch9wavefront6targetE1EEEvT1_
                                        ; -- End function
	.section	.AMDGPU.csdata,"",@progbits
; Kernel info:
; codeLenInByte = 0
; NumSgprs: 4
; NumVgprs: 0
; NumAgprs: 0
; TotalNumVgprs: 0
; ScratchSize: 0
; MemoryBound: 0
; FloatMode: 240
; IeeeMode: 1
; LDSByteSize: 0 bytes/workgroup (compile time only)
; SGPRBlocks: 0
; VGPRBlocks: 0
; NumSGPRsForWavesPerEU: 4
; NumVGPRsForWavesPerEU: 1
; AccumOffset: 4
; Occupancy: 8
; WaveLimiterHint : 0
; COMPUTE_PGM_RSRC2:SCRATCH_EN: 0
; COMPUTE_PGM_RSRC2:USER_SGPR: 6
; COMPUTE_PGM_RSRC2:TRAP_HANDLER: 0
; COMPUTE_PGM_RSRC2:TGID_X_EN: 1
; COMPUTE_PGM_RSRC2:TGID_Y_EN: 0
; COMPUTE_PGM_RSRC2:TGID_Z_EN: 0
; COMPUTE_PGM_RSRC2:TIDIG_COMP_CNT: 0
; COMPUTE_PGM_RSRC3_GFX90A:ACCUM_OFFSET: 0
; COMPUTE_PGM_RSRC3_GFX90A:TG_SPLIT: 0
	.section	.text._ZN7rocprim17ROCPRIM_400000_NS6detail17trampoline_kernelINS0_14default_configENS1_27scan_by_key_config_selectorIj11FixedVectorIiLj2EEEEZZNS1_16scan_by_key_implILNS1_25lookback_scan_determinismE0ELb1ES3_N6thrust23THRUST_200600_302600_NS6detail15normal_iteratorINSB_10device_ptrIjEEEENSD_INSE_IS6_EEEESI_S6_NSB_4plusIvEENSB_8equal_toIvEES6_EE10hipError_tPvRmT2_T3_T4_T5_mT6_T7_P12ihipStream_tbENKUlT_T0_E_clISt17integral_constantIbLb1EES13_EEDaSY_SZ_EUlSY_E_NS1_11comp_targetILNS1_3genE2ELNS1_11target_archE906ELNS1_3gpuE6ELNS1_3repE0EEENS1_30default_config_static_selectorELNS0_4arch9wavefront6targetE1EEEvT1_,"axG",@progbits,_ZN7rocprim17ROCPRIM_400000_NS6detail17trampoline_kernelINS0_14default_configENS1_27scan_by_key_config_selectorIj11FixedVectorIiLj2EEEEZZNS1_16scan_by_key_implILNS1_25lookback_scan_determinismE0ELb1ES3_N6thrust23THRUST_200600_302600_NS6detail15normal_iteratorINSB_10device_ptrIjEEEENSD_INSE_IS6_EEEESI_S6_NSB_4plusIvEENSB_8equal_toIvEES6_EE10hipError_tPvRmT2_T3_T4_T5_mT6_T7_P12ihipStream_tbENKUlT_T0_E_clISt17integral_constantIbLb1EES13_EEDaSY_SZ_EUlSY_E_NS1_11comp_targetILNS1_3genE2ELNS1_11target_archE906ELNS1_3gpuE6ELNS1_3repE0EEENS1_30default_config_static_selectorELNS0_4arch9wavefront6targetE1EEEvT1_,comdat
	.protected	_ZN7rocprim17ROCPRIM_400000_NS6detail17trampoline_kernelINS0_14default_configENS1_27scan_by_key_config_selectorIj11FixedVectorIiLj2EEEEZZNS1_16scan_by_key_implILNS1_25lookback_scan_determinismE0ELb1ES3_N6thrust23THRUST_200600_302600_NS6detail15normal_iteratorINSB_10device_ptrIjEEEENSD_INSE_IS6_EEEESI_S6_NSB_4plusIvEENSB_8equal_toIvEES6_EE10hipError_tPvRmT2_T3_T4_T5_mT6_T7_P12ihipStream_tbENKUlT_T0_E_clISt17integral_constantIbLb1EES13_EEDaSY_SZ_EUlSY_E_NS1_11comp_targetILNS1_3genE2ELNS1_11target_archE906ELNS1_3gpuE6ELNS1_3repE0EEENS1_30default_config_static_selectorELNS0_4arch9wavefront6targetE1EEEvT1_ ; -- Begin function _ZN7rocprim17ROCPRIM_400000_NS6detail17trampoline_kernelINS0_14default_configENS1_27scan_by_key_config_selectorIj11FixedVectorIiLj2EEEEZZNS1_16scan_by_key_implILNS1_25lookback_scan_determinismE0ELb1ES3_N6thrust23THRUST_200600_302600_NS6detail15normal_iteratorINSB_10device_ptrIjEEEENSD_INSE_IS6_EEEESI_S6_NSB_4plusIvEENSB_8equal_toIvEES6_EE10hipError_tPvRmT2_T3_T4_T5_mT6_T7_P12ihipStream_tbENKUlT_T0_E_clISt17integral_constantIbLb1EES13_EEDaSY_SZ_EUlSY_E_NS1_11comp_targetILNS1_3genE2ELNS1_11target_archE906ELNS1_3gpuE6ELNS1_3repE0EEENS1_30default_config_static_selectorELNS0_4arch9wavefront6targetE1EEEvT1_
	.globl	_ZN7rocprim17ROCPRIM_400000_NS6detail17trampoline_kernelINS0_14default_configENS1_27scan_by_key_config_selectorIj11FixedVectorIiLj2EEEEZZNS1_16scan_by_key_implILNS1_25lookback_scan_determinismE0ELb1ES3_N6thrust23THRUST_200600_302600_NS6detail15normal_iteratorINSB_10device_ptrIjEEEENSD_INSE_IS6_EEEESI_S6_NSB_4plusIvEENSB_8equal_toIvEES6_EE10hipError_tPvRmT2_T3_T4_T5_mT6_T7_P12ihipStream_tbENKUlT_T0_E_clISt17integral_constantIbLb1EES13_EEDaSY_SZ_EUlSY_E_NS1_11comp_targetILNS1_3genE2ELNS1_11target_archE906ELNS1_3gpuE6ELNS1_3repE0EEENS1_30default_config_static_selectorELNS0_4arch9wavefront6targetE1EEEvT1_
	.p2align	8
	.type	_ZN7rocprim17ROCPRIM_400000_NS6detail17trampoline_kernelINS0_14default_configENS1_27scan_by_key_config_selectorIj11FixedVectorIiLj2EEEEZZNS1_16scan_by_key_implILNS1_25lookback_scan_determinismE0ELb1ES3_N6thrust23THRUST_200600_302600_NS6detail15normal_iteratorINSB_10device_ptrIjEEEENSD_INSE_IS6_EEEESI_S6_NSB_4plusIvEENSB_8equal_toIvEES6_EE10hipError_tPvRmT2_T3_T4_T5_mT6_T7_P12ihipStream_tbENKUlT_T0_E_clISt17integral_constantIbLb1EES13_EEDaSY_SZ_EUlSY_E_NS1_11comp_targetILNS1_3genE2ELNS1_11target_archE906ELNS1_3gpuE6ELNS1_3repE0EEENS1_30default_config_static_selectorELNS0_4arch9wavefront6targetE1EEEvT1_,@function
_ZN7rocprim17ROCPRIM_400000_NS6detail17trampoline_kernelINS0_14default_configENS1_27scan_by_key_config_selectorIj11FixedVectorIiLj2EEEEZZNS1_16scan_by_key_implILNS1_25lookback_scan_determinismE0ELb1ES3_N6thrust23THRUST_200600_302600_NS6detail15normal_iteratorINSB_10device_ptrIjEEEENSD_INSE_IS6_EEEESI_S6_NSB_4plusIvEENSB_8equal_toIvEES6_EE10hipError_tPvRmT2_T3_T4_T5_mT6_T7_P12ihipStream_tbENKUlT_T0_E_clISt17integral_constantIbLb1EES13_EEDaSY_SZ_EUlSY_E_NS1_11comp_targetILNS1_3genE2ELNS1_11target_archE906ELNS1_3gpuE6ELNS1_3repE0EEENS1_30default_config_static_selectorELNS0_4arch9wavefront6targetE1EEEvT1_: ; @_ZN7rocprim17ROCPRIM_400000_NS6detail17trampoline_kernelINS0_14default_configENS1_27scan_by_key_config_selectorIj11FixedVectorIiLj2EEEEZZNS1_16scan_by_key_implILNS1_25lookback_scan_determinismE0ELb1ES3_N6thrust23THRUST_200600_302600_NS6detail15normal_iteratorINSB_10device_ptrIjEEEENSD_INSE_IS6_EEEESI_S6_NSB_4plusIvEENSB_8equal_toIvEES6_EE10hipError_tPvRmT2_T3_T4_T5_mT6_T7_P12ihipStream_tbENKUlT_T0_E_clISt17integral_constantIbLb1EES13_EEDaSY_SZ_EUlSY_E_NS1_11comp_targetILNS1_3genE2ELNS1_11target_archE906ELNS1_3gpuE6ELNS1_3repE0EEENS1_30default_config_static_selectorELNS0_4arch9wavefront6targetE1EEEvT1_
; %bb.0:
	.section	.rodata,"a",@progbits
	.p2align	6, 0x0
	.amdhsa_kernel _ZN7rocprim17ROCPRIM_400000_NS6detail17trampoline_kernelINS0_14default_configENS1_27scan_by_key_config_selectorIj11FixedVectorIiLj2EEEEZZNS1_16scan_by_key_implILNS1_25lookback_scan_determinismE0ELb1ES3_N6thrust23THRUST_200600_302600_NS6detail15normal_iteratorINSB_10device_ptrIjEEEENSD_INSE_IS6_EEEESI_S6_NSB_4plusIvEENSB_8equal_toIvEES6_EE10hipError_tPvRmT2_T3_T4_T5_mT6_T7_P12ihipStream_tbENKUlT_T0_E_clISt17integral_constantIbLb1EES13_EEDaSY_SZ_EUlSY_E_NS1_11comp_targetILNS1_3genE2ELNS1_11target_archE906ELNS1_3gpuE6ELNS1_3repE0EEENS1_30default_config_static_selectorELNS0_4arch9wavefront6targetE1EEEvT1_
		.amdhsa_group_segment_fixed_size 0
		.amdhsa_private_segment_fixed_size 0
		.amdhsa_kernarg_size 120
		.amdhsa_user_sgpr_count 6
		.amdhsa_user_sgpr_private_segment_buffer 1
		.amdhsa_user_sgpr_dispatch_ptr 0
		.amdhsa_user_sgpr_queue_ptr 0
		.amdhsa_user_sgpr_kernarg_segment_ptr 1
		.amdhsa_user_sgpr_dispatch_id 0
		.amdhsa_user_sgpr_flat_scratch_init 0
		.amdhsa_user_sgpr_kernarg_preload_length 0
		.amdhsa_user_sgpr_kernarg_preload_offset 0
		.amdhsa_user_sgpr_private_segment_size 0
		.amdhsa_uses_dynamic_stack 0
		.amdhsa_system_sgpr_private_segment_wavefront_offset 0
		.amdhsa_system_sgpr_workgroup_id_x 1
		.amdhsa_system_sgpr_workgroup_id_y 0
		.amdhsa_system_sgpr_workgroup_id_z 0
		.amdhsa_system_sgpr_workgroup_info 0
		.amdhsa_system_vgpr_workitem_id 0
		.amdhsa_next_free_vgpr 1
		.amdhsa_next_free_sgpr 0
		.amdhsa_accum_offset 4
		.amdhsa_reserve_vcc 0
		.amdhsa_reserve_flat_scratch 0
		.amdhsa_float_round_mode_32 0
		.amdhsa_float_round_mode_16_64 0
		.amdhsa_float_denorm_mode_32 3
		.amdhsa_float_denorm_mode_16_64 3
		.amdhsa_dx10_clamp 1
		.amdhsa_ieee_mode 1
		.amdhsa_fp16_overflow 0
		.amdhsa_tg_split 0
		.amdhsa_exception_fp_ieee_invalid_op 0
		.amdhsa_exception_fp_denorm_src 0
		.amdhsa_exception_fp_ieee_div_zero 0
		.amdhsa_exception_fp_ieee_overflow 0
		.amdhsa_exception_fp_ieee_underflow 0
		.amdhsa_exception_fp_ieee_inexact 0
		.amdhsa_exception_int_div_zero 0
	.end_amdhsa_kernel
	.section	.text._ZN7rocprim17ROCPRIM_400000_NS6detail17trampoline_kernelINS0_14default_configENS1_27scan_by_key_config_selectorIj11FixedVectorIiLj2EEEEZZNS1_16scan_by_key_implILNS1_25lookback_scan_determinismE0ELb1ES3_N6thrust23THRUST_200600_302600_NS6detail15normal_iteratorINSB_10device_ptrIjEEEENSD_INSE_IS6_EEEESI_S6_NSB_4plusIvEENSB_8equal_toIvEES6_EE10hipError_tPvRmT2_T3_T4_T5_mT6_T7_P12ihipStream_tbENKUlT_T0_E_clISt17integral_constantIbLb1EES13_EEDaSY_SZ_EUlSY_E_NS1_11comp_targetILNS1_3genE2ELNS1_11target_archE906ELNS1_3gpuE6ELNS1_3repE0EEENS1_30default_config_static_selectorELNS0_4arch9wavefront6targetE1EEEvT1_,"axG",@progbits,_ZN7rocprim17ROCPRIM_400000_NS6detail17trampoline_kernelINS0_14default_configENS1_27scan_by_key_config_selectorIj11FixedVectorIiLj2EEEEZZNS1_16scan_by_key_implILNS1_25lookback_scan_determinismE0ELb1ES3_N6thrust23THRUST_200600_302600_NS6detail15normal_iteratorINSB_10device_ptrIjEEEENSD_INSE_IS6_EEEESI_S6_NSB_4plusIvEENSB_8equal_toIvEES6_EE10hipError_tPvRmT2_T3_T4_T5_mT6_T7_P12ihipStream_tbENKUlT_T0_E_clISt17integral_constantIbLb1EES13_EEDaSY_SZ_EUlSY_E_NS1_11comp_targetILNS1_3genE2ELNS1_11target_archE906ELNS1_3gpuE6ELNS1_3repE0EEENS1_30default_config_static_selectorELNS0_4arch9wavefront6targetE1EEEvT1_,comdat
.Lfunc_end2007:
	.size	_ZN7rocprim17ROCPRIM_400000_NS6detail17trampoline_kernelINS0_14default_configENS1_27scan_by_key_config_selectorIj11FixedVectorIiLj2EEEEZZNS1_16scan_by_key_implILNS1_25lookback_scan_determinismE0ELb1ES3_N6thrust23THRUST_200600_302600_NS6detail15normal_iteratorINSB_10device_ptrIjEEEENSD_INSE_IS6_EEEESI_S6_NSB_4plusIvEENSB_8equal_toIvEES6_EE10hipError_tPvRmT2_T3_T4_T5_mT6_T7_P12ihipStream_tbENKUlT_T0_E_clISt17integral_constantIbLb1EES13_EEDaSY_SZ_EUlSY_E_NS1_11comp_targetILNS1_3genE2ELNS1_11target_archE906ELNS1_3gpuE6ELNS1_3repE0EEENS1_30default_config_static_selectorELNS0_4arch9wavefront6targetE1EEEvT1_, .Lfunc_end2007-_ZN7rocprim17ROCPRIM_400000_NS6detail17trampoline_kernelINS0_14default_configENS1_27scan_by_key_config_selectorIj11FixedVectorIiLj2EEEEZZNS1_16scan_by_key_implILNS1_25lookback_scan_determinismE0ELb1ES3_N6thrust23THRUST_200600_302600_NS6detail15normal_iteratorINSB_10device_ptrIjEEEENSD_INSE_IS6_EEEESI_S6_NSB_4plusIvEENSB_8equal_toIvEES6_EE10hipError_tPvRmT2_T3_T4_T5_mT6_T7_P12ihipStream_tbENKUlT_T0_E_clISt17integral_constantIbLb1EES13_EEDaSY_SZ_EUlSY_E_NS1_11comp_targetILNS1_3genE2ELNS1_11target_archE906ELNS1_3gpuE6ELNS1_3repE0EEENS1_30default_config_static_selectorELNS0_4arch9wavefront6targetE1EEEvT1_
                                        ; -- End function
	.section	.AMDGPU.csdata,"",@progbits
; Kernel info:
; codeLenInByte = 0
; NumSgprs: 4
; NumVgprs: 0
; NumAgprs: 0
; TotalNumVgprs: 0
; ScratchSize: 0
; MemoryBound: 0
; FloatMode: 240
; IeeeMode: 1
; LDSByteSize: 0 bytes/workgroup (compile time only)
; SGPRBlocks: 0
; VGPRBlocks: 0
; NumSGPRsForWavesPerEU: 4
; NumVGPRsForWavesPerEU: 1
; AccumOffset: 4
; Occupancy: 8
; WaveLimiterHint : 0
; COMPUTE_PGM_RSRC2:SCRATCH_EN: 0
; COMPUTE_PGM_RSRC2:USER_SGPR: 6
; COMPUTE_PGM_RSRC2:TRAP_HANDLER: 0
; COMPUTE_PGM_RSRC2:TGID_X_EN: 1
; COMPUTE_PGM_RSRC2:TGID_Y_EN: 0
; COMPUTE_PGM_RSRC2:TGID_Z_EN: 0
; COMPUTE_PGM_RSRC2:TIDIG_COMP_CNT: 0
; COMPUTE_PGM_RSRC3_GFX90A:ACCUM_OFFSET: 0
; COMPUTE_PGM_RSRC3_GFX90A:TG_SPLIT: 0
	.section	.text._ZN7rocprim17ROCPRIM_400000_NS6detail17trampoline_kernelINS0_14default_configENS1_27scan_by_key_config_selectorIj11FixedVectorIiLj2EEEEZZNS1_16scan_by_key_implILNS1_25lookback_scan_determinismE0ELb1ES3_N6thrust23THRUST_200600_302600_NS6detail15normal_iteratorINSB_10device_ptrIjEEEENSD_INSE_IS6_EEEESI_S6_NSB_4plusIvEENSB_8equal_toIvEES6_EE10hipError_tPvRmT2_T3_T4_T5_mT6_T7_P12ihipStream_tbENKUlT_T0_E_clISt17integral_constantIbLb1EES13_EEDaSY_SZ_EUlSY_E_NS1_11comp_targetILNS1_3genE10ELNS1_11target_archE1200ELNS1_3gpuE4ELNS1_3repE0EEENS1_30default_config_static_selectorELNS0_4arch9wavefront6targetE1EEEvT1_,"axG",@progbits,_ZN7rocprim17ROCPRIM_400000_NS6detail17trampoline_kernelINS0_14default_configENS1_27scan_by_key_config_selectorIj11FixedVectorIiLj2EEEEZZNS1_16scan_by_key_implILNS1_25lookback_scan_determinismE0ELb1ES3_N6thrust23THRUST_200600_302600_NS6detail15normal_iteratorINSB_10device_ptrIjEEEENSD_INSE_IS6_EEEESI_S6_NSB_4plusIvEENSB_8equal_toIvEES6_EE10hipError_tPvRmT2_T3_T4_T5_mT6_T7_P12ihipStream_tbENKUlT_T0_E_clISt17integral_constantIbLb1EES13_EEDaSY_SZ_EUlSY_E_NS1_11comp_targetILNS1_3genE10ELNS1_11target_archE1200ELNS1_3gpuE4ELNS1_3repE0EEENS1_30default_config_static_selectorELNS0_4arch9wavefront6targetE1EEEvT1_,comdat
	.protected	_ZN7rocprim17ROCPRIM_400000_NS6detail17trampoline_kernelINS0_14default_configENS1_27scan_by_key_config_selectorIj11FixedVectorIiLj2EEEEZZNS1_16scan_by_key_implILNS1_25lookback_scan_determinismE0ELb1ES3_N6thrust23THRUST_200600_302600_NS6detail15normal_iteratorINSB_10device_ptrIjEEEENSD_INSE_IS6_EEEESI_S6_NSB_4plusIvEENSB_8equal_toIvEES6_EE10hipError_tPvRmT2_T3_T4_T5_mT6_T7_P12ihipStream_tbENKUlT_T0_E_clISt17integral_constantIbLb1EES13_EEDaSY_SZ_EUlSY_E_NS1_11comp_targetILNS1_3genE10ELNS1_11target_archE1200ELNS1_3gpuE4ELNS1_3repE0EEENS1_30default_config_static_selectorELNS0_4arch9wavefront6targetE1EEEvT1_ ; -- Begin function _ZN7rocprim17ROCPRIM_400000_NS6detail17trampoline_kernelINS0_14default_configENS1_27scan_by_key_config_selectorIj11FixedVectorIiLj2EEEEZZNS1_16scan_by_key_implILNS1_25lookback_scan_determinismE0ELb1ES3_N6thrust23THRUST_200600_302600_NS6detail15normal_iteratorINSB_10device_ptrIjEEEENSD_INSE_IS6_EEEESI_S6_NSB_4plusIvEENSB_8equal_toIvEES6_EE10hipError_tPvRmT2_T3_T4_T5_mT6_T7_P12ihipStream_tbENKUlT_T0_E_clISt17integral_constantIbLb1EES13_EEDaSY_SZ_EUlSY_E_NS1_11comp_targetILNS1_3genE10ELNS1_11target_archE1200ELNS1_3gpuE4ELNS1_3repE0EEENS1_30default_config_static_selectorELNS0_4arch9wavefront6targetE1EEEvT1_
	.globl	_ZN7rocprim17ROCPRIM_400000_NS6detail17trampoline_kernelINS0_14default_configENS1_27scan_by_key_config_selectorIj11FixedVectorIiLj2EEEEZZNS1_16scan_by_key_implILNS1_25lookback_scan_determinismE0ELb1ES3_N6thrust23THRUST_200600_302600_NS6detail15normal_iteratorINSB_10device_ptrIjEEEENSD_INSE_IS6_EEEESI_S6_NSB_4plusIvEENSB_8equal_toIvEES6_EE10hipError_tPvRmT2_T3_T4_T5_mT6_T7_P12ihipStream_tbENKUlT_T0_E_clISt17integral_constantIbLb1EES13_EEDaSY_SZ_EUlSY_E_NS1_11comp_targetILNS1_3genE10ELNS1_11target_archE1200ELNS1_3gpuE4ELNS1_3repE0EEENS1_30default_config_static_selectorELNS0_4arch9wavefront6targetE1EEEvT1_
	.p2align	8
	.type	_ZN7rocprim17ROCPRIM_400000_NS6detail17trampoline_kernelINS0_14default_configENS1_27scan_by_key_config_selectorIj11FixedVectorIiLj2EEEEZZNS1_16scan_by_key_implILNS1_25lookback_scan_determinismE0ELb1ES3_N6thrust23THRUST_200600_302600_NS6detail15normal_iteratorINSB_10device_ptrIjEEEENSD_INSE_IS6_EEEESI_S6_NSB_4plusIvEENSB_8equal_toIvEES6_EE10hipError_tPvRmT2_T3_T4_T5_mT6_T7_P12ihipStream_tbENKUlT_T0_E_clISt17integral_constantIbLb1EES13_EEDaSY_SZ_EUlSY_E_NS1_11comp_targetILNS1_3genE10ELNS1_11target_archE1200ELNS1_3gpuE4ELNS1_3repE0EEENS1_30default_config_static_selectorELNS0_4arch9wavefront6targetE1EEEvT1_,@function
_ZN7rocprim17ROCPRIM_400000_NS6detail17trampoline_kernelINS0_14default_configENS1_27scan_by_key_config_selectorIj11FixedVectorIiLj2EEEEZZNS1_16scan_by_key_implILNS1_25lookback_scan_determinismE0ELb1ES3_N6thrust23THRUST_200600_302600_NS6detail15normal_iteratorINSB_10device_ptrIjEEEENSD_INSE_IS6_EEEESI_S6_NSB_4plusIvEENSB_8equal_toIvEES6_EE10hipError_tPvRmT2_T3_T4_T5_mT6_T7_P12ihipStream_tbENKUlT_T0_E_clISt17integral_constantIbLb1EES13_EEDaSY_SZ_EUlSY_E_NS1_11comp_targetILNS1_3genE10ELNS1_11target_archE1200ELNS1_3gpuE4ELNS1_3repE0EEENS1_30default_config_static_selectorELNS0_4arch9wavefront6targetE1EEEvT1_: ; @_ZN7rocprim17ROCPRIM_400000_NS6detail17trampoline_kernelINS0_14default_configENS1_27scan_by_key_config_selectorIj11FixedVectorIiLj2EEEEZZNS1_16scan_by_key_implILNS1_25lookback_scan_determinismE0ELb1ES3_N6thrust23THRUST_200600_302600_NS6detail15normal_iteratorINSB_10device_ptrIjEEEENSD_INSE_IS6_EEEESI_S6_NSB_4plusIvEENSB_8equal_toIvEES6_EE10hipError_tPvRmT2_T3_T4_T5_mT6_T7_P12ihipStream_tbENKUlT_T0_E_clISt17integral_constantIbLb1EES13_EEDaSY_SZ_EUlSY_E_NS1_11comp_targetILNS1_3genE10ELNS1_11target_archE1200ELNS1_3gpuE4ELNS1_3repE0EEENS1_30default_config_static_selectorELNS0_4arch9wavefront6targetE1EEEvT1_
; %bb.0:
	.section	.rodata,"a",@progbits
	.p2align	6, 0x0
	.amdhsa_kernel _ZN7rocprim17ROCPRIM_400000_NS6detail17trampoline_kernelINS0_14default_configENS1_27scan_by_key_config_selectorIj11FixedVectorIiLj2EEEEZZNS1_16scan_by_key_implILNS1_25lookback_scan_determinismE0ELb1ES3_N6thrust23THRUST_200600_302600_NS6detail15normal_iteratorINSB_10device_ptrIjEEEENSD_INSE_IS6_EEEESI_S6_NSB_4plusIvEENSB_8equal_toIvEES6_EE10hipError_tPvRmT2_T3_T4_T5_mT6_T7_P12ihipStream_tbENKUlT_T0_E_clISt17integral_constantIbLb1EES13_EEDaSY_SZ_EUlSY_E_NS1_11comp_targetILNS1_3genE10ELNS1_11target_archE1200ELNS1_3gpuE4ELNS1_3repE0EEENS1_30default_config_static_selectorELNS0_4arch9wavefront6targetE1EEEvT1_
		.amdhsa_group_segment_fixed_size 0
		.amdhsa_private_segment_fixed_size 0
		.amdhsa_kernarg_size 120
		.amdhsa_user_sgpr_count 6
		.amdhsa_user_sgpr_private_segment_buffer 1
		.amdhsa_user_sgpr_dispatch_ptr 0
		.amdhsa_user_sgpr_queue_ptr 0
		.amdhsa_user_sgpr_kernarg_segment_ptr 1
		.amdhsa_user_sgpr_dispatch_id 0
		.amdhsa_user_sgpr_flat_scratch_init 0
		.amdhsa_user_sgpr_kernarg_preload_length 0
		.amdhsa_user_sgpr_kernarg_preload_offset 0
		.amdhsa_user_sgpr_private_segment_size 0
		.amdhsa_uses_dynamic_stack 0
		.amdhsa_system_sgpr_private_segment_wavefront_offset 0
		.amdhsa_system_sgpr_workgroup_id_x 1
		.amdhsa_system_sgpr_workgroup_id_y 0
		.amdhsa_system_sgpr_workgroup_id_z 0
		.amdhsa_system_sgpr_workgroup_info 0
		.amdhsa_system_vgpr_workitem_id 0
		.amdhsa_next_free_vgpr 1
		.amdhsa_next_free_sgpr 0
		.amdhsa_accum_offset 4
		.amdhsa_reserve_vcc 0
		.amdhsa_reserve_flat_scratch 0
		.amdhsa_float_round_mode_32 0
		.amdhsa_float_round_mode_16_64 0
		.amdhsa_float_denorm_mode_32 3
		.amdhsa_float_denorm_mode_16_64 3
		.amdhsa_dx10_clamp 1
		.amdhsa_ieee_mode 1
		.amdhsa_fp16_overflow 0
		.amdhsa_tg_split 0
		.amdhsa_exception_fp_ieee_invalid_op 0
		.amdhsa_exception_fp_denorm_src 0
		.amdhsa_exception_fp_ieee_div_zero 0
		.amdhsa_exception_fp_ieee_overflow 0
		.amdhsa_exception_fp_ieee_underflow 0
		.amdhsa_exception_fp_ieee_inexact 0
		.amdhsa_exception_int_div_zero 0
	.end_amdhsa_kernel
	.section	.text._ZN7rocprim17ROCPRIM_400000_NS6detail17trampoline_kernelINS0_14default_configENS1_27scan_by_key_config_selectorIj11FixedVectorIiLj2EEEEZZNS1_16scan_by_key_implILNS1_25lookback_scan_determinismE0ELb1ES3_N6thrust23THRUST_200600_302600_NS6detail15normal_iteratorINSB_10device_ptrIjEEEENSD_INSE_IS6_EEEESI_S6_NSB_4plusIvEENSB_8equal_toIvEES6_EE10hipError_tPvRmT2_T3_T4_T5_mT6_T7_P12ihipStream_tbENKUlT_T0_E_clISt17integral_constantIbLb1EES13_EEDaSY_SZ_EUlSY_E_NS1_11comp_targetILNS1_3genE10ELNS1_11target_archE1200ELNS1_3gpuE4ELNS1_3repE0EEENS1_30default_config_static_selectorELNS0_4arch9wavefront6targetE1EEEvT1_,"axG",@progbits,_ZN7rocprim17ROCPRIM_400000_NS6detail17trampoline_kernelINS0_14default_configENS1_27scan_by_key_config_selectorIj11FixedVectorIiLj2EEEEZZNS1_16scan_by_key_implILNS1_25lookback_scan_determinismE0ELb1ES3_N6thrust23THRUST_200600_302600_NS6detail15normal_iteratorINSB_10device_ptrIjEEEENSD_INSE_IS6_EEEESI_S6_NSB_4plusIvEENSB_8equal_toIvEES6_EE10hipError_tPvRmT2_T3_T4_T5_mT6_T7_P12ihipStream_tbENKUlT_T0_E_clISt17integral_constantIbLb1EES13_EEDaSY_SZ_EUlSY_E_NS1_11comp_targetILNS1_3genE10ELNS1_11target_archE1200ELNS1_3gpuE4ELNS1_3repE0EEENS1_30default_config_static_selectorELNS0_4arch9wavefront6targetE1EEEvT1_,comdat
.Lfunc_end2008:
	.size	_ZN7rocprim17ROCPRIM_400000_NS6detail17trampoline_kernelINS0_14default_configENS1_27scan_by_key_config_selectorIj11FixedVectorIiLj2EEEEZZNS1_16scan_by_key_implILNS1_25lookback_scan_determinismE0ELb1ES3_N6thrust23THRUST_200600_302600_NS6detail15normal_iteratorINSB_10device_ptrIjEEEENSD_INSE_IS6_EEEESI_S6_NSB_4plusIvEENSB_8equal_toIvEES6_EE10hipError_tPvRmT2_T3_T4_T5_mT6_T7_P12ihipStream_tbENKUlT_T0_E_clISt17integral_constantIbLb1EES13_EEDaSY_SZ_EUlSY_E_NS1_11comp_targetILNS1_3genE10ELNS1_11target_archE1200ELNS1_3gpuE4ELNS1_3repE0EEENS1_30default_config_static_selectorELNS0_4arch9wavefront6targetE1EEEvT1_, .Lfunc_end2008-_ZN7rocprim17ROCPRIM_400000_NS6detail17trampoline_kernelINS0_14default_configENS1_27scan_by_key_config_selectorIj11FixedVectorIiLj2EEEEZZNS1_16scan_by_key_implILNS1_25lookback_scan_determinismE0ELb1ES3_N6thrust23THRUST_200600_302600_NS6detail15normal_iteratorINSB_10device_ptrIjEEEENSD_INSE_IS6_EEEESI_S6_NSB_4plusIvEENSB_8equal_toIvEES6_EE10hipError_tPvRmT2_T3_T4_T5_mT6_T7_P12ihipStream_tbENKUlT_T0_E_clISt17integral_constantIbLb1EES13_EEDaSY_SZ_EUlSY_E_NS1_11comp_targetILNS1_3genE10ELNS1_11target_archE1200ELNS1_3gpuE4ELNS1_3repE0EEENS1_30default_config_static_selectorELNS0_4arch9wavefront6targetE1EEEvT1_
                                        ; -- End function
	.section	.AMDGPU.csdata,"",@progbits
; Kernel info:
; codeLenInByte = 0
; NumSgprs: 4
; NumVgprs: 0
; NumAgprs: 0
; TotalNumVgprs: 0
; ScratchSize: 0
; MemoryBound: 0
; FloatMode: 240
; IeeeMode: 1
; LDSByteSize: 0 bytes/workgroup (compile time only)
; SGPRBlocks: 0
; VGPRBlocks: 0
; NumSGPRsForWavesPerEU: 4
; NumVGPRsForWavesPerEU: 1
; AccumOffset: 4
; Occupancy: 8
; WaveLimiterHint : 0
; COMPUTE_PGM_RSRC2:SCRATCH_EN: 0
; COMPUTE_PGM_RSRC2:USER_SGPR: 6
; COMPUTE_PGM_RSRC2:TRAP_HANDLER: 0
; COMPUTE_PGM_RSRC2:TGID_X_EN: 1
; COMPUTE_PGM_RSRC2:TGID_Y_EN: 0
; COMPUTE_PGM_RSRC2:TGID_Z_EN: 0
; COMPUTE_PGM_RSRC2:TIDIG_COMP_CNT: 0
; COMPUTE_PGM_RSRC3_GFX90A:ACCUM_OFFSET: 0
; COMPUTE_PGM_RSRC3_GFX90A:TG_SPLIT: 0
	.section	.text._ZN7rocprim17ROCPRIM_400000_NS6detail17trampoline_kernelINS0_14default_configENS1_27scan_by_key_config_selectorIj11FixedVectorIiLj2EEEEZZNS1_16scan_by_key_implILNS1_25lookback_scan_determinismE0ELb1ES3_N6thrust23THRUST_200600_302600_NS6detail15normal_iteratorINSB_10device_ptrIjEEEENSD_INSE_IS6_EEEESI_S6_NSB_4plusIvEENSB_8equal_toIvEES6_EE10hipError_tPvRmT2_T3_T4_T5_mT6_T7_P12ihipStream_tbENKUlT_T0_E_clISt17integral_constantIbLb1EES13_EEDaSY_SZ_EUlSY_E_NS1_11comp_targetILNS1_3genE9ELNS1_11target_archE1100ELNS1_3gpuE3ELNS1_3repE0EEENS1_30default_config_static_selectorELNS0_4arch9wavefront6targetE1EEEvT1_,"axG",@progbits,_ZN7rocprim17ROCPRIM_400000_NS6detail17trampoline_kernelINS0_14default_configENS1_27scan_by_key_config_selectorIj11FixedVectorIiLj2EEEEZZNS1_16scan_by_key_implILNS1_25lookback_scan_determinismE0ELb1ES3_N6thrust23THRUST_200600_302600_NS6detail15normal_iteratorINSB_10device_ptrIjEEEENSD_INSE_IS6_EEEESI_S6_NSB_4plusIvEENSB_8equal_toIvEES6_EE10hipError_tPvRmT2_T3_T4_T5_mT6_T7_P12ihipStream_tbENKUlT_T0_E_clISt17integral_constantIbLb1EES13_EEDaSY_SZ_EUlSY_E_NS1_11comp_targetILNS1_3genE9ELNS1_11target_archE1100ELNS1_3gpuE3ELNS1_3repE0EEENS1_30default_config_static_selectorELNS0_4arch9wavefront6targetE1EEEvT1_,comdat
	.protected	_ZN7rocprim17ROCPRIM_400000_NS6detail17trampoline_kernelINS0_14default_configENS1_27scan_by_key_config_selectorIj11FixedVectorIiLj2EEEEZZNS1_16scan_by_key_implILNS1_25lookback_scan_determinismE0ELb1ES3_N6thrust23THRUST_200600_302600_NS6detail15normal_iteratorINSB_10device_ptrIjEEEENSD_INSE_IS6_EEEESI_S6_NSB_4plusIvEENSB_8equal_toIvEES6_EE10hipError_tPvRmT2_T3_T4_T5_mT6_T7_P12ihipStream_tbENKUlT_T0_E_clISt17integral_constantIbLb1EES13_EEDaSY_SZ_EUlSY_E_NS1_11comp_targetILNS1_3genE9ELNS1_11target_archE1100ELNS1_3gpuE3ELNS1_3repE0EEENS1_30default_config_static_selectorELNS0_4arch9wavefront6targetE1EEEvT1_ ; -- Begin function _ZN7rocprim17ROCPRIM_400000_NS6detail17trampoline_kernelINS0_14default_configENS1_27scan_by_key_config_selectorIj11FixedVectorIiLj2EEEEZZNS1_16scan_by_key_implILNS1_25lookback_scan_determinismE0ELb1ES3_N6thrust23THRUST_200600_302600_NS6detail15normal_iteratorINSB_10device_ptrIjEEEENSD_INSE_IS6_EEEESI_S6_NSB_4plusIvEENSB_8equal_toIvEES6_EE10hipError_tPvRmT2_T3_T4_T5_mT6_T7_P12ihipStream_tbENKUlT_T0_E_clISt17integral_constantIbLb1EES13_EEDaSY_SZ_EUlSY_E_NS1_11comp_targetILNS1_3genE9ELNS1_11target_archE1100ELNS1_3gpuE3ELNS1_3repE0EEENS1_30default_config_static_selectorELNS0_4arch9wavefront6targetE1EEEvT1_
	.globl	_ZN7rocprim17ROCPRIM_400000_NS6detail17trampoline_kernelINS0_14default_configENS1_27scan_by_key_config_selectorIj11FixedVectorIiLj2EEEEZZNS1_16scan_by_key_implILNS1_25lookback_scan_determinismE0ELb1ES3_N6thrust23THRUST_200600_302600_NS6detail15normal_iteratorINSB_10device_ptrIjEEEENSD_INSE_IS6_EEEESI_S6_NSB_4plusIvEENSB_8equal_toIvEES6_EE10hipError_tPvRmT2_T3_T4_T5_mT6_T7_P12ihipStream_tbENKUlT_T0_E_clISt17integral_constantIbLb1EES13_EEDaSY_SZ_EUlSY_E_NS1_11comp_targetILNS1_3genE9ELNS1_11target_archE1100ELNS1_3gpuE3ELNS1_3repE0EEENS1_30default_config_static_selectorELNS0_4arch9wavefront6targetE1EEEvT1_
	.p2align	8
	.type	_ZN7rocprim17ROCPRIM_400000_NS6detail17trampoline_kernelINS0_14default_configENS1_27scan_by_key_config_selectorIj11FixedVectorIiLj2EEEEZZNS1_16scan_by_key_implILNS1_25lookback_scan_determinismE0ELb1ES3_N6thrust23THRUST_200600_302600_NS6detail15normal_iteratorINSB_10device_ptrIjEEEENSD_INSE_IS6_EEEESI_S6_NSB_4plusIvEENSB_8equal_toIvEES6_EE10hipError_tPvRmT2_T3_T4_T5_mT6_T7_P12ihipStream_tbENKUlT_T0_E_clISt17integral_constantIbLb1EES13_EEDaSY_SZ_EUlSY_E_NS1_11comp_targetILNS1_3genE9ELNS1_11target_archE1100ELNS1_3gpuE3ELNS1_3repE0EEENS1_30default_config_static_selectorELNS0_4arch9wavefront6targetE1EEEvT1_,@function
_ZN7rocprim17ROCPRIM_400000_NS6detail17trampoline_kernelINS0_14default_configENS1_27scan_by_key_config_selectorIj11FixedVectorIiLj2EEEEZZNS1_16scan_by_key_implILNS1_25lookback_scan_determinismE0ELb1ES3_N6thrust23THRUST_200600_302600_NS6detail15normal_iteratorINSB_10device_ptrIjEEEENSD_INSE_IS6_EEEESI_S6_NSB_4plusIvEENSB_8equal_toIvEES6_EE10hipError_tPvRmT2_T3_T4_T5_mT6_T7_P12ihipStream_tbENKUlT_T0_E_clISt17integral_constantIbLb1EES13_EEDaSY_SZ_EUlSY_E_NS1_11comp_targetILNS1_3genE9ELNS1_11target_archE1100ELNS1_3gpuE3ELNS1_3repE0EEENS1_30default_config_static_selectorELNS0_4arch9wavefront6targetE1EEEvT1_: ; @_ZN7rocprim17ROCPRIM_400000_NS6detail17trampoline_kernelINS0_14default_configENS1_27scan_by_key_config_selectorIj11FixedVectorIiLj2EEEEZZNS1_16scan_by_key_implILNS1_25lookback_scan_determinismE0ELb1ES3_N6thrust23THRUST_200600_302600_NS6detail15normal_iteratorINSB_10device_ptrIjEEEENSD_INSE_IS6_EEEESI_S6_NSB_4plusIvEENSB_8equal_toIvEES6_EE10hipError_tPvRmT2_T3_T4_T5_mT6_T7_P12ihipStream_tbENKUlT_T0_E_clISt17integral_constantIbLb1EES13_EEDaSY_SZ_EUlSY_E_NS1_11comp_targetILNS1_3genE9ELNS1_11target_archE1100ELNS1_3gpuE3ELNS1_3repE0EEENS1_30default_config_static_selectorELNS0_4arch9wavefront6targetE1EEEvT1_
; %bb.0:
	.section	.rodata,"a",@progbits
	.p2align	6, 0x0
	.amdhsa_kernel _ZN7rocprim17ROCPRIM_400000_NS6detail17trampoline_kernelINS0_14default_configENS1_27scan_by_key_config_selectorIj11FixedVectorIiLj2EEEEZZNS1_16scan_by_key_implILNS1_25lookback_scan_determinismE0ELb1ES3_N6thrust23THRUST_200600_302600_NS6detail15normal_iteratorINSB_10device_ptrIjEEEENSD_INSE_IS6_EEEESI_S6_NSB_4plusIvEENSB_8equal_toIvEES6_EE10hipError_tPvRmT2_T3_T4_T5_mT6_T7_P12ihipStream_tbENKUlT_T0_E_clISt17integral_constantIbLb1EES13_EEDaSY_SZ_EUlSY_E_NS1_11comp_targetILNS1_3genE9ELNS1_11target_archE1100ELNS1_3gpuE3ELNS1_3repE0EEENS1_30default_config_static_selectorELNS0_4arch9wavefront6targetE1EEEvT1_
		.amdhsa_group_segment_fixed_size 0
		.amdhsa_private_segment_fixed_size 0
		.amdhsa_kernarg_size 120
		.amdhsa_user_sgpr_count 6
		.amdhsa_user_sgpr_private_segment_buffer 1
		.amdhsa_user_sgpr_dispatch_ptr 0
		.amdhsa_user_sgpr_queue_ptr 0
		.amdhsa_user_sgpr_kernarg_segment_ptr 1
		.amdhsa_user_sgpr_dispatch_id 0
		.amdhsa_user_sgpr_flat_scratch_init 0
		.amdhsa_user_sgpr_kernarg_preload_length 0
		.amdhsa_user_sgpr_kernarg_preload_offset 0
		.amdhsa_user_sgpr_private_segment_size 0
		.amdhsa_uses_dynamic_stack 0
		.amdhsa_system_sgpr_private_segment_wavefront_offset 0
		.amdhsa_system_sgpr_workgroup_id_x 1
		.amdhsa_system_sgpr_workgroup_id_y 0
		.amdhsa_system_sgpr_workgroup_id_z 0
		.amdhsa_system_sgpr_workgroup_info 0
		.amdhsa_system_vgpr_workitem_id 0
		.amdhsa_next_free_vgpr 1
		.amdhsa_next_free_sgpr 0
		.amdhsa_accum_offset 4
		.amdhsa_reserve_vcc 0
		.amdhsa_reserve_flat_scratch 0
		.amdhsa_float_round_mode_32 0
		.amdhsa_float_round_mode_16_64 0
		.amdhsa_float_denorm_mode_32 3
		.amdhsa_float_denorm_mode_16_64 3
		.amdhsa_dx10_clamp 1
		.amdhsa_ieee_mode 1
		.amdhsa_fp16_overflow 0
		.amdhsa_tg_split 0
		.amdhsa_exception_fp_ieee_invalid_op 0
		.amdhsa_exception_fp_denorm_src 0
		.amdhsa_exception_fp_ieee_div_zero 0
		.amdhsa_exception_fp_ieee_overflow 0
		.amdhsa_exception_fp_ieee_underflow 0
		.amdhsa_exception_fp_ieee_inexact 0
		.amdhsa_exception_int_div_zero 0
	.end_amdhsa_kernel
	.section	.text._ZN7rocprim17ROCPRIM_400000_NS6detail17trampoline_kernelINS0_14default_configENS1_27scan_by_key_config_selectorIj11FixedVectorIiLj2EEEEZZNS1_16scan_by_key_implILNS1_25lookback_scan_determinismE0ELb1ES3_N6thrust23THRUST_200600_302600_NS6detail15normal_iteratorINSB_10device_ptrIjEEEENSD_INSE_IS6_EEEESI_S6_NSB_4plusIvEENSB_8equal_toIvEES6_EE10hipError_tPvRmT2_T3_T4_T5_mT6_T7_P12ihipStream_tbENKUlT_T0_E_clISt17integral_constantIbLb1EES13_EEDaSY_SZ_EUlSY_E_NS1_11comp_targetILNS1_3genE9ELNS1_11target_archE1100ELNS1_3gpuE3ELNS1_3repE0EEENS1_30default_config_static_selectorELNS0_4arch9wavefront6targetE1EEEvT1_,"axG",@progbits,_ZN7rocprim17ROCPRIM_400000_NS6detail17trampoline_kernelINS0_14default_configENS1_27scan_by_key_config_selectorIj11FixedVectorIiLj2EEEEZZNS1_16scan_by_key_implILNS1_25lookback_scan_determinismE0ELb1ES3_N6thrust23THRUST_200600_302600_NS6detail15normal_iteratorINSB_10device_ptrIjEEEENSD_INSE_IS6_EEEESI_S6_NSB_4plusIvEENSB_8equal_toIvEES6_EE10hipError_tPvRmT2_T3_T4_T5_mT6_T7_P12ihipStream_tbENKUlT_T0_E_clISt17integral_constantIbLb1EES13_EEDaSY_SZ_EUlSY_E_NS1_11comp_targetILNS1_3genE9ELNS1_11target_archE1100ELNS1_3gpuE3ELNS1_3repE0EEENS1_30default_config_static_selectorELNS0_4arch9wavefront6targetE1EEEvT1_,comdat
.Lfunc_end2009:
	.size	_ZN7rocprim17ROCPRIM_400000_NS6detail17trampoline_kernelINS0_14default_configENS1_27scan_by_key_config_selectorIj11FixedVectorIiLj2EEEEZZNS1_16scan_by_key_implILNS1_25lookback_scan_determinismE0ELb1ES3_N6thrust23THRUST_200600_302600_NS6detail15normal_iteratorINSB_10device_ptrIjEEEENSD_INSE_IS6_EEEESI_S6_NSB_4plusIvEENSB_8equal_toIvEES6_EE10hipError_tPvRmT2_T3_T4_T5_mT6_T7_P12ihipStream_tbENKUlT_T0_E_clISt17integral_constantIbLb1EES13_EEDaSY_SZ_EUlSY_E_NS1_11comp_targetILNS1_3genE9ELNS1_11target_archE1100ELNS1_3gpuE3ELNS1_3repE0EEENS1_30default_config_static_selectorELNS0_4arch9wavefront6targetE1EEEvT1_, .Lfunc_end2009-_ZN7rocprim17ROCPRIM_400000_NS6detail17trampoline_kernelINS0_14default_configENS1_27scan_by_key_config_selectorIj11FixedVectorIiLj2EEEEZZNS1_16scan_by_key_implILNS1_25lookback_scan_determinismE0ELb1ES3_N6thrust23THRUST_200600_302600_NS6detail15normal_iteratorINSB_10device_ptrIjEEEENSD_INSE_IS6_EEEESI_S6_NSB_4plusIvEENSB_8equal_toIvEES6_EE10hipError_tPvRmT2_T3_T4_T5_mT6_T7_P12ihipStream_tbENKUlT_T0_E_clISt17integral_constantIbLb1EES13_EEDaSY_SZ_EUlSY_E_NS1_11comp_targetILNS1_3genE9ELNS1_11target_archE1100ELNS1_3gpuE3ELNS1_3repE0EEENS1_30default_config_static_selectorELNS0_4arch9wavefront6targetE1EEEvT1_
                                        ; -- End function
	.section	.AMDGPU.csdata,"",@progbits
; Kernel info:
; codeLenInByte = 0
; NumSgprs: 4
; NumVgprs: 0
; NumAgprs: 0
; TotalNumVgprs: 0
; ScratchSize: 0
; MemoryBound: 0
; FloatMode: 240
; IeeeMode: 1
; LDSByteSize: 0 bytes/workgroup (compile time only)
; SGPRBlocks: 0
; VGPRBlocks: 0
; NumSGPRsForWavesPerEU: 4
; NumVGPRsForWavesPerEU: 1
; AccumOffset: 4
; Occupancy: 8
; WaveLimiterHint : 0
; COMPUTE_PGM_RSRC2:SCRATCH_EN: 0
; COMPUTE_PGM_RSRC2:USER_SGPR: 6
; COMPUTE_PGM_RSRC2:TRAP_HANDLER: 0
; COMPUTE_PGM_RSRC2:TGID_X_EN: 1
; COMPUTE_PGM_RSRC2:TGID_Y_EN: 0
; COMPUTE_PGM_RSRC2:TGID_Z_EN: 0
; COMPUTE_PGM_RSRC2:TIDIG_COMP_CNT: 0
; COMPUTE_PGM_RSRC3_GFX90A:ACCUM_OFFSET: 0
; COMPUTE_PGM_RSRC3_GFX90A:TG_SPLIT: 0
	.section	.text._ZN7rocprim17ROCPRIM_400000_NS6detail17trampoline_kernelINS0_14default_configENS1_27scan_by_key_config_selectorIj11FixedVectorIiLj2EEEEZZNS1_16scan_by_key_implILNS1_25lookback_scan_determinismE0ELb1ES3_N6thrust23THRUST_200600_302600_NS6detail15normal_iteratorINSB_10device_ptrIjEEEENSD_INSE_IS6_EEEESI_S6_NSB_4plusIvEENSB_8equal_toIvEES6_EE10hipError_tPvRmT2_T3_T4_T5_mT6_T7_P12ihipStream_tbENKUlT_T0_E_clISt17integral_constantIbLb1EES13_EEDaSY_SZ_EUlSY_E_NS1_11comp_targetILNS1_3genE8ELNS1_11target_archE1030ELNS1_3gpuE2ELNS1_3repE0EEENS1_30default_config_static_selectorELNS0_4arch9wavefront6targetE1EEEvT1_,"axG",@progbits,_ZN7rocprim17ROCPRIM_400000_NS6detail17trampoline_kernelINS0_14default_configENS1_27scan_by_key_config_selectorIj11FixedVectorIiLj2EEEEZZNS1_16scan_by_key_implILNS1_25lookback_scan_determinismE0ELb1ES3_N6thrust23THRUST_200600_302600_NS6detail15normal_iteratorINSB_10device_ptrIjEEEENSD_INSE_IS6_EEEESI_S6_NSB_4plusIvEENSB_8equal_toIvEES6_EE10hipError_tPvRmT2_T3_T4_T5_mT6_T7_P12ihipStream_tbENKUlT_T0_E_clISt17integral_constantIbLb1EES13_EEDaSY_SZ_EUlSY_E_NS1_11comp_targetILNS1_3genE8ELNS1_11target_archE1030ELNS1_3gpuE2ELNS1_3repE0EEENS1_30default_config_static_selectorELNS0_4arch9wavefront6targetE1EEEvT1_,comdat
	.protected	_ZN7rocprim17ROCPRIM_400000_NS6detail17trampoline_kernelINS0_14default_configENS1_27scan_by_key_config_selectorIj11FixedVectorIiLj2EEEEZZNS1_16scan_by_key_implILNS1_25lookback_scan_determinismE0ELb1ES3_N6thrust23THRUST_200600_302600_NS6detail15normal_iteratorINSB_10device_ptrIjEEEENSD_INSE_IS6_EEEESI_S6_NSB_4plusIvEENSB_8equal_toIvEES6_EE10hipError_tPvRmT2_T3_T4_T5_mT6_T7_P12ihipStream_tbENKUlT_T0_E_clISt17integral_constantIbLb1EES13_EEDaSY_SZ_EUlSY_E_NS1_11comp_targetILNS1_3genE8ELNS1_11target_archE1030ELNS1_3gpuE2ELNS1_3repE0EEENS1_30default_config_static_selectorELNS0_4arch9wavefront6targetE1EEEvT1_ ; -- Begin function _ZN7rocprim17ROCPRIM_400000_NS6detail17trampoline_kernelINS0_14default_configENS1_27scan_by_key_config_selectorIj11FixedVectorIiLj2EEEEZZNS1_16scan_by_key_implILNS1_25lookback_scan_determinismE0ELb1ES3_N6thrust23THRUST_200600_302600_NS6detail15normal_iteratorINSB_10device_ptrIjEEEENSD_INSE_IS6_EEEESI_S6_NSB_4plusIvEENSB_8equal_toIvEES6_EE10hipError_tPvRmT2_T3_T4_T5_mT6_T7_P12ihipStream_tbENKUlT_T0_E_clISt17integral_constantIbLb1EES13_EEDaSY_SZ_EUlSY_E_NS1_11comp_targetILNS1_3genE8ELNS1_11target_archE1030ELNS1_3gpuE2ELNS1_3repE0EEENS1_30default_config_static_selectorELNS0_4arch9wavefront6targetE1EEEvT1_
	.globl	_ZN7rocprim17ROCPRIM_400000_NS6detail17trampoline_kernelINS0_14default_configENS1_27scan_by_key_config_selectorIj11FixedVectorIiLj2EEEEZZNS1_16scan_by_key_implILNS1_25lookback_scan_determinismE0ELb1ES3_N6thrust23THRUST_200600_302600_NS6detail15normal_iteratorINSB_10device_ptrIjEEEENSD_INSE_IS6_EEEESI_S6_NSB_4plusIvEENSB_8equal_toIvEES6_EE10hipError_tPvRmT2_T3_T4_T5_mT6_T7_P12ihipStream_tbENKUlT_T0_E_clISt17integral_constantIbLb1EES13_EEDaSY_SZ_EUlSY_E_NS1_11comp_targetILNS1_3genE8ELNS1_11target_archE1030ELNS1_3gpuE2ELNS1_3repE0EEENS1_30default_config_static_selectorELNS0_4arch9wavefront6targetE1EEEvT1_
	.p2align	8
	.type	_ZN7rocprim17ROCPRIM_400000_NS6detail17trampoline_kernelINS0_14default_configENS1_27scan_by_key_config_selectorIj11FixedVectorIiLj2EEEEZZNS1_16scan_by_key_implILNS1_25lookback_scan_determinismE0ELb1ES3_N6thrust23THRUST_200600_302600_NS6detail15normal_iteratorINSB_10device_ptrIjEEEENSD_INSE_IS6_EEEESI_S6_NSB_4plusIvEENSB_8equal_toIvEES6_EE10hipError_tPvRmT2_T3_T4_T5_mT6_T7_P12ihipStream_tbENKUlT_T0_E_clISt17integral_constantIbLb1EES13_EEDaSY_SZ_EUlSY_E_NS1_11comp_targetILNS1_3genE8ELNS1_11target_archE1030ELNS1_3gpuE2ELNS1_3repE0EEENS1_30default_config_static_selectorELNS0_4arch9wavefront6targetE1EEEvT1_,@function
_ZN7rocprim17ROCPRIM_400000_NS6detail17trampoline_kernelINS0_14default_configENS1_27scan_by_key_config_selectorIj11FixedVectorIiLj2EEEEZZNS1_16scan_by_key_implILNS1_25lookback_scan_determinismE0ELb1ES3_N6thrust23THRUST_200600_302600_NS6detail15normal_iteratorINSB_10device_ptrIjEEEENSD_INSE_IS6_EEEESI_S6_NSB_4plusIvEENSB_8equal_toIvEES6_EE10hipError_tPvRmT2_T3_T4_T5_mT6_T7_P12ihipStream_tbENKUlT_T0_E_clISt17integral_constantIbLb1EES13_EEDaSY_SZ_EUlSY_E_NS1_11comp_targetILNS1_3genE8ELNS1_11target_archE1030ELNS1_3gpuE2ELNS1_3repE0EEENS1_30default_config_static_selectorELNS0_4arch9wavefront6targetE1EEEvT1_: ; @_ZN7rocprim17ROCPRIM_400000_NS6detail17trampoline_kernelINS0_14default_configENS1_27scan_by_key_config_selectorIj11FixedVectorIiLj2EEEEZZNS1_16scan_by_key_implILNS1_25lookback_scan_determinismE0ELb1ES3_N6thrust23THRUST_200600_302600_NS6detail15normal_iteratorINSB_10device_ptrIjEEEENSD_INSE_IS6_EEEESI_S6_NSB_4plusIvEENSB_8equal_toIvEES6_EE10hipError_tPvRmT2_T3_T4_T5_mT6_T7_P12ihipStream_tbENKUlT_T0_E_clISt17integral_constantIbLb1EES13_EEDaSY_SZ_EUlSY_E_NS1_11comp_targetILNS1_3genE8ELNS1_11target_archE1030ELNS1_3gpuE2ELNS1_3repE0EEENS1_30default_config_static_selectorELNS0_4arch9wavefront6targetE1EEEvT1_
; %bb.0:
	.section	.rodata,"a",@progbits
	.p2align	6, 0x0
	.amdhsa_kernel _ZN7rocprim17ROCPRIM_400000_NS6detail17trampoline_kernelINS0_14default_configENS1_27scan_by_key_config_selectorIj11FixedVectorIiLj2EEEEZZNS1_16scan_by_key_implILNS1_25lookback_scan_determinismE0ELb1ES3_N6thrust23THRUST_200600_302600_NS6detail15normal_iteratorINSB_10device_ptrIjEEEENSD_INSE_IS6_EEEESI_S6_NSB_4plusIvEENSB_8equal_toIvEES6_EE10hipError_tPvRmT2_T3_T4_T5_mT6_T7_P12ihipStream_tbENKUlT_T0_E_clISt17integral_constantIbLb1EES13_EEDaSY_SZ_EUlSY_E_NS1_11comp_targetILNS1_3genE8ELNS1_11target_archE1030ELNS1_3gpuE2ELNS1_3repE0EEENS1_30default_config_static_selectorELNS0_4arch9wavefront6targetE1EEEvT1_
		.amdhsa_group_segment_fixed_size 0
		.amdhsa_private_segment_fixed_size 0
		.amdhsa_kernarg_size 120
		.amdhsa_user_sgpr_count 6
		.amdhsa_user_sgpr_private_segment_buffer 1
		.amdhsa_user_sgpr_dispatch_ptr 0
		.amdhsa_user_sgpr_queue_ptr 0
		.amdhsa_user_sgpr_kernarg_segment_ptr 1
		.amdhsa_user_sgpr_dispatch_id 0
		.amdhsa_user_sgpr_flat_scratch_init 0
		.amdhsa_user_sgpr_kernarg_preload_length 0
		.amdhsa_user_sgpr_kernarg_preload_offset 0
		.amdhsa_user_sgpr_private_segment_size 0
		.amdhsa_uses_dynamic_stack 0
		.amdhsa_system_sgpr_private_segment_wavefront_offset 0
		.amdhsa_system_sgpr_workgroup_id_x 1
		.amdhsa_system_sgpr_workgroup_id_y 0
		.amdhsa_system_sgpr_workgroup_id_z 0
		.amdhsa_system_sgpr_workgroup_info 0
		.amdhsa_system_vgpr_workitem_id 0
		.amdhsa_next_free_vgpr 1
		.amdhsa_next_free_sgpr 0
		.amdhsa_accum_offset 4
		.amdhsa_reserve_vcc 0
		.amdhsa_reserve_flat_scratch 0
		.amdhsa_float_round_mode_32 0
		.amdhsa_float_round_mode_16_64 0
		.amdhsa_float_denorm_mode_32 3
		.amdhsa_float_denorm_mode_16_64 3
		.amdhsa_dx10_clamp 1
		.amdhsa_ieee_mode 1
		.amdhsa_fp16_overflow 0
		.amdhsa_tg_split 0
		.amdhsa_exception_fp_ieee_invalid_op 0
		.amdhsa_exception_fp_denorm_src 0
		.amdhsa_exception_fp_ieee_div_zero 0
		.amdhsa_exception_fp_ieee_overflow 0
		.amdhsa_exception_fp_ieee_underflow 0
		.amdhsa_exception_fp_ieee_inexact 0
		.amdhsa_exception_int_div_zero 0
	.end_amdhsa_kernel
	.section	.text._ZN7rocprim17ROCPRIM_400000_NS6detail17trampoline_kernelINS0_14default_configENS1_27scan_by_key_config_selectorIj11FixedVectorIiLj2EEEEZZNS1_16scan_by_key_implILNS1_25lookback_scan_determinismE0ELb1ES3_N6thrust23THRUST_200600_302600_NS6detail15normal_iteratorINSB_10device_ptrIjEEEENSD_INSE_IS6_EEEESI_S6_NSB_4plusIvEENSB_8equal_toIvEES6_EE10hipError_tPvRmT2_T3_T4_T5_mT6_T7_P12ihipStream_tbENKUlT_T0_E_clISt17integral_constantIbLb1EES13_EEDaSY_SZ_EUlSY_E_NS1_11comp_targetILNS1_3genE8ELNS1_11target_archE1030ELNS1_3gpuE2ELNS1_3repE0EEENS1_30default_config_static_selectorELNS0_4arch9wavefront6targetE1EEEvT1_,"axG",@progbits,_ZN7rocprim17ROCPRIM_400000_NS6detail17trampoline_kernelINS0_14default_configENS1_27scan_by_key_config_selectorIj11FixedVectorIiLj2EEEEZZNS1_16scan_by_key_implILNS1_25lookback_scan_determinismE0ELb1ES3_N6thrust23THRUST_200600_302600_NS6detail15normal_iteratorINSB_10device_ptrIjEEEENSD_INSE_IS6_EEEESI_S6_NSB_4plusIvEENSB_8equal_toIvEES6_EE10hipError_tPvRmT2_T3_T4_T5_mT6_T7_P12ihipStream_tbENKUlT_T0_E_clISt17integral_constantIbLb1EES13_EEDaSY_SZ_EUlSY_E_NS1_11comp_targetILNS1_3genE8ELNS1_11target_archE1030ELNS1_3gpuE2ELNS1_3repE0EEENS1_30default_config_static_selectorELNS0_4arch9wavefront6targetE1EEEvT1_,comdat
.Lfunc_end2010:
	.size	_ZN7rocprim17ROCPRIM_400000_NS6detail17trampoline_kernelINS0_14default_configENS1_27scan_by_key_config_selectorIj11FixedVectorIiLj2EEEEZZNS1_16scan_by_key_implILNS1_25lookback_scan_determinismE0ELb1ES3_N6thrust23THRUST_200600_302600_NS6detail15normal_iteratorINSB_10device_ptrIjEEEENSD_INSE_IS6_EEEESI_S6_NSB_4plusIvEENSB_8equal_toIvEES6_EE10hipError_tPvRmT2_T3_T4_T5_mT6_T7_P12ihipStream_tbENKUlT_T0_E_clISt17integral_constantIbLb1EES13_EEDaSY_SZ_EUlSY_E_NS1_11comp_targetILNS1_3genE8ELNS1_11target_archE1030ELNS1_3gpuE2ELNS1_3repE0EEENS1_30default_config_static_selectorELNS0_4arch9wavefront6targetE1EEEvT1_, .Lfunc_end2010-_ZN7rocprim17ROCPRIM_400000_NS6detail17trampoline_kernelINS0_14default_configENS1_27scan_by_key_config_selectorIj11FixedVectorIiLj2EEEEZZNS1_16scan_by_key_implILNS1_25lookback_scan_determinismE0ELb1ES3_N6thrust23THRUST_200600_302600_NS6detail15normal_iteratorINSB_10device_ptrIjEEEENSD_INSE_IS6_EEEESI_S6_NSB_4plusIvEENSB_8equal_toIvEES6_EE10hipError_tPvRmT2_T3_T4_T5_mT6_T7_P12ihipStream_tbENKUlT_T0_E_clISt17integral_constantIbLb1EES13_EEDaSY_SZ_EUlSY_E_NS1_11comp_targetILNS1_3genE8ELNS1_11target_archE1030ELNS1_3gpuE2ELNS1_3repE0EEENS1_30default_config_static_selectorELNS0_4arch9wavefront6targetE1EEEvT1_
                                        ; -- End function
	.section	.AMDGPU.csdata,"",@progbits
; Kernel info:
; codeLenInByte = 0
; NumSgprs: 4
; NumVgprs: 0
; NumAgprs: 0
; TotalNumVgprs: 0
; ScratchSize: 0
; MemoryBound: 0
; FloatMode: 240
; IeeeMode: 1
; LDSByteSize: 0 bytes/workgroup (compile time only)
; SGPRBlocks: 0
; VGPRBlocks: 0
; NumSGPRsForWavesPerEU: 4
; NumVGPRsForWavesPerEU: 1
; AccumOffset: 4
; Occupancy: 8
; WaveLimiterHint : 0
; COMPUTE_PGM_RSRC2:SCRATCH_EN: 0
; COMPUTE_PGM_RSRC2:USER_SGPR: 6
; COMPUTE_PGM_RSRC2:TRAP_HANDLER: 0
; COMPUTE_PGM_RSRC2:TGID_X_EN: 1
; COMPUTE_PGM_RSRC2:TGID_Y_EN: 0
; COMPUTE_PGM_RSRC2:TGID_Z_EN: 0
; COMPUTE_PGM_RSRC2:TIDIG_COMP_CNT: 0
; COMPUTE_PGM_RSRC3_GFX90A:ACCUM_OFFSET: 0
; COMPUTE_PGM_RSRC3_GFX90A:TG_SPLIT: 0
	.section	.text._ZN7rocprim17ROCPRIM_400000_NS6detail17trampoline_kernelINS0_14default_configENS1_27scan_by_key_config_selectorIj11FixedVectorIiLj2EEEEZZNS1_16scan_by_key_implILNS1_25lookback_scan_determinismE0ELb1ES3_N6thrust23THRUST_200600_302600_NS6detail15normal_iteratorINSB_10device_ptrIjEEEENSD_INSE_IS6_EEEESI_S6_NSB_4plusIvEENSB_8equal_toIvEES6_EE10hipError_tPvRmT2_T3_T4_T5_mT6_T7_P12ihipStream_tbENKUlT_T0_E_clISt17integral_constantIbLb1EES12_IbLb0EEEEDaSY_SZ_EUlSY_E_NS1_11comp_targetILNS1_3genE0ELNS1_11target_archE4294967295ELNS1_3gpuE0ELNS1_3repE0EEENS1_30default_config_static_selectorELNS0_4arch9wavefront6targetE1EEEvT1_,"axG",@progbits,_ZN7rocprim17ROCPRIM_400000_NS6detail17trampoline_kernelINS0_14default_configENS1_27scan_by_key_config_selectorIj11FixedVectorIiLj2EEEEZZNS1_16scan_by_key_implILNS1_25lookback_scan_determinismE0ELb1ES3_N6thrust23THRUST_200600_302600_NS6detail15normal_iteratorINSB_10device_ptrIjEEEENSD_INSE_IS6_EEEESI_S6_NSB_4plusIvEENSB_8equal_toIvEES6_EE10hipError_tPvRmT2_T3_T4_T5_mT6_T7_P12ihipStream_tbENKUlT_T0_E_clISt17integral_constantIbLb1EES12_IbLb0EEEEDaSY_SZ_EUlSY_E_NS1_11comp_targetILNS1_3genE0ELNS1_11target_archE4294967295ELNS1_3gpuE0ELNS1_3repE0EEENS1_30default_config_static_selectorELNS0_4arch9wavefront6targetE1EEEvT1_,comdat
	.protected	_ZN7rocprim17ROCPRIM_400000_NS6detail17trampoline_kernelINS0_14default_configENS1_27scan_by_key_config_selectorIj11FixedVectorIiLj2EEEEZZNS1_16scan_by_key_implILNS1_25lookback_scan_determinismE0ELb1ES3_N6thrust23THRUST_200600_302600_NS6detail15normal_iteratorINSB_10device_ptrIjEEEENSD_INSE_IS6_EEEESI_S6_NSB_4plusIvEENSB_8equal_toIvEES6_EE10hipError_tPvRmT2_T3_T4_T5_mT6_T7_P12ihipStream_tbENKUlT_T0_E_clISt17integral_constantIbLb1EES12_IbLb0EEEEDaSY_SZ_EUlSY_E_NS1_11comp_targetILNS1_3genE0ELNS1_11target_archE4294967295ELNS1_3gpuE0ELNS1_3repE0EEENS1_30default_config_static_selectorELNS0_4arch9wavefront6targetE1EEEvT1_ ; -- Begin function _ZN7rocprim17ROCPRIM_400000_NS6detail17trampoline_kernelINS0_14default_configENS1_27scan_by_key_config_selectorIj11FixedVectorIiLj2EEEEZZNS1_16scan_by_key_implILNS1_25lookback_scan_determinismE0ELb1ES3_N6thrust23THRUST_200600_302600_NS6detail15normal_iteratorINSB_10device_ptrIjEEEENSD_INSE_IS6_EEEESI_S6_NSB_4plusIvEENSB_8equal_toIvEES6_EE10hipError_tPvRmT2_T3_T4_T5_mT6_T7_P12ihipStream_tbENKUlT_T0_E_clISt17integral_constantIbLb1EES12_IbLb0EEEEDaSY_SZ_EUlSY_E_NS1_11comp_targetILNS1_3genE0ELNS1_11target_archE4294967295ELNS1_3gpuE0ELNS1_3repE0EEENS1_30default_config_static_selectorELNS0_4arch9wavefront6targetE1EEEvT1_
	.globl	_ZN7rocprim17ROCPRIM_400000_NS6detail17trampoline_kernelINS0_14default_configENS1_27scan_by_key_config_selectorIj11FixedVectorIiLj2EEEEZZNS1_16scan_by_key_implILNS1_25lookback_scan_determinismE0ELb1ES3_N6thrust23THRUST_200600_302600_NS6detail15normal_iteratorINSB_10device_ptrIjEEEENSD_INSE_IS6_EEEESI_S6_NSB_4plusIvEENSB_8equal_toIvEES6_EE10hipError_tPvRmT2_T3_T4_T5_mT6_T7_P12ihipStream_tbENKUlT_T0_E_clISt17integral_constantIbLb1EES12_IbLb0EEEEDaSY_SZ_EUlSY_E_NS1_11comp_targetILNS1_3genE0ELNS1_11target_archE4294967295ELNS1_3gpuE0ELNS1_3repE0EEENS1_30default_config_static_selectorELNS0_4arch9wavefront6targetE1EEEvT1_
	.p2align	8
	.type	_ZN7rocprim17ROCPRIM_400000_NS6detail17trampoline_kernelINS0_14default_configENS1_27scan_by_key_config_selectorIj11FixedVectorIiLj2EEEEZZNS1_16scan_by_key_implILNS1_25lookback_scan_determinismE0ELb1ES3_N6thrust23THRUST_200600_302600_NS6detail15normal_iteratorINSB_10device_ptrIjEEEENSD_INSE_IS6_EEEESI_S6_NSB_4plusIvEENSB_8equal_toIvEES6_EE10hipError_tPvRmT2_T3_T4_T5_mT6_T7_P12ihipStream_tbENKUlT_T0_E_clISt17integral_constantIbLb1EES12_IbLb0EEEEDaSY_SZ_EUlSY_E_NS1_11comp_targetILNS1_3genE0ELNS1_11target_archE4294967295ELNS1_3gpuE0ELNS1_3repE0EEENS1_30default_config_static_selectorELNS0_4arch9wavefront6targetE1EEEvT1_,@function
_ZN7rocprim17ROCPRIM_400000_NS6detail17trampoline_kernelINS0_14default_configENS1_27scan_by_key_config_selectorIj11FixedVectorIiLj2EEEEZZNS1_16scan_by_key_implILNS1_25lookback_scan_determinismE0ELb1ES3_N6thrust23THRUST_200600_302600_NS6detail15normal_iteratorINSB_10device_ptrIjEEEENSD_INSE_IS6_EEEESI_S6_NSB_4plusIvEENSB_8equal_toIvEES6_EE10hipError_tPvRmT2_T3_T4_T5_mT6_T7_P12ihipStream_tbENKUlT_T0_E_clISt17integral_constantIbLb1EES12_IbLb0EEEEDaSY_SZ_EUlSY_E_NS1_11comp_targetILNS1_3genE0ELNS1_11target_archE4294967295ELNS1_3gpuE0ELNS1_3repE0EEENS1_30default_config_static_selectorELNS0_4arch9wavefront6targetE1EEEvT1_: ; @_ZN7rocprim17ROCPRIM_400000_NS6detail17trampoline_kernelINS0_14default_configENS1_27scan_by_key_config_selectorIj11FixedVectorIiLj2EEEEZZNS1_16scan_by_key_implILNS1_25lookback_scan_determinismE0ELb1ES3_N6thrust23THRUST_200600_302600_NS6detail15normal_iteratorINSB_10device_ptrIjEEEENSD_INSE_IS6_EEEESI_S6_NSB_4plusIvEENSB_8equal_toIvEES6_EE10hipError_tPvRmT2_T3_T4_T5_mT6_T7_P12ihipStream_tbENKUlT_T0_E_clISt17integral_constantIbLb1EES12_IbLb0EEEEDaSY_SZ_EUlSY_E_NS1_11comp_targetILNS1_3genE0ELNS1_11target_archE4294967295ELNS1_3gpuE0ELNS1_3repE0EEENS1_30default_config_static_selectorELNS0_4arch9wavefront6targetE1EEEvT1_
; %bb.0:
	.section	.rodata,"a",@progbits
	.p2align	6, 0x0
	.amdhsa_kernel _ZN7rocprim17ROCPRIM_400000_NS6detail17trampoline_kernelINS0_14default_configENS1_27scan_by_key_config_selectorIj11FixedVectorIiLj2EEEEZZNS1_16scan_by_key_implILNS1_25lookback_scan_determinismE0ELb1ES3_N6thrust23THRUST_200600_302600_NS6detail15normal_iteratorINSB_10device_ptrIjEEEENSD_INSE_IS6_EEEESI_S6_NSB_4plusIvEENSB_8equal_toIvEES6_EE10hipError_tPvRmT2_T3_T4_T5_mT6_T7_P12ihipStream_tbENKUlT_T0_E_clISt17integral_constantIbLb1EES12_IbLb0EEEEDaSY_SZ_EUlSY_E_NS1_11comp_targetILNS1_3genE0ELNS1_11target_archE4294967295ELNS1_3gpuE0ELNS1_3repE0EEENS1_30default_config_static_selectorELNS0_4arch9wavefront6targetE1EEEvT1_
		.amdhsa_group_segment_fixed_size 0
		.amdhsa_private_segment_fixed_size 0
		.amdhsa_kernarg_size 120
		.amdhsa_user_sgpr_count 6
		.amdhsa_user_sgpr_private_segment_buffer 1
		.amdhsa_user_sgpr_dispatch_ptr 0
		.amdhsa_user_sgpr_queue_ptr 0
		.amdhsa_user_sgpr_kernarg_segment_ptr 1
		.amdhsa_user_sgpr_dispatch_id 0
		.amdhsa_user_sgpr_flat_scratch_init 0
		.amdhsa_user_sgpr_kernarg_preload_length 0
		.amdhsa_user_sgpr_kernarg_preload_offset 0
		.amdhsa_user_sgpr_private_segment_size 0
		.amdhsa_uses_dynamic_stack 0
		.amdhsa_system_sgpr_private_segment_wavefront_offset 0
		.amdhsa_system_sgpr_workgroup_id_x 1
		.amdhsa_system_sgpr_workgroup_id_y 0
		.amdhsa_system_sgpr_workgroup_id_z 0
		.amdhsa_system_sgpr_workgroup_info 0
		.amdhsa_system_vgpr_workitem_id 0
		.amdhsa_next_free_vgpr 1
		.amdhsa_next_free_sgpr 0
		.amdhsa_accum_offset 4
		.amdhsa_reserve_vcc 0
		.amdhsa_reserve_flat_scratch 0
		.amdhsa_float_round_mode_32 0
		.amdhsa_float_round_mode_16_64 0
		.amdhsa_float_denorm_mode_32 3
		.amdhsa_float_denorm_mode_16_64 3
		.amdhsa_dx10_clamp 1
		.amdhsa_ieee_mode 1
		.amdhsa_fp16_overflow 0
		.amdhsa_tg_split 0
		.amdhsa_exception_fp_ieee_invalid_op 0
		.amdhsa_exception_fp_denorm_src 0
		.amdhsa_exception_fp_ieee_div_zero 0
		.amdhsa_exception_fp_ieee_overflow 0
		.amdhsa_exception_fp_ieee_underflow 0
		.amdhsa_exception_fp_ieee_inexact 0
		.amdhsa_exception_int_div_zero 0
	.end_amdhsa_kernel
	.section	.text._ZN7rocprim17ROCPRIM_400000_NS6detail17trampoline_kernelINS0_14default_configENS1_27scan_by_key_config_selectorIj11FixedVectorIiLj2EEEEZZNS1_16scan_by_key_implILNS1_25lookback_scan_determinismE0ELb1ES3_N6thrust23THRUST_200600_302600_NS6detail15normal_iteratorINSB_10device_ptrIjEEEENSD_INSE_IS6_EEEESI_S6_NSB_4plusIvEENSB_8equal_toIvEES6_EE10hipError_tPvRmT2_T3_T4_T5_mT6_T7_P12ihipStream_tbENKUlT_T0_E_clISt17integral_constantIbLb1EES12_IbLb0EEEEDaSY_SZ_EUlSY_E_NS1_11comp_targetILNS1_3genE0ELNS1_11target_archE4294967295ELNS1_3gpuE0ELNS1_3repE0EEENS1_30default_config_static_selectorELNS0_4arch9wavefront6targetE1EEEvT1_,"axG",@progbits,_ZN7rocprim17ROCPRIM_400000_NS6detail17trampoline_kernelINS0_14default_configENS1_27scan_by_key_config_selectorIj11FixedVectorIiLj2EEEEZZNS1_16scan_by_key_implILNS1_25lookback_scan_determinismE0ELb1ES3_N6thrust23THRUST_200600_302600_NS6detail15normal_iteratorINSB_10device_ptrIjEEEENSD_INSE_IS6_EEEESI_S6_NSB_4plusIvEENSB_8equal_toIvEES6_EE10hipError_tPvRmT2_T3_T4_T5_mT6_T7_P12ihipStream_tbENKUlT_T0_E_clISt17integral_constantIbLb1EES12_IbLb0EEEEDaSY_SZ_EUlSY_E_NS1_11comp_targetILNS1_3genE0ELNS1_11target_archE4294967295ELNS1_3gpuE0ELNS1_3repE0EEENS1_30default_config_static_selectorELNS0_4arch9wavefront6targetE1EEEvT1_,comdat
.Lfunc_end2011:
	.size	_ZN7rocprim17ROCPRIM_400000_NS6detail17trampoline_kernelINS0_14default_configENS1_27scan_by_key_config_selectorIj11FixedVectorIiLj2EEEEZZNS1_16scan_by_key_implILNS1_25lookback_scan_determinismE0ELb1ES3_N6thrust23THRUST_200600_302600_NS6detail15normal_iteratorINSB_10device_ptrIjEEEENSD_INSE_IS6_EEEESI_S6_NSB_4plusIvEENSB_8equal_toIvEES6_EE10hipError_tPvRmT2_T3_T4_T5_mT6_T7_P12ihipStream_tbENKUlT_T0_E_clISt17integral_constantIbLb1EES12_IbLb0EEEEDaSY_SZ_EUlSY_E_NS1_11comp_targetILNS1_3genE0ELNS1_11target_archE4294967295ELNS1_3gpuE0ELNS1_3repE0EEENS1_30default_config_static_selectorELNS0_4arch9wavefront6targetE1EEEvT1_, .Lfunc_end2011-_ZN7rocprim17ROCPRIM_400000_NS6detail17trampoline_kernelINS0_14default_configENS1_27scan_by_key_config_selectorIj11FixedVectorIiLj2EEEEZZNS1_16scan_by_key_implILNS1_25lookback_scan_determinismE0ELb1ES3_N6thrust23THRUST_200600_302600_NS6detail15normal_iteratorINSB_10device_ptrIjEEEENSD_INSE_IS6_EEEESI_S6_NSB_4plusIvEENSB_8equal_toIvEES6_EE10hipError_tPvRmT2_T3_T4_T5_mT6_T7_P12ihipStream_tbENKUlT_T0_E_clISt17integral_constantIbLb1EES12_IbLb0EEEEDaSY_SZ_EUlSY_E_NS1_11comp_targetILNS1_3genE0ELNS1_11target_archE4294967295ELNS1_3gpuE0ELNS1_3repE0EEENS1_30default_config_static_selectorELNS0_4arch9wavefront6targetE1EEEvT1_
                                        ; -- End function
	.section	.AMDGPU.csdata,"",@progbits
; Kernel info:
; codeLenInByte = 0
; NumSgprs: 4
; NumVgprs: 0
; NumAgprs: 0
; TotalNumVgprs: 0
; ScratchSize: 0
; MemoryBound: 0
; FloatMode: 240
; IeeeMode: 1
; LDSByteSize: 0 bytes/workgroup (compile time only)
; SGPRBlocks: 0
; VGPRBlocks: 0
; NumSGPRsForWavesPerEU: 4
; NumVGPRsForWavesPerEU: 1
; AccumOffset: 4
; Occupancy: 8
; WaveLimiterHint : 0
; COMPUTE_PGM_RSRC2:SCRATCH_EN: 0
; COMPUTE_PGM_RSRC2:USER_SGPR: 6
; COMPUTE_PGM_RSRC2:TRAP_HANDLER: 0
; COMPUTE_PGM_RSRC2:TGID_X_EN: 1
; COMPUTE_PGM_RSRC2:TGID_Y_EN: 0
; COMPUTE_PGM_RSRC2:TGID_Z_EN: 0
; COMPUTE_PGM_RSRC2:TIDIG_COMP_CNT: 0
; COMPUTE_PGM_RSRC3_GFX90A:ACCUM_OFFSET: 0
; COMPUTE_PGM_RSRC3_GFX90A:TG_SPLIT: 0
	.section	.text._ZN7rocprim17ROCPRIM_400000_NS6detail17trampoline_kernelINS0_14default_configENS1_27scan_by_key_config_selectorIj11FixedVectorIiLj2EEEEZZNS1_16scan_by_key_implILNS1_25lookback_scan_determinismE0ELb1ES3_N6thrust23THRUST_200600_302600_NS6detail15normal_iteratorINSB_10device_ptrIjEEEENSD_INSE_IS6_EEEESI_S6_NSB_4plusIvEENSB_8equal_toIvEES6_EE10hipError_tPvRmT2_T3_T4_T5_mT6_T7_P12ihipStream_tbENKUlT_T0_E_clISt17integral_constantIbLb1EES12_IbLb0EEEEDaSY_SZ_EUlSY_E_NS1_11comp_targetILNS1_3genE10ELNS1_11target_archE1201ELNS1_3gpuE5ELNS1_3repE0EEENS1_30default_config_static_selectorELNS0_4arch9wavefront6targetE1EEEvT1_,"axG",@progbits,_ZN7rocprim17ROCPRIM_400000_NS6detail17trampoline_kernelINS0_14default_configENS1_27scan_by_key_config_selectorIj11FixedVectorIiLj2EEEEZZNS1_16scan_by_key_implILNS1_25lookback_scan_determinismE0ELb1ES3_N6thrust23THRUST_200600_302600_NS6detail15normal_iteratorINSB_10device_ptrIjEEEENSD_INSE_IS6_EEEESI_S6_NSB_4plusIvEENSB_8equal_toIvEES6_EE10hipError_tPvRmT2_T3_T4_T5_mT6_T7_P12ihipStream_tbENKUlT_T0_E_clISt17integral_constantIbLb1EES12_IbLb0EEEEDaSY_SZ_EUlSY_E_NS1_11comp_targetILNS1_3genE10ELNS1_11target_archE1201ELNS1_3gpuE5ELNS1_3repE0EEENS1_30default_config_static_selectorELNS0_4arch9wavefront6targetE1EEEvT1_,comdat
	.protected	_ZN7rocprim17ROCPRIM_400000_NS6detail17trampoline_kernelINS0_14default_configENS1_27scan_by_key_config_selectorIj11FixedVectorIiLj2EEEEZZNS1_16scan_by_key_implILNS1_25lookback_scan_determinismE0ELb1ES3_N6thrust23THRUST_200600_302600_NS6detail15normal_iteratorINSB_10device_ptrIjEEEENSD_INSE_IS6_EEEESI_S6_NSB_4plusIvEENSB_8equal_toIvEES6_EE10hipError_tPvRmT2_T3_T4_T5_mT6_T7_P12ihipStream_tbENKUlT_T0_E_clISt17integral_constantIbLb1EES12_IbLb0EEEEDaSY_SZ_EUlSY_E_NS1_11comp_targetILNS1_3genE10ELNS1_11target_archE1201ELNS1_3gpuE5ELNS1_3repE0EEENS1_30default_config_static_selectorELNS0_4arch9wavefront6targetE1EEEvT1_ ; -- Begin function _ZN7rocprim17ROCPRIM_400000_NS6detail17trampoline_kernelINS0_14default_configENS1_27scan_by_key_config_selectorIj11FixedVectorIiLj2EEEEZZNS1_16scan_by_key_implILNS1_25lookback_scan_determinismE0ELb1ES3_N6thrust23THRUST_200600_302600_NS6detail15normal_iteratorINSB_10device_ptrIjEEEENSD_INSE_IS6_EEEESI_S6_NSB_4plusIvEENSB_8equal_toIvEES6_EE10hipError_tPvRmT2_T3_T4_T5_mT6_T7_P12ihipStream_tbENKUlT_T0_E_clISt17integral_constantIbLb1EES12_IbLb0EEEEDaSY_SZ_EUlSY_E_NS1_11comp_targetILNS1_3genE10ELNS1_11target_archE1201ELNS1_3gpuE5ELNS1_3repE0EEENS1_30default_config_static_selectorELNS0_4arch9wavefront6targetE1EEEvT1_
	.globl	_ZN7rocprim17ROCPRIM_400000_NS6detail17trampoline_kernelINS0_14default_configENS1_27scan_by_key_config_selectorIj11FixedVectorIiLj2EEEEZZNS1_16scan_by_key_implILNS1_25lookback_scan_determinismE0ELb1ES3_N6thrust23THRUST_200600_302600_NS6detail15normal_iteratorINSB_10device_ptrIjEEEENSD_INSE_IS6_EEEESI_S6_NSB_4plusIvEENSB_8equal_toIvEES6_EE10hipError_tPvRmT2_T3_T4_T5_mT6_T7_P12ihipStream_tbENKUlT_T0_E_clISt17integral_constantIbLb1EES12_IbLb0EEEEDaSY_SZ_EUlSY_E_NS1_11comp_targetILNS1_3genE10ELNS1_11target_archE1201ELNS1_3gpuE5ELNS1_3repE0EEENS1_30default_config_static_selectorELNS0_4arch9wavefront6targetE1EEEvT1_
	.p2align	8
	.type	_ZN7rocprim17ROCPRIM_400000_NS6detail17trampoline_kernelINS0_14default_configENS1_27scan_by_key_config_selectorIj11FixedVectorIiLj2EEEEZZNS1_16scan_by_key_implILNS1_25lookback_scan_determinismE0ELb1ES3_N6thrust23THRUST_200600_302600_NS6detail15normal_iteratorINSB_10device_ptrIjEEEENSD_INSE_IS6_EEEESI_S6_NSB_4plusIvEENSB_8equal_toIvEES6_EE10hipError_tPvRmT2_T3_T4_T5_mT6_T7_P12ihipStream_tbENKUlT_T0_E_clISt17integral_constantIbLb1EES12_IbLb0EEEEDaSY_SZ_EUlSY_E_NS1_11comp_targetILNS1_3genE10ELNS1_11target_archE1201ELNS1_3gpuE5ELNS1_3repE0EEENS1_30default_config_static_selectorELNS0_4arch9wavefront6targetE1EEEvT1_,@function
_ZN7rocprim17ROCPRIM_400000_NS6detail17trampoline_kernelINS0_14default_configENS1_27scan_by_key_config_selectorIj11FixedVectorIiLj2EEEEZZNS1_16scan_by_key_implILNS1_25lookback_scan_determinismE0ELb1ES3_N6thrust23THRUST_200600_302600_NS6detail15normal_iteratorINSB_10device_ptrIjEEEENSD_INSE_IS6_EEEESI_S6_NSB_4plusIvEENSB_8equal_toIvEES6_EE10hipError_tPvRmT2_T3_T4_T5_mT6_T7_P12ihipStream_tbENKUlT_T0_E_clISt17integral_constantIbLb1EES12_IbLb0EEEEDaSY_SZ_EUlSY_E_NS1_11comp_targetILNS1_3genE10ELNS1_11target_archE1201ELNS1_3gpuE5ELNS1_3repE0EEENS1_30default_config_static_selectorELNS0_4arch9wavefront6targetE1EEEvT1_: ; @_ZN7rocprim17ROCPRIM_400000_NS6detail17trampoline_kernelINS0_14default_configENS1_27scan_by_key_config_selectorIj11FixedVectorIiLj2EEEEZZNS1_16scan_by_key_implILNS1_25lookback_scan_determinismE0ELb1ES3_N6thrust23THRUST_200600_302600_NS6detail15normal_iteratorINSB_10device_ptrIjEEEENSD_INSE_IS6_EEEESI_S6_NSB_4plusIvEENSB_8equal_toIvEES6_EE10hipError_tPvRmT2_T3_T4_T5_mT6_T7_P12ihipStream_tbENKUlT_T0_E_clISt17integral_constantIbLb1EES12_IbLb0EEEEDaSY_SZ_EUlSY_E_NS1_11comp_targetILNS1_3genE10ELNS1_11target_archE1201ELNS1_3gpuE5ELNS1_3repE0EEENS1_30default_config_static_selectorELNS0_4arch9wavefront6targetE1EEEvT1_
; %bb.0:
	.section	.rodata,"a",@progbits
	.p2align	6, 0x0
	.amdhsa_kernel _ZN7rocprim17ROCPRIM_400000_NS6detail17trampoline_kernelINS0_14default_configENS1_27scan_by_key_config_selectorIj11FixedVectorIiLj2EEEEZZNS1_16scan_by_key_implILNS1_25lookback_scan_determinismE0ELb1ES3_N6thrust23THRUST_200600_302600_NS6detail15normal_iteratorINSB_10device_ptrIjEEEENSD_INSE_IS6_EEEESI_S6_NSB_4plusIvEENSB_8equal_toIvEES6_EE10hipError_tPvRmT2_T3_T4_T5_mT6_T7_P12ihipStream_tbENKUlT_T0_E_clISt17integral_constantIbLb1EES12_IbLb0EEEEDaSY_SZ_EUlSY_E_NS1_11comp_targetILNS1_3genE10ELNS1_11target_archE1201ELNS1_3gpuE5ELNS1_3repE0EEENS1_30default_config_static_selectorELNS0_4arch9wavefront6targetE1EEEvT1_
		.amdhsa_group_segment_fixed_size 0
		.amdhsa_private_segment_fixed_size 0
		.amdhsa_kernarg_size 120
		.amdhsa_user_sgpr_count 6
		.amdhsa_user_sgpr_private_segment_buffer 1
		.amdhsa_user_sgpr_dispatch_ptr 0
		.amdhsa_user_sgpr_queue_ptr 0
		.amdhsa_user_sgpr_kernarg_segment_ptr 1
		.amdhsa_user_sgpr_dispatch_id 0
		.amdhsa_user_sgpr_flat_scratch_init 0
		.amdhsa_user_sgpr_kernarg_preload_length 0
		.amdhsa_user_sgpr_kernarg_preload_offset 0
		.amdhsa_user_sgpr_private_segment_size 0
		.amdhsa_uses_dynamic_stack 0
		.amdhsa_system_sgpr_private_segment_wavefront_offset 0
		.amdhsa_system_sgpr_workgroup_id_x 1
		.amdhsa_system_sgpr_workgroup_id_y 0
		.amdhsa_system_sgpr_workgroup_id_z 0
		.amdhsa_system_sgpr_workgroup_info 0
		.amdhsa_system_vgpr_workitem_id 0
		.amdhsa_next_free_vgpr 1
		.amdhsa_next_free_sgpr 0
		.amdhsa_accum_offset 4
		.amdhsa_reserve_vcc 0
		.amdhsa_reserve_flat_scratch 0
		.amdhsa_float_round_mode_32 0
		.amdhsa_float_round_mode_16_64 0
		.amdhsa_float_denorm_mode_32 3
		.amdhsa_float_denorm_mode_16_64 3
		.amdhsa_dx10_clamp 1
		.amdhsa_ieee_mode 1
		.amdhsa_fp16_overflow 0
		.amdhsa_tg_split 0
		.amdhsa_exception_fp_ieee_invalid_op 0
		.amdhsa_exception_fp_denorm_src 0
		.amdhsa_exception_fp_ieee_div_zero 0
		.amdhsa_exception_fp_ieee_overflow 0
		.amdhsa_exception_fp_ieee_underflow 0
		.amdhsa_exception_fp_ieee_inexact 0
		.amdhsa_exception_int_div_zero 0
	.end_amdhsa_kernel
	.section	.text._ZN7rocprim17ROCPRIM_400000_NS6detail17trampoline_kernelINS0_14default_configENS1_27scan_by_key_config_selectorIj11FixedVectorIiLj2EEEEZZNS1_16scan_by_key_implILNS1_25lookback_scan_determinismE0ELb1ES3_N6thrust23THRUST_200600_302600_NS6detail15normal_iteratorINSB_10device_ptrIjEEEENSD_INSE_IS6_EEEESI_S6_NSB_4plusIvEENSB_8equal_toIvEES6_EE10hipError_tPvRmT2_T3_T4_T5_mT6_T7_P12ihipStream_tbENKUlT_T0_E_clISt17integral_constantIbLb1EES12_IbLb0EEEEDaSY_SZ_EUlSY_E_NS1_11comp_targetILNS1_3genE10ELNS1_11target_archE1201ELNS1_3gpuE5ELNS1_3repE0EEENS1_30default_config_static_selectorELNS0_4arch9wavefront6targetE1EEEvT1_,"axG",@progbits,_ZN7rocprim17ROCPRIM_400000_NS6detail17trampoline_kernelINS0_14default_configENS1_27scan_by_key_config_selectorIj11FixedVectorIiLj2EEEEZZNS1_16scan_by_key_implILNS1_25lookback_scan_determinismE0ELb1ES3_N6thrust23THRUST_200600_302600_NS6detail15normal_iteratorINSB_10device_ptrIjEEEENSD_INSE_IS6_EEEESI_S6_NSB_4plusIvEENSB_8equal_toIvEES6_EE10hipError_tPvRmT2_T3_T4_T5_mT6_T7_P12ihipStream_tbENKUlT_T0_E_clISt17integral_constantIbLb1EES12_IbLb0EEEEDaSY_SZ_EUlSY_E_NS1_11comp_targetILNS1_3genE10ELNS1_11target_archE1201ELNS1_3gpuE5ELNS1_3repE0EEENS1_30default_config_static_selectorELNS0_4arch9wavefront6targetE1EEEvT1_,comdat
.Lfunc_end2012:
	.size	_ZN7rocprim17ROCPRIM_400000_NS6detail17trampoline_kernelINS0_14default_configENS1_27scan_by_key_config_selectorIj11FixedVectorIiLj2EEEEZZNS1_16scan_by_key_implILNS1_25lookback_scan_determinismE0ELb1ES3_N6thrust23THRUST_200600_302600_NS6detail15normal_iteratorINSB_10device_ptrIjEEEENSD_INSE_IS6_EEEESI_S6_NSB_4plusIvEENSB_8equal_toIvEES6_EE10hipError_tPvRmT2_T3_T4_T5_mT6_T7_P12ihipStream_tbENKUlT_T0_E_clISt17integral_constantIbLb1EES12_IbLb0EEEEDaSY_SZ_EUlSY_E_NS1_11comp_targetILNS1_3genE10ELNS1_11target_archE1201ELNS1_3gpuE5ELNS1_3repE0EEENS1_30default_config_static_selectorELNS0_4arch9wavefront6targetE1EEEvT1_, .Lfunc_end2012-_ZN7rocprim17ROCPRIM_400000_NS6detail17trampoline_kernelINS0_14default_configENS1_27scan_by_key_config_selectorIj11FixedVectorIiLj2EEEEZZNS1_16scan_by_key_implILNS1_25lookback_scan_determinismE0ELb1ES3_N6thrust23THRUST_200600_302600_NS6detail15normal_iteratorINSB_10device_ptrIjEEEENSD_INSE_IS6_EEEESI_S6_NSB_4plusIvEENSB_8equal_toIvEES6_EE10hipError_tPvRmT2_T3_T4_T5_mT6_T7_P12ihipStream_tbENKUlT_T0_E_clISt17integral_constantIbLb1EES12_IbLb0EEEEDaSY_SZ_EUlSY_E_NS1_11comp_targetILNS1_3genE10ELNS1_11target_archE1201ELNS1_3gpuE5ELNS1_3repE0EEENS1_30default_config_static_selectorELNS0_4arch9wavefront6targetE1EEEvT1_
                                        ; -- End function
	.section	.AMDGPU.csdata,"",@progbits
; Kernel info:
; codeLenInByte = 0
; NumSgprs: 4
; NumVgprs: 0
; NumAgprs: 0
; TotalNumVgprs: 0
; ScratchSize: 0
; MemoryBound: 0
; FloatMode: 240
; IeeeMode: 1
; LDSByteSize: 0 bytes/workgroup (compile time only)
; SGPRBlocks: 0
; VGPRBlocks: 0
; NumSGPRsForWavesPerEU: 4
; NumVGPRsForWavesPerEU: 1
; AccumOffset: 4
; Occupancy: 8
; WaveLimiterHint : 0
; COMPUTE_PGM_RSRC2:SCRATCH_EN: 0
; COMPUTE_PGM_RSRC2:USER_SGPR: 6
; COMPUTE_PGM_RSRC2:TRAP_HANDLER: 0
; COMPUTE_PGM_RSRC2:TGID_X_EN: 1
; COMPUTE_PGM_RSRC2:TGID_Y_EN: 0
; COMPUTE_PGM_RSRC2:TGID_Z_EN: 0
; COMPUTE_PGM_RSRC2:TIDIG_COMP_CNT: 0
; COMPUTE_PGM_RSRC3_GFX90A:ACCUM_OFFSET: 0
; COMPUTE_PGM_RSRC3_GFX90A:TG_SPLIT: 0
	.section	.text._ZN7rocprim17ROCPRIM_400000_NS6detail17trampoline_kernelINS0_14default_configENS1_27scan_by_key_config_selectorIj11FixedVectorIiLj2EEEEZZNS1_16scan_by_key_implILNS1_25lookback_scan_determinismE0ELb1ES3_N6thrust23THRUST_200600_302600_NS6detail15normal_iteratorINSB_10device_ptrIjEEEENSD_INSE_IS6_EEEESI_S6_NSB_4plusIvEENSB_8equal_toIvEES6_EE10hipError_tPvRmT2_T3_T4_T5_mT6_T7_P12ihipStream_tbENKUlT_T0_E_clISt17integral_constantIbLb1EES12_IbLb0EEEEDaSY_SZ_EUlSY_E_NS1_11comp_targetILNS1_3genE5ELNS1_11target_archE942ELNS1_3gpuE9ELNS1_3repE0EEENS1_30default_config_static_selectorELNS0_4arch9wavefront6targetE1EEEvT1_,"axG",@progbits,_ZN7rocprim17ROCPRIM_400000_NS6detail17trampoline_kernelINS0_14default_configENS1_27scan_by_key_config_selectorIj11FixedVectorIiLj2EEEEZZNS1_16scan_by_key_implILNS1_25lookback_scan_determinismE0ELb1ES3_N6thrust23THRUST_200600_302600_NS6detail15normal_iteratorINSB_10device_ptrIjEEEENSD_INSE_IS6_EEEESI_S6_NSB_4plusIvEENSB_8equal_toIvEES6_EE10hipError_tPvRmT2_T3_T4_T5_mT6_T7_P12ihipStream_tbENKUlT_T0_E_clISt17integral_constantIbLb1EES12_IbLb0EEEEDaSY_SZ_EUlSY_E_NS1_11comp_targetILNS1_3genE5ELNS1_11target_archE942ELNS1_3gpuE9ELNS1_3repE0EEENS1_30default_config_static_selectorELNS0_4arch9wavefront6targetE1EEEvT1_,comdat
	.protected	_ZN7rocprim17ROCPRIM_400000_NS6detail17trampoline_kernelINS0_14default_configENS1_27scan_by_key_config_selectorIj11FixedVectorIiLj2EEEEZZNS1_16scan_by_key_implILNS1_25lookback_scan_determinismE0ELb1ES3_N6thrust23THRUST_200600_302600_NS6detail15normal_iteratorINSB_10device_ptrIjEEEENSD_INSE_IS6_EEEESI_S6_NSB_4plusIvEENSB_8equal_toIvEES6_EE10hipError_tPvRmT2_T3_T4_T5_mT6_T7_P12ihipStream_tbENKUlT_T0_E_clISt17integral_constantIbLb1EES12_IbLb0EEEEDaSY_SZ_EUlSY_E_NS1_11comp_targetILNS1_3genE5ELNS1_11target_archE942ELNS1_3gpuE9ELNS1_3repE0EEENS1_30default_config_static_selectorELNS0_4arch9wavefront6targetE1EEEvT1_ ; -- Begin function _ZN7rocprim17ROCPRIM_400000_NS6detail17trampoline_kernelINS0_14default_configENS1_27scan_by_key_config_selectorIj11FixedVectorIiLj2EEEEZZNS1_16scan_by_key_implILNS1_25lookback_scan_determinismE0ELb1ES3_N6thrust23THRUST_200600_302600_NS6detail15normal_iteratorINSB_10device_ptrIjEEEENSD_INSE_IS6_EEEESI_S6_NSB_4plusIvEENSB_8equal_toIvEES6_EE10hipError_tPvRmT2_T3_T4_T5_mT6_T7_P12ihipStream_tbENKUlT_T0_E_clISt17integral_constantIbLb1EES12_IbLb0EEEEDaSY_SZ_EUlSY_E_NS1_11comp_targetILNS1_3genE5ELNS1_11target_archE942ELNS1_3gpuE9ELNS1_3repE0EEENS1_30default_config_static_selectorELNS0_4arch9wavefront6targetE1EEEvT1_
	.globl	_ZN7rocprim17ROCPRIM_400000_NS6detail17trampoline_kernelINS0_14default_configENS1_27scan_by_key_config_selectorIj11FixedVectorIiLj2EEEEZZNS1_16scan_by_key_implILNS1_25lookback_scan_determinismE0ELb1ES3_N6thrust23THRUST_200600_302600_NS6detail15normal_iteratorINSB_10device_ptrIjEEEENSD_INSE_IS6_EEEESI_S6_NSB_4plusIvEENSB_8equal_toIvEES6_EE10hipError_tPvRmT2_T3_T4_T5_mT6_T7_P12ihipStream_tbENKUlT_T0_E_clISt17integral_constantIbLb1EES12_IbLb0EEEEDaSY_SZ_EUlSY_E_NS1_11comp_targetILNS1_3genE5ELNS1_11target_archE942ELNS1_3gpuE9ELNS1_3repE0EEENS1_30default_config_static_selectorELNS0_4arch9wavefront6targetE1EEEvT1_
	.p2align	8
	.type	_ZN7rocprim17ROCPRIM_400000_NS6detail17trampoline_kernelINS0_14default_configENS1_27scan_by_key_config_selectorIj11FixedVectorIiLj2EEEEZZNS1_16scan_by_key_implILNS1_25lookback_scan_determinismE0ELb1ES3_N6thrust23THRUST_200600_302600_NS6detail15normal_iteratorINSB_10device_ptrIjEEEENSD_INSE_IS6_EEEESI_S6_NSB_4plusIvEENSB_8equal_toIvEES6_EE10hipError_tPvRmT2_T3_T4_T5_mT6_T7_P12ihipStream_tbENKUlT_T0_E_clISt17integral_constantIbLb1EES12_IbLb0EEEEDaSY_SZ_EUlSY_E_NS1_11comp_targetILNS1_3genE5ELNS1_11target_archE942ELNS1_3gpuE9ELNS1_3repE0EEENS1_30default_config_static_selectorELNS0_4arch9wavefront6targetE1EEEvT1_,@function
_ZN7rocprim17ROCPRIM_400000_NS6detail17trampoline_kernelINS0_14default_configENS1_27scan_by_key_config_selectorIj11FixedVectorIiLj2EEEEZZNS1_16scan_by_key_implILNS1_25lookback_scan_determinismE0ELb1ES3_N6thrust23THRUST_200600_302600_NS6detail15normal_iteratorINSB_10device_ptrIjEEEENSD_INSE_IS6_EEEESI_S6_NSB_4plusIvEENSB_8equal_toIvEES6_EE10hipError_tPvRmT2_T3_T4_T5_mT6_T7_P12ihipStream_tbENKUlT_T0_E_clISt17integral_constantIbLb1EES12_IbLb0EEEEDaSY_SZ_EUlSY_E_NS1_11comp_targetILNS1_3genE5ELNS1_11target_archE942ELNS1_3gpuE9ELNS1_3repE0EEENS1_30default_config_static_selectorELNS0_4arch9wavefront6targetE1EEEvT1_: ; @_ZN7rocprim17ROCPRIM_400000_NS6detail17trampoline_kernelINS0_14default_configENS1_27scan_by_key_config_selectorIj11FixedVectorIiLj2EEEEZZNS1_16scan_by_key_implILNS1_25lookback_scan_determinismE0ELb1ES3_N6thrust23THRUST_200600_302600_NS6detail15normal_iteratorINSB_10device_ptrIjEEEENSD_INSE_IS6_EEEESI_S6_NSB_4plusIvEENSB_8equal_toIvEES6_EE10hipError_tPvRmT2_T3_T4_T5_mT6_T7_P12ihipStream_tbENKUlT_T0_E_clISt17integral_constantIbLb1EES12_IbLb0EEEEDaSY_SZ_EUlSY_E_NS1_11comp_targetILNS1_3genE5ELNS1_11target_archE942ELNS1_3gpuE9ELNS1_3repE0EEENS1_30default_config_static_selectorELNS0_4arch9wavefront6targetE1EEEvT1_
; %bb.0:
	.section	.rodata,"a",@progbits
	.p2align	6, 0x0
	.amdhsa_kernel _ZN7rocprim17ROCPRIM_400000_NS6detail17trampoline_kernelINS0_14default_configENS1_27scan_by_key_config_selectorIj11FixedVectorIiLj2EEEEZZNS1_16scan_by_key_implILNS1_25lookback_scan_determinismE0ELb1ES3_N6thrust23THRUST_200600_302600_NS6detail15normal_iteratorINSB_10device_ptrIjEEEENSD_INSE_IS6_EEEESI_S6_NSB_4plusIvEENSB_8equal_toIvEES6_EE10hipError_tPvRmT2_T3_T4_T5_mT6_T7_P12ihipStream_tbENKUlT_T0_E_clISt17integral_constantIbLb1EES12_IbLb0EEEEDaSY_SZ_EUlSY_E_NS1_11comp_targetILNS1_3genE5ELNS1_11target_archE942ELNS1_3gpuE9ELNS1_3repE0EEENS1_30default_config_static_selectorELNS0_4arch9wavefront6targetE1EEEvT1_
		.amdhsa_group_segment_fixed_size 0
		.amdhsa_private_segment_fixed_size 0
		.amdhsa_kernarg_size 120
		.amdhsa_user_sgpr_count 6
		.amdhsa_user_sgpr_private_segment_buffer 1
		.amdhsa_user_sgpr_dispatch_ptr 0
		.amdhsa_user_sgpr_queue_ptr 0
		.amdhsa_user_sgpr_kernarg_segment_ptr 1
		.amdhsa_user_sgpr_dispatch_id 0
		.amdhsa_user_sgpr_flat_scratch_init 0
		.amdhsa_user_sgpr_kernarg_preload_length 0
		.amdhsa_user_sgpr_kernarg_preload_offset 0
		.amdhsa_user_sgpr_private_segment_size 0
		.amdhsa_uses_dynamic_stack 0
		.amdhsa_system_sgpr_private_segment_wavefront_offset 0
		.amdhsa_system_sgpr_workgroup_id_x 1
		.amdhsa_system_sgpr_workgroup_id_y 0
		.amdhsa_system_sgpr_workgroup_id_z 0
		.amdhsa_system_sgpr_workgroup_info 0
		.amdhsa_system_vgpr_workitem_id 0
		.amdhsa_next_free_vgpr 1
		.amdhsa_next_free_sgpr 0
		.amdhsa_accum_offset 4
		.amdhsa_reserve_vcc 0
		.amdhsa_reserve_flat_scratch 0
		.amdhsa_float_round_mode_32 0
		.amdhsa_float_round_mode_16_64 0
		.amdhsa_float_denorm_mode_32 3
		.amdhsa_float_denorm_mode_16_64 3
		.amdhsa_dx10_clamp 1
		.amdhsa_ieee_mode 1
		.amdhsa_fp16_overflow 0
		.amdhsa_tg_split 0
		.amdhsa_exception_fp_ieee_invalid_op 0
		.amdhsa_exception_fp_denorm_src 0
		.amdhsa_exception_fp_ieee_div_zero 0
		.amdhsa_exception_fp_ieee_overflow 0
		.amdhsa_exception_fp_ieee_underflow 0
		.amdhsa_exception_fp_ieee_inexact 0
		.amdhsa_exception_int_div_zero 0
	.end_amdhsa_kernel
	.section	.text._ZN7rocprim17ROCPRIM_400000_NS6detail17trampoline_kernelINS0_14default_configENS1_27scan_by_key_config_selectorIj11FixedVectorIiLj2EEEEZZNS1_16scan_by_key_implILNS1_25lookback_scan_determinismE0ELb1ES3_N6thrust23THRUST_200600_302600_NS6detail15normal_iteratorINSB_10device_ptrIjEEEENSD_INSE_IS6_EEEESI_S6_NSB_4plusIvEENSB_8equal_toIvEES6_EE10hipError_tPvRmT2_T3_T4_T5_mT6_T7_P12ihipStream_tbENKUlT_T0_E_clISt17integral_constantIbLb1EES12_IbLb0EEEEDaSY_SZ_EUlSY_E_NS1_11comp_targetILNS1_3genE5ELNS1_11target_archE942ELNS1_3gpuE9ELNS1_3repE0EEENS1_30default_config_static_selectorELNS0_4arch9wavefront6targetE1EEEvT1_,"axG",@progbits,_ZN7rocprim17ROCPRIM_400000_NS6detail17trampoline_kernelINS0_14default_configENS1_27scan_by_key_config_selectorIj11FixedVectorIiLj2EEEEZZNS1_16scan_by_key_implILNS1_25lookback_scan_determinismE0ELb1ES3_N6thrust23THRUST_200600_302600_NS6detail15normal_iteratorINSB_10device_ptrIjEEEENSD_INSE_IS6_EEEESI_S6_NSB_4plusIvEENSB_8equal_toIvEES6_EE10hipError_tPvRmT2_T3_T4_T5_mT6_T7_P12ihipStream_tbENKUlT_T0_E_clISt17integral_constantIbLb1EES12_IbLb0EEEEDaSY_SZ_EUlSY_E_NS1_11comp_targetILNS1_3genE5ELNS1_11target_archE942ELNS1_3gpuE9ELNS1_3repE0EEENS1_30default_config_static_selectorELNS0_4arch9wavefront6targetE1EEEvT1_,comdat
.Lfunc_end2013:
	.size	_ZN7rocprim17ROCPRIM_400000_NS6detail17trampoline_kernelINS0_14default_configENS1_27scan_by_key_config_selectorIj11FixedVectorIiLj2EEEEZZNS1_16scan_by_key_implILNS1_25lookback_scan_determinismE0ELb1ES3_N6thrust23THRUST_200600_302600_NS6detail15normal_iteratorINSB_10device_ptrIjEEEENSD_INSE_IS6_EEEESI_S6_NSB_4plusIvEENSB_8equal_toIvEES6_EE10hipError_tPvRmT2_T3_T4_T5_mT6_T7_P12ihipStream_tbENKUlT_T0_E_clISt17integral_constantIbLb1EES12_IbLb0EEEEDaSY_SZ_EUlSY_E_NS1_11comp_targetILNS1_3genE5ELNS1_11target_archE942ELNS1_3gpuE9ELNS1_3repE0EEENS1_30default_config_static_selectorELNS0_4arch9wavefront6targetE1EEEvT1_, .Lfunc_end2013-_ZN7rocprim17ROCPRIM_400000_NS6detail17trampoline_kernelINS0_14default_configENS1_27scan_by_key_config_selectorIj11FixedVectorIiLj2EEEEZZNS1_16scan_by_key_implILNS1_25lookback_scan_determinismE0ELb1ES3_N6thrust23THRUST_200600_302600_NS6detail15normal_iteratorINSB_10device_ptrIjEEEENSD_INSE_IS6_EEEESI_S6_NSB_4plusIvEENSB_8equal_toIvEES6_EE10hipError_tPvRmT2_T3_T4_T5_mT6_T7_P12ihipStream_tbENKUlT_T0_E_clISt17integral_constantIbLb1EES12_IbLb0EEEEDaSY_SZ_EUlSY_E_NS1_11comp_targetILNS1_3genE5ELNS1_11target_archE942ELNS1_3gpuE9ELNS1_3repE0EEENS1_30default_config_static_selectorELNS0_4arch9wavefront6targetE1EEEvT1_
                                        ; -- End function
	.section	.AMDGPU.csdata,"",@progbits
; Kernel info:
; codeLenInByte = 0
; NumSgprs: 4
; NumVgprs: 0
; NumAgprs: 0
; TotalNumVgprs: 0
; ScratchSize: 0
; MemoryBound: 0
; FloatMode: 240
; IeeeMode: 1
; LDSByteSize: 0 bytes/workgroup (compile time only)
; SGPRBlocks: 0
; VGPRBlocks: 0
; NumSGPRsForWavesPerEU: 4
; NumVGPRsForWavesPerEU: 1
; AccumOffset: 4
; Occupancy: 8
; WaveLimiterHint : 0
; COMPUTE_PGM_RSRC2:SCRATCH_EN: 0
; COMPUTE_PGM_RSRC2:USER_SGPR: 6
; COMPUTE_PGM_RSRC2:TRAP_HANDLER: 0
; COMPUTE_PGM_RSRC2:TGID_X_EN: 1
; COMPUTE_PGM_RSRC2:TGID_Y_EN: 0
; COMPUTE_PGM_RSRC2:TGID_Z_EN: 0
; COMPUTE_PGM_RSRC2:TIDIG_COMP_CNT: 0
; COMPUTE_PGM_RSRC3_GFX90A:ACCUM_OFFSET: 0
; COMPUTE_PGM_RSRC3_GFX90A:TG_SPLIT: 0
	.section	.text._ZN7rocprim17ROCPRIM_400000_NS6detail17trampoline_kernelINS0_14default_configENS1_27scan_by_key_config_selectorIj11FixedVectorIiLj2EEEEZZNS1_16scan_by_key_implILNS1_25lookback_scan_determinismE0ELb1ES3_N6thrust23THRUST_200600_302600_NS6detail15normal_iteratorINSB_10device_ptrIjEEEENSD_INSE_IS6_EEEESI_S6_NSB_4plusIvEENSB_8equal_toIvEES6_EE10hipError_tPvRmT2_T3_T4_T5_mT6_T7_P12ihipStream_tbENKUlT_T0_E_clISt17integral_constantIbLb1EES12_IbLb0EEEEDaSY_SZ_EUlSY_E_NS1_11comp_targetILNS1_3genE4ELNS1_11target_archE910ELNS1_3gpuE8ELNS1_3repE0EEENS1_30default_config_static_selectorELNS0_4arch9wavefront6targetE1EEEvT1_,"axG",@progbits,_ZN7rocprim17ROCPRIM_400000_NS6detail17trampoline_kernelINS0_14default_configENS1_27scan_by_key_config_selectorIj11FixedVectorIiLj2EEEEZZNS1_16scan_by_key_implILNS1_25lookback_scan_determinismE0ELb1ES3_N6thrust23THRUST_200600_302600_NS6detail15normal_iteratorINSB_10device_ptrIjEEEENSD_INSE_IS6_EEEESI_S6_NSB_4plusIvEENSB_8equal_toIvEES6_EE10hipError_tPvRmT2_T3_T4_T5_mT6_T7_P12ihipStream_tbENKUlT_T0_E_clISt17integral_constantIbLb1EES12_IbLb0EEEEDaSY_SZ_EUlSY_E_NS1_11comp_targetILNS1_3genE4ELNS1_11target_archE910ELNS1_3gpuE8ELNS1_3repE0EEENS1_30default_config_static_selectorELNS0_4arch9wavefront6targetE1EEEvT1_,comdat
	.protected	_ZN7rocprim17ROCPRIM_400000_NS6detail17trampoline_kernelINS0_14default_configENS1_27scan_by_key_config_selectorIj11FixedVectorIiLj2EEEEZZNS1_16scan_by_key_implILNS1_25lookback_scan_determinismE0ELb1ES3_N6thrust23THRUST_200600_302600_NS6detail15normal_iteratorINSB_10device_ptrIjEEEENSD_INSE_IS6_EEEESI_S6_NSB_4plusIvEENSB_8equal_toIvEES6_EE10hipError_tPvRmT2_T3_T4_T5_mT6_T7_P12ihipStream_tbENKUlT_T0_E_clISt17integral_constantIbLb1EES12_IbLb0EEEEDaSY_SZ_EUlSY_E_NS1_11comp_targetILNS1_3genE4ELNS1_11target_archE910ELNS1_3gpuE8ELNS1_3repE0EEENS1_30default_config_static_selectorELNS0_4arch9wavefront6targetE1EEEvT1_ ; -- Begin function _ZN7rocprim17ROCPRIM_400000_NS6detail17trampoline_kernelINS0_14default_configENS1_27scan_by_key_config_selectorIj11FixedVectorIiLj2EEEEZZNS1_16scan_by_key_implILNS1_25lookback_scan_determinismE0ELb1ES3_N6thrust23THRUST_200600_302600_NS6detail15normal_iteratorINSB_10device_ptrIjEEEENSD_INSE_IS6_EEEESI_S6_NSB_4plusIvEENSB_8equal_toIvEES6_EE10hipError_tPvRmT2_T3_T4_T5_mT6_T7_P12ihipStream_tbENKUlT_T0_E_clISt17integral_constantIbLb1EES12_IbLb0EEEEDaSY_SZ_EUlSY_E_NS1_11comp_targetILNS1_3genE4ELNS1_11target_archE910ELNS1_3gpuE8ELNS1_3repE0EEENS1_30default_config_static_selectorELNS0_4arch9wavefront6targetE1EEEvT1_
	.globl	_ZN7rocprim17ROCPRIM_400000_NS6detail17trampoline_kernelINS0_14default_configENS1_27scan_by_key_config_selectorIj11FixedVectorIiLj2EEEEZZNS1_16scan_by_key_implILNS1_25lookback_scan_determinismE0ELb1ES3_N6thrust23THRUST_200600_302600_NS6detail15normal_iteratorINSB_10device_ptrIjEEEENSD_INSE_IS6_EEEESI_S6_NSB_4plusIvEENSB_8equal_toIvEES6_EE10hipError_tPvRmT2_T3_T4_T5_mT6_T7_P12ihipStream_tbENKUlT_T0_E_clISt17integral_constantIbLb1EES12_IbLb0EEEEDaSY_SZ_EUlSY_E_NS1_11comp_targetILNS1_3genE4ELNS1_11target_archE910ELNS1_3gpuE8ELNS1_3repE0EEENS1_30default_config_static_selectorELNS0_4arch9wavefront6targetE1EEEvT1_
	.p2align	8
	.type	_ZN7rocprim17ROCPRIM_400000_NS6detail17trampoline_kernelINS0_14default_configENS1_27scan_by_key_config_selectorIj11FixedVectorIiLj2EEEEZZNS1_16scan_by_key_implILNS1_25lookback_scan_determinismE0ELb1ES3_N6thrust23THRUST_200600_302600_NS6detail15normal_iteratorINSB_10device_ptrIjEEEENSD_INSE_IS6_EEEESI_S6_NSB_4plusIvEENSB_8equal_toIvEES6_EE10hipError_tPvRmT2_T3_T4_T5_mT6_T7_P12ihipStream_tbENKUlT_T0_E_clISt17integral_constantIbLb1EES12_IbLb0EEEEDaSY_SZ_EUlSY_E_NS1_11comp_targetILNS1_3genE4ELNS1_11target_archE910ELNS1_3gpuE8ELNS1_3repE0EEENS1_30default_config_static_selectorELNS0_4arch9wavefront6targetE1EEEvT1_,@function
_ZN7rocprim17ROCPRIM_400000_NS6detail17trampoline_kernelINS0_14default_configENS1_27scan_by_key_config_selectorIj11FixedVectorIiLj2EEEEZZNS1_16scan_by_key_implILNS1_25lookback_scan_determinismE0ELb1ES3_N6thrust23THRUST_200600_302600_NS6detail15normal_iteratorINSB_10device_ptrIjEEEENSD_INSE_IS6_EEEESI_S6_NSB_4plusIvEENSB_8equal_toIvEES6_EE10hipError_tPvRmT2_T3_T4_T5_mT6_T7_P12ihipStream_tbENKUlT_T0_E_clISt17integral_constantIbLb1EES12_IbLb0EEEEDaSY_SZ_EUlSY_E_NS1_11comp_targetILNS1_3genE4ELNS1_11target_archE910ELNS1_3gpuE8ELNS1_3repE0EEENS1_30default_config_static_selectorELNS0_4arch9wavefront6targetE1EEEvT1_: ; @_ZN7rocprim17ROCPRIM_400000_NS6detail17trampoline_kernelINS0_14default_configENS1_27scan_by_key_config_selectorIj11FixedVectorIiLj2EEEEZZNS1_16scan_by_key_implILNS1_25lookback_scan_determinismE0ELb1ES3_N6thrust23THRUST_200600_302600_NS6detail15normal_iteratorINSB_10device_ptrIjEEEENSD_INSE_IS6_EEEESI_S6_NSB_4plusIvEENSB_8equal_toIvEES6_EE10hipError_tPvRmT2_T3_T4_T5_mT6_T7_P12ihipStream_tbENKUlT_T0_E_clISt17integral_constantIbLb1EES12_IbLb0EEEEDaSY_SZ_EUlSY_E_NS1_11comp_targetILNS1_3genE4ELNS1_11target_archE910ELNS1_3gpuE8ELNS1_3repE0EEENS1_30default_config_static_selectorELNS0_4arch9wavefront6targetE1EEEvT1_
; %bb.0:
	s_load_dwordx8 s[44:51], s[4:5], 0x0
	s_load_dwordx2 s[62:63], s[4:5], 0x20
	s_load_dwordx4 s[52:55], s[4:5], 0x30
	s_load_dwordx2 s[64:65], s[4:5], 0x40
	s_load_dword s2, s[4:5], 0x48
	s_load_dwordx4 s[56:59], s[4:5], 0x50
	s_waitcnt lgkmcnt(0)
	s_lshl_b64 s[0:1], s[46:47], 2
	s_add_u32 s4, s44, s0
	s_addc_u32 s5, s45, s1
	s_lshl_b64 s[60:61], s[46:47], 3
	s_add_u32 s7, s48, s60
	s_mul_i32 s0, s65, s2
	s_mul_hi_u32 s1, s64, s2
	s_addc_u32 s8, s49, s61
	s_add_i32 s9, s1, s0
	s_mul_i32 s0, s6, 0x540
	s_mov_b32 s1, 0
	s_mul_i32 s10, s64, s2
	s_lshl_b64 s[2:3], s[0:1], 2
	s_add_u32 s66, s4, s2
	s_addc_u32 s67, s5, s3
	s_lshl_b64 s[48:49], s[0:1], 3
	s_add_u32 s7, s7, s48
	s_addc_u32 s55, s8, s49
	s_add_u32 s0, s10, s6
	s_addc_u32 s1, s9, 0
	s_add_u32 s4, s56, -1
	s_addc_u32 s5, s57, -1
	v_pk_mov_b32 v[2:3], s[4:5], s[4:5] op_sel:[0,1]
	v_cmp_ge_u64_e64 s[0:1], s[0:1], v[2:3]
	s_mov_b64 s[2:3], -1
	s_and_b64 vcc, exec, s[0:1]
	s_mul_i32 s33, s4, 0xfffffac0
	s_waitcnt lgkmcnt(0)
	; wave barrier
	s_cbranch_vccz .LBB2014_130
; %bb.1:
	v_pk_mov_b32 v[2:3], s[66:67], s[66:67] op_sel:[0,1]
	flat_load_dword v1, v[2:3]
	s_add_i32 s70, s33, s54
	v_cmp_gt_u32_e64 s[42:43], s70, v0
	s_waitcnt vmcnt(0) lgkmcnt(0)
	v_mov_b32_e32 v2, v1
	s_and_saveexec_b64 s[2:3], s[42:43]
	s_cbranch_execz .LBB2014_3
; %bb.2:
	v_lshlrev_b32_e32 v2, 2, v0
	v_mov_b32_e32 v3, s67
	v_add_co_u32_e32 v2, vcc, s66, v2
	v_addc_co_u32_e32 v3, vcc, 0, v3, vcc
	flat_load_dword v2, v[2:3]
.LBB2014_3:
	s_or_b64 exec, exec, s[2:3]
	v_or_b32_e32 v3, 64, v0
	v_cmp_gt_u32_e64 s[40:41], s70, v3
	v_mov_b32_e32 v3, v1
	s_and_saveexec_b64 s[2:3], s[40:41]
	s_cbranch_execz .LBB2014_5
; %bb.4:
	v_lshlrev_b32_e32 v3, 2, v0
	v_mov_b32_e32 v5, s67
	v_add_co_u32_e32 v4, vcc, s66, v3
	v_addc_co_u32_e32 v5, vcc, 0, v5, vcc
	flat_load_dword v3, v[4:5] offset:256
.LBB2014_5:
	s_or_b64 exec, exec, s[2:3]
	v_or_b32_e32 v4, 0x80, v0
	v_cmp_gt_u32_e64 s[38:39], s70, v4
	v_mov_b32_e32 v4, v1
	s_and_saveexec_b64 s[2:3], s[38:39]
	s_cbranch_execz .LBB2014_7
; %bb.6:
	v_lshlrev_b32_e32 v4, 2, v0
	v_mov_b32_e32 v5, s67
	v_add_co_u32_e32 v4, vcc, s66, v4
	v_addc_co_u32_e32 v5, vcc, 0, v5, vcc
	flat_load_dword v4, v[4:5] offset:512
.LBB2014_7:
	s_or_b64 exec, exec, s[2:3]
	v_or_b32_e32 v5, 0xc0, v0
	v_cmp_gt_u32_e64 s[36:37], s70, v5
	v_mov_b32_e32 v5, v1
	s_and_saveexec_b64 s[2:3], s[36:37]
	s_cbranch_execz .LBB2014_9
; %bb.8:
	v_lshlrev_b32_e32 v5, 2, v0
	v_mov_b32_e32 v7, s67
	v_add_co_u32_e32 v6, vcc, s66, v5
	v_addc_co_u32_e32 v7, vcc, 0, v7, vcc
	flat_load_dword v5, v[6:7] offset:768
.LBB2014_9:
	s_or_b64 exec, exec, s[2:3]
	v_or_b32_e32 v6, 0x100, v0
	v_cmp_gt_u32_e64 s[34:35], s70, v6
	v_mov_b32_e32 v6, v1
	s_and_saveexec_b64 s[2:3], s[34:35]
	s_cbranch_execz .LBB2014_11
; %bb.10:
	v_lshlrev_b32_e32 v6, 2, v0
	v_mov_b32_e32 v7, s67
	v_add_co_u32_e32 v6, vcc, s66, v6
	v_addc_co_u32_e32 v7, vcc, 0, v7, vcc
	flat_load_dword v6, v[6:7] offset:1024
.LBB2014_11:
	s_or_b64 exec, exec, s[2:3]
	v_or_b32_e32 v7, 0x140, v0
	v_cmp_gt_u32_e64 s[30:31], s70, v7
	v_mov_b32_e32 v7, v1
	s_and_saveexec_b64 s[2:3], s[30:31]
	s_cbranch_execz .LBB2014_13
; %bb.12:
	v_lshlrev_b32_e32 v7, 2, v0
	v_mov_b32_e32 v9, s67
	v_add_co_u32_e32 v8, vcc, s66, v7
	v_addc_co_u32_e32 v9, vcc, 0, v9, vcc
	flat_load_dword v7, v[8:9] offset:1280
.LBB2014_13:
	s_or_b64 exec, exec, s[2:3]
	v_or_b32_e32 v8, 0x180, v0
	v_cmp_gt_u32_e64 s[28:29], s70, v8
	v_mov_b32_e32 v8, v1
	s_and_saveexec_b64 s[2:3], s[28:29]
	s_cbranch_execz .LBB2014_15
; %bb.14:
	v_lshlrev_b32_e32 v8, 2, v0
	v_mov_b32_e32 v9, s67
	v_add_co_u32_e32 v8, vcc, s66, v8
	v_addc_co_u32_e32 v9, vcc, 0, v9, vcc
	flat_load_dword v8, v[8:9] offset:1536
.LBB2014_15:
	s_or_b64 exec, exec, s[2:3]
	v_or_b32_e32 v9, 0x1c0, v0
	v_cmp_gt_u32_e64 s[26:27], s70, v9
	v_mov_b32_e32 v9, v1
	s_and_saveexec_b64 s[2:3], s[26:27]
	s_cbranch_execz .LBB2014_17
; %bb.16:
	v_lshlrev_b32_e32 v9, 2, v0
	v_mov_b32_e32 v11, s67
	v_add_co_u32_e32 v10, vcc, s66, v9
	v_addc_co_u32_e32 v11, vcc, 0, v11, vcc
	flat_load_dword v9, v[10:11] offset:1792
.LBB2014_17:
	s_or_b64 exec, exec, s[2:3]
	v_or_b32_e32 v39, 0x200, v0
	v_cmp_gt_u32_e64 s[24:25], s70, v39
	v_mov_b32_e32 v10, v1
	s_and_saveexec_b64 s[2:3], s[24:25]
	s_cbranch_execz .LBB2014_19
; %bb.18:
	v_lshlrev_b32_e32 v10, 2, v0
	v_mov_b32_e32 v11, s67
	v_add_co_u32_e32 v10, vcc, s66, v10
	v_addc_co_u32_e32 v11, vcc, 0, v11, vcc
	flat_load_dword v10, v[10:11] offset:2048
.LBB2014_19:
	s_or_b64 exec, exec, s[2:3]
	v_or_b32_e32 v42, 0x240, v0
	v_cmp_gt_u32_e64 s[22:23], s70, v42
	v_mov_b32_e32 v11, v1
	s_and_saveexec_b64 s[2:3], s[22:23]
	s_cbranch_execz .LBB2014_21
; %bb.20:
	v_lshlrev_b32_e32 v11, 2, v0
	v_mov_b32_e32 v13, s67
	v_add_co_u32_e32 v12, vcc, s66, v11
	v_addc_co_u32_e32 v13, vcc, 0, v13, vcc
	flat_load_dword v11, v[12:13] offset:2304
.LBB2014_21:
	s_or_b64 exec, exec, s[2:3]
	v_or_b32_e32 v43, 0x280, v0
	v_cmp_gt_u32_e64 s[20:21], s70, v43
	v_mov_b32_e32 v12, v1
	s_and_saveexec_b64 s[2:3], s[20:21]
	s_cbranch_execz .LBB2014_23
; %bb.22:
	v_lshlrev_b32_e32 v12, 2, v0
	v_mov_b32_e32 v13, s67
	v_add_co_u32_e32 v12, vcc, s66, v12
	v_addc_co_u32_e32 v13, vcc, 0, v13, vcc
	flat_load_dword v12, v[12:13] offset:2560
.LBB2014_23:
	s_or_b64 exec, exec, s[2:3]
	v_or_b32_e32 v46, 0x2c0, v0
	v_cmp_gt_u32_e64 s[18:19], s70, v46
	v_mov_b32_e32 v13, v1
	s_and_saveexec_b64 s[2:3], s[18:19]
	s_cbranch_execz .LBB2014_25
; %bb.24:
	v_lshlrev_b32_e32 v13, 2, v0
	v_mov_b32_e32 v15, s67
	v_add_co_u32_e32 v14, vcc, s66, v13
	v_addc_co_u32_e32 v15, vcc, 0, v15, vcc
	flat_load_dword v13, v[14:15] offset:2816
.LBB2014_25:
	s_or_b64 exec, exec, s[2:3]
	v_or_b32_e32 v47, 0x300, v0
	v_cmp_gt_u32_e64 s[16:17], s70, v47
	v_mov_b32_e32 v14, v1
	s_and_saveexec_b64 s[2:3], s[16:17]
	s_cbranch_execz .LBB2014_27
; %bb.26:
	v_lshlrev_b32_e32 v14, 2, v0
	v_mov_b32_e32 v15, s67
	v_add_co_u32_e32 v14, vcc, s66, v14
	v_addc_co_u32_e32 v15, vcc, 0, v15, vcc
	flat_load_dword v14, v[14:15] offset:3072
.LBB2014_27:
	s_or_b64 exec, exec, s[2:3]
	v_or_b32_e32 v50, 0x340, v0
	v_cmp_gt_u32_e64 s[14:15], s70, v50
	v_mov_b32_e32 v15, v1
	s_and_saveexec_b64 s[2:3], s[14:15]
	s_cbranch_execz .LBB2014_29
; %bb.28:
	v_lshlrev_b32_e32 v15, 2, v0
	v_mov_b32_e32 v17, s67
	v_add_co_u32_e32 v16, vcc, s66, v15
	v_addc_co_u32_e32 v17, vcc, 0, v17, vcc
	flat_load_dword v15, v[16:17] offset:3328
.LBB2014_29:
	s_or_b64 exec, exec, s[2:3]
	v_or_b32_e32 v51, 0x380, v0
	v_cmp_gt_u32_e64 s[12:13], s70, v51
	v_mov_b32_e32 v16, v1
	s_and_saveexec_b64 s[2:3], s[12:13]
	s_cbranch_execz .LBB2014_31
; %bb.30:
	v_lshlrev_b32_e32 v16, 2, v0
	v_mov_b32_e32 v17, s67
	v_add_co_u32_e32 v16, vcc, s66, v16
	v_addc_co_u32_e32 v17, vcc, 0, v17, vcc
	flat_load_dword v16, v[16:17] offset:3584
.LBB2014_31:
	s_or_b64 exec, exec, s[2:3]
	v_or_b32_e32 v54, 0x3c0, v0
	v_cmp_gt_u32_e64 s[10:11], s70, v54
	v_mov_b32_e32 v17, v1
	s_and_saveexec_b64 s[2:3], s[10:11]
	s_cbranch_execz .LBB2014_33
; %bb.32:
	v_lshlrev_b32_e32 v17, 2, v0
	v_mov_b32_e32 v19, s67
	v_add_co_u32_e32 v18, vcc, s66, v17
	v_addc_co_u32_e32 v19, vcc, 0, v19, vcc
	flat_load_dword v17, v[18:19] offset:3840
.LBB2014_33:
	s_or_b64 exec, exec, s[2:3]
	v_or_b32_e32 v55, 0x400, v0
	v_cmp_gt_u32_e64 s[8:9], s70, v55
	v_mov_b32_e32 v18, v1
	s_and_saveexec_b64 s[2:3], s[8:9]
	s_cbranch_execz .LBB2014_35
; %bb.34:
	v_lshlrev_b32_e32 v18, 2, v55
	v_mov_b32_e32 v19, s67
	v_add_co_u32_e32 v18, vcc, s66, v18
	v_addc_co_u32_e32 v19, vcc, 0, v19, vcc
	flat_load_dword v18, v[18:19]
.LBB2014_35:
	s_or_b64 exec, exec, s[2:3]
	v_or_b32_e32 v58, 0x440, v0
	v_cmp_gt_u32_e64 s[44:45], s70, v58
	v_mov_b32_e32 v19, v1
	s_and_saveexec_b64 s[2:3], s[44:45]
	s_cbranch_execz .LBB2014_37
; %bb.36:
	v_lshlrev_b32_e32 v19, 2, v58
	v_mov_b32_e32 v21, s67
	v_add_co_u32_e32 v20, vcc, s66, v19
	v_addc_co_u32_e32 v21, vcc, 0, v21, vcc
	flat_load_dword v19, v[20:21]
.LBB2014_37:
	;; [unrolled: 13-line block ×4, first 2 shown]
	s_or_b64 exec, exec, s[46:47]
	v_or_b32_e32 v65, 0x500, v0
	v_cmp_gt_u32_e32 vcc, s70, v65
	s_and_saveexec_b64 s[56:57], vcc
	s_cbranch_execz .LBB2014_43
; %bb.42:
	v_lshlrev_b32_e32 v1, 2, v65
	v_mov_b32_e32 v23, s67
	v_add_co_u32_e64 v22, s[46:47], s66, v1
	v_addc_co_u32_e64 v23, s[46:47], 0, v23, s[46:47]
	flat_load_dword v1, v[22:23]
.LBB2014_43:
	s_or_b64 exec, exec, s[56:57]
	v_lshlrev_b32_e32 v26, 2, v0
	s_waitcnt vmcnt(0) lgkmcnt(0)
	ds_write2st64_b32 v26, v2, v3 offset1:1
	ds_write2st64_b32 v26, v4, v5 offset0:2 offset1:3
	ds_write2st64_b32 v26, v6, v7 offset0:4 offset1:5
	;; [unrolled: 1-line block ×9, first 2 shown]
	ds_write_b32 v26, v1 offset:5120
	v_pk_mov_b32 v[2:3], s[66:67], s[66:67] op_sel:[0,1]
	s_waitcnt lgkmcnt(0)
	; wave barrier
	s_waitcnt lgkmcnt(0)
	flat_load_dword v1, v[2:3]
	s_movk_i32 s46, 0x50
	v_mad_u32_u24 v2, v0, s46, v26
	s_movk_i32 s46, 0xffb0
	v_mad_i32_i24 v66, v0, s46, v2
	v_cmp_ne_u32_e64 s[46:47], 63, v0
	ds_read_b32 v79, v2
	ds_read2_b32 v[24:25], v2 offset0:1 offset1:2
	ds_read2_b32 v[22:23], v2 offset0:3 offset1:4
	;; [unrolled: 1-line block ×10, first 2 shown]
	s_waitcnt lgkmcnt(0)
	ds_write_b32 v66, v79 offset:5632
	s_waitcnt lgkmcnt(0)
	; wave barrier
	s_waitcnt lgkmcnt(0)
	s_and_saveexec_b64 s[56:57], s[46:47]
	s_cbranch_execz .LBB2014_45
; %bb.44:
	s_waitcnt vmcnt(0)
	ds_read_b32 v1, v26 offset:5636
.LBB2014_45:
	s_or_b64 exec, exec, s[56:57]
	v_mov_b32_e32 v2, 0
	v_mov_b32_e32 v4, 0
	;; [unrolled: 1-line block ×3, first 2 shown]
	s_waitcnt lgkmcnt(0)
	; wave barrier
	s_waitcnt lgkmcnt(0)
	s_and_saveexec_b64 s[46:47], s[42:43]
	s_cbranch_execz .LBB2014_47
; %bb.46:
	v_lshlrev_b32_e32 v3, 3, v0
	v_mov_b32_e32 v5, s55
	v_add_co_u32_e64 v4, s[42:43], s7, v3
	v_addc_co_u32_e64 v5, s[42:43], 0, v5, s[42:43]
	flat_load_dwordx2 v[4:5], v[4:5]
.LBB2014_47:
	s_or_b64 exec, exec, s[46:47]
	v_mov_b32_e32 v3, 0
	s_and_saveexec_b64 s[42:43], s[40:41]
	s_cbranch_execz .LBB2014_49
; %bb.48:
	v_lshlrev_b32_e32 v2, 3, v0
	v_mov_b32_e32 v3, s55
	v_add_co_u32_e64 v2, s[40:41], s7, v2
	v_addc_co_u32_e64 v3, s[40:41], 0, v3, s[40:41]
	flat_load_dwordx2 v[2:3], v[2:3] offset:512
.LBB2014_49:
	s_or_b64 exec, exec, s[42:43]
	v_mov_b32_e32 v26, 0
	v_mov_b32_e32 v28, 0
	v_mov_b32_e32 v29, 0
	s_and_saveexec_b64 s[40:41], s[38:39]
	s_cbranch_execz .LBB2014_51
; %bb.50:
	v_lshlrev_b32_e32 v27, 3, v0
	v_mov_b32_e32 v29, s55
	v_add_co_u32_e64 v28, s[38:39], s7, v27
	v_addc_co_u32_e64 v29, s[38:39], 0, v29, s[38:39]
	flat_load_dwordx2 v[28:29], v[28:29] offset:1024
.LBB2014_51:
	s_or_b64 exec, exec, s[40:41]
	v_mov_b32_e32 v27, 0
	s_and_saveexec_b64 s[38:39], s[36:37]
	s_cbranch_execz .LBB2014_53
; %bb.52:
	v_lshlrev_b32_e32 v26, 3, v0
	v_mov_b32_e32 v27, s55
	v_add_co_u32_e64 v26, s[36:37], s7, v26
	v_addc_co_u32_e64 v27, s[36:37], 0, v27, s[36:37]
	flat_load_dwordx2 v[26:27], v[26:27] offset:1536
.LBB2014_53:
	s_or_b64 exec, exec, s[38:39]
	v_mov_b32_e32 v30, 0
	v_mov_b32_e32 v32, 0
	v_mov_b32_e32 v33, 0
	s_and_saveexec_b64 s[36:37], s[34:35]
	s_cbranch_execz .LBB2014_55
; %bb.54:
	v_lshlrev_b32_e32 v31, 3, v0
	v_mov_b32_e32 v33, s55
	v_add_co_u32_e64 v32, s[34:35], s7, v31
	v_addc_co_u32_e64 v33, s[34:35], 0, v33, s[34:35]
	flat_load_dwordx2 v[32:33], v[32:33] offset:2048
.LBB2014_55:
	;; [unrolled: 24-line block ×3, first 2 shown]
	s_or_b64 exec, exec, s[30:31]
	v_mov_b32_e32 v35, 0
	s_and_saveexec_b64 s[28:29], s[26:27]
	s_cbranch_execz .LBB2014_61
; %bb.60:
	v_lshlrev_b32_e32 v34, 3, v0
	v_mov_b32_e32 v35, s55
	v_add_co_u32_e64 v34, s[26:27], s7, v34
	v_addc_co_u32_e64 v35, s[26:27], 0, v35, s[26:27]
	flat_load_dwordx2 v[34:35], v[34:35] offset:3584
.LBB2014_61:
	s_or_b64 exec, exec, s[28:29]
	v_mov_b32_e32 v38, 0
	v_mov_b32_e32 v40, 0
	v_mov_b32_e32 v41, 0
	s_and_saveexec_b64 s[26:27], s[24:25]
	s_cbranch_execz .LBB2014_63
; %bb.62:
	v_lshlrev_b32_e32 v39, 3, v39
	v_mov_b32_e32 v41, s55
	v_add_co_u32_e64 v40, s[24:25], s7, v39
	v_addc_co_u32_e64 v41, s[24:25], 0, v41, s[24:25]
	flat_load_dwordx2 v[40:41], v[40:41]
.LBB2014_63:
	s_or_b64 exec, exec, s[26:27]
	v_mov_b32_e32 v39, 0
	s_and_saveexec_b64 s[24:25], s[22:23]
	s_cbranch_execz .LBB2014_65
; %bb.64:
	v_lshlrev_b32_e32 v38, 3, v42
	v_mov_b32_e32 v39, s55
	v_add_co_u32_e64 v38, s[22:23], s7, v38
	v_addc_co_u32_e64 v39, s[22:23], 0, v39, s[22:23]
	flat_load_dwordx2 v[38:39], v[38:39]
.LBB2014_65:
	s_or_b64 exec, exec, s[24:25]
	v_mov_b32_e32 v42, 0
	v_mov_b32_e32 v44, 0
	v_mov_b32_e32 v45, 0
	s_and_saveexec_b64 s[22:23], s[20:21]
	s_cbranch_execz .LBB2014_67
; %bb.66:
	v_lshlrev_b32_e32 v43, 3, v43
	v_mov_b32_e32 v45, s55
	v_add_co_u32_e64 v44, s[20:21], s7, v43
	v_addc_co_u32_e64 v45, s[20:21], 0, v45, s[20:21]
	flat_load_dwordx2 v[44:45], v[44:45]
.LBB2014_67:
	s_or_b64 exec, exec, s[22:23]
	v_mov_b32_e32 v43, 0
	s_and_saveexec_b64 s[20:21], s[18:19]
	s_cbranch_execz .LBB2014_69
; %bb.68:
	v_lshlrev_b32_e32 v42, 3, v46
	v_mov_b32_e32 v43, s55
	v_add_co_u32_e64 v42, s[18:19], s7, v42
	v_addc_co_u32_e64 v43, s[18:19], 0, v43, s[18:19]
	flat_load_dwordx2 v[42:43], v[42:43]
.LBB2014_69:
	;; [unrolled: 24-line block ×6, first 2 shown]
	s_or_b64 exec, exec, s[4:5]
	v_mul_u32_u24_e32 v78, 21, v0
	v_mov_b32_e32 v64, 0
	v_mov_b32_e32 v62, 0
	;; [unrolled: 1-line block ×3, first 2 shown]
	s_and_saveexec_b64 s[2:3], vcc
	s_cbranch_execz .LBB2014_87
; %bb.86:
	v_lshlrev_b32_e32 v62, 3, v65
	v_mov_b32_e32 v63, s55
	v_add_co_u32_e32 v62, vcc, s7, v62
	v_addc_co_u32_e32 v63, vcc, 0, v63, vcc
	flat_load_dwordx2 v[62:63], v[62:63]
.LBB2014_87:
	s_or_b64 exec, exec, s[2:3]
	v_lshl_add_u32 v80, v0, 2, v66
	s_waitcnt vmcnt(0) lgkmcnt(0)
	ds_write2st64_b64 v80, v[4:5], v[2:3] offset1:1
	ds_write2st64_b64 v80, v[28:29], v[26:27] offset0:2 offset1:3
	ds_write2st64_b64 v80, v[32:33], v[30:31] offset0:4 offset1:5
	ds_write2st64_b64 v80, v[36:37], v[34:35] offset0:6 offset1:7
	ds_write2st64_b64 v80, v[40:41], v[38:39] offset0:8 offset1:9
	ds_write2st64_b64 v80, v[44:45], v[42:43] offset0:10 offset1:11
	ds_write2st64_b64 v80, v[48:49], v[46:47] offset0:12 offset1:13
	ds_write2st64_b64 v80, v[52:53], v[50:51] offset0:14 offset1:15
	ds_write2st64_b64 v80, v[56:57], v[54:55] offset0:16 offset1:17
	ds_write2st64_b64 v80, v[60:61], v[58:59] offset0:18 offset1:19
	ds_write_b64 v80, v[62:63] offset:10240
	v_cmp_gt_u32_e32 vcc, s70, v78
	s_mov_b64 s[2:3], 0
	s_mov_b32 s72, 0
	v_pk_mov_b32 v[40:41], 0, 0
	s_mov_b64 s[10:11], 0
	v_mov_b32_e32 v50, 0
	v_mov_b32_e32 v42, 0
	;; [unrolled: 1-line block ×57, first 2 shown]
	s_waitcnt lgkmcnt(0)
	; wave barrier
	s_waitcnt lgkmcnt(0)
                                        ; implicit-def: $sgpr8_sgpr9
                                        ; implicit-def: $vgpr2_vgpr3
	s_and_saveexec_b64 s[4:5], vcc
	s_cbranch_execz .LBB2014_129
; %bb.88:
	s_movk_i32 s8, 0xa0
	v_mad_u32_u24 v2, v0, s8, v80
	ds_read_b64 v[2:3], v2
	v_add_u32_e32 v4, 1, v78
	v_mov_b32_e32 v5, s63
	v_mov_b32_e32 v26, s62
	v_cmp_ne_u32_e32 vcc, v79, v24
	s_waitcnt lgkmcnt(0)
	v_cndmask_b32_e32 v41, v3, v5, vcc
	v_cndmask_b32_e32 v40, v2, v26, vcc
	v_cndmask_b32_e64 v64, 0, 1, vcc
	v_cmp_gt_u32_e32 vcc, s70, v4
	v_mov_b32_e32 v50, 0
	v_mov_b32_e32 v42, 0
	;; [unrolled: 1-line block ×57, first 2 shown]
                                        ; implicit-def: $sgpr12_sgpr13
                                        ; implicit-def: $vgpr2_vgpr3
	s_and_saveexec_b64 s[8:9], vcc
	s_cbranch_execz .LBB2014_128
; %bb.89:
	v_mul_u32_u24_e32 v2, 0xa0, v0
	v_add_u32_e32 v26, v80, v2
	ds_read2_b64 v[2:5], v26 offset0:1 offset1:2
	v_cmp_ne_u32_e32 vcc, v24, v25
	v_mov_b32_e32 v24, s62
	v_add_u32_e32 v27, 2, v78
	v_cndmask_b32_e64 v47, 0, 1, vcc
	s_waitcnt lgkmcnt(0)
	v_cndmask_b32_e32 v44, v2, v24, vcc
	v_mov_b32_e32 v2, s63
	v_cndmask_b32_e32 v43, v3, v2, vcc
	v_cmp_gt_u32_e32 vcc, s70, v27
	s_mov_b64 s[14:15], 0
	v_mov_b32_e32 v50, 0
	v_mov_b32_e32 v42, 0
	;; [unrolled: 1-line block ×54, first 2 shown]
                                        ; implicit-def: $sgpr12_sgpr13
                                        ; implicit-def: $vgpr2_vgpr3
	s_and_saveexec_b64 s[10:11], vcc
	s_cbranch_execz .LBB2014_127
; %bb.90:
	v_cmp_ne_u32_e32 vcc, v25, v22
	v_mov_b32_e32 v3, s62
	v_add_u32_e32 v2, 3, v78
	v_cndmask_b32_e32 v46, v4, v3, vcc
	v_mov_b32_e32 v3, s63
	v_cndmask_b32_e64 v51, 0, 1, vcc
	v_cndmask_b32_e32 v45, v5, v3, vcc
	v_cmp_gt_u32_e32 vcc, s70, v2
	v_mov_b32_e32 v50, 0
	v_mov_b32_e32 v42, 0
	;; [unrolled: 1-line block ×51, first 2 shown]
                                        ; implicit-def: $sgpr16_sgpr17
                                        ; implicit-def: $vgpr2_vgpr3
	s_and_saveexec_b64 s[12:13], vcc
	s_cbranch_execz .LBB2014_126
; %bb.91:
	ds_read2_b64 v[2:5], v26 offset0:3 offset1:4
	v_cmp_ne_u32_e32 vcc, v22, v23
	v_mov_b32_e32 v22, s62
	v_add_u32_e32 v24, 4, v78
	v_cndmask_b32_e64 v55, 0, 1, vcc
	s_waitcnt lgkmcnt(0)
	v_cndmask_b32_e32 v49, v2, v22, vcc
	v_mov_b32_e32 v2, s63
	v_cndmask_b32_e32 v48, v3, v2, vcc
	v_cmp_gt_u32_e32 vcc, s70, v24
	s_mov_b64 s[18:19], 0
	v_mov_b32_e32 v50, 0
	v_mov_b32_e32 v42, 0
	;; [unrolled: 1-line block ×48, first 2 shown]
                                        ; implicit-def: $sgpr16_sgpr17
                                        ; implicit-def: $vgpr2_vgpr3
	s_and_saveexec_b64 s[14:15], vcc
	s_cbranch_execz .LBB2014_125
; %bb.92:
	v_cmp_ne_u32_e32 vcc, v23, v20
	v_mov_b32_e32 v3, s62
	v_add_u32_e32 v2, 5, v78
	v_cndmask_b32_e32 v53, v4, v3, vcc
	v_mov_b32_e32 v3, s63
	v_cndmask_b32_e64 v59, 0, 1, vcc
	v_cndmask_b32_e32 v52, v5, v3, vcc
	v_cmp_gt_u32_e32 vcc, s70, v2
	v_mov_b32_e32 v50, 0
	v_mov_b32_e32 v42, 0
	;; [unrolled: 1-line block ×45, first 2 shown]
                                        ; implicit-def: $sgpr20_sgpr21
                                        ; implicit-def: $vgpr2_vgpr3
	s_and_saveexec_b64 s[16:17], vcc
	s_cbranch_execz .LBB2014_124
; %bb.93:
	ds_read2_b64 v[2:5], v26 offset0:5 offset1:6
	v_cmp_ne_u32_e32 vcc, v20, v21
	v_mov_b32_e32 v20, s62
	v_add_u32_e32 v22, 6, v78
	v_cndmask_b32_e64 v62, 0, 1, vcc
	s_waitcnt lgkmcnt(0)
	v_cndmask_b32_e32 v56, v2, v20, vcc
	v_mov_b32_e32 v2, s63
	v_cndmask_b32_e32 v54, v3, v2, vcc
	v_cmp_gt_u32_e32 vcc, s70, v22
	s_mov_b64 s[22:23], 0
	v_mov_b32_e32 v50, 0
	v_mov_b32_e32 v42, 0
	;; [unrolled: 1-line block ×42, first 2 shown]
                                        ; implicit-def: $sgpr20_sgpr21
                                        ; implicit-def: $vgpr2_vgpr3
	s_and_saveexec_b64 s[18:19], vcc
	s_cbranch_execz .LBB2014_123
; %bb.94:
	v_cmp_ne_u32_e32 vcc, v21, v18
	v_mov_b32_e32 v3, s62
	v_add_u32_e32 v2, 7, v78
	v_cndmask_b32_e32 v58, v4, v3, vcc
	v_mov_b32_e32 v3, s63
	v_cndmask_b32_e64 v66, 0, 1, vcc
	v_cndmask_b32_e32 v57, v5, v3, vcc
	v_cmp_gt_u32_e32 vcc, s70, v2
	v_mov_b32_e32 v50, 0
	v_mov_b32_e32 v42, 0
	;; [unrolled: 1-line block ×39, first 2 shown]
                                        ; implicit-def: $sgpr24_sgpr25
                                        ; implicit-def: $vgpr2_vgpr3
	s_and_saveexec_b64 s[20:21], vcc
	s_cbranch_execz .LBB2014_122
; %bb.95:
	ds_read2_b64 v[2:5], v26 offset0:7 offset1:8
	v_cmp_ne_u32_e32 vcc, v18, v19
	v_mov_b32_e32 v18, s62
	v_add_u32_e32 v20, 8, v78
	v_cndmask_b32_e64 v69, 0, 1, vcc
	s_waitcnt lgkmcnt(0)
	v_cndmask_b32_e32 v61, v2, v18, vcc
	v_mov_b32_e32 v2, s63
	v_cndmask_b32_e32 v60, v3, v2, vcc
	v_cmp_gt_u32_e32 vcc, s70, v20
	s_mov_b64 s[26:27], 0
	v_mov_b32_e32 v50, 0
	v_mov_b32_e32 v42, 0
	;; [unrolled: 1-line block ×36, first 2 shown]
                                        ; implicit-def: $sgpr24_sgpr25
                                        ; implicit-def: $vgpr2_vgpr3
	s_and_saveexec_b64 s[22:23], vcc
	s_cbranch_execz .LBB2014_121
; %bb.96:
	v_cmp_ne_u32_e32 vcc, v19, v16
	v_mov_b32_e32 v3, s62
	v_add_u32_e32 v2, 9, v78
	v_cndmask_b32_e32 v65, v4, v3, vcc
	v_mov_b32_e32 v3, s63
	v_cndmask_b32_e64 v74, 0, 1, vcc
	v_cndmask_b32_e32 v63, v5, v3, vcc
	v_cmp_gt_u32_e32 vcc, s70, v2
	v_mov_b32_e32 v50, 0
	v_mov_b32_e32 v42, 0
	;; [unrolled: 1-line block ×33, first 2 shown]
                                        ; implicit-def: $sgpr28_sgpr29
                                        ; implicit-def: $vgpr2_vgpr3
	s_and_saveexec_b64 s[24:25], vcc
	s_cbranch_execz .LBB2014_120
; %bb.97:
	ds_read2_b64 v[2:5], v26 offset0:9 offset1:10
	v_cmp_ne_u32_e32 vcc, v16, v17
	v_mov_b32_e32 v16, s62
	v_add_u32_e32 v18, 10, v78
	v_cndmask_b32_e64 v77, 0, 1, vcc
	s_waitcnt lgkmcnt(0)
	v_cndmask_b32_e32 v68, v2, v16, vcc
	v_mov_b32_e32 v2, s63
	v_cndmask_b32_e32 v67, v3, v2, vcc
	v_cmp_gt_u32_e32 vcc, s70, v18
	s_mov_b64 s[30:31], 0
	v_mov_b32_e32 v50, 0
	v_mov_b32_e32 v42, 0
	;; [unrolled: 1-line block ×30, first 2 shown]
                                        ; implicit-def: $sgpr28_sgpr29
                                        ; implicit-def: $vgpr2_vgpr3
	s_and_saveexec_b64 s[26:27], vcc
	s_cbranch_execz .LBB2014_119
; %bb.98:
	v_cmp_ne_u32_e32 vcc, v17, v14
	v_mov_b32_e32 v3, s62
	v_add_u32_e32 v2, 11, v78
	v_cndmask_b32_e32 v71, v4, v3, vcc
	v_mov_b32_e32 v3, s63
	v_cndmask_b32_e64 v102, 0, 1, vcc
	v_cndmask_b32_e32 v70, v5, v3, vcc
	v_cmp_gt_u32_e32 vcc, s70, v2
	v_mov_b32_e32 v50, 0
	v_mov_b32_e32 v42, 0
	;; [unrolled: 1-line block ×27, first 2 shown]
                                        ; implicit-def: $sgpr34_sgpr35
                                        ; implicit-def: $vgpr2_vgpr3
	s_and_saveexec_b64 s[28:29], vcc
	s_cbranch_execz .LBB2014_118
; %bb.99:
	ds_read2_b64 v[2:5], v26 offset0:11 offset1:12
	v_cmp_ne_u32_e32 vcc, v14, v15
	v_mov_b32_e32 v14, s62
	v_add_u32_e32 v16, 12, v78
	v_cndmask_b32_e64 v107, 0, 1, vcc
	s_waitcnt lgkmcnt(0)
	v_cndmask_b32_e32 v73, v2, v14, vcc
	v_mov_b32_e32 v2, s63
	v_cndmask_b32_e32 v72, v3, v2, vcc
	v_cmp_gt_u32_e32 vcc, s70, v16
	s_mov_b64 s[36:37], 0
	v_mov_b32_e32 v50, 0
	v_mov_b32_e32 v42, 0
	;; [unrolled: 1-line block ×24, first 2 shown]
                                        ; implicit-def: $sgpr34_sgpr35
                                        ; implicit-def: $vgpr2_vgpr3
	s_and_saveexec_b64 s[30:31], vcc
	s_cbranch_execz .LBB2014_117
; %bb.100:
	v_cmp_ne_u32_e32 vcc, v15, v12
	v_mov_b32_e32 v3, s62
	v_add_u32_e32 v2, 13, v78
	v_cndmask_b32_e32 v76, v4, v3, vcc
	v_mov_b32_e32 v3, s63
	v_cndmask_b32_e64 v113, 0, 1, vcc
	v_cndmask_b32_e32 v75, v5, v3, vcc
	v_cmp_gt_u32_e32 vcc, s70, v2
	v_mov_b32_e32 v50, 0
	v_mov_b32_e32 v42, 0
	;; [unrolled: 1-line block ×21, first 2 shown]
                                        ; implicit-def: $sgpr38_sgpr39
                                        ; implicit-def: $vgpr2_vgpr3
	s_and_saveexec_b64 s[34:35], vcc
	s_cbranch_execz .LBB2014_116
; %bb.101:
	ds_read2_b64 v[2:5], v26 offset0:13 offset1:14
	v_cmp_ne_u32_e32 vcc, v12, v13
	v_mov_b32_e32 v12, s62
	v_add_u32_e32 v14, 14, v78
	v_cndmask_b32_e64 v114, 0, 1, vcc
	s_waitcnt lgkmcnt(0)
	v_cndmask_b32_e32 v99, v2, v12, vcc
	v_mov_b32_e32 v2, s63
	v_cndmask_b32_e32 v98, v3, v2, vcc
	v_cmp_gt_u32_e32 vcc, s70, v14
	s_mov_b64 s[40:41], 0
	v_mov_b32_e32 v50, 0
	v_mov_b32_e32 v42, 0
	;; [unrolled: 1-line block ×18, first 2 shown]
                                        ; implicit-def: $sgpr38_sgpr39
                                        ; implicit-def: $vgpr2_vgpr3
	s_and_saveexec_b64 s[36:37], vcc
	s_cbranch_execz .LBB2014_115
; %bb.102:
	v_cmp_ne_u32_e32 vcc, v13, v10
	v_mov_b32_e32 v3, s62
	v_add_u32_e32 v2, 15, v78
	v_cndmask_b32_e32 v101, v4, v3, vcc
	v_mov_b32_e32 v3, s63
	v_cndmask_b32_e64 v115, 0, 1, vcc
	v_cndmask_b32_e32 v100, v5, v3, vcc
	v_cmp_gt_u32_e32 vcc, s70, v2
	v_mov_b32_e32 v50, 0
	v_mov_b32_e32 v42, 0
	;; [unrolled: 1-line block ×15, first 2 shown]
                                        ; implicit-def: $sgpr42_sgpr43
                                        ; implicit-def: $vgpr2_vgpr3
	s_and_saveexec_b64 s[38:39], vcc
	s_cbranch_execz .LBB2014_114
; %bb.103:
	ds_read2_b64 v[2:5], v26 offset0:15 offset1:16
	v_cmp_ne_u32_e32 vcc, v10, v11
	v_mov_b32_e32 v10, s62
	v_add_u32_e32 v12, 16, v78
	v_cndmask_b32_e64 v116, 0, 1, vcc
	s_waitcnt lgkmcnt(0)
	v_cndmask_b32_e32 v105, v2, v10, vcc
	v_mov_b32_e32 v2, s63
	v_cndmask_b32_e32 v104, v3, v2, vcc
	v_cmp_gt_u32_e32 vcc, s70, v12
	s_mov_b64 s[44:45], 0
	v_mov_b32_e32 v50, 0
	v_mov_b32_e32 v42, 0
	;; [unrolled: 1-line block ×12, first 2 shown]
                                        ; implicit-def: $sgpr42_sgpr43
                                        ; implicit-def: $vgpr2_vgpr3
	s_and_saveexec_b64 s[40:41], vcc
	s_cbranch_execz .LBB2014_113
; %bb.104:
	v_cmp_ne_u32_e32 vcc, v11, v8
	v_mov_b32_e32 v3, s62
	v_add_u32_e32 v2, 17, v78
	v_cndmask_b32_e32 v108, v4, v3, vcc
	v_mov_b32_e32 v3, s63
	v_cndmask_b32_e64 v117, 0, 1, vcc
	v_cndmask_b32_e32 v106, v5, v3, vcc
	v_cmp_gt_u32_e32 vcc, s70, v2
	v_mov_b32_e32 v50, 0
	v_mov_b32_e32 v42, 0
	v_mov_b32_e32 v103, 0
	v_mov_b32_e32 v119, 0
	v_mov_b32_e32 v111, 0
	v_mov_b32_e32 v112, 0
	v_mov_b32_e32 v118, 0
	v_mov_b32_e32 v109, 0
	v_mov_b32_e32 v110, 0
                                        ; implicit-def: $sgpr46_sgpr47
                                        ; implicit-def: $vgpr2_vgpr3
	s_and_saveexec_b64 s[42:43], vcc
	s_cbranch_execz .LBB2014_112
; %bb.105:
	ds_read2_b64 v[2:5], v26 offset0:17 offset1:18
	v_cmp_ne_u32_e32 vcc, v8, v9
	v_mov_b32_e32 v8, s62
	v_add_u32_e32 v10, 18, v78
	v_cndmask_b32_e64 v118, 0, 1, vcc
	s_waitcnt lgkmcnt(0)
	v_cndmask_b32_e32 v110, v2, v8, vcc
	v_mov_b32_e32 v2, s63
	v_cndmask_b32_e32 v109, v3, v2, vcc
	v_cmp_gt_u32_e32 vcc, s70, v10
	s_mov_b64 s[56:57], 0
	v_mov_b32_e32 v50, 0
	v_mov_b32_e32 v42, 0
	;; [unrolled: 1-line block ×6, first 2 shown]
                                        ; implicit-def: $sgpr46_sgpr47
                                        ; implicit-def: $vgpr2_vgpr3
	s_and_saveexec_b64 s[44:45], vcc
	s_cbranch_execz .LBB2014_111
; %bb.106:
	v_cmp_ne_u32_e32 vcc, v9, v6
	v_mov_b32_e32 v3, s62
	v_add_u32_e32 v2, 19, v78
	v_cndmask_b32_e32 v112, v4, v3, vcc
	v_mov_b32_e32 v3, s63
	v_cndmask_b32_e64 v119, 0, 1, vcc
	v_cndmask_b32_e32 v111, v5, v3, vcc
	v_cmp_gt_u32_e32 vcc, s70, v2
	v_mov_b32_e32 v50, 0
	v_mov_b32_e32 v42, 0
	v_mov_b32_e32 v103, 0
                                        ; implicit-def: $sgpr68_sgpr69
                                        ; implicit-def: $vgpr2_vgpr3
	s_and_saveexec_b64 s[46:47], vcc
	s_cbranch_execz .LBB2014_110
; %bb.107:
	ds_read2_b64 v[2:5], v26 offset0:19 offset1:20
	v_cmp_ne_u32_e32 vcc, v6, v7
	v_mov_b32_e32 v6, s62
	v_add_u32_e32 v8, 20, v78
	v_cndmask_b32_e64 v50, 0, 1, vcc
	s_waitcnt lgkmcnt(0)
	v_cndmask_b32_e32 v103, v2, v6, vcc
	v_mov_b32_e32 v2, s63
	v_cndmask_b32_e32 v42, v3, v2, vcc
	v_cmp_gt_u32_e32 vcc, s70, v8
                                        ; implicit-def: $sgpr68_sgpr69
                                        ; implicit-def: $vgpr2_vgpr3
	s_and_saveexec_b64 s[70:71], vcc
	s_xor_b64 s[70:71], exec, s[70:71]
; %bb.108:
	v_mov_b32_e32 v2, s63
	v_cmp_ne_u32_e32 vcc, v7, v1
	v_mov_b32_e32 v1, s62
	s_mov_b64 s[56:57], exec
	v_cndmask_b32_e32 v3, v5, v2, vcc
	v_cndmask_b32_e32 v2, v4, v1, vcc
	s_and_b64 s[68:69], vcc, exec
; %bb.109:
	s_or_b64 exec, exec, s[70:71]
	s_and_b64 s[68:69], s[68:69], exec
	s_and_b64 s[56:57], s[56:57], exec
.LBB2014_110:
	s_or_b64 exec, exec, s[46:47]
	s_and_b64 s[46:47], s[68:69], exec
	s_and_b64 s[56:57], s[56:57], exec
.LBB2014_111:
	s_or_b64 exec, exec, s[44:45]
	s_and_b64 s[46:47], s[46:47], exec
	s_and_b64 s[44:45], s[56:57], exec
.LBB2014_112:
	s_or_b64 exec, exec, s[42:43]
	s_and_b64 s[42:43], s[46:47], exec
	s_and_b64 s[44:45], s[44:45], exec
.LBB2014_113:
	s_or_b64 exec, exec, s[40:41]
	s_and_b64 s[42:43], s[42:43], exec
	s_and_b64 s[40:41], s[44:45], exec
.LBB2014_114:
	s_or_b64 exec, exec, s[38:39]
	s_and_b64 s[38:39], s[42:43], exec
	s_and_b64 s[40:41], s[40:41], exec
.LBB2014_115:
	s_or_b64 exec, exec, s[36:37]
	s_and_b64 s[38:39], s[38:39], exec
	s_and_b64 s[36:37], s[40:41], exec
.LBB2014_116:
	s_or_b64 exec, exec, s[34:35]
	s_and_b64 s[34:35], s[38:39], exec
	s_and_b64 s[36:37], s[36:37], exec
.LBB2014_117:
	s_or_b64 exec, exec, s[30:31]
	s_and_b64 s[34:35], s[34:35], exec
	s_and_b64 s[30:31], s[36:37], exec
.LBB2014_118:
	s_or_b64 exec, exec, s[28:29]
	s_and_b64 s[28:29], s[34:35], exec
	s_and_b64 s[30:31], s[30:31], exec
.LBB2014_119:
	s_or_b64 exec, exec, s[26:27]
	s_and_b64 s[28:29], s[28:29], exec
	s_and_b64 s[26:27], s[30:31], exec
.LBB2014_120:
	s_or_b64 exec, exec, s[24:25]
	s_and_b64 s[24:25], s[28:29], exec
	s_and_b64 s[26:27], s[26:27], exec
.LBB2014_121:
	s_or_b64 exec, exec, s[22:23]
	s_and_b64 s[24:25], s[24:25], exec
	s_and_b64 s[22:23], s[26:27], exec
.LBB2014_122:
	s_or_b64 exec, exec, s[20:21]
	s_and_b64 s[20:21], s[24:25], exec
	s_and_b64 s[22:23], s[22:23], exec
.LBB2014_123:
	s_or_b64 exec, exec, s[18:19]
	s_and_b64 s[20:21], s[20:21], exec
	s_and_b64 s[18:19], s[22:23], exec
.LBB2014_124:
	s_or_b64 exec, exec, s[16:17]
	s_and_b64 s[16:17], s[20:21], exec
	s_and_b64 s[18:19], s[18:19], exec
.LBB2014_125:
	s_or_b64 exec, exec, s[14:15]
	s_and_b64 s[16:17], s[16:17], exec
	s_and_b64 s[14:15], s[18:19], exec
.LBB2014_126:
	s_or_b64 exec, exec, s[12:13]
	s_and_b64 s[12:13], s[16:17], exec
	s_and_b64 s[14:15], s[14:15], exec
.LBB2014_127:
	s_or_b64 exec, exec, s[10:11]
	s_and_b64 s[12:13], s[12:13], exec
	s_and_b64 s[10:11], s[14:15], exec
.LBB2014_128:
	s_or_b64 exec, exec, s[8:9]
	s_and_b64 s[8:9], s[12:13], exec
	s_and_b64 s[10:11], s[10:11], exec
.LBB2014_129:
	s_or_b64 exec, exec, s[4:5]
	s_mov_b32 s4, 0
	s_and_b64 vcc, exec, s[2:3]
	s_cbranch_vccnz .LBB2014_131
	s_branch .LBB2014_134
.LBB2014_130:
	s_mov_b64 s[10:11], 0
                                        ; kill: def $vgpr1 killed $sgpr0 killed $exec
                                        ; implicit-def: $sgpr8_sgpr9
                                        ; implicit-def: $vgpr64
                                        ; implicit-def: $vgpr2_vgpr3
                                        ; implicit-def: $vgpr50
                                        ; implicit-def: $vgpr42
                                        ; implicit-def: $vgpr103
                                        ; implicit-def: $vgpr119
                                        ; implicit-def: $vgpr111
                                        ; implicit-def: $vgpr112
                                        ; implicit-def: $vgpr118
                                        ; implicit-def: $vgpr109
                                        ; implicit-def: $vgpr110
                                        ; implicit-def: $vgpr117
                                        ; implicit-def: $vgpr106
                                        ; implicit-def: $vgpr108
                                        ; implicit-def: $vgpr116
                                        ; implicit-def: $vgpr104
                                        ; implicit-def: $vgpr105
                                        ; implicit-def: $vgpr115
                                        ; implicit-def: $vgpr100
                                        ; implicit-def: $vgpr101
                                        ; implicit-def: $vgpr114
                                        ; implicit-def: $vgpr98
                                        ; implicit-def: $vgpr99
                                        ; implicit-def: $vgpr113
                                        ; implicit-def: $vgpr75
                                        ; implicit-def: $vgpr76
                                        ; implicit-def: $vgpr107
                                        ; implicit-def: $vgpr72
                                        ; implicit-def: $vgpr73
                                        ; implicit-def: $vgpr102
                                        ; implicit-def: $vgpr70
                                        ; implicit-def: $vgpr71
                                        ; implicit-def: $vgpr77
                                        ; implicit-def: $vgpr67
                                        ; implicit-def: $vgpr68
                                        ; implicit-def: $vgpr74
                                        ; implicit-def: $vgpr63
                                        ; implicit-def: $vgpr65
                                        ; implicit-def: $vgpr69
                                        ; implicit-def: $vgpr60
                                        ; implicit-def: $vgpr61
                                        ; implicit-def: $vgpr66
                                        ; implicit-def: $vgpr57
                                        ; implicit-def: $vgpr58
                                        ; implicit-def: $vgpr62
                                        ; implicit-def: $vgpr54
                                        ; implicit-def: $vgpr56
                                        ; implicit-def: $vgpr59
                                        ; implicit-def: $vgpr52
                                        ; implicit-def: $vgpr53
                                        ; implicit-def: $vgpr55
                                        ; implicit-def: $vgpr48
                                        ; implicit-def: $vgpr49
                                        ; implicit-def: $vgpr51
                                        ; implicit-def: $vgpr45
                                        ; implicit-def: $vgpr46
                                        ; implicit-def: $vgpr47
                                        ; implicit-def: $vgpr43
                                        ; implicit-def: $vgpr44
                                        ; implicit-def: $vgpr40_vgpr41
                                        ; implicit-def: $sgpr4
                                        ; implicit-def: $sgpr72
	s_and_b64 vcc, exec, s[2:3]
	s_cbranch_vccz .LBB2014_134
.LBB2014_131:
	v_lshlrev_b32_e32 v24, 2, v0
	v_mov_b32_e32 v1, s67
	v_add_co_u32_e32 v2, vcc, s66, v24
	v_addc_co_u32_e32 v3, vcc, 0, v1, vcc
	s_movk_i32 s4, 0x1000
	flat_load_dword v1, v[2:3]
	flat_load_dword v4, v[2:3] offset:256
	flat_load_dword v5, v[2:3] offset:512
	flat_load_dword v6, v[2:3] offset:768
	flat_load_dword v7, v[2:3] offset:1024
	flat_load_dword v8, v[2:3] offset:1280
	flat_load_dword v9, v[2:3] offset:1536
	flat_load_dword v10, v[2:3] offset:1792
	flat_load_dword v11, v[2:3] offset:2048
	flat_load_dword v12, v[2:3] offset:2304
	flat_load_dword v13, v[2:3] offset:2560
	flat_load_dword v14, v[2:3] offset:2816
	flat_load_dword v15, v[2:3] offset:3072
	flat_load_dword v16, v[2:3] offset:3328
	flat_load_dword v17, v[2:3] offset:3584
	flat_load_dword v18, v[2:3] offset:3840
	v_add_co_u32_e32 v2, vcc, s4, v2
	v_addc_co_u32_e32 v3, vcc, 0, v3, vcc
	flat_load_dword v19, v[2:3]
	flat_load_dword v20, v[2:3] offset:256
	flat_load_dword v21, v[2:3] offset:512
	;; [unrolled: 1-line block ×4, first 2 shown]
	v_mov_b32_e32 v2, s66
	v_mov_b32_e32 v3, s67
	v_add_co_u32_e32 v2, vcc, 0x1000, v2
	v_addc_co_u32_e32 v3, vcc, 0, v3, vcc
	s_movk_i32 s2, 0x50
	v_cmp_ne_u32_e32 vcc, 63, v0
	s_waitcnt vmcnt(0) lgkmcnt(0)
	ds_write2st64_b32 v24, v1, v4 offset1:1
	ds_write2st64_b32 v24, v5, v6 offset0:2 offset1:3
	ds_write2st64_b32 v24, v7, v8 offset0:4 offset1:5
	;; [unrolled: 1-line block ×9, first 2 shown]
	ds_write_b32 v24, v23 offset:5120
	s_waitcnt lgkmcnt(0)
	; wave barrier
	s_waitcnt lgkmcnt(0)
	flat_load_dword v1, v[2:3] offset:1280
	v_mad_u32_u24 v23, v0, s2, v24
	s_movk_i32 s2, 0xffb0
	ds_read_b32 v22, v23
	ds_read2_b32 v[4:5], v23 offset0:1 offset1:2
	ds_read2_b32 v[20:21], v23 offset0:3 offset1:4
	;; [unrolled: 1-line block ×10, first 2 shown]
	v_mad_i32_i24 v23, v0, s2, v23
	s_waitcnt lgkmcnt(0)
	ds_write_b32 v23, v22 offset:5632
	s_waitcnt lgkmcnt(0)
	; wave barrier
	s_waitcnt lgkmcnt(0)
	s_and_saveexec_b64 s[2:3], vcc
	s_cbranch_execz .LBB2014_133
; %bb.132:
	s_waitcnt vmcnt(0)
	ds_read_b32 v1, v24 offset:5636
.LBB2014_133:
	s_or_b64 exec, exec, s[2:3]
	v_lshlrev_b32_e32 v24, 3, v0
	v_mov_b32_e32 v25, s55
	v_add_co_u32_e32 v24, vcc, s7, v24
	v_addc_co_u32_e32 v25, vcc, 0, v25, vcc
	v_add_co_u32_e32 v42, vcc, s4, v24
	v_addc_co_u32_e32 v43, vcc, 0, v25, vcc
	s_movk_i32 s2, 0x2000
	s_waitcnt lgkmcnt(0)
	; wave barrier
	s_waitcnt lgkmcnt(0)
	flat_load_dwordx2 v[26:27], v[24:25]
	flat_load_dwordx2 v[28:29], v[24:25] offset:512
	flat_load_dwordx2 v[30:31], v[24:25] offset:1024
	flat_load_dwordx2 v[32:33], v[24:25] offset:1536
	flat_load_dwordx2 v[34:35], v[24:25] offset:2048
	flat_load_dwordx2 v[36:37], v[24:25] offset:2560
	flat_load_dwordx2 v[38:39], v[24:25] offset:3072
	flat_load_dwordx2 v[40:41], v[24:25] offset:3584
	v_add_co_u32_e32 v24, vcc, s2, v24
	v_addc_co_u32_e32 v25, vcc, 0, v25, vcc
	flat_load_dwordx2 v[44:45], v[42:43]
	flat_load_dwordx2 v[48:49], v[42:43] offset:512
	flat_load_dwordx2 v[52:53], v[42:43] offset:1024
	;; [unrolled: 1-line block ×7, first 2 shown]
	s_nop 0
	flat_load_dwordx2 v[42:43], v[24:25]
	flat_load_dwordx2 v[78:79], v[24:25] offset:512
	flat_load_dwordx2 v[80:81], v[24:25] offset:1024
	;; [unrolled: 1-line block ×4, first 2 shown]
	v_cmp_ne_u32_e64 s[38:39], v7, v2
	v_cmp_ne_u32_e64 s[40:41], v2, v3
	v_lshl_add_u32 v2, v0, 2, v23
	s_movk_i32 s7, 0xa0
	v_cmp_ne_u32_e64 s[2:3], v5, v20
	v_cmp_ne_u32_e64 s[4:5], v20, v21
	;; [unrolled: 1-line block ×16, first 2 shown]
	v_cmp_ne_u32_e32 vcc, v4, v5
	v_cmp_ne_u32_e64 s[42:43], v22, v4
	v_mov_b32_e32 v4, s62
	v_cndmask_b32_e64 v59, 0, 1, s[8:9]
	v_cndmask_b32_e64 v47, 0, 1, vcc
	v_cndmask_b32_e64 v51, 0, 1, s[2:3]
	v_cndmask_b32_e64 v55, 0, 1, s[4:5]
	;; [unrolled: 1-line block ×17, first 2 shown]
                                        ; implicit-def: $sgpr72
	s_waitcnt vmcnt(0) lgkmcnt(0)
	ds_write2st64_b64 v2, v[26:27], v[28:29] offset1:1
	ds_write2st64_b64 v2, v[30:31], v[32:33] offset0:2 offset1:3
	ds_write2st64_b64 v2, v[34:35], v[36:37] offset0:4 offset1:5
	;; [unrolled: 1-line block ×9, first 2 shown]
	ds_write_b64 v2, v[84:85] offset:10240
	v_mad_u32_u24 v2, v0, s7, v2
	s_waitcnt lgkmcnt(0)
	; wave barrier
	s_waitcnt lgkmcnt(0)
	ds_read2_b64 v[6:9], v2 offset1:1
	ds_read2_b64 v[10:13], v2 offset0:2 offset1:3
	ds_read2_b64 v[14:17], v2 offset0:4 offset1:5
	;; [unrolled: 1-line block ×9, first 2 shown]
	ds_read_b64 v[86:87], v2 offset:160
	v_mov_b32_e32 v2, s63
	s_waitcnt lgkmcnt(8)
	v_cndmask_b32_e64 v53, v14, v4, s[8:9]
	v_cndmask_b32_e64 v52, v15, v2, s[8:9]
	v_cmp_ne_u32_e64 s[8:9], v3, v1
	v_cndmask_b32_e64 v41, v7, v2, s[42:43]
	v_cndmask_b32_e64 v40, v6, v4, s[42:43]
	;; [unrolled: 1-line block ×3, first 2 shown]
	v_cndmask_b32_e32 v44, v8, v4, vcc
	v_cndmask_b32_e32 v43, v9, v2, vcc
	v_cndmask_b32_e64 v46, v10, v4, s[2:3]
	v_cndmask_b32_e64 v45, v11, v2, s[2:3]
	;; [unrolled: 1-line block ×6, first 2 shown]
	s_waitcnt lgkmcnt(7)
	v_cndmask_b32_e64 v58, v18, v4, s[12:13]
	v_cndmask_b32_e64 v57, v19, v2, s[12:13]
	v_cndmask_b32_e64 v61, v20, v4, s[14:15]
	v_cndmask_b32_e64 v60, v21, v2, s[14:15]
	s_waitcnt lgkmcnt(6)
	v_cndmask_b32_e64 v65, v24, v4, s[16:17]
	v_cndmask_b32_e64 v63, v25, v2, s[16:17]
	v_cndmask_b32_e64 v68, v26, v4, s[18:19]
	v_cndmask_b32_e64 v67, v27, v2, s[18:19]
	s_waitcnt lgkmcnt(5)
	v_cndmask_b32_e64 v71, v28, v4, s[20:21]
	v_cndmask_b32_e64 v70, v29, v2, s[20:21]
	v_cndmask_b32_e64 v73, v30, v4, s[22:23]
	v_cndmask_b32_e64 v72, v31, v2, s[22:23]
	s_waitcnt lgkmcnt(4)
	v_cndmask_b32_e64 v76, v32, v4, s[24:25]
	v_cndmask_b32_e64 v75, v33, v2, s[24:25]
	v_cndmask_b32_e64 v99, v34, v4, s[26:27]
	v_cndmask_b32_e64 v98, v35, v2, s[26:27]
	s_waitcnt lgkmcnt(3)
	v_cndmask_b32_e64 v101, v36, v4, s[28:29]
	v_cndmask_b32_e64 v100, v37, v2, s[28:29]
	v_cndmask_b32_e64 v105, v38, v4, s[30:31]
	v_cndmask_b32_e64 v104, v39, v2, s[30:31]
	s_waitcnt lgkmcnt(2)
	v_cndmask_b32_e64 v108, v78, v4, s[34:35]
	v_cndmask_b32_e64 v106, v79, v2, s[34:35]
	v_cndmask_b32_e64 v110, v80, v4, s[36:37]
	v_cndmask_b32_e64 v109, v81, v2, s[36:37]
	s_waitcnt lgkmcnt(1)
	v_cndmask_b32_e64 v112, v82, v4, s[38:39]
	v_cndmask_b32_e64 v111, v83, v2, s[38:39]
	v_cndmask_b32_e64 v103, v84, v4, s[40:41]
	v_cndmask_b32_e64 v42, v85, v2, s[40:41]
	s_waitcnt lgkmcnt(0)
	v_cndmask_b32_e64 v3, v87, v2, s[8:9]
	v_cndmask_b32_e64 v2, v86, v4, s[8:9]
	s_mov_b64 s[10:11], -1
                                        ; kill: def $vgpr1 killed $sgpr0 killed $exec
                                        ; implicit-def: $sgpr4
.LBB2014_134:
	v_mov_b32_e32 v121, s72
	v_mov_b32_e32 v122, s72
	;; [unrolled: 1-line block ×3, first 2 shown]
	s_and_saveexec_b64 s[2:3], s[10:11]
; %bb.135:
	v_cndmask_b32_e64 v120, 0, 1, s[8:9]
	v_mov_b32_e32 v121, v2
	v_mov_b32_e32 v122, v3
; %bb.136:
	s_or_b64 exec, exec, s[2:3]
	v_or_b32_e32 v1, v120, v50
	s_cmp_lg_u32 s6, 0
	v_or_b32_e32 v124, v1, v119
	v_mbcnt_lo_u32_b32 v123, -1, 0
	s_waitcnt lgkmcnt(0)
	; wave barrier
	s_waitcnt lgkmcnt(0)
	s_cbranch_scc0 .LBB2014_197
; %bb.137:
	v_mov_b32_e32 v1, 0
	v_cmp_eq_u16_sdwa s[2:3], v47, v1 src0_sel:BYTE_0 src1_sel:DWORD
	v_cndmask_b32_e64 v2, 0, v40, s[2:3]
	v_add_u32_e32 v2, v2, v44
	v_cndmask_b32_e64 v3, 0, v41, s[2:3]
	v_cmp_eq_u16_sdwa s[4:5], v51, v1 src0_sel:BYTE_0 src1_sel:DWORD
	v_add_u32_e32 v3, v3, v43
	v_cndmask_b32_e64 v2, 0, v2, s[4:5]
	v_add_u32_e32 v2, v2, v46
	v_cndmask_b32_e64 v3, 0, v3, s[4:5]
	v_cmp_eq_u16_sdwa s[44:45], v55, v1 src0_sel:BYTE_0 src1_sel:DWORD
	v_add_u32_e32 v3, v3, v45
	;; [unrolled: 5-line block ×18, first 2 shown]
	v_cndmask_b32_e64 v2, 0, v2, s[40:41]
	v_add_u32_e32 v2, v2, v103
	v_cndmask_b32_e64 v3, 0, v3, s[40:41]
	v_cmp_eq_u16_sdwa vcc, v120, v1 src0_sel:BYTE_0 src1_sel:DWORD
	v_add_u32_e32 v3, v3, v42
	v_cndmask_b32_e32 v1, 0, v2, vcc
	v_add_u32_e32 v2, v1, v121
	v_cndmask_b32_e32 v1, 0, v3, vcc
	v_add_u32_e32 v3, v1, v122
	v_or_b32_e32 v1, v124, v118
	v_or_b32_e32 v1, v1, v117
	;; [unrolled: 1-line block ×17, first 2 shown]
	v_and_b32_e32 v1, 1, v1
	v_cmp_eq_u32_e32 vcc, 1, v1
	v_mbcnt_hi_u32_b32 v9, -1, v123
	v_cndmask_b32_e64 v1, v64, 1, vcc
	v_and_b32_e32 v4, 15, v9
	v_mov_b32_dpp v5, v2 row_shr:1 row_mask:0xf bank_mask:0xf
	v_mov_b32_dpp v6, v3 row_shr:1 row_mask:0xf bank_mask:0xf
	v_mov_b32_dpp v7, v1 row_shr:1 row_mask:0xf bank_mask:0xf
	v_cmp_ne_u32_e32 vcc, 0, v4
	s_and_saveexec_b64 s[42:43], vcc
; %bb.138:
	v_cmp_eq_u32_e32 vcc, 0, v1
	v_cndmask_b32_e32 v5, 0, v5, vcc
	v_add_u32_e32 v2, v5, v2
	v_cndmask_b32_e32 v5, 0, v6, vcc
	v_add_u32_e32 v3, v5, v3
	v_and_or_b32 v1, v7, 1, v1
; %bb.139:
	s_or_b64 exec, exec, s[42:43]
	v_mov_b32_dpp v6, v2 row_shr:2 row_mask:0xf bank_mask:0xf
	v_mov_b32_dpp v7, v3 row_shr:2 row_mask:0xf bank_mask:0xf
	v_mov_b32_dpp v5, v1 row_shr:2 row_mask:0xf bank_mask:0xf
	v_cmp_lt_u32_e32 vcc, 1, v4
	s_and_saveexec_b64 s[42:43], vcc
; %bb.140:
	v_add_u32_e32 v6, v6, v2
	v_add_u32_e32 v7, v7, v3
	v_cmp_eq_u32_e32 vcc, 0, v1
	v_or_b32_e32 v1, v5, v1
	v_cndmask_b32_e32 v2, v2, v6, vcc
	v_cndmask_b32_e32 v3, v3, v7, vcc
	v_and_b32_e32 v1, 1, v1
; %bb.141:
	s_or_b64 exec, exec, s[42:43]
	v_mov_b32_dpp v6, v2 row_shr:4 row_mask:0xf bank_mask:0xf
	v_mov_b32_dpp v7, v3 row_shr:4 row_mask:0xf bank_mask:0xf
	v_mov_b32_dpp v5, v1 row_shr:4 row_mask:0xf bank_mask:0xf
	v_cmp_lt_u32_e32 vcc, 3, v4
	s_and_saveexec_b64 s[42:43], vcc
; %bb.142:
	v_add_u32_e32 v6, v6, v2
	v_add_u32_e32 v7, v7, v3
	v_cmp_eq_u32_e32 vcc, 0, v1
	v_or_b32_e32 v1, v5, v1
	v_cndmask_b32_e32 v2, v2, v6, vcc
	v_cndmask_b32_e32 v3, v3, v7, vcc
	v_and_b32_e32 v1, 1, v1
	;; [unrolled: 15-line block ×3, first 2 shown]
; %bb.145:
	s_or_b64 exec, exec, s[42:43]
	v_and_b32_e32 v7, 16, v9
	v_mov_b32_dpp v5, v2 row_bcast:15 row_mask:0xf bank_mask:0xf
	v_mov_b32_dpp v6, v3 row_bcast:15 row_mask:0xf bank_mask:0xf
	;; [unrolled: 1-line block ×3, first 2 shown]
	v_cmp_ne_u32_e32 vcc, 0, v7
	s_and_saveexec_b64 s[42:43], vcc
; %bb.146:
	v_add_u32_e32 v5, v5, v2
	v_add_u32_e32 v6, v6, v3
	v_cmp_eq_u32_e32 vcc, 0, v1
	v_or_b32_e32 v1, v4, v1
	v_cndmask_b32_e32 v2, v2, v5, vcc
	v_cndmask_b32_e32 v3, v3, v6, vcc
	v_and_b32_e32 v1, 1, v1
; %bb.147:
	s_or_b64 exec, exec, s[42:43]
	v_mov_b32_dpp v5, v2 row_bcast:31 row_mask:0xf bank_mask:0xf
	v_mov_b32_dpp v6, v3 row_bcast:31 row_mask:0xf bank_mask:0xf
	v_mov_b32_dpp v4, v1 row_bcast:31 row_mask:0xf bank_mask:0xf
	v_cmp_lt_u32_e32 vcc, 31, v9
	s_and_saveexec_b64 s[42:43], vcc
; %bb.148:
	v_add_u32_e32 v5, v5, v2
	v_add_u32_e32 v6, v6, v3
	v_cmp_eq_u32_e32 vcc, 0, v1
	v_or_b32_e32 v1, v4, v1
	v_cndmask_b32_e32 v2, v2, v5, vcc
	v_cndmask_b32_e32 v3, v3, v6, vcc
	v_and_b32_e32 v1, 1, v1
; %bb.149:
	s_or_b64 exec, exec, s[42:43]
	v_cmp_eq_u32_e32 vcc, 63, v0
	s_and_saveexec_b64 s[42:43], vcc
	s_cbranch_execz .LBB2014_151
; %bb.150:
	v_mov_b32_e32 v4, 0
	ds_write_b64 v4, v[2:3]
	ds_write_b8 v4, v1 offset:8
.LBB2014_151:
	s_or_b64 exec, exec, s[42:43]
	v_add_u32_e32 v4, -1, v9
	v_and_b32_e32 v5, 64, v9
	v_cmp_lt_i32_e32 vcc, v4, v5
	v_cndmask_b32_e32 v4, v4, v9, vcc
	v_lshlrev_b32_e32 v4, 2, v4
	ds_bpermute_b32 v17, v4, v2
	ds_bpermute_b32 v19, v4, v3
	;; [unrolled: 1-line block ×3, first 2 shown]
	v_cmp_gt_u32_e32 vcc, 64, v0
	s_waitcnt lgkmcnt(0)
	; wave barrier
	s_waitcnt lgkmcnt(0)
	s_and_saveexec_b64 s[56:57], vcc
	s_cbranch_execz .LBB2014_196
; %bb.152:
	v_mov_b32_e32 v11, 0
	ds_read_b64 v[6:7], v11
	ds_read_b32 v23, v11 offset:8
	s_mov_b32 s67, 0
	v_cmp_eq_u32_e64 s[42:43], 0, v9
	s_waitcnt lgkmcnt(1)
	v_readfirstlane_b32 s7, v7
	s_and_saveexec_b64 s[46:47], s[42:43]
	s_cbranch_execz .LBB2014_154
; %bb.153:
	s_add_i32 s66, s6, 64
	s_lshl_b64 s[68:69], s[66:67], 4
	s_add_u32 s68, s52, s68
	s_waitcnt lgkmcnt(0)
	v_and_b32_e32 v3, 0xff00, v23
	s_addc_u32 s69, s53, s69
	v_and_b32_e32 v2, 0xff0000, v23
	v_or_b32_sdwa v3, v3, v23 dst_sel:DWORD dst_unused:UNUSED_PAD src0_sel:DWORD src1_sel:BYTE_0
	s_and_b32 s71, s7, 0xff000000
	s_mov_b32 s70, s67
	s_and_b32 s73, s7, 0xff0000
	s_mov_b32 s72, s67
	v_and_b32_e32 v1, 0xff000000, v23
	v_or_b32_e32 v2, v3, v2
	s_and_b32 s75, s7, 0xff00
	s_mov_b32 s74, s67
	s_and_b32 s55, s7, 0xff
	s_or_b64 s[66:67], s[70:71], s[72:73]
	v_or_b32_e32 v4, v2, v1
	s_or_b64 s[66:67], s[66:67], s[74:75]
	v_mov_b32_e32 v1, s55
	v_or_b32_e32 v2, s66, v6
	v_or_b32_e32 v3, s67, v1
	v_mov_b32_e32 v5, 1
	v_pk_mov_b32 v[12:13], s[68:69], s[68:69] op_sel:[0,1]
	;;#ASMSTART
	global_store_dwordx4 v[12:13], v[2:5] off	
s_waitcnt vmcnt(0)
	;;#ASMEND
.LBB2014_154:
	s_or_b64 exec, exec, s[46:47]
	v_xad_u32 v8, v9, -1, s6
	v_add_u32_e32 v10, 64, v8
	v_lshlrev_b64 v[2:3], 4, v[10:11]
	v_mov_b32_e32 v1, s53
	v_add_co_u32_e32 v12, vcc, s52, v2
	v_addc_co_u32_e32 v13, vcc, v1, v3, vcc
	;;#ASMSTART
	global_load_dwordx4 v[2:5], v[12:13] off glc	
s_waitcnt vmcnt(0)
	;;#ASMEND
	v_lshlrev_b64 v[24:25], 24, v[4:5]
	v_lshrrev_b32_e32 v1, 8, v3
	v_or_b32_e32 v14, v1, v24
	v_lshlrev_b64 v[24:25], 16, v[4:5]
	v_or_b32_sdwa v16, v3, v24 dst_sel:DWORD dst_unused:UNUSED_PAD src0_sel:WORD_1 src1_sel:DWORD
	v_lshlrev_b64 v[24:25], 8, v[4:5]
	v_alignbit_b32 v7, v3, v2, 8
	v_alignbit_b32 v20, v3, v2, 16
	;; [unrolled: 1-line block ×3, first 2 shown]
	v_mov_b32_e32 v10, v3
	v_or_b32_sdwa v18, v3, v24 dst_sel:DWORD dst_unused:UNUSED_PAD src0_sel:BYTE_3 src1_sel:DWORD
	v_cmp_eq_u16_sdwa s[66:67], v5, v11 src0_sel:BYTE_0 src1_sel:DWORD
	s_and_saveexec_b64 s[46:47], s[66:67]
	s_cbranch_execz .LBB2014_160
; %bb.155:
	s_mov_b32 s55, 1
	s_mov_b64 s[66:67], 0
	v_mov_b32_e32 v1, 0
.LBB2014_156:                           ; =>This Loop Header: Depth=1
                                        ;     Child Loop BB2014_157 Depth 2
	s_max_u32 s68, s55, 1
.LBB2014_157:                           ;   Parent Loop BB2014_156 Depth=1
                                        ; =>  This Inner Loop Header: Depth=2
	s_add_i32 s68, s68, -1
	s_cmp_eq_u32 s68, 0
	s_sleep 1
	s_cbranch_scc0 .LBB2014_157
; %bb.158:                              ;   in Loop: Header=BB2014_156 Depth=1
	s_cmp_lt_u32 s55, 32
	s_cselect_b64 s[68:69], -1, 0
	s_cmp_lg_u64 s[68:69], 0
	s_addc_u32 s55, s55, 0
	;;#ASMSTART
	global_load_dwordx4 v[2:5], v[12:13] off glc	
s_waitcnt vmcnt(0)
	;;#ASMEND
	v_cmp_ne_u16_sdwa s[68:69], v5, v1 src0_sel:BYTE_0 src1_sel:DWORD
	s_or_b64 s[66:67], s[68:69], s[66:67]
	s_andn2_b64 exec, exec, s[66:67]
	s_cbranch_execnz .LBB2014_156
; %bb.159:
	s_or_b64 exec, exec, s[66:67]
	v_lshlrev_b64 v[12:13], 24, v[4:5]
	v_lshrrev_b32_e32 v1, 8, v3
	v_or_b32_e32 v14, v1, v12
	v_lshlrev_b64 v[12:13], 16, v[4:5]
	v_or_b32_sdwa v16, v3, v12 dst_sel:DWORD dst_unused:UNUSED_PAD src0_sel:WORD_1 src1_sel:DWORD
	v_lshlrev_b64 v[12:13], 8, v[4:5]
	v_alignbit_b32 v7, v3, v2, 8
	v_alignbit_b32 v20, v3, v2, 16
	v_alignbit_b32 v15, v3, v2, 24
	v_mov_b32_e32 v10, v3
	v_or_b32_sdwa v18, v3, v12 dst_sel:DWORD dst_unused:UNUSED_PAD src0_sel:BYTE_3 src1_sel:DWORD
.LBB2014_160:
	s_or_b64 exec, exec, s[46:47]
	v_lshlrev_b32_e32 v3, 16, v16
	v_lshlrev_b32_e32 v1, 24, v18
	v_and_b32_e32 v3, 0xff0000, v3
	v_or_b32_e32 v1, v3, v1
	v_lshlrev_b32_e32 v3, 8, v14
	v_and_b32_e32 v3, 0xff00, v3
	v_and_b32_e32 v10, 0xff, v10
	v_or3_b32 v1, v1, v3, v10
	v_lshlrev_b32_e32 v3, 16, v20
	s_mov_b32 s46, 0x4020c0c
	v_lshlrev_b32_e32 v7, 8, v7
	v_perm_b32 v3, v15, v3, s46
	s_mov_b32 s46, 0xc0c0500
	v_perm_b32 v2, v7, v2, s46
	v_and_b32_e32 v7, 63, v9
	v_or_b32_e32 v2, v2, v3
	v_mov_b32_e32 v3, 2
	v_cmp_ne_u32_e32 vcc, 63, v7
	v_cmp_eq_u16_sdwa s[46:47], v5, v3 src0_sel:BYTE_0 src1_sel:DWORD
	v_lshlrev_b64 v[10:11], v9, -1
	v_addc_co_u32_e32 v12, vcc, 0, v9, vcc
	v_and_b32_e32 v3, s47, v11
	v_and_b32_e32 v14, 0xff, v4
	v_lshlrev_b32_e32 v24, 2, v12
	v_or_b32_e32 v3, 0x80000000, v3
	ds_bpermute_b32 v15, v24, v2
	ds_bpermute_b32 v13, v24, v1
	;; [unrolled: 1-line block ×3, first 2 shown]
	v_and_b32_e32 v16, s46, v10
	v_ffbl_b32_e32 v3, v3
	v_add_u32_e32 v3, 32, v3
	v_ffbl_b32_e32 v16, v16
	v_min_u32_e32 v3, v16, v3
	v_cmp_lt_u32_e32 vcc, v7, v3
	s_and_saveexec_b64 s[46:47], vcc
	s_cbranch_execz .LBB2014_162
; %bb.161:
	v_mov_b32_e32 v14, 0
	v_cmp_eq_u16_sdwa vcc, v4, v14 src0_sel:BYTE_0 src1_sel:DWORD
	s_waitcnt lgkmcnt(0)
	v_or_b32_e32 v4, v4, v12
	v_cndmask_b32_e32 v14, 0, v15, vcc
	v_cndmask_b32_e32 v13, 0, v13, vcc
	v_and_b32_e32 v4, 1, v4
	v_add_u32_e32 v2, v14, v2
	v_add_u32_e32 v1, v13, v1
	v_and_b32_e32 v14, 0xffff, v4
.LBB2014_162:
	s_or_b64 exec, exec, s[46:47]
	v_cmp_gt_u32_e32 vcc, 62, v7
	s_waitcnt lgkmcnt(0)
	v_cndmask_b32_e64 v12, 0, 1, vcc
	v_lshlrev_b32_e32 v12, 1, v12
	v_add_lshl_u32 v25, v12, v9, 2
	ds_bpermute_b32 v13, v25, v2
	ds_bpermute_b32 v15, v25, v1
	ds_bpermute_b32 v12, v25, v14
	v_add_u32_e32 v26, 2, v7
	v_cmp_le_u32_e32 vcc, v26, v3
	s_and_saveexec_b64 s[46:47], vcc
	s_cbranch_execz .LBB2014_164
; %bb.163:
	v_mov_b32_e32 v14, 0
	v_cmp_eq_u16_sdwa vcc, v4, v14 src0_sel:BYTE_0 src1_sel:DWORD
	s_waitcnt lgkmcnt(0)
	v_or_b32_e32 v4, v12, v4
	v_add_u32_e32 v13, v13, v2
	v_add_u32_e32 v15, v15, v1
	v_and_b32_e32 v14, 1, v4
	v_cndmask_b32_e32 v2, v2, v13, vcc
	v_cndmask_b32_e32 v1, v1, v15, vcc
	v_mov_b32_e32 v4, v14
.LBB2014_164:
	s_or_b64 exec, exec, s[46:47]
	v_cmp_gt_u32_e32 vcc, 60, v7
	s_waitcnt lgkmcnt(0)
	v_cndmask_b32_e64 v12, 0, 1, vcc
	v_lshlrev_b32_e32 v12, 2, v12
	v_add_lshl_u32 v27, v12, v9, 2
	ds_bpermute_b32 v13, v27, v2
	ds_bpermute_b32 v15, v27, v1
	ds_bpermute_b32 v12, v27, v14
	v_add_u32_e32 v28, 4, v7
	v_cmp_le_u32_e32 vcc, v28, v3
	s_and_saveexec_b64 s[46:47], vcc
	s_cbranch_execz .LBB2014_166
; %bb.165:
	v_mov_b32_e32 v14, 0
	v_cmp_eq_u16_sdwa vcc, v4, v14 src0_sel:BYTE_0 src1_sel:DWORD
	s_waitcnt lgkmcnt(0)
	v_or_b32_e32 v4, v12, v4
	v_add_u32_e32 v13, v13, v2
	v_add_u32_e32 v15, v15, v1
	v_and_b32_e32 v14, 1, v4
	v_cndmask_b32_e32 v2, v2, v13, vcc
	v_cndmask_b32_e32 v1, v1, v15, vcc
	v_mov_b32_e32 v4, v14
.LBB2014_166:
	;; [unrolled: 25-line block ×4, first 2 shown]
	s_or_b64 exec, exec, s[46:47]
	v_cmp_gt_u32_e32 vcc, 32, v7
	s_waitcnt lgkmcnt(0)
	v_cndmask_b32_e64 v12, 0, 1, vcc
	v_lshlrev_b32_e32 v12, 5, v12
	v_add_lshl_u32 v34, v12, v9, 2
	ds_bpermute_b32 v12, v34, v2
	ds_bpermute_b32 v13, v34, v1
	;; [unrolled: 1-line block ×3, first 2 shown]
	v_add_u32_e32 v35, 32, v7
	v_cmp_le_u32_e32 vcc, v35, v3
	s_and_saveexec_b64 s[46:47], vcc
	s_cbranch_execz .LBB2014_172
; %bb.171:
	v_mov_b32_e32 v3, 0
	s_waitcnt lgkmcnt(2)
	v_add_u32_e32 v12, v12, v2
	s_waitcnt lgkmcnt(1)
	v_add_u32_e32 v13, v13, v1
	v_cmp_eq_u16_sdwa vcc, v4, v3 src0_sel:BYTE_0 src1_sel:DWORD
	s_waitcnt lgkmcnt(0)
	v_or_b32_e32 v3, v9, v4
	v_cndmask_b32_e32 v2, v2, v12, vcc
	v_cndmask_b32_e32 v1, v1, v13, vcc
	v_and_b32_e32 v14, 1, v3
.LBB2014_172:
	s_or_b64 exec, exec, s[46:47]
	s_movk_i32 s55, 0xff
	s_waitcnt lgkmcnt(0)
	v_mov_b32_e32 v9, 0
	s_mov_b32 s68, 0x4020c0c
	s_mov_b32 s69, 0xc0c0500
	v_mov_b32_e32 v36, 2
	s_branch .LBB2014_174
.LBB2014_173:                           ;   in Loop: Header=BB2014_174 Depth=1
	s_or_b64 exec, exec, s[46:47]
	s_waitcnt lgkmcnt(0)
	ds_bpermute_b32 v15, v34, v2
	ds_bpermute_b32 v16, v34, v1
	;; [unrolled: 1-line block ×3, first 2 shown]
	v_cmp_eq_u16_sdwa vcc, v4, v9 src0_sel:BYTE_0 src1_sel:DWORD
	v_subrev_u32_e32 v8, 64, v8
	s_waitcnt lgkmcnt(2)
	v_add_u32_e32 v15, v15, v2
	s_waitcnt lgkmcnt(1)
	v_add_u32_e32 v16, v16, v1
	v_cndmask_b32_e32 v15, v2, v15, vcc
	v_cndmask_b32_e32 v16, v1, v16, vcc
	s_waitcnt lgkmcnt(0)
	v_and_or_b32 v4, v4, s55, v18
	v_cmp_gt_u32_e32 vcc, v35, v3
	v_cndmask_b32_e32 v3, v4, v14, vcc
	v_cndmask_b32_e32 v2, v15, v2, vcc
	;; [unrolled: 1-line block ×3, first 2 shown]
	v_cmp_eq_u16_sdwa vcc, v33, v9 src0_sel:BYTE_0 src1_sel:DWORD
	v_and_b32_e32 v4, 1, v33
	v_and_b32_e32 v3, 1, v3
	v_cndmask_b32_e32 v2, 0, v2, vcc
	v_cndmask_b32_e32 v1, 0, v1, vcc
	v_cmp_eq_u32_e32 vcc, 1, v4
	v_cmp_eq_u32_e64 s[46:47], 1, v3
	s_or_b64 s[46:47], vcc, s[46:47]
	v_add_u32_e32 v2, v2, v12
	v_add_u32_e32 v1, v1, v13
	v_cndmask_b32_e64 v14, 0, 1, s[46:47]
.LBB2014_174:                           ; =>This Loop Header: Depth=1
                                        ;     Child Loop BB2014_177 Depth 2
                                        ;       Child Loop BB2014_178 Depth 3
	v_cmp_ne_u16_sdwa s[46:47], v5, v36 src0_sel:BYTE_0 src1_sel:DWORD
	v_mov_b32_e32 v13, v1
	v_cndmask_b32_e64 v1, 0, 1, s[46:47]
	;;#ASMSTART
	;;#ASMEND
	v_cmp_ne_u32_e32 vcc, 0, v1
	v_mov_b32_e32 v33, v14
	s_cmp_lg_u64 vcc, exec
	v_mov_b32_e32 v12, v2
	s_cbranch_scc1 .LBB2014_191
; %bb.175:                              ;   in Loop: Header=BB2014_174 Depth=1
	v_lshlrev_b64 v[2:3], 4, v[8:9]
	v_mov_b32_e32 v1, s53
	v_add_co_u32_e32 v14, vcc, s52, v2
	v_addc_co_u32_e32 v15, vcc, v1, v3, vcc
	;;#ASMSTART
	global_load_dwordx4 v[2:5], v[14:15] off glc	
s_waitcnt vmcnt(0)
	;;#ASMEND
	v_lshlrev_b64 v[78:79], 24, v[4:5]
	v_lshrrev_b32_e32 v1, 8, v3
	v_or_b32_e32 v18, v1, v78
	v_lshlrev_b64 v[78:79], 16, v[4:5]
	v_or_b32_sdwa v20, v3, v78 dst_sel:DWORD dst_unused:UNUSED_PAD src0_sel:WORD_1 src1_sel:DWORD
	v_lshlrev_b64 v[78:79], 8, v[4:5]
	v_alignbit_b32 v37, v3, v2, 8
	v_alignbit_b32 v38, v3, v2, 16
	;; [unrolled: 1-line block ×3, first 2 shown]
	v_mov_b32_e32 v16, v3
	v_or_b32_sdwa v22, v3, v78 dst_sel:DWORD dst_unused:UNUSED_PAD src0_sel:BYTE_3 src1_sel:DWORD
	v_cmp_eq_u16_sdwa s[66:67], v5, v9 src0_sel:BYTE_0 src1_sel:DWORD
	s_and_saveexec_b64 s[46:47], s[66:67]
	s_cbranch_execz .LBB2014_181
; %bb.176:                              ;   in Loop: Header=BB2014_174 Depth=1
	s_mov_b32 s70, 1
	s_mov_b64 s[66:67], 0
.LBB2014_177:                           ;   Parent Loop BB2014_174 Depth=1
                                        ; =>  This Loop Header: Depth=2
                                        ;       Child Loop BB2014_178 Depth 3
	s_max_u32 s71, s70, 1
.LBB2014_178:                           ;   Parent Loop BB2014_174 Depth=1
                                        ;     Parent Loop BB2014_177 Depth=2
                                        ; =>    This Inner Loop Header: Depth=3
	s_add_i32 s71, s71, -1
	s_cmp_eq_u32 s71, 0
	s_sleep 1
	s_cbranch_scc0 .LBB2014_178
; %bb.179:                              ;   in Loop: Header=BB2014_177 Depth=2
	s_cmp_lt_u32 s70, 32
	s_cselect_b64 s[72:73], -1, 0
	s_cmp_lg_u64 s[72:73], 0
	s_addc_u32 s70, s70, 0
	;;#ASMSTART
	global_load_dwordx4 v[2:5], v[14:15] off glc	
s_waitcnt vmcnt(0)
	;;#ASMEND
	v_cmp_ne_u16_sdwa s[72:73], v5, v9 src0_sel:BYTE_0 src1_sel:DWORD
	s_or_b64 s[66:67], s[72:73], s[66:67]
	s_andn2_b64 exec, exec, s[66:67]
	s_cbranch_execnz .LBB2014_177
; %bb.180:                              ;   in Loop: Header=BB2014_174 Depth=1
	s_or_b64 exec, exec, s[66:67]
	v_lshlrev_b64 v[14:15], 24, v[4:5]
	v_lshrrev_b32_e32 v1, 8, v3
	v_or_b32_e32 v18, v1, v14
	v_lshlrev_b64 v[14:15], 16, v[4:5]
	v_or_b32_sdwa v20, v3, v14 dst_sel:DWORD dst_unused:UNUSED_PAD src0_sel:WORD_1 src1_sel:DWORD
	v_lshlrev_b64 v[14:15], 8, v[4:5]
	v_alignbit_b32 v37, v3, v2, 8
	v_alignbit_b32 v38, v3, v2, 16
	;; [unrolled: 1-line block ×3, first 2 shown]
	v_mov_b32_e32 v16, v3
	v_or_b32_sdwa v22, v3, v14 dst_sel:DWORD dst_unused:UNUSED_PAD src0_sel:BYTE_3 src1_sel:DWORD
.LBB2014_181:                           ;   in Loop: Header=BB2014_174 Depth=1
	s_or_b64 exec, exec, s[46:47]
	v_lshlrev_b32_e32 v3, 16, v20
	v_lshlrev_b32_e32 v1, 24, v22
	v_and_b32_e32 v3, 0xff0000, v3
	v_or_b32_e32 v1, v3, v1
	v_lshlrev_b32_e32 v3, 8, v18
	v_and_b32_e32 v3, 0xff00, v3
	v_and_b32_e32 v14, 0xff, v16
	v_or3_b32 v1, v1, v3, v14
	v_lshlrev_b32_e32 v3, 16, v38
	v_lshlrev_b32_e32 v14, 8, v37
	v_perm_b32 v3, v39, v3, s68
	v_perm_b32 v2, v14, v2, s69
	v_cmp_eq_u16_sdwa s[46:47], v5, v36 src0_sel:BYTE_0 src1_sel:DWORD
	v_or_b32_e32 v2, v2, v3
	v_and_b32_e32 v3, s47, v11
	v_and_b32_e32 v14, 0xff, v4
	v_or_b32_e32 v3, 0x80000000, v3
	ds_bpermute_b32 v18, v24, v2
	ds_bpermute_b32 v16, v24, v1
	;; [unrolled: 1-line block ×3, first 2 shown]
	v_and_b32_e32 v20, s46, v10
	v_ffbl_b32_e32 v3, v3
	v_add_u32_e32 v3, 32, v3
	v_ffbl_b32_e32 v20, v20
	v_min_u32_e32 v3, v20, v3
	v_cmp_lt_u32_e32 vcc, v7, v3
	s_and_saveexec_b64 s[46:47], vcc
	s_cbranch_execz .LBB2014_183
; %bb.182:                              ;   in Loop: Header=BB2014_174 Depth=1
	v_cmp_eq_u16_sdwa vcc, v4, v9 src0_sel:BYTE_0 src1_sel:DWORD
	s_waitcnt lgkmcnt(2)
	v_cndmask_b32_e32 v14, 0, v18, vcc
	v_add_u32_e32 v2, v14, v2
	s_waitcnt lgkmcnt(1)
	v_cndmask_b32_e32 v14, 0, v16, vcc
	s_waitcnt lgkmcnt(0)
	v_or_b32_e32 v4, v15, v4
	v_add_u32_e32 v1, v14, v1
	v_and_b32_e32 v14, 1, v4
	v_mov_b32_e32 v4, v14
.LBB2014_183:                           ;   in Loop: Header=BB2014_174 Depth=1
	s_or_b64 exec, exec, s[46:47]
	s_waitcnt lgkmcnt(1)
	ds_bpermute_b32 v16, v25, v2
	ds_bpermute_b32 v18, v25, v1
	s_waitcnt lgkmcnt(2)
	ds_bpermute_b32 v15, v25, v14
	v_cmp_le_u32_e32 vcc, v26, v3
	s_and_saveexec_b64 s[46:47], vcc
	s_cbranch_execz .LBB2014_185
; %bb.184:                              ;   in Loop: Header=BB2014_174 Depth=1
	s_waitcnt lgkmcnt(2)
	v_add_u32_e32 v14, v16, v2
	v_cmp_eq_u16_sdwa vcc, v4, v9 src0_sel:BYTE_0 src1_sel:DWORD
	s_waitcnt lgkmcnt(0)
	v_or_b32_e32 v4, v15, v4
	v_add_u32_e32 v16, v18, v1
	v_cndmask_b32_e32 v2, v2, v14, vcc
	v_and_b32_e32 v14, 1, v4
	v_cndmask_b32_e32 v1, v1, v16, vcc
	v_mov_b32_e32 v4, v14
.LBB2014_185:                           ;   in Loop: Header=BB2014_174 Depth=1
	s_or_b64 exec, exec, s[46:47]
	s_waitcnt lgkmcnt(2)
	ds_bpermute_b32 v16, v27, v2
	s_waitcnt lgkmcnt(2)
	ds_bpermute_b32 v18, v27, v1
	s_waitcnt lgkmcnt(2)
	ds_bpermute_b32 v15, v27, v14
	v_cmp_le_u32_e32 vcc, v28, v3
	s_and_saveexec_b64 s[46:47], vcc
	s_cbranch_execz .LBB2014_187
; %bb.186:                              ;   in Loop: Header=BB2014_174 Depth=1
	s_waitcnt lgkmcnt(2)
	v_add_u32_e32 v14, v16, v2
	v_cmp_eq_u16_sdwa vcc, v4, v9 src0_sel:BYTE_0 src1_sel:DWORD
	s_waitcnt lgkmcnt(0)
	v_or_b32_e32 v4, v15, v4
	v_add_u32_e32 v16, v18, v1
	v_cndmask_b32_e32 v2, v2, v14, vcc
	v_and_b32_e32 v14, 1, v4
	v_cndmask_b32_e32 v1, v1, v16, vcc
	v_mov_b32_e32 v4, v14
.LBB2014_187:                           ;   in Loop: Header=BB2014_174 Depth=1
	s_or_b64 exec, exec, s[46:47]
	s_waitcnt lgkmcnt(2)
	ds_bpermute_b32 v16, v29, v2
	s_waitcnt lgkmcnt(2)
	;; [unrolled: 22-line block ×3, first 2 shown]
	ds_bpermute_b32 v18, v31, v1
	s_waitcnt lgkmcnt(2)
	ds_bpermute_b32 v15, v31, v14
	v_cmp_le_u32_e32 vcc, v32, v3
	s_and_saveexec_b64 s[46:47], vcc
	s_cbranch_execz .LBB2014_173
; %bb.190:                              ;   in Loop: Header=BB2014_174 Depth=1
	s_waitcnt lgkmcnt(2)
	v_add_u32_e32 v14, v16, v2
	v_cmp_eq_u16_sdwa vcc, v4, v9 src0_sel:BYTE_0 src1_sel:DWORD
	s_waitcnt lgkmcnt(0)
	v_or_b32_e32 v4, v15, v4
	v_add_u32_e32 v16, v18, v1
	v_cndmask_b32_e32 v2, v2, v14, vcc
	v_and_b32_e32 v14, 1, v4
	v_cndmask_b32_e32 v1, v1, v16, vcc
	v_mov_b32_e32 v4, v14
	s_branch .LBB2014_173
.LBB2014_191:                           ;   in Loop: Header=BB2014_174 Depth=1
                                        ; implicit-def: $vgpr14
                                        ; implicit-def: $vgpr1
                                        ; implicit-def: $vgpr5
                                        ; implicit-def: $vgpr2_vgpr3
	s_cbranch_execz .LBB2014_174
; %bb.192:
	s_and_saveexec_b64 s[46:47], s[42:43]
	s_cbranch_execz .LBB2014_194
; %bb.193:
	v_mov_b32_e32 v1, 0
	v_cmp_eq_u16_sdwa vcc, v23, v1 src0_sel:BYTE_0 src1_sel:DWORD
	s_mov_b32 s43, 0
	v_cndmask_b32_e32 v2, 0, v13, vcc
	v_or_b32_e32 v3, v23, v33
	s_add_i32 s42, s6, 64
	v_add_u32_e32 v2, s7, v2
	v_and_b32_e32 v3, 1, v3
	s_lshl_b64 s[6:7], s[42:43], 4
	v_cndmask_b32_e32 v1, 0, v12, vcc
	s_add_u32 s6, s52, s6
	v_cmp_eq_u32_e32 vcc, 1, v3
	v_and_b32_e32 v3, 0xff000000, v2
	v_and_b32_e32 v5, 0xff0000, v2
	v_add_u32_e32 v1, v1, v6
	s_addc_u32 s7, s53, s7
	v_and_b32_e32 v6, 0xff00, v2
	v_and_b32_e32 v2, 0xff, v2
	v_or_b32_e32 v3, v3, v5
	v_cndmask_b32_e64 v4, 0, 1, vcc
	v_or3_b32 v3, v3, v6, v2
	v_or3_b32 v2, 0, 0, v1
	v_mov_b32_e32 v5, 2
	v_pk_mov_b32 v[6:7], s[6:7], s[6:7] op_sel:[0,1]
	;;#ASMSTART
	global_store_dwordx4 v[6:7], v[2:5] off	
s_waitcnt vmcnt(0)
	;;#ASMEND
.LBB2014_194:
	s_or_b64 exec, exec, s[46:47]
	v_cmp_eq_u32_e32 vcc, 0, v0
	s_and_b64 exec, exec, vcc
	s_cbranch_execz .LBB2014_196
; %bb.195:
	v_mov_b32_e32 v1, 0
	ds_write_b64 v1, v[12:13]
	ds_write_b8 v1, v33 offset:8
.LBB2014_196:
	s_or_b64 exec, exec, s[56:57]
	v_mov_b32_e32 v1, 0
	s_waitcnt lgkmcnt(0)
	; wave barrier
	s_waitcnt lgkmcnt(0)
	ds_read_b64 v[2:3], v1
	v_cmp_eq_u32_sdwa vcc, v21, v1 src0_sel:BYTE_0 src1_sel:DWORD
	s_waitcnt lgkmcnt(0)
	v_cndmask_b32_e32 v1, 0, v2, vcc
	v_cndmask_b32_e32 v4, 0, v3, vcc
	v_add_u32_e32 v1, v1, v17
	v_add_u32_e32 v4, v4, v19
	v_cmp_eq_u32_e32 vcc, 0, v0
	v_cndmask_b32_e32 v9, v4, v3, vcc
	v_cndmask_b32_e32 v8, v1, v2, vcc
	v_cmp_eq_u32_e32 vcc, 0, v64
	v_cndmask_b32_e32 v1, 0, v8, vcc
	v_add_u32_e32 v78, v1, v40
	v_cndmask_b32_e32 v1, 0, v9, vcc
	v_add_u32_e32 v79, v1, v41
	v_cndmask_b32_e64 v1, 0, v78, s[2:3]
	v_add_u32_e32 v2, v1, v44
	v_cndmask_b32_e64 v1, 0, v79, s[2:3]
	;; [unrolled: 2-line block ×37, first 2 shown]
	v_cndmask_b32_e64 v125, 0, v97, s[40:41]
	s_branch .LBB2014_217
.LBB2014_197:
                                        ; implicit-def: $vgpr6_vgpr7_vgpr8_vgpr9
                                        ; implicit-def: $vgpr125
                                        ; implicit-def: $vgpr1
                                        ; implicit-def: $vgpr97
                                        ; implicit-def: $vgpr95
                                        ; implicit-def: $vgpr93
                                        ; implicit-def: $vgpr91
                                        ; implicit-def: $vgpr89
                                        ; implicit-def: $vgpr87
                                        ; implicit-def: $vgpr85
                                        ; implicit-def: $vgpr83
                                        ; implicit-def: $vgpr81
                                        ; implicit-def: $vgpr79
                                        ; implicit-def: $vgpr36_vgpr37_vgpr38_vgpr39
                                        ; implicit-def: $vgpr32_vgpr33_vgpr34_vgpr35
                                        ; implicit-def: $vgpr28_vgpr29_vgpr30_vgpr31
                                        ; implicit-def: $vgpr24_vgpr25_vgpr26_vgpr27
                                        ; implicit-def: $vgpr20_vgpr21_vgpr22_vgpr23
                                        ; implicit-def: $vgpr16_vgpr17_vgpr18_vgpr19
                                        ; implicit-def: $vgpr12_vgpr13_vgpr14_vgpr15
                                        ; implicit-def: $vgpr2_vgpr3_vgpr4_vgpr5
                                        ; implicit-def: $vgpr8_vgpr9_vgpr10_vgpr11
	s_cbranch_execz .LBB2014_217
; %bb.198:
	s_cmp_lg_u64 s[64:65], 0
	s_cselect_b32 s3, s59, 0
	s_cselect_b32 s2, s58, 0
	s_cmp_eq_u64 s[2:3], 0
	v_pk_mov_b32 v[4:5], s[62:63], s[62:63] op_sel:[0,1]
	s_cbranch_scc1 .LBB2014_200
; %bb.199:
	v_mov_b32_e32 v1, 0
	global_load_dwordx2 v[4:5], v1, s[2:3]
.LBB2014_200:
	v_mov_b32_e32 v1, 0
	v_cmp_eq_u16_sdwa s[2:3], v47, v1 src0_sel:BYTE_0 src1_sel:DWORD
	v_cndmask_b32_e64 v2, 0, v40, s[2:3]
	v_add_u32_e32 v2, v2, v44
	v_cndmask_b32_e64 v3, 0, v41, s[2:3]
	v_cmp_eq_u16_sdwa s[4:5], v51, v1 src0_sel:BYTE_0 src1_sel:DWORD
	v_add_u32_e32 v3, v3, v43
	v_cndmask_b32_e64 v2, 0, v2, s[4:5]
	v_add_u32_e32 v2, v2, v46
	v_cndmask_b32_e64 v3, 0, v3, s[4:5]
	v_cmp_eq_u16_sdwa s[6:7], v55, v1 src0_sel:BYTE_0 src1_sel:DWORD
	v_add_u32_e32 v3, v3, v45
	;; [unrolled: 5-line block ×17, first 2 shown]
	v_cndmask_b32_e64 v2, 0, v2, s[36:37]
	v_add_u32_e32 v2, v2, v112
	v_cndmask_b32_e64 v3, 0, v3, s[36:37]
	v_cmp_eq_u16_sdwa vcc, v50, v1 src0_sel:BYTE_0 src1_sel:DWORD
	v_add_u32_e32 v3, v3, v111
	v_cndmask_b32_e32 v2, 0, v2, vcc
	v_add_u32_e32 v2, v2, v103
	v_cndmask_b32_e32 v3, 0, v3, vcc
	v_cmp_eq_u16_sdwa s[40:41], v120, v1 src0_sel:BYTE_0 src1_sel:DWORD
	v_add_u32_e32 v3, v3, v42
	v_cndmask_b32_e64 v1, 0, v2, s[40:41]
	v_add_u32_e32 v2, v1, v121
	v_cndmask_b32_e64 v1, 0, v3, s[40:41]
	v_add_u32_e32 v3, v1, v122
	v_or_b32_e32 v1, v124, v118
	v_or_b32_e32 v1, v1, v117
	;; [unrolled: 1-line block ×17, first 2 shown]
	v_and_b32_e32 v1, 1, v1
	v_cmp_eq_u32_e64 s[40:41], 1, v1
	v_mbcnt_hi_u32_b32 v1, -1, v123
	v_cndmask_b32_e64 v7, v64, 1, s[40:41]
	v_and_b32_e32 v6, 15, v1
	v_mov_b32_dpp v8, v2 row_shr:1 row_mask:0xf bank_mask:0xf
	v_mov_b32_dpp v9, v3 row_shr:1 row_mask:0xf bank_mask:0xf
	;; [unrolled: 1-line block ×3, first 2 shown]
	v_cmp_ne_u32_e64 s[40:41], 0, v6
	s_and_saveexec_b64 s[42:43], s[40:41]
; %bb.201:
	v_cmp_eq_u32_e64 s[40:41], 0, v7
	v_cndmask_b32_e64 v8, 0, v8, s[40:41]
	v_add_u32_e32 v2, v8, v2
	v_cndmask_b32_e64 v8, 0, v9, s[40:41]
	v_add_u32_e32 v3, v8, v3
	v_and_or_b32 v7, v10, 1, v7
; %bb.202:
	s_or_b64 exec, exec, s[42:43]
	v_mov_b32_dpp v9, v2 row_shr:2 row_mask:0xf bank_mask:0xf
	v_mov_b32_dpp v10, v3 row_shr:2 row_mask:0xf bank_mask:0xf
	;; [unrolled: 1-line block ×3, first 2 shown]
	v_cmp_lt_u32_e64 s[40:41], 1, v6
	s_and_saveexec_b64 s[42:43], s[40:41]
; %bb.203:
	v_add_u32_e32 v9, v9, v2
	v_add_u32_e32 v10, v10, v3
	v_cmp_eq_u32_e64 s[40:41], 0, v7
	v_or_b32_e32 v7, v8, v7
	v_cndmask_b32_e64 v2, v2, v9, s[40:41]
	v_cndmask_b32_e64 v3, v3, v10, s[40:41]
	v_and_b32_e32 v7, 1, v7
; %bb.204:
	s_or_b64 exec, exec, s[42:43]
	v_mov_b32_dpp v9, v2 row_shr:4 row_mask:0xf bank_mask:0xf
	v_mov_b32_dpp v10, v3 row_shr:4 row_mask:0xf bank_mask:0xf
	;; [unrolled: 1-line block ×3, first 2 shown]
	v_cmp_lt_u32_e64 s[40:41], 3, v6
	s_and_saveexec_b64 s[42:43], s[40:41]
; %bb.205:
	v_add_u32_e32 v9, v9, v2
	v_add_u32_e32 v10, v10, v3
	v_cmp_eq_u32_e64 s[40:41], 0, v7
	v_or_b32_e32 v7, v8, v7
	v_cndmask_b32_e64 v2, v2, v9, s[40:41]
	v_cndmask_b32_e64 v3, v3, v10, s[40:41]
	v_and_b32_e32 v7, 1, v7
; %bb.206:
	s_or_b64 exec, exec, s[42:43]
	v_mov_b32_dpp v9, v2 row_shr:8 row_mask:0xf bank_mask:0xf
	v_mov_b32_dpp v10, v3 row_shr:8 row_mask:0xf bank_mask:0xf
	;; [unrolled: 1-line block ×3, first 2 shown]
	v_cmp_lt_u32_e64 s[40:41], 7, v6
	s_and_saveexec_b64 s[42:43], s[40:41]
; %bb.207:
	v_add_u32_e32 v6, v9, v2
	v_cmp_eq_u32_e64 s[40:41], 0, v7
	v_add_u32_e32 v9, v10, v3
	v_cndmask_b32_e64 v2, v2, v6, s[40:41]
	v_or_b32_e32 v6, v8, v7
	v_cndmask_b32_e64 v3, v3, v9, s[40:41]
	v_and_b32_e32 v7, 1, v6
; %bb.208:
	s_or_b64 exec, exec, s[42:43]
	v_and_b32_e32 v10, 16, v1
	v_mov_b32_dpp v8, v2 row_bcast:15 row_mask:0xf bank_mask:0xf
	v_mov_b32_dpp v9, v3 row_bcast:15 row_mask:0xf bank_mask:0xf
	;; [unrolled: 1-line block ×3, first 2 shown]
	v_cmp_ne_u32_e64 s[40:41], 0, v10
	s_and_saveexec_b64 s[42:43], s[40:41]
; %bb.209:
	v_add_u32_e32 v8, v8, v2
	v_add_u32_e32 v9, v9, v3
	v_cmp_eq_u32_e64 s[40:41], 0, v7
	v_or_b32_e32 v6, v6, v7
	v_cndmask_b32_e64 v2, v2, v8, s[40:41]
	v_cndmask_b32_e64 v3, v3, v9, s[40:41]
	v_and_b32_e32 v7, 1, v6
; %bb.210:
	s_or_b64 exec, exec, s[42:43]
	v_mov_b32_dpp v8, v2 row_bcast:31 row_mask:0xf bank_mask:0xf
	v_mov_b32_dpp v9, v3 row_bcast:31 row_mask:0xf bank_mask:0xf
	;; [unrolled: 1-line block ×3, first 2 shown]
	v_cmp_lt_u32_e64 s[40:41], 31, v1
	s_and_saveexec_b64 s[42:43], s[40:41]
; %bb.211:
	v_add_u32_e32 v8, v8, v2
	v_add_u32_e32 v9, v9, v3
	v_cmp_eq_u32_e64 s[40:41], 0, v7
	v_or_b32_e32 v6, v6, v7
	v_cndmask_b32_e64 v2, v2, v8, s[40:41]
	v_cndmask_b32_e64 v3, v3, v9, s[40:41]
	v_and_b32_e32 v7, 1, v6
; %bb.212:
	s_or_b64 exec, exec, s[42:43]
	v_mov_b32_e32 v6, v41
	v_cmp_eq_u32_e64 s[40:41], 63, v0
	s_and_saveexec_b64 s[42:43], s[40:41]
	s_cbranch_execz .LBB2014_214
; %bb.213:
	v_mov_b32_e32 v8, 0
	ds_write_b64 v8, v[2:3]
	ds_write_b8 v8, v7 offset:8
.LBB2014_214:
	s_or_b64 exec, exec, s[42:43]
	v_cmp_eq_u32_e64 s[40:41], 0, v7
	s_waitcnt vmcnt(0)
	v_cndmask_b32_e64 v7, 0, v4, s[40:41]
	v_add_u32_e32 v2, v7, v2
	v_cndmask_b32_e64 v7, 0, v5, s[40:41]
	v_add_u32_e32 v3, v7, v3
	v_add_u32_e32 v7, -1, v1
	v_and_b32_e32 v8, 64, v1
	v_cmp_lt_i32_e64 s[40:41], v7, v8
	v_cndmask_b32_e64 v7, v7, v1, s[40:41]
	v_lshlrev_b32_e32 v7, 2, v7
	ds_bpermute_b32 v2, v7, v2
	ds_bpermute_b32 v3, v7, v3
	v_cmp_eq_u32_e64 s[40:41], 0, v1
	v_cmp_eq_u32_e64 s[42:43], 0, v64
	s_waitcnt lgkmcnt(0)
	v_cndmask_b32_e64 v8, v2, v4, s[40:41]
	v_cndmask_b32_e64 v9, v3, v5, s[40:41]
	v_cmp_eq_u32_e64 s[40:41], 0, v0
	v_cndmask_b32_e64 v2, v8, v4, s[40:41]
	v_cndmask_b32_e64 v1, v9, v5, s[40:41]
	;; [unrolled: 1-line block ×3, first 2 shown]
	v_add_u32_e32 v78, v2, v40
	v_cndmask_b32_e64 v1, 0, v1, s[42:43]
	v_add_u32_e32 v79, v1, v6
	v_cndmask_b32_e64 v1, 0, v78, s[2:3]
	;; [unrolled: 2-line block ×27, first 2 shown]
	v_add_co_u32_e64 v10, s[2:3], 0, v99
	v_addc_co_u32_e64 v29, s[2:3], v1, v98, s[2:3]
	v_cndmask_b32_e64 v1, 0, v28, s[34:35]
	v_add_u32_e32 v92, v1, v101
	v_cndmask_b32_e64 v1, 0, v29, s[34:35]
	v_add_co_u32_e64 v10, s[2:3], 0, v101
	v_addc_co_u32_e64 v93, s[2:3], v1, v100, s[2:3]
	v_cndmask_b32_e64 v1, 0, v93, s[20:21]
	v_add_co_u32_e64 v10, s[2:3], 0, v105
	v_addc_co_u32_e64 v33, s[2:3], v1, v104, s[2:3]
	v_cndmask_b32_e64 v1, 0, v92, s[20:21]
	v_add_u32_e32 v32, v1, v105
	v_cndmask_b32_e64 v1, 0, v32, s[24:25]
	v_add_u32_e32 v94, v1, v108
	;; [unrolled: 2-line block ×7, first 2 shown]
	; wave barrier
	s_and_saveexec_b64 s[4:5], s[40:41]
	s_cbranch_execz .LBB2014_216
; %bb.215:
	v_mov_b32_e32 v1, 0
	ds_read_u8 v10, v1 offset:8
	ds_read_b64 v[8:9], v1
	s_add_u32 s6, s52, 0x400
	s_addc_u32 s7, s53, 0
	s_waitcnt lgkmcnt(1)
	v_cmp_eq_u16_e64 s[2:3], 0, v10
	v_cndmask_b32_e64 v1, 0, v4, s[2:3]
	s_waitcnt lgkmcnt(0)
	v_add_u32_e32 v8, v1, v8
	v_cndmask_b32_e64 v1, 0, v5, s[2:3]
	v_add_u32_e32 v1, v1, v9
	v_and_b32_e32 v9, 0xff000000, v1
	v_and_b32_e32 v11, 0xff0000, v1
	;; [unrolled: 1-line block ×3, first 2 shown]
	v_or_b32_e32 v9, v9, v11
	v_or_b32_e32 v9, v9, v14
	v_and_b32_e32 v10, 0xffff, v10
	v_or_b32_sdwa v9, v9, v1 dst_sel:DWORD dst_unused:UNUSED_PAD src0_sel:DWORD src1_sel:BYTE_0
	v_mov_b32_e32 v11, 2
	v_pk_mov_b32 v[14:15], s[6:7], s[6:7] op_sel:[0,1]
	;;#ASMSTART
	global_store_dwordx4 v[14:15], v[8:11] off	
s_waitcnt vmcnt(0)
	;;#ASMEND
	v_pk_mov_b32 v[8:9], v[4:5], v[4:5] op_sel:[0,1]
.LBB2014_216:
	s_or_b64 exec, exec, s[4:5]
	v_cndmask_b32_e32 v1, 0, v96, vcc
	v_cndmask_b32_e32 v125, 0, v97, vcc
.LBB2014_217:
	s_add_u32 s2, s50, s60
	s_addc_u32 s3, s51, s61
	s_add_u32 s42, s2, s48
	v_add_u32_e32 v5, v125, v42
	v_add_u32_e32 v4, v1, v103
	s_addc_u32 s43, s3, s49
	s_and_b64 vcc, exec, s[0:1]
	s_cbranch_vccz .LBB2014_299
; %bb.218:
	s_add_i32 s33, s33, s54
	v_mul_u32_u24_e32 v1, 21, v0
	v_pk_mov_b32 v[22:23], 0, 0
	v_cmp_gt_u32_e32 vcc, s33, v1
	v_pk_mov_b32 v[14:15], v[22:23], v[22:23] op_sel:[0,1]
	v_pk_mov_b32 v[10:11], v[22:23], v[22:23] op_sel:[0,1]
	;; [unrolled: 1-line block ×20, first 2 shown]
	s_and_saveexec_b64 s[0:1], vcc
	s_cbranch_execz .LBB2014_258
; %bb.219:
	v_add_u32_e32 v10, 1, v1
	v_pk_mov_b32 v[62:63], 0, 0
	v_cmp_gt_u32_e32 vcc, s33, v10
	v_pk_mov_b32 v[60:61], v[62:63], v[62:63] op_sel:[0,1]
	v_pk_mov_b32 v[58:59], v[62:63], v[62:63] op_sel:[0,1]
	;; [unrolled: 1-line block ×19, first 2 shown]
	s_and_saveexec_b64 s[2:3], vcc
	s_cbranch_execz .LBB2014_257
; %bb.220:
	v_add_u32_e32 v10, 2, v1
	v_pk_mov_b32 v[60:61], 0, 0
	v_cmp_gt_u32_e32 vcc, s33, v10
	v_pk_mov_b32 v[58:59], v[60:61], v[60:61] op_sel:[0,1]
	v_pk_mov_b32 v[56:57], v[60:61], v[60:61] op_sel:[0,1]
	;; [unrolled: 1-line block ×18, first 2 shown]
	s_and_saveexec_b64 s[4:5], vcc
	s_cbranch_execz .LBB2014_256
; %bb.221:
	v_add_u32_e32 v10, 3, v1
	v_pk_mov_b32 v[58:59], 0, 0
	v_cmp_gt_u32_e32 vcc, s33, v10
	v_pk_mov_b32 v[56:57], v[58:59], v[58:59] op_sel:[0,1]
	v_pk_mov_b32 v[54:55], v[58:59], v[58:59] op_sel:[0,1]
	;; [unrolled: 1-line block ×17, first 2 shown]
	s_and_saveexec_b64 s[6:7], vcc
	s_cbranch_execz .LBB2014_255
; %bb.222:
	v_add_u32_e32 v10, 4, v1
	v_pk_mov_b32 v[56:57], 0, 0
	v_cmp_gt_u32_e32 vcc, s33, v10
	v_pk_mov_b32 v[54:55], v[56:57], v[56:57] op_sel:[0,1]
	v_pk_mov_b32 v[52:53], v[56:57], v[56:57] op_sel:[0,1]
	;; [unrolled: 1-line block ×16, first 2 shown]
	s_and_saveexec_b64 s[8:9], vcc
	s_cbranch_execz .LBB2014_254
; %bb.223:
	v_add_u32_e32 v10, 5, v1
	v_pk_mov_b32 v[54:55], 0, 0
	v_cmp_gt_u32_e32 vcc, s33, v10
	v_pk_mov_b32 v[52:53], v[54:55], v[54:55] op_sel:[0,1]
	v_pk_mov_b32 v[50:51], v[54:55], v[54:55] op_sel:[0,1]
	;; [unrolled: 1-line block ×15, first 2 shown]
	s_and_saveexec_b64 s[10:11], vcc
	s_cbranch_execz .LBB2014_253
; %bb.224:
	v_add_u32_e32 v10, 6, v1
	v_pk_mov_b32 v[52:53], 0, 0
	v_cmp_gt_u32_e32 vcc, s33, v10
	v_pk_mov_b32 v[50:51], v[52:53], v[52:53] op_sel:[0,1]
	v_pk_mov_b32 v[48:49], v[52:53], v[52:53] op_sel:[0,1]
	;; [unrolled: 1-line block ×14, first 2 shown]
	s_and_saveexec_b64 s[12:13], vcc
	s_cbranch_execz .LBB2014_252
; %bb.225:
	v_add_u32_e32 v10, 7, v1
	v_pk_mov_b32 v[50:51], 0, 0
	v_cmp_gt_u32_e32 vcc, s33, v10
	v_pk_mov_b32 v[48:49], v[50:51], v[50:51] op_sel:[0,1]
	v_pk_mov_b32 v[46:47], v[50:51], v[50:51] op_sel:[0,1]
	;; [unrolled: 1-line block ×13, first 2 shown]
	s_and_saveexec_b64 s[14:15], vcc
	s_cbranch_execz .LBB2014_251
; %bb.226:
	v_add_u32_e32 v10, 8, v1
	v_pk_mov_b32 v[48:49], 0, 0
	v_cmp_gt_u32_e32 vcc, s33, v10
	v_pk_mov_b32 v[46:47], v[48:49], v[48:49] op_sel:[0,1]
	v_pk_mov_b32 v[44:45], v[48:49], v[48:49] op_sel:[0,1]
	;; [unrolled: 1-line block ×12, first 2 shown]
	s_and_saveexec_b64 s[16:17], vcc
	s_cbranch_execz .LBB2014_250
; %bb.227:
	v_add_u32_e32 v10, 9, v1
	v_pk_mov_b32 v[46:47], 0, 0
	v_cmp_gt_u32_e32 vcc, s33, v10
	v_pk_mov_b32 v[44:45], v[46:47], v[46:47] op_sel:[0,1]
	v_pk_mov_b32 v[42:43], v[46:47], v[46:47] op_sel:[0,1]
	;; [unrolled: 1-line block ×11, first 2 shown]
	s_and_saveexec_b64 s[18:19], vcc
	s_cbranch_execz .LBB2014_249
; %bb.228:
	v_add_u32_e32 v10, 10, v1
	v_pk_mov_b32 v[44:45], 0, 0
	v_cmp_gt_u32_e32 vcc, s33, v10
	v_pk_mov_b32 v[42:43], v[44:45], v[44:45] op_sel:[0,1]
	v_pk_mov_b32 v[40:41], v[44:45], v[44:45] op_sel:[0,1]
	;; [unrolled: 1-line block ×10, first 2 shown]
	s_and_saveexec_b64 s[20:21], vcc
	s_cbranch_execz .LBB2014_248
; %bb.229:
	v_add_u32_e32 v10, 11, v1
	v_pk_mov_b32 v[42:43], 0, 0
	v_cmp_gt_u32_e32 vcc, s33, v10
	v_pk_mov_b32 v[40:41], v[42:43], v[42:43] op_sel:[0,1]
	v_pk_mov_b32 v[38:39], v[42:43], v[42:43] op_sel:[0,1]
	;; [unrolled: 1-line block ×9, first 2 shown]
	s_and_saveexec_b64 s[22:23], vcc
	s_cbranch_execz .LBB2014_247
; %bb.230:
	v_add_u32_e32 v10, 12, v1
	v_pk_mov_b32 v[40:41], 0, 0
	v_cmp_gt_u32_e32 vcc, s33, v10
	v_pk_mov_b32 v[38:39], v[40:41], v[40:41] op_sel:[0,1]
	v_pk_mov_b32 v[34:35], v[40:41], v[40:41] op_sel:[0,1]
	;; [unrolled: 1-line block ×8, first 2 shown]
	s_and_saveexec_b64 s[24:25], vcc
	s_cbranch_execz .LBB2014_246
; %bb.231:
	v_add_u32_e32 v10, 13, v1
	v_pk_mov_b32 v[38:39], 0, 0
	v_cmp_gt_u32_e32 vcc, s33, v10
	v_pk_mov_b32 v[34:35], v[38:39], v[38:39] op_sel:[0,1]
	v_pk_mov_b32 v[30:31], v[38:39], v[38:39] op_sel:[0,1]
	;; [unrolled: 1-line block ×7, first 2 shown]
	s_and_saveexec_b64 s[26:27], vcc
	s_cbranch_execz .LBB2014_245
; %bb.232:
	v_add_u32_e32 v10, 14, v1
	v_pk_mov_b32 v[34:35], 0, 0
	v_cmp_gt_u32_e32 vcc, s33, v10
	v_pk_mov_b32 v[30:31], v[34:35], v[34:35] op_sel:[0,1]
	v_pk_mov_b32 v[26:27], v[34:35], v[34:35] op_sel:[0,1]
	;; [unrolled: 1-line block ×6, first 2 shown]
	s_and_saveexec_b64 s[28:29], vcc
	s_cbranch_execz .LBB2014_244
; %bb.233:
	v_add_u32_e32 v10, 15, v1
	v_pk_mov_b32 v[30:31], 0, 0
	v_cmp_gt_u32_e32 vcc, s33, v10
	v_pk_mov_b32 v[26:27], v[30:31], v[30:31] op_sel:[0,1]
	v_pk_mov_b32 v[18:19], v[30:31], v[30:31] op_sel:[0,1]
	;; [unrolled: 1-line block ×5, first 2 shown]
	s_and_saveexec_b64 s[30:31], vcc
	s_cbranch_execz .LBB2014_243
; %bb.234:
	v_add_u32_e32 v10, 16, v1
	v_pk_mov_b32 v[26:27], 0, 0
	v_cmp_gt_u32_e32 vcc, s33, v10
	v_pk_mov_b32 v[18:19], v[26:27], v[26:27] op_sel:[0,1]
	v_pk_mov_b32 v[10:11], v[26:27], v[26:27] op_sel:[0,1]
	;; [unrolled: 1-line block ×4, first 2 shown]
	s_and_saveexec_b64 s[34:35], vcc
	s_cbranch_execz .LBB2014_242
; %bb.235:
	v_add_u32_e32 v10, 17, v1
	v_pk_mov_b32 v[18:19], 0, 0
	v_cmp_gt_u32_e32 vcc, s33, v10
	v_pk_mov_b32 v[10:11], v[18:19], v[18:19] op_sel:[0,1]
	v_pk_mov_b32 v[14:15], v[18:19], v[18:19] op_sel:[0,1]
	v_pk_mov_b32 v[22:23], v[18:19], v[18:19] op_sel:[0,1]
	s_and_saveexec_b64 s[36:37], vcc
	s_cbranch_execz .LBB2014_241
; %bb.236:
	v_add_u32_e32 v10, 18, v1
	v_cmp_gt_u32_e32 vcc, s33, v10
	v_pk_mov_b32 v[10:11], 0, 0
	v_pk_mov_b32 v[14:15], v[10:11], v[10:11] op_sel:[0,1]
	v_pk_mov_b32 v[22:23], v[10:11], v[10:11] op_sel:[0,1]
	s_and_saveexec_b64 s[38:39], vcc
	s_cbranch_execz .LBB2014_240
; %bb.237:
	v_add_u32_e32 v10, 19, v1
	v_pk_mov_b32 v[14:15], 0, 0
	v_cmp_gt_u32_e32 vcc, s33, v10
	v_pk_mov_b32 v[22:23], v[14:15], v[14:15] op_sel:[0,1]
	s_and_saveexec_b64 s[40:41], vcc
; %bb.238:
	v_add_u32_e32 v10, 20, v1
	v_cmp_gt_u32_e32 vcc, s33, v10
	v_cndmask_b32_e32 v23, 0, v5, vcc
	v_cndmask_b32_e32 v22, 0, v4, vcc
	v_pk_mov_b32 v[14:15], v[96:97], v[96:97] op_sel:[0,1]
; %bb.239:
	s_or_b64 exec, exec, s[40:41]
	v_pk_mov_b32 v[10:11], v[36:37], v[36:37] op_sel:[0,1]
.LBB2014_240:
	s_or_b64 exec, exec, s[38:39]
	v_pk_mov_b32 v[18:19], v[94:95], v[94:95] op_sel:[0,1]
.LBB2014_241:
	s_or_b64 exec, exec, s[36:37]
	v_pk_mov_b32 v[26:27], v[32:33], v[32:33] op_sel:[0,1]
.LBB2014_242:
	s_or_b64 exec, exec, s[34:35]
	v_pk_mov_b32 v[30:31], v[92:93], v[92:93] op_sel:[0,1]
.LBB2014_243:
	s_or_b64 exec, exec, s[30:31]
	v_pk_mov_b32 v[34:35], v[28:29], v[28:29] op_sel:[0,1]
.LBB2014_244:
	s_or_b64 exec, exec, s[28:29]
	v_pk_mov_b32 v[38:39], v[90:91], v[90:91] op_sel:[0,1]
.LBB2014_245:
	s_or_b64 exec, exec, s[26:27]
	v_pk_mov_b32 v[40:41], v[24:25], v[24:25] op_sel:[0,1]
.LBB2014_246:
	s_or_b64 exec, exec, s[24:25]
	v_pk_mov_b32 v[42:43], v[88:89], v[88:89] op_sel:[0,1]
.LBB2014_247:
	s_or_b64 exec, exec, s[22:23]
	v_pk_mov_b32 v[44:45], v[20:21], v[20:21] op_sel:[0,1]
.LBB2014_248:
	s_or_b64 exec, exec, s[20:21]
	v_pk_mov_b32 v[46:47], v[86:87], v[86:87] op_sel:[0,1]
.LBB2014_249:
	s_or_b64 exec, exec, s[18:19]
	v_pk_mov_b32 v[48:49], v[16:17], v[16:17] op_sel:[0,1]
.LBB2014_250:
	s_or_b64 exec, exec, s[16:17]
	v_pk_mov_b32 v[50:51], v[84:85], v[84:85] op_sel:[0,1]
.LBB2014_251:
	s_or_b64 exec, exec, s[14:15]
	v_pk_mov_b32 v[52:53], v[12:13], v[12:13] op_sel:[0,1]
.LBB2014_252:
	s_or_b64 exec, exec, s[12:13]
	v_pk_mov_b32 v[54:55], v[82:83], v[82:83] op_sel:[0,1]
.LBB2014_253:
	s_or_b64 exec, exec, s[10:11]
	v_pk_mov_b32 v[56:57], v[6:7], v[6:7] op_sel:[0,1]
.LBB2014_254:
	s_or_b64 exec, exec, s[8:9]
	v_pk_mov_b32 v[58:59], v[80:81], v[80:81] op_sel:[0,1]
.LBB2014_255:
	s_or_b64 exec, exec, s[6:7]
	v_pk_mov_b32 v[60:61], v[2:3], v[2:3] op_sel:[0,1]
.LBB2014_256:
	s_or_b64 exec, exec, s[4:5]
	v_pk_mov_b32 v[62:63], v[78:79], v[78:79] op_sel:[0,1]
.LBB2014_257:
	s_or_b64 exec, exec, s[2:3]
	v_pk_mov_b32 v[64:65], v[8:9], v[8:9] op_sel:[0,1]
.LBB2014_258:
	s_or_b64 exec, exec, s[0:1]
	v_lshlrev_b32_e32 v98, 3, v1
	s_movk_i32 s0, 0xff60
	s_waitcnt lgkmcnt(0)
	; wave barrier
	ds_write2_b64 v98, v[64:65], v[62:63] offset1:1
	ds_write2_b64 v98, v[60:61], v[58:59] offset0:2 offset1:3
	ds_write2_b64 v98, v[56:57], v[54:55] offset0:4 offset1:5
	;; [unrolled: 1-line block ×9, first 2 shown]
	ds_write_b64 v98, v[22:23] offset:160
	v_mad_i32_i24 v10, v0, s0, v98
	s_waitcnt lgkmcnt(0)
	; wave barrier
	s_waitcnt lgkmcnt(0)
	ds_read2st64_b64 v[74:77], v10 offset0:1 offset1:2
	ds_read2st64_b64 v[70:73], v10 offset0:3 offset1:4
	;; [unrolled: 1-line block ×10, first 2 shown]
	v_lshlrev_b32_e32 v10, 3, v0
	v_mov_b32_e32 v11, s43
	v_add_co_u32_e32 v10, vcc, s42, v10
	v_addc_co_u32_e32 v11, vcc, 0, v11, vcc
	v_mov_b32_e32 v1, 0
	v_cmp_gt_u32_e32 vcc, s33, v0
	s_and_saveexec_b64 s[0:1], vcc
	s_cbranch_execz .LBB2014_260
; %bb.259:
	v_mul_i32_i24_e32 v14, 0xffffff60, v0
	v_add_u32_e32 v14, v98, v14
	ds_read_b64 v[14:15], v14
	s_waitcnt lgkmcnt(0)
	flat_store_dwordx2 v[10:11], v[14:15]
.LBB2014_260:
	s_or_b64 exec, exec, s[0:1]
	v_or_b32_e32 v14, 64, v0
	v_cmp_gt_u32_e32 vcc, s33, v14
	s_and_saveexec_b64 s[0:1], vcc
	s_cbranch_execz .LBB2014_262
; %bb.261:
	s_waitcnt lgkmcnt(0)
	flat_store_dwordx2 v[10:11], v[74:75] offset:512
.LBB2014_262:
	s_or_b64 exec, exec, s[0:1]
	v_or_b32_e32 v14, 0x80, v0
	v_cmp_gt_u32_e32 vcc, s33, v14
	s_and_saveexec_b64 s[0:1], vcc
	s_cbranch_execz .LBB2014_264
; %bb.263:
	s_waitcnt lgkmcnt(0)
	flat_store_dwordx2 v[10:11], v[76:77] offset:1024
.LBB2014_264:
	;; [unrolled: 9-line block ×7, first 2 shown]
	s_or_b64 exec, exec, s[0:1]
	v_or_b32_e32 v14, 0x200, v0
	v_cmp_gt_u32_e32 vcc, s33, v14
	s_and_saveexec_b64 s[0:1], vcc
	s_cbranch_execz .LBB2014_276
; %bb.275:
	v_add_co_u32_e32 v14, vcc, 0x1000, v10
	v_addc_co_u32_e32 v15, vcc, 0, v11, vcc
	s_waitcnt lgkmcnt(0)
	flat_store_dwordx2 v[14:15], v[64:65]
.LBB2014_276:
	s_or_b64 exec, exec, s[0:1]
	v_or_b32_e32 v14, 0x240, v0
	v_cmp_gt_u32_e32 vcc, s33, v14
	s_and_saveexec_b64 s[0:1], vcc
	s_cbranch_execz .LBB2014_278
; %bb.277:
	v_add_co_u32_e32 v14, vcc, 0x1000, v10
	v_addc_co_u32_e32 v15, vcc, 0, v11, vcc
	s_waitcnt lgkmcnt(0)
	flat_store_dwordx2 v[14:15], v[58:59] offset:512
.LBB2014_278:
	s_or_b64 exec, exec, s[0:1]
	v_or_b32_e32 v14, 0x280, v0
	v_cmp_gt_u32_e32 vcc, s33, v14
	s_and_saveexec_b64 s[0:1], vcc
	s_cbranch_execz .LBB2014_280
; %bb.279:
	v_add_co_u32_e32 v14, vcc, 0x1000, v10
	v_addc_co_u32_e32 v15, vcc, 0, v11, vcc
	s_waitcnt lgkmcnt(0)
	flat_store_dwordx2 v[14:15], v[60:61] offset:1024
.LBB2014_280:
	;; [unrolled: 11-line block ×7, first 2 shown]
	s_or_b64 exec, exec, s[0:1]
	v_or_b32_e32 v14, 0x400, v0
	v_cmp_gt_u32_e32 vcc, s33, v14
	s_and_saveexec_b64 s[0:1], vcc
	s_cbranch_execz .LBB2014_292
; %bb.291:
	v_add_co_u32_e32 v14, vcc, 0x2000, v10
	v_addc_co_u32_e32 v15, vcc, 0, v11, vcc
	s_waitcnt lgkmcnt(0)
	flat_store_dwordx2 v[14:15], v[48:49]
.LBB2014_292:
	s_or_b64 exec, exec, s[0:1]
	v_or_b32_e32 v14, 0x440, v0
	v_cmp_gt_u32_e32 vcc, s33, v14
	s_and_saveexec_b64 s[0:1], vcc
	s_cbranch_execz .LBB2014_294
; %bb.293:
	v_add_co_u32_e32 v14, vcc, 0x2000, v10
	v_addc_co_u32_e32 v15, vcc, 0, v11, vcc
	s_waitcnt lgkmcnt(0)
	flat_store_dwordx2 v[14:15], v[42:43] offset:512
.LBB2014_294:
	s_or_b64 exec, exec, s[0:1]
	v_or_b32_e32 v14, 0x480, v0
	v_cmp_gt_u32_e32 vcc, s33, v14
	s_and_saveexec_b64 s[0:1], vcc
	s_cbranch_execz .LBB2014_296
; %bb.295:
	v_add_co_u32_e32 v14, vcc, 0x2000, v10
	v_addc_co_u32_e32 v15, vcc, 0, v11, vcc
	s_waitcnt lgkmcnt(0)
	flat_store_dwordx2 v[14:15], v[44:45] offset:1024
.LBB2014_296:
	s_or_b64 exec, exec, s[0:1]
	v_or_b32_e32 v14, 0x4c0, v0
	v_cmp_gt_u32_e32 vcc, s33, v14
	s_and_saveexec_b64 s[0:1], vcc
	s_cbranch_execz .LBB2014_298
; %bb.297:
	v_add_co_u32_e32 v10, vcc, 0x2000, v10
	v_addc_co_u32_e32 v11, vcc, 0, v11, vcc
	s_waitcnt lgkmcnt(0)
	flat_store_dwordx2 v[10:11], v[38:39] offset:1536
.LBB2014_298:
	s_or_b64 exec, exec, s[0:1]
	v_or_b32_e32 v10, 0x500, v0
	v_cmp_gt_u32_e64 s[0:1], s33, v10
	s_branch .LBB2014_301
.LBB2014_299:
	s_mov_b64 s[0:1], 0
                                        ; kill: def $vgpr10_vgpr11 killed $sgpr0_sgpr1 killed $exec
                                        ; implicit-def: $vgpr40_vgpr41
	s_cbranch_execz .LBB2014_301
; %bb.300:
	v_mul_u32_u24_e32 v1, 0xa8, v0
	s_waitcnt lgkmcnt(0)
	; wave barrier
	s_waitcnt lgkmcnt(0)
	s_movk_i32 s2, 0xa8
	ds_write2_b64 v1, v[8:9], v[78:79] offset1:1
	ds_write2_b64 v1, v[2:3], v[80:81] offset0:2 offset1:3
	ds_write2_b64 v1, v[6:7], v[82:83] offset0:4 offset1:5
	;; [unrolled: 1-line block ×9, first 2 shown]
	ds_write_b64 v1, v[4:5] offset:160
	v_mul_i32_i24_e32 v2, 0xffffff60, v0
	v_mad_u32_u24 v38, v0, s2, v2
	s_waitcnt lgkmcnt(0)
	; wave barrier
	s_waitcnt lgkmcnt(0)
	ds_read2st64_b64 v[2:5], v38 offset1:1
	ds_read2st64_b64 v[6:9], v38 offset0:2 offset1:3
	ds_read2st64_b64 v[10:13], v38 offset0:4 offset1:5
	;; [unrolled: 1-line block ×9, first 2 shown]
	ds_read_b64 v[40:41], v38 offset:10240
	v_lshlrev_b32_e32 v38, 3, v0
	v_mov_b32_e32 v39, s43
	v_add_co_u32_e32 v38, vcc, s42, v38
	v_addc_co_u32_e32 v39, vcc, 0, v39, vcc
	s_movk_i32 s2, 0x1000
	s_waitcnt lgkmcnt(0)
	flat_store_dwordx2 v[38:39], v[2:3]
	flat_store_dwordx2 v[38:39], v[4:5] offset:512
	flat_store_dwordx2 v[38:39], v[6:7] offset:1024
	;; [unrolled: 1-line block ×7, first 2 shown]
	v_add_co_u32_e32 v2, vcc, s2, v38
	v_addc_co_u32_e32 v3, vcc, 0, v39, vcc
	flat_store_dwordx2 v[2:3], v[18:19]
	flat_store_dwordx2 v[2:3], v[20:21] offset:512
	flat_store_dwordx2 v[2:3], v[22:23] offset:1024
	;; [unrolled: 1-line block ×7, first 2 shown]
	v_add_co_u32_e32 v2, vcc, 0x2000, v38
	v_mov_b32_e32 v1, 0
	v_addc_co_u32_e32 v3, vcc, 0, v39, vcc
	s_or_b64 s[0:1], s[0:1], exec
	flat_store_dwordx2 v[2:3], v[34:35]
	flat_store_dwordx2 v[2:3], v[36:37] offset:512
	flat_store_dwordx2 v[2:3], v[42:43] offset:1024
	;; [unrolled: 1-line block ×3, first 2 shown]
.LBB2014_301:
	s_and_saveexec_b64 s[2:3], s[0:1]
	s_cbranch_execnz .LBB2014_303
; %bb.302:
	s_endpgm
.LBB2014_303:
	v_lshlrev_b64 v[0:1], 3, v[0:1]
	v_mov_b32_e32 v2, s43
	v_add_co_u32_e32 v0, vcc, s42, v0
	v_addc_co_u32_e32 v1, vcc, v2, v1, vcc
	v_add_co_u32_e32 v0, vcc, 0x2000, v0
	v_addc_co_u32_e32 v1, vcc, 0, v1, vcc
	s_waitcnt lgkmcnt(0)
	flat_store_dwordx2 v[0:1], v[40:41] offset:2048
	s_endpgm
	.section	.rodata,"a",@progbits
	.p2align	6, 0x0
	.amdhsa_kernel _ZN7rocprim17ROCPRIM_400000_NS6detail17trampoline_kernelINS0_14default_configENS1_27scan_by_key_config_selectorIj11FixedVectorIiLj2EEEEZZNS1_16scan_by_key_implILNS1_25lookback_scan_determinismE0ELb1ES3_N6thrust23THRUST_200600_302600_NS6detail15normal_iteratorINSB_10device_ptrIjEEEENSD_INSE_IS6_EEEESI_S6_NSB_4plusIvEENSB_8equal_toIvEES6_EE10hipError_tPvRmT2_T3_T4_T5_mT6_T7_P12ihipStream_tbENKUlT_T0_E_clISt17integral_constantIbLb1EES12_IbLb0EEEEDaSY_SZ_EUlSY_E_NS1_11comp_targetILNS1_3genE4ELNS1_11target_archE910ELNS1_3gpuE8ELNS1_3repE0EEENS1_30default_config_static_selectorELNS0_4arch9wavefront6targetE1EEEvT1_
		.amdhsa_group_segment_fixed_size 10752
		.amdhsa_private_segment_fixed_size 0
		.amdhsa_kernarg_size 120
		.amdhsa_user_sgpr_count 6
		.amdhsa_user_sgpr_private_segment_buffer 1
		.amdhsa_user_sgpr_dispatch_ptr 0
		.amdhsa_user_sgpr_queue_ptr 0
		.amdhsa_user_sgpr_kernarg_segment_ptr 1
		.amdhsa_user_sgpr_dispatch_id 0
		.amdhsa_user_sgpr_flat_scratch_init 0
		.amdhsa_user_sgpr_kernarg_preload_length 0
		.amdhsa_user_sgpr_kernarg_preload_offset 0
		.amdhsa_user_sgpr_private_segment_size 0
		.amdhsa_uses_dynamic_stack 0
		.amdhsa_system_sgpr_private_segment_wavefront_offset 0
		.amdhsa_system_sgpr_workgroup_id_x 1
		.amdhsa_system_sgpr_workgroup_id_y 0
		.amdhsa_system_sgpr_workgroup_id_z 0
		.amdhsa_system_sgpr_workgroup_info 0
		.amdhsa_system_vgpr_workitem_id 0
		.amdhsa_next_free_vgpr 126
		.amdhsa_next_free_sgpr 76
		.amdhsa_accum_offset 128
		.amdhsa_reserve_vcc 1
		.amdhsa_reserve_flat_scratch 0
		.amdhsa_float_round_mode_32 0
		.amdhsa_float_round_mode_16_64 0
		.amdhsa_float_denorm_mode_32 3
		.amdhsa_float_denorm_mode_16_64 3
		.amdhsa_dx10_clamp 1
		.amdhsa_ieee_mode 1
		.amdhsa_fp16_overflow 0
		.amdhsa_tg_split 0
		.amdhsa_exception_fp_ieee_invalid_op 0
		.amdhsa_exception_fp_denorm_src 0
		.amdhsa_exception_fp_ieee_div_zero 0
		.amdhsa_exception_fp_ieee_overflow 0
		.amdhsa_exception_fp_ieee_underflow 0
		.amdhsa_exception_fp_ieee_inexact 0
		.amdhsa_exception_int_div_zero 0
	.end_amdhsa_kernel
	.section	.text._ZN7rocprim17ROCPRIM_400000_NS6detail17trampoline_kernelINS0_14default_configENS1_27scan_by_key_config_selectorIj11FixedVectorIiLj2EEEEZZNS1_16scan_by_key_implILNS1_25lookback_scan_determinismE0ELb1ES3_N6thrust23THRUST_200600_302600_NS6detail15normal_iteratorINSB_10device_ptrIjEEEENSD_INSE_IS6_EEEESI_S6_NSB_4plusIvEENSB_8equal_toIvEES6_EE10hipError_tPvRmT2_T3_T4_T5_mT6_T7_P12ihipStream_tbENKUlT_T0_E_clISt17integral_constantIbLb1EES12_IbLb0EEEEDaSY_SZ_EUlSY_E_NS1_11comp_targetILNS1_3genE4ELNS1_11target_archE910ELNS1_3gpuE8ELNS1_3repE0EEENS1_30default_config_static_selectorELNS0_4arch9wavefront6targetE1EEEvT1_,"axG",@progbits,_ZN7rocprim17ROCPRIM_400000_NS6detail17trampoline_kernelINS0_14default_configENS1_27scan_by_key_config_selectorIj11FixedVectorIiLj2EEEEZZNS1_16scan_by_key_implILNS1_25lookback_scan_determinismE0ELb1ES3_N6thrust23THRUST_200600_302600_NS6detail15normal_iteratorINSB_10device_ptrIjEEEENSD_INSE_IS6_EEEESI_S6_NSB_4plusIvEENSB_8equal_toIvEES6_EE10hipError_tPvRmT2_T3_T4_T5_mT6_T7_P12ihipStream_tbENKUlT_T0_E_clISt17integral_constantIbLb1EES12_IbLb0EEEEDaSY_SZ_EUlSY_E_NS1_11comp_targetILNS1_3genE4ELNS1_11target_archE910ELNS1_3gpuE8ELNS1_3repE0EEENS1_30default_config_static_selectorELNS0_4arch9wavefront6targetE1EEEvT1_,comdat
.Lfunc_end2014:
	.size	_ZN7rocprim17ROCPRIM_400000_NS6detail17trampoline_kernelINS0_14default_configENS1_27scan_by_key_config_selectorIj11FixedVectorIiLj2EEEEZZNS1_16scan_by_key_implILNS1_25lookback_scan_determinismE0ELb1ES3_N6thrust23THRUST_200600_302600_NS6detail15normal_iteratorINSB_10device_ptrIjEEEENSD_INSE_IS6_EEEESI_S6_NSB_4plusIvEENSB_8equal_toIvEES6_EE10hipError_tPvRmT2_T3_T4_T5_mT6_T7_P12ihipStream_tbENKUlT_T0_E_clISt17integral_constantIbLb1EES12_IbLb0EEEEDaSY_SZ_EUlSY_E_NS1_11comp_targetILNS1_3genE4ELNS1_11target_archE910ELNS1_3gpuE8ELNS1_3repE0EEENS1_30default_config_static_selectorELNS0_4arch9wavefront6targetE1EEEvT1_, .Lfunc_end2014-_ZN7rocprim17ROCPRIM_400000_NS6detail17trampoline_kernelINS0_14default_configENS1_27scan_by_key_config_selectorIj11FixedVectorIiLj2EEEEZZNS1_16scan_by_key_implILNS1_25lookback_scan_determinismE0ELb1ES3_N6thrust23THRUST_200600_302600_NS6detail15normal_iteratorINSB_10device_ptrIjEEEENSD_INSE_IS6_EEEESI_S6_NSB_4plusIvEENSB_8equal_toIvEES6_EE10hipError_tPvRmT2_T3_T4_T5_mT6_T7_P12ihipStream_tbENKUlT_T0_E_clISt17integral_constantIbLb1EES12_IbLb0EEEEDaSY_SZ_EUlSY_E_NS1_11comp_targetILNS1_3genE4ELNS1_11target_archE910ELNS1_3gpuE8ELNS1_3repE0EEENS1_30default_config_static_selectorELNS0_4arch9wavefront6targetE1EEEvT1_
                                        ; -- End function
	.section	.AMDGPU.csdata,"",@progbits
; Kernel info:
; codeLenInByte = 19040
; NumSgprs: 80
; NumVgprs: 126
; NumAgprs: 0
; TotalNumVgprs: 126
; ScratchSize: 0
; MemoryBound: 0
; FloatMode: 240
; IeeeMode: 1
; LDSByteSize: 10752 bytes/workgroup (compile time only)
; SGPRBlocks: 9
; VGPRBlocks: 15
; NumSGPRsForWavesPerEU: 80
; NumVGPRsForWavesPerEU: 126
; AccumOffset: 128
; Occupancy: 2
; WaveLimiterHint : 1
; COMPUTE_PGM_RSRC2:SCRATCH_EN: 0
; COMPUTE_PGM_RSRC2:USER_SGPR: 6
; COMPUTE_PGM_RSRC2:TRAP_HANDLER: 0
; COMPUTE_PGM_RSRC2:TGID_X_EN: 1
; COMPUTE_PGM_RSRC2:TGID_Y_EN: 0
; COMPUTE_PGM_RSRC2:TGID_Z_EN: 0
; COMPUTE_PGM_RSRC2:TIDIG_COMP_CNT: 0
; COMPUTE_PGM_RSRC3_GFX90A:ACCUM_OFFSET: 31
; COMPUTE_PGM_RSRC3_GFX90A:TG_SPLIT: 0
	.section	.text._ZN7rocprim17ROCPRIM_400000_NS6detail17trampoline_kernelINS0_14default_configENS1_27scan_by_key_config_selectorIj11FixedVectorIiLj2EEEEZZNS1_16scan_by_key_implILNS1_25lookback_scan_determinismE0ELb1ES3_N6thrust23THRUST_200600_302600_NS6detail15normal_iteratorINSB_10device_ptrIjEEEENSD_INSE_IS6_EEEESI_S6_NSB_4plusIvEENSB_8equal_toIvEES6_EE10hipError_tPvRmT2_T3_T4_T5_mT6_T7_P12ihipStream_tbENKUlT_T0_E_clISt17integral_constantIbLb1EES12_IbLb0EEEEDaSY_SZ_EUlSY_E_NS1_11comp_targetILNS1_3genE3ELNS1_11target_archE908ELNS1_3gpuE7ELNS1_3repE0EEENS1_30default_config_static_selectorELNS0_4arch9wavefront6targetE1EEEvT1_,"axG",@progbits,_ZN7rocprim17ROCPRIM_400000_NS6detail17trampoline_kernelINS0_14default_configENS1_27scan_by_key_config_selectorIj11FixedVectorIiLj2EEEEZZNS1_16scan_by_key_implILNS1_25lookback_scan_determinismE0ELb1ES3_N6thrust23THRUST_200600_302600_NS6detail15normal_iteratorINSB_10device_ptrIjEEEENSD_INSE_IS6_EEEESI_S6_NSB_4plusIvEENSB_8equal_toIvEES6_EE10hipError_tPvRmT2_T3_T4_T5_mT6_T7_P12ihipStream_tbENKUlT_T0_E_clISt17integral_constantIbLb1EES12_IbLb0EEEEDaSY_SZ_EUlSY_E_NS1_11comp_targetILNS1_3genE3ELNS1_11target_archE908ELNS1_3gpuE7ELNS1_3repE0EEENS1_30default_config_static_selectorELNS0_4arch9wavefront6targetE1EEEvT1_,comdat
	.protected	_ZN7rocprim17ROCPRIM_400000_NS6detail17trampoline_kernelINS0_14default_configENS1_27scan_by_key_config_selectorIj11FixedVectorIiLj2EEEEZZNS1_16scan_by_key_implILNS1_25lookback_scan_determinismE0ELb1ES3_N6thrust23THRUST_200600_302600_NS6detail15normal_iteratorINSB_10device_ptrIjEEEENSD_INSE_IS6_EEEESI_S6_NSB_4plusIvEENSB_8equal_toIvEES6_EE10hipError_tPvRmT2_T3_T4_T5_mT6_T7_P12ihipStream_tbENKUlT_T0_E_clISt17integral_constantIbLb1EES12_IbLb0EEEEDaSY_SZ_EUlSY_E_NS1_11comp_targetILNS1_3genE3ELNS1_11target_archE908ELNS1_3gpuE7ELNS1_3repE0EEENS1_30default_config_static_selectorELNS0_4arch9wavefront6targetE1EEEvT1_ ; -- Begin function _ZN7rocprim17ROCPRIM_400000_NS6detail17trampoline_kernelINS0_14default_configENS1_27scan_by_key_config_selectorIj11FixedVectorIiLj2EEEEZZNS1_16scan_by_key_implILNS1_25lookback_scan_determinismE0ELb1ES3_N6thrust23THRUST_200600_302600_NS6detail15normal_iteratorINSB_10device_ptrIjEEEENSD_INSE_IS6_EEEESI_S6_NSB_4plusIvEENSB_8equal_toIvEES6_EE10hipError_tPvRmT2_T3_T4_T5_mT6_T7_P12ihipStream_tbENKUlT_T0_E_clISt17integral_constantIbLb1EES12_IbLb0EEEEDaSY_SZ_EUlSY_E_NS1_11comp_targetILNS1_3genE3ELNS1_11target_archE908ELNS1_3gpuE7ELNS1_3repE0EEENS1_30default_config_static_selectorELNS0_4arch9wavefront6targetE1EEEvT1_
	.globl	_ZN7rocprim17ROCPRIM_400000_NS6detail17trampoline_kernelINS0_14default_configENS1_27scan_by_key_config_selectorIj11FixedVectorIiLj2EEEEZZNS1_16scan_by_key_implILNS1_25lookback_scan_determinismE0ELb1ES3_N6thrust23THRUST_200600_302600_NS6detail15normal_iteratorINSB_10device_ptrIjEEEENSD_INSE_IS6_EEEESI_S6_NSB_4plusIvEENSB_8equal_toIvEES6_EE10hipError_tPvRmT2_T3_T4_T5_mT6_T7_P12ihipStream_tbENKUlT_T0_E_clISt17integral_constantIbLb1EES12_IbLb0EEEEDaSY_SZ_EUlSY_E_NS1_11comp_targetILNS1_3genE3ELNS1_11target_archE908ELNS1_3gpuE7ELNS1_3repE0EEENS1_30default_config_static_selectorELNS0_4arch9wavefront6targetE1EEEvT1_
	.p2align	8
	.type	_ZN7rocprim17ROCPRIM_400000_NS6detail17trampoline_kernelINS0_14default_configENS1_27scan_by_key_config_selectorIj11FixedVectorIiLj2EEEEZZNS1_16scan_by_key_implILNS1_25lookback_scan_determinismE0ELb1ES3_N6thrust23THRUST_200600_302600_NS6detail15normal_iteratorINSB_10device_ptrIjEEEENSD_INSE_IS6_EEEESI_S6_NSB_4plusIvEENSB_8equal_toIvEES6_EE10hipError_tPvRmT2_T3_T4_T5_mT6_T7_P12ihipStream_tbENKUlT_T0_E_clISt17integral_constantIbLb1EES12_IbLb0EEEEDaSY_SZ_EUlSY_E_NS1_11comp_targetILNS1_3genE3ELNS1_11target_archE908ELNS1_3gpuE7ELNS1_3repE0EEENS1_30default_config_static_selectorELNS0_4arch9wavefront6targetE1EEEvT1_,@function
_ZN7rocprim17ROCPRIM_400000_NS6detail17trampoline_kernelINS0_14default_configENS1_27scan_by_key_config_selectorIj11FixedVectorIiLj2EEEEZZNS1_16scan_by_key_implILNS1_25lookback_scan_determinismE0ELb1ES3_N6thrust23THRUST_200600_302600_NS6detail15normal_iteratorINSB_10device_ptrIjEEEENSD_INSE_IS6_EEEESI_S6_NSB_4plusIvEENSB_8equal_toIvEES6_EE10hipError_tPvRmT2_T3_T4_T5_mT6_T7_P12ihipStream_tbENKUlT_T0_E_clISt17integral_constantIbLb1EES12_IbLb0EEEEDaSY_SZ_EUlSY_E_NS1_11comp_targetILNS1_3genE3ELNS1_11target_archE908ELNS1_3gpuE7ELNS1_3repE0EEENS1_30default_config_static_selectorELNS0_4arch9wavefront6targetE1EEEvT1_: ; @_ZN7rocprim17ROCPRIM_400000_NS6detail17trampoline_kernelINS0_14default_configENS1_27scan_by_key_config_selectorIj11FixedVectorIiLj2EEEEZZNS1_16scan_by_key_implILNS1_25lookback_scan_determinismE0ELb1ES3_N6thrust23THRUST_200600_302600_NS6detail15normal_iteratorINSB_10device_ptrIjEEEENSD_INSE_IS6_EEEESI_S6_NSB_4plusIvEENSB_8equal_toIvEES6_EE10hipError_tPvRmT2_T3_T4_T5_mT6_T7_P12ihipStream_tbENKUlT_T0_E_clISt17integral_constantIbLb1EES12_IbLb0EEEEDaSY_SZ_EUlSY_E_NS1_11comp_targetILNS1_3genE3ELNS1_11target_archE908ELNS1_3gpuE7ELNS1_3repE0EEENS1_30default_config_static_selectorELNS0_4arch9wavefront6targetE1EEEvT1_
; %bb.0:
	.section	.rodata,"a",@progbits
	.p2align	6, 0x0
	.amdhsa_kernel _ZN7rocprim17ROCPRIM_400000_NS6detail17trampoline_kernelINS0_14default_configENS1_27scan_by_key_config_selectorIj11FixedVectorIiLj2EEEEZZNS1_16scan_by_key_implILNS1_25lookback_scan_determinismE0ELb1ES3_N6thrust23THRUST_200600_302600_NS6detail15normal_iteratorINSB_10device_ptrIjEEEENSD_INSE_IS6_EEEESI_S6_NSB_4plusIvEENSB_8equal_toIvEES6_EE10hipError_tPvRmT2_T3_T4_T5_mT6_T7_P12ihipStream_tbENKUlT_T0_E_clISt17integral_constantIbLb1EES12_IbLb0EEEEDaSY_SZ_EUlSY_E_NS1_11comp_targetILNS1_3genE3ELNS1_11target_archE908ELNS1_3gpuE7ELNS1_3repE0EEENS1_30default_config_static_selectorELNS0_4arch9wavefront6targetE1EEEvT1_
		.amdhsa_group_segment_fixed_size 0
		.amdhsa_private_segment_fixed_size 0
		.amdhsa_kernarg_size 120
		.amdhsa_user_sgpr_count 6
		.amdhsa_user_sgpr_private_segment_buffer 1
		.amdhsa_user_sgpr_dispatch_ptr 0
		.amdhsa_user_sgpr_queue_ptr 0
		.amdhsa_user_sgpr_kernarg_segment_ptr 1
		.amdhsa_user_sgpr_dispatch_id 0
		.amdhsa_user_sgpr_flat_scratch_init 0
		.amdhsa_user_sgpr_kernarg_preload_length 0
		.amdhsa_user_sgpr_kernarg_preload_offset 0
		.amdhsa_user_sgpr_private_segment_size 0
		.amdhsa_uses_dynamic_stack 0
		.amdhsa_system_sgpr_private_segment_wavefront_offset 0
		.amdhsa_system_sgpr_workgroup_id_x 1
		.amdhsa_system_sgpr_workgroup_id_y 0
		.amdhsa_system_sgpr_workgroup_id_z 0
		.amdhsa_system_sgpr_workgroup_info 0
		.amdhsa_system_vgpr_workitem_id 0
		.amdhsa_next_free_vgpr 1
		.amdhsa_next_free_sgpr 0
		.amdhsa_accum_offset 4
		.amdhsa_reserve_vcc 0
		.amdhsa_reserve_flat_scratch 0
		.amdhsa_float_round_mode_32 0
		.amdhsa_float_round_mode_16_64 0
		.amdhsa_float_denorm_mode_32 3
		.amdhsa_float_denorm_mode_16_64 3
		.amdhsa_dx10_clamp 1
		.amdhsa_ieee_mode 1
		.amdhsa_fp16_overflow 0
		.amdhsa_tg_split 0
		.amdhsa_exception_fp_ieee_invalid_op 0
		.amdhsa_exception_fp_denorm_src 0
		.amdhsa_exception_fp_ieee_div_zero 0
		.amdhsa_exception_fp_ieee_overflow 0
		.amdhsa_exception_fp_ieee_underflow 0
		.amdhsa_exception_fp_ieee_inexact 0
		.amdhsa_exception_int_div_zero 0
	.end_amdhsa_kernel
	.section	.text._ZN7rocprim17ROCPRIM_400000_NS6detail17trampoline_kernelINS0_14default_configENS1_27scan_by_key_config_selectorIj11FixedVectorIiLj2EEEEZZNS1_16scan_by_key_implILNS1_25lookback_scan_determinismE0ELb1ES3_N6thrust23THRUST_200600_302600_NS6detail15normal_iteratorINSB_10device_ptrIjEEEENSD_INSE_IS6_EEEESI_S6_NSB_4plusIvEENSB_8equal_toIvEES6_EE10hipError_tPvRmT2_T3_T4_T5_mT6_T7_P12ihipStream_tbENKUlT_T0_E_clISt17integral_constantIbLb1EES12_IbLb0EEEEDaSY_SZ_EUlSY_E_NS1_11comp_targetILNS1_3genE3ELNS1_11target_archE908ELNS1_3gpuE7ELNS1_3repE0EEENS1_30default_config_static_selectorELNS0_4arch9wavefront6targetE1EEEvT1_,"axG",@progbits,_ZN7rocprim17ROCPRIM_400000_NS6detail17trampoline_kernelINS0_14default_configENS1_27scan_by_key_config_selectorIj11FixedVectorIiLj2EEEEZZNS1_16scan_by_key_implILNS1_25lookback_scan_determinismE0ELb1ES3_N6thrust23THRUST_200600_302600_NS6detail15normal_iteratorINSB_10device_ptrIjEEEENSD_INSE_IS6_EEEESI_S6_NSB_4plusIvEENSB_8equal_toIvEES6_EE10hipError_tPvRmT2_T3_T4_T5_mT6_T7_P12ihipStream_tbENKUlT_T0_E_clISt17integral_constantIbLb1EES12_IbLb0EEEEDaSY_SZ_EUlSY_E_NS1_11comp_targetILNS1_3genE3ELNS1_11target_archE908ELNS1_3gpuE7ELNS1_3repE0EEENS1_30default_config_static_selectorELNS0_4arch9wavefront6targetE1EEEvT1_,comdat
.Lfunc_end2015:
	.size	_ZN7rocprim17ROCPRIM_400000_NS6detail17trampoline_kernelINS0_14default_configENS1_27scan_by_key_config_selectorIj11FixedVectorIiLj2EEEEZZNS1_16scan_by_key_implILNS1_25lookback_scan_determinismE0ELb1ES3_N6thrust23THRUST_200600_302600_NS6detail15normal_iteratorINSB_10device_ptrIjEEEENSD_INSE_IS6_EEEESI_S6_NSB_4plusIvEENSB_8equal_toIvEES6_EE10hipError_tPvRmT2_T3_T4_T5_mT6_T7_P12ihipStream_tbENKUlT_T0_E_clISt17integral_constantIbLb1EES12_IbLb0EEEEDaSY_SZ_EUlSY_E_NS1_11comp_targetILNS1_3genE3ELNS1_11target_archE908ELNS1_3gpuE7ELNS1_3repE0EEENS1_30default_config_static_selectorELNS0_4arch9wavefront6targetE1EEEvT1_, .Lfunc_end2015-_ZN7rocprim17ROCPRIM_400000_NS6detail17trampoline_kernelINS0_14default_configENS1_27scan_by_key_config_selectorIj11FixedVectorIiLj2EEEEZZNS1_16scan_by_key_implILNS1_25lookback_scan_determinismE0ELb1ES3_N6thrust23THRUST_200600_302600_NS6detail15normal_iteratorINSB_10device_ptrIjEEEENSD_INSE_IS6_EEEESI_S6_NSB_4plusIvEENSB_8equal_toIvEES6_EE10hipError_tPvRmT2_T3_T4_T5_mT6_T7_P12ihipStream_tbENKUlT_T0_E_clISt17integral_constantIbLb1EES12_IbLb0EEEEDaSY_SZ_EUlSY_E_NS1_11comp_targetILNS1_3genE3ELNS1_11target_archE908ELNS1_3gpuE7ELNS1_3repE0EEENS1_30default_config_static_selectorELNS0_4arch9wavefront6targetE1EEEvT1_
                                        ; -- End function
	.section	.AMDGPU.csdata,"",@progbits
; Kernel info:
; codeLenInByte = 0
; NumSgprs: 4
; NumVgprs: 0
; NumAgprs: 0
; TotalNumVgprs: 0
; ScratchSize: 0
; MemoryBound: 0
; FloatMode: 240
; IeeeMode: 1
; LDSByteSize: 0 bytes/workgroup (compile time only)
; SGPRBlocks: 0
; VGPRBlocks: 0
; NumSGPRsForWavesPerEU: 4
; NumVGPRsForWavesPerEU: 1
; AccumOffset: 4
; Occupancy: 8
; WaveLimiterHint : 0
; COMPUTE_PGM_RSRC2:SCRATCH_EN: 0
; COMPUTE_PGM_RSRC2:USER_SGPR: 6
; COMPUTE_PGM_RSRC2:TRAP_HANDLER: 0
; COMPUTE_PGM_RSRC2:TGID_X_EN: 1
; COMPUTE_PGM_RSRC2:TGID_Y_EN: 0
; COMPUTE_PGM_RSRC2:TGID_Z_EN: 0
; COMPUTE_PGM_RSRC2:TIDIG_COMP_CNT: 0
; COMPUTE_PGM_RSRC3_GFX90A:ACCUM_OFFSET: 0
; COMPUTE_PGM_RSRC3_GFX90A:TG_SPLIT: 0
	.section	.text._ZN7rocprim17ROCPRIM_400000_NS6detail17trampoline_kernelINS0_14default_configENS1_27scan_by_key_config_selectorIj11FixedVectorIiLj2EEEEZZNS1_16scan_by_key_implILNS1_25lookback_scan_determinismE0ELb1ES3_N6thrust23THRUST_200600_302600_NS6detail15normal_iteratorINSB_10device_ptrIjEEEENSD_INSE_IS6_EEEESI_S6_NSB_4plusIvEENSB_8equal_toIvEES6_EE10hipError_tPvRmT2_T3_T4_T5_mT6_T7_P12ihipStream_tbENKUlT_T0_E_clISt17integral_constantIbLb1EES12_IbLb0EEEEDaSY_SZ_EUlSY_E_NS1_11comp_targetILNS1_3genE2ELNS1_11target_archE906ELNS1_3gpuE6ELNS1_3repE0EEENS1_30default_config_static_selectorELNS0_4arch9wavefront6targetE1EEEvT1_,"axG",@progbits,_ZN7rocprim17ROCPRIM_400000_NS6detail17trampoline_kernelINS0_14default_configENS1_27scan_by_key_config_selectorIj11FixedVectorIiLj2EEEEZZNS1_16scan_by_key_implILNS1_25lookback_scan_determinismE0ELb1ES3_N6thrust23THRUST_200600_302600_NS6detail15normal_iteratorINSB_10device_ptrIjEEEENSD_INSE_IS6_EEEESI_S6_NSB_4plusIvEENSB_8equal_toIvEES6_EE10hipError_tPvRmT2_T3_T4_T5_mT6_T7_P12ihipStream_tbENKUlT_T0_E_clISt17integral_constantIbLb1EES12_IbLb0EEEEDaSY_SZ_EUlSY_E_NS1_11comp_targetILNS1_3genE2ELNS1_11target_archE906ELNS1_3gpuE6ELNS1_3repE0EEENS1_30default_config_static_selectorELNS0_4arch9wavefront6targetE1EEEvT1_,comdat
	.protected	_ZN7rocprim17ROCPRIM_400000_NS6detail17trampoline_kernelINS0_14default_configENS1_27scan_by_key_config_selectorIj11FixedVectorIiLj2EEEEZZNS1_16scan_by_key_implILNS1_25lookback_scan_determinismE0ELb1ES3_N6thrust23THRUST_200600_302600_NS6detail15normal_iteratorINSB_10device_ptrIjEEEENSD_INSE_IS6_EEEESI_S6_NSB_4plusIvEENSB_8equal_toIvEES6_EE10hipError_tPvRmT2_T3_T4_T5_mT6_T7_P12ihipStream_tbENKUlT_T0_E_clISt17integral_constantIbLb1EES12_IbLb0EEEEDaSY_SZ_EUlSY_E_NS1_11comp_targetILNS1_3genE2ELNS1_11target_archE906ELNS1_3gpuE6ELNS1_3repE0EEENS1_30default_config_static_selectorELNS0_4arch9wavefront6targetE1EEEvT1_ ; -- Begin function _ZN7rocprim17ROCPRIM_400000_NS6detail17trampoline_kernelINS0_14default_configENS1_27scan_by_key_config_selectorIj11FixedVectorIiLj2EEEEZZNS1_16scan_by_key_implILNS1_25lookback_scan_determinismE0ELb1ES3_N6thrust23THRUST_200600_302600_NS6detail15normal_iteratorINSB_10device_ptrIjEEEENSD_INSE_IS6_EEEESI_S6_NSB_4plusIvEENSB_8equal_toIvEES6_EE10hipError_tPvRmT2_T3_T4_T5_mT6_T7_P12ihipStream_tbENKUlT_T0_E_clISt17integral_constantIbLb1EES12_IbLb0EEEEDaSY_SZ_EUlSY_E_NS1_11comp_targetILNS1_3genE2ELNS1_11target_archE906ELNS1_3gpuE6ELNS1_3repE0EEENS1_30default_config_static_selectorELNS0_4arch9wavefront6targetE1EEEvT1_
	.globl	_ZN7rocprim17ROCPRIM_400000_NS6detail17trampoline_kernelINS0_14default_configENS1_27scan_by_key_config_selectorIj11FixedVectorIiLj2EEEEZZNS1_16scan_by_key_implILNS1_25lookback_scan_determinismE0ELb1ES3_N6thrust23THRUST_200600_302600_NS6detail15normal_iteratorINSB_10device_ptrIjEEEENSD_INSE_IS6_EEEESI_S6_NSB_4plusIvEENSB_8equal_toIvEES6_EE10hipError_tPvRmT2_T3_T4_T5_mT6_T7_P12ihipStream_tbENKUlT_T0_E_clISt17integral_constantIbLb1EES12_IbLb0EEEEDaSY_SZ_EUlSY_E_NS1_11comp_targetILNS1_3genE2ELNS1_11target_archE906ELNS1_3gpuE6ELNS1_3repE0EEENS1_30default_config_static_selectorELNS0_4arch9wavefront6targetE1EEEvT1_
	.p2align	8
	.type	_ZN7rocprim17ROCPRIM_400000_NS6detail17trampoline_kernelINS0_14default_configENS1_27scan_by_key_config_selectorIj11FixedVectorIiLj2EEEEZZNS1_16scan_by_key_implILNS1_25lookback_scan_determinismE0ELb1ES3_N6thrust23THRUST_200600_302600_NS6detail15normal_iteratorINSB_10device_ptrIjEEEENSD_INSE_IS6_EEEESI_S6_NSB_4plusIvEENSB_8equal_toIvEES6_EE10hipError_tPvRmT2_T3_T4_T5_mT6_T7_P12ihipStream_tbENKUlT_T0_E_clISt17integral_constantIbLb1EES12_IbLb0EEEEDaSY_SZ_EUlSY_E_NS1_11comp_targetILNS1_3genE2ELNS1_11target_archE906ELNS1_3gpuE6ELNS1_3repE0EEENS1_30default_config_static_selectorELNS0_4arch9wavefront6targetE1EEEvT1_,@function
_ZN7rocprim17ROCPRIM_400000_NS6detail17trampoline_kernelINS0_14default_configENS1_27scan_by_key_config_selectorIj11FixedVectorIiLj2EEEEZZNS1_16scan_by_key_implILNS1_25lookback_scan_determinismE0ELb1ES3_N6thrust23THRUST_200600_302600_NS6detail15normal_iteratorINSB_10device_ptrIjEEEENSD_INSE_IS6_EEEESI_S6_NSB_4plusIvEENSB_8equal_toIvEES6_EE10hipError_tPvRmT2_T3_T4_T5_mT6_T7_P12ihipStream_tbENKUlT_T0_E_clISt17integral_constantIbLb1EES12_IbLb0EEEEDaSY_SZ_EUlSY_E_NS1_11comp_targetILNS1_3genE2ELNS1_11target_archE906ELNS1_3gpuE6ELNS1_3repE0EEENS1_30default_config_static_selectorELNS0_4arch9wavefront6targetE1EEEvT1_: ; @_ZN7rocprim17ROCPRIM_400000_NS6detail17trampoline_kernelINS0_14default_configENS1_27scan_by_key_config_selectorIj11FixedVectorIiLj2EEEEZZNS1_16scan_by_key_implILNS1_25lookback_scan_determinismE0ELb1ES3_N6thrust23THRUST_200600_302600_NS6detail15normal_iteratorINSB_10device_ptrIjEEEENSD_INSE_IS6_EEEESI_S6_NSB_4plusIvEENSB_8equal_toIvEES6_EE10hipError_tPvRmT2_T3_T4_T5_mT6_T7_P12ihipStream_tbENKUlT_T0_E_clISt17integral_constantIbLb1EES12_IbLb0EEEEDaSY_SZ_EUlSY_E_NS1_11comp_targetILNS1_3genE2ELNS1_11target_archE906ELNS1_3gpuE6ELNS1_3repE0EEENS1_30default_config_static_selectorELNS0_4arch9wavefront6targetE1EEEvT1_
; %bb.0:
	.section	.rodata,"a",@progbits
	.p2align	6, 0x0
	.amdhsa_kernel _ZN7rocprim17ROCPRIM_400000_NS6detail17trampoline_kernelINS0_14default_configENS1_27scan_by_key_config_selectorIj11FixedVectorIiLj2EEEEZZNS1_16scan_by_key_implILNS1_25lookback_scan_determinismE0ELb1ES3_N6thrust23THRUST_200600_302600_NS6detail15normal_iteratorINSB_10device_ptrIjEEEENSD_INSE_IS6_EEEESI_S6_NSB_4plusIvEENSB_8equal_toIvEES6_EE10hipError_tPvRmT2_T3_T4_T5_mT6_T7_P12ihipStream_tbENKUlT_T0_E_clISt17integral_constantIbLb1EES12_IbLb0EEEEDaSY_SZ_EUlSY_E_NS1_11comp_targetILNS1_3genE2ELNS1_11target_archE906ELNS1_3gpuE6ELNS1_3repE0EEENS1_30default_config_static_selectorELNS0_4arch9wavefront6targetE1EEEvT1_
		.amdhsa_group_segment_fixed_size 0
		.amdhsa_private_segment_fixed_size 0
		.amdhsa_kernarg_size 120
		.amdhsa_user_sgpr_count 6
		.amdhsa_user_sgpr_private_segment_buffer 1
		.amdhsa_user_sgpr_dispatch_ptr 0
		.amdhsa_user_sgpr_queue_ptr 0
		.amdhsa_user_sgpr_kernarg_segment_ptr 1
		.amdhsa_user_sgpr_dispatch_id 0
		.amdhsa_user_sgpr_flat_scratch_init 0
		.amdhsa_user_sgpr_kernarg_preload_length 0
		.amdhsa_user_sgpr_kernarg_preload_offset 0
		.amdhsa_user_sgpr_private_segment_size 0
		.amdhsa_uses_dynamic_stack 0
		.amdhsa_system_sgpr_private_segment_wavefront_offset 0
		.amdhsa_system_sgpr_workgroup_id_x 1
		.amdhsa_system_sgpr_workgroup_id_y 0
		.amdhsa_system_sgpr_workgroup_id_z 0
		.amdhsa_system_sgpr_workgroup_info 0
		.amdhsa_system_vgpr_workitem_id 0
		.amdhsa_next_free_vgpr 1
		.amdhsa_next_free_sgpr 0
		.amdhsa_accum_offset 4
		.amdhsa_reserve_vcc 0
		.amdhsa_reserve_flat_scratch 0
		.amdhsa_float_round_mode_32 0
		.amdhsa_float_round_mode_16_64 0
		.amdhsa_float_denorm_mode_32 3
		.amdhsa_float_denorm_mode_16_64 3
		.amdhsa_dx10_clamp 1
		.amdhsa_ieee_mode 1
		.amdhsa_fp16_overflow 0
		.amdhsa_tg_split 0
		.amdhsa_exception_fp_ieee_invalid_op 0
		.amdhsa_exception_fp_denorm_src 0
		.amdhsa_exception_fp_ieee_div_zero 0
		.amdhsa_exception_fp_ieee_overflow 0
		.amdhsa_exception_fp_ieee_underflow 0
		.amdhsa_exception_fp_ieee_inexact 0
		.amdhsa_exception_int_div_zero 0
	.end_amdhsa_kernel
	.section	.text._ZN7rocprim17ROCPRIM_400000_NS6detail17trampoline_kernelINS0_14default_configENS1_27scan_by_key_config_selectorIj11FixedVectorIiLj2EEEEZZNS1_16scan_by_key_implILNS1_25lookback_scan_determinismE0ELb1ES3_N6thrust23THRUST_200600_302600_NS6detail15normal_iteratorINSB_10device_ptrIjEEEENSD_INSE_IS6_EEEESI_S6_NSB_4plusIvEENSB_8equal_toIvEES6_EE10hipError_tPvRmT2_T3_T4_T5_mT6_T7_P12ihipStream_tbENKUlT_T0_E_clISt17integral_constantIbLb1EES12_IbLb0EEEEDaSY_SZ_EUlSY_E_NS1_11comp_targetILNS1_3genE2ELNS1_11target_archE906ELNS1_3gpuE6ELNS1_3repE0EEENS1_30default_config_static_selectorELNS0_4arch9wavefront6targetE1EEEvT1_,"axG",@progbits,_ZN7rocprim17ROCPRIM_400000_NS6detail17trampoline_kernelINS0_14default_configENS1_27scan_by_key_config_selectorIj11FixedVectorIiLj2EEEEZZNS1_16scan_by_key_implILNS1_25lookback_scan_determinismE0ELb1ES3_N6thrust23THRUST_200600_302600_NS6detail15normal_iteratorINSB_10device_ptrIjEEEENSD_INSE_IS6_EEEESI_S6_NSB_4plusIvEENSB_8equal_toIvEES6_EE10hipError_tPvRmT2_T3_T4_T5_mT6_T7_P12ihipStream_tbENKUlT_T0_E_clISt17integral_constantIbLb1EES12_IbLb0EEEEDaSY_SZ_EUlSY_E_NS1_11comp_targetILNS1_3genE2ELNS1_11target_archE906ELNS1_3gpuE6ELNS1_3repE0EEENS1_30default_config_static_selectorELNS0_4arch9wavefront6targetE1EEEvT1_,comdat
.Lfunc_end2016:
	.size	_ZN7rocprim17ROCPRIM_400000_NS6detail17trampoline_kernelINS0_14default_configENS1_27scan_by_key_config_selectorIj11FixedVectorIiLj2EEEEZZNS1_16scan_by_key_implILNS1_25lookback_scan_determinismE0ELb1ES3_N6thrust23THRUST_200600_302600_NS6detail15normal_iteratorINSB_10device_ptrIjEEEENSD_INSE_IS6_EEEESI_S6_NSB_4plusIvEENSB_8equal_toIvEES6_EE10hipError_tPvRmT2_T3_T4_T5_mT6_T7_P12ihipStream_tbENKUlT_T0_E_clISt17integral_constantIbLb1EES12_IbLb0EEEEDaSY_SZ_EUlSY_E_NS1_11comp_targetILNS1_3genE2ELNS1_11target_archE906ELNS1_3gpuE6ELNS1_3repE0EEENS1_30default_config_static_selectorELNS0_4arch9wavefront6targetE1EEEvT1_, .Lfunc_end2016-_ZN7rocprim17ROCPRIM_400000_NS6detail17trampoline_kernelINS0_14default_configENS1_27scan_by_key_config_selectorIj11FixedVectorIiLj2EEEEZZNS1_16scan_by_key_implILNS1_25lookback_scan_determinismE0ELb1ES3_N6thrust23THRUST_200600_302600_NS6detail15normal_iteratorINSB_10device_ptrIjEEEENSD_INSE_IS6_EEEESI_S6_NSB_4plusIvEENSB_8equal_toIvEES6_EE10hipError_tPvRmT2_T3_T4_T5_mT6_T7_P12ihipStream_tbENKUlT_T0_E_clISt17integral_constantIbLb1EES12_IbLb0EEEEDaSY_SZ_EUlSY_E_NS1_11comp_targetILNS1_3genE2ELNS1_11target_archE906ELNS1_3gpuE6ELNS1_3repE0EEENS1_30default_config_static_selectorELNS0_4arch9wavefront6targetE1EEEvT1_
                                        ; -- End function
	.section	.AMDGPU.csdata,"",@progbits
; Kernel info:
; codeLenInByte = 0
; NumSgprs: 4
; NumVgprs: 0
; NumAgprs: 0
; TotalNumVgprs: 0
; ScratchSize: 0
; MemoryBound: 0
; FloatMode: 240
; IeeeMode: 1
; LDSByteSize: 0 bytes/workgroup (compile time only)
; SGPRBlocks: 0
; VGPRBlocks: 0
; NumSGPRsForWavesPerEU: 4
; NumVGPRsForWavesPerEU: 1
; AccumOffset: 4
; Occupancy: 8
; WaveLimiterHint : 0
; COMPUTE_PGM_RSRC2:SCRATCH_EN: 0
; COMPUTE_PGM_RSRC2:USER_SGPR: 6
; COMPUTE_PGM_RSRC2:TRAP_HANDLER: 0
; COMPUTE_PGM_RSRC2:TGID_X_EN: 1
; COMPUTE_PGM_RSRC2:TGID_Y_EN: 0
; COMPUTE_PGM_RSRC2:TGID_Z_EN: 0
; COMPUTE_PGM_RSRC2:TIDIG_COMP_CNT: 0
; COMPUTE_PGM_RSRC3_GFX90A:ACCUM_OFFSET: 0
; COMPUTE_PGM_RSRC3_GFX90A:TG_SPLIT: 0
	.section	.text._ZN7rocprim17ROCPRIM_400000_NS6detail17trampoline_kernelINS0_14default_configENS1_27scan_by_key_config_selectorIj11FixedVectorIiLj2EEEEZZNS1_16scan_by_key_implILNS1_25lookback_scan_determinismE0ELb1ES3_N6thrust23THRUST_200600_302600_NS6detail15normal_iteratorINSB_10device_ptrIjEEEENSD_INSE_IS6_EEEESI_S6_NSB_4plusIvEENSB_8equal_toIvEES6_EE10hipError_tPvRmT2_T3_T4_T5_mT6_T7_P12ihipStream_tbENKUlT_T0_E_clISt17integral_constantIbLb1EES12_IbLb0EEEEDaSY_SZ_EUlSY_E_NS1_11comp_targetILNS1_3genE10ELNS1_11target_archE1200ELNS1_3gpuE4ELNS1_3repE0EEENS1_30default_config_static_selectorELNS0_4arch9wavefront6targetE1EEEvT1_,"axG",@progbits,_ZN7rocprim17ROCPRIM_400000_NS6detail17trampoline_kernelINS0_14default_configENS1_27scan_by_key_config_selectorIj11FixedVectorIiLj2EEEEZZNS1_16scan_by_key_implILNS1_25lookback_scan_determinismE0ELb1ES3_N6thrust23THRUST_200600_302600_NS6detail15normal_iteratorINSB_10device_ptrIjEEEENSD_INSE_IS6_EEEESI_S6_NSB_4plusIvEENSB_8equal_toIvEES6_EE10hipError_tPvRmT2_T3_T4_T5_mT6_T7_P12ihipStream_tbENKUlT_T0_E_clISt17integral_constantIbLb1EES12_IbLb0EEEEDaSY_SZ_EUlSY_E_NS1_11comp_targetILNS1_3genE10ELNS1_11target_archE1200ELNS1_3gpuE4ELNS1_3repE0EEENS1_30default_config_static_selectorELNS0_4arch9wavefront6targetE1EEEvT1_,comdat
	.protected	_ZN7rocprim17ROCPRIM_400000_NS6detail17trampoline_kernelINS0_14default_configENS1_27scan_by_key_config_selectorIj11FixedVectorIiLj2EEEEZZNS1_16scan_by_key_implILNS1_25lookback_scan_determinismE0ELb1ES3_N6thrust23THRUST_200600_302600_NS6detail15normal_iteratorINSB_10device_ptrIjEEEENSD_INSE_IS6_EEEESI_S6_NSB_4plusIvEENSB_8equal_toIvEES6_EE10hipError_tPvRmT2_T3_T4_T5_mT6_T7_P12ihipStream_tbENKUlT_T0_E_clISt17integral_constantIbLb1EES12_IbLb0EEEEDaSY_SZ_EUlSY_E_NS1_11comp_targetILNS1_3genE10ELNS1_11target_archE1200ELNS1_3gpuE4ELNS1_3repE0EEENS1_30default_config_static_selectorELNS0_4arch9wavefront6targetE1EEEvT1_ ; -- Begin function _ZN7rocprim17ROCPRIM_400000_NS6detail17trampoline_kernelINS0_14default_configENS1_27scan_by_key_config_selectorIj11FixedVectorIiLj2EEEEZZNS1_16scan_by_key_implILNS1_25lookback_scan_determinismE0ELb1ES3_N6thrust23THRUST_200600_302600_NS6detail15normal_iteratorINSB_10device_ptrIjEEEENSD_INSE_IS6_EEEESI_S6_NSB_4plusIvEENSB_8equal_toIvEES6_EE10hipError_tPvRmT2_T3_T4_T5_mT6_T7_P12ihipStream_tbENKUlT_T0_E_clISt17integral_constantIbLb1EES12_IbLb0EEEEDaSY_SZ_EUlSY_E_NS1_11comp_targetILNS1_3genE10ELNS1_11target_archE1200ELNS1_3gpuE4ELNS1_3repE0EEENS1_30default_config_static_selectorELNS0_4arch9wavefront6targetE1EEEvT1_
	.globl	_ZN7rocprim17ROCPRIM_400000_NS6detail17trampoline_kernelINS0_14default_configENS1_27scan_by_key_config_selectorIj11FixedVectorIiLj2EEEEZZNS1_16scan_by_key_implILNS1_25lookback_scan_determinismE0ELb1ES3_N6thrust23THRUST_200600_302600_NS6detail15normal_iteratorINSB_10device_ptrIjEEEENSD_INSE_IS6_EEEESI_S6_NSB_4plusIvEENSB_8equal_toIvEES6_EE10hipError_tPvRmT2_T3_T4_T5_mT6_T7_P12ihipStream_tbENKUlT_T0_E_clISt17integral_constantIbLb1EES12_IbLb0EEEEDaSY_SZ_EUlSY_E_NS1_11comp_targetILNS1_3genE10ELNS1_11target_archE1200ELNS1_3gpuE4ELNS1_3repE0EEENS1_30default_config_static_selectorELNS0_4arch9wavefront6targetE1EEEvT1_
	.p2align	8
	.type	_ZN7rocprim17ROCPRIM_400000_NS6detail17trampoline_kernelINS0_14default_configENS1_27scan_by_key_config_selectorIj11FixedVectorIiLj2EEEEZZNS1_16scan_by_key_implILNS1_25lookback_scan_determinismE0ELb1ES3_N6thrust23THRUST_200600_302600_NS6detail15normal_iteratorINSB_10device_ptrIjEEEENSD_INSE_IS6_EEEESI_S6_NSB_4plusIvEENSB_8equal_toIvEES6_EE10hipError_tPvRmT2_T3_T4_T5_mT6_T7_P12ihipStream_tbENKUlT_T0_E_clISt17integral_constantIbLb1EES12_IbLb0EEEEDaSY_SZ_EUlSY_E_NS1_11comp_targetILNS1_3genE10ELNS1_11target_archE1200ELNS1_3gpuE4ELNS1_3repE0EEENS1_30default_config_static_selectorELNS0_4arch9wavefront6targetE1EEEvT1_,@function
_ZN7rocprim17ROCPRIM_400000_NS6detail17trampoline_kernelINS0_14default_configENS1_27scan_by_key_config_selectorIj11FixedVectorIiLj2EEEEZZNS1_16scan_by_key_implILNS1_25lookback_scan_determinismE0ELb1ES3_N6thrust23THRUST_200600_302600_NS6detail15normal_iteratorINSB_10device_ptrIjEEEENSD_INSE_IS6_EEEESI_S6_NSB_4plusIvEENSB_8equal_toIvEES6_EE10hipError_tPvRmT2_T3_T4_T5_mT6_T7_P12ihipStream_tbENKUlT_T0_E_clISt17integral_constantIbLb1EES12_IbLb0EEEEDaSY_SZ_EUlSY_E_NS1_11comp_targetILNS1_3genE10ELNS1_11target_archE1200ELNS1_3gpuE4ELNS1_3repE0EEENS1_30default_config_static_selectorELNS0_4arch9wavefront6targetE1EEEvT1_: ; @_ZN7rocprim17ROCPRIM_400000_NS6detail17trampoline_kernelINS0_14default_configENS1_27scan_by_key_config_selectorIj11FixedVectorIiLj2EEEEZZNS1_16scan_by_key_implILNS1_25lookback_scan_determinismE0ELb1ES3_N6thrust23THRUST_200600_302600_NS6detail15normal_iteratorINSB_10device_ptrIjEEEENSD_INSE_IS6_EEEESI_S6_NSB_4plusIvEENSB_8equal_toIvEES6_EE10hipError_tPvRmT2_T3_T4_T5_mT6_T7_P12ihipStream_tbENKUlT_T0_E_clISt17integral_constantIbLb1EES12_IbLb0EEEEDaSY_SZ_EUlSY_E_NS1_11comp_targetILNS1_3genE10ELNS1_11target_archE1200ELNS1_3gpuE4ELNS1_3repE0EEENS1_30default_config_static_selectorELNS0_4arch9wavefront6targetE1EEEvT1_
; %bb.0:
	.section	.rodata,"a",@progbits
	.p2align	6, 0x0
	.amdhsa_kernel _ZN7rocprim17ROCPRIM_400000_NS6detail17trampoline_kernelINS0_14default_configENS1_27scan_by_key_config_selectorIj11FixedVectorIiLj2EEEEZZNS1_16scan_by_key_implILNS1_25lookback_scan_determinismE0ELb1ES3_N6thrust23THRUST_200600_302600_NS6detail15normal_iteratorINSB_10device_ptrIjEEEENSD_INSE_IS6_EEEESI_S6_NSB_4plusIvEENSB_8equal_toIvEES6_EE10hipError_tPvRmT2_T3_T4_T5_mT6_T7_P12ihipStream_tbENKUlT_T0_E_clISt17integral_constantIbLb1EES12_IbLb0EEEEDaSY_SZ_EUlSY_E_NS1_11comp_targetILNS1_3genE10ELNS1_11target_archE1200ELNS1_3gpuE4ELNS1_3repE0EEENS1_30default_config_static_selectorELNS0_4arch9wavefront6targetE1EEEvT1_
		.amdhsa_group_segment_fixed_size 0
		.amdhsa_private_segment_fixed_size 0
		.amdhsa_kernarg_size 120
		.amdhsa_user_sgpr_count 6
		.amdhsa_user_sgpr_private_segment_buffer 1
		.amdhsa_user_sgpr_dispatch_ptr 0
		.amdhsa_user_sgpr_queue_ptr 0
		.amdhsa_user_sgpr_kernarg_segment_ptr 1
		.amdhsa_user_sgpr_dispatch_id 0
		.amdhsa_user_sgpr_flat_scratch_init 0
		.amdhsa_user_sgpr_kernarg_preload_length 0
		.amdhsa_user_sgpr_kernarg_preload_offset 0
		.amdhsa_user_sgpr_private_segment_size 0
		.amdhsa_uses_dynamic_stack 0
		.amdhsa_system_sgpr_private_segment_wavefront_offset 0
		.amdhsa_system_sgpr_workgroup_id_x 1
		.amdhsa_system_sgpr_workgroup_id_y 0
		.amdhsa_system_sgpr_workgroup_id_z 0
		.amdhsa_system_sgpr_workgroup_info 0
		.amdhsa_system_vgpr_workitem_id 0
		.amdhsa_next_free_vgpr 1
		.amdhsa_next_free_sgpr 0
		.amdhsa_accum_offset 4
		.amdhsa_reserve_vcc 0
		.amdhsa_reserve_flat_scratch 0
		.amdhsa_float_round_mode_32 0
		.amdhsa_float_round_mode_16_64 0
		.amdhsa_float_denorm_mode_32 3
		.amdhsa_float_denorm_mode_16_64 3
		.amdhsa_dx10_clamp 1
		.amdhsa_ieee_mode 1
		.amdhsa_fp16_overflow 0
		.amdhsa_tg_split 0
		.amdhsa_exception_fp_ieee_invalid_op 0
		.amdhsa_exception_fp_denorm_src 0
		.amdhsa_exception_fp_ieee_div_zero 0
		.amdhsa_exception_fp_ieee_overflow 0
		.amdhsa_exception_fp_ieee_underflow 0
		.amdhsa_exception_fp_ieee_inexact 0
		.amdhsa_exception_int_div_zero 0
	.end_amdhsa_kernel
	.section	.text._ZN7rocprim17ROCPRIM_400000_NS6detail17trampoline_kernelINS0_14default_configENS1_27scan_by_key_config_selectorIj11FixedVectorIiLj2EEEEZZNS1_16scan_by_key_implILNS1_25lookback_scan_determinismE0ELb1ES3_N6thrust23THRUST_200600_302600_NS6detail15normal_iteratorINSB_10device_ptrIjEEEENSD_INSE_IS6_EEEESI_S6_NSB_4plusIvEENSB_8equal_toIvEES6_EE10hipError_tPvRmT2_T3_T4_T5_mT6_T7_P12ihipStream_tbENKUlT_T0_E_clISt17integral_constantIbLb1EES12_IbLb0EEEEDaSY_SZ_EUlSY_E_NS1_11comp_targetILNS1_3genE10ELNS1_11target_archE1200ELNS1_3gpuE4ELNS1_3repE0EEENS1_30default_config_static_selectorELNS0_4arch9wavefront6targetE1EEEvT1_,"axG",@progbits,_ZN7rocprim17ROCPRIM_400000_NS6detail17trampoline_kernelINS0_14default_configENS1_27scan_by_key_config_selectorIj11FixedVectorIiLj2EEEEZZNS1_16scan_by_key_implILNS1_25lookback_scan_determinismE0ELb1ES3_N6thrust23THRUST_200600_302600_NS6detail15normal_iteratorINSB_10device_ptrIjEEEENSD_INSE_IS6_EEEESI_S6_NSB_4plusIvEENSB_8equal_toIvEES6_EE10hipError_tPvRmT2_T3_T4_T5_mT6_T7_P12ihipStream_tbENKUlT_T0_E_clISt17integral_constantIbLb1EES12_IbLb0EEEEDaSY_SZ_EUlSY_E_NS1_11comp_targetILNS1_3genE10ELNS1_11target_archE1200ELNS1_3gpuE4ELNS1_3repE0EEENS1_30default_config_static_selectorELNS0_4arch9wavefront6targetE1EEEvT1_,comdat
.Lfunc_end2017:
	.size	_ZN7rocprim17ROCPRIM_400000_NS6detail17trampoline_kernelINS0_14default_configENS1_27scan_by_key_config_selectorIj11FixedVectorIiLj2EEEEZZNS1_16scan_by_key_implILNS1_25lookback_scan_determinismE0ELb1ES3_N6thrust23THRUST_200600_302600_NS6detail15normal_iteratorINSB_10device_ptrIjEEEENSD_INSE_IS6_EEEESI_S6_NSB_4plusIvEENSB_8equal_toIvEES6_EE10hipError_tPvRmT2_T3_T4_T5_mT6_T7_P12ihipStream_tbENKUlT_T0_E_clISt17integral_constantIbLb1EES12_IbLb0EEEEDaSY_SZ_EUlSY_E_NS1_11comp_targetILNS1_3genE10ELNS1_11target_archE1200ELNS1_3gpuE4ELNS1_3repE0EEENS1_30default_config_static_selectorELNS0_4arch9wavefront6targetE1EEEvT1_, .Lfunc_end2017-_ZN7rocprim17ROCPRIM_400000_NS6detail17trampoline_kernelINS0_14default_configENS1_27scan_by_key_config_selectorIj11FixedVectorIiLj2EEEEZZNS1_16scan_by_key_implILNS1_25lookback_scan_determinismE0ELb1ES3_N6thrust23THRUST_200600_302600_NS6detail15normal_iteratorINSB_10device_ptrIjEEEENSD_INSE_IS6_EEEESI_S6_NSB_4plusIvEENSB_8equal_toIvEES6_EE10hipError_tPvRmT2_T3_T4_T5_mT6_T7_P12ihipStream_tbENKUlT_T0_E_clISt17integral_constantIbLb1EES12_IbLb0EEEEDaSY_SZ_EUlSY_E_NS1_11comp_targetILNS1_3genE10ELNS1_11target_archE1200ELNS1_3gpuE4ELNS1_3repE0EEENS1_30default_config_static_selectorELNS0_4arch9wavefront6targetE1EEEvT1_
                                        ; -- End function
	.section	.AMDGPU.csdata,"",@progbits
; Kernel info:
; codeLenInByte = 0
; NumSgprs: 4
; NumVgprs: 0
; NumAgprs: 0
; TotalNumVgprs: 0
; ScratchSize: 0
; MemoryBound: 0
; FloatMode: 240
; IeeeMode: 1
; LDSByteSize: 0 bytes/workgroup (compile time only)
; SGPRBlocks: 0
; VGPRBlocks: 0
; NumSGPRsForWavesPerEU: 4
; NumVGPRsForWavesPerEU: 1
; AccumOffset: 4
; Occupancy: 8
; WaveLimiterHint : 0
; COMPUTE_PGM_RSRC2:SCRATCH_EN: 0
; COMPUTE_PGM_RSRC2:USER_SGPR: 6
; COMPUTE_PGM_RSRC2:TRAP_HANDLER: 0
; COMPUTE_PGM_RSRC2:TGID_X_EN: 1
; COMPUTE_PGM_RSRC2:TGID_Y_EN: 0
; COMPUTE_PGM_RSRC2:TGID_Z_EN: 0
; COMPUTE_PGM_RSRC2:TIDIG_COMP_CNT: 0
; COMPUTE_PGM_RSRC3_GFX90A:ACCUM_OFFSET: 0
; COMPUTE_PGM_RSRC3_GFX90A:TG_SPLIT: 0
	.section	.text._ZN7rocprim17ROCPRIM_400000_NS6detail17trampoline_kernelINS0_14default_configENS1_27scan_by_key_config_selectorIj11FixedVectorIiLj2EEEEZZNS1_16scan_by_key_implILNS1_25lookback_scan_determinismE0ELb1ES3_N6thrust23THRUST_200600_302600_NS6detail15normal_iteratorINSB_10device_ptrIjEEEENSD_INSE_IS6_EEEESI_S6_NSB_4plusIvEENSB_8equal_toIvEES6_EE10hipError_tPvRmT2_T3_T4_T5_mT6_T7_P12ihipStream_tbENKUlT_T0_E_clISt17integral_constantIbLb1EES12_IbLb0EEEEDaSY_SZ_EUlSY_E_NS1_11comp_targetILNS1_3genE9ELNS1_11target_archE1100ELNS1_3gpuE3ELNS1_3repE0EEENS1_30default_config_static_selectorELNS0_4arch9wavefront6targetE1EEEvT1_,"axG",@progbits,_ZN7rocprim17ROCPRIM_400000_NS6detail17trampoline_kernelINS0_14default_configENS1_27scan_by_key_config_selectorIj11FixedVectorIiLj2EEEEZZNS1_16scan_by_key_implILNS1_25lookback_scan_determinismE0ELb1ES3_N6thrust23THRUST_200600_302600_NS6detail15normal_iteratorINSB_10device_ptrIjEEEENSD_INSE_IS6_EEEESI_S6_NSB_4plusIvEENSB_8equal_toIvEES6_EE10hipError_tPvRmT2_T3_T4_T5_mT6_T7_P12ihipStream_tbENKUlT_T0_E_clISt17integral_constantIbLb1EES12_IbLb0EEEEDaSY_SZ_EUlSY_E_NS1_11comp_targetILNS1_3genE9ELNS1_11target_archE1100ELNS1_3gpuE3ELNS1_3repE0EEENS1_30default_config_static_selectorELNS0_4arch9wavefront6targetE1EEEvT1_,comdat
	.protected	_ZN7rocprim17ROCPRIM_400000_NS6detail17trampoline_kernelINS0_14default_configENS1_27scan_by_key_config_selectorIj11FixedVectorIiLj2EEEEZZNS1_16scan_by_key_implILNS1_25lookback_scan_determinismE0ELb1ES3_N6thrust23THRUST_200600_302600_NS6detail15normal_iteratorINSB_10device_ptrIjEEEENSD_INSE_IS6_EEEESI_S6_NSB_4plusIvEENSB_8equal_toIvEES6_EE10hipError_tPvRmT2_T3_T4_T5_mT6_T7_P12ihipStream_tbENKUlT_T0_E_clISt17integral_constantIbLb1EES12_IbLb0EEEEDaSY_SZ_EUlSY_E_NS1_11comp_targetILNS1_3genE9ELNS1_11target_archE1100ELNS1_3gpuE3ELNS1_3repE0EEENS1_30default_config_static_selectorELNS0_4arch9wavefront6targetE1EEEvT1_ ; -- Begin function _ZN7rocprim17ROCPRIM_400000_NS6detail17trampoline_kernelINS0_14default_configENS1_27scan_by_key_config_selectorIj11FixedVectorIiLj2EEEEZZNS1_16scan_by_key_implILNS1_25lookback_scan_determinismE0ELb1ES3_N6thrust23THRUST_200600_302600_NS6detail15normal_iteratorINSB_10device_ptrIjEEEENSD_INSE_IS6_EEEESI_S6_NSB_4plusIvEENSB_8equal_toIvEES6_EE10hipError_tPvRmT2_T3_T4_T5_mT6_T7_P12ihipStream_tbENKUlT_T0_E_clISt17integral_constantIbLb1EES12_IbLb0EEEEDaSY_SZ_EUlSY_E_NS1_11comp_targetILNS1_3genE9ELNS1_11target_archE1100ELNS1_3gpuE3ELNS1_3repE0EEENS1_30default_config_static_selectorELNS0_4arch9wavefront6targetE1EEEvT1_
	.globl	_ZN7rocprim17ROCPRIM_400000_NS6detail17trampoline_kernelINS0_14default_configENS1_27scan_by_key_config_selectorIj11FixedVectorIiLj2EEEEZZNS1_16scan_by_key_implILNS1_25lookback_scan_determinismE0ELb1ES3_N6thrust23THRUST_200600_302600_NS6detail15normal_iteratorINSB_10device_ptrIjEEEENSD_INSE_IS6_EEEESI_S6_NSB_4plusIvEENSB_8equal_toIvEES6_EE10hipError_tPvRmT2_T3_T4_T5_mT6_T7_P12ihipStream_tbENKUlT_T0_E_clISt17integral_constantIbLb1EES12_IbLb0EEEEDaSY_SZ_EUlSY_E_NS1_11comp_targetILNS1_3genE9ELNS1_11target_archE1100ELNS1_3gpuE3ELNS1_3repE0EEENS1_30default_config_static_selectorELNS0_4arch9wavefront6targetE1EEEvT1_
	.p2align	8
	.type	_ZN7rocprim17ROCPRIM_400000_NS6detail17trampoline_kernelINS0_14default_configENS1_27scan_by_key_config_selectorIj11FixedVectorIiLj2EEEEZZNS1_16scan_by_key_implILNS1_25lookback_scan_determinismE0ELb1ES3_N6thrust23THRUST_200600_302600_NS6detail15normal_iteratorINSB_10device_ptrIjEEEENSD_INSE_IS6_EEEESI_S6_NSB_4plusIvEENSB_8equal_toIvEES6_EE10hipError_tPvRmT2_T3_T4_T5_mT6_T7_P12ihipStream_tbENKUlT_T0_E_clISt17integral_constantIbLb1EES12_IbLb0EEEEDaSY_SZ_EUlSY_E_NS1_11comp_targetILNS1_3genE9ELNS1_11target_archE1100ELNS1_3gpuE3ELNS1_3repE0EEENS1_30default_config_static_selectorELNS0_4arch9wavefront6targetE1EEEvT1_,@function
_ZN7rocprim17ROCPRIM_400000_NS6detail17trampoline_kernelINS0_14default_configENS1_27scan_by_key_config_selectorIj11FixedVectorIiLj2EEEEZZNS1_16scan_by_key_implILNS1_25lookback_scan_determinismE0ELb1ES3_N6thrust23THRUST_200600_302600_NS6detail15normal_iteratorINSB_10device_ptrIjEEEENSD_INSE_IS6_EEEESI_S6_NSB_4plusIvEENSB_8equal_toIvEES6_EE10hipError_tPvRmT2_T3_T4_T5_mT6_T7_P12ihipStream_tbENKUlT_T0_E_clISt17integral_constantIbLb1EES12_IbLb0EEEEDaSY_SZ_EUlSY_E_NS1_11comp_targetILNS1_3genE9ELNS1_11target_archE1100ELNS1_3gpuE3ELNS1_3repE0EEENS1_30default_config_static_selectorELNS0_4arch9wavefront6targetE1EEEvT1_: ; @_ZN7rocprim17ROCPRIM_400000_NS6detail17trampoline_kernelINS0_14default_configENS1_27scan_by_key_config_selectorIj11FixedVectorIiLj2EEEEZZNS1_16scan_by_key_implILNS1_25lookback_scan_determinismE0ELb1ES3_N6thrust23THRUST_200600_302600_NS6detail15normal_iteratorINSB_10device_ptrIjEEEENSD_INSE_IS6_EEEESI_S6_NSB_4plusIvEENSB_8equal_toIvEES6_EE10hipError_tPvRmT2_T3_T4_T5_mT6_T7_P12ihipStream_tbENKUlT_T0_E_clISt17integral_constantIbLb1EES12_IbLb0EEEEDaSY_SZ_EUlSY_E_NS1_11comp_targetILNS1_3genE9ELNS1_11target_archE1100ELNS1_3gpuE3ELNS1_3repE0EEENS1_30default_config_static_selectorELNS0_4arch9wavefront6targetE1EEEvT1_
; %bb.0:
	.section	.rodata,"a",@progbits
	.p2align	6, 0x0
	.amdhsa_kernel _ZN7rocprim17ROCPRIM_400000_NS6detail17trampoline_kernelINS0_14default_configENS1_27scan_by_key_config_selectorIj11FixedVectorIiLj2EEEEZZNS1_16scan_by_key_implILNS1_25lookback_scan_determinismE0ELb1ES3_N6thrust23THRUST_200600_302600_NS6detail15normal_iteratorINSB_10device_ptrIjEEEENSD_INSE_IS6_EEEESI_S6_NSB_4plusIvEENSB_8equal_toIvEES6_EE10hipError_tPvRmT2_T3_T4_T5_mT6_T7_P12ihipStream_tbENKUlT_T0_E_clISt17integral_constantIbLb1EES12_IbLb0EEEEDaSY_SZ_EUlSY_E_NS1_11comp_targetILNS1_3genE9ELNS1_11target_archE1100ELNS1_3gpuE3ELNS1_3repE0EEENS1_30default_config_static_selectorELNS0_4arch9wavefront6targetE1EEEvT1_
		.amdhsa_group_segment_fixed_size 0
		.amdhsa_private_segment_fixed_size 0
		.amdhsa_kernarg_size 120
		.amdhsa_user_sgpr_count 6
		.amdhsa_user_sgpr_private_segment_buffer 1
		.amdhsa_user_sgpr_dispatch_ptr 0
		.amdhsa_user_sgpr_queue_ptr 0
		.amdhsa_user_sgpr_kernarg_segment_ptr 1
		.amdhsa_user_sgpr_dispatch_id 0
		.amdhsa_user_sgpr_flat_scratch_init 0
		.amdhsa_user_sgpr_kernarg_preload_length 0
		.amdhsa_user_sgpr_kernarg_preload_offset 0
		.amdhsa_user_sgpr_private_segment_size 0
		.amdhsa_uses_dynamic_stack 0
		.amdhsa_system_sgpr_private_segment_wavefront_offset 0
		.amdhsa_system_sgpr_workgroup_id_x 1
		.amdhsa_system_sgpr_workgroup_id_y 0
		.amdhsa_system_sgpr_workgroup_id_z 0
		.amdhsa_system_sgpr_workgroup_info 0
		.amdhsa_system_vgpr_workitem_id 0
		.amdhsa_next_free_vgpr 1
		.amdhsa_next_free_sgpr 0
		.amdhsa_accum_offset 4
		.amdhsa_reserve_vcc 0
		.amdhsa_reserve_flat_scratch 0
		.amdhsa_float_round_mode_32 0
		.amdhsa_float_round_mode_16_64 0
		.amdhsa_float_denorm_mode_32 3
		.amdhsa_float_denorm_mode_16_64 3
		.amdhsa_dx10_clamp 1
		.amdhsa_ieee_mode 1
		.amdhsa_fp16_overflow 0
		.amdhsa_tg_split 0
		.amdhsa_exception_fp_ieee_invalid_op 0
		.amdhsa_exception_fp_denorm_src 0
		.amdhsa_exception_fp_ieee_div_zero 0
		.amdhsa_exception_fp_ieee_overflow 0
		.amdhsa_exception_fp_ieee_underflow 0
		.amdhsa_exception_fp_ieee_inexact 0
		.amdhsa_exception_int_div_zero 0
	.end_amdhsa_kernel
	.section	.text._ZN7rocprim17ROCPRIM_400000_NS6detail17trampoline_kernelINS0_14default_configENS1_27scan_by_key_config_selectorIj11FixedVectorIiLj2EEEEZZNS1_16scan_by_key_implILNS1_25lookback_scan_determinismE0ELb1ES3_N6thrust23THRUST_200600_302600_NS6detail15normal_iteratorINSB_10device_ptrIjEEEENSD_INSE_IS6_EEEESI_S6_NSB_4plusIvEENSB_8equal_toIvEES6_EE10hipError_tPvRmT2_T3_T4_T5_mT6_T7_P12ihipStream_tbENKUlT_T0_E_clISt17integral_constantIbLb1EES12_IbLb0EEEEDaSY_SZ_EUlSY_E_NS1_11comp_targetILNS1_3genE9ELNS1_11target_archE1100ELNS1_3gpuE3ELNS1_3repE0EEENS1_30default_config_static_selectorELNS0_4arch9wavefront6targetE1EEEvT1_,"axG",@progbits,_ZN7rocprim17ROCPRIM_400000_NS6detail17trampoline_kernelINS0_14default_configENS1_27scan_by_key_config_selectorIj11FixedVectorIiLj2EEEEZZNS1_16scan_by_key_implILNS1_25lookback_scan_determinismE0ELb1ES3_N6thrust23THRUST_200600_302600_NS6detail15normal_iteratorINSB_10device_ptrIjEEEENSD_INSE_IS6_EEEESI_S6_NSB_4plusIvEENSB_8equal_toIvEES6_EE10hipError_tPvRmT2_T3_T4_T5_mT6_T7_P12ihipStream_tbENKUlT_T0_E_clISt17integral_constantIbLb1EES12_IbLb0EEEEDaSY_SZ_EUlSY_E_NS1_11comp_targetILNS1_3genE9ELNS1_11target_archE1100ELNS1_3gpuE3ELNS1_3repE0EEENS1_30default_config_static_selectorELNS0_4arch9wavefront6targetE1EEEvT1_,comdat
.Lfunc_end2018:
	.size	_ZN7rocprim17ROCPRIM_400000_NS6detail17trampoline_kernelINS0_14default_configENS1_27scan_by_key_config_selectorIj11FixedVectorIiLj2EEEEZZNS1_16scan_by_key_implILNS1_25lookback_scan_determinismE0ELb1ES3_N6thrust23THRUST_200600_302600_NS6detail15normal_iteratorINSB_10device_ptrIjEEEENSD_INSE_IS6_EEEESI_S6_NSB_4plusIvEENSB_8equal_toIvEES6_EE10hipError_tPvRmT2_T3_T4_T5_mT6_T7_P12ihipStream_tbENKUlT_T0_E_clISt17integral_constantIbLb1EES12_IbLb0EEEEDaSY_SZ_EUlSY_E_NS1_11comp_targetILNS1_3genE9ELNS1_11target_archE1100ELNS1_3gpuE3ELNS1_3repE0EEENS1_30default_config_static_selectorELNS0_4arch9wavefront6targetE1EEEvT1_, .Lfunc_end2018-_ZN7rocprim17ROCPRIM_400000_NS6detail17trampoline_kernelINS0_14default_configENS1_27scan_by_key_config_selectorIj11FixedVectorIiLj2EEEEZZNS1_16scan_by_key_implILNS1_25lookback_scan_determinismE0ELb1ES3_N6thrust23THRUST_200600_302600_NS6detail15normal_iteratorINSB_10device_ptrIjEEEENSD_INSE_IS6_EEEESI_S6_NSB_4plusIvEENSB_8equal_toIvEES6_EE10hipError_tPvRmT2_T3_T4_T5_mT6_T7_P12ihipStream_tbENKUlT_T0_E_clISt17integral_constantIbLb1EES12_IbLb0EEEEDaSY_SZ_EUlSY_E_NS1_11comp_targetILNS1_3genE9ELNS1_11target_archE1100ELNS1_3gpuE3ELNS1_3repE0EEENS1_30default_config_static_selectorELNS0_4arch9wavefront6targetE1EEEvT1_
                                        ; -- End function
	.section	.AMDGPU.csdata,"",@progbits
; Kernel info:
; codeLenInByte = 0
; NumSgprs: 4
; NumVgprs: 0
; NumAgprs: 0
; TotalNumVgprs: 0
; ScratchSize: 0
; MemoryBound: 0
; FloatMode: 240
; IeeeMode: 1
; LDSByteSize: 0 bytes/workgroup (compile time only)
; SGPRBlocks: 0
; VGPRBlocks: 0
; NumSGPRsForWavesPerEU: 4
; NumVGPRsForWavesPerEU: 1
; AccumOffset: 4
; Occupancy: 8
; WaveLimiterHint : 0
; COMPUTE_PGM_RSRC2:SCRATCH_EN: 0
; COMPUTE_PGM_RSRC2:USER_SGPR: 6
; COMPUTE_PGM_RSRC2:TRAP_HANDLER: 0
; COMPUTE_PGM_RSRC2:TGID_X_EN: 1
; COMPUTE_PGM_RSRC2:TGID_Y_EN: 0
; COMPUTE_PGM_RSRC2:TGID_Z_EN: 0
; COMPUTE_PGM_RSRC2:TIDIG_COMP_CNT: 0
; COMPUTE_PGM_RSRC3_GFX90A:ACCUM_OFFSET: 0
; COMPUTE_PGM_RSRC3_GFX90A:TG_SPLIT: 0
	.section	.text._ZN7rocprim17ROCPRIM_400000_NS6detail17trampoline_kernelINS0_14default_configENS1_27scan_by_key_config_selectorIj11FixedVectorIiLj2EEEEZZNS1_16scan_by_key_implILNS1_25lookback_scan_determinismE0ELb1ES3_N6thrust23THRUST_200600_302600_NS6detail15normal_iteratorINSB_10device_ptrIjEEEENSD_INSE_IS6_EEEESI_S6_NSB_4plusIvEENSB_8equal_toIvEES6_EE10hipError_tPvRmT2_T3_T4_T5_mT6_T7_P12ihipStream_tbENKUlT_T0_E_clISt17integral_constantIbLb1EES12_IbLb0EEEEDaSY_SZ_EUlSY_E_NS1_11comp_targetILNS1_3genE8ELNS1_11target_archE1030ELNS1_3gpuE2ELNS1_3repE0EEENS1_30default_config_static_selectorELNS0_4arch9wavefront6targetE1EEEvT1_,"axG",@progbits,_ZN7rocprim17ROCPRIM_400000_NS6detail17trampoline_kernelINS0_14default_configENS1_27scan_by_key_config_selectorIj11FixedVectorIiLj2EEEEZZNS1_16scan_by_key_implILNS1_25lookback_scan_determinismE0ELb1ES3_N6thrust23THRUST_200600_302600_NS6detail15normal_iteratorINSB_10device_ptrIjEEEENSD_INSE_IS6_EEEESI_S6_NSB_4plusIvEENSB_8equal_toIvEES6_EE10hipError_tPvRmT2_T3_T4_T5_mT6_T7_P12ihipStream_tbENKUlT_T0_E_clISt17integral_constantIbLb1EES12_IbLb0EEEEDaSY_SZ_EUlSY_E_NS1_11comp_targetILNS1_3genE8ELNS1_11target_archE1030ELNS1_3gpuE2ELNS1_3repE0EEENS1_30default_config_static_selectorELNS0_4arch9wavefront6targetE1EEEvT1_,comdat
	.protected	_ZN7rocprim17ROCPRIM_400000_NS6detail17trampoline_kernelINS0_14default_configENS1_27scan_by_key_config_selectorIj11FixedVectorIiLj2EEEEZZNS1_16scan_by_key_implILNS1_25lookback_scan_determinismE0ELb1ES3_N6thrust23THRUST_200600_302600_NS6detail15normal_iteratorINSB_10device_ptrIjEEEENSD_INSE_IS6_EEEESI_S6_NSB_4plusIvEENSB_8equal_toIvEES6_EE10hipError_tPvRmT2_T3_T4_T5_mT6_T7_P12ihipStream_tbENKUlT_T0_E_clISt17integral_constantIbLb1EES12_IbLb0EEEEDaSY_SZ_EUlSY_E_NS1_11comp_targetILNS1_3genE8ELNS1_11target_archE1030ELNS1_3gpuE2ELNS1_3repE0EEENS1_30default_config_static_selectorELNS0_4arch9wavefront6targetE1EEEvT1_ ; -- Begin function _ZN7rocprim17ROCPRIM_400000_NS6detail17trampoline_kernelINS0_14default_configENS1_27scan_by_key_config_selectorIj11FixedVectorIiLj2EEEEZZNS1_16scan_by_key_implILNS1_25lookback_scan_determinismE0ELb1ES3_N6thrust23THRUST_200600_302600_NS6detail15normal_iteratorINSB_10device_ptrIjEEEENSD_INSE_IS6_EEEESI_S6_NSB_4plusIvEENSB_8equal_toIvEES6_EE10hipError_tPvRmT2_T3_T4_T5_mT6_T7_P12ihipStream_tbENKUlT_T0_E_clISt17integral_constantIbLb1EES12_IbLb0EEEEDaSY_SZ_EUlSY_E_NS1_11comp_targetILNS1_3genE8ELNS1_11target_archE1030ELNS1_3gpuE2ELNS1_3repE0EEENS1_30default_config_static_selectorELNS0_4arch9wavefront6targetE1EEEvT1_
	.globl	_ZN7rocprim17ROCPRIM_400000_NS6detail17trampoline_kernelINS0_14default_configENS1_27scan_by_key_config_selectorIj11FixedVectorIiLj2EEEEZZNS1_16scan_by_key_implILNS1_25lookback_scan_determinismE0ELb1ES3_N6thrust23THRUST_200600_302600_NS6detail15normal_iteratorINSB_10device_ptrIjEEEENSD_INSE_IS6_EEEESI_S6_NSB_4plusIvEENSB_8equal_toIvEES6_EE10hipError_tPvRmT2_T3_T4_T5_mT6_T7_P12ihipStream_tbENKUlT_T0_E_clISt17integral_constantIbLb1EES12_IbLb0EEEEDaSY_SZ_EUlSY_E_NS1_11comp_targetILNS1_3genE8ELNS1_11target_archE1030ELNS1_3gpuE2ELNS1_3repE0EEENS1_30default_config_static_selectorELNS0_4arch9wavefront6targetE1EEEvT1_
	.p2align	8
	.type	_ZN7rocprim17ROCPRIM_400000_NS6detail17trampoline_kernelINS0_14default_configENS1_27scan_by_key_config_selectorIj11FixedVectorIiLj2EEEEZZNS1_16scan_by_key_implILNS1_25lookback_scan_determinismE0ELb1ES3_N6thrust23THRUST_200600_302600_NS6detail15normal_iteratorINSB_10device_ptrIjEEEENSD_INSE_IS6_EEEESI_S6_NSB_4plusIvEENSB_8equal_toIvEES6_EE10hipError_tPvRmT2_T3_T4_T5_mT6_T7_P12ihipStream_tbENKUlT_T0_E_clISt17integral_constantIbLb1EES12_IbLb0EEEEDaSY_SZ_EUlSY_E_NS1_11comp_targetILNS1_3genE8ELNS1_11target_archE1030ELNS1_3gpuE2ELNS1_3repE0EEENS1_30default_config_static_selectorELNS0_4arch9wavefront6targetE1EEEvT1_,@function
_ZN7rocprim17ROCPRIM_400000_NS6detail17trampoline_kernelINS0_14default_configENS1_27scan_by_key_config_selectorIj11FixedVectorIiLj2EEEEZZNS1_16scan_by_key_implILNS1_25lookback_scan_determinismE0ELb1ES3_N6thrust23THRUST_200600_302600_NS6detail15normal_iteratorINSB_10device_ptrIjEEEENSD_INSE_IS6_EEEESI_S6_NSB_4plusIvEENSB_8equal_toIvEES6_EE10hipError_tPvRmT2_T3_T4_T5_mT6_T7_P12ihipStream_tbENKUlT_T0_E_clISt17integral_constantIbLb1EES12_IbLb0EEEEDaSY_SZ_EUlSY_E_NS1_11comp_targetILNS1_3genE8ELNS1_11target_archE1030ELNS1_3gpuE2ELNS1_3repE0EEENS1_30default_config_static_selectorELNS0_4arch9wavefront6targetE1EEEvT1_: ; @_ZN7rocprim17ROCPRIM_400000_NS6detail17trampoline_kernelINS0_14default_configENS1_27scan_by_key_config_selectorIj11FixedVectorIiLj2EEEEZZNS1_16scan_by_key_implILNS1_25lookback_scan_determinismE0ELb1ES3_N6thrust23THRUST_200600_302600_NS6detail15normal_iteratorINSB_10device_ptrIjEEEENSD_INSE_IS6_EEEESI_S6_NSB_4plusIvEENSB_8equal_toIvEES6_EE10hipError_tPvRmT2_T3_T4_T5_mT6_T7_P12ihipStream_tbENKUlT_T0_E_clISt17integral_constantIbLb1EES12_IbLb0EEEEDaSY_SZ_EUlSY_E_NS1_11comp_targetILNS1_3genE8ELNS1_11target_archE1030ELNS1_3gpuE2ELNS1_3repE0EEENS1_30default_config_static_selectorELNS0_4arch9wavefront6targetE1EEEvT1_
; %bb.0:
	.section	.rodata,"a",@progbits
	.p2align	6, 0x0
	.amdhsa_kernel _ZN7rocprim17ROCPRIM_400000_NS6detail17trampoline_kernelINS0_14default_configENS1_27scan_by_key_config_selectorIj11FixedVectorIiLj2EEEEZZNS1_16scan_by_key_implILNS1_25lookback_scan_determinismE0ELb1ES3_N6thrust23THRUST_200600_302600_NS6detail15normal_iteratorINSB_10device_ptrIjEEEENSD_INSE_IS6_EEEESI_S6_NSB_4plusIvEENSB_8equal_toIvEES6_EE10hipError_tPvRmT2_T3_T4_T5_mT6_T7_P12ihipStream_tbENKUlT_T0_E_clISt17integral_constantIbLb1EES12_IbLb0EEEEDaSY_SZ_EUlSY_E_NS1_11comp_targetILNS1_3genE8ELNS1_11target_archE1030ELNS1_3gpuE2ELNS1_3repE0EEENS1_30default_config_static_selectorELNS0_4arch9wavefront6targetE1EEEvT1_
		.amdhsa_group_segment_fixed_size 0
		.amdhsa_private_segment_fixed_size 0
		.amdhsa_kernarg_size 120
		.amdhsa_user_sgpr_count 6
		.amdhsa_user_sgpr_private_segment_buffer 1
		.amdhsa_user_sgpr_dispatch_ptr 0
		.amdhsa_user_sgpr_queue_ptr 0
		.amdhsa_user_sgpr_kernarg_segment_ptr 1
		.amdhsa_user_sgpr_dispatch_id 0
		.amdhsa_user_sgpr_flat_scratch_init 0
		.amdhsa_user_sgpr_kernarg_preload_length 0
		.amdhsa_user_sgpr_kernarg_preload_offset 0
		.amdhsa_user_sgpr_private_segment_size 0
		.amdhsa_uses_dynamic_stack 0
		.amdhsa_system_sgpr_private_segment_wavefront_offset 0
		.amdhsa_system_sgpr_workgroup_id_x 1
		.amdhsa_system_sgpr_workgroup_id_y 0
		.amdhsa_system_sgpr_workgroup_id_z 0
		.amdhsa_system_sgpr_workgroup_info 0
		.amdhsa_system_vgpr_workitem_id 0
		.amdhsa_next_free_vgpr 1
		.amdhsa_next_free_sgpr 0
		.amdhsa_accum_offset 4
		.amdhsa_reserve_vcc 0
		.amdhsa_reserve_flat_scratch 0
		.amdhsa_float_round_mode_32 0
		.amdhsa_float_round_mode_16_64 0
		.amdhsa_float_denorm_mode_32 3
		.amdhsa_float_denorm_mode_16_64 3
		.amdhsa_dx10_clamp 1
		.amdhsa_ieee_mode 1
		.amdhsa_fp16_overflow 0
		.amdhsa_tg_split 0
		.amdhsa_exception_fp_ieee_invalid_op 0
		.amdhsa_exception_fp_denorm_src 0
		.amdhsa_exception_fp_ieee_div_zero 0
		.amdhsa_exception_fp_ieee_overflow 0
		.amdhsa_exception_fp_ieee_underflow 0
		.amdhsa_exception_fp_ieee_inexact 0
		.amdhsa_exception_int_div_zero 0
	.end_amdhsa_kernel
	.section	.text._ZN7rocprim17ROCPRIM_400000_NS6detail17trampoline_kernelINS0_14default_configENS1_27scan_by_key_config_selectorIj11FixedVectorIiLj2EEEEZZNS1_16scan_by_key_implILNS1_25lookback_scan_determinismE0ELb1ES3_N6thrust23THRUST_200600_302600_NS6detail15normal_iteratorINSB_10device_ptrIjEEEENSD_INSE_IS6_EEEESI_S6_NSB_4plusIvEENSB_8equal_toIvEES6_EE10hipError_tPvRmT2_T3_T4_T5_mT6_T7_P12ihipStream_tbENKUlT_T0_E_clISt17integral_constantIbLb1EES12_IbLb0EEEEDaSY_SZ_EUlSY_E_NS1_11comp_targetILNS1_3genE8ELNS1_11target_archE1030ELNS1_3gpuE2ELNS1_3repE0EEENS1_30default_config_static_selectorELNS0_4arch9wavefront6targetE1EEEvT1_,"axG",@progbits,_ZN7rocprim17ROCPRIM_400000_NS6detail17trampoline_kernelINS0_14default_configENS1_27scan_by_key_config_selectorIj11FixedVectorIiLj2EEEEZZNS1_16scan_by_key_implILNS1_25lookback_scan_determinismE0ELb1ES3_N6thrust23THRUST_200600_302600_NS6detail15normal_iteratorINSB_10device_ptrIjEEEENSD_INSE_IS6_EEEESI_S6_NSB_4plusIvEENSB_8equal_toIvEES6_EE10hipError_tPvRmT2_T3_T4_T5_mT6_T7_P12ihipStream_tbENKUlT_T0_E_clISt17integral_constantIbLb1EES12_IbLb0EEEEDaSY_SZ_EUlSY_E_NS1_11comp_targetILNS1_3genE8ELNS1_11target_archE1030ELNS1_3gpuE2ELNS1_3repE0EEENS1_30default_config_static_selectorELNS0_4arch9wavefront6targetE1EEEvT1_,comdat
.Lfunc_end2019:
	.size	_ZN7rocprim17ROCPRIM_400000_NS6detail17trampoline_kernelINS0_14default_configENS1_27scan_by_key_config_selectorIj11FixedVectorIiLj2EEEEZZNS1_16scan_by_key_implILNS1_25lookback_scan_determinismE0ELb1ES3_N6thrust23THRUST_200600_302600_NS6detail15normal_iteratorINSB_10device_ptrIjEEEENSD_INSE_IS6_EEEESI_S6_NSB_4plusIvEENSB_8equal_toIvEES6_EE10hipError_tPvRmT2_T3_T4_T5_mT6_T7_P12ihipStream_tbENKUlT_T0_E_clISt17integral_constantIbLb1EES12_IbLb0EEEEDaSY_SZ_EUlSY_E_NS1_11comp_targetILNS1_3genE8ELNS1_11target_archE1030ELNS1_3gpuE2ELNS1_3repE0EEENS1_30default_config_static_selectorELNS0_4arch9wavefront6targetE1EEEvT1_, .Lfunc_end2019-_ZN7rocprim17ROCPRIM_400000_NS6detail17trampoline_kernelINS0_14default_configENS1_27scan_by_key_config_selectorIj11FixedVectorIiLj2EEEEZZNS1_16scan_by_key_implILNS1_25lookback_scan_determinismE0ELb1ES3_N6thrust23THRUST_200600_302600_NS6detail15normal_iteratorINSB_10device_ptrIjEEEENSD_INSE_IS6_EEEESI_S6_NSB_4plusIvEENSB_8equal_toIvEES6_EE10hipError_tPvRmT2_T3_T4_T5_mT6_T7_P12ihipStream_tbENKUlT_T0_E_clISt17integral_constantIbLb1EES12_IbLb0EEEEDaSY_SZ_EUlSY_E_NS1_11comp_targetILNS1_3genE8ELNS1_11target_archE1030ELNS1_3gpuE2ELNS1_3repE0EEENS1_30default_config_static_selectorELNS0_4arch9wavefront6targetE1EEEvT1_
                                        ; -- End function
	.section	.AMDGPU.csdata,"",@progbits
; Kernel info:
; codeLenInByte = 0
; NumSgprs: 4
; NumVgprs: 0
; NumAgprs: 0
; TotalNumVgprs: 0
; ScratchSize: 0
; MemoryBound: 0
; FloatMode: 240
; IeeeMode: 1
; LDSByteSize: 0 bytes/workgroup (compile time only)
; SGPRBlocks: 0
; VGPRBlocks: 0
; NumSGPRsForWavesPerEU: 4
; NumVGPRsForWavesPerEU: 1
; AccumOffset: 4
; Occupancy: 8
; WaveLimiterHint : 0
; COMPUTE_PGM_RSRC2:SCRATCH_EN: 0
; COMPUTE_PGM_RSRC2:USER_SGPR: 6
; COMPUTE_PGM_RSRC2:TRAP_HANDLER: 0
; COMPUTE_PGM_RSRC2:TGID_X_EN: 1
; COMPUTE_PGM_RSRC2:TGID_Y_EN: 0
; COMPUTE_PGM_RSRC2:TGID_Z_EN: 0
; COMPUTE_PGM_RSRC2:TIDIG_COMP_CNT: 0
; COMPUTE_PGM_RSRC3_GFX90A:ACCUM_OFFSET: 0
; COMPUTE_PGM_RSRC3_GFX90A:TG_SPLIT: 0
	.section	.text._ZN7rocprim17ROCPRIM_400000_NS6detail17trampoline_kernelINS0_14default_configENS1_27scan_by_key_config_selectorIj11FixedVectorIiLj2EEEEZZNS1_16scan_by_key_implILNS1_25lookback_scan_determinismE0ELb1ES3_N6thrust23THRUST_200600_302600_NS6detail15normal_iteratorINSB_10device_ptrIjEEEENSD_INSE_IS6_EEEESI_S6_NSB_4plusIvEENSB_8equal_toIvEES6_EE10hipError_tPvRmT2_T3_T4_T5_mT6_T7_P12ihipStream_tbENKUlT_T0_E_clISt17integral_constantIbLb0EES12_IbLb1EEEEDaSY_SZ_EUlSY_E_NS1_11comp_targetILNS1_3genE0ELNS1_11target_archE4294967295ELNS1_3gpuE0ELNS1_3repE0EEENS1_30default_config_static_selectorELNS0_4arch9wavefront6targetE1EEEvT1_,"axG",@progbits,_ZN7rocprim17ROCPRIM_400000_NS6detail17trampoline_kernelINS0_14default_configENS1_27scan_by_key_config_selectorIj11FixedVectorIiLj2EEEEZZNS1_16scan_by_key_implILNS1_25lookback_scan_determinismE0ELb1ES3_N6thrust23THRUST_200600_302600_NS6detail15normal_iteratorINSB_10device_ptrIjEEEENSD_INSE_IS6_EEEESI_S6_NSB_4plusIvEENSB_8equal_toIvEES6_EE10hipError_tPvRmT2_T3_T4_T5_mT6_T7_P12ihipStream_tbENKUlT_T0_E_clISt17integral_constantIbLb0EES12_IbLb1EEEEDaSY_SZ_EUlSY_E_NS1_11comp_targetILNS1_3genE0ELNS1_11target_archE4294967295ELNS1_3gpuE0ELNS1_3repE0EEENS1_30default_config_static_selectorELNS0_4arch9wavefront6targetE1EEEvT1_,comdat
	.protected	_ZN7rocprim17ROCPRIM_400000_NS6detail17trampoline_kernelINS0_14default_configENS1_27scan_by_key_config_selectorIj11FixedVectorIiLj2EEEEZZNS1_16scan_by_key_implILNS1_25lookback_scan_determinismE0ELb1ES3_N6thrust23THRUST_200600_302600_NS6detail15normal_iteratorINSB_10device_ptrIjEEEENSD_INSE_IS6_EEEESI_S6_NSB_4plusIvEENSB_8equal_toIvEES6_EE10hipError_tPvRmT2_T3_T4_T5_mT6_T7_P12ihipStream_tbENKUlT_T0_E_clISt17integral_constantIbLb0EES12_IbLb1EEEEDaSY_SZ_EUlSY_E_NS1_11comp_targetILNS1_3genE0ELNS1_11target_archE4294967295ELNS1_3gpuE0ELNS1_3repE0EEENS1_30default_config_static_selectorELNS0_4arch9wavefront6targetE1EEEvT1_ ; -- Begin function _ZN7rocprim17ROCPRIM_400000_NS6detail17trampoline_kernelINS0_14default_configENS1_27scan_by_key_config_selectorIj11FixedVectorIiLj2EEEEZZNS1_16scan_by_key_implILNS1_25lookback_scan_determinismE0ELb1ES3_N6thrust23THRUST_200600_302600_NS6detail15normal_iteratorINSB_10device_ptrIjEEEENSD_INSE_IS6_EEEESI_S6_NSB_4plusIvEENSB_8equal_toIvEES6_EE10hipError_tPvRmT2_T3_T4_T5_mT6_T7_P12ihipStream_tbENKUlT_T0_E_clISt17integral_constantIbLb0EES12_IbLb1EEEEDaSY_SZ_EUlSY_E_NS1_11comp_targetILNS1_3genE0ELNS1_11target_archE4294967295ELNS1_3gpuE0ELNS1_3repE0EEENS1_30default_config_static_selectorELNS0_4arch9wavefront6targetE1EEEvT1_
	.globl	_ZN7rocprim17ROCPRIM_400000_NS6detail17trampoline_kernelINS0_14default_configENS1_27scan_by_key_config_selectorIj11FixedVectorIiLj2EEEEZZNS1_16scan_by_key_implILNS1_25lookback_scan_determinismE0ELb1ES3_N6thrust23THRUST_200600_302600_NS6detail15normal_iteratorINSB_10device_ptrIjEEEENSD_INSE_IS6_EEEESI_S6_NSB_4plusIvEENSB_8equal_toIvEES6_EE10hipError_tPvRmT2_T3_T4_T5_mT6_T7_P12ihipStream_tbENKUlT_T0_E_clISt17integral_constantIbLb0EES12_IbLb1EEEEDaSY_SZ_EUlSY_E_NS1_11comp_targetILNS1_3genE0ELNS1_11target_archE4294967295ELNS1_3gpuE0ELNS1_3repE0EEENS1_30default_config_static_selectorELNS0_4arch9wavefront6targetE1EEEvT1_
	.p2align	8
	.type	_ZN7rocprim17ROCPRIM_400000_NS6detail17trampoline_kernelINS0_14default_configENS1_27scan_by_key_config_selectorIj11FixedVectorIiLj2EEEEZZNS1_16scan_by_key_implILNS1_25lookback_scan_determinismE0ELb1ES3_N6thrust23THRUST_200600_302600_NS6detail15normal_iteratorINSB_10device_ptrIjEEEENSD_INSE_IS6_EEEESI_S6_NSB_4plusIvEENSB_8equal_toIvEES6_EE10hipError_tPvRmT2_T3_T4_T5_mT6_T7_P12ihipStream_tbENKUlT_T0_E_clISt17integral_constantIbLb0EES12_IbLb1EEEEDaSY_SZ_EUlSY_E_NS1_11comp_targetILNS1_3genE0ELNS1_11target_archE4294967295ELNS1_3gpuE0ELNS1_3repE0EEENS1_30default_config_static_selectorELNS0_4arch9wavefront6targetE1EEEvT1_,@function
_ZN7rocprim17ROCPRIM_400000_NS6detail17trampoline_kernelINS0_14default_configENS1_27scan_by_key_config_selectorIj11FixedVectorIiLj2EEEEZZNS1_16scan_by_key_implILNS1_25lookback_scan_determinismE0ELb1ES3_N6thrust23THRUST_200600_302600_NS6detail15normal_iteratorINSB_10device_ptrIjEEEENSD_INSE_IS6_EEEESI_S6_NSB_4plusIvEENSB_8equal_toIvEES6_EE10hipError_tPvRmT2_T3_T4_T5_mT6_T7_P12ihipStream_tbENKUlT_T0_E_clISt17integral_constantIbLb0EES12_IbLb1EEEEDaSY_SZ_EUlSY_E_NS1_11comp_targetILNS1_3genE0ELNS1_11target_archE4294967295ELNS1_3gpuE0ELNS1_3repE0EEENS1_30default_config_static_selectorELNS0_4arch9wavefront6targetE1EEEvT1_: ; @_ZN7rocprim17ROCPRIM_400000_NS6detail17trampoline_kernelINS0_14default_configENS1_27scan_by_key_config_selectorIj11FixedVectorIiLj2EEEEZZNS1_16scan_by_key_implILNS1_25lookback_scan_determinismE0ELb1ES3_N6thrust23THRUST_200600_302600_NS6detail15normal_iteratorINSB_10device_ptrIjEEEENSD_INSE_IS6_EEEESI_S6_NSB_4plusIvEENSB_8equal_toIvEES6_EE10hipError_tPvRmT2_T3_T4_T5_mT6_T7_P12ihipStream_tbENKUlT_T0_E_clISt17integral_constantIbLb0EES12_IbLb1EEEEDaSY_SZ_EUlSY_E_NS1_11comp_targetILNS1_3genE0ELNS1_11target_archE4294967295ELNS1_3gpuE0ELNS1_3repE0EEENS1_30default_config_static_selectorELNS0_4arch9wavefront6targetE1EEEvT1_
; %bb.0:
	.section	.rodata,"a",@progbits
	.p2align	6, 0x0
	.amdhsa_kernel _ZN7rocprim17ROCPRIM_400000_NS6detail17trampoline_kernelINS0_14default_configENS1_27scan_by_key_config_selectorIj11FixedVectorIiLj2EEEEZZNS1_16scan_by_key_implILNS1_25lookback_scan_determinismE0ELb1ES3_N6thrust23THRUST_200600_302600_NS6detail15normal_iteratorINSB_10device_ptrIjEEEENSD_INSE_IS6_EEEESI_S6_NSB_4plusIvEENSB_8equal_toIvEES6_EE10hipError_tPvRmT2_T3_T4_T5_mT6_T7_P12ihipStream_tbENKUlT_T0_E_clISt17integral_constantIbLb0EES12_IbLb1EEEEDaSY_SZ_EUlSY_E_NS1_11comp_targetILNS1_3genE0ELNS1_11target_archE4294967295ELNS1_3gpuE0ELNS1_3repE0EEENS1_30default_config_static_selectorELNS0_4arch9wavefront6targetE1EEEvT1_
		.amdhsa_group_segment_fixed_size 0
		.amdhsa_private_segment_fixed_size 0
		.amdhsa_kernarg_size 120
		.amdhsa_user_sgpr_count 6
		.amdhsa_user_sgpr_private_segment_buffer 1
		.amdhsa_user_sgpr_dispatch_ptr 0
		.amdhsa_user_sgpr_queue_ptr 0
		.amdhsa_user_sgpr_kernarg_segment_ptr 1
		.amdhsa_user_sgpr_dispatch_id 0
		.amdhsa_user_sgpr_flat_scratch_init 0
		.amdhsa_user_sgpr_kernarg_preload_length 0
		.amdhsa_user_sgpr_kernarg_preload_offset 0
		.amdhsa_user_sgpr_private_segment_size 0
		.amdhsa_uses_dynamic_stack 0
		.amdhsa_system_sgpr_private_segment_wavefront_offset 0
		.amdhsa_system_sgpr_workgroup_id_x 1
		.amdhsa_system_sgpr_workgroup_id_y 0
		.amdhsa_system_sgpr_workgroup_id_z 0
		.amdhsa_system_sgpr_workgroup_info 0
		.amdhsa_system_vgpr_workitem_id 0
		.amdhsa_next_free_vgpr 1
		.amdhsa_next_free_sgpr 0
		.amdhsa_accum_offset 4
		.amdhsa_reserve_vcc 0
		.amdhsa_reserve_flat_scratch 0
		.amdhsa_float_round_mode_32 0
		.amdhsa_float_round_mode_16_64 0
		.amdhsa_float_denorm_mode_32 3
		.amdhsa_float_denorm_mode_16_64 3
		.amdhsa_dx10_clamp 1
		.amdhsa_ieee_mode 1
		.amdhsa_fp16_overflow 0
		.amdhsa_tg_split 0
		.amdhsa_exception_fp_ieee_invalid_op 0
		.amdhsa_exception_fp_denorm_src 0
		.amdhsa_exception_fp_ieee_div_zero 0
		.amdhsa_exception_fp_ieee_overflow 0
		.amdhsa_exception_fp_ieee_underflow 0
		.amdhsa_exception_fp_ieee_inexact 0
		.amdhsa_exception_int_div_zero 0
	.end_amdhsa_kernel
	.section	.text._ZN7rocprim17ROCPRIM_400000_NS6detail17trampoline_kernelINS0_14default_configENS1_27scan_by_key_config_selectorIj11FixedVectorIiLj2EEEEZZNS1_16scan_by_key_implILNS1_25lookback_scan_determinismE0ELb1ES3_N6thrust23THRUST_200600_302600_NS6detail15normal_iteratorINSB_10device_ptrIjEEEENSD_INSE_IS6_EEEESI_S6_NSB_4plusIvEENSB_8equal_toIvEES6_EE10hipError_tPvRmT2_T3_T4_T5_mT6_T7_P12ihipStream_tbENKUlT_T0_E_clISt17integral_constantIbLb0EES12_IbLb1EEEEDaSY_SZ_EUlSY_E_NS1_11comp_targetILNS1_3genE0ELNS1_11target_archE4294967295ELNS1_3gpuE0ELNS1_3repE0EEENS1_30default_config_static_selectorELNS0_4arch9wavefront6targetE1EEEvT1_,"axG",@progbits,_ZN7rocprim17ROCPRIM_400000_NS6detail17trampoline_kernelINS0_14default_configENS1_27scan_by_key_config_selectorIj11FixedVectorIiLj2EEEEZZNS1_16scan_by_key_implILNS1_25lookback_scan_determinismE0ELb1ES3_N6thrust23THRUST_200600_302600_NS6detail15normal_iteratorINSB_10device_ptrIjEEEENSD_INSE_IS6_EEEESI_S6_NSB_4plusIvEENSB_8equal_toIvEES6_EE10hipError_tPvRmT2_T3_T4_T5_mT6_T7_P12ihipStream_tbENKUlT_T0_E_clISt17integral_constantIbLb0EES12_IbLb1EEEEDaSY_SZ_EUlSY_E_NS1_11comp_targetILNS1_3genE0ELNS1_11target_archE4294967295ELNS1_3gpuE0ELNS1_3repE0EEENS1_30default_config_static_selectorELNS0_4arch9wavefront6targetE1EEEvT1_,comdat
.Lfunc_end2020:
	.size	_ZN7rocprim17ROCPRIM_400000_NS6detail17trampoline_kernelINS0_14default_configENS1_27scan_by_key_config_selectorIj11FixedVectorIiLj2EEEEZZNS1_16scan_by_key_implILNS1_25lookback_scan_determinismE0ELb1ES3_N6thrust23THRUST_200600_302600_NS6detail15normal_iteratorINSB_10device_ptrIjEEEENSD_INSE_IS6_EEEESI_S6_NSB_4plusIvEENSB_8equal_toIvEES6_EE10hipError_tPvRmT2_T3_T4_T5_mT6_T7_P12ihipStream_tbENKUlT_T0_E_clISt17integral_constantIbLb0EES12_IbLb1EEEEDaSY_SZ_EUlSY_E_NS1_11comp_targetILNS1_3genE0ELNS1_11target_archE4294967295ELNS1_3gpuE0ELNS1_3repE0EEENS1_30default_config_static_selectorELNS0_4arch9wavefront6targetE1EEEvT1_, .Lfunc_end2020-_ZN7rocprim17ROCPRIM_400000_NS6detail17trampoline_kernelINS0_14default_configENS1_27scan_by_key_config_selectorIj11FixedVectorIiLj2EEEEZZNS1_16scan_by_key_implILNS1_25lookback_scan_determinismE0ELb1ES3_N6thrust23THRUST_200600_302600_NS6detail15normal_iteratorINSB_10device_ptrIjEEEENSD_INSE_IS6_EEEESI_S6_NSB_4plusIvEENSB_8equal_toIvEES6_EE10hipError_tPvRmT2_T3_T4_T5_mT6_T7_P12ihipStream_tbENKUlT_T0_E_clISt17integral_constantIbLb0EES12_IbLb1EEEEDaSY_SZ_EUlSY_E_NS1_11comp_targetILNS1_3genE0ELNS1_11target_archE4294967295ELNS1_3gpuE0ELNS1_3repE0EEENS1_30default_config_static_selectorELNS0_4arch9wavefront6targetE1EEEvT1_
                                        ; -- End function
	.section	.AMDGPU.csdata,"",@progbits
; Kernel info:
; codeLenInByte = 0
; NumSgprs: 4
; NumVgprs: 0
; NumAgprs: 0
; TotalNumVgprs: 0
; ScratchSize: 0
; MemoryBound: 0
; FloatMode: 240
; IeeeMode: 1
; LDSByteSize: 0 bytes/workgroup (compile time only)
; SGPRBlocks: 0
; VGPRBlocks: 0
; NumSGPRsForWavesPerEU: 4
; NumVGPRsForWavesPerEU: 1
; AccumOffset: 4
; Occupancy: 8
; WaveLimiterHint : 0
; COMPUTE_PGM_RSRC2:SCRATCH_EN: 0
; COMPUTE_PGM_RSRC2:USER_SGPR: 6
; COMPUTE_PGM_RSRC2:TRAP_HANDLER: 0
; COMPUTE_PGM_RSRC2:TGID_X_EN: 1
; COMPUTE_PGM_RSRC2:TGID_Y_EN: 0
; COMPUTE_PGM_RSRC2:TGID_Z_EN: 0
; COMPUTE_PGM_RSRC2:TIDIG_COMP_CNT: 0
; COMPUTE_PGM_RSRC3_GFX90A:ACCUM_OFFSET: 0
; COMPUTE_PGM_RSRC3_GFX90A:TG_SPLIT: 0
	.section	.text._ZN7rocprim17ROCPRIM_400000_NS6detail17trampoline_kernelINS0_14default_configENS1_27scan_by_key_config_selectorIj11FixedVectorIiLj2EEEEZZNS1_16scan_by_key_implILNS1_25lookback_scan_determinismE0ELb1ES3_N6thrust23THRUST_200600_302600_NS6detail15normal_iteratorINSB_10device_ptrIjEEEENSD_INSE_IS6_EEEESI_S6_NSB_4plusIvEENSB_8equal_toIvEES6_EE10hipError_tPvRmT2_T3_T4_T5_mT6_T7_P12ihipStream_tbENKUlT_T0_E_clISt17integral_constantIbLb0EES12_IbLb1EEEEDaSY_SZ_EUlSY_E_NS1_11comp_targetILNS1_3genE10ELNS1_11target_archE1201ELNS1_3gpuE5ELNS1_3repE0EEENS1_30default_config_static_selectorELNS0_4arch9wavefront6targetE1EEEvT1_,"axG",@progbits,_ZN7rocprim17ROCPRIM_400000_NS6detail17trampoline_kernelINS0_14default_configENS1_27scan_by_key_config_selectorIj11FixedVectorIiLj2EEEEZZNS1_16scan_by_key_implILNS1_25lookback_scan_determinismE0ELb1ES3_N6thrust23THRUST_200600_302600_NS6detail15normal_iteratorINSB_10device_ptrIjEEEENSD_INSE_IS6_EEEESI_S6_NSB_4plusIvEENSB_8equal_toIvEES6_EE10hipError_tPvRmT2_T3_T4_T5_mT6_T7_P12ihipStream_tbENKUlT_T0_E_clISt17integral_constantIbLb0EES12_IbLb1EEEEDaSY_SZ_EUlSY_E_NS1_11comp_targetILNS1_3genE10ELNS1_11target_archE1201ELNS1_3gpuE5ELNS1_3repE0EEENS1_30default_config_static_selectorELNS0_4arch9wavefront6targetE1EEEvT1_,comdat
	.protected	_ZN7rocprim17ROCPRIM_400000_NS6detail17trampoline_kernelINS0_14default_configENS1_27scan_by_key_config_selectorIj11FixedVectorIiLj2EEEEZZNS1_16scan_by_key_implILNS1_25lookback_scan_determinismE0ELb1ES3_N6thrust23THRUST_200600_302600_NS6detail15normal_iteratorINSB_10device_ptrIjEEEENSD_INSE_IS6_EEEESI_S6_NSB_4plusIvEENSB_8equal_toIvEES6_EE10hipError_tPvRmT2_T3_T4_T5_mT6_T7_P12ihipStream_tbENKUlT_T0_E_clISt17integral_constantIbLb0EES12_IbLb1EEEEDaSY_SZ_EUlSY_E_NS1_11comp_targetILNS1_3genE10ELNS1_11target_archE1201ELNS1_3gpuE5ELNS1_3repE0EEENS1_30default_config_static_selectorELNS0_4arch9wavefront6targetE1EEEvT1_ ; -- Begin function _ZN7rocprim17ROCPRIM_400000_NS6detail17trampoline_kernelINS0_14default_configENS1_27scan_by_key_config_selectorIj11FixedVectorIiLj2EEEEZZNS1_16scan_by_key_implILNS1_25lookback_scan_determinismE0ELb1ES3_N6thrust23THRUST_200600_302600_NS6detail15normal_iteratorINSB_10device_ptrIjEEEENSD_INSE_IS6_EEEESI_S6_NSB_4plusIvEENSB_8equal_toIvEES6_EE10hipError_tPvRmT2_T3_T4_T5_mT6_T7_P12ihipStream_tbENKUlT_T0_E_clISt17integral_constantIbLb0EES12_IbLb1EEEEDaSY_SZ_EUlSY_E_NS1_11comp_targetILNS1_3genE10ELNS1_11target_archE1201ELNS1_3gpuE5ELNS1_3repE0EEENS1_30default_config_static_selectorELNS0_4arch9wavefront6targetE1EEEvT1_
	.globl	_ZN7rocprim17ROCPRIM_400000_NS6detail17trampoline_kernelINS0_14default_configENS1_27scan_by_key_config_selectorIj11FixedVectorIiLj2EEEEZZNS1_16scan_by_key_implILNS1_25lookback_scan_determinismE0ELb1ES3_N6thrust23THRUST_200600_302600_NS6detail15normal_iteratorINSB_10device_ptrIjEEEENSD_INSE_IS6_EEEESI_S6_NSB_4plusIvEENSB_8equal_toIvEES6_EE10hipError_tPvRmT2_T3_T4_T5_mT6_T7_P12ihipStream_tbENKUlT_T0_E_clISt17integral_constantIbLb0EES12_IbLb1EEEEDaSY_SZ_EUlSY_E_NS1_11comp_targetILNS1_3genE10ELNS1_11target_archE1201ELNS1_3gpuE5ELNS1_3repE0EEENS1_30default_config_static_selectorELNS0_4arch9wavefront6targetE1EEEvT1_
	.p2align	8
	.type	_ZN7rocprim17ROCPRIM_400000_NS6detail17trampoline_kernelINS0_14default_configENS1_27scan_by_key_config_selectorIj11FixedVectorIiLj2EEEEZZNS1_16scan_by_key_implILNS1_25lookback_scan_determinismE0ELb1ES3_N6thrust23THRUST_200600_302600_NS6detail15normal_iteratorINSB_10device_ptrIjEEEENSD_INSE_IS6_EEEESI_S6_NSB_4plusIvEENSB_8equal_toIvEES6_EE10hipError_tPvRmT2_T3_T4_T5_mT6_T7_P12ihipStream_tbENKUlT_T0_E_clISt17integral_constantIbLb0EES12_IbLb1EEEEDaSY_SZ_EUlSY_E_NS1_11comp_targetILNS1_3genE10ELNS1_11target_archE1201ELNS1_3gpuE5ELNS1_3repE0EEENS1_30default_config_static_selectorELNS0_4arch9wavefront6targetE1EEEvT1_,@function
_ZN7rocprim17ROCPRIM_400000_NS6detail17trampoline_kernelINS0_14default_configENS1_27scan_by_key_config_selectorIj11FixedVectorIiLj2EEEEZZNS1_16scan_by_key_implILNS1_25lookback_scan_determinismE0ELb1ES3_N6thrust23THRUST_200600_302600_NS6detail15normal_iteratorINSB_10device_ptrIjEEEENSD_INSE_IS6_EEEESI_S6_NSB_4plusIvEENSB_8equal_toIvEES6_EE10hipError_tPvRmT2_T3_T4_T5_mT6_T7_P12ihipStream_tbENKUlT_T0_E_clISt17integral_constantIbLb0EES12_IbLb1EEEEDaSY_SZ_EUlSY_E_NS1_11comp_targetILNS1_3genE10ELNS1_11target_archE1201ELNS1_3gpuE5ELNS1_3repE0EEENS1_30default_config_static_selectorELNS0_4arch9wavefront6targetE1EEEvT1_: ; @_ZN7rocprim17ROCPRIM_400000_NS6detail17trampoline_kernelINS0_14default_configENS1_27scan_by_key_config_selectorIj11FixedVectorIiLj2EEEEZZNS1_16scan_by_key_implILNS1_25lookback_scan_determinismE0ELb1ES3_N6thrust23THRUST_200600_302600_NS6detail15normal_iteratorINSB_10device_ptrIjEEEENSD_INSE_IS6_EEEESI_S6_NSB_4plusIvEENSB_8equal_toIvEES6_EE10hipError_tPvRmT2_T3_T4_T5_mT6_T7_P12ihipStream_tbENKUlT_T0_E_clISt17integral_constantIbLb0EES12_IbLb1EEEEDaSY_SZ_EUlSY_E_NS1_11comp_targetILNS1_3genE10ELNS1_11target_archE1201ELNS1_3gpuE5ELNS1_3repE0EEENS1_30default_config_static_selectorELNS0_4arch9wavefront6targetE1EEEvT1_
; %bb.0:
	.section	.rodata,"a",@progbits
	.p2align	6, 0x0
	.amdhsa_kernel _ZN7rocprim17ROCPRIM_400000_NS6detail17trampoline_kernelINS0_14default_configENS1_27scan_by_key_config_selectorIj11FixedVectorIiLj2EEEEZZNS1_16scan_by_key_implILNS1_25lookback_scan_determinismE0ELb1ES3_N6thrust23THRUST_200600_302600_NS6detail15normal_iteratorINSB_10device_ptrIjEEEENSD_INSE_IS6_EEEESI_S6_NSB_4plusIvEENSB_8equal_toIvEES6_EE10hipError_tPvRmT2_T3_T4_T5_mT6_T7_P12ihipStream_tbENKUlT_T0_E_clISt17integral_constantIbLb0EES12_IbLb1EEEEDaSY_SZ_EUlSY_E_NS1_11comp_targetILNS1_3genE10ELNS1_11target_archE1201ELNS1_3gpuE5ELNS1_3repE0EEENS1_30default_config_static_selectorELNS0_4arch9wavefront6targetE1EEEvT1_
		.amdhsa_group_segment_fixed_size 0
		.amdhsa_private_segment_fixed_size 0
		.amdhsa_kernarg_size 120
		.amdhsa_user_sgpr_count 6
		.amdhsa_user_sgpr_private_segment_buffer 1
		.amdhsa_user_sgpr_dispatch_ptr 0
		.amdhsa_user_sgpr_queue_ptr 0
		.amdhsa_user_sgpr_kernarg_segment_ptr 1
		.amdhsa_user_sgpr_dispatch_id 0
		.amdhsa_user_sgpr_flat_scratch_init 0
		.amdhsa_user_sgpr_kernarg_preload_length 0
		.amdhsa_user_sgpr_kernarg_preload_offset 0
		.amdhsa_user_sgpr_private_segment_size 0
		.amdhsa_uses_dynamic_stack 0
		.amdhsa_system_sgpr_private_segment_wavefront_offset 0
		.amdhsa_system_sgpr_workgroup_id_x 1
		.amdhsa_system_sgpr_workgroup_id_y 0
		.amdhsa_system_sgpr_workgroup_id_z 0
		.amdhsa_system_sgpr_workgroup_info 0
		.amdhsa_system_vgpr_workitem_id 0
		.amdhsa_next_free_vgpr 1
		.amdhsa_next_free_sgpr 0
		.amdhsa_accum_offset 4
		.amdhsa_reserve_vcc 0
		.amdhsa_reserve_flat_scratch 0
		.amdhsa_float_round_mode_32 0
		.amdhsa_float_round_mode_16_64 0
		.amdhsa_float_denorm_mode_32 3
		.amdhsa_float_denorm_mode_16_64 3
		.amdhsa_dx10_clamp 1
		.amdhsa_ieee_mode 1
		.amdhsa_fp16_overflow 0
		.amdhsa_tg_split 0
		.amdhsa_exception_fp_ieee_invalid_op 0
		.amdhsa_exception_fp_denorm_src 0
		.amdhsa_exception_fp_ieee_div_zero 0
		.amdhsa_exception_fp_ieee_overflow 0
		.amdhsa_exception_fp_ieee_underflow 0
		.amdhsa_exception_fp_ieee_inexact 0
		.amdhsa_exception_int_div_zero 0
	.end_amdhsa_kernel
	.section	.text._ZN7rocprim17ROCPRIM_400000_NS6detail17trampoline_kernelINS0_14default_configENS1_27scan_by_key_config_selectorIj11FixedVectorIiLj2EEEEZZNS1_16scan_by_key_implILNS1_25lookback_scan_determinismE0ELb1ES3_N6thrust23THRUST_200600_302600_NS6detail15normal_iteratorINSB_10device_ptrIjEEEENSD_INSE_IS6_EEEESI_S6_NSB_4plusIvEENSB_8equal_toIvEES6_EE10hipError_tPvRmT2_T3_T4_T5_mT6_T7_P12ihipStream_tbENKUlT_T0_E_clISt17integral_constantIbLb0EES12_IbLb1EEEEDaSY_SZ_EUlSY_E_NS1_11comp_targetILNS1_3genE10ELNS1_11target_archE1201ELNS1_3gpuE5ELNS1_3repE0EEENS1_30default_config_static_selectorELNS0_4arch9wavefront6targetE1EEEvT1_,"axG",@progbits,_ZN7rocprim17ROCPRIM_400000_NS6detail17trampoline_kernelINS0_14default_configENS1_27scan_by_key_config_selectorIj11FixedVectorIiLj2EEEEZZNS1_16scan_by_key_implILNS1_25lookback_scan_determinismE0ELb1ES3_N6thrust23THRUST_200600_302600_NS6detail15normal_iteratorINSB_10device_ptrIjEEEENSD_INSE_IS6_EEEESI_S6_NSB_4plusIvEENSB_8equal_toIvEES6_EE10hipError_tPvRmT2_T3_T4_T5_mT6_T7_P12ihipStream_tbENKUlT_T0_E_clISt17integral_constantIbLb0EES12_IbLb1EEEEDaSY_SZ_EUlSY_E_NS1_11comp_targetILNS1_3genE10ELNS1_11target_archE1201ELNS1_3gpuE5ELNS1_3repE0EEENS1_30default_config_static_selectorELNS0_4arch9wavefront6targetE1EEEvT1_,comdat
.Lfunc_end2021:
	.size	_ZN7rocprim17ROCPRIM_400000_NS6detail17trampoline_kernelINS0_14default_configENS1_27scan_by_key_config_selectorIj11FixedVectorIiLj2EEEEZZNS1_16scan_by_key_implILNS1_25lookback_scan_determinismE0ELb1ES3_N6thrust23THRUST_200600_302600_NS6detail15normal_iteratorINSB_10device_ptrIjEEEENSD_INSE_IS6_EEEESI_S6_NSB_4plusIvEENSB_8equal_toIvEES6_EE10hipError_tPvRmT2_T3_T4_T5_mT6_T7_P12ihipStream_tbENKUlT_T0_E_clISt17integral_constantIbLb0EES12_IbLb1EEEEDaSY_SZ_EUlSY_E_NS1_11comp_targetILNS1_3genE10ELNS1_11target_archE1201ELNS1_3gpuE5ELNS1_3repE0EEENS1_30default_config_static_selectorELNS0_4arch9wavefront6targetE1EEEvT1_, .Lfunc_end2021-_ZN7rocprim17ROCPRIM_400000_NS6detail17trampoline_kernelINS0_14default_configENS1_27scan_by_key_config_selectorIj11FixedVectorIiLj2EEEEZZNS1_16scan_by_key_implILNS1_25lookback_scan_determinismE0ELb1ES3_N6thrust23THRUST_200600_302600_NS6detail15normal_iteratorINSB_10device_ptrIjEEEENSD_INSE_IS6_EEEESI_S6_NSB_4plusIvEENSB_8equal_toIvEES6_EE10hipError_tPvRmT2_T3_T4_T5_mT6_T7_P12ihipStream_tbENKUlT_T0_E_clISt17integral_constantIbLb0EES12_IbLb1EEEEDaSY_SZ_EUlSY_E_NS1_11comp_targetILNS1_3genE10ELNS1_11target_archE1201ELNS1_3gpuE5ELNS1_3repE0EEENS1_30default_config_static_selectorELNS0_4arch9wavefront6targetE1EEEvT1_
                                        ; -- End function
	.section	.AMDGPU.csdata,"",@progbits
; Kernel info:
; codeLenInByte = 0
; NumSgprs: 4
; NumVgprs: 0
; NumAgprs: 0
; TotalNumVgprs: 0
; ScratchSize: 0
; MemoryBound: 0
; FloatMode: 240
; IeeeMode: 1
; LDSByteSize: 0 bytes/workgroup (compile time only)
; SGPRBlocks: 0
; VGPRBlocks: 0
; NumSGPRsForWavesPerEU: 4
; NumVGPRsForWavesPerEU: 1
; AccumOffset: 4
; Occupancy: 8
; WaveLimiterHint : 0
; COMPUTE_PGM_RSRC2:SCRATCH_EN: 0
; COMPUTE_PGM_RSRC2:USER_SGPR: 6
; COMPUTE_PGM_RSRC2:TRAP_HANDLER: 0
; COMPUTE_PGM_RSRC2:TGID_X_EN: 1
; COMPUTE_PGM_RSRC2:TGID_Y_EN: 0
; COMPUTE_PGM_RSRC2:TGID_Z_EN: 0
; COMPUTE_PGM_RSRC2:TIDIG_COMP_CNT: 0
; COMPUTE_PGM_RSRC3_GFX90A:ACCUM_OFFSET: 0
; COMPUTE_PGM_RSRC3_GFX90A:TG_SPLIT: 0
	.section	.text._ZN7rocprim17ROCPRIM_400000_NS6detail17trampoline_kernelINS0_14default_configENS1_27scan_by_key_config_selectorIj11FixedVectorIiLj2EEEEZZNS1_16scan_by_key_implILNS1_25lookback_scan_determinismE0ELb1ES3_N6thrust23THRUST_200600_302600_NS6detail15normal_iteratorINSB_10device_ptrIjEEEENSD_INSE_IS6_EEEESI_S6_NSB_4plusIvEENSB_8equal_toIvEES6_EE10hipError_tPvRmT2_T3_T4_T5_mT6_T7_P12ihipStream_tbENKUlT_T0_E_clISt17integral_constantIbLb0EES12_IbLb1EEEEDaSY_SZ_EUlSY_E_NS1_11comp_targetILNS1_3genE5ELNS1_11target_archE942ELNS1_3gpuE9ELNS1_3repE0EEENS1_30default_config_static_selectorELNS0_4arch9wavefront6targetE1EEEvT1_,"axG",@progbits,_ZN7rocprim17ROCPRIM_400000_NS6detail17trampoline_kernelINS0_14default_configENS1_27scan_by_key_config_selectorIj11FixedVectorIiLj2EEEEZZNS1_16scan_by_key_implILNS1_25lookback_scan_determinismE0ELb1ES3_N6thrust23THRUST_200600_302600_NS6detail15normal_iteratorINSB_10device_ptrIjEEEENSD_INSE_IS6_EEEESI_S6_NSB_4plusIvEENSB_8equal_toIvEES6_EE10hipError_tPvRmT2_T3_T4_T5_mT6_T7_P12ihipStream_tbENKUlT_T0_E_clISt17integral_constantIbLb0EES12_IbLb1EEEEDaSY_SZ_EUlSY_E_NS1_11comp_targetILNS1_3genE5ELNS1_11target_archE942ELNS1_3gpuE9ELNS1_3repE0EEENS1_30default_config_static_selectorELNS0_4arch9wavefront6targetE1EEEvT1_,comdat
	.protected	_ZN7rocprim17ROCPRIM_400000_NS6detail17trampoline_kernelINS0_14default_configENS1_27scan_by_key_config_selectorIj11FixedVectorIiLj2EEEEZZNS1_16scan_by_key_implILNS1_25lookback_scan_determinismE0ELb1ES3_N6thrust23THRUST_200600_302600_NS6detail15normal_iteratorINSB_10device_ptrIjEEEENSD_INSE_IS6_EEEESI_S6_NSB_4plusIvEENSB_8equal_toIvEES6_EE10hipError_tPvRmT2_T3_T4_T5_mT6_T7_P12ihipStream_tbENKUlT_T0_E_clISt17integral_constantIbLb0EES12_IbLb1EEEEDaSY_SZ_EUlSY_E_NS1_11comp_targetILNS1_3genE5ELNS1_11target_archE942ELNS1_3gpuE9ELNS1_3repE0EEENS1_30default_config_static_selectorELNS0_4arch9wavefront6targetE1EEEvT1_ ; -- Begin function _ZN7rocprim17ROCPRIM_400000_NS6detail17trampoline_kernelINS0_14default_configENS1_27scan_by_key_config_selectorIj11FixedVectorIiLj2EEEEZZNS1_16scan_by_key_implILNS1_25lookback_scan_determinismE0ELb1ES3_N6thrust23THRUST_200600_302600_NS6detail15normal_iteratorINSB_10device_ptrIjEEEENSD_INSE_IS6_EEEESI_S6_NSB_4plusIvEENSB_8equal_toIvEES6_EE10hipError_tPvRmT2_T3_T4_T5_mT6_T7_P12ihipStream_tbENKUlT_T0_E_clISt17integral_constantIbLb0EES12_IbLb1EEEEDaSY_SZ_EUlSY_E_NS1_11comp_targetILNS1_3genE5ELNS1_11target_archE942ELNS1_3gpuE9ELNS1_3repE0EEENS1_30default_config_static_selectorELNS0_4arch9wavefront6targetE1EEEvT1_
	.globl	_ZN7rocprim17ROCPRIM_400000_NS6detail17trampoline_kernelINS0_14default_configENS1_27scan_by_key_config_selectorIj11FixedVectorIiLj2EEEEZZNS1_16scan_by_key_implILNS1_25lookback_scan_determinismE0ELb1ES3_N6thrust23THRUST_200600_302600_NS6detail15normal_iteratorINSB_10device_ptrIjEEEENSD_INSE_IS6_EEEESI_S6_NSB_4plusIvEENSB_8equal_toIvEES6_EE10hipError_tPvRmT2_T3_T4_T5_mT6_T7_P12ihipStream_tbENKUlT_T0_E_clISt17integral_constantIbLb0EES12_IbLb1EEEEDaSY_SZ_EUlSY_E_NS1_11comp_targetILNS1_3genE5ELNS1_11target_archE942ELNS1_3gpuE9ELNS1_3repE0EEENS1_30default_config_static_selectorELNS0_4arch9wavefront6targetE1EEEvT1_
	.p2align	8
	.type	_ZN7rocprim17ROCPRIM_400000_NS6detail17trampoline_kernelINS0_14default_configENS1_27scan_by_key_config_selectorIj11FixedVectorIiLj2EEEEZZNS1_16scan_by_key_implILNS1_25lookback_scan_determinismE0ELb1ES3_N6thrust23THRUST_200600_302600_NS6detail15normal_iteratorINSB_10device_ptrIjEEEENSD_INSE_IS6_EEEESI_S6_NSB_4plusIvEENSB_8equal_toIvEES6_EE10hipError_tPvRmT2_T3_T4_T5_mT6_T7_P12ihipStream_tbENKUlT_T0_E_clISt17integral_constantIbLb0EES12_IbLb1EEEEDaSY_SZ_EUlSY_E_NS1_11comp_targetILNS1_3genE5ELNS1_11target_archE942ELNS1_3gpuE9ELNS1_3repE0EEENS1_30default_config_static_selectorELNS0_4arch9wavefront6targetE1EEEvT1_,@function
_ZN7rocprim17ROCPRIM_400000_NS6detail17trampoline_kernelINS0_14default_configENS1_27scan_by_key_config_selectorIj11FixedVectorIiLj2EEEEZZNS1_16scan_by_key_implILNS1_25lookback_scan_determinismE0ELb1ES3_N6thrust23THRUST_200600_302600_NS6detail15normal_iteratorINSB_10device_ptrIjEEEENSD_INSE_IS6_EEEESI_S6_NSB_4plusIvEENSB_8equal_toIvEES6_EE10hipError_tPvRmT2_T3_T4_T5_mT6_T7_P12ihipStream_tbENKUlT_T0_E_clISt17integral_constantIbLb0EES12_IbLb1EEEEDaSY_SZ_EUlSY_E_NS1_11comp_targetILNS1_3genE5ELNS1_11target_archE942ELNS1_3gpuE9ELNS1_3repE0EEENS1_30default_config_static_selectorELNS0_4arch9wavefront6targetE1EEEvT1_: ; @_ZN7rocprim17ROCPRIM_400000_NS6detail17trampoline_kernelINS0_14default_configENS1_27scan_by_key_config_selectorIj11FixedVectorIiLj2EEEEZZNS1_16scan_by_key_implILNS1_25lookback_scan_determinismE0ELb1ES3_N6thrust23THRUST_200600_302600_NS6detail15normal_iteratorINSB_10device_ptrIjEEEENSD_INSE_IS6_EEEESI_S6_NSB_4plusIvEENSB_8equal_toIvEES6_EE10hipError_tPvRmT2_T3_T4_T5_mT6_T7_P12ihipStream_tbENKUlT_T0_E_clISt17integral_constantIbLb0EES12_IbLb1EEEEDaSY_SZ_EUlSY_E_NS1_11comp_targetILNS1_3genE5ELNS1_11target_archE942ELNS1_3gpuE9ELNS1_3repE0EEENS1_30default_config_static_selectorELNS0_4arch9wavefront6targetE1EEEvT1_
; %bb.0:
	.section	.rodata,"a",@progbits
	.p2align	6, 0x0
	.amdhsa_kernel _ZN7rocprim17ROCPRIM_400000_NS6detail17trampoline_kernelINS0_14default_configENS1_27scan_by_key_config_selectorIj11FixedVectorIiLj2EEEEZZNS1_16scan_by_key_implILNS1_25lookback_scan_determinismE0ELb1ES3_N6thrust23THRUST_200600_302600_NS6detail15normal_iteratorINSB_10device_ptrIjEEEENSD_INSE_IS6_EEEESI_S6_NSB_4plusIvEENSB_8equal_toIvEES6_EE10hipError_tPvRmT2_T3_T4_T5_mT6_T7_P12ihipStream_tbENKUlT_T0_E_clISt17integral_constantIbLb0EES12_IbLb1EEEEDaSY_SZ_EUlSY_E_NS1_11comp_targetILNS1_3genE5ELNS1_11target_archE942ELNS1_3gpuE9ELNS1_3repE0EEENS1_30default_config_static_selectorELNS0_4arch9wavefront6targetE1EEEvT1_
		.amdhsa_group_segment_fixed_size 0
		.amdhsa_private_segment_fixed_size 0
		.amdhsa_kernarg_size 120
		.amdhsa_user_sgpr_count 6
		.amdhsa_user_sgpr_private_segment_buffer 1
		.amdhsa_user_sgpr_dispatch_ptr 0
		.amdhsa_user_sgpr_queue_ptr 0
		.amdhsa_user_sgpr_kernarg_segment_ptr 1
		.amdhsa_user_sgpr_dispatch_id 0
		.amdhsa_user_sgpr_flat_scratch_init 0
		.amdhsa_user_sgpr_kernarg_preload_length 0
		.amdhsa_user_sgpr_kernarg_preload_offset 0
		.amdhsa_user_sgpr_private_segment_size 0
		.amdhsa_uses_dynamic_stack 0
		.amdhsa_system_sgpr_private_segment_wavefront_offset 0
		.amdhsa_system_sgpr_workgroup_id_x 1
		.amdhsa_system_sgpr_workgroup_id_y 0
		.amdhsa_system_sgpr_workgroup_id_z 0
		.amdhsa_system_sgpr_workgroup_info 0
		.amdhsa_system_vgpr_workitem_id 0
		.amdhsa_next_free_vgpr 1
		.amdhsa_next_free_sgpr 0
		.amdhsa_accum_offset 4
		.amdhsa_reserve_vcc 0
		.amdhsa_reserve_flat_scratch 0
		.amdhsa_float_round_mode_32 0
		.amdhsa_float_round_mode_16_64 0
		.amdhsa_float_denorm_mode_32 3
		.amdhsa_float_denorm_mode_16_64 3
		.amdhsa_dx10_clamp 1
		.amdhsa_ieee_mode 1
		.amdhsa_fp16_overflow 0
		.amdhsa_tg_split 0
		.amdhsa_exception_fp_ieee_invalid_op 0
		.amdhsa_exception_fp_denorm_src 0
		.amdhsa_exception_fp_ieee_div_zero 0
		.amdhsa_exception_fp_ieee_overflow 0
		.amdhsa_exception_fp_ieee_underflow 0
		.amdhsa_exception_fp_ieee_inexact 0
		.amdhsa_exception_int_div_zero 0
	.end_amdhsa_kernel
	.section	.text._ZN7rocprim17ROCPRIM_400000_NS6detail17trampoline_kernelINS0_14default_configENS1_27scan_by_key_config_selectorIj11FixedVectorIiLj2EEEEZZNS1_16scan_by_key_implILNS1_25lookback_scan_determinismE0ELb1ES3_N6thrust23THRUST_200600_302600_NS6detail15normal_iteratorINSB_10device_ptrIjEEEENSD_INSE_IS6_EEEESI_S6_NSB_4plusIvEENSB_8equal_toIvEES6_EE10hipError_tPvRmT2_T3_T4_T5_mT6_T7_P12ihipStream_tbENKUlT_T0_E_clISt17integral_constantIbLb0EES12_IbLb1EEEEDaSY_SZ_EUlSY_E_NS1_11comp_targetILNS1_3genE5ELNS1_11target_archE942ELNS1_3gpuE9ELNS1_3repE0EEENS1_30default_config_static_selectorELNS0_4arch9wavefront6targetE1EEEvT1_,"axG",@progbits,_ZN7rocprim17ROCPRIM_400000_NS6detail17trampoline_kernelINS0_14default_configENS1_27scan_by_key_config_selectorIj11FixedVectorIiLj2EEEEZZNS1_16scan_by_key_implILNS1_25lookback_scan_determinismE0ELb1ES3_N6thrust23THRUST_200600_302600_NS6detail15normal_iteratorINSB_10device_ptrIjEEEENSD_INSE_IS6_EEEESI_S6_NSB_4plusIvEENSB_8equal_toIvEES6_EE10hipError_tPvRmT2_T3_T4_T5_mT6_T7_P12ihipStream_tbENKUlT_T0_E_clISt17integral_constantIbLb0EES12_IbLb1EEEEDaSY_SZ_EUlSY_E_NS1_11comp_targetILNS1_3genE5ELNS1_11target_archE942ELNS1_3gpuE9ELNS1_3repE0EEENS1_30default_config_static_selectorELNS0_4arch9wavefront6targetE1EEEvT1_,comdat
.Lfunc_end2022:
	.size	_ZN7rocprim17ROCPRIM_400000_NS6detail17trampoline_kernelINS0_14default_configENS1_27scan_by_key_config_selectorIj11FixedVectorIiLj2EEEEZZNS1_16scan_by_key_implILNS1_25lookback_scan_determinismE0ELb1ES3_N6thrust23THRUST_200600_302600_NS6detail15normal_iteratorINSB_10device_ptrIjEEEENSD_INSE_IS6_EEEESI_S6_NSB_4plusIvEENSB_8equal_toIvEES6_EE10hipError_tPvRmT2_T3_T4_T5_mT6_T7_P12ihipStream_tbENKUlT_T0_E_clISt17integral_constantIbLb0EES12_IbLb1EEEEDaSY_SZ_EUlSY_E_NS1_11comp_targetILNS1_3genE5ELNS1_11target_archE942ELNS1_3gpuE9ELNS1_3repE0EEENS1_30default_config_static_selectorELNS0_4arch9wavefront6targetE1EEEvT1_, .Lfunc_end2022-_ZN7rocprim17ROCPRIM_400000_NS6detail17trampoline_kernelINS0_14default_configENS1_27scan_by_key_config_selectorIj11FixedVectorIiLj2EEEEZZNS1_16scan_by_key_implILNS1_25lookback_scan_determinismE0ELb1ES3_N6thrust23THRUST_200600_302600_NS6detail15normal_iteratorINSB_10device_ptrIjEEEENSD_INSE_IS6_EEEESI_S6_NSB_4plusIvEENSB_8equal_toIvEES6_EE10hipError_tPvRmT2_T3_T4_T5_mT6_T7_P12ihipStream_tbENKUlT_T0_E_clISt17integral_constantIbLb0EES12_IbLb1EEEEDaSY_SZ_EUlSY_E_NS1_11comp_targetILNS1_3genE5ELNS1_11target_archE942ELNS1_3gpuE9ELNS1_3repE0EEENS1_30default_config_static_selectorELNS0_4arch9wavefront6targetE1EEEvT1_
                                        ; -- End function
	.section	.AMDGPU.csdata,"",@progbits
; Kernel info:
; codeLenInByte = 0
; NumSgprs: 4
; NumVgprs: 0
; NumAgprs: 0
; TotalNumVgprs: 0
; ScratchSize: 0
; MemoryBound: 0
; FloatMode: 240
; IeeeMode: 1
; LDSByteSize: 0 bytes/workgroup (compile time only)
; SGPRBlocks: 0
; VGPRBlocks: 0
; NumSGPRsForWavesPerEU: 4
; NumVGPRsForWavesPerEU: 1
; AccumOffset: 4
; Occupancy: 8
; WaveLimiterHint : 0
; COMPUTE_PGM_RSRC2:SCRATCH_EN: 0
; COMPUTE_PGM_RSRC2:USER_SGPR: 6
; COMPUTE_PGM_RSRC2:TRAP_HANDLER: 0
; COMPUTE_PGM_RSRC2:TGID_X_EN: 1
; COMPUTE_PGM_RSRC2:TGID_Y_EN: 0
; COMPUTE_PGM_RSRC2:TGID_Z_EN: 0
; COMPUTE_PGM_RSRC2:TIDIG_COMP_CNT: 0
; COMPUTE_PGM_RSRC3_GFX90A:ACCUM_OFFSET: 0
; COMPUTE_PGM_RSRC3_GFX90A:TG_SPLIT: 0
	.section	.text._ZN7rocprim17ROCPRIM_400000_NS6detail17trampoline_kernelINS0_14default_configENS1_27scan_by_key_config_selectorIj11FixedVectorIiLj2EEEEZZNS1_16scan_by_key_implILNS1_25lookback_scan_determinismE0ELb1ES3_N6thrust23THRUST_200600_302600_NS6detail15normal_iteratorINSB_10device_ptrIjEEEENSD_INSE_IS6_EEEESI_S6_NSB_4plusIvEENSB_8equal_toIvEES6_EE10hipError_tPvRmT2_T3_T4_T5_mT6_T7_P12ihipStream_tbENKUlT_T0_E_clISt17integral_constantIbLb0EES12_IbLb1EEEEDaSY_SZ_EUlSY_E_NS1_11comp_targetILNS1_3genE4ELNS1_11target_archE910ELNS1_3gpuE8ELNS1_3repE0EEENS1_30default_config_static_selectorELNS0_4arch9wavefront6targetE1EEEvT1_,"axG",@progbits,_ZN7rocprim17ROCPRIM_400000_NS6detail17trampoline_kernelINS0_14default_configENS1_27scan_by_key_config_selectorIj11FixedVectorIiLj2EEEEZZNS1_16scan_by_key_implILNS1_25lookback_scan_determinismE0ELb1ES3_N6thrust23THRUST_200600_302600_NS6detail15normal_iteratorINSB_10device_ptrIjEEEENSD_INSE_IS6_EEEESI_S6_NSB_4plusIvEENSB_8equal_toIvEES6_EE10hipError_tPvRmT2_T3_T4_T5_mT6_T7_P12ihipStream_tbENKUlT_T0_E_clISt17integral_constantIbLb0EES12_IbLb1EEEEDaSY_SZ_EUlSY_E_NS1_11comp_targetILNS1_3genE4ELNS1_11target_archE910ELNS1_3gpuE8ELNS1_3repE0EEENS1_30default_config_static_selectorELNS0_4arch9wavefront6targetE1EEEvT1_,comdat
	.protected	_ZN7rocprim17ROCPRIM_400000_NS6detail17trampoline_kernelINS0_14default_configENS1_27scan_by_key_config_selectorIj11FixedVectorIiLj2EEEEZZNS1_16scan_by_key_implILNS1_25lookback_scan_determinismE0ELb1ES3_N6thrust23THRUST_200600_302600_NS6detail15normal_iteratorINSB_10device_ptrIjEEEENSD_INSE_IS6_EEEESI_S6_NSB_4plusIvEENSB_8equal_toIvEES6_EE10hipError_tPvRmT2_T3_T4_T5_mT6_T7_P12ihipStream_tbENKUlT_T0_E_clISt17integral_constantIbLb0EES12_IbLb1EEEEDaSY_SZ_EUlSY_E_NS1_11comp_targetILNS1_3genE4ELNS1_11target_archE910ELNS1_3gpuE8ELNS1_3repE0EEENS1_30default_config_static_selectorELNS0_4arch9wavefront6targetE1EEEvT1_ ; -- Begin function _ZN7rocprim17ROCPRIM_400000_NS6detail17trampoline_kernelINS0_14default_configENS1_27scan_by_key_config_selectorIj11FixedVectorIiLj2EEEEZZNS1_16scan_by_key_implILNS1_25lookback_scan_determinismE0ELb1ES3_N6thrust23THRUST_200600_302600_NS6detail15normal_iteratorINSB_10device_ptrIjEEEENSD_INSE_IS6_EEEESI_S6_NSB_4plusIvEENSB_8equal_toIvEES6_EE10hipError_tPvRmT2_T3_T4_T5_mT6_T7_P12ihipStream_tbENKUlT_T0_E_clISt17integral_constantIbLb0EES12_IbLb1EEEEDaSY_SZ_EUlSY_E_NS1_11comp_targetILNS1_3genE4ELNS1_11target_archE910ELNS1_3gpuE8ELNS1_3repE0EEENS1_30default_config_static_selectorELNS0_4arch9wavefront6targetE1EEEvT1_
	.globl	_ZN7rocprim17ROCPRIM_400000_NS6detail17trampoline_kernelINS0_14default_configENS1_27scan_by_key_config_selectorIj11FixedVectorIiLj2EEEEZZNS1_16scan_by_key_implILNS1_25lookback_scan_determinismE0ELb1ES3_N6thrust23THRUST_200600_302600_NS6detail15normal_iteratorINSB_10device_ptrIjEEEENSD_INSE_IS6_EEEESI_S6_NSB_4plusIvEENSB_8equal_toIvEES6_EE10hipError_tPvRmT2_T3_T4_T5_mT6_T7_P12ihipStream_tbENKUlT_T0_E_clISt17integral_constantIbLb0EES12_IbLb1EEEEDaSY_SZ_EUlSY_E_NS1_11comp_targetILNS1_3genE4ELNS1_11target_archE910ELNS1_3gpuE8ELNS1_3repE0EEENS1_30default_config_static_selectorELNS0_4arch9wavefront6targetE1EEEvT1_
	.p2align	8
	.type	_ZN7rocprim17ROCPRIM_400000_NS6detail17trampoline_kernelINS0_14default_configENS1_27scan_by_key_config_selectorIj11FixedVectorIiLj2EEEEZZNS1_16scan_by_key_implILNS1_25lookback_scan_determinismE0ELb1ES3_N6thrust23THRUST_200600_302600_NS6detail15normal_iteratorINSB_10device_ptrIjEEEENSD_INSE_IS6_EEEESI_S6_NSB_4plusIvEENSB_8equal_toIvEES6_EE10hipError_tPvRmT2_T3_T4_T5_mT6_T7_P12ihipStream_tbENKUlT_T0_E_clISt17integral_constantIbLb0EES12_IbLb1EEEEDaSY_SZ_EUlSY_E_NS1_11comp_targetILNS1_3genE4ELNS1_11target_archE910ELNS1_3gpuE8ELNS1_3repE0EEENS1_30default_config_static_selectorELNS0_4arch9wavefront6targetE1EEEvT1_,@function
_ZN7rocprim17ROCPRIM_400000_NS6detail17trampoline_kernelINS0_14default_configENS1_27scan_by_key_config_selectorIj11FixedVectorIiLj2EEEEZZNS1_16scan_by_key_implILNS1_25lookback_scan_determinismE0ELb1ES3_N6thrust23THRUST_200600_302600_NS6detail15normal_iteratorINSB_10device_ptrIjEEEENSD_INSE_IS6_EEEESI_S6_NSB_4plusIvEENSB_8equal_toIvEES6_EE10hipError_tPvRmT2_T3_T4_T5_mT6_T7_P12ihipStream_tbENKUlT_T0_E_clISt17integral_constantIbLb0EES12_IbLb1EEEEDaSY_SZ_EUlSY_E_NS1_11comp_targetILNS1_3genE4ELNS1_11target_archE910ELNS1_3gpuE8ELNS1_3repE0EEENS1_30default_config_static_selectorELNS0_4arch9wavefront6targetE1EEEvT1_: ; @_ZN7rocprim17ROCPRIM_400000_NS6detail17trampoline_kernelINS0_14default_configENS1_27scan_by_key_config_selectorIj11FixedVectorIiLj2EEEEZZNS1_16scan_by_key_implILNS1_25lookback_scan_determinismE0ELb1ES3_N6thrust23THRUST_200600_302600_NS6detail15normal_iteratorINSB_10device_ptrIjEEEENSD_INSE_IS6_EEEESI_S6_NSB_4plusIvEENSB_8equal_toIvEES6_EE10hipError_tPvRmT2_T3_T4_T5_mT6_T7_P12ihipStream_tbENKUlT_T0_E_clISt17integral_constantIbLb0EES12_IbLb1EEEEDaSY_SZ_EUlSY_E_NS1_11comp_targetILNS1_3genE4ELNS1_11target_archE910ELNS1_3gpuE8ELNS1_3repE0EEENS1_30default_config_static_selectorELNS0_4arch9wavefront6targetE1EEEvT1_
; %bb.0:
	s_load_dwordx2 s[62:63], s[4:5], 0x20
	s_load_dwordx4 s[52:55], s[4:5], 0x30
	s_load_dwordx2 s[64:65], s[4:5], 0x40
	v_cmp_eq_u32_e64 s[2:3], 0, v0
	s_and_saveexec_b64 s[0:1], s[2:3]
	s_cbranch_execz .LBB2023_4
; %bb.1:
	s_mov_b64 s[8:9], exec
	v_mbcnt_lo_u32_b32 v1, s8, 0
	v_mbcnt_hi_u32_b32 v1, s9, v1
	v_cmp_eq_u32_e32 vcc, 0, v1
                                        ; implicit-def: $vgpr2
	s_and_saveexec_b64 s[6:7], vcc
	s_cbranch_execz .LBB2023_3
; %bb.2:
	s_load_dwordx2 s[10:11], s[4:5], 0x70
	s_bcnt1_i32_b64 s8, s[8:9]
	v_mov_b32_e32 v2, 0
	v_mov_b32_e32 v3, s8
	s_waitcnt lgkmcnt(0)
	global_atomic_add v2, v2, v3, s[10:11] glc
.LBB2023_3:
	s_or_b64 exec, exec, s[6:7]
	s_waitcnt vmcnt(0)
	v_readfirstlane_b32 s6, v2
	v_add_u32_e32 v1, s6, v1
	v_mov_b32_e32 v2, 0
	ds_write_b32 v2, v1
.LBB2023_4:
	s_or_b64 exec, exec, s[0:1]
	s_load_dwordx8 s[44:51], s[4:5], 0x0
	s_load_dword s0, s[4:5], 0x48
	s_load_dwordx4 s[56:59], s[4:5], 0x50
	v_mov_b32_e32 v3, 0
	s_waitcnt lgkmcnt(0)
	s_lshl_b64 s[4:5], s[46:47], 2
	; wave barrier
	ds_read_b32 v8, v3
	s_add_u32 s1, s44, s4
	s_addc_u32 s4, s45, s5
	s_lshl_b64 s[60:61], s[46:47], 3
	s_add_u32 s5, s48, s60
	s_mul_i32 s7, s65, s0
	s_mul_hi_u32 s8, s64, s0
	s_addc_u32 s6, s49, s61
	s_add_i32 s7, s8, s7
	s_movk_i32 s8, 0x540
	s_waitcnt lgkmcnt(0)
	v_mul_lo_u32 v2, v8, s8
	v_lshlrev_b64 v[4:5], 2, v[2:3]
	v_mov_b32_e32 v1, s4
	v_add_co_u32_e32 v6, vcc, s1, v4
	v_addc_co_u32_e32 v7, vcc, v1, v5, vcc
	v_lshlrev_b64 v[40:41], 3, v[2:3]
	v_mov_b32_e32 v2, s6
	v_add_co_u32_e32 v1, vcc, s5, v40
	s_mul_i32 s0, s64, s0
	v_addc_co_u32_e32 v78, vcc, v2, v41, vcc
	v_mov_b32_e32 v3, s7
	v_add_co_u32_e32 v2, vcc, s0, v8
	s_add_u32 s6, s56, -1
	v_addc_co_u32_e32 v3, vcc, 0, v3, vcc
	s_addc_u32 s7, s57, -1
	v_cmp_le_u64_e64 s[0:1], s[6:7], v[2:3]
	v_readfirstlane_b32 s55, v8
	s_mov_b64 s[4:5], -1
	s_and_b64 vcc, exec, s[0:1]
	s_mul_i32 s33, s6, 0xfffffac0
	s_waitcnt lgkmcnt(0)
	; wave barrier
	s_waitcnt lgkmcnt(0)
	s_waitcnt lgkmcnt(0)
	; wave barrier
	s_cbranch_vccz .LBB2023_134
; %bb.5:
	flat_load_dword v2, v[6:7]
	s_add_i32 s66, s33, s54
	v_cmp_gt_u32_e64 s[44:45], s66, v0
	s_waitcnt vmcnt(0) lgkmcnt(0)
	v_mov_b32_e32 v3, v2
	s_and_saveexec_b64 s[4:5], s[44:45]
	s_cbranch_execz .LBB2023_7
; %bb.6:
	v_lshlrev_b32_e32 v3, 2, v0
	v_add_co_u32_e32 v4, vcc, v6, v3
	v_addc_co_u32_e32 v5, vcc, 0, v7, vcc
	flat_load_dword v3, v[4:5]
.LBB2023_7:
	s_or_b64 exec, exec, s[4:5]
	v_or_b32_e32 v4, 64, v0
	v_cmp_gt_u32_e64 s[42:43], s66, v4
	v_mov_b32_e32 v4, v2
	s_and_saveexec_b64 s[4:5], s[42:43]
	s_cbranch_execz .LBB2023_9
; %bb.8:
	v_lshlrev_b32_e32 v4, 2, v0
	v_add_co_u32_e32 v4, vcc, v6, v4
	v_addc_co_u32_e32 v5, vcc, 0, v7, vcc
	flat_load_dword v4, v[4:5] offset:256
.LBB2023_9:
	s_or_b64 exec, exec, s[4:5]
	v_or_b32_e32 v5, 0x80, v0
	v_cmp_gt_u32_e64 s[40:41], s66, v5
	v_mov_b32_e32 v5, v2
	s_and_saveexec_b64 s[4:5], s[40:41]
	s_cbranch_execz .LBB2023_11
; %bb.10:
	v_lshlrev_b32_e32 v5, 2, v0
	v_add_co_u32_e32 v8, vcc, v6, v5
	v_addc_co_u32_e32 v9, vcc, 0, v7, vcc
	flat_load_dword v5, v[8:9] offset:512
.LBB2023_11:
	s_or_b64 exec, exec, s[4:5]
	v_or_b32_e32 v8, 0xc0, v0
	v_cmp_gt_u32_e64 s[38:39], s66, v8
	v_mov_b32_e32 v8, v2
	s_and_saveexec_b64 s[4:5], s[38:39]
	s_cbranch_execz .LBB2023_13
; %bb.12:
	v_lshlrev_b32_e32 v8, 2, v0
	v_add_co_u32_e32 v8, vcc, v6, v8
	v_addc_co_u32_e32 v9, vcc, 0, v7, vcc
	flat_load_dword v8, v[8:9] offset:768
.LBB2023_13:
	s_or_b64 exec, exec, s[4:5]
	v_or_b32_e32 v9, 0x100, v0
	v_cmp_gt_u32_e64 s[36:37], s66, v9
	v_mov_b32_e32 v9, v2
	s_and_saveexec_b64 s[4:5], s[36:37]
	s_cbranch_execz .LBB2023_15
; %bb.14:
	v_lshlrev_b32_e32 v9, 2, v0
	v_add_co_u32_e32 v10, vcc, v6, v9
	v_addc_co_u32_e32 v11, vcc, 0, v7, vcc
	flat_load_dword v9, v[10:11] offset:1024
.LBB2023_15:
	s_or_b64 exec, exec, s[4:5]
	v_or_b32_e32 v10, 0x140, v0
	v_cmp_gt_u32_e64 s[34:35], s66, v10
	v_mov_b32_e32 v10, v2
	s_and_saveexec_b64 s[4:5], s[34:35]
	s_cbranch_execz .LBB2023_17
; %bb.16:
	v_lshlrev_b32_e32 v10, 2, v0
	v_add_co_u32_e32 v10, vcc, v6, v10
	v_addc_co_u32_e32 v11, vcc, 0, v7, vcc
	flat_load_dword v10, v[10:11] offset:1280
.LBB2023_17:
	s_or_b64 exec, exec, s[4:5]
	v_or_b32_e32 v11, 0x180, v0
	v_cmp_gt_u32_e64 s[30:31], s66, v11
	v_mov_b32_e32 v11, v2
	s_and_saveexec_b64 s[4:5], s[30:31]
	s_cbranch_execz .LBB2023_19
; %bb.18:
	v_lshlrev_b32_e32 v11, 2, v0
	v_add_co_u32_e32 v12, vcc, v6, v11
	v_addc_co_u32_e32 v13, vcc, 0, v7, vcc
	flat_load_dword v11, v[12:13] offset:1536
.LBB2023_19:
	s_or_b64 exec, exec, s[4:5]
	v_or_b32_e32 v12, 0x1c0, v0
	v_cmp_gt_u32_e64 s[28:29], s66, v12
	v_mov_b32_e32 v12, v2
	s_and_saveexec_b64 s[4:5], s[28:29]
	s_cbranch_execz .LBB2023_21
; %bb.20:
	v_lshlrev_b32_e32 v12, 2, v0
	v_add_co_u32_e32 v12, vcc, v6, v12
	v_addc_co_u32_e32 v13, vcc, 0, v7, vcc
	flat_load_dword v12, v[12:13] offset:1792
.LBB2023_21:
	s_or_b64 exec, exec, s[4:5]
	v_or_b32_e32 v43, 0x200, v0
	v_cmp_gt_u32_e64 s[26:27], s66, v43
	v_mov_b32_e32 v13, v2
	s_and_saveexec_b64 s[4:5], s[26:27]
	s_cbranch_execz .LBB2023_23
; %bb.22:
	v_lshlrev_b32_e32 v13, 2, v0
	v_add_co_u32_e32 v14, vcc, v6, v13
	v_addc_co_u32_e32 v15, vcc, 0, v7, vcc
	flat_load_dword v13, v[14:15] offset:2048
.LBB2023_23:
	s_or_b64 exec, exec, s[4:5]
	v_or_b32_e32 v46, 0x240, v0
	v_cmp_gt_u32_e64 s[24:25], s66, v46
	v_mov_b32_e32 v14, v2
	s_and_saveexec_b64 s[4:5], s[24:25]
	s_cbranch_execz .LBB2023_25
; %bb.24:
	v_lshlrev_b32_e32 v14, 2, v0
	v_add_co_u32_e32 v14, vcc, v6, v14
	v_addc_co_u32_e32 v15, vcc, 0, v7, vcc
	flat_load_dword v14, v[14:15] offset:2304
.LBB2023_25:
	s_or_b64 exec, exec, s[4:5]
	v_or_b32_e32 v47, 0x280, v0
	v_cmp_gt_u32_e64 s[22:23], s66, v47
	v_mov_b32_e32 v15, v2
	s_and_saveexec_b64 s[4:5], s[22:23]
	s_cbranch_execz .LBB2023_27
; %bb.26:
	v_lshlrev_b32_e32 v15, 2, v0
	v_add_co_u32_e32 v16, vcc, v6, v15
	v_addc_co_u32_e32 v17, vcc, 0, v7, vcc
	flat_load_dword v15, v[16:17] offset:2560
.LBB2023_27:
	s_or_b64 exec, exec, s[4:5]
	v_or_b32_e32 v50, 0x2c0, v0
	v_cmp_gt_u32_e64 s[20:21], s66, v50
	v_mov_b32_e32 v16, v2
	s_and_saveexec_b64 s[4:5], s[20:21]
	s_cbranch_execz .LBB2023_29
; %bb.28:
	v_lshlrev_b32_e32 v16, 2, v0
	v_add_co_u32_e32 v16, vcc, v6, v16
	v_addc_co_u32_e32 v17, vcc, 0, v7, vcc
	flat_load_dword v16, v[16:17] offset:2816
.LBB2023_29:
	s_or_b64 exec, exec, s[4:5]
	v_or_b32_e32 v51, 0x300, v0
	v_cmp_gt_u32_e64 s[18:19], s66, v51
	v_mov_b32_e32 v17, v2
	s_and_saveexec_b64 s[4:5], s[18:19]
	s_cbranch_execz .LBB2023_31
; %bb.30:
	v_lshlrev_b32_e32 v17, 2, v0
	v_add_co_u32_e32 v18, vcc, v6, v17
	v_addc_co_u32_e32 v19, vcc, 0, v7, vcc
	flat_load_dword v17, v[18:19] offset:3072
.LBB2023_31:
	s_or_b64 exec, exec, s[4:5]
	v_or_b32_e32 v54, 0x340, v0
	v_cmp_gt_u32_e64 s[16:17], s66, v54
	v_mov_b32_e32 v18, v2
	s_and_saveexec_b64 s[4:5], s[16:17]
	s_cbranch_execz .LBB2023_33
; %bb.32:
	v_lshlrev_b32_e32 v18, 2, v0
	v_add_co_u32_e32 v18, vcc, v6, v18
	v_addc_co_u32_e32 v19, vcc, 0, v7, vcc
	flat_load_dword v18, v[18:19] offset:3328
.LBB2023_33:
	s_or_b64 exec, exec, s[4:5]
	v_or_b32_e32 v55, 0x380, v0
	v_cmp_gt_u32_e64 s[14:15], s66, v55
	v_mov_b32_e32 v19, v2
	s_and_saveexec_b64 s[4:5], s[14:15]
	s_cbranch_execz .LBB2023_35
; %bb.34:
	v_lshlrev_b32_e32 v19, 2, v0
	v_add_co_u32_e32 v20, vcc, v6, v19
	v_addc_co_u32_e32 v21, vcc, 0, v7, vcc
	flat_load_dword v19, v[20:21] offset:3584
.LBB2023_35:
	s_or_b64 exec, exec, s[4:5]
	v_or_b32_e32 v58, 0x3c0, v0
	v_cmp_gt_u32_e64 s[12:13], s66, v58
	v_mov_b32_e32 v20, v2
	s_and_saveexec_b64 s[4:5], s[12:13]
	s_cbranch_execz .LBB2023_37
; %bb.36:
	v_lshlrev_b32_e32 v20, 2, v0
	v_add_co_u32_e32 v20, vcc, v6, v20
	v_addc_co_u32_e32 v21, vcc, 0, v7, vcc
	flat_load_dword v20, v[20:21] offset:3840
.LBB2023_37:
	s_or_b64 exec, exec, s[4:5]
	v_or_b32_e32 v59, 0x400, v0
	v_cmp_gt_u32_e64 s[10:11], s66, v59
	v_mov_b32_e32 v21, v2
	s_and_saveexec_b64 s[4:5], s[10:11]
	s_cbranch_execz .LBB2023_39
; %bb.38:
	v_lshlrev_b32_e32 v21, 2, v59
	v_add_co_u32_e32 v22, vcc, v6, v21
	v_addc_co_u32_e32 v23, vcc, 0, v7, vcc
	flat_load_dword v21, v[22:23]
.LBB2023_39:
	s_or_b64 exec, exec, s[4:5]
	v_or_b32_e32 v62, 0x440, v0
	v_cmp_gt_u32_e64 s[8:9], s66, v62
	v_mov_b32_e32 v22, v2
	s_and_saveexec_b64 s[4:5], s[8:9]
	s_cbranch_execz .LBB2023_41
; %bb.40:
	v_lshlrev_b32_e32 v22, 2, v62
	v_add_co_u32_e32 v22, vcc, v6, v22
	v_addc_co_u32_e32 v23, vcc, 0, v7, vcc
	flat_load_dword v22, v[22:23]
.LBB2023_41:
	;; [unrolled: 12-line block ×4, first 2 shown]
	s_or_b64 exec, exec, s[46:47]
	v_or_b32_e32 v69, 0x500, v0
	v_cmp_gt_u32_e32 vcc, s66, v69
	s_and_saveexec_b64 s[48:49], vcc
	s_cbranch_execz .LBB2023_47
; %bb.46:
	v_lshlrev_b32_e32 v2, 2, v69
	v_add_co_u32_e64 v26, s[46:47], v6, v2
	v_addc_co_u32_e64 v27, s[46:47], 0, v7, s[46:47]
	flat_load_dword v2, v[26:27]
.LBB2023_47:
	s_or_b64 exec, exec, s[48:49]
	v_lshlrev_b32_e32 v28, 2, v0
	s_waitcnt vmcnt(0) lgkmcnt(0)
	ds_write2st64_b32 v28, v3, v4 offset1:1
	ds_write2st64_b32 v28, v5, v8 offset0:2 offset1:3
	ds_write2st64_b32 v28, v9, v10 offset0:4 offset1:5
	;; [unrolled: 1-line block ×9, first 2 shown]
	ds_write_b32 v28, v2 offset:5120
	s_waitcnt lgkmcnt(0)
	; wave barrier
	s_waitcnt lgkmcnt(0)
	flat_load_dword v79, v[6:7]
	s_movk_i32 s46, 0x50
	v_mad_u32_u24 v2, v0, s46, v28
	s_movk_i32 s46, 0xffb0
	v_mad_i32_i24 v70, v0, s46, v2
	v_cmp_ne_u32_e64 s[46:47], 63, v0
	ds_read_b32 v81, v2
	ds_read2_b32 v[26:27], v2 offset0:1 offset1:2
	ds_read2_b32 v[24:25], v2 offset0:3 offset1:4
	;; [unrolled: 1-line block ×10, first 2 shown]
	s_waitcnt lgkmcnt(0)
	ds_write_b32 v70, v81 offset:5632
	s_waitcnt lgkmcnt(0)
	; wave barrier
	s_waitcnt lgkmcnt(0)
	s_and_saveexec_b64 s[48:49], s[46:47]
	s_cbranch_execz .LBB2023_49
; %bb.48:
	s_waitcnt vmcnt(0)
	ds_read_b32 v79, v28 offset:5636
.LBB2023_49:
	s_or_b64 exec, exec, s[48:49]
	v_mov_b32_e32 v2, 0
	v_mov_b32_e32 v4, 0
	;; [unrolled: 1-line block ×3, first 2 shown]
	s_waitcnt lgkmcnt(0)
	; wave barrier
	s_waitcnt lgkmcnt(0)
	s_and_saveexec_b64 s[46:47], s[44:45]
	s_cbranch_execz .LBB2023_51
; %bb.50:
	v_lshlrev_b32_e32 v3, 3, v0
	v_add_co_u32_e64 v4, s[44:45], v1, v3
	v_addc_co_u32_e64 v5, s[44:45], 0, v78, s[44:45]
	flat_load_dwordx2 v[4:5], v[4:5]
.LBB2023_51:
	s_or_b64 exec, exec, s[46:47]
	v_mov_b32_e32 v3, 0
	s_and_saveexec_b64 s[44:45], s[42:43]
	s_cbranch_execz .LBB2023_53
; %bb.52:
	v_lshlrev_b32_e32 v2, 3, v0
	v_add_co_u32_e64 v2, s[42:43], v1, v2
	v_addc_co_u32_e64 v3, s[42:43], 0, v78, s[42:43]
	flat_load_dwordx2 v[2:3], v[2:3] offset:512
.LBB2023_53:
	s_or_b64 exec, exec, s[44:45]
	v_mov_b32_e32 v28, 0
	v_mov_b32_e32 v30, 0
	v_mov_b32_e32 v31, 0
	s_and_saveexec_b64 s[42:43], s[40:41]
	s_cbranch_execz .LBB2023_55
; %bb.54:
	v_lshlrev_b32_e32 v29, 3, v0
	v_add_co_u32_e64 v30, s[40:41], v1, v29
	v_addc_co_u32_e64 v31, s[40:41], 0, v78, s[40:41]
	flat_load_dwordx2 v[30:31], v[30:31] offset:1024
.LBB2023_55:
	s_or_b64 exec, exec, s[42:43]
	v_mov_b32_e32 v29, 0
	s_and_saveexec_b64 s[40:41], s[38:39]
	s_cbranch_execz .LBB2023_57
; %bb.56:
	v_lshlrev_b32_e32 v28, 3, v0
	v_add_co_u32_e64 v28, s[38:39], v1, v28
	v_addc_co_u32_e64 v29, s[38:39], 0, v78, s[38:39]
	flat_load_dwordx2 v[28:29], v[28:29] offset:1536
.LBB2023_57:
	s_or_b64 exec, exec, s[40:41]
	v_mov_b32_e32 v32, 0
	v_mov_b32_e32 v34, 0
	v_mov_b32_e32 v35, 0
	s_and_saveexec_b64 s[38:39], s[36:37]
	s_cbranch_execz .LBB2023_59
; %bb.58:
	v_lshlrev_b32_e32 v33, 3, v0
	v_add_co_u32_e64 v34, s[36:37], v1, v33
	v_addc_co_u32_e64 v35, s[36:37], 0, v78, s[36:37]
	flat_load_dwordx2 v[34:35], v[34:35] offset:2048
.LBB2023_59:
	;; [unrolled: 22-line block ×3, first 2 shown]
	s_or_b64 exec, exec, s[34:35]
	v_mov_b32_e32 v37, 0
	s_and_saveexec_b64 s[30:31], s[28:29]
	s_cbranch_execz .LBB2023_65
; %bb.64:
	v_lshlrev_b32_e32 v36, 3, v0
	v_add_co_u32_e64 v36, s[28:29], v1, v36
	v_addc_co_u32_e64 v37, s[28:29], 0, v78, s[28:29]
	flat_load_dwordx2 v[36:37], v[36:37] offset:3584
.LBB2023_65:
	s_or_b64 exec, exec, s[30:31]
	v_mov_b32_e32 v42, 0
	v_mov_b32_e32 v44, 0
	v_mov_b32_e32 v45, 0
	s_and_saveexec_b64 s[28:29], s[26:27]
	s_cbranch_execz .LBB2023_67
; %bb.66:
	v_lshlrev_b32_e32 v43, 3, v43
	v_add_co_u32_e64 v44, s[26:27], v1, v43
	v_addc_co_u32_e64 v45, s[26:27], 0, v78, s[26:27]
	flat_load_dwordx2 v[44:45], v[44:45]
.LBB2023_67:
	s_or_b64 exec, exec, s[28:29]
	v_mov_b32_e32 v43, 0
	s_and_saveexec_b64 s[26:27], s[24:25]
	s_cbranch_execz .LBB2023_69
; %bb.68:
	v_lshlrev_b32_e32 v42, 3, v46
	v_add_co_u32_e64 v42, s[24:25], v1, v42
	v_addc_co_u32_e64 v43, s[24:25], 0, v78, s[24:25]
	flat_load_dwordx2 v[42:43], v[42:43]
.LBB2023_69:
	s_or_b64 exec, exec, s[26:27]
	v_mov_b32_e32 v46, 0
	v_mov_b32_e32 v48, 0
	v_mov_b32_e32 v49, 0
	s_and_saveexec_b64 s[24:25], s[22:23]
	s_cbranch_execz .LBB2023_71
; %bb.70:
	v_lshlrev_b32_e32 v47, 3, v47
	v_add_co_u32_e64 v48, s[22:23], v1, v47
	v_addc_co_u32_e64 v49, s[22:23], 0, v78, s[22:23]
	flat_load_dwordx2 v[48:49], v[48:49]
.LBB2023_71:
	s_or_b64 exec, exec, s[24:25]
	v_mov_b32_e32 v47, 0
	s_and_saveexec_b64 s[22:23], s[20:21]
	s_cbranch_execz .LBB2023_73
; %bb.72:
	v_lshlrev_b32_e32 v46, 3, v50
	v_add_co_u32_e64 v46, s[20:21], v1, v46
	v_addc_co_u32_e64 v47, s[20:21], 0, v78, s[20:21]
	flat_load_dwordx2 v[46:47], v[46:47]
.LBB2023_73:
	;; [unrolled: 22-line block ×6, first 2 shown]
	s_or_b64 exec, exec, s[6:7]
	v_mul_u32_u24_e32 v80, 21, v0
	v_mov_b32_e32 v68, 0
	v_mov_b32_e32 v66, 0
	;; [unrolled: 1-line block ×3, first 2 shown]
	s_and_saveexec_b64 s[4:5], vcc
	s_cbranch_execz .LBB2023_91
; %bb.90:
	v_lshlrev_b32_e32 v66, 3, v69
	v_add_co_u32_e32 v66, vcc, v1, v66
	v_addc_co_u32_e32 v67, vcc, 0, v78, vcc
	flat_load_dwordx2 v[66:67], v[66:67]
.LBB2023_91:
	s_or_b64 exec, exec, s[4:5]
	v_lshl_add_u32 v82, v0, 2, v70
	s_waitcnt vmcnt(0) lgkmcnt(0)
	ds_write2st64_b64 v82, v[4:5], v[2:3] offset1:1
	ds_write2st64_b64 v82, v[30:31], v[28:29] offset0:2 offset1:3
	ds_write2st64_b64 v82, v[34:35], v[32:33] offset0:4 offset1:5
	;; [unrolled: 1-line block ×9, first 2 shown]
	ds_write_b64 v82, v[66:67] offset:10240
	v_cmp_gt_u32_e32 vcc, s66, v80
	s_mov_b64 s[4:5], 0
	s_mov_b32 s68, 0
	v_pk_mov_b32 v[42:43], 0, 0
	s_mov_b64 s[10:11], 0
	v_mov_b32_e32 v52, 0
	v_mov_b32_e32 v44, 0
	;; [unrolled: 1-line block ×57, first 2 shown]
	s_waitcnt lgkmcnt(0)
	; wave barrier
	s_waitcnt lgkmcnt(0)
                                        ; implicit-def: $sgpr8_sgpr9
                                        ; implicit-def: $vgpr2_vgpr3
	s_and_saveexec_b64 s[6:7], vcc
	s_cbranch_execz .LBB2023_133
; %bb.92:
	s_movk_i32 s8, 0xa0
	v_mad_u32_u24 v2, v0, s8, v82
	ds_read_b64 v[2:3], v2
	v_add_u32_e32 v4, 1, v80
	v_mov_b32_e32 v5, s63
	v_mov_b32_e32 v28, s62
	v_cmp_ne_u32_e32 vcc, v81, v26
	s_waitcnt lgkmcnt(0)
	v_cndmask_b32_e32 v43, v3, v5, vcc
	v_cndmask_b32_e32 v42, v2, v28, vcc
	v_cndmask_b32_e64 v68, 0, 1, vcc
	v_cmp_gt_u32_e32 vcc, s66, v4
	v_mov_b32_e32 v52, 0
	v_mov_b32_e32 v44, 0
	;; [unrolled: 1-line block ×57, first 2 shown]
                                        ; implicit-def: $sgpr12_sgpr13
                                        ; implicit-def: $vgpr2_vgpr3
	s_and_saveexec_b64 s[8:9], vcc
	s_cbranch_execz .LBB2023_132
; %bb.93:
	v_mul_u32_u24_e32 v2, 0xa0, v0
	v_add_u32_e32 v28, v82, v2
	ds_read2_b64 v[2:5], v28 offset0:1 offset1:2
	v_cmp_ne_u32_e32 vcc, v26, v27
	v_mov_b32_e32 v26, s62
	v_add_u32_e32 v29, 2, v80
	v_cndmask_b32_e64 v49, 0, 1, vcc
	s_waitcnt lgkmcnt(0)
	v_cndmask_b32_e32 v46, v2, v26, vcc
	v_mov_b32_e32 v2, s63
	v_cndmask_b32_e32 v45, v3, v2, vcc
	v_cmp_gt_u32_e32 vcc, s66, v29
	s_mov_b64 s[14:15], 0
	v_mov_b32_e32 v52, 0
	v_mov_b32_e32 v44, 0
	;; [unrolled: 1-line block ×54, first 2 shown]
                                        ; implicit-def: $sgpr12_sgpr13
                                        ; implicit-def: $vgpr2_vgpr3
	s_and_saveexec_b64 s[10:11], vcc
	s_cbranch_execz .LBB2023_131
; %bb.94:
	v_cmp_ne_u32_e32 vcc, v27, v24
	v_mov_b32_e32 v3, s62
	v_add_u32_e32 v2, 3, v80
	v_cndmask_b32_e32 v48, v4, v3, vcc
	v_mov_b32_e32 v3, s63
	v_cndmask_b32_e64 v53, 0, 1, vcc
	v_cndmask_b32_e32 v47, v5, v3, vcc
	v_cmp_gt_u32_e32 vcc, s66, v2
	v_mov_b32_e32 v52, 0
	v_mov_b32_e32 v44, 0
	;; [unrolled: 1-line block ×51, first 2 shown]
                                        ; implicit-def: $sgpr16_sgpr17
                                        ; implicit-def: $vgpr2_vgpr3
	s_and_saveexec_b64 s[12:13], vcc
	s_cbranch_execz .LBB2023_130
; %bb.95:
	ds_read2_b64 v[2:5], v28 offset0:3 offset1:4
	v_cmp_ne_u32_e32 vcc, v24, v25
	v_mov_b32_e32 v24, s62
	v_add_u32_e32 v26, 4, v80
	v_cndmask_b32_e64 v56, 0, 1, vcc
	s_waitcnt lgkmcnt(0)
	v_cndmask_b32_e32 v51, v2, v24, vcc
	v_mov_b32_e32 v2, s63
	v_cndmask_b32_e32 v50, v3, v2, vcc
	v_cmp_gt_u32_e32 vcc, s66, v26
	s_mov_b64 s[18:19], 0
	v_mov_b32_e32 v52, 0
	v_mov_b32_e32 v44, 0
	;; [unrolled: 1-line block ×48, first 2 shown]
                                        ; implicit-def: $sgpr16_sgpr17
                                        ; implicit-def: $vgpr2_vgpr3
	s_and_saveexec_b64 s[14:15], vcc
	s_cbranch_execz .LBB2023_129
; %bb.96:
	v_cmp_ne_u32_e32 vcc, v25, v22
	v_mov_b32_e32 v3, s62
	v_add_u32_e32 v2, 5, v80
	v_cndmask_b32_e32 v55, v4, v3, vcc
	v_mov_b32_e32 v3, s63
	v_cndmask_b32_e64 v61, 0, 1, vcc
	v_cndmask_b32_e32 v54, v5, v3, vcc
	v_cmp_gt_u32_e32 vcc, s66, v2
	v_mov_b32_e32 v52, 0
	v_mov_b32_e32 v44, 0
	;; [unrolled: 1-line block ×45, first 2 shown]
                                        ; implicit-def: $sgpr20_sgpr21
                                        ; implicit-def: $vgpr2_vgpr3
	s_and_saveexec_b64 s[16:17], vcc
	s_cbranch_execz .LBB2023_128
; %bb.97:
	ds_read2_b64 v[2:5], v28 offset0:5 offset1:6
	v_cmp_ne_u32_e32 vcc, v22, v23
	v_mov_b32_e32 v22, s62
	v_add_u32_e32 v24, 6, v80
	v_cndmask_b32_e64 v64, 0, 1, vcc
	s_waitcnt lgkmcnt(0)
	v_cndmask_b32_e32 v58, v2, v22, vcc
	v_mov_b32_e32 v2, s63
	v_cndmask_b32_e32 v57, v3, v2, vcc
	v_cmp_gt_u32_e32 vcc, s66, v24
	s_mov_b64 s[22:23], 0
	v_mov_b32_e32 v52, 0
	v_mov_b32_e32 v44, 0
	;; [unrolled: 1-line block ×42, first 2 shown]
                                        ; implicit-def: $sgpr20_sgpr21
                                        ; implicit-def: $vgpr2_vgpr3
	s_and_saveexec_b64 s[18:19], vcc
	s_cbranch_execz .LBB2023_127
; %bb.98:
	v_cmp_ne_u32_e32 vcc, v23, v20
	v_mov_b32_e32 v3, s62
	v_add_u32_e32 v2, 7, v80
	v_cndmask_b32_e32 v60, v4, v3, vcc
	v_mov_b32_e32 v3, s63
	v_cndmask_b32_e64 v67, 0, 1, vcc
	v_cndmask_b32_e32 v59, v5, v3, vcc
	v_cmp_gt_u32_e32 vcc, s66, v2
	v_mov_b32_e32 v52, 0
	v_mov_b32_e32 v44, 0
	;; [unrolled: 1-line block ×39, first 2 shown]
                                        ; implicit-def: $sgpr24_sgpr25
                                        ; implicit-def: $vgpr2_vgpr3
	s_and_saveexec_b64 s[20:21], vcc
	s_cbranch_execz .LBB2023_126
; %bb.99:
	ds_read2_b64 v[2:5], v28 offset0:7 offset1:8
	v_cmp_ne_u32_e32 vcc, v20, v21
	v_mov_b32_e32 v20, s62
	v_add_u32_e32 v22, 8, v80
	v_cndmask_b32_e64 v71, 0, 1, vcc
	s_waitcnt lgkmcnt(0)
	v_cndmask_b32_e32 v63, v2, v20, vcc
	v_mov_b32_e32 v2, s63
	v_cndmask_b32_e32 v62, v3, v2, vcc
	v_cmp_gt_u32_e32 vcc, s66, v22
	s_mov_b64 s[26:27], 0
	v_mov_b32_e32 v52, 0
	v_mov_b32_e32 v44, 0
	;; [unrolled: 1-line block ×36, first 2 shown]
                                        ; implicit-def: $sgpr24_sgpr25
                                        ; implicit-def: $vgpr2_vgpr3
	s_and_saveexec_b64 s[22:23], vcc
	s_cbranch_execz .LBB2023_125
; %bb.100:
	v_cmp_ne_u32_e32 vcc, v21, v18
	v_mov_b32_e32 v3, s62
	v_add_u32_e32 v2, 9, v80
	v_cndmask_b32_e32 v66, v4, v3, vcc
	v_mov_b32_e32 v3, s63
	v_cndmask_b32_e64 v76, 0, 1, vcc
	v_cndmask_b32_e32 v65, v5, v3, vcc
	v_cmp_gt_u32_e32 vcc, s66, v2
	v_mov_b32_e32 v52, 0
	v_mov_b32_e32 v44, 0
	;; [unrolled: 1-line block ×33, first 2 shown]
                                        ; implicit-def: $sgpr28_sgpr29
                                        ; implicit-def: $vgpr2_vgpr3
	s_and_saveexec_b64 s[24:25], vcc
	s_cbranch_execz .LBB2023_124
; %bb.101:
	ds_read2_b64 v[2:5], v28 offset0:9 offset1:10
	v_cmp_ne_u32_e32 vcc, v18, v19
	v_mov_b32_e32 v18, s62
	v_add_u32_e32 v20, 10, v80
	v_cndmask_b32_e64 v99, 0, 1, vcc
	s_waitcnt lgkmcnt(0)
	v_cndmask_b32_e32 v70, v2, v18, vcc
	v_mov_b32_e32 v2, s63
	v_cndmask_b32_e32 v69, v3, v2, vcc
	v_cmp_gt_u32_e32 vcc, s66, v20
	s_mov_b64 s[30:31], 0
	v_mov_b32_e32 v52, 0
	v_mov_b32_e32 v44, 0
	;; [unrolled: 1-line block ×30, first 2 shown]
                                        ; implicit-def: $sgpr28_sgpr29
                                        ; implicit-def: $vgpr2_vgpr3
	s_and_saveexec_b64 s[26:27], vcc
	s_cbranch_execz .LBB2023_123
; %bb.102:
	v_cmp_ne_u32_e32 vcc, v19, v16
	v_mov_b32_e32 v3, s62
	v_add_u32_e32 v2, 11, v80
	v_cndmask_b32_e32 v73, v4, v3, vcc
	v_mov_b32_e32 v3, s63
	v_cndmask_b32_e64 v104, 0, 1, vcc
	v_cndmask_b32_e32 v72, v5, v3, vcc
	v_cmp_gt_u32_e32 vcc, s66, v2
	v_mov_b32_e32 v52, 0
	v_mov_b32_e32 v44, 0
	;; [unrolled: 1-line block ×27, first 2 shown]
                                        ; implicit-def: $sgpr34_sgpr35
                                        ; implicit-def: $vgpr2_vgpr3
	s_and_saveexec_b64 s[28:29], vcc
	s_cbranch_execz .LBB2023_122
; %bb.103:
	ds_read2_b64 v[2:5], v28 offset0:11 offset1:12
	v_cmp_ne_u32_e32 vcc, v16, v17
	v_mov_b32_e32 v16, s62
	v_add_u32_e32 v18, 12, v80
	v_cndmask_b32_e64 v109, 0, 1, vcc
	s_waitcnt lgkmcnt(0)
	v_cndmask_b32_e32 v75, v2, v16, vcc
	v_mov_b32_e32 v2, s63
	v_cndmask_b32_e32 v74, v3, v2, vcc
	v_cmp_gt_u32_e32 vcc, s66, v18
	s_mov_b64 s[36:37], 0
	v_mov_b32_e32 v52, 0
	v_mov_b32_e32 v44, 0
	;; [unrolled: 1-line block ×24, first 2 shown]
                                        ; implicit-def: $sgpr34_sgpr35
                                        ; implicit-def: $vgpr2_vgpr3
	s_and_saveexec_b64 s[30:31], vcc
	s_cbranch_execz .LBB2023_121
; %bb.104:
	v_cmp_ne_u32_e32 vcc, v17, v14
	v_mov_b32_e32 v3, s62
	v_add_u32_e32 v2, 13, v80
	v_cndmask_b32_e32 v98, v4, v3, vcc
	v_mov_b32_e32 v3, s63
	v_cndmask_b32_e64 v115, 0, 1, vcc
	v_cndmask_b32_e32 v77, v5, v3, vcc
	v_cmp_gt_u32_e32 vcc, s66, v2
	v_mov_b32_e32 v52, 0
	v_mov_b32_e32 v44, 0
	;; [unrolled: 1-line block ×21, first 2 shown]
                                        ; implicit-def: $sgpr38_sgpr39
                                        ; implicit-def: $vgpr2_vgpr3
	s_and_saveexec_b64 s[34:35], vcc
	s_cbranch_execz .LBB2023_120
; %bb.105:
	ds_read2_b64 v[2:5], v28 offset0:13 offset1:14
	v_cmp_ne_u32_e32 vcc, v14, v15
	v_mov_b32_e32 v14, s62
	v_add_u32_e32 v16, 14, v80
	v_cndmask_b32_e64 v116, 0, 1, vcc
	s_waitcnt lgkmcnt(0)
	v_cndmask_b32_e32 v101, v2, v14, vcc
	v_mov_b32_e32 v2, s63
	v_cndmask_b32_e32 v100, v3, v2, vcc
	v_cmp_gt_u32_e32 vcc, s66, v16
	s_mov_b64 s[40:41], 0
	v_mov_b32_e32 v52, 0
	v_mov_b32_e32 v44, 0
	;; [unrolled: 1-line block ×18, first 2 shown]
                                        ; implicit-def: $sgpr38_sgpr39
                                        ; implicit-def: $vgpr2_vgpr3
	s_and_saveexec_b64 s[36:37], vcc
	s_cbranch_execz .LBB2023_119
; %bb.106:
	v_cmp_ne_u32_e32 vcc, v15, v12
	v_mov_b32_e32 v3, s62
	v_add_u32_e32 v2, 15, v80
	v_cndmask_b32_e32 v103, v4, v3, vcc
	v_mov_b32_e32 v3, s63
	v_cndmask_b32_e64 v117, 0, 1, vcc
	v_cndmask_b32_e32 v102, v5, v3, vcc
	v_cmp_gt_u32_e32 vcc, s66, v2
	v_mov_b32_e32 v52, 0
	v_mov_b32_e32 v44, 0
	;; [unrolled: 1-line block ×15, first 2 shown]
                                        ; implicit-def: $sgpr42_sgpr43
                                        ; implicit-def: $vgpr2_vgpr3
	s_and_saveexec_b64 s[38:39], vcc
	s_cbranch_execz .LBB2023_118
; %bb.107:
	ds_read2_b64 v[2:5], v28 offset0:15 offset1:16
	v_cmp_ne_u32_e32 vcc, v12, v13
	v_mov_b32_e32 v12, s62
	v_add_u32_e32 v14, 16, v80
	v_cndmask_b32_e64 v118, 0, 1, vcc
	s_waitcnt lgkmcnt(0)
	v_cndmask_b32_e32 v107, v2, v12, vcc
	v_mov_b32_e32 v2, s63
	v_cndmask_b32_e32 v106, v3, v2, vcc
	v_cmp_gt_u32_e32 vcc, s66, v14
	s_mov_b64 s[44:45], 0
	v_mov_b32_e32 v52, 0
	v_mov_b32_e32 v44, 0
	;; [unrolled: 1-line block ×12, first 2 shown]
                                        ; implicit-def: $sgpr42_sgpr43
                                        ; implicit-def: $vgpr2_vgpr3
	s_and_saveexec_b64 s[40:41], vcc
	s_cbranch_execz .LBB2023_117
; %bb.108:
	v_cmp_ne_u32_e32 vcc, v13, v10
	v_mov_b32_e32 v3, s62
	v_add_u32_e32 v2, 17, v80
	v_cndmask_b32_e32 v110, v4, v3, vcc
	v_mov_b32_e32 v3, s63
	v_cndmask_b32_e64 v119, 0, 1, vcc
	v_cndmask_b32_e32 v108, v5, v3, vcc
	v_cmp_gt_u32_e32 vcc, s66, v2
	v_mov_b32_e32 v52, 0
	v_mov_b32_e32 v44, 0
	;; [unrolled: 1-line block ×9, first 2 shown]
                                        ; implicit-def: $sgpr46_sgpr47
                                        ; implicit-def: $vgpr2_vgpr3
	s_and_saveexec_b64 s[42:43], vcc
	s_cbranch_execz .LBB2023_116
; %bb.109:
	ds_read2_b64 v[2:5], v28 offset0:17 offset1:18
	v_cmp_ne_u32_e32 vcc, v10, v11
	v_mov_b32_e32 v10, s62
	v_add_u32_e32 v12, 18, v80
	v_cndmask_b32_e64 v120, 0, 1, vcc
	s_waitcnt lgkmcnt(0)
	v_cndmask_b32_e32 v112, v2, v10, vcc
	v_mov_b32_e32 v2, s63
	v_cndmask_b32_e32 v111, v3, v2, vcc
	v_cmp_gt_u32_e32 vcc, s66, v12
	s_mov_b64 s[48:49], 0
	v_mov_b32_e32 v52, 0
	v_mov_b32_e32 v44, 0
	;; [unrolled: 1-line block ×6, first 2 shown]
                                        ; implicit-def: $sgpr46_sgpr47
                                        ; implicit-def: $vgpr2_vgpr3
	s_and_saveexec_b64 s[44:45], vcc
	s_cbranch_execz .LBB2023_115
; %bb.110:
	v_cmp_ne_u32_e32 vcc, v11, v8
	v_mov_b32_e32 v3, s62
	v_add_u32_e32 v2, 19, v80
	v_cndmask_b32_e32 v114, v4, v3, vcc
	v_mov_b32_e32 v3, s63
	v_cndmask_b32_e64 v121, 0, 1, vcc
	v_cndmask_b32_e32 v113, v5, v3, vcc
	v_cmp_gt_u32_e32 vcc, s66, v2
	v_mov_b32_e32 v52, 0
	v_mov_b32_e32 v44, 0
	;; [unrolled: 1-line block ×3, first 2 shown]
                                        ; implicit-def: $sgpr56_sgpr57
                                        ; implicit-def: $vgpr2_vgpr3
	s_and_saveexec_b64 s[46:47], vcc
	s_cbranch_execz .LBB2023_114
; %bb.111:
	ds_read2_b64 v[2:5], v28 offset0:19 offset1:20
	v_cmp_ne_u32_e32 vcc, v8, v9
	v_mov_b32_e32 v8, s62
	v_add_u32_e32 v10, 20, v80
	v_cndmask_b32_e64 v52, 0, 1, vcc
	s_waitcnt lgkmcnt(0)
	v_cndmask_b32_e32 v105, v2, v8, vcc
	v_mov_b32_e32 v2, s63
	v_cndmask_b32_e32 v44, v3, v2, vcc
	v_cmp_gt_u32_e32 vcc, s66, v10
                                        ; implicit-def: $sgpr56_sgpr57
                                        ; implicit-def: $vgpr2_vgpr3
	s_and_saveexec_b64 s[66:67], vcc
	s_xor_b64 s[66:67], exec, s[66:67]
; %bb.112:
	v_mov_b32_e32 v2, s63
	v_cmp_ne_u32_e32 vcc, v9, v79
	v_cndmask_b32_e32 v3, v5, v2, vcc
	v_mov_b32_e32 v2, s62
	s_mov_b64 s[48:49], exec
	v_cndmask_b32_e32 v2, v4, v2, vcc
	s_and_b64 s[56:57], vcc, exec
; %bb.113:
	s_or_b64 exec, exec, s[66:67]
	s_and_b64 s[56:57], s[56:57], exec
	s_and_b64 s[48:49], s[48:49], exec
.LBB2023_114:
	s_or_b64 exec, exec, s[46:47]
	s_and_b64 s[46:47], s[56:57], exec
	s_and_b64 s[48:49], s[48:49], exec
.LBB2023_115:
	s_or_b64 exec, exec, s[44:45]
	s_and_b64 s[46:47], s[46:47], exec
	s_and_b64 s[44:45], s[48:49], exec
.LBB2023_116:
	s_or_b64 exec, exec, s[42:43]
	s_and_b64 s[42:43], s[46:47], exec
	s_and_b64 s[44:45], s[44:45], exec
.LBB2023_117:
	s_or_b64 exec, exec, s[40:41]
	s_and_b64 s[42:43], s[42:43], exec
	s_and_b64 s[40:41], s[44:45], exec
.LBB2023_118:
	s_or_b64 exec, exec, s[38:39]
	s_and_b64 s[38:39], s[42:43], exec
	s_and_b64 s[40:41], s[40:41], exec
.LBB2023_119:
	s_or_b64 exec, exec, s[36:37]
	s_and_b64 s[38:39], s[38:39], exec
	s_and_b64 s[36:37], s[40:41], exec
.LBB2023_120:
	s_or_b64 exec, exec, s[34:35]
	s_and_b64 s[34:35], s[38:39], exec
	s_and_b64 s[36:37], s[36:37], exec
.LBB2023_121:
	s_or_b64 exec, exec, s[30:31]
	s_and_b64 s[34:35], s[34:35], exec
	s_and_b64 s[30:31], s[36:37], exec
.LBB2023_122:
	s_or_b64 exec, exec, s[28:29]
	s_and_b64 s[28:29], s[34:35], exec
	s_and_b64 s[30:31], s[30:31], exec
.LBB2023_123:
	s_or_b64 exec, exec, s[26:27]
	s_and_b64 s[28:29], s[28:29], exec
	s_and_b64 s[26:27], s[30:31], exec
.LBB2023_124:
	s_or_b64 exec, exec, s[24:25]
	s_and_b64 s[24:25], s[28:29], exec
	s_and_b64 s[26:27], s[26:27], exec
.LBB2023_125:
	s_or_b64 exec, exec, s[22:23]
	s_and_b64 s[24:25], s[24:25], exec
	s_and_b64 s[22:23], s[26:27], exec
.LBB2023_126:
	s_or_b64 exec, exec, s[20:21]
	s_and_b64 s[20:21], s[24:25], exec
	s_and_b64 s[22:23], s[22:23], exec
.LBB2023_127:
	s_or_b64 exec, exec, s[18:19]
	s_and_b64 s[20:21], s[20:21], exec
	s_and_b64 s[18:19], s[22:23], exec
.LBB2023_128:
	s_or_b64 exec, exec, s[16:17]
	s_and_b64 s[16:17], s[20:21], exec
	s_and_b64 s[18:19], s[18:19], exec
.LBB2023_129:
	s_or_b64 exec, exec, s[14:15]
	s_and_b64 s[16:17], s[16:17], exec
	s_and_b64 s[14:15], s[18:19], exec
.LBB2023_130:
	s_or_b64 exec, exec, s[12:13]
	s_and_b64 s[12:13], s[16:17], exec
	s_and_b64 s[14:15], s[14:15], exec
.LBB2023_131:
	s_or_b64 exec, exec, s[10:11]
	s_and_b64 s[12:13], s[12:13], exec
	s_and_b64 s[10:11], s[14:15], exec
.LBB2023_132:
	s_or_b64 exec, exec, s[8:9]
	s_and_b64 s[8:9], s[12:13], exec
	s_and_b64 s[10:11], s[10:11], exec
.LBB2023_133:
	s_or_b64 exec, exec, s[6:7]
	s_mov_b32 s6, 0
	s_and_b64 vcc, exec, s[4:5]
	s_cbranch_vccnz .LBB2023_135
	s_branch .LBB2023_138
.LBB2023_134:
	s_mov_b64 s[10:11], 0
                                        ; implicit-def: $sgpr8_sgpr9
                                        ; implicit-def: $vgpr68
                                        ; implicit-def: $vgpr2_vgpr3
                                        ; implicit-def: $vgpr52
                                        ; implicit-def: $vgpr44
                                        ; implicit-def: $vgpr105
                                        ; implicit-def: $vgpr121
                                        ; implicit-def: $vgpr113
                                        ; implicit-def: $vgpr114
                                        ; implicit-def: $vgpr120
                                        ; implicit-def: $vgpr111
                                        ; implicit-def: $vgpr112
                                        ; implicit-def: $vgpr119
                                        ; implicit-def: $vgpr108
                                        ; implicit-def: $vgpr110
                                        ; implicit-def: $vgpr118
                                        ; implicit-def: $vgpr106
                                        ; implicit-def: $vgpr107
                                        ; implicit-def: $vgpr117
                                        ; implicit-def: $vgpr102
                                        ; implicit-def: $vgpr103
                                        ; implicit-def: $vgpr116
                                        ; implicit-def: $vgpr100
                                        ; implicit-def: $vgpr101
                                        ; implicit-def: $vgpr115
                                        ; implicit-def: $vgpr77
                                        ; implicit-def: $vgpr98
                                        ; implicit-def: $vgpr109
                                        ; implicit-def: $vgpr74
                                        ; implicit-def: $vgpr75
                                        ; implicit-def: $vgpr104
                                        ; implicit-def: $vgpr72
                                        ; implicit-def: $vgpr73
                                        ; implicit-def: $vgpr99
                                        ; implicit-def: $vgpr69
                                        ; implicit-def: $vgpr70
                                        ; implicit-def: $vgpr76
                                        ; implicit-def: $vgpr65
                                        ; implicit-def: $vgpr66
                                        ; implicit-def: $vgpr71
                                        ; implicit-def: $vgpr62
                                        ; implicit-def: $vgpr63
                                        ; implicit-def: $vgpr67
                                        ; implicit-def: $vgpr59
                                        ; implicit-def: $vgpr60
                                        ; implicit-def: $vgpr64
                                        ; implicit-def: $vgpr57
                                        ; implicit-def: $vgpr58
                                        ; implicit-def: $vgpr61
                                        ; implicit-def: $vgpr54
                                        ; implicit-def: $vgpr55
                                        ; implicit-def: $vgpr56
                                        ; implicit-def: $vgpr50
                                        ; implicit-def: $vgpr51
                                        ; implicit-def: $vgpr53
                                        ; implicit-def: $vgpr47
                                        ; implicit-def: $vgpr48
                                        ; implicit-def: $vgpr49
                                        ; implicit-def: $vgpr45
                                        ; implicit-def: $vgpr46
                                        ; implicit-def: $vgpr42_vgpr43
                                        ; implicit-def: $sgpr6
                                        ; implicit-def: $sgpr68
	s_and_b64 vcc, exec, s[4:5]
	s_cbranch_vccz .LBB2023_138
.LBB2023_135:
	v_lshlrev_b32_e32 v25, 2, v0
	v_add_co_u32_e32 v2, vcc, v6, v25
	v_addc_co_u32_e32 v3, vcc, 0, v7, vcc
	s_movk_i32 s6, 0x1000
	flat_load_dword v4, v[2:3]
	flat_load_dword v5, v[2:3] offset:256
	flat_load_dword v8, v[2:3] offset:512
	;; [unrolled: 1-line block ×15, first 2 shown]
	v_add_co_u32_e32 v2, vcc, s6, v2
	v_addc_co_u32_e32 v3, vcc, 0, v3, vcc
	flat_load_dword v22, v[2:3]
	flat_load_dword v23, v[2:3] offset:256
	flat_load_dword v24, v[2:3] offset:512
	;; [unrolled: 1-line block ×4, first 2 shown]
	v_add_co_u32_e32 v2, vcc, 0x1000, v6
	v_addc_co_u32_e32 v3, vcc, 0, v7, vcc
	s_movk_i32 s4, 0x50
	v_cmp_ne_u32_e32 vcc, 63, v0
	s_waitcnt vmcnt(0) lgkmcnt(0)
	ds_write2st64_b32 v25, v4, v5 offset1:1
	ds_write2st64_b32 v25, v8, v9 offset0:2 offset1:3
	ds_write2st64_b32 v25, v10, v11 offset0:4 offset1:5
	;; [unrolled: 1-line block ×9, first 2 shown]
	ds_write_b32 v25, v27 offset:5120
	s_waitcnt lgkmcnt(0)
	; wave barrier
	s_waitcnt lgkmcnt(0)
	flat_load_dword v22, v[2:3] offset:1280
	v_mad_u32_u24 v24, v0, s4, v25
	s_movk_i32 s4, 0xffb0
	ds_read_b32 v23, v24
	ds_read2_b32 v[4:5], v24 offset0:1 offset1:2
	ds_read2_b32 v[20:21], v24 offset0:3 offset1:4
	;; [unrolled: 1-line block ×10, first 2 shown]
	v_mad_i32_i24 v24, v0, s4, v24
	s_waitcnt lgkmcnt(0)
	ds_write_b32 v24, v23 offset:5632
	s_waitcnt lgkmcnt(0)
	; wave barrier
	s_waitcnt lgkmcnt(0)
	s_and_saveexec_b64 s[4:5], vcc
	s_cbranch_execz .LBB2023_137
; %bb.136:
	s_waitcnt vmcnt(0)
	ds_read_b32 v22, v25 offset:5636
.LBB2023_137:
	s_or_b64 exec, exec, s[4:5]
	v_lshlrev_b32_e32 v25, 3, v0
	v_add_co_u32_e32 v26, vcc, v1, v25
	v_addc_co_u32_e32 v27, vcc, 0, v78, vcc
	v_add_co_u32_e32 v46, vcc, s6, v26
	v_addc_co_u32_e32 v47, vcc, 0, v27, vcc
	s_movk_i32 s4, 0x2000
	s_waitcnt lgkmcnt(0)
	; wave barrier
	s_waitcnt lgkmcnt(0)
	flat_load_dwordx2 v[28:29], v[26:27]
	flat_load_dwordx2 v[30:31], v[26:27] offset:512
	flat_load_dwordx2 v[32:33], v[26:27] offset:1024
	;; [unrolled: 1-line block ×7, first 2 shown]
	v_add_co_u32_e32 v26, vcc, s4, v26
	v_addc_co_u32_e32 v27, vcc, 0, v27, vcc
	flat_load_dwordx2 v[50:51], v[46:47]
	flat_load_dwordx2 v[54:55], v[46:47] offset:512
	flat_load_dwordx2 v[58:59], v[46:47] offset:1024
	;; [unrolled: 1-line block ×7, first 2 shown]
	s_nop 0
	flat_load_dwordx2 v[46:47], v[26:27]
	flat_load_dwordx2 v[80:81], v[26:27] offset:512
	flat_load_dwordx2 v[82:83], v[26:27] offset:1024
	;; [unrolled: 1-line block ×4, first 2 shown]
	v_lshl_add_u32 v1, v0, 2, v24
	s_movk_i32 s42, 0xa0
	v_cmp_ne_u32_e64 s[4:5], v5, v20
	v_cmp_ne_u32_e64 s[6:7], v20, v21
	;; [unrolled: 1-line block ×18, first 2 shown]
	v_mov_b32_e32 v2, s62
	v_cmp_ne_u32_e32 vcc, v4, v5
	v_cndmask_b32_e64 v61, 0, 1, s[8:9]
	v_cndmask_b32_e64 v49, 0, 1, vcc
	v_cndmask_b32_e64 v53, 0, 1, s[4:5]
	v_cndmask_b32_e64 v56, 0, 1, s[6:7]
	;; [unrolled: 1-line block ×17, first 2 shown]
                                        ; implicit-def: $sgpr68
	s_waitcnt vmcnt(0) lgkmcnt(0)
	ds_write2st64_b64 v1, v[28:29], v[30:31] offset1:1
	ds_write2st64_b64 v1, v[32:33], v[34:35] offset0:2 offset1:3
	ds_write2st64_b64 v1, v[36:37], v[38:39] offset0:4 offset1:5
	;; [unrolled: 1-line block ×9, first 2 shown]
	ds_write_b64 v1, v[86:87] offset:10240
	v_mad_u32_u24 v1, v0, s42, v1
	s_waitcnt lgkmcnt(0)
	; wave barrier
	s_waitcnt lgkmcnt(0)
	ds_read2_b64 v[6:9], v1 offset1:1
	ds_read2_b64 v[10:13], v1 offset0:2 offset1:3
	ds_read2_b64 v[14:17], v1 offset0:4 offset1:5
	;; [unrolled: 1-line block ×9, first 2 shown]
	ds_read_b64 v[86:87], v1 offset:160
	v_mov_b32_e32 v1, s63
	v_cmp_ne_u32_e64 s[42:43], v23, v4
	s_waitcnt lgkmcnt(8)
	v_cndmask_b32_e64 v55, v14, v2, s[8:9]
	v_cndmask_b32_e64 v54, v15, v1, s[8:9]
	v_cmp_ne_u32_e64 s[8:9], v3, v22
	v_cndmask_b32_e64 v43, v7, v1, s[42:43]
	v_cndmask_b32_e64 v42, v6, v2, s[42:43]
	v_cndmask_b32_e64 v68, 0, 1, s[42:43]
	v_cndmask_b32_e32 v46, v8, v2, vcc
	v_cndmask_b32_e32 v45, v9, v1, vcc
	v_cndmask_b32_e64 v48, v10, v2, s[4:5]
	v_cndmask_b32_e64 v47, v11, v1, s[4:5]
	v_cndmask_b32_e64 v51, v12, v2, s[6:7]
	v_cndmask_b32_e64 v50, v13, v1, s[6:7]
	v_cndmask_b32_e64 v58, v16, v2, s[10:11]
	v_cndmask_b32_e64 v57, v17, v1, s[10:11]
	s_waitcnt lgkmcnt(7)
	v_cndmask_b32_e64 v60, v18, v2, s[12:13]
	v_cndmask_b32_e64 v59, v19, v1, s[12:13]
	v_cndmask_b32_e64 v63, v20, v2, s[14:15]
	v_cndmask_b32_e64 v62, v21, v1, s[14:15]
	s_waitcnt lgkmcnt(6)
	v_cndmask_b32_e64 v66, v24, v2, s[16:17]
	v_cndmask_b32_e64 v65, v25, v1, s[16:17]
	v_cndmask_b32_e64 v70, v26, v2, s[18:19]
	v_cndmask_b32_e64 v69, v27, v1, s[18:19]
	;; [unrolled: 5-line block ×7, first 2 shown]
	s_waitcnt lgkmcnt(0)
	v_cndmask_b32_e64 v3, v87, v1, s[8:9]
	v_cndmask_b32_e64 v2, v86, v2, s[8:9]
	s_mov_b64 s[10:11], -1
                                        ; kill: def $vgpr1 killed $sgpr0 killed $exec
                                        ; implicit-def: $sgpr6
.LBB2023_138:
	v_mov_b32_e32 v123, s68
	v_mov_b32_e32 v124, s68
	v_mov_b32_e32 v122, s6
	s_and_saveexec_b64 s[4:5], s[10:11]
; %bb.139:
	v_cndmask_b32_e64 v122, 0, 1, s[8:9]
	v_mov_b32_e32 v123, v2
	v_mov_b32_e32 v124, v3
; %bb.140:
	s_or_b64 exec, exec, s[4:5]
	v_or_b32_e32 v1, v122, v52
	s_cmp_lg_u32 s55, 0
	v_or_b32_e32 v126, v1, v121
	v_mbcnt_lo_u32_b32 v125, -1, 0
	s_waitcnt lgkmcnt(0)
	; wave barrier
	s_waitcnt lgkmcnt(0)
	s_cbranch_scc0 .LBB2023_197
; %bb.141:
	v_mov_b32_e32 v1, 0
	v_cmp_eq_u16_sdwa s[4:5], v49, v1 src0_sel:BYTE_0 src1_sel:DWORD
	v_cndmask_b32_e64 v2, 0, v42, s[4:5]
	v_add_u32_e32 v2, v2, v46
	v_cndmask_b32_e64 v3, 0, v43, s[4:5]
	v_cmp_eq_u16_sdwa s[6:7], v53, v1 src0_sel:BYTE_0 src1_sel:DWORD
	v_add_u32_e32 v3, v3, v45
	v_cndmask_b32_e64 v2, 0, v2, s[6:7]
	v_add_u32_e32 v2, v2, v48
	v_cndmask_b32_e64 v3, 0, v3, s[6:7]
	v_cmp_eq_u16_sdwa s[8:9], v56, v1 src0_sel:BYTE_0 src1_sel:DWORD
	v_add_u32_e32 v3, v3, v47
	;; [unrolled: 5-line block ×18, first 2 shown]
	v_cndmask_b32_e64 v2, 0, v2, s[42:43]
	v_add_u32_e32 v2, v2, v105
	v_cndmask_b32_e64 v3, 0, v3, s[42:43]
	v_cmp_eq_u16_sdwa vcc, v122, v1 src0_sel:BYTE_0 src1_sel:DWORD
	v_add_u32_e32 v3, v3, v44
	v_cndmask_b32_e32 v1, 0, v2, vcc
	v_add_u32_e32 v2, v1, v123
	v_cndmask_b32_e32 v1, 0, v3, vcc
	v_add_u32_e32 v3, v1, v124
	v_or_b32_e32 v1, v126, v120
	v_or_b32_e32 v1, v1, v119
	v_or_b32_e32 v1, v1, v118
	v_or_b32_e32 v1, v1, v117
	v_or_b32_e32 v1, v1, v116
	v_or_b32_e32 v1, v1, v115
	v_or_b32_e32 v1, v1, v109
	v_or_b32_e32 v1, v1, v104
	v_or_b32_e32 v1, v1, v99
	v_or_b32_e32 v1, v1, v76
	v_or_b32_e32 v1, v1, v71
	v_or_b32_e32 v1, v1, v67
	v_or_b32_e32 v1, v1, v64
	v_or_b32_e32 v1, v1, v61
	v_or_b32_e32 v1, v1, v56
	v_or_b32_e32 v1, v1, v53
	v_or_b32_e32 v1, v1, v49
	v_and_b32_e32 v1, 1, v1
	v_cmp_eq_u32_e32 vcc, 1, v1
	v_mbcnt_hi_u32_b32 v9, -1, v125
	v_cndmask_b32_e64 v1, v68, 1, vcc
	v_and_b32_e32 v4, 15, v9
	v_mov_b32_dpp v5, v2 row_shr:1 row_mask:0xf bank_mask:0xf
	v_mov_b32_dpp v6, v3 row_shr:1 row_mask:0xf bank_mask:0xf
	;; [unrolled: 1-line block ×3, first 2 shown]
	v_cmp_ne_u32_e32 vcc, 0, v4
	s_and_saveexec_b64 s[44:45], vcc
; %bb.142:
	v_cmp_eq_u32_e32 vcc, 0, v1
	v_cndmask_b32_e32 v5, 0, v5, vcc
	v_add_u32_e32 v2, v5, v2
	v_cndmask_b32_e32 v5, 0, v6, vcc
	v_add_u32_e32 v3, v5, v3
	v_and_or_b32 v1, v7, 1, v1
; %bb.143:
	s_or_b64 exec, exec, s[44:45]
	v_mov_b32_dpp v6, v2 row_shr:2 row_mask:0xf bank_mask:0xf
	v_mov_b32_dpp v7, v3 row_shr:2 row_mask:0xf bank_mask:0xf
	v_mov_b32_dpp v5, v1 row_shr:2 row_mask:0xf bank_mask:0xf
	v_cmp_lt_u32_e32 vcc, 1, v4
	s_and_saveexec_b64 s[44:45], vcc
; %bb.144:
	v_add_u32_e32 v6, v6, v2
	v_add_u32_e32 v7, v7, v3
	v_cmp_eq_u32_e32 vcc, 0, v1
	v_or_b32_e32 v1, v5, v1
	v_cndmask_b32_e32 v2, v2, v6, vcc
	v_cndmask_b32_e32 v3, v3, v7, vcc
	v_and_b32_e32 v1, 1, v1
; %bb.145:
	s_or_b64 exec, exec, s[44:45]
	v_mov_b32_dpp v6, v2 row_shr:4 row_mask:0xf bank_mask:0xf
	v_mov_b32_dpp v7, v3 row_shr:4 row_mask:0xf bank_mask:0xf
	v_mov_b32_dpp v5, v1 row_shr:4 row_mask:0xf bank_mask:0xf
	v_cmp_lt_u32_e32 vcc, 3, v4
	s_and_saveexec_b64 s[44:45], vcc
; %bb.146:
	v_add_u32_e32 v6, v6, v2
	v_add_u32_e32 v7, v7, v3
	v_cmp_eq_u32_e32 vcc, 0, v1
	v_or_b32_e32 v1, v5, v1
	v_cndmask_b32_e32 v2, v2, v6, vcc
	v_cndmask_b32_e32 v3, v3, v7, vcc
	v_and_b32_e32 v1, 1, v1
	;; [unrolled: 15-line block ×3, first 2 shown]
; %bb.149:
	s_or_b64 exec, exec, s[44:45]
	v_and_b32_e32 v7, 16, v9
	v_mov_b32_dpp v5, v2 row_bcast:15 row_mask:0xf bank_mask:0xf
	v_mov_b32_dpp v6, v3 row_bcast:15 row_mask:0xf bank_mask:0xf
	;; [unrolled: 1-line block ×3, first 2 shown]
	v_cmp_ne_u32_e32 vcc, 0, v7
	s_and_saveexec_b64 s[44:45], vcc
; %bb.150:
	v_add_u32_e32 v5, v5, v2
	v_add_u32_e32 v6, v6, v3
	v_cmp_eq_u32_e32 vcc, 0, v1
	v_or_b32_e32 v1, v4, v1
	v_cndmask_b32_e32 v2, v2, v5, vcc
	v_cndmask_b32_e32 v3, v3, v6, vcc
	v_and_b32_e32 v1, 1, v1
; %bb.151:
	s_or_b64 exec, exec, s[44:45]
	v_mov_b32_dpp v5, v2 row_bcast:31 row_mask:0xf bank_mask:0xf
	v_mov_b32_dpp v6, v3 row_bcast:31 row_mask:0xf bank_mask:0xf
	;; [unrolled: 1-line block ×3, first 2 shown]
	v_cmp_lt_u32_e32 vcc, 31, v9
	s_and_saveexec_b64 s[44:45], vcc
; %bb.152:
	v_add_u32_e32 v5, v5, v2
	v_add_u32_e32 v6, v6, v3
	v_cmp_eq_u32_e32 vcc, 0, v1
	v_or_b32_e32 v1, v4, v1
	v_cndmask_b32_e32 v2, v2, v5, vcc
	v_cndmask_b32_e32 v3, v3, v6, vcc
	v_and_b32_e32 v1, 1, v1
; %bb.153:
	s_or_b64 exec, exec, s[44:45]
	v_cmp_eq_u32_e32 vcc, 63, v0
	s_and_saveexec_b64 s[44:45], vcc
	s_cbranch_execz .LBB2023_155
; %bb.154:
	v_mov_b32_e32 v4, 0
	ds_write_b64 v4, v[2:3]
	ds_write_b8 v4, v1 offset:8
.LBB2023_155:
	s_or_b64 exec, exec, s[44:45]
	v_add_u32_e32 v4, -1, v9
	v_and_b32_e32 v5, 64, v9
	v_cmp_lt_i32_e32 vcc, v4, v5
	v_cndmask_b32_e32 v4, v4, v9, vcc
	v_lshlrev_b32_e32 v4, 2, v4
	ds_bpermute_b32 v17, v4, v2
	ds_bpermute_b32 v21, v4, v3
	;; [unrolled: 1-line block ×3, first 2 shown]
	v_cmp_gt_u32_e32 vcc, 64, v0
	s_waitcnt lgkmcnt(0)
	; wave barrier
	s_waitcnt lgkmcnt(0)
	s_and_saveexec_b64 s[48:49], vcc
	s_cbranch_execz .LBB2023_196
; %bb.156:
	v_mov_b32_e32 v11, 0
	ds_read_b64 v[6:7], v11
	ds_read_b32 v24, v11 offset:8
	s_mov_b32 s57, 0
	v_cmp_eq_u32_e64 s[44:45], 0, v9
	s_waitcnt lgkmcnt(1)
	v_readfirstlane_b32 s66, v7
	s_and_saveexec_b64 s[46:47], s[44:45]
	s_cbranch_execz .LBB2023_158
; %bb.157:
	s_add_i32 s56, s55, 64
	s_lshl_b64 s[68:69], s[56:57], 4
	s_add_u32 s68, s52, s68
	s_waitcnt lgkmcnt(0)
	v_and_b32_e32 v3, 0xff00, v24
	s_addc_u32 s69, s53, s69
	v_and_b32_e32 v2, 0xff0000, v24
	v_or_b32_sdwa v3, v3, v24 dst_sel:DWORD dst_unused:UNUSED_PAD src0_sel:DWORD src1_sel:BYTE_0
	s_and_b32 s71, s66, 0xff000000
	s_mov_b32 s70, s57
	s_and_b32 s73, s66, 0xff0000
	s_mov_b32 s72, s57
	v_and_b32_e32 v1, 0xff000000, v24
	v_or_b32_e32 v2, v3, v2
	s_and_b32 s75, s66, 0xff00
	s_mov_b32 s74, s57
	s_and_b32 s67, s66, 0xff
	s_or_b64 s[56:57], s[70:71], s[72:73]
	v_or_b32_e32 v4, v2, v1
	s_or_b64 s[56:57], s[56:57], s[74:75]
	v_mov_b32_e32 v1, s67
	v_or_b32_e32 v2, s56, v6
	v_or_b32_e32 v3, s57, v1
	v_mov_b32_e32 v5, 1
	v_pk_mov_b32 v[12:13], s[68:69], s[68:69] op_sel:[0,1]
	;;#ASMSTART
	global_store_dwordx4 v[12:13], v[2:5] off	
s_waitcnt vmcnt(0)
	;;#ASMEND
.LBB2023_158:
	s_or_b64 exec, exec, s[46:47]
	v_xad_u32 v8, v9, -1, s55
	v_add_u32_e32 v10, 64, v8
	v_lshlrev_b64 v[2:3], 4, v[10:11]
	v_mov_b32_e32 v1, s53
	v_add_co_u32_e32 v14, vcc, s52, v2
	v_addc_co_u32_e32 v15, vcc, v1, v3, vcc
	;;#ASMSTART
	global_load_dwordx4 v[2:5], v[14:15] off glc	
s_waitcnt vmcnt(0)
	;;#ASMEND
	v_lshlrev_b64 v[26:27], 24, v[4:5]
	v_lshrrev_b32_e32 v1, 8, v3
	v_or_b32_e32 v12, v1, v26
	v_lshlrev_b64 v[26:27], 16, v[4:5]
	v_or_b32_sdwa v16, v3, v26 dst_sel:DWORD dst_unused:UNUSED_PAD src0_sel:WORD_1 src1_sel:DWORD
	v_lshlrev_b64 v[26:27], 8, v[4:5]
	v_alignbit_b32 v7, v3, v2, 8
	v_alignbit_b32 v19, v3, v2, 16
	;; [unrolled: 1-line block ×3, first 2 shown]
	v_mov_b32_e32 v10, v3
	v_or_b32_sdwa v18, v3, v26 dst_sel:DWORD dst_unused:UNUSED_PAD src0_sel:BYTE_3 src1_sel:DWORD
	v_cmp_eq_u16_sdwa s[56:57], v5, v11 src0_sel:BYTE_0 src1_sel:DWORD
	s_and_saveexec_b64 s[46:47], s[56:57]
	s_cbranch_execz .LBB2023_162
; %bb.159:
	s_mov_b64 s[56:57], 0
	v_mov_b32_e32 v1, 0
.LBB2023_160:                           ; =>This Inner Loop Header: Depth=1
	;;#ASMSTART
	global_load_dwordx4 v[2:5], v[14:15] off glc	
s_waitcnt vmcnt(0)
	;;#ASMEND
	v_cmp_ne_u16_sdwa s[68:69], v5, v1 src0_sel:BYTE_0 src1_sel:DWORD
	s_or_b64 s[56:57], s[68:69], s[56:57]
	s_andn2_b64 exec, exec, s[56:57]
	s_cbranch_execnz .LBB2023_160
; %bb.161:
	s_or_b64 exec, exec, s[56:57]
	v_lshlrev_b64 v[14:15], 24, v[4:5]
	v_lshrrev_b32_e32 v1, 8, v3
	v_or_b32_e32 v12, v1, v14
	v_lshlrev_b64 v[14:15], 16, v[4:5]
	v_or_b32_sdwa v16, v3, v14 dst_sel:DWORD dst_unused:UNUSED_PAD src0_sel:WORD_1 src1_sel:DWORD
	v_lshlrev_b64 v[14:15], 8, v[4:5]
	v_alignbit_b32 v7, v3, v2, 8
	v_alignbit_b32 v19, v3, v2, 16
	;; [unrolled: 1-line block ×3, first 2 shown]
	v_mov_b32_e32 v10, v3
	v_or_b32_sdwa v18, v3, v14 dst_sel:DWORD dst_unused:UNUSED_PAD src0_sel:BYTE_3 src1_sel:DWORD
.LBB2023_162:
	s_or_b64 exec, exec, s[46:47]
	v_lshlrev_b32_e32 v3, 16, v16
	v_lshlrev_b32_e32 v1, 24, v18
	v_and_b32_e32 v3, 0xff0000, v3
	v_or_b32_e32 v1, v3, v1
	v_lshlrev_b32_e32 v3, 8, v12
	v_and_b32_e32 v3, 0xff00, v3
	v_and_b32_e32 v10, 0xff, v10
	v_or3_b32 v1, v1, v3, v10
	v_lshlrev_b32_e32 v3, 16, v19
	s_mov_b32 s46, 0x4020c0c
	v_lshlrev_b32_e32 v7, 8, v7
	v_perm_b32 v3, v13, v3, s46
	s_mov_b32 s46, 0xc0c0500
	v_perm_b32 v2, v7, v2, s46
	v_and_b32_e32 v7, 63, v9
	v_or_b32_e32 v2, v2, v3
	v_mov_b32_e32 v3, 2
	v_cmp_ne_u32_e32 vcc, 63, v7
	v_cmp_eq_u16_sdwa s[46:47], v5, v3 src0_sel:BYTE_0 src1_sel:DWORD
	v_lshlrev_b64 v[10:11], v9, -1
	v_addc_co_u32_e32 v12, vcc, 0, v9, vcc
	v_and_b32_e32 v3, s47, v11
	v_and_b32_e32 v14, 0xff, v4
	v_lshlrev_b32_e32 v15, 2, v12
	v_or_b32_e32 v3, 0x80000000, v3
	ds_bpermute_b32 v16, v15, v2
	ds_bpermute_b32 v13, v15, v1
	;; [unrolled: 1-line block ×3, first 2 shown]
	v_and_b32_e32 v18, s46, v10
	v_ffbl_b32_e32 v3, v3
	v_add_u32_e32 v3, 32, v3
	v_ffbl_b32_e32 v18, v18
	v_min_u32_e32 v3, v18, v3
	v_cmp_lt_u32_e32 vcc, v7, v3
	s_and_saveexec_b64 s[46:47], vcc
	s_cbranch_execz .LBB2023_164
; %bb.163:
	v_mov_b32_e32 v14, 0
	v_cmp_eq_u16_sdwa vcc, v4, v14 src0_sel:BYTE_0 src1_sel:DWORD
	s_waitcnt lgkmcnt(0)
	v_or_b32_e32 v4, v4, v12
	v_cndmask_b32_e32 v14, 0, v16, vcc
	v_cndmask_b32_e32 v13, 0, v13, vcc
	v_and_b32_e32 v4, 1, v4
	v_add_u32_e32 v2, v14, v2
	v_add_u32_e32 v1, v13, v1
	v_and_b32_e32 v14, 0xffff, v4
.LBB2023_164:
	s_or_b64 exec, exec, s[46:47]
	v_cmp_gt_u32_e32 vcc, 62, v7
	s_waitcnt lgkmcnt(0)
	v_cndmask_b32_e64 v12, 0, 1, vcc
	v_lshlrev_b32_e32 v12, 1, v12
	v_add_lshl_u32 v25, v12, v9, 2
	ds_bpermute_b32 v13, v25, v2
	ds_bpermute_b32 v16, v25, v1
	ds_bpermute_b32 v12, v25, v14
	v_add_u32_e32 v26, 2, v7
	v_cmp_le_u32_e32 vcc, v26, v3
	s_and_saveexec_b64 s[46:47], vcc
	s_cbranch_execz .LBB2023_166
; %bb.165:
	v_mov_b32_e32 v14, 0
	v_cmp_eq_u16_sdwa vcc, v4, v14 src0_sel:BYTE_0 src1_sel:DWORD
	s_waitcnt lgkmcnt(0)
	v_or_b32_e32 v4, v12, v4
	v_add_u32_e32 v13, v13, v2
	v_add_u32_e32 v16, v16, v1
	v_and_b32_e32 v14, 1, v4
	v_cndmask_b32_e32 v2, v2, v13, vcc
	v_cndmask_b32_e32 v1, v1, v16, vcc
	v_mov_b32_e32 v4, v14
.LBB2023_166:
	s_or_b64 exec, exec, s[46:47]
	v_cmp_gt_u32_e32 vcc, 60, v7
	s_waitcnt lgkmcnt(0)
	v_cndmask_b32_e64 v12, 0, 1, vcc
	v_lshlrev_b32_e32 v12, 2, v12
	v_add_lshl_u32 v27, v12, v9, 2
	ds_bpermute_b32 v13, v27, v2
	ds_bpermute_b32 v16, v27, v1
	ds_bpermute_b32 v12, v27, v14
	v_add_u32_e32 v28, 4, v7
	v_cmp_le_u32_e32 vcc, v28, v3
	s_and_saveexec_b64 s[46:47], vcc
	s_cbranch_execz .LBB2023_168
; %bb.167:
	v_mov_b32_e32 v14, 0
	v_cmp_eq_u16_sdwa vcc, v4, v14 src0_sel:BYTE_0 src1_sel:DWORD
	s_waitcnt lgkmcnt(0)
	v_or_b32_e32 v4, v12, v4
	v_add_u32_e32 v13, v13, v2
	v_add_u32_e32 v16, v16, v1
	v_and_b32_e32 v14, 1, v4
	v_cndmask_b32_e32 v2, v2, v13, vcc
	v_cndmask_b32_e32 v1, v1, v16, vcc
	v_mov_b32_e32 v4, v14
.LBB2023_168:
	;; [unrolled: 25-line block ×4, first 2 shown]
	s_or_b64 exec, exec, s[46:47]
	v_cmp_gt_u32_e32 vcc, 32, v7
	s_waitcnt lgkmcnt(0)
	v_cndmask_b32_e64 v12, 0, 1, vcc
	v_lshlrev_b32_e32 v12, 5, v12
	v_add_lshl_u32 v34, v12, v9, 2
	ds_bpermute_b32 v12, v34, v2
	ds_bpermute_b32 v13, v34, v1
	;; [unrolled: 1-line block ×3, first 2 shown]
	v_add_u32_e32 v35, 32, v7
	v_cmp_le_u32_e32 vcc, v35, v3
	s_and_saveexec_b64 s[46:47], vcc
	s_cbranch_execz .LBB2023_174
; %bb.173:
	v_mov_b32_e32 v3, 0
	s_waitcnt lgkmcnt(2)
	v_add_u32_e32 v12, v12, v2
	s_waitcnt lgkmcnt(1)
	v_add_u32_e32 v13, v13, v1
	v_cmp_eq_u16_sdwa vcc, v4, v3 src0_sel:BYTE_0 src1_sel:DWORD
	s_waitcnt lgkmcnt(0)
	v_or_b32_e32 v3, v9, v4
	v_cndmask_b32_e32 v2, v2, v12, vcc
	v_cndmask_b32_e32 v1, v1, v13, vcc
	v_and_b32_e32 v14, 1, v3
.LBB2023_174:
	s_or_b64 exec, exec, s[46:47]
	s_movk_i32 s67, 0xff
	s_waitcnt lgkmcnt(0)
	v_mov_b32_e32 v9, 0
	s_mov_b32 s68, 0x4020c0c
	s_mov_b32 s69, 0xc0c0500
	v_mov_b32_e32 v36, 2
	s_branch .LBB2023_176
.LBB2023_175:                           ;   in Loop: Header=BB2023_176 Depth=1
	s_or_b64 exec, exec, s[46:47]
	s_waitcnt lgkmcnt(0)
	ds_bpermute_b32 v16, v34, v2
	ds_bpermute_b32 v18, v34, v1
	;; [unrolled: 1-line block ×3, first 2 shown]
	v_cmp_eq_u16_sdwa vcc, v4, v9 src0_sel:BYTE_0 src1_sel:DWORD
	v_subrev_u32_e32 v8, 64, v8
	s_waitcnt lgkmcnt(2)
	v_add_u32_e32 v16, v16, v2
	s_waitcnt lgkmcnt(1)
	v_add_u32_e32 v18, v18, v1
	v_cndmask_b32_e32 v16, v2, v16, vcc
	v_cndmask_b32_e32 v18, v1, v18, vcc
	s_waitcnt lgkmcnt(0)
	v_and_or_b32 v4, v4, s67, v19
	v_cmp_gt_u32_e32 vcc, v35, v3
	v_cndmask_b32_e32 v3, v4, v14, vcc
	v_cndmask_b32_e32 v2, v16, v2, vcc
	v_cndmask_b32_e32 v1, v18, v1, vcc
	v_cmp_eq_u16_sdwa vcc, v33, v9 src0_sel:BYTE_0 src1_sel:DWORD
	v_and_b32_e32 v4, 1, v33
	v_and_b32_e32 v3, 1, v3
	v_cndmask_b32_e32 v2, 0, v2, vcc
	v_cndmask_b32_e32 v1, 0, v1, vcc
	v_cmp_eq_u32_e32 vcc, 1, v4
	v_cmp_eq_u32_e64 s[46:47], 1, v3
	s_or_b64 s[46:47], vcc, s[46:47]
	v_add_u32_e32 v2, v2, v12
	v_add_u32_e32 v1, v1, v13
	v_cndmask_b32_e64 v14, 0, 1, s[46:47]
.LBB2023_176:                           ; =>This Loop Header: Depth=1
                                        ;     Child Loop BB2023_179 Depth 2
	v_cmp_ne_u16_sdwa s[46:47], v5, v36 src0_sel:BYTE_0 src1_sel:DWORD
	v_mov_b32_e32 v13, v1
	v_cndmask_b32_e64 v1, 0, 1, s[46:47]
	;;#ASMSTART
	;;#ASMEND
	v_cmp_ne_u32_e32 vcc, 0, v1
	v_mov_b32_e32 v33, v14
	s_cmp_lg_u64 vcc, exec
	v_mov_b32_e32 v12, v2
	s_cbranch_scc1 .LBB2023_191
; %bb.177:                              ;   in Loop: Header=BB2023_176 Depth=1
	v_lshlrev_b64 v[2:3], 4, v[8:9]
	v_mov_b32_e32 v1, s53
	v_add_co_u32_e32 v18, vcc, s52, v2
	v_addc_co_u32_e32 v19, vcc, v1, v3, vcc
	;;#ASMSTART
	global_load_dwordx4 v[2:5], v[18:19] off glc	
s_waitcnt vmcnt(0)
	;;#ASMEND
	v_lshlrev_b64 v[78:79], 24, v[4:5]
	v_lshrrev_b32_e32 v1, 8, v3
	v_or_b32_e32 v16, v1, v78
	v_lshlrev_b64 v[78:79], 16, v[4:5]
	v_or_b32_sdwa v20, v3, v78 dst_sel:DWORD dst_unused:UNUSED_PAD src0_sel:WORD_1 src1_sel:DWORD
	v_lshlrev_b64 v[78:79], 8, v[4:5]
	v_alignbit_b32 v37, v3, v2, 8
	v_alignbit_b32 v38, v3, v2, 16
	v_alignbit_b32 v39, v3, v2, 24
	v_mov_b32_e32 v14, v3
	v_or_b32_sdwa v22, v3, v78 dst_sel:DWORD dst_unused:UNUSED_PAD src0_sel:BYTE_3 src1_sel:DWORD
	v_cmp_eq_u16_sdwa s[56:57], v5, v9 src0_sel:BYTE_0 src1_sel:DWORD
	s_and_saveexec_b64 s[46:47], s[56:57]
	s_cbranch_execz .LBB2023_181
; %bb.178:                              ;   in Loop: Header=BB2023_176 Depth=1
	s_mov_b64 s[56:57], 0
.LBB2023_179:                           ;   Parent Loop BB2023_176 Depth=1
                                        ; =>  This Inner Loop Header: Depth=2
	;;#ASMSTART
	global_load_dwordx4 v[2:5], v[18:19] off glc	
s_waitcnt vmcnt(0)
	;;#ASMEND
	v_cmp_ne_u16_sdwa s[70:71], v5, v9 src0_sel:BYTE_0 src1_sel:DWORD
	s_or_b64 s[56:57], s[70:71], s[56:57]
	s_andn2_b64 exec, exec, s[56:57]
	s_cbranch_execnz .LBB2023_179
; %bb.180:                              ;   in Loop: Header=BB2023_176 Depth=1
	s_or_b64 exec, exec, s[56:57]
	v_lshlrev_b64 v[18:19], 24, v[4:5]
	v_lshrrev_b32_e32 v1, 8, v3
	v_or_b32_e32 v16, v1, v18
	v_lshlrev_b64 v[18:19], 16, v[4:5]
	v_or_b32_sdwa v20, v3, v18 dst_sel:DWORD dst_unused:UNUSED_PAD src0_sel:WORD_1 src1_sel:DWORD
	v_lshlrev_b64 v[18:19], 8, v[4:5]
	v_alignbit_b32 v37, v3, v2, 8
	v_alignbit_b32 v38, v3, v2, 16
	;; [unrolled: 1-line block ×3, first 2 shown]
	v_mov_b32_e32 v14, v3
	v_or_b32_sdwa v22, v3, v18 dst_sel:DWORD dst_unused:UNUSED_PAD src0_sel:BYTE_3 src1_sel:DWORD
.LBB2023_181:                           ;   in Loop: Header=BB2023_176 Depth=1
	s_or_b64 exec, exec, s[46:47]
	v_lshlrev_b32_e32 v3, 16, v20
	v_lshlrev_b32_e32 v1, 24, v22
	v_and_b32_e32 v3, 0xff0000, v3
	v_or_b32_e32 v1, v3, v1
	v_lshlrev_b32_e32 v3, 8, v16
	v_and_b32_e32 v3, 0xff00, v3
	v_and_b32_e32 v14, 0xff, v14
	v_or3_b32 v1, v1, v3, v14
	v_lshlrev_b32_e32 v3, 16, v38
	v_lshlrev_b32_e32 v14, 8, v37
	v_perm_b32 v3, v39, v3, s68
	v_perm_b32 v2, v14, v2, s69
	v_cmp_eq_u16_sdwa s[46:47], v5, v36 src0_sel:BYTE_0 src1_sel:DWORD
	v_or_b32_e32 v2, v2, v3
	v_and_b32_e32 v3, s47, v11
	v_and_b32_e32 v14, 0xff, v4
	v_or_b32_e32 v3, 0x80000000, v3
	ds_bpermute_b32 v19, v15, v2
	ds_bpermute_b32 v18, v15, v1
	;; [unrolled: 1-line block ×3, first 2 shown]
	v_and_b32_e32 v20, s46, v10
	v_ffbl_b32_e32 v3, v3
	v_add_u32_e32 v3, 32, v3
	v_ffbl_b32_e32 v20, v20
	v_min_u32_e32 v3, v20, v3
	v_cmp_lt_u32_e32 vcc, v7, v3
	s_and_saveexec_b64 s[46:47], vcc
	s_cbranch_execz .LBB2023_183
; %bb.182:                              ;   in Loop: Header=BB2023_176 Depth=1
	v_cmp_eq_u16_sdwa vcc, v4, v9 src0_sel:BYTE_0 src1_sel:DWORD
	s_waitcnt lgkmcnt(2)
	v_cndmask_b32_e32 v14, 0, v19, vcc
	v_add_u32_e32 v2, v14, v2
	s_waitcnt lgkmcnt(1)
	v_cndmask_b32_e32 v14, 0, v18, vcc
	s_waitcnt lgkmcnt(0)
	v_or_b32_e32 v4, v16, v4
	v_add_u32_e32 v1, v14, v1
	v_and_b32_e32 v14, 1, v4
	v_mov_b32_e32 v4, v14
.LBB2023_183:                           ;   in Loop: Header=BB2023_176 Depth=1
	s_or_b64 exec, exec, s[46:47]
	s_waitcnt lgkmcnt(1)
	ds_bpermute_b32 v18, v25, v2
	ds_bpermute_b32 v19, v25, v1
	s_waitcnt lgkmcnt(2)
	ds_bpermute_b32 v16, v25, v14
	v_cmp_le_u32_e32 vcc, v26, v3
	s_and_saveexec_b64 s[46:47], vcc
	s_cbranch_execz .LBB2023_185
; %bb.184:                              ;   in Loop: Header=BB2023_176 Depth=1
	s_waitcnt lgkmcnt(2)
	v_add_u32_e32 v14, v18, v2
	v_cmp_eq_u16_sdwa vcc, v4, v9 src0_sel:BYTE_0 src1_sel:DWORD
	s_waitcnt lgkmcnt(0)
	v_or_b32_e32 v4, v16, v4
	v_add_u32_e32 v18, v19, v1
	v_cndmask_b32_e32 v2, v2, v14, vcc
	v_and_b32_e32 v14, 1, v4
	v_cndmask_b32_e32 v1, v1, v18, vcc
	v_mov_b32_e32 v4, v14
.LBB2023_185:                           ;   in Loop: Header=BB2023_176 Depth=1
	s_or_b64 exec, exec, s[46:47]
	s_waitcnt lgkmcnt(2)
	ds_bpermute_b32 v18, v27, v2
	s_waitcnt lgkmcnt(2)
	ds_bpermute_b32 v19, v27, v1
	s_waitcnt lgkmcnt(2)
	ds_bpermute_b32 v16, v27, v14
	v_cmp_le_u32_e32 vcc, v28, v3
	s_and_saveexec_b64 s[46:47], vcc
	s_cbranch_execz .LBB2023_187
; %bb.186:                              ;   in Loop: Header=BB2023_176 Depth=1
	s_waitcnt lgkmcnt(2)
	v_add_u32_e32 v14, v18, v2
	v_cmp_eq_u16_sdwa vcc, v4, v9 src0_sel:BYTE_0 src1_sel:DWORD
	s_waitcnt lgkmcnt(0)
	v_or_b32_e32 v4, v16, v4
	v_add_u32_e32 v18, v19, v1
	v_cndmask_b32_e32 v2, v2, v14, vcc
	v_and_b32_e32 v14, 1, v4
	v_cndmask_b32_e32 v1, v1, v18, vcc
	v_mov_b32_e32 v4, v14
.LBB2023_187:                           ;   in Loop: Header=BB2023_176 Depth=1
	s_or_b64 exec, exec, s[46:47]
	s_waitcnt lgkmcnt(2)
	ds_bpermute_b32 v18, v29, v2
	s_waitcnt lgkmcnt(2)
	;; [unrolled: 22-line block ×3, first 2 shown]
	ds_bpermute_b32 v19, v31, v1
	s_waitcnt lgkmcnt(2)
	ds_bpermute_b32 v16, v31, v14
	v_cmp_le_u32_e32 vcc, v32, v3
	s_and_saveexec_b64 s[46:47], vcc
	s_cbranch_execz .LBB2023_175
; %bb.190:                              ;   in Loop: Header=BB2023_176 Depth=1
	s_waitcnt lgkmcnt(2)
	v_add_u32_e32 v14, v18, v2
	v_cmp_eq_u16_sdwa vcc, v4, v9 src0_sel:BYTE_0 src1_sel:DWORD
	s_waitcnt lgkmcnt(0)
	v_or_b32_e32 v4, v16, v4
	v_add_u32_e32 v18, v19, v1
	v_cndmask_b32_e32 v2, v2, v14, vcc
	v_and_b32_e32 v14, 1, v4
	v_cndmask_b32_e32 v1, v1, v18, vcc
	v_mov_b32_e32 v4, v14
	s_branch .LBB2023_175
.LBB2023_191:                           ;   in Loop: Header=BB2023_176 Depth=1
                                        ; implicit-def: $vgpr14
                                        ; implicit-def: $vgpr1
                                        ; implicit-def: $vgpr5
                                        ; implicit-def: $vgpr2_vgpr3
	s_cbranch_execz .LBB2023_176
; %bb.192:
	s_and_saveexec_b64 s[46:47], s[44:45]
	s_cbranch_execz .LBB2023_194
; %bb.193:
	v_mov_b32_e32 v1, 0
	v_cmp_eq_u16_sdwa vcc, v24, v1 src0_sel:BYTE_0 src1_sel:DWORD
	s_mov_b32 s45, 0
	v_cndmask_b32_e32 v2, 0, v13, vcc
	v_or_b32_e32 v3, v24, v33
	s_add_i32 s44, s55, 64
	v_add_u32_e32 v2, s66, v2
	v_and_b32_e32 v3, 1, v3
	s_lshl_b64 s[44:45], s[44:45], 4
	v_cndmask_b32_e32 v1, 0, v12, vcc
	s_add_u32 s44, s52, s44
	v_cmp_eq_u32_e32 vcc, 1, v3
	v_and_b32_e32 v3, 0xff000000, v2
	v_and_b32_e32 v5, 0xff0000, v2
	v_add_u32_e32 v1, v1, v6
	s_addc_u32 s45, s53, s45
	v_and_b32_e32 v6, 0xff00, v2
	v_and_b32_e32 v2, 0xff, v2
	v_or_b32_e32 v3, v3, v5
	v_cndmask_b32_e64 v4, 0, 1, vcc
	v_or3_b32 v3, v3, v6, v2
	v_or3_b32 v2, 0, 0, v1
	v_mov_b32_e32 v5, 2
	v_pk_mov_b32 v[6:7], s[44:45], s[44:45] op_sel:[0,1]
	;;#ASMSTART
	global_store_dwordx4 v[6:7], v[2:5] off	
s_waitcnt vmcnt(0)
	;;#ASMEND
.LBB2023_194:
	s_or_b64 exec, exec, s[46:47]
	s_and_b64 exec, exec, s[2:3]
	s_cbranch_execz .LBB2023_196
; %bb.195:
	v_mov_b32_e32 v1, 0
	ds_write_b64 v1, v[12:13]
	ds_write_b8 v1, v33 offset:8
.LBB2023_196:
	s_or_b64 exec, exec, s[48:49]
	v_mov_b32_e32 v1, 0
	s_waitcnt lgkmcnt(0)
	; wave barrier
	s_waitcnt lgkmcnt(0)
	ds_read_b64 v[2:3], v1
	v_cmp_eq_u32_sdwa vcc, v23, v1 src0_sel:BYTE_0 src1_sel:DWORD
	s_waitcnt lgkmcnt(0)
	v_cndmask_b32_e32 v1, 0, v2, vcc
	v_cndmask_b32_e32 v4, 0, v3, vcc
	v_add_u32_e32 v1, v1, v17
	v_add_u32_e32 v4, v4, v21
	v_cndmask_b32_e64 v8, v1, v2, s[2:3]
	v_cmp_eq_u32_e32 vcc, 0, v68
	v_cndmask_b32_e64 v9, v4, v3, s[2:3]
	v_cndmask_b32_e32 v1, 0, v8, vcc
	v_add_u32_e32 v78, v1, v42
	v_cndmask_b32_e32 v1, 0, v9, vcc
	v_add_u32_e32 v79, v1, v43
	v_cndmask_b32_e64 v1, 0, v78, s[4:5]
	v_add_u32_e32 v2, v1, v46
	v_cndmask_b32_e64 v1, 0, v79, s[4:5]
	;; [unrolled: 2-line block ×37, first 2 shown]
	v_cndmask_b32_e64 v127, 0, v97, s[42:43]
	s_branch .LBB2023_217
.LBB2023_197:
                                        ; implicit-def: $vgpr6_vgpr7_vgpr8_vgpr9
                                        ; implicit-def: $vgpr127
                                        ; implicit-def: $vgpr1
                                        ; implicit-def: $vgpr97
                                        ; implicit-def: $vgpr95
                                        ; implicit-def: $vgpr93
                                        ; implicit-def: $vgpr91
                                        ; implicit-def: $vgpr89
                                        ; implicit-def: $vgpr87
                                        ; implicit-def: $vgpr85
                                        ; implicit-def: $vgpr83
                                        ; implicit-def: $vgpr81
                                        ; implicit-def: $vgpr79
                                        ; implicit-def: $vgpr36_vgpr37_vgpr38_vgpr39
                                        ; implicit-def: $vgpr32_vgpr33_vgpr34_vgpr35
                                        ; implicit-def: $vgpr28_vgpr29_vgpr30_vgpr31
                                        ; implicit-def: $vgpr24_vgpr25_vgpr26_vgpr27
                                        ; implicit-def: $vgpr20_vgpr21_vgpr22_vgpr23
                                        ; implicit-def: $vgpr16_vgpr17_vgpr18_vgpr19
                                        ; implicit-def: $vgpr12_vgpr13_vgpr14_vgpr15
                                        ; implicit-def: $vgpr2_vgpr3_vgpr4_vgpr5
                                        ; implicit-def: $vgpr8_vgpr9_vgpr10_vgpr11
	s_cbranch_execz .LBB2023_217
; %bb.198:
	s_cmp_lg_u64 s[64:65], 0
	s_cselect_b32 s5, s59, 0
	s_cselect_b32 s4, s58, 0
	s_cmp_eq_u64 s[4:5], 0
	v_pk_mov_b32 v[4:5], s[62:63], s[62:63] op_sel:[0,1]
	s_cbranch_scc1 .LBB2023_200
; %bb.199:
	v_mov_b32_e32 v1, 0
	global_load_dwordx2 v[4:5], v1, s[4:5]
.LBB2023_200:
	v_mov_b32_e32 v1, 0
	v_cmp_eq_u16_sdwa s[4:5], v49, v1 src0_sel:BYTE_0 src1_sel:DWORD
	v_cndmask_b32_e64 v2, 0, v42, s[4:5]
	v_add_u32_e32 v2, v2, v46
	v_cndmask_b32_e64 v3, 0, v43, s[4:5]
	v_cmp_eq_u16_sdwa s[6:7], v53, v1 src0_sel:BYTE_0 src1_sel:DWORD
	v_add_u32_e32 v3, v3, v45
	v_cndmask_b32_e64 v2, 0, v2, s[6:7]
	v_add_u32_e32 v2, v2, v48
	v_cndmask_b32_e64 v3, 0, v3, s[6:7]
	v_cmp_eq_u16_sdwa s[8:9], v56, v1 src0_sel:BYTE_0 src1_sel:DWORD
	v_add_u32_e32 v3, v3, v47
	;; [unrolled: 5-line block ×17, first 2 shown]
	v_cndmask_b32_e64 v2, 0, v2, s[38:39]
	v_add_u32_e32 v2, v2, v114
	v_cndmask_b32_e64 v3, 0, v3, s[38:39]
	v_cmp_eq_u16_sdwa vcc, v52, v1 src0_sel:BYTE_0 src1_sel:DWORD
	v_add_u32_e32 v3, v3, v113
	v_cndmask_b32_e32 v2, 0, v2, vcc
	v_add_u32_e32 v2, v2, v105
	v_cndmask_b32_e32 v3, 0, v3, vcc
	v_cmp_eq_u16_sdwa s[42:43], v122, v1 src0_sel:BYTE_0 src1_sel:DWORD
	v_add_u32_e32 v3, v3, v44
	v_cndmask_b32_e64 v1, 0, v2, s[42:43]
	v_add_u32_e32 v2, v1, v123
	v_cndmask_b32_e64 v1, 0, v3, s[42:43]
	v_add_u32_e32 v3, v1, v124
	v_or_b32_e32 v1, v126, v120
	v_or_b32_e32 v1, v1, v119
	;; [unrolled: 1-line block ×17, first 2 shown]
	v_and_b32_e32 v1, 1, v1
	v_cmp_eq_u32_e64 s[42:43], 1, v1
	v_mbcnt_hi_u32_b32 v1, -1, v125
	v_cndmask_b32_e64 v7, v68, 1, s[42:43]
	v_and_b32_e32 v6, 15, v1
	v_mov_b32_dpp v8, v2 row_shr:1 row_mask:0xf bank_mask:0xf
	v_mov_b32_dpp v9, v3 row_shr:1 row_mask:0xf bank_mask:0xf
	;; [unrolled: 1-line block ×3, first 2 shown]
	v_cmp_ne_u32_e64 s[42:43], 0, v6
	s_and_saveexec_b64 s[44:45], s[42:43]
; %bb.201:
	v_cmp_eq_u32_e64 s[42:43], 0, v7
	v_cndmask_b32_e64 v8, 0, v8, s[42:43]
	v_add_u32_e32 v2, v8, v2
	v_cndmask_b32_e64 v8, 0, v9, s[42:43]
	v_add_u32_e32 v3, v8, v3
	v_and_or_b32 v7, v10, 1, v7
; %bb.202:
	s_or_b64 exec, exec, s[44:45]
	v_mov_b32_dpp v9, v2 row_shr:2 row_mask:0xf bank_mask:0xf
	v_mov_b32_dpp v10, v3 row_shr:2 row_mask:0xf bank_mask:0xf
	;; [unrolled: 1-line block ×3, first 2 shown]
	v_cmp_lt_u32_e64 s[42:43], 1, v6
	s_and_saveexec_b64 s[44:45], s[42:43]
; %bb.203:
	v_add_u32_e32 v9, v9, v2
	v_add_u32_e32 v10, v10, v3
	v_cmp_eq_u32_e64 s[42:43], 0, v7
	v_or_b32_e32 v7, v8, v7
	v_cndmask_b32_e64 v2, v2, v9, s[42:43]
	v_cndmask_b32_e64 v3, v3, v10, s[42:43]
	v_and_b32_e32 v7, 1, v7
; %bb.204:
	s_or_b64 exec, exec, s[44:45]
	v_mov_b32_dpp v9, v2 row_shr:4 row_mask:0xf bank_mask:0xf
	v_mov_b32_dpp v10, v3 row_shr:4 row_mask:0xf bank_mask:0xf
	v_mov_b32_dpp v8, v7 row_shr:4 row_mask:0xf bank_mask:0xf
	v_cmp_lt_u32_e64 s[42:43], 3, v6
	s_and_saveexec_b64 s[44:45], s[42:43]
; %bb.205:
	v_add_u32_e32 v9, v9, v2
	v_add_u32_e32 v10, v10, v3
	v_cmp_eq_u32_e64 s[42:43], 0, v7
	v_or_b32_e32 v7, v8, v7
	v_cndmask_b32_e64 v2, v2, v9, s[42:43]
	v_cndmask_b32_e64 v3, v3, v10, s[42:43]
	v_and_b32_e32 v7, 1, v7
; %bb.206:
	s_or_b64 exec, exec, s[44:45]
	v_mov_b32_dpp v9, v2 row_shr:8 row_mask:0xf bank_mask:0xf
	v_mov_b32_dpp v10, v3 row_shr:8 row_mask:0xf bank_mask:0xf
	;; [unrolled: 1-line block ×3, first 2 shown]
	v_cmp_lt_u32_e64 s[42:43], 7, v6
	s_and_saveexec_b64 s[44:45], s[42:43]
; %bb.207:
	v_add_u32_e32 v6, v9, v2
	v_cmp_eq_u32_e64 s[42:43], 0, v7
	v_add_u32_e32 v9, v10, v3
	v_cndmask_b32_e64 v2, v2, v6, s[42:43]
	v_or_b32_e32 v6, v8, v7
	v_cndmask_b32_e64 v3, v3, v9, s[42:43]
	v_and_b32_e32 v7, 1, v6
; %bb.208:
	s_or_b64 exec, exec, s[44:45]
	v_and_b32_e32 v10, 16, v1
	v_mov_b32_dpp v8, v2 row_bcast:15 row_mask:0xf bank_mask:0xf
	v_mov_b32_dpp v9, v3 row_bcast:15 row_mask:0xf bank_mask:0xf
	;; [unrolled: 1-line block ×3, first 2 shown]
	v_cmp_ne_u32_e64 s[42:43], 0, v10
	s_and_saveexec_b64 s[44:45], s[42:43]
; %bb.209:
	v_add_u32_e32 v8, v8, v2
	v_add_u32_e32 v9, v9, v3
	v_cmp_eq_u32_e64 s[42:43], 0, v7
	v_or_b32_e32 v6, v6, v7
	v_cndmask_b32_e64 v2, v2, v8, s[42:43]
	v_cndmask_b32_e64 v3, v3, v9, s[42:43]
	v_and_b32_e32 v7, 1, v6
; %bb.210:
	s_or_b64 exec, exec, s[44:45]
	v_mov_b32_dpp v8, v2 row_bcast:31 row_mask:0xf bank_mask:0xf
	v_mov_b32_dpp v9, v3 row_bcast:31 row_mask:0xf bank_mask:0xf
	;; [unrolled: 1-line block ×3, first 2 shown]
	v_cmp_lt_u32_e64 s[42:43], 31, v1
	s_and_saveexec_b64 s[44:45], s[42:43]
; %bb.211:
	v_add_u32_e32 v8, v8, v2
	v_add_u32_e32 v9, v9, v3
	v_cmp_eq_u32_e64 s[42:43], 0, v7
	v_or_b32_e32 v6, v6, v7
	v_cndmask_b32_e64 v2, v2, v8, s[42:43]
	v_cndmask_b32_e64 v3, v3, v9, s[42:43]
	v_and_b32_e32 v7, 1, v6
; %bb.212:
	s_or_b64 exec, exec, s[44:45]
	v_mov_b32_e32 v6, v43
	v_cmp_eq_u32_e64 s[42:43], 63, v0
	s_and_saveexec_b64 s[44:45], s[42:43]
	s_cbranch_execz .LBB2023_214
; %bb.213:
	v_mov_b32_e32 v8, 0
	ds_write_b64 v8, v[2:3]
	ds_write_b8 v8, v7 offset:8
.LBB2023_214:
	s_or_b64 exec, exec, s[44:45]
	v_cmp_eq_u32_e64 s[42:43], 0, v7
	s_waitcnt vmcnt(0)
	v_cndmask_b32_e64 v7, 0, v4, s[42:43]
	v_add_u32_e32 v2, v7, v2
	v_cndmask_b32_e64 v7, 0, v5, s[42:43]
	v_add_u32_e32 v3, v7, v3
	v_add_u32_e32 v7, -1, v1
	v_and_b32_e32 v8, 64, v1
	v_cmp_lt_i32_e64 s[42:43], v7, v8
	v_cndmask_b32_e64 v7, v7, v1, s[42:43]
	v_lshlrev_b32_e32 v7, 2, v7
	ds_bpermute_b32 v2, v7, v2
	ds_bpermute_b32 v3, v7, v3
	v_cmp_eq_u32_e64 s[42:43], 0, v1
	s_waitcnt lgkmcnt(0)
	; wave barrier
	s_waitcnt lgkmcnt(0)
	v_cndmask_b32_e64 v8, v2, v4, s[42:43]
	v_cndmask_b32_e64 v9, v3, v5, s[42:43]
	v_cndmask_b32_e64 v2, v8, v4, s[2:3]
	v_cmp_eq_u32_e64 s[42:43], 0, v68
	v_cndmask_b32_e64 v1, v9, v5, s[2:3]
	v_cndmask_b32_e64 v2, 0, v2, s[42:43]
	v_add_u32_e32 v78, v2, v42
	v_cndmask_b32_e64 v1, 0, v1, s[42:43]
	v_add_u32_e32 v79, v1, v6
	;; [unrolled: 2-line block ×27, first 2 shown]
	v_cndmask_b32_e64 v1, 0, v91, s[40:41]
	v_add_co_u32_e64 v10, s[4:5], 0, v101
	v_addc_co_u32_e64 v29, s[4:5], v1, v100, s[4:5]
	v_cndmask_b32_e64 v1, 0, v28, s[36:37]
	v_add_u32_e32 v92, v1, v103
	v_cndmask_b32_e64 v1, 0, v29, s[36:37]
	v_add_co_u32_e64 v10, s[4:5], 0, v103
	v_addc_co_u32_e64 v93, s[4:5], v1, v102, s[4:5]
	v_cndmask_b32_e64 v1, 0, v93, s[22:23]
	v_add_co_u32_e64 v10, s[4:5], 0, v107
	v_addc_co_u32_e64 v33, s[4:5], v1, v106, s[4:5]
	v_cndmask_b32_e64 v1, 0, v92, s[22:23]
	v_add_u32_e32 v32, v1, v107
	v_cndmask_b32_e64 v1, 0, v32, s[26:27]
	v_add_u32_e32 v94, v1, v110
	;; [unrolled: 2-line block ×7, first 2 shown]
	s_and_saveexec_b64 s[4:5], s[2:3]
	s_cbranch_execz .LBB2023_216
; %bb.215:
	v_mov_b32_e32 v1, 0
	ds_read_u8 v10, v1 offset:8
	ds_read_b64 v[8:9], v1
	s_add_u32 s6, s52, 0x400
	s_addc_u32 s7, s53, 0
	s_waitcnt lgkmcnt(1)
	v_cmp_eq_u16_e64 s[2:3], 0, v10
	v_cndmask_b32_e64 v1, 0, v4, s[2:3]
	s_waitcnt lgkmcnt(0)
	v_add_u32_e32 v8, v1, v8
	v_cndmask_b32_e64 v1, 0, v5, s[2:3]
	v_add_u32_e32 v1, v1, v9
	v_and_b32_e32 v9, 0xff000000, v1
	v_and_b32_e32 v11, 0xff0000, v1
	;; [unrolled: 1-line block ×3, first 2 shown]
	v_or_b32_e32 v9, v9, v11
	v_or_b32_e32 v9, v9, v14
	v_and_b32_e32 v10, 0xffff, v10
	v_or_b32_sdwa v9, v9, v1 dst_sel:DWORD dst_unused:UNUSED_PAD src0_sel:DWORD src1_sel:BYTE_0
	v_mov_b32_e32 v11, 2
	v_pk_mov_b32 v[14:15], s[6:7], s[6:7] op_sel:[0,1]
	;;#ASMSTART
	global_store_dwordx4 v[14:15], v[8:11] off	
s_waitcnt vmcnt(0)
	;;#ASMEND
	v_pk_mov_b32 v[8:9], v[4:5], v[4:5] op_sel:[0,1]
.LBB2023_216:
	s_or_b64 exec, exec, s[4:5]
	v_cndmask_b32_e32 v1, 0, v96, vcc
	v_cndmask_b32_e32 v127, 0, v97, vcc
.LBB2023_217:
	s_add_u32 s2, s50, s60
	s_addc_u32 s3, s51, s61
	v_add_u32_e32 v4, v1, v105
	v_mov_b32_e32 v1, s3
	v_add_co_u32_e32 v98, vcc, s2, v40
	v_addc_co_u32_e32 v99, vcc, v1, v41, vcc
	v_add_u32_e32 v5, v127, v44
	s_and_b64 vcc, exec, s[0:1]
	s_cbranch_vccz .LBB2023_299
; %bb.218:
	s_add_i32 s33, s33, s54
	v_mul_u32_u24_e32 v1, 21, v0
	v_pk_mov_b32 v[22:23], 0, 0
	v_cmp_gt_u32_e32 vcc, s33, v1
	v_pk_mov_b32 v[14:15], v[22:23], v[22:23] op_sel:[0,1]
	v_pk_mov_b32 v[10:11], v[22:23], v[22:23] op_sel:[0,1]
	;; [unrolled: 1-line block ×20, first 2 shown]
	s_and_saveexec_b64 s[0:1], vcc
	s_cbranch_execz .LBB2023_258
; %bb.219:
	v_add_u32_e32 v10, 1, v1
	v_pk_mov_b32 v[62:63], 0, 0
	v_cmp_gt_u32_e32 vcc, s33, v10
	v_pk_mov_b32 v[60:61], v[62:63], v[62:63] op_sel:[0,1]
	v_pk_mov_b32 v[58:59], v[62:63], v[62:63] op_sel:[0,1]
	;; [unrolled: 1-line block ×19, first 2 shown]
	s_and_saveexec_b64 s[2:3], vcc
	s_cbranch_execz .LBB2023_257
; %bb.220:
	v_add_u32_e32 v10, 2, v1
	v_pk_mov_b32 v[60:61], 0, 0
	v_cmp_gt_u32_e32 vcc, s33, v10
	v_pk_mov_b32 v[58:59], v[60:61], v[60:61] op_sel:[0,1]
	v_pk_mov_b32 v[56:57], v[60:61], v[60:61] op_sel:[0,1]
	;; [unrolled: 1-line block ×18, first 2 shown]
	s_and_saveexec_b64 s[4:5], vcc
	s_cbranch_execz .LBB2023_256
; %bb.221:
	v_add_u32_e32 v10, 3, v1
	v_pk_mov_b32 v[58:59], 0, 0
	v_cmp_gt_u32_e32 vcc, s33, v10
	v_pk_mov_b32 v[56:57], v[58:59], v[58:59] op_sel:[0,1]
	v_pk_mov_b32 v[54:55], v[58:59], v[58:59] op_sel:[0,1]
	;; [unrolled: 1-line block ×17, first 2 shown]
	s_and_saveexec_b64 s[6:7], vcc
	s_cbranch_execz .LBB2023_255
; %bb.222:
	v_add_u32_e32 v10, 4, v1
	v_pk_mov_b32 v[56:57], 0, 0
	v_cmp_gt_u32_e32 vcc, s33, v10
	v_pk_mov_b32 v[54:55], v[56:57], v[56:57] op_sel:[0,1]
	v_pk_mov_b32 v[52:53], v[56:57], v[56:57] op_sel:[0,1]
	;; [unrolled: 1-line block ×16, first 2 shown]
	s_and_saveexec_b64 s[8:9], vcc
	s_cbranch_execz .LBB2023_254
; %bb.223:
	v_add_u32_e32 v10, 5, v1
	v_pk_mov_b32 v[54:55], 0, 0
	v_cmp_gt_u32_e32 vcc, s33, v10
	v_pk_mov_b32 v[52:53], v[54:55], v[54:55] op_sel:[0,1]
	v_pk_mov_b32 v[50:51], v[54:55], v[54:55] op_sel:[0,1]
	;; [unrolled: 1-line block ×15, first 2 shown]
	s_and_saveexec_b64 s[10:11], vcc
	s_cbranch_execz .LBB2023_253
; %bb.224:
	v_add_u32_e32 v10, 6, v1
	v_pk_mov_b32 v[52:53], 0, 0
	v_cmp_gt_u32_e32 vcc, s33, v10
	v_pk_mov_b32 v[50:51], v[52:53], v[52:53] op_sel:[0,1]
	v_pk_mov_b32 v[48:49], v[52:53], v[52:53] op_sel:[0,1]
	;; [unrolled: 1-line block ×14, first 2 shown]
	s_and_saveexec_b64 s[12:13], vcc
	s_cbranch_execz .LBB2023_252
; %bb.225:
	v_add_u32_e32 v10, 7, v1
	v_pk_mov_b32 v[50:51], 0, 0
	v_cmp_gt_u32_e32 vcc, s33, v10
	v_pk_mov_b32 v[48:49], v[50:51], v[50:51] op_sel:[0,1]
	v_pk_mov_b32 v[46:47], v[50:51], v[50:51] op_sel:[0,1]
	;; [unrolled: 1-line block ×13, first 2 shown]
	s_and_saveexec_b64 s[14:15], vcc
	s_cbranch_execz .LBB2023_251
; %bb.226:
	v_add_u32_e32 v10, 8, v1
	v_pk_mov_b32 v[48:49], 0, 0
	v_cmp_gt_u32_e32 vcc, s33, v10
	v_pk_mov_b32 v[46:47], v[48:49], v[48:49] op_sel:[0,1]
	v_pk_mov_b32 v[44:45], v[48:49], v[48:49] op_sel:[0,1]
	v_pk_mov_b32 v[42:43], v[48:49], v[48:49] op_sel:[0,1]
	v_pk_mov_b32 v[40:41], v[48:49], v[48:49] op_sel:[0,1]
	v_pk_mov_b32 v[38:39], v[48:49], v[48:49] op_sel:[0,1]
	v_pk_mov_b32 v[34:35], v[48:49], v[48:49] op_sel:[0,1]
	v_pk_mov_b32 v[30:31], v[48:49], v[48:49] op_sel:[0,1]
	v_pk_mov_b32 v[26:27], v[48:49], v[48:49] op_sel:[0,1]
	v_pk_mov_b32 v[18:19], v[48:49], v[48:49] op_sel:[0,1]
	v_pk_mov_b32 v[10:11], v[48:49], v[48:49] op_sel:[0,1]
	v_pk_mov_b32 v[14:15], v[48:49], v[48:49] op_sel:[0,1]
	v_pk_mov_b32 v[22:23], v[48:49], v[48:49] op_sel:[0,1]
	s_and_saveexec_b64 s[16:17], vcc
	s_cbranch_execz .LBB2023_250
; %bb.227:
	v_add_u32_e32 v10, 9, v1
	v_pk_mov_b32 v[46:47], 0, 0
	v_cmp_gt_u32_e32 vcc, s33, v10
	v_pk_mov_b32 v[44:45], v[46:47], v[46:47] op_sel:[0,1]
	v_pk_mov_b32 v[42:43], v[46:47], v[46:47] op_sel:[0,1]
	;; [unrolled: 1-line block ×11, first 2 shown]
	s_and_saveexec_b64 s[18:19], vcc
	s_cbranch_execz .LBB2023_249
; %bb.228:
	v_add_u32_e32 v10, 10, v1
	v_pk_mov_b32 v[44:45], 0, 0
	v_cmp_gt_u32_e32 vcc, s33, v10
	v_pk_mov_b32 v[42:43], v[44:45], v[44:45] op_sel:[0,1]
	v_pk_mov_b32 v[40:41], v[44:45], v[44:45] op_sel:[0,1]
	;; [unrolled: 1-line block ×10, first 2 shown]
	s_and_saveexec_b64 s[20:21], vcc
	s_cbranch_execz .LBB2023_248
; %bb.229:
	v_add_u32_e32 v10, 11, v1
	v_pk_mov_b32 v[42:43], 0, 0
	v_cmp_gt_u32_e32 vcc, s33, v10
	v_pk_mov_b32 v[40:41], v[42:43], v[42:43] op_sel:[0,1]
	v_pk_mov_b32 v[38:39], v[42:43], v[42:43] op_sel:[0,1]
	;; [unrolled: 1-line block ×9, first 2 shown]
	s_and_saveexec_b64 s[22:23], vcc
	s_cbranch_execz .LBB2023_247
; %bb.230:
	v_add_u32_e32 v10, 12, v1
	v_pk_mov_b32 v[40:41], 0, 0
	v_cmp_gt_u32_e32 vcc, s33, v10
	v_pk_mov_b32 v[38:39], v[40:41], v[40:41] op_sel:[0,1]
	v_pk_mov_b32 v[34:35], v[40:41], v[40:41] op_sel:[0,1]
	;; [unrolled: 1-line block ×8, first 2 shown]
	s_and_saveexec_b64 s[24:25], vcc
	s_cbranch_execz .LBB2023_246
; %bb.231:
	v_add_u32_e32 v10, 13, v1
	v_pk_mov_b32 v[38:39], 0, 0
	v_cmp_gt_u32_e32 vcc, s33, v10
	v_pk_mov_b32 v[34:35], v[38:39], v[38:39] op_sel:[0,1]
	v_pk_mov_b32 v[30:31], v[38:39], v[38:39] op_sel:[0,1]
	;; [unrolled: 1-line block ×7, first 2 shown]
	s_and_saveexec_b64 s[26:27], vcc
	s_cbranch_execz .LBB2023_245
; %bb.232:
	v_add_u32_e32 v10, 14, v1
	v_pk_mov_b32 v[34:35], 0, 0
	v_cmp_gt_u32_e32 vcc, s33, v10
	v_pk_mov_b32 v[30:31], v[34:35], v[34:35] op_sel:[0,1]
	v_pk_mov_b32 v[26:27], v[34:35], v[34:35] op_sel:[0,1]
	;; [unrolled: 1-line block ×6, first 2 shown]
	s_and_saveexec_b64 s[28:29], vcc
	s_cbranch_execz .LBB2023_244
; %bb.233:
	v_add_u32_e32 v10, 15, v1
	v_pk_mov_b32 v[30:31], 0, 0
	v_cmp_gt_u32_e32 vcc, s33, v10
	v_pk_mov_b32 v[26:27], v[30:31], v[30:31] op_sel:[0,1]
	v_pk_mov_b32 v[18:19], v[30:31], v[30:31] op_sel:[0,1]
	;; [unrolled: 1-line block ×5, first 2 shown]
	s_and_saveexec_b64 s[30:31], vcc
	s_cbranch_execz .LBB2023_243
; %bb.234:
	v_add_u32_e32 v10, 16, v1
	v_pk_mov_b32 v[26:27], 0, 0
	v_cmp_gt_u32_e32 vcc, s33, v10
	v_pk_mov_b32 v[18:19], v[26:27], v[26:27] op_sel:[0,1]
	v_pk_mov_b32 v[10:11], v[26:27], v[26:27] op_sel:[0,1]
	;; [unrolled: 1-line block ×4, first 2 shown]
	s_and_saveexec_b64 s[34:35], vcc
	s_cbranch_execz .LBB2023_242
; %bb.235:
	v_add_u32_e32 v10, 17, v1
	v_pk_mov_b32 v[18:19], 0, 0
	v_cmp_gt_u32_e32 vcc, s33, v10
	v_pk_mov_b32 v[10:11], v[18:19], v[18:19] op_sel:[0,1]
	v_pk_mov_b32 v[14:15], v[18:19], v[18:19] op_sel:[0,1]
	v_pk_mov_b32 v[22:23], v[18:19], v[18:19] op_sel:[0,1]
	s_and_saveexec_b64 s[36:37], vcc
	s_cbranch_execz .LBB2023_241
; %bb.236:
	v_add_u32_e32 v10, 18, v1
	v_cmp_gt_u32_e32 vcc, s33, v10
	v_pk_mov_b32 v[10:11], 0, 0
	v_pk_mov_b32 v[14:15], v[10:11], v[10:11] op_sel:[0,1]
	v_pk_mov_b32 v[22:23], v[10:11], v[10:11] op_sel:[0,1]
	s_and_saveexec_b64 s[38:39], vcc
	s_cbranch_execz .LBB2023_240
; %bb.237:
	v_add_u32_e32 v10, 19, v1
	v_pk_mov_b32 v[14:15], 0, 0
	v_cmp_gt_u32_e32 vcc, s33, v10
	v_pk_mov_b32 v[22:23], v[14:15], v[14:15] op_sel:[0,1]
	s_and_saveexec_b64 s[40:41], vcc
; %bb.238:
	v_add_u32_e32 v10, 20, v1
	v_cmp_gt_u32_e32 vcc, s33, v10
	v_cndmask_b32_e32 v23, 0, v5, vcc
	v_cndmask_b32_e32 v22, 0, v4, vcc
	v_pk_mov_b32 v[14:15], v[96:97], v[96:97] op_sel:[0,1]
; %bb.239:
	s_or_b64 exec, exec, s[40:41]
	v_pk_mov_b32 v[10:11], v[36:37], v[36:37] op_sel:[0,1]
.LBB2023_240:
	s_or_b64 exec, exec, s[38:39]
	v_pk_mov_b32 v[18:19], v[94:95], v[94:95] op_sel:[0,1]
.LBB2023_241:
	s_or_b64 exec, exec, s[36:37]
	v_pk_mov_b32 v[26:27], v[32:33], v[32:33] op_sel:[0,1]
.LBB2023_242:
	s_or_b64 exec, exec, s[34:35]
	v_pk_mov_b32 v[30:31], v[92:93], v[92:93] op_sel:[0,1]
.LBB2023_243:
	s_or_b64 exec, exec, s[30:31]
	v_pk_mov_b32 v[34:35], v[28:29], v[28:29] op_sel:[0,1]
.LBB2023_244:
	s_or_b64 exec, exec, s[28:29]
	v_pk_mov_b32 v[38:39], v[90:91], v[90:91] op_sel:[0,1]
.LBB2023_245:
	s_or_b64 exec, exec, s[26:27]
	v_pk_mov_b32 v[40:41], v[24:25], v[24:25] op_sel:[0,1]
.LBB2023_246:
	s_or_b64 exec, exec, s[24:25]
	v_pk_mov_b32 v[42:43], v[88:89], v[88:89] op_sel:[0,1]
.LBB2023_247:
	s_or_b64 exec, exec, s[22:23]
	v_pk_mov_b32 v[44:45], v[20:21], v[20:21] op_sel:[0,1]
.LBB2023_248:
	s_or_b64 exec, exec, s[20:21]
	v_pk_mov_b32 v[46:47], v[86:87], v[86:87] op_sel:[0,1]
.LBB2023_249:
	s_or_b64 exec, exec, s[18:19]
	v_pk_mov_b32 v[48:49], v[16:17], v[16:17] op_sel:[0,1]
.LBB2023_250:
	s_or_b64 exec, exec, s[16:17]
	v_pk_mov_b32 v[50:51], v[84:85], v[84:85] op_sel:[0,1]
.LBB2023_251:
	s_or_b64 exec, exec, s[14:15]
	v_pk_mov_b32 v[52:53], v[12:13], v[12:13] op_sel:[0,1]
.LBB2023_252:
	s_or_b64 exec, exec, s[12:13]
	v_pk_mov_b32 v[54:55], v[82:83], v[82:83] op_sel:[0,1]
.LBB2023_253:
	s_or_b64 exec, exec, s[10:11]
	v_pk_mov_b32 v[56:57], v[6:7], v[6:7] op_sel:[0,1]
.LBB2023_254:
	s_or_b64 exec, exec, s[8:9]
	v_pk_mov_b32 v[58:59], v[80:81], v[80:81] op_sel:[0,1]
.LBB2023_255:
	s_or_b64 exec, exec, s[6:7]
	v_pk_mov_b32 v[60:61], v[2:3], v[2:3] op_sel:[0,1]
.LBB2023_256:
	s_or_b64 exec, exec, s[4:5]
	v_pk_mov_b32 v[62:63], v[78:79], v[78:79] op_sel:[0,1]
.LBB2023_257:
	s_or_b64 exec, exec, s[2:3]
	v_pk_mov_b32 v[64:65], v[8:9], v[8:9] op_sel:[0,1]
.LBB2023_258:
	s_or_b64 exec, exec, s[0:1]
	v_lshlrev_b32_e32 v100, 3, v1
	s_movk_i32 s0, 0xff60
	s_waitcnt lgkmcnt(0)
	; wave barrier
	ds_write2_b64 v100, v[64:65], v[62:63] offset1:1
	ds_write2_b64 v100, v[60:61], v[58:59] offset0:2 offset1:3
	ds_write2_b64 v100, v[56:57], v[54:55] offset0:4 offset1:5
	;; [unrolled: 1-line block ×9, first 2 shown]
	ds_write_b64 v100, v[22:23] offset:160
	v_mad_i32_i24 v10, v0, s0, v100
	s_waitcnt lgkmcnt(0)
	; wave barrier
	s_waitcnt lgkmcnt(0)
	ds_read2st64_b64 v[74:77], v10 offset0:1 offset1:2
	ds_read2st64_b64 v[70:73], v10 offset0:3 offset1:4
	;; [unrolled: 1-line block ×10, first 2 shown]
	v_lshlrev_b32_e32 v10, 3, v0
	v_add_co_u32_e32 v10, vcc, v98, v10
	v_addc_co_u32_e32 v11, vcc, 0, v99, vcc
	v_mov_b32_e32 v1, 0
	v_cmp_gt_u32_e32 vcc, s33, v0
	s_and_saveexec_b64 s[0:1], vcc
	s_cbranch_execz .LBB2023_260
; %bb.259:
	v_mul_i32_i24_e32 v14, 0xffffff60, v0
	v_add_u32_e32 v14, v100, v14
	ds_read_b64 v[14:15], v14
	s_waitcnt lgkmcnt(0)
	flat_store_dwordx2 v[10:11], v[14:15]
.LBB2023_260:
	s_or_b64 exec, exec, s[0:1]
	v_or_b32_e32 v14, 64, v0
	v_cmp_gt_u32_e32 vcc, s33, v14
	s_and_saveexec_b64 s[0:1], vcc
	s_cbranch_execz .LBB2023_262
; %bb.261:
	s_waitcnt lgkmcnt(0)
	flat_store_dwordx2 v[10:11], v[74:75] offset:512
.LBB2023_262:
	s_or_b64 exec, exec, s[0:1]
	v_or_b32_e32 v14, 0x80, v0
	v_cmp_gt_u32_e32 vcc, s33, v14
	s_and_saveexec_b64 s[0:1], vcc
	s_cbranch_execz .LBB2023_264
; %bb.263:
	s_waitcnt lgkmcnt(0)
	flat_store_dwordx2 v[10:11], v[76:77] offset:1024
.LBB2023_264:
	;; [unrolled: 9-line block ×7, first 2 shown]
	s_or_b64 exec, exec, s[0:1]
	v_or_b32_e32 v14, 0x200, v0
	v_cmp_gt_u32_e32 vcc, s33, v14
	s_and_saveexec_b64 s[0:1], vcc
	s_cbranch_execz .LBB2023_276
; %bb.275:
	v_add_co_u32_e32 v14, vcc, 0x1000, v10
	v_addc_co_u32_e32 v15, vcc, 0, v11, vcc
	s_waitcnt lgkmcnt(0)
	flat_store_dwordx2 v[14:15], v[64:65]
.LBB2023_276:
	s_or_b64 exec, exec, s[0:1]
	v_or_b32_e32 v14, 0x240, v0
	v_cmp_gt_u32_e32 vcc, s33, v14
	s_and_saveexec_b64 s[0:1], vcc
	s_cbranch_execz .LBB2023_278
; %bb.277:
	v_add_co_u32_e32 v14, vcc, 0x1000, v10
	v_addc_co_u32_e32 v15, vcc, 0, v11, vcc
	s_waitcnt lgkmcnt(0)
	flat_store_dwordx2 v[14:15], v[58:59] offset:512
.LBB2023_278:
	s_or_b64 exec, exec, s[0:1]
	v_or_b32_e32 v14, 0x280, v0
	v_cmp_gt_u32_e32 vcc, s33, v14
	s_and_saveexec_b64 s[0:1], vcc
	s_cbranch_execz .LBB2023_280
; %bb.279:
	v_add_co_u32_e32 v14, vcc, 0x1000, v10
	v_addc_co_u32_e32 v15, vcc, 0, v11, vcc
	s_waitcnt lgkmcnt(0)
	flat_store_dwordx2 v[14:15], v[60:61] offset:1024
.LBB2023_280:
	;; [unrolled: 11-line block ×7, first 2 shown]
	s_or_b64 exec, exec, s[0:1]
	v_or_b32_e32 v14, 0x400, v0
	v_cmp_gt_u32_e32 vcc, s33, v14
	s_and_saveexec_b64 s[0:1], vcc
	s_cbranch_execz .LBB2023_292
; %bb.291:
	v_add_co_u32_e32 v14, vcc, 0x2000, v10
	v_addc_co_u32_e32 v15, vcc, 0, v11, vcc
	s_waitcnt lgkmcnt(0)
	flat_store_dwordx2 v[14:15], v[48:49]
.LBB2023_292:
	s_or_b64 exec, exec, s[0:1]
	v_or_b32_e32 v14, 0x440, v0
	v_cmp_gt_u32_e32 vcc, s33, v14
	s_and_saveexec_b64 s[0:1], vcc
	s_cbranch_execz .LBB2023_294
; %bb.293:
	v_add_co_u32_e32 v14, vcc, 0x2000, v10
	v_addc_co_u32_e32 v15, vcc, 0, v11, vcc
	s_waitcnt lgkmcnt(0)
	flat_store_dwordx2 v[14:15], v[42:43] offset:512
.LBB2023_294:
	s_or_b64 exec, exec, s[0:1]
	v_or_b32_e32 v14, 0x480, v0
	v_cmp_gt_u32_e32 vcc, s33, v14
	s_and_saveexec_b64 s[0:1], vcc
	s_cbranch_execz .LBB2023_296
; %bb.295:
	v_add_co_u32_e32 v14, vcc, 0x2000, v10
	v_addc_co_u32_e32 v15, vcc, 0, v11, vcc
	s_waitcnt lgkmcnt(0)
	flat_store_dwordx2 v[14:15], v[44:45] offset:1024
.LBB2023_296:
	;; [unrolled: 11-line block ×3, first 2 shown]
	s_or_b64 exec, exec, s[0:1]
	v_or_b32_e32 v10, 0x500, v0
	v_cmp_gt_u32_e64 s[0:1], s33, v10
	s_branch .LBB2023_301
.LBB2023_299:
	s_mov_b64 s[0:1], 0
                                        ; kill: def $vgpr10_vgpr11 killed $sgpr0_sgpr1 killed $exec
                                        ; implicit-def: $vgpr40_vgpr41
	s_cbranch_execz .LBB2023_301
; %bb.300:
	v_mul_u32_u24_e32 v1, 0xa8, v0
	s_waitcnt lgkmcnt(0)
	; wave barrier
	s_waitcnt lgkmcnt(0)
	s_movk_i32 s2, 0xa8
	ds_write2_b64 v1, v[8:9], v[78:79] offset1:1
	ds_write2_b64 v1, v[2:3], v[80:81] offset0:2 offset1:3
	ds_write2_b64 v1, v[6:7], v[82:83] offset0:4 offset1:5
	;; [unrolled: 1-line block ×9, first 2 shown]
	ds_write_b64 v1, v[4:5] offset:160
	v_mul_i32_i24_e32 v2, 0xffffff60, v0
	v_mad_u32_u24 v38, v0, s2, v2
	s_waitcnt lgkmcnt(0)
	; wave barrier
	s_waitcnt lgkmcnt(0)
	ds_read2st64_b64 v[2:5], v38 offset1:1
	ds_read2st64_b64 v[6:9], v38 offset0:2 offset1:3
	ds_read2st64_b64 v[10:13], v38 offset0:4 offset1:5
	;; [unrolled: 1-line block ×9, first 2 shown]
	ds_read_b64 v[40:41], v38 offset:10240
	v_lshlrev_b32_e32 v38, 3, v0
	v_add_co_u32_e32 v38, vcc, v98, v38
	v_addc_co_u32_e32 v39, vcc, 0, v99, vcc
	s_movk_i32 s2, 0x1000
	s_waitcnt lgkmcnt(0)
	flat_store_dwordx2 v[38:39], v[2:3]
	flat_store_dwordx2 v[38:39], v[4:5] offset:512
	flat_store_dwordx2 v[38:39], v[6:7] offset:1024
	;; [unrolled: 1-line block ×7, first 2 shown]
	v_add_co_u32_e32 v2, vcc, s2, v38
	v_addc_co_u32_e32 v3, vcc, 0, v39, vcc
	flat_store_dwordx2 v[2:3], v[18:19]
	flat_store_dwordx2 v[2:3], v[20:21] offset:512
	flat_store_dwordx2 v[2:3], v[22:23] offset:1024
	;; [unrolled: 1-line block ×7, first 2 shown]
	v_add_co_u32_e32 v2, vcc, 0x2000, v38
	v_mov_b32_e32 v1, 0
	v_addc_co_u32_e32 v3, vcc, 0, v39, vcc
	s_or_b64 s[0:1], s[0:1], exec
	flat_store_dwordx2 v[2:3], v[34:35]
	flat_store_dwordx2 v[2:3], v[36:37] offset:512
	flat_store_dwordx2 v[2:3], v[42:43] offset:1024
	;; [unrolled: 1-line block ×3, first 2 shown]
.LBB2023_301:
	s_and_saveexec_b64 s[2:3], s[0:1]
	s_cbranch_execnz .LBB2023_303
; %bb.302:
	s_endpgm
.LBB2023_303:
	v_lshlrev_b64 v[0:1], 3, v[0:1]
	v_add_co_u32_e32 v0, vcc, v98, v0
	v_addc_co_u32_e32 v1, vcc, v99, v1, vcc
	v_add_co_u32_e32 v0, vcc, 0x2000, v0
	v_addc_co_u32_e32 v1, vcc, 0, v1, vcc
	s_waitcnt lgkmcnt(0)
	flat_store_dwordx2 v[0:1], v[40:41] offset:2048
	s_endpgm
	.section	.rodata,"a",@progbits
	.p2align	6, 0x0
	.amdhsa_kernel _ZN7rocprim17ROCPRIM_400000_NS6detail17trampoline_kernelINS0_14default_configENS1_27scan_by_key_config_selectorIj11FixedVectorIiLj2EEEEZZNS1_16scan_by_key_implILNS1_25lookback_scan_determinismE0ELb1ES3_N6thrust23THRUST_200600_302600_NS6detail15normal_iteratorINSB_10device_ptrIjEEEENSD_INSE_IS6_EEEESI_S6_NSB_4plusIvEENSB_8equal_toIvEES6_EE10hipError_tPvRmT2_T3_T4_T5_mT6_T7_P12ihipStream_tbENKUlT_T0_E_clISt17integral_constantIbLb0EES12_IbLb1EEEEDaSY_SZ_EUlSY_E_NS1_11comp_targetILNS1_3genE4ELNS1_11target_archE910ELNS1_3gpuE8ELNS1_3repE0EEENS1_30default_config_static_selectorELNS0_4arch9wavefront6targetE1EEEvT1_
		.amdhsa_group_segment_fixed_size 10752
		.amdhsa_private_segment_fixed_size 0
		.amdhsa_kernarg_size 120
		.amdhsa_user_sgpr_count 6
		.amdhsa_user_sgpr_private_segment_buffer 1
		.amdhsa_user_sgpr_dispatch_ptr 0
		.amdhsa_user_sgpr_queue_ptr 0
		.amdhsa_user_sgpr_kernarg_segment_ptr 1
		.amdhsa_user_sgpr_dispatch_id 0
		.amdhsa_user_sgpr_flat_scratch_init 0
		.amdhsa_user_sgpr_kernarg_preload_length 0
		.amdhsa_user_sgpr_kernarg_preload_offset 0
		.amdhsa_user_sgpr_private_segment_size 0
		.amdhsa_uses_dynamic_stack 0
		.amdhsa_system_sgpr_private_segment_wavefront_offset 0
		.amdhsa_system_sgpr_workgroup_id_x 1
		.amdhsa_system_sgpr_workgroup_id_y 0
		.amdhsa_system_sgpr_workgroup_id_z 0
		.amdhsa_system_sgpr_workgroup_info 0
		.amdhsa_system_vgpr_workitem_id 0
		.amdhsa_next_free_vgpr 128
		.amdhsa_next_free_sgpr 76
		.amdhsa_accum_offset 128
		.amdhsa_reserve_vcc 1
		.amdhsa_reserve_flat_scratch 0
		.amdhsa_float_round_mode_32 0
		.amdhsa_float_round_mode_16_64 0
		.amdhsa_float_denorm_mode_32 3
		.amdhsa_float_denorm_mode_16_64 3
		.amdhsa_dx10_clamp 1
		.amdhsa_ieee_mode 1
		.amdhsa_fp16_overflow 0
		.amdhsa_tg_split 0
		.amdhsa_exception_fp_ieee_invalid_op 0
		.amdhsa_exception_fp_denorm_src 0
		.amdhsa_exception_fp_ieee_div_zero 0
		.amdhsa_exception_fp_ieee_overflow 0
		.amdhsa_exception_fp_ieee_underflow 0
		.amdhsa_exception_fp_ieee_inexact 0
		.amdhsa_exception_int_div_zero 0
	.end_amdhsa_kernel
	.section	.text._ZN7rocprim17ROCPRIM_400000_NS6detail17trampoline_kernelINS0_14default_configENS1_27scan_by_key_config_selectorIj11FixedVectorIiLj2EEEEZZNS1_16scan_by_key_implILNS1_25lookback_scan_determinismE0ELb1ES3_N6thrust23THRUST_200600_302600_NS6detail15normal_iteratorINSB_10device_ptrIjEEEENSD_INSE_IS6_EEEESI_S6_NSB_4plusIvEENSB_8equal_toIvEES6_EE10hipError_tPvRmT2_T3_T4_T5_mT6_T7_P12ihipStream_tbENKUlT_T0_E_clISt17integral_constantIbLb0EES12_IbLb1EEEEDaSY_SZ_EUlSY_E_NS1_11comp_targetILNS1_3genE4ELNS1_11target_archE910ELNS1_3gpuE8ELNS1_3repE0EEENS1_30default_config_static_selectorELNS0_4arch9wavefront6targetE1EEEvT1_,"axG",@progbits,_ZN7rocprim17ROCPRIM_400000_NS6detail17trampoline_kernelINS0_14default_configENS1_27scan_by_key_config_selectorIj11FixedVectorIiLj2EEEEZZNS1_16scan_by_key_implILNS1_25lookback_scan_determinismE0ELb1ES3_N6thrust23THRUST_200600_302600_NS6detail15normal_iteratorINSB_10device_ptrIjEEEENSD_INSE_IS6_EEEESI_S6_NSB_4plusIvEENSB_8equal_toIvEES6_EE10hipError_tPvRmT2_T3_T4_T5_mT6_T7_P12ihipStream_tbENKUlT_T0_E_clISt17integral_constantIbLb0EES12_IbLb1EEEEDaSY_SZ_EUlSY_E_NS1_11comp_targetILNS1_3genE4ELNS1_11target_archE910ELNS1_3gpuE8ELNS1_3repE0EEENS1_30default_config_static_selectorELNS0_4arch9wavefront6targetE1EEEvT1_,comdat
.Lfunc_end2023:
	.size	_ZN7rocprim17ROCPRIM_400000_NS6detail17trampoline_kernelINS0_14default_configENS1_27scan_by_key_config_selectorIj11FixedVectorIiLj2EEEEZZNS1_16scan_by_key_implILNS1_25lookback_scan_determinismE0ELb1ES3_N6thrust23THRUST_200600_302600_NS6detail15normal_iteratorINSB_10device_ptrIjEEEENSD_INSE_IS6_EEEESI_S6_NSB_4plusIvEENSB_8equal_toIvEES6_EE10hipError_tPvRmT2_T3_T4_T5_mT6_T7_P12ihipStream_tbENKUlT_T0_E_clISt17integral_constantIbLb0EES12_IbLb1EEEEDaSY_SZ_EUlSY_E_NS1_11comp_targetILNS1_3genE4ELNS1_11target_archE910ELNS1_3gpuE8ELNS1_3repE0EEENS1_30default_config_static_selectorELNS0_4arch9wavefront6targetE1EEEvT1_, .Lfunc_end2023-_ZN7rocprim17ROCPRIM_400000_NS6detail17trampoline_kernelINS0_14default_configENS1_27scan_by_key_config_selectorIj11FixedVectorIiLj2EEEEZZNS1_16scan_by_key_implILNS1_25lookback_scan_determinismE0ELb1ES3_N6thrust23THRUST_200600_302600_NS6detail15normal_iteratorINSB_10device_ptrIjEEEENSD_INSE_IS6_EEEESI_S6_NSB_4plusIvEENSB_8equal_toIvEES6_EE10hipError_tPvRmT2_T3_T4_T5_mT6_T7_P12ihipStream_tbENKUlT_T0_E_clISt17integral_constantIbLb0EES12_IbLb1EEEEDaSY_SZ_EUlSY_E_NS1_11comp_targetILNS1_3genE4ELNS1_11target_archE910ELNS1_3gpuE8ELNS1_3repE0EEENS1_30default_config_static_selectorELNS0_4arch9wavefront6targetE1EEEvT1_
                                        ; -- End function
	.section	.AMDGPU.csdata,"",@progbits
; Kernel info:
; codeLenInByte = 18900
; NumSgprs: 80
; NumVgprs: 128
; NumAgprs: 0
; TotalNumVgprs: 128
; ScratchSize: 0
; MemoryBound: 0
; FloatMode: 240
; IeeeMode: 1
; LDSByteSize: 10752 bytes/workgroup (compile time only)
; SGPRBlocks: 9
; VGPRBlocks: 15
; NumSGPRsForWavesPerEU: 80
; NumVGPRsForWavesPerEU: 128
; AccumOffset: 128
; Occupancy: 2
; WaveLimiterHint : 1
; COMPUTE_PGM_RSRC2:SCRATCH_EN: 0
; COMPUTE_PGM_RSRC2:USER_SGPR: 6
; COMPUTE_PGM_RSRC2:TRAP_HANDLER: 0
; COMPUTE_PGM_RSRC2:TGID_X_EN: 1
; COMPUTE_PGM_RSRC2:TGID_Y_EN: 0
; COMPUTE_PGM_RSRC2:TGID_Z_EN: 0
; COMPUTE_PGM_RSRC2:TIDIG_COMP_CNT: 0
; COMPUTE_PGM_RSRC3_GFX90A:ACCUM_OFFSET: 31
; COMPUTE_PGM_RSRC3_GFX90A:TG_SPLIT: 0
	.section	.text._ZN7rocprim17ROCPRIM_400000_NS6detail17trampoline_kernelINS0_14default_configENS1_27scan_by_key_config_selectorIj11FixedVectorIiLj2EEEEZZNS1_16scan_by_key_implILNS1_25lookback_scan_determinismE0ELb1ES3_N6thrust23THRUST_200600_302600_NS6detail15normal_iteratorINSB_10device_ptrIjEEEENSD_INSE_IS6_EEEESI_S6_NSB_4plusIvEENSB_8equal_toIvEES6_EE10hipError_tPvRmT2_T3_T4_T5_mT6_T7_P12ihipStream_tbENKUlT_T0_E_clISt17integral_constantIbLb0EES12_IbLb1EEEEDaSY_SZ_EUlSY_E_NS1_11comp_targetILNS1_3genE3ELNS1_11target_archE908ELNS1_3gpuE7ELNS1_3repE0EEENS1_30default_config_static_selectorELNS0_4arch9wavefront6targetE1EEEvT1_,"axG",@progbits,_ZN7rocprim17ROCPRIM_400000_NS6detail17trampoline_kernelINS0_14default_configENS1_27scan_by_key_config_selectorIj11FixedVectorIiLj2EEEEZZNS1_16scan_by_key_implILNS1_25lookback_scan_determinismE0ELb1ES3_N6thrust23THRUST_200600_302600_NS6detail15normal_iteratorINSB_10device_ptrIjEEEENSD_INSE_IS6_EEEESI_S6_NSB_4plusIvEENSB_8equal_toIvEES6_EE10hipError_tPvRmT2_T3_T4_T5_mT6_T7_P12ihipStream_tbENKUlT_T0_E_clISt17integral_constantIbLb0EES12_IbLb1EEEEDaSY_SZ_EUlSY_E_NS1_11comp_targetILNS1_3genE3ELNS1_11target_archE908ELNS1_3gpuE7ELNS1_3repE0EEENS1_30default_config_static_selectorELNS0_4arch9wavefront6targetE1EEEvT1_,comdat
	.protected	_ZN7rocprim17ROCPRIM_400000_NS6detail17trampoline_kernelINS0_14default_configENS1_27scan_by_key_config_selectorIj11FixedVectorIiLj2EEEEZZNS1_16scan_by_key_implILNS1_25lookback_scan_determinismE0ELb1ES3_N6thrust23THRUST_200600_302600_NS6detail15normal_iteratorINSB_10device_ptrIjEEEENSD_INSE_IS6_EEEESI_S6_NSB_4plusIvEENSB_8equal_toIvEES6_EE10hipError_tPvRmT2_T3_T4_T5_mT6_T7_P12ihipStream_tbENKUlT_T0_E_clISt17integral_constantIbLb0EES12_IbLb1EEEEDaSY_SZ_EUlSY_E_NS1_11comp_targetILNS1_3genE3ELNS1_11target_archE908ELNS1_3gpuE7ELNS1_3repE0EEENS1_30default_config_static_selectorELNS0_4arch9wavefront6targetE1EEEvT1_ ; -- Begin function _ZN7rocprim17ROCPRIM_400000_NS6detail17trampoline_kernelINS0_14default_configENS1_27scan_by_key_config_selectorIj11FixedVectorIiLj2EEEEZZNS1_16scan_by_key_implILNS1_25lookback_scan_determinismE0ELb1ES3_N6thrust23THRUST_200600_302600_NS6detail15normal_iteratorINSB_10device_ptrIjEEEENSD_INSE_IS6_EEEESI_S6_NSB_4plusIvEENSB_8equal_toIvEES6_EE10hipError_tPvRmT2_T3_T4_T5_mT6_T7_P12ihipStream_tbENKUlT_T0_E_clISt17integral_constantIbLb0EES12_IbLb1EEEEDaSY_SZ_EUlSY_E_NS1_11comp_targetILNS1_3genE3ELNS1_11target_archE908ELNS1_3gpuE7ELNS1_3repE0EEENS1_30default_config_static_selectorELNS0_4arch9wavefront6targetE1EEEvT1_
	.globl	_ZN7rocprim17ROCPRIM_400000_NS6detail17trampoline_kernelINS0_14default_configENS1_27scan_by_key_config_selectorIj11FixedVectorIiLj2EEEEZZNS1_16scan_by_key_implILNS1_25lookback_scan_determinismE0ELb1ES3_N6thrust23THRUST_200600_302600_NS6detail15normal_iteratorINSB_10device_ptrIjEEEENSD_INSE_IS6_EEEESI_S6_NSB_4plusIvEENSB_8equal_toIvEES6_EE10hipError_tPvRmT2_T3_T4_T5_mT6_T7_P12ihipStream_tbENKUlT_T0_E_clISt17integral_constantIbLb0EES12_IbLb1EEEEDaSY_SZ_EUlSY_E_NS1_11comp_targetILNS1_3genE3ELNS1_11target_archE908ELNS1_3gpuE7ELNS1_3repE0EEENS1_30default_config_static_selectorELNS0_4arch9wavefront6targetE1EEEvT1_
	.p2align	8
	.type	_ZN7rocprim17ROCPRIM_400000_NS6detail17trampoline_kernelINS0_14default_configENS1_27scan_by_key_config_selectorIj11FixedVectorIiLj2EEEEZZNS1_16scan_by_key_implILNS1_25lookback_scan_determinismE0ELb1ES3_N6thrust23THRUST_200600_302600_NS6detail15normal_iteratorINSB_10device_ptrIjEEEENSD_INSE_IS6_EEEESI_S6_NSB_4plusIvEENSB_8equal_toIvEES6_EE10hipError_tPvRmT2_T3_T4_T5_mT6_T7_P12ihipStream_tbENKUlT_T0_E_clISt17integral_constantIbLb0EES12_IbLb1EEEEDaSY_SZ_EUlSY_E_NS1_11comp_targetILNS1_3genE3ELNS1_11target_archE908ELNS1_3gpuE7ELNS1_3repE0EEENS1_30default_config_static_selectorELNS0_4arch9wavefront6targetE1EEEvT1_,@function
_ZN7rocprim17ROCPRIM_400000_NS6detail17trampoline_kernelINS0_14default_configENS1_27scan_by_key_config_selectorIj11FixedVectorIiLj2EEEEZZNS1_16scan_by_key_implILNS1_25lookback_scan_determinismE0ELb1ES3_N6thrust23THRUST_200600_302600_NS6detail15normal_iteratorINSB_10device_ptrIjEEEENSD_INSE_IS6_EEEESI_S6_NSB_4plusIvEENSB_8equal_toIvEES6_EE10hipError_tPvRmT2_T3_T4_T5_mT6_T7_P12ihipStream_tbENKUlT_T0_E_clISt17integral_constantIbLb0EES12_IbLb1EEEEDaSY_SZ_EUlSY_E_NS1_11comp_targetILNS1_3genE3ELNS1_11target_archE908ELNS1_3gpuE7ELNS1_3repE0EEENS1_30default_config_static_selectorELNS0_4arch9wavefront6targetE1EEEvT1_: ; @_ZN7rocprim17ROCPRIM_400000_NS6detail17trampoline_kernelINS0_14default_configENS1_27scan_by_key_config_selectorIj11FixedVectorIiLj2EEEEZZNS1_16scan_by_key_implILNS1_25lookback_scan_determinismE0ELb1ES3_N6thrust23THRUST_200600_302600_NS6detail15normal_iteratorINSB_10device_ptrIjEEEENSD_INSE_IS6_EEEESI_S6_NSB_4plusIvEENSB_8equal_toIvEES6_EE10hipError_tPvRmT2_T3_T4_T5_mT6_T7_P12ihipStream_tbENKUlT_T0_E_clISt17integral_constantIbLb0EES12_IbLb1EEEEDaSY_SZ_EUlSY_E_NS1_11comp_targetILNS1_3genE3ELNS1_11target_archE908ELNS1_3gpuE7ELNS1_3repE0EEENS1_30default_config_static_selectorELNS0_4arch9wavefront6targetE1EEEvT1_
; %bb.0:
	.section	.rodata,"a",@progbits
	.p2align	6, 0x0
	.amdhsa_kernel _ZN7rocprim17ROCPRIM_400000_NS6detail17trampoline_kernelINS0_14default_configENS1_27scan_by_key_config_selectorIj11FixedVectorIiLj2EEEEZZNS1_16scan_by_key_implILNS1_25lookback_scan_determinismE0ELb1ES3_N6thrust23THRUST_200600_302600_NS6detail15normal_iteratorINSB_10device_ptrIjEEEENSD_INSE_IS6_EEEESI_S6_NSB_4plusIvEENSB_8equal_toIvEES6_EE10hipError_tPvRmT2_T3_T4_T5_mT6_T7_P12ihipStream_tbENKUlT_T0_E_clISt17integral_constantIbLb0EES12_IbLb1EEEEDaSY_SZ_EUlSY_E_NS1_11comp_targetILNS1_3genE3ELNS1_11target_archE908ELNS1_3gpuE7ELNS1_3repE0EEENS1_30default_config_static_selectorELNS0_4arch9wavefront6targetE1EEEvT1_
		.amdhsa_group_segment_fixed_size 0
		.amdhsa_private_segment_fixed_size 0
		.amdhsa_kernarg_size 120
		.amdhsa_user_sgpr_count 6
		.amdhsa_user_sgpr_private_segment_buffer 1
		.amdhsa_user_sgpr_dispatch_ptr 0
		.amdhsa_user_sgpr_queue_ptr 0
		.amdhsa_user_sgpr_kernarg_segment_ptr 1
		.amdhsa_user_sgpr_dispatch_id 0
		.amdhsa_user_sgpr_flat_scratch_init 0
		.amdhsa_user_sgpr_kernarg_preload_length 0
		.amdhsa_user_sgpr_kernarg_preload_offset 0
		.amdhsa_user_sgpr_private_segment_size 0
		.amdhsa_uses_dynamic_stack 0
		.amdhsa_system_sgpr_private_segment_wavefront_offset 0
		.amdhsa_system_sgpr_workgroup_id_x 1
		.amdhsa_system_sgpr_workgroup_id_y 0
		.amdhsa_system_sgpr_workgroup_id_z 0
		.amdhsa_system_sgpr_workgroup_info 0
		.amdhsa_system_vgpr_workitem_id 0
		.amdhsa_next_free_vgpr 1
		.amdhsa_next_free_sgpr 0
		.amdhsa_accum_offset 4
		.amdhsa_reserve_vcc 0
		.amdhsa_reserve_flat_scratch 0
		.amdhsa_float_round_mode_32 0
		.amdhsa_float_round_mode_16_64 0
		.amdhsa_float_denorm_mode_32 3
		.amdhsa_float_denorm_mode_16_64 3
		.amdhsa_dx10_clamp 1
		.amdhsa_ieee_mode 1
		.amdhsa_fp16_overflow 0
		.amdhsa_tg_split 0
		.amdhsa_exception_fp_ieee_invalid_op 0
		.amdhsa_exception_fp_denorm_src 0
		.amdhsa_exception_fp_ieee_div_zero 0
		.amdhsa_exception_fp_ieee_overflow 0
		.amdhsa_exception_fp_ieee_underflow 0
		.amdhsa_exception_fp_ieee_inexact 0
		.amdhsa_exception_int_div_zero 0
	.end_amdhsa_kernel
	.section	.text._ZN7rocprim17ROCPRIM_400000_NS6detail17trampoline_kernelINS0_14default_configENS1_27scan_by_key_config_selectorIj11FixedVectorIiLj2EEEEZZNS1_16scan_by_key_implILNS1_25lookback_scan_determinismE0ELb1ES3_N6thrust23THRUST_200600_302600_NS6detail15normal_iteratorINSB_10device_ptrIjEEEENSD_INSE_IS6_EEEESI_S6_NSB_4plusIvEENSB_8equal_toIvEES6_EE10hipError_tPvRmT2_T3_T4_T5_mT6_T7_P12ihipStream_tbENKUlT_T0_E_clISt17integral_constantIbLb0EES12_IbLb1EEEEDaSY_SZ_EUlSY_E_NS1_11comp_targetILNS1_3genE3ELNS1_11target_archE908ELNS1_3gpuE7ELNS1_3repE0EEENS1_30default_config_static_selectorELNS0_4arch9wavefront6targetE1EEEvT1_,"axG",@progbits,_ZN7rocprim17ROCPRIM_400000_NS6detail17trampoline_kernelINS0_14default_configENS1_27scan_by_key_config_selectorIj11FixedVectorIiLj2EEEEZZNS1_16scan_by_key_implILNS1_25lookback_scan_determinismE0ELb1ES3_N6thrust23THRUST_200600_302600_NS6detail15normal_iteratorINSB_10device_ptrIjEEEENSD_INSE_IS6_EEEESI_S6_NSB_4plusIvEENSB_8equal_toIvEES6_EE10hipError_tPvRmT2_T3_T4_T5_mT6_T7_P12ihipStream_tbENKUlT_T0_E_clISt17integral_constantIbLb0EES12_IbLb1EEEEDaSY_SZ_EUlSY_E_NS1_11comp_targetILNS1_3genE3ELNS1_11target_archE908ELNS1_3gpuE7ELNS1_3repE0EEENS1_30default_config_static_selectorELNS0_4arch9wavefront6targetE1EEEvT1_,comdat
.Lfunc_end2024:
	.size	_ZN7rocprim17ROCPRIM_400000_NS6detail17trampoline_kernelINS0_14default_configENS1_27scan_by_key_config_selectorIj11FixedVectorIiLj2EEEEZZNS1_16scan_by_key_implILNS1_25lookback_scan_determinismE0ELb1ES3_N6thrust23THRUST_200600_302600_NS6detail15normal_iteratorINSB_10device_ptrIjEEEENSD_INSE_IS6_EEEESI_S6_NSB_4plusIvEENSB_8equal_toIvEES6_EE10hipError_tPvRmT2_T3_T4_T5_mT6_T7_P12ihipStream_tbENKUlT_T0_E_clISt17integral_constantIbLb0EES12_IbLb1EEEEDaSY_SZ_EUlSY_E_NS1_11comp_targetILNS1_3genE3ELNS1_11target_archE908ELNS1_3gpuE7ELNS1_3repE0EEENS1_30default_config_static_selectorELNS0_4arch9wavefront6targetE1EEEvT1_, .Lfunc_end2024-_ZN7rocprim17ROCPRIM_400000_NS6detail17trampoline_kernelINS0_14default_configENS1_27scan_by_key_config_selectorIj11FixedVectorIiLj2EEEEZZNS1_16scan_by_key_implILNS1_25lookback_scan_determinismE0ELb1ES3_N6thrust23THRUST_200600_302600_NS6detail15normal_iteratorINSB_10device_ptrIjEEEENSD_INSE_IS6_EEEESI_S6_NSB_4plusIvEENSB_8equal_toIvEES6_EE10hipError_tPvRmT2_T3_T4_T5_mT6_T7_P12ihipStream_tbENKUlT_T0_E_clISt17integral_constantIbLb0EES12_IbLb1EEEEDaSY_SZ_EUlSY_E_NS1_11comp_targetILNS1_3genE3ELNS1_11target_archE908ELNS1_3gpuE7ELNS1_3repE0EEENS1_30default_config_static_selectorELNS0_4arch9wavefront6targetE1EEEvT1_
                                        ; -- End function
	.section	.AMDGPU.csdata,"",@progbits
; Kernel info:
; codeLenInByte = 0
; NumSgprs: 4
; NumVgprs: 0
; NumAgprs: 0
; TotalNumVgprs: 0
; ScratchSize: 0
; MemoryBound: 0
; FloatMode: 240
; IeeeMode: 1
; LDSByteSize: 0 bytes/workgroup (compile time only)
; SGPRBlocks: 0
; VGPRBlocks: 0
; NumSGPRsForWavesPerEU: 4
; NumVGPRsForWavesPerEU: 1
; AccumOffset: 4
; Occupancy: 8
; WaveLimiterHint : 0
; COMPUTE_PGM_RSRC2:SCRATCH_EN: 0
; COMPUTE_PGM_RSRC2:USER_SGPR: 6
; COMPUTE_PGM_RSRC2:TRAP_HANDLER: 0
; COMPUTE_PGM_RSRC2:TGID_X_EN: 1
; COMPUTE_PGM_RSRC2:TGID_Y_EN: 0
; COMPUTE_PGM_RSRC2:TGID_Z_EN: 0
; COMPUTE_PGM_RSRC2:TIDIG_COMP_CNT: 0
; COMPUTE_PGM_RSRC3_GFX90A:ACCUM_OFFSET: 0
; COMPUTE_PGM_RSRC3_GFX90A:TG_SPLIT: 0
	.section	.text._ZN7rocprim17ROCPRIM_400000_NS6detail17trampoline_kernelINS0_14default_configENS1_27scan_by_key_config_selectorIj11FixedVectorIiLj2EEEEZZNS1_16scan_by_key_implILNS1_25lookback_scan_determinismE0ELb1ES3_N6thrust23THRUST_200600_302600_NS6detail15normal_iteratorINSB_10device_ptrIjEEEENSD_INSE_IS6_EEEESI_S6_NSB_4plusIvEENSB_8equal_toIvEES6_EE10hipError_tPvRmT2_T3_T4_T5_mT6_T7_P12ihipStream_tbENKUlT_T0_E_clISt17integral_constantIbLb0EES12_IbLb1EEEEDaSY_SZ_EUlSY_E_NS1_11comp_targetILNS1_3genE2ELNS1_11target_archE906ELNS1_3gpuE6ELNS1_3repE0EEENS1_30default_config_static_selectorELNS0_4arch9wavefront6targetE1EEEvT1_,"axG",@progbits,_ZN7rocprim17ROCPRIM_400000_NS6detail17trampoline_kernelINS0_14default_configENS1_27scan_by_key_config_selectorIj11FixedVectorIiLj2EEEEZZNS1_16scan_by_key_implILNS1_25lookback_scan_determinismE0ELb1ES3_N6thrust23THRUST_200600_302600_NS6detail15normal_iteratorINSB_10device_ptrIjEEEENSD_INSE_IS6_EEEESI_S6_NSB_4plusIvEENSB_8equal_toIvEES6_EE10hipError_tPvRmT2_T3_T4_T5_mT6_T7_P12ihipStream_tbENKUlT_T0_E_clISt17integral_constantIbLb0EES12_IbLb1EEEEDaSY_SZ_EUlSY_E_NS1_11comp_targetILNS1_3genE2ELNS1_11target_archE906ELNS1_3gpuE6ELNS1_3repE0EEENS1_30default_config_static_selectorELNS0_4arch9wavefront6targetE1EEEvT1_,comdat
	.protected	_ZN7rocprim17ROCPRIM_400000_NS6detail17trampoline_kernelINS0_14default_configENS1_27scan_by_key_config_selectorIj11FixedVectorIiLj2EEEEZZNS1_16scan_by_key_implILNS1_25lookback_scan_determinismE0ELb1ES3_N6thrust23THRUST_200600_302600_NS6detail15normal_iteratorINSB_10device_ptrIjEEEENSD_INSE_IS6_EEEESI_S6_NSB_4plusIvEENSB_8equal_toIvEES6_EE10hipError_tPvRmT2_T3_T4_T5_mT6_T7_P12ihipStream_tbENKUlT_T0_E_clISt17integral_constantIbLb0EES12_IbLb1EEEEDaSY_SZ_EUlSY_E_NS1_11comp_targetILNS1_3genE2ELNS1_11target_archE906ELNS1_3gpuE6ELNS1_3repE0EEENS1_30default_config_static_selectorELNS0_4arch9wavefront6targetE1EEEvT1_ ; -- Begin function _ZN7rocprim17ROCPRIM_400000_NS6detail17trampoline_kernelINS0_14default_configENS1_27scan_by_key_config_selectorIj11FixedVectorIiLj2EEEEZZNS1_16scan_by_key_implILNS1_25lookback_scan_determinismE0ELb1ES3_N6thrust23THRUST_200600_302600_NS6detail15normal_iteratorINSB_10device_ptrIjEEEENSD_INSE_IS6_EEEESI_S6_NSB_4plusIvEENSB_8equal_toIvEES6_EE10hipError_tPvRmT2_T3_T4_T5_mT6_T7_P12ihipStream_tbENKUlT_T0_E_clISt17integral_constantIbLb0EES12_IbLb1EEEEDaSY_SZ_EUlSY_E_NS1_11comp_targetILNS1_3genE2ELNS1_11target_archE906ELNS1_3gpuE6ELNS1_3repE0EEENS1_30default_config_static_selectorELNS0_4arch9wavefront6targetE1EEEvT1_
	.globl	_ZN7rocprim17ROCPRIM_400000_NS6detail17trampoline_kernelINS0_14default_configENS1_27scan_by_key_config_selectorIj11FixedVectorIiLj2EEEEZZNS1_16scan_by_key_implILNS1_25lookback_scan_determinismE0ELb1ES3_N6thrust23THRUST_200600_302600_NS6detail15normal_iteratorINSB_10device_ptrIjEEEENSD_INSE_IS6_EEEESI_S6_NSB_4plusIvEENSB_8equal_toIvEES6_EE10hipError_tPvRmT2_T3_T4_T5_mT6_T7_P12ihipStream_tbENKUlT_T0_E_clISt17integral_constantIbLb0EES12_IbLb1EEEEDaSY_SZ_EUlSY_E_NS1_11comp_targetILNS1_3genE2ELNS1_11target_archE906ELNS1_3gpuE6ELNS1_3repE0EEENS1_30default_config_static_selectorELNS0_4arch9wavefront6targetE1EEEvT1_
	.p2align	8
	.type	_ZN7rocprim17ROCPRIM_400000_NS6detail17trampoline_kernelINS0_14default_configENS1_27scan_by_key_config_selectorIj11FixedVectorIiLj2EEEEZZNS1_16scan_by_key_implILNS1_25lookback_scan_determinismE0ELb1ES3_N6thrust23THRUST_200600_302600_NS6detail15normal_iteratorINSB_10device_ptrIjEEEENSD_INSE_IS6_EEEESI_S6_NSB_4plusIvEENSB_8equal_toIvEES6_EE10hipError_tPvRmT2_T3_T4_T5_mT6_T7_P12ihipStream_tbENKUlT_T0_E_clISt17integral_constantIbLb0EES12_IbLb1EEEEDaSY_SZ_EUlSY_E_NS1_11comp_targetILNS1_3genE2ELNS1_11target_archE906ELNS1_3gpuE6ELNS1_3repE0EEENS1_30default_config_static_selectorELNS0_4arch9wavefront6targetE1EEEvT1_,@function
_ZN7rocprim17ROCPRIM_400000_NS6detail17trampoline_kernelINS0_14default_configENS1_27scan_by_key_config_selectorIj11FixedVectorIiLj2EEEEZZNS1_16scan_by_key_implILNS1_25lookback_scan_determinismE0ELb1ES3_N6thrust23THRUST_200600_302600_NS6detail15normal_iteratorINSB_10device_ptrIjEEEENSD_INSE_IS6_EEEESI_S6_NSB_4plusIvEENSB_8equal_toIvEES6_EE10hipError_tPvRmT2_T3_T4_T5_mT6_T7_P12ihipStream_tbENKUlT_T0_E_clISt17integral_constantIbLb0EES12_IbLb1EEEEDaSY_SZ_EUlSY_E_NS1_11comp_targetILNS1_3genE2ELNS1_11target_archE906ELNS1_3gpuE6ELNS1_3repE0EEENS1_30default_config_static_selectorELNS0_4arch9wavefront6targetE1EEEvT1_: ; @_ZN7rocprim17ROCPRIM_400000_NS6detail17trampoline_kernelINS0_14default_configENS1_27scan_by_key_config_selectorIj11FixedVectorIiLj2EEEEZZNS1_16scan_by_key_implILNS1_25lookback_scan_determinismE0ELb1ES3_N6thrust23THRUST_200600_302600_NS6detail15normal_iteratorINSB_10device_ptrIjEEEENSD_INSE_IS6_EEEESI_S6_NSB_4plusIvEENSB_8equal_toIvEES6_EE10hipError_tPvRmT2_T3_T4_T5_mT6_T7_P12ihipStream_tbENKUlT_T0_E_clISt17integral_constantIbLb0EES12_IbLb1EEEEDaSY_SZ_EUlSY_E_NS1_11comp_targetILNS1_3genE2ELNS1_11target_archE906ELNS1_3gpuE6ELNS1_3repE0EEENS1_30default_config_static_selectorELNS0_4arch9wavefront6targetE1EEEvT1_
; %bb.0:
	.section	.rodata,"a",@progbits
	.p2align	6, 0x0
	.amdhsa_kernel _ZN7rocprim17ROCPRIM_400000_NS6detail17trampoline_kernelINS0_14default_configENS1_27scan_by_key_config_selectorIj11FixedVectorIiLj2EEEEZZNS1_16scan_by_key_implILNS1_25lookback_scan_determinismE0ELb1ES3_N6thrust23THRUST_200600_302600_NS6detail15normal_iteratorINSB_10device_ptrIjEEEENSD_INSE_IS6_EEEESI_S6_NSB_4plusIvEENSB_8equal_toIvEES6_EE10hipError_tPvRmT2_T3_T4_T5_mT6_T7_P12ihipStream_tbENKUlT_T0_E_clISt17integral_constantIbLb0EES12_IbLb1EEEEDaSY_SZ_EUlSY_E_NS1_11comp_targetILNS1_3genE2ELNS1_11target_archE906ELNS1_3gpuE6ELNS1_3repE0EEENS1_30default_config_static_selectorELNS0_4arch9wavefront6targetE1EEEvT1_
		.amdhsa_group_segment_fixed_size 0
		.amdhsa_private_segment_fixed_size 0
		.amdhsa_kernarg_size 120
		.amdhsa_user_sgpr_count 6
		.amdhsa_user_sgpr_private_segment_buffer 1
		.amdhsa_user_sgpr_dispatch_ptr 0
		.amdhsa_user_sgpr_queue_ptr 0
		.amdhsa_user_sgpr_kernarg_segment_ptr 1
		.amdhsa_user_sgpr_dispatch_id 0
		.amdhsa_user_sgpr_flat_scratch_init 0
		.amdhsa_user_sgpr_kernarg_preload_length 0
		.amdhsa_user_sgpr_kernarg_preload_offset 0
		.amdhsa_user_sgpr_private_segment_size 0
		.amdhsa_uses_dynamic_stack 0
		.amdhsa_system_sgpr_private_segment_wavefront_offset 0
		.amdhsa_system_sgpr_workgroup_id_x 1
		.amdhsa_system_sgpr_workgroup_id_y 0
		.amdhsa_system_sgpr_workgroup_id_z 0
		.amdhsa_system_sgpr_workgroup_info 0
		.amdhsa_system_vgpr_workitem_id 0
		.amdhsa_next_free_vgpr 1
		.amdhsa_next_free_sgpr 0
		.amdhsa_accum_offset 4
		.amdhsa_reserve_vcc 0
		.amdhsa_reserve_flat_scratch 0
		.amdhsa_float_round_mode_32 0
		.amdhsa_float_round_mode_16_64 0
		.amdhsa_float_denorm_mode_32 3
		.amdhsa_float_denorm_mode_16_64 3
		.amdhsa_dx10_clamp 1
		.amdhsa_ieee_mode 1
		.amdhsa_fp16_overflow 0
		.amdhsa_tg_split 0
		.amdhsa_exception_fp_ieee_invalid_op 0
		.amdhsa_exception_fp_denorm_src 0
		.amdhsa_exception_fp_ieee_div_zero 0
		.amdhsa_exception_fp_ieee_overflow 0
		.amdhsa_exception_fp_ieee_underflow 0
		.amdhsa_exception_fp_ieee_inexact 0
		.amdhsa_exception_int_div_zero 0
	.end_amdhsa_kernel
	.section	.text._ZN7rocprim17ROCPRIM_400000_NS6detail17trampoline_kernelINS0_14default_configENS1_27scan_by_key_config_selectorIj11FixedVectorIiLj2EEEEZZNS1_16scan_by_key_implILNS1_25lookback_scan_determinismE0ELb1ES3_N6thrust23THRUST_200600_302600_NS6detail15normal_iteratorINSB_10device_ptrIjEEEENSD_INSE_IS6_EEEESI_S6_NSB_4plusIvEENSB_8equal_toIvEES6_EE10hipError_tPvRmT2_T3_T4_T5_mT6_T7_P12ihipStream_tbENKUlT_T0_E_clISt17integral_constantIbLb0EES12_IbLb1EEEEDaSY_SZ_EUlSY_E_NS1_11comp_targetILNS1_3genE2ELNS1_11target_archE906ELNS1_3gpuE6ELNS1_3repE0EEENS1_30default_config_static_selectorELNS0_4arch9wavefront6targetE1EEEvT1_,"axG",@progbits,_ZN7rocprim17ROCPRIM_400000_NS6detail17trampoline_kernelINS0_14default_configENS1_27scan_by_key_config_selectorIj11FixedVectorIiLj2EEEEZZNS1_16scan_by_key_implILNS1_25lookback_scan_determinismE0ELb1ES3_N6thrust23THRUST_200600_302600_NS6detail15normal_iteratorINSB_10device_ptrIjEEEENSD_INSE_IS6_EEEESI_S6_NSB_4plusIvEENSB_8equal_toIvEES6_EE10hipError_tPvRmT2_T3_T4_T5_mT6_T7_P12ihipStream_tbENKUlT_T0_E_clISt17integral_constantIbLb0EES12_IbLb1EEEEDaSY_SZ_EUlSY_E_NS1_11comp_targetILNS1_3genE2ELNS1_11target_archE906ELNS1_3gpuE6ELNS1_3repE0EEENS1_30default_config_static_selectorELNS0_4arch9wavefront6targetE1EEEvT1_,comdat
.Lfunc_end2025:
	.size	_ZN7rocprim17ROCPRIM_400000_NS6detail17trampoline_kernelINS0_14default_configENS1_27scan_by_key_config_selectorIj11FixedVectorIiLj2EEEEZZNS1_16scan_by_key_implILNS1_25lookback_scan_determinismE0ELb1ES3_N6thrust23THRUST_200600_302600_NS6detail15normal_iteratorINSB_10device_ptrIjEEEENSD_INSE_IS6_EEEESI_S6_NSB_4plusIvEENSB_8equal_toIvEES6_EE10hipError_tPvRmT2_T3_T4_T5_mT6_T7_P12ihipStream_tbENKUlT_T0_E_clISt17integral_constantIbLb0EES12_IbLb1EEEEDaSY_SZ_EUlSY_E_NS1_11comp_targetILNS1_3genE2ELNS1_11target_archE906ELNS1_3gpuE6ELNS1_3repE0EEENS1_30default_config_static_selectorELNS0_4arch9wavefront6targetE1EEEvT1_, .Lfunc_end2025-_ZN7rocprim17ROCPRIM_400000_NS6detail17trampoline_kernelINS0_14default_configENS1_27scan_by_key_config_selectorIj11FixedVectorIiLj2EEEEZZNS1_16scan_by_key_implILNS1_25lookback_scan_determinismE0ELb1ES3_N6thrust23THRUST_200600_302600_NS6detail15normal_iteratorINSB_10device_ptrIjEEEENSD_INSE_IS6_EEEESI_S6_NSB_4plusIvEENSB_8equal_toIvEES6_EE10hipError_tPvRmT2_T3_T4_T5_mT6_T7_P12ihipStream_tbENKUlT_T0_E_clISt17integral_constantIbLb0EES12_IbLb1EEEEDaSY_SZ_EUlSY_E_NS1_11comp_targetILNS1_3genE2ELNS1_11target_archE906ELNS1_3gpuE6ELNS1_3repE0EEENS1_30default_config_static_selectorELNS0_4arch9wavefront6targetE1EEEvT1_
                                        ; -- End function
	.section	.AMDGPU.csdata,"",@progbits
; Kernel info:
; codeLenInByte = 0
; NumSgprs: 4
; NumVgprs: 0
; NumAgprs: 0
; TotalNumVgprs: 0
; ScratchSize: 0
; MemoryBound: 0
; FloatMode: 240
; IeeeMode: 1
; LDSByteSize: 0 bytes/workgroup (compile time only)
; SGPRBlocks: 0
; VGPRBlocks: 0
; NumSGPRsForWavesPerEU: 4
; NumVGPRsForWavesPerEU: 1
; AccumOffset: 4
; Occupancy: 8
; WaveLimiterHint : 0
; COMPUTE_PGM_RSRC2:SCRATCH_EN: 0
; COMPUTE_PGM_RSRC2:USER_SGPR: 6
; COMPUTE_PGM_RSRC2:TRAP_HANDLER: 0
; COMPUTE_PGM_RSRC2:TGID_X_EN: 1
; COMPUTE_PGM_RSRC2:TGID_Y_EN: 0
; COMPUTE_PGM_RSRC2:TGID_Z_EN: 0
; COMPUTE_PGM_RSRC2:TIDIG_COMP_CNT: 0
; COMPUTE_PGM_RSRC3_GFX90A:ACCUM_OFFSET: 0
; COMPUTE_PGM_RSRC3_GFX90A:TG_SPLIT: 0
	.section	.text._ZN7rocprim17ROCPRIM_400000_NS6detail17trampoline_kernelINS0_14default_configENS1_27scan_by_key_config_selectorIj11FixedVectorIiLj2EEEEZZNS1_16scan_by_key_implILNS1_25lookback_scan_determinismE0ELb1ES3_N6thrust23THRUST_200600_302600_NS6detail15normal_iteratorINSB_10device_ptrIjEEEENSD_INSE_IS6_EEEESI_S6_NSB_4plusIvEENSB_8equal_toIvEES6_EE10hipError_tPvRmT2_T3_T4_T5_mT6_T7_P12ihipStream_tbENKUlT_T0_E_clISt17integral_constantIbLb0EES12_IbLb1EEEEDaSY_SZ_EUlSY_E_NS1_11comp_targetILNS1_3genE10ELNS1_11target_archE1200ELNS1_3gpuE4ELNS1_3repE0EEENS1_30default_config_static_selectorELNS0_4arch9wavefront6targetE1EEEvT1_,"axG",@progbits,_ZN7rocprim17ROCPRIM_400000_NS6detail17trampoline_kernelINS0_14default_configENS1_27scan_by_key_config_selectorIj11FixedVectorIiLj2EEEEZZNS1_16scan_by_key_implILNS1_25lookback_scan_determinismE0ELb1ES3_N6thrust23THRUST_200600_302600_NS6detail15normal_iteratorINSB_10device_ptrIjEEEENSD_INSE_IS6_EEEESI_S6_NSB_4plusIvEENSB_8equal_toIvEES6_EE10hipError_tPvRmT2_T3_T4_T5_mT6_T7_P12ihipStream_tbENKUlT_T0_E_clISt17integral_constantIbLb0EES12_IbLb1EEEEDaSY_SZ_EUlSY_E_NS1_11comp_targetILNS1_3genE10ELNS1_11target_archE1200ELNS1_3gpuE4ELNS1_3repE0EEENS1_30default_config_static_selectorELNS0_4arch9wavefront6targetE1EEEvT1_,comdat
	.protected	_ZN7rocprim17ROCPRIM_400000_NS6detail17trampoline_kernelINS0_14default_configENS1_27scan_by_key_config_selectorIj11FixedVectorIiLj2EEEEZZNS1_16scan_by_key_implILNS1_25lookback_scan_determinismE0ELb1ES3_N6thrust23THRUST_200600_302600_NS6detail15normal_iteratorINSB_10device_ptrIjEEEENSD_INSE_IS6_EEEESI_S6_NSB_4plusIvEENSB_8equal_toIvEES6_EE10hipError_tPvRmT2_T3_T4_T5_mT6_T7_P12ihipStream_tbENKUlT_T0_E_clISt17integral_constantIbLb0EES12_IbLb1EEEEDaSY_SZ_EUlSY_E_NS1_11comp_targetILNS1_3genE10ELNS1_11target_archE1200ELNS1_3gpuE4ELNS1_3repE0EEENS1_30default_config_static_selectorELNS0_4arch9wavefront6targetE1EEEvT1_ ; -- Begin function _ZN7rocprim17ROCPRIM_400000_NS6detail17trampoline_kernelINS0_14default_configENS1_27scan_by_key_config_selectorIj11FixedVectorIiLj2EEEEZZNS1_16scan_by_key_implILNS1_25lookback_scan_determinismE0ELb1ES3_N6thrust23THRUST_200600_302600_NS6detail15normal_iteratorINSB_10device_ptrIjEEEENSD_INSE_IS6_EEEESI_S6_NSB_4plusIvEENSB_8equal_toIvEES6_EE10hipError_tPvRmT2_T3_T4_T5_mT6_T7_P12ihipStream_tbENKUlT_T0_E_clISt17integral_constantIbLb0EES12_IbLb1EEEEDaSY_SZ_EUlSY_E_NS1_11comp_targetILNS1_3genE10ELNS1_11target_archE1200ELNS1_3gpuE4ELNS1_3repE0EEENS1_30default_config_static_selectorELNS0_4arch9wavefront6targetE1EEEvT1_
	.globl	_ZN7rocprim17ROCPRIM_400000_NS6detail17trampoline_kernelINS0_14default_configENS1_27scan_by_key_config_selectorIj11FixedVectorIiLj2EEEEZZNS1_16scan_by_key_implILNS1_25lookback_scan_determinismE0ELb1ES3_N6thrust23THRUST_200600_302600_NS6detail15normal_iteratorINSB_10device_ptrIjEEEENSD_INSE_IS6_EEEESI_S6_NSB_4plusIvEENSB_8equal_toIvEES6_EE10hipError_tPvRmT2_T3_T4_T5_mT6_T7_P12ihipStream_tbENKUlT_T0_E_clISt17integral_constantIbLb0EES12_IbLb1EEEEDaSY_SZ_EUlSY_E_NS1_11comp_targetILNS1_3genE10ELNS1_11target_archE1200ELNS1_3gpuE4ELNS1_3repE0EEENS1_30default_config_static_selectorELNS0_4arch9wavefront6targetE1EEEvT1_
	.p2align	8
	.type	_ZN7rocprim17ROCPRIM_400000_NS6detail17trampoline_kernelINS0_14default_configENS1_27scan_by_key_config_selectorIj11FixedVectorIiLj2EEEEZZNS1_16scan_by_key_implILNS1_25lookback_scan_determinismE0ELb1ES3_N6thrust23THRUST_200600_302600_NS6detail15normal_iteratorINSB_10device_ptrIjEEEENSD_INSE_IS6_EEEESI_S6_NSB_4plusIvEENSB_8equal_toIvEES6_EE10hipError_tPvRmT2_T3_T4_T5_mT6_T7_P12ihipStream_tbENKUlT_T0_E_clISt17integral_constantIbLb0EES12_IbLb1EEEEDaSY_SZ_EUlSY_E_NS1_11comp_targetILNS1_3genE10ELNS1_11target_archE1200ELNS1_3gpuE4ELNS1_3repE0EEENS1_30default_config_static_selectorELNS0_4arch9wavefront6targetE1EEEvT1_,@function
_ZN7rocprim17ROCPRIM_400000_NS6detail17trampoline_kernelINS0_14default_configENS1_27scan_by_key_config_selectorIj11FixedVectorIiLj2EEEEZZNS1_16scan_by_key_implILNS1_25lookback_scan_determinismE0ELb1ES3_N6thrust23THRUST_200600_302600_NS6detail15normal_iteratorINSB_10device_ptrIjEEEENSD_INSE_IS6_EEEESI_S6_NSB_4plusIvEENSB_8equal_toIvEES6_EE10hipError_tPvRmT2_T3_T4_T5_mT6_T7_P12ihipStream_tbENKUlT_T0_E_clISt17integral_constantIbLb0EES12_IbLb1EEEEDaSY_SZ_EUlSY_E_NS1_11comp_targetILNS1_3genE10ELNS1_11target_archE1200ELNS1_3gpuE4ELNS1_3repE0EEENS1_30default_config_static_selectorELNS0_4arch9wavefront6targetE1EEEvT1_: ; @_ZN7rocprim17ROCPRIM_400000_NS6detail17trampoline_kernelINS0_14default_configENS1_27scan_by_key_config_selectorIj11FixedVectorIiLj2EEEEZZNS1_16scan_by_key_implILNS1_25lookback_scan_determinismE0ELb1ES3_N6thrust23THRUST_200600_302600_NS6detail15normal_iteratorINSB_10device_ptrIjEEEENSD_INSE_IS6_EEEESI_S6_NSB_4plusIvEENSB_8equal_toIvEES6_EE10hipError_tPvRmT2_T3_T4_T5_mT6_T7_P12ihipStream_tbENKUlT_T0_E_clISt17integral_constantIbLb0EES12_IbLb1EEEEDaSY_SZ_EUlSY_E_NS1_11comp_targetILNS1_3genE10ELNS1_11target_archE1200ELNS1_3gpuE4ELNS1_3repE0EEENS1_30default_config_static_selectorELNS0_4arch9wavefront6targetE1EEEvT1_
; %bb.0:
	.section	.rodata,"a",@progbits
	.p2align	6, 0x0
	.amdhsa_kernel _ZN7rocprim17ROCPRIM_400000_NS6detail17trampoline_kernelINS0_14default_configENS1_27scan_by_key_config_selectorIj11FixedVectorIiLj2EEEEZZNS1_16scan_by_key_implILNS1_25lookback_scan_determinismE0ELb1ES3_N6thrust23THRUST_200600_302600_NS6detail15normal_iteratorINSB_10device_ptrIjEEEENSD_INSE_IS6_EEEESI_S6_NSB_4plusIvEENSB_8equal_toIvEES6_EE10hipError_tPvRmT2_T3_T4_T5_mT6_T7_P12ihipStream_tbENKUlT_T0_E_clISt17integral_constantIbLb0EES12_IbLb1EEEEDaSY_SZ_EUlSY_E_NS1_11comp_targetILNS1_3genE10ELNS1_11target_archE1200ELNS1_3gpuE4ELNS1_3repE0EEENS1_30default_config_static_selectorELNS0_4arch9wavefront6targetE1EEEvT1_
		.amdhsa_group_segment_fixed_size 0
		.amdhsa_private_segment_fixed_size 0
		.amdhsa_kernarg_size 120
		.amdhsa_user_sgpr_count 6
		.amdhsa_user_sgpr_private_segment_buffer 1
		.amdhsa_user_sgpr_dispatch_ptr 0
		.amdhsa_user_sgpr_queue_ptr 0
		.amdhsa_user_sgpr_kernarg_segment_ptr 1
		.amdhsa_user_sgpr_dispatch_id 0
		.amdhsa_user_sgpr_flat_scratch_init 0
		.amdhsa_user_sgpr_kernarg_preload_length 0
		.amdhsa_user_sgpr_kernarg_preload_offset 0
		.amdhsa_user_sgpr_private_segment_size 0
		.amdhsa_uses_dynamic_stack 0
		.amdhsa_system_sgpr_private_segment_wavefront_offset 0
		.amdhsa_system_sgpr_workgroup_id_x 1
		.amdhsa_system_sgpr_workgroup_id_y 0
		.amdhsa_system_sgpr_workgroup_id_z 0
		.amdhsa_system_sgpr_workgroup_info 0
		.amdhsa_system_vgpr_workitem_id 0
		.amdhsa_next_free_vgpr 1
		.amdhsa_next_free_sgpr 0
		.amdhsa_accum_offset 4
		.amdhsa_reserve_vcc 0
		.amdhsa_reserve_flat_scratch 0
		.amdhsa_float_round_mode_32 0
		.amdhsa_float_round_mode_16_64 0
		.amdhsa_float_denorm_mode_32 3
		.amdhsa_float_denorm_mode_16_64 3
		.amdhsa_dx10_clamp 1
		.amdhsa_ieee_mode 1
		.amdhsa_fp16_overflow 0
		.amdhsa_tg_split 0
		.amdhsa_exception_fp_ieee_invalid_op 0
		.amdhsa_exception_fp_denorm_src 0
		.amdhsa_exception_fp_ieee_div_zero 0
		.amdhsa_exception_fp_ieee_overflow 0
		.amdhsa_exception_fp_ieee_underflow 0
		.amdhsa_exception_fp_ieee_inexact 0
		.amdhsa_exception_int_div_zero 0
	.end_amdhsa_kernel
	.section	.text._ZN7rocprim17ROCPRIM_400000_NS6detail17trampoline_kernelINS0_14default_configENS1_27scan_by_key_config_selectorIj11FixedVectorIiLj2EEEEZZNS1_16scan_by_key_implILNS1_25lookback_scan_determinismE0ELb1ES3_N6thrust23THRUST_200600_302600_NS6detail15normal_iteratorINSB_10device_ptrIjEEEENSD_INSE_IS6_EEEESI_S6_NSB_4plusIvEENSB_8equal_toIvEES6_EE10hipError_tPvRmT2_T3_T4_T5_mT6_T7_P12ihipStream_tbENKUlT_T0_E_clISt17integral_constantIbLb0EES12_IbLb1EEEEDaSY_SZ_EUlSY_E_NS1_11comp_targetILNS1_3genE10ELNS1_11target_archE1200ELNS1_3gpuE4ELNS1_3repE0EEENS1_30default_config_static_selectorELNS0_4arch9wavefront6targetE1EEEvT1_,"axG",@progbits,_ZN7rocprim17ROCPRIM_400000_NS6detail17trampoline_kernelINS0_14default_configENS1_27scan_by_key_config_selectorIj11FixedVectorIiLj2EEEEZZNS1_16scan_by_key_implILNS1_25lookback_scan_determinismE0ELb1ES3_N6thrust23THRUST_200600_302600_NS6detail15normal_iteratorINSB_10device_ptrIjEEEENSD_INSE_IS6_EEEESI_S6_NSB_4plusIvEENSB_8equal_toIvEES6_EE10hipError_tPvRmT2_T3_T4_T5_mT6_T7_P12ihipStream_tbENKUlT_T0_E_clISt17integral_constantIbLb0EES12_IbLb1EEEEDaSY_SZ_EUlSY_E_NS1_11comp_targetILNS1_3genE10ELNS1_11target_archE1200ELNS1_3gpuE4ELNS1_3repE0EEENS1_30default_config_static_selectorELNS0_4arch9wavefront6targetE1EEEvT1_,comdat
.Lfunc_end2026:
	.size	_ZN7rocprim17ROCPRIM_400000_NS6detail17trampoline_kernelINS0_14default_configENS1_27scan_by_key_config_selectorIj11FixedVectorIiLj2EEEEZZNS1_16scan_by_key_implILNS1_25lookback_scan_determinismE0ELb1ES3_N6thrust23THRUST_200600_302600_NS6detail15normal_iteratorINSB_10device_ptrIjEEEENSD_INSE_IS6_EEEESI_S6_NSB_4plusIvEENSB_8equal_toIvEES6_EE10hipError_tPvRmT2_T3_T4_T5_mT6_T7_P12ihipStream_tbENKUlT_T0_E_clISt17integral_constantIbLb0EES12_IbLb1EEEEDaSY_SZ_EUlSY_E_NS1_11comp_targetILNS1_3genE10ELNS1_11target_archE1200ELNS1_3gpuE4ELNS1_3repE0EEENS1_30default_config_static_selectorELNS0_4arch9wavefront6targetE1EEEvT1_, .Lfunc_end2026-_ZN7rocprim17ROCPRIM_400000_NS6detail17trampoline_kernelINS0_14default_configENS1_27scan_by_key_config_selectorIj11FixedVectorIiLj2EEEEZZNS1_16scan_by_key_implILNS1_25lookback_scan_determinismE0ELb1ES3_N6thrust23THRUST_200600_302600_NS6detail15normal_iteratorINSB_10device_ptrIjEEEENSD_INSE_IS6_EEEESI_S6_NSB_4plusIvEENSB_8equal_toIvEES6_EE10hipError_tPvRmT2_T3_T4_T5_mT6_T7_P12ihipStream_tbENKUlT_T0_E_clISt17integral_constantIbLb0EES12_IbLb1EEEEDaSY_SZ_EUlSY_E_NS1_11comp_targetILNS1_3genE10ELNS1_11target_archE1200ELNS1_3gpuE4ELNS1_3repE0EEENS1_30default_config_static_selectorELNS0_4arch9wavefront6targetE1EEEvT1_
                                        ; -- End function
	.section	.AMDGPU.csdata,"",@progbits
; Kernel info:
; codeLenInByte = 0
; NumSgprs: 4
; NumVgprs: 0
; NumAgprs: 0
; TotalNumVgprs: 0
; ScratchSize: 0
; MemoryBound: 0
; FloatMode: 240
; IeeeMode: 1
; LDSByteSize: 0 bytes/workgroup (compile time only)
; SGPRBlocks: 0
; VGPRBlocks: 0
; NumSGPRsForWavesPerEU: 4
; NumVGPRsForWavesPerEU: 1
; AccumOffset: 4
; Occupancy: 8
; WaveLimiterHint : 0
; COMPUTE_PGM_RSRC2:SCRATCH_EN: 0
; COMPUTE_PGM_RSRC2:USER_SGPR: 6
; COMPUTE_PGM_RSRC2:TRAP_HANDLER: 0
; COMPUTE_PGM_RSRC2:TGID_X_EN: 1
; COMPUTE_PGM_RSRC2:TGID_Y_EN: 0
; COMPUTE_PGM_RSRC2:TGID_Z_EN: 0
; COMPUTE_PGM_RSRC2:TIDIG_COMP_CNT: 0
; COMPUTE_PGM_RSRC3_GFX90A:ACCUM_OFFSET: 0
; COMPUTE_PGM_RSRC3_GFX90A:TG_SPLIT: 0
	.section	.text._ZN7rocprim17ROCPRIM_400000_NS6detail17trampoline_kernelINS0_14default_configENS1_27scan_by_key_config_selectorIj11FixedVectorIiLj2EEEEZZNS1_16scan_by_key_implILNS1_25lookback_scan_determinismE0ELb1ES3_N6thrust23THRUST_200600_302600_NS6detail15normal_iteratorINSB_10device_ptrIjEEEENSD_INSE_IS6_EEEESI_S6_NSB_4plusIvEENSB_8equal_toIvEES6_EE10hipError_tPvRmT2_T3_T4_T5_mT6_T7_P12ihipStream_tbENKUlT_T0_E_clISt17integral_constantIbLb0EES12_IbLb1EEEEDaSY_SZ_EUlSY_E_NS1_11comp_targetILNS1_3genE9ELNS1_11target_archE1100ELNS1_3gpuE3ELNS1_3repE0EEENS1_30default_config_static_selectorELNS0_4arch9wavefront6targetE1EEEvT1_,"axG",@progbits,_ZN7rocprim17ROCPRIM_400000_NS6detail17trampoline_kernelINS0_14default_configENS1_27scan_by_key_config_selectorIj11FixedVectorIiLj2EEEEZZNS1_16scan_by_key_implILNS1_25lookback_scan_determinismE0ELb1ES3_N6thrust23THRUST_200600_302600_NS6detail15normal_iteratorINSB_10device_ptrIjEEEENSD_INSE_IS6_EEEESI_S6_NSB_4plusIvEENSB_8equal_toIvEES6_EE10hipError_tPvRmT2_T3_T4_T5_mT6_T7_P12ihipStream_tbENKUlT_T0_E_clISt17integral_constantIbLb0EES12_IbLb1EEEEDaSY_SZ_EUlSY_E_NS1_11comp_targetILNS1_3genE9ELNS1_11target_archE1100ELNS1_3gpuE3ELNS1_3repE0EEENS1_30default_config_static_selectorELNS0_4arch9wavefront6targetE1EEEvT1_,comdat
	.protected	_ZN7rocprim17ROCPRIM_400000_NS6detail17trampoline_kernelINS0_14default_configENS1_27scan_by_key_config_selectorIj11FixedVectorIiLj2EEEEZZNS1_16scan_by_key_implILNS1_25lookback_scan_determinismE0ELb1ES3_N6thrust23THRUST_200600_302600_NS6detail15normal_iteratorINSB_10device_ptrIjEEEENSD_INSE_IS6_EEEESI_S6_NSB_4plusIvEENSB_8equal_toIvEES6_EE10hipError_tPvRmT2_T3_T4_T5_mT6_T7_P12ihipStream_tbENKUlT_T0_E_clISt17integral_constantIbLb0EES12_IbLb1EEEEDaSY_SZ_EUlSY_E_NS1_11comp_targetILNS1_3genE9ELNS1_11target_archE1100ELNS1_3gpuE3ELNS1_3repE0EEENS1_30default_config_static_selectorELNS0_4arch9wavefront6targetE1EEEvT1_ ; -- Begin function _ZN7rocprim17ROCPRIM_400000_NS6detail17trampoline_kernelINS0_14default_configENS1_27scan_by_key_config_selectorIj11FixedVectorIiLj2EEEEZZNS1_16scan_by_key_implILNS1_25lookback_scan_determinismE0ELb1ES3_N6thrust23THRUST_200600_302600_NS6detail15normal_iteratorINSB_10device_ptrIjEEEENSD_INSE_IS6_EEEESI_S6_NSB_4plusIvEENSB_8equal_toIvEES6_EE10hipError_tPvRmT2_T3_T4_T5_mT6_T7_P12ihipStream_tbENKUlT_T0_E_clISt17integral_constantIbLb0EES12_IbLb1EEEEDaSY_SZ_EUlSY_E_NS1_11comp_targetILNS1_3genE9ELNS1_11target_archE1100ELNS1_3gpuE3ELNS1_3repE0EEENS1_30default_config_static_selectorELNS0_4arch9wavefront6targetE1EEEvT1_
	.globl	_ZN7rocprim17ROCPRIM_400000_NS6detail17trampoline_kernelINS0_14default_configENS1_27scan_by_key_config_selectorIj11FixedVectorIiLj2EEEEZZNS1_16scan_by_key_implILNS1_25lookback_scan_determinismE0ELb1ES3_N6thrust23THRUST_200600_302600_NS6detail15normal_iteratorINSB_10device_ptrIjEEEENSD_INSE_IS6_EEEESI_S6_NSB_4plusIvEENSB_8equal_toIvEES6_EE10hipError_tPvRmT2_T3_T4_T5_mT6_T7_P12ihipStream_tbENKUlT_T0_E_clISt17integral_constantIbLb0EES12_IbLb1EEEEDaSY_SZ_EUlSY_E_NS1_11comp_targetILNS1_3genE9ELNS1_11target_archE1100ELNS1_3gpuE3ELNS1_3repE0EEENS1_30default_config_static_selectorELNS0_4arch9wavefront6targetE1EEEvT1_
	.p2align	8
	.type	_ZN7rocprim17ROCPRIM_400000_NS6detail17trampoline_kernelINS0_14default_configENS1_27scan_by_key_config_selectorIj11FixedVectorIiLj2EEEEZZNS1_16scan_by_key_implILNS1_25lookback_scan_determinismE0ELb1ES3_N6thrust23THRUST_200600_302600_NS6detail15normal_iteratorINSB_10device_ptrIjEEEENSD_INSE_IS6_EEEESI_S6_NSB_4plusIvEENSB_8equal_toIvEES6_EE10hipError_tPvRmT2_T3_T4_T5_mT6_T7_P12ihipStream_tbENKUlT_T0_E_clISt17integral_constantIbLb0EES12_IbLb1EEEEDaSY_SZ_EUlSY_E_NS1_11comp_targetILNS1_3genE9ELNS1_11target_archE1100ELNS1_3gpuE3ELNS1_3repE0EEENS1_30default_config_static_selectorELNS0_4arch9wavefront6targetE1EEEvT1_,@function
_ZN7rocprim17ROCPRIM_400000_NS6detail17trampoline_kernelINS0_14default_configENS1_27scan_by_key_config_selectorIj11FixedVectorIiLj2EEEEZZNS1_16scan_by_key_implILNS1_25lookback_scan_determinismE0ELb1ES3_N6thrust23THRUST_200600_302600_NS6detail15normal_iteratorINSB_10device_ptrIjEEEENSD_INSE_IS6_EEEESI_S6_NSB_4plusIvEENSB_8equal_toIvEES6_EE10hipError_tPvRmT2_T3_T4_T5_mT6_T7_P12ihipStream_tbENKUlT_T0_E_clISt17integral_constantIbLb0EES12_IbLb1EEEEDaSY_SZ_EUlSY_E_NS1_11comp_targetILNS1_3genE9ELNS1_11target_archE1100ELNS1_3gpuE3ELNS1_3repE0EEENS1_30default_config_static_selectorELNS0_4arch9wavefront6targetE1EEEvT1_: ; @_ZN7rocprim17ROCPRIM_400000_NS6detail17trampoline_kernelINS0_14default_configENS1_27scan_by_key_config_selectorIj11FixedVectorIiLj2EEEEZZNS1_16scan_by_key_implILNS1_25lookback_scan_determinismE0ELb1ES3_N6thrust23THRUST_200600_302600_NS6detail15normal_iteratorINSB_10device_ptrIjEEEENSD_INSE_IS6_EEEESI_S6_NSB_4plusIvEENSB_8equal_toIvEES6_EE10hipError_tPvRmT2_T3_T4_T5_mT6_T7_P12ihipStream_tbENKUlT_T0_E_clISt17integral_constantIbLb0EES12_IbLb1EEEEDaSY_SZ_EUlSY_E_NS1_11comp_targetILNS1_3genE9ELNS1_11target_archE1100ELNS1_3gpuE3ELNS1_3repE0EEENS1_30default_config_static_selectorELNS0_4arch9wavefront6targetE1EEEvT1_
; %bb.0:
	.section	.rodata,"a",@progbits
	.p2align	6, 0x0
	.amdhsa_kernel _ZN7rocprim17ROCPRIM_400000_NS6detail17trampoline_kernelINS0_14default_configENS1_27scan_by_key_config_selectorIj11FixedVectorIiLj2EEEEZZNS1_16scan_by_key_implILNS1_25lookback_scan_determinismE0ELb1ES3_N6thrust23THRUST_200600_302600_NS6detail15normal_iteratorINSB_10device_ptrIjEEEENSD_INSE_IS6_EEEESI_S6_NSB_4plusIvEENSB_8equal_toIvEES6_EE10hipError_tPvRmT2_T3_T4_T5_mT6_T7_P12ihipStream_tbENKUlT_T0_E_clISt17integral_constantIbLb0EES12_IbLb1EEEEDaSY_SZ_EUlSY_E_NS1_11comp_targetILNS1_3genE9ELNS1_11target_archE1100ELNS1_3gpuE3ELNS1_3repE0EEENS1_30default_config_static_selectorELNS0_4arch9wavefront6targetE1EEEvT1_
		.amdhsa_group_segment_fixed_size 0
		.amdhsa_private_segment_fixed_size 0
		.amdhsa_kernarg_size 120
		.amdhsa_user_sgpr_count 6
		.amdhsa_user_sgpr_private_segment_buffer 1
		.amdhsa_user_sgpr_dispatch_ptr 0
		.amdhsa_user_sgpr_queue_ptr 0
		.amdhsa_user_sgpr_kernarg_segment_ptr 1
		.amdhsa_user_sgpr_dispatch_id 0
		.amdhsa_user_sgpr_flat_scratch_init 0
		.amdhsa_user_sgpr_kernarg_preload_length 0
		.amdhsa_user_sgpr_kernarg_preload_offset 0
		.amdhsa_user_sgpr_private_segment_size 0
		.amdhsa_uses_dynamic_stack 0
		.amdhsa_system_sgpr_private_segment_wavefront_offset 0
		.amdhsa_system_sgpr_workgroup_id_x 1
		.amdhsa_system_sgpr_workgroup_id_y 0
		.amdhsa_system_sgpr_workgroup_id_z 0
		.amdhsa_system_sgpr_workgroup_info 0
		.amdhsa_system_vgpr_workitem_id 0
		.amdhsa_next_free_vgpr 1
		.amdhsa_next_free_sgpr 0
		.amdhsa_accum_offset 4
		.amdhsa_reserve_vcc 0
		.amdhsa_reserve_flat_scratch 0
		.amdhsa_float_round_mode_32 0
		.amdhsa_float_round_mode_16_64 0
		.amdhsa_float_denorm_mode_32 3
		.amdhsa_float_denorm_mode_16_64 3
		.amdhsa_dx10_clamp 1
		.amdhsa_ieee_mode 1
		.amdhsa_fp16_overflow 0
		.amdhsa_tg_split 0
		.amdhsa_exception_fp_ieee_invalid_op 0
		.amdhsa_exception_fp_denorm_src 0
		.amdhsa_exception_fp_ieee_div_zero 0
		.amdhsa_exception_fp_ieee_overflow 0
		.amdhsa_exception_fp_ieee_underflow 0
		.amdhsa_exception_fp_ieee_inexact 0
		.amdhsa_exception_int_div_zero 0
	.end_amdhsa_kernel
	.section	.text._ZN7rocprim17ROCPRIM_400000_NS6detail17trampoline_kernelINS0_14default_configENS1_27scan_by_key_config_selectorIj11FixedVectorIiLj2EEEEZZNS1_16scan_by_key_implILNS1_25lookback_scan_determinismE0ELb1ES3_N6thrust23THRUST_200600_302600_NS6detail15normal_iteratorINSB_10device_ptrIjEEEENSD_INSE_IS6_EEEESI_S6_NSB_4plusIvEENSB_8equal_toIvEES6_EE10hipError_tPvRmT2_T3_T4_T5_mT6_T7_P12ihipStream_tbENKUlT_T0_E_clISt17integral_constantIbLb0EES12_IbLb1EEEEDaSY_SZ_EUlSY_E_NS1_11comp_targetILNS1_3genE9ELNS1_11target_archE1100ELNS1_3gpuE3ELNS1_3repE0EEENS1_30default_config_static_selectorELNS0_4arch9wavefront6targetE1EEEvT1_,"axG",@progbits,_ZN7rocprim17ROCPRIM_400000_NS6detail17trampoline_kernelINS0_14default_configENS1_27scan_by_key_config_selectorIj11FixedVectorIiLj2EEEEZZNS1_16scan_by_key_implILNS1_25lookback_scan_determinismE0ELb1ES3_N6thrust23THRUST_200600_302600_NS6detail15normal_iteratorINSB_10device_ptrIjEEEENSD_INSE_IS6_EEEESI_S6_NSB_4plusIvEENSB_8equal_toIvEES6_EE10hipError_tPvRmT2_T3_T4_T5_mT6_T7_P12ihipStream_tbENKUlT_T0_E_clISt17integral_constantIbLb0EES12_IbLb1EEEEDaSY_SZ_EUlSY_E_NS1_11comp_targetILNS1_3genE9ELNS1_11target_archE1100ELNS1_3gpuE3ELNS1_3repE0EEENS1_30default_config_static_selectorELNS0_4arch9wavefront6targetE1EEEvT1_,comdat
.Lfunc_end2027:
	.size	_ZN7rocprim17ROCPRIM_400000_NS6detail17trampoline_kernelINS0_14default_configENS1_27scan_by_key_config_selectorIj11FixedVectorIiLj2EEEEZZNS1_16scan_by_key_implILNS1_25lookback_scan_determinismE0ELb1ES3_N6thrust23THRUST_200600_302600_NS6detail15normal_iteratorINSB_10device_ptrIjEEEENSD_INSE_IS6_EEEESI_S6_NSB_4plusIvEENSB_8equal_toIvEES6_EE10hipError_tPvRmT2_T3_T4_T5_mT6_T7_P12ihipStream_tbENKUlT_T0_E_clISt17integral_constantIbLb0EES12_IbLb1EEEEDaSY_SZ_EUlSY_E_NS1_11comp_targetILNS1_3genE9ELNS1_11target_archE1100ELNS1_3gpuE3ELNS1_3repE0EEENS1_30default_config_static_selectorELNS0_4arch9wavefront6targetE1EEEvT1_, .Lfunc_end2027-_ZN7rocprim17ROCPRIM_400000_NS6detail17trampoline_kernelINS0_14default_configENS1_27scan_by_key_config_selectorIj11FixedVectorIiLj2EEEEZZNS1_16scan_by_key_implILNS1_25lookback_scan_determinismE0ELb1ES3_N6thrust23THRUST_200600_302600_NS6detail15normal_iteratorINSB_10device_ptrIjEEEENSD_INSE_IS6_EEEESI_S6_NSB_4plusIvEENSB_8equal_toIvEES6_EE10hipError_tPvRmT2_T3_T4_T5_mT6_T7_P12ihipStream_tbENKUlT_T0_E_clISt17integral_constantIbLb0EES12_IbLb1EEEEDaSY_SZ_EUlSY_E_NS1_11comp_targetILNS1_3genE9ELNS1_11target_archE1100ELNS1_3gpuE3ELNS1_3repE0EEENS1_30default_config_static_selectorELNS0_4arch9wavefront6targetE1EEEvT1_
                                        ; -- End function
	.section	.AMDGPU.csdata,"",@progbits
; Kernel info:
; codeLenInByte = 0
; NumSgprs: 4
; NumVgprs: 0
; NumAgprs: 0
; TotalNumVgprs: 0
; ScratchSize: 0
; MemoryBound: 0
; FloatMode: 240
; IeeeMode: 1
; LDSByteSize: 0 bytes/workgroup (compile time only)
; SGPRBlocks: 0
; VGPRBlocks: 0
; NumSGPRsForWavesPerEU: 4
; NumVGPRsForWavesPerEU: 1
; AccumOffset: 4
; Occupancy: 8
; WaveLimiterHint : 0
; COMPUTE_PGM_RSRC2:SCRATCH_EN: 0
; COMPUTE_PGM_RSRC2:USER_SGPR: 6
; COMPUTE_PGM_RSRC2:TRAP_HANDLER: 0
; COMPUTE_PGM_RSRC2:TGID_X_EN: 1
; COMPUTE_PGM_RSRC2:TGID_Y_EN: 0
; COMPUTE_PGM_RSRC2:TGID_Z_EN: 0
; COMPUTE_PGM_RSRC2:TIDIG_COMP_CNT: 0
; COMPUTE_PGM_RSRC3_GFX90A:ACCUM_OFFSET: 0
; COMPUTE_PGM_RSRC3_GFX90A:TG_SPLIT: 0
	.section	.text._ZN7rocprim17ROCPRIM_400000_NS6detail17trampoline_kernelINS0_14default_configENS1_27scan_by_key_config_selectorIj11FixedVectorIiLj2EEEEZZNS1_16scan_by_key_implILNS1_25lookback_scan_determinismE0ELb1ES3_N6thrust23THRUST_200600_302600_NS6detail15normal_iteratorINSB_10device_ptrIjEEEENSD_INSE_IS6_EEEESI_S6_NSB_4plusIvEENSB_8equal_toIvEES6_EE10hipError_tPvRmT2_T3_T4_T5_mT6_T7_P12ihipStream_tbENKUlT_T0_E_clISt17integral_constantIbLb0EES12_IbLb1EEEEDaSY_SZ_EUlSY_E_NS1_11comp_targetILNS1_3genE8ELNS1_11target_archE1030ELNS1_3gpuE2ELNS1_3repE0EEENS1_30default_config_static_selectorELNS0_4arch9wavefront6targetE1EEEvT1_,"axG",@progbits,_ZN7rocprim17ROCPRIM_400000_NS6detail17trampoline_kernelINS0_14default_configENS1_27scan_by_key_config_selectorIj11FixedVectorIiLj2EEEEZZNS1_16scan_by_key_implILNS1_25lookback_scan_determinismE0ELb1ES3_N6thrust23THRUST_200600_302600_NS6detail15normal_iteratorINSB_10device_ptrIjEEEENSD_INSE_IS6_EEEESI_S6_NSB_4plusIvEENSB_8equal_toIvEES6_EE10hipError_tPvRmT2_T3_T4_T5_mT6_T7_P12ihipStream_tbENKUlT_T0_E_clISt17integral_constantIbLb0EES12_IbLb1EEEEDaSY_SZ_EUlSY_E_NS1_11comp_targetILNS1_3genE8ELNS1_11target_archE1030ELNS1_3gpuE2ELNS1_3repE0EEENS1_30default_config_static_selectorELNS0_4arch9wavefront6targetE1EEEvT1_,comdat
	.protected	_ZN7rocprim17ROCPRIM_400000_NS6detail17trampoline_kernelINS0_14default_configENS1_27scan_by_key_config_selectorIj11FixedVectorIiLj2EEEEZZNS1_16scan_by_key_implILNS1_25lookback_scan_determinismE0ELb1ES3_N6thrust23THRUST_200600_302600_NS6detail15normal_iteratorINSB_10device_ptrIjEEEENSD_INSE_IS6_EEEESI_S6_NSB_4plusIvEENSB_8equal_toIvEES6_EE10hipError_tPvRmT2_T3_T4_T5_mT6_T7_P12ihipStream_tbENKUlT_T0_E_clISt17integral_constantIbLb0EES12_IbLb1EEEEDaSY_SZ_EUlSY_E_NS1_11comp_targetILNS1_3genE8ELNS1_11target_archE1030ELNS1_3gpuE2ELNS1_3repE0EEENS1_30default_config_static_selectorELNS0_4arch9wavefront6targetE1EEEvT1_ ; -- Begin function _ZN7rocprim17ROCPRIM_400000_NS6detail17trampoline_kernelINS0_14default_configENS1_27scan_by_key_config_selectorIj11FixedVectorIiLj2EEEEZZNS1_16scan_by_key_implILNS1_25lookback_scan_determinismE0ELb1ES3_N6thrust23THRUST_200600_302600_NS6detail15normal_iteratorINSB_10device_ptrIjEEEENSD_INSE_IS6_EEEESI_S6_NSB_4plusIvEENSB_8equal_toIvEES6_EE10hipError_tPvRmT2_T3_T4_T5_mT6_T7_P12ihipStream_tbENKUlT_T0_E_clISt17integral_constantIbLb0EES12_IbLb1EEEEDaSY_SZ_EUlSY_E_NS1_11comp_targetILNS1_3genE8ELNS1_11target_archE1030ELNS1_3gpuE2ELNS1_3repE0EEENS1_30default_config_static_selectorELNS0_4arch9wavefront6targetE1EEEvT1_
	.globl	_ZN7rocprim17ROCPRIM_400000_NS6detail17trampoline_kernelINS0_14default_configENS1_27scan_by_key_config_selectorIj11FixedVectorIiLj2EEEEZZNS1_16scan_by_key_implILNS1_25lookback_scan_determinismE0ELb1ES3_N6thrust23THRUST_200600_302600_NS6detail15normal_iteratorINSB_10device_ptrIjEEEENSD_INSE_IS6_EEEESI_S6_NSB_4plusIvEENSB_8equal_toIvEES6_EE10hipError_tPvRmT2_T3_T4_T5_mT6_T7_P12ihipStream_tbENKUlT_T0_E_clISt17integral_constantIbLb0EES12_IbLb1EEEEDaSY_SZ_EUlSY_E_NS1_11comp_targetILNS1_3genE8ELNS1_11target_archE1030ELNS1_3gpuE2ELNS1_3repE0EEENS1_30default_config_static_selectorELNS0_4arch9wavefront6targetE1EEEvT1_
	.p2align	8
	.type	_ZN7rocprim17ROCPRIM_400000_NS6detail17trampoline_kernelINS0_14default_configENS1_27scan_by_key_config_selectorIj11FixedVectorIiLj2EEEEZZNS1_16scan_by_key_implILNS1_25lookback_scan_determinismE0ELb1ES3_N6thrust23THRUST_200600_302600_NS6detail15normal_iteratorINSB_10device_ptrIjEEEENSD_INSE_IS6_EEEESI_S6_NSB_4plusIvEENSB_8equal_toIvEES6_EE10hipError_tPvRmT2_T3_T4_T5_mT6_T7_P12ihipStream_tbENKUlT_T0_E_clISt17integral_constantIbLb0EES12_IbLb1EEEEDaSY_SZ_EUlSY_E_NS1_11comp_targetILNS1_3genE8ELNS1_11target_archE1030ELNS1_3gpuE2ELNS1_3repE0EEENS1_30default_config_static_selectorELNS0_4arch9wavefront6targetE1EEEvT1_,@function
_ZN7rocprim17ROCPRIM_400000_NS6detail17trampoline_kernelINS0_14default_configENS1_27scan_by_key_config_selectorIj11FixedVectorIiLj2EEEEZZNS1_16scan_by_key_implILNS1_25lookback_scan_determinismE0ELb1ES3_N6thrust23THRUST_200600_302600_NS6detail15normal_iteratorINSB_10device_ptrIjEEEENSD_INSE_IS6_EEEESI_S6_NSB_4plusIvEENSB_8equal_toIvEES6_EE10hipError_tPvRmT2_T3_T4_T5_mT6_T7_P12ihipStream_tbENKUlT_T0_E_clISt17integral_constantIbLb0EES12_IbLb1EEEEDaSY_SZ_EUlSY_E_NS1_11comp_targetILNS1_3genE8ELNS1_11target_archE1030ELNS1_3gpuE2ELNS1_3repE0EEENS1_30default_config_static_selectorELNS0_4arch9wavefront6targetE1EEEvT1_: ; @_ZN7rocprim17ROCPRIM_400000_NS6detail17trampoline_kernelINS0_14default_configENS1_27scan_by_key_config_selectorIj11FixedVectorIiLj2EEEEZZNS1_16scan_by_key_implILNS1_25lookback_scan_determinismE0ELb1ES3_N6thrust23THRUST_200600_302600_NS6detail15normal_iteratorINSB_10device_ptrIjEEEENSD_INSE_IS6_EEEESI_S6_NSB_4plusIvEENSB_8equal_toIvEES6_EE10hipError_tPvRmT2_T3_T4_T5_mT6_T7_P12ihipStream_tbENKUlT_T0_E_clISt17integral_constantIbLb0EES12_IbLb1EEEEDaSY_SZ_EUlSY_E_NS1_11comp_targetILNS1_3genE8ELNS1_11target_archE1030ELNS1_3gpuE2ELNS1_3repE0EEENS1_30default_config_static_selectorELNS0_4arch9wavefront6targetE1EEEvT1_
; %bb.0:
	.section	.rodata,"a",@progbits
	.p2align	6, 0x0
	.amdhsa_kernel _ZN7rocprim17ROCPRIM_400000_NS6detail17trampoline_kernelINS0_14default_configENS1_27scan_by_key_config_selectorIj11FixedVectorIiLj2EEEEZZNS1_16scan_by_key_implILNS1_25lookback_scan_determinismE0ELb1ES3_N6thrust23THRUST_200600_302600_NS6detail15normal_iteratorINSB_10device_ptrIjEEEENSD_INSE_IS6_EEEESI_S6_NSB_4plusIvEENSB_8equal_toIvEES6_EE10hipError_tPvRmT2_T3_T4_T5_mT6_T7_P12ihipStream_tbENKUlT_T0_E_clISt17integral_constantIbLb0EES12_IbLb1EEEEDaSY_SZ_EUlSY_E_NS1_11comp_targetILNS1_3genE8ELNS1_11target_archE1030ELNS1_3gpuE2ELNS1_3repE0EEENS1_30default_config_static_selectorELNS0_4arch9wavefront6targetE1EEEvT1_
		.amdhsa_group_segment_fixed_size 0
		.amdhsa_private_segment_fixed_size 0
		.amdhsa_kernarg_size 120
		.amdhsa_user_sgpr_count 6
		.amdhsa_user_sgpr_private_segment_buffer 1
		.amdhsa_user_sgpr_dispatch_ptr 0
		.amdhsa_user_sgpr_queue_ptr 0
		.amdhsa_user_sgpr_kernarg_segment_ptr 1
		.amdhsa_user_sgpr_dispatch_id 0
		.amdhsa_user_sgpr_flat_scratch_init 0
		.amdhsa_user_sgpr_kernarg_preload_length 0
		.amdhsa_user_sgpr_kernarg_preload_offset 0
		.amdhsa_user_sgpr_private_segment_size 0
		.amdhsa_uses_dynamic_stack 0
		.amdhsa_system_sgpr_private_segment_wavefront_offset 0
		.amdhsa_system_sgpr_workgroup_id_x 1
		.amdhsa_system_sgpr_workgroup_id_y 0
		.amdhsa_system_sgpr_workgroup_id_z 0
		.amdhsa_system_sgpr_workgroup_info 0
		.amdhsa_system_vgpr_workitem_id 0
		.amdhsa_next_free_vgpr 1
		.amdhsa_next_free_sgpr 0
		.amdhsa_accum_offset 4
		.amdhsa_reserve_vcc 0
		.amdhsa_reserve_flat_scratch 0
		.amdhsa_float_round_mode_32 0
		.amdhsa_float_round_mode_16_64 0
		.amdhsa_float_denorm_mode_32 3
		.amdhsa_float_denorm_mode_16_64 3
		.amdhsa_dx10_clamp 1
		.amdhsa_ieee_mode 1
		.amdhsa_fp16_overflow 0
		.amdhsa_tg_split 0
		.amdhsa_exception_fp_ieee_invalid_op 0
		.amdhsa_exception_fp_denorm_src 0
		.amdhsa_exception_fp_ieee_div_zero 0
		.amdhsa_exception_fp_ieee_overflow 0
		.amdhsa_exception_fp_ieee_underflow 0
		.amdhsa_exception_fp_ieee_inexact 0
		.amdhsa_exception_int_div_zero 0
	.end_amdhsa_kernel
	.section	.text._ZN7rocprim17ROCPRIM_400000_NS6detail17trampoline_kernelINS0_14default_configENS1_27scan_by_key_config_selectorIj11FixedVectorIiLj2EEEEZZNS1_16scan_by_key_implILNS1_25lookback_scan_determinismE0ELb1ES3_N6thrust23THRUST_200600_302600_NS6detail15normal_iteratorINSB_10device_ptrIjEEEENSD_INSE_IS6_EEEESI_S6_NSB_4plusIvEENSB_8equal_toIvEES6_EE10hipError_tPvRmT2_T3_T4_T5_mT6_T7_P12ihipStream_tbENKUlT_T0_E_clISt17integral_constantIbLb0EES12_IbLb1EEEEDaSY_SZ_EUlSY_E_NS1_11comp_targetILNS1_3genE8ELNS1_11target_archE1030ELNS1_3gpuE2ELNS1_3repE0EEENS1_30default_config_static_selectorELNS0_4arch9wavefront6targetE1EEEvT1_,"axG",@progbits,_ZN7rocprim17ROCPRIM_400000_NS6detail17trampoline_kernelINS0_14default_configENS1_27scan_by_key_config_selectorIj11FixedVectorIiLj2EEEEZZNS1_16scan_by_key_implILNS1_25lookback_scan_determinismE0ELb1ES3_N6thrust23THRUST_200600_302600_NS6detail15normal_iteratorINSB_10device_ptrIjEEEENSD_INSE_IS6_EEEESI_S6_NSB_4plusIvEENSB_8equal_toIvEES6_EE10hipError_tPvRmT2_T3_T4_T5_mT6_T7_P12ihipStream_tbENKUlT_T0_E_clISt17integral_constantIbLb0EES12_IbLb1EEEEDaSY_SZ_EUlSY_E_NS1_11comp_targetILNS1_3genE8ELNS1_11target_archE1030ELNS1_3gpuE2ELNS1_3repE0EEENS1_30default_config_static_selectorELNS0_4arch9wavefront6targetE1EEEvT1_,comdat
.Lfunc_end2028:
	.size	_ZN7rocprim17ROCPRIM_400000_NS6detail17trampoline_kernelINS0_14default_configENS1_27scan_by_key_config_selectorIj11FixedVectorIiLj2EEEEZZNS1_16scan_by_key_implILNS1_25lookback_scan_determinismE0ELb1ES3_N6thrust23THRUST_200600_302600_NS6detail15normal_iteratorINSB_10device_ptrIjEEEENSD_INSE_IS6_EEEESI_S6_NSB_4plusIvEENSB_8equal_toIvEES6_EE10hipError_tPvRmT2_T3_T4_T5_mT6_T7_P12ihipStream_tbENKUlT_T0_E_clISt17integral_constantIbLb0EES12_IbLb1EEEEDaSY_SZ_EUlSY_E_NS1_11comp_targetILNS1_3genE8ELNS1_11target_archE1030ELNS1_3gpuE2ELNS1_3repE0EEENS1_30default_config_static_selectorELNS0_4arch9wavefront6targetE1EEEvT1_, .Lfunc_end2028-_ZN7rocprim17ROCPRIM_400000_NS6detail17trampoline_kernelINS0_14default_configENS1_27scan_by_key_config_selectorIj11FixedVectorIiLj2EEEEZZNS1_16scan_by_key_implILNS1_25lookback_scan_determinismE0ELb1ES3_N6thrust23THRUST_200600_302600_NS6detail15normal_iteratorINSB_10device_ptrIjEEEENSD_INSE_IS6_EEEESI_S6_NSB_4plusIvEENSB_8equal_toIvEES6_EE10hipError_tPvRmT2_T3_T4_T5_mT6_T7_P12ihipStream_tbENKUlT_T0_E_clISt17integral_constantIbLb0EES12_IbLb1EEEEDaSY_SZ_EUlSY_E_NS1_11comp_targetILNS1_3genE8ELNS1_11target_archE1030ELNS1_3gpuE2ELNS1_3repE0EEENS1_30default_config_static_selectorELNS0_4arch9wavefront6targetE1EEEvT1_
                                        ; -- End function
	.section	.AMDGPU.csdata,"",@progbits
; Kernel info:
; codeLenInByte = 0
; NumSgprs: 4
; NumVgprs: 0
; NumAgprs: 0
; TotalNumVgprs: 0
; ScratchSize: 0
; MemoryBound: 0
; FloatMode: 240
; IeeeMode: 1
; LDSByteSize: 0 bytes/workgroup (compile time only)
; SGPRBlocks: 0
; VGPRBlocks: 0
; NumSGPRsForWavesPerEU: 4
; NumVGPRsForWavesPerEU: 1
; AccumOffset: 4
; Occupancy: 8
; WaveLimiterHint : 0
; COMPUTE_PGM_RSRC2:SCRATCH_EN: 0
; COMPUTE_PGM_RSRC2:USER_SGPR: 6
; COMPUTE_PGM_RSRC2:TRAP_HANDLER: 0
; COMPUTE_PGM_RSRC2:TGID_X_EN: 1
; COMPUTE_PGM_RSRC2:TGID_Y_EN: 0
; COMPUTE_PGM_RSRC2:TGID_Z_EN: 0
; COMPUTE_PGM_RSRC2:TIDIG_COMP_CNT: 0
; COMPUTE_PGM_RSRC3_GFX90A:ACCUM_OFFSET: 0
; COMPUTE_PGM_RSRC3_GFX90A:TG_SPLIT: 0
	.section	.text._ZN6thrust23THRUST_200600_302600_NS11hip_rocprim14__parallel_for6kernelILj256ENS1_10for_each_fINS0_10device_ptrI11FixedVectorIiLj4EEEENS0_6detail16wrapped_functionINS9_23allocator_traits_detail5gozerEvEEEElLj1EEEvT0_T1_SG_,"axG",@progbits,_ZN6thrust23THRUST_200600_302600_NS11hip_rocprim14__parallel_for6kernelILj256ENS1_10for_each_fINS0_10device_ptrI11FixedVectorIiLj4EEEENS0_6detail16wrapped_functionINS9_23allocator_traits_detail5gozerEvEEEElLj1EEEvT0_T1_SG_,comdat
	.protected	_ZN6thrust23THRUST_200600_302600_NS11hip_rocprim14__parallel_for6kernelILj256ENS1_10for_each_fINS0_10device_ptrI11FixedVectorIiLj4EEEENS0_6detail16wrapped_functionINS9_23allocator_traits_detail5gozerEvEEEElLj1EEEvT0_T1_SG_ ; -- Begin function _ZN6thrust23THRUST_200600_302600_NS11hip_rocprim14__parallel_for6kernelILj256ENS1_10for_each_fINS0_10device_ptrI11FixedVectorIiLj4EEEENS0_6detail16wrapped_functionINS9_23allocator_traits_detail5gozerEvEEEElLj1EEEvT0_T1_SG_
	.globl	_ZN6thrust23THRUST_200600_302600_NS11hip_rocprim14__parallel_for6kernelILj256ENS1_10for_each_fINS0_10device_ptrI11FixedVectorIiLj4EEEENS0_6detail16wrapped_functionINS9_23allocator_traits_detail5gozerEvEEEElLj1EEEvT0_T1_SG_
	.p2align	8
	.type	_ZN6thrust23THRUST_200600_302600_NS11hip_rocprim14__parallel_for6kernelILj256ENS1_10for_each_fINS0_10device_ptrI11FixedVectorIiLj4EEEENS0_6detail16wrapped_functionINS9_23allocator_traits_detail5gozerEvEEEElLj1EEEvT0_T1_SG_,@function
_ZN6thrust23THRUST_200600_302600_NS11hip_rocprim14__parallel_for6kernelILj256ENS1_10for_each_fINS0_10device_ptrI11FixedVectorIiLj4EEEENS0_6detail16wrapped_functionINS9_23allocator_traits_detail5gozerEvEEEElLj1EEEvT0_T1_SG_: ; @_ZN6thrust23THRUST_200600_302600_NS11hip_rocprim14__parallel_for6kernelILj256ENS1_10for_each_fINS0_10device_ptrI11FixedVectorIiLj4EEEENS0_6detail16wrapped_functionINS9_23allocator_traits_detail5gozerEvEEEElLj1EEEvT0_T1_SG_
; %bb.0:
	s_endpgm
	.section	.rodata,"a",@progbits
	.p2align	6, 0x0
	.amdhsa_kernel _ZN6thrust23THRUST_200600_302600_NS11hip_rocprim14__parallel_for6kernelILj256ENS1_10for_each_fINS0_10device_ptrI11FixedVectorIiLj4EEEENS0_6detail16wrapped_functionINS9_23allocator_traits_detail5gozerEvEEEElLj1EEEvT0_T1_SG_
		.amdhsa_group_segment_fixed_size 0
		.amdhsa_private_segment_fixed_size 0
		.amdhsa_kernarg_size 32
		.amdhsa_user_sgpr_count 6
		.amdhsa_user_sgpr_private_segment_buffer 1
		.amdhsa_user_sgpr_dispatch_ptr 0
		.amdhsa_user_sgpr_queue_ptr 0
		.amdhsa_user_sgpr_kernarg_segment_ptr 1
		.amdhsa_user_sgpr_dispatch_id 0
		.amdhsa_user_sgpr_flat_scratch_init 0
		.amdhsa_user_sgpr_kernarg_preload_length 0
		.amdhsa_user_sgpr_kernarg_preload_offset 0
		.amdhsa_user_sgpr_private_segment_size 0
		.amdhsa_uses_dynamic_stack 0
		.amdhsa_system_sgpr_private_segment_wavefront_offset 0
		.amdhsa_system_sgpr_workgroup_id_x 1
		.amdhsa_system_sgpr_workgroup_id_y 0
		.amdhsa_system_sgpr_workgroup_id_z 0
		.amdhsa_system_sgpr_workgroup_info 0
		.amdhsa_system_vgpr_workitem_id 0
		.amdhsa_next_free_vgpr 1
		.amdhsa_next_free_sgpr 0
		.amdhsa_accum_offset 4
		.amdhsa_reserve_vcc 0
		.amdhsa_reserve_flat_scratch 0
		.amdhsa_float_round_mode_32 0
		.amdhsa_float_round_mode_16_64 0
		.amdhsa_float_denorm_mode_32 3
		.amdhsa_float_denorm_mode_16_64 3
		.amdhsa_dx10_clamp 1
		.amdhsa_ieee_mode 1
		.amdhsa_fp16_overflow 0
		.amdhsa_tg_split 0
		.amdhsa_exception_fp_ieee_invalid_op 0
		.amdhsa_exception_fp_denorm_src 0
		.amdhsa_exception_fp_ieee_div_zero 0
		.amdhsa_exception_fp_ieee_overflow 0
		.amdhsa_exception_fp_ieee_underflow 0
		.amdhsa_exception_fp_ieee_inexact 0
		.amdhsa_exception_int_div_zero 0
	.end_amdhsa_kernel
	.section	.text._ZN6thrust23THRUST_200600_302600_NS11hip_rocprim14__parallel_for6kernelILj256ENS1_10for_each_fINS0_10device_ptrI11FixedVectorIiLj4EEEENS0_6detail16wrapped_functionINS9_23allocator_traits_detail5gozerEvEEEElLj1EEEvT0_T1_SG_,"axG",@progbits,_ZN6thrust23THRUST_200600_302600_NS11hip_rocprim14__parallel_for6kernelILj256ENS1_10for_each_fINS0_10device_ptrI11FixedVectorIiLj4EEEENS0_6detail16wrapped_functionINS9_23allocator_traits_detail5gozerEvEEEElLj1EEEvT0_T1_SG_,comdat
.Lfunc_end2029:
	.size	_ZN6thrust23THRUST_200600_302600_NS11hip_rocprim14__parallel_for6kernelILj256ENS1_10for_each_fINS0_10device_ptrI11FixedVectorIiLj4EEEENS0_6detail16wrapped_functionINS9_23allocator_traits_detail5gozerEvEEEElLj1EEEvT0_T1_SG_, .Lfunc_end2029-_ZN6thrust23THRUST_200600_302600_NS11hip_rocprim14__parallel_for6kernelILj256ENS1_10for_each_fINS0_10device_ptrI11FixedVectorIiLj4EEEENS0_6detail16wrapped_functionINS9_23allocator_traits_detail5gozerEvEEEElLj1EEEvT0_T1_SG_
                                        ; -- End function
	.section	.AMDGPU.csdata,"",@progbits
; Kernel info:
; codeLenInByte = 4
; NumSgprs: 4
; NumVgprs: 0
; NumAgprs: 0
; TotalNumVgprs: 0
; ScratchSize: 0
; MemoryBound: 0
; FloatMode: 240
; IeeeMode: 1
; LDSByteSize: 0 bytes/workgroup (compile time only)
; SGPRBlocks: 0
; VGPRBlocks: 0
; NumSGPRsForWavesPerEU: 4
; NumVGPRsForWavesPerEU: 1
; AccumOffset: 4
; Occupancy: 8
; WaveLimiterHint : 0
; COMPUTE_PGM_RSRC2:SCRATCH_EN: 0
; COMPUTE_PGM_RSRC2:USER_SGPR: 6
; COMPUTE_PGM_RSRC2:TRAP_HANDLER: 0
; COMPUTE_PGM_RSRC2:TGID_X_EN: 1
; COMPUTE_PGM_RSRC2:TGID_Y_EN: 0
; COMPUTE_PGM_RSRC2:TGID_Z_EN: 0
; COMPUTE_PGM_RSRC2:TIDIG_COMP_CNT: 0
; COMPUTE_PGM_RSRC3_GFX90A:ACCUM_OFFSET: 0
; COMPUTE_PGM_RSRC3_GFX90A:TG_SPLIT: 0
	.section	.text._ZN6thrust23THRUST_200600_302600_NS11hip_rocprim14__parallel_for6kernelILj256ENS1_10for_each_fINS0_10device_ptrI11FixedVectorIiLj4EEEENS0_6detail16wrapped_functionINS9_23allocator_traits_detail24construct1_via_allocatorINS0_16device_allocatorIS7_EEEEvEEEEmLj1EEEvT0_T1_SJ_,"axG",@progbits,_ZN6thrust23THRUST_200600_302600_NS11hip_rocprim14__parallel_for6kernelILj256ENS1_10for_each_fINS0_10device_ptrI11FixedVectorIiLj4EEEENS0_6detail16wrapped_functionINS9_23allocator_traits_detail24construct1_via_allocatorINS0_16device_allocatorIS7_EEEEvEEEEmLj1EEEvT0_T1_SJ_,comdat
	.protected	_ZN6thrust23THRUST_200600_302600_NS11hip_rocprim14__parallel_for6kernelILj256ENS1_10for_each_fINS0_10device_ptrI11FixedVectorIiLj4EEEENS0_6detail16wrapped_functionINS9_23allocator_traits_detail24construct1_via_allocatorINS0_16device_allocatorIS7_EEEEvEEEEmLj1EEEvT0_T1_SJ_ ; -- Begin function _ZN6thrust23THRUST_200600_302600_NS11hip_rocprim14__parallel_for6kernelILj256ENS1_10for_each_fINS0_10device_ptrI11FixedVectorIiLj4EEEENS0_6detail16wrapped_functionINS9_23allocator_traits_detail24construct1_via_allocatorINS0_16device_allocatorIS7_EEEEvEEEEmLj1EEEvT0_T1_SJ_
	.globl	_ZN6thrust23THRUST_200600_302600_NS11hip_rocprim14__parallel_for6kernelILj256ENS1_10for_each_fINS0_10device_ptrI11FixedVectorIiLj4EEEENS0_6detail16wrapped_functionINS9_23allocator_traits_detail24construct1_via_allocatorINS0_16device_allocatorIS7_EEEEvEEEEmLj1EEEvT0_T1_SJ_
	.p2align	8
	.type	_ZN6thrust23THRUST_200600_302600_NS11hip_rocprim14__parallel_for6kernelILj256ENS1_10for_each_fINS0_10device_ptrI11FixedVectorIiLj4EEEENS0_6detail16wrapped_functionINS9_23allocator_traits_detail24construct1_via_allocatorINS0_16device_allocatorIS7_EEEEvEEEEmLj1EEEvT0_T1_SJ_,@function
_ZN6thrust23THRUST_200600_302600_NS11hip_rocprim14__parallel_for6kernelILj256ENS1_10for_each_fINS0_10device_ptrI11FixedVectorIiLj4EEEENS0_6detail16wrapped_functionINS9_23allocator_traits_detail24construct1_via_allocatorINS0_16device_allocatorIS7_EEEEvEEEEmLj1EEEvT0_T1_SJ_: ; @_ZN6thrust23THRUST_200600_302600_NS11hip_rocprim14__parallel_for6kernelILj256ENS1_10for_each_fINS0_10device_ptrI11FixedVectorIiLj4EEEENS0_6detail16wrapped_functionINS9_23allocator_traits_detail24construct1_via_allocatorINS0_16device_allocatorIS7_EEEEvEEEEmLj1EEEvT0_T1_SJ_
; %bb.0:
	s_load_dwordx4 s[8:11], s[4:5], 0x10
	s_load_dwordx2 s[0:1], s[4:5], 0x0
	s_lshl_b32 s2, s6, 8
	v_mov_b32_e32 v2, 0x100
	v_mov_b32_e32 v3, 0
	s_waitcnt lgkmcnt(0)
	s_add_u32 s2, s2, s10
	s_addc_u32 s3, 0, s11
	s_sub_u32 s4, s8, s2
	s_subb_u32 s5, s9, s3
	v_cmp_lt_u64_e32 vcc, s[4:5], v[2:3]
	s_mov_b64 s[6:7], -1
	s_cbranch_vccz .LBB2030_5
; %bb.1:
	v_cmp_gt_u32_e32 vcc, s4, v0
	s_and_saveexec_b64 s[4:5], vcc
	s_cbranch_execz .LBB2030_4
; %bb.2:
	s_lshl_b64 s[6:7], s[2:3], 4
	s_add_u32 s6, s0, s6
	s_addc_u32 s7, s1, s7
	v_lshlrev_b32_e32 v1, 4, v0
	v_mov_b32_e32 v2, s7
	v_add_co_u32_e32 v1, vcc, s6, v1
	v_addc_co_u32_e32 v4, vcc, 0, v2, vcc
	v_mov_b32_e32 v2, 0
	s_mov_b64 s[6:7], 0
	v_mov_b32_e32 v3, v2
.LBB2030_3:                             ; =>This Inner Loop Header: Depth=1
	v_add_co_u32_e32 v6, vcc, s6, v1
	s_add_u32 s6, s6, 8
	v_mov_b32_e32 v5, s7
	s_addc_u32 s7, s7, 0
	v_addc_co_u32_e32 v7, vcc, v4, v5, vcc
	s_cmp_lg_u32 s6, 16
	flat_store_dwordx2 v[6:7], v[2:3]
	s_cbranch_scc1 .LBB2030_3
.LBB2030_4:
	s_or_b64 exec, exec, s[4:5]
	s_mov_b64 s[6:7], 0
.LBB2030_5:
	s_andn2_b64 vcc, exec, s[6:7]
	s_cbranch_vccnz .LBB2030_8
; %bb.6:
	s_lshl_b64 s[2:3], s[2:3], 4
	s_add_u32 s0, s0, s2
	s_addc_u32 s1, s1, s3
	v_lshlrev_b32_e32 v0, 4, v0
	v_mov_b32_e32 v1, s1
	v_add_co_u32_e32 v2, vcc, s0, v0
	v_mov_b32_e32 v0, 0
	v_addc_co_u32_e32 v3, vcc, 0, v1, vcc
	s_mov_b64 s[0:1], 0
	v_mov_b32_e32 v1, v0
.LBB2030_7:                             ; =>This Inner Loop Header: Depth=1
	v_add_co_u32_e32 v4, vcc, s0, v2
	s_add_u32 s0, s0, 8
	v_mov_b32_e32 v5, s1
	s_addc_u32 s1, s1, 0
	v_addc_co_u32_e32 v5, vcc, v3, v5, vcc
	s_cmp_eq_u32 s0, 16
	flat_store_dwordx2 v[4:5], v[0:1]
	s_cbranch_scc0 .LBB2030_7
.LBB2030_8:
	s_endpgm
	.section	.rodata,"a",@progbits
	.p2align	6, 0x0
	.amdhsa_kernel _ZN6thrust23THRUST_200600_302600_NS11hip_rocprim14__parallel_for6kernelILj256ENS1_10for_each_fINS0_10device_ptrI11FixedVectorIiLj4EEEENS0_6detail16wrapped_functionINS9_23allocator_traits_detail24construct1_via_allocatorINS0_16device_allocatorIS7_EEEEvEEEEmLj1EEEvT0_T1_SJ_
		.amdhsa_group_segment_fixed_size 0
		.amdhsa_private_segment_fixed_size 0
		.amdhsa_kernarg_size 32
		.amdhsa_user_sgpr_count 6
		.amdhsa_user_sgpr_private_segment_buffer 1
		.amdhsa_user_sgpr_dispatch_ptr 0
		.amdhsa_user_sgpr_queue_ptr 0
		.amdhsa_user_sgpr_kernarg_segment_ptr 1
		.amdhsa_user_sgpr_dispatch_id 0
		.amdhsa_user_sgpr_flat_scratch_init 0
		.amdhsa_user_sgpr_kernarg_preload_length 0
		.amdhsa_user_sgpr_kernarg_preload_offset 0
		.amdhsa_user_sgpr_private_segment_size 0
		.amdhsa_uses_dynamic_stack 0
		.amdhsa_system_sgpr_private_segment_wavefront_offset 0
		.amdhsa_system_sgpr_workgroup_id_x 1
		.amdhsa_system_sgpr_workgroup_id_y 0
		.amdhsa_system_sgpr_workgroup_id_z 0
		.amdhsa_system_sgpr_workgroup_info 0
		.amdhsa_system_vgpr_workitem_id 0
		.amdhsa_next_free_vgpr 8
		.amdhsa_next_free_sgpr 12
		.amdhsa_accum_offset 8
		.amdhsa_reserve_vcc 1
		.amdhsa_reserve_flat_scratch 0
		.amdhsa_float_round_mode_32 0
		.amdhsa_float_round_mode_16_64 0
		.amdhsa_float_denorm_mode_32 3
		.amdhsa_float_denorm_mode_16_64 3
		.amdhsa_dx10_clamp 1
		.amdhsa_ieee_mode 1
		.amdhsa_fp16_overflow 0
		.amdhsa_tg_split 0
		.amdhsa_exception_fp_ieee_invalid_op 0
		.amdhsa_exception_fp_denorm_src 0
		.amdhsa_exception_fp_ieee_div_zero 0
		.amdhsa_exception_fp_ieee_overflow 0
		.amdhsa_exception_fp_ieee_underflow 0
		.amdhsa_exception_fp_ieee_inexact 0
		.amdhsa_exception_int_div_zero 0
	.end_amdhsa_kernel
	.section	.text._ZN6thrust23THRUST_200600_302600_NS11hip_rocprim14__parallel_for6kernelILj256ENS1_10for_each_fINS0_10device_ptrI11FixedVectorIiLj4EEEENS0_6detail16wrapped_functionINS9_23allocator_traits_detail24construct1_via_allocatorINS0_16device_allocatorIS7_EEEEvEEEEmLj1EEEvT0_T1_SJ_,"axG",@progbits,_ZN6thrust23THRUST_200600_302600_NS11hip_rocprim14__parallel_for6kernelILj256ENS1_10for_each_fINS0_10device_ptrI11FixedVectorIiLj4EEEENS0_6detail16wrapped_functionINS9_23allocator_traits_detail24construct1_via_allocatorINS0_16device_allocatorIS7_EEEEvEEEEmLj1EEEvT0_T1_SJ_,comdat
.Lfunc_end2030:
	.size	_ZN6thrust23THRUST_200600_302600_NS11hip_rocprim14__parallel_for6kernelILj256ENS1_10for_each_fINS0_10device_ptrI11FixedVectorIiLj4EEEENS0_6detail16wrapped_functionINS9_23allocator_traits_detail24construct1_via_allocatorINS0_16device_allocatorIS7_EEEEvEEEEmLj1EEEvT0_T1_SJ_, .Lfunc_end2030-_ZN6thrust23THRUST_200600_302600_NS11hip_rocprim14__parallel_for6kernelILj256ENS1_10for_each_fINS0_10device_ptrI11FixedVectorIiLj4EEEENS0_6detail16wrapped_functionINS9_23allocator_traits_detail24construct1_via_allocatorINS0_16device_allocatorIS7_EEEEvEEEEmLj1EEEvT0_T1_SJ_
                                        ; -- End function
	.section	.AMDGPU.csdata,"",@progbits
; Kernel info:
; codeLenInByte = 248
; NumSgprs: 16
; NumVgprs: 8
; NumAgprs: 0
; TotalNumVgprs: 8
; ScratchSize: 0
; MemoryBound: 0
; FloatMode: 240
; IeeeMode: 1
; LDSByteSize: 0 bytes/workgroup (compile time only)
; SGPRBlocks: 1
; VGPRBlocks: 0
; NumSGPRsForWavesPerEU: 16
; NumVGPRsForWavesPerEU: 8
; AccumOffset: 8
; Occupancy: 8
; WaveLimiterHint : 0
; COMPUTE_PGM_RSRC2:SCRATCH_EN: 0
; COMPUTE_PGM_RSRC2:USER_SGPR: 6
; COMPUTE_PGM_RSRC2:TRAP_HANDLER: 0
; COMPUTE_PGM_RSRC2:TGID_X_EN: 1
; COMPUTE_PGM_RSRC2:TGID_Y_EN: 0
; COMPUTE_PGM_RSRC2:TGID_Z_EN: 0
; COMPUTE_PGM_RSRC2:TIDIG_COMP_CNT: 0
; COMPUTE_PGM_RSRC3_GFX90A:ACCUM_OFFSET: 1
; COMPUTE_PGM_RSRC3_GFX90A:TG_SPLIT: 0
	.section	.text._ZN7rocprim17ROCPRIM_400000_NS6detail30init_device_scan_by_key_kernelINS1_19lookback_scan_stateINS0_5tupleIJ11FixedVectorIiLj4EEbEEELb0ELb0EEEN6thrust23THRUST_200600_302600_NS6detail15normal_iteratorINSA_10device_ptrIjEEEEjNS1_16block_id_wrapperIjLb0EEEEEvT_jjPNSI_10value_typeET0_PNSt15iterator_traitsISL_E10value_typeEmT1_T2_,"axG",@progbits,_ZN7rocprim17ROCPRIM_400000_NS6detail30init_device_scan_by_key_kernelINS1_19lookback_scan_stateINS0_5tupleIJ11FixedVectorIiLj4EEbEEELb0ELb0EEEN6thrust23THRUST_200600_302600_NS6detail15normal_iteratorINSA_10device_ptrIjEEEEjNS1_16block_id_wrapperIjLb0EEEEEvT_jjPNSI_10value_typeET0_PNSt15iterator_traitsISL_E10value_typeEmT1_T2_,comdat
	.protected	_ZN7rocprim17ROCPRIM_400000_NS6detail30init_device_scan_by_key_kernelINS1_19lookback_scan_stateINS0_5tupleIJ11FixedVectorIiLj4EEbEEELb0ELb0EEEN6thrust23THRUST_200600_302600_NS6detail15normal_iteratorINSA_10device_ptrIjEEEEjNS1_16block_id_wrapperIjLb0EEEEEvT_jjPNSI_10value_typeET0_PNSt15iterator_traitsISL_E10value_typeEmT1_T2_ ; -- Begin function _ZN7rocprim17ROCPRIM_400000_NS6detail30init_device_scan_by_key_kernelINS1_19lookback_scan_stateINS0_5tupleIJ11FixedVectorIiLj4EEbEEELb0ELb0EEEN6thrust23THRUST_200600_302600_NS6detail15normal_iteratorINSA_10device_ptrIjEEEEjNS1_16block_id_wrapperIjLb0EEEEEvT_jjPNSI_10value_typeET0_PNSt15iterator_traitsISL_E10value_typeEmT1_T2_
	.globl	_ZN7rocprim17ROCPRIM_400000_NS6detail30init_device_scan_by_key_kernelINS1_19lookback_scan_stateINS0_5tupleIJ11FixedVectorIiLj4EEbEEELb0ELb0EEEN6thrust23THRUST_200600_302600_NS6detail15normal_iteratorINSA_10device_ptrIjEEEEjNS1_16block_id_wrapperIjLb0EEEEEvT_jjPNSI_10value_typeET0_PNSt15iterator_traitsISL_E10value_typeEmT1_T2_
	.p2align	8
	.type	_ZN7rocprim17ROCPRIM_400000_NS6detail30init_device_scan_by_key_kernelINS1_19lookback_scan_stateINS0_5tupleIJ11FixedVectorIiLj4EEbEEELb0ELb0EEEN6thrust23THRUST_200600_302600_NS6detail15normal_iteratorINSA_10device_ptrIjEEEEjNS1_16block_id_wrapperIjLb0EEEEEvT_jjPNSI_10value_typeET0_PNSt15iterator_traitsISL_E10value_typeEmT1_T2_,@function
_ZN7rocprim17ROCPRIM_400000_NS6detail30init_device_scan_by_key_kernelINS1_19lookback_scan_stateINS0_5tupleIJ11FixedVectorIiLj4EEbEEELb0ELb0EEEN6thrust23THRUST_200600_302600_NS6detail15normal_iteratorINSA_10device_ptrIjEEEEjNS1_16block_id_wrapperIjLb0EEEEEvT_jjPNSI_10value_typeET0_PNSt15iterator_traitsISL_E10value_typeEmT1_T2_: ; @_ZN7rocprim17ROCPRIM_400000_NS6detail30init_device_scan_by_key_kernelINS1_19lookback_scan_stateINS0_5tupleIJ11FixedVectorIiLj4EEbEEELb0ELb0EEEN6thrust23THRUST_200600_302600_NS6detail15normal_iteratorINSA_10device_ptrIjEEEEjNS1_16block_id_wrapperIjLb0EEEEEvT_jjPNSI_10value_typeET0_PNSt15iterator_traitsISL_E10value_typeEmT1_T2_
; %bb.0:
	s_load_dword s0, s[6:7], 0x54
	s_load_dwordx8 s[12:19], s[6:7], 0x10
	s_load_dword s10, s[6:7], 0x48
	v_and_b32_e32 v1, 0x3ff, v0
	s_waitcnt lgkmcnt(0)
	s_and_b32 s11, s0, 0xffff
	s_mul_i32 s8, s8, s11
	s_cmp_eq_u64 s[16:17], 0
	v_add_u32_e32 v2, s8, v1
	s_cbranch_scc1 .LBB2031_8
; %bb.1:
	s_cmp_lt_u32 s15, s14
	s_cselect_b32 s0, s15, 0
	s_mov_b32 s20, 0
	v_cmp_eq_u32_e32 vcc, s0, v2
	s_and_saveexec_b64 s[8:9], vcc
	s_cbranch_execz .LBB2031_7
; %bb.2:
	s_load_dwordx2 s[22:23], s[4:5], 0x4
	s_load_dwordx4 s[0:3], s[6:7], 0x0
	v_bfe_u32 v3, v0, 10, 10
	v_bfe_u32 v0, v0, 20, 10
	s_waitcnt lgkmcnt(0)
	s_lshr_b32 s4, s22, 16
	s_mul_i32 s4, s4, s23
	v_mul_u32_u24_e32 v3, s23, v3
	v_mul_lo_u32 v1, s4, v1
	v_add3_u32 v0, v1, v3, v0
	v_mul_lo_u32 v0, v0, 20
	v_mov_b32_e32 v1, 0
	ds_write2_b32 v0, v1, v1 offset0:2 offset1:3
	ds_write2_b32 v0, v1, v1 offset1:1
	ds_write_b32 v0, v1 offset:16
.LBB2031_3:                             ; =>This Inner Loop Header: Depth=1
	v_add_u32_e32 v3, s20, v0
	s_add_i32 s20, s20, 8
	s_cmp_lg_u32 s20, 16
	ds_write2_b32 v3, v1, v1 offset1:1
	s_cbranch_scc1 .LBB2031_3
; %bb.4:
	v_mov_b32_e32 v1, 0
	s_add_i32 s15, s15, 64
	ds_write_b8 v0, v1 offset:16
	v_mov_b32_e32 v3, s15
	global_load_ubyte v3, v3, s[12:13] glc
	s_add_u32 s4, s12, s15
	s_addc_u32 s5, s13, 0
	s_waitcnt vmcnt(0)
	v_cmp_ne_u16_e32 vcc, 0, v3
	v_readfirstlane_b32 s20, v3
	s_cbranch_vccnz .LBB2031_6
.LBB2031_5:                             ; =>This Inner Loop Header: Depth=1
	global_load_ubyte v3, v1, s[4:5] glc
	s_waitcnt vmcnt(0)
	v_cmp_eq_u16_e32 vcc, 0, v3
	v_readfirstlane_b32 s20, v3
	s_cbranch_vccnz .LBB2031_5
.LBB2031_6:
	s_and_b32 s4, 0xffff, s20
	s_cmp_eq_u32 s4, 1
	s_cselect_b32 s1, s1, s3
	s_cselect_b32 s0, s0, s2
	s_mul_i32 s3, s15, 20
	s_mul_hi_u32 s2, s15, 20
	s_add_u32 s0, s0, s3
	s_addc_u32 s1, s1, s2
	v_mov_b32_e32 v1, 0
	s_waitcnt lgkmcnt(0)
	buffer_wbinvl1_vol
	global_load_dwordx4 v[4:7], v1, s[0:1]
	global_load_ubyte v3, v1, s[0:1] offset:16
	s_waitcnt vmcnt(1)
	ds_write2_b32 v0, v4, v5 offset1:1
	ds_write2_b32 v0, v6, v7 offset0:2 offset1:3
	global_store_dwordx4 v1, v[4:7], s[16:17]
	s_waitcnt vmcnt(1)
	global_store_byte v1, v3, s[16:17] offset:16
.LBB2031_7:
	s_or_b64 exec, exec, s[8:9]
.LBB2031_8:
	v_cmp_gt_u32_e32 vcc, s14, v2
	s_and_saveexec_b64 s[0:1], vcc
	s_cbranch_execz .LBB2031_10
; %bb.9:
	v_add_u32_e32 v0, 64, v2
	v_mov_b32_e32 v1, 0
	global_store_byte v0, v1, s[12:13]
.LBB2031_10:
	s_or_b64 exec, exec, s[0:1]
	v_cmp_gt_u32_e32 vcc, 64, v2
	v_mov_b32_e32 v3, 0
	s_and_saveexec_b64 s[0:1], vcc
	s_cbranch_execz .LBB2031_12
; %bb.11:
	v_mov_b32_e32 v1, s13
	v_add_co_u32_e32 v0, vcc, s12, v2
	v_addc_co_u32_e32 v1, vcc, 0, v1, vcc
	v_mov_b32_e32 v4, 0xff
	global_store_byte v[0:1], v4, off
.LBB2031_12:
	s_or_b64 exec, exec, s[0:1]
	s_load_dwordx2 s[0:1], s[6:7], 0x38
	s_waitcnt lgkmcnt(0)
	v_cmp_gt_u64_e32 vcc, s[0:1], v[2:3]
	s_and_saveexec_b64 s[2:3], vcc
	s_cbranch_execz .LBB2031_15
; %bb.13:
	s_load_dword s12, s[6:7], 0x40
	s_load_dwordx2 s[8:9], s[6:7], 0x30
	s_mov_b32 s5, 0
	s_mov_b32 s3, s5
	s_mul_i32 s2, s10, s11
	s_waitcnt lgkmcnt(0)
	s_add_i32 s4, s12, -1
	s_lshl_b64 s[4:5], s[4:5], 2
	v_mad_u64_u32 v[0:1], s[6:7], s12, v2, 0
	s_add_u32 s4, s18, s4
	v_lshlrev_b64 v[0:1], 2, v[0:1]
	s_addc_u32 s5, s19, s5
	v_mov_b32_e32 v4, s5
	v_add_co_u32_e32 v0, vcc, s4, v0
	v_addc_co_u32_e32 v1, vcc, v4, v1, vcc
	s_mul_hi_u32 s5, s12, s2
	s_mul_i32 s4, s12, s2
	v_lshlrev_b64 v[4:5], 2, v[2:3]
	s_lshl_b64 s[4:5], s[4:5], 2
	v_mov_b32_e32 v6, s9
	v_add_co_u32_e32 v4, vcc, s8, v4
	s_lshl_b64 s[6:7], s[2:3], 2
	v_addc_co_u32_e32 v5, vcc, v6, v5, vcc
	s_mov_b64 s[8:9], 0
	v_mov_b32_e32 v6, s3
	v_mov_b32_e32 v7, s5
	;; [unrolled: 1-line block ×3, first 2 shown]
.LBB2031_14:                            ; =>This Inner Loop Header: Depth=1
	global_load_dword v9, v[0:1], off
	v_add_co_u32_e32 v2, vcc, s2, v2
	v_addc_co_u32_e32 v3, vcc, v3, v6, vcc
	v_add_co_u32_e32 v0, vcc, s4, v0
	v_addc_co_u32_e32 v1, vcc, v1, v7, vcc
	v_cmp_le_u64_e32 vcc, s[0:1], v[2:3]
	s_or_b64 s[8:9], vcc, s[8:9]
	s_waitcnt vmcnt(0)
	global_store_dword v[4:5], v9, off
	v_add_co_u32_e32 v4, vcc, s6, v4
	v_addc_co_u32_e32 v5, vcc, v5, v8, vcc
	s_andn2_b64 exec, exec, s[8:9]
	s_cbranch_execnz .LBB2031_14
.LBB2031_15:
	s_endpgm
	.section	.rodata,"a",@progbits
	.p2align	6, 0x0
	.amdhsa_kernel _ZN7rocprim17ROCPRIM_400000_NS6detail30init_device_scan_by_key_kernelINS1_19lookback_scan_stateINS0_5tupleIJ11FixedVectorIiLj4EEbEEELb0ELb0EEEN6thrust23THRUST_200600_302600_NS6detail15normal_iteratorINSA_10device_ptrIjEEEEjNS1_16block_id_wrapperIjLb0EEEEEvT_jjPNSI_10value_typeET0_PNSt15iterator_traitsISL_E10value_typeEmT1_T2_
		.amdhsa_group_segment_fixed_size 5120
		.amdhsa_private_segment_fixed_size 0
		.amdhsa_kernarg_size 328
		.amdhsa_user_sgpr_count 8
		.amdhsa_user_sgpr_private_segment_buffer 1
		.amdhsa_user_sgpr_dispatch_ptr 1
		.amdhsa_user_sgpr_queue_ptr 0
		.amdhsa_user_sgpr_kernarg_segment_ptr 1
		.amdhsa_user_sgpr_dispatch_id 0
		.amdhsa_user_sgpr_flat_scratch_init 0
		.amdhsa_user_sgpr_kernarg_preload_length 0
		.amdhsa_user_sgpr_kernarg_preload_offset 0
		.amdhsa_user_sgpr_private_segment_size 0
		.amdhsa_uses_dynamic_stack 0
		.amdhsa_system_sgpr_private_segment_wavefront_offset 0
		.amdhsa_system_sgpr_workgroup_id_x 1
		.amdhsa_system_sgpr_workgroup_id_y 0
		.amdhsa_system_sgpr_workgroup_id_z 0
		.amdhsa_system_sgpr_workgroup_info 0
		.amdhsa_system_vgpr_workitem_id 2
		.amdhsa_next_free_vgpr 10
		.amdhsa_next_free_sgpr 24
		.amdhsa_accum_offset 12
		.amdhsa_reserve_vcc 1
		.amdhsa_reserve_flat_scratch 0
		.amdhsa_float_round_mode_32 0
		.amdhsa_float_round_mode_16_64 0
		.amdhsa_float_denorm_mode_32 3
		.amdhsa_float_denorm_mode_16_64 3
		.amdhsa_dx10_clamp 1
		.amdhsa_ieee_mode 1
		.amdhsa_fp16_overflow 0
		.amdhsa_tg_split 0
		.amdhsa_exception_fp_ieee_invalid_op 0
		.amdhsa_exception_fp_denorm_src 0
		.amdhsa_exception_fp_ieee_div_zero 0
		.amdhsa_exception_fp_ieee_overflow 0
		.amdhsa_exception_fp_ieee_underflow 0
		.amdhsa_exception_fp_ieee_inexact 0
		.amdhsa_exception_int_div_zero 0
	.end_amdhsa_kernel
	.section	.text._ZN7rocprim17ROCPRIM_400000_NS6detail30init_device_scan_by_key_kernelINS1_19lookback_scan_stateINS0_5tupleIJ11FixedVectorIiLj4EEbEEELb0ELb0EEEN6thrust23THRUST_200600_302600_NS6detail15normal_iteratorINSA_10device_ptrIjEEEEjNS1_16block_id_wrapperIjLb0EEEEEvT_jjPNSI_10value_typeET0_PNSt15iterator_traitsISL_E10value_typeEmT1_T2_,"axG",@progbits,_ZN7rocprim17ROCPRIM_400000_NS6detail30init_device_scan_by_key_kernelINS1_19lookback_scan_stateINS0_5tupleIJ11FixedVectorIiLj4EEbEEELb0ELb0EEEN6thrust23THRUST_200600_302600_NS6detail15normal_iteratorINSA_10device_ptrIjEEEEjNS1_16block_id_wrapperIjLb0EEEEEvT_jjPNSI_10value_typeET0_PNSt15iterator_traitsISL_E10value_typeEmT1_T2_,comdat
.Lfunc_end2031:
	.size	_ZN7rocprim17ROCPRIM_400000_NS6detail30init_device_scan_by_key_kernelINS1_19lookback_scan_stateINS0_5tupleIJ11FixedVectorIiLj4EEbEEELb0ELb0EEEN6thrust23THRUST_200600_302600_NS6detail15normal_iteratorINSA_10device_ptrIjEEEEjNS1_16block_id_wrapperIjLb0EEEEEvT_jjPNSI_10value_typeET0_PNSt15iterator_traitsISL_E10value_typeEmT1_T2_, .Lfunc_end2031-_ZN7rocprim17ROCPRIM_400000_NS6detail30init_device_scan_by_key_kernelINS1_19lookback_scan_stateINS0_5tupleIJ11FixedVectorIiLj4EEbEEELb0ELb0EEEN6thrust23THRUST_200600_302600_NS6detail15normal_iteratorINSA_10device_ptrIjEEEEjNS1_16block_id_wrapperIjLb0EEEEEvT_jjPNSI_10value_typeET0_PNSt15iterator_traitsISL_E10value_typeEmT1_T2_
                                        ; -- End function
	.section	.AMDGPU.csdata,"",@progbits
; Kernel info:
; codeLenInByte = 692
; NumSgprs: 28
; NumVgprs: 10
; NumAgprs: 0
; TotalNumVgprs: 10
; ScratchSize: 0
; MemoryBound: 0
; FloatMode: 240
; IeeeMode: 1
; LDSByteSize: 5120 bytes/workgroup (compile time only)
; SGPRBlocks: 3
; VGPRBlocks: 1
; NumSGPRsForWavesPerEU: 28
; NumVGPRsForWavesPerEU: 10
; AccumOffset: 12
; Occupancy: 8
; WaveLimiterHint : 0
; COMPUTE_PGM_RSRC2:SCRATCH_EN: 0
; COMPUTE_PGM_RSRC2:USER_SGPR: 8
; COMPUTE_PGM_RSRC2:TRAP_HANDLER: 0
; COMPUTE_PGM_RSRC2:TGID_X_EN: 1
; COMPUTE_PGM_RSRC2:TGID_Y_EN: 0
; COMPUTE_PGM_RSRC2:TGID_Z_EN: 0
; COMPUTE_PGM_RSRC2:TIDIG_COMP_CNT: 2
; COMPUTE_PGM_RSRC3_GFX90A:ACCUM_OFFSET: 2
; COMPUTE_PGM_RSRC3_GFX90A:TG_SPLIT: 0
	.section	.text._ZN7rocprim17ROCPRIM_400000_NS6detail30init_device_scan_by_key_kernelINS1_19lookback_scan_stateINS0_5tupleIJ11FixedVectorIiLj4EEbEEELb0ELb0EEENS1_16block_id_wrapperIjLb0EEEEEvT_jjPNSB_10value_typeET0_,"axG",@progbits,_ZN7rocprim17ROCPRIM_400000_NS6detail30init_device_scan_by_key_kernelINS1_19lookback_scan_stateINS0_5tupleIJ11FixedVectorIiLj4EEbEEELb0ELb0EEENS1_16block_id_wrapperIjLb0EEEEEvT_jjPNSB_10value_typeET0_,comdat
	.protected	_ZN7rocprim17ROCPRIM_400000_NS6detail30init_device_scan_by_key_kernelINS1_19lookback_scan_stateINS0_5tupleIJ11FixedVectorIiLj4EEbEEELb0ELb0EEENS1_16block_id_wrapperIjLb0EEEEEvT_jjPNSB_10value_typeET0_ ; -- Begin function _ZN7rocprim17ROCPRIM_400000_NS6detail30init_device_scan_by_key_kernelINS1_19lookback_scan_stateINS0_5tupleIJ11FixedVectorIiLj4EEbEEELb0ELb0EEENS1_16block_id_wrapperIjLb0EEEEEvT_jjPNSB_10value_typeET0_
	.globl	_ZN7rocprim17ROCPRIM_400000_NS6detail30init_device_scan_by_key_kernelINS1_19lookback_scan_stateINS0_5tupleIJ11FixedVectorIiLj4EEbEEELb0ELb0EEENS1_16block_id_wrapperIjLb0EEEEEvT_jjPNSB_10value_typeET0_
	.p2align	8
	.type	_ZN7rocprim17ROCPRIM_400000_NS6detail30init_device_scan_by_key_kernelINS1_19lookback_scan_stateINS0_5tupleIJ11FixedVectorIiLj4EEbEEELb0ELb0EEENS1_16block_id_wrapperIjLb0EEEEEvT_jjPNSB_10value_typeET0_,@function
_ZN7rocprim17ROCPRIM_400000_NS6detail30init_device_scan_by_key_kernelINS1_19lookback_scan_stateINS0_5tupleIJ11FixedVectorIiLj4EEbEEELb0ELb0EEENS1_16block_id_wrapperIjLb0EEEEEvT_jjPNSB_10value_typeET0_: ; @_ZN7rocprim17ROCPRIM_400000_NS6detail30init_device_scan_by_key_kernelINS1_19lookback_scan_stateINS0_5tupleIJ11FixedVectorIiLj4EEbEEELb0ELb0EEENS1_16block_id_wrapperIjLb0EEEEEvT_jjPNSB_10value_typeET0_
; %bb.0:
	s_load_dword s9, s[6:7], 0x3c
	s_load_dwordx2 s[12:13], s[6:7], 0x20
	s_load_dwordx4 s[0:3], s[6:7], 0x10
	v_and_b32_e32 v2, 0x3ff, v0
	s_waitcnt lgkmcnt(0)
	s_and_b32 s9, s9, 0xffff
	s_mul_i32 s8, s8, s9
	s_cmp_eq_u64 s[12:13], 0
	v_add_u32_e32 v1, s8, v2
	s_cbranch_scc1 .LBB2032_8
; %bb.1:
	s_cmp_lt_u32 s3, s2
	s_cselect_b32 s8, s3, 0
	s_mov_b32 s16, 0
	v_cmp_eq_u32_e32 vcc, s8, v1
	s_and_saveexec_b64 s[14:15], vcc
	s_cbranch_execz .LBB2032_7
; %bb.2:
	s_load_dwordx2 s[18:19], s[4:5], 0x4
	s_load_dwordx4 s[8:11], s[6:7], 0x0
	v_bfe_u32 v3, v0, 10, 10
	v_bfe_u32 v0, v0, 20, 10
	s_waitcnt lgkmcnt(0)
	s_lshr_b32 s4, s18, 16
	s_mul_i32 s4, s4, s19
	v_mul_u32_u24_e32 v3, s19, v3
	v_mul_lo_u32 v2, s4, v2
	v_add3_u32 v0, v2, v3, v0
	v_mul_lo_u32 v0, v0, 20
	v_mov_b32_e32 v2, 0
	ds_write2_b32 v0, v2, v2 offset0:2 offset1:3
	ds_write2_b32 v0, v2, v2 offset1:1
	ds_write_b32 v0, v2 offset:16
.LBB2032_3:                             ; =>This Inner Loop Header: Depth=1
	v_add_u32_e32 v3, s16, v0
	s_add_i32 s16, s16, 8
	s_cmp_lg_u32 s16, 16
	ds_write2_b32 v3, v2, v2 offset1:1
	s_cbranch_scc1 .LBB2032_3
; %bb.4:
	v_mov_b32_e32 v2, 0
	s_add_i32 s3, s3, 64
	ds_write_b8 v0, v2 offset:16
	v_mov_b32_e32 v3, s3
	global_load_ubyte v3, v3, s[0:1] glc
	s_add_u32 s4, s0, s3
	s_addc_u32 s5, s1, 0
	s_waitcnt vmcnt(0)
	v_cmp_ne_u16_e32 vcc, 0, v3
	v_readfirstlane_b32 s6, v3
	s_cbranch_vccnz .LBB2032_6
.LBB2032_5:                             ; =>This Inner Loop Header: Depth=1
	global_load_ubyte v3, v2, s[4:5] glc
	s_waitcnt vmcnt(0)
	v_cmp_eq_u16_e32 vcc, 0, v3
	v_readfirstlane_b32 s6, v3
	s_cbranch_vccnz .LBB2032_5
.LBB2032_6:
	s_and_b32 s4, 0xffff, s6
	s_cmp_eq_u32 s4, 1
	s_cselect_b32 s4, s8, s10
	s_mul_hi_u32 s6, s3, 20
	s_mul_i32 s3, s3, 20
	s_cselect_b32 s5, s9, s11
	s_add_u32 s4, s4, s3
	s_addc_u32 s5, s5, s6
	v_mov_b32_e32 v6, 0
	s_waitcnt lgkmcnt(0)
	buffer_wbinvl1_vol
	global_load_dwordx4 v[2:5], v6, s[4:5]
	global_load_ubyte v7, v6, s[4:5] offset:16
	s_waitcnt vmcnt(1)
	ds_write2_b32 v0, v2, v3 offset1:1
	ds_write2_b32 v0, v4, v5 offset0:2 offset1:3
	global_store_dwordx4 v6, v[2:5], s[12:13]
	s_waitcnt vmcnt(1)
	global_store_byte v6, v7, s[12:13] offset:16
.LBB2032_7:
	s_or_b64 exec, exec, s[14:15]
.LBB2032_8:
	v_cmp_gt_u32_e32 vcc, s2, v1
	s_and_saveexec_b64 s[2:3], vcc
	s_cbranch_execnz .LBB2032_11
; %bb.9:
	s_or_b64 exec, exec, s[2:3]
	v_cmp_gt_u32_e32 vcc, 64, v1
	s_and_saveexec_b64 s[2:3], vcc
	s_cbranch_execnz .LBB2032_12
.LBB2032_10:
	s_endpgm
.LBB2032_11:
	v_add_u32_e32 v0, 64, v1
	v_mov_b32_e32 v2, 0
	global_store_byte v0, v2, s[0:1]
	s_or_b64 exec, exec, s[2:3]
	v_cmp_gt_u32_e32 vcc, 64, v1
	s_and_saveexec_b64 s[2:3], vcc
	s_cbranch_execz .LBB2032_10
.LBB2032_12:
	v_mov_b32_e32 v0, 0xff
	global_store_byte v1, v0, s[0:1]
	s_endpgm
	.section	.rodata,"a",@progbits
	.p2align	6, 0x0
	.amdhsa_kernel _ZN7rocprim17ROCPRIM_400000_NS6detail30init_device_scan_by_key_kernelINS1_19lookback_scan_stateINS0_5tupleIJ11FixedVectorIiLj4EEbEEELb0ELb0EEENS1_16block_id_wrapperIjLb0EEEEEvT_jjPNSB_10value_typeET0_
		.amdhsa_group_segment_fixed_size 5120
		.amdhsa_private_segment_fixed_size 0
		.amdhsa_kernarg_size 304
		.amdhsa_user_sgpr_count 8
		.amdhsa_user_sgpr_private_segment_buffer 1
		.amdhsa_user_sgpr_dispatch_ptr 1
		.amdhsa_user_sgpr_queue_ptr 0
		.amdhsa_user_sgpr_kernarg_segment_ptr 1
		.amdhsa_user_sgpr_dispatch_id 0
		.amdhsa_user_sgpr_flat_scratch_init 0
		.amdhsa_user_sgpr_kernarg_preload_length 0
		.amdhsa_user_sgpr_kernarg_preload_offset 0
		.amdhsa_user_sgpr_private_segment_size 0
		.amdhsa_uses_dynamic_stack 0
		.amdhsa_system_sgpr_private_segment_wavefront_offset 0
		.amdhsa_system_sgpr_workgroup_id_x 1
		.amdhsa_system_sgpr_workgroup_id_y 0
		.amdhsa_system_sgpr_workgroup_id_z 0
		.amdhsa_system_sgpr_workgroup_info 0
		.amdhsa_system_vgpr_workitem_id 2
		.amdhsa_next_free_vgpr 8
		.amdhsa_next_free_sgpr 20
		.amdhsa_accum_offset 8
		.amdhsa_reserve_vcc 1
		.amdhsa_reserve_flat_scratch 0
		.amdhsa_float_round_mode_32 0
		.amdhsa_float_round_mode_16_64 0
		.amdhsa_float_denorm_mode_32 3
		.amdhsa_float_denorm_mode_16_64 3
		.amdhsa_dx10_clamp 1
		.amdhsa_ieee_mode 1
		.amdhsa_fp16_overflow 0
		.amdhsa_tg_split 0
		.amdhsa_exception_fp_ieee_invalid_op 0
		.amdhsa_exception_fp_denorm_src 0
		.amdhsa_exception_fp_ieee_div_zero 0
		.amdhsa_exception_fp_ieee_overflow 0
		.amdhsa_exception_fp_ieee_underflow 0
		.amdhsa_exception_fp_ieee_inexact 0
		.amdhsa_exception_int_div_zero 0
	.end_amdhsa_kernel
	.section	.text._ZN7rocprim17ROCPRIM_400000_NS6detail30init_device_scan_by_key_kernelINS1_19lookback_scan_stateINS0_5tupleIJ11FixedVectorIiLj4EEbEEELb0ELb0EEENS1_16block_id_wrapperIjLb0EEEEEvT_jjPNSB_10value_typeET0_,"axG",@progbits,_ZN7rocprim17ROCPRIM_400000_NS6detail30init_device_scan_by_key_kernelINS1_19lookback_scan_stateINS0_5tupleIJ11FixedVectorIiLj4EEbEEELb0ELb0EEENS1_16block_id_wrapperIjLb0EEEEEvT_jjPNSB_10value_typeET0_,comdat
.Lfunc_end2032:
	.size	_ZN7rocprim17ROCPRIM_400000_NS6detail30init_device_scan_by_key_kernelINS1_19lookback_scan_stateINS0_5tupleIJ11FixedVectorIiLj4EEbEEELb0ELb0EEENS1_16block_id_wrapperIjLb0EEEEEvT_jjPNSB_10value_typeET0_, .Lfunc_end2032-_ZN7rocprim17ROCPRIM_400000_NS6detail30init_device_scan_by_key_kernelINS1_19lookback_scan_stateINS0_5tupleIJ11FixedVectorIiLj4EEbEEELb0ELb0EEENS1_16block_id_wrapperIjLb0EEEEEvT_jjPNSB_10value_typeET0_
                                        ; -- End function
	.section	.AMDGPU.csdata,"",@progbits
; Kernel info:
; codeLenInByte = 480
; NumSgprs: 24
; NumVgprs: 8
; NumAgprs: 0
; TotalNumVgprs: 8
; ScratchSize: 0
; MemoryBound: 0
; FloatMode: 240
; IeeeMode: 1
; LDSByteSize: 5120 bytes/workgroup (compile time only)
; SGPRBlocks: 2
; VGPRBlocks: 0
; NumSGPRsForWavesPerEU: 24
; NumVGPRsForWavesPerEU: 8
; AccumOffset: 8
; Occupancy: 8
; WaveLimiterHint : 0
; COMPUTE_PGM_RSRC2:SCRATCH_EN: 0
; COMPUTE_PGM_RSRC2:USER_SGPR: 8
; COMPUTE_PGM_RSRC2:TRAP_HANDLER: 0
; COMPUTE_PGM_RSRC2:TGID_X_EN: 1
; COMPUTE_PGM_RSRC2:TGID_Y_EN: 0
; COMPUTE_PGM_RSRC2:TGID_Z_EN: 0
; COMPUTE_PGM_RSRC2:TIDIG_COMP_CNT: 2
; COMPUTE_PGM_RSRC3_GFX90A:ACCUM_OFFSET: 1
; COMPUTE_PGM_RSRC3_GFX90A:TG_SPLIT: 0
	.section	.text._ZN7rocprim17ROCPRIM_400000_NS6detail17trampoline_kernelINS0_14default_configENS1_27scan_by_key_config_selectorIj11FixedVectorIiLj4EEEEZZNS1_16scan_by_key_implILNS1_25lookback_scan_determinismE0ELb0ES3_N6thrust23THRUST_200600_302600_NS6detail15normal_iteratorINSB_10device_ptrIjEEEENSD_INSE_IS6_EEEESI_S6_NSB_4plusIvEENSB_8equal_toIvEES6_EE10hipError_tPvRmT2_T3_T4_T5_mT6_T7_P12ihipStream_tbENKUlT_T0_E_clISt17integral_constantIbLb0EES13_EEDaSY_SZ_EUlSY_E_NS1_11comp_targetILNS1_3genE0ELNS1_11target_archE4294967295ELNS1_3gpuE0ELNS1_3repE0EEENS1_30default_config_static_selectorELNS0_4arch9wavefront6targetE1EEEvT1_,"axG",@progbits,_ZN7rocprim17ROCPRIM_400000_NS6detail17trampoline_kernelINS0_14default_configENS1_27scan_by_key_config_selectorIj11FixedVectorIiLj4EEEEZZNS1_16scan_by_key_implILNS1_25lookback_scan_determinismE0ELb0ES3_N6thrust23THRUST_200600_302600_NS6detail15normal_iteratorINSB_10device_ptrIjEEEENSD_INSE_IS6_EEEESI_S6_NSB_4plusIvEENSB_8equal_toIvEES6_EE10hipError_tPvRmT2_T3_T4_T5_mT6_T7_P12ihipStream_tbENKUlT_T0_E_clISt17integral_constantIbLb0EES13_EEDaSY_SZ_EUlSY_E_NS1_11comp_targetILNS1_3genE0ELNS1_11target_archE4294967295ELNS1_3gpuE0ELNS1_3repE0EEENS1_30default_config_static_selectorELNS0_4arch9wavefront6targetE1EEEvT1_,comdat
	.protected	_ZN7rocprim17ROCPRIM_400000_NS6detail17trampoline_kernelINS0_14default_configENS1_27scan_by_key_config_selectorIj11FixedVectorIiLj4EEEEZZNS1_16scan_by_key_implILNS1_25lookback_scan_determinismE0ELb0ES3_N6thrust23THRUST_200600_302600_NS6detail15normal_iteratorINSB_10device_ptrIjEEEENSD_INSE_IS6_EEEESI_S6_NSB_4plusIvEENSB_8equal_toIvEES6_EE10hipError_tPvRmT2_T3_T4_T5_mT6_T7_P12ihipStream_tbENKUlT_T0_E_clISt17integral_constantIbLb0EES13_EEDaSY_SZ_EUlSY_E_NS1_11comp_targetILNS1_3genE0ELNS1_11target_archE4294967295ELNS1_3gpuE0ELNS1_3repE0EEENS1_30default_config_static_selectorELNS0_4arch9wavefront6targetE1EEEvT1_ ; -- Begin function _ZN7rocprim17ROCPRIM_400000_NS6detail17trampoline_kernelINS0_14default_configENS1_27scan_by_key_config_selectorIj11FixedVectorIiLj4EEEEZZNS1_16scan_by_key_implILNS1_25lookback_scan_determinismE0ELb0ES3_N6thrust23THRUST_200600_302600_NS6detail15normal_iteratorINSB_10device_ptrIjEEEENSD_INSE_IS6_EEEESI_S6_NSB_4plusIvEENSB_8equal_toIvEES6_EE10hipError_tPvRmT2_T3_T4_T5_mT6_T7_P12ihipStream_tbENKUlT_T0_E_clISt17integral_constantIbLb0EES13_EEDaSY_SZ_EUlSY_E_NS1_11comp_targetILNS1_3genE0ELNS1_11target_archE4294967295ELNS1_3gpuE0ELNS1_3repE0EEENS1_30default_config_static_selectorELNS0_4arch9wavefront6targetE1EEEvT1_
	.globl	_ZN7rocprim17ROCPRIM_400000_NS6detail17trampoline_kernelINS0_14default_configENS1_27scan_by_key_config_selectorIj11FixedVectorIiLj4EEEEZZNS1_16scan_by_key_implILNS1_25lookback_scan_determinismE0ELb0ES3_N6thrust23THRUST_200600_302600_NS6detail15normal_iteratorINSB_10device_ptrIjEEEENSD_INSE_IS6_EEEESI_S6_NSB_4plusIvEENSB_8equal_toIvEES6_EE10hipError_tPvRmT2_T3_T4_T5_mT6_T7_P12ihipStream_tbENKUlT_T0_E_clISt17integral_constantIbLb0EES13_EEDaSY_SZ_EUlSY_E_NS1_11comp_targetILNS1_3genE0ELNS1_11target_archE4294967295ELNS1_3gpuE0ELNS1_3repE0EEENS1_30default_config_static_selectorELNS0_4arch9wavefront6targetE1EEEvT1_
	.p2align	8
	.type	_ZN7rocprim17ROCPRIM_400000_NS6detail17trampoline_kernelINS0_14default_configENS1_27scan_by_key_config_selectorIj11FixedVectorIiLj4EEEEZZNS1_16scan_by_key_implILNS1_25lookback_scan_determinismE0ELb0ES3_N6thrust23THRUST_200600_302600_NS6detail15normal_iteratorINSB_10device_ptrIjEEEENSD_INSE_IS6_EEEESI_S6_NSB_4plusIvEENSB_8equal_toIvEES6_EE10hipError_tPvRmT2_T3_T4_T5_mT6_T7_P12ihipStream_tbENKUlT_T0_E_clISt17integral_constantIbLb0EES13_EEDaSY_SZ_EUlSY_E_NS1_11comp_targetILNS1_3genE0ELNS1_11target_archE4294967295ELNS1_3gpuE0ELNS1_3repE0EEENS1_30default_config_static_selectorELNS0_4arch9wavefront6targetE1EEEvT1_,@function
_ZN7rocprim17ROCPRIM_400000_NS6detail17trampoline_kernelINS0_14default_configENS1_27scan_by_key_config_selectorIj11FixedVectorIiLj4EEEEZZNS1_16scan_by_key_implILNS1_25lookback_scan_determinismE0ELb0ES3_N6thrust23THRUST_200600_302600_NS6detail15normal_iteratorINSB_10device_ptrIjEEEENSD_INSE_IS6_EEEESI_S6_NSB_4plusIvEENSB_8equal_toIvEES6_EE10hipError_tPvRmT2_T3_T4_T5_mT6_T7_P12ihipStream_tbENKUlT_T0_E_clISt17integral_constantIbLb0EES13_EEDaSY_SZ_EUlSY_E_NS1_11comp_targetILNS1_3genE0ELNS1_11target_archE4294967295ELNS1_3gpuE0ELNS1_3repE0EEENS1_30default_config_static_selectorELNS0_4arch9wavefront6targetE1EEEvT1_: ; @_ZN7rocprim17ROCPRIM_400000_NS6detail17trampoline_kernelINS0_14default_configENS1_27scan_by_key_config_selectorIj11FixedVectorIiLj4EEEEZZNS1_16scan_by_key_implILNS1_25lookback_scan_determinismE0ELb0ES3_N6thrust23THRUST_200600_302600_NS6detail15normal_iteratorINSB_10device_ptrIjEEEENSD_INSE_IS6_EEEESI_S6_NSB_4plusIvEENSB_8equal_toIvEES6_EE10hipError_tPvRmT2_T3_T4_T5_mT6_T7_P12ihipStream_tbENKUlT_T0_E_clISt17integral_constantIbLb0EES13_EEDaSY_SZ_EUlSY_E_NS1_11comp_targetILNS1_3genE0ELNS1_11target_archE4294967295ELNS1_3gpuE0ELNS1_3repE0EEENS1_30default_config_static_selectorELNS0_4arch9wavefront6targetE1EEEvT1_
; %bb.0:
	.section	.rodata,"a",@progbits
	.p2align	6, 0x0
	.amdhsa_kernel _ZN7rocprim17ROCPRIM_400000_NS6detail17trampoline_kernelINS0_14default_configENS1_27scan_by_key_config_selectorIj11FixedVectorIiLj4EEEEZZNS1_16scan_by_key_implILNS1_25lookback_scan_determinismE0ELb0ES3_N6thrust23THRUST_200600_302600_NS6detail15normal_iteratorINSB_10device_ptrIjEEEENSD_INSE_IS6_EEEESI_S6_NSB_4plusIvEENSB_8equal_toIvEES6_EE10hipError_tPvRmT2_T3_T4_T5_mT6_T7_P12ihipStream_tbENKUlT_T0_E_clISt17integral_constantIbLb0EES13_EEDaSY_SZ_EUlSY_E_NS1_11comp_targetILNS1_3genE0ELNS1_11target_archE4294967295ELNS1_3gpuE0ELNS1_3repE0EEENS1_30default_config_static_selectorELNS0_4arch9wavefront6targetE1EEEvT1_
		.amdhsa_group_segment_fixed_size 0
		.amdhsa_private_segment_fixed_size 0
		.amdhsa_kernarg_size 144
		.amdhsa_user_sgpr_count 6
		.amdhsa_user_sgpr_private_segment_buffer 1
		.amdhsa_user_sgpr_dispatch_ptr 0
		.amdhsa_user_sgpr_queue_ptr 0
		.amdhsa_user_sgpr_kernarg_segment_ptr 1
		.amdhsa_user_sgpr_dispatch_id 0
		.amdhsa_user_sgpr_flat_scratch_init 0
		.amdhsa_user_sgpr_kernarg_preload_length 0
		.amdhsa_user_sgpr_kernarg_preload_offset 0
		.amdhsa_user_sgpr_private_segment_size 0
		.amdhsa_uses_dynamic_stack 0
		.amdhsa_system_sgpr_private_segment_wavefront_offset 0
		.amdhsa_system_sgpr_workgroup_id_x 1
		.amdhsa_system_sgpr_workgroup_id_y 0
		.amdhsa_system_sgpr_workgroup_id_z 0
		.amdhsa_system_sgpr_workgroup_info 0
		.amdhsa_system_vgpr_workitem_id 0
		.amdhsa_next_free_vgpr 1
		.amdhsa_next_free_sgpr 0
		.amdhsa_accum_offset 4
		.amdhsa_reserve_vcc 0
		.amdhsa_reserve_flat_scratch 0
		.amdhsa_float_round_mode_32 0
		.amdhsa_float_round_mode_16_64 0
		.amdhsa_float_denorm_mode_32 3
		.amdhsa_float_denorm_mode_16_64 3
		.amdhsa_dx10_clamp 1
		.amdhsa_ieee_mode 1
		.amdhsa_fp16_overflow 0
		.amdhsa_tg_split 0
		.amdhsa_exception_fp_ieee_invalid_op 0
		.amdhsa_exception_fp_denorm_src 0
		.amdhsa_exception_fp_ieee_div_zero 0
		.amdhsa_exception_fp_ieee_overflow 0
		.amdhsa_exception_fp_ieee_underflow 0
		.amdhsa_exception_fp_ieee_inexact 0
		.amdhsa_exception_int_div_zero 0
	.end_amdhsa_kernel
	.section	.text._ZN7rocprim17ROCPRIM_400000_NS6detail17trampoline_kernelINS0_14default_configENS1_27scan_by_key_config_selectorIj11FixedVectorIiLj4EEEEZZNS1_16scan_by_key_implILNS1_25lookback_scan_determinismE0ELb0ES3_N6thrust23THRUST_200600_302600_NS6detail15normal_iteratorINSB_10device_ptrIjEEEENSD_INSE_IS6_EEEESI_S6_NSB_4plusIvEENSB_8equal_toIvEES6_EE10hipError_tPvRmT2_T3_T4_T5_mT6_T7_P12ihipStream_tbENKUlT_T0_E_clISt17integral_constantIbLb0EES13_EEDaSY_SZ_EUlSY_E_NS1_11comp_targetILNS1_3genE0ELNS1_11target_archE4294967295ELNS1_3gpuE0ELNS1_3repE0EEENS1_30default_config_static_selectorELNS0_4arch9wavefront6targetE1EEEvT1_,"axG",@progbits,_ZN7rocprim17ROCPRIM_400000_NS6detail17trampoline_kernelINS0_14default_configENS1_27scan_by_key_config_selectorIj11FixedVectorIiLj4EEEEZZNS1_16scan_by_key_implILNS1_25lookback_scan_determinismE0ELb0ES3_N6thrust23THRUST_200600_302600_NS6detail15normal_iteratorINSB_10device_ptrIjEEEENSD_INSE_IS6_EEEESI_S6_NSB_4plusIvEENSB_8equal_toIvEES6_EE10hipError_tPvRmT2_T3_T4_T5_mT6_T7_P12ihipStream_tbENKUlT_T0_E_clISt17integral_constantIbLb0EES13_EEDaSY_SZ_EUlSY_E_NS1_11comp_targetILNS1_3genE0ELNS1_11target_archE4294967295ELNS1_3gpuE0ELNS1_3repE0EEENS1_30default_config_static_selectorELNS0_4arch9wavefront6targetE1EEEvT1_,comdat
.Lfunc_end2033:
	.size	_ZN7rocprim17ROCPRIM_400000_NS6detail17trampoline_kernelINS0_14default_configENS1_27scan_by_key_config_selectorIj11FixedVectorIiLj4EEEEZZNS1_16scan_by_key_implILNS1_25lookback_scan_determinismE0ELb0ES3_N6thrust23THRUST_200600_302600_NS6detail15normal_iteratorINSB_10device_ptrIjEEEENSD_INSE_IS6_EEEESI_S6_NSB_4plusIvEENSB_8equal_toIvEES6_EE10hipError_tPvRmT2_T3_T4_T5_mT6_T7_P12ihipStream_tbENKUlT_T0_E_clISt17integral_constantIbLb0EES13_EEDaSY_SZ_EUlSY_E_NS1_11comp_targetILNS1_3genE0ELNS1_11target_archE4294967295ELNS1_3gpuE0ELNS1_3repE0EEENS1_30default_config_static_selectorELNS0_4arch9wavefront6targetE1EEEvT1_, .Lfunc_end2033-_ZN7rocprim17ROCPRIM_400000_NS6detail17trampoline_kernelINS0_14default_configENS1_27scan_by_key_config_selectorIj11FixedVectorIiLj4EEEEZZNS1_16scan_by_key_implILNS1_25lookback_scan_determinismE0ELb0ES3_N6thrust23THRUST_200600_302600_NS6detail15normal_iteratorINSB_10device_ptrIjEEEENSD_INSE_IS6_EEEESI_S6_NSB_4plusIvEENSB_8equal_toIvEES6_EE10hipError_tPvRmT2_T3_T4_T5_mT6_T7_P12ihipStream_tbENKUlT_T0_E_clISt17integral_constantIbLb0EES13_EEDaSY_SZ_EUlSY_E_NS1_11comp_targetILNS1_3genE0ELNS1_11target_archE4294967295ELNS1_3gpuE0ELNS1_3repE0EEENS1_30default_config_static_selectorELNS0_4arch9wavefront6targetE1EEEvT1_
                                        ; -- End function
	.section	.AMDGPU.csdata,"",@progbits
; Kernel info:
; codeLenInByte = 0
; NumSgprs: 4
; NumVgprs: 0
; NumAgprs: 0
; TotalNumVgprs: 0
; ScratchSize: 0
; MemoryBound: 0
; FloatMode: 240
; IeeeMode: 1
; LDSByteSize: 0 bytes/workgroup (compile time only)
; SGPRBlocks: 0
; VGPRBlocks: 0
; NumSGPRsForWavesPerEU: 4
; NumVGPRsForWavesPerEU: 1
; AccumOffset: 4
; Occupancy: 8
; WaveLimiterHint : 0
; COMPUTE_PGM_RSRC2:SCRATCH_EN: 0
; COMPUTE_PGM_RSRC2:USER_SGPR: 6
; COMPUTE_PGM_RSRC2:TRAP_HANDLER: 0
; COMPUTE_PGM_RSRC2:TGID_X_EN: 1
; COMPUTE_PGM_RSRC2:TGID_Y_EN: 0
; COMPUTE_PGM_RSRC2:TGID_Z_EN: 0
; COMPUTE_PGM_RSRC2:TIDIG_COMP_CNT: 0
; COMPUTE_PGM_RSRC3_GFX90A:ACCUM_OFFSET: 0
; COMPUTE_PGM_RSRC3_GFX90A:TG_SPLIT: 0
	.section	.text._ZN7rocprim17ROCPRIM_400000_NS6detail17trampoline_kernelINS0_14default_configENS1_27scan_by_key_config_selectorIj11FixedVectorIiLj4EEEEZZNS1_16scan_by_key_implILNS1_25lookback_scan_determinismE0ELb0ES3_N6thrust23THRUST_200600_302600_NS6detail15normal_iteratorINSB_10device_ptrIjEEEENSD_INSE_IS6_EEEESI_S6_NSB_4plusIvEENSB_8equal_toIvEES6_EE10hipError_tPvRmT2_T3_T4_T5_mT6_T7_P12ihipStream_tbENKUlT_T0_E_clISt17integral_constantIbLb0EES13_EEDaSY_SZ_EUlSY_E_NS1_11comp_targetILNS1_3genE10ELNS1_11target_archE1201ELNS1_3gpuE5ELNS1_3repE0EEENS1_30default_config_static_selectorELNS0_4arch9wavefront6targetE1EEEvT1_,"axG",@progbits,_ZN7rocprim17ROCPRIM_400000_NS6detail17trampoline_kernelINS0_14default_configENS1_27scan_by_key_config_selectorIj11FixedVectorIiLj4EEEEZZNS1_16scan_by_key_implILNS1_25lookback_scan_determinismE0ELb0ES3_N6thrust23THRUST_200600_302600_NS6detail15normal_iteratorINSB_10device_ptrIjEEEENSD_INSE_IS6_EEEESI_S6_NSB_4plusIvEENSB_8equal_toIvEES6_EE10hipError_tPvRmT2_T3_T4_T5_mT6_T7_P12ihipStream_tbENKUlT_T0_E_clISt17integral_constantIbLb0EES13_EEDaSY_SZ_EUlSY_E_NS1_11comp_targetILNS1_3genE10ELNS1_11target_archE1201ELNS1_3gpuE5ELNS1_3repE0EEENS1_30default_config_static_selectorELNS0_4arch9wavefront6targetE1EEEvT1_,comdat
	.protected	_ZN7rocprim17ROCPRIM_400000_NS6detail17trampoline_kernelINS0_14default_configENS1_27scan_by_key_config_selectorIj11FixedVectorIiLj4EEEEZZNS1_16scan_by_key_implILNS1_25lookback_scan_determinismE0ELb0ES3_N6thrust23THRUST_200600_302600_NS6detail15normal_iteratorINSB_10device_ptrIjEEEENSD_INSE_IS6_EEEESI_S6_NSB_4plusIvEENSB_8equal_toIvEES6_EE10hipError_tPvRmT2_T3_T4_T5_mT6_T7_P12ihipStream_tbENKUlT_T0_E_clISt17integral_constantIbLb0EES13_EEDaSY_SZ_EUlSY_E_NS1_11comp_targetILNS1_3genE10ELNS1_11target_archE1201ELNS1_3gpuE5ELNS1_3repE0EEENS1_30default_config_static_selectorELNS0_4arch9wavefront6targetE1EEEvT1_ ; -- Begin function _ZN7rocprim17ROCPRIM_400000_NS6detail17trampoline_kernelINS0_14default_configENS1_27scan_by_key_config_selectorIj11FixedVectorIiLj4EEEEZZNS1_16scan_by_key_implILNS1_25lookback_scan_determinismE0ELb0ES3_N6thrust23THRUST_200600_302600_NS6detail15normal_iteratorINSB_10device_ptrIjEEEENSD_INSE_IS6_EEEESI_S6_NSB_4plusIvEENSB_8equal_toIvEES6_EE10hipError_tPvRmT2_T3_T4_T5_mT6_T7_P12ihipStream_tbENKUlT_T0_E_clISt17integral_constantIbLb0EES13_EEDaSY_SZ_EUlSY_E_NS1_11comp_targetILNS1_3genE10ELNS1_11target_archE1201ELNS1_3gpuE5ELNS1_3repE0EEENS1_30default_config_static_selectorELNS0_4arch9wavefront6targetE1EEEvT1_
	.globl	_ZN7rocprim17ROCPRIM_400000_NS6detail17trampoline_kernelINS0_14default_configENS1_27scan_by_key_config_selectorIj11FixedVectorIiLj4EEEEZZNS1_16scan_by_key_implILNS1_25lookback_scan_determinismE0ELb0ES3_N6thrust23THRUST_200600_302600_NS6detail15normal_iteratorINSB_10device_ptrIjEEEENSD_INSE_IS6_EEEESI_S6_NSB_4plusIvEENSB_8equal_toIvEES6_EE10hipError_tPvRmT2_T3_T4_T5_mT6_T7_P12ihipStream_tbENKUlT_T0_E_clISt17integral_constantIbLb0EES13_EEDaSY_SZ_EUlSY_E_NS1_11comp_targetILNS1_3genE10ELNS1_11target_archE1201ELNS1_3gpuE5ELNS1_3repE0EEENS1_30default_config_static_selectorELNS0_4arch9wavefront6targetE1EEEvT1_
	.p2align	8
	.type	_ZN7rocprim17ROCPRIM_400000_NS6detail17trampoline_kernelINS0_14default_configENS1_27scan_by_key_config_selectorIj11FixedVectorIiLj4EEEEZZNS1_16scan_by_key_implILNS1_25lookback_scan_determinismE0ELb0ES3_N6thrust23THRUST_200600_302600_NS6detail15normal_iteratorINSB_10device_ptrIjEEEENSD_INSE_IS6_EEEESI_S6_NSB_4plusIvEENSB_8equal_toIvEES6_EE10hipError_tPvRmT2_T3_T4_T5_mT6_T7_P12ihipStream_tbENKUlT_T0_E_clISt17integral_constantIbLb0EES13_EEDaSY_SZ_EUlSY_E_NS1_11comp_targetILNS1_3genE10ELNS1_11target_archE1201ELNS1_3gpuE5ELNS1_3repE0EEENS1_30default_config_static_selectorELNS0_4arch9wavefront6targetE1EEEvT1_,@function
_ZN7rocprim17ROCPRIM_400000_NS6detail17trampoline_kernelINS0_14default_configENS1_27scan_by_key_config_selectorIj11FixedVectorIiLj4EEEEZZNS1_16scan_by_key_implILNS1_25lookback_scan_determinismE0ELb0ES3_N6thrust23THRUST_200600_302600_NS6detail15normal_iteratorINSB_10device_ptrIjEEEENSD_INSE_IS6_EEEESI_S6_NSB_4plusIvEENSB_8equal_toIvEES6_EE10hipError_tPvRmT2_T3_T4_T5_mT6_T7_P12ihipStream_tbENKUlT_T0_E_clISt17integral_constantIbLb0EES13_EEDaSY_SZ_EUlSY_E_NS1_11comp_targetILNS1_3genE10ELNS1_11target_archE1201ELNS1_3gpuE5ELNS1_3repE0EEENS1_30default_config_static_selectorELNS0_4arch9wavefront6targetE1EEEvT1_: ; @_ZN7rocprim17ROCPRIM_400000_NS6detail17trampoline_kernelINS0_14default_configENS1_27scan_by_key_config_selectorIj11FixedVectorIiLj4EEEEZZNS1_16scan_by_key_implILNS1_25lookback_scan_determinismE0ELb0ES3_N6thrust23THRUST_200600_302600_NS6detail15normal_iteratorINSB_10device_ptrIjEEEENSD_INSE_IS6_EEEESI_S6_NSB_4plusIvEENSB_8equal_toIvEES6_EE10hipError_tPvRmT2_T3_T4_T5_mT6_T7_P12ihipStream_tbENKUlT_T0_E_clISt17integral_constantIbLb0EES13_EEDaSY_SZ_EUlSY_E_NS1_11comp_targetILNS1_3genE10ELNS1_11target_archE1201ELNS1_3gpuE5ELNS1_3repE0EEENS1_30default_config_static_selectorELNS0_4arch9wavefront6targetE1EEEvT1_
; %bb.0:
	.section	.rodata,"a",@progbits
	.p2align	6, 0x0
	.amdhsa_kernel _ZN7rocprim17ROCPRIM_400000_NS6detail17trampoline_kernelINS0_14default_configENS1_27scan_by_key_config_selectorIj11FixedVectorIiLj4EEEEZZNS1_16scan_by_key_implILNS1_25lookback_scan_determinismE0ELb0ES3_N6thrust23THRUST_200600_302600_NS6detail15normal_iteratorINSB_10device_ptrIjEEEENSD_INSE_IS6_EEEESI_S6_NSB_4plusIvEENSB_8equal_toIvEES6_EE10hipError_tPvRmT2_T3_T4_T5_mT6_T7_P12ihipStream_tbENKUlT_T0_E_clISt17integral_constantIbLb0EES13_EEDaSY_SZ_EUlSY_E_NS1_11comp_targetILNS1_3genE10ELNS1_11target_archE1201ELNS1_3gpuE5ELNS1_3repE0EEENS1_30default_config_static_selectorELNS0_4arch9wavefront6targetE1EEEvT1_
		.amdhsa_group_segment_fixed_size 0
		.amdhsa_private_segment_fixed_size 0
		.amdhsa_kernarg_size 144
		.amdhsa_user_sgpr_count 6
		.amdhsa_user_sgpr_private_segment_buffer 1
		.amdhsa_user_sgpr_dispatch_ptr 0
		.amdhsa_user_sgpr_queue_ptr 0
		.amdhsa_user_sgpr_kernarg_segment_ptr 1
		.amdhsa_user_sgpr_dispatch_id 0
		.amdhsa_user_sgpr_flat_scratch_init 0
		.amdhsa_user_sgpr_kernarg_preload_length 0
		.amdhsa_user_sgpr_kernarg_preload_offset 0
		.amdhsa_user_sgpr_private_segment_size 0
		.amdhsa_uses_dynamic_stack 0
		.amdhsa_system_sgpr_private_segment_wavefront_offset 0
		.amdhsa_system_sgpr_workgroup_id_x 1
		.amdhsa_system_sgpr_workgroup_id_y 0
		.amdhsa_system_sgpr_workgroup_id_z 0
		.amdhsa_system_sgpr_workgroup_info 0
		.amdhsa_system_vgpr_workitem_id 0
		.amdhsa_next_free_vgpr 1
		.amdhsa_next_free_sgpr 0
		.amdhsa_accum_offset 4
		.amdhsa_reserve_vcc 0
		.amdhsa_reserve_flat_scratch 0
		.amdhsa_float_round_mode_32 0
		.amdhsa_float_round_mode_16_64 0
		.amdhsa_float_denorm_mode_32 3
		.amdhsa_float_denorm_mode_16_64 3
		.amdhsa_dx10_clamp 1
		.amdhsa_ieee_mode 1
		.amdhsa_fp16_overflow 0
		.amdhsa_tg_split 0
		.amdhsa_exception_fp_ieee_invalid_op 0
		.amdhsa_exception_fp_denorm_src 0
		.amdhsa_exception_fp_ieee_div_zero 0
		.amdhsa_exception_fp_ieee_overflow 0
		.amdhsa_exception_fp_ieee_underflow 0
		.amdhsa_exception_fp_ieee_inexact 0
		.amdhsa_exception_int_div_zero 0
	.end_amdhsa_kernel
	.section	.text._ZN7rocprim17ROCPRIM_400000_NS6detail17trampoline_kernelINS0_14default_configENS1_27scan_by_key_config_selectorIj11FixedVectorIiLj4EEEEZZNS1_16scan_by_key_implILNS1_25lookback_scan_determinismE0ELb0ES3_N6thrust23THRUST_200600_302600_NS6detail15normal_iteratorINSB_10device_ptrIjEEEENSD_INSE_IS6_EEEESI_S6_NSB_4plusIvEENSB_8equal_toIvEES6_EE10hipError_tPvRmT2_T3_T4_T5_mT6_T7_P12ihipStream_tbENKUlT_T0_E_clISt17integral_constantIbLb0EES13_EEDaSY_SZ_EUlSY_E_NS1_11comp_targetILNS1_3genE10ELNS1_11target_archE1201ELNS1_3gpuE5ELNS1_3repE0EEENS1_30default_config_static_selectorELNS0_4arch9wavefront6targetE1EEEvT1_,"axG",@progbits,_ZN7rocprim17ROCPRIM_400000_NS6detail17trampoline_kernelINS0_14default_configENS1_27scan_by_key_config_selectorIj11FixedVectorIiLj4EEEEZZNS1_16scan_by_key_implILNS1_25lookback_scan_determinismE0ELb0ES3_N6thrust23THRUST_200600_302600_NS6detail15normal_iteratorINSB_10device_ptrIjEEEENSD_INSE_IS6_EEEESI_S6_NSB_4plusIvEENSB_8equal_toIvEES6_EE10hipError_tPvRmT2_T3_T4_T5_mT6_T7_P12ihipStream_tbENKUlT_T0_E_clISt17integral_constantIbLb0EES13_EEDaSY_SZ_EUlSY_E_NS1_11comp_targetILNS1_3genE10ELNS1_11target_archE1201ELNS1_3gpuE5ELNS1_3repE0EEENS1_30default_config_static_selectorELNS0_4arch9wavefront6targetE1EEEvT1_,comdat
.Lfunc_end2034:
	.size	_ZN7rocprim17ROCPRIM_400000_NS6detail17trampoline_kernelINS0_14default_configENS1_27scan_by_key_config_selectorIj11FixedVectorIiLj4EEEEZZNS1_16scan_by_key_implILNS1_25lookback_scan_determinismE0ELb0ES3_N6thrust23THRUST_200600_302600_NS6detail15normal_iteratorINSB_10device_ptrIjEEEENSD_INSE_IS6_EEEESI_S6_NSB_4plusIvEENSB_8equal_toIvEES6_EE10hipError_tPvRmT2_T3_T4_T5_mT6_T7_P12ihipStream_tbENKUlT_T0_E_clISt17integral_constantIbLb0EES13_EEDaSY_SZ_EUlSY_E_NS1_11comp_targetILNS1_3genE10ELNS1_11target_archE1201ELNS1_3gpuE5ELNS1_3repE0EEENS1_30default_config_static_selectorELNS0_4arch9wavefront6targetE1EEEvT1_, .Lfunc_end2034-_ZN7rocprim17ROCPRIM_400000_NS6detail17trampoline_kernelINS0_14default_configENS1_27scan_by_key_config_selectorIj11FixedVectorIiLj4EEEEZZNS1_16scan_by_key_implILNS1_25lookback_scan_determinismE0ELb0ES3_N6thrust23THRUST_200600_302600_NS6detail15normal_iteratorINSB_10device_ptrIjEEEENSD_INSE_IS6_EEEESI_S6_NSB_4plusIvEENSB_8equal_toIvEES6_EE10hipError_tPvRmT2_T3_T4_T5_mT6_T7_P12ihipStream_tbENKUlT_T0_E_clISt17integral_constantIbLb0EES13_EEDaSY_SZ_EUlSY_E_NS1_11comp_targetILNS1_3genE10ELNS1_11target_archE1201ELNS1_3gpuE5ELNS1_3repE0EEENS1_30default_config_static_selectorELNS0_4arch9wavefront6targetE1EEEvT1_
                                        ; -- End function
	.section	.AMDGPU.csdata,"",@progbits
; Kernel info:
; codeLenInByte = 0
; NumSgprs: 4
; NumVgprs: 0
; NumAgprs: 0
; TotalNumVgprs: 0
; ScratchSize: 0
; MemoryBound: 0
; FloatMode: 240
; IeeeMode: 1
; LDSByteSize: 0 bytes/workgroup (compile time only)
; SGPRBlocks: 0
; VGPRBlocks: 0
; NumSGPRsForWavesPerEU: 4
; NumVGPRsForWavesPerEU: 1
; AccumOffset: 4
; Occupancy: 8
; WaveLimiterHint : 0
; COMPUTE_PGM_RSRC2:SCRATCH_EN: 0
; COMPUTE_PGM_RSRC2:USER_SGPR: 6
; COMPUTE_PGM_RSRC2:TRAP_HANDLER: 0
; COMPUTE_PGM_RSRC2:TGID_X_EN: 1
; COMPUTE_PGM_RSRC2:TGID_Y_EN: 0
; COMPUTE_PGM_RSRC2:TGID_Z_EN: 0
; COMPUTE_PGM_RSRC2:TIDIG_COMP_CNT: 0
; COMPUTE_PGM_RSRC3_GFX90A:ACCUM_OFFSET: 0
; COMPUTE_PGM_RSRC3_GFX90A:TG_SPLIT: 0
	.section	.text._ZN7rocprim17ROCPRIM_400000_NS6detail17trampoline_kernelINS0_14default_configENS1_27scan_by_key_config_selectorIj11FixedVectorIiLj4EEEEZZNS1_16scan_by_key_implILNS1_25lookback_scan_determinismE0ELb0ES3_N6thrust23THRUST_200600_302600_NS6detail15normal_iteratorINSB_10device_ptrIjEEEENSD_INSE_IS6_EEEESI_S6_NSB_4plusIvEENSB_8equal_toIvEES6_EE10hipError_tPvRmT2_T3_T4_T5_mT6_T7_P12ihipStream_tbENKUlT_T0_E_clISt17integral_constantIbLb0EES13_EEDaSY_SZ_EUlSY_E_NS1_11comp_targetILNS1_3genE5ELNS1_11target_archE942ELNS1_3gpuE9ELNS1_3repE0EEENS1_30default_config_static_selectorELNS0_4arch9wavefront6targetE1EEEvT1_,"axG",@progbits,_ZN7rocprim17ROCPRIM_400000_NS6detail17trampoline_kernelINS0_14default_configENS1_27scan_by_key_config_selectorIj11FixedVectorIiLj4EEEEZZNS1_16scan_by_key_implILNS1_25lookback_scan_determinismE0ELb0ES3_N6thrust23THRUST_200600_302600_NS6detail15normal_iteratorINSB_10device_ptrIjEEEENSD_INSE_IS6_EEEESI_S6_NSB_4plusIvEENSB_8equal_toIvEES6_EE10hipError_tPvRmT2_T3_T4_T5_mT6_T7_P12ihipStream_tbENKUlT_T0_E_clISt17integral_constantIbLb0EES13_EEDaSY_SZ_EUlSY_E_NS1_11comp_targetILNS1_3genE5ELNS1_11target_archE942ELNS1_3gpuE9ELNS1_3repE0EEENS1_30default_config_static_selectorELNS0_4arch9wavefront6targetE1EEEvT1_,comdat
	.protected	_ZN7rocprim17ROCPRIM_400000_NS6detail17trampoline_kernelINS0_14default_configENS1_27scan_by_key_config_selectorIj11FixedVectorIiLj4EEEEZZNS1_16scan_by_key_implILNS1_25lookback_scan_determinismE0ELb0ES3_N6thrust23THRUST_200600_302600_NS6detail15normal_iteratorINSB_10device_ptrIjEEEENSD_INSE_IS6_EEEESI_S6_NSB_4plusIvEENSB_8equal_toIvEES6_EE10hipError_tPvRmT2_T3_T4_T5_mT6_T7_P12ihipStream_tbENKUlT_T0_E_clISt17integral_constantIbLb0EES13_EEDaSY_SZ_EUlSY_E_NS1_11comp_targetILNS1_3genE5ELNS1_11target_archE942ELNS1_3gpuE9ELNS1_3repE0EEENS1_30default_config_static_selectorELNS0_4arch9wavefront6targetE1EEEvT1_ ; -- Begin function _ZN7rocprim17ROCPRIM_400000_NS6detail17trampoline_kernelINS0_14default_configENS1_27scan_by_key_config_selectorIj11FixedVectorIiLj4EEEEZZNS1_16scan_by_key_implILNS1_25lookback_scan_determinismE0ELb0ES3_N6thrust23THRUST_200600_302600_NS6detail15normal_iteratorINSB_10device_ptrIjEEEENSD_INSE_IS6_EEEESI_S6_NSB_4plusIvEENSB_8equal_toIvEES6_EE10hipError_tPvRmT2_T3_T4_T5_mT6_T7_P12ihipStream_tbENKUlT_T0_E_clISt17integral_constantIbLb0EES13_EEDaSY_SZ_EUlSY_E_NS1_11comp_targetILNS1_3genE5ELNS1_11target_archE942ELNS1_3gpuE9ELNS1_3repE0EEENS1_30default_config_static_selectorELNS0_4arch9wavefront6targetE1EEEvT1_
	.globl	_ZN7rocprim17ROCPRIM_400000_NS6detail17trampoline_kernelINS0_14default_configENS1_27scan_by_key_config_selectorIj11FixedVectorIiLj4EEEEZZNS1_16scan_by_key_implILNS1_25lookback_scan_determinismE0ELb0ES3_N6thrust23THRUST_200600_302600_NS6detail15normal_iteratorINSB_10device_ptrIjEEEENSD_INSE_IS6_EEEESI_S6_NSB_4plusIvEENSB_8equal_toIvEES6_EE10hipError_tPvRmT2_T3_T4_T5_mT6_T7_P12ihipStream_tbENKUlT_T0_E_clISt17integral_constantIbLb0EES13_EEDaSY_SZ_EUlSY_E_NS1_11comp_targetILNS1_3genE5ELNS1_11target_archE942ELNS1_3gpuE9ELNS1_3repE0EEENS1_30default_config_static_selectorELNS0_4arch9wavefront6targetE1EEEvT1_
	.p2align	8
	.type	_ZN7rocprim17ROCPRIM_400000_NS6detail17trampoline_kernelINS0_14default_configENS1_27scan_by_key_config_selectorIj11FixedVectorIiLj4EEEEZZNS1_16scan_by_key_implILNS1_25lookback_scan_determinismE0ELb0ES3_N6thrust23THRUST_200600_302600_NS6detail15normal_iteratorINSB_10device_ptrIjEEEENSD_INSE_IS6_EEEESI_S6_NSB_4plusIvEENSB_8equal_toIvEES6_EE10hipError_tPvRmT2_T3_T4_T5_mT6_T7_P12ihipStream_tbENKUlT_T0_E_clISt17integral_constantIbLb0EES13_EEDaSY_SZ_EUlSY_E_NS1_11comp_targetILNS1_3genE5ELNS1_11target_archE942ELNS1_3gpuE9ELNS1_3repE0EEENS1_30default_config_static_selectorELNS0_4arch9wavefront6targetE1EEEvT1_,@function
_ZN7rocprim17ROCPRIM_400000_NS6detail17trampoline_kernelINS0_14default_configENS1_27scan_by_key_config_selectorIj11FixedVectorIiLj4EEEEZZNS1_16scan_by_key_implILNS1_25lookback_scan_determinismE0ELb0ES3_N6thrust23THRUST_200600_302600_NS6detail15normal_iteratorINSB_10device_ptrIjEEEENSD_INSE_IS6_EEEESI_S6_NSB_4plusIvEENSB_8equal_toIvEES6_EE10hipError_tPvRmT2_T3_T4_T5_mT6_T7_P12ihipStream_tbENKUlT_T0_E_clISt17integral_constantIbLb0EES13_EEDaSY_SZ_EUlSY_E_NS1_11comp_targetILNS1_3genE5ELNS1_11target_archE942ELNS1_3gpuE9ELNS1_3repE0EEENS1_30default_config_static_selectorELNS0_4arch9wavefront6targetE1EEEvT1_: ; @_ZN7rocprim17ROCPRIM_400000_NS6detail17trampoline_kernelINS0_14default_configENS1_27scan_by_key_config_selectorIj11FixedVectorIiLj4EEEEZZNS1_16scan_by_key_implILNS1_25lookback_scan_determinismE0ELb0ES3_N6thrust23THRUST_200600_302600_NS6detail15normal_iteratorINSB_10device_ptrIjEEEENSD_INSE_IS6_EEEESI_S6_NSB_4plusIvEENSB_8equal_toIvEES6_EE10hipError_tPvRmT2_T3_T4_T5_mT6_T7_P12ihipStream_tbENKUlT_T0_E_clISt17integral_constantIbLb0EES13_EEDaSY_SZ_EUlSY_E_NS1_11comp_targetILNS1_3genE5ELNS1_11target_archE942ELNS1_3gpuE9ELNS1_3repE0EEENS1_30default_config_static_selectorELNS0_4arch9wavefront6targetE1EEEvT1_
; %bb.0:
	.section	.rodata,"a",@progbits
	.p2align	6, 0x0
	.amdhsa_kernel _ZN7rocprim17ROCPRIM_400000_NS6detail17trampoline_kernelINS0_14default_configENS1_27scan_by_key_config_selectorIj11FixedVectorIiLj4EEEEZZNS1_16scan_by_key_implILNS1_25lookback_scan_determinismE0ELb0ES3_N6thrust23THRUST_200600_302600_NS6detail15normal_iteratorINSB_10device_ptrIjEEEENSD_INSE_IS6_EEEESI_S6_NSB_4plusIvEENSB_8equal_toIvEES6_EE10hipError_tPvRmT2_T3_T4_T5_mT6_T7_P12ihipStream_tbENKUlT_T0_E_clISt17integral_constantIbLb0EES13_EEDaSY_SZ_EUlSY_E_NS1_11comp_targetILNS1_3genE5ELNS1_11target_archE942ELNS1_3gpuE9ELNS1_3repE0EEENS1_30default_config_static_selectorELNS0_4arch9wavefront6targetE1EEEvT1_
		.amdhsa_group_segment_fixed_size 0
		.amdhsa_private_segment_fixed_size 0
		.amdhsa_kernarg_size 144
		.amdhsa_user_sgpr_count 6
		.amdhsa_user_sgpr_private_segment_buffer 1
		.amdhsa_user_sgpr_dispatch_ptr 0
		.amdhsa_user_sgpr_queue_ptr 0
		.amdhsa_user_sgpr_kernarg_segment_ptr 1
		.amdhsa_user_sgpr_dispatch_id 0
		.amdhsa_user_sgpr_flat_scratch_init 0
		.amdhsa_user_sgpr_kernarg_preload_length 0
		.amdhsa_user_sgpr_kernarg_preload_offset 0
		.amdhsa_user_sgpr_private_segment_size 0
		.amdhsa_uses_dynamic_stack 0
		.amdhsa_system_sgpr_private_segment_wavefront_offset 0
		.amdhsa_system_sgpr_workgroup_id_x 1
		.amdhsa_system_sgpr_workgroup_id_y 0
		.amdhsa_system_sgpr_workgroup_id_z 0
		.amdhsa_system_sgpr_workgroup_info 0
		.amdhsa_system_vgpr_workitem_id 0
		.amdhsa_next_free_vgpr 1
		.amdhsa_next_free_sgpr 0
		.amdhsa_accum_offset 4
		.amdhsa_reserve_vcc 0
		.amdhsa_reserve_flat_scratch 0
		.amdhsa_float_round_mode_32 0
		.amdhsa_float_round_mode_16_64 0
		.amdhsa_float_denorm_mode_32 3
		.amdhsa_float_denorm_mode_16_64 3
		.amdhsa_dx10_clamp 1
		.amdhsa_ieee_mode 1
		.amdhsa_fp16_overflow 0
		.amdhsa_tg_split 0
		.amdhsa_exception_fp_ieee_invalid_op 0
		.amdhsa_exception_fp_denorm_src 0
		.amdhsa_exception_fp_ieee_div_zero 0
		.amdhsa_exception_fp_ieee_overflow 0
		.amdhsa_exception_fp_ieee_underflow 0
		.amdhsa_exception_fp_ieee_inexact 0
		.amdhsa_exception_int_div_zero 0
	.end_amdhsa_kernel
	.section	.text._ZN7rocprim17ROCPRIM_400000_NS6detail17trampoline_kernelINS0_14default_configENS1_27scan_by_key_config_selectorIj11FixedVectorIiLj4EEEEZZNS1_16scan_by_key_implILNS1_25lookback_scan_determinismE0ELb0ES3_N6thrust23THRUST_200600_302600_NS6detail15normal_iteratorINSB_10device_ptrIjEEEENSD_INSE_IS6_EEEESI_S6_NSB_4plusIvEENSB_8equal_toIvEES6_EE10hipError_tPvRmT2_T3_T4_T5_mT6_T7_P12ihipStream_tbENKUlT_T0_E_clISt17integral_constantIbLb0EES13_EEDaSY_SZ_EUlSY_E_NS1_11comp_targetILNS1_3genE5ELNS1_11target_archE942ELNS1_3gpuE9ELNS1_3repE0EEENS1_30default_config_static_selectorELNS0_4arch9wavefront6targetE1EEEvT1_,"axG",@progbits,_ZN7rocprim17ROCPRIM_400000_NS6detail17trampoline_kernelINS0_14default_configENS1_27scan_by_key_config_selectorIj11FixedVectorIiLj4EEEEZZNS1_16scan_by_key_implILNS1_25lookback_scan_determinismE0ELb0ES3_N6thrust23THRUST_200600_302600_NS6detail15normal_iteratorINSB_10device_ptrIjEEEENSD_INSE_IS6_EEEESI_S6_NSB_4plusIvEENSB_8equal_toIvEES6_EE10hipError_tPvRmT2_T3_T4_T5_mT6_T7_P12ihipStream_tbENKUlT_T0_E_clISt17integral_constantIbLb0EES13_EEDaSY_SZ_EUlSY_E_NS1_11comp_targetILNS1_3genE5ELNS1_11target_archE942ELNS1_3gpuE9ELNS1_3repE0EEENS1_30default_config_static_selectorELNS0_4arch9wavefront6targetE1EEEvT1_,comdat
.Lfunc_end2035:
	.size	_ZN7rocprim17ROCPRIM_400000_NS6detail17trampoline_kernelINS0_14default_configENS1_27scan_by_key_config_selectorIj11FixedVectorIiLj4EEEEZZNS1_16scan_by_key_implILNS1_25lookback_scan_determinismE0ELb0ES3_N6thrust23THRUST_200600_302600_NS6detail15normal_iteratorINSB_10device_ptrIjEEEENSD_INSE_IS6_EEEESI_S6_NSB_4plusIvEENSB_8equal_toIvEES6_EE10hipError_tPvRmT2_T3_T4_T5_mT6_T7_P12ihipStream_tbENKUlT_T0_E_clISt17integral_constantIbLb0EES13_EEDaSY_SZ_EUlSY_E_NS1_11comp_targetILNS1_3genE5ELNS1_11target_archE942ELNS1_3gpuE9ELNS1_3repE0EEENS1_30default_config_static_selectorELNS0_4arch9wavefront6targetE1EEEvT1_, .Lfunc_end2035-_ZN7rocprim17ROCPRIM_400000_NS6detail17trampoline_kernelINS0_14default_configENS1_27scan_by_key_config_selectorIj11FixedVectorIiLj4EEEEZZNS1_16scan_by_key_implILNS1_25lookback_scan_determinismE0ELb0ES3_N6thrust23THRUST_200600_302600_NS6detail15normal_iteratorINSB_10device_ptrIjEEEENSD_INSE_IS6_EEEESI_S6_NSB_4plusIvEENSB_8equal_toIvEES6_EE10hipError_tPvRmT2_T3_T4_T5_mT6_T7_P12ihipStream_tbENKUlT_T0_E_clISt17integral_constantIbLb0EES13_EEDaSY_SZ_EUlSY_E_NS1_11comp_targetILNS1_3genE5ELNS1_11target_archE942ELNS1_3gpuE9ELNS1_3repE0EEENS1_30default_config_static_selectorELNS0_4arch9wavefront6targetE1EEEvT1_
                                        ; -- End function
	.section	.AMDGPU.csdata,"",@progbits
; Kernel info:
; codeLenInByte = 0
; NumSgprs: 4
; NumVgprs: 0
; NumAgprs: 0
; TotalNumVgprs: 0
; ScratchSize: 0
; MemoryBound: 0
; FloatMode: 240
; IeeeMode: 1
; LDSByteSize: 0 bytes/workgroup (compile time only)
; SGPRBlocks: 0
; VGPRBlocks: 0
; NumSGPRsForWavesPerEU: 4
; NumVGPRsForWavesPerEU: 1
; AccumOffset: 4
; Occupancy: 8
; WaveLimiterHint : 0
; COMPUTE_PGM_RSRC2:SCRATCH_EN: 0
; COMPUTE_PGM_RSRC2:USER_SGPR: 6
; COMPUTE_PGM_RSRC2:TRAP_HANDLER: 0
; COMPUTE_PGM_RSRC2:TGID_X_EN: 1
; COMPUTE_PGM_RSRC2:TGID_Y_EN: 0
; COMPUTE_PGM_RSRC2:TGID_Z_EN: 0
; COMPUTE_PGM_RSRC2:TIDIG_COMP_CNT: 0
; COMPUTE_PGM_RSRC3_GFX90A:ACCUM_OFFSET: 0
; COMPUTE_PGM_RSRC3_GFX90A:TG_SPLIT: 0
	.section	.text._ZN7rocprim17ROCPRIM_400000_NS6detail17trampoline_kernelINS0_14default_configENS1_27scan_by_key_config_selectorIj11FixedVectorIiLj4EEEEZZNS1_16scan_by_key_implILNS1_25lookback_scan_determinismE0ELb0ES3_N6thrust23THRUST_200600_302600_NS6detail15normal_iteratorINSB_10device_ptrIjEEEENSD_INSE_IS6_EEEESI_S6_NSB_4plusIvEENSB_8equal_toIvEES6_EE10hipError_tPvRmT2_T3_T4_T5_mT6_T7_P12ihipStream_tbENKUlT_T0_E_clISt17integral_constantIbLb0EES13_EEDaSY_SZ_EUlSY_E_NS1_11comp_targetILNS1_3genE4ELNS1_11target_archE910ELNS1_3gpuE8ELNS1_3repE0EEENS1_30default_config_static_selectorELNS0_4arch9wavefront6targetE1EEEvT1_,"axG",@progbits,_ZN7rocprim17ROCPRIM_400000_NS6detail17trampoline_kernelINS0_14default_configENS1_27scan_by_key_config_selectorIj11FixedVectorIiLj4EEEEZZNS1_16scan_by_key_implILNS1_25lookback_scan_determinismE0ELb0ES3_N6thrust23THRUST_200600_302600_NS6detail15normal_iteratorINSB_10device_ptrIjEEEENSD_INSE_IS6_EEEESI_S6_NSB_4plusIvEENSB_8equal_toIvEES6_EE10hipError_tPvRmT2_T3_T4_T5_mT6_T7_P12ihipStream_tbENKUlT_T0_E_clISt17integral_constantIbLb0EES13_EEDaSY_SZ_EUlSY_E_NS1_11comp_targetILNS1_3genE4ELNS1_11target_archE910ELNS1_3gpuE8ELNS1_3repE0EEENS1_30default_config_static_selectorELNS0_4arch9wavefront6targetE1EEEvT1_,comdat
	.protected	_ZN7rocprim17ROCPRIM_400000_NS6detail17trampoline_kernelINS0_14default_configENS1_27scan_by_key_config_selectorIj11FixedVectorIiLj4EEEEZZNS1_16scan_by_key_implILNS1_25lookback_scan_determinismE0ELb0ES3_N6thrust23THRUST_200600_302600_NS6detail15normal_iteratorINSB_10device_ptrIjEEEENSD_INSE_IS6_EEEESI_S6_NSB_4plusIvEENSB_8equal_toIvEES6_EE10hipError_tPvRmT2_T3_T4_T5_mT6_T7_P12ihipStream_tbENKUlT_T0_E_clISt17integral_constantIbLb0EES13_EEDaSY_SZ_EUlSY_E_NS1_11comp_targetILNS1_3genE4ELNS1_11target_archE910ELNS1_3gpuE8ELNS1_3repE0EEENS1_30default_config_static_selectorELNS0_4arch9wavefront6targetE1EEEvT1_ ; -- Begin function _ZN7rocprim17ROCPRIM_400000_NS6detail17trampoline_kernelINS0_14default_configENS1_27scan_by_key_config_selectorIj11FixedVectorIiLj4EEEEZZNS1_16scan_by_key_implILNS1_25lookback_scan_determinismE0ELb0ES3_N6thrust23THRUST_200600_302600_NS6detail15normal_iteratorINSB_10device_ptrIjEEEENSD_INSE_IS6_EEEESI_S6_NSB_4plusIvEENSB_8equal_toIvEES6_EE10hipError_tPvRmT2_T3_T4_T5_mT6_T7_P12ihipStream_tbENKUlT_T0_E_clISt17integral_constantIbLb0EES13_EEDaSY_SZ_EUlSY_E_NS1_11comp_targetILNS1_3genE4ELNS1_11target_archE910ELNS1_3gpuE8ELNS1_3repE0EEENS1_30default_config_static_selectorELNS0_4arch9wavefront6targetE1EEEvT1_
	.globl	_ZN7rocprim17ROCPRIM_400000_NS6detail17trampoline_kernelINS0_14default_configENS1_27scan_by_key_config_selectorIj11FixedVectorIiLj4EEEEZZNS1_16scan_by_key_implILNS1_25lookback_scan_determinismE0ELb0ES3_N6thrust23THRUST_200600_302600_NS6detail15normal_iteratorINSB_10device_ptrIjEEEENSD_INSE_IS6_EEEESI_S6_NSB_4plusIvEENSB_8equal_toIvEES6_EE10hipError_tPvRmT2_T3_T4_T5_mT6_T7_P12ihipStream_tbENKUlT_T0_E_clISt17integral_constantIbLb0EES13_EEDaSY_SZ_EUlSY_E_NS1_11comp_targetILNS1_3genE4ELNS1_11target_archE910ELNS1_3gpuE8ELNS1_3repE0EEENS1_30default_config_static_selectorELNS0_4arch9wavefront6targetE1EEEvT1_
	.p2align	8
	.type	_ZN7rocprim17ROCPRIM_400000_NS6detail17trampoline_kernelINS0_14default_configENS1_27scan_by_key_config_selectorIj11FixedVectorIiLj4EEEEZZNS1_16scan_by_key_implILNS1_25lookback_scan_determinismE0ELb0ES3_N6thrust23THRUST_200600_302600_NS6detail15normal_iteratorINSB_10device_ptrIjEEEENSD_INSE_IS6_EEEESI_S6_NSB_4plusIvEENSB_8equal_toIvEES6_EE10hipError_tPvRmT2_T3_T4_T5_mT6_T7_P12ihipStream_tbENKUlT_T0_E_clISt17integral_constantIbLb0EES13_EEDaSY_SZ_EUlSY_E_NS1_11comp_targetILNS1_3genE4ELNS1_11target_archE910ELNS1_3gpuE8ELNS1_3repE0EEENS1_30default_config_static_selectorELNS0_4arch9wavefront6targetE1EEEvT1_,@function
_ZN7rocprim17ROCPRIM_400000_NS6detail17trampoline_kernelINS0_14default_configENS1_27scan_by_key_config_selectorIj11FixedVectorIiLj4EEEEZZNS1_16scan_by_key_implILNS1_25lookback_scan_determinismE0ELb0ES3_N6thrust23THRUST_200600_302600_NS6detail15normal_iteratorINSB_10device_ptrIjEEEENSD_INSE_IS6_EEEESI_S6_NSB_4plusIvEENSB_8equal_toIvEES6_EE10hipError_tPvRmT2_T3_T4_T5_mT6_T7_P12ihipStream_tbENKUlT_T0_E_clISt17integral_constantIbLb0EES13_EEDaSY_SZ_EUlSY_E_NS1_11comp_targetILNS1_3genE4ELNS1_11target_archE910ELNS1_3gpuE8ELNS1_3repE0EEENS1_30default_config_static_selectorELNS0_4arch9wavefront6targetE1EEEvT1_: ; @_ZN7rocprim17ROCPRIM_400000_NS6detail17trampoline_kernelINS0_14default_configENS1_27scan_by_key_config_selectorIj11FixedVectorIiLj4EEEEZZNS1_16scan_by_key_implILNS1_25lookback_scan_determinismE0ELb0ES3_N6thrust23THRUST_200600_302600_NS6detail15normal_iteratorINSB_10device_ptrIjEEEENSD_INSE_IS6_EEEESI_S6_NSB_4plusIvEENSB_8equal_toIvEES6_EE10hipError_tPvRmT2_T3_T4_T5_mT6_T7_P12ihipStream_tbENKUlT_T0_E_clISt17integral_constantIbLb0EES13_EEDaSY_SZ_EUlSY_E_NS1_11comp_targetILNS1_3genE4ELNS1_11target_archE910ELNS1_3gpuE8ELNS1_3repE0EEENS1_30default_config_static_selectorELNS0_4arch9wavefront6targetE1EEEvT1_
; %bb.0:
	s_add_u32 flat_scratch_lo, s6, s9
	s_load_dwordx8 s[12:19], s[4:5], 0x0
	s_load_dwordx8 s[20:27], s[4:5], 0x38
	s_load_dwordx2 s[34:35], s[4:5], 0x58
	s_load_dword s6, s[4:5], 0x60
	s_load_dwordx8 s[36:43], s[4:5], 0x68
	s_addc_u32 flat_scratch_hi, s7, 0
	s_add_u32 s0, s0, s9
	s_addc_u32 s1, s1, 0
	v_mov_b32_e32 v1, 0
	s_mov_b32 s4, 0
	v_mov_b32_e32 v2, 0xd0
	s_waitcnt lgkmcnt(0)
	s_barrier
	buffer_store_dword v1, off, s[0:3], 0 offset:220
	buffer_store_dword v1, off, s[0:3], 0 offset:216
	buffer_store_dword v1, off, s[0:3], 0 offset:212
	buffer_store_dword v1, off, s[0:3], 0 offset:208
	buffer_store_dword v1, off, s[0:3], 0 offset:224
.LBB2036_1:                             ; =>This Inner Loop Header: Depth=1
	v_add_u32_e32 v3, s4, v2
	s_add_i32 s4, s4, 8
	s_cmp_lg_u32 s4, 16
	buffer_store_dword v1, v3, s[0:3], 0 offen offset:4
	buffer_store_dword v1, v3, s[0:3], 0 offen
	s_cbranch_scc1 .LBB2036_1
; %bb.2:
	v_mov_b32_e32 v2, 0xd0
	v_mov_b32_e32 v1, 0
	s_mov_b32 s4, 20
	v_add_u32_e32 v7, 20, v2
	buffer_store_byte v1, off, s[0:3], 0 offset:224
	buffer_store_dword v1, off, s[0:3], 0 offset:240
	buffer_store_dword v1, off, s[0:3], 0 offset:236
	buffer_store_dword v1, off, s[0:3], 0 offset:232
	buffer_store_dword v1, off, s[0:3], 0 offset:228
	buffer_store_dword v1, off, s[0:3], 0 offset:244
.LBB2036_3:                             ; =>This Inner Loop Header: Depth=1
	v_add_u32_e32 v3, s4, v2
	s_add_i32 s4, s4, 8
	s_cmp_lg_u32 s4, 36
	buffer_store_dword v1, v3, s[0:3], 0 offen offset:4
	buffer_store_dword v1, v3, s[0:3], 0 offen
	s_cbranch_scc1 .LBB2036_3
; %bb.4:
	v_mov_b32_e32 v2, 0xd0
	v_mov_b32_e32 v1, 0
	s_mov_b32 s4, 40
	v_add_u32_e32 v10, 40, v2
	buffer_store_byte v1, off, s[0:3], 0 offset:244
	;; [unrolled: 18-line block ×3, first 2 shown]
	buffer_store_dword v1, off, s[0:3], 0 offset:280
	buffer_store_dword v1, off, s[0:3], 0 offset:276
	;; [unrolled: 1-line block ×5, first 2 shown]
.LBB2036_7:                             ; =>This Inner Loop Header: Depth=1
	v_add_u32_e32 v3, s4, v2
	s_add_i32 s4, s4, 8
	s_cmpk_lg_i32 s4, 0x4c
	buffer_store_dword v1, v3, s[0:3], 0 offen offset:4
	buffer_store_dword v1, v3, s[0:3], 0 offen
	s_cbranch_scc1 .LBB2036_7
; %bb.8:
	v_mov_b32_e32 v2, 0xd0
	v_mov_b32_e32 v1, 0
	s_movk_i32 s4, 0x50
	v_add_u32_e32 v12, 0x50, v2
	buffer_store_byte v1, off, s[0:3], 0 offset:284
	buffer_store_dword v1, off, s[0:3], 0 offset:300
	buffer_store_dword v1, off, s[0:3], 0 offset:296
	;; [unrolled: 1-line block ×5, first 2 shown]
.LBB2036_9:                             ; =>This Inner Loop Header: Depth=1
	v_add_u32_e32 v3, s4, v2
	s_add_i32 s4, s4, 8
	s_cmpk_lg_i32 s4, 0x60
	buffer_store_dword v1, v3, s[0:3], 0 offen offset:4
	buffer_store_dword v1, v3, s[0:3], 0 offen
	s_cbranch_scc1 .LBB2036_9
; %bb.10:
	s_mov_b32 s4, 0
	v_mov_b32_e32 v1, 0
	v_mov_b32_e32 v2, 0x60
	buffer_store_byte v1, off, s[0:3], 0 offset:304
.LBB2036_11:                            ; =>This Inner Loop Header: Depth=1
	v_add_u32_e32 v3, s4, v2
	s_add_i32 s4, s4, 8
	s_cmp_lg_u32 s4, 16
	buffer_store_dword v1, v3, s[0:3], 0 offen offset:4
	buffer_store_dword v1, v3, s[0:3], 0 offen
	s_cbranch_scc1 .LBB2036_11
; %bb.12:
	s_mov_b32 s4, 16
	v_mov_b32_e32 v1, 0x60
	v_mov_b32_e32 v2, 0
.LBB2036_13:                            ; =>This Inner Loop Header: Depth=1
	v_add_u32_e32 v3, s4, v1
	s_add_i32 s4, s4, 8
	s_cmp_lg_u32 s4, 32
	buffer_store_dword v2, v3, s[0:3], 0 offen offset:4
	buffer_store_dword v2, v3, s[0:3], 0 offen
	s_cbranch_scc1 .LBB2036_13
; %bb.14:
	s_mov_b32 s4, 32
	v_mov_b32_e32 v1, 0x60
	v_mov_b32_e32 v2, 0
	;; [unrolled: 11-line block ×4, first 2 shown]
.LBB2036_19:                            ; =>This Inner Loop Header: Depth=1
	v_add_u32_e32 v3, s4, v1
	s_add_i32 s4, s4, 8
	s_cmpk_lg_i32 s4, 0x50
	buffer_store_dword v2, v3, s[0:3], 0 offen offset:4
	buffer_store_dword v2, v3, s[0:3], 0 offen
	s_cbranch_scc1 .LBB2036_19
; %bb.20:
	s_cmp_lg_u64 s[40:41], 0
	s_mul_i32 s5, s35, s6
	s_mul_hi_u32 s7, s34, s6
	s_cselect_b64 s[44:45], -1, 0
	s_add_i32 s10, s7, s5
	s_lshl_b64 s[28:29], s[14:15], 4
	s_add_u32 s9, s16, s28
	s_mul_i32 s11, s34, s6
	s_addc_u32 s16, s17, s29
	s_lshl_b64 s[6:7], s[14:15], 2
	s_mul_i32 s4, s8, 0x500
	s_add_u32 s12, s12, s6
	s_mov_b32 s5, 0
	s_addc_u32 s13, s13, s7
	s_lshl_b64 s[6:7], s[4:5], 2
	s_add_u32 s40, s12, s6
	s_addc_u32 s41, s13, s7
	s_lshl_b64 s[30:31], s[4:5], 4
	s_add_u32 s9, s9, s30
	s_addc_u32 s33, s16, s31
	s_add_u32 s46, s11, s8
	s_addc_u32 s47, s10, 0
	s_add_u32 s6, s36, -1
	v_mov_b32_e32 v2, 0x60
	s_addc_u32 s7, s37, -1
	v_add_u32_e32 v1, 64, v2
	v_add_u32_e32 v6, 48, v2
	;; [unrolled: 1-line block ×4, first 2 shown]
	v_pk_mov_b32 v[2:3], s[6:7], s[6:7] op_sel:[0,1]
	v_cmp_ge_u64_e64 s[4:5], s[46:47], v[2:3]
	s_mov_b64 s[48:49], 0
	s_mov_b64 s[10:11], -1
	s_and_b64 vcc, exec, s[4:5]
	s_mul_i32 s27, s6, 0xfffffb00
                                        ; implicit-def: $sgpr6_sgpr7
	s_cbranch_vccnz .LBB2036_335
; %bb.21:
	s_and_b64 vcc, exec, s[10:11]
	v_lshlrev_b32_e32 v13, 4, v0
	s_cbranch_vccnz .LBB2036_366
.LBB2036_22:
	s_and_saveexec_b64 s[10:11], s[48:49]
	s_cbranch_execz .LBB2036_24
.LBB2036_23:
	buffer_load_dword v2, v1, s[0:3], 0 offen offset:12
	buffer_load_dword v3, v1, s[0:3], 0 offen offset:8
	;; [unrolled: 1-line block ×3, first 2 shown]
	buffer_load_dword v5, v1, s[0:3], 0 offen
                                        ; kill: killed $vgpr1
	v_cndmask_b32_e64 v1, 0, 1, s[6:7]
	s_waitcnt vmcnt(3)
	buffer_store_dword v2, v12, s[0:3], 0 offen offset:12
	s_waitcnt vmcnt(3)
	buffer_store_dword v3, v12, s[0:3], 0 offen offset:8
	;; [unrolled: 2-line block ×3, first 2 shown]
	s_waitcnt vmcnt(3)
	buffer_store_dword v5, v12, s[0:3], 0 offen
	buffer_store_byte v1, off, s[0:3], 0 offset:304
.LBB2036_24:
	s_or_b64 exec, exec, s[10:11]
	s_cmp_lg_u32 s8, 0
	s_mov_b32 s6, 0
	s_barrier
	s_cbranch_scc0 .LBB2036_374
; %bb.25:
	v_mov_b32_e32 v1, 0
	v_mov_b32_e32 v2, 0x60
	buffer_store_dword v1, off, s[0:3], 0 offset:112
.LBB2036_26:                            ; =>This Inner Loop Header: Depth=1
	v_add_u32_e32 v3, s6, v2
	s_add_i32 s6, s6, 8
	s_cmp_lg_u32 s6, 16
	buffer_store_dword v1, v3, s[0:3], 0 offen offset:4
	buffer_store_dword v1, v3, s[0:3], 0 offen
	s_cbranch_scc1 .LBB2036_26
; %bb.27:
	buffer_load_dword v1, off, s[0:3], 0 offset:220
	buffer_load_dword v2, off, s[0:3], 0 offset:216
	;; [unrolled: 1-line block ×4, first 2 shown]
	buffer_load_ubyte v8, off, s[0:3], 0 offset:244
	buffer_load_ubyte v6, off, s[0:3], 0 offset:224
	s_waitcnt vmcnt(5)
	buffer_store_dword v1, off, s[0:3], 0 offset:108
	s_waitcnt vmcnt(5)
	buffer_store_dword v2, off, s[0:3], 0 offset:104
	;; [unrolled: 2-line block ×4, first 2 shown]
	s_waitcnt vmcnt(5)
	v_cmp_ne_u16_e32 vcc, 0, v8
                                        ; implicit-def: $vgpr4_vgpr5
                                        ; implicit-def: $vgpr2_vgpr3
	s_and_saveexec_b64 s[6:7], vcc
	s_xor_b64 s[6:7], exec, s[6:7]
	s_cbranch_execz .LBB2036_29
; %bb.28:
	buffer_load_dword v2, off, s[0:3], 0 offset:228
	buffer_load_dword v3, off, s[0:3], 0 offset:232
	;; [unrolled: 1-line block ×4, first 2 shown]
.LBB2036_29:
	s_andn2_saveexec_b64 s[6:7], s[6:7]
	s_cbranch_execz .LBB2036_35
; %bb.30:
	s_mov_b32 s9, 0
	v_mov_b32_e32 v1, 16
	s_waitcnt vmcnt(3)
	v_mov_b32_e32 v2, 0
	s_waitcnt vmcnt(0)
.LBB2036_31:                            ; =>This Inner Loop Header: Depth=1
	v_add_u32_e32 v3, s9, v1
	s_add_i32 s9, s9, 8
	s_cmp_lg_u32 s9, 16
	buffer_store_dword v2, v3, s[0:3], 0 offen offset:4
	buffer_store_dword v2, v3, s[0:3], 0 offen
	s_cbranch_scc1 .LBB2036_31
; %bb.32:
	s_mov_b32 s9, 0
	v_mov_b32_e32 v1, 0x60
	v_mov_b32_e32 v2, 0xd0
	;; [unrolled: 1-line block ×3, first 2 shown]
.LBB2036_33:                            ; =>This Inner Loop Header: Depth=1
	v_add_u32_e32 v4, s9, v1
	v_add_u32_e32 v5, s9, v2
	buffer_load_dword v9, v4, s[0:3], 0 offen offset:4
	buffer_load_dword v14, v5, s[0:3], 0 offen offset:20
	buffer_load_dword v15, v4, s[0:3], 0 offen
	buffer_load_dword v16, v5, s[0:3], 0 offen offset:24
                                        ; kill: killed $vgpr4
	v_add_u32_e32 v4, s9, v3
	s_add_i32 s9, s9, 8
	s_cmp_lg_u32 s9, 16
                                        ; kill: killed $vgpr5
	s_waitcnt vmcnt(1)
	v_add_u32_e32 v5, v14, v15
	s_waitcnt vmcnt(0)
	v_add_u32_e32 v9, v16, v9
	buffer_store_dword v9, v4, s[0:3], 0 offen offset:4
	buffer_store_dword v5, v4, s[0:3], 0 offen
	s_cbranch_scc1 .LBB2036_33
; %bb.34:
	buffer_load_dword v2, off, s[0:3], 0 offset:16
	buffer_load_dword v3, off, s[0:3], 0 offset:20
	;; [unrolled: 1-line block ×4, first 2 shown]
.LBB2036_35:
	s_or_b64 exec, exec, s[6:7]
	buffer_load_ubyte v1, off, s[0:3], 0 offset:264
	s_waitcnt vmcnt(3)
	buffer_store_dword v3, off, s[0:3], 0 offset:100
	buffer_store_dword v2, off, s[0:3], 0 offset:96
	s_waitcnt vmcnt(3)
	buffer_store_dword v5, off, s[0:3], 0 offset:108
	buffer_store_dword v4, off, s[0:3], 0 offset:104
                                        ; implicit-def: $vgpr4_vgpr5
                                        ; implicit-def: $vgpr2_vgpr3
	s_waitcnt vmcnt(4)
	v_cmp_ne_u16_e32 vcc, 0, v1
	s_and_saveexec_b64 s[6:7], vcc
	s_xor_b64 s[6:7], exec, s[6:7]
	s_cbranch_execz .LBB2036_37
; %bb.36:
	buffer_load_dword v2, off, s[0:3], 0 offset:248
	buffer_load_dword v3, off, s[0:3], 0 offset:252
	;; [unrolled: 1-line block ×4, first 2 shown]
.LBB2036_37:
	s_andn2_saveexec_b64 s[6:7], s[6:7]
	s_cbranch_execz .LBB2036_43
; %bb.38:
	s_mov_b32 s9, 0
	s_waitcnt vmcnt(3)
	v_mov_b32_e32 v2, 16
	s_waitcnt vmcnt(2)
	v_mov_b32_e32 v3, 0
	s_waitcnt vmcnt(0)
.LBB2036_39:                            ; =>This Inner Loop Header: Depth=1
	v_add_u32_e32 v4, s9, v2
	s_add_i32 s9, s9, 8
	s_cmp_lg_u32 s9, 16
	buffer_store_dword v3, v4, s[0:3], 0 offen offset:4
	buffer_store_dword v3, v4, s[0:3], 0 offen
	s_cbranch_scc1 .LBB2036_39
; %bb.40:
	s_mov_b32 s9, 0
	v_mov_b32_e32 v2, 0x60
	v_mov_b32_e32 v3, 0xd0
	;; [unrolled: 1-line block ×3, first 2 shown]
.LBB2036_41:                            ; =>This Inner Loop Header: Depth=1
	v_add_u32_e32 v5, s9, v2
	v_add_u32_e32 v9, s9, v3
	buffer_load_dword v14, v5, s[0:3], 0 offen offset:4
	buffer_load_dword v15, v9, s[0:3], 0 offen offset:40
	buffer_load_dword v16, v5, s[0:3], 0 offen
	buffer_load_dword v17, v9, s[0:3], 0 offen offset:44
                                        ; kill: killed $vgpr5
	v_add_u32_e32 v5, s9, v4
	s_add_i32 s9, s9, 8
	s_cmp_lg_u32 s9, 16
                                        ; kill: killed $vgpr9
	s_waitcnt vmcnt(1)
	v_add_u32_e32 v9, v15, v16
	s_waitcnt vmcnt(0)
	v_add_u32_e32 v14, v17, v14
	buffer_store_dword v14, v5, s[0:3], 0 offen offset:4
	buffer_store_dword v9, v5, s[0:3], 0 offen
	s_cbranch_scc1 .LBB2036_41
; %bb.42:
	buffer_load_dword v2, off, s[0:3], 0 offset:16
	buffer_load_dword v3, off, s[0:3], 0 offset:20
	;; [unrolled: 1-line block ×4, first 2 shown]
.LBB2036_43:
	s_or_b64 exec, exec, s[6:7]
	buffer_load_ubyte v9, off, s[0:3], 0 offset:284
	s_waitcnt vmcnt(3)
	buffer_store_dword v3, off, s[0:3], 0 offset:100
	buffer_store_dword v2, off, s[0:3], 0 offset:96
	s_waitcnt vmcnt(3)
	buffer_store_dword v5, off, s[0:3], 0 offset:108
	buffer_store_dword v4, off, s[0:3], 0 offset:104
                                        ; implicit-def: $vgpr4_vgpr5
                                        ; implicit-def: $vgpr2_vgpr3
	s_waitcnt vmcnt(4)
	v_cmp_ne_u16_e32 vcc, 0, v9
	s_and_saveexec_b64 s[6:7], vcc
	s_xor_b64 s[6:7], exec, s[6:7]
	s_cbranch_execz .LBB2036_45
; %bb.44:
	buffer_load_dword v2, off, s[0:3], 0 offset:268
	buffer_load_dword v3, off, s[0:3], 0 offset:272
	;; [unrolled: 1-line block ×4, first 2 shown]
.LBB2036_45:
	s_andn2_saveexec_b64 s[6:7], s[6:7]
	s_cbranch_execz .LBB2036_51
; %bb.46:
	s_mov_b32 s9, 0
	s_waitcnt vmcnt(3)
	v_mov_b32_e32 v2, 16
	s_waitcnt vmcnt(2)
	v_mov_b32_e32 v3, 0
	s_waitcnt vmcnt(0)
.LBB2036_47:                            ; =>This Inner Loop Header: Depth=1
	v_add_u32_e32 v4, s9, v2
	s_add_i32 s9, s9, 8
	s_cmp_lg_u32 s9, 16
	buffer_store_dword v3, v4, s[0:3], 0 offen offset:4
	buffer_store_dword v3, v4, s[0:3], 0 offen
	s_cbranch_scc1 .LBB2036_47
; %bb.48:
	s_mov_b32 s9, 0
	v_mov_b32_e32 v2, 0x60
	v_mov_b32_e32 v3, 0xd0
	;; [unrolled: 1-line block ×3, first 2 shown]
.LBB2036_49:                            ; =>This Inner Loop Header: Depth=1
	v_add_u32_e32 v5, s9, v2
	v_add_u32_e32 v14, s9, v3
	buffer_load_dword v15, v5, s[0:3], 0 offen offset:4
	buffer_load_dword v16, v14, s[0:3], 0 offen offset:60
	buffer_load_dword v17, v5, s[0:3], 0 offen
	buffer_load_dword v18, v14, s[0:3], 0 offen offset:64
                                        ; kill: killed $vgpr5
	v_add_u32_e32 v5, s9, v4
	s_add_i32 s9, s9, 8
	s_cmp_lg_u32 s9, 16
                                        ; kill: killed $vgpr14
	s_waitcnt vmcnt(1)
	v_add_u32_e32 v14, v16, v17
	s_waitcnt vmcnt(0)
	v_add_u32_e32 v15, v18, v15
	buffer_store_dword v15, v5, s[0:3], 0 offen offset:4
	buffer_store_dword v14, v5, s[0:3], 0 offen
	s_cbranch_scc1 .LBB2036_49
; %bb.50:
	buffer_load_dword v2, off, s[0:3], 0 offset:16
	buffer_load_dword v3, off, s[0:3], 0 offset:20
	;; [unrolled: 1-line block ×4, first 2 shown]
.LBB2036_51:
	s_or_b64 exec, exec, s[6:7]
	buffer_load_ubyte v14, off, s[0:3], 0 offset:304
	s_waitcnt vmcnt(3)
	buffer_store_dword v3, off, s[0:3], 0 offset:100
	buffer_store_dword v2, off, s[0:3], 0 offset:96
	s_waitcnt vmcnt(3)
	buffer_store_dword v5, off, s[0:3], 0 offset:108
	buffer_store_dword v4, off, s[0:3], 0 offset:104
                                        ; implicit-def: $vgpr4_vgpr5
                                        ; implicit-def: $vgpr2_vgpr3
	s_waitcnt vmcnt(4)
	v_cmp_ne_u16_e32 vcc, 0, v14
	s_and_saveexec_b64 s[6:7], vcc
	s_xor_b64 s[6:7], exec, s[6:7]
	s_cbranch_execz .LBB2036_53
; %bb.52:
	buffer_load_dword v2, off, s[0:3], 0 offset:288
	buffer_load_dword v3, off, s[0:3], 0 offset:292
	buffer_load_dword v4, off, s[0:3], 0 offset:296
	buffer_load_dword v5, off, s[0:3], 0 offset:300
.LBB2036_53:
	s_andn2_saveexec_b64 s[6:7], s[6:7]
	s_cbranch_execz .LBB2036_59
; %bb.54:
	s_mov_b32 s9, 0
	s_waitcnt vmcnt(3)
	v_mov_b32_e32 v2, 16
	s_waitcnt vmcnt(2)
	v_mov_b32_e32 v3, 0
	s_waitcnt vmcnt(0)
.LBB2036_55:                            ; =>This Inner Loop Header: Depth=1
	v_add_u32_e32 v4, s9, v2
	s_add_i32 s9, s9, 8
	s_cmp_lg_u32 s9, 16
	buffer_store_dword v3, v4, s[0:3], 0 offen offset:4
	buffer_store_dword v3, v4, s[0:3], 0 offen
	s_cbranch_scc1 .LBB2036_55
; %bb.56:
	s_mov_b32 s9, 0
	v_mov_b32_e32 v2, 0x60
	v_mov_b32_e32 v3, 0xd0
	;; [unrolled: 1-line block ×3, first 2 shown]
.LBB2036_57:                            ; =>This Inner Loop Header: Depth=1
	v_add_u32_e32 v5, s9, v2
	v_add_u32_e32 v15, s9, v3
	buffer_load_dword v16, v5, s[0:3], 0 offen offset:4
	buffer_load_dword v17, v15, s[0:3], 0 offen offset:80
	buffer_load_dword v18, v5, s[0:3], 0 offen
	buffer_load_dword v19, v15, s[0:3], 0 offen offset:84
                                        ; kill: killed $vgpr5
	v_add_u32_e32 v5, s9, v4
	s_add_i32 s9, s9, 8
	s_cmp_lg_u32 s9, 16
                                        ; kill: killed $vgpr15
	s_waitcnt vmcnt(1)
	v_add_u32_e32 v15, v17, v18
	s_waitcnt vmcnt(0)
	v_add_u32_e32 v16, v19, v16
	buffer_store_dword v16, v5, s[0:3], 0 offen offset:4
	buffer_store_dword v15, v5, s[0:3], 0 offen
	s_cbranch_scc1 .LBB2036_57
; %bb.58:
	buffer_load_dword v2, off, s[0:3], 0 offset:16
	buffer_load_dword v3, off, s[0:3], 0 offset:20
	;; [unrolled: 1-line block ×4, first 2 shown]
.LBB2036_59:
	s_or_b64 exec, exec, s[6:7]
	buffer_load_ushort v15, off, s[0:3], 0 offset:113
	buffer_load_sbyte v16, off, s[0:3], 0 offset:115
	v_or_b32_e32 v9, v14, v9
	v_or_b32_e32 v9, v9, v1
	v_or_b32_e32 v9, v9, v8
	v_mbcnt_lo_u32_b32 v14, -1, 0
	v_or_b32_e32 v6, v9, v6
	v_mbcnt_hi_u32_b32 v1, -1, v14
	v_and_b32_e32 v6, 1, v6
	v_and_b32_e32 v8, 15, v1
	s_waitcnt vmcnt(5)
	v_mov_b32_dpp v17, v2 row_shr:1 row_mask:0xf bank_mask:0xf
	v_cmp_ne_u32_e32 vcc, 0, v8
	s_waitcnt vmcnt(4)
	buffer_store_dword v3, off, s[0:3], 0 offset:180
	buffer_store_dword v2, off, s[0:3], 0 offset:176
	s_waitcnt vmcnt(4)
	buffer_store_dword v5, off, s[0:3], 0 offset:188
	buffer_store_dword v4, off, s[0:3], 0 offset:184
	v_mov_b32_dpp v18, v3 row_shr:1 row_mask:0xf bank_mask:0xf
	v_mov_b32_dpp v19, v4 row_shr:1 row_mask:0xf bank_mask:0xf
	;; [unrolled: 1-line block ×3, first 2 shown]
	buffer_store_dword v17, off, s[0:3], 0 offset:96
	buffer_store_dword v18, off, s[0:3], 0 offset:100
	;; [unrolled: 1-line block ×4, first 2 shown]
	s_waitcnt vmcnt(9)
	v_lshrrev_b32_e32 v9, 8, v15
	v_lshlrev_b16_e32 v14, 8, v15
	s_waitcnt vmcnt(8)
	v_lshlrev_b16_e32 v15, 8, v16
	v_or_b32_e32 v6, v6, v14
	v_or_b32_sdwa v9, v9, v15 dst_sel:WORD_1 dst_unused:UNUSED_PAD src0_sel:BYTE_0 src1_sel:DWORD
	v_or_b32_sdwa v9, v6, v9 dst_sel:DWORD dst_unused:UNUSED_PAD src0_sel:WORD_0 src1_sel:DWORD
	buffer_store_dword v9, off, s[0:3], 0 offset:192
	s_nop 0
	v_mov_b32_dpp v14, v9 row_shr:1 row_mask:0xf bank_mask:0xf
	buffer_store_dword v14, off, s[0:3], 0 offset:112
	s_and_saveexec_b64 s[6:7], vcc
	s_cbranch_execz .LBB2036_67
; %bb.60:
	v_mov_b32_e32 v15, 0
	v_cmp_eq_u16_sdwa s[12:13], v6, v15 src0_sel:BYTE_0 src1_sel:DWORD
	s_and_saveexec_b64 s[10:11], s[12:13]
	s_cbranch_execz .LBB2036_66
; %bb.61:
	s_mov_b32 s9, 0
	v_mov_b32_e32 v2, 16
.LBB2036_62:                            ; =>This Inner Loop Header: Depth=1
	v_add_u32_e32 v3, s9, v2
	s_add_i32 s9, s9, 8
	s_cmp_lg_u32 s9, 16
	buffer_store_dword v15, v3, s[0:3], 0 offen offset:4
	buffer_store_dword v15, v3, s[0:3], 0 offen
	s_cbranch_scc1 .LBB2036_62
; %bb.63:
	s_mov_b32 s9, 0
	v_mov_b32_e32 v2, 0x60
	v_mov_b32_e32 v3, 0xb0
	;; [unrolled: 1-line block ×3, first 2 shown]
.LBB2036_64:                            ; =>This Inner Loop Header: Depth=1
	v_add_u32_e32 v5, s9, v2
	v_add_u32_e32 v6, s9, v3
	buffer_load_dword v15, v5, s[0:3], 0 offen offset:4
	buffer_load_dword v16, v6, s[0:3], 0 offen
	buffer_load_dword v17, v5, s[0:3], 0 offen
	buffer_load_dword v18, v6, s[0:3], 0 offen offset:4
                                        ; kill: killed $vgpr5
	v_add_u32_e32 v5, s9, v4
	s_add_i32 s9, s9, 8
	s_cmp_lg_u32 s9, 16
                                        ; kill: killed $vgpr6
	s_waitcnt vmcnt(1)
	v_add_u32_e32 v6, v16, v17
	s_waitcnt vmcnt(0)
	v_add_u32_e32 v15, v18, v15
	buffer_store_dword v15, v5, s[0:3], 0 offen offset:4
	buffer_store_dword v6, v5, s[0:3], 0 offen
	s_cbranch_scc1 .LBB2036_64
; %bb.65:
	buffer_load_dword v2, off, s[0:3], 0 offset:16
	buffer_load_dword v3, off, s[0:3], 0 offset:20
	;; [unrolled: 1-line block ×4, first 2 shown]
.LBB2036_66:
	s_or_b64 exec, exec, s[10:11]
	v_or_b32_e32 v6, v14, v9
	v_and_b32_e32 v6, 1, v6
	buffer_store_byte v6, off, s[0:3], 0 offset:192
	buffer_load_dword v9, off, s[0:3], 0 offset:192
	s_waitcnt vmcnt(4)
	buffer_store_dword v3, off, s[0:3], 0 offset:180
	buffer_store_dword v2, off, s[0:3], 0 offset:176
	s_waitcnt vmcnt(4)
	buffer_store_dword v5, off, s[0:3], 0 offset:188
	buffer_store_dword v4, off, s[0:3], 0 offset:184
	s_waitcnt vmcnt(4)
	v_mov_b32_e32 v6, v9
.LBB2036_67:
	s_or_b64 exec, exec, s[6:7]
	v_mov_b32_dpp v15, v2 row_shr:2 row_mask:0xf bank_mask:0xf
	v_mov_b32_dpp v14, v9 row_shr:2 row_mask:0xf bank_mask:0xf
	v_cmp_lt_u32_e32 vcc, 1, v8
	v_mov_b32_dpp v16, v3 row_shr:2 row_mask:0xf bank_mask:0xf
	v_mov_b32_dpp v17, v4 row_shr:2 row_mask:0xf bank_mask:0xf
	;; [unrolled: 1-line block ×3, first 2 shown]
	buffer_store_dword v15, off, s[0:3], 0 offset:96
	buffer_store_dword v16, off, s[0:3], 0 offset:100
	;; [unrolled: 1-line block ×5, first 2 shown]
	s_and_saveexec_b64 s[10:11], vcc
	s_cbranch_execz .LBB2036_75
; %bb.68:
	v_mov_b32_e32 v9, 0
	s_mov_b32 s9, 0
	v_cmp_eq_u16_sdwa s[12:13], v6, v9 src0_sel:BYTE_0 src1_sel:DWORD
	s_and_saveexec_b64 s[6:7], s[12:13]
	s_cbranch_execz .LBB2036_74
; %bb.69:
	v_mov_b32_e32 v2, 16
.LBB2036_70:                            ; =>This Inner Loop Header: Depth=1
	v_add_u32_e32 v3, s9, v2
	s_add_i32 s9, s9, 8
	s_cmp_lg_u32 s9, 16
	buffer_store_dword v9, v3, s[0:3], 0 offen offset:4
	buffer_store_dword v9, v3, s[0:3], 0 offen
	s_cbranch_scc1 .LBB2036_70
; %bb.71:
	s_mov_b32 s9, 0
	v_mov_b32_e32 v2, 0x60
	v_mov_b32_e32 v3, 0xb0
	;; [unrolled: 1-line block ×3, first 2 shown]
.LBB2036_72:                            ; =>This Inner Loop Header: Depth=1
	v_add_u32_e32 v5, s9, v2
	v_add_u32_e32 v9, s9, v3
	buffer_load_dword v15, v5, s[0:3], 0 offen offset:4
	buffer_load_dword v16, v9, s[0:3], 0 offen
	buffer_load_dword v17, v5, s[0:3], 0 offen
	buffer_load_dword v18, v9, s[0:3], 0 offen offset:4
                                        ; kill: killed $vgpr5
	v_add_u32_e32 v5, s9, v4
	s_add_i32 s9, s9, 8
	s_cmp_lg_u32 s9, 16
                                        ; kill: killed $vgpr9
	s_waitcnt vmcnt(1)
	v_add_u32_e32 v9, v16, v17
	s_waitcnt vmcnt(0)
	v_add_u32_e32 v15, v18, v15
	buffer_store_dword v15, v5, s[0:3], 0 offen offset:4
	buffer_store_dword v9, v5, s[0:3], 0 offen
	s_cbranch_scc1 .LBB2036_72
; %bb.73:
	buffer_load_dword v2, off, s[0:3], 0 offset:16
	buffer_load_dword v3, off, s[0:3], 0 offset:20
	;; [unrolled: 1-line block ×4, first 2 shown]
.LBB2036_74:
	s_or_b64 exec, exec, s[6:7]
	v_and_b32_e32 v6, 1, v6
	v_cmp_eq_u32_e32 vcc, 1, v6
	v_and_b32_e32 v6, 1, v14
	v_cmp_eq_u32_e64 s[6:7], 1, v6
	s_or_b64 s[6:7], vcc, s[6:7]
	v_cndmask_b32_e64 v6, 0, 1, s[6:7]
	buffer_store_byte v6, off, s[0:3], 0 offset:192
	buffer_load_dword v9, off, s[0:3], 0 offset:192
	s_waitcnt vmcnt(4)
	buffer_store_dword v3, off, s[0:3], 0 offset:180
	buffer_store_dword v2, off, s[0:3], 0 offset:176
	s_waitcnt vmcnt(4)
	buffer_store_dword v5, off, s[0:3], 0 offset:188
	buffer_store_dword v4, off, s[0:3], 0 offset:184
	s_waitcnt vmcnt(4)
	v_mov_b32_e32 v6, v9
.LBB2036_75:
	s_or_b64 exec, exec, s[10:11]
	v_mov_b32_dpp v15, v2 row_shr:4 row_mask:0xf bank_mask:0xf
	v_mov_b32_dpp v14, v9 row_shr:4 row_mask:0xf bank_mask:0xf
	v_cmp_lt_u32_e32 vcc, 3, v8
	v_mov_b32_dpp v16, v3 row_shr:4 row_mask:0xf bank_mask:0xf
	v_mov_b32_dpp v17, v4 row_shr:4 row_mask:0xf bank_mask:0xf
	;; [unrolled: 1-line block ×3, first 2 shown]
	buffer_store_dword v15, off, s[0:3], 0 offset:96
	buffer_store_dword v16, off, s[0:3], 0 offset:100
	;; [unrolled: 1-line block ×5, first 2 shown]
	s_and_saveexec_b64 s[10:11], vcc
	s_cbranch_execz .LBB2036_83
; %bb.76:
	v_mov_b32_e32 v9, 0
	s_mov_b32 s9, 0
	v_cmp_eq_u16_sdwa s[12:13], v6, v9 src0_sel:BYTE_0 src1_sel:DWORD
	s_and_saveexec_b64 s[6:7], s[12:13]
	s_cbranch_execz .LBB2036_82
; %bb.77:
	v_mov_b32_e32 v2, 16
.LBB2036_78:                            ; =>This Inner Loop Header: Depth=1
	v_add_u32_e32 v3, s9, v2
	s_add_i32 s9, s9, 8
	s_cmp_lg_u32 s9, 16
	buffer_store_dword v9, v3, s[0:3], 0 offen offset:4
	buffer_store_dword v9, v3, s[0:3], 0 offen
	s_cbranch_scc1 .LBB2036_78
; %bb.79:
	s_mov_b32 s9, 0
	v_mov_b32_e32 v2, 0x60
	v_mov_b32_e32 v3, 0xb0
	;; [unrolled: 1-line block ×3, first 2 shown]
.LBB2036_80:                            ; =>This Inner Loop Header: Depth=1
	v_add_u32_e32 v5, s9, v2
	v_add_u32_e32 v9, s9, v3
	buffer_load_dword v15, v5, s[0:3], 0 offen offset:4
	buffer_load_dword v16, v9, s[0:3], 0 offen
	buffer_load_dword v17, v5, s[0:3], 0 offen
	buffer_load_dword v18, v9, s[0:3], 0 offen offset:4
                                        ; kill: killed $vgpr5
	v_add_u32_e32 v5, s9, v4
	s_add_i32 s9, s9, 8
	s_cmp_lg_u32 s9, 16
                                        ; kill: killed $vgpr9
	s_waitcnt vmcnt(1)
	v_add_u32_e32 v9, v16, v17
	s_waitcnt vmcnt(0)
	v_add_u32_e32 v15, v18, v15
	buffer_store_dword v15, v5, s[0:3], 0 offen offset:4
	buffer_store_dword v9, v5, s[0:3], 0 offen
	s_cbranch_scc1 .LBB2036_80
; %bb.81:
	buffer_load_dword v2, off, s[0:3], 0 offset:16
	buffer_load_dword v3, off, s[0:3], 0 offset:20
	;; [unrolled: 1-line block ×4, first 2 shown]
.LBB2036_82:
	s_or_b64 exec, exec, s[6:7]
	v_and_b32_e32 v6, 1, v6
	v_cmp_eq_u32_e32 vcc, 1, v6
	v_and_b32_e32 v6, 1, v14
	v_cmp_eq_u32_e64 s[6:7], 1, v6
	s_or_b64 s[6:7], vcc, s[6:7]
	v_cndmask_b32_e64 v6, 0, 1, s[6:7]
	buffer_store_byte v6, off, s[0:3], 0 offset:192
	buffer_load_dword v9, off, s[0:3], 0 offset:192
	s_waitcnt vmcnt(4)
	buffer_store_dword v3, off, s[0:3], 0 offset:180
	buffer_store_dword v2, off, s[0:3], 0 offset:176
	s_waitcnt vmcnt(4)
	buffer_store_dword v5, off, s[0:3], 0 offset:188
	buffer_store_dword v4, off, s[0:3], 0 offset:184
	s_waitcnt vmcnt(4)
	v_mov_b32_e32 v6, v9
.LBB2036_83:
	s_or_b64 exec, exec, s[10:11]
	v_mov_b32_dpp v15, v2 row_shr:8 row_mask:0xf bank_mask:0xf
	v_mov_b32_dpp v14, v9 row_shr:8 row_mask:0xf bank_mask:0xf
	v_cmp_lt_u32_e32 vcc, 7, v8
	v_mov_b32_dpp v16, v3 row_shr:8 row_mask:0xf bank_mask:0xf
	v_mov_b32_dpp v17, v4 row_shr:8 row_mask:0xf bank_mask:0xf
	;; [unrolled: 1-line block ×3, first 2 shown]
	buffer_store_dword v15, off, s[0:3], 0 offset:96
	buffer_store_dword v16, off, s[0:3], 0 offset:100
	;; [unrolled: 1-line block ×5, first 2 shown]
	s_and_saveexec_b64 s[10:11], vcc
	s_cbranch_execz .LBB2036_91
; %bb.84:
	v_mov_b32_e32 v8, 0
	s_mov_b32 s9, 0
	v_cmp_eq_u16_sdwa s[12:13], v6, v8 src0_sel:BYTE_0 src1_sel:DWORD
	s_and_saveexec_b64 s[6:7], s[12:13]
	s_cbranch_execz .LBB2036_90
; %bb.85:
	v_mov_b32_e32 v2, 16
.LBB2036_86:                            ; =>This Inner Loop Header: Depth=1
	v_add_u32_e32 v3, s9, v2
	s_add_i32 s9, s9, 8
	s_cmp_lg_u32 s9, 16
	buffer_store_dword v8, v3, s[0:3], 0 offen offset:4
	buffer_store_dword v8, v3, s[0:3], 0 offen
	s_cbranch_scc1 .LBB2036_86
; %bb.87:
	s_mov_b32 s9, 0
	v_mov_b32_e32 v2, 0x60
	v_mov_b32_e32 v3, 0xb0
	;; [unrolled: 1-line block ×3, first 2 shown]
.LBB2036_88:                            ; =>This Inner Loop Header: Depth=1
	v_add_u32_e32 v5, s9, v2
	v_add_u32_e32 v8, s9, v3
	buffer_load_dword v9, v5, s[0:3], 0 offen offset:4
	buffer_load_dword v15, v8, s[0:3], 0 offen
	buffer_load_dword v16, v5, s[0:3], 0 offen
	buffer_load_dword v17, v8, s[0:3], 0 offen offset:4
                                        ; kill: killed $vgpr5
	v_add_u32_e32 v5, s9, v4
	s_add_i32 s9, s9, 8
	s_cmp_lg_u32 s9, 16
                                        ; kill: killed $vgpr8
	s_waitcnt vmcnt(1)
	v_add_u32_e32 v8, v15, v16
	s_waitcnt vmcnt(0)
	v_add_u32_e32 v9, v17, v9
	buffer_store_dword v9, v5, s[0:3], 0 offen offset:4
	buffer_store_dword v8, v5, s[0:3], 0 offen
	s_cbranch_scc1 .LBB2036_88
; %bb.89:
	buffer_load_dword v2, off, s[0:3], 0 offset:16
	buffer_load_dword v3, off, s[0:3], 0 offset:20
	buffer_load_dword v4, off, s[0:3], 0 offset:24
	buffer_load_dword v5, off, s[0:3], 0 offset:28
.LBB2036_90:
	s_or_b64 exec, exec, s[6:7]
	v_and_b32_e32 v6, 1, v6
	v_cmp_eq_u32_e32 vcc, 1, v6
	v_and_b32_e32 v6, 1, v14
	v_cmp_eq_u32_e64 s[6:7], 1, v6
	s_or_b64 s[6:7], vcc, s[6:7]
	v_cndmask_b32_e64 v6, 0, 1, s[6:7]
	buffer_store_byte v6, off, s[0:3], 0 offset:192
	buffer_load_dword v9, off, s[0:3], 0 offset:192
	s_waitcnt vmcnt(4)
	buffer_store_dword v3, off, s[0:3], 0 offset:180
	buffer_store_dword v2, off, s[0:3], 0 offset:176
	s_waitcnt vmcnt(4)
	buffer_store_dword v5, off, s[0:3], 0 offset:188
	buffer_store_dword v4, off, s[0:3], 0 offset:184
	s_waitcnt vmcnt(4)
	v_mov_b32_e32 v6, v9
.LBB2036_91:
	s_or_b64 exec, exec, s[10:11]
	v_mov_b32_dpp v14, v2 row_bcast:15 row_mask:0xf bank_mask:0xf
	v_mov_b32_dpp v15, v3 row_bcast:15 row_mask:0xf bank_mask:0xf
	;; [unrolled: 1-line block ×5, first 2 shown]
	buffer_store_dword v14, off, s[0:3], 0 offset:96
	buffer_store_dword v15, off, s[0:3], 0 offset:100
	;; [unrolled: 1-line block ×5, first 2 shown]
	v_and_b32_e32 v14, 16, v1
	v_cmp_ne_u32_e32 vcc, 0, v14
	s_and_saveexec_b64 s[10:11], vcc
	s_cbranch_execz .LBB2036_99
; %bb.92:
	v_mov_b32_e32 v9, 0
	s_mov_b32 s9, 0
	v_cmp_eq_u16_sdwa s[12:13], v6, v9 src0_sel:BYTE_0 src1_sel:DWORD
	s_and_saveexec_b64 s[6:7], s[12:13]
	s_cbranch_execz .LBB2036_98
; %bb.93:
	v_mov_b32_e32 v2, 16
.LBB2036_94:                            ; =>This Inner Loop Header: Depth=1
	v_add_u32_e32 v3, s9, v2
	s_add_i32 s9, s9, 8
	s_cmp_lg_u32 s9, 16
	buffer_store_dword v9, v3, s[0:3], 0 offen offset:4
	buffer_store_dword v9, v3, s[0:3], 0 offen
	s_cbranch_scc1 .LBB2036_94
; %bb.95:
	s_mov_b32 s9, 0
	v_mov_b32_e32 v2, 0x60
	v_mov_b32_e32 v3, 0xb0
	v_mov_b32_e32 v4, 16
.LBB2036_96:                            ; =>This Inner Loop Header: Depth=1
	v_add_u32_e32 v5, s9, v2
	v_add_u32_e32 v9, s9, v3
	buffer_load_dword v14, v5, s[0:3], 0 offen offset:4
	buffer_load_dword v15, v9, s[0:3], 0 offen
	buffer_load_dword v16, v5, s[0:3], 0 offen
	buffer_load_dword v17, v9, s[0:3], 0 offen offset:4
                                        ; kill: killed $vgpr5
	v_add_u32_e32 v5, s9, v4
	s_add_i32 s9, s9, 8
	s_cmp_lg_u32 s9, 16
                                        ; kill: killed $vgpr9
	s_waitcnt vmcnt(1)
	v_add_u32_e32 v9, v15, v16
	s_waitcnt vmcnt(0)
	v_add_u32_e32 v14, v17, v14
	buffer_store_dword v14, v5, s[0:3], 0 offen offset:4
	buffer_store_dword v9, v5, s[0:3], 0 offen
	s_cbranch_scc1 .LBB2036_96
; %bb.97:
	buffer_load_dword v2, off, s[0:3], 0 offset:16
	buffer_load_dword v3, off, s[0:3], 0 offset:20
	buffer_load_dword v4, off, s[0:3], 0 offset:24
	buffer_load_dword v5, off, s[0:3], 0 offset:28
.LBB2036_98:
	s_or_b64 exec, exec, s[6:7]
	v_and_b32_e32 v6, 1, v6
	v_cmp_eq_u32_e32 vcc, 1, v6
	v_and_b32_e32 v6, 1, v8
	v_cmp_eq_u32_e64 s[6:7], 1, v6
	s_or_b64 s[6:7], vcc, s[6:7]
	v_cndmask_b32_e64 v6, 0, 1, s[6:7]
	buffer_store_byte v6, off, s[0:3], 0 offset:192
	buffer_load_dword v9, off, s[0:3], 0 offset:192
	s_waitcnt vmcnt(4)
	buffer_store_dword v3, off, s[0:3], 0 offset:180
	buffer_store_dword v2, off, s[0:3], 0 offset:176
	s_waitcnt vmcnt(4)
	buffer_store_dword v5, off, s[0:3], 0 offset:188
	buffer_store_dword v4, off, s[0:3], 0 offset:184
	s_waitcnt vmcnt(4)
	v_mov_b32_e32 v6, v9
.LBB2036_99:
	s_or_b64 exec, exec, s[10:11]
	v_mov_b32_dpp v14, v2 row_bcast:31 row_mask:0xf bank_mask:0xf
	v_mov_b32_dpp v8, v9 row_bcast:31 row_mask:0xf bank_mask:0xf
	v_cmp_lt_u32_e32 vcc, 31, v1
	v_mov_b32_dpp v15, v3 row_bcast:31 row_mask:0xf bank_mask:0xf
	v_mov_b32_dpp v16, v4 row_bcast:31 row_mask:0xf bank_mask:0xf
	;; [unrolled: 1-line block ×3, first 2 shown]
	buffer_store_dword v14, off, s[0:3], 0 offset:96
	buffer_store_dword v15, off, s[0:3], 0 offset:100
	;; [unrolled: 1-line block ×5, first 2 shown]
	s_and_saveexec_b64 s[10:11], vcc
	s_cbranch_execz .LBB2036_107
; %bb.100:
	v_mov_b32_e32 v9, 0
	s_mov_b32 s9, 0
	v_cmp_eq_u16_sdwa s[12:13], v6, v9 src0_sel:BYTE_0 src1_sel:DWORD
	s_and_saveexec_b64 s[6:7], s[12:13]
	s_cbranch_execz .LBB2036_106
; %bb.101:
	v_mov_b32_e32 v2, 16
.LBB2036_102:                           ; =>This Inner Loop Header: Depth=1
	v_add_u32_e32 v3, s9, v2
	s_add_i32 s9, s9, 8
	s_cmp_lg_u32 s9, 16
	buffer_store_dword v9, v3, s[0:3], 0 offen offset:4
	buffer_store_dword v9, v3, s[0:3], 0 offen
	s_cbranch_scc1 .LBB2036_102
; %bb.103:
	s_mov_b32 s9, 0
	v_mov_b32_e32 v2, 0x60
	v_mov_b32_e32 v3, 0xb0
	;; [unrolled: 1-line block ×3, first 2 shown]
.LBB2036_104:                           ; =>This Inner Loop Header: Depth=1
	v_add_u32_e32 v5, s9, v2
	v_add_u32_e32 v9, s9, v3
	buffer_load_dword v14, v5, s[0:3], 0 offen offset:4
	buffer_load_dword v15, v9, s[0:3], 0 offen
	buffer_load_dword v16, v5, s[0:3], 0 offen
	buffer_load_dword v17, v9, s[0:3], 0 offen offset:4
                                        ; kill: killed $vgpr5
	v_add_u32_e32 v5, s9, v4
	s_add_i32 s9, s9, 8
	s_cmp_lg_u32 s9, 16
                                        ; kill: killed $vgpr9
	s_waitcnt vmcnt(1)
	v_add_u32_e32 v9, v15, v16
	s_waitcnt vmcnt(0)
	v_add_u32_e32 v14, v17, v14
	buffer_store_dword v14, v5, s[0:3], 0 offen offset:4
	buffer_store_dword v9, v5, s[0:3], 0 offen
	s_cbranch_scc1 .LBB2036_104
; %bb.105:
	buffer_load_dword v2, off, s[0:3], 0 offset:16
	buffer_load_dword v3, off, s[0:3], 0 offset:20
	;; [unrolled: 1-line block ×4, first 2 shown]
.LBB2036_106:
	s_or_b64 exec, exec, s[6:7]
	v_and_b32_e32 v6, 1, v6
	v_cmp_eq_u32_e32 vcc, 1, v6
	v_and_b32_e32 v6, 1, v8
	v_cmp_eq_u32_e64 s[6:7], 1, v6
	s_or_b64 s[6:7], vcc, s[6:7]
	v_cndmask_b32_e64 v6, 0, 1, s[6:7]
	s_waitcnt vmcnt(2)
	buffer_store_dword v3, off, s[0:3], 0 offset:180
	buffer_store_dword v2, off, s[0:3], 0 offset:176
	s_waitcnt vmcnt(2)
	buffer_store_dword v5, off, s[0:3], 0 offset:188
	buffer_store_dword v4, off, s[0:3], 0 offset:184
	buffer_store_byte v6, off, s[0:3], 0 offset:192
.LBB2036_107:
	s_or_b64 exec, exec, s[10:11]
	v_or_b32_e32 v9, 63, v0
	v_lshrrev_b32_e32 v8, 6, v0
	v_cmp_eq_u32_e32 vcc, v9, v0
	s_and_saveexec_b64 s[6:7], vcc
	s_cbranch_execz .LBB2036_109
; %bb.108:
	v_mul_u32_u24_e32 v9, 20, v8
	ds_write2_b32 v9, v2, v3 offset1:1
	ds_write2_b32 v9, v4, v5 offset0:2 offset1:3
	ds_write_b8 v9, v6 offset:16
.LBB2036_109:
	s_or_b64 exec, exec, s[6:7]
	v_cmp_gt_u32_e32 vcc, 4, v0
	s_waitcnt lgkmcnt(0)
	s_barrier
	s_and_saveexec_b64 s[10:11], vcc
	s_cbranch_execz .LBB2036_127
; %bb.110:
	v_mul_u32_u24_e32 v6, 20, v0
	ds_read_b32 v9, v6 offset:16
	ds_read2_b32 v[2:3], v6 offset0:2 offset1:3
	ds_read2_b32 v[4:5], v6 offset1:1
	v_and_b32_e32 v14, 3, v1
	v_cmp_ne_u32_e32 vcc, 0, v14
	s_waitcnt lgkmcnt(2)
	v_mov_b32_dpp v15, v9 row_shr:1 row_mask:0xf bank_mask:0xf
	s_waitcnt lgkmcnt(1)
	v_mov_b32_dpp v18, v2 row_shr:1 row_mask:0xf bank_mask:0xf
	;; [unrolled: 2-line block ×3, first 2 shown]
	buffer_store_dword v9, off, s[0:3], 0 offset:32
	buffer_store_dword v3, off, s[0:3], 0 offset:28
	;; [unrolled: 1-line block ×5, first 2 shown]
	v_mov_b32_dpp v17, v5 row_shr:1 row_mask:0xf bank_mask:0xf
	v_mov_b32_dpp v19, v3 row_shr:1 row_mask:0xf bank_mask:0xf
	buffer_store_dword v16, off, s[0:3], 0 offset:96
	buffer_store_dword v17, off, s[0:3], 0 offset:100
	;; [unrolled: 1-line block ×5, first 2 shown]
	s_and_saveexec_b64 s[6:7], vcc
	s_cbranch_execz .LBB2036_118
; %bb.111:
	v_mov_b32_e32 v16, 0
	v_cmp_eq_u16_sdwa s[14:15], v9, v16 src0_sel:BYTE_0 src1_sel:DWORD
	s_and_saveexec_b64 s[12:13], s[14:15]
	s_cbranch_execz .LBB2036_117
; %bb.112:
	s_mov_b32 s9, 0
	v_mov_b32_e32 v2, 36
.LBB2036_113:                           ; =>This Inner Loop Header: Depth=1
	v_add_u32_e32 v3, s9, v2
	s_add_i32 s9, s9, 8
	s_cmp_lg_u32 s9, 16
	buffer_store_dword v16, v3, s[0:3], 0 offen offset:4
	buffer_store_dword v16, v3, s[0:3], 0 offen
	s_cbranch_scc1 .LBB2036_113
; %bb.114:
	s_mov_b32 s9, 0
	v_mov_b32_e32 v2, 0x60
	v_mov_b32_e32 v3, 16
	;; [unrolled: 1-line block ×3, first 2 shown]
.LBB2036_115:                           ; =>This Inner Loop Header: Depth=1
	v_add_u32_e32 v5, s9, v2
	v_add_u32_e32 v16, s9, v3
	buffer_load_dword v17, v5, s[0:3], 0 offen offset:4
	buffer_load_dword v18, v16, s[0:3], 0 offen
	buffer_load_dword v19, v5, s[0:3], 0 offen
	buffer_load_dword v20, v16, s[0:3], 0 offen offset:4
                                        ; kill: killed $vgpr5
	v_add_u32_e32 v5, s9, v4
	s_add_i32 s9, s9, 8
	s_cmp_lg_u32 s9, 16
                                        ; kill: killed $vgpr16
	s_waitcnt vmcnt(1)
	v_add_u32_e32 v16, v18, v19
	s_waitcnt vmcnt(0)
	v_add_u32_e32 v17, v20, v17
	buffer_store_dword v17, v5, s[0:3], 0 offen offset:4
	buffer_store_dword v16, v5, s[0:3], 0 offen
	s_cbranch_scc1 .LBB2036_115
; %bb.116:
	buffer_load_dword v4, off, s[0:3], 0 offset:36
	buffer_load_dword v5, off, s[0:3], 0 offset:40
	;; [unrolled: 1-line block ×4, first 2 shown]
.LBB2036_117:
	s_or_b64 exec, exec, s[12:13]
	v_or_b32_e32 v9, v15, v9
	v_and_b32_e32 v9, 1, v9
	buffer_store_byte v9, off, s[0:3], 0 offset:32
	buffer_load_dword v9, off, s[0:3], 0 offset:32
	s_waitcnt vmcnt(4)
	buffer_store_dword v5, off, s[0:3], 0 offset:20
	buffer_store_dword v4, off, s[0:3], 0 offset:16
	s_waitcnt vmcnt(4)
	buffer_store_dword v3, off, s[0:3], 0 offset:28
	buffer_store_dword v2, off, s[0:3], 0 offset:24
.LBB2036_118:
	s_or_b64 exec, exec, s[6:7]
	v_mov_b32_dpp v16, v4 row_shr:2 row_mask:0xf bank_mask:0xf
	s_waitcnt vmcnt(4)
	v_mov_b32_dpp v15, v9 row_shr:2 row_mask:0xf bank_mask:0xf
	v_cmp_lt_u32_e32 vcc, 1, v14
	v_mov_b32_dpp v17, v5 row_shr:2 row_mask:0xf bank_mask:0xf
	v_mov_b32_dpp v18, v2 row_shr:2 row_mask:0xf bank_mask:0xf
	;; [unrolled: 1-line block ×3, first 2 shown]
	buffer_store_dword v16, off, s[0:3], 0 offset:96
	buffer_store_dword v17, off, s[0:3], 0 offset:100
	;; [unrolled: 1-line block ×5, first 2 shown]
	s_and_saveexec_b64 s[12:13], vcc
	s_cbranch_execz .LBB2036_126
; %bb.119:
	v_mov_b32_e32 v14, 0
	s_mov_b32 s9, 0
	v_cmp_eq_u16_sdwa s[14:15], v9, v14 src0_sel:BYTE_0 src1_sel:DWORD
	s_and_saveexec_b64 s[6:7], s[14:15]
	s_cbranch_execz .LBB2036_125
; %bb.120:
	v_mov_b32_e32 v2, 36
.LBB2036_121:                           ; =>This Inner Loop Header: Depth=1
	v_add_u32_e32 v3, s9, v2
	s_add_i32 s9, s9, 8
	s_cmp_lg_u32 s9, 16
	buffer_store_dword v14, v3, s[0:3], 0 offen offset:4
	buffer_store_dword v14, v3, s[0:3], 0 offen
	s_cbranch_scc1 .LBB2036_121
; %bb.122:
	s_mov_b32 s9, 0
	v_mov_b32_e32 v2, 0x60
	v_mov_b32_e32 v3, 16
	;; [unrolled: 1-line block ×3, first 2 shown]
.LBB2036_123:                           ; =>This Inner Loop Header: Depth=1
	v_add_u32_e32 v5, s9, v2
	v_add_u32_e32 v14, s9, v3
	buffer_load_dword v16, v5, s[0:3], 0 offen offset:4
	buffer_load_dword v17, v14, s[0:3], 0 offen
	buffer_load_dword v18, v5, s[0:3], 0 offen
	buffer_load_dword v19, v14, s[0:3], 0 offen offset:4
                                        ; kill: killed $vgpr5
	v_add_u32_e32 v5, s9, v4
	s_add_i32 s9, s9, 8
	s_cmp_lg_u32 s9, 16
                                        ; kill: killed $vgpr14
	s_waitcnt vmcnt(1)
	v_add_u32_e32 v14, v17, v18
	s_waitcnt vmcnt(0)
	v_add_u32_e32 v16, v19, v16
	buffer_store_dword v16, v5, s[0:3], 0 offen offset:4
	buffer_store_dword v14, v5, s[0:3], 0 offen
	s_cbranch_scc1 .LBB2036_123
; %bb.124:
	buffer_load_dword v4, off, s[0:3], 0 offset:36
	buffer_load_dword v5, off, s[0:3], 0 offset:40
	;; [unrolled: 1-line block ×4, first 2 shown]
.LBB2036_125:
	s_or_b64 exec, exec, s[6:7]
	v_and_b32_e32 v9, 1, v9
	v_cmp_eq_u32_e32 vcc, 1, v9
	v_and_b32_e32 v9, 1, v15
	v_cmp_eq_u32_e64 s[6:7], 1, v9
	s_or_b64 s[6:7], vcc, s[6:7]
	v_cndmask_b32_e64 v9, 0, 1, s[6:7]
	s_waitcnt vmcnt(2)
	buffer_store_dword v5, off, s[0:3], 0 offset:20
	buffer_store_dword v4, off, s[0:3], 0 offset:16
	s_waitcnt vmcnt(2)
	buffer_store_dword v3, off, s[0:3], 0 offset:28
	buffer_store_dword v2, off, s[0:3], 0 offset:24
.LBB2036_126:
	s_or_b64 exec, exec, s[12:13]
	buffer_load_dword v2, off, s[0:3], 0 offset:24
	buffer_load_dword v3, off, s[0:3], 0 offset:28
	;; [unrolled: 1-line block ×4, first 2 shown]
	s_waitcnt vmcnt(2)
	ds_write2_b32 v6, v2, v3 offset0:2 offset1:3
	s_waitcnt vmcnt(0)
	ds_write2_b32 v6, v4, v5 offset1:1
	ds_write_b8 v6, v9 offset:16
.LBB2036_127:
	s_or_b64 exec, exec, s[10:11]
	v_mov_b32_e32 v2, 0
	s_mov_b32 s6, 0
	v_mov_b32_e32 v3, 0x60
	s_waitcnt lgkmcnt(0)
	s_barrier
	buffer_store_dword v2, off, s[0:3], 0 offset:108
	buffer_store_dword v2, off, s[0:3], 0 offset:104
	;; [unrolled: 1-line block ×5, first 2 shown]
.LBB2036_128:                           ; =>This Inner Loop Header: Depth=1
	v_add_u32_e32 v4, s6, v3
	s_add_i32 s6, s6, 8
	s_cmp_lg_u32 s6, 16
	buffer_store_dword v2, v4, s[0:3], 0 offen offset:4
	buffer_store_dword v2, v4, s[0:3], 0 offen
	s_cbranch_scc1 .LBB2036_128
; %bb.129:
	v_cmp_gt_u32_e32 vcc, 64, v0
	v_cmp_lt_u32_e64 s[6:7], 63, v0
                                        ; implicit-def: $vgpr2_vgpr3
                                        ; implicit-def: $vgpr4_vgpr5
                                        ; implicit-def: $vgpr6
	s_and_saveexec_b64 s[10:11], s[6:7]
	s_xor_b64 s[10:11], exec, s[10:11]
	s_cbranch_execz .LBB2036_139
; %bb.130:
	buffer_load_ubyte v9, off, s[0:3], 0 offset:192
	v_not_b32_e32 v2, 19
	v_mad_u32_u24 v4, v8, 20, v2
	ds_read2_b32 v[2:3], v4 offset0:2 offset1:3
	ds_read_u8 v6, v4 offset:16
	ds_read2_b32 v[4:5], v4 offset1:1
	s_waitcnt lgkmcnt(2)
	buffer_store_dword v3, off, s[0:3], 0 offset:108
	buffer_store_dword v2, off, s[0:3], 0 offset:104
	s_waitcnt lgkmcnt(0)
	buffer_store_dword v5, off, s[0:3], 0 offset:100
	buffer_store_dword v4, off, s[0:3], 0 offset:96
                                        ; implicit-def: $vgpr2_vgpr3
                                        ; implicit-def: $vgpr4_vgpr5
	s_waitcnt vmcnt(4)
	v_cmp_ne_u16_e64 s[6:7], 0, v9
	s_and_saveexec_b64 s[12:13], s[6:7]
	s_xor_b64 s[6:7], exec, s[12:13]
	s_cbranch_execz .LBB2036_132
; %bb.131:
	buffer_load_dword v2, off, s[0:3], 0 offset:176
	buffer_load_dword v3, off, s[0:3], 0 offset:180
	buffer_load_dword v4, off, s[0:3], 0 offset:184
	buffer_load_dword v5, off, s[0:3], 0 offset:188
.LBB2036_132:
	s_andn2_saveexec_b64 s[6:7], s[6:7]
	s_cbranch_execz .LBB2036_138
; %bb.133:
	s_mov_b32 s9, 0
	s_waitcnt vmcnt(3)
	v_mov_b32_e32 v2, 16
	s_waitcnt vmcnt(2)
	v_mov_b32_e32 v3, 0
	s_waitcnt vmcnt(0)
.LBB2036_134:                           ; =>This Inner Loop Header: Depth=1
	v_add_u32_e32 v4, s9, v2
	s_add_i32 s9, s9, 8
	s_cmp_lg_u32 s9, 16
	buffer_store_dword v3, v4, s[0:3], 0 offen offset:4
	buffer_store_dword v3, v4, s[0:3], 0 offen
	s_cbranch_scc1 .LBB2036_134
; %bb.135:
	s_mov_b32 s9, 0
	v_mov_b32_e32 v2, 0x60
	v_mov_b32_e32 v3, 0xb0
	;; [unrolled: 1-line block ×3, first 2 shown]
.LBB2036_136:                           ; =>This Inner Loop Header: Depth=1
	v_add_u32_e32 v5, s9, v2
	v_add_u32_e32 v8, s9, v3
	buffer_load_dword v14, v5, s[0:3], 0 offen offset:4
	buffer_load_dword v15, v8, s[0:3], 0 offen
	buffer_load_dword v16, v5, s[0:3], 0 offen
	buffer_load_dword v17, v8, s[0:3], 0 offen offset:4
                                        ; kill: killed $vgpr5
	v_add_u32_e32 v5, s9, v4
	s_add_i32 s9, s9, 8
	s_cmp_lg_u32 s9, 16
                                        ; kill: killed $vgpr8
	s_waitcnt vmcnt(1)
	v_add_u32_e32 v8, v15, v16
	s_waitcnt vmcnt(0)
	v_add_u32_e32 v14, v17, v14
	buffer_store_dword v14, v5, s[0:3], 0 offen offset:4
	buffer_store_dword v8, v5, s[0:3], 0 offen
	s_cbranch_scc1 .LBB2036_136
; %bb.137:
	buffer_load_dword v2, off, s[0:3], 0 offset:16
	buffer_load_dword v3, off, s[0:3], 0 offset:20
	;; [unrolled: 1-line block ×4, first 2 shown]
.LBB2036_138:
	s_or_b64 exec, exec, s[6:7]
	v_or_b32_e32 v8, v9, v6
	v_and_b32_e32 v8, 1, v8
	buffer_store_byte v8, off, s[0:3], 0 offset:192
.LBB2036_139:
	s_andn2_saveexec_b64 s[6:7], s[10:11]
	s_cbranch_execz .LBB2036_141
; %bb.140:
	buffer_load_dword v2, off, s[0:3], 0 offset:176
	buffer_load_dword v3, off, s[0:3], 0 offset:180
	;; [unrolled: 1-line block ×4, first 2 shown]
	v_mov_b32_e32 v6, 0
.LBB2036_141:
	s_or_b64 exec, exec, s[6:7]
	buffer_load_dword v8, off, s[0:3], 0 offset:192
	v_add_u32_e32 v9, -1, v1
	v_and_b32_e32 v14, 64, v1
	v_cmp_lt_i32_e64 s[10:11], v9, v14
	v_cndmask_b32_e64 v9, v9, v1, s[10:11]
	v_lshlrev_b32_e32 v9, 2, v9
	s_waitcnt vmcnt(4)
	ds_bpermute_b32 v2, v9, v2
	s_waitcnt vmcnt(3)
	ds_bpermute_b32 v3, v9, v3
	;; [unrolled: 2-line block ×4, first 2 shown]
	v_cmp_eq_u32_e64 s[6:7], 0, v1
	s_waitcnt vmcnt(0)
	ds_bpermute_b32 v8, v9, v8
	s_waitcnt lgkmcnt(4)
	buffer_store_dword v2, off, s[0:3], 0 offset:176
	s_waitcnt lgkmcnt(3)
	buffer_store_dword v3, off, s[0:3], 0 offset:180
	;; [unrolled: 2-line block ×4, first 2 shown]
	s_waitcnt lgkmcnt(0)
	buffer_store_byte v8, off, s[0:3], 0 offset:192
	v_and_b32_e32 v2, 1, v8
	v_cmp_eq_u32_e64 s[12:13], 1, v2
	s_and_saveexec_b64 s[14:15], s[6:7]
	s_cbranch_execz .LBB2036_143
; %bb.142:
	buffer_load_dword v2, off, s[0:3], 0 offset:108
	buffer_load_dword v3, off, s[0:3], 0 offset:104
	;; [unrolled: 1-line block ×4, first 2 shown]
	v_and_b32_e32 v8, 1, v6
	v_cmp_eq_u32_e64 s[10:11], 1, v8
	s_andn2_b64 s[12:13], s[12:13], exec
	s_and_b64 s[10:11], s[10:11], exec
	s_or_b64 s[12:13], s[12:13], s[10:11]
	buffer_store_byte v6, off, s[0:3], 0 offset:192
	s_waitcnt vmcnt(4)
	buffer_store_dword v2, off, s[0:3], 0 offset:188
	s_waitcnt vmcnt(4)
	buffer_store_dword v3, off, s[0:3], 0 offset:184
	;; [unrolled: 2-line block ×4, first 2 shown]
.LBB2036_143:
	s_or_b64 exec, exec, s[14:15]
	s_and_saveexec_b64 s[14:15], vcc
	s_cbranch_execz .LBB2036_284
; %bb.144:
	v_mov_b32_e32 v6, 0
	ds_read2_b32 v[2:3], v6 offset0:15 offset1:16
	ds_read2_b32 v[4:5], v6 offset0:17 offset1:18
	ds_read_b32 v8, v6 offset:76
	s_waitcnt lgkmcnt(2)
	buffer_store_dword v3, off, s[0:3], 0 offset:80
	buffer_store_dword v2, off, s[0:3], 0 offset:76
	s_waitcnt lgkmcnt(1)
	buffer_store_dword v5, off, s[0:3], 0 offset:88
	buffer_store_dword v4, off, s[0:3], 0 offset:84
	s_waitcnt lgkmcnt(0)
	buffer_store_dword v8, off, s[0:3], 0 offset:92
	s_and_saveexec_b64 s[10:11], s[6:7]
	s_cbranch_execz .LBB2036_146
; %bb.145:
	s_add_i32 s9, s8, 64
	s_mul_i32 s16, s9, 20
	s_mul_hi_u32 s17, s9, 20
	s_add_u32 s16, s20, s16
	s_addc_u32 s17, s21, s17
	global_store_dwordx4 v6, v[2:5], s[16:17]
	global_store_byte v6, v8, s[16:17] offset:16
	v_mov_b32_e32 v2, s9
	v_mov_b32_e32 v3, 1
	s_waitcnt vmcnt(0)
	buffer_wbinvl1_vol
	global_store_byte v2, v3, s[24:25]
.LBB2036_146:
	s_or_b64 exec, exec, s[10:11]
	s_mov_b32 s9, 0
	v_mov_b32_e32 v2, 56
	buffer_store_dword v6, off, s[0:3], 0 offset:68
	buffer_store_dword v6, off, s[0:3], 0 offset:64
	;; [unrolled: 1-line block ×5, first 2 shown]
.LBB2036_147:                           ; =>This Inner Loop Header: Depth=1
	v_add_u32_e32 v3, s9, v2
	s_add_i32 s9, s9, 8
	s_cmp_lg_u32 s9, 16
	buffer_store_dword v6, v3, s[0:3], 0 offen offset:4
	buffer_store_dword v6, v3, s[0:3], 0 offen
	s_cbranch_scc1 .LBB2036_147
; %bb.148:
	s_mov_b32 s9, 0
	v_mov_b32_e32 v2, 0
	v_mov_b32_e32 v3, 16
	buffer_store_byte v2, off, s[0:3], 0 offset:72
	buffer_store_dword v2, off, s[0:3], 0 offset:28
	buffer_store_dword v2, off, s[0:3], 0 offset:24
	buffer_store_dword v2, off, s[0:3], 0 offset:20
	buffer_store_dword v2, off, s[0:3], 0 offset:16
	buffer_store_dword v2, off, s[0:3], 0 offset:32
.LBB2036_149:                           ; =>This Inner Loop Header: Depth=1
	v_add_u32_e32 v4, s9, v3
	s_add_i32 s9, s9, 8
	s_cmp_lg_u32 s9, 16
	buffer_store_dword v2, v4, s[0:3], 0 offen offset:4
	buffer_store_dword v2, v4, s[0:3], 0 offen
	s_cbranch_scc1 .LBB2036_149
; %bb.150:
	v_xad_u32 v6, v1, -1, s8
	v_mov_b32_e32 v2, 0
	buffer_store_byte v2, off, s[0:3], 0 offset:32
	v_add_u32_e32 v2, 64, v6
	global_load_ubyte v14, v2, s[24:25] glc
	s_waitcnt vmcnt(0)
	v_cmp_eq_u16_e32 vcc, 0, v14
	s_and_saveexec_b64 s[10:11], vcc
	s_cbranch_execz .LBB2036_154
; %bb.151:
	v_mov_b32_e32 v3, s25
	v_add_co_u32_e32 v4, vcc, s24, v2
	v_addc_co_u32_e32 v5, vcc, 0, v3, vcc
	s_mov_b64 s[16:17], 0
.LBB2036_152:                           ; =>This Inner Loop Header: Depth=1
	global_load_ubyte v14, v[4:5], off glc
	s_waitcnt vmcnt(0)
	v_cmp_ne_u16_e32 vcc, 0, v14
	s_or_b64 s[16:17], vcc, s[16:17]
	s_andn2_b64 exec, exec, s[16:17]
	s_cbranch_execnz .LBB2036_152
; %bb.153:
	s_or_b64 exec, exec, s[16:17]
.LBB2036_154:
	s_or_b64 exec, exec, s[10:11]
	v_mov_b32_e32 v3, s23
	v_mov_b32_e32 v4, s21
	v_cmp_eq_u16_e32 vcc, 1, v14
	v_cndmask_b32_e32 v5, v3, v4, vcc
	v_mov_b32_e32 v3, s22
	v_mov_b32_e32 v4, s20
	v_cndmask_b32_e32 v4, v3, v4, vcc
	v_mad_u64_u32 v[8:9], s[10:11], v2, 20, v[4:5]
	buffer_wbinvl1_vol
	global_load_dwordx4 v[2:5], v[8:9], off
	global_load_ubyte v15, v[8:9], off offset:16
                                        ; kill: killed $vgpr8_vgpr9
	v_mov_b32_e32 v8, 0
	s_mov_b32 s9, 0
	v_mov_b32_e32 v9, 0x60
	buffer_store_dword v8, off, s[0:3], 0 offset:112
	s_waitcnt vmcnt(2)
	buffer_store_dword v5, off, s[0:3], 0 offset:28
	buffer_store_dword v4, off, s[0:3], 0 offset:24
	;; [unrolled: 1-line block ×4, first 2 shown]
	s_waitcnt vmcnt(5)
	buffer_store_byte v15, off, s[0:3], 0 offset:32
	buffer_store_dword v3, off, s[0:3], 0 offset:60
	buffer_store_dword v2, off, s[0:3], 0 offset:56
	;; [unrolled: 1-line block ×4, first 2 shown]
	buffer_store_byte v15, off, s[0:3], 0 offset:72
.LBB2036_155:                           ; =>This Inner Loop Header: Depth=1
	v_add_u32_e32 v15, s9, v9
	s_add_i32 s9, s9, 8
	s_cmp_lg_u32 s9, 16
	buffer_store_dword v8, v15, s[0:3], 0 offen offset:4
	buffer_store_dword v8, v15, s[0:3], 0 offen
	s_cbranch_scc1 .LBB2036_155
; %bb.156:
	buffer_load_dword v26, off, s[0:3], 0 offset:72
	v_lshlrev_b64 v[8:9], v1, -1
	v_cmp_eq_u16_e32 vcc, 2, v14
	v_and_b32_e32 v15, 63, v1
	v_and_b32_e32 v16, vcc_hi, v9
	v_and_b32_e32 v17, vcc_lo, v8
	v_cmp_ne_u32_e32 vcc, 63, v15
	v_addc_co_u32_e32 v18, vcc, 0, v1, vcc
	v_or_b32_e32 v19, 0x80000000, v16
	v_lshlrev_b32_e32 v16, 2, v18
	v_ffbl_b32_e32 v18, v19
	v_ffbl_b32_e32 v17, v17
	v_add_u32_e32 v18, 32, v18
	ds_bpermute_b32 v19, v16, v2
	v_min_u32_e32 v27, v17, v18
	ds_bpermute_b32 v20, v16, v3
	ds_bpermute_b32 v21, v16, v4
	;; [unrolled: 1-line block ×3, first 2 shown]
	v_cmp_lt_u32_e32 vcc, v15, v27
	s_waitcnt lgkmcnt(3)
	buffer_store_dword v19, off, s[0:3], 0 offset:96
	s_waitcnt lgkmcnt(2)
	buffer_store_dword v20, off, s[0:3], 0 offset:100
	;; [unrolled: 2-line block ×4, first 2 shown]
	s_waitcnt vmcnt(4)
	ds_bpermute_b32 v17, v16, v26
	s_and_saveexec_b64 s[10:11], vcc
	s_cbranch_execz .LBB2036_164
; %bb.157:
	v_mov_b32_e32 v18, 0
	v_cmp_eq_u16_sdwa s[36:37], v26, v18 src0_sel:BYTE_0 src1_sel:DWORD
	s_and_saveexec_b64 s[16:17], s[36:37]
	s_cbranch_execz .LBB2036_163
; %bb.158:
	s_mov_b32 s9, 0
	v_mov_b32_e32 v2, 36
.LBB2036_159:                           ; =>This Inner Loop Header: Depth=1
	v_add_u32_e32 v3, s9, v2
	s_add_i32 s9, s9, 8
	s_cmp_lg_u32 s9, 16
	buffer_store_dword v18, v3, s[0:3], 0 offen offset:4
	buffer_store_dword v18, v3, s[0:3], 0 offen
	s_cbranch_scc1 .LBB2036_159
; %bb.160:
	s_mov_b32 s9, 0
	v_mov_b32_e32 v2, 0x60
	v_mov_b32_e32 v3, 56
	;; [unrolled: 1-line block ×3, first 2 shown]
.LBB2036_161:                           ; =>This Inner Loop Header: Depth=1
	v_add_u32_e32 v5, s9, v2
	v_add_u32_e32 v18, s9, v3
	buffer_load_dword v19, v5, s[0:3], 0 offen offset:4
	buffer_load_dword v20, v18, s[0:3], 0 offen
	buffer_load_dword v21, v5, s[0:3], 0 offen
	buffer_load_dword v22, v18, s[0:3], 0 offen offset:4
                                        ; kill: killed $vgpr5
	v_add_u32_e32 v5, s9, v4
	s_add_i32 s9, s9, 8
	s_cmp_lg_u32 s9, 16
                                        ; kill: killed $vgpr18
	s_waitcnt vmcnt(1)
	v_add_u32_e32 v18, v20, v21
	s_waitcnt vmcnt(0)
	v_add_u32_e32 v19, v22, v19
	buffer_store_dword v19, v5, s[0:3], 0 offen offset:4
	buffer_store_dword v18, v5, s[0:3], 0 offen
	s_cbranch_scc1 .LBB2036_161
; %bb.162:
	buffer_load_dword v2, off, s[0:3], 0 offset:36
	buffer_load_dword v3, off, s[0:3], 0 offset:40
	;; [unrolled: 1-line block ×4, first 2 shown]
.LBB2036_163:
	s_or_b64 exec, exec, s[16:17]
	s_waitcnt lgkmcnt(0)
	v_or_b32_e32 v17, v17, v26
	v_and_b32_e32 v17, 1, v17
	buffer_store_byte v17, off, s[0:3], 0 offset:72
	buffer_load_dword v26, off, s[0:3], 0 offset:72
	s_waitcnt vmcnt(4)
	buffer_store_dword v3, off, s[0:3], 0 offset:60
	buffer_store_dword v2, off, s[0:3], 0 offset:56
	s_waitcnt vmcnt(4)
	buffer_store_dword v5, off, s[0:3], 0 offset:68
	buffer_store_dword v4, off, s[0:3], 0 offset:64
.LBB2036_164:
	s_or_b64 exec, exec, s[10:11]
	v_cmp_gt_u32_e32 vcc, 62, v15
	v_cndmask_b32_e64 v18, 0, 1, vcc
	v_lshlrev_b32_e32 v18, 1, v18
	v_add_lshl_u32 v18, v18, v1, 2
	ds_bpermute_b32 v20, v18, v2
	s_waitcnt vmcnt(4)
	ds_bpermute_b32 v19, v18, v26
	ds_bpermute_b32 v21, v18, v3
	;; [unrolled: 1-line block ×3, first 2 shown]
	s_waitcnt lgkmcnt(4)
	v_add_u32_e32 v17, 2, v15
	ds_bpermute_b32 v23, v18, v5
	v_cmp_le_u32_e32 vcc, v17, v27
	s_waitcnt lgkmcnt(4)
	buffer_store_dword v20, off, s[0:3], 0 offset:96
	s_waitcnt lgkmcnt(2)
	buffer_store_dword v21, off, s[0:3], 0 offset:100
	;; [unrolled: 2-line block ×4, first 2 shown]
	s_and_saveexec_b64 s[16:17], vcc
	s_cbranch_execz .LBB2036_172
; %bb.165:
	v_mov_b32_e32 v20, 0
	s_mov_b32 s9, 0
	v_cmp_eq_u16_sdwa s[36:37], v26, v20 src0_sel:BYTE_0 src1_sel:DWORD
	s_and_saveexec_b64 s[10:11], s[36:37]
	s_cbranch_execz .LBB2036_171
; %bb.166:
	v_mov_b32_e32 v2, 36
.LBB2036_167:                           ; =>This Inner Loop Header: Depth=1
	v_add_u32_e32 v3, s9, v2
	s_add_i32 s9, s9, 8
	s_cmp_lg_u32 s9, 16
	buffer_store_dword v20, v3, s[0:3], 0 offen offset:4
	buffer_store_dword v20, v3, s[0:3], 0 offen
	s_cbranch_scc1 .LBB2036_167
; %bb.168:
	s_mov_b32 s9, 0
	v_mov_b32_e32 v2, 0x60
	v_mov_b32_e32 v3, 56
	;; [unrolled: 1-line block ×3, first 2 shown]
.LBB2036_169:                           ; =>This Inner Loop Header: Depth=1
	v_add_u32_e32 v5, s9, v2
	v_add_u32_e32 v20, s9, v3
	buffer_load_dword v21, v5, s[0:3], 0 offen offset:4
	buffer_load_dword v22, v20, s[0:3], 0 offen
	buffer_load_dword v23, v5, s[0:3], 0 offen
	buffer_load_dword v24, v20, s[0:3], 0 offen offset:4
                                        ; kill: killed $vgpr5
	v_add_u32_e32 v5, s9, v4
	s_add_i32 s9, s9, 8
	s_cmp_lg_u32 s9, 16
                                        ; kill: killed $vgpr20
	s_waitcnt vmcnt(1)
	v_add_u32_e32 v20, v22, v23
	s_waitcnt vmcnt(0)
	v_add_u32_e32 v21, v24, v21
	buffer_store_dword v21, v5, s[0:3], 0 offen offset:4
	buffer_store_dword v20, v5, s[0:3], 0 offen
	s_cbranch_scc1 .LBB2036_169
; %bb.170:
	buffer_load_dword v2, off, s[0:3], 0 offset:36
	buffer_load_dword v3, off, s[0:3], 0 offset:40
	;; [unrolled: 1-line block ×4, first 2 shown]
.LBB2036_171:
	s_or_b64 exec, exec, s[10:11]
	v_and_b32_e32 v20, 1, v26
	v_and_b32_e32 v19, 1, v19
	v_cmp_eq_u32_e32 vcc, 1, v20
	v_cmp_eq_u32_e64 s[10:11], 1, v19
	s_or_b64 s[10:11], vcc, s[10:11]
	v_cndmask_b32_e64 v19, 0, 1, s[10:11]
	buffer_store_byte v19, off, s[0:3], 0 offset:72
	buffer_load_dword v26, off, s[0:3], 0 offset:72
	s_waitcnt vmcnt(4)
	buffer_store_dword v3, off, s[0:3], 0 offset:60
	buffer_store_dword v2, off, s[0:3], 0 offset:56
	s_waitcnt vmcnt(4)
	buffer_store_dword v5, off, s[0:3], 0 offset:68
	buffer_store_dword v4, off, s[0:3], 0 offset:64
.LBB2036_172:
	s_or_b64 exec, exec, s[16:17]
	v_cmp_gt_u32_e32 vcc, 60, v15
	v_cndmask_b32_e64 v20, 0, 1, vcc
	v_lshlrev_b32_e32 v20, 2, v20
	v_add_lshl_u32 v20, v20, v1, 2
	ds_bpermute_b32 v22, v20, v2
	s_waitcnt vmcnt(4)
	ds_bpermute_b32 v21, v20, v26
	ds_bpermute_b32 v23, v20, v3
	;; [unrolled: 1-line block ×3, first 2 shown]
	v_add_u32_e32 v19, 4, v15
	ds_bpermute_b32 v25, v20, v5
	v_cmp_le_u32_e32 vcc, v19, v27
	s_waitcnt lgkmcnt(4)
	buffer_store_dword v22, off, s[0:3], 0 offset:96
	s_waitcnt lgkmcnt(2)
	buffer_store_dword v23, off, s[0:3], 0 offset:100
	;; [unrolled: 2-line block ×4, first 2 shown]
	s_and_saveexec_b64 s[16:17], vcc
	s_cbranch_execz .LBB2036_180
; %bb.173:
	v_mov_b32_e32 v22, 0
	s_mov_b32 s9, 0
	v_cmp_eq_u16_sdwa s[36:37], v26, v22 src0_sel:BYTE_0 src1_sel:DWORD
	s_and_saveexec_b64 s[10:11], s[36:37]
	s_cbranch_execz .LBB2036_179
; %bb.174:
	v_mov_b32_e32 v2, 36
.LBB2036_175:                           ; =>This Inner Loop Header: Depth=1
	v_add_u32_e32 v3, s9, v2
	s_add_i32 s9, s9, 8
	s_cmp_lg_u32 s9, 16
	buffer_store_dword v22, v3, s[0:3], 0 offen offset:4
	buffer_store_dword v22, v3, s[0:3], 0 offen
	s_cbranch_scc1 .LBB2036_175
; %bb.176:
	s_mov_b32 s9, 0
	v_mov_b32_e32 v2, 0x60
	v_mov_b32_e32 v3, 56
	;; [unrolled: 1-line block ×3, first 2 shown]
.LBB2036_177:                           ; =>This Inner Loop Header: Depth=1
	v_add_u32_e32 v5, s9, v2
	v_add_u32_e32 v22, s9, v3
	buffer_load_dword v23, v5, s[0:3], 0 offen offset:4
	buffer_load_dword v24, v22, s[0:3], 0 offen
	buffer_load_dword v25, v5, s[0:3], 0 offen
	buffer_load_dword v28, v22, s[0:3], 0 offen offset:4
                                        ; kill: killed $vgpr5
	v_add_u32_e32 v5, s9, v4
	s_add_i32 s9, s9, 8
	s_cmp_lg_u32 s9, 16
                                        ; kill: killed $vgpr22
	s_waitcnt vmcnt(1)
	v_add_u32_e32 v22, v24, v25
	s_waitcnt vmcnt(0)
	v_add_u32_e32 v23, v28, v23
	buffer_store_dword v23, v5, s[0:3], 0 offen offset:4
	buffer_store_dword v22, v5, s[0:3], 0 offen
	s_cbranch_scc1 .LBB2036_177
; %bb.178:
	buffer_load_dword v2, off, s[0:3], 0 offset:36
	buffer_load_dword v3, off, s[0:3], 0 offset:40
	;; [unrolled: 1-line block ×4, first 2 shown]
.LBB2036_179:
	s_or_b64 exec, exec, s[10:11]
	v_and_b32_e32 v22, 1, v26
	v_and_b32_e32 v21, 1, v21
	v_cmp_eq_u32_e32 vcc, 1, v22
	v_cmp_eq_u32_e64 s[10:11], 1, v21
	s_or_b64 s[10:11], vcc, s[10:11]
	v_cndmask_b32_e64 v21, 0, 1, s[10:11]
	buffer_store_byte v21, off, s[0:3], 0 offset:72
	buffer_load_dword v26, off, s[0:3], 0 offset:72
	s_waitcnt vmcnt(4)
	buffer_store_dword v3, off, s[0:3], 0 offset:60
	buffer_store_dword v2, off, s[0:3], 0 offset:56
	s_waitcnt vmcnt(4)
	buffer_store_dword v5, off, s[0:3], 0 offset:68
	buffer_store_dword v4, off, s[0:3], 0 offset:64
.LBB2036_180:
	s_or_b64 exec, exec, s[16:17]
	v_cmp_gt_u32_e32 vcc, 56, v15
	v_cndmask_b32_e64 v22, 0, 1, vcc
	v_lshlrev_b32_e32 v22, 3, v22
	v_add_lshl_u32 v22, v22, v1, 2
	ds_bpermute_b32 v24, v22, v2
	s_waitcnt vmcnt(4)
	ds_bpermute_b32 v23, v22, v26
	ds_bpermute_b32 v25, v22, v3
	;; [unrolled: 1-line block ×3, first 2 shown]
	v_add_u32_e32 v21, 8, v15
	ds_bpermute_b32 v29, v22, v5
	v_cmp_le_u32_e32 vcc, v21, v27
	s_waitcnt lgkmcnt(4)
	buffer_store_dword v24, off, s[0:3], 0 offset:96
	s_waitcnt lgkmcnt(2)
	buffer_store_dword v25, off, s[0:3], 0 offset:100
	;; [unrolled: 2-line block ×4, first 2 shown]
	s_and_saveexec_b64 s[16:17], vcc
	s_cbranch_execz .LBB2036_188
; %bb.181:
	v_mov_b32_e32 v24, 0
	s_mov_b32 s9, 0
	v_cmp_eq_u16_sdwa s[36:37], v26, v24 src0_sel:BYTE_0 src1_sel:DWORD
	s_and_saveexec_b64 s[10:11], s[36:37]
	s_cbranch_execz .LBB2036_187
; %bb.182:
	v_mov_b32_e32 v2, 36
.LBB2036_183:                           ; =>This Inner Loop Header: Depth=1
	v_add_u32_e32 v3, s9, v2
	s_add_i32 s9, s9, 8
	s_cmp_lg_u32 s9, 16
	buffer_store_dword v24, v3, s[0:3], 0 offen offset:4
	buffer_store_dword v24, v3, s[0:3], 0 offen
	s_cbranch_scc1 .LBB2036_183
; %bb.184:
	s_mov_b32 s9, 0
	v_mov_b32_e32 v2, 0x60
	v_mov_b32_e32 v3, 56
	;; [unrolled: 1-line block ×3, first 2 shown]
.LBB2036_185:                           ; =>This Inner Loop Header: Depth=1
	v_add_u32_e32 v5, s9, v2
	v_add_u32_e32 v24, s9, v3
	buffer_load_dword v25, v5, s[0:3], 0 offen offset:4
	buffer_load_dword v28, v24, s[0:3], 0 offen
	buffer_load_dword v29, v5, s[0:3], 0 offen
	buffer_load_dword v30, v24, s[0:3], 0 offen offset:4
                                        ; kill: killed $vgpr5
	v_add_u32_e32 v5, s9, v4
	s_add_i32 s9, s9, 8
	s_cmp_lg_u32 s9, 16
                                        ; kill: killed $vgpr24
	s_waitcnt vmcnt(1)
	v_add_u32_e32 v24, v28, v29
	s_waitcnt vmcnt(0)
	v_add_u32_e32 v25, v30, v25
	buffer_store_dword v25, v5, s[0:3], 0 offen offset:4
	buffer_store_dword v24, v5, s[0:3], 0 offen
	s_cbranch_scc1 .LBB2036_185
; %bb.186:
	buffer_load_dword v2, off, s[0:3], 0 offset:36
	buffer_load_dword v3, off, s[0:3], 0 offset:40
	;; [unrolled: 1-line block ×4, first 2 shown]
.LBB2036_187:
	s_or_b64 exec, exec, s[10:11]
	v_and_b32_e32 v24, 1, v26
	v_and_b32_e32 v23, 1, v23
	v_cmp_eq_u32_e32 vcc, 1, v24
	v_cmp_eq_u32_e64 s[10:11], 1, v23
	s_or_b64 s[10:11], vcc, s[10:11]
	v_cndmask_b32_e64 v23, 0, 1, s[10:11]
	buffer_store_byte v23, off, s[0:3], 0 offset:72
	buffer_load_dword v26, off, s[0:3], 0 offset:72
	s_waitcnt vmcnt(4)
	buffer_store_dword v3, off, s[0:3], 0 offset:60
	buffer_store_dword v2, off, s[0:3], 0 offset:56
	s_waitcnt vmcnt(4)
	buffer_store_dword v5, off, s[0:3], 0 offset:68
	buffer_store_dword v4, off, s[0:3], 0 offset:64
.LBB2036_188:
	s_or_b64 exec, exec, s[16:17]
	v_cmp_gt_u32_e32 vcc, 48, v15
	v_cndmask_b32_e64 v24, 0, 1, vcc
	v_lshlrev_b32_e32 v24, 4, v24
	v_add_lshl_u32 v24, v24, v1, 2
	ds_bpermute_b32 v28, v24, v2
	s_waitcnt vmcnt(4)
	ds_bpermute_b32 v25, v24, v26
	ds_bpermute_b32 v29, v24, v3
	;; [unrolled: 1-line block ×3, first 2 shown]
	v_add_u32_e32 v23, 16, v15
	ds_bpermute_b32 v31, v24, v5
	v_cmp_le_u32_e32 vcc, v23, v27
	s_waitcnt lgkmcnt(4)
	buffer_store_dword v28, off, s[0:3], 0 offset:96
	s_waitcnt lgkmcnt(2)
	buffer_store_dword v29, off, s[0:3], 0 offset:100
	;; [unrolled: 2-line block ×4, first 2 shown]
	s_and_saveexec_b64 s[16:17], vcc
	s_cbranch_execz .LBB2036_196
; %bb.189:
	v_mov_b32_e32 v28, 0
	s_mov_b32 s9, 0
	v_cmp_eq_u16_sdwa s[36:37], v26, v28 src0_sel:BYTE_0 src1_sel:DWORD
	s_and_saveexec_b64 s[10:11], s[36:37]
	s_cbranch_execz .LBB2036_195
; %bb.190:
	v_mov_b32_e32 v2, 36
.LBB2036_191:                           ; =>This Inner Loop Header: Depth=1
	v_add_u32_e32 v3, s9, v2
	s_add_i32 s9, s9, 8
	s_cmp_lg_u32 s9, 16
	buffer_store_dword v28, v3, s[0:3], 0 offen offset:4
	buffer_store_dword v28, v3, s[0:3], 0 offen
	s_cbranch_scc1 .LBB2036_191
; %bb.192:
	s_mov_b32 s9, 0
	v_mov_b32_e32 v2, 0x60
	v_mov_b32_e32 v3, 56
	;; [unrolled: 1-line block ×3, first 2 shown]
.LBB2036_193:                           ; =>This Inner Loop Header: Depth=1
	v_add_u32_e32 v5, s9, v2
	v_add_u32_e32 v28, s9, v3
	buffer_load_dword v29, v5, s[0:3], 0 offen offset:4
	buffer_load_dword v30, v28, s[0:3], 0 offen
	buffer_load_dword v31, v5, s[0:3], 0 offen
	buffer_load_dword v32, v28, s[0:3], 0 offen offset:4
                                        ; kill: killed $vgpr5
	v_add_u32_e32 v5, s9, v4
	s_add_i32 s9, s9, 8
	s_cmp_lg_u32 s9, 16
                                        ; kill: killed $vgpr28
	s_waitcnt vmcnt(1)
	v_add_u32_e32 v28, v30, v31
	s_waitcnt vmcnt(0)
	v_add_u32_e32 v29, v32, v29
	buffer_store_dword v29, v5, s[0:3], 0 offen offset:4
	buffer_store_dword v28, v5, s[0:3], 0 offen
	s_cbranch_scc1 .LBB2036_193
; %bb.194:
	buffer_load_dword v2, off, s[0:3], 0 offset:36
	buffer_load_dword v3, off, s[0:3], 0 offset:40
	;; [unrolled: 1-line block ×4, first 2 shown]
.LBB2036_195:
	s_or_b64 exec, exec, s[10:11]
	v_and_b32_e32 v26, 1, v26
	v_and_b32_e32 v25, 1, v25
	v_cmp_eq_u32_e32 vcc, 1, v26
	v_cmp_eq_u32_e64 s[10:11], 1, v25
	s_or_b64 s[10:11], vcc, s[10:11]
	v_cndmask_b32_e64 v25, 0, 1, s[10:11]
	buffer_store_byte v25, off, s[0:3], 0 offset:72
	buffer_load_dword v26, off, s[0:3], 0 offset:72
	s_waitcnt vmcnt(4)
	buffer_store_dword v3, off, s[0:3], 0 offset:60
	buffer_store_dword v2, off, s[0:3], 0 offset:56
	s_waitcnt vmcnt(4)
	buffer_store_dword v5, off, s[0:3], 0 offset:68
	buffer_store_dword v4, off, s[0:3], 0 offset:64
.LBB2036_196:
	s_or_b64 exec, exec, s[16:17]
	v_cmp_gt_u32_e32 vcc, 32, v15
	v_cndmask_b32_e64 v28, 0, 1, vcc
	v_lshlrev_b32_e32 v28, 5, v28
	v_add_lshl_u32 v1, v28, v1, 2
	ds_bpermute_b32 v29, v1, v2
	s_waitcnt vmcnt(4)
	ds_bpermute_b32 v28, v1, v26
	ds_bpermute_b32 v30, v1, v3
	;; [unrolled: 1-line block ×3, first 2 shown]
	v_add_u32_e32 v25, 32, v15
	ds_bpermute_b32 v32, v1, v5
	v_cmp_le_u32_e32 vcc, v25, v27
	s_waitcnt lgkmcnt(4)
	buffer_store_dword v29, off, s[0:3], 0 offset:96
	s_waitcnt lgkmcnt(2)
	buffer_store_dword v30, off, s[0:3], 0 offset:100
	;; [unrolled: 2-line block ×4, first 2 shown]
	s_and_saveexec_b64 s[16:17], vcc
	s_cbranch_execz .LBB2036_204
; %bb.197:
	v_mov_b32_e32 v27, 0
	s_mov_b32 s9, 0
	v_cmp_eq_u16_sdwa s[36:37], v26, v27 src0_sel:BYTE_0 src1_sel:DWORD
	s_and_saveexec_b64 s[10:11], s[36:37]
	s_cbranch_execz .LBB2036_203
; %bb.198:
	v_mov_b32_e32 v2, 36
.LBB2036_199:                           ; =>This Inner Loop Header: Depth=1
	v_add_u32_e32 v3, s9, v2
	s_add_i32 s9, s9, 8
	s_cmp_lg_u32 s9, 16
	buffer_store_dword v27, v3, s[0:3], 0 offen offset:4
	buffer_store_dword v27, v3, s[0:3], 0 offen
	s_cbranch_scc1 .LBB2036_199
; %bb.200:
	s_mov_b32 s9, 0
	v_mov_b32_e32 v2, 0x60
	v_mov_b32_e32 v3, 56
	v_mov_b32_e32 v4, 36
.LBB2036_201:                           ; =>This Inner Loop Header: Depth=1
	v_add_u32_e32 v5, s9, v2
	v_add_u32_e32 v27, s9, v3
	buffer_load_dword v29, v5, s[0:3], 0 offen offset:4
	buffer_load_dword v30, v27, s[0:3], 0 offen
	buffer_load_dword v31, v5, s[0:3], 0 offen
	buffer_load_dword v32, v27, s[0:3], 0 offen offset:4
                                        ; kill: killed $vgpr5
	v_add_u32_e32 v5, s9, v4
	s_add_i32 s9, s9, 8
	s_cmp_lg_u32 s9, 16
                                        ; kill: killed $vgpr27
	s_waitcnt vmcnt(1)
	v_add_u32_e32 v27, v30, v31
	s_waitcnt vmcnt(0)
	v_add_u32_e32 v29, v32, v29
	buffer_store_dword v29, v5, s[0:3], 0 offen offset:4
	buffer_store_dword v27, v5, s[0:3], 0 offen
	s_cbranch_scc1 .LBB2036_201
; %bb.202:
	buffer_load_dword v2, off, s[0:3], 0 offset:36
	buffer_load_dword v3, off, s[0:3], 0 offset:40
	;; [unrolled: 1-line block ×4, first 2 shown]
.LBB2036_203:
	s_or_b64 exec, exec, s[10:11]
	v_and_b32_e32 v26, 1, v26
	v_cmp_eq_u32_e32 vcc, 1, v26
	v_and_b32_e32 v26, 1, v28
	v_cmp_eq_u32_e64 s[10:11], 1, v26
	s_or_b64 s[10:11], vcc, s[10:11]
	v_cndmask_b32_e64 v26, 0, 1, s[10:11]
	s_waitcnt vmcnt(2)
	buffer_store_dword v3, off, s[0:3], 0 offset:60
	buffer_store_dword v2, off, s[0:3], 0 offset:56
	s_waitcnt vmcnt(2)
	buffer_store_dword v5, off, s[0:3], 0 offset:68
	buffer_store_dword v4, off, s[0:3], 0 offset:64
	buffer_store_byte v26, off, s[0:3], 0 offset:72
.LBB2036_204:
	s_or_b64 exec, exec, s[16:17]
	buffer_load_dword v2, off, s[0:3], 0 offset:68
	buffer_load_dword v3, off, s[0:3], 0 offset:64
	;; [unrolled: 1-line block ×5, first 2 shown]
	v_mov_b32_e32 v26, 0
	v_mov_b32_e32 v27, 16
	;; [unrolled: 1-line block ×6, first 2 shown]
	s_waitcnt vmcnt(4)
	buffer_store_dword v2, off, s[0:3], 0 offset:48
	s_waitcnt vmcnt(4)
	buffer_store_dword v3, off, s[0:3], 0 offset:44
	;; [unrolled: 2-line block ×5, first 2 shown]
	v_mov_b32_e32 v32, 2
	s_branch .LBB2036_206
.LBB2036_205:                           ;   in Loop: Header=BB2036_206 Depth=1
                                        ; implicit-def: $vgpr6
                                        ; implicit-def: $vgpr14
	s_cbranch_execnz .LBB2036_272
.LBB2036_206:                           ; =>This Loop Header: Depth=1
                                        ;     Child Loop BB2036_208 Depth 2
                                        ;     Child Loop BB2036_211 Depth 2
                                        ;     Child Loop BB2036_214 Depth 2
                                        ;     Child Loop BB2036_218 Depth 2
                                        ;     Child Loop BB2036_220 Depth 2
                                        ;     Child Loop BB2036_226 Depth 2
                                        ;     Child Loop BB2036_228 Depth 2
                                        ;     Child Loop BB2036_234 Depth 2
                                        ;     Child Loop BB2036_236 Depth 2
                                        ;     Child Loop BB2036_242 Depth 2
                                        ;     Child Loop BB2036_244 Depth 2
                                        ;     Child Loop BB2036_250 Depth 2
                                        ;     Child Loop BB2036_252 Depth 2
                                        ;     Child Loop BB2036_258 Depth 2
                                        ;     Child Loop BB2036_260 Depth 2
                                        ;     Child Loop BB2036_267 Depth 2
                                        ;     Child Loop BB2036_269 Depth 2
	v_cmp_ne_u16_sdwa s[10:11], v14, v32 src0_sel:BYTE_0 src1_sel:DWORD
	v_cndmask_b32_e64 v2, 0, 1, s[10:11]
	;;#ASMSTART
	;;#ASMEND
	v_cmp_ne_u32_e32 vcc, 0, v2
	s_cmp_lg_u64 vcc, exec
	s_cbranch_scc1 .LBB2036_205
; %bb.207:                              ;   in Loop: Header=BB2036_206 Depth=1
	s_mov_b32 s9, 0
	buffer_store_dword v26, off, s[0:3], 0 offset:28
	buffer_store_dword v26, off, s[0:3], 0 offset:24
	;; [unrolled: 1-line block ×5, first 2 shown]
.LBB2036_208:                           ;   Parent Loop BB2036_206 Depth=1
                                        ; =>  This Inner Loop Header: Depth=2
	v_add_u32_e32 v2, s9, v27
	s_add_i32 s9, s9, 8
	s_cmp_lg_u32 s9, 16
	buffer_store_dword v26, v2, s[0:3], 0 offen offset:4
	buffer_store_dword v26, v2, s[0:3], 0 offen
	s_cbranch_scc1 .LBB2036_208
; %bb.209:                              ;   in Loop: Header=BB2036_206 Depth=1
	buffer_store_byte v26, off, s[0:3], 0 offset:32
	global_load_ubyte v14, v6, s[24:25] glc
	s_waitcnt vmcnt(0)
	v_cmp_eq_u16_e32 vcc, 0, v14
	s_and_saveexec_b64 s[10:11], vcc
	s_cbranch_execz .LBB2036_213
; %bb.210:                              ;   in Loop: Header=BB2036_206 Depth=1
	v_mov_b32_e32 v3, s25
	v_add_co_u32_e32 v2, vcc, s24, v6
	v_addc_co_u32_e32 v3, vcc, 0, v3, vcc
	s_mov_b64 s[16:17], 0
.LBB2036_211:                           ;   Parent Loop BB2036_206 Depth=1
                                        ; =>  This Inner Loop Header: Depth=2
	global_load_ubyte v14, v[2:3], off glc
	s_waitcnt vmcnt(0)
	v_cmp_ne_u16_e32 vcc, 0, v14
	s_or_b64 s[16:17], vcc, s[16:17]
	s_andn2_b64 exec, exec, s[16:17]
	s_cbranch_execnz .LBB2036_211
; %bb.212:                              ;   in Loop: Header=BB2036_206 Depth=1
	s_or_b64 exec, exec, s[16:17]
.LBB2036_213:                           ;   in Loop: Header=BB2036_206 Depth=1
	s_or_b64 exec, exec, s[10:11]
	v_mov_b32_e32 v2, s23
	v_mov_b32_e32 v3, s21
	v_cmp_eq_u16_e32 vcc, 1, v14
	v_cndmask_b32_e32 v3, v2, v3, vcc
	v_mov_b32_e32 v2, s22
	v_mov_b32_e32 v4, s20
	v_cndmask_b32_e32 v2, v2, v4, vcc
	v_mad_u64_u32 v[34:35], s[10:11], v6, 20, v[2:3]
	buffer_wbinvl1_vol
	global_load_dwordx4 v[2:5], v[34:35], off
	global_load_ubyte v33, v[34:35], off offset:16
	s_mov_b32 s9, 0
	buffer_store_dword v26, off, s[0:3], 0 offset:112
	s_waitcnt vmcnt(2)
	buffer_store_dword v5, off, s[0:3], 0 offset:28
	buffer_store_dword v4, off, s[0:3], 0 offset:24
	;; [unrolled: 1-line block ×4, first 2 shown]
	s_waitcnt vmcnt(5)
	buffer_store_byte v33, off, s[0:3], 0 offset:32
	buffer_store_dword v3, off, s[0:3], 0 offset:60
	buffer_store_dword v2, off, s[0:3], 0 offset:56
	;; [unrolled: 1-line block ×4, first 2 shown]
	buffer_store_byte v33, off, s[0:3], 0 offset:72
.LBB2036_214:                           ;   Parent Loop BB2036_206 Depth=1
                                        ; =>  This Inner Loop Header: Depth=2
	v_add_u32_e32 v33, s9, v28
	s_add_i32 s9, s9, 8
	s_cmp_lg_u32 s9, 16
	buffer_store_dword v26, v33, s[0:3], 0 offen offset:4
	buffer_store_dword v26, v33, s[0:3], 0 offen
	s_cbranch_scc1 .LBB2036_214
; %bb.215:                              ;   in Loop: Header=BB2036_206 Depth=1
	buffer_load_dword v34, off, s[0:3], 0 offset:72
	v_cmp_eq_u16_e32 vcc, 2, v14
	v_and_b32_e32 v33, vcc_hi, v9
	v_or_b32_e32 v33, 0x80000000, v33
	v_and_b32_e32 v35, vcc_lo, v8
	v_ffbl_b32_e32 v33, v33
	v_ffbl_b32_e32 v35, v35
	v_add_u32_e32 v33, 32, v33
	ds_bpermute_b32 v36, v16, v2
	v_min_u32_e32 v33, v35, v33
	ds_bpermute_b32 v37, v16, v3
	ds_bpermute_b32 v38, v16, v4
	;; [unrolled: 1-line block ×3, first 2 shown]
	v_cmp_lt_u32_e32 vcc, v15, v33
	s_waitcnt lgkmcnt(3)
	buffer_store_dword v36, off, s[0:3], 0 offset:96
	s_waitcnt lgkmcnt(2)
	buffer_store_dword v37, off, s[0:3], 0 offset:100
	;; [unrolled: 2-line block ×4, first 2 shown]
	s_waitcnt vmcnt(4)
	ds_bpermute_b32 v35, v16, v34
	s_and_saveexec_b64 s[10:11], vcc
	s_cbranch_execz .LBB2036_223
; %bb.216:                              ;   in Loop: Header=BB2036_206 Depth=1
	v_cmp_eq_u16_sdwa s[36:37], v34, v26 src0_sel:BYTE_0 src1_sel:DWORD
	s_and_saveexec_b64 s[16:17], s[36:37]
	s_cbranch_execz .LBB2036_222
; %bb.217:                              ;   in Loop: Header=BB2036_206 Depth=1
	s_mov_b32 s9, 0
.LBB2036_218:                           ;   Parent Loop BB2036_206 Depth=1
                                        ; =>  This Inner Loop Header: Depth=2
	v_add_u32_e32 v2, s9, v29
	s_add_i32 s9, s9, 8
	s_cmp_lg_u32 s9, 16
	buffer_store_dword v26, v2, s[0:3], 0 offen offset:4
	buffer_store_dword v26, v2, s[0:3], 0 offen
	s_cbranch_scc1 .LBB2036_218
; %bb.219:                              ;   in Loop: Header=BB2036_206 Depth=1
	s_mov_b32 s9, 0
.LBB2036_220:                           ;   Parent Loop BB2036_206 Depth=1
                                        ; =>  This Inner Loop Header: Depth=2
	v_add_u32_e32 v2, s9, v28
	v_add_u32_e32 v3, s9, v30
	buffer_load_dword v4, v2, s[0:3], 0 offen offset:4
	buffer_load_dword v5, v3, s[0:3], 0 offen
	buffer_load_dword v36, v2, s[0:3], 0 offen
	buffer_load_dword v37, v3, s[0:3], 0 offen offset:4
	v_add_u32_e32 v2, s9, v29
	s_add_i32 s9, s9, 8
	s_cmp_lg_u32 s9, 16
	s_waitcnt vmcnt(1)
	v_add_u32_e32 v3, v5, v36
	s_waitcnt vmcnt(0)
	v_add_u32_e32 v4, v37, v4
	buffer_store_dword v4, v2, s[0:3], 0 offen offset:4
	buffer_store_dword v3, v2, s[0:3], 0 offen
	s_cbranch_scc1 .LBB2036_220
; %bb.221:                              ;   in Loop: Header=BB2036_206 Depth=1
	buffer_load_dword v2, off, s[0:3], 0
	buffer_load_dword v3, off, s[0:3], 0 offset:4
	buffer_load_dword v4, off, s[0:3], 0 offset:8
	;; [unrolled: 1-line block ×3, first 2 shown]
.LBB2036_222:                           ;   in Loop: Header=BB2036_206 Depth=1
	s_or_b64 exec, exec, s[16:17]
	s_waitcnt lgkmcnt(0)
	v_or_b32_e32 v34, v35, v34
	v_and_b32_e32 v34, 1, v34
	buffer_store_byte v34, off, s[0:3], 0 offset:72
	buffer_load_dword v34, off, s[0:3], 0 offset:72
	s_waitcnt vmcnt(4)
	buffer_store_dword v3, off, s[0:3], 0 offset:60
	buffer_store_dword v2, off, s[0:3], 0 offset:56
	s_waitcnt vmcnt(4)
	buffer_store_dword v5, off, s[0:3], 0 offset:68
	buffer_store_dword v4, off, s[0:3], 0 offset:64
.LBB2036_223:                           ;   in Loop: Header=BB2036_206 Depth=1
	s_or_b64 exec, exec, s[10:11]
	ds_bpermute_b32 v36, v18, v2
	s_waitcnt vmcnt(4) lgkmcnt(1)
	ds_bpermute_b32 v35, v18, v34
	ds_bpermute_b32 v37, v18, v3
	;; [unrolled: 1-line block ×4, first 2 shown]
	v_cmp_le_u32_e32 vcc, v17, v33
	s_waitcnt lgkmcnt(4)
	buffer_store_dword v36, off, s[0:3], 0 offset:96
	s_waitcnt lgkmcnt(2)
	buffer_store_dword v37, off, s[0:3], 0 offset:100
	s_waitcnt lgkmcnt(1)
	buffer_store_dword v38, off, s[0:3], 0 offset:104
	s_waitcnt lgkmcnt(0)
	buffer_store_dword v39, off, s[0:3], 0 offset:108
	s_and_saveexec_b64 s[16:17], vcc
	s_cbranch_execz .LBB2036_231
; %bb.224:                              ;   in Loop: Header=BB2036_206 Depth=1
	v_cmp_eq_u16_sdwa s[36:37], v34, v26 src0_sel:BYTE_0 src1_sel:DWORD
	s_and_saveexec_b64 s[10:11], s[36:37]
	s_cbranch_execz .LBB2036_230
; %bb.225:                              ;   in Loop: Header=BB2036_206 Depth=1
	s_mov_b32 s9, 0
.LBB2036_226:                           ;   Parent Loop BB2036_206 Depth=1
                                        ; =>  This Inner Loop Header: Depth=2
	v_add_u32_e32 v2, s9, v29
	s_add_i32 s9, s9, 8
	s_cmp_lg_u32 s9, 16
	buffer_store_dword v26, v2, s[0:3], 0 offen offset:4
	buffer_store_dword v26, v2, s[0:3], 0 offen
	s_cbranch_scc1 .LBB2036_226
; %bb.227:                              ;   in Loop: Header=BB2036_206 Depth=1
	s_mov_b32 s9, 0
.LBB2036_228:                           ;   Parent Loop BB2036_206 Depth=1
                                        ; =>  This Inner Loop Header: Depth=2
	v_add_u32_e32 v2, s9, v28
	v_add_u32_e32 v3, s9, v30
	buffer_load_dword v4, v2, s[0:3], 0 offen offset:4
	buffer_load_dword v5, v3, s[0:3], 0 offen
	buffer_load_dword v36, v2, s[0:3], 0 offen
	buffer_load_dword v37, v3, s[0:3], 0 offen offset:4
	v_add_u32_e32 v2, s9, v29
	s_add_i32 s9, s9, 8
	s_cmp_lg_u32 s9, 16
	s_waitcnt vmcnt(1)
	v_add_u32_e32 v3, v5, v36
	s_waitcnt vmcnt(0)
	v_add_u32_e32 v4, v37, v4
	buffer_store_dword v4, v2, s[0:3], 0 offen offset:4
	buffer_store_dword v3, v2, s[0:3], 0 offen
	s_cbranch_scc1 .LBB2036_228
; %bb.229:                              ;   in Loop: Header=BB2036_206 Depth=1
	buffer_load_dword v2, off, s[0:3], 0
	buffer_load_dword v3, off, s[0:3], 0 offset:4
	buffer_load_dword v4, off, s[0:3], 0 offset:8
	;; [unrolled: 1-line block ×3, first 2 shown]
.LBB2036_230:                           ;   in Loop: Header=BB2036_206 Depth=1
	s_or_b64 exec, exec, s[10:11]
	v_and_b32_e32 v34, 1, v34
	v_cmp_eq_u32_e32 vcc, 1, v34
	v_and_b32_e32 v34, 1, v35
	v_cmp_eq_u32_e64 s[10:11], 1, v34
	s_or_b64 s[10:11], vcc, s[10:11]
	v_cndmask_b32_e64 v34, 0, 1, s[10:11]
	buffer_store_byte v34, off, s[0:3], 0 offset:72
	buffer_load_dword v34, off, s[0:3], 0 offset:72
	s_waitcnt vmcnt(4)
	buffer_store_dword v3, off, s[0:3], 0 offset:60
	buffer_store_dword v2, off, s[0:3], 0 offset:56
	s_waitcnt vmcnt(4)
	buffer_store_dword v5, off, s[0:3], 0 offset:68
	buffer_store_dword v4, off, s[0:3], 0 offset:64
.LBB2036_231:                           ;   in Loop: Header=BB2036_206 Depth=1
	s_or_b64 exec, exec, s[16:17]
	ds_bpermute_b32 v36, v20, v2
	s_waitcnt vmcnt(4)
	ds_bpermute_b32 v35, v20, v34
	ds_bpermute_b32 v37, v20, v3
	;; [unrolled: 1-line block ×4, first 2 shown]
	v_cmp_le_u32_e32 vcc, v19, v33
	s_waitcnt lgkmcnt(4)
	buffer_store_dword v36, off, s[0:3], 0 offset:96
	s_waitcnt lgkmcnt(2)
	buffer_store_dword v37, off, s[0:3], 0 offset:100
	;; [unrolled: 2-line block ×4, first 2 shown]
	s_and_saveexec_b64 s[16:17], vcc
	s_cbranch_execz .LBB2036_239
; %bb.232:                              ;   in Loop: Header=BB2036_206 Depth=1
	v_cmp_eq_u16_sdwa s[36:37], v34, v26 src0_sel:BYTE_0 src1_sel:DWORD
	s_and_saveexec_b64 s[10:11], s[36:37]
	s_cbranch_execz .LBB2036_238
; %bb.233:                              ;   in Loop: Header=BB2036_206 Depth=1
	s_mov_b32 s9, 0
.LBB2036_234:                           ;   Parent Loop BB2036_206 Depth=1
                                        ; =>  This Inner Loop Header: Depth=2
	v_add_u32_e32 v2, s9, v29
	s_add_i32 s9, s9, 8
	s_cmp_lg_u32 s9, 16
	buffer_store_dword v26, v2, s[0:3], 0 offen offset:4
	buffer_store_dword v26, v2, s[0:3], 0 offen
	s_cbranch_scc1 .LBB2036_234
; %bb.235:                              ;   in Loop: Header=BB2036_206 Depth=1
	s_mov_b32 s9, 0
.LBB2036_236:                           ;   Parent Loop BB2036_206 Depth=1
                                        ; =>  This Inner Loop Header: Depth=2
	v_add_u32_e32 v2, s9, v28
	v_add_u32_e32 v3, s9, v30
	buffer_load_dword v4, v2, s[0:3], 0 offen offset:4
	buffer_load_dword v5, v3, s[0:3], 0 offen
	buffer_load_dword v36, v2, s[0:3], 0 offen
	buffer_load_dword v37, v3, s[0:3], 0 offen offset:4
	v_add_u32_e32 v2, s9, v29
	s_add_i32 s9, s9, 8
	s_cmp_lg_u32 s9, 16
	s_waitcnt vmcnt(1)
	v_add_u32_e32 v3, v5, v36
	s_waitcnt vmcnt(0)
	v_add_u32_e32 v4, v37, v4
	buffer_store_dword v4, v2, s[0:3], 0 offen offset:4
	buffer_store_dword v3, v2, s[0:3], 0 offen
	s_cbranch_scc1 .LBB2036_236
; %bb.237:                              ;   in Loop: Header=BB2036_206 Depth=1
	buffer_load_dword v2, off, s[0:3], 0
	buffer_load_dword v3, off, s[0:3], 0 offset:4
	buffer_load_dword v4, off, s[0:3], 0 offset:8
	;; [unrolled: 1-line block ×3, first 2 shown]
.LBB2036_238:                           ;   in Loop: Header=BB2036_206 Depth=1
	s_or_b64 exec, exec, s[10:11]
	v_and_b32_e32 v34, 1, v34
	v_cmp_eq_u32_e32 vcc, 1, v34
	v_and_b32_e32 v34, 1, v35
	v_cmp_eq_u32_e64 s[10:11], 1, v34
	s_or_b64 s[10:11], vcc, s[10:11]
	v_cndmask_b32_e64 v34, 0, 1, s[10:11]
	buffer_store_byte v34, off, s[0:3], 0 offset:72
	buffer_load_dword v34, off, s[0:3], 0 offset:72
	s_waitcnt vmcnt(4)
	buffer_store_dword v3, off, s[0:3], 0 offset:60
	buffer_store_dword v2, off, s[0:3], 0 offset:56
	s_waitcnt vmcnt(4)
	buffer_store_dword v5, off, s[0:3], 0 offset:68
	buffer_store_dword v4, off, s[0:3], 0 offset:64
.LBB2036_239:                           ;   in Loop: Header=BB2036_206 Depth=1
	s_or_b64 exec, exec, s[16:17]
	ds_bpermute_b32 v36, v22, v2
	s_waitcnt vmcnt(4)
	ds_bpermute_b32 v35, v22, v34
	ds_bpermute_b32 v37, v22, v3
	;; [unrolled: 1-line block ×4, first 2 shown]
	v_cmp_le_u32_e32 vcc, v21, v33
	s_waitcnt lgkmcnt(4)
	buffer_store_dword v36, off, s[0:3], 0 offset:96
	s_waitcnt lgkmcnt(2)
	buffer_store_dword v37, off, s[0:3], 0 offset:100
	s_waitcnt lgkmcnt(1)
	buffer_store_dword v38, off, s[0:3], 0 offset:104
	s_waitcnt lgkmcnt(0)
	buffer_store_dword v39, off, s[0:3], 0 offset:108
	s_and_saveexec_b64 s[16:17], vcc
	s_cbranch_execz .LBB2036_247
; %bb.240:                              ;   in Loop: Header=BB2036_206 Depth=1
	v_cmp_eq_u16_sdwa s[36:37], v34, v26 src0_sel:BYTE_0 src1_sel:DWORD
	s_and_saveexec_b64 s[10:11], s[36:37]
	s_cbranch_execz .LBB2036_246
; %bb.241:                              ;   in Loop: Header=BB2036_206 Depth=1
	s_mov_b32 s9, 0
.LBB2036_242:                           ;   Parent Loop BB2036_206 Depth=1
                                        ; =>  This Inner Loop Header: Depth=2
	v_add_u32_e32 v2, s9, v29
	s_add_i32 s9, s9, 8
	s_cmp_lg_u32 s9, 16
	buffer_store_dword v26, v2, s[0:3], 0 offen offset:4
	buffer_store_dword v26, v2, s[0:3], 0 offen
	s_cbranch_scc1 .LBB2036_242
; %bb.243:                              ;   in Loop: Header=BB2036_206 Depth=1
	s_mov_b32 s9, 0
.LBB2036_244:                           ;   Parent Loop BB2036_206 Depth=1
                                        ; =>  This Inner Loop Header: Depth=2
	v_add_u32_e32 v2, s9, v28
	v_add_u32_e32 v3, s9, v30
	buffer_load_dword v4, v2, s[0:3], 0 offen offset:4
	buffer_load_dword v5, v3, s[0:3], 0 offen
	buffer_load_dword v36, v2, s[0:3], 0 offen
	buffer_load_dword v37, v3, s[0:3], 0 offen offset:4
	v_add_u32_e32 v2, s9, v29
	s_add_i32 s9, s9, 8
	s_cmp_lg_u32 s9, 16
	s_waitcnt vmcnt(1)
	v_add_u32_e32 v3, v5, v36
	s_waitcnt vmcnt(0)
	v_add_u32_e32 v4, v37, v4
	buffer_store_dword v4, v2, s[0:3], 0 offen offset:4
	buffer_store_dword v3, v2, s[0:3], 0 offen
	s_cbranch_scc1 .LBB2036_244
; %bb.245:                              ;   in Loop: Header=BB2036_206 Depth=1
	buffer_load_dword v2, off, s[0:3], 0
	buffer_load_dword v3, off, s[0:3], 0 offset:4
	buffer_load_dword v4, off, s[0:3], 0 offset:8
	;; [unrolled: 1-line block ×3, first 2 shown]
.LBB2036_246:                           ;   in Loop: Header=BB2036_206 Depth=1
	s_or_b64 exec, exec, s[10:11]
	v_and_b32_e32 v34, 1, v34
	v_cmp_eq_u32_e32 vcc, 1, v34
	v_and_b32_e32 v34, 1, v35
	v_cmp_eq_u32_e64 s[10:11], 1, v34
	s_or_b64 s[10:11], vcc, s[10:11]
	v_cndmask_b32_e64 v34, 0, 1, s[10:11]
	buffer_store_byte v34, off, s[0:3], 0 offset:72
	buffer_load_dword v34, off, s[0:3], 0 offset:72
	s_waitcnt vmcnt(4)
	buffer_store_dword v3, off, s[0:3], 0 offset:60
	buffer_store_dword v2, off, s[0:3], 0 offset:56
	s_waitcnt vmcnt(4)
	buffer_store_dword v5, off, s[0:3], 0 offset:68
	buffer_store_dword v4, off, s[0:3], 0 offset:64
.LBB2036_247:                           ;   in Loop: Header=BB2036_206 Depth=1
	s_or_b64 exec, exec, s[16:17]
	ds_bpermute_b32 v36, v24, v2
	s_waitcnt vmcnt(4)
	ds_bpermute_b32 v35, v24, v34
	ds_bpermute_b32 v37, v24, v3
	;; [unrolled: 1-line block ×4, first 2 shown]
	v_cmp_le_u32_e32 vcc, v23, v33
	s_waitcnt lgkmcnt(4)
	buffer_store_dword v36, off, s[0:3], 0 offset:96
	s_waitcnt lgkmcnt(2)
	buffer_store_dword v37, off, s[0:3], 0 offset:100
	;; [unrolled: 2-line block ×4, first 2 shown]
	s_and_saveexec_b64 s[16:17], vcc
	s_cbranch_execz .LBB2036_255
; %bb.248:                              ;   in Loop: Header=BB2036_206 Depth=1
	v_cmp_eq_u16_sdwa s[36:37], v34, v26 src0_sel:BYTE_0 src1_sel:DWORD
	s_and_saveexec_b64 s[10:11], s[36:37]
	s_cbranch_execz .LBB2036_254
; %bb.249:                              ;   in Loop: Header=BB2036_206 Depth=1
	s_mov_b32 s9, 0
.LBB2036_250:                           ;   Parent Loop BB2036_206 Depth=1
                                        ; =>  This Inner Loop Header: Depth=2
	v_add_u32_e32 v2, s9, v29
	s_add_i32 s9, s9, 8
	s_cmp_lg_u32 s9, 16
	buffer_store_dword v26, v2, s[0:3], 0 offen offset:4
	buffer_store_dword v26, v2, s[0:3], 0 offen
	s_cbranch_scc1 .LBB2036_250
; %bb.251:                              ;   in Loop: Header=BB2036_206 Depth=1
	s_mov_b32 s9, 0
.LBB2036_252:                           ;   Parent Loop BB2036_206 Depth=1
                                        ; =>  This Inner Loop Header: Depth=2
	v_add_u32_e32 v2, s9, v28
	v_add_u32_e32 v3, s9, v30
	buffer_load_dword v4, v2, s[0:3], 0 offen offset:4
	buffer_load_dword v5, v3, s[0:3], 0 offen
	buffer_load_dword v36, v2, s[0:3], 0 offen
	buffer_load_dword v37, v3, s[0:3], 0 offen offset:4
	v_add_u32_e32 v2, s9, v29
	s_add_i32 s9, s9, 8
	s_cmp_lg_u32 s9, 16
	s_waitcnt vmcnt(1)
	v_add_u32_e32 v3, v5, v36
	s_waitcnt vmcnt(0)
	v_add_u32_e32 v4, v37, v4
	buffer_store_dword v4, v2, s[0:3], 0 offen offset:4
	buffer_store_dword v3, v2, s[0:3], 0 offen
	s_cbranch_scc1 .LBB2036_252
; %bb.253:                              ;   in Loop: Header=BB2036_206 Depth=1
	buffer_load_dword v2, off, s[0:3], 0
	buffer_load_dword v3, off, s[0:3], 0 offset:4
	buffer_load_dword v4, off, s[0:3], 0 offset:8
	;; [unrolled: 1-line block ×3, first 2 shown]
.LBB2036_254:                           ;   in Loop: Header=BB2036_206 Depth=1
	s_or_b64 exec, exec, s[10:11]
	v_and_b32_e32 v34, 1, v34
	v_cmp_eq_u32_e32 vcc, 1, v34
	v_and_b32_e32 v34, 1, v35
	v_cmp_eq_u32_e64 s[10:11], 1, v34
	s_or_b64 s[10:11], vcc, s[10:11]
	v_cndmask_b32_e64 v34, 0, 1, s[10:11]
	buffer_store_byte v34, off, s[0:3], 0 offset:72
	buffer_load_dword v34, off, s[0:3], 0 offset:72
	s_waitcnt vmcnt(4)
	buffer_store_dword v3, off, s[0:3], 0 offset:60
	buffer_store_dword v2, off, s[0:3], 0 offset:56
	s_waitcnt vmcnt(4)
	buffer_store_dword v5, off, s[0:3], 0 offset:68
	buffer_store_dword v4, off, s[0:3], 0 offset:64
.LBB2036_255:                           ;   in Loop: Header=BB2036_206 Depth=1
	s_or_b64 exec, exec, s[16:17]
	ds_bpermute_b32 v36, v1, v2
	s_waitcnt vmcnt(4)
	ds_bpermute_b32 v35, v1, v34
	ds_bpermute_b32 v37, v1, v3
	;; [unrolled: 1-line block ×4, first 2 shown]
	v_cmp_le_u32_e32 vcc, v25, v33
	v_and_b32_e32 v33, 1, v34
	v_cmp_eq_u32_e64 s[10:11], 1, v33
	s_waitcnt lgkmcnt(4)
	buffer_store_dword v36, off, s[0:3], 0 offset:96
	s_waitcnt lgkmcnt(2)
	buffer_store_dword v37, off, s[0:3], 0 offset:100
	;; [unrolled: 2-line block ×4, first 2 shown]
	s_and_saveexec_b64 s[16:17], vcc
	s_cbranch_execz .LBB2036_263
; %bb.256:                              ;   in Loop: Header=BB2036_206 Depth=1
	v_cmp_eq_u16_sdwa s[40:41], v34, v26 src0_sel:BYTE_0 src1_sel:DWORD
	s_and_saveexec_b64 s[36:37], s[40:41]
	s_cbranch_execz .LBB2036_262
; %bb.257:                              ;   in Loop: Header=BB2036_206 Depth=1
	s_mov_b32 s9, 0
.LBB2036_258:                           ;   Parent Loop BB2036_206 Depth=1
                                        ; =>  This Inner Loop Header: Depth=2
	v_add_u32_e32 v2, s9, v29
	s_add_i32 s9, s9, 8
	s_cmp_lg_u32 s9, 16
	buffer_store_dword v26, v2, s[0:3], 0 offen offset:4
	buffer_store_dword v26, v2, s[0:3], 0 offen
	s_cbranch_scc1 .LBB2036_258
; %bb.259:                              ;   in Loop: Header=BB2036_206 Depth=1
	s_mov_b32 s9, 0
.LBB2036_260:                           ;   Parent Loop BB2036_206 Depth=1
                                        ; =>  This Inner Loop Header: Depth=2
	v_add_u32_e32 v2, s9, v28
	v_add_u32_e32 v3, s9, v30
	buffer_load_dword v4, v2, s[0:3], 0 offen offset:4
	buffer_load_dword v5, v3, s[0:3], 0 offen
	buffer_load_dword v33, v2, s[0:3], 0 offen
	buffer_load_dword v34, v3, s[0:3], 0 offen offset:4
	v_add_u32_e32 v2, s9, v29
	s_add_i32 s9, s9, 8
	s_cmp_lg_u32 s9, 16
	s_waitcnt vmcnt(1)
	v_add_u32_e32 v3, v5, v33
	s_waitcnt vmcnt(0)
	v_add_u32_e32 v4, v34, v4
	buffer_store_dword v4, v2, s[0:3], 0 offen offset:4
	buffer_store_dword v3, v2, s[0:3], 0 offen
	s_cbranch_scc1 .LBB2036_260
; %bb.261:                              ;   in Loop: Header=BB2036_206 Depth=1
	buffer_load_dword v2, off, s[0:3], 0
	buffer_load_dword v3, off, s[0:3], 0 offset:4
	buffer_load_dword v4, off, s[0:3], 0 offset:8
	;; [unrolled: 1-line block ×3, first 2 shown]
.LBB2036_262:                           ;   in Loop: Header=BB2036_206 Depth=1
	s_or_b64 exec, exec, s[36:37]
	v_and_b32_e32 v33, 1, v35
	v_cmp_eq_u32_e32 vcc, 1, v33
	s_or_b64 s[36:37], s[10:11], vcc
	v_cndmask_b32_e64 v33, 0, 1, s[36:37]
	s_andn2_b64 s[10:11], s[10:11], exec
	s_and_b64 s[36:37], s[36:37], exec
	s_or_b64 s[10:11], s[10:11], s[36:37]
	s_waitcnt vmcnt(2)
	buffer_store_dword v3, off, s[0:3], 0 offset:60
	buffer_store_dword v2, off, s[0:3], 0 offset:56
	s_waitcnt vmcnt(2)
	buffer_store_dword v5, off, s[0:3], 0 offset:68
	buffer_store_dword v4, off, s[0:3], 0 offset:64
	buffer_store_byte v33, off, s[0:3], 0 offset:72
.LBB2036_263:                           ;   in Loop: Header=BB2036_206 Depth=1
	s_or_b64 exec, exec, s[16:17]
	buffer_load_ubyte v33, off, s[0:3], 0 offset:52
                                        ; implicit-def: $vgpr4_vgpr5
                                        ; implicit-def: $vgpr2_vgpr3
	s_waitcnt vmcnt(0)
	v_cmp_ne_u16_e32 vcc, 0, v33
	s_and_saveexec_b64 s[16:17], vcc
	s_xor_b64 s[16:17], exec, s[16:17]
	s_cbranch_execz .LBB2036_265
; %bb.264:                              ;   in Loop: Header=BB2036_206 Depth=1
	buffer_load_dword v2, off, s[0:3], 0 offset:36
	buffer_load_dword v3, off, s[0:3], 0 offset:40
	;; [unrolled: 1-line block ×4, first 2 shown]
.LBB2036_265:                           ;   in Loop: Header=BB2036_206 Depth=1
	s_andn2_saveexec_b64 s[16:17], s[16:17]
	s_cbranch_execz .LBB2036_271
; %bb.266:                              ;   in Loop: Header=BB2036_206 Depth=1
	s_mov_b32 s9, 0
	s_waitcnt vmcnt(0)
.LBB2036_267:                           ;   Parent Loop BB2036_206 Depth=1
                                        ; =>  This Inner Loop Header: Depth=2
	v_add_u32_e32 v2, s9, v28
	s_add_i32 s9, s9, 8
	s_cmp_lg_u32 s9, 16
	buffer_store_dword v26, v2, s[0:3], 0 offen offset:4
	buffer_store_dword v26, v2, s[0:3], 0 offen
	s_cbranch_scc1 .LBB2036_267
; %bb.268:                              ;   in Loop: Header=BB2036_206 Depth=1
	s_mov_b32 s9, 0
.LBB2036_269:                           ;   Parent Loop BB2036_206 Depth=1
                                        ; =>  This Inner Loop Header: Depth=2
	v_add_u32_e32 v2, s9, v30
	v_add_u32_e32 v3, s9, v31
	buffer_load_dword v4, v2, s[0:3], 0 offen offset:4
	buffer_load_dword v5, v3, s[0:3], 0 offen
	buffer_load_dword v34, v2, s[0:3], 0 offen
	buffer_load_dword v35, v3, s[0:3], 0 offen offset:4
	v_add_u32_e32 v2, s9, v28
	s_add_i32 s9, s9, 8
	s_cmp_lg_u32 s9, 16
	s_waitcnt vmcnt(1)
	v_add_u32_e32 v3, v5, v34
	s_waitcnt vmcnt(0)
	v_add_u32_e32 v4, v35, v4
	buffer_store_dword v4, v2, s[0:3], 0 offen offset:4
	buffer_store_dword v3, v2, s[0:3], 0 offen
	s_cbranch_scc1 .LBB2036_269
; %bb.270:                              ;   in Loop: Header=BB2036_206 Depth=1
	buffer_load_dword v2, off, s[0:3], 0 offset:96
	buffer_load_dword v3, off, s[0:3], 0 offset:100
	;; [unrolled: 1-line block ×4, first 2 shown]
.LBB2036_271:                           ;   in Loop: Header=BB2036_206 Depth=1
	s_or_b64 exec, exec, s[16:17]
	v_and_b32_e32 v33, 1, v33
	v_cmp_eq_u32_e32 vcc, 1, v33
	s_or_b64 s[10:11], vcc, s[10:11]
	v_subrev_u32_e32 v6, 64, v6
	v_cndmask_b32_e64 v33, 0, 1, s[10:11]
	s_waitcnt vmcnt(2)
	buffer_store_dword v3, off, s[0:3], 0 offset:40
	buffer_store_dword v2, off, s[0:3], 0 offset:36
	s_waitcnt vmcnt(2)
	buffer_store_dword v5, off, s[0:3], 0 offset:48
	buffer_store_dword v4, off, s[0:3], 0 offset:44
	buffer_store_byte v33, off, s[0:3], 0 offset:52
	s_branch .LBB2036_206
.LBB2036_272:
	buffer_load_dword v1, off, s[0:3], 0 offset:40
	buffer_load_dword v2, off, s[0:3], 0 offset:36
	;; [unrolled: 1-line block ×5, first 2 shown]
	s_waitcnt vmcnt(4)
	buffer_store_dword v1, off, s[0:3], 0 offset:100
	s_waitcnt vmcnt(4)
	buffer_store_dword v2, off, s[0:3], 0 offset:96
	;; [unrolled: 2-line block ×5, first 2 shown]
	s_and_saveexec_b64 s[10:11], s[6:7]
	s_cbranch_execz .LBB2036_282
; %bb.273:
	buffer_load_ubyte v1, off, s[0:3], 0 offset:92
                                        ; implicit-def: $vgpr4_vgpr5
	s_waitcnt vmcnt(0)
	v_cmp_ne_u16_e32 vcc, 0, v1
	s_and_saveexec_b64 s[6:7], vcc
	s_xor_b64 s[6:7], exec, s[6:7]
	s_cbranch_execz .LBB2036_275
; %bb.274:
	buffer_load_dword v2, off, s[0:3], 0 offset:76
	buffer_load_dword v3, off, s[0:3], 0 offset:80
	;; [unrolled: 1-line block ×4, first 2 shown]
.LBB2036_275:
	s_andn2_saveexec_b64 s[6:7], s[6:7]
	s_cbranch_execz .LBB2036_281
; %bb.276:
	s_mov_b32 s9, 0
	s_waitcnt vmcnt(3)
	v_mov_b32_e32 v2, 16
	s_waitcnt vmcnt(2)
	v_mov_b32_e32 v3, 0
	s_waitcnt vmcnt(0)
.LBB2036_277:                           ; =>This Inner Loop Header: Depth=1
	v_add_u32_e32 v4, s9, v2
	s_add_i32 s9, s9, 8
	s_cmp_lg_u32 s9, 16
	buffer_store_dword v3, v4, s[0:3], 0 offen offset:4
	buffer_store_dword v3, v4, s[0:3], 0 offen
	s_cbranch_scc1 .LBB2036_277
; %bb.278:
	s_mov_b32 s9, 0
	v_mov_b32_e32 v2, 0x60
	v_mov_b32_e32 v3, 0x4c
	v_mov_b32_e32 v4, 16
.LBB2036_279:                           ; =>This Inner Loop Header: Depth=1
	v_add_u32_e32 v5, s9, v2
	v_add_u32_e32 v8, s9, v3
	buffer_load_dword v9, v5, s[0:3], 0 offen offset:4
	buffer_load_dword v14, v8, s[0:3], 0 offen
	buffer_load_dword v15, v5, s[0:3], 0 offen
	buffer_load_dword v16, v8, s[0:3], 0 offen offset:4
                                        ; kill: killed $vgpr5
	v_add_u32_e32 v5, s9, v4
	s_add_i32 s9, s9, 8
	s_cmp_lg_u32 s9, 16
                                        ; kill: killed $vgpr8
	s_waitcnt vmcnt(1)
	v_add_u32_e32 v8, v14, v15
	s_waitcnt vmcnt(0)
	v_add_u32_e32 v9, v16, v9
	buffer_store_dword v9, v5, s[0:3], 0 offen offset:4
	buffer_store_dword v8, v5, s[0:3], 0 offen
	s_cbranch_scc1 .LBB2036_279
; %bb.280:
	buffer_load_dword v2, off, s[0:3], 0 offset:16
	buffer_load_dword v3, off, s[0:3], 0 offset:20
	buffer_load_dword v4, off, s[0:3], 0 offset:24
	buffer_load_dword v5, off, s[0:3], 0 offset:28
.LBB2036_281:
	s_or_b64 exec, exec, s[6:7]
	s_add_i32 s8, s8, 64
	s_mul_i32 s6, s8, 20
	v_or_b32_e32 v1, v1, v6
	s_mul_hi_u32 s7, s8, 20
	s_add_u32 s6, s22, s6
	v_and_b32_e32 v1, 1, v1
	s_addc_u32 s7, s23, s7
	v_mov_b32_e32 v6, 0
	s_waitcnt vmcnt(0)
	global_store_dwordx4 v6, v[2:5], s[6:7]
	global_store_byte v6, v1, s[6:7] offset:16
	v_mov_b32_e32 v1, s8
	v_mov_b32_e32 v2, 2
	s_waitcnt vmcnt(0)
	buffer_wbinvl1_vol
	global_store_byte v1, v2, s[24:25]
	buffer_load_dword v2, off, s[0:3], 0 offset:96
	s_nop 0
	buffer_load_dword v1, off, s[0:3], 0 offset:100
	buffer_load_dword v4, off, s[0:3], 0 offset:104
	;; [unrolled: 1-line block ×3, first 2 shown]
	buffer_load_ubyte v6, off, s[0:3], 0 offset:112
.LBB2036_282:
	s_or_b64 exec, exec, s[10:11]
	v_cmp_eq_u32_e32 vcc, 0, v0
	s_and_b64 exec, exec, vcc
	s_cbranch_execz .LBB2036_284
; %bb.283:
	v_mov_b32_e32 v5, 0
	s_waitcnt vmcnt(3)
	ds_write2_b32 v5, v2, v1 offset0:15 offset1:16
	s_waitcnt vmcnt(1)
	ds_write2_b32 v5, v4, v3 offset0:17 offset1:18
	s_waitcnt vmcnt(0)
	ds_write_b8 v5, v6 offset:76
.LBB2036_284:
	s_or_b64 exec, exec, s[14:15]
	s_waitcnt lgkmcnt(0)
	s_barrier
	buffer_load_ubyte v1, off, s[0:3], 0 offset:224
	s_waitcnt vmcnt(5)
	v_mov_b32_e32 v2, 0
	s_waitcnt vmcnt(3)
	ds_read2_b32 v[4:5], v2 offset0:15 offset1:16
	ds_read2_b32 v[8:9], v2 offset0:17 offset1:18
	s_waitcnt vmcnt(1)
	ds_read_b32 v6, v2 offset:76
	v_cmp_ne_u32_e32 vcc, 0, v0
	s_waitcnt lgkmcnt(2)
	buffer_store_dword v5, off, s[0:3], 0 offset:100
	buffer_store_dword v4, off, s[0:3], 0 offset:96
	s_waitcnt lgkmcnt(1)
	buffer_store_dword v9, off, s[0:3], 0 offset:108
	buffer_store_dword v8, off, s[0:3], 0 offset:104
	s_waitcnt lgkmcnt(0)
	buffer_store_dword v6, off, s[0:3], 0 offset:112
	s_and_saveexec_b64 s[6:7], vcc
	s_cbranch_execz .LBB2036_294
; %bb.285:
	s_waitcnt vmcnt(5)
	v_cmp_ne_u16_sdwa s[8:9], v1, v2 src0_sel:BYTE_0 src1_sel:DWORD
                                        ; implicit-def: $vgpr4_vgpr5
                                        ; implicit-def: $vgpr2_vgpr3
	s_and_saveexec_b64 s[10:11], s[8:9]
	s_xor_b64 s[8:9], exec, s[10:11]
	s_cbranch_execz .LBB2036_287
; %bb.286:
	buffer_load_dword v2, off, s[0:3], 0 offset:208
	buffer_load_dword v3, off, s[0:3], 0 offset:212
	;; [unrolled: 1-line block ×4, first 2 shown]
.LBB2036_287:
	s_andn2_saveexec_b64 s[8:9], s[8:9]
	s_cbranch_execz .LBB2036_293
; %bb.288:
	s_mov_b32 s10, 0
	s_waitcnt vmcnt(3)
	v_mov_b32_e32 v2, 16
	s_waitcnt vmcnt(2)
	v_mov_b32_e32 v3, 0
	s_waitcnt vmcnt(0)
.LBB2036_289:                           ; =>This Inner Loop Header: Depth=1
	v_add_u32_e32 v4, s10, v2
	s_add_i32 s10, s10, 8
	s_cmp_lg_u32 s10, 16
	buffer_store_dword v3, v4, s[0:3], 0 offen offset:4
	buffer_store_dword v3, v4, s[0:3], 0 offen
	s_cbranch_scc1 .LBB2036_289
; %bb.290:
	s_mov_b32 s10, 0
	v_mov_b32_e32 v2, 0xb0
	v_mov_b32_e32 v3, 0xd0
	;; [unrolled: 1-line block ×3, first 2 shown]
.LBB2036_291:                           ; =>This Inner Loop Header: Depth=1
	v_add_u32_e32 v5, s10, v2
	v_add_u32_e32 v8, s10, v3
	buffer_load_dword v9, v5, s[0:3], 0 offen offset:4
	buffer_load_dword v14, v8, s[0:3], 0 offen
	buffer_load_dword v15, v5, s[0:3], 0 offen
	buffer_load_dword v16, v8, s[0:3], 0 offen offset:4
                                        ; kill: killed $vgpr5
	v_add_u32_e32 v5, s10, v4
	s_add_i32 s10, s10, 8
	s_cmp_lg_u32 s10, 16
                                        ; kill: killed $vgpr8
	s_waitcnt vmcnt(1)
	v_add_u32_e32 v8, v14, v15
	s_waitcnt vmcnt(0)
	v_add_u32_e32 v9, v16, v9
	buffer_store_dword v9, v5, s[0:3], 0 offen offset:4
	buffer_store_dword v8, v5, s[0:3], 0 offen
	s_cbranch_scc1 .LBB2036_291
; %bb.292:
	buffer_load_dword v2, off, s[0:3], 0 offset:16
	buffer_load_dword v3, off, s[0:3], 0 offset:20
	;; [unrolled: 1-line block ×4, first 2 shown]
.LBB2036_293:
	s_or_b64 exec, exec, s[8:9]
	v_and_b32_e32 v1, 1, v1
	v_cmp_eq_u32_e32 vcc, 1, v1
	s_or_b64 s[8:9], vcc, s[12:13]
	v_cndmask_b32_e64 v1, 0, 1, s[8:9]
	s_waitcnt vmcnt(2)
	buffer_store_dword v3, off, s[0:3], 0 offset:212
	buffer_store_dword v2, off, s[0:3], 0 offset:208
	s_waitcnt vmcnt(2)
	buffer_store_dword v5, off, s[0:3], 0 offset:220
	buffer_store_dword v4, off, s[0:3], 0 offset:216
.LBB2036_294:
	s_or_b64 exec, exec, s[6:7]
	v_mov_b32_e32 v2, 0
	s_waitcnt vmcnt(5)
	v_cmp_ne_u16_sdwa s[6:7], v1, v2 src0_sel:BYTE_0 src1_sel:DWORD
                                        ; implicit-def: $vgpr4_vgpr5
                                        ; implicit-def: $vgpr2_vgpr3
	s_and_saveexec_b64 s[8:9], s[6:7]
	s_xor_b64 s[6:7], exec, s[8:9]
	s_cbranch_execz .LBB2036_296
; %bb.295:
	buffer_load_dword v2, off, s[0:3], 0 offset:208
	buffer_load_dword v3, off, s[0:3], 0 offset:212
	buffer_load_dword v4, off, s[0:3], 0 offset:216
	buffer_load_dword v5, off, s[0:3], 0 offset:220
.LBB2036_296:
	s_andn2_saveexec_b64 s[6:7], s[6:7]
	s_cbranch_execz .LBB2036_302
; %bb.297:
	s_mov_b32 s8, 0
	s_waitcnt vmcnt(3)
	v_mov_b32_e32 v2, 16
	s_waitcnt vmcnt(2)
	v_mov_b32_e32 v3, 0
	s_waitcnt vmcnt(0)
.LBB2036_298:                           ; =>This Inner Loop Header: Depth=1
	v_add_u32_e32 v4, s8, v2
	s_add_i32 s8, s8, 8
	s_cmp_lg_u32 s8, 16
	buffer_store_dword v3, v4, s[0:3], 0 offen offset:4
	buffer_store_dword v3, v4, s[0:3], 0 offen
	s_cbranch_scc1 .LBB2036_298
; %bb.299:
	s_mov_b32 s8, 0
	v_mov_b32_e32 v2, 0x60
	v_mov_b32_e32 v3, 0xd0
	;; [unrolled: 1-line block ×3, first 2 shown]
.LBB2036_300:                           ; =>This Inner Loop Header: Depth=1
	v_add_u32_e32 v5, s8, v2
	v_add_u32_e32 v8, s8, v3
	buffer_load_dword v9, v5, s[0:3], 0 offen offset:4
	buffer_load_dword v14, v8, s[0:3], 0 offen
	buffer_load_dword v15, v5, s[0:3], 0 offen
	buffer_load_dword v16, v8, s[0:3], 0 offen offset:4
                                        ; kill: killed $vgpr5
	v_add_u32_e32 v5, s8, v4
	s_add_i32 s8, s8, 8
	s_cmp_lg_u32 s8, 16
                                        ; kill: killed $vgpr8
	s_waitcnt vmcnt(1)
	v_add_u32_e32 v8, v14, v15
	s_waitcnt vmcnt(0)
	v_add_u32_e32 v9, v16, v9
	buffer_store_dword v9, v5, s[0:3], 0 offen offset:4
	buffer_store_dword v8, v5, s[0:3], 0 offen
	s_cbranch_scc1 .LBB2036_300
; %bb.301:
	buffer_load_dword v2, off, s[0:3], 0 offset:16
	buffer_load_dword v3, off, s[0:3], 0 offset:20
	;; [unrolled: 1-line block ×4, first 2 shown]
.LBB2036_302:
	s_or_b64 exec, exec, s[6:7]
	buffer_load_ubyte v8, off, s[0:3], 0 offset:244
	v_or_b32_e32 v1, v1, v6
	v_and_b32_e32 v1, 1, v1
	v_cmp_eq_u32_e32 vcc, 1, v1
	s_waitcnt vmcnt(3)
	buffer_store_dword v3, off, s[0:3], 0 offset:212
	buffer_store_dword v2, off, s[0:3], 0 offset:208
	s_waitcnt vmcnt(3)
	buffer_store_dword v5, off, s[0:3], 0 offset:220
	buffer_store_dword v4, off, s[0:3], 0 offset:216
	buffer_store_byte v1, off, s[0:3], 0 offset:224
                                        ; implicit-def: $vgpr4_vgpr5
                                        ; implicit-def: $vgpr2_vgpr3
	s_waitcnt vmcnt(5)
	v_cmp_ne_u16_e64 s[6:7], 0, v8
	s_and_saveexec_b64 s[8:9], s[6:7]
	s_xor_b64 s[6:7], exec, s[8:9]
	s_cbranch_execz .LBB2036_304
; %bb.303:
	buffer_load_dword v2, off, s[0:3], 0 offset:228
	buffer_load_dword v3, off, s[0:3], 0 offset:232
	;; [unrolled: 1-line block ×4, first 2 shown]
.LBB2036_304:
	s_andn2_saveexec_b64 s[6:7], s[6:7]
	s_cbranch_execz .LBB2036_310
; %bb.305:
	s_mov_b32 s8, 0
	v_mov_b32_e32 v1, 16
	s_waitcnt vmcnt(3)
	v_mov_b32_e32 v2, 0
	s_waitcnt vmcnt(0)
.LBB2036_306:                           ; =>This Inner Loop Header: Depth=1
	v_add_u32_e32 v3, s8, v1
	s_add_i32 s8, s8, 8
	s_cmp_lg_u32 s8, 16
	buffer_store_dword v2, v3, s[0:3], 0 offen offset:4
	buffer_store_dword v2, v3, s[0:3], 0 offen
	s_cbranch_scc1 .LBB2036_306
; %bb.307:
	s_mov_b32 s8, 0
	v_mov_b32_e32 v1, 0xd0
	v_mov_b32_e32 v2, 16
.LBB2036_308:                           ; =>This Inner Loop Header: Depth=1
	v_add_u32_e32 v3, s8, v1
	buffer_load_dword v4, v3, s[0:3], 0 offen
	buffer_load_dword v5, v3, s[0:3], 0 offen offset:4
	buffer_load_dword v6, v3, s[0:3], 0 offen offset:20
	;; [unrolled: 1-line block ×3, first 2 shown]
                                        ; kill: killed $vgpr3
	v_add_u32_e32 v3, s8, v2
	s_add_i32 s8, s8, 8
	s_cmp_lg_u32 s8, 16
	s_waitcnt vmcnt(1)
	v_add_u32_e32 v4, v6, v4
	s_waitcnt vmcnt(0)
	v_add_u32_e32 v5, v9, v5
	buffer_store_dword v5, v3, s[0:3], 0 offen offset:4
	buffer_store_dword v4, v3, s[0:3], 0 offen
	s_cbranch_scc1 .LBB2036_308
; %bb.309:
	buffer_load_dword v2, off, s[0:3], 0 offset:16
	buffer_load_dword v3, off, s[0:3], 0 offset:20
	;; [unrolled: 1-line block ×4, first 2 shown]
.LBB2036_310:
	s_or_b64 exec, exec, s[6:7]
	buffer_load_ubyte v1, off, s[0:3], 0 offset:264
	v_and_b32_e32 v6, 1, v8
	v_cmp_eq_u32_e64 s[6:7], 1, v6
	s_or_b64 s[6:7], s[6:7], vcc
	v_cndmask_b32_e64 v6, 0, 1, s[6:7]
	s_waitcnt vmcnt(3)
	buffer_store_dword v3, off, s[0:3], 0 offset:232
	buffer_store_dword v2, off, s[0:3], 0 offset:228
	s_waitcnt vmcnt(3)
	buffer_store_dword v5, off, s[0:3], 0 offset:240
	buffer_store_dword v4, off, s[0:3], 0 offset:236
	buffer_store_byte v6, off, s[0:3], 0 offset:244
                                        ; implicit-def: $vgpr4_vgpr5
                                        ; implicit-def: $vgpr2_vgpr3
	s_waitcnt vmcnt(5)
	v_cmp_ne_u16_e32 vcc, 0, v1
	s_and_saveexec_b64 s[8:9], vcc
	s_xor_b64 s[8:9], exec, s[8:9]
	s_cbranch_execz .LBB2036_312
; %bb.311:
	buffer_load_dword v2, off, s[0:3], 0 offset:248
	buffer_load_dword v3, off, s[0:3], 0 offset:252
	;; [unrolled: 1-line block ×4, first 2 shown]
.LBB2036_312:
	s_andn2_saveexec_b64 s[8:9], s[8:9]
	s_cbranch_execz .LBB2036_318
; %bb.313:
	s_mov_b32 s10, 0
	s_waitcnt vmcnt(3)
	v_mov_b32_e32 v2, 16
	s_waitcnt vmcnt(2)
	v_mov_b32_e32 v3, 0
	s_waitcnt vmcnt(0)
.LBB2036_314:                           ; =>This Inner Loop Header: Depth=1
	v_add_u32_e32 v4, s10, v2
	s_add_i32 s10, s10, 8
	s_cmp_lg_u32 s10, 16
	buffer_store_dword v3, v4, s[0:3], 0 offen offset:4
	buffer_store_dword v3, v4, s[0:3], 0 offen
	s_cbranch_scc1 .LBB2036_314
; %bb.315:
	s_mov_b32 s10, 0
	v_mov_b32_e32 v2, 0xd0
	v_mov_b32_e32 v3, 16
.LBB2036_316:                           ; =>This Inner Loop Header: Depth=1
	v_add_u32_e32 v4, s10, v2
	buffer_load_dword v5, v4, s[0:3], 0 offen offset:20
	buffer_load_dword v6, v4, s[0:3], 0 offen offset:24
	;; [unrolled: 1-line block ×4, first 2 shown]
                                        ; kill: killed $vgpr4
	v_add_u32_e32 v4, s10, v3
	s_add_i32 s10, s10, 8
	s_cmp_lg_u32 s10, 16
	s_waitcnt vmcnt(1)
	v_add_u32_e32 v5, v8, v5
	s_waitcnt vmcnt(0)
	v_add_u32_e32 v6, v9, v6
	buffer_store_dword v6, v4, s[0:3], 0 offen offset:4
	buffer_store_dword v5, v4, s[0:3], 0 offen
	s_cbranch_scc1 .LBB2036_316
; %bb.317:
	buffer_load_dword v2, off, s[0:3], 0 offset:16
	buffer_load_dword v3, off, s[0:3], 0 offset:20
	;; [unrolled: 1-line block ×4, first 2 shown]
.LBB2036_318:
	s_or_b64 exec, exec, s[8:9]
	buffer_load_ubyte v6, off, s[0:3], 0 offset:284
	v_and_b32_e32 v1, 1, v1
	v_cmp_eq_u32_e32 vcc, 1, v1
	s_or_b64 s[6:7], vcc, s[6:7]
	v_cndmask_b32_e64 v1, 0, 1, s[6:7]
	s_waitcnt vmcnt(3)
	buffer_store_dword v3, off, s[0:3], 0 offset:252
	buffer_store_dword v2, off, s[0:3], 0 offset:248
	s_waitcnt vmcnt(3)
	buffer_store_dword v5, off, s[0:3], 0 offset:260
	buffer_store_dword v4, off, s[0:3], 0 offset:256
	buffer_store_byte v1, off, s[0:3], 0 offset:264
                                        ; implicit-def: $vgpr4_vgpr5
                                        ; implicit-def: $vgpr2_vgpr3
	s_waitcnt vmcnt(5)
	v_cmp_ne_u16_e32 vcc, 0, v6
	s_and_saveexec_b64 s[8:9], vcc
	s_xor_b64 s[8:9], exec, s[8:9]
	s_cbranch_execz .LBB2036_320
; %bb.319:
	buffer_load_dword v2, off, s[0:3], 0 offset:268
	buffer_load_dword v3, off, s[0:3], 0 offset:272
	;; [unrolled: 1-line block ×4, first 2 shown]
.LBB2036_320:
	s_andn2_saveexec_b64 s[8:9], s[8:9]
	s_cbranch_execz .LBB2036_326
; %bb.321:
	s_mov_b32 s10, 0
	v_mov_b32_e32 v1, 16
	s_waitcnt vmcnt(3)
	v_mov_b32_e32 v2, 0
	s_waitcnt vmcnt(0)
.LBB2036_322:                           ; =>This Inner Loop Header: Depth=1
	v_add_u32_e32 v3, s10, v1
	s_add_i32 s10, s10, 8
	s_cmp_lg_u32 s10, 16
	buffer_store_dword v2, v3, s[0:3], 0 offen offset:4
	buffer_store_dword v2, v3, s[0:3], 0 offen
	s_cbranch_scc1 .LBB2036_322
; %bb.323:
	s_mov_b32 s10, 0
	v_mov_b32_e32 v1, 0xd0
	v_mov_b32_e32 v2, 16
.LBB2036_324:                           ; =>This Inner Loop Header: Depth=1
	v_add_u32_e32 v3, s10, v1
	buffer_load_dword v4, v3, s[0:3], 0 offen offset:40
	buffer_load_dword v5, v3, s[0:3], 0 offen offset:44
	;; [unrolled: 1-line block ×4, first 2 shown]
                                        ; kill: killed $vgpr3
	v_add_u32_e32 v3, s10, v2
	s_add_i32 s10, s10, 8
	s_cmp_lg_u32 s10, 16
	s_waitcnt vmcnt(1)
	v_add_u32_e32 v4, v8, v4
	s_waitcnt vmcnt(0)
	v_add_u32_e32 v5, v9, v5
	buffer_store_dword v5, v3, s[0:3], 0 offen offset:4
	buffer_store_dword v4, v3, s[0:3], 0 offen
	s_cbranch_scc1 .LBB2036_324
; %bb.325:
	buffer_load_dword v2, off, s[0:3], 0 offset:16
	buffer_load_dword v3, off, s[0:3], 0 offset:20
	;; [unrolled: 1-line block ×4, first 2 shown]
.LBB2036_326:
	s_or_b64 exec, exec, s[8:9]
	buffer_load_ubyte v1, off, s[0:3], 0 offset:304
	v_and_b32_e32 v6, 1, v6
	v_cmp_eq_u32_e32 vcc, 1, v6
	s_or_b64 s[6:7], vcc, s[6:7]
	v_cndmask_b32_e64 v6, 0, 1, s[6:7]
	s_waitcnt vmcnt(3)
	buffer_store_dword v3, off, s[0:3], 0 offset:272
	buffer_store_dword v2, off, s[0:3], 0 offset:268
	s_waitcnt vmcnt(3)
	buffer_store_dword v5, off, s[0:3], 0 offset:280
	buffer_store_dword v4, off, s[0:3], 0 offset:276
	buffer_store_byte v6, off, s[0:3], 0 offset:284
                                        ; implicit-def: $vgpr4_vgpr5
                                        ; implicit-def: $vgpr2_vgpr3
	s_waitcnt vmcnt(5)
	v_cmp_ne_u16_e32 vcc, 0, v1
	s_and_saveexec_b64 s[8:9], vcc
	s_xor_b64 s[8:9], exec, s[8:9]
	s_cbranch_execz .LBB2036_328
; %bb.327:
	buffer_load_dword v2, off, s[0:3], 0 offset:288
	buffer_load_dword v3, off, s[0:3], 0 offset:292
	;; [unrolled: 1-line block ×4, first 2 shown]
.LBB2036_328:
	s_andn2_saveexec_b64 s[8:9], s[8:9]
	s_cbranch_execz .LBB2036_334
; %bb.329:
	s_mov_b32 s10, 0
	s_waitcnt vmcnt(3)
	v_mov_b32_e32 v2, 16
	s_waitcnt vmcnt(2)
	v_mov_b32_e32 v3, 0
	s_waitcnt vmcnt(0)
.LBB2036_330:                           ; =>This Inner Loop Header: Depth=1
	v_add_u32_e32 v4, s10, v2
	s_add_i32 s10, s10, 8
	s_cmp_lg_u32 s10, 16
	buffer_store_dword v3, v4, s[0:3], 0 offen offset:4
	buffer_store_dword v3, v4, s[0:3], 0 offen
	s_cbranch_scc1 .LBB2036_330
; %bb.331:
	s_mov_b32 s10, 0
	v_mov_b32_e32 v2, 0xd0
	v_mov_b32_e32 v3, 16
.LBB2036_332:                           ; =>This Inner Loop Header: Depth=1
	v_add_u32_e32 v4, s10, v2
	buffer_load_dword v5, v4, s[0:3], 0 offen offset:60
	buffer_load_dword v6, v4, s[0:3], 0 offen offset:64
	;; [unrolled: 1-line block ×4, first 2 shown]
                                        ; kill: killed $vgpr4
	v_add_u32_e32 v4, s10, v3
	s_add_i32 s10, s10, 8
	s_cmp_lg_u32 s10, 16
	s_waitcnt vmcnt(1)
	v_add_u32_e32 v5, v8, v5
	s_waitcnt vmcnt(0)
	v_add_u32_e32 v6, v9, v6
	buffer_store_dword v6, v4, s[0:3], 0 offen offset:4
	buffer_store_dword v5, v4, s[0:3], 0 offen
	s_cbranch_scc1 .LBB2036_332
; %bb.333:
	buffer_load_dword v2, off, s[0:3], 0 offset:16
	buffer_load_dword v3, off, s[0:3], 0 offset:20
	;; [unrolled: 1-line block ×4, first 2 shown]
.LBB2036_334:
	s_or_b64 exec, exec, s[8:9]
	v_and_b32_e32 v1, 1, v1
	v_cmp_eq_u32_e32 vcc, 1, v1
	s_or_b64 s[6:7], vcc, s[6:7]
	v_cndmask_b32_e64 v1, 0, 1, s[6:7]
	s_waitcnt vmcnt(2)
	buffer_store_dword v3, off, s[0:3], 0 offset:292
	buffer_store_dword v2, off, s[0:3], 0 offset:288
	s_waitcnt vmcnt(2)
	buffer_store_dword v5, off, s[0:3], 0 offset:300
	buffer_store_dword v4, off, s[0:3], 0 offset:296
	buffer_store_byte v1, off, s[0:3], 0 offset:304
	s_branch .LBB2036_552
.LBB2036_335:
	v_pk_mov_b32 v[2:3], s[40:41], s[40:41] op_sel:[0,1]
	flat_load_dword v2, v[2:3]
	s_add_i32 s50, s27, s26
	v_cmp_gt_u32_e64 s[6:7], s50, v0
	s_waitcnt vmcnt(0) lgkmcnt(0)
	v_mov_b32_e32 v3, v2
	s_and_saveexec_b64 s[10:11], s[6:7]
	s_cbranch_execz .LBB2036_337
; %bb.336:
	v_lshlrev_b32_e32 v3, 2, v0
	v_mov_b32_e32 v5, s41
	v_add_co_u32_e32 v4, vcc, s40, v3
	v_addc_co_u32_e32 v5, vcc, 0, v5, vcc
	flat_load_dword v3, v[4:5]
.LBB2036_337:
	s_or_b64 exec, exec, s[10:11]
	v_or_b32_e32 v15, 0x100, v0
	v_cmp_gt_u32_e64 s[16:17], s50, v15
	v_mov_b32_e32 v4, v2
	s_and_saveexec_b64 s[10:11], s[16:17]
	s_cbranch_execz .LBB2036_339
; %bb.338:
	v_lshlrev_b32_e32 v4, 2, v0
	v_mov_b32_e32 v5, s41
	v_add_co_u32_e32 v4, vcc, s40, v4
	v_addc_co_u32_e32 v5, vcc, 0, v5, vcc
	flat_load_dword v4, v[4:5] offset:1024
.LBB2036_339:
	s_or_b64 exec, exec, s[10:11]
	v_or_b32_e32 v16, 0x200, v0
	v_cmp_gt_u32_e64 s[10:11], s50, v16
	v_mov_b32_e32 v5, v2
	s_and_saveexec_b64 s[12:13], s[10:11]
	s_cbranch_execz .LBB2036_341
; %bb.340:
	v_lshlrev_b32_e32 v5, 2, v0
	v_mov_b32_e32 v13, s41
	v_add_co_u32_e32 v18, vcc, s40, v5
	v_addc_co_u32_e32 v19, vcc, 0, v13, vcc
	flat_load_dword v5, v[18:19] offset:2048
.LBB2036_341:
	;; [unrolled: 13-line block ×3, first 2 shown]
	s_or_b64 exec, exec, s[14:15]
	v_or_b32_e32 v18, 0x400, v0
	v_cmp_gt_u32_e64 s[14:15], s50, v18
	s_and_saveexec_b64 s[36:37], s[14:15]
	s_cbranch_execz .LBB2036_345
; %bb.344:
	v_lshlrev_b32_e32 v2, 2, v18
	v_mov_b32_e32 v14, s41
	v_add_co_u32_e32 v20, vcc, s40, v2
	v_addc_co_u32_e32 v21, vcc, 0, v14, vcc
	flat_load_dword v2, v[20:21]
.LBB2036_345:
	s_or_b64 exec, exec, s[36:37]
	v_lshlrev_b32_e32 v14, 2, v0
	v_lshlrev_b32_e32 v20, 4, v0
	v_add_u32_e32 v19, v14, v20
	s_waitcnt vmcnt(0) lgkmcnt(0)
	ds_write2st64_b32 v14, v3, v4 offset1:4
	ds_write2st64_b32 v14, v5, v13 offset0:8 offset1:12
	ds_write_b32 v14, v2 offset:4096
	s_waitcnt lgkmcnt(0)
	s_barrier
	ds_read2_b32 v[4:5], v19 offset1:1
	ds_read2_b32 v[2:3], v19 offset0:2 offset1:3
	ds_read_b32 v13, v19 offset:16
	s_cmp_eq_u64 s[46:47], 0
	s_mov_b64 s[36:37], s[40:41]
	s_cbranch_scc1 .LBB2036_349
; %bb.346:
	s_andn2_b64 vcc, exec, s[44:45]
	s_cbranch_vccnz .LBB2036_587
; %bb.347:
	s_lshl_b64 s[36:37], s[46:47], 2
	s_add_u32 s36, s42, s36
	s_addc_u32 s37, s43, s37
	s_add_u32 s36, s36, -4
	s_addc_u32 s37, s37, -1
	s_andn2_b64 vcc, exec, s[48:49]
	s_cbranch_vccnz .LBB2036_349
.LBB2036_348:
	s_add_u32 s36, s40, -4
	s_addc_u32 s37, s41, -1
.LBB2036_349:
	v_pk_mov_b32 v[22:23], s[36:37], s[36:37] op_sel:[0,1]
	flat_load_dword v14, v[22:23]
	v_sub_u32_e32 v19, v19, v20
	v_cmp_ne_u32_e32 vcc, 0, v0
	s_waitcnt lgkmcnt(0)
	ds_write_b32 v19, v13 offset:5120
	s_waitcnt lgkmcnt(0)
	s_barrier
	s_and_saveexec_b64 s[36:37], vcc
	s_cbranch_execz .LBB2036_351
; %bb.350:
	s_waitcnt vmcnt(0)
	ds_read_b32 v14, v19 offset:5116
.LBB2036_351:
	s_or_b64 exec, exec, s[36:37]
	s_waitcnt lgkmcnt(0)
	s_barrier
	s_and_saveexec_b64 s[36:37], s[6:7]
	s_cbranch_execnz .LBB2036_583
; %bb.352:
	s_or_b64 exec, exec, s[36:37]
	s_and_saveexec_b64 s[6:7], s[16:17]
	s_cbranch_execnz .LBB2036_584
.LBB2036_353:
	s_or_b64 exec, exec, s[6:7]
	s_and_saveexec_b64 s[6:7], s[10:11]
	s_cbranch_execnz .LBB2036_585
.LBB2036_354:
	s_or_b64 exec, exec, s[6:7]
	s_and_saveexec_b64 s[6:7], s[12:13]
	s_cbranch_execnz .LBB2036_586
.LBB2036_355:
	s_or_b64 exec, exec, s[6:7]
	s_and_saveexec_b64 s[6:7], s[14:15]
	s_cbranch_execz .LBB2036_357
.LBB2036_356:
	v_lshlrev_b32_e32 v15, 4, v18
	v_mov_b32_e32 v17, s33
	v_add_co_u32_e32 v16, vcc, s9, v15
	v_addc_co_u32_e32 v17, vcc, 0, v17, vcc
	flat_load_dwordx4 v[20:23], v[16:17]
	s_waitcnt vmcnt(0) lgkmcnt(0)
	buffer_store_dword v21, off, s[0:3], 0 offset:164
	buffer_store_dword v20, off, s[0:3], 0 offset:160
	;; [unrolled: 1-line block ×4, first 2 shown]
.LBB2036_357:
	s_or_b64 exec, exec, s[6:7]
	buffer_load_dword v20, off, s[0:3], 0 offset:96
	buffer_load_dword v21, off, s[0:3], 0 offset:100
	;; [unrolled: 1-line block ×4, first 2 shown]
	buffer_load_dword v24, v9, s[0:3], 0 offen
	buffer_load_dword v25, v9, s[0:3], 0 offen offset:4
	buffer_load_dword v26, v9, s[0:3], 0 offen offset:8
	buffer_load_dword v27, v9, s[0:3], 0 offen offset:12
	buffer_load_dword v28, v8, s[0:3], 0 offen
	buffer_load_dword v29, v8, s[0:3], 0 offen offset:4
	buffer_load_dword v30, v8, s[0:3], 0 offen offset:8
	buffer_load_dword v31, v8, s[0:3], 0 offen offset:12
	;; [unrolled: 4-line block ×4, first 2 shown]
	v_mad_u32_u24 v17, v0, 12, v19
	v_lshl_add_u32 v16, v0, 6, v17
	v_mul_u32_u24_e32 v15, 5, v0
	s_mov_b64 s[10:11], 0
	v_cmp_gt_u32_e32 vcc, s50, v15
	s_mov_b64 s[48:49], 0
                                        ; implicit-def: $sgpr6_sgpr7
	s_waitcnt vmcnt(0)
	ds_write_b128 v17, v[20:23]
	ds_write_b128 v17, v[24:27] offset:4096
	ds_write_b128 v17, v[28:31] offset:8192
	;; [unrolled: 1-line block ×4, first 2 shown]
	s_waitcnt lgkmcnt(0)
	s_barrier
	ds_read_b128 v[18:21], v16 offset:16
	ds_read_b128 v[22:25], v16 offset:32
	;; [unrolled: 1-line block ×4, first 2 shown]
	s_waitcnt lgkmcnt(3)
	buffer_store_dword v21, v9, s[0:3], 0 offen offset:12
	buffer_store_dword v20, v9, s[0:3], 0 offen offset:8
	buffer_store_dword v19, v9, s[0:3], 0 offen offset:4
	buffer_store_dword v18, v9, s[0:3], 0 offen
	s_waitcnt lgkmcnt(2)
	buffer_store_dword v25, v8, s[0:3], 0 offen offset:12
	buffer_store_dword v24, v8, s[0:3], 0 offen offset:8
	buffer_store_dword v23, v8, s[0:3], 0 offen offset:4
	buffer_store_dword v22, v8, s[0:3], 0 offen
	;; [unrolled: 5-line block ×4, first 2 shown]
	s_and_saveexec_b64 s[12:13], vcc
	s_cbranch_execz .LBB2036_365
; %bb.358:
	ds_read_b128 v[18:21], v16
	v_cmp_ne_u32_e32 vcc, v14, v4
	v_add_u32_e32 v17, 1, v15
	v_cndmask_b32_e64 v14, 0, 1, vcc
	v_cmp_gt_u32_e32 vcc, s50, v17
	s_mov_b64 s[16:17], 0
	s_waitcnt lgkmcnt(0)
	buffer_store_dword v21, off, s[0:3], 0 offset:220
	buffer_store_dword v20, off, s[0:3], 0 offset:216
	;; [unrolled: 1-line block ×4, first 2 shown]
	buffer_store_byte v14, off, s[0:3], 0 offset:224
                                        ; implicit-def: $sgpr36_sgpr37
	s_and_saveexec_b64 s[14:15], vcc
	s_cbranch_execz .LBB2036_364
; %bb.359:
	v_add_u32_e32 v14, 16, v16
	ds_read2_b32 v[18:19], v14 offset0:2 offset1:3
	ds_read2_b32 v[20:21], v14 offset1:1
	v_cmp_ne_u32_e32 vcc, v4, v5
	v_add_u32_e32 v14, 2, v15
	v_cndmask_b32_e64 v4, 0, 1, vcc
	v_cmp_gt_u32_e32 vcc, s50, v14
	s_mov_b64 s[6:7], 0
	s_waitcnt lgkmcnt(1)
	buffer_store_dword v19, v7, s[0:3], 0 offen offset:12
	buffer_store_dword v18, v7, s[0:3], 0 offen offset:8
	s_waitcnt lgkmcnt(0)
	buffer_store_dword v21, v7, s[0:3], 0 offen offset:4
	buffer_store_dword v20, v7, s[0:3], 0 offen
	buffer_store_byte v4, off, s[0:3], 0 offset:244
                                        ; implicit-def: $sgpr36_sgpr37
	s_and_saveexec_b64 s[16:17], vcc
	s_cbranch_execz .LBB2036_363
; %bb.360:
	v_add_u32_e32 v4, 32, v16
	ds_read2_b64 v[18:21], v4 offset1:1
	v_cmp_ne_u32_e32 vcc, v5, v2
	v_add_u32_e32 v5, 3, v15
	v_cndmask_b32_e64 v4, 0, 1, vcc
	v_cmp_gt_u32_e32 vcc, s50, v5
	s_waitcnt lgkmcnt(0)
	buffer_store_dword v21, v10, s[0:3], 0 offen offset:12
	buffer_store_dword v20, v10, s[0:3], 0 offen offset:8
	;; [unrolled: 1-line block ×3, first 2 shown]
	buffer_store_dword v18, v10, s[0:3], 0 offen
	buffer_store_byte v4, off, s[0:3], 0 offset:264
                                        ; implicit-def: $sgpr48_sgpr49
	s_and_saveexec_b64 s[36:37], vcc
	s_xor_b64 s[36:37], exec, s[36:37]
	s_cbranch_execz .LBB2036_362
; %bb.361:
	v_add_u32_e32 v14, 48, v16
	ds_read2_b32 v[4:5], v14 offset0:2 offset1:3
	ds_read2_b32 v[16:17], v14 offset1:1
	v_cmp_ne_u32_e32 vcc, v3, v13
	v_cmp_ne_u32_e64 s[6:7], v2, v3
	v_add_u32_e32 v3, 4, v15
	v_cndmask_b32_e64 v2, 0, 1, s[6:7]
	v_cmp_gt_u32_e64 s[6:7], s50, v3
	s_and_b64 s[48:49], vcc, exec
	s_and_b64 s[6:7], s[6:7], exec
	s_waitcnt lgkmcnt(1)
	buffer_store_dword v5, v11, s[0:3], 0 offen offset:12
	buffer_store_dword v4, v11, s[0:3], 0 offen offset:8
	s_waitcnt lgkmcnt(0)
	buffer_store_dword v17, v11, s[0:3], 0 offen offset:4
	buffer_store_dword v16, v11, s[0:3], 0 offen
	buffer_store_byte v2, off, s[0:3], 0 offset:284
.LBB2036_362:
	s_or_b64 exec, exec, s[36:37]
	s_and_b64 s[36:37], s[48:49], exec
	s_and_b64 s[6:7], s[6:7], exec
.LBB2036_363:
	s_or_b64 exec, exec, s[16:17]
	s_and_b64 s[36:37], s[36:37], exec
	s_and_b64 s[16:17], s[6:7], exec
.LBB2036_364:
	s_or_b64 exec, exec, s[14:15]
	s_and_b64 s[6:7], s[36:37], exec
	s_and_b64 s[48:49], s[16:17], exec
.LBB2036_365:
	s_or_b64 exec, exec, s[12:13]
	s_and_b64 vcc, exec, s[10:11]
	v_lshlrev_b32_e32 v13, 4, v0
	s_cbranch_vccz .LBB2036_22
.LBB2036_366:
	v_lshlrev_b32_e32 v14, 2, v0
	v_mov_b32_e32 v3, s41
	v_add_co_u32_e32 v2, vcc, s40, v14
	v_addc_co_u32_e32 v3, vcc, 0, v3, vcc
	v_add_co_u32_e32 v4, vcc, 0x1000, v2
	v_addc_co_u32_e32 v5, vcc, 0, v3, vcc
	flat_load_dword v16, v[2:3]
	flat_load_dword v17, v[2:3] offset:1024
	flat_load_dword v18, v[2:3] offset:2048
	;; [unrolled: 1-line block ×3, first 2 shown]
	flat_load_dword v20, v[4:5]
	v_add_u32_e32 v15, v14, v13
	s_cmp_eq_u64 s[46:47], 0
	s_waitcnt vmcnt(0) lgkmcnt(0)
	ds_write2st64_b32 v14, v16, v17 offset1:4
	ds_write2st64_b32 v14, v18, v19 offset0:8 offset1:12
	ds_write_b32 v14, v20 offset:4096
	s_waitcnt lgkmcnt(0)
	s_barrier
	ds_read2_b32 v[2:3], v15 offset1:1
	ds_read2_b32 v[4:5], v15 offset0:2 offset1:3
	ds_read_b32 v14, v15 offset:16
	s_cbranch_scc1 .LBB2036_371
; %bb.367:
	s_andn2_b64 vcc, exec, s[44:45]
	s_cbranch_vccnz .LBB2036_588
; %bb.368:
	s_lshl_b64 s[6:7], s[46:47], 2
	s_add_u32 s6, s42, s6
	s_addc_u32 s7, s43, s7
	s_add_u32 s6, s6, -4
	s_addc_u32 s7, s7, -1
	s_cbranch_execnz .LBB2036_370
.LBB2036_369:
	s_add_u32 s6, s40, -4
	s_addc_u32 s7, s41, -1
.LBB2036_370:
	s_mov_b64 s[40:41], s[6:7]
.LBB2036_371:
	v_pk_mov_b32 v[16:17], s[40:41], s[40:41] op_sel:[0,1]
	flat_load_dword v16, v[16:17]
	v_sub_u32_e32 v15, v15, v13
	v_cmp_ne_u32_e32 vcc, 0, v0
	s_waitcnt lgkmcnt(0)
	ds_write_b32 v15, v14 offset:5120
	s_waitcnt lgkmcnt(0)
	s_barrier
	s_and_saveexec_b64 s[6:7], vcc
	s_cbranch_execz .LBB2036_373
; %bb.372:
	s_waitcnt vmcnt(0)
	ds_read_b32 v16, v15 offset:5116
.LBB2036_373:
	s_or_b64 exec, exec, s[6:7]
	v_mov_b32_e32 v17, s33
	v_add_co_u32_e32 v26, vcc, s9, v13
	v_addc_co_u32_e32 v27, vcc, 0, v17, vcc
	s_waitcnt lgkmcnt(0)
	s_barrier
	flat_load_dwordx4 v[18:21], v[26:27]
	s_movk_i32 s6, 0x1000
	v_add_co_u32_e32 v22, vcc, s6, v26
	v_addc_co_u32_e32 v23, vcc, 0, v27, vcc
	s_movk_i32 s6, 0x2000
	v_add_co_u32_e32 v28, vcc, s6, v26
	v_addc_co_u32_e32 v29, vcc, 0, v27, vcc
	s_movk_i32 s6, 0x3000
	s_mov_b64 s[48:49], -1
	s_waitcnt vmcnt(0) lgkmcnt(0)
	buffer_store_dword v18, off, s[0:3], 0 offset:96
	buffer_store_dword v19, off, s[0:3], 0 offset:100
	;; [unrolled: 1-line block ×4, first 2 shown]
	flat_load_dwordx4 v[22:25], v[22:23]
	s_waitcnt vmcnt(0) lgkmcnt(0)
	buffer_store_dword v23, off, s[0:3], 0 offset:116
	buffer_store_dword v22, off, s[0:3], 0 offset:112
	;; [unrolled: 1-line block ×4, first 2 shown]
	flat_load_dwordx4 v[22:25], v[28:29]
	v_add_co_u32_e32 v28, vcc, s6, v26
	v_addc_co_u32_e32 v29, vcc, 0, v27, vcc
	s_movk_i32 s6, 0x4000
	v_add_co_u32_e32 v34, vcc, s6, v26
	v_addc_co_u32_e32 v35, vcc, 0, v27, vcc
                                        ; kill: killed $vgpr34 killed $vgpr35
	v_cmp_ne_u32_e32 vcc, v4, v5
	v_cndmask_b32_e64 v38, 0, 1, vcc
	v_cmp_ne_u32_e32 vcc, v3, v4
	v_cndmask_b32_e64 v39, 0, 1, vcc
	;; [unrolled: 2-line block ×3, first 2 shown]
	v_cmp_ne_u32_e32 vcc, v16, v2
	v_mad_u32_u24 v2, v0, 12, v15
	v_lshl_add_u32 v42, v0, 6, v2
	v_cmp_ne_u32_e64 s[6:7], v5, v14
	v_cndmask_b32_e64 v41, 0, 1, vcc
	s_waitcnt vmcnt(0) lgkmcnt(0)
	buffer_store_dword v23, off, s[0:3], 0 offset:132
	buffer_store_dword v22, off, s[0:3], 0 offset:128
	buffer_store_dword v25, off, s[0:3], 0 offset:140
	buffer_store_dword v24, off, s[0:3], 0 offset:136
	flat_load_dwordx4 v[22:25], v[28:29]
	s_waitcnt vmcnt(0) lgkmcnt(0)
	buffer_store_dword v23, off, s[0:3], 0 offset:148
	buffer_store_dword v22, off, s[0:3], 0 offset:144
	;; [unrolled: 1-line block ×4, first 2 shown]
	flat_load_dwordx4 v[22:25], v[34:35]
	s_nop 0
	buffer_load_dword v29, v8, s[0:3], 0 offen offset:12
	buffer_load_dword v28, v8, s[0:3], 0 offen offset:8
	;; [unrolled: 1-line block ×3, first 2 shown]
	buffer_load_dword v26, v8, s[0:3], 0 offen
	buffer_load_dword v33, v9, s[0:3], 0 offen offset:12
	buffer_load_dword v32, v9, s[0:3], 0 offen offset:8
	;; [unrolled: 1-line block ×3, first 2 shown]
	buffer_load_dword v30, v9, s[0:3], 0 offen
	s_waitcnt vmcnt(0) lgkmcnt(0)
	buffer_store_dword v23, off, s[0:3], 0 offset:164
	buffer_store_dword v22, off, s[0:3], 0 offset:160
	;; [unrolled: 1-line block ×4, first 2 shown]
	buffer_load_dword v22, v1, s[0:3], 0 offen
	s_nop 0
	buffer_load_dword v37, v6, s[0:3], 0 offen offset:12
	buffer_load_dword v36, v6, s[0:3], 0 offen offset:8
	buffer_load_dword v35, v6, s[0:3], 0 offen offset:4
	buffer_load_dword v34, v6, s[0:3], 0 offen
	buffer_load_dword v25, v1, s[0:3], 0 offen offset:12
	buffer_load_dword v24, v1, s[0:3], 0 offen offset:8
	;; [unrolled: 1-line block ×3, first 2 shown]
	ds_write_b128 v2, v[18:21]
	ds_write_b128 v2, v[30:33] offset:4096
	ds_write_b128 v2, v[26:29] offset:8192
	s_waitcnt vmcnt(3)
	ds_write_b128 v2, v[34:37] offset:12288
	s_waitcnt vmcnt(0)
	ds_write_b128 v2, v[22:25] offset:16384
	s_waitcnt lgkmcnt(0)
	s_barrier
	ds_read_b128 v[2:5], v42
	ds_read_b128 v[14:17], v42 offset:16
	ds_read_b128 v[18:21], v42 offset:32
	;; [unrolled: 1-line block ×4, first 2 shown]
	buffer_store_byte v41, off, s[0:3], 0 offset:224
	buffer_store_byte v40, off, s[0:3], 0 offset:244
	;; [unrolled: 1-line block ×4, first 2 shown]
	s_waitcnt lgkmcnt(3)
	buffer_store_dword v17, v9, s[0:3], 0 offen offset:12
	buffer_store_dword v16, v9, s[0:3], 0 offen offset:8
	buffer_store_dword v15, v9, s[0:3], 0 offen offset:4
	buffer_store_dword v14, v9, s[0:3], 0 offen
	s_waitcnt lgkmcnt(2)
	buffer_store_dword v21, v8, s[0:3], 0 offen offset:12
	buffer_store_dword v20, v8, s[0:3], 0 offen offset:8
	buffer_store_dword v19, v8, s[0:3], 0 offen offset:4
	buffer_store_dword v18, v8, s[0:3], 0 offen
	;; [unrolled: 5-line block ×4, first 2 shown]
	buffer_store_dword v5, off, s[0:3], 0 offset:220
	buffer_store_dword v4, off, s[0:3], 0 offset:216
	;; [unrolled: 1-line block ×4, first 2 shown]
	buffer_store_dword v17, v7, s[0:3], 0 offen offset:12
	buffer_store_dword v16, v7, s[0:3], 0 offen offset:8
	buffer_store_dword v15, v7, s[0:3], 0 offen offset:4
	buffer_store_dword v14, v7, s[0:3], 0 offen
	buffer_store_dword v21, v10, s[0:3], 0 offen offset:12
	buffer_store_dword v20, v10, s[0:3], 0 offen offset:8
	buffer_store_dword v19, v10, s[0:3], 0 offen offset:4
	buffer_store_dword v18, v10, s[0:3], 0 offen
	;; [unrolled: 4-line block ×3, first 2 shown]
	s_and_saveexec_b64 s[10:11], s[48:49]
	s_cbranch_execnz .LBB2036_23
	s_branch .LBB2036_24
.LBB2036_374:
	s_cbranch_execz .LBB2036_552
; %bb.375:
	s_cmp_lg_u64 s[34:35], 0
	s_cselect_b32 s13, s39, 0
	s_cselect_b32 s12, s38, 0
	s_cmp_lg_u64 s[12:13], 0
	s_cselect_b64 s[8:9], -1, 0
	v_cmp_eq_u32_e32 vcc, 0, v0
	v_cmp_ne_u32_e64 s[6:7], 0, v0
	s_and_b64 s[8:9], vcc, s[8:9]
	s_and_saveexec_b64 s[10:11], s[8:9]
	s_cbranch_execz .LBB2036_385
; %bb.376:
	buffer_load_ubyte v1, off, s[0:3], 0 offset:224
                                        ; implicit-def: $vgpr2_vgpr3
                                        ; implicit-def: $vgpr4_vgpr5
	s_waitcnt vmcnt(0)
	v_cmp_ne_u16_e64 s[8:9], 0, v1
	s_and_saveexec_b64 s[14:15], s[8:9]
	s_xor_b64 s[8:9], exec, s[14:15]
	s_cbranch_execz .LBB2036_378
; %bb.377:
	buffer_load_dword v4, off, s[0:3], 0 offset:208
	buffer_load_dword v5, off, s[0:3], 0 offset:212
	;; [unrolled: 1-line block ×4, first 2 shown]
.LBB2036_378:
	s_andn2_saveexec_b64 s[8:9], s[8:9]
	s_cbranch_execz .LBB2036_384
; %bb.379:
	s_mov_b32 s14, 0
	s_waitcnt vmcnt(1)
	v_mov_b32_e32 v2, 0x60
	s_waitcnt vmcnt(0)
	v_mov_b32_e32 v3, 0
.LBB2036_380:                           ; =>This Inner Loop Header: Depth=1
	v_add_u32_e32 v4, s14, v2
	s_add_i32 s14, s14, 8
	s_cmp_lg_u32 s14, 16
	buffer_store_dword v3, v4, s[0:3], 0 offen offset:4
	buffer_store_dword v3, v4, s[0:3], 0 offen
	s_cbranch_scc1 .LBB2036_380
; %bb.381:
	s_mov_b32 s16, 0
	v_mov_b32_e32 v2, 0
	v_mov_b32_e32 v3, 0xd0
	;; [unrolled: 1-line block ×3, first 2 shown]
	s_mov_b64 s[14:15], s[12:13]
.LBB2036_382:                           ; =>This Inner Loop Header: Depth=1
	v_add_u32_e32 v5, s16, v3
	global_load_dwordx2 v[8:9], v2, s[14:15]
	buffer_load_dword v6, v5, s[0:3], 0 offen
	buffer_load_dword v14, v5, s[0:3], 0 offen offset:4
	s_add_u32 s14, s14, 8
                                        ; kill: killed $vgpr5
	v_add_u32_e32 v5, s16, v4
	s_addc_u32 s15, s15, 0
	s_add_i32 s16, s16, 8
	s_cmp_lg_u32 s16, 16
	s_waitcnt vmcnt(1)
	v_add_u32_e32 v6, v6, v8
	s_waitcnt vmcnt(0)
	v_add_u32_e32 v8, v14, v9
	buffer_store_dword v8, v5, s[0:3], 0 offen offset:4
	buffer_store_dword v6, v5, s[0:3], 0 offen
	s_cbranch_scc1 .LBB2036_382
; %bb.383:
	buffer_load_dword v4, off, s[0:3], 0 offset:96
	buffer_load_dword v5, off, s[0:3], 0 offset:100
	;; [unrolled: 1-line block ×4, first 2 shown]
.LBB2036_384:
	s_or_b64 exec, exec, s[8:9]
	v_mov_b32_e32 v6, 0
	global_load_ubyte v6, v6, s[12:13] offset:16
	s_waitcnt vmcnt(3)
	buffer_store_dword v5, off, s[0:3], 0 offset:212
	buffer_store_dword v4, off, s[0:3], 0 offset:208
	s_waitcnt vmcnt(3)
	buffer_store_dword v3, off, s[0:3], 0 offset:220
	s_waitcnt vmcnt(3)
	v_or_b32_e32 v1, v1, v6
	v_and_b32_e32 v1, 1, v1
	buffer_store_dword v2, off, s[0:3], 0 offset:216
	buffer_store_byte v1, off, s[0:3], 0 offset:224
.LBB2036_385:
	s_or_b64 exec, exec, s[10:11]
	v_mov_b32_e32 v1, 0
	s_mov_b32 s8, 0
	v_mov_b32_e32 v2, 0x4c
	buffer_store_dword v1, off, s[0:3], 0 offset:88
	buffer_store_dword v1, off, s[0:3], 0 offset:84
	buffer_store_dword v1, off, s[0:3], 0 offset:80
	buffer_store_dword v1, off, s[0:3], 0 offset:76
	buffer_store_dword v1, off, s[0:3], 0 offset:92
.LBB2036_386:                           ; =>This Inner Loop Header: Depth=1
	v_add_u32_e32 v3, s8, v2
	s_add_i32 s8, s8, 8
	s_cmp_lg_u32 s8, 16
	buffer_store_dword v1, v3, s[0:3], 0 offen offset:4
	buffer_store_dword v1, v3, s[0:3], 0 offen
	s_cbranch_scc1 .LBB2036_386
; %bb.387:
	s_mov_b32 s8, 0
	v_mov_b32_e32 v1, 0
	v_mov_b32_e32 v2, 0x60
	buffer_store_byte v1, off, s[0:3], 0 offset:92
	buffer_store_dword v1, off, s[0:3], 0 offset:112
.LBB2036_388:                           ; =>This Inner Loop Header: Depth=1
	v_add_u32_e32 v3, s8, v2
	s_add_i32 s8, s8, 8
	s_cmp_lg_u32 s8, 16
	buffer_store_dword v1, v3, s[0:3], 0 offen offset:4
	buffer_store_dword v1, v3, s[0:3], 0 offen
	s_cbranch_scc1 .LBB2036_388
; %bb.389:
	buffer_load_dword v2, off, s[0:3], 0 offset:220
	buffer_load_dword v3, off, s[0:3], 0 offset:216
	;; [unrolled: 1-line block ×4, first 2 shown]
	buffer_load_ubyte v6, off, s[0:3], 0 offset:244
	buffer_load_ubyte v1, off, s[0:3], 0 offset:224
	s_waitcnt vmcnt(5)
	buffer_store_dword v2, off, s[0:3], 0 offset:108
	s_waitcnt vmcnt(5)
	buffer_store_dword v3, off, s[0:3], 0 offset:104
	;; [unrolled: 2-line block ×4, first 2 shown]
	s_waitcnt vmcnt(5)
	v_cmp_ne_u16_e64 s[8:9], 0, v6
                                        ; implicit-def: $vgpr4_vgpr5
                                        ; implicit-def: $vgpr2_vgpr3
	s_and_saveexec_b64 s[10:11], s[8:9]
	s_xor_b64 s[8:9], exec, s[10:11]
	s_cbranch_execz .LBB2036_391
; %bb.390:
	buffer_load_dword v2, off, s[0:3], 0 offset:228
	buffer_load_dword v3, off, s[0:3], 0 offset:232
	;; [unrolled: 1-line block ×4, first 2 shown]
.LBB2036_391:
	s_andn2_saveexec_b64 s[8:9], s[8:9]
	s_cbranch_execz .LBB2036_397
; %bb.392:
	s_mov_b32 s10, 0
	s_waitcnt vmcnt(3)
	v_mov_b32_e32 v2, 16
	s_waitcnt vmcnt(2)
	v_mov_b32_e32 v3, 0
	s_waitcnt vmcnt(0)
.LBB2036_393:                           ; =>This Inner Loop Header: Depth=1
	v_add_u32_e32 v4, s10, v2
	s_add_i32 s10, s10, 8
	s_cmp_lg_u32 s10, 16
	buffer_store_dword v3, v4, s[0:3], 0 offen offset:4
	buffer_store_dword v3, v4, s[0:3], 0 offen
	s_cbranch_scc1 .LBB2036_393
; %bb.394:
	s_mov_b32 s10, 0
	v_mov_b32_e32 v2, 0x60
	v_mov_b32_e32 v3, 0xd0
	v_mov_b32_e32 v4, 16
.LBB2036_395:                           ; =>This Inner Loop Header: Depth=1
	v_add_u32_e32 v5, s10, v2
	v_add_u32_e32 v8, s10, v3
	buffer_load_dword v9, v5, s[0:3], 0 offen offset:4
	buffer_load_dword v14, v8, s[0:3], 0 offen offset:20
	buffer_load_dword v15, v5, s[0:3], 0 offen
	buffer_load_dword v16, v8, s[0:3], 0 offen offset:24
                                        ; kill: killed $vgpr5
	v_add_u32_e32 v5, s10, v4
	s_add_i32 s10, s10, 8
	s_cmp_lg_u32 s10, 16
                                        ; kill: killed $vgpr8
	s_waitcnt vmcnt(1)
	v_add_u32_e32 v8, v14, v15
	s_waitcnt vmcnt(0)
	v_add_u32_e32 v9, v16, v9
	buffer_store_dword v9, v5, s[0:3], 0 offen offset:4
	buffer_store_dword v8, v5, s[0:3], 0 offen
	s_cbranch_scc1 .LBB2036_395
; %bb.396:
	buffer_load_dword v2, off, s[0:3], 0 offset:16
	buffer_load_dword v3, off, s[0:3], 0 offset:20
	;; [unrolled: 1-line block ×4, first 2 shown]
.LBB2036_397:
	s_or_b64 exec, exec, s[8:9]
	buffer_load_ubyte v8, off, s[0:3], 0 offset:264
	s_waitcnt vmcnt(3)
	buffer_store_dword v3, off, s[0:3], 0 offset:100
	buffer_store_dword v2, off, s[0:3], 0 offset:96
	s_waitcnt vmcnt(3)
	buffer_store_dword v5, off, s[0:3], 0 offset:108
	buffer_store_dword v4, off, s[0:3], 0 offset:104
                                        ; implicit-def: $vgpr4_vgpr5
                                        ; implicit-def: $vgpr2_vgpr3
	s_waitcnt vmcnt(4)
	v_cmp_ne_u16_e64 s[8:9], 0, v8
	s_and_saveexec_b64 s[10:11], s[8:9]
	s_xor_b64 s[8:9], exec, s[10:11]
	s_cbranch_execz .LBB2036_399
; %bb.398:
	buffer_load_dword v2, off, s[0:3], 0 offset:248
	buffer_load_dword v3, off, s[0:3], 0 offset:252
	;; [unrolled: 1-line block ×4, first 2 shown]
.LBB2036_399:
	s_andn2_saveexec_b64 s[8:9], s[8:9]
	s_cbranch_execz .LBB2036_405
; %bb.400:
	s_mov_b32 s10, 0
	s_waitcnt vmcnt(3)
	v_mov_b32_e32 v2, 16
	s_waitcnt vmcnt(2)
	v_mov_b32_e32 v3, 0
	s_waitcnt vmcnt(0)
.LBB2036_401:                           ; =>This Inner Loop Header: Depth=1
	v_add_u32_e32 v4, s10, v2
	s_add_i32 s10, s10, 8
	s_cmp_lg_u32 s10, 16
	buffer_store_dword v3, v4, s[0:3], 0 offen offset:4
	buffer_store_dword v3, v4, s[0:3], 0 offen
	s_cbranch_scc1 .LBB2036_401
; %bb.402:
	s_mov_b32 s10, 0
	v_mov_b32_e32 v2, 0x60
	v_mov_b32_e32 v3, 0xd0
	;; [unrolled: 1-line block ×3, first 2 shown]
.LBB2036_403:                           ; =>This Inner Loop Header: Depth=1
	v_add_u32_e32 v5, s10, v2
	v_add_u32_e32 v9, s10, v3
	buffer_load_dword v14, v5, s[0:3], 0 offen offset:4
	buffer_load_dword v15, v9, s[0:3], 0 offen offset:40
	buffer_load_dword v16, v5, s[0:3], 0 offen
	buffer_load_dword v17, v9, s[0:3], 0 offen offset:44
                                        ; kill: killed $vgpr5
	v_add_u32_e32 v5, s10, v4
	s_add_i32 s10, s10, 8
	s_cmp_lg_u32 s10, 16
                                        ; kill: killed $vgpr9
	s_waitcnt vmcnt(1)
	v_add_u32_e32 v9, v15, v16
	s_waitcnt vmcnt(0)
	v_add_u32_e32 v14, v17, v14
	buffer_store_dword v14, v5, s[0:3], 0 offen offset:4
	buffer_store_dword v9, v5, s[0:3], 0 offen
	s_cbranch_scc1 .LBB2036_403
; %bb.404:
	buffer_load_dword v2, off, s[0:3], 0 offset:16
	buffer_load_dword v3, off, s[0:3], 0 offset:20
	;; [unrolled: 1-line block ×4, first 2 shown]
.LBB2036_405:
	s_or_b64 exec, exec, s[8:9]
	buffer_load_ubyte v9, off, s[0:3], 0 offset:284
	s_waitcnt vmcnt(3)
	buffer_store_dword v3, off, s[0:3], 0 offset:100
	buffer_store_dword v2, off, s[0:3], 0 offset:96
	s_waitcnt vmcnt(3)
	buffer_store_dword v5, off, s[0:3], 0 offset:108
	buffer_store_dword v4, off, s[0:3], 0 offset:104
                                        ; implicit-def: $vgpr4_vgpr5
                                        ; implicit-def: $vgpr2_vgpr3
	s_waitcnt vmcnt(4)
	v_cmp_ne_u16_e64 s[8:9], 0, v9
	s_and_saveexec_b64 s[10:11], s[8:9]
	s_xor_b64 s[8:9], exec, s[10:11]
	s_cbranch_execz .LBB2036_407
; %bb.406:
	buffer_load_dword v2, off, s[0:3], 0 offset:268
	buffer_load_dword v3, off, s[0:3], 0 offset:272
	;; [unrolled: 1-line block ×4, first 2 shown]
.LBB2036_407:
	s_andn2_saveexec_b64 s[8:9], s[8:9]
	s_cbranch_execz .LBB2036_413
; %bb.408:
	s_mov_b32 s10, 0
	s_waitcnt vmcnt(3)
	v_mov_b32_e32 v2, 16
	s_waitcnt vmcnt(2)
	v_mov_b32_e32 v3, 0
	s_waitcnt vmcnt(0)
.LBB2036_409:                           ; =>This Inner Loop Header: Depth=1
	v_add_u32_e32 v4, s10, v2
	s_add_i32 s10, s10, 8
	s_cmp_lg_u32 s10, 16
	buffer_store_dword v3, v4, s[0:3], 0 offen offset:4
	buffer_store_dword v3, v4, s[0:3], 0 offen
	s_cbranch_scc1 .LBB2036_409
; %bb.410:
	s_mov_b32 s10, 0
	v_mov_b32_e32 v2, 0x60
	v_mov_b32_e32 v3, 0xd0
	;; [unrolled: 1-line block ×3, first 2 shown]
.LBB2036_411:                           ; =>This Inner Loop Header: Depth=1
	v_add_u32_e32 v5, s10, v2
	v_add_u32_e32 v14, s10, v3
	buffer_load_dword v15, v5, s[0:3], 0 offen offset:4
	buffer_load_dword v16, v14, s[0:3], 0 offen offset:60
	buffer_load_dword v17, v5, s[0:3], 0 offen
	buffer_load_dword v18, v14, s[0:3], 0 offen offset:64
                                        ; kill: killed $vgpr5
	v_add_u32_e32 v5, s10, v4
	s_add_i32 s10, s10, 8
	s_cmp_lg_u32 s10, 16
                                        ; kill: killed $vgpr14
	s_waitcnt vmcnt(1)
	v_add_u32_e32 v14, v16, v17
	s_waitcnt vmcnt(0)
	v_add_u32_e32 v15, v18, v15
	buffer_store_dword v15, v5, s[0:3], 0 offen offset:4
	buffer_store_dword v14, v5, s[0:3], 0 offen
	s_cbranch_scc1 .LBB2036_411
; %bb.412:
	buffer_load_dword v2, off, s[0:3], 0 offset:16
	buffer_load_dword v3, off, s[0:3], 0 offset:20
	;; [unrolled: 1-line block ×4, first 2 shown]
.LBB2036_413:
	s_or_b64 exec, exec, s[8:9]
	buffer_load_ubyte v14, off, s[0:3], 0 offset:304
	s_waitcnt vmcnt(3)
	buffer_store_dword v3, off, s[0:3], 0 offset:100
	buffer_store_dword v2, off, s[0:3], 0 offset:96
	s_waitcnt vmcnt(3)
	buffer_store_dword v5, off, s[0:3], 0 offset:108
	buffer_store_dword v4, off, s[0:3], 0 offset:104
                                        ; implicit-def: $vgpr4_vgpr5
                                        ; implicit-def: $vgpr2_vgpr3
	s_waitcnt vmcnt(4)
	v_cmp_ne_u16_e64 s[8:9], 0, v14
	s_and_saveexec_b64 s[10:11], s[8:9]
	s_xor_b64 s[8:9], exec, s[10:11]
	s_cbranch_execz .LBB2036_415
; %bb.414:
	buffer_load_dword v2, off, s[0:3], 0 offset:288
	buffer_load_dword v3, off, s[0:3], 0 offset:292
	;; [unrolled: 1-line block ×4, first 2 shown]
.LBB2036_415:
	s_andn2_saveexec_b64 s[8:9], s[8:9]
	s_cbranch_execz .LBB2036_421
; %bb.416:
	s_mov_b32 s10, 0
	s_waitcnt vmcnt(3)
	v_mov_b32_e32 v2, 16
	s_waitcnt vmcnt(2)
	v_mov_b32_e32 v3, 0
	s_waitcnt vmcnt(0)
.LBB2036_417:                           ; =>This Inner Loop Header: Depth=1
	v_add_u32_e32 v4, s10, v2
	s_add_i32 s10, s10, 8
	s_cmp_lg_u32 s10, 16
	buffer_store_dword v3, v4, s[0:3], 0 offen offset:4
	buffer_store_dword v3, v4, s[0:3], 0 offen
	s_cbranch_scc1 .LBB2036_417
; %bb.418:
	s_mov_b32 s10, 0
	v_mov_b32_e32 v2, 0x60
	v_mov_b32_e32 v3, 0xd0
	;; [unrolled: 1-line block ×3, first 2 shown]
.LBB2036_419:                           ; =>This Inner Loop Header: Depth=1
	v_add_u32_e32 v5, s10, v2
	v_add_u32_e32 v15, s10, v3
	buffer_load_dword v16, v5, s[0:3], 0 offen offset:4
	buffer_load_dword v17, v15, s[0:3], 0 offen offset:80
	buffer_load_dword v18, v5, s[0:3], 0 offen
	buffer_load_dword v19, v15, s[0:3], 0 offen offset:84
                                        ; kill: killed $vgpr5
	v_add_u32_e32 v5, s10, v4
	s_add_i32 s10, s10, 8
	s_cmp_lg_u32 s10, 16
                                        ; kill: killed $vgpr15
	s_waitcnt vmcnt(1)
	v_add_u32_e32 v15, v17, v18
	s_waitcnt vmcnt(0)
	v_add_u32_e32 v16, v19, v16
	buffer_store_dword v16, v5, s[0:3], 0 offen offset:4
	buffer_store_dword v15, v5, s[0:3], 0 offen
	s_cbranch_scc1 .LBB2036_419
; %bb.420:
	buffer_load_dword v2, off, s[0:3], 0 offset:16
	buffer_load_dword v3, off, s[0:3], 0 offset:20
	;; [unrolled: 1-line block ×4, first 2 shown]
.LBB2036_421:
	s_or_b64 exec, exec, s[8:9]
	buffer_load_ushort v15, off, s[0:3], 0 offset:113
	buffer_load_sbyte v16, off, s[0:3], 0 offset:115
	v_or_b32_e32 v9, v14, v9
	v_or_b32_e32 v9, v9, v8
	;; [unrolled: 1-line block ×3, first 2 shown]
	v_mbcnt_lo_u32_b32 v14, -1, 0
	v_or_b32_e32 v1, v9, v1
	v_mbcnt_hi_u32_b32 v8, -1, v14
	v_and_b32_e32 v1, 1, v1
	v_and_b32_e32 v6, 15, v8
	s_waitcnt vmcnt(5)
	v_mov_b32_dpp v17, v2 row_shr:1 row_mask:0xf bank_mask:0xf
	v_cmp_ne_u32_e64 s[8:9], 0, v6
	s_waitcnt vmcnt(4)
	buffer_store_dword v3, off, s[0:3], 0 offset:60
	buffer_store_dword v2, off, s[0:3], 0 offset:56
	s_waitcnt vmcnt(4)
	buffer_store_dword v5, off, s[0:3], 0 offset:68
	buffer_store_dword v4, off, s[0:3], 0 offset:64
	v_mov_b32_dpp v18, v3 row_shr:1 row_mask:0xf bank_mask:0xf
	v_mov_b32_dpp v19, v4 row_shr:1 row_mask:0xf bank_mask:0xf
	;; [unrolled: 1-line block ×3, first 2 shown]
	buffer_store_dword v17, off, s[0:3], 0 offset:96
	buffer_store_dword v18, off, s[0:3], 0 offset:100
	buffer_store_dword v19, off, s[0:3], 0 offset:104
	buffer_store_dword v20, off, s[0:3], 0 offset:108
	s_waitcnt vmcnt(9)
	v_lshrrev_b32_e32 v9, 8, v15
	v_lshlrev_b16_e32 v14, 8, v15
	s_waitcnt vmcnt(8)
	v_lshlrev_b16_e32 v15, 8, v16
	v_or_b32_e32 v1, v1, v14
	v_or_b32_sdwa v9, v9, v15 dst_sel:WORD_1 dst_unused:UNUSED_PAD src0_sel:BYTE_0 src1_sel:DWORD
	v_or_b32_sdwa v9, v1, v9 dst_sel:DWORD dst_unused:UNUSED_PAD src0_sel:WORD_0 src1_sel:DWORD
	buffer_store_dword v9, off, s[0:3], 0 offset:72
	s_nop 0
	v_mov_b32_dpp v14, v9 row_shr:1 row_mask:0xf bank_mask:0xf
	buffer_store_dword v14, off, s[0:3], 0 offset:112
	s_and_saveexec_b64 s[10:11], s[8:9]
	s_cbranch_execz .LBB2036_429
; %bb.422:
	v_mov_b32_e32 v15, 0
	v_cmp_eq_u16_sdwa s[12:13], v1, v15 src0_sel:BYTE_0 src1_sel:DWORD
	s_and_saveexec_b64 s[8:9], s[12:13]
	s_cbranch_execz .LBB2036_428
; %bb.423:
	s_mov_b32 s12, 0
	v_mov_b32_e32 v1, 16
.LBB2036_424:                           ; =>This Inner Loop Header: Depth=1
	v_add_u32_e32 v2, s12, v1
	s_add_i32 s12, s12, 8
	s_cmp_lg_u32 s12, 16
	buffer_store_dword v15, v2, s[0:3], 0 offen offset:4
	buffer_store_dword v15, v2, s[0:3], 0 offen
	s_cbranch_scc1 .LBB2036_424
; %bb.425:
	s_mov_b32 s12, 0
	v_mov_b32_e32 v1, 0x60
	v_mov_b32_e32 v2, 56
	;; [unrolled: 1-line block ×3, first 2 shown]
.LBB2036_426:                           ; =>This Inner Loop Header: Depth=1
	v_add_u32_e32 v4, s12, v1
	v_add_u32_e32 v5, s12, v2
	buffer_load_dword v15, v4, s[0:3], 0 offen offset:4
	buffer_load_dword v16, v5, s[0:3], 0 offen
	buffer_load_dword v17, v4, s[0:3], 0 offen
	buffer_load_dword v18, v5, s[0:3], 0 offen offset:4
                                        ; kill: killed $vgpr4
	v_add_u32_e32 v4, s12, v3
	s_add_i32 s12, s12, 8
	s_cmp_lg_u32 s12, 16
                                        ; kill: killed $vgpr5
	s_waitcnt vmcnt(1)
	v_add_u32_e32 v5, v16, v17
	s_waitcnt vmcnt(0)
	v_add_u32_e32 v15, v18, v15
	buffer_store_dword v15, v4, s[0:3], 0 offen offset:4
	buffer_store_dword v5, v4, s[0:3], 0 offen
	s_cbranch_scc1 .LBB2036_426
; %bb.427:
	buffer_load_dword v2, off, s[0:3], 0 offset:16
	buffer_load_dword v3, off, s[0:3], 0 offset:20
	;; [unrolled: 1-line block ×4, first 2 shown]
.LBB2036_428:
	s_or_b64 exec, exec, s[8:9]
	v_or_b32_e32 v1, v14, v9
	v_and_b32_e32 v1, 1, v1
	buffer_store_byte v1, off, s[0:3], 0 offset:72
	buffer_load_dword v9, off, s[0:3], 0 offset:72
	s_waitcnt vmcnt(4)
	buffer_store_dword v3, off, s[0:3], 0 offset:60
	buffer_store_dword v2, off, s[0:3], 0 offset:56
	s_waitcnt vmcnt(4)
	buffer_store_dword v5, off, s[0:3], 0 offset:68
	buffer_store_dword v4, off, s[0:3], 0 offset:64
	s_waitcnt vmcnt(4)
	v_mov_b32_e32 v1, v9
.LBB2036_429:
	s_or_b64 exec, exec, s[10:11]
	v_mov_b32_dpp v15, v2 row_shr:2 row_mask:0xf bank_mask:0xf
	v_mov_b32_dpp v14, v9 row_shr:2 row_mask:0xf bank_mask:0xf
	v_cmp_lt_u32_e64 s[8:9], 1, v6
	v_mov_b32_dpp v16, v3 row_shr:2 row_mask:0xf bank_mask:0xf
	v_mov_b32_dpp v17, v4 row_shr:2 row_mask:0xf bank_mask:0xf
	;; [unrolled: 1-line block ×3, first 2 shown]
	buffer_store_dword v15, off, s[0:3], 0 offset:96
	buffer_store_dword v16, off, s[0:3], 0 offset:100
	;; [unrolled: 1-line block ×5, first 2 shown]
	s_and_saveexec_b64 s[12:13], s[8:9]
	s_cbranch_execz .LBB2036_437
; %bb.430:
	v_mov_b32_e32 v9, 0
	s_mov_b32 s10, 0
	v_cmp_eq_u16_sdwa s[14:15], v1, v9 src0_sel:BYTE_0 src1_sel:DWORD
	s_and_saveexec_b64 s[8:9], s[14:15]
	s_cbranch_execz .LBB2036_436
; %bb.431:
	v_mov_b32_e32 v2, 16
.LBB2036_432:                           ; =>This Inner Loop Header: Depth=1
	v_add_u32_e32 v3, s10, v2
	s_add_i32 s10, s10, 8
	s_cmp_lg_u32 s10, 16
	buffer_store_dword v9, v3, s[0:3], 0 offen offset:4
	buffer_store_dword v9, v3, s[0:3], 0 offen
	s_cbranch_scc1 .LBB2036_432
; %bb.433:
	s_mov_b32 s10, 0
	v_mov_b32_e32 v2, 0x60
	v_mov_b32_e32 v3, 56
	;; [unrolled: 1-line block ×3, first 2 shown]
.LBB2036_434:                           ; =>This Inner Loop Header: Depth=1
	v_add_u32_e32 v5, s10, v2
	v_add_u32_e32 v9, s10, v3
	buffer_load_dword v15, v5, s[0:3], 0 offen offset:4
	buffer_load_dword v16, v9, s[0:3], 0 offen
	buffer_load_dword v17, v5, s[0:3], 0 offen
	buffer_load_dword v18, v9, s[0:3], 0 offen offset:4
                                        ; kill: killed $vgpr5
	v_add_u32_e32 v5, s10, v4
	s_add_i32 s10, s10, 8
	s_cmp_lg_u32 s10, 16
                                        ; kill: killed $vgpr9
	s_waitcnt vmcnt(1)
	v_add_u32_e32 v9, v16, v17
	s_waitcnt vmcnt(0)
	v_add_u32_e32 v15, v18, v15
	buffer_store_dword v15, v5, s[0:3], 0 offen offset:4
	buffer_store_dword v9, v5, s[0:3], 0 offen
	s_cbranch_scc1 .LBB2036_434
; %bb.435:
	buffer_load_dword v2, off, s[0:3], 0 offset:16
	buffer_load_dword v3, off, s[0:3], 0 offset:20
	buffer_load_dword v4, off, s[0:3], 0 offset:24
	buffer_load_dword v5, off, s[0:3], 0 offset:28
.LBB2036_436:
	s_or_b64 exec, exec, s[8:9]
	v_and_b32_e32 v1, 1, v1
	v_cmp_eq_u32_e64 s[8:9], 1, v1
	v_and_b32_e32 v1, 1, v14
	v_cmp_eq_u32_e64 s[10:11], 1, v1
	s_or_b64 s[8:9], s[8:9], s[10:11]
	v_cndmask_b32_e64 v1, 0, 1, s[8:9]
	buffer_store_byte v1, off, s[0:3], 0 offset:72
	buffer_load_dword v9, off, s[0:3], 0 offset:72
	s_waitcnt vmcnt(4)
	buffer_store_dword v3, off, s[0:3], 0 offset:60
	buffer_store_dword v2, off, s[0:3], 0 offset:56
	s_waitcnt vmcnt(4)
	buffer_store_dword v5, off, s[0:3], 0 offset:68
	buffer_store_dword v4, off, s[0:3], 0 offset:64
	s_waitcnt vmcnt(4)
	v_mov_b32_e32 v1, v9
.LBB2036_437:
	s_or_b64 exec, exec, s[12:13]
	v_mov_b32_dpp v15, v2 row_shr:4 row_mask:0xf bank_mask:0xf
	v_mov_b32_dpp v14, v9 row_shr:4 row_mask:0xf bank_mask:0xf
	v_cmp_lt_u32_e64 s[8:9], 3, v6
	v_mov_b32_dpp v16, v3 row_shr:4 row_mask:0xf bank_mask:0xf
	v_mov_b32_dpp v17, v4 row_shr:4 row_mask:0xf bank_mask:0xf
	;; [unrolled: 1-line block ×3, first 2 shown]
	buffer_store_dword v15, off, s[0:3], 0 offset:96
	buffer_store_dword v16, off, s[0:3], 0 offset:100
	;; [unrolled: 1-line block ×5, first 2 shown]
	s_and_saveexec_b64 s[12:13], s[8:9]
	s_cbranch_execz .LBB2036_445
; %bb.438:
	v_mov_b32_e32 v9, 0
	s_mov_b32 s10, 0
	v_cmp_eq_u16_sdwa s[14:15], v1, v9 src0_sel:BYTE_0 src1_sel:DWORD
	s_and_saveexec_b64 s[8:9], s[14:15]
	s_cbranch_execz .LBB2036_444
; %bb.439:
	v_mov_b32_e32 v2, 16
.LBB2036_440:                           ; =>This Inner Loop Header: Depth=1
	v_add_u32_e32 v3, s10, v2
	s_add_i32 s10, s10, 8
	s_cmp_lg_u32 s10, 16
	buffer_store_dword v9, v3, s[0:3], 0 offen offset:4
	buffer_store_dword v9, v3, s[0:3], 0 offen
	s_cbranch_scc1 .LBB2036_440
; %bb.441:
	s_mov_b32 s10, 0
	v_mov_b32_e32 v2, 0x60
	v_mov_b32_e32 v3, 56
	;; [unrolled: 1-line block ×3, first 2 shown]
.LBB2036_442:                           ; =>This Inner Loop Header: Depth=1
	v_add_u32_e32 v5, s10, v2
	v_add_u32_e32 v9, s10, v3
	buffer_load_dword v15, v5, s[0:3], 0 offen offset:4
	buffer_load_dword v16, v9, s[0:3], 0 offen
	buffer_load_dword v17, v5, s[0:3], 0 offen
	buffer_load_dword v18, v9, s[0:3], 0 offen offset:4
                                        ; kill: killed $vgpr5
	v_add_u32_e32 v5, s10, v4
	s_add_i32 s10, s10, 8
	s_cmp_lg_u32 s10, 16
                                        ; kill: killed $vgpr9
	s_waitcnt vmcnt(1)
	v_add_u32_e32 v9, v16, v17
	s_waitcnt vmcnt(0)
	v_add_u32_e32 v15, v18, v15
	buffer_store_dword v15, v5, s[0:3], 0 offen offset:4
	buffer_store_dword v9, v5, s[0:3], 0 offen
	s_cbranch_scc1 .LBB2036_442
; %bb.443:
	buffer_load_dword v2, off, s[0:3], 0 offset:16
	buffer_load_dword v3, off, s[0:3], 0 offset:20
	;; [unrolled: 1-line block ×4, first 2 shown]
.LBB2036_444:
	s_or_b64 exec, exec, s[8:9]
	v_and_b32_e32 v1, 1, v1
	v_cmp_eq_u32_e64 s[8:9], 1, v1
	v_and_b32_e32 v1, 1, v14
	v_cmp_eq_u32_e64 s[10:11], 1, v1
	s_or_b64 s[8:9], s[8:9], s[10:11]
	v_cndmask_b32_e64 v1, 0, 1, s[8:9]
	buffer_store_byte v1, off, s[0:3], 0 offset:72
	buffer_load_dword v9, off, s[0:3], 0 offset:72
	s_waitcnt vmcnt(4)
	buffer_store_dword v3, off, s[0:3], 0 offset:60
	buffer_store_dword v2, off, s[0:3], 0 offset:56
	s_waitcnt vmcnt(4)
	buffer_store_dword v5, off, s[0:3], 0 offset:68
	buffer_store_dword v4, off, s[0:3], 0 offset:64
	s_waitcnt vmcnt(4)
	v_mov_b32_e32 v1, v9
.LBB2036_445:
	s_or_b64 exec, exec, s[12:13]
	v_mov_b32_dpp v15, v2 row_shr:8 row_mask:0xf bank_mask:0xf
	v_mov_b32_dpp v14, v9 row_shr:8 row_mask:0xf bank_mask:0xf
	v_cmp_lt_u32_e64 s[8:9], 7, v6
	v_mov_b32_dpp v16, v3 row_shr:8 row_mask:0xf bank_mask:0xf
	v_mov_b32_dpp v17, v4 row_shr:8 row_mask:0xf bank_mask:0xf
	;; [unrolled: 1-line block ×3, first 2 shown]
	buffer_store_dword v15, off, s[0:3], 0 offset:96
	buffer_store_dword v16, off, s[0:3], 0 offset:100
	;; [unrolled: 1-line block ×5, first 2 shown]
	s_and_saveexec_b64 s[12:13], s[8:9]
	s_cbranch_execz .LBB2036_453
; %bb.446:
	v_mov_b32_e32 v6, 0
	s_mov_b32 s10, 0
	v_cmp_eq_u16_sdwa s[14:15], v1, v6 src0_sel:BYTE_0 src1_sel:DWORD
	s_and_saveexec_b64 s[8:9], s[14:15]
	s_cbranch_execz .LBB2036_452
; %bb.447:
	v_mov_b32_e32 v2, 16
.LBB2036_448:                           ; =>This Inner Loop Header: Depth=1
	v_add_u32_e32 v3, s10, v2
	s_add_i32 s10, s10, 8
	s_cmp_lg_u32 s10, 16
	buffer_store_dword v6, v3, s[0:3], 0 offen offset:4
	buffer_store_dword v6, v3, s[0:3], 0 offen
	s_cbranch_scc1 .LBB2036_448
; %bb.449:
	s_mov_b32 s10, 0
	v_mov_b32_e32 v2, 0x60
	v_mov_b32_e32 v3, 56
	;; [unrolled: 1-line block ×3, first 2 shown]
.LBB2036_450:                           ; =>This Inner Loop Header: Depth=1
	v_add_u32_e32 v5, s10, v2
	v_add_u32_e32 v6, s10, v3
	buffer_load_dword v9, v5, s[0:3], 0 offen offset:4
	buffer_load_dword v15, v6, s[0:3], 0 offen
	buffer_load_dword v16, v5, s[0:3], 0 offen
	buffer_load_dword v17, v6, s[0:3], 0 offen offset:4
                                        ; kill: killed $vgpr5
	v_add_u32_e32 v5, s10, v4
	s_add_i32 s10, s10, 8
	s_cmp_lg_u32 s10, 16
                                        ; kill: killed $vgpr6
	s_waitcnt vmcnt(1)
	v_add_u32_e32 v6, v15, v16
	s_waitcnt vmcnt(0)
	v_add_u32_e32 v9, v17, v9
	buffer_store_dword v9, v5, s[0:3], 0 offen offset:4
	buffer_store_dword v6, v5, s[0:3], 0 offen
	s_cbranch_scc1 .LBB2036_450
; %bb.451:
	buffer_load_dword v2, off, s[0:3], 0 offset:16
	buffer_load_dword v3, off, s[0:3], 0 offset:20
	;; [unrolled: 1-line block ×4, first 2 shown]
.LBB2036_452:
	s_or_b64 exec, exec, s[8:9]
	v_and_b32_e32 v1, 1, v1
	v_cmp_eq_u32_e64 s[8:9], 1, v1
	v_and_b32_e32 v1, 1, v14
	v_cmp_eq_u32_e64 s[10:11], 1, v1
	s_or_b64 s[8:9], s[8:9], s[10:11]
	v_cndmask_b32_e64 v1, 0, 1, s[8:9]
	buffer_store_byte v1, off, s[0:3], 0 offset:72
	buffer_load_dword v9, off, s[0:3], 0 offset:72
	s_waitcnt vmcnt(4)
	buffer_store_dword v3, off, s[0:3], 0 offset:60
	buffer_store_dword v2, off, s[0:3], 0 offset:56
	s_waitcnt vmcnt(4)
	buffer_store_dword v5, off, s[0:3], 0 offset:68
	buffer_store_dword v4, off, s[0:3], 0 offset:64
	s_waitcnt vmcnt(4)
	v_mov_b32_e32 v1, v9
.LBB2036_453:
	s_or_b64 exec, exec, s[12:13]
	v_mov_b32_dpp v14, v2 row_bcast:15 row_mask:0xf bank_mask:0xf
	v_mov_b32_dpp v15, v3 row_bcast:15 row_mask:0xf bank_mask:0xf
	;; [unrolled: 1-line block ×5, first 2 shown]
	buffer_store_dword v14, off, s[0:3], 0 offset:96
	buffer_store_dword v15, off, s[0:3], 0 offset:100
	buffer_store_dword v16, off, s[0:3], 0 offset:104
	buffer_store_dword v17, off, s[0:3], 0 offset:108
	buffer_store_dword v6, off, s[0:3], 0 offset:112
	v_and_b32_e32 v14, 16, v8
	v_cmp_ne_u32_e64 s[8:9], 0, v14
	s_and_saveexec_b64 s[12:13], s[8:9]
	s_cbranch_execz .LBB2036_461
; %bb.454:
	v_mov_b32_e32 v9, 0
	s_mov_b32 s10, 0
	v_cmp_eq_u16_sdwa s[14:15], v1, v9 src0_sel:BYTE_0 src1_sel:DWORD
	s_and_saveexec_b64 s[8:9], s[14:15]
	s_cbranch_execz .LBB2036_460
; %bb.455:
	v_mov_b32_e32 v2, 16
.LBB2036_456:                           ; =>This Inner Loop Header: Depth=1
	v_add_u32_e32 v3, s10, v2
	s_add_i32 s10, s10, 8
	s_cmp_lg_u32 s10, 16
	buffer_store_dword v9, v3, s[0:3], 0 offen offset:4
	buffer_store_dword v9, v3, s[0:3], 0 offen
	s_cbranch_scc1 .LBB2036_456
; %bb.457:
	s_mov_b32 s10, 0
	v_mov_b32_e32 v2, 0x60
	v_mov_b32_e32 v3, 56
	;; [unrolled: 1-line block ×3, first 2 shown]
.LBB2036_458:                           ; =>This Inner Loop Header: Depth=1
	v_add_u32_e32 v5, s10, v2
	v_add_u32_e32 v9, s10, v3
	buffer_load_dword v14, v5, s[0:3], 0 offen offset:4
	buffer_load_dword v15, v9, s[0:3], 0 offen
	buffer_load_dword v16, v5, s[0:3], 0 offen
	buffer_load_dword v17, v9, s[0:3], 0 offen offset:4
                                        ; kill: killed $vgpr5
	v_add_u32_e32 v5, s10, v4
	s_add_i32 s10, s10, 8
	s_cmp_lg_u32 s10, 16
                                        ; kill: killed $vgpr9
	s_waitcnt vmcnt(1)
	v_add_u32_e32 v9, v15, v16
	s_waitcnt vmcnt(0)
	v_add_u32_e32 v14, v17, v14
	buffer_store_dword v14, v5, s[0:3], 0 offen offset:4
	buffer_store_dword v9, v5, s[0:3], 0 offen
	s_cbranch_scc1 .LBB2036_458
; %bb.459:
	buffer_load_dword v2, off, s[0:3], 0 offset:16
	buffer_load_dword v3, off, s[0:3], 0 offset:20
	;; [unrolled: 1-line block ×4, first 2 shown]
.LBB2036_460:
	s_or_b64 exec, exec, s[8:9]
	v_and_b32_e32 v1, 1, v1
	v_cmp_eq_u32_e64 s[8:9], 1, v1
	v_and_b32_e32 v1, 1, v6
	v_cmp_eq_u32_e64 s[10:11], 1, v1
	s_or_b64 s[8:9], s[8:9], s[10:11]
	v_cndmask_b32_e64 v1, 0, 1, s[8:9]
	buffer_store_byte v1, off, s[0:3], 0 offset:72
	buffer_load_dword v9, off, s[0:3], 0 offset:72
	s_waitcnt vmcnt(4)
	buffer_store_dword v3, off, s[0:3], 0 offset:60
	buffer_store_dword v2, off, s[0:3], 0 offset:56
	s_waitcnt vmcnt(4)
	buffer_store_dword v5, off, s[0:3], 0 offset:68
	buffer_store_dword v4, off, s[0:3], 0 offset:64
	s_waitcnt vmcnt(4)
	v_mov_b32_e32 v1, v9
.LBB2036_461:
	s_or_b64 exec, exec, s[12:13]
	v_mov_b32_dpp v14, v2 row_bcast:31 row_mask:0xf bank_mask:0xf
	v_mov_b32_dpp v6, v9 row_bcast:31 row_mask:0xf bank_mask:0xf
	v_cmp_lt_u32_e64 s[8:9], 31, v8
	v_mov_b32_dpp v15, v3 row_bcast:31 row_mask:0xf bank_mask:0xf
	v_mov_b32_dpp v16, v4 row_bcast:31 row_mask:0xf bank_mask:0xf
	;; [unrolled: 1-line block ×3, first 2 shown]
	buffer_store_dword v14, off, s[0:3], 0 offset:96
	buffer_store_dword v15, off, s[0:3], 0 offset:100
	;; [unrolled: 1-line block ×5, first 2 shown]
	s_and_saveexec_b64 s[12:13], s[8:9]
	s_cbranch_execz .LBB2036_469
; %bb.462:
	v_mov_b32_e32 v9, 0
	s_mov_b32 s10, 0
	v_cmp_eq_u16_sdwa s[14:15], v1, v9 src0_sel:BYTE_0 src1_sel:DWORD
	s_and_saveexec_b64 s[8:9], s[14:15]
	s_cbranch_execz .LBB2036_468
; %bb.463:
	v_mov_b32_e32 v2, 16
.LBB2036_464:                           ; =>This Inner Loop Header: Depth=1
	v_add_u32_e32 v3, s10, v2
	s_add_i32 s10, s10, 8
	s_cmp_lg_u32 s10, 16
	buffer_store_dword v9, v3, s[0:3], 0 offen offset:4
	buffer_store_dword v9, v3, s[0:3], 0 offen
	s_cbranch_scc1 .LBB2036_464
; %bb.465:
	s_mov_b32 s10, 0
	v_mov_b32_e32 v2, 0x60
	v_mov_b32_e32 v3, 56
	;; [unrolled: 1-line block ×3, first 2 shown]
.LBB2036_466:                           ; =>This Inner Loop Header: Depth=1
	v_add_u32_e32 v5, s10, v2
	v_add_u32_e32 v9, s10, v3
	buffer_load_dword v14, v5, s[0:3], 0 offen offset:4
	buffer_load_dword v15, v9, s[0:3], 0 offen
	buffer_load_dword v16, v5, s[0:3], 0 offen
	buffer_load_dword v17, v9, s[0:3], 0 offen offset:4
                                        ; kill: killed $vgpr5
	v_add_u32_e32 v5, s10, v4
	s_add_i32 s10, s10, 8
	s_cmp_lg_u32 s10, 16
                                        ; kill: killed $vgpr9
	s_waitcnt vmcnt(1)
	v_add_u32_e32 v9, v15, v16
	s_waitcnt vmcnt(0)
	v_add_u32_e32 v14, v17, v14
	buffer_store_dword v14, v5, s[0:3], 0 offen offset:4
	buffer_store_dword v9, v5, s[0:3], 0 offen
	s_cbranch_scc1 .LBB2036_466
; %bb.467:
	buffer_load_dword v2, off, s[0:3], 0 offset:16
	buffer_load_dword v3, off, s[0:3], 0 offset:20
	buffer_load_dword v4, off, s[0:3], 0 offset:24
	buffer_load_dword v5, off, s[0:3], 0 offset:28
.LBB2036_468:
	s_or_b64 exec, exec, s[8:9]
	v_and_b32_e32 v1, 1, v1
	v_cmp_eq_u32_e64 s[8:9], 1, v1
	v_and_b32_e32 v1, 1, v6
	v_cmp_eq_u32_e64 s[10:11], 1, v1
	s_or_b64 s[8:9], s[8:9], s[10:11]
	v_cndmask_b32_e64 v1, 0, 1, s[8:9]
	s_waitcnt vmcnt(2)
	buffer_store_dword v3, off, s[0:3], 0 offset:60
	buffer_store_dword v2, off, s[0:3], 0 offset:56
	s_waitcnt vmcnt(2)
	buffer_store_dword v5, off, s[0:3], 0 offset:68
	buffer_store_dword v4, off, s[0:3], 0 offset:64
	buffer_store_byte v1, off, s[0:3], 0 offset:72
.LBB2036_469:
	s_or_b64 exec, exec, s[12:13]
	v_or_b32_e32 v9, 63, v0
	v_lshrrev_b32_e32 v6, 6, v0
	v_cmp_eq_u32_e64 s[8:9], v9, v0
	s_and_saveexec_b64 s[10:11], s[8:9]
	s_cbranch_execz .LBB2036_471
; %bb.470:
	v_mul_u32_u24_e32 v9, 20, v6
	ds_write2_b32 v9, v2, v3 offset1:1
	ds_write2_b32 v9, v4, v5 offset0:2 offset1:3
	ds_write_b8 v9, v1 offset:16
.LBB2036_471:
	s_or_b64 exec, exec, s[10:11]
	v_cmp_gt_u32_e64 s[8:9], 4, v0
	s_waitcnt lgkmcnt(0)
	s_barrier
	s_and_saveexec_b64 s[12:13], s[8:9]
	s_cbranch_execz .LBB2036_489
; %bb.472:
	v_mul_u32_u24_e32 v1, 20, v0
	ds_read_b32 v9, v1 offset:16
	ds_read2_b32 v[2:3], v1 offset0:2 offset1:3
	ds_read2_b32 v[4:5], v1 offset1:1
	v_and_b32_e32 v14, 3, v8
	v_cmp_ne_u32_e64 s[8:9], 0, v14
	s_waitcnt lgkmcnt(2)
	v_mov_b32_dpp v15, v9 row_shr:1 row_mask:0xf bank_mask:0xf
	s_waitcnt lgkmcnt(1)
	v_mov_b32_dpp v18, v2 row_shr:1 row_mask:0xf bank_mask:0xf
	;; [unrolled: 2-line block ×3, first 2 shown]
	buffer_store_dword v9, off, s[0:3], 0 offset:32
	buffer_store_dword v3, off, s[0:3], 0 offset:28
	;; [unrolled: 1-line block ×5, first 2 shown]
	v_mov_b32_dpp v17, v5 row_shr:1 row_mask:0xf bank_mask:0xf
	v_mov_b32_dpp v19, v3 row_shr:1 row_mask:0xf bank_mask:0xf
	buffer_store_dword v16, off, s[0:3], 0 offset:96
	buffer_store_dword v17, off, s[0:3], 0 offset:100
	;; [unrolled: 1-line block ×5, first 2 shown]
	s_and_saveexec_b64 s[10:11], s[8:9]
	s_cbranch_execz .LBB2036_480
; %bb.473:
	v_mov_b32_e32 v16, 0
	v_cmp_eq_u16_sdwa s[14:15], v9, v16 src0_sel:BYTE_0 src1_sel:DWORD
	s_and_saveexec_b64 s[8:9], s[14:15]
	s_cbranch_execz .LBB2036_479
; %bb.474:
	s_mov_b32 s14, 0
	v_mov_b32_e32 v2, 36
.LBB2036_475:                           ; =>This Inner Loop Header: Depth=1
	v_add_u32_e32 v3, s14, v2
	s_add_i32 s14, s14, 8
	s_cmp_lg_u32 s14, 16
	buffer_store_dword v16, v3, s[0:3], 0 offen offset:4
	buffer_store_dword v16, v3, s[0:3], 0 offen
	s_cbranch_scc1 .LBB2036_475
; %bb.476:
	s_mov_b32 s14, 0
	v_mov_b32_e32 v2, 0x60
	v_mov_b32_e32 v3, 16
	;; [unrolled: 1-line block ×3, first 2 shown]
.LBB2036_477:                           ; =>This Inner Loop Header: Depth=1
	v_add_u32_e32 v5, s14, v2
	v_add_u32_e32 v16, s14, v3
	buffer_load_dword v17, v5, s[0:3], 0 offen offset:4
	buffer_load_dword v18, v16, s[0:3], 0 offen
	buffer_load_dword v19, v5, s[0:3], 0 offen
	buffer_load_dword v20, v16, s[0:3], 0 offen offset:4
                                        ; kill: killed $vgpr5
	v_add_u32_e32 v5, s14, v4
	s_add_i32 s14, s14, 8
	s_cmp_lg_u32 s14, 16
                                        ; kill: killed $vgpr16
	s_waitcnt vmcnt(1)
	v_add_u32_e32 v16, v18, v19
	s_waitcnt vmcnt(0)
	v_add_u32_e32 v17, v20, v17
	buffer_store_dword v17, v5, s[0:3], 0 offen offset:4
	buffer_store_dword v16, v5, s[0:3], 0 offen
	s_cbranch_scc1 .LBB2036_477
; %bb.478:
	buffer_load_dword v4, off, s[0:3], 0 offset:36
	buffer_load_dword v5, off, s[0:3], 0 offset:40
	;; [unrolled: 1-line block ×4, first 2 shown]
.LBB2036_479:
	s_or_b64 exec, exec, s[8:9]
	v_or_b32_e32 v9, v15, v9
	v_and_b32_e32 v9, 1, v9
	buffer_store_byte v9, off, s[0:3], 0 offset:32
	buffer_load_dword v9, off, s[0:3], 0 offset:32
	s_waitcnt vmcnt(4)
	buffer_store_dword v5, off, s[0:3], 0 offset:20
	buffer_store_dword v4, off, s[0:3], 0 offset:16
	s_waitcnt vmcnt(4)
	buffer_store_dword v3, off, s[0:3], 0 offset:28
	buffer_store_dword v2, off, s[0:3], 0 offset:24
.LBB2036_480:
	s_or_b64 exec, exec, s[10:11]
	v_mov_b32_dpp v16, v4 row_shr:2 row_mask:0xf bank_mask:0xf
	s_waitcnt vmcnt(4)
	v_mov_b32_dpp v15, v9 row_shr:2 row_mask:0xf bank_mask:0xf
	v_cmp_lt_u32_e64 s[8:9], 1, v14
	v_mov_b32_dpp v17, v5 row_shr:2 row_mask:0xf bank_mask:0xf
	v_mov_b32_dpp v18, v2 row_shr:2 row_mask:0xf bank_mask:0xf
	;; [unrolled: 1-line block ×3, first 2 shown]
	buffer_store_dword v16, off, s[0:3], 0 offset:96
	buffer_store_dword v17, off, s[0:3], 0 offset:100
	;; [unrolled: 1-line block ×5, first 2 shown]
	s_and_saveexec_b64 s[14:15], s[8:9]
	s_cbranch_execz .LBB2036_488
; %bb.481:
	v_mov_b32_e32 v14, 0
	s_mov_b32 s10, 0
	v_cmp_eq_u16_sdwa s[16:17], v9, v14 src0_sel:BYTE_0 src1_sel:DWORD
	s_and_saveexec_b64 s[8:9], s[16:17]
	s_cbranch_execz .LBB2036_487
; %bb.482:
	v_mov_b32_e32 v2, 36
.LBB2036_483:                           ; =>This Inner Loop Header: Depth=1
	v_add_u32_e32 v3, s10, v2
	s_add_i32 s10, s10, 8
	s_cmp_lg_u32 s10, 16
	buffer_store_dword v14, v3, s[0:3], 0 offen offset:4
	buffer_store_dword v14, v3, s[0:3], 0 offen
	s_cbranch_scc1 .LBB2036_483
; %bb.484:
	s_mov_b32 s10, 0
	v_mov_b32_e32 v2, 0x60
	v_mov_b32_e32 v3, 16
	;; [unrolled: 1-line block ×3, first 2 shown]
.LBB2036_485:                           ; =>This Inner Loop Header: Depth=1
	v_add_u32_e32 v5, s10, v2
	v_add_u32_e32 v14, s10, v3
	buffer_load_dword v16, v5, s[0:3], 0 offen offset:4
	buffer_load_dword v17, v14, s[0:3], 0 offen
	buffer_load_dword v18, v5, s[0:3], 0 offen
	buffer_load_dword v19, v14, s[0:3], 0 offen offset:4
                                        ; kill: killed $vgpr5
	v_add_u32_e32 v5, s10, v4
	s_add_i32 s10, s10, 8
	s_cmp_lg_u32 s10, 16
                                        ; kill: killed $vgpr14
	s_waitcnt vmcnt(1)
	v_add_u32_e32 v14, v17, v18
	s_waitcnt vmcnt(0)
	v_add_u32_e32 v16, v19, v16
	buffer_store_dword v16, v5, s[0:3], 0 offen offset:4
	buffer_store_dword v14, v5, s[0:3], 0 offen
	s_cbranch_scc1 .LBB2036_485
; %bb.486:
	buffer_load_dword v4, off, s[0:3], 0 offset:36
	buffer_load_dword v5, off, s[0:3], 0 offset:40
	;; [unrolled: 1-line block ×4, first 2 shown]
.LBB2036_487:
	s_or_b64 exec, exec, s[8:9]
	v_and_b32_e32 v9, 1, v9
	v_cmp_eq_u32_e64 s[8:9], 1, v9
	v_and_b32_e32 v9, 1, v15
	v_cmp_eq_u32_e64 s[10:11], 1, v9
	s_or_b64 s[8:9], s[8:9], s[10:11]
	v_cndmask_b32_e64 v9, 0, 1, s[8:9]
	s_waitcnt vmcnt(2)
	buffer_store_dword v5, off, s[0:3], 0 offset:20
	buffer_store_dword v4, off, s[0:3], 0 offset:16
	s_waitcnt vmcnt(2)
	buffer_store_dword v3, off, s[0:3], 0 offset:28
	buffer_store_dword v2, off, s[0:3], 0 offset:24
.LBB2036_488:
	s_or_b64 exec, exec, s[14:15]
	buffer_load_dword v2, off, s[0:3], 0 offset:24
	buffer_load_dword v3, off, s[0:3], 0 offset:28
	;; [unrolled: 1-line block ×4, first 2 shown]
	s_waitcnt vmcnt(2)
	ds_write2_b32 v1, v2, v3 offset0:2 offset1:3
	s_waitcnt vmcnt(0)
	ds_write2_b32 v1, v4, v5 offset1:1
	ds_write_b8 v1, v9 offset:16
.LBB2036_489:
	s_or_b64 exec, exec, s[12:13]
	v_mov_b32_e32 v1, 0
	s_mov_b32 s8, 0
	v_mov_b32_e32 v2, 0x60
	s_waitcnt lgkmcnt(0)
	s_barrier
	buffer_store_dword v1, off, s[0:3], 0 offset:108
	buffer_store_dword v1, off, s[0:3], 0 offset:104
	;; [unrolled: 1-line block ×5, first 2 shown]
.LBB2036_490:                           ; =>This Inner Loop Header: Depth=1
	v_add_u32_e32 v3, s8, v2
	s_add_i32 s8, s8, 8
	s_cmp_lg_u32 s8, 16
	buffer_store_dword v1, v3, s[0:3], 0 offen offset:4
	buffer_store_dword v1, v3, s[0:3], 0 offen
	s_cbranch_scc1 .LBB2036_490
; %bb.491:
	v_cmp_lt_u32_e64 s[8:9], 63, v0
                                        ; implicit-def: $vgpr2_vgpr3
                                        ; implicit-def: $vgpr4_vgpr5
                                        ; implicit-def: $vgpr9
	s_and_saveexec_b64 s[10:11], s[8:9]
	s_xor_b64 s[10:11], exec, s[10:11]
	s_cbranch_execz .LBB2036_501
; %bb.492:
	buffer_load_ubyte v1, off, s[0:3], 0 offset:72
	v_not_b32_e32 v2, 19
	v_mad_u32_u24 v4, v6, 20, v2
	ds_read2_b32 v[2:3], v4 offset0:2 offset1:3
	ds_read_u8 v9, v4 offset:16
	ds_read2_b32 v[4:5], v4 offset1:1
	s_waitcnt lgkmcnt(2)
	buffer_store_dword v3, off, s[0:3], 0 offset:108
	buffer_store_dword v2, off, s[0:3], 0 offset:104
	s_waitcnt lgkmcnt(0)
	buffer_store_dword v5, off, s[0:3], 0 offset:100
	buffer_store_dword v4, off, s[0:3], 0 offset:96
                                        ; implicit-def: $vgpr2_vgpr3
                                        ; implicit-def: $vgpr4_vgpr5
	s_waitcnt vmcnt(4)
	v_cmp_ne_u16_e64 s[8:9], 0, v1
	s_and_saveexec_b64 s[12:13], s[8:9]
	s_xor_b64 s[8:9], exec, s[12:13]
	s_cbranch_execz .LBB2036_494
; %bb.493:
	buffer_load_dword v2, off, s[0:3], 0 offset:56
	buffer_load_dword v3, off, s[0:3], 0 offset:60
	buffer_load_dword v4, off, s[0:3], 0 offset:64
	buffer_load_dword v5, off, s[0:3], 0 offset:68
.LBB2036_494:
	s_andn2_saveexec_b64 s[8:9], s[8:9]
	s_cbranch_execz .LBB2036_500
; %bb.495:
	s_mov_b32 s12, 0
	s_waitcnt vmcnt(3)
	v_mov_b32_e32 v2, 16
	s_waitcnt vmcnt(2)
	v_mov_b32_e32 v3, 0
	s_waitcnt vmcnt(0)
.LBB2036_496:                           ; =>This Inner Loop Header: Depth=1
	v_add_u32_e32 v4, s12, v2
	s_add_i32 s12, s12, 8
	s_cmp_lg_u32 s12, 16
	buffer_store_dword v3, v4, s[0:3], 0 offen offset:4
	buffer_store_dword v3, v4, s[0:3], 0 offen
	s_cbranch_scc1 .LBB2036_496
; %bb.497:
	s_mov_b32 s12, 0
	v_mov_b32_e32 v2, 0x60
	v_mov_b32_e32 v3, 56
	;; [unrolled: 1-line block ×3, first 2 shown]
.LBB2036_498:                           ; =>This Inner Loop Header: Depth=1
	v_add_u32_e32 v5, s12, v2
	v_add_u32_e32 v6, s12, v3
	buffer_load_dword v14, v5, s[0:3], 0 offen offset:4
	buffer_load_dword v15, v6, s[0:3], 0 offen
	buffer_load_dword v16, v5, s[0:3], 0 offen
	buffer_load_dword v17, v6, s[0:3], 0 offen offset:4
                                        ; kill: killed $vgpr5
	v_add_u32_e32 v5, s12, v4
	s_add_i32 s12, s12, 8
	s_cmp_lg_u32 s12, 16
                                        ; kill: killed $vgpr6
	s_waitcnt vmcnt(1)
	v_add_u32_e32 v6, v15, v16
	s_waitcnt vmcnt(0)
	v_add_u32_e32 v14, v17, v14
	buffer_store_dword v14, v5, s[0:3], 0 offen offset:4
	buffer_store_dword v6, v5, s[0:3], 0 offen
	s_cbranch_scc1 .LBB2036_498
; %bb.499:
	buffer_load_dword v2, off, s[0:3], 0 offset:16
	buffer_load_dword v3, off, s[0:3], 0 offset:20
	;; [unrolled: 1-line block ×4, first 2 shown]
.LBB2036_500:
	s_or_b64 exec, exec, s[8:9]
	v_or_b32_e32 v1, v1, v9
	v_and_b32_e32 v1, 1, v1
	buffer_store_byte v1, off, s[0:3], 0 offset:72
.LBB2036_501:
	s_andn2_saveexec_b64 s[8:9], s[10:11]
	s_cbranch_execz .LBB2036_503
; %bb.502:
	buffer_load_dword v2, off, s[0:3], 0 offset:56
	buffer_load_dword v3, off, s[0:3], 0 offset:60
	;; [unrolled: 1-line block ×4, first 2 shown]
	v_mov_b32_e32 v9, 0
.LBB2036_503:
	s_or_b64 exec, exec, s[8:9]
	buffer_load_dword v15, off, s[0:3], 0 offset:72
	v_add_u32_e32 v1, -1, v8
	v_and_b32_e32 v6, 64, v8
	v_cmp_lt_i32_e64 s[8:9], v1, v6
	v_cndmask_b32_e64 v1, v1, v8, s[8:9]
	v_lshlrev_b32_e32 v14, 2, v1
	s_waitcnt vmcnt(4)
	ds_bpermute_b32 v6, v14, v2
	s_waitcnt vmcnt(3)
	ds_bpermute_b32 v3, v14, v3
	;; [unrolled: 2-line block ×4, first 2 shown]
	v_cmp_eq_u32_e64 s[8:9], 0, v8
	s_waitcnt vmcnt(0)
	ds_bpermute_b32 v14, v14, v15
	s_waitcnt lgkmcnt(4)
	buffer_store_dword v6, off, s[0:3], 0 offset:56
	s_waitcnt lgkmcnt(3)
	buffer_store_dword v3, off, s[0:3], 0 offset:60
	;; [unrolled: 2-line block ×4, first 2 shown]
	s_waitcnt lgkmcnt(0)
	buffer_store_byte v14, off, s[0:3], 0 offset:72
	s_and_saveexec_b64 s[10:11], s[8:9]
	s_cbranch_execz .LBB2036_505
; %bb.504:
	buffer_load_dword v1, off, s[0:3], 0 offset:108
	buffer_load_dword v2, off, s[0:3], 0 offset:104
	;; [unrolled: 1-line block ×4, first 2 shown]
	v_mov_b32_e32 v14, v9
	buffer_store_byte v9, off, s[0:3], 0 offset:72
	s_waitcnt vmcnt(4)
	buffer_store_dword v1, off, s[0:3], 0 offset:68
	s_waitcnt vmcnt(4)
	buffer_store_dword v2, off, s[0:3], 0 offset:64
	;; [unrolled: 2-line block ×4, first 2 shown]
.LBB2036_505:
	s_or_b64 exec, exec, s[10:11]
	buffer_load_dword v4, off, s[0:3], 0 offset:220
	buffer_load_dword v5, off, s[0:3], 0 offset:216
	;; [unrolled: 1-line block ×5, first 2 shown]
	s_mov_b32 s8, 0x3020104
	buffer_store_dword v3, off, s[0:3], 0 offset:20
	buffer_store_dword v6, off, s[0:3], 0 offset:16
	;; [unrolled: 1-line block ×4, first 2 shown]
	v_perm_b32 v1, v14, v15, s8
                                        ; implicit-def: $vgpr2_vgpr3
	buffer_store_dword v1, off, s[0:3], 0 offset:32
	s_waitcnt vmcnt(9)
	buffer_store_dword v4, off, s[0:3], 0 offset:48
	s_waitcnt vmcnt(9)
	;; [unrolled: 2-line block ×5, first 2 shown]
	buffer_store_dword v8, off, s[0:3], 0 offset:52
                                        ; implicit-def: $vgpr4_vgpr5
	s_and_saveexec_b64 s[8:9], s[6:7]
	s_xor_b64 s[6:7], exec, s[8:9]
	s_cbranch_execz .LBB2036_515
; %bb.506:
	v_mov_b32_e32 v1, 0
	v_cmp_ne_u16_sdwa s[8:9], v8, v1 src0_sel:BYTE_0 src1_sel:DWORD
                                        ; implicit-def: $vgpr4_vgpr5
                                        ; implicit-def: $vgpr2_vgpr3
	s_and_saveexec_b64 s[10:11], s[8:9]
	s_xor_b64 s[8:9], exec, s[10:11]
	s_cbranch_execz .LBB2036_508
; %bb.507:
	buffer_load_dword v2, off, s[0:3], 0 offset:36
	buffer_load_dword v3, off, s[0:3], 0 offset:40
	;; [unrolled: 1-line block ×4, first 2 shown]
.LBB2036_508:
	s_andn2_saveexec_b64 s[8:9], s[8:9]
	s_cbranch_execz .LBB2036_514
; %bb.509:
	s_mov_b32 s10, 0
	v_mov_b32_e32 v1, 0x60
	s_waitcnt vmcnt(3)
	v_mov_b32_e32 v2, 0
	s_waitcnt vmcnt(0)
.LBB2036_510:                           ; =>This Inner Loop Header: Depth=1
	v_add_u32_e32 v3, s10, v1
	s_add_i32 s10, s10, 8
	s_cmp_lg_u32 s10, 16
	buffer_store_dword v2, v3, s[0:3], 0 offen offset:4
	buffer_store_dword v2, v3, s[0:3], 0 offen
	s_cbranch_scc1 .LBB2036_510
; %bb.511:
	s_mov_b32 s10, 0
	v_mov_b32_e32 v1, 16
	v_mov_b32_e32 v2, 36
	;; [unrolled: 1-line block ×3, first 2 shown]
.LBB2036_512:                           ; =>This Inner Loop Header: Depth=1
	v_add_u32_e32 v4, s10, v1
	v_add_u32_e32 v5, s10, v2
	buffer_load_dword v6, v4, s[0:3], 0 offen offset:4
	buffer_load_dword v9, v5, s[0:3], 0 offen
	buffer_load_dword v15, v4, s[0:3], 0 offen
	buffer_load_dword v16, v5, s[0:3], 0 offen offset:4
                                        ; kill: killed $vgpr4
	v_add_u32_e32 v4, s10, v3
	s_add_i32 s10, s10, 8
	s_cmp_lg_u32 s10, 16
                                        ; kill: killed $vgpr5
	s_waitcnt vmcnt(1)
	v_add_u32_e32 v5, v9, v15
	s_waitcnt vmcnt(0)
	v_add_u32_e32 v6, v16, v6
	buffer_store_dword v6, v4, s[0:3], 0 offen offset:4
	buffer_store_dword v5, v4, s[0:3], 0 offen
	s_cbranch_scc1 .LBB2036_512
; %bb.513:
	buffer_load_dword v2, off, s[0:3], 0 offset:96
	buffer_load_dword v3, off, s[0:3], 0 offset:100
	buffer_load_dword v4, off, s[0:3], 0 offset:104
	buffer_load_dword v5, off, s[0:3], 0 offset:108
.LBB2036_514:
	s_or_b64 exec, exec, s[8:9]
	v_or_b32_e32 v1, v8, v14
	v_and_b32_e32 v8, 1, v1
	s_waitcnt vmcnt(2)
	buffer_store_dword v3, off, s[0:3], 0 offset:40
	buffer_store_dword v2, off, s[0:3], 0 offset:36
	s_waitcnt vmcnt(2)
	buffer_store_dword v5, off, s[0:3], 0 offset:48
	buffer_store_dword v4, off, s[0:3], 0 offset:44
	;;#ASMSTART
	;;#ASMEND
.LBB2036_515:
	s_andn2_saveexec_b64 s[6:7], s[6:7]
	s_cbranch_execz .LBB2036_517
; %bb.516:
	buffer_load_dword v2, off, s[0:3], 0 offset:36
	buffer_load_dword v3, off, s[0:3], 0 offset:40
	;; [unrolled: 1-line block ×4, first 2 shown]
.LBB2036_517:
	s_or_b64 exec, exec, s[6:7]
	buffer_load_dword v6, off, s[0:3], 0 offset:48
	buffer_load_dword v9, off, s[0:3], 0 offset:44
	;; [unrolled: 1-line block ×4, first 2 shown]
	buffer_load_ushort v16, off, s[0:3], 0 offset:53
	buffer_load_ubyte v17, off, s[0:3], 0 offset:55
	buffer_load_ubyte v1, off, s[0:3], 0 offset:244
	s_nop 0
	buffer_store_byte v8, off, s[0:3], 0 offset:224
	s_waitcnt vmcnt(10)
	buffer_store_dword v3, off, s[0:3], 0 offset:100
	buffer_store_dword v2, off, s[0:3], 0 offset:96
	s_waitcnt vmcnt(10)
	buffer_store_dword v5, off, s[0:3], 0 offset:108
	buffer_store_dword v4, off, s[0:3], 0 offset:104
	s_waitcnt vmcnt(11)
	buffer_store_dword v6, off, s[0:3], 0 offset:220
	s_waitcnt vmcnt(11)
	;; [unrolled: 2-line block ×5, first 2 shown]
	v_lshrrev_b32_e32 v2, 8, v16
	v_lshlrev_b16_e32 v3, 8, v16
	s_waitcnt vmcnt(10)
	v_lshlrev_b16_e32 v4, 8, v17
	v_or_b32_sdwa v3, v8, v3 dst_sel:DWORD dst_unused:UNUSED_PAD src0_sel:BYTE_0 src1_sel:DWORD
	v_or_b32_sdwa v2, v2, v4 dst_sel:WORD_1 dst_unused:UNUSED_PAD src0_sel:BYTE_0 src1_sel:DWORD
	v_or_b32_sdwa v2, v3, v2 dst_sel:DWORD dst_unused:UNUSED_PAD src0_sel:WORD_0 src1_sel:DWORD
	s_waitcnt vmcnt(9)
	v_cmp_ne_u16_e64 s[6:7], 0, v1
	buffer_store_dword v2, off, s[0:3], 0 offset:112
                                        ; implicit-def: $vgpr4_vgpr5
                                        ; implicit-def: $vgpr2_vgpr3
	s_and_saveexec_b64 s[8:9], s[6:7]
	s_xor_b64 s[6:7], exec, s[8:9]
	s_cbranch_execz .LBB2036_519
; %bb.518:
	buffer_load_dword v2, off, s[0:3], 0 offset:228
	buffer_load_dword v3, off, s[0:3], 0 offset:232
	;; [unrolled: 1-line block ×4, first 2 shown]
.LBB2036_519:
	s_andn2_saveexec_b64 s[6:7], s[6:7]
	s_cbranch_execz .LBB2036_525
; %bb.520:
	s_mov_b32 s8, 0
	s_waitcnt vmcnt(3)
	v_mov_b32_e32 v2, 0xb0
	s_waitcnt vmcnt(2)
	v_mov_b32_e32 v3, 0
	s_waitcnt vmcnt(0)
.LBB2036_521:                           ; =>This Inner Loop Header: Depth=1
	v_add_u32_e32 v4, s8, v2
	s_add_i32 s8, s8, 8
	s_cmp_lg_u32 s8, 16
	buffer_store_dword v3, v4, s[0:3], 0 offen offset:4
	buffer_store_dword v3, v4, s[0:3], 0 offen
	s_cbranch_scc1 .LBB2036_521
; %bb.522:
	s_mov_b32 s8, 0
	v_mov_b32_e32 v2, 0x60
	v_mov_b32_e32 v3, 0xd0
	;; [unrolled: 1-line block ×3, first 2 shown]
.LBB2036_523:                           ; =>This Inner Loop Header: Depth=1
	v_add_u32_e32 v5, s8, v2
	v_add_u32_e32 v6, s8, v3
	buffer_load_dword v9, v5, s[0:3], 0 offen offset:4
	buffer_load_dword v14, v6, s[0:3], 0 offen offset:20
	buffer_load_dword v15, v5, s[0:3], 0 offen
	buffer_load_dword v16, v6, s[0:3], 0 offen offset:24
                                        ; kill: killed $vgpr5
	v_add_u32_e32 v5, s8, v4
	s_add_i32 s8, s8, 8
	s_cmp_lg_u32 s8, 16
                                        ; kill: killed $vgpr6
	s_waitcnt vmcnt(1)
	v_add_u32_e32 v6, v14, v15
	s_waitcnt vmcnt(0)
	v_add_u32_e32 v9, v16, v9
	buffer_store_dword v9, v5, s[0:3], 0 offen offset:4
	buffer_store_dword v6, v5, s[0:3], 0 offen
	s_cbranch_scc1 .LBB2036_523
; %bb.524:
	buffer_load_dword v2, off, s[0:3], 0 offset:176
	buffer_load_dword v3, off, s[0:3], 0 offset:180
	;; [unrolled: 1-line block ×4, first 2 shown]
.LBB2036_525:
	s_or_b64 exec, exec, s[6:7]
	buffer_load_ubyte v6, off, s[0:3], 0 offset:264
	v_or_b32_e32 v1, v1, v8
	v_and_b32_e32 v1, 1, v1
	v_cmp_eq_u32_e64 s[6:7], 1, v1
	s_waitcnt vmcnt(3)
	buffer_store_dword v3, off, s[0:3], 0 offset:100
	buffer_store_dword v2, off, s[0:3], 0 offset:96
	s_waitcnt vmcnt(3)
	buffer_store_dword v5, off, s[0:3], 0 offset:108
	buffer_store_dword v4, off, s[0:3], 0 offset:104
	buffer_store_dword v5, v7, s[0:3], 0 offen offset:12
	buffer_store_dword v4, v7, s[0:3], 0 offen offset:8
	;; [unrolled: 1-line block ×3, first 2 shown]
	buffer_store_dword v2, v7, s[0:3], 0 offen
	buffer_store_byte v1, off, s[0:3], 0 offset:244
                                        ; implicit-def: $vgpr4_vgpr5
                                        ; implicit-def: $vgpr2_vgpr3
	s_waitcnt vmcnt(9)
	v_cmp_ne_u16_e64 s[8:9], 0, v6
	s_and_saveexec_b64 s[10:11], s[8:9]
	s_xor_b64 s[8:9], exec, s[10:11]
	s_cbranch_execz .LBB2036_527
; %bb.526:
	buffer_load_dword v2, off, s[0:3], 0 offset:248
	buffer_load_dword v3, off, s[0:3], 0 offset:252
	;; [unrolled: 1-line block ×4, first 2 shown]
.LBB2036_527:
	s_andn2_saveexec_b64 s[8:9], s[8:9]
	s_cbranch_execz .LBB2036_533
; %bb.528:
	s_mov_b32 s10, 0
	v_mov_b32_e32 v1, 0xb0
	s_waitcnt vmcnt(3)
	v_mov_b32_e32 v2, 0
	s_waitcnt vmcnt(0)
.LBB2036_529:                           ; =>This Inner Loop Header: Depth=1
	v_add_u32_e32 v3, s10, v1
	s_add_i32 s10, s10, 8
	s_cmp_lg_u32 s10, 16
	buffer_store_dword v2, v3, s[0:3], 0 offen offset:4
	buffer_store_dword v2, v3, s[0:3], 0 offen
	s_cbranch_scc1 .LBB2036_529
; %bb.530:
	s_mov_b32 s10, 0
	v_mov_b32_e32 v1, 0x60
	v_mov_b32_e32 v2, 0xd0
	;; [unrolled: 1-line block ×3, first 2 shown]
.LBB2036_531:                           ; =>This Inner Loop Header: Depth=1
	v_add_u32_e32 v4, s10, v1
	v_add_u32_e32 v5, s10, v2
	buffer_load_dword v8, v4, s[0:3], 0 offen offset:4
	buffer_load_dword v9, v5, s[0:3], 0 offen offset:40
	buffer_load_dword v14, v4, s[0:3], 0 offen
	buffer_load_dword v15, v5, s[0:3], 0 offen offset:44
                                        ; kill: killed $vgpr4
	v_add_u32_e32 v4, s10, v3
	s_add_i32 s10, s10, 8
	s_cmp_lg_u32 s10, 16
                                        ; kill: killed $vgpr5
	s_waitcnt vmcnt(1)
	v_add_u32_e32 v5, v9, v14
	s_waitcnt vmcnt(0)
	v_add_u32_e32 v8, v15, v8
	buffer_store_dword v8, v4, s[0:3], 0 offen offset:4
	buffer_store_dword v5, v4, s[0:3], 0 offen
	s_cbranch_scc1 .LBB2036_531
; %bb.532:
	buffer_load_dword v2, off, s[0:3], 0 offset:176
	buffer_load_dword v3, off, s[0:3], 0 offset:180
	;; [unrolled: 1-line block ×4, first 2 shown]
.LBB2036_533:
	s_or_b64 exec, exec, s[8:9]
	buffer_load_ubyte v1, off, s[0:3], 0 offset:284
	v_and_b32_e32 v6, 1, v6
	v_cmp_eq_u32_e64 s[8:9], 1, v6
	s_or_b64 s[8:9], s[8:9], s[6:7]
	v_cndmask_b32_e64 v6, 0, 1, s[8:9]
	s_waitcnt vmcnt(3)
	buffer_store_dword v3, off, s[0:3], 0 offset:100
	buffer_store_dword v2, off, s[0:3], 0 offset:96
	s_waitcnt vmcnt(3)
	buffer_store_dword v5, off, s[0:3], 0 offset:108
	buffer_store_dword v4, off, s[0:3], 0 offset:104
	buffer_store_dword v5, v10, s[0:3], 0 offen offset:12
	buffer_store_dword v4, v10, s[0:3], 0 offen offset:8
	;; [unrolled: 1-line block ×3, first 2 shown]
	buffer_store_dword v2, v10, s[0:3], 0 offen
	buffer_store_byte v6, off, s[0:3], 0 offset:264
                                        ; implicit-def: $vgpr4_vgpr5
                                        ; implicit-def: $vgpr2_vgpr3
	s_waitcnt vmcnt(9)
	v_cmp_ne_u16_e64 s[6:7], 0, v1
	s_and_saveexec_b64 s[10:11], s[6:7]
	s_xor_b64 s[6:7], exec, s[10:11]
	s_cbranch_execz .LBB2036_535
; %bb.534:
	buffer_load_dword v2, off, s[0:3], 0 offset:268
	buffer_load_dword v3, off, s[0:3], 0 offset:272
	;; [unrolled: 1-line block ×4, first 2 shown]
.LBB2036_535:
	s_andn2_saveexec_b64 s[6:7], s[6:7]
	s_cbranch_execz .LBB2036_541
; %bb.536:
	s_mov_b32 s10, 0
	s_waitcnt vmcnt(3)
	v_mov_b32_e32 v2, 0xb0
	s_waitcnt vmcnt(2)
	v_mov_b32_e32 v3, 0
	s_waitcnt vmcnt(0)
.LBB2036_537:                           ; =>This Inner Loop Header: Depth=1
	v_add_u32_e32 v4, s10, v2
	s_add_i32 s10, s10, 8
	s_cmp_lg_u32 s10, 16
	buffer_store_dword v3, v4, s[0:3], 0 offen offset:4
	buffer_store_dword v3, v4, s[0:3], 0 offen
	s_cbranch_scc1 .LBB2036_537
; %bb.538:
	s_mov_b32 s10, 0
	v_mov_b32_e32 v2, 0x60
	v_mov_b32_e32 v3, 0xd0
	;; [unrolled: 1-line block ×3, first 2 shown]
.LBB2036_539:                           ; =>This Inner Loop Header: Depth=1
	v_add_u32_e32 v5, s10, v2
	v_add_u32_e32 v6, s10, v3
	buffer_load_dword v8, v5, s[0:3], 0 offen offset:4
	buffer_load_dword v9, v6, s[0:3], 0 offen offset:60
	buffer_load_dword v14, v5, s[0:3], 0 offen
	buffer_load_dword v15, v6, s[0:3], 0 offen offset:64
                                        ; kill: killed $vgpr5
	v_add_u32_e32 v5, s10, v4
	s_add_i32 s10, s10, 8
	s_cmp_lg_u32 s10, 16
                                        ; kill: killed $vgpr6
	s_waitcnt vmcnt(1)
	v_add_u32_e32 v6, v9, v14
	s_waitcnt vmcnt(0)
	v_add_u32_e32 v8, v15, v8
	buffer_store_dword v8, v5, s[0:3], 0 offen offset:4
	buffer_store_dword v6, v5, s[0:3], 0 offen
	s_cbranch_scc1 .LBB2036_539
; %bb.540:
	buffer_load_dword v2, off, s[0:3], 0 offset:176
	buffer_load_dword v3, off, s[0:3], 0 offset:180
	;; [unrolled: 1-line block ×4, first 2 shown]
.LBB2036_541:
	s_or_b64 exec, exec, s[6:7]
	buffer_load_ubyte v6, off, s[0:3], 0 offset:304
	v_and_b32_e32 v1, 1, v1
	v_cmp_eq_u32_e64 s[6:7], 1, v1
	s_or_b64 s[8:9], s[6:7], s[8:9]
	v_cndmask_b32_e64 v1, 0, 1, s[8:9]
	s_waitcnt vmcnt(3)
	buffer_store_dword v3, off, s[0:3], 0 offset:100
	buffer_store_dword v2, off, s[0:3], 0 offset:96
	s_waitcnt vmcnt(3)
	buffer_store_dword v5, off, s[0:3], 0 offset:108
	buffer_store_dword v4, off, s[0:3], 0 offset:104
	buffer_store_dword v5, v11, s[0:3], 0 offen offset:12
	buffer_store_dword v4, v11, s[0:3], 0 offen offset:8
	;; [unrolled: 1-line block ×3, first 2 shown]
	buffer_store_dword v2, v11, s[0:3], 0 offen
	buffer_store_byte v1, off, s[0:3], 0 offset:284
                                        ; implicit-def: $vgpr4_vgpr5
                                        ; implicit-def: $vgpr2_vgpr3
	s_waitcnt vmcnt(9)
	v_cmp_ne_u16_e64 s[6:7], 0, v6
	s_and_saveexec_b64 s[10:11], s[6:7]
	s_xor_b64 s[6:7], exec, s[10:11]
	s_cbranch_execz .LBB2036_543
; %bb.542:
	buffer_load_dword v2, off, s[0:3], 0 offset:288
	buffer_load_dword v3, off, s[0:3], 0 offset:292
	;; [unrolled: 1-line block ×4, first 2 shown]
.LBB2036_543:
	s_andn2_saveexec_b64 s[6:7], s[6:7]
	s_cbranch_execz .LBB2036_549
; %bb.544:
	s_mov_b32 s10, 0
	v_mov_b32_e32 v1, 0xb0
	s_waitcnt vmcnt(3)
	v_mov_b32_e32 v2, 0
	s_waitcnt vmcnt(0)
.LBB2036_545:                           ; =>This Inner Loop Header: Depth=1
	v_add_u32_e32 v3, s10, v1
	s_add_i32 s10, s10, 8
	s_cmp_lg_u32 s10, 16
	buffer_store_dword v2, v3, s[0:3], 0 offen offset:4
	buffer_store_dword v2, v3, s[0:3], 0 offen
	s_cbranch_scc1 .LBB2036_545
; %bb.546:
	s_mov_b32 s10, 0
	v_mov_b32_e32 v1, 0x60
	v_mov_b32_e32 v2, 0xd0
	;; [unrolled: 1-line block ×3, first 2 shown]
.LBB2036_547:                           ; =>This Inner Loop Header: Depth=1
	v_add_u32_e32 v4, s10, v1
	v_add_u32_e32 v5, s10, v2
	buffer_load_dword v8, v4, s[0:3], 0 offen offset:4
	buffer_load_dword v9, v5, s[0:3], 0 offen offset:80
	buffer_load_dword v14, v4, s[0:3], 0 offen
	buffer_load_dword v15, v5, s[0:3], 0 offen offset:84
                                        ; kill: killed $vgpr4
	v_add_u32_e32 v4, s10, v3
	s_add_i32 s10, s10, 8
	s_cmp_lg_u32 s10, 16
                                        ; kill: killed $vgpr5
	s_waitcnt vmcnt(1)
	v_add_u32_e32 v5, v9, v14
	s_waitcnt vmcnt(0)
	v_add_u32_e32 v8, v15, v8
	buffer_store_dword v8, v4, s[0:3], 0 offen offset:4
	buffer_store_dword v5, v4, s[0:3], 0 offen
	s_cbranch_scc1 .LBB2036_547
; %bb.548:
	buffer_load_dword v2, off, s[0:3], 0 offset:176
	buffer_load_dword v3, off, s[0:3], 0 offset:180
	;; [unrolled: 1-line block ×4, first 2 shown]
.LBB2036_549:
	s_or_b64 exec, exec, s[6:7]
	v_and_b32_e32 v1, 1, v6
	v_cmp_eq_u32_e64 s[6:7], 1, v1
	s_waitcnt vmcnt(0)
	buffer_store_dword v5, v12, s[0:3], 0 offen offset:12
	buffer_store_dword v4, v12, s[0:3], 0 offen offset:8
	;; [unrolled: 1-line block ×3, first 2 shown]
	v_mov_b32_e32 v1, 0
	ds_read2_b32 v[4:5], v1 offset0:17 offset1:18
	ds_read_u8 v3, v1 offset:76
	ds_read2_b32 v[8:9], v1 offset0:15 offset1:16
	s_or_b64 s[6:7], s[6:7], s[8:9]
	v_cndmask_b32_e64 v6, 0, 1, s[6:7]
	buffer_store_dword v2, v12, s[0:3], 0 offen
	buffer_store_byte v6, off, s[0:3], 0 offset:304
	s_waitcnt lgkmcnt(2)
	buffer_store_dword v5, off, s[0:3], 0 offset:88
	buffer_store_dword v4, off, s[0:3], 0 offset:84
	s_waitcnt lgkmcnt(0)
	buffer_store_dword v9, off, s[0:3], 0 offset:80
	buffer_store_dword v8, off, s[0:3], 0 offset:76
	buffer_store_byte v3, off, s[0:3], 0 offset:92
	s_and_saveexec_b64 s[6:7], vcc
	s_cbranch_execz .LBB2036_551
; %bb.550:
	buffer_load_dword v14, off, s[0:3], 0 offset:76
	buffer_load_dword v15, off, s[0:3], 0 offset:80
	;; [unrolled: 1-line block ×4, first 2 shown]
	v_mov_b32_e32 v2, 2
	global_store_byte v1, v3, s[22:23] offset:1296
	s_waitcnt vmcnt(1)
	global_store_dwordx4 v1, v[14:17], s[22:23] offset:1280
	s_waitcnt vmcnt(0)
	buffer_wbinvl1_vol
	global_store_byte v1, v2, s[24:25] offset:64
.LBB2036_551:
	s_or_b64 exec, exec, s[6:7]
.LBB2036_552:
	s_mov_b32 s6, 0
	v_mov_b32_e32 v1, 0x60
	v_mov_b32_e32 v2, 0
.LBB2036_553:                           ; =>This Inner Loop Header: Depth=1
	v_add_u32_e32 v3, s6, v1
	s_add_i32 s6, s6, 8
	s_cmp_lg_u32 s6, 16
	buffer_store_dword v2, v3, s[0:3], 0 offen offset:4
	buffer_store_dword v2, v3, s[0:3], 0 offen
	s_cbranch_scc1 .LBB2036_553
; %bb.554:
	s_mov_b32 s6, 16
	v_mov_b32_e32 v1, 0x60
	v_mov_b32_e32 v2, 0
.LBB2036_555:                           ; =>This Inner Loop Header: Depth=1
	v_add_u32_e32 v3, s6, v1
	s_add_i32 s6, s6, 8
	s_cmp_lg_u32 s6, 32
	buffer_store_dword v2, v3, s[0:3], 0 offen offset:4
	buffer_store_dword v2, v3, s[0:3], 0 offen
	s_cbranch_scc1 .LBB2036_555
; %bb.556:
	;; [unrolled: 11-line block ×4, first 2 shown]
	s_mov_b32 s6, 64
	v_mov_b32_e32 v1, 0x60
	v_mov_b32_e32 v2, 0
.LBB2036_561:                           ; =>This Inner Loop Header: Depth=1
	v_add_u32_e32 v3, s6, v1
	s_add_i32 s6, s6, 8
	s_cmpk_lg_i32 s6, 0x50
	buffer_store_dword v2, v3, s[0:3], 0 offen offset:4
	buffer_store_dword v2, v3, s[0:3], 0 offen
	s_cbranch_scc1 .LBB2036_561
; %bb.562:
	s_add_u32 s6, s18, s28
	s_addc_u32 s7, s19, s29
	v_mov_b32_e32 v1, 0x60
	s_add_u32 s8, s6, s30
	v_add_u32_e32 v4, 64, v1
	v_add_u32_e32 v5, 48, v1
	;; [unrolled: 1-line block ×4, first 2 shown]
	s_addc_u32 s9, s7, s31
	s_and_b64 vcc, exec, s[4:5]
	s_cbranch_vccz .LBB2036_578
; %bb.563:
	s_add_i32 s27, s27, s26
	v_mul_u32_u24_e32 v1, 5, v0
	v_cmp_gt_u32_e32 vcc, s27, v1
	s_and_saveexec_b64 s[4:5], vcc
	s_cbranch_execz .LBB2036_569
; %bb.564:
	buffer_load_dword v2, off, s[0:3], 0 offset:220
	buffer_load_dword v3, off, s[0:3], 0 offset:216
	;; [unrolled: 1-line block ×4, first 2 shown]
	v_add_u32_e32 v15, 1, v1
	v_cmp_gt_u32_e32 vcc, s27, v15
	s_waitcnt vmcnt(3)
	buffer_store_dword v2, off, s[0:3], 0 offset:108
	s_waitcnt vmcnt(3)
	buffer_store_dword v3, off, s[0:3], 0 offset:104
	s_waitcnt vmcnt(3)
	buffer_store_dword v9, off, s[0:3], 0 offset:100
	s_waitcnt vmcnt(3)
	buffer_store_dword v14, off, s[0:3], 0 offset:96
	s_and_b64 exec, exec, vcc
	s_cbranch_execz .LBB2036_569
; %bb.565:
	buffer_load_dword v2, v7, s[0:3], 0 offen offset:12
	buffer_load_dword v3, v7, s[0:3], 0 offen offset:8
	buffer_load_dword v9, v7, s[0:3], 0 offen offset:4
	buffer_load_dword v14, v7, s[0:3], 0 offen
	v_add_u32_e32 v15, 2, v1
	v_cmp_gt_u32_e32 vcc, s27, v15
	s_waitcnt vmcnt(3)
	buffer_store_dword v2, v8, s[0:3], 0 offen offset:12
	s_waitcnt vmcnt(3)
	buffer_store_dword v3, v8, s[0:3], 0 offen offset:8
	s_waitcnt vmcnt(3)
	buffer_store_dword v9, v8, s[0:3], 0 offen offset:4
	s_waitcnt vmcnt(3)
	buffer_store_dword v14, v8, s[0:3], 0 offen
	s_and_b64 exec, exec, vcc
	s_cbranch_execz .LBB2036_569
; %bb.566:
	buffer_load_dword v2, v10, s[0:3], 0 offen offset:12
	buffer_load_dword v3, v10, s[0:3], 0 offen offset:8
	buffer_load_dword v9, v10, s[0:3], 0 offen offset:4
	buffer_load_dword v14, v10, s[0:3], 0 offen
	v_add_u32_e32 v15, 3, v1
	v_cmp_gt_u32_e32 vcc, s27, v15
	s_waitcnt vmcnt(3)
	buffer_store_dword v2, v6, s[0:3], 0 offen offset:12
	s_waitcnt vmcnt(3)
	buffer_store_dword v3, v6, s[0:3], 0 offen offset:8
	s_waitcnt vmcnt(3)
	buffer_store_dword v9, v6, s[0:3], 0 offen offset:4
	s_waitcnt vmcnt(3)
	buffer_store_dword v14, v6, s[0:3], 0 offen
	;; [unrolled: 17-line block ×3, first 2 shown]
	s_and_b64 exec, exec, vcc
	s_cbranch_execz .LBB2036_569
; %bb.568:
	buffer_load_dword v2, v12, s[0:3], 0 offen offset:12
	buffer_load_dword v3, v12, s[0:3], 0 offen offset:8
	;; [unrolled: 1-line block ×3, first 2 shown]
	buffer_load_dword v14, v12, s[0:3], 0 offen
	s_waitcnt vmcnt(3)
	buffer_store_dword v2, v4, s[0:3], 0 offen offset:12
	s_waitcnt vmcnt(3)
	buffer_store_dword v3, v4, s[0:3], 0 offen offset:8
	;; [unrolled: 2-line block ×3, first 2 shown]
	s_waitcnt vmcnt(3)
	buffer_store_dword v14, v4, s[0:3], 0 offen
.LBB2036_569:
	s_or_b64 exec, exec, s[4:5]
	s_barrier
	buffer_load_dword v14, off, s[0:3], 0 offset:96
	buffer_load_dword v15, off, s[0:3], 0 offset:100
	;; [unrolled: 1-line block ×4, first 2 shown]
	buffer_load_dword v18, v8, s[0:3], 0 offen
	buffer_load_dword v19, v8, s[0:3], 0 offen offset:4
	buffer_load_dword v20, v8, s[0:3], 0 offen offset:8
	buffer_load_dword v21, v8, s[0:3], 0 offen offset:12
	buffer_load_dword v22, v6, s[0:3], 0 offen
	buffer_load_dword v23, v6, s[0:3], 0 offen offset:4
	buffer_load_dword v24, v6, s[0:3], 0 offen offset:8
	buffer_load_dword v25, v6, s[0:3], 0 offen offset:12
	;; [unrolled: 4-line block ×4, first 2 shown]
	v_lshlrev_b32_e32 v2, 4, v1
	v_lshlrev_b32_e32 v3, 6, v0
	v_sub_u32_e32 v9, v2, v3
	v_mov_b32_e32 v34, s9
	v_mov_b32_e32 v1, 0
	s_waitcnt vmcnt(16)
	ds_write_b128 v2, v[14:17]
	s_waitcnt vmcnt(12)
	ds_write_b128 v2, v[18:21] offset:16
	s_waitcnt vmcnt(8)
	ds_write_b128 v2, v[22:25] offset:32
	;; [unrolled: 2-line block ×4, first 2 shown]
	s_waitcnt lgkmcnt(0)
	s_barrier
	ds_read_b128 v[14:17], v9 offset:4096
	ds_read_b128 v[18:21], v9 offset:8192
	;; [unrolled: 1-line block ×4, first 2 shown]
	v_add_co_u32_e32 v2, vcc, s8, v13
	v_addc_co_u32_e32 v3, vcc, 0, v34, vcc
	v_cmp_gt_u32_e32 vcc, s27, v0
	s_waitcnt lgkmcnt(3)
	buffer_store_dword v17, v8, s[0:3], 0 offen offset:12
	buffer_store_dword v16, v8, s[0:3], 0 offen offset:8
	buffer_store_dword v15, v8, s[0:3], 0 offen offset:4
	buffer_store_dword v14, v8, s[0:3], 0 offen
	s_waitcnt lgkmcnt(2)
	buffer_store_dword v21, v6, s[0:3], 0 offen offset:12
	buffer_store_dword v20, v6, s[0:3], 0 offen offset:8
	buffer_store_dword v19, v6, s[0:3], 0 offen offset:4
	buffer_store_dword v18, v6, s[0:3], 0 offen
	;; [unrolled: 5-line block ×4, first 2 shown]
	s_and_saveexec_b64 s[4:5], vcc
	s_cbranch_execz .LBB2036_571
; %bb.570:
	ds_read2_b32 v[16:17], v9 offset0:2 offset1:3
	ds_read2_b32 v[14:15], v9 offset1:1
	s_waitcnt lgkmcnt(0)
	flat_store_dwordx4 v[2:3], v[14:17]
.LBB2036_571:
	s_or_b64 exec, exec, s[4:5]
	v_or_b32_e32 v9, 0x100, v0
	v_cmp_gt_u32_e32 vcc, s27, v9
	s_and_saveexec_b64 s[4:5], vcc
	s_cbranch_execz .LBB2036_573
; %bb.572:
	buffer_load_dword v14, v8, s[0:3], 0 offen
	buffer_load_dword v15, v8, s[0:3], 0 offen offset:4
	buffer_load_dword v16, v8, s[0:3], 0 offen offset:8
	buffer_load_dword v17, v8, s[0:3], 0 offen offset:12
	v_add_co_u32_e32 v18, vcc, 0x1000, v2
	v_addc_co_u32_e32 v19, vcc, 0, v3, vcc
	s_waitcnt vmcnt(0)
	flat_store_dwordx4 v[18:19], v[14:17]
.LBB2036_573:
	s_or_b64 exec, exec, s[4:5]
	v_or_b32_e32 v9, 0x200, v0
	v_cmp_gt_u32_e32 vcc, s27, v9
	s_and_saveexec_b64 s[4:5], vcc
	s_cbranch_execz .LBB2036_575
; %bb.574:
	buffer_load_dword v14, v6, s[0:3], 0 offen
	buffer_load_dword v15, v6, s[0:3], 0 offen offset:4
	buffer_load_dword v16, v6, s[0:3], 0 offen offset:8
	buffer_load_dword v17, v6, s[0:3], 0 offen offset:12
	v_add_co_u32_e32 v18, vcc, 0x2000, v2
	v_addc_co_u32_e32 v19, vcc, 0, v3, vcc
	s_waitcnt vmcnt(0)
	flat_store_dwordx4 v[18:19], v[14:17]
.LBB2036_575:
	;; [unrolled: 15-line block ×3, first 2 shown]
	s_or_b64 exec, exec, s[4:5]
	v_or_b32_e32 v2, 0x400, v0
	v_cmp_gt_u32_e64 s[4:5], s27, v2
	s_branch .LBB2036_580
.LBB2036_578:
	s_mov_b64 s[4:5], 0
	s_cbranch_execz .LBB2036_580
; %bb.579:
	buffer_load_dword v1, off, s[0:3], 0 offset:220
	buffer_load_dword v2, off, s[0:3], 0 offset:216
	;; [unrolled: 1-line block ×4, first 2 shown]
	buffer_load_dword v14, v7, s[0:3], 0 offen offset:12
	buffer_load_dword v15, v7, s[0:3], 0 offen offset:8
	buffer_load_dword v16, v7, s[0:3], 0 offen offset:4
	buffer_load_dword v17, v7, s[0:3], 0 offen
	buffer_load_dword v18, v10, s[0:3], 0 offen offset:12
	buffer_load_dword v19, v10, s[0:3], 0 offen offset:8
	buffer_load_dword v20, v10, s[0:3], 0 offen offset:4
	buffer_load_dword v21, v10, s[0:3], 0 offen
	;; [unrolled: 4-line block ×3, first 2 shown]
	buffer_load_dword v26, v12, s[0:3], 0 offen offset:12
	buffer_load_dword v27, v12, s[0:3], 0 offen offset:8
	;; [unrolled: 1-line block ×3, first 2 shown]
                                        ; kill: killed $vgpr7
                                        ; kill: killed $vgpr10
                                        ; kill: killed $vgpr11
	buffer_load_dword v7, v12, s[0:3], 0 offen
	s_movk_i32 s6, 0x1000
	s_movk_i32 s7, 0x2000
	s_or_b64 s[4:5], s[4:5], exec
	s_waitcnt vmcnt(0)
	buffer_store_dword v1, off, s[0:3], 0 offset:108
	buffer_store_dword v2, off, s[0:3], 0 offset:104
	buffer_store_dword v3, off, s[0:3], 0 offset:100
	buffer_store_dword v9, off, s[0:3], 0 offset:96
	buffer_store_dword v14, v8, s[0:3], 0 offen offset:12
	buffer_store_dword v15, v8, s[0:3], 0 offen offset:8
	buffer_store_dword v16, v8, s[0:3], 0 offen offset:4
	buffer_store_dword v17, v8, s[0:3], 0 offen
	buffer_store_dword v18, v6, s[0:3], 0 offen offset:12
	buffer_store_dword v19, v6, s[0:3], 0 offen offset:8
	buffer_store_dword v20, v6, s[0:3], 0 offen offset:4
	buffer_store_dword v21, v6, s[0:3], 0 offen
	;; [unrolled: 4-line block ×4, first 2 shown]
	s_waitcnt lgkmcnt(0)
	s_barrier
	buffer_load_dword v14, off, s[0:3], 0 offset:96
	buffer_load_dword v15, off, s[0:3], 0 offset:100
	buffer_load_dword v16, off, s[0:3], 0 offset:104
	buffer_load_dword v17, off, s[0:3], 0 offset:108
	buffer_load_dword v18, v8, s[0:3], 0 offen
	buffer_load_dword v19, v8, s[0:3], 0 offen offset:4
	buffer_load_dword v20, v8, s[0:3], 0 offen offset:8
	buffer_load_dword v21, v8, s[0:3], 0 offen offset:12
	buffer_load_dword v22, v6, s[0:3], 0 offen
	buffer_load_dword v23, v6, s[0:3], 0 offen offset:4
	buffer_load_dword v24, v6, s[0:3], 0 offen offset:8
	buffer_load_dword v25, v6, s[0:3], 0 offen offset:12
	;; [unrolled: 4-line block ×4, first 2 shown]
	v_mul_u32_u24_e32 v1, 0x50, v0
	v_lshlrev_b32_e32 v2, 6, v0
	v_sub_u32_e32 v7, v1, v2
	v_mov_b32_e32 v3, s9
	v_add_co_u32_e32 v2, vcc, s8, v13
	v_addc_co_u32_e32 v3, vcc, 0, v3, vcc
	v_add_co_u32_e32 v34, vcc, s6, v2
	v_addc_co_u32_e32 v35, vcc, 0, v3, vcc
	;; [unrolled: 2-line block ×3, first 2 shown]
	s_waitcnt vmcnt(16)
	ds_write_b128 v1, v[14:17]
	s_waitcnt vmcnt(12)
	ds_write_b128 v1, v[18:21] offset:16
	s_waitcnt vmcnt(8)
	ds_write_b128 v1, v[22:25] offset:32
	;; [unrolled: 2-line block ×4, first 2 shown]
	s_waitcnt lgkmcnt(0)
	s_barrier
	ds_read_b128 v[10:13], v7 offset:4096
	ds_read_b128 v[14:17], v7 offset:8192
	;; [unrolled: 1-line block ×4, first 2 shown]
	ds_read2_b32 v[28:29], v7 offset0:2 offset1:3
	ds_read2_b32 v[26:27], v7 offset1:1
	s_waitcnt lgkmcnt(5)
	buffer_store_dword v13, v8, s[0:3], 0 offen offset:12
	buffer_store_dword v12, v8, s[0:3], 0 offen offset:8
	buffer_store_dword v11, v8, s[0:3], 0 offen offset:4
	buffer_store_dword v10, v8, s[0:3], 0 offen
	s_waitcnt lgkmcnt(4)
	buffer_store_dword v17, v6, s[0:3], 0 offen offset:12
	buffer_store_dword v16, v6, s[0:3], 0 offen offset:8
	buffer_store_dword v15, v6, s[0:3], 0 offen offset:4
	buffer_store_dword v14, v6, s[0:3], 0 offen
	;; [unrolled: 5-line block ×4, first 2 shown]
	s_waitcnt lgkmcnt(0)
	flat_store_dwordx4 v[2:3], v[26:29]
	flat_store_dwordx4 v[34:35], v[10:13]
	;; [unrolled: 1-line block ×3, first 2 shown]
	buffer_load_dword v6, v5, s[0:3], 0 offen
	buffer_load_dword v7, v5, s[0:3], 0 offen offset:4
	buffer_load_dword v8, v5, s[0:3], 0 offen offset:8
	;; [unrolled: 1-line block ×3, first 2 shown]
	v_add_co_u32_e32 v2, vcc, 0x3000, v2
	v_mov_b32_e32 v1, 0
	v_addc_co_u32_e32 v3, vcc, 0, v3, vcc
	s_waitcnt vmcnt(0)
	flat_store_dwordx4 v[2:3], v[6:9]
.LBB2036_580:
	s_and_saveexec_b64 s[6:7], s[4:5]
	s_cbranch_execnz .LBB2036_582
; %bb.581:
	s_endpgm
.LBB2036_582:
	buffer_load_dword v6, v4, s[0:3], 0 offen
	buffer_load_dword v7, v4, s[0:3], 0 offen offset:4
	buffer_load_dword v8, v4, s[0:3], 0 offen offset:8
	;; [unrolled: 1-line block ×3, first 2 shown]
	v_lshlrev_b64 v[0:1], 4, v[0:1]
	v_mov_b32_e32 v2, s9
	v_add_co_u32_e32 v0, vcc, s8, v0
	v_addc_co_u32_e32 v1, vcc, v2, v1, vcc
	v_add_co_u32_e32 v0, vcc, 0x4000, v0
	v_addc_co_u32_e32 v1, vcc, 0, v1, vcc
	s_waitcnt vmcnt(0)
	flat_store_dwordx4 v[0:1], v[6:9]
	s_endpgm
.LBB2036_583:
	v_mov_b32_e32 v21, s33
	v_add_co_u32_e32 v20, vcc, s9, v20
	v_addc_co_u32_e32 v21, vcc, 0, v21, vcc
	flat_load_dwordx4 v[20:23], v[20:21]
	s_waitcnt vmcnt(0) lgkmcnt(0)
	buffer_store_dword v21, off, s[0:3], 0 offset:100
	buffer_store_dword v20, off, s[0:3], 0 offset:96
	buffer_store_dword v23, off, s[0:3], 0 offset:108
	buffer_store_dword v22, off, s[0:3], 0 offset:104
	s_or_b64 exec, exec, s[36:37]
	s_and_saveexec_b64 s[6:7], s[16:17]
	s_cbranch_execz .LBB2036_353
.LBB2036_584:
	v_lshlrev_b32_e32 v15, 4, v15
	v_mov_b32_e32 v21, s33
	v_add_co_u32_e32 v20, vcc, s9, v15
	v_addc_co_u32_e32 v21, vcc, 0, v21, vcc
	flat_load_dwordx4 v[20:23], v[20:21]
	s_waitcnt vmcnt(0) lgkmcnt(0)
	buffer_store_dword v21, off, s[0:3], 0 offset:116
	buffer_store_dword v20, off, s[0:3], 0 offset:112
	;; [unrolled: 1-line block ×4, first 2 shown]
	s_or_b64 exec, exec, s[6:7]
	s_and_saveexec_b64 s[6:7], s[10:11]
	s_cbranch_execz .LBB2036_354
.LBB2036_585:
	v_lshlrev_b32_e32 v15, 4, v16
	v_mov_b32_e32 v16, s33
	v_add_co_u32_e32 v20, vcc, s9, v15
	v_addc_co_u32_e32 v21, vcc, 0, v16, vcc
	flat_load_dwordx4 v[20:23], v[20:21]
	s_waitcnt vmcnt(0) lgkmcnt(0)
	buffer_store_dword v21, off, s[0:3], 0 offset:132
	buffer_store_dword v20, off, s[0:3], 0 offset:128
	;; [unrolled: 1-line block ×4, first 2 shown]
	s_or_b64 exec, exec, s[6:7]
	s_and_saveexec_b64 s[6:7], s[12:13]
	s_cbranch_execz .LBB2036_355
.LBB2036_586:
	v_lshlrev_b32_e32 v15, 4, v17
	v_mov_b32_e32 v17, s33
	v_add_co_u32_e32 v16, vcc, s9, v15
	v_addc_co_u32_e32 v17, vcc, 0, v17, vcc
	flat_load_dwordx4 v[20:23], v[16:17]
	s_waitcnt vmcnt(0) lgkmcnt(0)
	buffer_store_dword v21, off, s[0:3], 0 offset:148
	buffer_store_dword v20, off, s[0:3], 0 offset:144
	;; [unrolled: 1-line block ×4, first 2 shown]
	s_or_b64 exec, exec, s[6:7]
	s_and_saveexec_b64 s[6:7], s[14:15]
	s_cbranch_execnz .LBB2036_356
	s_branch .LBB2036_357
.LBB2036_587:
                                        ; implicit-def: $sgpr36_sgpr37
	s_branch .LBB2036_348
.LBB2036_588:
                                        ; implicit-def: $sgpr6_sgpr7
	s_branch .LBB2036_369
	.section	.rodata,"a",@progbits
	.p2align	6, 0x0
	.amdhsa_kernel _ZN7rocprim17ROCPRIM_400000_NS6detail17trampoline_kernelINS0_14default_configENS1_27scan_by_key_config_selectorIj11FixedVectorIiLj4EEEEZZNS1_16scan_by_key_implILNS1_25lookback_scan_determinismE0ELb0ES3_N6thrust23THRUST_200600_302600_NS6detail15normal_iteratorINSB_10device_ptrIjEEEENSD_INSE_IS6_EEEESI_S6_NSB_4plusIvEENSB_8equal_toIvEES6_EE10hipError_tPvRmT2_T3_T4_T5_mT6_T7_P12ihipStream_tbENKUlT_T0_E_clISt17integral_constantIbLb0EES13_EEDaSY_SZ_EUlSY_E_NS1_11comp_targetILNS1_3genE4ELNS1_11target_archE910ELNS1_3gpuE8ELNS1_3repE0EEENS1_30default_config_static_selectorELNS0_4arch9wavefront6targetE1EEEvT1_
		.amdhsa_group_segment_fixed_size 20480
		.amdhsa_private_segment_fixed_size 320
		.amdhsa_kernarg_size 144
		.amdhsa_user_sgpr_count 8
		.amdhsa_user_sgpr_private_segment_buffer 1
		.amdhsa_user_sgpr_dispatch_ptr 0
		.amdhsa_user_sgpr_queue_ptr 0
		.amdhsa_user_sgpr_kernarg_segment_ptr 1
		.amdhsa_user_sgpr_dispatch_id 0
		.amdhsa_user_sgpr_flat_scratch_init 1
		.amdhsa_user_sgpr_kernarg_preload_length 0
		.amdhsa_user_sgpr_kernarg_preload_offset 0
		.amdhsa_user_sgpr_private_segment_size 0
		.amdhsa_uses_dynamic_stack 0
		.amdhsa_system_sgpr_private_segment_wavefront_offset 1
		.amdhsa_system_sgpr_workgroup_id_x 1
		.amdhsa_system_sgpr_workgroup_id_y 0
		.amdhsa_system_sgpr_workgroup_id_z 0
		.amdhsa_system_sgpr_workgroup_info 0
		.amdhsa_system_vgpr_workitem_id 0
		.amdhsa_next_free_vgpr 43
		.amdhsa_next_free_sgpr 51
		.amdhsa_accum_offset 44
		.amdhsa_reserve_vcc 1
		.amdhsa_reserve_flat_scratch 1
		.amdhsa_float_round_mode_32 0
		.amdhsa_float_round_mode_16_64 0
		.amdhsa_float_denorm_mode_32 3
		.amdhsa_float_denorm_mode_16_64 3
		.amdhsa_dx10_clamp 1
		.amdhsa_ieee_mode 1
		.amdhsa_fp16_overflow 0
		.amdhsa_tg_split 0
		.amdhsa_exception_fp_ieee_invalid_op 0
		.amdhsa_exception_fp_denorm_src 0
		.amdhsa_exception_fp_ieee_div_zero 0
		.amdhsa_exception_fp_ieee_overflow 0
		.amdhsa_exception_fp_ieee_underflow 0
		.amdhsa_exception_fp_ieee_inexact 0
		.amdhsa_exception_int_div_zero 0
	.end_amdhsa_kernel
	.section	.text._ZN7rocprim17ROCPRIM_400000_NS6detail17trampoline_kernelINS0_14default_configENS1_27scan_by_key_config_selectorIj11FixedVectorIiLj4EEEEZZNS1_16scan_by_key_implILNS1_25lookback_scan_determinismE0ELb0ES3_N6thrust23THRUST_200600_302600_NS6detail15normal_iteratorINSB_10device_ptrIjEEEENSD_INSE_IS6_EEEESI_S6_NSB_4plusIvEENSB_8equal_toIvEES6_EE10hipError_tPvRmT2_T3_T4_T5_mT6_T7_P12ihipStream_tbENKUlT_T0_E_clISt17integral_constantIbLb0EES13_EEDaSY_SZ_EUlSY_E_NS1_11comp_targetILNS1_3genE4ELNS1_11target_archE910ELNS1_3gpuE8ELNS1_3repE0EEENS1_30default_config_static_selectorELNS0_4arch9wavefront6targetE1EEEvT1_,"axG",@progbits,_ZN7rocprim17ROCPRIM_400000_NS6detail17trampoline_kernelINS0_14default_configENS1_27scan_by_key_config_selectorIj11FixedVectorIiLj4EEEEZZNS1_16scan_by_key_implILNS1_25lookback_scan_determinismE0ELb0ES3_N6thrust23THRUST_200600_302600_NS6detail15normal_iteratorINSB_10device_ptrIjEEEENSD_INSE_IS6_EEEESI_S6_NSB_4plusIvEENSB_8equal_toIvEES6_EE10hipError_tPvRmT2_T3_T4_T5_mT6_T7_P12ihipStream_tbENKUlT_T0_E_clISt17integral_constantIbLb0EES13_EEDaSY_SZ_EUlSY_E_NS1_11comp_targetILNS1_3genE4ELNS1_11target_archE910ELNS1_3gpuE8ELNS1_3repE0EEENS1_30default_config_static_selectorELNS0_4arch9wavefront6targetE1EEEvT1_,comdat
.Lfunc_end2036:
	.size	_ZN7rocprim17ROCPRIM_400000_NS6detail17trampoline_kernelINS0_14default_configENS1_27scan_by_key_config_selectorIj11FixedVectorIiLj4EEEEZZNS1_16scan_by_key_implILNS1_25lookback_scan_determinismE0ELb0ES3_N6thrust23THRUST_200600_302600_NS6detail15normal_iteratorINSB_10device_ptrIjEEEENSD_INSE_IS6_EEEESI_S6_NSB_4plusIvEENSB_8equal_toIvEES6_EE10hipError_tPvRmT2_T3_T4_T5_mT6_T7_P12ihipStream_tbENKUlT_T0_E_clISt17integral_constantIbLb0EES13_EEDaSY_SZ_EUlSY_E_NS1_11comp_targetILNS1_3genE4ELNS1_11target_archE910ELNS1_3gpuE8ELNS1_3repE0EEENS1_30default_config_static_selectorELNS0_4arch9wavefront6targetE1EEEvT1_, .Lfunc_end2036-_ZN7rocprim17ROCPRIM_400000_NS6detail17trampoline_kernelINS0_14default_configENS1_27scan_by_key_config_selectorIj11FixedVectorIiLj4EEEEZZNS1_16scan_by_key_implILNS1_25lookback_scan_determinismE0ELb0ES3_N6thrust23THRUST_200600_302600_NS6detail15normal_iteratorINSB_10device_ptrIjEEEENSD_INSE_IS6_EEEESI_S6_NSB_4plusIvEENSB_8equal_toIvEES6_EE10hipError_tPvRmT2_T3_T4_T5_mT6_T7_P12ihipStream_tbENKUlT_T0_E_clISt17integral_constantIbLb0EES13_EEDaSY_SZ_EUlSY_E_NS1_11comp_targetILNS1_3genE4ELNS1_11target_archE910ELNS1_3gpuE8ELNS1_3repE0EEENS1_30default_config_static_selectorELNS0_4arch9wavefront6targetE1EEEvT1_
                                        ; -- End function
	.section	.AMDGPU.csdata,"",@progbits
; Kernel info:
; codeLenInByte = 29784
; NumSgprs: 57
; NumVgprs: 43
; NumAgprs: 0
; TotalNumVgprs: 43
; ScratchSize: 320
; MemoryBound: 0
; FloatMode: 240
; IeeeMode: 1
; LDSByteSize: 20480 bytes/workgroup (compile time only)
; SGPRBlocks: 7
; VGPRBlocks: 5
; NumSGPRsForWavesPerEU: 57
; NumVGPRsForWavesPerEU: 43
; AccumOffset: 44
; Occupancy: 3
; WaveLimiterHint : 1
; COMPUTE_PGM_RSRC2:SCRATCH_EN: 1
; COMPUTE_PGM_RSRC2:USER_SGPR: 8
; COMPUTE_PGM_RSRC2:TRAP_HANDLER: 0
; COMPUTE_PGM_RSRC2:TGID_X_EN: 1
; COMPUTE_PGM_RSRC2:TGID_Y_EN: 0
; COMPUTE_PGM_RSRC2:TGID_Z_EN: 0
; COMPUTE_PGM_RSRC2:TIDIG_COMP_CNT: 0
; COMPUTE_PGM_RSRC3_GFX90A:ACCUM_OFFSET: 10
; COMPUTE_PGM_RSRC3_GFX90A:TG_SPLIT: 0
	.section	.text._ZN7rocprim17ROCPRIM_400000_NS6detail17trampoline_kernelINS0_14default_configENS1_27scan_by_key_config_selectorIj11FixedVectorIiLj4EEEEZZNS1_16scan_by_key_implILNS1_25lookback_scan_determinismE0ELb0ES3_N6thrust23THRUST_200600_302600_NS6detail15normal_iteratorINSB_10device_ptrIjEEEENSD_INSE_IS6_EEEESI_S6_NSB_4plusIvEENSB_8equal_toIvEES6_EE10hipError_tPvRmT2_T3_T4_T5_mT6_T7_P12ihipStream_tbENKUlT_T0_E_clISt17integral_constantIbLb0EES13_EEDaSY_SZ_EUlSY_E_NS1_11comp_targetILNS1_3genE3ELNS1_11target_archE908ELNS1_3gpuE7ELNS1_3repE0EEENS1_30default_config_static_selectorELNS0_4arch9wavefront6targetE1EEEvT1_,"axG",@progbits,_ZN7rocprim17ROCPRIM_400000_NS6detail17trampoline_kernelINS0_14default_configENS1_27scan_by_key_config_selectorIj11FixedVectorIiLj4EEEEZZNS1_16scan_by_key_implILNS1_25lookback_scan_determinismE0ELb0ES3_N6thrust23THRUST_200600_302600_NS6detail15normal_iteratorINSB_10device_ptrIjEEEENSD_INSE_IS6_EEEESI_S6_NSB_4plusIvEENSB_8equal_toIvEES6_EE10hipError_tPvRmT2_T3_T4_T5_mT6_T7_P12ihipStream_tbENKUlT_T0_E_clISt17integral_constantIbLb0EES13_EEDaSY_SZ_EUlSY_E_NS1_11comp_targetILNS1_3genE3ELNS1_11target_archE908ELNS1_3gpuE7ELNS1_3repE0EEENS1_30default_config_static_selectorELNS0_4arch9wavefront6targetE1EEEvT1_,comdat
	.protected	_ZN7rocprim17ROCPRIM_400000_NS6detail17trampoline_kernelINS0_14default_configENS1_27scan_by_key_config_selectorIj11FixedVectorIiLj4EEEEZZNS1_16scan_by_key_implILNS1_25lookback_scan_determinismE0ELb0ES3_N6thrust23THRUST_200600_302600_NS6detail15normal_iteratorINSB_10device_ptrIjEEEENSD_INSE_IS6_EEEESI_S6_NSB_4plusIvEENSB_8equal_toIvEES6_EE10hipError_tPvRmT2_T3_T4_T5_mT6_T7_P12ihipStream_tbENKUlT_T0_E_clISt17integral_constantIbLb0EES13_EEDaSY_SZ_EUlSY_E_NS1_11comp_targetILNS1_3genE3ELNS1_11target_archE908ELNS1_3gpuE7ELNS1_3repE0EEENS1_30default_config_static_selectorELNS0_4arch9wavefront6targetE1EEEvT1_ ; -- Begin function _ZN7rocprim17ROCPRIM_400000_NS6detail17trampoline_kernelINS0_14default_configENS1_27scan_by_key_config_selectorIj11FixedVectorIiLj4EEEEZZNS1_16scan_by_key_implILNS1_25lookback_scan_determinismE0ELb0ES3_N6thrust23THRUST_200600_302600_NS6detail15normal_iteratorINSB_10device_ptrIjEEEENSD_INSE_IS6_EEEESI_S6_NSB_4plusIvEENSB_8equal_toIvEES6_EE10hipError_tPvRmT2_T3_T4_T5_mT6_T7_P12ihipStream_tbENKUlT_T0_E_clISt17integral_constantIbLb0EES13_EEDaSY_SZ_EUlSY_E_NS1_11comp_targetILNS1_3genE3ELNS1_11target_archE908ELNS1_3gpuE7ELNS1_3repE0EEENS1_30default_config_static_selectorELNS0_4arch9wavefront6targetE1EEEvT1_
	.globl	_ZN7rocprim17ROCPRIM_400000_NS6detail17trampoline_kernelINS0_14default_configENS1_27scan_by_key_config_selectorIj11FixedVectorIiLj4EEEEZZNS1_16scan_by_key_implILNS1_25lookback_scan_determinismE0ELb0ES3_N6thrust23THRUST_200600_302600_NS6detail15normal_iteratorINSB_10device_ptrIjEEEENSD_INSE_IS6_EEEESI_S6_NSB_4plusIvEENSB_8equal_toIvEES6_EE10hipError_tPvRmT2_T3_T4_T5_mT6_T7_P12ihipStream_tbENKUlT_T0_E_clISt17integral_constantIbLb0EES13_EEDaSY_SZ_EUlSY_E_NS1_11comp_targetILNS1_3genE3ELNS1_11target_archE908ELNS1_3gpuE7ELNS1_3repE0EEENS1_30default_config_static_selectorELNS0_4arch9wavefront6targetE1EEEvT1_
	.p2align	8
	.type	_ZN7rocprim17ROCPRIM_400000_NS6detail17trampoline_kernelINS0_14default_configENS1_27scan_by_key_config_selectorIj11FixedVectorIiLj4EEEEZZNS1_16scan_by_key_implILNS1_25lookback_scan_determinismE0ELb0ES3_N6thrust23THRUST_200600_302600_NS6detail15normal_iteratorINSB_10device_ptrIjEEEENSD_INSE_IS6_EEEESI_S6_NSB_4plusIvEENSB_8equal_toIvEES6_EE10hipError_tPvRmT2_T3_T4_T5_mT6_T7_P12ihipStream_tbENKUlT_T0_E_clISt17integral_constantIbLb0EES13_EEDaSY_SZ_EUlSY_E_NS1_11comp_targetILNS1_3genE3ELNS1_11target_archE908ELNS1_3gpuE7ELNS1_3repE0EEENS1_30default_config_static_selectorELNS0_4arch9wavefront6targetE1EEEvT1_,@function
_ZN7rocprim17ROCPRIM_400000_NS6detail17trampoline_kernelINS0_14default_configENS1_27scan_by_key_config_selectorIj11FixedVectorIiLj4EEEEZZNS1_16scan_by_key_implILNS1_25lookback_scan_determinismE0ELb0ES3_N6thrust23THRUST_200600_302600_NS6detail15normal_iteratorINSB_10device_ptrIjEEEENSD_INSE_IS6_EEEESI_S6_NSB_4plusIvEENSB_8equal_toIvEES6_EE10hipError_tPvRmT2_T3_T4_T5_mT6_T7_P12ihipStream_tbENKUlT_T0_E_clISt17integral_constantIbLb0EES13_EEDaSY_SZ_EUlSY_E_NS1_11comp_targetILNS1_3genE3ELNS1_11target_archE908ELNS1_3gpuE7ELNS1_3repE0EEENS1_30default_config_static_selectorELNS0_4arch9wavefront6targetE1EEEvT1_: ; @_ZN7rocprim17ROCPRIM_400000_NS6detail17trampoline_kernelINS0_14default_configENS1_27scan_by_key_config_selectorIj11FixedVectorIiLj4EEEEZZNS1_16scan_by_key_implILNS1_25lookback_scan_determinismE0ELb0ES3_N6thrust23THRUST_200600_302600_NS6detail15normal_iteratorINSB_10device_ptrIjEEEENSD_INSE_IS6_EEEESI_S6_NSB_4plusIvEENSB_8equal_toIvEES6_EE10hipError_tPvRmT2_T3_T4_T5_mT6_T7_P12ihipStream_tbENKUlT_T0_E_clISt17integral_constantIbLb0EES13_EEDaSY_SZ_EUlSY_E_NS1_11comp_targetILNS1_3genE3ELNS1_11target_archE908ELNS1_3gpuE7ELNS1_3repE0EEENS1_30default_config_static_selectorELNS0_4arch9wavefront6targetE1EEEvT1_
; %bb.0:
	.section	.rodata,"a",@progbits
	.p2align	6, 0x0
	.amdhsa_kernel _ZN7rocprim17ROCPRIM_400000_NS6detail17trampoline_kernelINS0_14default_configENS1_27scan_by_key_config_selectorIj11FixedVectorIiLj4EEEEZZNS1_16scan_by_key_implILNS1_25lookback_scan_determinismE0ELb0ES3_N6thrust23THRUST_200600_302600_NS6detail15normal_iteratorINSB_10device_ptrIjEEEENSD_INSE_IS6_EEEESI_S6_NSB_4plusIvEENSB_8equal_toIvEES6_EE10hipError_tPvRmT2_T3_T4_T5_mT6_T7_P12ihipStream_tbENKUlT_T0_E_clISt17integral_constantIbLb0EES13_EEDaSY_SZ_EUlSY_E_NS1_11comp_targetILNS1_3genE3ELNS1_11target_archE908ELNS1_3gpuE7ELNS1_3repE0EEENS1_30default_config_static_selectorELNS0_4arch9wavefront6targetE1EEEvT1_
		.amdhsa_group_segment_fixed_size 0
		.amdhsa_private_segment_fixed_size 0
		.amdhsa_kernarg_size 144
		.amdhsa_user_sgpr_count 6
		.amdhsa_user_sgpr_private_segment_buffer 1
		.amdhsa_user_sgpr_dispatch_ptr 0
		.amdhsa_user_sgpr_queue_ptr 0
		.amdhsa_user_sgpr_kernarg_segment_ptr 1
		.amdhsa_user_sgpr_dispatch_id 0
		.amdhsa_user_sgpr_flat_scratch_init 0
		.amdhsa_user_sgpr_kernarg_preload_length 0
		.amdhsa_user_sgpr_kernarg_preload_offset 0
		.amdhsa_user_sgpr_private_segment_size 0
		.amdhsa_uses_dynamic_stack 0
		.amdhsa_system_sgpr_private_segment_wavefront_offset 0
		.amdhsa_system_sgpr_workgroup_id_x 1
		.amdhsa_system_sgpr_workgroup_id_y 0
		.amdhsa_system_sgpr_workgroup_id_z 0
		.amdhsa_system_sgpr_workgroup_info 0
		.amdhsa_system_vgpr_workitem_id 0
		.amdhsa_next_free_vgpr 1
		.amdhsa_next_free_sgpr 0
		.amdhsa_accum_offset 4
		.amdhsa_reserve_vcc 0
		.amdhsa_reserve_flat_scratch 0
		.amdhsa_float_round_mode_32 0
		.amdhsa_float_round_mode_16_64 0
		.amdhsa_float_denorm_mode_32 3
		.amdhsa_float_denorm_mode_16_64 3
		.amdhsa_dx10_clamp 1
		.amdhsa_ieee_mode 1
		.amdhsa_fp16_overflow 0
		.amdhsa_tg_split 0
		.amdhsa_exception_fp_ieee_invalid_op 0
		.amdhsa_exception_fp_denorm_src 0
		.amdhsa_exception_fp_ieee_div_zero 0
		.amdhsa_exception_fp_ieee_overflow 0
		.amdhsa_exception_fp_ieee_underflow 0
		.amdhsa_exception_fp_ieee_inexact 0
		.amdhsa_exception_int_div_zero 0
	.end_amdhsa_kernel
	.section	.text._ZN7rocprim17ROCPRIM_400000_NS6detail17trampoline_kernelINS0_14default_configENS1_27scan_by_key_config_selectorIj11FixedVectorIiLj4EEEEZZNS1_16scan_by_key_implILNS1_25lookback_scan_determinismE0ELb0ES3_N6thrust23THRUST_200600_302600_NS6detail15normal_iteratorINSB_10device_ptrIjEEEENSD_INSE_IS6_EEEESI_S6_NSB_4plusIvEENSB_8equal_toIvEES6_EE10hipError_tPvRmT2_T3_T4_T5_mT6_T7_P12ihipStream_tbENKUlT_T0_E_clISt17integral_constantIbLb0EES13_EEDaSY_SZ_EUlSY_E_NS1_11comp_targetILNS1_3genE3ELNS1_11target_archE908ELNS1_3gpuE7ELNS1_3repE0EEENS1_30default_config_static_selectorELNS0_4arch9wavefront6targetE1EEEvT1_,"axG",@progbits,_ZN7rocprim17ROCPRIM_400000_NS6detail17trampoline_kernelINS0_14default_configENS1_27scan_by_key_config_selectorIj11FixedVectorIiLj4EEEEZZNS1_16scan_by_key_implILNS1_25lookback_scan_determinismE0ELb0ES3_N6thrust23THRUST_200600_302600_NS6detail15normal_iteratorINSB_10device_ptrIjEEEENSD_INSE_IS6_EEEESI_S6_NSB_4plusIvEENSB_8equal_toIvEES6_EE10hipError_tPvRmT2_T3_T4_T5_mT6_T7_P12ihipStream_tbENKUlT_T0_E_clISt17integral_constantIbLb0EES13_EEDaSY_SZ_EUlSY_E_NS1_11comp_targetILNS1_3genE3ELNS1_11target_archE908ELNS1_3gpuE7ELNS1_3repE0EEENS1_30default_config_static_selectorELNS0_4arch9wavefront6targetE1EEEvT1_,comdat
.Lfunc_end2037:
	.size	_ZN7rocprim17ROCPRIM_400000_NS6detail17trampoline_kernelINS0_14default_configENS1_27scan_by_key_config_selectorIj11FixedVectorIiLj4EEEEZZNS1_16scan_by_key_implILNS1_25lookback_scan_determinismE0ELb0ES3_N6thrust23THRUST_200600_302600_NS6detail15normal_iteratorINSB_10device_ptrIjEEEENSD_INSE_IS6_EEEESI_S6_NSB_4plusIvEENSB_8equal_toIvEES6_EE10hipError_tPvRmT2_T3_T4_T5_mT6_T7_P12ihipStream_tbENKUlT_T0_E_clISt17integral_constantIbLb0EES13_EEDaSY_SZ_EUlSY_E_NS1_11comp_targetILNS1_3genE3ELNS1_11target_archE908ELNS1_3gpuE7ELNS1_3repE0EEENS1_30default_config_static_selectorELNS0_4arch9wavefront6targetE1EEEvT1_, .Lfunc_end2037-_ZN7rocprim17ROCPRIM_400000_NS6detail17trampoline_kernelINS0_14default_configENS1_27scan_by_key_config_selectorIj11FixedVectorIiLj4EEEEZZNS1_16scan_by_key_implILNS1_25lookback_scan_determinismE0ELb0ES3_N6thrust23THRUST_200600_302600_NS6detail15normal_iteratorINSB_10device_ptrIjEEEENSD_INSE_IS6_EEEESI_S6_NSB_4plusIvEENSB_8equal_toIvEES6_EE10hipError_tPvRmT2_T3_T4_T5_mT6_T7_P12ihipStream_tbENKUlT_T0_E_clISt17integral_constantIbLb0EES13_EEDaSY_SZ_EUlSY_E_NS1_11comp_targetILNS1_3genE3ELNS1_11target_archE908ELNS1_3gpuE7ELNS1_3repE0EEENS1_30default_config_static_selectorELNS0_4arch9wavefront6targetE1EEEvT1_
                                        ; -- End function
	.section	.AMDGPU.csdata,"",@progbits
; Kernel info:
; codeLenInByte = 0
; NumSgprs: 4
; NumVgprs: 0
; NumAgprs: 0
; TotalNumVgprs: 0
; ScratchSize: 0
; MemoryBound: 0
; FloatMode: 240
; IeeeMode: 1
; LDSByteSize: 0 bytes/workgroup (compile time only)
; SGPRBlocks: 0
; VGPRBlocks: 0
; NumSGPRsForWavesPerEU: 4
; NumVGPRsForWavesPerEU: 1
; AccumOffset: 4
; Occupancy: 8
; WaveLimiterHint : 0
; COMPUTE_PGM_RSRC2:SCRATCH_EN: 0
; COMPUTE_PGM_RSRC2:USER_SGPR: 6
; COMPUTE_PGM_RSRC2:TRAP_HANDLER: 0
; COMPUTE_PGM_RSRC2:TGID_X_EN: 1
; COMPUTE_PGM_RSRC2:TGID_Y_EN: 0
; COMPUTE_PGM_RSRC2:TGID_Z_EN: 0
; COMPUTE_PGM_RSRC2:TIDIG_COMP_CNT: 0
; COMPUTE_PGM_RSRC3_GFX90A:ACCUM_OFFSET: 0
; COMPUTE_PGM_RSRC3_GFX90A:TG_SPLIT: 0
	.section	.text._ZN7rocprim17ROCPRIM_400000_NS6detail17trampoline_kernelINS0_14default_configENS1_27scan_by_key_config_selectorIj11FixedVectorIiLj4EEEEZZNS1_16scan_by_key_implILNS1_25lookback_scan_determinismE0ELb0ES3_N6thrust23THRUST_200600_302600_NS6detail15normal_iteratorINSB_10device_ptrIjEEEENSD_INSE_IS6_EEEESI_S6_NSB_4plusIvEENSB_8equal_toIvEES6_EE10hipError_tPvRmT2_T3_T4_T5_mT6_T7_P12ihipStream_tbENKUlT_T0_E_clISt17integral_constantIbLb0EES13_EEDaSY_SZ_EUlSY_E_NS1_11comp_targetILNS1_3genE2ELNS1_11target_archE906ELNS1_3gpuE6ELNS1_3repE0EEENS1_30default_config_static_selectorELNS0_4arch9wavefront6targetE1EEEvT1_,"axG",@progbits,_ZN7rocprim17ROCPRIM_400000_NS6detail17trampoline_kernelINS0_14default_configENS1_27scan_by_key_config_selectorIj11FixedVectorIiLj4EEEEZZNS1_16scan_by_key_implILNS1_25lookback_scan_determinismE0ELb0ES3_N6thrust23THRUST_200600_302600_NS6detail15normal_iteratorINSB_10device_ptrIjEEEENSD_INSE_IS6_EEEESI_S6_NSB_4plusIvEENSB_8equal_toIvEES6_EE10hipError_tPvRmT2_T3_T4_T5_mT6_T7_P12ihipStream_tbENKUlT_T0_E_clISt17integral_constantIbLb0EES13_EEDaSY_SZ_EUlSY_E_NS1_11comp_targetILNS1_3genE2ELNS1_11target_archE906ELNS1_3gpuE6ELNS1_3repE0EEENS1_30default_config_static_selectorELNS0_4arch9wavefront6targetE1EEEvT1_,comdat
	.protected	_ZN7rocprim17ROCPRIM_400000_NS6detail17trampoline_kernelINS0_14default_configENS1_27scan_by_key_config_selectorIj11FixedVectorIiLj4EEEEZZNS1_16scan_by_key_implILNS1_25lookback_scan_determinismE0ELb0ES3_N6thrust23THRUST_200600_302600_NS6detail15normal_iteratorINSB_10device_ptrIjEEEENSD_INSE_IS6_EEEESI_S6_NSB_4plusIvEENSB_8equal_toIvEES6_EE10hipError_tPvRmT2_T3_T4_T5_mT6_T7_P12ihipStream_tbENKUlT_T0_E_clISt17integral_constantIbLb0EES13_EEDaSY_SZ_EUlSY_E_NS1_11comp_targetILNS1_3genE2ELNS1_11target_archE906ELNS1_3gpuE6ELNS1_3repE0EEENS1_30default_config_static_selectorELNS0_4arch9wavefront6targetE1EEEvT1_ ; -- Begin function _ZN7rocprim17ROCPRIM_400000_NS6detail17trampoline_kernelINS0_14default_configENS1_27scan_by_key_config_selectorIj11FixedVectorIiLj4EEEEZZNS1_16scan_by_key_implILNS1_25lookback_scan_determinismE0ELb0ES3_N6thrust23THRUST_200600_302600_NS6detail15normal_iteratorINSB_10device_ptrIjEEEENSD_INSE_IS6_EEEESI_S6_NSB_4plusIvEENSB_8equal_toIvEES6_EE10hipError_tPvRmT2_T3_T4_T5_mT6_T7_P12ihipStream_tbENKUlT_T0_E_clISt17integral_constantIbLb0EES13_EEDaSY_SZ_EUlSY_E_NS1_11comp_targetILNS1_3genE2ELNS1_11target_archE906ELNS1_3gpuE6ELNS1_3repE0EEENS1_30default_config_static_selectorELNS0_4arch9wavefront6targetE1EEEvT1_
	.globl	_ZN7rocprim17ROCPRIM_400000_NS6detail17trampoline_kernelINS0_14default_configENS1_27scan_by_key_config_selectorIj11FixedVectorIiLj4EEEEZZNS1_16scan_by_key_implILNS1_25lookback_scan_determinismE0ELb0ES3_N6thrust23THRUST_200600_302600_NS6detail15normal_iteratorINSB_10device_ptrIjEEEENSD_INSE_IS6_EEEESI_S6_NSB_4plusIvEENSB_8equal_toIvEES6_EE10hipError_tPvRmT2_T3_T4_T5_mT6_T7_P12ihipStream_tbENKUlT_T0_E_clISt17integral_constantIbLb0EES13_EEDaSY_SZ_EUlSY_E_NS1_11comp_targetILNS1_3genE2ELNS1_11target_archE906ELNS1_3gpuE6ELNS1_3repE0EEENS1_30default_config_static_selectorELNS0_4arch9wavefront6targetE1EEEvT1_
	.p2align	8
	.type	_ZN7rocprim17ROCPRIM_400000_NS6detail17trampoline_kernelINS0_14default_configENS1_27scan_by_key_config_selectorIj11FixedVectorIiLj4EEEEZZNS1_16scan_by_key_implILNS1_25lookback_scan_determinismE0ELb0ES3_N6thrust23THRUST_200600_302600_NS6detail15normal_iteratorINSB_10device_ptrIjEEEENSD_INSE_IS6_EEEESI_S6_NSB_4plusIvEENSB_8equal_toIvEES6_EE10hipError_tPvRmT2_T3_T4_T5_mT6_T7_P12ihipStream_tbENKUlT_T0_E_clISt17integral_constantIbLb0EES13_EEDaSY_SZ_EUlSY_E_NS1_11comp_targetILNS1_3genE2ELNS1_11target_archE906ELNS1_3gpuE6ELNS1_3repE0EEENS1_30default_config_static_selectorELNS0_4arch9wavefront6targetE1EEEvT1_,@function
_ZN7rocprim17ROCPRIM_400000_NS6detail17trampoline_kernelINS0_14default_configENS1_27scan_by_key_config_selectorIj11FixedVectorIiLj4EEEEZZNS1_16scan_by_key_implILNS1_25lookback_scan_determinismE0ELb0ES3_N6thrust23THRUST_200600_302600_NS6detail15normal_iteratorINSB_10device_ptrIjEEEENSD_INSE_IS6_EEEESI_S6_NSB_4plusIvEENSB_8equal_toIvEES6_EE10hipError_tPvRmT2_T3_T4_T5_mT6_T7_P12ihipStream_tbENKUlT_T0_E_clISt17integral_constantIbLb0EES13_EEDaSY_SZ_EUlSY_E_NS1_11comp_targetILNS1_3genE2ELNS1_11target_archE906ELNS1_3gpuE6ELNS1_3repE0EEENS1_30default_config_static_selectorELNS0_4arch9wavefront6targetE1EEEvT1_: ; @_ZN7rocprim17ROCPRIM_400000_NS6detail17trampoline_kernelINS0_14default_configENS1_27scan_by_key_config_selectorIj11FixedVectorIiLj4EEEEZZNS1_16scan_by_key_implILNS1_25lookback_scan_determinismE0ELb0ES3_N6thrust23THRUST_200600_302600_NS6detail15normal_iteratorINSB_10device_ptrIjEEEENSD_INSE_IS6_EEEESI_S6_NSB_4plusIvEENSB_8equal_toIvEES6_EE10hipError_tPvRmT2_T3_T4_T5_mT6_T7_P12ihipStream_tbENKUlT_T0_E_clISt17integral_constantIbLb0EES13_EEDaSY_SZ_EUlSY_E_NS1_11comp_targetILNS1_3genE2ELNS1_11target_archE906ELNS1_3gpuE6ELNS1_3repE0EEENS1_30default_config_static_selectorELNS0_4arch9wavefront6targetE1EEEvT1_
; %bb.0:
	.section	.rodata,"a",@progbits
	.p2align	6, 0x0
	.amdhsa_kernel _ZN7rocprim17ROCPRIM_400000_NS6detail17trampoline_kernelINS0_14default_configENS1_27scan_by_key_config_selectorIj11FixedVectorIiLj4EEEEZZNS1_16scan_by_key_implILNS1_25lookback_scan_determinismE0ELb0ES3_N6thrust23THRUST_200600_302600_NS6detail15normal_iteratorINSB_10device_ptrIjEEEENSD_INSE_IS6_EEEESI_S6_NSB_4plusIvEENSB_8equal_toIvEES6_EE10hipError_tPvRmT2_T3_T4_T5_mT6_T7_P12ihipStream_tbENKUlT_T0_E_clISt17integral_constantIbLb0EES13_EEDaSY_SZ_EUlSY_E_NS1_11comp_targetILNS1_3genE2ELNS1_11target_archE906ELNS1_3gpuE6ELNS1_3repE0EEENS1_30default_config_static_selectorELNS0_4arch9wavefront6targetE1EEEvT1_
		.amdhsa_group_segment_fixed_size 0
		.amdhsa_private_segment_fixed_size 0
		.amdhsa_kernarg_size 144
		.amdhsa_user_sgpr_count 6
		.amdhsa_user_sgpr_private_segment_buffer 1
		.amdhsa_user_sgpr_dispatch_ptr 0
		.amdhsa_user_sgpr_queue_ptr 0
		.amdhsa_user_sgpr_kernarg_segment_ptr 1
		.amdhsa_user_sgpr_dispatch_id 0
		.amdhsa_user_sgpr_flat_scratch_init 0
		.amdhsa_user_sgpr_kernarg_preload_length 0
		.amdhsa_user_sgpr_kernarg_preload_offset 0
		.amdhsa_user_sgpr_private_segment_size 0
		.amdhsa_uses_dynamic_stack 0
		.amdhsa_system_sgpr_private_segment_wavefront_offset 0
		.amdhsa_system_sgpr_workgroup_id_x 1
		.amdhsa_system_sgpr_workgroup_id_y 0
		.amdhsa_system_sgpr_workgroup_id_z 0
		.amdhsa_system_sgpr_workgroup_info 0
		.amdhsa_system_vgpr_workitem_id 0
		.amdhsa_next_free_vgpr 1
		.amdhsa_next_free_sgpr 0
		.amdhsa_accum_offset 4
		.amdhsa_reserve_vcc 0
		.amdhsa_reserve_flat_scratch 0
		.amdhsa_float_round_mode_32 0
		.amdhsa_float_round_mode_16_64 0
		.amdhsa_float_denorm_mode_32 3
		.amdhsa_float_denorm_mode_16_64 3
		.amdhsa_dx10_clamp 1
		.amdhsa_ieee_mode 1
		.amdhsa_fp16_overflow 0
		.amdhsa_tg_split 0
		.amdhsa_exception_fp_ieee_invalid_op 0
		.amdhsa_exception_fp_denorm_src 0
		.amdhsa_exception_fp_ieee_div_zero 0
		.amdhsa_exception_fp_ieee_overflow 0
		.amdhsa_exception_fp_ieee_underflow 0
		.amdhsa_exception_fp_ieee_inexact 0
		.amdhsa_exception_int_div_zero 0
	.end_amdhsa_kernel
	.section	.text._ZN7rocprim17ROCPRIM_400000_NS6detail17trampoline_kernelINS0_14default_configENS1_27scan_by_key_config_selectorIj11FixedVectorIiLj4EEEEZZNS1_16scan_by_key_implILNS1_25lookback_scan_determinismE0ELb0ES3_N6thrust23THRUST_200600_302600_NS6detail15normal_iteratorINSB_10device_ptrIjEEEENSD_INSE_IS6_EEEESI_S6_NSB_4plusIvEENSB_8equal_toIvEES6_EE10hipError_tPvRmT2_T3_T4_T5_mT6_T7_P12ihipStream_tbENKUlT_T0_E_clISt17integral_constantIbLb0EES13_EEDaSY_SZ_EUlSY_E_NS1_11comp_targetILNS1_3genE2ELNS1_11target_archE906ELNS1_3gpuE6ELNS1_3repE0EEENS1_30default_config_static_selectorELNS0_4arch9wavefront6targetE1EEEvT1_,"axG",@progbits,_ZN7rocprim17ROCPRIM_400000_NS6detail17trampoline_kernelINS0_14default_configENS1_27scan_by_key_config_selectorIj11FixedVectorIiLj4EEEEZZNS1_16scan_by_key_implILNS1_25lookback_scan_determinismE0ELb0ES3_N6thrust23THRUST_200600_302600_NS6detail15normal_iteratorINSB_10device_ptrIjEEEENSD_INSE_IS6_EEEESI_S6_NSB_4plusIvEENSB_8equal_toIvEES6_EE10hipError_tPvRmT2_T3_T4_T5_mT6_T7_P12ihipStream_tbENKUlT_T0_E_clISt17integral_constantIbLb0EES13_EEDaSY_SZ_EUlSY_E_NS1_11comp_targetILNS1_3genE2ELNS1_11target_archE906ELNS1_3gpuE6ELNS1_3repE0EEENS1_30default_config_static_selectorELNS0_4arch9wavefront6targetE1EEEvT1_,comdat
.Lfunc_end2038:
	.size	_ZN7rocprim17ROCPRIM_400000_NS6detail17trampoline_kernelINS0_14default_configENS1_27scan_by_key_config_selectorIj11FixedVectorIiLj4EEEEZZNS1_16scan_by_key_implILNS1_25lookback_scan_determinismE0ELb0ES3_N6thrust23THRUST_200600_302600_NS6detail15normal_iteratorINSB_10device_ptrIjEEEENSD_INSE_IS6_EEEESI_S6_NSB_4plusIvEENSB_8equal_toIvEES6_EE10hipError_tPvRmT2_T3_T4_T5_mT6_T7_P12ihipStream_tbENKUlT_T0_E_clISt17integral_constantIbLb0EES13_EEDaSY_SZ_EUlSY_E_NS1_11comp_targetILNS1_3genE2ELNS1_11target_archE906ELNS1_3gpuE6ELNS1_3repE0EEENS1_30default_config_static_selectorELNS0_4arch9wavefront6targetE1EEEvT1_, .Lfunc_end2038-_ZN7rocprim17ROCPRIM_400000_NS6detail17trampoline_kernelINS0_14default_configENS1_27scan_by_key_config_selectorIj11FixedVectorIiLj4EEEEZZNS1_16scan_by_key_implILNS1_25lookback_scan_determinismE0ELb0ES3_N6thrust23THRUST_200600_302600_NS6detail15normal_iteratorINSB_10device_ptrIjEEEENSD_INSE_IS6_EEEESI_S6_NSB_4plusIvEENSB_8equal_toIvEES6_EE10hipError_tPvRmT2_T3_T4_T5_mT6_T7_P12ihipStream_tbENKUlT_T0_E_clISt17integral_constantIbLb0EES13_EEDaSY_SZ_EUlSY_E_NS1_11comp_targetILNS1_3genE2ELNS1_11target_archE906ELNS1_3gpuE6ELNS1_3repE0EEENS1_30default_config_static_selectorELNS0_4arch9wavefront6targetE1EEEvT1_
                                        ; -- End function
	.section	.AMDGPU.csdata,"",@progbits
; Kernel info:
; codeLenInByte = 0
; NumSgprs: 4
; NumVgprs: 0
; NumAgprs: 0
; TotalNumVgprs: 0
; ScratchSize: 0
; MemoryBound: 0
; FloatMode: 240
; IeeeMode: 1
; LDSByteSize: 0 bytes/workgroup (compile time only)
; SGPRBlocks: 0
; VGPRBlocks: 0
; NumSGPRsForWavesPerEU: 4
; NumVGPRsForWavesPerEU: 1
; AccumOffset: 4
; Occupancy: 8
; WaveLimiterHint : 0
; COMPUTE_PGM_RSRC2:SCRATCH_EN: 0
; COMPUTE_PGM_RSRC2:USER_SGPR: 6
; COMPUTE_PGM_RSRC2:TRAP_HANDLER: 0
; COMPUTE_PGM_RSRC2:TGID_X_EN: 1
; COMPUTE_PGM_RSRC2:TGID_Y_EN: 0
; COMPUTE_PGM_RSRC2:TGID_Z_EN: 0
; COMPUTE_PGM_RSRC2:TIDIG_COMP_CNT: 0
; COMPUTE_PGM_RSRC3_GFX90A:ACCUM_OFFSET: 0
; COMPUTE_PGM_RSRC3_GFX90A:TG_SPLIT: 0
	.section	.text._ZN7rocprim17ROCPRIM_400000_NS6detail17trampoline_kernelINS0_14default_configENS1_27scan_by_key_config_selectorIj11FixedVectorIiLj4EEEEZZNS1_16scan_by_key_implILNS1_25lookback_scan_determinismE0ELb0ES3_N6thrust23THRUST_200600_302600_NS6detail15normal_iteratorINSB_10device_ptrIjEEEENSD_INSE_IS6_EEEESI_S6_NSB_4plusIvEENSB_8equal_toIvEES6_EE10hipError_tPvRmT2_T3_T4_T5_mT6_T7_P12ihipStream_tbENKUlT_T0_E_clISt17integral_constantIbLb0EES13_EEDaSY_SZ_EUlSY_E_NS1_11comp_targetILNS1_3genE10ELNS1_11target_archE1200ELNS1_3gpuE4ELNS1_3repE0EEENS1_30default_config_static_selectorELNS0_4arch9wavefront6targetE1EEEvT1_,"axG",@progbits,_ZN7rocprim17ROCPRIM_400000_NS6detail17trampoline_kernelINS0_14default_configENS1_27scan_by_key_config_selectorIj11FixedVectorIiLj4EEEEZZNS1_16scan_by_key_implILNS1_25lookback_scan_determinismE0ELb0ES3_N6thrust23THRUST_200600_302600_NS6detail15normal_iteratorINSB_10device_ptrIjEEEENSD_INSE_IS6_EEEESI_S6_NSB_4plusIvEENSB_8equal_toIvEES6_EE10hipError_tPvRmT2_T3_T4_T5_mT6_T7_P12ihipStream_tbENKUlT_T0_E_clISt17integral_constantIbLb0EES13_EEDaSY_SZ_EUlSY_E_NS1_11comp_targetILNS1_3genE10ELNS1_11target_archE1200ELNS1_3gpuE4ELNS1_3repE0EEENS1_30default_config_static_selectorELNS0_4arch9wavefront6targetE1EEEvT1_,comdat
	.protected	_ZN7rocprim17ROCPRIM_400000_NS6detail17trampoline_kernelINS0_14default_configENS1_27scan_by_key_config_selectorIj11FixedVectorIiLj4EEEEZZNS1_16scan_by_key_implILNS1_25lookback_scan_determinismE0ELb0ES3_N6thrust23THRUST_200600_302600_NS6detail15normal_iteratorINSB_10device_ptrIjEEEENSD_INSE_IS6_EEEESI_S6_NSB_4plusIvEENSB_8equal_toIvEES6_EE10hipError_tPvRmT2_T3_T4_T5_mT6_T7_P12ihipStream_tbENKUlT_T0_E_clISt17integral_constantIbLb0EES13_EEDaSY_SZ_EUlSY_E_NS1_11comp_targetILNS1_3genE10ELNS1_11target_archE1200ELNS1_3gpuE4ELNS1_3repE0EEENS1_30default_config_static_selectorELNS0_4arch9wavefront6targetE1EEEvT1_ ; -- Begin function _ZN7rocprim17ROCPRIM_400000_NS6detail17trampoline_kernelINS0_14default_configENS1_27scan_by_key_config_selectorIj11FixedVectorIiLj4EEEEZZNS1_16scan_by_key_implILNS1_25lookback_scan_determinismE0ELb0ES3_N6thrust23THRUST_200600_302600_NS6detail15normal_iteratorINSB_10device_ptrIjEEEENSD_INSE_IS6_EEEESI_S6_NSB_4plusIvEENSB_8equal_toIvEES6_EE10hipError_tPvRmT2_T3_T4_T5_mT6_T7_P12ihipStream_tbENKUlT_T0_E_clISt17integral_constantIbLb0EES13_EEDaSY_SZ_EUlSY_E_NS1_11comp_targetILNS1_3genE10ELNS1_11target_archE1200ELNS1_3gpuE4ELNS1_3repE0EEENS1_30default_config_static_selectorELNS0_4arch9wavefront6targetE1EEEvT1_
	.globl	_ZN7rocprim17ROCPRIM_400000_NS6detail17trampoline_kernelINS0_14default_configENS1_27scan_by_key_config_selectorIj11FixedVectorIiLj4EEEEZZNS1_16scan_by_key_implILNS1_25lookback_scan_determinismE0ELb0ES3_N6thrust23THRUST_200600_302600_NS6detail15normal_iteratorINSB_10device_ptrIjEEEENSD_INSE_IS6_EEEESI_S6_NSB_4plusIvEENSB_8equal_toIvEES6_EE10hipError_tPvRmT2_T3_T4_T5_mT6_T7_P12ihipStream_tbENKUlT_T0_E_clISt17integral_constantIbLb0EES13_EEDaSY_SZ_EUlSY_E_NS1_11comp_targetILNS1_3genE10ELNS1_11target_archE1200ELNS1_3gpuE4ELNS1_3repE0EEENS1_30default_config_static_selectorELNS0_4arch9wavefront6targetE1EEEvT1_
	.p2align	8
	.type	_ZN7rocprim17ROCPRIM_400000_NS6detail17trampoline_kernelINS0_14default_configENS1_27scan_by_key_config_selectorIj11FixedVectorIiLj4EEEEZZNS1_16scan_by_key_implILNS1_25lookback_scan_determinismE0ELb0ES3_N6thrust23THRUST_200600_302600_NS6detail15normal_iteratorINSB_10device_ptrIjEEEENSD_INSE_IS6_EEEESI_S6_NSB_4plusIvEENSB_8equal_toIvEES6_EE10hipError_tPvRmT2_T3_T4_T5_mT6_T7_P12ihipStream_tbENKUlT_T0_E_clISt17integral_constantIbLb0EES13_EEDaSY_SZ_EUlSY_E_NS1_11comp_targetILNS1_3genE10ELNS1_11target_archE1200ELNS1_3gpuE4ELNS1_3repE0EEENS1_30default_config_static_selectorELNS0_4arch9wavefront6targetE1EEEvT1_,@function
_ZN7rocprim17ROCPRIM_400000_NS6detail17trampoline_kernelINS0_14default_configENS1_27scan_by_key_config_selectorIj11FixedVectorIiLj4EEEEZZNS1_16scan_by_key_implILNS1_25lookback_scan_determinismE0ELb0ES3_N6thrust23THRUST_200600_302600_NS6detail15normal_iteratorINSB_10device_ptrIjEEEENSD_INSE_IS6_EEEESI_S6_NSB_4plusIvEENSB_8equal_toIvEES6_EE10hipError_tPvRmT2_T3_T4_T5_mT6_T7_P12ihipStream_tbENKUlT_T0_E_clISt17integral_constantIbLb0EES13_EEDaSY_SZ_EUlSY_E_NS1_11comp_targetILNS1_3genE10ELNS1_11target_archE1200ELNS1_3gpuE4ELNS1_3repE0EEENS1_30default_config_static_selectorELNS0_4arch9wavefront6targetE1EEEvT1_: ; @_ZN7rocprim17ROCPRIM_400000_NS6detail17trampoline_kernelINS0_14default_configENS1_27scan_by_key_config_selectorIj11FixedVectorIiLj4EEEEZZNS1_16scan_by_key_implILNS1_25lookback_scan_determinismE0ELb0ES3_N6thrust23THRUST_200600_302600_NS6detail15normal_iteratorINSB_10device_ptrIjEEEENSD_INSE_IS6_EEEESI_S6_NSB_4plusIvEENSB_8equal_toIvEES6_EE10hipError_tPvRmT2_T3_T4_T5_mT6_T7_P12ihipStream_tbENKUlT_T0_E_clISt17integral_constantIbLb0EES13_EEDaSY_SZ_EUlSY_E_NS1_11comp_targetILNS1_3genE10ELNS1_11target_archE1200ELNS1_3gpuE4ELNS1_3repE0EEENS1_30default_config_static_selectorELNS0_4arch9wavefront6targetE1EEEvT1_
; %bb.0:
	.section	.rodata,"a",@progbits
	.p2align	6, 0x0
	.amdhsa_kernel _ZN7rocprim17ROCPRIM_400000_NS6detail17trampoline_kernelINS0_14default_configENS1_27scan_by_key_config_selectorIj11FixedVectorIiLj4EEEEZZNS1_16scan_by_key_implILNS1_25lookback_scan_determinismE0ELb0ES3_N6thrust23THRUST_200600_302600_NS6detail15normal_iteratorINSB_10device_ptrIjEEEENSD_INSE_IS6_EEEESI_S6_NSB_4plusIvEENSB_8equal_toIvEES6_EE10hipError_tPvRmT2_T3_T4_T5_mT6_T7_P12ihipStream_tbENKUlT_T0_E_clISt17integral_constantIbLb0EES13_EEDaSY_SZ_EUlSY_E_NS1_11comp_targetILNS1_3genE10ELNS1_11target_archE1200ELNS1_3gpuE4ELNS1_3repE0EEENS1_30default_config_static_selectorELNS0_4arch9wavefront6targetE1EEEvT1_
		.amdhsa_group_segment_fixed_size 0
		.amdhsa_private_segment_fixed_size 0
		.amdhsa_kernarg_size 144
		.amdhsa_user_sgpr_count 6
		.amdhsa_user_sgpr_private_segment_buffer 1
		.amdhsa_user_sgpr_dispatch_ptr 0
		.amdhsa_user_sgpr_queue_ptr 0
		.amdhsa_user_sgpr_kernarg_segment_ptr 1
		.amdhsa_user_sgpr_dispatch_id 0
		.amdhsa_user_sgpr_flat_scratch_init 0
		.amdhsa_user_sgpr_kernarg_preload_length 0
		.amdhsa_user_sgpr_kernarg_preload_offset 0
		.amdhsa_user_sgpr_private_segment_size 0
		.amdhsa_uses_dynamic_stack 0
		.amdhsa_system_sgpr_private_segment_wavefront_offset 0
		.amdhsa_system_sgpr_workgroup_id_x 1
		.amdhsa_system_sgpr_workgroup_id_y 0
		.amdhsa_system_sgpr_workgroup_id_z 0
		.amdhsa_system_sgpr_workgroup_info 0
		.amdhsa_system_vgpr_workitem_id 0
		.amdhsa_next_free_vgpr 1
		.amdhsa_next_free_sgpr 0
		.amdhsa_accum_offset 4
		.amdhsa_reserve_vcc 0
		.amdhsa_reserve_flat_scratch 0
		.amdhsa_float_round_mode_32 0
		.amdhsa_float_round_mode_16_64 0
		.amdhsa_float_denorm_mode_32 3
		.amdhsa_float_denorm_mode_16_64 3
		.amdhsa_dx10_clamp 1
		.amdhsa_ieee_mode 1
		.amdhsa_fp16_overflow 0
		.amdhsa_tg_split 0
		.amdhsa_exception_fp_ieee_invalid_op 0
		.amdhsa_exception_fp_denorm_src 0
		.amdhsa_exception_fp_ieee_div_zero 0
		.amdhsa_exception_fp_ieee_overflow 0
		.amdhsa_exception_fp_ieee_underflow 0
		.amdhsa_exception_fp_ieee_inexact 0
		.amdhsa_exception_int_div_zero 0
	.end_amdhsa_kernel
	.section	.text._ZN7rocprim17ROCPRIM_400000_NS6detail17trampoline_kernelINS0_14default_configENS1_27scan_by_key_config_selectorIj11FixedVectorIiLj4EEEEZZNS1_16scan_by_key_implILNS1_25lookback_scan_determinismE0ELb0ES3_N6thrust23THRUST_200600_302600_NS6detail15normal_iteratorINSB_10device_ptrIjEEEENSD_INSE_IS6_EEEESI_S6_NSB_4plusIvEENSB_8equal_toIvEES6_EE10hipError_tPvRmT2_T3_T4_T5_mT6_T7_P12ihipStream_tbENKUlT_T0_E_clISt17integral_constantIbLb0EES13_EEDaSY_SZ_EUlSY_E_NS1_11comp_targetILNS1_3genE10ELNS1_11target_archE1200ELNS1_3gpuE4ELNS1_3repE0EEENS1_30default_config_static_selectorELNS0_4arch9wavefront6targetE1EEEvT1_,"axG",@progbits,_ZN7rocprim17ROCPRIM_400000_NS6detail17trampoline_kernelINS0_14default_configENS1_27scan_by_key_config_selectorIj11FixedVectorIiLj4EEEEZZNS1_16scan_by_key_implILNS1_25lookback_scan_determinismE0ELb0ES3_N6thrust23THRUST_200600_302600_NS6detail15normal_iteratorINSB_10device_ptrIjEEEENSD_INSE_IS6_EEEESI_S6_NSB_4plusIvEENSB_8equal_toIvEES6_EE10hipError_tPvRmT2_T3_T4_T5_mT6_T7_P12ihipStream_tbENKUlT_T0_E_clISt17integral_constantIbLb0EES13_EEDaSY_SZ_EUlSY_E_NS1_11comp_targetILNS1_3genE10ELNS1_11target_archE1200ELNS1_3gpuE4ELNS1_3repE0EEENS1_30default_config_static_selectorELNS0_4arch9wavefront6targetE1EEEvT1_,comdat
.Lfunc_end2039:
	.size	_ZN7rocprim17ROCPRIM_400000_NS6detail17trampoline_kernelINS0_14default_configENS1_27scan_by_key_config_selectorIj11FixedVectorIiLj4EEEEZZNS1_16scan_by_key_implILNS1_25lookback_scan_determinismE0ELb0ES3_N6thrust23THRUST_200600_302600_NS6detail15normal_iteratorINSB_10device_ptrIjEEEENSD_INSE_IS6_EEEESI_S6_NSB_4plusIvEENSB_8equal_toIvEES6_EE10hipError_tPvRmT2_T3_T4_T5_mT6_T7_P12ihipStream_tbENKUlT_T0_E_clISt17integral_constantIbLb0EES13_EEDaSY_SZ_EUlSY_E_NS1_11comp_targetILNS1_3genE10ELNS1_11target_archE1200ELNS1_3gpuE4ELNS1_3repE0EEENS1_30default_config_static_selectorELNS0_4arch9wavefront6targetE1EEEvT1_, .Lfunc_end2039-_ZN7rocprim17ROCPRIM_400000_NS6detail17trampoline_kernelINS0_14default_configENS1_27scan_by_key_config_selectorIj11FixedVectorIiLj4EEEEZZNS1_16scan_by_key_implILNS1_25lookback_scan_determinismE0ELb0ES3_N6thrust23THRUST_200600_302600_NS6detail15normal_iteratorINSB_10device_ptrIjEEEENSD_INSE_IS6_EEEESI_S6_NSB_4plusIvEENSB_8equal_toIvEES6_EE10hipError_tPvRmT2_T3_T4_T5_mT6_T7_P12ihipStream_tbENKUlT_T0_E_clISt17integral_constantIbLb0EES13_EEDaSY_SZ_EUlSY_E_NS1_11comp_targetILNS1_3genE10ELNS1_11target_archE1200ELNS1_3gpuE4ELNS1_3repE0EEENS1_30default_config_static_selectorELNS0_4arch9wavefront6targetE1EEEvT1_
                                        ; -- End function
	.section	.AMDGPU.csdata,"",@progbits
; Kernel info:
; codeLenInByte = 0
; NumSgprs: 4
; NumVgprs: 0
; NumAgprs: 0
; TotalNumVgprs: 0
; ScratchSize: 0
; MemoryBound: 0
; FloatMode: 240
; IeeeMode: 1
; LDSByteSize: 0 bytes/workgroup (compile time only)
; SGPRBlocks: 0
; VGPRBlocks: 0
; NumSGPRsForWavesPerEU: 4
; NumVGPRsForWavesPerEU: 1
; AccumOffset: 4
; Occupancy: 8
; WaveLimiterHint : 0
; COMPUTE_PGM_RSRC2:SCRATCH_EN: 0
; COMPUTE_PGM_RSRC2:USER_SGPR: 6
; COMPUTE_PGM_RSRC2:TRAP_HANDLER: 0
; COMPUTE_PGM_RSRC2:TGID_X_EN: 1
; COMPUTE_PGM_RSRC2:TGID_Y_EN: 0
; COMPUTE_PGM_RSRC2:TGID_Z_EN: 0
; COMPUTE_PGM_RSRC2:TIDIG_COMP_CNT: 0
; COMPUTE_PGM_RSRC3_GFX90A:ACCUM_OFFSET: 0
; COMPUTE_PGM_RSRC3_GFX90A:TG_SPLIT: 0
	.section	.text._ZN7rocprim17ROCPRIM_400000_NS6detail17trampoline_kernelINS0_14default_configENS1_27scan_by_key_config_selectorIj11FixedVectorIiLj4EEEEZZNS1_16scan_by_key_implILNS1_25lookback_scan_determinismE0ELb0ES3_N6thrust23THRUST_200600_302600_NS6detail15normal_iteratorINSB_10device_ptrIjEEEENSD_INSE_IS6_EEEESI_S6_NSB_4plusIvEENSB_8equal_toIvEES6_EE10hipError_tPvRmT2_T3_T4_T5_mT6_T7_P12ihipStream_tbENKUlT_T0_E_clISt17integral_constantIbLb0EES13_EEDaSY_SZ_EUlSY_E_NS1_11comp_targetILNS1_3genE9ELNS1_11target_archE1100ELNS1_3gpuE3ELNS1_3repE0EEENS1_30default_config_static_selectorELNS0_4arch9wavefront6targetE1EEEvT1_,"axG",@progbits,_ZN7rocprim17ROCPRIM_400000_NS6detail17trampoline_kernelINS0_14default_configENS1_27scan_by_key_config_selectorIj11FixedVectorIiLj4EEEEZZNS1_16scan_by_key_implILNS1_25lookback_scan_determinismE0ELb0ES3_N6thrust23THRUST_200600_302600_NS6detail15normal_iteratorINSB_10device_ptrIjEEEENSD_INSE_IS6_EEEESI_S6_NSB_4plusIvEENSB_8equal_toIvEES6_EE10hipError_tPvRmT2_T3_T4_T5_mT6_T7_P12ihipStream_tbENKUlT_T0_E_clISt17integral_constantIbLb0EES13_EEDaSY_SZ_EUlSY_E_NS1_11comp_targetILNS1_3genE9ELNS1_11target_archE1100ELNS1_3gpuE3ELNS1_3repE0EEENS1_30default_config_static_selectorELNS0_4arch9wavefront6targetE1EEEvT1_,comdat
	.protected	_ZN7rocprim17ROCPRIM_400000_NS6detail17trampoline_kernelINS0_14default_configENS1_27scan_by_key_config_selectorIj11FixedVectorIiLj4EEEEZZNS1_16scan_by_key_implILNS1_25lookback_scan_determinismE0ELb0ES3_N6thrust23THRUST_200600_302600_NS6detail15normal_iteratorINSB_10device_ptrIjEEEENSD_INSE_IS6_EEEESI_S6_NSB_4plusIvEENSB_8equal_toIvEES6_EE10hipError_tPvRmT2_T3_T4_T5_mT6_T7_P12ihipStream_tbENKUlT_T0_E_clISt17integral_constantIbLb0EES13_EEDaSY_SZ_EUlSY_E_NS1_11comp_targetILNS1_3genE9ELNS1_11target_archE1100ELNS1_3gpuE3ELNS1_3repE0EEENS1_30default_config_static_selectorELNS0_4arch9wavefront6targetE1EEEvT1_ ; -- Begin function _ZN7rocprim17ROCPRIM_400000_NS6detail17trampoline_kernelINS0_14default_configENS1_27scan_by_key_config_selectorIj11FixedVectorIiLj4EEEEZZNS1_16scan_by_key_implILNS1_25lookback_scan_determinismE0ELb0ES3_N6thrust23THRUST_200600_302600_NS6detail15normal_iteratorINSB_10device_ptrIjEEEENSD_INSE_IS6_EEEESI_S6_NSB_4plusIvEENSB_8equal_toIvEES6_EE10hipError_tPvRmT2_T3_T4_T5_mT6_T7_P12ihipStream_tbENKUlT_T0_E_clISt17integral_constantIbLb0EES13_EEDaSY_SZ_EUlSY_E_NS1_11comp_targetILNS1_3genE9ELNS1_11target_archE1100ELNS1_3gpuE3ELNS1_3repE0EEENS1_30default_config_static_selectorELNS0_4arch9wavefront6targetE1EEEvT1_
	.globl	_ZN7rocprim17ROCPRIM_400000_NS6detail17trampoline_kernelINS0_14default_configENS1_27scan_by_key_config_selectorIj11FixedVectorIiLj4EEEEZZNS1_16scan_by_key_implILNS1_25lookback_scan_determinismE0ELb0ES3_N6thrust23THRUST_200600_302600_NS6detail15normal_iteratorINSB_10device_ptrIjEEEENSD_INSE_IS6_EEEESI_S6_NSB_4plusIvEENSB_8equal_toIvEES6_EE10hipError_tPvRmT2_T3_T4_T5_mT6_T7_P12ihipStream_tbENKUlT_T0_E_clISt17integral_constantIbLb0EES13_EEDaSY_SZ_EUlSY_E_NS1_11comp_targetILNS1_3genE9ELNS1_11target_archE1100ELNS1_3gpuE3ELNS1_3repE0EEENS1_30default_config_static_selectorELNS0_4arch9wavefront6targetE1EEEvT1_
	.p2align	8
	.type	_ZN7rocprim17ROCPRIM_400000_NS6detail17trampoline_kernelINS0_14default_configENS1_27scan_by_key_config_selectorIj11FixedVectorIiLj4EEEEZZNS1_16scan_by_key_implILNS1_25lookback_scan_determinismE0ELb0ES3_N6thrust23THRUST_200600_302600_NS6detail15normal_iteratorINSB_10device_ptrIjEEEENSD_INSE_IS6_EEEESI_S6_NSB_4plusIvEENSB_8equal_toIvEES6_EE10hipError_tPvRmT2_T3_T4_T5_mT6_T7_P12ihipStream_tbENKUlT_T0_E_clISt17integral_constantIbLb0EES13_EEDaSY_SZ_EUlSY_E_NS1_11comp_targetILNS1_3genE9ELNS1_11target_archE1100ELNS1_3gpuE3ELNS1_3repE0EEENS1_30default_config_static_selectorELNS0_4arch9wavefront6targetE1EEEvT1_,@function
_ZN7rocprim17ROCPRIM_400000_NS6detail17trampoline_kernelINS0_14default_configENS1_27scan_by_key_config_selectorIj11FixedVectorIiLj4EEEEZZNS1_16scan_by_key_implILNS1_25lookback_scan_determinismE0ELb0ES3_N6thrust23THRUST_200600_302600_NS6detail15normal_iteratorINSB_10device_ptrIjEEEENSD_INSE_IS6_EEEESI_S6_NSB_4plusIvEENSB_8equal_toIvEES6_EE10hipError_tPvRmT2_T3_T4_T5_mT6_T7_P12ihipStream_tbENKUlT_T0_E_clISt17integral_constantIbLb0EES13_EEDaSY_SZ_EUlSY_E_NS1_11comp_targetILNS1_3genE9ELNS1_11target_archE1100ELNS1_3gpuE3ELNS1_3repE0EEENS1_30default_config_static_selectorELNS0_4arch9wavefront6targetE1EEEvT1_: ; @_ZN7rocprim17ROCPRIM_400000_NS6detail17trampoline_kernelINS0_14default_configENS1_27scan_by_key_config_selectorIj11FixedVectorIiLj4EEEEZZNS1_16scan_by_key_implILNS1_25lookback_scan_determinismE0ELb0ES3_N6thrust23THRUST_200600_302600_NS6detail15normal_iteratorINSB_10device_ptrIjEEEENSD_INSE_IS6_EEEESI_S6_NSB_4plusIvEENSB_8equal_toIvEES6_EE10hipError_tPvRmT2_T3_T4_T5_mT6_T7_P12ihipStream_tbENKUlT_T0_E_clISt17integral_constantIbLb0EES13_EEDaSY_SZ_EUlSY_E_NS1_11comp_targetILNS1_3genE9ELNS1_11target_archE1100ELNS1_3gpuE3ELNS1_3repE0EEENS1_30default_config_static_selectorELNS0_4arch9wavefront6targetE1EEEvT1_
; %bb.0:
	.section	.rodata,"a",@progbits
	.p2align	6, 0x0
	.amdhsa_kernel _ZN7rocprim17ROCPRIM_400000_NS6detail17trampoline_kernelINS0_14default_configENS1_27scan_by_key_config_selectorIj11FixedVectorIiLj4EEEEZZNS1_16scan_by_key_implILNS1_25lookback_scan_determinismE0ELb0ES3_N6thrust23THRUST_200600_302600_NS6detail15normal_iteratorINSB_10device_ptrIjEEEENSD_INSE_IS6_EEEESI_S6_NSB_4plusIvEENSB_8equal_toIvEES6_EE10hipError_tPvRmT2_T3_T4_T5_mT6_T7_P12ihipStream_tbENKUlT_T0_E_clISt17integral_constantIbLb0EES13_EEDaSY_SZ_EUlSY_E_NS1_11comp_targetILNS1_3genE9ELNS1_11target_archE1100ELNS1_3gpuE3ELNS1_3repE0EEENS1_30default_config_static_selectorELNS0_4arch9wavefront6targetE1EEEvT1_
		.amdhsa_group_segment_fixed_size 0
		.amdhsa_private_segment_fixed_size 0
		.amdhsa_kernarg_size 144
		.amdhsa_user_sgpr_count 6
		.amdhsa_user_sgpr_private_segment_buffer 1
		.amdhsa_user_sgpr_dispatch_ptr 0
		.amdhsa_user_sgpr_queue_ptr 0
		.amdhsa_user_sgpr_kernarg_segment_ptr 1
		.amdhsa_user_sgpr_dispatch_id 0
		.amdhsa_user_sgpr_flat_scratch_init 0
		.amdhsa_user_sgpr_kernarg_preload_length 0
		.amdhsa_user_sgpr_kernarg_preload_offset 0
		.amdhsa_user_sgpr_private_segment_size 0
		.amdhsa_uses_dynamic_stack 0
		.amdhsa_system_sgpr_private_segment_wavefront_offset 0
		.amdhsa_system_sgpr_workgroup_id_x 1
		.amdhsa_system_sgpr_workgroup_id_y 0
		.amdhsa_system_sgpr_workgroup_id_z 0
		.amdhsa_system_sgpr_workgroup_info 0
		.amdhsa_system_vgpr_workitem_id 0
		.amdhsa_next_free_vgpr 1
		.amdhsa_next_free_sgpr 0
		.amdhsa_accum_offset 4
		.amdhsa_reserve_vcc 0
		.amdhsa_reserve_flat_scratch 0
		.amdhsa_float_round_mode_32 0
		.amdhsa_float_round_mode_16_64 0
		.amdhsa_float_denorm_mode_32 3
		.amdhsa_float_denorm_mode_16_64 3
		.amdhsa_dx10_clamp 1
		.amdhsa_ieee_mode 1
		.amdhsa_fp16_overflow 0
		.amdhsa_tg_split 0
		.amdhsa_exception_fp_ieee_invalid_op 0
		.amdhsa_exception_fp_denorm_src 0
		.amdhsa_exception_fp_ieee_div_zero 0
		.amdhsa_exception_fp_ieee_overflow 0
		.amdhsa_exception_fp_ieee_underflow 0
		.amdhsa_exception_fp_ieee_inexact 0
		.amdhsa_exception_int_div_zero 0
	.end_amdhsa_kernel
	.section	.text._ZN7rocprim17ROCPRIM_400000_NS6detail17trampoline_kernelINS0_14default_configENS1_27scan_by_key_config_selectorIj11FixedVectorIiLj4EEEEZZNS1_16scan_by_key_implILNS1_25lookback_scan_determinismE0ELb0ES3_N6thrust23THRUST_200600_302600_NS6detail15normal_iteratorINSB_10device_ptrIjEEEENSD_INSE_IS6_EEEESI_S6_NSB_4plusIvEENSB_8equal_toIvEES6_EE10hipError_tPvRmT2_T3_T4_T5_mT6_T7_P12ihipStream_tbENKUlT_T0_E_clISt17integral_constantIbLb0EES13_EEDaSY_SZ_EUlSY_E_NS1_11comp_targetILNS1_3genE9ELNS1_11target_archE1100ELNS1_3gpuE3ELNS1_3repE0EEENS1_30default_config_static_selectorELNS0_4arch9wavefront6targetE1EEEvT1_,"axG",@progbits,_ZN7rocprim17ROCPRIM_400000_NS6detail17trampoline_kernelINS0_14default_configENS1_27scan_by_key_config_selectorIj11FixedVectorIiLj4EEEEZZNS1_16scan_by_key_implILNS1_25lookback_scan_determinismE0ELb0ES3_N6thrust23THRUST_200600_302600_NS6detail15normal_iteratorINSB_10device_ptrIjEEEENSD_INSE_IS6_EEEESI_S6_NSB_4plusIvEENSB_8equal_toIvEES6_EE10hipError_tPvRmT2_T3_T4_T5_mT6_T7_P12ihipStream_tbENKUlT_T0_E_clISt17integral_constantIbLb0EES13_EEDaSY_SZ_EUlSY_E_NS1_11comp_targetILNS1_3genE9ELNS1_11target_archE1100ELNS1_3gpuE3ELNS1_3repE0EEENS1_30default_config_static_selectorELNS0_4arch9wavefront6targetE1EEEvT1_,comdat
.Lfunc_end2040:
	.size	_ZN7rocprim17ROCPRIM_400000_NS6detail17trampoline_kernelINS0_14default_configENS1_27scan_by_key_config_selectorIj11FixedVectorIiLj4EEEEZZNS1_16scan_by_key_implILNS1_25lookback_scan_determinismE0ELb0ES3_N6thrust23THRUST_200600_302600_NS6detail15normal_iteratorINSB_10device_ptrIjEEEENSD_INSE_IS6_EEEESI_S6_NSB_4plusIvEENSB_8equal_toIvEES6_EE10hipError_tPvRmT2_T3_T4_T5_mT6_T7_P12ihipStream_tbENKUlT_T0_E_clISt17integral_constantIbLb0EES13_EEDaSY_SZ_EUlSY_E_NS1_11comp_targetILNS1_3genE9ELNS1_11target_archE1100ELNS1_3gpuE3ELNS1_3repE0EEENS1_30default_config_static_selectorELNS0_4arch9wavefront6targetE1EEEvT1_, .Lfunc_end2040-_ZN7rocprim17ROCPRIM_400000_NS6detail17trampoline_kernelINS0_14default_configENS1_27scan_by_key_config_selectorIj11FixedVectorIiLj4EEEEZZNS1_16scan_by_key_implILNS1_25lookback_scan_determinismE0ELb0ES3_N6thrust23THRUST_200600_302600_NS6detail15normal_iteratorINSB_10device_ptrIjEEEENSD_INSE_IS6_EEEESI_S6_NSB_4plusIvEENSB_8equal_toIvEES6_EE10hipError_tPvRmT2_T3_T4_T5_mT6_T7_P12ihipStream_tbENKUlT_T0_E_clISt17integral_constantIbLb0EES13_EEDaSY_SZ_EUlSY_E_NS1_11comp_targetILNS1_3genE9ELNS1_11target_archE1100ELNS1_3gpuE3ELNS1_3repE0EEENS1_30default_config_static_selectorELNS0_4arch9wavefront6targetE1EEEvT1_
                                        ; -- End function
	.section	.AMDGPU.csdata,"",@progbits
; Kernel info:
; codeLenInByte = 0
; NumSgprs: 4
; NumVgprs: 0
; NumAgprs: 0
; TotalNumVgprs: 0
; ScratchSize: 0
; MemoryBound: 0
; FloatMode: 240
; IeeeMode: 1
; LDSByteSize: 0 bytes/workgroup (compile time only)
; SGPRBlocks: 0
; VGPRBlocks: 0
; NumSGPRsForWavesPerEU: 4
; NumVGPRsForWavesPerEU: 1
; AccumOffset: 4
; Occupancy: 8
; WaveLimiterHint : 0
; COMPUTE_PGM_RSRC2:SCRATCH_EN: 0
; COMPUTE_PGM_RSRC2:USER_SGPR: 6
; COMPUTE_PGM_RSRC2:TRAP_HANDLER: 0
; COMPUTE_PGM_RSRC2:TGID_X_EN: 1
; COMPUTE_PGM_RSRC2:TGID_Y_EN: 0
; COMPUTE_PGM_RSRC2:TGID_Z_EN: 0
; COMPUTE_PGM_RSRC2:TIDIG_COMP_CNT: 0
; COMPUTE_PGM_RSRC3_GFX90A:ACCUM_OFFSET: 0
; COMPUTE_PGM_RSRC3_GFX90A:TG_SPLIT: 0
	.section	.text._ZN7rocprim17ROCPRIM_400000_NS6detail17trampoline_kernelINS0_14default_configENS1_27scan_by_key_config_selectorIj11FixedVectorIiLj4EEEEZZNS1_16scan_by_key_implILNS1_25lookback_scan_determinismE0ELb0ES3_N6thrust23THRUST_200600_302600_NS6detail15normal_iteratorINSB_10device_ptrIjEEEENSD_INSE_IS6_EEEESI_S6_NSB_4plusIvEENSB_8equal_toIvEES6_EE10hipError_tPvRmT2_T3_T4_T5_mT6_T7_P12ihipStream_tbENKUlT_T0_E_clISt17integral_constantIbLb0EES13_EEDaSY_SZ_EUlSY_E_NS1_11comp_targetILNS1_3genE8ELNS1_11target_archE1030ELNS1_3gpuE2ELNS1_3repE0EEENS1_30default_config_static_selectorELNS0_4arch9wavefront6targetE1EEEvT1_,"axG",@progbits,_ZN7rocprim17ROCPRIM_400000_NS6detail17trampoline_kernelINS0_14default_configENS1_27scan_by_key_config_selectorIj11FixedVectorIiLj4EEEEZZNS1_16scan_by_key_implILNS1_25lookback_scan_determinismE0ELb0ES3_N6thrust23THRUST_200600_302600_NS6detail15normal_iteratorINSB_10device_ptrIjEEEENSD_INSE_IS6_EEEESI_S6_NSB_4plusIvEENSB_8equal_toIvEES6_EE10hipError_tPvRmT2_T3_T4_T5_mT6_T7_P12ihipStream_tbENKUlT_T0_E_clISt17integral_constantIbLb0EES13_EEDaSY_SZ_EUlSY_E_NS1_11comp_targetILNS1_3genE8ELNS1_11target_archE1030ELNS1_3gpuE2ELNS1_3repE0EEENS1_30default_config_static_selectorELNS0_4arch9wavefront6targetE1EEEvT1_,comdat
	.protected	_ZN7rocprim17ROCPRIM_400000_NS6detail17trampoline_kernelINS0_14default_configENS1_27scan_by_key_config_selectorIj11FixedVectorIiLj4EEEEZZNS1_16scan_by_key_implILNS1_25lookback_scan_determinismE0ELb0ES3_N6thrust23THRUST_200600_302600_NS6detail15normal_iteratorINSB_10device_ptrIjEEEENSD_INSE_IS6_EEEESI_S6_NSB_4plusIvEENSB_8equal_toIvEES6_EE10hipError_tPvRmT2_T3_T4_T5_mT6_T7_P12ihipStream_tbENKUlT_T0_E_clISt17integral_constantIbLb0EES13_EEDaSY_SZ_EUlSY_E_NS1_11comp_targetILNS1_3genE8ELNS1_11target_archE1030ELNS1_3gpuE2ELNS1_3repE0EEENS1_30default_config_static_selectorELNS0_4arch9wavefront6targetE1EEEvT1_ ; -- Begin function _ZN7rocprim17ROCPRIM_400000_NS6detail17trampoline_kernelINS0_14default_configENS1_27scan_by_key_config_selectorIj11FixedVectorIiLj4EEEEZZNS1_16scan_by_key_implILNS1_25lookback_scan_determinismE0ELb0ES3_N6thrust23THRUST_200600_302600_NS6detail15normal_iteratorINSB_10device_ptrIjEEEENSD_INSE_IS6_EEEESI_S6_NSB_4plusIvEENSB_8equal_toIvEES6_EE10hipError_tPvRmT2_T3_T4_T5_mT6_T7_P12ihipStream_tbENKUlT_T0_E_clISt17integral_constantIbLb0EES13_EEDaSY_SZ_EUlSY_E_NS1_11comp_targetILNS1_3genE8ELNS1_11target_archE1030ELNS1_3gpuE2ELNS1_3repE0EEENS1_30default_config_static_selectorELNS0_4arch9wavefront6targetE1EEEvT1_
	.globl	_ZN7rocprim17ROCPRIM_400000_NS6detail17trampoline_kernelINS0_14default_configENS1_27scan_by_key_config_selectorIj11FixedVectorIiLj4EEEEZZNS1_16scan_by_key_implILNS1_25lookback_scan_determinismE0ELb0ES3_N6thrust23THRUST_200600_302600_NS6detail15normal_iteratorINSB_10device_ptrIjEEEENSD_INSE_IS6_EEEESI_S6_NSB_4plusIvEENSB_8equal_toIvEES6_EE10hipError_tPvRmT2_T3_T4_T5_mT6_T7_P12ihipStream_tbENKUlT_T0_E_clISt17integral_constantIbLb0EES13_EEDaSY_SZ_EUlSY_E_NS1_11comp_targetILNS1_3genE8ELNS1_11target_archE1030ELNS1_3gpuE2ELNS1_3repE0EEENS1_30default_config_static_selectorELNS0_4arch9wavefront6targetE1EEEvT1_
	.p2align	8
	.type	_ZN7rocprim17ROCPRIM_400000_NS6detail17trampoline_kernelINS0_14default_configENS1_27scan_by_key_config_selectorIj11FixedVectorIiLj4EEEEZZNS1_16scan_by_key_implILNS1_25lookback_scan_determinismE0ELb0ES3_N6thrust23THRUST_200600_302600_NS6detail15normal_iteratorINSB_10device_ptrIjEEEENSD_INSE_IS6_EEEESI_S6_NSB_4plusIvEENSB_8equal_toIvEES6_EE10hipError_tPvRmT2_T3_T4_T5_mT6_T7_P12ihipStream_tbENKUlT_T0_E_clISt17integral_constantIbLb0EES13_EEDaSY_SZ_EUlSY_E_NS1_11comp_targetILNS1_3genE8ELNS1_11target_archE1030ELNS1_3gpuE2ELNS1_3repE0EEENS1_30default_config_static_selectorELNS0_4arch9wavefront6targetE1EEEvT1_,@function
_ZN7rocprim17ROCPRIM_400000_NS6detail17trampoline_kernelINS0_14default_configENS1_27scan_by_key_config_selectorIj11FixedVectorIiLj4EEEEZZNS1_16scan_by_key_implILNS1_25lookback_scan_determinismE0ELb0ES3_N6thrust23THRUST_200600_302600_NS6detail15normal_iteratorINSB_10device_ptrIjEEEENSD_INSE_IS6_EEEESI_S6_NSB_4plusIvEENSB_8equal_toIvEES6_EE10hipError_tPvRmT2_T3_T4_T5_mT6_T7_P12ihipStream_tbENKUlT_T0_E_clISt17integral_constantIbLb0EES13_EEDaSY_SZ_EUlSY_E_NS1_11comp_targetILNS1_3genE8ELNS1_11target_archE1030ELNS1_3gpuE2ELNS1_3repE0EEENS1_30default_config_static_selectorELNS0_4arch9wavefront6targetE1EEEvT1_: ; @_ZN7rocprim17ROCPRIM_400000_NS6detail17trampoline_kernelINS0_14default_configENS1_27scan_by_key_config_selectorIj11FixedVectorIiLj4EEEEZZNS1_16scan_by_key_implILNS1_25lookback_scan_determinismE0ELb0ES3_N6thrust23THRUST_200600_302600_NS6detail15normal_iteratorINSB_10device_ptrIjEEEENSD_INSE_IS6_EEEESI_S6_NSB_4plusIvEENSB_8equal_toIvEES6_EE10hipError_tPvRmT2_T3_T4_T5_mT6_T7_P12ihipStream_tbENKUlT_T0_E_clISt17integral_constantIbLb0EES13_EEDaSY_SZ_EUlSY_E_NS1_11comp_targetILNS1_3genE8ELNS1_11target_archE1030ELNS1_3gpuE2ELNS1_3repE0EEENS1_30default_config_static_selectorELNS0_4arch9wavefront6targetE1EEEvT1_
; %bb.0:
	.section	.rodata,"a",@progbits
	.p2align	6, 0x0
	.amdhsa_kernel _ZN7rocprim17ROCPRIM_400000_NS6detail17trampoline_kernelINS0_14default_configENS1_27scan_by_key_config_selectorIj11FixedVectorIiLj4EEEEZZNS1_16scan_by_key_implILNS1_25lookback_scan_determinismE0ELb0ES3_N6thrust23THRUST_200600_302600_NS6detail15normal_iteratorINSB_10device_ptrIjEEEENSD_INSE_IS6_EEEESI_S6_NSB_4plusIvEENSB_8equal_toIvEES6_EE10hipError_tPvRmT2_T3_T4_T5_mT6_T7_P12ihipStream_tbENKUlT_T0_E_clISt17integral_constantIbLb0EES13_EEDaSY_SZ_EUlSY_E_NS1_11comp_targetILNS1_3genE8ELNS1_11target_archE1030ELNS1_3gpuE2ELNS1_3repE0EEENS1_30default_config_static_selectorELNS0_4arch9wavefront6targetE1EEEvT1_
		.amdhsa_group_segment_fixed_size 0
		.amdhsa_private_segment_fixed_size 0
		.amdhsa_kernarg_size 144
		.amdhsa_user_sgpr_count 6
		.amdhsa_user_sgpr_private_segment_buffer 1
		.amdhsa_user_sgpr_dispatch_ptr 0
		.amdhsa_user_sgpr_queue_ptr 0
		.amdhsa_user_sgpr_kernarg_segment_ptr 1
		.amdhsa_user_sgpr_dispatch_id 0
		.amdhsa_user_sgpr_flat_scratch_init 0
		.amdhsa_user_sgpr_kernarg_preload_length 0
		.amdhsa_user_sgpr_kernarg_preload_offset 0
		.amdhsa_user_sgpr_private_segment_size 0
		.amdhsa_uses_dynamic_stack 0
		.amdhsa_system_sgpr_private_segment_wavefront_offset 0
		.amdhsa_system_sgpr_workgroup_id_x 1
		.amdhsa_system_sgpr_workgroup_id_y 0
		.amdhsa_system_sgpr_workgroup_id_z 0
		.amdhsa_system_sgpr_workgroup_info 0
		.amdhsa_system_vgpr_workitem_id 0
		.amdhsa_next_free_vgpr 1
		.amdhsa_next_free_sgpr 0
		.amdhsa_accum_offset 4
		.amdhsa_reserve_vcc 0
		.amdhsa_reserve_flat_scratch 0
		.amdhsa_float_round_mode_32 0
		.amdhsa_float_round_mode_16_64 0
		.amdhsa_float_denorm_mode_32 3
		.amdhsa_float_denorm_mode_16_64 3
		.amdhsa_dx10_clamp 1
		.amdhsa_ieee_mode 1
		.amdhsa_fp16_overflow 0
		.amdhsa_tg_split 0
		.amdhsa_exception_fp_ieee_invalid_op 0
		.amdhsa_exception_fp_denorm_src 0
		.amdhsa_exception_fp_ieee_div_zero 0
		.amdhsa_exception_fp_ieee_overflow 0
		.amdhsa_exception_fp_ieee_underflow 0
		.amdhsa_exception_fp_ieee_inexact 0
		.amdhsa_exception_int_div_zero 0
	.end_amdhsa_kernel
	.section	.text._ZN7rocprim17ROCPRIM_400000_NS6detail17trampoline_kernelINS0_14default_configENS1_27scan_by_key_config_selectorIj11FixedVectorIiLj4EEEEZZNS1_16scan_by_key_implILNS1_25lookback_scan_determinismE0ELb0ES3_N6thrust23THRUST_200600_302600_NS6detail15normal_iteratorINSB_10device_ptrIjEEEENSD_INSE_IS6_EEEESI_S6_NSB_4plusIvEENSB_8equal_toIvEES6_EE10hipError_tPvRmT2_T3_T4_T5_mT6_T7_P12ihipStream_tbENKUlT_T0_E_clISt17integral_constantIbLb0EES13_EEDaSY_SZ_EUlSY_E_NS1_11comp_targetILNS1_3genE8ELNS1_11target_archE1030ELNS1_3gpuE2ELNS1_3repE0EEENS1_30default_config_static_selectorELNS0_4arch9wavefront6targetE1EEEvT1_,"axG",@progbits,_ZN7rocprim17ROCPRIM_400000_NS6detail17trampoline_kernelINS0_14default_configENS1_27scan_by_key_config_selectorIj11FixedVectorIiLj4EEEEZZNS1_16scan_by_key_implILNS1_25lookback_scan_determinismE0ELb0ES3_N6thrust23THRUST_200600_302600_NS6detail15normal_iteratorINSB_10device_ptrIjEEEENSD_INSE_IS6_EEEESI_S6_NSB_4plusIvEENSB_8equal_toIvEES6_EE10hipError_tPvRmT2_T3_T4_T5_mT6_T7_P12ihipStream_tbENKUlT_T0_E_clISt17integral_constantIbLb0EES13_EEDaSY_SZ_EUlSY_E_NS1_11comp_targetILNS1_3genE8ELNS1_11target_archE1030ELNS1_3gpuE2ELNS1_3repE0EEENS1_30default_config_static_selectorELNS0_4arch9wavefront6targetE1EEEvT1_,comdat
.Lfunc_end2041:
	.size	_ZN7rocprim17ROCPRIM_400000_NS6detail17trampoline_kernelINS0_14default_configENS1_27scan_by_key_config_selectorIj11FixedVectorIiLj4EEEEZZNS1_16scan_by_key_implILNS1_25lookback_scan_determinismE0ELb0ES3_N6thrust23THRUST_200600_302600_NS6detail15normal_iteratorINSB_10device_ptrIjEEEENSD_INSE_IS6_EEEESI_S6_NSB_4plusIvEENSB_8equal_toIvEES6_EE10hipError_tPvRmT2_T3_T4_T5_mT6_T7_P12ihipStream_tbENKUlT_T0_E_clISt17integral_constantIbLb0EES13_EEDaSY_SZ_EUlSY_E_NS1_11comp_targetILNS1_3genE8ELNS1_11target_archE1030ELNS1_3gpuE2ELNS1_3repE0EEENS1_30default_config_static_selectorELNS0_4arch9wavefront6targetE1EEEvT1_, .Lfunc_end2041-_ZN7rocprim17ROCPRIM_400000_NS6detail17trampoline_kernelINS0_14default_configENS1_27scan_by_key_config_selectorIj11FixedVectorIiLj4EEEEZZNS1_16scan_by_key_implILNS1_25lookback_scan_determinismE0ELb0ES3_N6thrust23THRUST_200600_302600_NS6detail15normal_iteratorINSB_10device_ptrIjEEEENSD_INSE_IS6_EEEESI_S6_NSB_4plusIvEENSB_8equal_toIvEES6_EE10hipError_tPvRmT2_T3_T4_T5_mT6_T7_P12ihipStream_tbENKUlT_T0_E_clISt17integral_constantIbLb0EES13_EEDaSY_SZ_EUlSY_E_NS1_11comp_targetILNS1_3genE8ELNS1_11target_archE1030ELNS1_3gpuE2ELNS1_3repE0EEENS1_30default_config_static_selectorELNS0_4arch9wavefront6targetE1EEEvT1_
                                        ; -- End function
	.section	.AMDGPU.csdata,"",@progbits
; Kernel info:
; codeLenInByte = 0
; NumSgprs: 4
; NumVgprs: 0
; NumAgprs: 0
; TotalNumVgprs: 0
; ScratchSize: 0
; MemoryBound: 0
; FloatMode: 240
; IeeeMode: 1
; LDSByteSize: 0 bytes/workgroup (compile time only)
; SGPRBlocks: 0
; VGPRBlocks: 0
; NumSGPRsForWavesPerEU: 4
; NumVGPRsForWavesPerEU: 1
; AccumOffset: 4
; Occupancy: 8
; WaveLimiterHint : 0
; COMPUTE_PGM_RSRC2:SCRATCH_EN: 0
; COMPUTE_PGM_RSRC2:USER_SGPR: 6
; COMPUTE_PGM_RSRC2:TRAP_HANDLER: 0
; COMPUTE_PGM_RSRC2:TGID_X_EN: 1
; COMPUTE_PGM_RSRC2:TGID_Y_EN: 0
; COMPUTE_PGM_RSRC2:TGID_Z_EN: 0
; COMPUTE_PGM_RSRC2:TIDIG_COMP_CNT: 0
; COMPUTE_PGM_RSRC3_GFX90A:ACCUM_OFFSET: 0
; COMPUTE_PGM_RSRC3_GFX90A:TG_SPLIT: 0
	.section	.text._ZN7rocprim17ROCPRIM_400000_NS6detail30init_device_scan_by_key_kernelINS1_19lookback_scan_stateINS0_5tupleIJ11FixedVectorIiLj4EEbEEELb1ELb0EEEN6thrust23THRUST_200600_302600_NS6detail15normal_iteratorINSA_10device_ptrIjEEEEjNS1_16block_id_wrapperIjLb1EEEEEvT_jjPNSI_10value_typeET0_PNSt15iterator_traitsISL_E10value_typeEmT1_T2_,"axG",@progbits,_ZN7rocprim17ROCPRIM_400000_NS6detail30init_device_scan_by_key_kernelINS1_19lookback_scan_stateINS0_5tupleIJ11FixedVectorIiLj4EEbEEELb1ELb0EEEN6thrust23THRUST_200600_302600_NS6detail15normal_iteratorINSA_10device_ptrIjEEEEjNS1_16block_id_wrapperIjLb1EEEEEvT_jjPNSI_10value_typeET0_PNSt15iterator_traitsISL_E10value_typeEmT1_T2_,comdat
	.protected	_ZN7rocprim17ROCPRIM_400000_NS6detail30init_device_scan_by_key_kernelINS1_19lookback_scan_stateINS0_5tupleIJ11FixedVectorIiLj4EEbEEELb1ELb0EEEN6thrust23THRUST_200600_302600_NS6detail15normal_iteratorINSA_10device_ptrIjEEEEjNS1_16block_id_wrapperIjLb1EEEEEvT_jjPNSI_10value_typeET0_PNSt15iterator_traitsISL_E10value_typeEmT1_T2_ ; -- Begin function _ZN7rocprim17ROCPRIM_400000_NS6detail30init_device_scan_by_key_kernelINS1_19lookback_scan_stateINS0_5tupleIJ11FixedVectorIiLj4EEbEEELb1ELb0EEEN6thrust23THRUST_200600_302600_NS6detail15normal_iteratorINSA_10device_ptrIjEEEEjNS1_16block_id_wrapperIjLb1EEEEEvT_jjPNSI_10value_typeET0_PNSt15iterator_traitsISL_E10value_typeEmT1_T2_
	.globl	_ZN7rocprim17ROCPRIM_400000_NS6detail30init_device_scan_by_key_kernelINS1_19lookback_scan_stateINS0_5tupleIJ11FixedVectorIiLj4EEbEEELb1ELb0EEEN6thrust23THRUST_200600_302600_NS6detail15normal_iteratorINSA_10device_ptrIjEEEEjNS1_16block_id_wrapperIjLb1EEEEEvT_jjPNSI_10value_typeET0_PNSt15iterator_traitsISL_E10value_typeEmT1_T2_
	.p2align	8
	.type	_ZN7rocprim17ROCPRIM_400000_NS6detail30init_device_scan_by_key_kernelINS1_19lookback_scan_stateINS0_5tupleIJ11FixedVectorIiLj4EEbEEELb1ELb0EEEN6thrust23THRUST_200600_302600_NS6detail15normal_iteratorINSA_10device_ptrIjEEEEjNS1_16block_id_wrapperIjLb1EEEEEvT_jjPNSI_10value_typeET0_PNSt15iterator_traitsISL_E10value_typeEmT1_T2_,@function
_ZN7rocprim17ROCPRIM_400000_NS6detail30init_device_scan_by_key_kernelINS1_19lookback_scan_stateINS0_5tupleIJ11FixedVectorIiLj4EEbEEELb1ELb0EEEN6thrust23THRUST_200600_302600_NS6detail15normal_iteratorINSA_10device_ptrIjEEEEjNS1_16block_id_wrapperIjLb1EEEEEvT_jjPNSI_10value_typeET0_PNSt15iterator_traitsISL_E10value_typeEmT1_T2_: ; @_ZN7rocprim17ROCPRIM_400000_NS6detail30init_device_scan_by_key_kernelINS1_19lookback_scan_stateINS0_5tupleIJ11FixedVectorIiLj4EEbEEELb1ELb0EEEN6thrust23THRUST_200600_302600_NS6detail15normal_iteratorINSA_10device_ptrIjEEEEjNS1_16block_id_wrapperIjLb1EEEEEvT_jjPNSI_10value_typeET0_PNSt15iterator_traitsISL_E10value_typeEmT1_T2_
; %bb.0:
	s_load_dword s0, s[6:7], 0x5c
	s_load_dwordx8 s[12:19], s[6:7], 0x10
	s_load_dword s10, s[6:7], 0x50
	v_and_b32_e32 v1, 0x3ff, v0
	s_waitcnt lgkmcnt(0)
	s_and_b32 s11, s0, 0xffff
	s_mul_i32 s8, s8, s11
	s_cmp_eq_u64 s[16:17], 0
	v_add_u32_e32 v2, s8, v1
	s_cbranch_scc1 .LBB2042_13
; %bb.1:
	s_cmp_lt_u32 s15, s14
	s_cselect_b32 s0, s15, 0
	s_mov_b32 s20, 0
	v_cmp_eq_u32_e32 vcc, s0, v2
	s_and_saveexec_b64 s[8:9], vcc
	s_cbranch_execz .LBB2042_12
; %bb.2:
	s_load_dwordx2 s[22:23], s[4:5], 0x4
	s_load_dwordx4 s[0:3], s[6:7], 0x0
	v_bfe_u32 v3, v0, 10, 10
	v_bfe_u32 v0, v0, 20, 10
	s_waitcnt lgkmcnt(0)
	s_lshr_b32 s4, s22, 16
	s_mul_i32 s4, s4, s23
	v_mul_u32_u24_e32 v3, s23, v3
	v_mul_lo_u32 v1, s4, v1
	v_add3_u32 v0, v1, v3, v0
	v_mul_lo_u32 v0, v0, 20
	v_mov_b32_e32 v1, 0
	ds_write2_b32 v0, v1, v1 offset0:2 offset1:3
	ds_write2_b32 v0, v1, v1 offset1:1
	ds_write_b32 v0, v1 offset:16
.LBB2042_3:                             ; =>This Inner Loop Header: Depth=1
	v_add_u32_e32 v3, s20, v0
	s_add_i32 s20, s20, 8
	s_cmp_lg_u32 s20, 16
	ds_write2_b32 v3, v1, v1 offset1:1
	s_cbranch_scc1 .LBB2042_3
; %bb.4:
	v_mov_b32_e32 v1, 0
	s_add_i32 s15, s15, 64
	ds_write_b8 v0, v1 offset:16
	v_mov_b32_e32 v3, s15
	global_load_ubyte v3, v3, s[12:13] glc
	s_add_u32 s4, s12, s15
	s_addc_u32 s5, s13, 0
	s_waitcnt vmcnt(0)
	v_cmp_ne_u16_e32 vcc, 0, v3
	v_readfirstlane_b32 s20, v3
	s_cbranch_vccz .LBB2042_6
; %bb.5:
	s_and_b32 s4, 0xffff, s20
	s_branch .LBB2042_11
.LBB2042_6:
	s_mov_b32 s20, 1
.LBB2042_7:                             ; =>This Loop Header: Depth=1
                                        ;     Child Loop BB2042_8 Depth 2
	s_max_u32 s21, s20, 1
.LBB2042_8:                             ;   Parent Loop BB2042_7 Depth=1
                                        ; =>  This Inner Loop Header: Depth=2
	s_add_i32 s21, s21, -1
	s_cmp_eq_u32 s21, 0
	s_sleep 1
	s_cbranch_scc0 .LBB2042_8
; %bb.9:                                ;   in Loop: Header=BB2042_7 Depth=1
	global_load_ubyte v3, v1, s[4:5] glc
	s_cmp_lt_u32 s20, 32
	s_cselect_b64 s[22:23], -1, 0
	s_cmp_lg_u64 s[22:23], 0
	s_addc_u32 s20, s20, 0
	s_waitcnt vmcnt(0)
	v_cmp_ne_u16_e32 vcc, 0, v3
	v_readfirstlane_b32 s21, v3
	s_cbranch_vccz .LBB2042_7
; %bb.10:
	s_and_b32 s4, 0xffff, s21
.LBB2042_11:
	s_cmp_eq_u32 s4, 1
	s_cselect_b32 s1, s1, s3
	s_cselect_b32 s0, s0, s2
	s_mul_i32 s3, s15, 20
	s_mul_hi_u32 s2, s15, 20
	s_add_u32 s0, s0, s3
	s_addc_u32 s1, s1, s2
	v_mov_b32_e32 v1, 0
	s_waitcnt lgkmcnt(0)
	buffer_wbinvl1_vol
	global_load_dwordx4 v[4:7], v1, s[0:1]
	global_load_ubyte v3, v1, s[0:1] offset:16
	s_waitcnt vmcnt(1)
	ds_write2_b32 v0, v4, v5 offset1:1
	ds_write2_b32 v0, v6, v7 offset0:2 offset1:3
	global_store_dwordx4 v1, v[4:7], s[16:17]
	s_waitcnt vmcnt(1)
	global_store_byte v1, v3, s[16:17] offset:16
.LBB2042_12:
	s_or_b64 exec, exec, s[8:9]
.LBB2042_13:
	v_cmp_eq_u32_e32 vcc, 0, v2
	s_and_saveexec_b64 s[0:1], vcc
	s_cbranch_execz .LBB2042_15
; %bb.14:
	s_load_dwordx2 s[2:3], s[6:7], 0x48
	v_mov_b32_e32 v0, 0
	s_waitcnt lgkmcnt(0)
	global_store_dword v0, v0, s[2:3]
.LBB2042_15:
	s_or_b64 exec, exec, s[0:1]
	v_cmp_gt_u32_e32 vcc, s14, v2
	s_and_saveexec_b64 s[0:1], vcc
	s_cbranch_execz .LBB2042_17
; %bb.16:
	v_add_u32_e32 v0, 64, v2
	v_mov_b32_e32 v1, 0
	global_store_byte v0, v1, s[12:13]
.LBB2042_17:
	s_or_b64 exec, exec, s[0:1]
	v_cmp_gt_u32_e32 vcc, 64, v2
	v_mov_b32_e32 v3, 0
	s_and_saveexec_b64 s[0:1], vcc
	s_cbranch_execz .LBB2042_19
; %bb.18:
	v_mov_b32_e32 v1, s13
	v_add_co_u32_e32 v0, vcc, s12, v2
	v_addc_co_u32_e32 v1, vcc, 0, v1, vcc
	v_mov_b32_e32 v4, 0xff
	global_store_byte v[0:1], v4, off
.LBB2042_19:
	s_or_b64 exec, exec, s[0:1]
	s_load_dwordx2 s[0:1], s[6:7], 0x38
	s_waitcnt lgkmcnt(0)
	v_cmp_gt_u64_e32 vcc, s[0:1], v[2:3]
	s_and_saveexec_b64 s[2:3], vcc
	s_cbranch_execz .LBB2042_22
; %bb.20:
	s_load_dword s12, s[6:7], 0x40
	s_load_dwordx2 s[8:9], s[6:7], 0x30
	s_mov_b32 s5, 0
	s_mov_b32 s3, s5
	s_mul_i32 s2, s10, s11
	s_waitcnt lgkmcnt(0)
	s_add_i32 s4, s12, -1
	s_lshl_b64 s[4:5], s[4:5], 2
	v_mad_u64_u32 v[0:1], s[6:7], s12, v2, 0
	s_add_u32 s4, s18, s4
	v_lshlrev_b64 v[0:1], 2, v[0:1]
	s_addc_u32 s5, s19, s5
	v_mov_b32_e32 v4, s5
	v_add_co_u32_e32 v0, vcc, s4, v0
	v_addc_co_u32_e32 v1, vcc, v4, v1, vcc
	s_mul_hi_u32 s5, s12, s2
	s_mul_i32 s4, s12, s2
	v_lshlrev_b64 v[4:5], 2, v[2:3]
	s_lshl_b64 s[4:5], s[4:5], 2
	v_mov_b32_e32 v6, s9
	v_add_co_u32_e32 v4, vcc, s8, v4
	s_lshl_b64 s[6:7], s[2:3], 2
	v_addc_co_u32_e32 v5, vcc, v6, v5, vcc
	s_mov_b64 s[8:9], 0
	v_mov_b32_e32 v6, s3
	v_mov_b32_e32 v7, s5
	;; [unrolled: 1-line block ×3, first 2 shown]
.LBB2042_21:                            ; =>This Inner Loop Header: Depth=1
	global_load_dword v9, v[0:1], off
	v_add_co_u32_e32 v2, vcc, s2, v2
	v_addc_co_u32_e32 v3, vcc, v3, v6, vcc
	v_add_co_u32_e32 v0, vcc, s4, v0
	v_addc_co_u32_e32 v1, vcc, v1, v7, vcc
	v_cmp_le_u64_e32 vcc, s[0:1], v[2:3]
	s_or_b64 s[8:9], vcc, s[8:9]
	s_waitcnt vmcnt(0)
	global_store_dword v[4:5], v9, off
	v_add_co_u32_e32 v4, vcc, s6, v4
	v_addc_co_u32_e32 v5, vcc, v5, v8, vcc
	s_andn2_b64 exec, exec, s[8:9]
	s_cbranch_execnz .LBB2042_21
.LBB2042_22:
	s_endpgm
	.section	.rodata,"a",@progbits
	.p2align	6, 0x0
	.amdhsa_kernel _ZN7rocprim17ROCPRIM_400000_NS6detail30init_device_scan_by_key_kernelINS1_19lookback_scan_stateINS0_5tupleIJ11FixedVectorIiLj4EEbEEELb1ELb0EEEN6thrust23THRUST_200600_302600_NS6detail15normal_iteratorINSA_10device_ptrIjEEEEjNS1_16block_id_wrapperIjLb1EEEEEvT_jjPNSI_10value_typeET0_PNSt15iterator_traitsISL_E10value_typeEmT1_T2_
		.amdhsa_group_segment_fixed_size 5120
		.amdhsa_private_segment_fixed_size 0
		.amdhsa_kernarg_size 336
		.amdhsa_user_sgpr_count 8
		.amdhsa_user_sgpr_private_segment_buffer 1
		.amdhsa_user_sgpr_dispatch_ptr 1
		.amdhsa_user_sgpr_queue_ptr 0
		.amdhsa_user_sgpr_kernarg_segment_ptr 1
		.amdhsa_user_sgpr_dispatch_id 0
		.amdhsa_user_sgpr_flat_scratch_init 0
		.amdhsa_user_sgpr_kernarg_preload_length 0
		.amdhsa_user_sgpr_kernarg_preload_offset 0
		.amdhsa_user_sgpr_private_segment_size 0
		.amdhsa_uses_dynamic_stack 0
		.amdhsa_system_sgpr_private_segment_wavefront_offset 0
		.amdhsa_system_sgpr_workgroup_id_x 1
		.amdhsa_system_sgpr_workgroup_id_y 0
		.amdhsa_system_sgpr_workgroup_id_z 0
		.amdhsa_system_sgpr_workgroup_info 0
		.amdhsa_system_vgpr_workitem_id 2
		.amdhsa_next_free_vgpr 10
		.amdhsa_next_free_sgpr 24
		.amdhsa_accum_offset 12
		.amdhsa_reserve_vcc 1
		.amdhsa_reserve_flat_scratch 0
		.amdhsa_float_round_mode_32 0
		.amdhsa_float_round_mode_16_64 0
		.amdhsa_float_denorm_mode_32 3
		.amdhsa_float_denorm_mode_16_64 3
		.amdhsa_dx10_clamp 1
		.amdhsa_ieee_mode 1
		.amdhsa_fp16_overflow 0
		.amdhsa_tg_split 0
		.amdhsa_exception_fp_ieee_invalid_op 0
		.amdhsa_exception_fp_denorm_src 0
		.amdhsa_exception_fp_ieee_div_zero 0
		.amdhsa_exception_fp_ieee_overflow 0
		.amdhsa_exception_fp_ieee_underflow 0
		.amdhsa_exception_fp_ieee_inexact 0
		.amdhsa_exception_int_div_zero 0
	.end_amdhsa_kernel
	.section	.text._ZN7rocprim17ROCPRIM_400000_NS6detail30init_device_scan_by_key_kernelINS1_19lookback_scan_stateINS0_5tupleIJ11FixedVectorIiLj4EEbEEELb1ELb0EEEN6thrust23THRUST_200600_302600_NS6detail15normal_iteratorINSA_10device_ptrIjEEEEjNS1_16block_id_wrapperIjLb1EEEEEvT_jjPNSI_10value_typeET0_PNSt15iterator_traitsISL_E10value_typeEmT1_T2_,"axG",@progbits,_ZN7rocprim17ROCPRIM_400000_NS6detail30init_device_scan_by_key_kernelINS1_19lookback_scan_stateINS0_5tupleIJ11FixedVectorIiLj4EEbEEELb1ELb0EEEN6thrust23THRUST_200600_302600_NS6detail15normal_iteratorINSA_10device_ptrIjEEEEjNS1_16block_id_wrapperIjLb1EEEEEvT_jjPNSI_10value_typeET0_PNSt15iterator_traitsISL_E10value_typeEmT1_T2_,comdat
.Lfunc_end2042:
	.size	_ZN7rocprim17ROCPRIM_400000_NS6detail30init_device_scan_by_key_kernelINS1_19lookback_scan_stateINS0_5tupleIJ11FixedVectorIiLj4EEbEEELb1ELb0EEEN6thrust23THRUST_200600_302600_NS6detail15normal_iteratorINSA_10device_ptrIjEEEEjNS1_16block_id_wrapperIjLb1EEEEEvT_jjPNSI_10value_typeET0_PNSt15iterator_traitsISL_E10value_typeEmT1_T2_, .Lfunc_end2042-_ZN7rocprim17ROCPRIM_400000_NS6detail30init_device_scan_by_key_kernelINS1_19lookback_scan_stateINS0_5tupleIJ11FixedVectorIiLj4EEbEEELb1ELb0EEEN6thrust23THRUST_200600_302600_NS6detail15normal_iteratorINSA_10device_ptrIjEEEEjNS1_16block_id_wrapperIjLb1EEEEEvT_jjPNSI_10value_typeET0_PNSt15iterator_traitsISL_E10value_typeEmT1_T2_
                                        ; -- End function
	.section	.AMDGPU.csdata,"",@progbits
; Kernel info:
; codeLenInByte = 784
; NumSgprs: 28
; NumVgprs: 10
; NumAgprs: 0
; TotalNumVgprs: 10
; ScratchSize: 0
; MemoryBound: 0
; FloatMode: 240
; IeeeMode: 1
; LDSByteSize: 5120 bytes/workgroup (compile time only)
; SGPRBlocks: 3
; VGPRBlocks: 1
; NumSGPRsForWavesPerEU: 28
; NumVGPRsForWavesPerEU: 10
; AccumOffset: 12
; Occupancy: 8
; WaveLimiterHint : 0
; COMPUTE_PGM_RSRC2:SCRATCH_EN: 0
; COMPUTE_PGM_RSRC2:USER_SGPR: 8
; COMPUTE_PGM_RSRC2:TRAP_HANDLER: 0
; COMPUTE_PGM_RSRC2:TGID_X_EN: 1
; COMPUTE_PGM_RSRC2:TGID_Y_EN: 0
; COMPUTE_PGM_RSRC2:TGID_Z_EN: 0
; COMPUTE_PGM_RSRC2:TIDIG_COMP_CNT: 2
; COMPUTE_PGM_RSRC3_GFX90A:ACCUM_OFFSET: 2
; COMPUTE_PGM_RSRC3_GFX90A:TG_SPLIT: 0
	.section	.text._ZN7rocprim17ROCPRIM_400000_NS6detail30init_device_scan_by_key_kernelINS1_19lookback_scan_stateINS0_5tupleIJ11FixedVectorIiLj4EEbEEELb1ELb0EEENS1_16block_id_wrapperIjLb1EEEEEvT_jjPNSB_10value_typeET0_,"axG",@progbits,_ZN7rocprim17ROCPRIM_400000_NS6detail30init_device_scan_by_key_kernelINS1_19lookback_scan_stateINS0_5tupleIJ11FixedVectorIiLj4EEbEEELb1ELb0EEENS1_16block_id_wrapperIjLb1EEEEEvT_jjPNSB_10value_typeET0_,comdat
	.protected	_ZN7rocprim17ROCPRIM_400000_NS6detail30init_device_scan_by_key_kernelINS1_19lookback_scan_stateINS0_5tupleIJ11FixedVectorIiLj4EEbEEELb1ELb0EEENS1_16block_id_wrapperIjLb1EEEEEvT_jjPNSB_10value_typeET0_ ; -- Begin function _ZN7rocprim17ROCPRIM_400000_NS6detail30init_device_scan_by_key_kernelINS1_19lookback_scan_stateINS0_5tupleIJ11FixedVectorIiLj4EEbEEELb1ELb0EEENS1_16block_id_wrapperIjLb1EEEEEvT_jjPNSB_10value_typeET0_
	.globl	_ZN7rocprim17ROCPRIM_400000_NS6detail30init_device_scan_by_key_kernelINS1_19lookback_scan_stateINS0_5tupleIJ11FixedVectorIiLj4EEbEEELb1ELb0EEENS1_16block_id_wrapperIjLb1EEEEEvT_jjPNSB_10value_typeET0_
	.p2align	8
	.type	_ZN7rocprim17ROCPRIM_400000_NS6detail30init_device_scan_by_key_kernelINS1_19lookback_scan_stateINS0_5tupleIJ11FixedVectorIiLj4EEbEEELb1ELb0EEENS1_16block_id_wrapperIjLb1EEEEEvT_jjPNSB_10value_typeET0_,@function
_ZN7rocprim17ROCPRIM_400000_NS6detail30init_device_scan_by_key_kernelINS1_19lookback_scan_stateINS0_5tupleIJ11FixedVectorIiLj4EEbEEELb1ELb0EEENS1_16block_id_wrapperIjLb1EEEEEvT_jjPNSB_10value_typeET0_: ; @_ZN7rocprim17ROCPRIM_400000_NS6detail30init_device_scan_by_key_kernelINS1_19lookback_scan_stateINS0_5tupleIJ11FixedVectorIiLj4EEbEEELb1ELb0EEENS1_16block_id_wrapperIjLb1EEEEEvT_jjPNSB_10value_typeET0_
; %bb.0:
	s_load_dword s0, s[6:7], 0x3c
	s_load_dwordx8 s[12:19], s[6:7], 0x10
	v_and_b32_e32 v2, 0x3ff, v0
	s_waitcnt lgkmcnt(0)
	s_and_b32 s0, s0, 0xffff
	s_mul_i32 s8, s8, s0
	s_cmp_eq_u64 s[16:17], 0
	v_add_u32_e32 v1, s8, v2
	s_cbranch_scc1 .LBB2043_13
; %bb.1:
	s_cmp_lt_u32 s15, s14
	s_cselect_b32 s0, s15, 0
	s_mov_b32 s10, 0
	v_cmp_eq_u32_e32 vcc, s0, v1
	s_and_saveexec_b64 s[8:9], vcc
	s_cbranch_execz .LBB2043_12
; %bb.2:
	s_load_dwordx2 s[20:21], s[4:5], 0x4
	s_load_dwordx4 s[0:3], s[6:7], 0x0
	v_bfe_u32 v3, v0, 10, 10
	v_bfe_u32 v0, v0, 20, 10
	s_waitcnt lgkmcnt(0)
	s_lshr_b32 s4, s20, 16
	s_mul_i32 s4, s4, s21
	v_mul_u32_u24_e32 v3, s21, v3
	v_mul_lo_u32 v2, s4, v2
	v_add3_u32 v0, v2, v3, v0
	v_mul_lo_u32 v0, v0, 20
	v_mov_b32_e32 v2, 0
	ds_write2_b32 v0, v2, v2 offset0:2 offset1:3
	ds_write2_b32 v0, v2, v2 offset1:1
	ds_write_b32 v0, v2 offset:16
.LBB2043_3:                             ; =>This Inner Loop Header: Depth=1
	v_add_u32_e32 v3, s10, v0
	s_add_i32 s10, s10, 8
	s_cmp_lg_u32 s10, 16
	ds_write2_b32 v3, v2, v2 offset1:1
	s_cbranch_scc1 .LBB2043_3
; %bb.4:
	v_mov_b32_e32 v2, 0
	s_add_i32 s6, s15, 64
	ds_write_b8 v0, v2 offset:16
	v_mov_b32_e32 v3, s6
	global_load_ubyte v3, v3, s[12:13] glc
	s_add_u32 s4, s12, s6
	s_addc_u32 s5, s13, 0
	s_waitcnt vmcnt(0)
	v_cmp_ne_u16_e32 vcc, 0, v3
	v_readfirstlane_b32 s7, v3
	s_cbranch_vccz .LBB2043_6
; %bb.5:
	s_and_b32 s4, 0xffff, s7
	s_branch .LBB2043_11
.LBB2043_6:
	s_mov_b32 s7, 1
.LBB2043_7:                             ; =>This Loop Header: Depth=1
                                        ;     Child Loop BB2043_8 Depth 2
	s_max_u32 s10, s7, 1
.LBB2043_8:                             ;   Parent Loop BB2043_7 Depth=1
                                        ; =>  This Inner Loop Header: Depth=2
	s_add_i32 s10, s10, -1
	s_cmp_eq_u32 s10, 0
	s_sleep 1
	s_cbranch_scc0 .LBB2043_8
; %bb.9:                                ;   in Loop: Header=BB2043_7 Depth=1
	global_load_ubyte v3, v2, s[4:5] glc
	s_cmp_lt_u32 s7, 32
	s_cselect_b64 s[10:11], -1, 0
	s_cmp_lg_u64 s[10:11], 0
	s_addc_u32 s7, s7, 0
	s_waitcnt vmcnt(0)
	v_cmp_ne_u16_e32 vcc, 0, v3
	v_readfirstlane_b32 s10, v3
	s_cbranch_vccz .LBB2043_7
; %bb.10:
	s_and_b32 s4, 0xffff, s10
.LBB2043_11:
	s_cmp_eq_u32 s4, 1
	s_cselect_b32 s1, s1, s3
	s_cselect_b32 s0, s0, s2
	s_mul_i32 s3, s6, 20
	s_mul_hi_u32 s2, s6, 20
	s_add_u32 s0, s0, s3
	s_addc_u32 s1, s1, s2
	v_mov_b32_e32 v6, 0
	s_waitcnt lgkmcnt(0)
	buffer_wbinvl1_vol
	global_load_dwordx4 v[2:5], v6, s[0:1]
	global_load_ubyte v7, v6, s[0:1] offset:16
	s_waitcnt vmcnt(1)
	ds_write2_b32 v0, v2, v3 offset1:1
	ds_write2_b32 v0, v4, v5 offset0:2 offset1:3
	global_store_dwordx4 v6, v[2:5], s[16:17]
	s_waitcnt vmcnt(1)
	global_store_byte v6, v7, s[16:17] offset:16
.LBB2043_12:
	s_or_b64 exec, exec, s[8:9]
.LBB2043_13:
	v_cmp_eq_u32_e32 vcc, 0, v1
	s_and_saveexec_b64 s[0:1], vcc
	s_cbranch_execnz .LBB2043_17
; %bb.14:
	s_or_b64 exec, exec, s[0:1]
	v_cmp_gt_u32_e32 vcc, s14, v1
	s_and_saveexec_b64 s[0:1], vcc
	s_cbranch_execnz .LBB2043_18
.LBB2043_15:
	s_or_b64 exec, exec, s[0:1]
	v_cmp_gt_u32_e32 vcc, 64, v1
	s_and_saveexec_b64 s[0:1], vcc
	s_cbranch_execnz .LBB2043_19
.LBB2043_16:
	s_endpgm
.LBB2043_17:
	v_mov_b32_e32 v0, 0
	global_store_dword v0, v0, s[18:19]
	s_or_b64 exec, exec, s[0:1]
	v_cmp_gt_u32_e32 vcc, s14, v1
	s_and_saveexec_b64 s[0:1], vcc
	s_cbranch_execz .LBB2043_15
.LBB2043_18:
	v_add_u32_e32 v0, 64, v1
	v_mov_b32_e32 v2, 0
	global_store_byte v0, v2, s[12:13]
	s_or_b64 exec, exec, s[0:1]
	v_cmp_gt_u32_e32 vcc, 64, v1
	s_and_saveexec_b64 s[0:1], vcc
	s_cbranch_execz .LBB2043_16
.LBB2043_19:
	v_mov_b32_e32 v0, 0xff
	global_store_byte v1, v0, s[12:13]
	s_endpgm
	.section	.rodata,"a",@progbits
	.p2align	6, 0x0
	.amdhsa_kernel _ZN7rocprim17ROCPRIM_400000_NS6detail30init_device_scan_by_key_kernelINS1_19lookback_scan_stateINS0_5tupleIJ11FixedVectorIiLj4EEbEEELb1ELb0EEENS1_16block_id_wrapperIjLb1EEEEEvT_jjPNSB_10value_typeET0_
		.amdhsa_group_segment_fixed_size 5120
		.amdhsa_private_segment_fixed_size 0
		.amdhsa_kernarg_size 304
		.amdhsa_user_sgpr_count 8
		.amdhsa_user_sgpr_private_segment_buffer 1
		.amdhsa_user_sgpr_dispatch_ptr 1
		.amdhsa_user_sgpr_queue_ptr 0
		.amdhsa_user_sgpr_kernarg_segment_ptr 1
		.amdhsa_user_sgpr_dispatch_id 0
		.amdhsa_user_sgpr_flat_scratch_init 0
		.amdhsa_user_sgpr_kernarg_preload_length 0
		.amdhsa_user_sgpr_kernarg_preload_offset 0
		.amdhsa_user_sgpr_private_segment_size 0
		.amdhsa_uses_dynamic_stack 0
		.amdhsa_system_sgpr_private_segment_wavefront_offset 0
		.amdhsa_system_sgpr_workgroup_id_x 1
		.amdhsa_system_sgpr_workgroup_id_y 0
		.amdhsa_system_sgpr_workgroup_id_z 0
		.amdhsa_system_sgpr_workgroup_info 0
		.amdhsa_system_vgpr_workitem_id 2
		.amdhsa_next_free_vgpr 8
		.amdhsa_next_free_sgpr 22
		.amdhsa_accum_offset 8
		.amdhsa_reserve_vcc 1
		.amdhsa_reserve_flat_scratch 0
		.amdhsa_float_round_mode_32 0
		.amdhsa_float_round_mode_16_64 0
		.amdhsa_float_denorm_mode_32 3
		.amdhsa_float_denorm_mode_16_64 3
		.amdhsa_dx10_clamp 1
		.amdhsa_ieee_mode 1
		.amdhsa_fp16_overflow 0
		.amdhsa_tg_split 0
		.amdhsa_exception_fp_ieee_invalid_op 0
		.amdhsa_exception_fp_denorm_src 0
		.amdhsa_exception_fp_ieee_div_zero 0
		.amdhsa_exception_fp_ieee_overflow 0
		.amdhsa_exception_fp_ieee_underflow 0
		.amdhsa_exception_fp_ieee_inexact 0
		.amdhsa_exception_int_div_zero 0
	.end_amdhsa_kernel
	.section	.text._ZN7rocprim17ROCPRIM_400000_NS6detail30init_device_scan_by_key_kernelINS1_19lookback_scan_stateINS0_5tupleIJ11FixedVectorIiLj4EEbEEELb1ELb0EEENS1_16block_id_wrapperIjLb1EEEEEvT_jjPNSB_10value_typeET0_,"axG",@progbits,_ZN7rocprim17ROCPRIM_400000_NS6detail30init_device_scan_by_key_kernelINS1_19lookback_scan_stateINS0_5tupleIJ11FixedVectorIiLj4EEbEEELb1ELb0EEENS1_16block_id_wrapperIjLb1EEEEEvT_jjPNSB_10value_typeET0_,comdat
.Lfunc_end2043:
	.size	_ZN7rocprim17ROCPRIM_400000_NS6detail30init_device_scan_by_key_kernelINS1_19lookback_scan_stateINS0_5tupleIJ11FixedVectorIiLj4EEbEEELb1ELb0EEENS1_16block_id_wrapperIjLb1EEEEEvT_jjPNSB_10value_typeET0_, .Lfunc_end2043-_ZN7rocprim17ROCPRIM_400000_NS6detail30init_device_scan_by_key_kernelINS1_19lookback_scan_stateINS0_5tupleIJ11FixedVectorIiLj4EEbEEELb1ELb0EEENS1_16block_id_wrapperIjLb1EEEEEvT_jjPNSB_10value_typeET0_
                                        ; -- End function
	.section	.AMDGPU.csdata,"",@progbits
; Kernel info:
; codeLenInByte = 568
; NumSgprs: 26
; NumVgprs: 8
; NumAgprs: 0
; TotalNumVgprs: 8
; ScratchSize: 0
; MemoryBound: 0
; FloatMode: 240
; IeeeMode: 1
; LDSByteSize: 5120 bytes/workgroup (compile time only)
; SGPRBlocks: 3
; VGPRBlocks: 0
; NumSGPRsForWavesPerEU: 26
; NumVGPRsForWavesPerEU: 8
; AccumOffset: 8
; Occupancy: 8
; WaveLimiterHint : 0
; COMPUTE_PGM_RSRC2:SCRATCH_EN: 0
; COMPUTE_PGM_RSRC2:USER_SGPR: 8
; COMPUTE_PGM_RSRC2:TRAP_HANDLER: 0
; COMPUTE_PGM_RSRC2:TGID_X_EN: 1
; COMPUTE_PGM_RSRC2:TGID_Y_EN: 0
; COMPUTE_PGM_RSRC2:TGID_Z_EN: 0
; COMPUTE_PGM_RSRC2:TIDIG_COMP_CNT: 2
; COMPUTE_PGM_RSRC3_GFX90A:ACCUM_OFFSET: 1
; COMPUTE_PGM_RSRC3_GFX90A:TG_SPLIT: 0
	.section	.text._ZN7rocprim17ROCPRIM_400000_NS6detail17trampoline_kernelINS0_14default_configENS1_27scan_by_key_config_selectorIj11FixedVectorIiLj4EEEEZZNS1_16scan_by_key_implILNS1_25lookback_scan_determinismE0ELb0ES3_N6thrust23THRUST_200600_302600_NS6detail15normal_iteratorINSB_10device_ptrIjEEEENSD_INSE_IS6_EEEESI_S6_NSB_4plusIvEENSB_8equal_toIvEES6_EE10hipError_tPvRmT2_T3_T4_T5_mT6_T7_P12ihipStream_tbENKUlT_T0_E_clISt17integral_constantIbLb1EES13_EEDaSY_SZ_EUlSY_E_NS1_11comp_targetILNS1_3genE0ELNS1_11target_archE4294967295ELNS1_3gpuE0ELNS1_3repE0EEENS1_30default_config_static_selectorELNS0_4arch9wavefront6targetE1EEEvT1_,"axG",@progbits,_ZN7rocprim17ROCPRIM_400000_NS6detail17trampoline_kernelINS0_14default_configENS1_27scan_by_key_config_selectorIj11FixedVectorIiLj4EEEEZZNS1_16scan_by_key_implILNS1_25lookback_scan_determinismE0ELb0ES3_N6thrust23THRUST_200600_302600_NS6detail15normal_iteratorINSB_10device_ptrIjEEEENSD_INSE_IS6_EEEESI_S6_NSB_4plusIvEENSB_8equal_toIvEES6_EE10hipError_tPvRmT2_T3_T4_T5_mT6_T7_P12ihipStream_tbENKUlT_T0_E_clISt17integral_constantIbLb1EES13_EEDaSY_SZ_EUlSY_E_NS1_11comp_targetILNS1_3genE0ELNS1_11target_archE4294967295ELNS1_3gpuE0ELNS1_3repE0EEENS1_30default_config_static_selectorELNS0_4arch9wavefront6targetE1EEEvT1_,comdat
	.protected	_ZN7rocprim17ROCPRIM_400000_NS6detail17trampoline_kernelINS0_14default_configENS1_27scan_by_key_config_selectorIj11FixedVectorIiLj4EEEEZZNS1_16scan_by_key_implILNS1_25lookback_scan_determinismE0ELb0ES3_N6thrust23THRUST_200600_302600_NS6detail15normal_iteratorINSB_10device_ptrIjEEEENSD_INSE_IS6_EEEESI_S6_NSB_4plusIvEENSB_8equal_toIvEES6_EE10hipError_tPvRmT2_T3_T4_T5_mT6_T7_P12ihipStream_tbENKUlT_T0_E_clISt17integral_constantIbLb1EES13_EEDaSY_SZ_EUlSY_E_NS1_11comp_targetILNS1_3genE0ELNS1_11target_archE4294967295ELNS1_3gpuE0ELNS1_3repE0EEENS1_30default_config_static_selectorELNS0_4arch9wavefront6targetE1EEEvT1_ ; -- Begin function _ZN7rocprim17ROCPRIM_400000_NS6detail17trampoline_kernelINS0_14default_configENS1_27scan_by_key_config_selectorIj11FixedVectorIiLj4EEEEZZNS1_16scan_by_key_implILNS1_25lookback_scan_determinismE0ELb0ES3_N6thrust23THRUST_200600_302600_NS6detail15normal_iteratorINSB_10device_ptrIjEEEENSD_INSE_IS6_EEEESI_S6_NSB_4plusIvEENSB_8equal_toIvEES6_EE10hipError_tPvRmT2_T3_T4_T5_mT6_T7_P12ihipStream_tbENKUlT_T0_E_clISt17integral_constantIbLb1EES13_EEDaSY_SZ_EUlSY_E_NS1_11comp_targetILNS1_3genE0ELNS1_11target_archE4294967295ELNS1_3gpuE0ELNS1_3repE0EEENS1_30default_config_static_selectorELNS0_4arch9wavefront6targetE1EEEvT1_
	.globl	_ZN7rocprim17ROCPRIM_400000_NS6detail17trampoline_kernelINS0_14default_configENS1_27scan_by_key_config_selectorIj11FixedVectorIiLj4EEEEZZNS1_16scan_by_key_implILNS1_25lookback_scan_determinismE0ELb0ES3_N6thrust23THRUST_200600_302600_NS6detail15normal_iteratorINSB_10device_ptrIjEEEENSD_INSE_IS6_EEEESI_S6_NSB_4plusIvEENSB_8equal_toIvEES6_EE10hipError_tPvRmT2_T3_T4_T5_mT6_T7_P12ihipStream_tbENKUlT_T0_E_clISt17integral_constantIbLb1EES13_EEDaSY_SZ_EUlSY_E_NS1_11comp_targetILNS1_3genE0ELNS1_11target_archE4294967295ELNS1_3gpuE0ELNS1_3repE0EEENS1_30default_config_static_selectorELNS0_4arch9wavefront6targetE1EEEvT1_
	.p2align	8
	.type	_ZN7rocprim17ROCPRIM_400000_NS6detail17trampoline_kernelINS0_14default_configENS1_27scan_by_key_config_selectorIj11FixedVectorIiLj4EEEEZZNS1_16scan_by_key_implILNS1_25lookback_scan_determinismE0ELb0ES3_N6thrust23THRUST_200600_302600_NS6detail15normal_iteratorINSB_10device_ptrIjEEEENSD_INSE_IS6_EEEESI_S6_NSB_4plusIvEENSB_8equal_toIvEES6_EE10hipError_tPvRmT2_T3_T4_T5_mT6_T7_P12ihipStream_tbENKUlT_T0_E_clISt17integral_constantIbLb1EES13_EEDaSY_SZ_EUlSY_E_NS1_11comp_targetILNS1_3genE0ELNS1_11target_archE4294967295ELNS1_3gpuE0ELNS1_3repE0EEENS1_30default_config_static_selectorELNS0_4arch9wavefront6targetE1EEEvT1_,@function
_ZN7rocprim17ROCPRIM_400000_NS6detail17trampoline_kernelINS0_14default_configENS1_27scan_by_key_config_selectorIj11FixedVectorIiLj4EEEEZZNS1_16scan_by_key_implILNS1_25lookback_scan_determinismE0ELb0ES3_N6thrust23THRUST_200600_302600_NS6detail15normal_iteratorINSB_10device_ptrIjEEEENSD_INSE_IS6_EEEESI_S6_NSB_4plusIvEENSB_8equal_toIvEES6_EE10hipError_tPvRmT2_T3_T4_T5_mT6_T7_P12ihipStream_tbENKUlT_T0_E_clISt17integral_constantIbLb1EES13_EEDaSY_SZ_EUlSY_E_NS1_11comp_targetILNS1_3genE0ELNS1_11target_archE4294967295ELNS1_3gpuE0ELNS1_3repE0EEENS1_30default_config_static_selectorELNS0_4arch9wavefront6targetE1EEEvT1_: ; @_ZN7rocprim17ROCPRIM_400000_NS6detail17trampoline_kernelINS0_14default_configENS1_27scan_by_key_config_selectorIj11FixedVectorIiLj4EEEEZZNS1_16scan_by_key_implILNS1_25lookback_scan_determinismE0ELb0ES3_N6thrust23THRUST_200600_302600_NS6detail15normal_iteratorINSB_10device_ptrIjEEEENSD_INSE_IS6_EEEESI_S6_NSB_4plusIvEENSB_8equal_toIvEES6_EE10hipError_tPvRmT2_T3_T4_T5_mT6_T7_P12ihipStream_tbENKUlT_T0_E_clISt17integral_constantIbLb1EES13_EEDaSY_SZ_EUlSY_E_NS1_11comp_targetILNS1_3genE0ELNS1_11target_archE4294967295ELNS1_3gpuE0ELNS1_3repE0EEENS1_30default_config_static_selectorELNS0_4arch9wavefront6targetE1EEEvT1_
; %bb.0:
	.section	.rodata,"a",@progbits
	.p2align	6, 0x0
	.amdhsa_kernel _ZN7rocprim17ROCPRIM_400000_NS6detail17trampoline_kernelINS0_14default_configENS1_27scan_by_key_config_selectorIj11FixedVectorIiLj4EEEEZZNS1_16scan_by_key_implILNS1_25lookback_scan_determinismE0ELb0ES3_N6thrust23THRUST_200600_302600_NS6detail15normal_iteratorINSB_10device_ptrIjEEEENSD_INSE_IS6_EEEESI_S6_NSB_4plusIvEENSB_8equal_toIvEES6_EE10hipError_tPvRmT2_T3_T4_T5_mT6_T7_P12ihipStream_tbENKUlT_T0_E_clISt17integral_constantIbLb1EES13_EEDaSY_SZ_EUlSY_E_NS1_11comp_targetILNS1_3genE0ELNS1_11target_archE4294967295ELNS1_3gpuE0ELNS1_3repE0EEENS1_30default_config_static_selectorELNS0_4arch9wavefront6targetE1EEEvT1_
		.amdhsa_group_segment_fixed_size 0
		.amdhsa_private_segment_fixed_size 0
		.amdhsa_kernarg_size 144
		.amdhsa_user_sgpr_count 6
		.amdhsa_user_sgpr_private_segment_buffer 1
		.amdhsa_user_sgpr_dispatch_ptr 0
		.amdhsa_user_sgpr_queue_ptr 0
		.amdhsa_user_sgpr_kernarg_segment_ptr 1
		.amdhsa_user_sgpr_dispatch_id 0
		.amdhsa_user_sgpr_flat_scratch_init 0
		.amdhsa_user_sgpr_kernarg_preload_length 0
		.amdhsa_user_sgpr_kernarg_preload_offset 0
		.amdhsa_user_sgpr_private_segment_size 0
		.amdhsa_uses_dynamic_stack 0
		.amdhsa_system_sgpr_private_segment_wavefront_offset 0
		.amdhsa_system_sgpr_workgroup_id_x 1
		.amdhsa_system_sgpr_workgroup_id_y 0
		.amdhsa_system_sgpr_workgroup_id_z 0
		.amdhsa_system_sgpr_workgroup_info 0
		.amdhsa_system_vgpr_workitem_id 0
		.amdhsa_next_free_vgpr 1
		.amdhsa_next_free_sgpr 0
		.amdhsa_accum_offset 4
		.amdhsa_reserve_vcc 0
		.amdhsa_reserve_flat_scratch 0
		.amdhsa_float_round_mode_32 0
		.amdhsa_float_round_mode_16_64 0
		.amdhsa_float_denorm_mode_32 3
		.amdhsa_float_denorm_mode_16_64 3
		.amdhsa_dx10_clamp 1
		.amdhsa_ieee_mode 1
		.amdhsa_fp16_overflow 0
		.amdhsa_tg_split 0
		.amdhsa_exception_fp_ieee_invalid_op 0
		.amdhsa_exception_fp_denorm_src 0
		.amdhsa_exception_fp_ieee_div_zero 0
		.amdhsa_exception_fp_ieee_overflow 0
		.amdhsa_exception_fp_ieee_underflow 0
		.amdhsa_exception_fp_ieee_inexact 0
		.amdhsa_exception_int_div_zero 0
	.end_amdhsa_kernel
	.section	.text._ZN7rocprim17ROCPRIM_400000_NS6detail17trampoline_kernelINS0_14default_configENS1_27scan_by_key_config_selectorIj11FixedVectorIiLj4EEEEZZNS1_16scan_by_key_implILNS1_25lookback_scan_determinismE0ELb0ES3_N6thrust23THRUST_200600_302600_NS6detail15normal_iteratorINSB_10device_ptrIjEEEENSD_INSE_IS6_EEEESI_S6_NSB_4plusIvEENSB_8equal_toIvEES6_EE10hipError_tPvRmT2_T3_T4_T5_mT6_T7_P12ihipStream_tbENKUlT_T0_E_clISt17integral_constantIbLb1EES13_EEDaSY_SZ_EUlSY_E_NS1_11comp_targetILNS1_3genE0ELNS1_11target_archE4294967295ELNS1_3gpuE0ELNS1_3repE0EEENS1_30default_config_static_selectorELNS0_4arch9wavefront6targetE1EEEvT1_,"axG",@progbits,_ZN7rocprim17ROCPRIM_400000_NS6detail17trampoline_kernelINS0_14default_configENS1_27scan_by_key_config_selectorIj11FixedVectorIiLj4EEEEZZNS1_16scan_by_key_implILNS1_25lookback_scan_determinismE0ELb0ES3_N6thrust23THRUST_200600_302600_NS6detail15normal_iteratorINSB_10device_ptrIjEEEENSD_INSE_IS6_EEEESI_S6_NSB_4plusIvEENSB_8equal_toIvEES6_EE10hipError_tPvRmT2_T3_T4_T5_mT6_T7_P12ihipStream_tbENKUlT_T0_E_clISt17integral_constantIbLb1EES13_EEDaSY_SZ_EUlSY_E_NS1_11comp_targetILNS1_3genE0ELNS1_11target_archE4294967295ELNS1_3gpuE0ELNS1_3repE0EEENS1_30default_config_static_selectorELNS0_4arch9wavefront6targetE1EEEvT1_,comdat
.Lfunc_end2044:
	.size	_ZN7rocprim17ROCPRIM_400000_NS6detail17trampoline_kernelINS0_14default_configENS1_27scan_by_key_config_selectorIj11FixedVectorIiLj4EEEEZZNS1_16scan_by_key_implILNS1_25lookback_scan_determinismE0ELb0ES3_N6thrust23THRUST_200600_302600_NS6detail15normal_iteratorINSB_10device_ptrIjEEEENSD_INSE_IS6_EEEESI_S6_NSB_4plusIvEENSB_8equal_toIvEES6_EE10hipError_tPvRmT2_T3_T4_T5_mT6_T7_P12ihipStream_tbENKUlT_T0_E_clISt17integral_constantIbLb1EES13_EEDaSY_SZ_EUlSY_E_NS1_11comp_targetILNS1_3genE0ELNS1_11target_archE4294967295ELNS1_3gpuE0ELNS1_3repE0EEENS1_30default_config_static_selectorELNS0_4arch9wavefront6targetE1EEEvT1_, .Lfunc_end2044-_ZN7rocprim17ROCPRIM_400000_NS6detail17trampoline_kernelINS0_14default_configENS1_27scan_by_key_config_selectorIj11FixedVectorIiLj4EEEEZZNS1_16scan_by_key_implILNS1_25lookback_scan_determinismE0ELb0ES3_N6thrust23THRUST_200600_302600_NS6detail15normal_iteratorINSB_10device_ptrIjEEEENSD_INSE_IS6_EEEESI_S6_NSB_4plusIvEENSB_8equal_toIvEES6_EE10hipError_tPvRmT2_T3_T4_T5_mT6_T7_P12ihipStream_tbENKUlT_T0_E_clISt17integral_constantIbLb1EES13_EEDaSY_SZ_EUlSY_E_NS1_11comp_targetILNS1_3genE0ELNS1_11target_archE4294967295ELNS1_3gpuE0ELNS1_3repE0EEENS1_30default_config_static_selectorELNS0_4arch9wavefront6targetE1EEEvT1_
                                        ; -- End function
	.section	.AMDGPU.csdata,"",@progbits
; Kernel info:
; codeLenInByte = 0
; NumSgprs: 4
; NumVgprs: 0
; NumAgprs: 0
; TotalNumVgprs: 0
; ScratchSize: 0
; MemoryBound: 0
; FloatMode: 240
; IeeeMode: 1
; LDSByteSize: 0 bytes/workgroup (compile time only)
; SGPRBlocks: 0
; VGPRBlocks: 0
; NumSGPRsForWavesPerEU: 4
; NumVGPRsForWavesPerEU: 1
; AccumOffset: 4
; Occupancy: 8
; WaveLimiterHint : 0
; COMPUTE_PGM_RSRC2:SCRATCH_EN: 0
; COMPUTE_PGM_RSRC2:USER_SGPR: 6
; COMPUTE_PGM_RSRC2:TRAP_HANDLER: 0
; COMPUTE_PGM_RSRC2:TGID_X_EN: 1
; COMPUTE_PGM_RSRC2:TGID_Y_EN: 0
; COMPUTE_PGM_RSRC2:TGID_Z_EN: 0
; COMPUTE_PGM_RSRC2:TIDIG_COMP_CNT: 0
; COMPUTE_PGM_RSRC3_GFX90A:ACCUM_OFFSET: 0
; COMPUTE_PGM_RSRC3_GFX90A:TG_SPLIT: 0
	.section	.text._ZN7rocprim17ROCPRIM_400000_NS6detail17trampoline_kernelINS0_14default_configENS1_27scan_by_key_config_selectorIj11FixedVectorIiLj4EEEEZZNS1_16scan_by_key_implILNS1_25lookback_scan_determinismE0ELb0ES3_N6thrust23THRUST_200600_302600_NS6detail15normal_iteratorINSB_10device_ptrIjEEEENSD_INSE_IS6_EEEESI_S6_NSB_4plusIvEENSB_8equal_toIvEES6_EE10hipError_tPvRmT2_T3_T4_T5_mT6_T7_P12ihipStream_tbENKUlT_T0_E_clISt17integral_constantIbLb1EES13_EEDaSY_SZ_EUlSY_E_NS1_11comp_targetILNS1_3genE10ELNS1_11target_archE1201ELNS1_3gpuE5ELNS1_3repE0EEENS1_30default_config_static_selectorELNS0_4arch9wavefront6targetE1EEEvT1_,"axG",@progbits,_ZN7rocprim17ROCPRIM_400000_NS6detail17trampoline_kernelINS0_14default_configENS1_27scan_by_key_config_selectorIj11FixedVectorIiLj4EEEEZZNS1_16scan_by_key_implILNS1_25lookback_scan_determinismE0ELb0ES3_N6thrust23THRUST_200600_302600_NS6detail15normal_iteratorINSB_10device_ptrIjEEEENSD_INSE_IS6_EEEESI_S6_NSB_4plusIvEENSB_8equal_toIvEES6_EE10hipError_tPvRmT2_T3_T4_T5_mT6_T7_P12ihipStream_tbENKUlT_T0_E_clISt17integral_constantIbLb1EES13_EEDaSY_SZ_EUlSY_E_NS1_11comp_targetILNS1_3genE10ELNS1_11target_archE1201ELNS1_3gpuE5ELNS1_3repE0EEENS1_30default_config_static_selectorELNS0_4arch9wavefront6targetE1EEEvT1_,comdat
	.protected	_ZN7rocprim17ROCPRIM_400000_NS6detail17trampoline_kernelINS0_14default_configENS1_27scan_by_key_config_selectorIj11FixedVectorIiLj4EEEEZZNS1_16scan_by_key_implILNS1_25lookback_scan_determinismE0ELb0ES3_N6thrust23THRUST_200600_302600_NS6detail15normal_iteratorINSB_10device_ptrIjEEEENSD_INSE_IS6_EEEESI_S6_NSB_4plusIvEENSB_8equal_toIvEES6_EE10hipError_tPvRmT2_T3_T4_T5_mT6_T7_P12ihipStream_tbENKUlT_T0_E_clISt17integral_constantIbLb1EES13_EEDaSY_SZ_EUlSY_E_NS1_11comp_targetILNS1_3genE10ELNS1_11target_archE1201ELNS1_3gpuE5ELNS1_3repE0EEENS1_30default_config_static_selectorELNS0_4arch9wavefront6targetE1EEEvT1_ ; -- Begin function _ZN7rocprim17ROCPRIM_400000_NS6detail17trampoline_kernelINS0_14default_configENS1_27scan_by_key_config_selectorIj11FixedVectorIiLj4EEEEZZNS1_16scan_by_key_implILNS1_25lookback_scan_determinismE0ELb0ES3_N6thrust23THRUST_200600_302600_NS6detail15normal_iteratorINSB_10device_ptrIjEEEENSD_INSE_IS6_EEEESI_S6_NSB_4plusIvEENSB_8equal_toIvEES6_EE10hipError_tPvRmT2_T3_T4_T5_mT6_T7_P12ihipStream_tbENKUlT_T0_E_clISt17integral_constantIbLb1EES13_EEDaSY_SZ_EUlSY_E_NS1_11comp_targetILNS1_3genE10ELNS1_11target_archE1201ELNS1_3gpuE5ELNS1_3repE0EEENS1_30default_config_static_selectorELNS0_4arch9wavefront6targetE1EEEvT1_
	.globl	_ZN7rocprim17ROCPRIM_400000_NS6detail17trampoline_kernelINS0_14default_configENS1_27scan_by_key_config_selectorIj11FixedVectorIiLj4EEEEZZNS1_16scan_by_key_implILNS1_25lookback_scan_determinismE0ELb0ES3_N6thrust23THRUST_200600_302600_NS6detail15normal_iteratorINSB_10device_ptrIjEEEENSD_INSE_IS6_EEEESI_S6_NSB_4plusIvEENSB_8equal_toIvEES6_EE10hipError_tPvRmT2_T3_T4_T5_mT6_T7_P12ihipStream_tbENKUlT_T0_E_clISt17integral_constantIbLb1EES13_EEDaSY_SZ_EUlSY_E_NS1_11comp_targetILNS1_3genE10ELNS1_11target_archE1201ELNS1_3gpuE5ELNS1_3repE0EEENS1_30default_config_static_selectorELNS0_4arch9wavefront6targetE1EEEvT1_
	.p2align	8
	.type	_ZN7rocprim17ROCPRIM_400000_NS6detail17trampoline_kernelINS0_14default_configENS1_27scan_by_key_config_selectorIj11FixedVectorIiLj4EEEEZZNS1_16scan_by_key_implILNS1_25lookback_scan_determinismE0ELb0ES3_N6thrust23THRUST_200600_302600_NS6detail15normal_iteratorINSB_10device_ptrIjEEEENSD_INSE_IS6_EEEESI_S6_NSB_4plusIvEENSB_8equal_toIvEES6_EE10hipError_tPvRmT2_T3_T4_T5_mT6_T7_P12ihipStream_tbENKUlT_T0_E_clISt17integral_constantIbLb1EES13_EEDaSY_SZ_EUlSY_E_NS1_11comp_targetILNS1_3genE10ELNS1_11target_archE1201ELNS1_3gpuE5ELNS1_3repE0EEENS1_30default_config_static_selectorELNS0_4arch9wavefront6targetE1EEEvT1_,@function
_ZN7rocprim17ROCPRIM_400000_NS6detail17trampoline_kernelINS0_14default_configENS1_27scan_by_key_config_selectorIj11FixedVectorIiLj4EEEEZZNS1_16scan_by_key_implILNS1_25lookback_scan_determinismE0ELb0ES3_N6thrust23THRUST_200600_302600_NS6detail15normal_iteratorINSB_10device_ptrIjEEEENSD_INSE_IS6_EEEESI_S6_NSB_4plusIvEENSB_8equal_toIvEES6_EE10hipError_tPvRmT2_T3_T4_T5_mT6_T7_P12ihipStream_tbENKUlT_T0_E_clISt17integral_constantIbLb1EES13_EEDaSY_SZ_EUlSY_E_NS1_11comp_targetILNS1_3genE10ELNS1_11target_archE1201ELNS1_3gpuE5ELNS1_3repE0EEENS1_30default_config_static_selectorELNS0_4arch9wavefront6targetE1EEEvT1_: ; @_ZN7rocprim17ROCPRIM_400000_NS6detail17trampoline_kernelINS0_14default_configENS1_27scan_by_key_config_selectorIj11FixedVectorIiLj4EEEEZZNS1_16scan_by_key_implILNS1_25lookback_scan_determinismE0ELb0ES3_N6thrust23THRUST_200600_302600_NS6detail15normal_iteratorINSB_10device_ptrIjEEEENSD_INSE_IS6_EEEESI_S6_NSB_4plusIvEENSB_8equal_toIvEES6_EE10hipError_tPvRmT2_T3_T4_T5_mT6_T7_P12ihipStream_tbENKUlT_T0_E_clISt17integral_constantIbLb1EES13_EEDaSY_SZ_EUlSY_E_NS1_11comp_targetILNS1_3genE10ELNS1_11target_archE1201ELNS1_3gpuE5ELNS1_3repE0EEENS1_30default_config_static_selectorELNS0_4arch9wavefront6targetE1EEEvT1_
; %bb.0:
	.section	.rodata,"a",@progbits
	.p2align	6, 0x0
	.amdhsa_kernel _ZN7rocprim17ROCPRIM_400000_NS6detail17trampoline_kernelINS0_14default_configENS1_27scan_by_key_config_selectorIj11FixedVectorIiLj4EEEEZZNS1_16scan_by_key_implILNS1_25lookback_scan_determinismE0ELb0ES3_N6thrust23THRUST_200600_302600_NS6detail15normal_iteratorINSB_10device_ptrIjEEEENSD_INSE_IS6_EEEESI_S6_NSB_4plusIvEENSB_8equal_toIvEES6_EE10hipError_tPvRmT2_T3_T4_T5_mT6_T7_P12ihipStream_tbENKUlT_T0_E_clISt17integral_constantIbLb1EES13_EEDaSY_SZ_EUlSY_E_NS1_11comp_targetILNS1_3genE10ELNS1_11target_archE1201ELNS1_3gpuE5ELNS1_3repE0EEENS1_30default_config_static_selectorELNS0_4arch9wavefront6targetE1EEEvT1_
		.amdhsa_group_segment_fixed_size 0
		.amdhsa_private_segment_fixed_size 0
		.amdhsa_kernarg_size 144
		.amdhsa_user_sgpr_count 6
		.amdhsa_user_sgpr_private_segment_buffer 1
		.amdhsa_user_sgpr_dispatch_ptr 0
		.amdhsa_user_sgpr_queue_ptr 0
		.amdhsa_user_sgpr_kernarg_segment_ptr 1
		.amdhsa_user_sgpr_dispatch_id 0
		.amdhsa_user_sgpr_flat_scratch_init 0
		.amdhsa_user_sgpr_kernarg_preload_length 0
		.amdhsa_user_sgpr_kernarg_preload_offset 0
		.amdhsa_user_sgpr_private_segment_size 0
		.amdhsa_uses_dynamic_stack 0
		.amdhsa_system_sgpr_private_segment_wavefront_offset 0
		.amdhsa_system_sgpr_workgroup_id_x 1
		.amdhsa_system_sgpr_workgroup_id_y 0
		.amdhsa_system_sgpr_workgroup_id_z 0
		.amdhsa_system_sgpr_workgroup_info 0
		.amdhsa_system_vgpr_workitem_id 0
		.amdhsa_next_free_vgpr 1
		.amdhsa_next_free_sgpr 0
		.amdhsa_accum_offset 4
		.amdhsa_reserve_vcc 0
		.amdhsa_reserve_flat_scratch 0
		.amdhsa_float_round_mode_32 0
		.amdhsa_float_round_mode_16_64 0
		.amdhsa_float_denorm_mode_32 3
		.amdhsa_float_denorm_mode_16_64 3
		.amdhsa_dx10_clamp 1
		.amdhsa_ieee_mode 1
		.amdhsa_fp16_overflow 0
		.amdhsa_tg_split 0
		.amdhsa_exception_fp_ieee_invalid_op 0
		.amdhsa_exception_fp_denorm_src 0
		.amdhsa_exception_fp_ieee_div_zero 0
		.amdhsa_exception_fp_ieee_overflow 0
		.amdhsa_exception_fp_ieee_underflow 0
		.amdhsa_exception_fp_ieee_inexact 0
		.amdhsa_exception_int_div_zero 0
	.end_amdhsa_kernel
	.section	.text._ZN7rocprim17ROCPRIM_400000_NS6detail17trampoline_kernelINS0_14default_configENS1_27scan_by_key_config_selectorIj11FixedVectorIiLj4EEEEZZNS1_16scan_by_key_implILNS1_25lookback_scan_determinismE0ELb0ES3_N6thrust23THRUST_200600_302600_NS6detail15normal_iteratorINSB_10device_ptrIjEEEENSD_INSE_IS6_EEEESI_S6_NSB_4plusIvEENSB_8equal_toIvEES6_EE10hipError_tPvRmT2_T3_T4_T5_mT6_T7_P12ihipStream_tbENKUlT_T0_E_clISt17integral_constantIbLb1EES13_EEDaSY_SZ_EUlSY_E_NS1_11comp_targetILNS1_3genE10ELNS1_11target_archE1201ELNS1_3gpuE5ELNS1_3repE0EEENS1_30default_config_static_selectorELNS0_4arch9wavefront6targetE1EEEvT1_,"axG",@progbits,_ZN7rocprim17ROCPRIM_400000_NS6detail17trampoline_kernelINS0_14default_configENS1_27scan_by_key_config_selectorIj11FixedVectorIiLj4EEEEZZNS1_16scan_by_key_implILNS1_25lookback_scan_determinismE0ELb0ES3_N6thrust23THRUST_200600_302600_NS6detail15normal_iteratorINSB_10device_ptrIjEEEENSD_INSE_IS6_EEEESI_S6_NSB_4plusIvEENSB_8equal_toIvEES6_EE10hipError_tPvRmT2_T3_T4_T5_mT6_T7_P12ihipStream_tbENKUlT_T0_E_clISt17integral_constantIbLb1EES13_EEDaSY_SZ_EUlSY_E_NS1_11comp_targetILNS1_3genE10ELNS1_11target_archE1201ELNS1_3gpuE5ELNS1_3repE0EEENS1_30default_config_static_selectorELNS0_4arch9wavefront6targetE1EEEvT1_,comdat
.Lfunc_end2045:
	.size	_ZN7rocprim17ROCPRIM_400000_NS6detail17trampoline_kernelINS0_14default_configENS1_27scan_by_key_config_selectorIj11FixedVectorIiLj4EEEEZZNS1_16scan_by_key_implILNS1_25lookback_scan_determinismE0ELb0ES3_N6thrust23THRUST_200600_302600_NS6detail15normal_iteratorINSB_10device_ptrIjEEEENSD_INSE_IS6_EEEESI_S6_NSB_4plusIvEENSB_8equal_toIvEES6_EE10hipError_tPvRmT2_T3_T4_T5_mT6_T7_P12ihipStream_tbENKUlT_T0_E_clISt17integral_constantIbLb1EES13_EEDaSY_SZ_EUlSY_E_NS1_11comp_targetILNS1_3genE10ELNS1_11target_archE1201ELNS1_3gpuE5ELNS1_3repE0EEENS1_30default_config_static_selectorELNS0_4arch9wavefront6targetE1EEEvT1_, .Lfunc_end2045-_ZN7rocprim17ROCPRIM_400000_NS6detail17trampoline_kernelINS0_14default_configENS1_27scan_by_key_config_selectorIj11FixedVectorIiLj4EEEEZZNS1_16scan_by_key_implILNS1_25lookback_scan_determinismE0ELb0ES3_N6thrust23THRUST_200600_302600_NS6detail15normal_iteratorINSB_10device_ptrIjEEEENSD_INSE_IS6_EEEESI_S6_NSB_4plusIvEENSB_8equal_toIvEES6_EE10hipError_tPvRmT2_T3_T4_T5_mT6_T7_P12ihipStream_tbENKUlT_T0_E_clISt17integral_constantIbLb1EES13_EEDaSY_SZ_EUlSY_E_NS1_11comp_targetILNS1_3genE10ELNS1_11target_archE1201ELNS1_3gpuE5ELNS1_3repE0EEENS1_30default_config_static_selectorELNS0_4arch9wavefront6targetE1EEEvT1_
                                        ; -- End function
	.section	.AMDGPU.csdata,"",@progbits
; Kernel info:
; codeLenInByte = 0
; NumSgprs: 4
; NumVgprs: 0
; NumAgprs: 0
; TotalNumVgprs: 0
; ScratchSize: 0
; MemoryBound: 0
; FloatMode: 240
; IeeeMode: 1
; LDSByteSize: 0 bytes/workgroup (compile time only)
; SGPRBlocks: 0
; VGPRBlocks: 0
; NumSGPRsForWavesPerEU: 4
; NumVGPRsForWavesPerEU: 1
; AccumOffset: 4
; Occupancy: 8
; WaveLimiterHint : 0
; COMPUTE_PGM_RSRC2:SCRATCH_EN: 0
; COMPUTE_PGM_RSRC2:USER_SGPR: 6
; COMPUTE_PGM_RSRC2:TRAP_HANDLER: 0
; COMPUTE_PGM_RSRC2:TGID_X_EN: 1
; COMPUTE_PGM_RSRC2:TGID_Y_EN: 0
; COMPUTE_PGM_RSRC2:TGID_Z_EN: 0
; COMPUTE_PGM_RSRC2:TIDIG_COMP_CNT: 0
; COMPUTE_PGM_RSRC3_GFX90A:ACCUM_OFFSET: 0
; COMPUTE_PGM_RSRC3_GFX90A:TG_SPLIT: 0
	.section	.text._ZN7rocprim17ROCPRIM_400000_NS6detail17trampoline_kernelINS0_14default_configENS1_27scan_by_key_config_selectorIj11FixedVectorIiLj4EEEEZZNS1_16scan_by_key_implILNS1_25lookback_scan_determinismE0ELb0ES3_N6thrust23THRUST_200600_302600_NS6detail15normal_iteratorINSB_10device_ptrIjEEEENSD_INSE_IS6_EEEESI_S6_NSB_4plusIvEENSB_8equal_toIvEES6_EE10hipError_tPvRmT2_T3_T4_T5_mT6_T7_P12ihipStream_tbENKUlT_T0_E_clISt17integral_constantIbLb1EES13_EEDaSY_SZ_EUlSY_E_NS1_11comp_targetILNS1_3genE5ELNS1_11target_archE942ELNS1_3gpuE9ELNS1_3repE0EEENS1_30default_config_static_selectorELNS0_4arch9wavefront6targetE1EEEvT1_,"axG",@progbits,_ZN7rocprim17ROCPRIM_400000_NS6detail17trampoline_kernelINS0_14default_configENS1_27scan_by_key_config_selectorIj11FixedVectorIiLj4EEEEZZNS1_16scan_by_key_implILNS1_25lookback_scan_determinismE0ELb0ES3_N6thrust23THRUST_200600_302600_NS6detail15normal_iteratorINSB_10device_ptrIjEEEENSD_INSE_IS6_EEEESI_S6_NSB_4plusIvEENSB_8equal_toIvEES6_EE10hipError_tPvRmT2_T3_T4_T5_mT6_T7_P12ihipStream_tbENKUlT_T0_E_clISt17integral_constantIbLb1EES13_EEDaSY_SZ_EUlSY_E_NS1_11comp_targetILNS1_3genE5ELNS1_11target_archE942ELNS1_3gpuE9ELNS1_3repE0EEENS1_30default_config_static_selectorELNS0_4arch9wavefront6targetE1EEEvT1_,comdat
	.protected	_ZN7rocprim17ROCPRIM_400000_NS6detail17trampoline_kernelINS0_14default_configENS1_27scan_by_key_config_selectorIj11FixedVectorIiLj4EEEEZZNS1_16scan_by_key_implILNS1_25lookback_scan_determinismE0ELb0ES3_N6thrust23THRUST_200600_302600_NS6detail15normal_iteratorINSB_10device_ptrIjEEEENSD_INSE_IS6_EEEESI_S6_NSB_4plusIvEENSB_8equal_toIvEES6_EE10hipError_tPvRmT2_T3_T4_T5_mT6_T7_P12ihipStream_tbENKUlT_T0_E_clISt17integral_constantIbLb1EES13_EEDaSY_SZ_EUlSY_E_NS1_11comp_targetILNS1_3genE5ELNS1_11target_archE942ELNS1_3gpuE9ELNS1_3repE0EEENS1_30default_config_static_selectorELNS0_4arch9wavefront6targetE1EEEvT1_ ; -- Begin function _ZN7rocprim17ROCPRIM_400000_NS6detail17trampoline_kernelINS0_14default_configENS1_27scan_by_key_config_selectorIj11FixedVectorIiLj4EEEEZZNS1_16scan_by_key_implILNS1_25lookback_scan_determinismE0ELb0ES3_N6thrust23THRUST_200600_302600_NS6detail15normal_iteratorINSB_10device_ptrIjEEEENSD_INSE_IS6_EEEESI_S6_NSB_4plusIvEENSB_8equal_toIvEES6_EE10hipError_tPvRmT2_T3_T4_T5_mT6_T7_P12ihipStream_tbENKUlT_T0_E_clISt17integral_constantIbLb1EES13_EEDaSY_SZ_EUlSY_E_NS1_11comp_targetILNS1_3genE5ELNS1_11target_archE942ELNS1_3gpuE9ELNS1_3repE0EEENS1_30default_config_static_selectorELNS0_4arch9wavefront6targetE1EEEvT1_
	.globl	_ZN7rocprim17ROCPRIM_400000_NS6detail17trampoline_kernelINS0_14default_configENS1_27scan_by_key_config_selectorIj11FixedVectorIiLj4EEEEZZNS1_16scan_by_key_implILNS1_25lookback_scan_determinismE0ELb0ES3_N6thrust23THRUST_200600_302600_NS6detail15normal_iteratorINSB_10device_ptrIjEEEENSD_INSE_IS6_EEEESI_S6_NSB_4plusIvEENSB_8equal_toIvEES6_EE10hipError_tPvRmT2_T3_T4_T5_mT6_T7_P12ihipStream_tbENKUlT_T0_E_clISt17integral_constantIbLb1EES13_EEDaSY_SZ_EUlSY_E_NS1_11comp_targetILNS1_3genE5ELNS1_11target_archE942ELNS1_3gpuE9ELNS1_3repE0EEENS1_30default_config_static_selectorELNS0_4arch9wavefront6targetE1EEEvT1_
	.p2align	8
	.type	_ZN7rocprim17ROCPRIM_400000_NS6detail17trampoline_kernelINS0_14default_configENS1_27scan_by_key_config_selectorIj11FixedVectorIiLj4EEEEZZNS1_16scan_by_key_implILNS1_25lookback_scan_determinismE0ELb0ES3_N6thrust23THRUST_200600_302600_NS6detail15normal_iteratorINSB_10device_ptrIjEEEENSD_INSE_IS6_EEEESI_S6_NSB_4plusIvEENSB_8equal_toIvEES6_EE10hipError_tPvRmT2_T3_T4_T5_mT6_T7_P12ihipStream_tbENKUlT_T0_E_clISt17integral_constantIbLb1EES13_EEDaSY_SZ_EUlSY_E_NS1_11comp_targetILNS1_3genE5ELNS1_11target_archE942ELNS1_3gpuE9ELNS1_3repE0EEENS1_30default_config_static_selectorELNS0_4arch9wavefront6targetE1EEEvT1_,@function
_ZN7rocprim17ROCPRIM_400000_NS6detail17trampoline_kernelINS0_14default_configENS1_27scan_by_key_config_selectorIj11FixedVectorIiLj4EEEEZZNS1_16scan_by_key_implILNS1_25lookback_scan_determinismE0ELb0ES3_N6thrust23THRUST_200600_302600_NS6detail15normal_iteratorINSB_10device_ptrIjEEEENSD_INSE_IS6_EEEESI_S6_NSB_4plusIvEENSB_8equal_toIvEES6_EE10hipError_tPvRmT2_T3_T4_T5_mT6_T7_P12ihipStream_tbENKUlT_T0_E_clISt17integral_constantIbLb1EES13_EEDaSY_SZ_EUlSY_E_NS1_11comp_targetILNS1_3genE5ELNS1_11target_archE942ELNS1_3gpuE9ELNS1_3repE0EEENS1_30default_config_static_selectorELNS0_4arch9wavefront6targetE1EEEvT1_: ; @_ZN7rocprim17ROCPRIM_400000_NS6detail17trampoline_kernelINS0_14default_configENS1_27scan_by_key_config_selectorIj11FixedVectorIiLj4EEEEZZNS1_16scan_by_key_implILNS1_25lookback_scan_determinismE0ELb0ES3_N6thrust23THRUST_200600_302600_NS6detail15normal_iteratorINSB_10device_ptrIjEEEENSD_INSE_IS6_EEEESI_S6_NSB_4plusIvEENSB_8equal_toIvEES6_EE10hipError_tPvRmT2_T3_T4_T5_mT6_T7_P12ihipStream_tbENKUlT_T0_E_clISt17integral_constantIbLb1EES13_EEDaSY_SZ_EUlSY_E_NS1_11comp_targetILNS1_3genE5ELNS1_11target_archE942ELNS1_3gpuE9ELNS1_3repE0EEENS1_30default_config_static_selectorELNS0_4arch9wavefront6targetE1EEEvT1_
; %bb.0:
	.section	.rodata,"a",@progbits
	.p2align	6, 0x0
	.amdhsa_kernel _ZN7rocprim17ROCPRIM_400000_NS6detail17trampoline_kernelINS0_14default_configENS1_27scan_by_key_config_selectorIj11FixedVectorIiLj4EEEEZZNS1_16scan_by_key_implILNS1_25lookback_scan_determinismE0ELb0ES3_N6thrust23THRUST_200600_302600_NS6detail15normal_iteratorINSB_10device_ptrIjEEEENSD_INSE_IS6_EEEESI_S6_NSB_4plusIvEENSB_8equal_toIvEES6_EE10hipError_tPvRmT2_T3_T4_T5_mT6_T7_P12ihipStream_tbENKUlT_T0_E_clISt17integral_constantIbLb1EES13_EEDaSY_SZ_EUlSY_E_NS1_11comp_targetILNS1_3genE5ELNS1_11target_archE942ELNS1_3gpuE9ELNS1_3repE0EEENS1_30default_config_static_selectorELNS0_4arch9wavefront6targetE1EEEvT1_
		.amdhsa_group_segment_fixed_size 0
		.amdhsa_private_segment_fixed_size 0
		.amdhsa_kernarg_size 144
		.amdhsa_user_sgpr_count 6
		.amdhsa_user_sgpr_private_segment_buffer 1
		.amdhsa_user_sgpr_dispatch_ptr 0
		.amdhsa_user_sgpr_queue_ptr 0
		.amdhsa_user_sgpr_kernarg_segment_ptr 1
		.amdhsa_user_sgpr_dispatch_id 0
		.amdhsa_user_sgpr_flat_scratch_init 0
		.amdhsa_user_sgpr_kernarg_preload_length 0
		.amdhsa_user_sgpr_kernarg_preload_offset 0
		.amdhsa_user_sgpr_private_segment_size 0
		.amdhsa_uses_dynamic_stack 0
		.amdhsa_system_sgpr_private_segment_wavefront_offset 0
		.amdhsa_system_sgpr_workgroup_id_x 1
		.amdhsa_system_sgpr_workgroup_id_y 0
		.amdhsa_system_sgpr_workgroup_id_z 0
		.amdhsa_system_sgpr_workgroup_info 0
		.amdhsa_system_vgpr_workitem_id 0
		.amdhsa_next_free_vgpr 1
		.amdhsa_next_free_sgpr 0
		.amdhsa_accum_offset 4
		.amdhsa_reserve_vcc 0
		.amdhsa_reserve_flat_scratch 0
		.amdhsa_float_round_mode_32 0
		.amdhsa_float_round_mode_16_64 0
		.amdhsa_float_denorm_mode_32 3
		.amdhsa_float_denorm_mode_16_64 3
		.amdhsa_dx10_clamp 1
		.amdhsa_ieee_mode 1
		.amdhsa_fp16_overflow 0
		.amdhsa_tg_split 0
		.amdhsa_exception_fp_ieee_invalid_op 0
		.amdhsa_exception_fp_denorm_src 0
		.amdhsa_exception_fp_ieee_div_zero 0
		.amdhsa_exception_fp_ieee_overflow 0
		.amdhsa_exception_fp_ieee_underflow 0
		.amdhsa_exception_fp_ieee_inexact 0
		.amdhsa_exception_int_div_zero 0
	.end_amdhsa_kernel
	.section	.text._ZN7rocprim17ROCPRIM_400000_NS6detail17trampoline_kernelINS0_14default_configENS1_27scan_by_key_config_selectorIj11FixedVectorIiLj4EEEEZZNS1_16scan_by_key_implILNS1_25lookback_scan_determinismE0ELb0ES3_N6thrust23THRUST_200600_302600_NS6detail15normal_iteratorINSB_10device_ptrIjEEEENSD_INSE_IS6_EEEESI_S6_NSB_4plusIvEENSB_8equal_toIvEES6_EE10hipError_tPvRmT2_T3_T4_T5_mT6_T7_P12ihipStream_tbENKUlT_T0_E_clISt17integral_constantIbLb1EES13_EEDaSY_SZ_EUlSY_E_NS1_11comp_targetILNS1_3genE5ELNS1_11target_archE942ELNS1_3gpuE9ELNS1_3repE0EEENS1_30default_config_static_selectorELNS0_4arch9wavefront6targetE1EEEvT1_,"axG",@progbits,_ZN7rocprim17ROCPRIM_400000_NS6detail17trampoline_kernelINS0_14default_configENS1_27scan_by_key_config_selectorIj11FixedVectorIiLj4EEEEZZNS1_16scan_by_key_implILNS1_25lookback_scan_determinismE0ELb0ES3_N6thrust23THRUST_200600_302600_NS6detail15normal_iteratorINSB_10device_ptrIjEEEENSD_INSE_IS6_EEEESI_S6_NSB_4plusIvEENSB_8equal_toIvEES6_EE10hipError_tPvRmT2_T3_T4_T5_mT6_T7_P12ihipStream_tbENKUlT_T0_E_clISt17integral_constantIbLb1EES13_EEDaSY_SZ_EUlSY_E_NS1_11comp_targetILNS1_3genE5ELNS1_11target_archE942ELNS1_3gpuE9ELNS1_3repE0EEENS1_30default_config_static_selectorELNS0_4arch9wavefront6targetE1EEEvT1_,comdat
.Lfunc_end2046:
	.size	_ZN7rocprim17ROCPRIM_400000_NS6detail17trampoline_kernelINS0_14default_configENS1_27scan_by_key_config_selectorIj11FixedVectorIiLj4EEEEZZNS1_16scan_by_key_implILNS1_25lookback_scan_determinismE0ELb0ES3_N6thrust23THRUST_200600_302600_NS6detail15normal_iteratorINSB_10device_ptrIjEEEENSD_INSE_IS6_EEEESI_S6_NSB_4plusIvEENSB_8equal_toIvEES6_EE10hipError_tPvRmT2_T3_T4_T5_mT6_T7_P12ihipStream_tbENKUlT_T0_E_clISt17integral_constantIbLb1EES13_EEDaSY_SZ_EUlSY_E_NS1_11comp_targetILNS1_3genE5ELNS1_11target_archE942ELNS1_3gpuE9ELNS1_3repE0EEENS1_30default_config_static_selectorELNS0_4arch9wavefront6targetE1EEEvT1_, .Lfunc_end2046-_ZN7rocprim17ROCPRIM_400000_NS6detail17trampoline_kernelINS0_14default_configENS1_27scan_by_key_config_selectorIj11FixedVectorIiLj4EEEEZZNS1_16scan_by_key_implILNS1_25lookback_scan_determinismE0ELb0ES3_N6thrust23THRUST_200600_302600_NS6detail15normal_iteratorINSB_10device_ptrIjEEEENSD_INSE_IS6_EEEESI_S6_NSB_4plusIvEENSB_8equal_toIvEES6_EE10hipError_tPvRmT2_T3_T4_T5_mT6_T7_P12ihipStream_tbENKUlT_T0_E_clISt17integral_constantIbLb1EES13_EEDaSY_SZ_EUlSY_E_NS1_11comp_targetILNS1_3genE5ELNS1_11target_archE942ELNS1_3gpuE9ELNS1_3repE0EEENS1_30default_config_static_selectorELNS0_4arch9wavefront6targetE1EEEvT1_
                                        ; -- End function
	.section	.AMDGPU.csdata,"",@progbits
; Kernel info:
; codeLenInByte = 0
; NumSgprs: 4
; NumVgprs: 0
; NumAgprs: 0
; TotalNumVgprs: 0
; ScratchSize: 0
; MemoryBound: 0
; FloatMode: 240
; IeeeMode: 1
; LDSByteSize: 0 bytes/workgroup (compile time only)
; SGPRBlocks: 0
; VGPRBlocks: 0
; NumSGPRsForWavesPerEU: 4
; NumVGPRsForWavesPerEU: 1
; AccumOffset: 4
; Occupancy: 8
; WaveLimiterHint : 0
; COMPUTE_PGM_RSRC2:SCRATCH_EN: 0
; COMPUTE_PGM_RSRC2:USER_SGPR: 6
; COMPUTE_PGM_RSRC2:TRAP_HANDLER: 0
; COMPUTE_PGM_RSRC2:TGID_X_EN: 1
; COMPUTE_PGM_RSRC2:TGID_Y_EN: 0
; COMPUTE_PGM_RSRC2:TGID_Z_EN: 0
; COMPUTE_PGM_RSRC2:TIDIG_COMP_CNT: 0
; COMPUTE_PGM_RSRC3_GFX90A:ACCUM_OFFSET: 0
; COMPUTE_PGM_RSRC3_GFX90A:TG_SPLIT: 0
	.section	.text._ZN7rocprim17ROCPRIM_400000_NS6detail17trampoline_kernelINS0_14default_configENS1_27scan_by_key_config_selectorIj11FixedVectorIiLj4EEEEZZNS1_16scan_by_key_implILNS1_25lookback_scan_determinismE0ELb0ES3_N6thrust23THRUST_200600_302600_NS6detail15normal_iteratorINSB_10device_ptrIjEEEENSD_INSE_IS6_EEEESI_S6_NSB_4plusIvEENSB_8equal_toIvEES6_EE10hipError_tPvRmT2_T3_T4_T5_mT6_T7_P12ihipStream_tbENKUlT_T0_E_clISt17integral_constantIbLb1EES13_EEDaSY_SZ_EUlSY_E_NS1_11comp_targetILNS1_3genE4ELNS1_11target_archE910ELNS1_3gpuE8ELNS1_3repE0EEENS1_30default_config_static_selectorELNS0_4arch9wavefront6targetE1EEEvT1_,"axG",@progbits,_ZN7rocprim17ROCPRIM_400000_NS6detail17trampoline_kernelINS0_14default_configENS1_27scan_by_key_config_selectorIj11FixedVectorIiLj4EEEEZZNS1_16scan_by_key_implILNS1_25lookback_scan_determinismE0ELb0ES3_N6thrust23THRUST_200600_302600_NS6detail15normal_iteratorINSB_10device_ptrIjEEEENSD_INSE_IS6_EEEESI_S6_NSB_4plusIvEENSB_8equal_toIvEES6_EE10hipError_tPvRmT2_T3_T4_T5_mT6_T7_P12ihipStream_tbENKUlT_T0_E_clISt17integral_constantIbLb1EES13_EEDaSY_SZ_EUlSY_E_NS1_11comp_targetILNS1_3genE4ELNS1_11target_archE910ELNS1_3gpuE8ELNS1_3repE0EEENS1_30default_config_static_selectorELNS0_4arch9wavefront6targetE1EEEvT1_,comdat
	.protected	_ZN7rocprim17ROCPRIM_400000_NS6detail17trampoline_kernelINS0_14default_configENS1_27scan_by_key_config_selectorIj11FixedVectorIiLj4EEEEZZNS1_16scan_by_key_implILNS1_25lookback_scan_determinismE0ELb0ES3_N6thrust23THRUST_200600_302600_NS6detail15normal_iteratorINSB_10device_ptrIjEEEENSD_INSE_IS6_EEEESI_S6_NSB_4plusIvEENSB_8equal_toIvEES6_EE10hipError_tPvRmT2_T3_T4_T5_mT6_T7_P12ihipStream_tbENKUlT_T0_E_clISt17integral_constantIbLb1EES13_EEDaSY_SZ_EUlSY_E_NS1_11comp_targetILNS1_3genE4ELNS1_11target_archE910ELNS1_3gpuE8ELNS1_3repE0EEENS1_30default_config_static_selectorELNS0_4arch9wavefront6targetE1EEEvT1_ ; -- Begin function _ZN7rocprim17ROCPRIM_400000_NS6detail17trampoline_kernelINS0_14default_configENS1_27scan_by_key_config_selectorIj11FixedVectorIiLj4EEEEZZNS1_16scan_by_key_implILNS1_25lookback_scan_determinismE0ELb0ES3_N6thrust23THRUST_200600_302600_NS6detail15normal_iteratorINSB_10device_ptrIjEEEENSD_INSE_IS6_EEEESI_S6_NSB_4plusIvEENSB_8equal_toIvEES6_EE10hipError_tPvRmT2_T3_T4_T5_mT6_T7_P12ihipStream_tbENKUlT_T0_E_clISt17integral_constantIbLb1EES13_EEDaSY_SZ_EUlSY_E_NS1_11comp_targetILNS1_3genE4ELNS1_11target_archE910ELNS1_3gpuE8ELNS1_3repE0EEENS1_30default_config_static_selectorELNS0_4arch9wavefront6targetE1EEEvT1_
	.globl	_ZN7rocprim17ROCPRIM_400000_NS6detail17trampoline_kernelINS0_14default_configENS1_27scan_by_key_config_selectorIj11FixedVectorIiLj4EEEEZZNS1_16scan_by_key_implILNS1_25lookback_scan_determinismE0ELb0ES3_N6thrust23THRUST_200600_302600_NS6detail15normal_iteratorINSB_10device_ptrIjEEEENSD_INSE_IS6_EEEESI_S6_NSB_4plusIvEENSB_8equal_toIvEES6_EE10hipError_tPvRmT2_T3_T4_T5_mT6_T7_P12ihipStream_tbENKUlT_T0_E_clISt17integral_constantIbLb1EES13_EEDaSY_SZ_EUlSY_E_NS1_11comp_targetILNS1_3genE4ELNS1_11target_archE910ELNS1_3gpuE8ELNS1_3repE0EEENS1_30default_config_static_selectorELNS0_4arch9wavefront6targetE1EEEvT1_
	.p2align	8
	.type	_ZN7rocprim17ROCPRIM_400000_NS6detail17trampoline_kernelINS0_14default_configENS1_27scan_by_key_config_selectorIj11FixedVectorIiLj4EEEEZZNS1_16scan_by_key_implILNS1_25lookback_scan_determinismE0ELb0ES3_N6thrust23THRUST_200600_302600_NS6detail15normal_iteratorINSB_10device_ptrIjEEEENSD_INSE_IS6_EEEESI_S6_NSB_4plusIvEENSB_8equal_toIvEES6_EE10hipError_tPvRmT2_T3_T4_T5_mT6_T7_P12ihipStream_tbENKUlT_T0_E_clISt17integral_constantIbLb1EES13_EEDaSY_SZ_EUlSY_E_NS1_11comp_targetILNS1_3genE4ELNS1_11target_archE910ELNS1_3gpuE8ELNS1_3repE0EEENS1_30default_config_static_selectorELNS0_4arch9wavefront6targetE1EEEvT1_,@function
_ZN7rocprim17ROCPRIM_400000_NS6detail17trampoline_kernelINS0_14default_configENS1_27scan_by_key_config_selectorIj11FixedVectorIiLj4EEEEZZNS1_16scan_by_key_implILNS1_25lookback_scan_determinismE0ELb0ES3_N6thrust23THRUST_200600_302600_NS6detail15normal_iteratorINSB_10device_ptrIjEEEENSD_INSE_IS6_EEEESI_S6_NSB_4plusIvEENSB_8equal_toIvEES6_EE10hipError_tPvRmT2_T3_T4_T5_mT6_T7_P12ihipStream_tbENKUlT_T0_E_clISt17integral_constantIbLb1EES13_EEDaSY_SZ_EUlSY_E_NS1_11comp_targetILNS1_3genE4ELNS1_11target_archE910ELNS1_3gpuE8ELNS1_3repE0EEENS1_30default_config_static_selectorELNS0_4arch9wavefront6targetE1EEEvT1_: ; @_ZN7rocprim17ROCPRIM_400000_NS6detail17trampoline_kernelINS0_14default_configENS1_27scan_by_key_config_selectorIj11FixedVectorIiLj4EEEEZZNS1_16scan_by_key_implILNS1_25lookback_scan_determinismE0ELb0ES3_N6thrust23THRUST_200600_302600_NS6detail15normal_iteratorINSB_10device_ptrIjEEEENSD_INSE_IS6_EEEESI_S6_NSB_4plusIvEENSB_8equal_toIvEES6_EE10hipError_tPvRmT2_T3_T4_T5_mT6_T7_P12ihipStream_tbENKUlT_T0_E_clISt17integral_constantIbLb1EES13_EEDaSY_SZ_EUlSY_E_NS1_11comp_targetILNS1_3genE4ELNS1_11target_archE910ELNS1_3gpuE8ELNS1_3repE0EEENS1_30default_config_static_selectorELNS0_4arch9wavefront6targetE1EEEvT1_
; %bb.0:
	s_load_dwordx8 s[24:31], s[4:5], 0x38
	s_load_dwordx2 s[52:53], s[4:5], 0x58
	s_add_u32 flat_scratch_lo, s6, s9
	s_addc_u32 flat_scratch_hi, s7, 0
	s_add_u32 s0, s0, s9
	s_addc_u32 s1, s1, 0
	v_cmp_ne_u32_e64 s[8:9], 0, v0
	v_cmp_eq_u32_e64 s[20:21], 0, v0
	s_and_saveexec_b64 s[6:7], s[20:21]
	s_cbranch_execz .LBB2047_4
; %bb.1:
	s_mov_b64 s[12:13], exec
	v_mbcnt_lo_u32_b32 v1, s12, 0
	v_mbcnt_hi_u32_b32 v1, s13, v1
	v_cmp_eq_u32_e32 vcc, 0, v1
                                        ; implicit-def: $vgpr2
	s_and_saveexec_b64 s[10:11], vcc
	s_cbranch_execz .LBB2047_3
; %bb.2:
	s_load_dwordx2 s[14:15], s[4:5], 0x88
	s_bcnt1_i32_b64 s12, s[12:13]
	v_mov_b32_e32 v2, 0
	v_mov_b32_e32 v3, s12
	s_waitcnt lgkmcnt(0)
	global_atomic_add v2, v2, v3, s[14:15] glc
.LBB2047_3:
	s_or_b64 exec, exec, s[10:11]
	s_waitcnt vmcnt(0)
	v_readfirstlane_b32 s10, v2
	v_add_u32_e32 v1, s10, v1
	v_mov_b32_e32 v2, 0
	ds_write_b32 v2, v1
.LBB2047_4:
	s_or_b64 exec, exec, s[6:7]
	v_mov_b32_e32 v1, 0
	s_load_dwordx8 s[36:43], s[4:5], 0x0
	s_load_dword s6, s[4:5], 0x60
	s_load_dwordx8 s[44:51], s[4:5], 0x68
	s_waitcnt lgkmcnt(0)
	s_barrier
	ds_read_b32 v2, v1
	s_mov_b32 s4, 0
	s_waitcnt lgkmcnt(0)
	s_barrier
	v_readfirstlane_b32 s33, v2
	v_mov_b32_e32 v2, 0xd0
	s_barrier
	buffer_store_dword v1, off, s[0:3], 0 offset:220
	buffer_store_dword v1, off, s[0:3], 0 offset:216
	buffer_store_dword v1, off, s[0:3], 0 offset:212
	buffer_store_dword v1, off, s[0:3], 0 offset:208
	buffer_store_dword v1, off, s[0:3], 0 offset:224
.LBB2047_5:                             ; =>This Inner Loop Header: Depth=1
	v_add_u32_e32 v3, s4, v2
	s_add_i32 s4, s4, 8
	s_cmp_lg_u32 s4, 16
	buffer_store_dword v1, v3, s[0:3], 0 offen offset:4
	buffer_store_dword v1, v3, s[0:3], 0 offen
	s_cbranch_scc1 .LBB2047_5
; %bb.6:
	v_mov_b32_e32 v2, 0xd0
	v_mov_b32_e32 v1, 0
	s_mov_b32 s4, 20
	v_add_u32_e32 v7, 20, v2
	buffer_store_byte v1, off, s[0:3], 0 offset:224
	buffer_store_dword v1, off, s[0:3], 0 offset:240
	buffer_store_dword v1, off, s[0:3], 0 offset:236
	buffer_store_dword v1, off, s[0:3], 0 offset:232
	buffer_store_dword v1, off, s[0:3], 0 offset:228
	buffer_store_dword v1, off, s[0:3], 0 offset:244
.LBB2047_7:                             ; =>This Inner Loop Header: Depth=1
	v_add_u32_e32 v3, s4, v2
	s_add_i32 s4, s4, 8
	s_cmp_lg_u32 s4, 36
	buffer_store_dword v1, v3, s[0:3], 0 offen offset:4
	buffer_store_dword v1, v3, s[0:3], 0 offen
	s_cbranch_scc1 .LBB2047_7
; %bb.8:
	v_mov_b32_e32 v2, 0xd0
	v_mov_b32_e32 v1, 0
	s_mov_b32 s4, 40
	v_add_u32_e32 v10, 40, v2
	buffer_store_byte v1, off, s[0:3], 0 offset:244
	;; [unrolled: 18-line block ×3, first 2 shown]
	buffer_store_dword v1, off, s[0:3], 0 offset:280
	buffer_store_dword v1, off, s[0:3], 0 offset:276
	;; [unrolled: 1-line block ×5, first 2 shown]
.LBB2047_11:                            ; =>This Inner Loop Header: Depth=1
	v_add_u32_e32 v3, s4, v2
	s_add_i32 s4, s4, 8
	s_cmpk_lg_i32 s4, 0x4c
	buffer_store_dword v1, v3, s[0:3], 0 offen offset:4
	buffer_store_dword v1, v3, s[0:3], 0 offen
	s_cbranch_scc1 .LBB2047_11
; %bb.12:
	v_mov_b32_e32 v2, 0xd0
	v_mov_b32_e32 v1, 0
	s_movk_i32 s4, 0x50
	v_add_u32_e32 v12, 0x50, v2
	buffer_store_byte v1, off, s[0:3], 0 offset:284
	buffer_store_dword v1, off, s[0:3], 0 offset:300
	buffer_store_dword v1, off, s[0:3], 0 offset:296
	buffer_store_dword v1, off, s[0:3], 0 offset:292
	buffer_store_dword v1, off, s[0:3], 0 offset:288
	buffer_store_dword v1, off, s[0:3], 0 offset:304
.LBB2047_13:                            ; =>This Inner Loop Header: Depth=1
	v_add_u32_e32 v3, s4, v2
	s_add_i32 s4, s4, 8
	s_cmpk_lg_i32 s4, 0x60
	buffer_store_dword v1, v3, s[0:3], 0 offen offset:4
	buffer_store_dword v1, v3, s[0:3], 0 offen
	s_cbranch_scc1 .LBB2047_13
; %bb.14:
	s_mov_b32 s4, 0
	v_mov_b32_e32 v1, 0
	v_mov_b32_e32 v2, 0x60
	buffer_store_byte v1, off, s[0:3], 0 offset:304
.LBB2047_15:                            ; =>This Inner Loop Header: Depth=1
	v_add_u32_e32 v3, s4, v2
	s_add_i32 s4, s4, 8
	s_cmp_lg_u32 s4, 16
	buffer_store_dword v1, v3, s[0:3], 0 offen offset:4
	buffer_store_dword v1, v3, s[0:3], 0 offen
	s_cbranch_scc1 .LBB2047_15
; %bb.16:
	s_mov_b32 s4, 16
	v_mov_b32_e32 v1, 0x60
	v_mov_b32_e32 v2, 0
.LBB2047_17:                            ; =>This Inner Loop Header: Depth=1
	v_add_u32_e32 v3, s4, v1
	s_add_i32 s4, s4, 8
	s_cmp_lg_u32 s4, 32
	buffer_store_dword v2, v3, s[0:3], 0 offen offset:4
	buffer_store_dword v2, v3, s[0:3], 0 offen
	s_cbranch_scc1 .LBB2047_17
; %bb.18:
	s_mov_b32 s4, 32
	v_mov_b32_e32 v1, 0x60
	v_mov_b32_e32 v2, 0
	;; [unrolled: 11-line block ×4, first 2 shown]
.LBB2047_23:                            ; =>This Inner Loop Header: Depth=1
	v_add_u32_e32 v3, s4, v1
	s_add_i32 s4, s4, 8
	s_cmpk_lg_i32 s4, 0x50
	buffer_store_dword v2, v3, s[0:3], 0 offen offset:4
	buffer_store_dword v2, v3, s[0:3], 0 offen
	s_cbranch_scc1 .LBB2047_23
; %bb.24:
	s_lshl_b64 s[4:5], s[38:39], 2
	s_add_u32 s10, s36, s4
	s_addc_u32 s11, s37, s5
	s_lshl_b64 s[22:23], s[38:39], 4
	s_add_u32 s12, s40, s22
	s_mul_i32 s4, s53, s6
	s_mul_hi_u32 s5, s52, s6
	s_addc_u32 s13, s41, s23
	s_add_i32 s16, s5, s4
	s_cmp_lg_u64 s[48:49], 0
	s_mul_i32 s4, s33, 0x500
	s_mov_b32 s5, 0
	s_mul_i32 s17, s52, s6
	s_cselect_b64 s[38:39], -1, 0
	s_lshl_b64 s[6:7], s[4:5], 2
	s_add_u32 s36, s10, s6
	s_addc_u32 s37, s11, s7
	s_lshl_b64 s[34:35], s[4:5], 4
	s_add_u32 s48, s12, s34
	s_addc_u32 s49, s13, s35
	s_add_u32 s40, s17, s33
	s_addc_u32 s41, s16, 0
	s_add_u32 s4, s44, -1
	v_mov_b32_e32 v2, 0x60
	s_addc_u32 s5, s45, -1
	v_add_u32_e32 v1, 64, v2
	v_add_u32_e32 v6, 48, v2
	v_add_u32_e32 v8, 32, v2
	v_add_u32_e32 v9, 16, v2
	v_pk_mov_b32 v[2:3], s[4:5], s[4:5] op_sel:[0,1]
	v_cmp_ge_u64_e64 s[6:7], s[40:41], v[2:3]
	s_mov_b64 s[14:15], 0
	s_mov_b64 s[10:11], -1
	s_and_b64 vcc, exec, s[6:7]
	s_mul_i32 s31, s4, 0xfffffb00
                                        ; implicit-def: $sgpr4_sgpr5
	s_cbranch_vccnz .LBB2047_343
; %bb.25:
	s_and_b64 vcc, exec, s[10:11]
	v_lshlrev_b32_e32 v13, 4, v0
	s_cbranch_vccnz .LBB2047_374
.LBB2047_26:
	s_and_saveexec_b64 s[10:11], s[14:15]
	s_cbranch_execz .LBB2047_28
.LBB2047_27:
	buffer_load_dword v2, v1, s[0:3], 0 offen offset:12
	buffer_load_dword v3, v1, s[0:3], 0 offen offset:8
	;; [unrolled: 1-line block ×3, first 2 shown]
	buffer_load_dword v5, v1, s[0:3], 0 offen
                                        ; kill: killed $vgpr1
	v_cndmask_b32_e64 v1, 0, 1, s[4:5]
	s_waitcnt vmcnt(3)
	buffer_store_dword v2, v12, s[0:3], 0 offen offset:12
	s_waitcnt vmcnt(3)
	buffer_store_dword v3, v12, s[0:3], 0 offen offset:8
	;; [unrolled: 2-line block ×3, first 2 shown]
	s_waitcnt vmcnt(3)
	buffer_store_dword v5, v12, s[0:3], 0 offen
	buffer_store_byte v1, off, s[0:3], 0 offset:304
.LBB2047_28:
	s_or_b64 exec, exec, s[10:11]
	s_cmp_lg_u32 s33, 0
	s_mov_b32 s4, 0
	s_barrier
	s_cbranch_scc0 .LBB2047_382
; %bb.29:
	v_mov_b32_e32 v1, 0
	v_mov_b32_e32 v2, 0x60
	buffer_store_dword v1, off, s[0:3], 0 offset:112
.LBB2047_30:                            ; =>This Inner Loop Header: Depth=1
	v_add_u32_e32 v3, s4, v2
	s_add_i32 s4, s4, 8
	s_cmp_lg_u32 s4, 16
	buffer_store_dword v1, v3, s[0:3], 0 offen offset:4
	buffer_store_dword v1, v3, s[0:3], 0 offen
	s_cbranch_scc1 .LBB2047_30
; %bb.31:
	buffer_load_dword v1, off, s[0:3], 0 offset:220
	buffer_load_dword v2, off, s[0:3], 0 offset:216
	buffer_load_dword v3, off, s[0:3], 0 offset:212
	buffer_load_dword v4, off, s[0:3], 0 offset:208
	buffer_load_ubyte v8, off, s[0:3], 0 offset:244
	buffer_load_ubyte v6, off, s[0:3], 0 offset:224
	s_waitcnt vmcnt(5)
	buffer_store_dword v1, off, s[0:3], 0 offset:108
	s_waitcnt vmcnt(5)
	buffer_store_dword v2, off, s[0:3], 0 offset:104
	;; [unrolled: 2-line block ×4, first 2 shown]
	s_waitcnt vmcnt(5)
	v_cmp_ne_u16_e32 vcc, 0, v8
                                        ; implicit-def: $vgpr4_vgpr5
                                        ; implicit-def: $vgpr2_vgpr3
	s_and_saveexec_b64 s[4:5], vcc
	s_xor_b64 s[4:5], exec, s[4:5]
	s_cbranch_execz .LBB2047_33
; %bb.32:
	buffer_load_dword v2, off, s[0:3], 0 offset:228
	buffer_load_dword v3, off, s[0:3], 0 offset:232
	;; [unrolled: 1-line block ×4, first 2 shown]
.LBB2047_33:
	s_andn2_saveexec_b64 s[4:5], s[4:5]
	s_cbranch_execz .LBB2047_39
; %bb.34:
	s_mov_b32 s10, 0
	v_mov_b32_e32 v1, 16
	s_waitcnt vmcnt(3)
	v_mov_b32_e32 v2, 0
	s_waitcnt vmcnt(0)
.LBB2047_35:                            ; =>This Inner Loop Header: Depth=1
	v_add_u32_e32 v3, s10, v1
	s_add_i32 s10, s10, 8
	s_cmp_lg_u32 s10, 16
	buffer_store_dword v2, v3, s[0:3], 0 offen offset:4
	buffer_store_dword v2, v3, s[0:3], 0 offen
	s_cbranch_scc1 .LBB2047_35
; %bb.36:
	s_mov_b32 s10, 0
	v_mov_b32_e32 v1, 0x60
	v_mov_b32_e32 v2, 0xd0
	v_mov_b32_e32 v3, 16
.LBB2047_37:                            ; =>This Inner Loop Header: Depth=1
	v_add_u32_e32 v4, s10, v1
	v_add_u32_e32 v5, s10, v2
	buffer_load_dword v9, v4, s[0:3], 0 offen offset:4
	buffer_load_dword v14, v5, s[0:3], 0 offen offset:20
	buffer_load_dword v15, v4, s[0:3], 0 offen
	buffer_load_dword v16, v5, s[0:3], 0 offen offset:24
                                        ; kill: killed $vgpr4
	v_add_u32_e32 v4, s10, v3
	s_add_i32 s10, s10, 8
	s_cmp_lg_u32 s10, 16
                                        ; kill: killed $vgpr5
	s_waitcnt vmcnt(1)
	v_add_u32_e32 v5, v14, v15
	s_waitcnt vmcnt(0)
	v_add_u32_e32 v9, v16, v9
	buffer_store_dword v9, v4, s[0:3], 0 offen offset:4
	buffer_store_dword v5, v4, s[0:3], 0 offen
	s_cbranch_scc1 .LBB2047_37
; %bb.38:
	buffer_load_dword v2, off, s[0:3], 0 offset:16
	buffer_load_dword v3, off, s[0:3], 0 offset:20
	;; [unrolled: 1-line block ×4, first 2 shown]
.LBB2047_39:
	s_or_b64 exec, exec, s[4:5]
	buffer_load_ubyte v1, off, s[0:3], 0 offset:264
	s_waitcnt vmcnt(3)
	buffer_store_dword v3, off, s[0:3], 0 offset:100
	buffer_store_dword v2, off, s[0:3], 0 offset:96
	s_waitcnt vmcnt(3)
	buffer_store_dword v5, off, s[0:3], 0 offset:108
	buffer_store_dword v4, off, s[0:3], 0 offset:104
                                        ; implicit-def: $vgpr4_vgpr5
                                        ; implicit-def: $vgpr2_vgpr3
	s_waitcnt vmcnt(4)
	v_cmp_ne_u16_e32 vcc, 0, v1
	s_and_saveexec_b64 s[4:5], vcc
	s_xor_b64 s[4:5], exec, s[4:5]
	s_cbranch_execz .LBB2047_41
; %bb.40:
	buffer_load_dword v2, off, s[0:3], 0 offset:248
	buffer_load_dword v3, off, s[0:3], 0 offset:252
	;; [unrolled: 1-line block ×4, first 2 shown]
.LBB2047_41:
	s_andn2_saveexec_b64 s[4:5], s[4:5]
	s_cbranch_execz .LBB2047_47
; %bb.42:
	s_mov_b32 s10, 0
	s_waitcnt vmcnt(3)
	v_mov_b32_e32 v2, 16
	s_waitcnt vmcnt(2)
	v_mov_b32_e32 v3, 0
	s_waitcnt vmcnt(0)
.LBB2047_43:                            ; =>This Inner Loop Header: Depth=1
	v_add_u32_e32 v4, s10, v2
	s_add_i32 s10, s10, 8
	s_cmp_lg_u32 s10, 16
	buffer_store_dword v3, v4, s[0:3], 0 offen offset:4
	buffer_store_dword v3, v4, s[0:3], 0 offen
	s_cbranch_scc1 .LBB2047_43
; %bb.44:
	s_mov_b32 s10, 0
	v_mov_b32_e32 v2, 0x60
	v_mov_b32_e32 v3, 0xd0
	;; [unrolled: 1-line block ×3, first 2 shown]
.LBB2047_45:                            ; =>This Inner Loop Header: Depth=1
	v_add_u32_e32 v5, s10, v2
	v_add_u32_e32 v9, s10, v3
	buffer_load_dword v14, v5, s[0:3], 0 offen offset:4
	buffer_load_dword v15, v9, s[0:3], 0 offen offset:40
	buffer_load_dword v16, v5, s[0:3], 0 offen
	buffer_load_dword v17, v9, s[0:3], 0 offen offset:44
                                        ; kill: killed $vgpr5
	v_add_u32_e32 v5, s10, v4
	s_add_i32 s10, s10, 8
	s_cmp_lg_u32 s10, 16
                                        ; kill: killed $vgpr9
	s_waitcnt vmcnt(1)
	v_add_u32_e32 v9, v15, v16
	s_waitcnt vmcnt(0)
	v_add_u32_e32 v14, v17, v14
	buffer_store_dword v14, v5, s[0:3], 0 offen offset:4
	buffer_store_dword v9, v5, s[0:3], 0 offen
	s_cbranch_scc1 .LBB2047_45
; %bb.46:
	buffer_load_dword v2, off, s[0:3], 0 offset:16
	buffer_load_dword v3, off, s[0:3], 0 offset:20
	;; [unrolled: 1-line block ×4, first 2 shown]
.LBB2047_47:
	s_or_b64 exec, exec, s[4:5]
	buffer_load_ubyte v9, off, s[0:3], 0 offset:284
	s_waitcnt vmcnt(3)
	buffer_store_dword v3, off, s[0:3], 0 offset:100
	buffer_store_dword v2, off, s[0:3], 0 offset:96
	s_waitcnt vmcnt(3)
	buffer_store_dword v5, off, s[0:3], 0 offset:108
	buffer_store_dword v4, off, s[0:3], 0 offset:104
                                        ; implicit-def: $vgpr4_vgpr5
                                        ; implicit-def: $vgpr2_vgpr3
	s_waitcnt vmcnt(4)
	v_cmp_ne_u16_e32 vcc, 0, v9
	s_and_saveexec_b64 s[4:5], vcc
	s_xor_b64 s[4:5], exec, s[4:5]
	s_cbranch_execz .LBB2047_49
; %bb.48:
	buffer_load_dword v2, off, s[0:3], 0 offset:268
	buffer_load_dword v3, off, s[0:3], 0 offset:272
	;; [unrolled: 1-line block ×4, first 2 shown]
.LBB2047_49:
	s_andn2_saveexec_b64 s[4:5], s[4:5]
	s_cbranch_execz .LBB2047_55
; %bb.50:
	s_mov_b32 s10, 0
	s_waitcnt vmcnt(3)
	v_mov_b32_e32 v2, 16
	s_waitcnt vmcnt(2)
	v_mov_b32_e32 v3, 0
	s_waitcnt vmcnt(0)
.LBB2047_51:                            ; =>This Inner Loop Header: Depth=1
	v_add_u32_e32 v4, s10, v2
	s_add_i32 s10, s10, 8
	s_cmp_lg_u32 s10, 16
	buffer_store_dword v3, v4, s[0:3], 0 offen offset:4
	buffer_store_dword v3, v4, s[0:3], 0 offen
	s_cbranch_scc1 .LBB2047_51
; %bb.52:
	s_mov_b32 s10, 0
	v_mov_b32_e32 v2, 0x60
	v_mov_b32_e32 v3, 0xd0
	;; [unrolled: 1-line block ×3, first 2 shown]
.LBB2047_53:                            ; =>This Inner Loop Header: Depth=1
	v_add_u32_e32 v5, s10, v2
	v_add_u32_e32 v14, s10, v3
	buffer_load_dword v15, v5, s[0:3], 0 offen offset:4
	buffer_load_dword v16, v14, s[0:3], 0 offen offset:60
	buffer_load_dword v17, v5, s[0:3], 0 offen
	buffer_load_dword v18, v14, s[0:3], 0 offen offset:64
                                        ; kill: killed $vgpr5
	v_add_u32_e32 v5, s10, v4
	s_add_i32 s10, s10, 8
	s_cmp_lg_u32 s10, 16
                                        ; kill: killed $vgpr14
	s_waitcnt vmcnt(1)
	v_add_u32_e32 v14, v16, v17
	s_waitcnt vmcnt(0)
	v_add_u32_e32 v15, v18, v15
	buffer_store_dword v15, v5, s[0:3], 0 offen offset:4
	buffer_store_dword v14, v5, s[0:3], 0 offen
	s_cbranch_scc1 .LBB2047_53
; %bb.54:
	buffer_load_dword v2, off, s[0:3], 0 offset:16
	buffer_load_dword v3, off, s[0:3], 0 offset:20
	;; [unrolled: 1-line block ×4, first 2 shown]
.LBB2047_55:
	s_or_b64 exec, exec, s[4:5]
	buffer_load_ubyte v14, off, s[0:3], 0 offset:304
	s_waitcnt vmcnt(3)
	buffer_store_dword v3, off, s[0:3], 0 offset:100
	buffer_store_dword v2, off, s[0:3], 0 offset:96
	s_waitcnt vmcnt(3)
	buffer_store_dword v5, off, s[0:3], 0 offset:108
	buffer_store_dword v4, off, s[0:3], 0 offset:104
                                        ; implicit-def: $vgpr4_vgpr5
                                        ; implicit-def: $vgpr2_vgpr3
	s_waitcnt vmcnt(4)
	v_cmp_ne_u16_e32 vcc, 0, v14
	s_and_saveexec_b64 s[4:5], vcc
	s_xor_b64 s[4:5], exec, s[4:5]
	s_cbranch_execz .LBB2047_57
; %bb.56:
	buffer_load_dword v2, off, s[0:3], 0 offset:288
	buffer_load_dword v3, off, s[0:3], 0 offset:292
	;; [unrolled: 1-line block ×4, first 2 shown]
.LBB2047_57:
	s_andn2_saveexec_b64 s[4:5], s[4:5]
	s_cbranch_execz .LBB2047_63
; %bb.58:
	s_mov_b32 s10, 0
	s_waitcnt vmcnt(3)
	v_mov_b32_e32 v2, 16
	s_waitcnt vmcnt(2)
	v_mov_b32_e32 v3, 0
	s_waitcnt vmcnt(0)
.LBB2047_59:                            ; =>This Inner Loop Header: Depth=1
	v_add_u32_e32 v4, s10, v2
	s_add_i32 s10, s10, 8
	s_cmp_lg_u32 s10, 16
	buffer_store_dword v3, v4, s[0:3], 0 offen offset:4
	buffer_store_dword v3, v4, s[0:3], 0 offen
	s_cbranch_scc1 .LBB2047_59
; %bb.60:
	s_mov_b32 s10, 0
	v_mov_b32_e32 v2, 0x60
	v_mov_b32_e32 v3, 0xd0
	;; [unrolled: 1-line block ×3, first 2 shown]
.LBB2047_61:                            ; =>This Inner Loop Header: Depth=1
	v_add_u32_e32 v5, s10, v2
	v_add_u32_e32 v15, s10, v3
	buffer_load_dword v16, v5, s[0:3], 0 offen offset:4
	buffer_load_dword v17, v15, s[0:3], 0 offen offset:80
	buffer_load_dword v18, v5, s[0:3], 0 offen
	buffer_load_dword v19, v15, s[0:3], 0 offen offset:84
                                        ; kill: killed $vgpr5
	v_add_u32_e32 v5, s10, v4
	s_add_i32 s10, s10, 8
	s_cmp_lg_u32 s10, 16
                                        ; kill: killed $vgpr15
	s_waitcnt vmcnt(1)
	v_add_u32_e32 v15, v17, v18
	s_waitcnt vmcnt(0)
	v_add_u32_e32 v16, v19, v16
	buffer_store_dword v16, v5, s[0:3], 0 offen offset:4
	buffer_store_dword v15, v5, s[0:3], 0 offen
	s_cbranch_scc1 .LBB2047_61
; %bb.62:
	buffer_load_dword v2, off, s[0:3], 0 offset:16
	buffer_load_dword v3, off, s[0:3], 0 offset:20
	;; [unrolled: 1-line block ×4, first 2 shown]
.LBB2047_63:
	s_or_b64 exec, exec, s[4:5]
	buffer_load_ushort v15, off, s[0:3], 0 offset:113
	buffer_load_sbyte v16, off, s[0:3], 0 offset:115
	v_or_b32_e32 v9, v14, v9
	v_or_b32_e32 v9, v9, v1
	;; [unrolled: 1-line block ×3, first 2 shown]
	v_mbcnt_lo_u32_b32 v14, -1, 0
	v_or_b32_e32 v6, v9, v6
	v_mbcnt_hi_u32_b32 v1, -1, v14
	v_and_b32_e32 v6, 1, v6
	v_and_b32_e32 v8, 15, v1
	s_waitcnt vmcnt(5)
	v_mov_b32_dpp v17, v2 row_shr:1 row_mask:0xf bank_mask:0xf
	v_cmp_ne_u32_e32 vcc, 0, v8
	s_waitcnt vmcnt(4)
	buffer_store_dword v3, off, s[0:3], 0 offset:180
	buffer_store_dword v2, off, s[0:3], 0 offset:176
	s_waitcnt vmcnt(4)
	buffer_store_dword v5, off, s[0:3], 0 offset:188
	buffer_store_dword v4, off, s[0:3], 0 offset:184
	v_mov_b32_dpp v18, v3 row_shr:1 row_mask:0xf bank_mask:0xf
	v_mov_b32_dpp v19, v4 row_shr:1 row_mask:0xf bank_mask:0xf
	;; [unrolled: 1-line block ×3, first 2 shown]
	buffer_store_dword v17, off, s[0:3], 0 offset:96
	buffer_store_dword v18, off, s[0:3], 0 offset:100
	buffer_store_dword v19, off, s[0:3], 0 offset:104
	buffer_store_dword v20, off, s[0:3], 0 offset:108
	s_waitcnt vmcnt(9)
	v_lshrrev_b32_e32 v9, 8, v15
	v_lshlrev_b16_e32 v14, 8, v15
	s_waitcnt vmcnt(8)
	v_lshlrev_b16_e32 v15, 8, v16
	v_or_b32_e32 v6, v6, v14
	v_or_b32_sdwa v9, v9, v15 dst_sel:WORD_1 dst_unused:UNUSED_PAD src0_sel:BYTE_0 src1_sel:DWORD
	v_or_b32_sdwa v9, v6, v9 dst_sel:DWORD dst_unused:UNUSED_PAD src0_sel:WORD_0 src1_sel:DWORD
	buffer_store_dword v9, off, s[0:3], 0 offset:192
	s_nop 0
	v_mov_b32_dpp v14, v9 row_shr:1 row_mask:0xf bank_mask:0xf
	buffer_store_dword v14, off, s[0:3], 0 offset:112
	s_and_saveexec_b64 s[4:5], vcc
	s_cbranch_execz .LBB2047_71
; %bb.64:
	v_mov_b32_e32 v15, 0
	v_cmp_eq_u16_sdwa s[12:13], v6, v15 src0_sel:BYTE_0 src1_sel:DWORD
	s_and_saveexec_b64 s[10:11], s[12:13]
	s_cbranch_execz .LBB2047_70
; %bb.65:
	s_mov_b32 s12, 0
	v_mov_b32_e32 v2, 16
.LBB2047_66:                            ; =>This Inner Loop Header: Depth=1
	v_add_u32_e32 v3, s12, v2
	s_add_i32 s12, s12, 8
	s_cmp_lg_u32 s12, 16
	buffer_store_dword v15, v3, s[0:3], 0 offen offset:4
	buffer_store_dword v15, v3, s[0:3], 0 offen
	s_cbranch_scc1 .LBB2047_66
; %bb.67:
	s_mov_b32 s12, 0
	v_mov_b32_e32 v2, 0x60
	v_mov_b32_e32 v3, 0xb0
	;; [unrolled: 1-line block ×3, first 2 shown]
.LBB2047_68:                            ; =>This Inner Loop Header: Depth=1
	v_add_u32_e32 v5, s12, v2
	v_add_u32_e32 v6, s12, v3
	buffer_load_dword v15, v5, s[0:3], 0 offen offset:4
	buffer_load_dword v16, v6, s[0:3], 0 offen
	buffer_load_dword v17, v5, s[0:3], 0 offen
	buffer_load_dword v18, v6, s[0:3], 0 offen offset:4
                                        ; kill: killed $vgpr5
	v_add_u32_e32 v5, s12, v4
	s_add_i32 s12, s12, 8
	s_cmp_lg_u32 s12, 16
                                        ; kill: killed $vgpr6
	s_waitcnt vmcnt(1)
	v_add_u32_e32 v6, v16, v17
	s_waitcnt vmcnt(0)
	v_add_u32_e32 v15, v18, v15
	buffer_store_dword v15, v5, s[0:3], 0 offen offset:4
	buffer_store_dword v6, v5, s[0:3], 0 offen
	s_cbranch_scc1 .LBB2047_68
; %bb.69:
	buffer_load_dword v2, off, s[0:3], 0 offset:16
	buffer_load_dword v3, off, s[0:3], 0 offset:20
	;; [unrolled: 1-line block ×4, first 2 shown]
.LBB2047_70:
	s_or_b64 exec, exec, s[10:11]
	v_or_b32_e32 v6, v14, v9
	v_and_b32_e32 v6, 1, v6
	buffer_store_byte v6, off, s[0:3], 0 offset:192
	buffer_load_dword v9, off, s[0:3], 0 offset:192
	s_waitcnt vmcnt(4)
	buffer_store_dword v3, off, s[0:3], 0 offset:180
	buffer_store_dword v2, off, s[0:3], 0 offset:176
	s_waitcnt vmcnt(4)
	buffer_store_dword v5, off, s[0:3], 0 offset:188
	buffer_store_dword v4, off, s[0:3], 0 offset:184
	s_waitcnt vmcnt(4)
	v_mov_b32_e32 v6, v9
.LBB2047_71:
	s_or_b64 exec, exec, s[4:5]
	v_mov_b32_dpp v15, v2 row_shr:2 row_mask:0xf bank_mask:0xf
	v_mov_b32_dpp v14, v9 row_shr:2 row_mask:0xf bank_mask:0xf
	v_cmp_lt_u32_e32 vcc, 1, v8
	v_mov_b32_dpp v16, v3 row_shr:2 row_mask:0xf bank_mask:0xf
	v_mov_b32_dpp v17, v4 row_shr:2 row_mask:0xf bank_mask:0xf
	;; [unrolled: 1-line block ×3, first 2 shown]
	buffer_store_dword v15, off, s[0:3], 0 offset:96
	buffer_store_dword v16, off, s[0:3], 0 offset:100
	buffer_store_dword v17, off, s[0:3], 0 offset:104
	buffer_store_dword v18, off, s[0:3], 0 offset:108
	buffer_store_dword v14, off, s[0:3], 0 offset:112
	s_and_saveexec_b64 s[10:11], vcc
	s_cbranch_execz .LBB2047_79
; %bb.72:
	v_mov_b32_e32 v9, 0
	s_mov_b32 s12, 0
	v_cmp_eq_u16_sdwa s[14:15], v6, v9 src0_sel:BYTE_0 src1_sel:DWORD
	s_and_saveexec_b64 s[4:5], s[14:15]
	s_cbranch_execz .LBB2047_78
; %bb.73:
	v_mov_b32_e32 v2, 16
.LBB2047_74:                            ; =>This Inner Loop Header: Depth=1
	v_add_u32_e32 v3, s12, v2
	s_add_i32 s12, s12, 8
	s_cmp_lg_u32 s12, 16
	buffer_store_dword v9, v3, s[0:3], 0 offen offset:4
	buffer_store_dword v9, v3, s[0:3], 0 offen
	s_cbranch_scc1 .LBB2047_74
; %bb.75:
	s_mov_b32 s12, 0
	v_mov_b32_e32 v2, 0x60
	v_mov_b32_e32 v3, 0xb0
	;; [unrolled: 1-line block ×3, first 2 shown]
.LBB2047_76:                            ; =>This Inner Loop Header: Depth=1
	v_add_u32_e32 v5, s12, v2
	v_add_u32_e32 v9, s12, v3
	buffer_load_dword v15, v5, s[0:3], 0 offen offset:4
	buffer_load_dword v16, v9, s[0:3], 0 offen
	buffer_load_dword v17, v5, s[0:3], 0 offen
	buffer_load_dword v18, v9, s[0:3], 0 offen offset:4
                                        ; kill: killed $vgpr5
	v_add_u32_e32 v5, s12, v4
	s_add_i32 s12, s12, 8
	s_cmp_lg_u32 s12, 16
                                        ; kill: killed $vgpr9
	s_waitcnt vmcnt(1)
	v_add_u32_e32 v9, v16, v17
	s_waitcnt vmcnt(0)
	v_add_u32_e32 v15, v18, v15
	buffer_store_dword v15, v5, s[0:3], 0 offen offset:4
	buffer_store_dword v9, v5, s[0:3], 0 offen
	s_cbranch_scc1 .LBB2047_76
; %bb.77:
	buffer_load_dword v2, off, s[0:3], 0 offset:16
	buffer_load_dword v3, off, s[0:3], 0 offset:20
	;; [unrolled: 1-line block ×4, first 2 shown]
.LBB2047_78:
	s_or_b64 exec, exec, s[4:5]
	v_and_b32_e32 v6, 1, v6
	v_cmp_eq_u32_e32 vcc, 1, v6
	v_and_b32_e32 v6, 1, v14
	v_cmp_eq_u32_e64 s[4:5], 1, v6
	s_or_b64 s[4:5], vcc, s[4:5]
	v_cndmask_b32_e64 v6, 0, 1, s[4:5]
	buffer_store_byte v6, off, s[0:3], 0 offset:192
	buffer_load_dword v9, off, s[0:3], 0 offset:192
	s_waitcnt vmcnt(4)
	buffer_store_dword v3, off, s[0:3], 0 offset:180
	buffer_store_dword v2, off, s[0:3], 0 offset:176
	s_waitcnt vmcnt(4)
	buffer_store_dword v5, off, s[0:3], 0 offset:188
	buffer_store_dword v4, off, s[0:3], 0 offset:184
	s_waitcnt vmcnt(4)
	v_mov_b32_e32 v6, v9
.LBB2047_79:
	s_or_b64 exec, exec, s[10:11]
	v_mov_b32_dpp v15, v2 row_shr:4 row_mask:0xf bank_mask:0xf
	v_mov_b32_dpp v14, v9 row_shr:4 row_mask:0xf bank_mask:0xf
	v_cmp_lt_u32_e32 vcc, 3, v8
	v_mov_b32_dpp v16, v3 row_shr:4 row_mask:0xf bank_mask:0xf
	v_mov_b32_dpp v17, v4 row_shr:4 row_mask:0xf bank_mask:0xf
	;; [unrolled: 1-line block ×3, first 2 shown]
	buffer_store_dword v15, off, s[0:3], 0 offset:96
	buffer_store_dword v16, off, s[0:3], 0 offset:100
	;; [unrolled: 1-line block ×5, first 2 shown]
	s_and_saveexec_b64 s[10:11], vcc
	s_cbranch_execz .LBB2047_87
; %bb.80:
	v_mov_b32_e32 v9, 0
	s_mov_b32 s12, 0
	v_cmp_eq_u16_sdwa s[14:15], v6, v9 src0_sel:BYTE_0 src1_sel:DWORD
	s_and_saveexec_b64 s[4:5], s[14:15]
	s_cbranch_execz .LBB2047_86
; %bb.81:
	v_mov_b32_e32 v2, 16
.LBB2047_82:                            ; =>This Inner Loop Header: Depth=1
	v_add_u32_e32 v3, s12, v2
	s_add_i32 s12, s12, 8
	s_cmp_lg_u32 s12, 16
	buffer_store_dword v9, v3, s[0:3], 0 offen offset:4
	buffer_store_dword v9, v3, s[0:3], 0 offen
	s_cbranch_scc1 .LBB2047_82
; %bb.83:
	s_mov_b32 s12, 0
	v_mov_b32_e32 v2, 0x60
	v_mov_b32_e32 v3, 0xb0
	;; [unrolled: 1-line block ×3, first 2 shown]
.LBB2047_84:                            ; =>This Inner Loop Header: Depth=1
	v_add_u32_e32 v5, s12, v2
	v_add_u32_e32 v9, s12, v3
	buffer_load_dword v15, v5, s[0:3], 0 offen offset:4
	buffer_load_dword v16, v9, s[0:3], 0 offen
	buffer_load_dword v17, v5, s[0:3], 0 offen
	buffer_load_dword v18, v9, s[0:3], 0 offen offset:4
                                        ; kill: killed $vgpr5
	v_add_u32_e32 v5, s12, v4
	s_add_i32 s12, s12, 8
	s_cmp_lg_u32 s12, 16
                                        ; kill: killed $vgpr9
	s_waitcnt vmcnt(1)
	v_add_u32_e32 v9, v16, v17
	s_waitcnt vmcnt(0)
	v_add_u32_e32 v15, v18, v15
	buffer_store_dword v15, v5, s[0:3], 0 offen offset:4
	buffer_store_dword v9, v5, s[0:3], 0 offen
	s_cbranch_scc1 .LBB2047_84
; %bb.85:
	buffer_load_dword v2, off, s[0:3], 0 offset:16
	buffer_load_dword v3, off, s[0:3], 0 offset:20
	;; [unrolled: 1-line block ×4, first 2 shown]
.LBB2047_86:
	s_or_b64 exec, exec, s[4:5]
	v_and_b32_e32 v6, 1, v6
	v_cmp_eq_u32_e32 vcc, 1, v6
	v_and_b32_e32 v6, 1, v14
	v_cmp_eq_u32_e64 s[4:5], 1, v6
	s_or_b64 s[4:5], vcc, s[4:5]
	v_cndmask_b32_e64 v6, 0, 1, s[4:5]
	buffer_store_byte v6, off, s[0:3], 0 offset:192
	buffer_load_dword v9, off, s[0:3], 0 offset:192
	s_waitcnt vmcnt(4)
	buffer_store_dword v3, off, s[0:3], 0 offset:180
	buffer_store_dword v2, off, s[0:3], 0 offset:176
	s_waitcnt vmcnt(4)
	buffer_store_dword v5, off, s[0:3], 0 offset:188
	buffer_store_dword v4, off, s[0:3], 0 offset:184
	s_waitcnt vmcnt(4)
	v_mov_b32_e32 v6, v9
.LBB2047_87:
	s_or_b64 exec, exec, s[10:11]
	v_mov_b32_dpp v15, v2 row_shr:8 row_mask:0xf bank_mask:0xf
	v_mov_b32_dpp v14, v9 row_shr:8 row_mask:0xf bank_mask:0xf
	v_cmp_lt_u32_e32 vcc, 7, v8
	v_mov_b32_dpp v16, v3 row_shr:8 row_mask:0xf bank_mask:0xf
	v_mov_b32_dpp v17, v4 row_shr:8 row_mask:0xf bank_mask:0xf
	;; [unrolled: 1-line block ×3, first 2 shown]
	buffer_store_dword v15, off, s[0:3], 0 offset:96
	buffer_store_dword v16, off, s[0:3], 0 offset:100
	;; [unrolled: 1-line block ×5, first 2 shown]
	s_and_saveexec_b64 s[10:11], vcc
	s_cbranch_execz .LBB2047_95
; %bb.88:
	v_mov_b32_e32 v8, 0
	s_mov_b32 s12, 0
	v_cmp_eq_u16_sdwa s[14:15], v6, v8 src0_sel:BYTE_0 src1_sel:DWORD
	s_and_saveexec_b64 s[4:5], s[14:15]
	s_cbranch_execz .LBB2047_94
; %bb.89:
	v_mov_b32_e32 v2, 16
.LBB2047_90:                            ; =>This Inner Loop Header: Depth=1
	v_add_u32_e32 v3, s12, v2
	s_add_i32 s12, s12, 8
	s_cmp_lg_u32 s12, 16
	buffer_store_dword v8, v3, s[0:3], 0 offen offset:4
	buffer_store_dword v8, v3, s[0:3], 0 offen
	s_cbranch_scc1 .LBB2047_90
; %bb.91:
	s_mov_b32 s12, 0
	v_mov_b32_e32 v2, 0x60
	v_mov_b32_e32 v3, 0xb0
	;; [unrolled: 1-line block ×3, first 2 shown]
.LBB2047_92:                            ; =>This Inner Loop Header: Depth=1
	v_add_u32_e32 v5, s12, v2
	v_add_u32_e32 v8, s12, v3
	buffer_load_dword v9, v5, s[0:3], 0 offen offset:4
	buffer_load_dword v15, v8, s[0:3], 0 offen
	buffer_load_dword v16, v5, s[0:3], 0 offen
	buffer_load_dword v17, v8, s[0:3], 0 offen offset:4
                                        ; kill: killed $vgpr5
	v_add_u32_e32 v5, s12, v4
	s_add_i32 s12, s12, 8
	s_cmp_lg_u32 s12, 16
                                        ; kill: killed $vgpr8
	s_waitcnt vmcnt(1)
	v_add_u32_e32 v8, v15, v16
	s_waitcnt vmcnt(0)
	v_add_u32_e32 v9, v17, v9
	buffer_store_dword v9, v5, s[0:3], 0 offen offset:4
	buffer_store_dword v8, v5, s[0:3], 0 offen
	s_cbranch_scc1 .LBB2047_92
; %bb.93:
	buffer_load_dword v2, off, s[0:3], 0 offset:16
	buffer_load_dword v3, off, s[0:3], 0 offset:20
	;; [unrolled: 1-line block ×4, first 2 shown]
.LBB2047_94:
	s_or_b64 exec, exec, s[4:5]
	v_and_b32_e32 v6, 1, v6
	v_cmp_eq_u32_e32 vcc, 1, v6
	v_and_b32_e32 v6, 1, v14
	v_cmp_eq_u32_e64 s[4:5], 1, v6
	s_or_b64 s[4:5], vcc, s[4:5]
	v_cndmask_b32_e64 v6, 0, 1, s[4:5]
	buffer_store_byte v6, off, s[0:3], 0 offset:192
	buffer_load_dword v9, off, s[0:3], 0 offset:192
	s_waitcnt vmcnt(4)
	buffer_store_dword v3, off, s[0:3], 0 offset:180
	buffer_store_dword v2, off, s[0:3], 0 offset:176
	s_waitcnt vmcnt(4)
	buffer_store_dword v5, off, s[0:3], 0 offset:188
	buffer_store_dword v4, off, s[0:3], 0 offset:184
	s_waitcnt vmcnt(4)
	v_mov_b32_e32 v6, v9
.LBB2047_95:
	s_or_b64 exec, exec, s[10:11]
	v_mov_b32_dpp v14, v2 row_bcast:15 row_mask:0xf bank_mask:0xf
	v_mov_b32_dpp v15, v3 row_bcast:15 row_mask:0xf bank_mask:0xf
	v_mov_b32_dpp v16, v4 row_bcast:15 row_mask:0xf bank_mask:0xf
	v_mov_b32_dpp v17, v5 row_bcast:15 row_mask:0xf bank_mask:0xf
	v_mov_b32_dpp v8, v9 row_bcast:15 row_mask:0xf bank_mask:0xf
	buffer_store_dword v14, off, s[0:3], 0 offset:96
	buffer_store_dword v15, off, s[0:3], 0 offset:100
	;; [unrolled: 1-line block ×5, first 2 shown]
	v_and_b32_e32 v14, 16, v1
	v_cmp_ne_u32_e32 vcc, 0, v14
	s_and_saveexec_b64 s[10:11], vcc
	s_cbranch_execz .LBB2047_103
; %bb.96:
	v_mov_b32_e32 v9, 0
	s_mov_b32 s12, 0
	v_cmp_eq_u16_sdwa s[14:15], v6, v9 src0_sel:BYTE_0 src1_sel:DWORD
	s_and_saveexec_b64 s[4:5], s[14:15]
	s_cbranch_execz .LBB2047_102
; %bb.97:
	v_mov_b32_e32 v2, 16
.LBB2047_98:                            ; =>This Inner Loop Header: Depth=1
	v_add_u32_e32 v3, s12, v2
	s_add_i32 s12, s12, 8
	s_cmp_lg_u32 s12, 16
	buffer_store_dword v9, v3, s[0:3], 0 offen offset:4
	buffer_store_dword v9, v3, s[0:3], 0 offen
	s_cbranch_scc1 .LBB2047_98
; %bb.99:
	s_mov_b32 s12, 0
	v_mov_b32_e32 v2, 0x60
	v_mov_b32_e32 v3, 0xb0
	;; [unrolled: 1-line block ×3, first 2 shown]
.LBB2047_100:                           ; =>This Inner Loop Header: Depth=1
	v_add_u32_e32 v5, s12, v2
	v_add_u32_e32 v9, s12, v3
	buffer_load_dword v14, v5, s[0:3], 0 offen offset:4
	buffer_load_dword v15, v9, s[0:3], 0 offen
	buffer_load_dword v16, v5, s[0:3], 0 offen
	buffer_load_dword v17, v9, s[0:3], 0 offen offset:4
                                        ; kill: killed $vgpr5
	v_add_u32_e32 v5, s12, v4
	s_add_i32 s12, s12, 8
	s_cmp_lg_u32 s12, 16
                                        ; kill: killed $vgpr9
	s_waitcnt vmcnt(1)
	v_add_u32_e32 v9, v15, v16
	s_waitcnt vmcnt(0)
	v_add_u32_e32 v14, v17, v14
	buffer_store_dword v14, v5, s[0:3], 0 offen offset:4
	buffer_store_dword v9, v5, s[0:3], 0 offen
	s_cbranch_scc1 .LBB2047_100
; %bb.101:
	buffer_load_dword v2, off, s[0:3], 0 offset:16
	buffer_load_dword v3, off, s[0:3], 0 offset:20
	buffer_load_dword v4, off, s[0:3], 0 offset:24
	buffer_load_dword v5, off, s[0:3], 0 offset:28
.LBB2047_102:
	s_or_b64 exec, exec, s[4:5]
	v_and_b32_e32 v6, 1, v6
	v_cmp_eq_u32_e32 vcc, 1, v6
	v_and_b32_e32 v6, 1, v8
	v_cmp_eq_u32_e64 s[4:5], 1, v6
	s_or_b64 s[4:5], vcc, s[4:5]
	v_cndmask_b32_e64 v6, 0, 1, s[4:5]
	buffer_store_byte v6, off, s[0:3], 0 offset:192
	buffer_load_dword v9, off, s[0:3], 0 offset:192
	s_waitcnt vmcnt(4)
	buffer_store_dword v3, off, s[0:3], 0 offset:180
	buffer_store_dword v2, off, s[0:3], 0 offset:176
	s_waitcnt vmcnt(4)
	buffer_store_dword v5, off, s[0:3], 0 offset:188
	buffer_store_dword v4, off, s[0:3], 0 offset:184
	s_waitcnt vmcnt(4)
	v_mov_b32_e32 v6, v9
.LBB2047_103:
	s_or_b64 exec, exec, s[10:11]
	v_mov_b32_dpp v14, v2 row_bcast:31 row_mask:0xf bank_mask:0xf
	v_mov_b32_dpp v8, v9 row_bcast:31 row_mask:0xf bank_mask:0xf
	v_cmp_lt_u32_e32 vcc, 31, v1
	v_mov_b32_dpp v15, v3 row_bcast:31 row_mask:0xf bank_mask:0xf
	v_mov_b32_dpp v16, v4 row_bcast:31 row_mask:0xf bank_mask:0xf
	v_mov_b32_dpp v17, v5 row_bcast:31 row_mask:0xf bank_mask:0xf
	buffer_store_dword v14, off, s[0:3], 0 offset:96
	buffer_store_dword v15, off, s[0:3], 0 offset:100
	;; [unrolled: 1-line block ×5, first 2 shown]
	s_and_saveexec_b64 s[10:11], vcc
	s_cbranch_execz .LBB2047_111
; %bb.104:
	v_mov_b32_e32 v9, 0
	s_mov_b32 s12, 0
	v_cmp_eq_u16_sdwa s[14:15], v6, v9 src0_sel:BYTE_0 src1_sel:DWORD
	s_and_saveexec_b64 s[4:5], s[14:15]
	s_cbranch_execz .LBB2047_110
; %bb.105:
	v_mov_b32_e32 v2, 16
.LBB2047_106:                           ; =>This Inner Loop Header: Depth=1
	v_add_u32_e32 v3, s12, v2
	s_add_i32 s12, s12, 8
	s_cmp_lg_u32 s12, 16
	buffer_store_dword v9, v3, s[0:3], 0 offen offset:4
	buffer_store_dword v9, v3, s[0:3], 0 offen
	s_cbranch_scc1 .LBB2047_106
; %bb.107:
	s_mov_b32 s12, 0
	v_mov_b32_e32 v2, 0x60
	v_mov_b32_e32 v3, 0xb0
	;; [unrolled: 1-line block ×3, first 2 shown]
.LBB2047_108:                           ; =>This Inner Loop Header: Depth=1
	v_add_u32_e32 v5, s12, v2
	v_add_u32_e32 v9, s12, v3
	buffer_load_dword v14, v5, s[0:3], 0 offen offset:4
	buffer_load_dword v15, v9, s[0:3], 0 offen
	buffer_load_dword v16, v5, s[0:3], 0 offen
	buffer_load_dword v17, v9, s[0:3], 0 offen offset:4
                                        ; kill: killed $vgpr5
	v_add_u32_e32 v5, s12, v4
	s_add_i32 s12, s12, 8
	s_cmp_lg_u32 s12, 16
                                        ; kill: killed $vgpr9
	s_waitcnt vmcnt(1)
	v_add_u32_e32 v9, v15, v16
	s_waitcnt vmcnt(0)
	v_add_u32_e32 v14, v17, v14
	buffer_store_dword v14, v5, s[0:3], 0 offen offset:4
	buffer_store_dword v9, v5, s[0:3], 0 offen
	s_cbranch_scc1 .LBB2047_108
; %bb.109:
	buffer_load_dword v2, off, s[0:3], 0 offset:16
	buffer_load_dword v3, off, s[0:3], 0 offset:20
	;; [unrolled: 1-line block ×4, first 2 shown]
.LBB2047_110:
	s_or_b64 exec, exec, s[4:5]
	v_and_b32_e32 v6, 1, v6
	v_cmp_eq_u32_e32 vcc, 1, v6
	v_and_b32_e32 v6, 1, v8
	v_cmp_eq_u32_e64 s[4:5], 1, v6
	s_or_b64 s[4:5], vcc, s[4:5]
	v_cndmask_b32_e64 v6, 0, 1, s[4:5]
	s_waitcnt vmcnt(2)
	buffer_store_dword v3, off, s[0:3], 0 offset:180
	buffer_store_dword v2, off, s[0:3], 0 offset:176
	s_waitcnt vmcnt(2)
	buffer_store_dword v5, off, s[0:3], 0 offset:188
	buffer_store_dword v4, off, s[0:3], 0 offset:184
	buffer_store_byte v6, off, s[0:3], 0 offset:192
.LBB2047_111:
	s_or_b64 exec, exec, s[10:11]
	v_or_b32_e32 v9, 63, v0
	v_lshrrev_b32_e32 v8, 6, v0
	v_cmp_eq_u32_e32 vcc, v9, v0
	s_and_saveexec_b64 s[4:5], vcc
	s_cbranch_execz .LBB2047_113
; %bb.112:
	v_mul_u32_u24_e32 v9, 20, v8
	ds_write2_b32 v9, v2, v3 offset1:1
	ds_write2_b32 v9, v4, v5 offset0:2 offset1:3
	ds_write_b8 v9, v6 offset:16
.LBB2047_113:
	s_or_b64 exec, exec, s[4:5]
	v_cmp_gt_u32_e32 vcc, 4, v0
	s_waitcnt lgkmcnt(0)
	s_barrier
	s_and_saveexec_b64 s[10:11], vcc
	s_cbranch_execz .LBB2047_131
; %bb.114:
	v_mul_u32_u24_e32 v6, 20, v0
	ds_read_b32 v9, v6 offset:16
	ds_read2_b32 v[2:3], v6 offset0:2 offset1:3
	ds_read2_b32 v[4:5], v6 offset1:1
	v_and_b32_e32 v14, 3, v1
	v_cmp_ne_u32_e32 vcc, 0, v14
	s_waitcnt lgkmcnt(2)
	v_mov_b32_dpp v15, v9 row_shr:1 row_mask:0xf bank_mask:0xf
	s_waitcnt lgkmcnt(1)
	v_mov_b32_dpp v18, v2 row_shr:1 row_mask:0xf bank_mask:0xf
	;; [unrolled: 2-line block ×3, first 2 shown]
	buffer_store_dword v9, off, s[0:3], 0 offset:32
	buffer_store_dword v3, off, s[0:3], 0 offset:28
	;; [unrolled: 1-line block ×5, first 2 shown]
	v_mov_b32_dpp v17, v5 row_shr:1 row_mask:0xf bank_mask:0xf
	v_mov_b32_dpp v19, v3 row_shr:1 row_mask:0xf bank_mask:0xf
	buffer_store_dword v16, off, s[0:3], 0 offset:96
	buffer_store_dword v17, off, s[0:3], 0 offset:100
	;; [unrolled: 1-line block ×5, first 2 shown]
	s_and_saveexec_b64 s[4:5], vcc
	s_cbranch_execz .LBB2047_122
; %bb.115:
	v_mov_b32_e32 v16, 0
	v_cmp_eq_u16_sdwa s[14:15], v9, v16 src0_sel:BYTE_0 src1_sel:DWORD
	s_and_saveexec_b64 s[12:13], s[14:15]
	s_cbranch_execz .LBB2047_121
; %bb.116:
	s_mov_b32 s14, 0
	v_mov_b32_e32 v2, 36
.LBB2047_117:                           ; =>This Inner Loop Header: Depth=1
	v_add_u32_e32 v3, s14, v2
	s_add_i32 s14, s14, 8
	s_cmp_lg_u32 s14, 16
	buffer_store_dword v16, v3, s[0:3], 0 offen offset:4
	buffer_store_dword v16, v3, s[0:3], 0 offen
	s_cbranch_scc1 .LBB2047_117
; %bb.118:
	s_mov_b32 s14, 0
	v_mov_b32_e32 v2, 0x60
	v_mov_b32_e32 v3, 16
	;; [unrolled: 1-line block ×3, first 2 shown]
.LBB2047_119:                           ; =>This Inner Loop Header: Depth=1
	v_add_u32_e32 v5, s14, v2
	v_add_u32_e32 v16, s14, v3
	buffer_load_dword v17, v5, s[0:3], 0 offen offset:4
	buffer_load_dword v18, v16, s[0:3], 0 offen
	buffer_load_dword v19, v5, s[0:3], 0 offen
	buffer_load_dword v20, v16, s[0:3], 0 offen offset:4
                                        ; kill: killed $vgpr5
	v_add_u32_e32 v5, s14, v4
	s_add_i32 s14, s14, 8
	s_cmp_lg_u32 s14, 16
                                        ; kill: killed $vgpr16
	s_waitcnt vmcnt(1)
	v_add_u32_e32 v16, v18, v19
	s_waitcnt vmcnt(0)
	v_add_u32_e32 v17, v20, v17
	buffer_store_dword v17, v5, s[0:3], 0 offen offset:4
	buffer_store_dword v16, v5, s[0:3], 0 offen
	s_cbranch_scc1 .LBB2047_119
; %bb.120:
	buffer_load_dword v4, off, s[0:3], 0 offset:36
	buffer_load_dword v5, off, s[0:3], 0 offset:40
	;; [unrolled: 1-line block ×4, first 2 shown]
.LBB2047_121:
	s_or_b64 exec, exec, s[12:13]
	v_or_b32_e32 v9, v15, v9
	v_and_b32_e32 v9, 1, v9
	buffer_store_byte v9, off, s[0:3], 0 offset:32
	buffer_load_dword v9, off, s[0:3], 0 offset:32
	s_waitcnt vmcnt(4)
	buffer_store_dword v5, off, s[0:3], 0 offset:20
	buffer_store_dword v4, off, s[0:3], 0 offset:16
	s_waitcnt vmcnt(4)
	buffer_store_dword v3, off, s[0:3], 0 offset:28
	buffer_store_dword v2, off, s[0:3], 0 offset:24
.LBB2047_122:
	s_or_b64 exec, exec, s[4:5]
	v_mov_b32_dpp v16, v4 row_shr:2 row_mask:0xf bank_mask:0xf
	s_waitcnt vmcnt(4)
	v_mov_b32_dpp v15, v9 row_shr:2 row_mask:0xf bank_mask:0xf
	v_cmp_lt_u32_e32 vcc, 1, v14
	v_mov_b32_dpp v17, v5 row_shr:2 row_mask:0xf bank_mask:0xf
	v_mov_b32_dpp v18, v2 row_shr:2 row_mask:0xf bank_mask:0xf
	v_mov_b32_dpp v19, v3 row_shr:2 row_mask:0xf bank_mask:0xf
	buffer_store_dword v16, off, s[0:3], 0 offset:96
	buffer_store_dword v17, off, s[0:3], 0 offset:100
	;; [unrolled: 1-line block ×5, first 2 shown]
	s_and_saveexec_b64 s[12:13], vcc
	s_cbranch_execz .LBB2047_130
; %bb.123:
	v_mov_b32_e32 v14, 0
	s_mov_b32 s14, 0
	v_cmp_eq_u16_sdwa s[16:17], v9, v14 src0_sel:BYTE_0 src1_sel:DWORD
	s_and_saveexec_b64 s[4:5], s[16:17]
	s_cbranch_execz .LBB2047_129
; %bb.124:
	v_mov_b32_e32 v2, 36
.LBB2047_125:                           ; =>This Inner Loop Header: Depth=1
	v_add_u32_e32 v3, s14, v2
	s_add_i32 s14, s14, 8
	s_cmp_lg_u32 s14, 16
	buffer_store_dword v14, v3, s[0:3], 0 offen offset:4
	buffer_store_dword v14, v3, s[0:3], 0 offen
	s_cbranch_scc1 .LBB2047_125
; %bb.126:
	s_mov_b32 s14, 0
	v_mov_b32_e32 v2, 0x60
	v_mov_b32_e32 v3, 16
	;; [unrolled: 1-line block ×3, first 2 shown]
.LBB2047_127:                           ; =>This Inner Loop Header: Depth=1
	v_add_u32_e32 v5, s14, v2
	v_add_u32_e32 v14, s14, v3
	buffer_load_dword v16, v5, s[0:3], 0 offen offset:4
	buffer_load_dword v17, v14, s[0:3], 0 offen
	buffer_load_dword v18, v5, s[0:3], 0 offen
	buffer_load_dword v19, v14, s[0:3], 0 offen offset:4
                                        ; kill: killed $vgpr5
	v_add_u32_e32 v5, s14, v4
	s_add_i32 s14, s14, 8
	s_cmp_lg_u32 s14, 16
                                        ; kill: killed $vgpr14
	s_waitcnt vmcnt(1)
	v_add_u32_e32 v14, v17, v18
	s_waitcnt vmcnt(0)
	v_add_u32_e32 v16, v19, v16
	buffer_store_dword v16, v5, s[0:3], 0 offen offset:4
	buffer_store_dword v14, v5, s[0:3], 0 offen
	s_cbranch_scc1 .LBB2047_127
; %bb.128:
	buffer_load_dword v4, off, s[0:3], 0 offset:36
	buffer_load_dword v5, off, s[0:3], 0 offset:40
	;; [unrolled: 1-line block ×4, first 2 shown]
.LBB2047_129:
	s_or_b64 exec, exec, s[4:5]
	v_and_b32_e32 v9, 1, v9
	v_cmp_eq_u32_e32 vcc, 1, v9
	v_and_b32_e32 v9, 1, v15
	v_cmp_eq_u32_e64 s[4:5], 1, v9
	s_or_b64 s[4:5], vcc, s[4:5]
	v_cndmask_b32_e64 v9, 0, 1, s[4:5]
	s_waitcnt vmcnt(2)
	buffer_store_dword v5, off, s[0:3], 0 offset:20
	buffer_store_dword v4, off, s[0:3], 0 offset:16
	s_waitcnt vmcnt(2)
	buffer_store_dword v3, off, s[0:3], 0 offset:28
	buffer_store_dword v2, off, s[0:3], 0 offset:24
.LBB2047_130:
	s_or_b64 exec, exec, s[12:13]
	buffer_load_dword v2, off, s[0:3], 0 offset:24
	buffer_load_dword v3, off, s[0:3], 0 offset:28
	;; [unrolled: 1-line block ×4, first 2 shown]
	s_waitcnt vmcnt(2)
	ds_write2_b32 v6, v2, v3 offset0:2 offset1:3
	s_waitcnt vmcnt(0)
	ds_write2_b32 v6, v4, v5 offset1:1
	ds_write_b8 v6, v9 offset:16
.LBB2047_131:
	s_or_b64 exec, exec, s[10:11]
	v_mov_b32_e32 v2, 0
	s_mov_b32 s4, 0
	v_mov_b32_e32 v3, 0x60
	s_waitcnt lgkmcnt(0)
	s_barrier
	buffer_store_dword v2, off, s[0:3], 0 offset:108
	buffer_store_dword v2, off, s[0:3], 0 offset:104
	;; [unrolled: 1-line block ×5, first 2 shown]
.LBB2047_132:                           ; =>This Inner Loop Header: Depth=1
	v_add_u32_e32 v4, s4, v3
	s_add_i32 s4, s4, 8
	s_cmp_lg_u32 s4, 16
	buffer_store_dword v2, v4, s[0:3], 0 offen offset:4
	buffer_store_dword v2, v4, s[0:3], 0 offen
	s_cbranch_scc1 .LBB2047_132
; %bb.133:
	v_cmp_gt_u32_e32 vcc, 64, v0
	v_cmp_lt_u32_e64 s[4:5], 63, v0
                                        ; implicit-def: $vgpr2_vgpr3
                                        ; implicit-def: $vgpr4_vgpr5
                                        ; implicit-def: $vgpr6
	s_and_saveexec_b64 s[10:11], s[4:5]
	s_xor_b64 s[10:11], exec, s[10:11]
	s_cbranch_execz .LBB2047_143
; %bb.134:
	buffer_load_ubyte v9, off, s[0:3], 0 offset:192
	v_not_b32_e32 v2, 19
	v_mad_u32_u24 v4, v8, 20, v2
	ds_read2_b32 v[2:3], v4 offset0:2 offset1:3
	ds_read_u8 v6, v4 offset:16
	ds_read2_b32 v[4:5], v4 offset1:1
	s_waitcnt lgkmcnt(2)
	buffer_store_dword v3, off, s[0:3], 0 offset:108
	buffer_store_dword v2, off, s[0:3], 0 offset:104
	s_waitcnt lgkmcnt(0)
	buffer_store_dword v5, off, s[0:3], 0 offset:100
	buffer_store_dword v4, off, s[0:3], 0 offset:96
                                        ; implicit-def: $vgpr2_vgpr3
                                        ; implicit-def: $vgpr4_vgpr5
	s_waitcnt vmcnt(4)
	v_cmp_ne_u16_e64 s[4:5], 0, v9
	s_and_saveexec_b64 s[12:13], s[4:5]
	s_xor_b64 s[4:5], exec, s[12:13]
	s_cbranch_execz .LBB2047_136
; %bb.135:
	buffer_load_dword v2, off, s[0:3], 0 offset:176
	buffer_load_dword v3, off, s[0:3], 0 offset:180
	buffer_load_dword v4, off, s[0:3], 0 offset:184
	buffer_load_dword v5, off, s[0:3], 0 offset:188
.LBB2047_136:
	s_andn2_saveexec_b64 s[4:5], s[4:5]
	s_cbranch_execz .LBB2047_142
; %bb.137:
	s_mov_b32 s12, 0
	s_waitcnt vmcnt(3)
	v_mov_b32_e32 v2, 16
	s_waitcnt vmcnt(2)
	v_mov_b32_e32 v3, 0
	s_waitcnt vmcnt(0)
.LBB2047_138:                           ; =>This Inner Loop Header: Depth=1
	v_add_u32_e32 v4, s12, v2
	s_add_i32 s12, s12, 8
	s_cmp_lg_u32 s12, 16
	buffer_store_dword v3, v4, s[0:3], 0 offen offset:4
	buffer_store_dword v3, v4, s[0:3], 0 offen
	s_cbranch_scc1 .LBB2047_138
; %bb.139:
	s_mov_b32 s12, 0
	v_mov_b32_e32 v2, 0x60
	v_mov_b32_e32 v3, 0xb0
	;; [unrolled: 1-line block ×3, first 2 shown]
.LBB2047_140:                           ; =>This Inner Loop Header: Depth=1
	v_add_u32_e32 v5, s12, v2
	v_add_u32_e32 v8, s12, v3
	buffer_load_dword v14, v5, s[0:3], 0 offen offset:4
	buffer_load_dword v15, v8, s[0:3], 0 offen
	buffer_load_dword v16, v5, s[0:3], 0 offen
	buffer_load_dword v17, v8, s[0:3], 0 offen offset:4
                                        ; kill: killed $vgpr5
	v_add_u32_e32 v5, s12, v4
	s_add_i32 s12, s12, 8
	s_cmp_lg_u32 s12, 16
                                        ; kill: killed $vgpr8
	s_waitcnt vmcnt(1)
	v_add_u32_e32 v8, v15, v16
	s_waitcnt vmcnt(0)
	v_add_u32_e32 v14, v17, v14
	buffer_store_dword v14, v5, s[0:3], 0 offen offset:4
	buffer_store_dword v8, v5, s[0:3], 0 offen
	s_cbranch_scc1 .LBB2047_140
; %bb.141:
	buffer_load_dword v2, off, s[0:3], 0 offset:16
	buffer_load_dword v3, off, s[0:3], 0 offset:20
	;; [unrolled: 1-line block ×4, first 2 shown]
.LBB2047_142:
	s_or_b64 exec, exec, s[4:5]
	v_or_b32_e32 v8, v9, v6
	v_and_b32_e32 v8, 1, v8
	buffer_store_byte v8, off, s[0:3], 0 offset:192
.LBB2047_143:
	s_andn2_saveexec_b64 s[4:5], s[10:11]
	s_cbranch_execz .LBB2047_145
; %bb.144:
	buffer_load_dword v2, off, s[0:3], 0 offset:176
	buffer_load_dword v3, off, s[0:3], 0 offset:180
	;; [unrolled: 1-line block ×4, first 2 shown]
	v_mov_b32_e32 v6, 0
.LBB2047_145:
	s_or_b64 exec, exec, s[4:5]
	buffer_load_dword v8, off, s[0:3], 0 offset:192
	v_add_u32_e32 v9, -1, v1
	v_and_b32_e32 v14, 64, v1
	v_cmp_lt_i32_e64 s[4:5], v9, v14
	v_cndmask_b32_e64 v9, v9, v1, s[4:5]
	v_lshlrev_b32_e32 v9, 2, v9
	s_waitcnt vmcnt(4)
	ds_bpermute_b32 v2, v9, v2
	s_waitcnt vmcnt(3)
	ds_bpermute_b32 v3, v9, v3
	;; [unrolled: 2-line block ×4, first 2 shown]
	v_cmp_eq_u32_e64 s[10:11], 0, v1
	s_waitcnt vmcnt(0)
	ds_bpermute_b32 v8, v9, v8
	s_waitcnt lgkmcnt(4)
	buffer_store_dword v2, off, s[0:3], 0 offset:176
	s_waitcnt lgkmcnt(3)
	buffer_store_dword v3, off, s[0:3], 0 offset:180
	;; [unrolled: 2-line block ×4, first 2 shown]
	s_waitcnt lgkmcnt(0)
	buffer_store_byte v8, off, s[0:3], 0 offset:192
	v_and_b32_e32 v2, 1, v8
	v_cmp_eq_u32_e64 s[12:13], 1, v2
	s_and_saveexec_b64 s[14:15], s[10:11]
	s_cbranch_execz .LBB2047_147
; %bb.146:
	buffer_load_dword v2, off, s[0:3], 0 offset:108
	buffer_load_dword v3, off, s[0:3], 0 offset:104
	;; [unrolled: 1-line block ×4, first 2 shown]
	v_and_b32_e32 v8, 1, v6
	v_cmp_eq_u32_e64 s[4:5], 1, v8
	s_andn2_b64 s[12:13], s[12:13], exec
	s_and_b64 s[4:5], s[4:5], exec
	s_or_b64 s[12:13], s[12:13], s[4:5]
	buffer_store_byte v6, off, s[0:3], 0 offset:192
	s_waitcnt vmcnt(4)
	buffer_store_dword v2, off, s[0:3], 0 offset:188
	s_waitcnt vmcnt(4)
	buffer_store_dword v3, off, s[0:3], 0 offset:184
	;; [unrolled: 2-line block ×4, first 2 shown]
.LBB2047_147:
	s_or_b64 exec, exec, s[14:15]
	s_and_saveexec_b64 s[14:15], vcc
	s_cbranch_execz .LBB2047_292
; %bb.148:
	v_mov_b32_e32 v6, 0
	ds_read2_b32 v[2:3], v6 offset0:15 offset1:16
	ds_read2_b32 v[4:5], v6 offset0:17 offset1:18
	ds_read_b32 v8, v6 offset:76
	s_waitcnt lgkmcnt(2)
	buffer_store_dword v3, off, s[0:3], 0 offset:80
	buffer_store_dword v2, off, s[0:3], 0 offset:76
	s_waitcnt lgkmcnt(1)
	buffer_store_dword v5, off, s[0:3], 0 offset:88
	buffer_store_dword v4, off, s[0:3], 0 offset:84
	s_waitcnt lgkmcnt(0)
	buffer_store_dword v8, off, s[0:3], 0 offset:92
	s_and_saveexec_b64 s[4:5], s[10:11]
	s_cbranch_execz .LBB2047_150
; %bb.149:
	s_add_i32 s18, s33, 64
	s_mul_i32 s16, s18, 20
	s_mul_hi_u32 s17, s18, 20
	s_add_u32 s16, s24, s16
	s_addc_u32 s17, s25, s17
	global_store_dwordx4 v6, v[2:5], s[16:17]
	global_store_byte v6, v8, s[16:17] offset:16
	v_mov_b32_e32 v2, s18
	v_mov_b32_e32 v3, 1
	s_waitcnt vmcnt(0)
	buffer_wbinvl1_vol
	global_store_byte v2, v3, s[28:29]
.LBB2047_150:
	s_or_b64 exec, exec, s[4:5]
	s_mov_b32 s4, 0
	v_mov_b32_e32 v2, 56
	buffer_store_dword v6, off, s[0:3], 0 offset:68
	buffer_store_dword v6, off, s[0:3], 0 offset:64
	;; [unrolled: 1-line block ×5, first 2 shown]
.LBB2047_151:                           ; =>This Inner Loop Header: Depth=1
	v_add_u32_e32 v3, s4, v2
	s_add_i32 s4, s4, 8
	s_cmp_lg_u32 s4, 16
	buffer_store_dword v6, v3, s[0:3], 0 offen offset:4
	buffer_store_dword v6, v3, s[0:3], 0 offen
	s_cbranch_scc1 .LBB2047_151
; %bb.152:
	s_mov_b32 s4, 0
	v_mov_b32_e32 v2, 0
	v_mov_b32_e32 v3, 16
	buffer_store_byte v2, off, s[0:3], 0 offset:72
	buffer_store_dword v2, off, s[0:3], 0 offset:28
	buffer_store_dword v2, off, s[0:3], 0 offset:24
	;; [unrolled: 1-line block ×5, first 2 shown]
.LBB2047_153:                           ; =>This Inner Loop Header: Depth=1
	v_add_u32_e32 v4, s4, v3
	s_add_i32 s4, s4, 8
	s_cmp_lg_u32 s4, 16
	buffer_store_dword v2, v4, s[0:3], 0 offen offset:4
	buffer_store_dword v2, v4, s[0:3], 0 offen
	s_cbranch_scc1 .LBB2047_153
; %bb.154:
	v_xad_u32 v6, v1, -1, s33
	v_mov_b32_e32 v2, 0
	buffer_store_byte v2, off, s[0:3], 0 offset:32
	v_add_u32_e32 v2, 64, v6
	global_load_ubyte v14, v2, s[28:29] glc
	s_waitcnt vmcnt(0)
	v_cmp_eq_u16_e32 vcc, 0, v14
	s_and_saveexec_b64 s[4:5], vcc
	s_cbranch_execz .LBB2047_160
; %bb.155:
	v_mov_b32_e32 v3, s29
	v_add_co_u32_e32 v4, vcc, s28, v2
	v_addc_co_u32_e32 v5, vcc, 0, v3, vcc
	s_mov_b32 s18, 1
	s_mov_b64 s[16:17], 0
.LBB2047_156:                           ; =>This Loop Header: Depth=1
                                        ;     Child Loop BB2047_157 Depth 2
	s_max_u32 s19, s18, 1
.LBB2047_157:                           ;   Parent Loop BB2047_156 Depth=1
                                        ; =>  This Inner Loop Header: Depth=2
	s_add_i32 s19, s19, -1
	s_cmp_eq_u32 s19, 0
	s_sleep 1
	s_cbranch_scc0 .LBB2047_157
; %bb.158:                              ;   in Loop: Header=BB2047_156 Depth=1
	global_load_ubyte v14, v[4:5], off glc
	s_cmp_lt_u32 s18, 32
	s_cselect_b64 s[36:37], -1, 0
	s_cmp_lg_u64 s[36:37], 0
	s_addc_u32 s18, s18, 0
	s_waitcnt vmcnt(0)
	v_cmp_ne_u16_e32 vcc, 0, v14
	s_or_b64 s[16:17], vcc, s[16:17]
	s_andn2_b64 exec, exec, s[16:17]
	s_cbranch_execnz .LBB2047_156
; %bb.159:
	s_or_b64 exec, exec, s[16:17]
.LBB2047_160:
	s_or_b64 exec, exec, s[4:5]
	v_mov_b32_e32 v3, s27
	v_mov_b32_e32 v4, s25
	v_cmp_eq_u16_e32 vcc, 1, v14
	v_cndmask_b32_e32 v5, v3, v4, vcc
	v_mov_b32_e32 v3, s26
	v_mov_b32_e32 v4, s24
	v_cndmask_b32_e32 v4, v3, v4, vcc
	v_mad_u64_u32 v[8:9], s[4:5], v2, 20, v[4:5]
	buffer_wbinvl1_vol
	global_load_dwordx4 v[2:5], v[8:9], off
	global_load_ubyte v15, v[8:9], off offset:16
                                        ; kill: killed $vgpr8_vgpr9
	v_mov_b32_e32 v8, 0
	s_mov_b32 s4, 0
	v_mov_b32_e32 v9, 0x60
	buffer_store_dword v8, off, s[0:3], 0 offset:112
	s_waitcnt vmcnt(2)
	buffer_store_dword v5, off, s[0:3], 0 offset:28
	buffer_store_dword v4, off, s[0:3], 0 offset:24
	buffer_store_dword v3, off, s[0:3], 0 offset:20
	buffer_store_dword v2, off, s[0:3], 0 offset:16
	s_waitcnt vmcnt(5)
	buffer_store_byte v15, off, s[0:3], 0 offset:32
	buffer_store_dword v3, off, s[0:3], 0 offset:60
	buffer_store_dword v2, off, s[0:3], 0 offset:56
	;; [unrolled: 1-line block ×4, first 2 shown]
	buffer_store_byte v15, off, s[0:3], 0 offset:72
.LBB2047_161:                           ; =>This Inner Loop Header: Depth=1
	v_add_u32_e32 v15, s4, v9
	s_add_i32 s4, s4, 8
	s_cmp_lg_u32 s4, 16
	buffer_store_dword v8, v15, s[0:3], 0 offen offset:4
	buffer_store_dword v8, v15, s[0:3], 0 offen
	s_cbranch_scc1 .LBB2047_161
; %bb.162:
	buffer_load_dword v26, off, s[0:3], 0 offset:72
	v_lshlrev_b64 v[8:9], v1, -1
	v_cmp_eq_u16_e32 vcc, 2, v14
	v_and_b32_e32 v15, 63, v1
	v_and_b32_e32 v16, vcc_hi, v9
	v_and_b32_e32 v17, vcc_lo, v8
	v_cmp_ne_u32_e32 vcc, 63, v15
	v_addc_co_u32_e32 v18, vcc, 0, v1, vcc
	v_or_b32_e32 v19, 0x80000000, v16
	v_lshlrev_b32_e32 v16, 2, v18
	v_ffbl_b32_e32 v18, v19
	v_ffbl_b32_e32 v17, v17
	v_add_u32_e32 v18, 32, v18
	ds_bpermute_b32 v19, v16, v2
	v_min_u32_e32 v27, v17, v18
	ds_bpermute_b32 v20, v16, v3
	ds_bpermute_b32 v21, v16, v4
	;; [unrolled: 1-line block ×3, first 2 shown]
	v_cmp_lt_u32_e32 vcc, v15, v27
	s_waitcnt lgkmcnt(3)
	buffer_store_dword v19, off, s[0:3], 0 offset:96
	s_waitcnt lgkmcnt(2)
	buffer_store_dword v20, off, s[0:3], 0 offset:100
	;; [unrolled: 2-line block ×4, first 2 shown]
	s_waitcnt vmcnt(4)
	ds_bpermute_b32 v17, v16, v26
	s_and_saveexec_b64 s[4:5], vcc
	s_cbranch_execz .LBB2047_170
; %bb.163:
	v_mov_b32_e32 v18, 0
	v_cmp_eq_u16_sdwa s[18:19], v26, v18 src0_sel:BYTE_0 src1_sel:DWORD
	s_and_saveexec_b64 s[16:17], s[18:19]
	s_cbranch_execz .LBB2047_169
; %bb.164:
	s_mov_b32 s18, 0
	v_mov_b32_e32 v2, 36
.LBB2047_165:                           ; =>This Inner Loop Header: Depth=1
	v_add_u32_e32 v3, s18, v2
	s_add_i32 s18, s18, 8
	s_cmp_lg_u32 s18, 16
	buffer_store_dword v18, v3, s[0:3], 0 offen offset:4
	buffer_store_dword v18, v3, s[0:3], 0 offen
	s_cbranch_scc1 .LBB2047_165
; %bb.166:
	s_mov_b32 s18, 0
	v_mov_b32_e32 v2, 0x60
	v_mov_b32_e32 v3, 56
	;; [unrolled: 1-line block ×3, first 2 shown]
.LBB2047_167:                           ; =>This Inner Loop Header: Depth=1
	v_add_u32_e32 v5, s18, v2
	v_add_u32_e32 v18, s18, v3
	buffer_load_dword v19, v5, s[0:3], 0 offen offset:4
	buffer_load_dword v20, v18, s[0:3], 0 offen
	buffer_load_dword v21, v5, s[0:3], 0 offen
	buffer_load_dword v22, v18, s[0:3], 0 offen offset:4
                                        ; kill: killed $vgpr5
	v_add_u32_e32 v5, s18, v4
	s_add_i32 s18, s18, 8
	s_cmp_lg_u32 s18, 16
                                        ; kill: killed $vgpr18
	s_waitcnt vmcnt(1)
	v_add_u32_e32 v18, v20, v21
	s_waitcnt vmcnt(0)
	v_add_u32_e32 v19, v22, v19
	buffer_store_dword v19, v5, s[0:3], 0 offen offset:4
	buffer_store_dword v18, v5, s[0:3], 0 offen
	s_cbranch_scc1 .LBB2047_167
; %bb.168:
	buffer_load_dword v2, off, s[0:3], 0 offset:36
	buffer_load_dword v3, off, s[0:3], 0 offset:40
	;; [unrolled: 1-line block ×4, first 2 shown]
.LBB2047_169:
	s_or_b64 exec, exec, s[16:17]
	s_waitcnt lgkmcnt(0)
	v_or_b32_e32 v17, v17, v26
	v_and_b32_e32 v17, 1, v17
	buffer_store_byte v17, off, s[0:3], 0 offset:72
	buffer_load_dword v26, off, s[0:3], 0 offset:72
	s_waitcnt vmcnt(4)
	buffer_store_dword v3, off, s[0:3], 0 offset:60
	buffer_store_dword v2, off, s[0:3], 0 offset:56
	s_waitcnt vmcnt(4)
	buffer_store_dword v5, off, s[0:3], 0 offset:68
	buffer_store_dword v4, off, s[0:3], 0 offset:64
.LBB2047_170:
	s_or_b64 exec, exec, s[4:5]
	v_cmp_gt_u32_e32 vcc, 62, v15
	v_cndmask_b32_e64 v18, 0, 1, vcc
	v_lshlrev_b32_e32 v18, 1, v18
	v_add_lshl_u32 v18, v18, v1, 2
	ds_bpermute_b32 v20, v18, v2
	s_waitcnt vmcnt(4)
	ds_bpermute_b32 v19, v18, v26
	ds_bpermute_b32 v21, v18, v3
	;; [unrolled: 1-line block ×3, first 2 shown]
	s_waitcnt lgkmcnt(4)
	v_add_u32_e32 v17, 2, v15
	ds_bpermute_b32 v23, v18, v5
	v_cmp_le_u32_e32 vcc, v17, v27
	s_waitcnt lgkmcnt(4)
	buffer_store_dword v20, off, s[0:3], 0 offset:96
	s_waitcnt lgkmcnt(2)
	buffer_store_dword v21, off, s[0:3], 0 offset:100
	;; [unrolled: 2-line block ×4, first 2 shown]
	s_and_saveexec_b64 s[16:17], vcc
	s_cbranch_execz .LBB2047_178
; %bb.171:
	v_mov_b32_e32 v20, 0
	s_mov_b32 s18, 0
	v_cmp_eq_u16_sdwa s[36:37], v26, v20 src0_sel:BYTE_0 src1_sel:DWORD
	s_and_saveexec_b64 s[4:5], s[36:37]
	s_cbranch_execz .LBB2047_177
; %bb.172:
	v_mov_b32_e32 v2, 36
.LBB2047_173:                           ; =>This Inner Loop Header: Depth=1
	v_add_u32_e32 v3, s18, v2
	s_add_i32 s18, s18, 8
	s_cmp_lg_u32 s18, 16
	buffer_store_dword v20, v3, s[0:3], 0 offen offset:4
	buffer_store_dword v20, v3, s[0:3], 0 offen
	s_cbranch_scc1 .LBB2047_173
; %bb.174:
	s_mov_b32 s18, 0
	v_mov_b32_e32 v2, 0x60
	v_mov_b32_e32 v3, 56
	;; [unrolled: 1-line block ×3, first 2 shown]
.LBB2047_175:                           ; =>This Inner Loop Header: Depth=1
	v_add_u32_e32 v5, s18, v2
	v_add_u32_e32 v20, s18, v3
	buffer_load_dword v21, v5, s[0:3], 0 offen offset:4
	buffer_load_dword v22, v20, s[0:3], 0 offen
	buffer_load_dword v23, v5, s[0:3], 0 offen
	buffer_load_dword v24, v20, s[0:3], 0 offen offset:4
                                        ; kill: killed $vgpr5
	v_add_u32_e32 v5, s18, v4
	s_add_i32 s18, s18, 8
	s_cmp_lg_u32 s18, 16
                                        ; kill: killed $vgpr20
	s_waitcnt vmcnt(1)
	v_add_u32_e32 v20, v22, v23
	s_waitcnt vmcnt(0)
	v_add_u32_e32 v21, v24, v21
	buffer_store_dword v21, v5, s[0:3], 0 offen offset:4
	buffer_store_dword v20, v5, s[0:3], 0 offen
	s_cbranch_scc1 .LBB2047_175
; %bb.176:
	buffer_load_dword v2, off, s[0:3], 0 offset:36
	buffer_load_dword v3, off, s[0:3], 0 offset:40
	;; [unrolled: 1-line block ×4, first 2 shown]
.LBB2047_177:
	s_or_b64 exec, exec, s[4:5]
	v_and_b32_e32 v20, 1, v26
	v_and_b32_e32 v19, 1, v19
	v_cmp_eq_u32_e32 vcc, 1, v20
	v_cmp_eq_u32_e64 s[4:5], 1, v19
	s_or_b64 s[4:5], vcc, s[4:5]
	v_cndmask_b32_e64 v19, 0, 1, s[4:5]
	buffer_store_byte v19, off, s[0:3], 0 offset:72
	buffer_load_dword v26, off, s[0:3], 0 offset:72
	s_waitcnt vmcnt(4)
	buffer_store_dword v3, off, s[0:3], 0 offset:60
	buffer_store_dword v2, off, s[0:3], 0 offset:56
	s_waitcnt vmcnt(4)
	buffer_store_dword v5, off, s[0:3], 0 offset:68
	buffer_store_dword v4, off, s[0:3], 0 offset:64
.LBB2047_178:
	s_or_b64 exec, exec, s[16:17]
	v_cmp_gt_u32_e32 vcc, 60, v15
	v_cndmask_b32_e64 v20, 0, 1, vcc
	v_lshlrev_b32_e32 v20, 2, v20
	v_add_lshl_u32 v20, v20, v1, 2
	ds_bpermute_b32 v22, v20, v2
	s_waitcnt vmcnt(4)
	ds_bpermute_b32 v21, v20, v26
	ds_bpermute_b32 v23, v20, v3
	;; [unrolled: 1-line block ×3, first 2 shown]
	v_add_u32_e32 v19, 4, v15
	ds_bpermute_b32 v25, v20, v5
	v_cmp_le_u32_e32 vcc, v19, v27
	s_waitcnt lgkmcnt(4)
	buffer_store_dword v22, off, s[0:3], 0 offset:96
	s_waitcnt lgkmcnt(2)
	buffer_store_dword v23, off, s[0:3], 0 offset:100
	;; [unrolled: 2-line block ×4, first 2 shown]
	s_and_saveexec_b64 s[16:17], vcc
	s_cbranch_execz .LBB2047_186
; %bb.179:
	v_mov_b32_e32 v22, 0
	s_mov_b32 s18, 0
	v_cmp_eq_u16_sdwa s[36:37], v26, v22 src0_sel:BYTE_0 src1_sel:DWORD
	s_and_saveexec_b64 s[4:5], s[36:37]
	s_cbranch_execz .LBB2047_185
; %bb.180:
	v_mov_b32_e32 v2, 36
.LBB2047_181:                           ; =>This Inner Loop Header: Depth=1
	v_add_u32_e32 v3, s18, v2
	s_add_i32 s18, s18, 8
	s_cmp_lg_u32 s18, 16
	buffer_store_dword v22, v3, s[0:3], 0 offen offset:4
	buffer_store_dword v22, v3, s[0:3], 0 offen
	s_cbranch_scc1 .LBB2047_181
; %bb.182:
	s_mov_b32 s18, 0
	v_mov_b32_e32 v2, 0x60
	v_mov_b32_e32 v3, 56
	;; [unrolled: 1-line block ×3, first 2 shown]
.LBB2047_183:                           ; =>This Inner Loop Header: Depth=1
	v_add_u32_e32 v5, s18, v2
	v_add_u32_e32 v22, s18, v3
	buffer_load_dword v23, v5, s[0:3], 0 offen offset:4
	buffer_load_dword v24, v22, s[0:3], 0 offen
	buffer_load_dword v25, v5, s[0:3], 0 offen
	buffer_load_dword v28, v22, s[0:3], 0 offen offset:4
                                        ; kill: killed $vgpr5
	v_add_u32_e32 v5, s18, v4
	s_add_i32 s18, s18, 8
	s_cmp_lg_u32 s18, 16
                                        ; kill: killed $vgpr22
	s_waitcnt vmcnt(1)
	v_add_u32_e32 v22, v24, v25
	s_waitcnt vmcnt(0)
	v_add_u32_e32 v23, v28, v23
	buffer_store_dword v23, v5, s[0:3], 0 offen offset:4
	buffer_store_dword v22, v5, s[0:3], 0 offen
	s_cbranch_scc1 .LBB2047_183
; %bb.184:
	buffer_load_dword v2, off, s[0:3], 0 offset:36
	buffer_load_dword v3, off, s[0:3], 0 offset:40
	;; [unrolled: 1-line block ×4, first 2 shown]
.LBB2047_185:
	s_or_b64 exec, exec, s[4:5]
	v_and_b32_e32 v22, 1, v26
	v_and_b32_e32 v21, 1, v21
	v_cmp_eq_u32_e32 vcc, 1, v22
	v_cmp_eq_u32_e64 s[4:5], 1, v21
	s_or_b64 s[4:5], vcc, s[4:5]
	v_cndmask_b32_e64 v21, 0, 1, s[4:5]
	buffer_store_byte v21, off, s[0:3], 0 offset:72
	buffer_load_dword v26, off, s[0:3], 0 offset:72
	s_waitcnt vmcnt(4)
	buffer_store_dword v3, off, s[0:3], 0 offset:60
	buffer_store_dword v2, off, s[0:3], 0 offset:56
	s_waitcnt vmcnt(4)
	buffer_store_dword v5, off, s[0:3], 0 offset:68
	buffer_store_dword v4, off, s[0:3], 0 offset:64
.LBB2047_186:
	s_or_b64 exec, exec, s[16:17]
	v_cmp_gt_u32_e32 vcc, 56, v15
	v_cndmask_b32_e64 v22, 0, 1, vcc
	v_lshlrev_b32_e32 v22, 3, v22
	v_add_lshl_u32 v22, v22, v1, 2
	ds_bpermute_b32 v24, v22, v2
	s_waitcnt vmcnt(4)
	ds_bpermute_b32 v23, v22, v26
	ds_bpermute_b32 v25, v22, v3
	;; [unrolled: 1-line block ×3, first 2 shown]
	v_add_u32_e32 v21, 8, v15
	ds_bpermute_b32 v29, v22, v5
	v_cmp_le_u32_e32 vcc, v21, v27
	s_waitcnt lgkmcnt(4)
	buffer_store_dword v24, off, s[0:3], 0 offset:96
	s_waitcnt lgkmcnt(2)
	buffer_store_dword v25, off, s[0:3], 0 offset:100
	;; [unrolled: 2-line block ×4, first 2 shown]
	s_and_saveexec_b64 s[16:17], vcc
	s_cbranch_execz .LBB2047_194
; %bb.187:
	v_mov_b32_e32 v24, 0
	s_mov_b32 s18, 0
	v_cmp_eq_u16_sdwa s[36:37], v26, v24 src0_sel:BYTE_0 src1_sel:DWORD
	s_and_saveexec_b64 s[4:5], s[36:37]
	s_cbranch_execz .LBB2047_193
; %bb.188:
	v_mov_b32_e32 v2, 36
.LBB2047_189:                           ; =>This Inner Loop Header: Depth=1
	v_add_u32_e32 v3, s18, v2
	s_add_i32 s18, s18, 8
	s_cmp_lg_u32 s18, 16
	buffer_store_dword v24, v3, s[0:3], 0 offen offset:4
	buffer_store_dword v24, v3, s[0:3], 0 offen
	s_cbranch_scc1 .LBB2047_189
; %bb.190:
	s_mov_b32 s18, 0
	v_mov_b32_e32 v2, 0x60
	v_mov_b32_e32 v3, 56
	;; [unrolled: 1-line block ×3, first 2 shown]
.LBB2047_191:                           ; =>This Inner Loop Header: Depth=1
	v_add_u32_e32 v5, s18, v2
	v_add_u32_e32 v24, s18, v3
	buffer_load_dword v25, v5, s[0:3], 0 offen offset:4
	buffer_load_dword v28, v24, s[0:3], 0 offen
	buffer_load_dword v29, v5, s[0:3], 0 offen
	buffer_load_dword v30, v24, s[0:3], 0 offen offset:4
                                        ; kill: killed $vgpr5
	v_add_u32_e32 v5, s18, v4
	s_add_i32 s18, s18, 8
	s_cmp_lg_u32 s18, 16
                                        ; kill: killed $vgpr24
	s_waitcnt vmcnt(1)
	v_add_u32_e32 v24, v28, v29
	s_waitcnt vmcnt(0)
	v_add_u32_e32 v25, v30, v25
	buffer_store_dword v25, v5, s[0:3], 0 offen offset:4
	buffer_store_dword v24, v5, s[0:3], 0 offen
	s_cbranch_scc1 .LBB2047_191
; %bb.192:
	buffer_load_dword v2, off, s[0:3], 0 offset:36
	buffer_load_dword v3, off, s[0:3], 0 offset:40
	;; [unrolled: 1-line block ×4, first 2 shown]
.LBB2047_193:
	s_or_b64 exec, exec, s[4:5]
	v_and_b32_e32 v24, 1, v26
	v_and_b32_e32 v23, 1, v23
	v_cmp_eq_u32_e32 vcc, 1, v24
	v_cmp_eq_u32_e64 s[4:5], 1, v23
	s_or_b64 s[4:5], vcc, s[4:5]
	v_cndmask_b32_e64 v23, 0, 1, s[4:5]
	buffer_store_byte v23, off, s[0:3], 0 offset:72
	buffer_load_dword v26, off, s[0:3], 0 offset:72
	s_waitcnt vmcnt(4)
	buffer_store_dword v3, off, s[0:3], 0 offset:60
	buffer_store_dword v2, off, s[0:3], 0 offset:56
	s_waitcnt vmcnt(4)
	buffer_store_dword v5, off, s[0:3], 0 offset:68
	buffer_store_dword v4, off, s[0:3], 0 offset:64
.LBB2047_194:
	s_or_b64 exec, exec, s[16:17]
	v_cmp_gt_u32_e32 vcc, 48, v15
	v_cndmask_b32_e64 v24, 0, 1, vcc
	v_lshlrev_b32_e32 v24, 4, v24
	v_add_lshl_u32 v24, v24, v1, 2
	ds_bpermute_b32 v28, v24, v2
	s_waitcnt vmcnt(4)
	ds_bpermute_b32 v25, v24, v26
	ds_bpermute_b32 v29, v24, v3
	;; [unrolled: 1-line block ×3, first 2 shown]
	v_add_u32_e32 v23, 16, v15
	ds_bpermute_b32 v31, v24, v5
	v_cmp_le_u32_e32 vcc, v23, v27
	s_waitcnt lgkmcnt(4)
	buffer_store_dword v28, off, s[0:3], 0 offset:96
	s_waitcnt lgkmcnt(2)
	buffer_store_dword v29, off, s[0:3], 0 offset:100
	;; [unrolled: 2-line block ×4, first 2 shown]
	s_and_saveexec_b64 s[16:17], vcc
	s_cbranch_execz .LBB2047_202
; %bb.195:
	v_mov_b32_e32 v28, 0
	s_mov_b32 s18, 0
	v_cmp_eq_u16_sdwa s[36:37], v26, v28 src0_sel:BYTE_0 src1_sel:DWORD
	s_and_saveexec_b64 s[4:5], s[36:37]
	s_cbranch_execz .LBB2047_201
; %bb.196:
	v_mov_b32_e32 v2, 36
.LBB2047_197:                           ; =>This Inner Loop Header: Depth=1
	v_add_u32_e32 v3, s18, v2
	s_add_i32 s18, s18, 8
	s_cmp_lg_u32 s18, 16
	buffer_store_dword v28, v3, s[0:3], 0 offen offset:4
	buffer_store_dword v28, v3, s[0:3], 0 offen
	s_cbranch_scc1 .LBB2047_197
; %bb.198:
	s_mov_b32 s18, 0
	v_mov_b32_e32 v2, 0x60
	v_mov_b32_e32 v3, 56
	;; [unrolled: 1-line block ×3, first 2 shown]
.LBB2047_199:                           ; =>This Inner Loop Header: Depth=1
	v_add_u32_e32 v5, s18, v2
	v_add_u32_e32 v28, s18, v3
	buffer_load_dword v29, v5, s[0:3], 0 offen offset:4
	buffer_load_dword v30, v28, s[0:3], 0 offen
	buffer_load_dword v31, v5, s[0:3], 0 offen
	buffer_load_dword v32, v28, s[0:3], 0 offen offset:4
                                        ; kill: killed $vgpr5
	v_add_u32_e32 v5, s18, v4
	s_add_i32 s18, s18, 8
	s_cmp_lg_u32 s18, 16
                                        ; kill: killed $vgpr28
	s_waitcnt vmcnt(1)
	v_add_u32_e32 v28, v30, v31
	s_waitcnt vmcnt(0)
	v_add_u32_e32 v29, v32, v29
	buffer_store_dword v29, v5, s[0:3], 0 offen offset:4
	buffer_store_dword v28, v5, s[0:3], 0 offen
	s_cbranch_scc1 .LBB2047_199
; %bb.200:
	buffer_load_dword v2, off, s[0:3], 0 offset:36
	buffer_load_dword v3, off, s[0:3], 0 offset:40
	;; [unrolled: 1-line block ×4, first 2 shown]
.LBB2047_201:
	s_or_b64 exec, exec, s[4:5]
	v_and_b32_e32 v26, 1, v26
	v_and_b32_e32 v25, 1, v25
	v_cmp_eq_u32_e32 vcc, 1, v26
	v_cmp_eq_u32_e64 s[4:5], 1, v25
	s_or_b64 s[4:5], vcc, s[4:5]
	v_cndmask_b32_e64 v25, 0, 1, s[4:5]
	buffer_store_byte v25, off, s[0:3], 0 offset:72
	buffer_load_dword v26, off, s[0:3], 0 offset:72
	s_waitcnt vmcnt(4)
	buffer_store_dword v3, off, s[0:3], 0 offset:60
	buffer_store_dword v2, off, s[0:3], 0 offset:56
	s_waitcnt vmcnt(4)
	buffer_store_dword v5, off, s[0:3], 0 offset:68
	buffer_store_dword v4, off, s[0:3], 0 offset:64
.LBB2047_202:
	s_or_b64 exec, exec, s[16:17]
	v_cmp_gt_u32_e32 vcc, 32, v15
	v_cndmask_b32_e64 v28, 0, 1, vcc
	v_lshlrev_b32_e32 v28, 5, v28
	v_add_lshl_u32 v1, v28, v1, 2
	ds_bpermute_b32 v29, v1, v2
	s_waitcnt vmcnt(4)
	ds_bpermute_b32 v28, v1, v26
	ds_bpermute_b32 v30, v1, v3
	;; [unrolled: 1-line block ×3, first 2 shown]
	v_add_u32_e32 v25, 32, v15
	ds_bpermute_b32 v32, v1, v5
	v_cmp_le_u32_e32 vcc, v25, v27
	s_waitcnt lgkmcnt(4)
	buffer_store_dword v29, off, s[0:3], 0 offset:96
	s_waitcnt lgkmcnt(2)
	buffer_store_dword v30, off, s[0:3], 0 offset:100
	;; [unrolled: 2-line block ×4, first 2 shown]
	s_and_saveexec_b64 s[16:17], vcc
	s_cbranch_execz .LBB2047_210
; %bb.203:
	v_mov_b32_e32 v27, 0
	s_mov_b32 s18, 0
	v_cmp_eq_u16_sdwa s[36:37], v26, v27 src0_sel:BYTE_0 src1_sel:DWORD
	s_and_saveexec_b64 s[4:5], s[36:37]
	s_cbranch_execz .LBB2047_209
; %bb.204:
	v_mov_b32_e32 v2, 36
.LBB2047_205:                           ; =>This Inner Loop Header: Depth=1
	v_add_u32_e32 v3, s18, v2
	s_add_i32 s18, s18, 8
	s_cmp_lg_u32 s18, 16
	buffer_store_dword v27, v3, s[0:3], 0 offen offset:4
	buffer_store_dword v27, v3, s[0:3], 0 offen
	s_cbranch_scc1 .LBB2047_205
; %bb.206:
	s_mov_b32 s18, 0
	v_mov_b32_e32 v2, 0x60
	v_mov_b32_e32 v3, 56
	v_mov_b32_e32 v4, 36
.LBB2047_207:                           ; =>This Inner Loop Header: Depth=1
	v_add_u32_e32 v5, s18, v2
	v_add_u32_e32 v27, s18, v3
	buffer_load_dword v29, v5, s[0:3], 0 offen offset:4
	buffer_load_dword v30, v27, s[0:3], 0 offen
	buffer_load_dword v31, v5, s[0:3], 0 offen
	buffer_load_dword v32, v27, s[0:3], 0 offen offset:4
                                        ; kill: killed $vgpr5
	v_add_u32_e32 v5, s18, v4
	s_add_i32 s18, s18, 8
	s_cmp_lg_u32 s18, 16
                                        ; kill: killed $vgpr27
	s_waitcnt vmcnt(1)
	v_add_u32_e32 v27, v30, v31
	s_waitcnt vmcnt(0)
	v_add_u32_e32 v29, v32, v29
	buffer_store_dword v29, v5, s[0:3], 0 offen offset:4
	buffer_store_dword v27, v5, s[0:3], 0 offen
	s_cbranch_scc1 .LBB2047_207
; %bb.208:
	buffer_load_dword v2, off, s[0:3], 0 offset:36
	buffer_load_dword v3, off, s[0:3], 0 offset:40
	;; [unrolled: 1-line block ×4, first 2 shown]
.LBB2047_209:
	s_or_b64 exec, exec, s[4:5]
	v_and_b32_e32 v26, 1, v26
	v_cmp_eq_u32_e32 vcc, 1, v26
	v_and_b32_e32 v26, 1, v28
	v_cmp_eq_u32_e64 s[4:5], 1, v26
	s_or_b64 s[4:5], vcc, s[4:5]
	v_cndmask_b32_e64 v26, 0, 1, s[4:5]
	s_waitcnt vmcnt(2)
	buffer_store_dword v3, off, s[0:3], 0 offset:60
	buffer_store_dword v2, off, s[0:3], 0 offset:56
	s_waitcnt vmcnt(2)
	buffer_store_dword v5, off, s[0:3], 0 offset:68
	buffer_store_dword v4, off, s[0:3], 0 offset:64
	buffer_store_byte v26, off, s[0:3], 0 offset:72
.LBB2047_210:
	s_or_b64 exec, exec, s[16:17]
	buffer_load_dword v2, off, s[0:3], 0 offset:68
	buffer_load_dword v3, off, s[0:3], 0 offset:64
	;; [unrolled: 1-line block ×5, first 2 shown]
	v_mov_b32_e32 v26, 0
	v_mov_b32_e32 v27, 16
	;; [unrolled: 1-line block ×6, first 2 shown]
	s_waitcnt vmcnt(4)
	buffer_store_dword v2, off, s[0:3], 0 offset:48
	s_waitcnt vmcnt(4)
	buffer_store_dword v3, off, s[0:3], 0 offset:44
	;; [unrolled: 2-line block ×5, first 2 shown]
	v_mov_b32_e32 v32, 2
	s_branch .LBB2047_212
.LBB2047_211:                           ;   in Loop: Header=BB2047_212 Depth=1
                                        ; implicit-def: $vgpr6
                                        ; implicit-def: $vgpr14
	s_cbranch_execnz .LBB2047_280
.LBB2047_212:                           ; =>This Loop Header: Depth=1
                                        ;     Child Loop BB2047_214 Depth 2
                                        ;     Child Loop BB2047_217 Depth 2
                                        ;       Child Loop BB2047_218 Depth 3
                                        ;     Child Loop BB2047_222 Depth 2
                                        ;     Child Loop BB2047_226 Depth 2
	;; [unrolled: 1-line block ×15, first 2 shown]
	v_cmp_ne_u16_sdwa s[4:5], v14, v32 src0_sel:BYTE_0 src1_sel:DWORD
	v_cndmask_b32_e64 v2, 0, 1, s[4:5]
	;;#ASMSTART
	;;#ASMEND
	v_cmp_ne_u32_e32 vcc, 0, v2
	s_cmp_lg_u64 vcc, exec
	s_cbranch_scc1 .LBB2047_211
; %bb.213:                              ;   in Loop: Header=BB2047_212 Depth=1
	s_mov_b32 s4, 0
	buffer_store_dword v26, off, s[0:3], 0 offset:28
	buffer_store_dword v26, off, s[0:3], 0 offset:24
	;; [unrolled: 1-line block ×5, first 2 shown]
.LBB2047_214:                           ;   Parent Loop BB2047_212 Depth=1
                                        ; =>  This Inner Loop Header: Depth=2
	v_add_u32_e32 v2, s4, v27
	s_add_i32 s4, s4, 8
	s_cmp_lg_u32 s4, 16
	buffer_store_dword v26, v2, s[0:3], 0 offen offset:4
	buffer_store_dword v26, v2, s[0:3], 0 offen
	s_cbranch_scc1 .LBB2047_214
; %bb.215:                              ;   in Loop: Header=BB2047_212 Depth=1
	buffer_store_byte v26, off, s[0:3], 0 offset:32
	global_load_ubyte v14, v6, s[28:29] glc
	s_waitcnt vmcnt(0)
	v_cmp_eq_u16_e32 vcc, 0, v14
	s_and_saveexec_b64 s[4:5], vcc
	s_cbranch_execz .LBB2047_221
; %bb.216:                              ;   in Loop: Header=BB2047_212 Depth=1
	v_mov_b32_e32 v3, s29
	v_add_co_u32_e32 v2, vcc, s28, v6
	v_addc_co_u32_e32 v3, vcc, 0, v3, vcc
	s_mov_b32 s18, 1
	s_mov_b64 s[16:17], 0
.LBB2047_217:                           ;   Parent Loop BB2047_212 Depth=1
                                        ; =>  This Loop Header: Depth=2
                                        ;       Child Loop BB2047_218 Depth 3
	s_max_u32 s19, s18, 1
.LBB2047_218:                           ;   Parent Loop BB2047_212 Depth=1
                                        ;     Parent Loop BB2047_217 Depth=2
                                        ; =>    This Inner Loop Header: Depth=3
	s_add_i32 s19, s19, -1
	s_cmp_eq_u32 s19, 0
	s_sleep 1
	s_cbranch_scc0 .LBB2047_218
; %bb.219:                              ;   in Loop: Header=BB2047_217 Depth=2
	global_load_ubyte v14, v[2:3], off glc
	s_cmp_lt_u32 s18, 32
	s_cselect_b64 s[36:37], -1, 0
	s_cmp_lg_u64 s[36:37], 0
	s_addc_u32 s18, s18, 0
	s_waitcnt vmcnt(0)
	v_cmp_ne_u16_e32 vcc, 0, v14
	s_or_b64 s[16:17], vcc, s[16:17]
	s_andn2_b64 exec, exec, s[16:17]
	s_cbranch_execnz .LBB2047_217
; %bb.220:                              ;   in Loop: Header=BB2047_212 Depth=1
	s_or_b64 exec, exec, s[16:17]
.LBB2047_221:                           ;   in Loop: Header=BB2047_212 Depth=1
	s_or_b64 exec, exec, s[4:5]
	v_mov_b32_e32 v2, s27
	v_mov_b32_e32 v3, s25
	v_cmp_eq_u16_e32 vcc, 1, v14
	v_cndmask_b32_e32 v3, v2, v3, vcc
	v_mov_b32_e32 v2, s26
	v_mov_b32_e32 v4, s24
	v_cndmask_b32_e32 v2, v2, v4, vcc
	v_mad_u64_u32 v[34:35], s[4:5], v6, 20, v[2:3]
	buffer_wbinvl1_vol
	global_load_dwordx4 v[2:5], v[34:35], off
	global_load_ubyte v33, v[34:35], off offset:16
	s_mov_b32 s4, 0
	buffer_store_dword v26, off, s[0:3], 0 offset:112
	s_waitcnt vmcnt(2)
	buffer_store_dword v5, off, s[0:3], 0 offset:28
	buffer_store_dword v4, off, s[0:3], 0 offset:24
	;; [unrolled: 1-line block ×4, first 2 shown]
	s_waitcnt vmcnt(5)
	buffer_store_byte v33, off, s[0:3], 0 offset:32
	buffer_store_dword v3, off, s[0:3], 0 offset:60
	buffer_store_dword v2, off, s[0:3], 0 offset:56
	;; [unrolled: 1-line block ×4, first 2 shown]
	buffer_store_byte v33, off, s[0:3], 0 offset:72
.LBB2047_222:                           ;   Parent Loop BB2047_212 Depth=1
                                        ; =>  This Inner Loop Header: Depth=2
	v_add_u32_e32 v33, s4, v28
	s_add_i32 s4, s4, 8
	s_cmp_lg_u32 s4, 16
	buffer_store_dword v26, v33, s[0:3], 0 offen offset:4
	buffer_store_dword v26, v33, s[0:3], 0 offen
	s_cbranch_scc1 .LBB2047_222
; %bb.223:                              ;   in Loop: Header=BB2047_212 Depth=1
	buffer_load_dword v34, off, s[0:3], 0 offset:72
	v_cmp_eq_u16_e32 vcc, 2, v14
	v_and_b32_e32 v33, vcc_hi, v9
	v_or_b32_e32 v33, 0x80000000, v33
	v_and_b32_e32 v35, vcc_lo, v8
	v_ffbl_b32_e32 v33, v33
	v_ffbl_b32_e32 v35, v35
	v_add_u32_e32 v33, 32, v33
	ds_bpermute_b32 v36, v16, v2
	v_min_u32_e32 v33, v35, v33
	ds_bpermute_b32 v37, v16, v3
	ds_bpermute_b32 v38, v16, v4
	;; [unrolled: 1-line block ×3, first 2 shown]
	v_cmp_lt_u32_e32 vcc, v15, v33
	s_waitcnt lgkmcnt(3)
	buffer_store_dword v36, off, s[0:3], 0 offset:96
	s_waitcnt lgkmcnt(2)
	buffer_store_dword v37, off, s[0:3], 0 offset:100
	;; [unrolled: 2-line block ×4, first 2 shown]
	s_waitcnt vmcnt(4)
	ds_bpermute_b32 v35, v16, v34
	s_and_saveexec_b64 s[4:5], vcc
	s_cbranch_execz .LBB2047_231
; %bb.224:                              ;   in Loop: Header=BB2047_212 Depth=1
	v_cmp_eq_u16_sdwa s[18:19], v34, v26 src0_sel:BYTE_0 src1_sel:DWORD
	s_and_saveexec_b64 s[16:17], s[18:19]
	s_cbranch_execz .LBB2047_230
; %bb.225:                              ;   in Loop: Header=BB2047_212 Depth=1
	s_mov_b32 s18, 0
.LBB2047_226:                           ;   Parent Loop BB2047_212 Depth=1
                                        ; =>  This Inner Loop Header: Depth=2
	v_add_u32_e32 v2, s18, v29
	s_add_i32 s18, s18, 8
	s_cmp_lg_u32 s18, 16
	buffer_store_dword v26, v2, s[0:3], 0 offen offset:4
	buffer_store_dword v26, v2, s[0:3], 0 offen
	s_cbranch_scc1 .LBB2047_226
; %bb.227:                              ;   in Loop: Header=BB2047_212 Depth=1
	s_mov_b32 s18, 0
.LBB2047_228:                           ;   Parent Loop BB2047_212 Depth=1
                                        ; =>  This Inner Loop Header: Depth=2
	v_add_u32_e32 v2, s18, v28
	v_add_u32_e32 v3, s18, v30
	buffer_load_dword v4, v2, s[0:3], 0 offen offset:4
	buffer_load_dword v5, v3, s[0:3], 0 offen
	buffer_load_dword v36, v2, s[0:3], 0 offen
	buffer_load_dword v37, v3, s[0:3], 0 offen offset:4
	v_add_u32_e32 v2, s18, v29
	s_add_i32 s18, s18, 8
	s_cmp_lg_u32 s18, 16
	s_waitcnt vmcnt(1)
	v_add_u32_e32 v3, v5, v36
	s_waitcnt vmcnt(0)
	v_add_u32_e32 v4, v37, v4
	buffer_store_dword v4, v2, s[0:3], 0 offen offset:4
	buffer_store_dword v3, v2, s[0:3], 0 offen
	s_cbranch_scc1 .LBB2047_228
; %bb.229:                              ;   in Loop: Header=BB2047_212 Depth=1
	buffer_load_dword v2, off, s[0:3], 0
	buffer_load_dword v3, off, s[0:3], 0 offset:4
	buffer_load_dword v4, off, s[0:3], 0 offset:8
	;; [unrolled: 1-line block ×3, first 2 shown]
.LBB2047_230:                           ;   in Loop: Header=BB2047_212 Depth=1
	s_or_b64 exec, exec, s[16:17]
	s_waitcnt lgkmcnt(0)
	v_or_b32_e32 v34, v35, v34
	v_and_b32_e32 v34, 1, v34
	buffer_store_byte v34, off, s[0:3], 0 offset:72
	buffer_load_dword v34, off, s[0:3], 0 offset:72
	s_waitcnt vmcnt(4)
	buffer_store_dword v3, off, s[0:3], 0 offset:60
	buffer_store_dword v2, off, s[0:3], 0 offset:56
	s_waitcnt vmcnt(4)
	buffer_store_dword v5, off, s[0:3], 0 offset:68
	buffer_store_dword v4, off, s[0:3], 0 offset:64
.LBB2047_231:                           ;   in Loop: Header=BB2047_212 Depth=1
	s_or_b64 exec, exec, s[4:5]
	ds_bpermute_b32 v36, v18, v2
	s_waitcnt vmcnt(4) lgkmcnt(1)
	ds_bpermute_b32 v35, v18, v34
	ds_bpermute_b32 v37, v18, v3
	;; [unrolled: 1-line block ×4, first 2 shown]
	v_cmp_le_u32_e32 vcc, v17, v33
	s_waitcnt lgkmcnt(4)
	buffer_store_dword v36, off, s[0:3], 0 offset:96
	s_waitcnt lgkmcnt(2)
	buffer_store_dword v37, off, s[0:3], 0 offset:100
	;; [unrolled: 2-line block ×4, first 2 shown]
	s_and_saveexec_b64 s[16:17], vcc
	s_cbranch_execz .LBB2047_239
; %bb.232:                              ;   in Loop: Header=BB2047_212 Depth=1
	v_cmp_eq_u16_sdwa s[18:19], v34, v26 src0_sel:BYTE_0 src1_sel:DWORD
	s_and_saveexec_b64 s[4:5], s[18:19]
	s_cbranch_execz .LBB2047_238
; %bb.233:                              ;   in Loop: Header=BB2047_212 Depth=1
	s_mov_b32 s18, 0
.LBB2047_234:                           ;   Parent Loop BB2047_212 Depth=1
                                        ; =>  This Inner Loop Header: Depth=2
	v_add_u32_e32 v2, s18, v29
	s_add_i32 s18, s18, 8
	s_cmp_lg_u32 s18, 16
	buffer_store_dword v26, v2, s[0:3], 0 offen offset:4
	buffer_store_dword v26, v2, s[0:3], 0 offen
	s_cbranch_scc1 .LBB2047_234
; %bb.235:                              ;   in Loop: Header=BB2047_212 Depth=1
	s_mov_b32 s18, 0
.LBB2047_236:                           ;   Parent Loop BB2047_212 Depth=1
                                        ; =>  This Inner Loop Header: Depth=2
	v_add_u32_e32 v2, s18, v28
	v_add_u32_e32 v3, s18, v30
	buffer_load_dword v4, v2, s[0:3], 0 offen offset:4
	buffer_load_dword v5, v3, s[0:3], 0 offen
	buffer_load_dword v36, v2, s[0:3], 0 offen
	buffer_load_dword v37, v3, s[0:3], 0 offen offset:4
	v_add_u32_e32 v2, s18, v29
	s_add_i32 s18, s18, 8
	s_cmp_lg_u32 s18, 16
	s_waitcnt vmcnt(1)
	v_add_u32_e32 v3, v5, v36
	s_waitcnt vmcnt(0)
	v_add_u32_e32 v4, v37, v4
	buffer_store_dword v4, v2, s[0:3], 0 offen offset:4
	buffer_store_dword v3, v2, s[0:3], 0 offen
	s_cbranch_scc1 .LBB2047_236
; %bb.237:                              ;   in Loop: Header=BB2047_212 Depth=1
	buffer_load_dword v2, off, s[0:3], 0
	buffer_load_dword v3, off, s[0:3], 0 offset:4
	buffer_load_dword v4, off, s[0:3], 0 offset:8
	;; [unrolled: 1-line block ×3, first 2 shown]
.LBB2047_238:                           ;   in Loop: Header=BB2047_212 Depth=1
	s_or_b64 exec, exec, s[4:5]
	v_and_b32_e32 v34, 1, v34
	v_cmp_eq_u32_e32 vcc, 1, v34
	v_and_b32_e32 v34, 1, v35
	v_cmp_eq_u32_e64 s[4:5], 1, v34
	s_or_b64 s[4:5], vcc, s[4:5]
	v_cndmask_b32_e64 v34, 0, 1, s[4:5]
	buffer_store_byte v34, off, s[0:3], 0 offset:72
	buffer_load_dword v34, off, s[0:3], 0 offset:72
	s_waitcnt vmcnt(4)
	buffer_store_dword v3, off, s[0:3], 0 offset:60
	buffer_store_dword v2, off, s[0:3], 0 offset:56
	s_waitcnt vmcnt(4)
	buffer_store_dword v5, off, s[0:3], 0 offset:68
	buffer_store_dword v4, off, s[0:3], 0 offset:64
.LBB2047_239:                           ;   in Loop: Header=BB2047_212 Depth=1
	s_or_b64 exec, exec, s[16:17]
	ds_bpermute_b32 v36, v20, v2
	s_waitcnt vmcnt(4)
	ds_bpermute_b32 v35, v20, v34
	ds_bpermute_b32 v37, v20, v3
	;; [unrolled: 1-line block ×4, first 2 shown]
	v_cmp_le_u32_e32 vcc, v19, v33
	s_waitcnt lgkmcnt(4)
	buffer_store_dword v36, off, s[0:3], 0 offset:96
	s_waitcnt lgkmcnt(2)
	buffer_store_dword v37, off, s[0:3], 0 offset:100
	;; [unrolled: 2-line block ×4, first 2 shown]
	s_and_saveexec_b64 s[16:17], vcc
	s_cbranch_execz .LBB2047_247
; %bb.240:                              ;   in Loop: Header=BB2047_212 Depth=1
	v_cmp_eq_u16_sdwa s[18:19], v34, v26 src0_sel:BYTE_0 src1_sel:DWORD
	s_and_saveexec_b64 s[4:5], s[18:19]
	s_cbranch_execz .LBB2047_246
; %bb.241:                              ;   in Loop: Header=BB2047_212 Depth=1
	s_mov_b32 s18, 0
.LBB2047_242:                           ;   Parent Loop BB2047_212 Depth=1
                                        ; =>  This Inner Loop Header: Depth=2
	v_add_u32_e32 v2, s18, v29
	s_add_i32 s18, s18, 8
	s_cmp_lg_u32 s18, 16
	buffer_store_dword v26, v2, s[0:3], 0 offen offset:4
	buffer_store_dword v26, v2, s[0:3], 0 offen
	s_cbranch_scc1 .LBB2047_242
; %bb.243:                              ;   in Loop: Header=BB2047_212 Depth=1
	s_mov_b32 s18, 0
.LBB2047_244:                           ;   Parent Loop BB2047_212 Depth=1
                                        ; =>  This Inner Loop Header: Depth=2
	v_add_u32_e32 v2, s18, v28
	v_add_u32_e32 v3, s18, v30
	buffer_load_dword v4, v2, s[0:3], 0 offen offset:4
	buffer_load_dword v5, v3, s[0:3], 0 offen
	buffer_load_dword v36, v2, s[0:3], 0 offen
	buffer_load_dword v37, v3, s[0:3], 0 offen offset:4
	v_add_u32_e32 v2, s18, v29
	s_add_i32 s18, s18, 8
	s_cmp_lg_u32 s18, 16
	s_waitcnt vmcnt(1)
	v_add_u32_e32 v3, v5, v36
	s_waitcnt vmcnt(0)
	v_add_u32_e32 v4, v37, v4
	buffer_store_dword v4, v2, s[0:3], 0 offen offset:4
	buffer_store_dword v3, v2, s[0:3], 0 offen
	s_cbranch_scc1 .LBB2047_244
; %bb.245:                              ;   in Loop: Header=BB2047_212 Depth=1
	buffer_load_dword v2, off, s[0:3], 0
	buffer_load_dword v3, off, s[0:3], 0 offset:4
	buffer_load_dword v4, off, s[0:3], 0 offset:8
	;; [unrolled: 1-line block ×3, first 2 shown]
.LBB2047_246:                           ;   in Loop: Header=BB2047_212 Depth=1
	s_or_b64 exec, exec, s[4:5]
	v_and_b32_e32 v34, 1, v34
	v_cmp_eq_u32_e32 vcc, 1, v34
	v_and_b32_e32 v34, 1, v35
	v_cmp_eq_u32_e64 s[4:5], 1, v34
	s_or_b64 s[4:5], vcc, s[4:5]
	v_cndmask_b32_e64 v34, 0, 1, s[4:5]
	buffer_store_byte v34, off, s[0:3], 0 offset:72
	buffer_load_dword v34, off, s[0:3], 0 offset:72
	s_waitcnt vmcnt(4)
	buffer_store_dword v3, off, s[0:3], 0 offset:60
	buffer_store_dword v2, off, s[0:3], 0 offset:56
	s_waitcnt vmcnt(4)
	buffer_store_dword v5, off, s[0:3], 0 offset:68
	buffer_store_dword v4, off, s[0:3], 0 offset:64
.LBB2047_247:                           ;   in Loop: Header=BB2047_212 Depth=1
	s_or_b64 exec, exec, s[16:17]
	ds_bpermute_b32 v36, v22, v2
	s_waitcnt vmcnt(4)
	ds_bpermute_b32 v35, v22, v34
	ds_bpermute_b32 v37, v22, v3
	;; [unrolled: 1-line block ×4, first 2 shown]
	v_cmp_le_u32_e32 vcc, v21, v33
	s_waitcnt lgkmcnt(4)
	buffer_store_dword v36, off, s[0:3], 0 offset:96
	s_waitcnt lgkmcnt(2)
	buffer_store_dword v37, off, s[0:3], 0 offset:100
	;; [unrolled: 2-line block ×4, first 2 shown]
	s_and_saveexec_b64 s[16:17], vcc
	s_cbranch_execz .LBB2047_255
; %bb.248:                              ;   in Loop: Header=BB2047_212 Depth=1
	v_cmp_eq_u16_sdwa s[18:19], v34, v26 src0_sel:BYTE_0 src1_sel:DWORD
	s_and_saveexec_b64 s[4:5], s[18:19]
	s_cbranch_execz .LBB2047_254
; %bb.249:                              ;   in Loop: Header=BB2047_212 Depth=1
	s_mov_b32 s18, 0
.LBB2047_250:                           ;   Parent Loop BB2047_212 Depth=1
                                        ; =>  This Inner Loop Header: Depth=2
	v_add_u32_e32 v2, s18, v29
	s_add_i32 s18, s18, 8
	s_cmp_lg_u32 s18, 16
	buffer_store_dword v26, v2, s[0:3], 0 offen offset:4
	buffer_store_dword v26, v2, s[0:3], 0 offen
	s_cbranch_scc1 .LBB2047_250
; %bb.251:                              ;   in Loop: Header=BB2047_212 Depth=1
	s_mov_b32 s18, 0
.LBB2047_252:                           ;   Parent Loop BB2047_212 Depth=1
                                        ; =>  This Inner Loop Header: Depth=2
	v_add_u32_e32 v2, s18, v28
	v_add_u32_e32 v3, s18, v30
	buffer_load_dword v4, v2, s[0:3], 0 offen offset:4
	buffer_load_dword v5, v3, s[0:3], 0 offen
	buffer_load_dword v36, v2, s[0:3], 0 offen
	buffer_load_dword v37, v3, s[0:3], 0 offen offset:4
	v_add_u32_e32 v2, s18, v29
	s_add_i32 s18, s18, 8
	s_cmp_lg_u32 s18, 16
	s_waitcnt vmcnt(1)
	v_add_u32_e32 v3, v5, v36
	s_waitcnt vmcnt(0)
	v_add_u32_e32 v4, v37, v4
	buffer_store_dword v4, v2, s[0:3], 0 offen offset:4
	buffer_store_dword v3, v2, s[0:3], 0 offen
	s_cbranch_scc1 .LBB2047_252
; %bb.253:                              ;   in Loop: Header=BB2047_212 Depth=1
	buffer_load_dword v2, off, s[0:3], 0
	buffer_load_dword v3, off, s[0:3], 0 offset:4
	buffer_load_dword v4, off, s[0:3], 0 offset:8
	;; [unrolled: 1-line block ×3, first 2 shown]
.LBB2047_254:                           ;   in Loop: Header=BB2047_212 Depth=1
	s_or_b64 exec, exec, s[4:5]
	v_and_b32_e32 v34, 1, v34
	v_cmp_eq_u32_e32 vcc, 1, v34
	v_and_b32_e32 v34, 1, v35
	v_cmp_eq_u32_e64 s[4:5], 1, v34
	s_or_b64 s[4:5], vcc, s[4:5]
	v_cndmask_b32_e64 v34, 0, 1, s[4:5]
	buffer_store_byte v34, off, s[0:3], 0 offset:72
	buffer_load_dword v34, off, s[0:3], 0 offset:72
	s_waitcnt vmcnt(4)
	buffer_store_dword v3, off, s[0:3], 0 offset:60
	buffer_store_dword v2, off, s[0:3], 0 offset:56
	s_waitcnt vmcnt(4)
	buffer_store_dword v5, off, s[0:3], 0 offset:68
	buffer_store_dword v4, off, s[0:3], 0 offset:64
.LBB2047_255:                           ;   in Loop: Header=BB2047_212 Depth=1
	s_or_b64 exec, exec, s[16:17]
	ds_bpermute_b32 v36, v24, v2
	s_waitcnt vmcnt(4)
	ds_bpermute_b32 v35, v24, v34
	ds_bpermute_b32 v37, v24, v3
	;; [unrolled: 1-line block ×4, first 2 shown]
	v_cmp_le_u32_e32 vcc, v23, v33
	s_waitcnt lgkmcnt(4)
	buffer_store_dword v36, off, s[0:3], 0 offset:96
	s_waitcnt lgkmcnt(2)
	buffer_store_dword v37, off, s[0:3], 0 offset:100
	;; [unrolled: 2-line block ×4, first 2 shown]
	s_and_saveexec_b64 s[16:17], vcc
	s_cbranch_execz .LBB2047_263
; %bb.256:                              ;   in Loop: Header=BB2047_212 Depth=1
	v_cmp_eq_u16_sdwa s[18:19], v34, v26 src0_sel:BYTE_0 src1_sel:DWORD
	s_and_saveexec_b64 s[4:5], s[18:19]
	s_cbranch_execz .LBB2047_262
; %bb.257:                              ;   in Loop: Header=BB2047_212 Depth=1
	s_mov_b32 s18, 0
.LBB2047_258:                           ;   Parent Loop BB2047_212 Depth=1
                                        ; =>  This Inner Loop Header: Depth=2
	v_add_u32_e32 v2, s18, v29
	s_add_i32 s18, s18, 8
	s_cmp_lg_u32 s18, 16
	buffer_store_dword v26, v2, s[0:3], 0 offen offset:4
	buffer_store_dword v26, v2, s[0:3], 0 offen
	s_cbranch_scc1 .LBB2047_258
; %bb.259:                              ;   in Loop: Header=BB2047_212 Depth=1
	s_mov_b32 s18, 0
.LBB2047_260:                           ;   Parent Loop BB2047_212 Depth=1
                                        ; =>  This Inner Loop Header: Depth=2
	v_add_u32_e32 v2, s18, v28
	v_add_u32_e32 v3, s18, v30
	buffer_load_dword v4, v2, s[0:3], 0 offen offset:4
	buffer_load_dword v5, v3, s[0:3], 0 offen
	buffer_load_dword v36, v2, s[0:3], 0 offen
	buffer_load_dword v37, v3, s[0:3], 0 offen offset:4
	v_add_u32_e32 v2, s18, v29
	s_add_i32 s18, s18, 8
	s_cmp_lg_u32 s18, 16
	s_waitcnt vmcnt(1)
	v_add_u32_e32 v3, v5, v36
	s_waitcnt vmcnt(0)
	v_add_u32_e32 v4, v37, v4
	buffer_store_dword v4, v2, s[0:3], 0 offen offset:4
	buffer_store_dword v3, v2, s[0:3], 0 offen
	s_cbranch_scc1 .LBB2047_260
; %bb.261:                              ;   in Loop: Header=BB2047_212 Depth=1
	buffer_load_dword v2, off, s[0:3], 0
	buffer_load_dword v3, off, s[0:3], 0 offset:4
	buffer_load_dword v4, off, s[0:3], 0 offset:8
	buffer_load_dword v5, off, s[0:3], 0 offset:12
.LBB2047_262:                           ;   in Loop: Header=BB2047_212 Depth=1
	s_or_b64 exec, exec, s[4:5]
	v_and_b32_e32 v34, 1, v34
	v_cmp_eq_u32_e32 vcc, 1, v34
	v_and_b32_e32 v34, 1, v35
	v_cmp_eq_u32_e64 s[4:5], 1, v34
	s_or_b64 s[4:5], vcc, s[4:5]
	v_cndmask_b32_e64 v34, 0, 1, s[4:5]
	buffer_store_byte v34, off, s[0:3], 0 offset:72
	buffer_load_dword v34, off, s[0:3], 0 offset:72
	s_waitcnt vmcnt(4)
	buffer_store_dword v3, off, s[0:3], 0 offset:60
	buffer_store_dword v2, off, s[0:3], 0 offset:56
	s_waitcnt vmcnt(4)
	buffer_store_dword v5, off, s[0:3], 0 offset:68
	buffer_store_dword v4, off, s[0:3], 0 offset:64
.LBB2047_263:                           ;   in Loop: Header=BB2047_212 Depth=1
	s_or_b64 exec, exec, s[16:17]
	ds_bpermute_b32 v36, v1, v2
	s_waitcnt vmcnt(4)
	ds_bpermute_b32 v35, v1, v34
	ds_bpermute_b32 v37, v1, v3
	;; [unrolled: 1-line block ×4, first 2 shown]
	v_cmp_le_u32_e32 vcc, v25, v33
	v_and_b32_e32 v33, 1, v34
	v_cmp_eq_u32_e64 s[4:5], 1, v33
	s_waitcnt lgkmcnt(4)
	buffer_store_dword v36, off, s[0:3], 0 offset:96
	s_waitcnt lgkmcnt(2)
	buffer_store_dword v37, off, s[0:3], 0 offset:100
	;; [unrolled: 2-line block ×4, first 2 shown]
	s_and_saveexec_b64 s[16:17], vcc
	s_cbranch_execz .LBB2047_271
; %bb.264:                              ;   in Loop: Header=BB2047_212 Depth=1
	v_cmp_eq_u16_sdwa s[36:37], v34, v26 src0_sel:BYTE_0 src1_sel:DWORD
	s_and_saveexec_b64 s[18:19], s[36:37]
	s_cbranch_execz .LBB2047_270
; %bb.265:                              ;   in Loop: Header=BB2047_212 Depth=1
	s_mov_b32 s36, 0
.LBB2047_266:                           ;   Parent Loop BB2047_212 Depth=1
                                        ; =>  This Inner Loop Header: Depth=2
	v_add_u32_e32 v2, s36, v29
	s_add_i32 s36, s36, 8
	s_cmp_lg_u32 s36, 16
	buffer_store_dword v26, v2, s[0:3], 0 offen offset:4
	buffer_store_dword v26, v2, s[0:3], 0 offen
	s_cbranch_scc1 .LBB2047_266
; %bb.267:                              ;   in Loop: Header=BB2047_212 Depth=1
	s_mov_b32 s36, 0
.LBB2047_268:                           ;   Parent Loop BB2047_212 Depth=1
                                        ; =>  This Inner Loop Header: Depth=2
	v_add_u32_e32 v2, s36, v28
	v_add_u32_e32 v3, s36, v30
	buffer_load_dword v4, v2, s[0:3], 0 offen offset:4
	buffer_load_dword v5, v3, s[0:3], 0 offen
	buffer_load_dword v33, v2, s[0:3], 0 offen
	buffer_load_dword v34, v3, s[0:3], 0 offen offset:4
	v_add_u32_e32 v2, s36, v29
	s_add_i32 s36, s36, 8
	s_cmp_lg_u32 s36, 16
	s_waitcnt vmcnt(1)
	v_add_u32_e32 v3, v5, v33
	s_waitcnt vmcnt(0)
	v_add_u32_e32 v4, v34, v4
	buffer_store_dword v4, v2, s[0:3], 0 offen offset:4
	buffer_store_dword v3, v2, s[0:3], 0 offen
	s_cbranch_scc1 .LBB2047_268
; %bb.269:                              ;   in Loop: Header=BB2047_212 Depth=1
	buffer_load_dword v2, off, s[0:3], 0
	buffer_load_dword v3, off, s[0:3], 0 offset:4
	buffer_load_dword v4, off, s[0:3], 0 offset:8
	;; [unrolled: 1-line block ×3, first 2 shown]
.LBB2047_270:                           ;   in Loop: Header=BB2047_212 Depth=1
	s_or_b64 exec, exec, s[18:19]
	v_and_b32_e32 v33, 1, v35
	v_cmp_eq_u32_e32 vcc, 1, v33
	s_or_b64 s[18:19], s[4:5], vcc
	v_cndmask_b32_e64 v33, 0, 1, s[18:19]
	s_andn2_b64 s[4:5], s[4:5], exec
	s_and_b64 s[18:19], s[18:19], exec
	s_or_b64 s[4:5], s[4:5], s[18:19]
	s_waitcnt vmcnt(2)
	buffer_store_dword v3, off, s[0:3], 0 offset:60
	buffer_store_dword v2, off, s[0:3], 0 offset:56
	s_waitcnt vmcnt(2)
	buffer_store_dword v5, off, s[0:3], 0 offset:68
	buffer_store_dword v4, off, s[0:3], 0 offset:64
	buffer_store_byte v33, off, s[0:3], 0 offset:72
.LBB2047_271:                           ;   in Loop: Header=BB2047_212 Depth=1
	s_or_b64 exec, exec, s[16:17]
	buffer_load_ubyte v33, off, s[0:3], 0 offset:52
                                        ; implicit-def: $vgpr4_vgpr5
                                        ; implicit-def: $vgpr2_vgpr3
	s_waitcnt vmcnt(0)
	v_cmp_ne_u16_e32 vcc, 0, v33
	s_and_saveexec_b64 s[16:17], vcc
	s_xor_b64 s[16:17], exec, s[16:17]
	s_cbranch_execz .LBB2047_273
; %bb.272:                              ;   in Loop: Header=BB2047_212 Depth=1
	buffer_load_dword v2, off, s[0:3], 0 offset:36
	buffer_load_dword v3, off, s[0:3], 0 offset:40
	;; [unrolled: 1-line block ×4, first 2 shown]
.LBB2047_273:                           ;   in Loop: Header=BB2047_212 Depth=1
	s_andn2_saveexec_b64 s[16:17], s[16:17]
	s_cbranch_execz .LBB2047_279
; %bb.274:                              ;   in Loop: Header=BB2047_212 Depth=1
	s_mov_b32 s18, 0
	s_waitcnt vmcnt(0)
.LBB2047_275:                           ;   Parent Loop BB2047_212 Depth=1
                                        ; =>  This Inner Loop Header: Depth=2
	v_add_u32_e32 v2, s18, v28
	s_add_i32 s18, s18, 8
	s_cmp_lg_u32 s18, 16
	buffer_store_dword v26, v2, s[0:3], 0 offen offset:4
	buffer_store_dword v26, v2, s[0:3], 0 offen
	s_cbranch_scc1 .LBB2047_275
; %bb.276:                              ;   in Loop: Header=BB2047_212 Depth=1
	s_mov_b32 s18, 0
.LBB2047_277:                           ;   Parent Loop BB2047_212 Depth=1
                                        ; =>  This Inner Loop Header: Depth=2
	v_add_u32_e32 v2, s18, v30
	v_add_u32_e32 v3, s18, v31
	buffer_load_dword v4, v2, s[0:3], 0 offen offset:4
	buffer_load_dword v5, v3, s[0:3], 0 offen
	buffer_load_dword v34, v2, s[0:3], 0 offen
	buffer_load_dword v35, v3, s[0:3], 0 offen offset:4
	v_add_u32_e32 v2, s18, v28
	s_add_i32 s18, s18, 8
	s_cmp_lg_u32 s18, 16
	s_waitcnt vmcnt(1)
	v_add_u32_e32 v3, v5, v34
	s_waitcnt vmcnt(0)
	v_add_u32_e32 v4, v35, v4
	buffer_store_dword v4, v2, s[0:3], 0 offen offset:4
	buffer_store_dword v3, v2, s[0:3], 0 offen
	s_cbranch_scc1 .LBB2047_277
; %bb.278:                              ;   in Loop: Header=BB2047_212 Depth=1
	buffer_load_dword v2, off, s[0:3], 0 offset:96
	buffer_load_dword v3, off, s[0:3], 0 offset:100
	;; [unrolled: 1-line block ×4, first 2 shown]
.LBB2047_279:                           ;   in Loop: Header=BB2047_212 Depth=1
	s_or_b64 exec, exec, s[16:17]
	v_and_b32_e32 v33, 1, v33
	v_cmp_eq_u32_e32 vcc, 1, v33
	s_or_b64 s[4:5], vcc, s[4:5]
	v_subrev_u32_e32 v6, 64, v6
	v_cndmask_b32_e64 v33, 0, 1, s[4:5]
	s_waitcnt vmcnt(2)
	buffer_store_dword v3, off, s[0:3], 0 offset:40
	buffer_store_dword v2, off, s[0:3], 0 offset:36
	s_waitcnt vmcnt(2)
	buffer_store_dword v5, off, s[0:3], 0 offset:48
	buffer_store_dword v4, off, s[0:3], 0 offset:44
	buffer_store_byte v33, off, s[0:3], 0 offset:52
	s_branch .LBB2047_212
.LBB2047_280:
	buffer_load_dword v1, off, s[0:3], 0 offset:40
	buffer_load_dword v2, off, s[0:3], 0 offset:36
	buffer_load_dword v3, off, s[0:3], 0 offset:48
	buffer_load_dword v4, off, s[0:3], 0 offset:44
	buffer_load_dword v6, off, s[0:3], 0 offset:52
	s_waitcnt vmcnt(4)
	buffer_store_dword v1, off, s[0:3], 0 offset:100
	s_waitcnt vmcnt(4)
	buffer_store_dword v2, off, s[0:3], 0 offset:96
	;; [unrolled: 2-line block ×5, first 2 shown]
	s_and_saveexec_b64 s[4:5], s[10:11]
	s_cbranch_execz .LBB2047_290
; %bb.281:
	buffer_load_ubyte v1, off, s[0:3], 0 offset:92
                                        ; implicit-def: $vgpr4_vgpr5
	s_waitcnt vmcnt(0)
	v_cmp_ne_u16_e32 vcc, 0, v1
	s_and_saveexec_b64 s[10:11], vcc
	s_xor_b64 s[10:11], exec, s[10:11]
	s_cbranch_execz .LBB2047_283
; %bb.282:
	buffer_load_dword v2, off, s[0:3], 0 offset:76
	buffer_load_dword v3, off, s[0:3], 0 offset:80
	;; [unrolled: 1-line block ×4, first 2 shown]
.LBB2047_283:
	s_andn2_saveexec_b64 s[10:11], s[10:11]
	s_cbranch_execz .LBB2047_289
; %bb.284:
	s_mov_b32 s16, 0
	s_waitcnt vmcnt(3)
	v_mov_b32_e32 v2, 16
	s_waitcnt vmcnt(2)
	v_mov_b32_e32 v3, 0
	s_waitcnt vmcnt(0)
.LBB2047_285:                           ; =>This Inner Loop Header: Depth=1
	v_add_u32_e32 v4, s16, v2
	s_add_i32 s16, s16, 8
	s_cmp_lg_u32 s16, 16
	buffer_store_dword v3, v4, s[0:3], 0 offen offset:4
	buffer_store_dword v3, v4, s[0:3], 0 offen
	s_cbranch_scc1 .LBB2047_285
; %bb.286:
	s_mov_b32 s16, 0
	v_mov_b32_e32 v2, 0x60
	v_mov_b32_e32 v3, 0x4c
	;; [unrolled: 1-line block ×3, first 2 shown]
.LBB2047_287:                           ; =>This Inner Loop Header: Depth=1
	v_add_u32_e32 v5, s16, v2
	v_add_u32_e32 v8, s16, v3
	buffer_load_dword v9, v5, s[0:3], 0 offen offset:4
	buffer_load_dword v14, v8, s[0:3], 0 offen
	buffer_load_dword v15, v5, s[0:3], 0 offen
	buffer_load_dword v16, v8, s[0:3], 0 offen offset:4
                                        ; kill: killed $vgpr5
	v_add_u32_e32 v5, s16, v4
	s_add_i32 s16, s16, 8
	s_cmp_lg_u32 s16, 16
                                        ; kill: killed $vgpr8
	s_waitcnt vmcnt(1)
	v_add_u32_e32 v8, v14, v15
	s_waitcnt vmcnt(0)
	v_add_u32_e32 v9, v16, v9
	buffer_store_dword v9, v5, s[0:3], 0 offen offset:4
	buffer_store_dword v8, v5, s[0:3], 0 offen
	s_cbranch_scc1 .LBB2047_287
; %bb.288:
	buffer_load_dword v2, off, s[0:3], 0 offset:16
	buffer_load_dword v3, off, s[0:3], 0 offset:20
	;; [unrolled: 1-line block ×4, first 2 shown]
.LBB2047_289:
	s_or_b64 exec, exec, s[10:11]
	s_add_i32 s16, s33, 64
	s_mul_i32 s10, s16, 20
	v_or_b32_e32 v1, v1, v6
	s_mul_hi_u32 s11, s16, 20
	s_add_u32 s10, s26, s10
	v_and_b32_e32 v1, 1, v1
	s_addc_u32 s11, s27, s11
	v_mov_b32_e32 v6, 0
	s_waitcnt vmcnt(0)
	global_store_dwordx4 v6, v[2:5], s[10:11]
	global_store_byte v6, v1, s[10:11] offset:16
	v_mov_b32_e32 v1, s16
	v_mov_b32_e32 v2, 2
	s_waitcnt vmcnt(0)
	buffer_wbinvl1_vol
	global_store_byte v1, v2, s[28:29]
	buffer_load_dword v2, off, s[0:3], 0 offset:96
	s_nop 0
	buffer_load_dword v1, off, s[0:3], 0 offset:100
	buffer_load_dword v4, off, s[0:3], 0 offset:104
	;; [unrolled: 1-line block ×3, first 2 shown]
	buffer_load_ubyte v6, off, s[0:3], 0 offset:112
.LBB2047_290:
	s_or_b64 exec, exec, s[4:5]
	s_and_b64 exec, exec, s[20:21]
	s_cbranch_execz .LBB2047_292
; %bb.291:
	v_mov_b32_e32 v5, 0
	s_waitcnt vmcnt(3)
	ds_write2_b32 v5, v2, v1 offset0:15 offset1:16
	s_waitcnt vmcnt(1)
	ds_write2_b32 v5, v4, v3 offset0:17 offset1:18
	s_waitcnt vmcnt(0)
	ds_write_b8 v5, v6 offset:76
.LBB2047_292:
	s_or_b64 exec, exec, s[14:15]
	s_waitcnt lgkmcnt(0)
	s_barrier
	buffer_load_ubyte v1, off, s[0:3], 0 offset:224
	s_waitcnt vmcnt(5)
	v_mov_b32_e32 v2, 0
	s_waitcnt vmcnt(3)
	ds_read2_b32 v[4:5], v2 offset0:15 offset1:16
	ds_read2_b32 v[8:9], v2 offset0:17 offset1:18
	s_waitcnt vmcnt(1)
	ds_read_b32 v6, v2 offset:76
	s_waitcnt lgkmcnt(2)
	buffer_store_dword v5, off, s[0:3], 0 offset:100
	buffer_store_dword v4, off, s[0:3], 0 offset:96
	s_waitcnt lgkmcnt(1)
	buffer_store_dword v9, off, s[0:3], 0 offset:108
	buffer_store_dword v8, off, s[0:3], 0 offset:104
	s_waitcnt lgkmcnt(0)
	buffer_store_dword v6, off, s[0:3], 0 offset:112
	s_and_saveexec_b64 s[4:5], s[8:9]
	s_cbranch_execz .LBB2047_302
; %bb.293:
	s_waitcnt vmcnt(5)
	v_cmp_ne_u16_sdwa s[10:11], v1, v2 src0_sel:BYTE_0 src1_sel:DWORD
                                        ; implicit-def: $vgpr4_vgpr5
                                        ; implicit-def: $vgpr2_vgpr3
	s_and_saveexec_b64 s[14:15], s[10:11]
	s_xor_b64 s[10:11], exec, s[14:15]
	s_cbranch_execz .LBB2047_295
; %bb.294:
	buffer_load_dword v2, off, s[0:3], 0 offset:208
	buffer_load_dword v3, off, s[0:3], 0 offset:212
	;; [unrolled: 1-line block ×4, first 2 shown]
.LBB2047_295:
	s_andn2_saveexec_b64 s[10:11], s[10:11]
	s_cbranch_execz .LBB2047_301
; %bb.296:
	s_mov_b32 s14, 0
	s_waitcnt vmcnt(3)
	v_mov_b32_e32 v2, 16
	s_waitcnt vmcnt(2)
	v_mov_b32_e32 v3, 0
	s_waitcnt vmcnt(0)
.LBB2047_297:                           ; =>This Inner Loop Header: Depth=1
	v_add_u32_e32 v4, s14, v2
	s_add_i32 s14, s14, 8
	s_cmp_lg_u32 s14, 16
	buffer_store_dword v3, v4, s[0:3], 0 offen offset:4
	buffer_store_dword v3, v4, s[0:3], 0 offen
	s_cbranch_scc1 .LBB2047_297
; %bb.298:
	s_mov_b32 s14, 0
	v_mov_b32_e32 v2, 0xb0
	v_mov_b32_e32 v3, 0xd0
	;; [unrolled: 1-line block ×3, first 2 shown]
.LBB2047_299:                           ; =>This Inner Loop Header: Depth=1
	v_add_u32_e32 v5, s14, v2
	v_add_u32_e32 v8, s14, v3
	buffer_load_dword v9, v5, s[0:3], 0 offen offset:4
	buffer_load_dword v14, v8, s[0:3], 0 offen
	buffer_load_dword v15, v5, s[0:3], 0 offen
	buffer_load_dword v16, v8, s[0:3], 0 offen offset:4
                                        ; kill: killed $vgpr5
	v_add_u32_e32 v5, s14, v4
	s_add_i32 s14, s14, 8
	s_cmp_lg_u32 s14, 16
                                        ; kill: killed $vgpr8
	s_waitcnt vmcnt(1)
	v_add_u32_e32 v8, v14, v15
	s_waitcnt vmcnt(0)
	v_add_u32_e32 v9, v16, v9
	buffer_store_dword v9, v5, s[0:3], 0 offen offset:4
	buffer_store_dword v8, v5, s[0:3], 0 offen
	s_cbranch_scc1 .LBB2047_299
; %bb.300:
	buffer_load_dword v2, off, s[0:3], 0 offset:16
	buffer_load_dword v3, off, s[0:3], 0 offset:20
	buffer_load_dword v4, off, s[0:3], 0 offset:24
	buffer_load_dword v5, off, s[0:3], 0 offset:28
.LBB2047_301:
	s_or_b64 exec, exec, s[10:11]
	v_and_b32_e32 v1, 1, v1
	v_cmp_eq_u32_e32 vcc, 1, v1
	s_or_b64 s[10:11], vcc, s[12:13]
	v_cndmask_b32_e64 v1, 0, 1, s[10:11]
	s_waitcnt vmcnt(2)
	buffer_store_dword v3, off, s[0:3], 0 offset:212
	buffer_store_dword v2, off, s[0:3], 0 offset:208
	s_waitcnt vmcnt(2)
	buffer_store_dword v5, off, s[0:3], 0 offset:220
	buffer_store_dword v4, off, s[0:3], 0 offset:216
.LBB2047_302:
	s_or_b64 exec, exec, s[4:5]
	v_mov_b32_e32 v2, 0
	s_waitcnt vmcnt(5)
	v_cmp_ne_u16_sdwa s[4:5], v1, v2 src0_sel:BYTE_0 src1_sel:DWORD
                                        ; implicit-def: $vgpr4_vgpr5
                                        ; implicit-def: $vgpr2_vgpr3
	s_and_saveexec_b64 s[10:11], s[4:5]
	s_xor_b64 s[4:5], exec, s[10:11]
	s_cbranch_execz .LBB2047_304
; %bb.303:
	buffer_load_dword v2, off, s[0:3], 0 offset:208
	buffer_load_dword v3, off, s[0:3], 0 offset:212
	;; [unrolled: 1-line block ×4, first 2 shown]
.LBB2047_304:
	s_andn2_saveexec_b64 s[4:5], s[4:5]
	s_cbranch_execz .LBB2047_310
; %bb.305:
	s_mov_b32 s10, 0
	s_waitcnt vmcnt(3)
	v_mov_b32_e32 v2, 16
	s_waitcnt vmcnt(2)
	v_mov_b32_e32 v3, 0
	s_waitcnt vmcnt(0)
.LBB2047_306:                           ; =>This Inner Loop Header: Depth=1
	v_add_u32_e32 v4, s10, v2
	s_add_i32 s10, s10, 8
	s_cmp_lg_u32 s10, 16
	buffer_store_dword v3, v4, s[0:3], 0 offen offset:4
	buffer_store_dword v3, v4, s[0:3], 0 offen
	s_cbranch_scc1 .LBB2047_306
; %bb.307:
	s_mov_b32 s10, 0
	v_mov_b32_e32 v2, 0x60
	v_mov_b32_e32 v3, 0xd0
	v_mov_b32_e32 v4, 16
.LBB2047_308:                           ; =>This Inner Loop Header: Depth=1
	v_add_u32_e32 v5, s10, v2
	v_add_u32_e32 v8, s10, v3
	buffer_load_dword v9, v5, s[0:3], 0 offen offset:4
	buffer_load_dword v14, v8, s[0:3], 0 offen
	buffer_load_dword v15, v5, s[0:3], 0 offen
	buffer_load_dword v16, v8, s[0:3], 0 offen offset:4
                                        ; kill: killed $vgpr5
	v_add_u32_e32 v5, s10, v4
	s_add_i32 s10, s10, 8
	s_cmp_lg_u32 s10, 16
                                        ; kill: killed $vgpr8
	s_waitcnt vmcnt(1)
	v_add_u32_e32 v8, v14, v15
	s_waitcnt vmcnt(0)
	v_add_u32_e32 v9, v16, v9
	buffer_store_dword v9, v5, s[0:3], 0 offen offset:4
	buffer_store_dword v8, v5, s[0:3], 0 offen
	s_cbranch_scc1 .LBB2047_308
; %bb.309:
	buffer_load_dword v2, off, s[0:3], 0 offset:16
	buffer_load_dword v3, off, s[0:3], 0 offset:20
	;; [unrolled: 1-line block ×4, first 2 shown]
.LBB2047_310:
	s_or_b64 exec, exec, s[4:5]
	buffer_load_ubyte v8, off, s[0:3], 0 offset:244
	v_or_b32_e32 v1, v1, v6
	v_and_b32_e32 v1, 1, v1
	v_cmp_eq_u32_e32 vcc, 1, v1
	s_waitcnt vmcnt(3)
	buffer_store_dword v3, off, s[0:3], 0 offset:212
	buffer_store_dword v2, off, s[0:3], 0 offset:208
	s_waitcnt vmcnt(3)
	buffer_store_dword v5, off, s[0:3], 0 offset:220
	buffer_store_dword v4, off, s[0:3], 0 offset:216
	buffer_store_byte v1, off, s[0:3], 0 offset:224
                                        ; implicit-def: $vgpr4_vgpr5
                                        ; implicit-def: $vgpr2_vgpr3
	s_waitcnt vmcnt(5)
	v_cmp_ne_u16_e64 s[4:5], 0, v8
	s_and_saveexec_b64 s[10:11], s[4:5]
	s_xor_b64 s[4:5], exec, s[10:11]
	s_cbranch_execz .LBB2047_312
; %bb.311:
	buffer_load_dword v2, off, s[0:3], 0 offset:228
	buffer_load_dword v3, off, s[0:3], 0 offset:232
	;; [unrolled: 1-line block ×4, first 2 shown]
.LBB2047_312:
	s_andn2_saveexec_b64 s[4:5], s[4:5]
	s_cbranch_execz .LBB2047_318
; %bb.313:
	s_mov_b32 s10, 0
	v_mov_b32_e32 v1, 16
	s_waitcnt vmcnt(3)
	v_mov_b32_e32 v2, 0
	s_waitcnt vmcnt(0)
.LBB2047_314:                           ; =>This Inner Loop Header: Depth=1
	v_add_u32_e32 v3, s10, v1
	s_add_i32 s10, s10, 8
	s_cmp_lg_u32 s10, 16
	buffer_store_dword v2, v3, s[0:3], 0 offen offset:4
	buffer_store_dword v2, v3, s[0:3], 0 offen
	s_cbranch_scc1 .LBB2047_314
; %bb.315:
	s_mov_b32 s10, 0
	v_mov_b32_e32 v1, 0xd0
	v_mov_b32_e32 v2, 16
.LBB2047_316:                           ; =>This Inner Loop Header: Depth=1
	v_add_u32_e32 v3, s10, v1
	buffer_load_dword v4, v3, s[0:3], 0 offen
	buffer_load_dword v5, v3, s[0:3], 0 offen offset:4
	buffer_load_dword v6, v3, s[0:3], 0 offen offset:20
	;; [unrolled: 1-line block ×3, first 2 shown]
                                        ; kill: killed $vgpr3
	v_add_u32_e32 v3, s10, v2
	s_add_i32 s10, s10, 8
	s_cmp_lg_u32 s10, 16
	s_waitcnt vmcnt(1)
	v_add_u32_e32 v4, v6, v4
	s_waitcnt vmcnt(0)
	v_add_u32_e32 v5, v9, v5
	buffer_store_dword v5, v3, s[0:3], 0 offen offset:4
	buffer_store_dword v4, v3, s[0:3], 0 offen
	s_cbranch_scc1 .LBB2047_316
; %bb.317:
	buffer_load_dword v2, off, s[0:3], 0 offset:16
	buffer_load_dword v3, off, s[0:3], 0 offset:20
	;; [unrolled: 1-line block ×4, first 2 shown]
.LBB2047_318:
	s_or_b64 exec, exec, s[4:5]
	buffer_load_ubyte v1, off, s[0:3], 0 offset:264
	v_and_b32_e32 v6, 1, v8
	v_cmp_eq_u32_e64 s[4:5], 1, v6
	s_or_b64 s[4:5], s[4:5], vcc
	v_cndmask_b32_e64 v6, 0, 1, s[4:5]
	s_waitcnt vmcnt(3)
	buffer_store_dword v3, off, s[0:3], 0 offset:232
	buffer_store_dword v2, off, s[0:3], 0 offset:228
	s_waitcnt vmcnt(3)
	buffer_store_dword v5, off, s[0:3], 0 offset:240
	buffer_store_dword v4, off, s[0:3], 0 offset:236
	buffer_store_byte v6, off, s[0:3], 0 offset:244
                                        ; implicit-def: $vgpr4_vgpr5
                                        ; implicit-def: $vgpr2_vgpr3
	s_waitcnt vmcnt(5)
	v_cmp_ne_u16_e32 vcc, 0, v1
	s_and_saveexec_b64 s[10:11], vcc
	s_xor_b64 s[10:11], exec, s[10:11]
	s_cbranch_execz .LBB2047_320
; %bb.319:
	buffer_load_dword v2, off, s[0:3], 0 offset:248
	buffer_load_dword v3, off, s[0:3], 0 offset:252
	;; [unrolled: 1-line block ×4, first 2 shown]
.LBB2047_320:
	s_andn2_saveexec_b64 s[10:11], s[10:11]
	s_cbranch_execz .LBB2047_326
; %bb.321:
	s_mov_b32 s12, 0
	s_waitcnt vmcnt(3)
	v_mov_b32_e32 v2, 16
	s_waitcnt vmcnt(2)
	v_mov_b32_e32 v3, 0
	s_waitcnt vmcnt(0)
.LBB2047_322:                           ; =>This Inner Loop Header: Depth=1
	v_add_u32_e32 v4, s12, v2
	s_add_i32 s12, s12, 8
	s_cmp_lg_u32 s12, 16
	buffer_store_dword v3, v4, s[0:3], 0 offen offset:4
	buffer_store_dword v3, v4, s[0:3], 0 offen
	s_cbranch_scc1 .LBB2047_322
; %bb.323:
	s_mov_b32 s12, 0
	v_mov_b32_e32 v2, 0xd0
	v_mov_b32_e32 v3, 16
.LBB2047_324:                           ; =>This Inner Loop Header: Depth=1
	v_add_u32_e32 v4, s12, v2
	buffer_load_dword v5, v4, s[0:3], 0 offen offset:20
	buffer_load_dword v6, v4, s[0:3], 0 offen offset:24
	;; [unrolled: 1-line block ×4, first 2 shown]
                                        ; kill: killed $vgpr4
	v_add_u32_e32 v4, s12, v3
	s_add_i32 s12, s12, 8
	s_cmp_lg_u32 s12, 16
	s_waitcnt vmcnt(1)
	v_add_u32_e32 v5, v8, v5
	s_waitcnt vmcnt(0)
	v_add_u32_e32 v6, v9, v6
	buffer_store_dword v6, v4, s[0:3], 0 offen offset:4
	buffer_store_dword v5, v4, s[0:3], 0 offen
	s_cbranch_scc1 .LBB2047_324
; %bb.325:
	buffer_load_dword v2, off, s[0:3], 0 offset:16
	buffer_load_dword v3, off, s[0:3], 0 offset:20
	;; [unrolled: 1-line block ×4, first 2 shown]
.LBB2047_326:
	s_or_b64 exec, exec, s[10:11]
	buffer_load_ubyte v6, off, s[0:3], 0 offset:284
	v_and_b32_e32 v1, 1, v1
	v_cmp_eq_u32_e32 vcc, 1, v1
	s_or_b64 s[4:5], vcc, s[4:5]
	v_cndmask_b32_e64 v1, 0, 1, s[4:5]
	s_waitcnt vmcnt(3)
	buffer_store_dword v3, off, s[0:3], 0 offset:252
	buffer_store_dword v2, off, s[0:3], 0 offset:248
	s_waitcnt vmcnt(3)
	buffer_store_dword v5, off, s[0:3], 0 offset:260
	buffer_store_dword v4, off, s[0:3], 0 offset:256
	buffer_store_byte v1, off, s[0:3], 0 offset:264
                                        ; implicit-def: $vgpr4_vgpr5
                                        ; implicit-def: $vgpr2_vgpr3
	s_waitcnt vmcnt(5)
	v_cmp_ne_u16_e32 vcc, 0, v6
	s_and_saveexec_b64 s[10:11], vcc
	s_xor_b64 s[10:11], exec, s[10:11]
	s_cbranch_execz .LBB2047_328
; %bb.327:
	buffer_load_dword v2, off, s[0:3], 0 offset:268
	buffer_load_dword v3, off, s[0:3], 0 offset:272
	;; [unrolled: 1-line block ×4, first 2 shown]
.LBB2047_328:
	s_andn2_saveexec_b64 s[10:11], s[10:11]
	s_cbranch_execz .LBB2047_334
; %bb.329:
	s_mov_b32 s12, 0
	v_mov_b32_e32 v1, 16
	s_waitcnt vmcnt(3)
	v_mov_b32_e32 v2, 0
	s_waitcnt vmcnt(0)
.LBB2047_330:                           ; =>This Inner Loop Header: Depth=1
	v_add_u32_e32 v3, s12, v1
	s_add_i32 s12, s12, 8
	s_cmp_lg_u32 s12, 16
	buffer_store_dword v2, v3, s[0:3], 0 offen offset:4
	buffer_store_dword v2, v3, s[0:3], 0 offen
	s_cbranch_scc1 .LBB2047_330
; %bb.331:
	s_mov_b32 s12, 0
	v_mov_b32_e32 v1, 0xd0
	v_mov_b32_e32 v2, 16
.LBB2047_332:                           ; =>This Inner Loop Header: Depth=1
	v_add_u32_e32 v3, s12, v1
	buffer_load_dword v4, v3, s[0:3], 0 offen offset:40
	buffer_load_dword v5, v3, s[0:3], 0 offen offset:44
	;; [unrolled: 1-line block ×4, first 2 shown]
                                        ; kill: killed $vgpr3
	v_add_u32_e32 v3, s12, v2
	s_add_i32 s12, s12, 8
	s_cmp_lg_u32 s12, 16
	s_waitcnt vmcnt(1)
	v_add_u32_e32 v4, v8, v4
	s_waitcnt vmcnt(0)
	v_add_u32_e32 v5, v9, v5
	buffer_store_dword v5, v3, s[0:3], 0 offen offset:4
	buffer_store_dword v4, v3, s[0:3], 0 offen
	s_cbranch_scc1 .LBB2047_332
; %bb.333:
	buffer_load_dword v2, off, s[0:3], 0 offset:16
	buffer_load_dword v3, off, s[0:3], 0 offset:20
	;; [unrolled: 1-line block ×4, first 2 shown]
.LBB2047_334:
	s_or_b64 exec, exec, s[10:11]
	buffer_load_ubyte v1, off, s[0:3], 0 offset:304
	v_and_b32_e32 v6, 1, v6
	v_cmp_eq_u32_e32 vcc, 1, v6
	s_or_b64 s[4:5], vcc, s[4:5]
	v_cndmask_b32_e64 v6, 0, 1, s[4:5]
	s_waitcnt vmcnt(3)
	buffer_store_dword v3, off, s[0:3], 0 offset:272
	buffer_store_dword v2, off, s[0:3], 0 offset:268
	s_waitcnt vmcnt(3)
	buffer_store_dword v5, off, s[0:3], 0 offset:280
	buffer_store_dword v4, off, s[0:3], 0 offset:276
	buffer_store_byte v6, off, s[0:3], 0 offset:284
                                        ; implicit-def: $vgpr4_vgpr5
                                        ; implicit-def: $vgpr2_vgpr3
	s_waitcnt vmcnt(5)
	v_cmp_ne_u16_e32 vcc, 0, v1
	s_and_saveexec_b64 s[10:11], vcc
	s_xor_b64 s[10:11], exec, s[10:11]
	s_cbranch_execz .LBB2047_336
; %bb.335:
	buffer_load_dword v2, off, s[0:3], 0 offset:288
	buffer_load_dword v3, off, s[0:3], 0 offset:292
	;; [unrolled: 1-line block ×4, first 2 shown]
.LBB2047_336:
	s_andn2_saveexec_b64 s[10:11], s[10:11]
	s_cbranch_execz .LBB2047_342
; %bb.337:
	s_mov_b32 s12, 0
	s_waitcnt vmcnt(3)
	v_mov_b32_e32 v2, 16
	s_waitcnt vmcnt(2)
	v_mov_b32_e32 v3, 0
	s_waitcnt vmcnt(0)
.LBB2047_338:                           ; =>This Inner Loop Header: Depth=1
	v_add_u32_e32 v4, s12, v2
	s_add_i32 s12, s12, 8
	s_cmp_lg_u32 s12, 16
	buffer_store_dword v3, v4, s[0:3], 0 offen offset:4
	buffer_store_dword v3, v4, s[0:3], 0 offen
	s_cbranch_scc1 .LBB2047_338
; %bb.339:
	s_mov_b32 s12, 0
	v_mov_b32_e32 v2, 0xd0
	v_mov_b32_e32 v3, 16
.LBB2047_340:                           ; =>This Inner Loop Header: Depth=1
	v_add_u32_e32 v4, s12, v2
	buffer_load_dword v5, v4, s[0:3], 0 offen offset:60
	buffer_load_dword v6, v4, s[0:3], 0 offen offset:64
	;; [unrolled: 1-line block ×4, first 2 shown]
                                        ; kill: killed $vgpr4
	v_add_u32_e32 v4, s12, v3
	s_add_i32 s12, s12, 8
	s_cmp_lg_u32 s12, 16
	s_waitcnt vmcnt(1)
	v_add_u32_e32 v5, v8, v5
	s_waitcnt vmcnt(0)
	v_add_u32_e32 v6, v9, v6
	buffer_store_dword v6, v4, s[0:3], 0 offen offset:4
	buffer_store_dword v5, v4, s[0:3], 0 offen
	s_cbranch_scc1 .LBB2047_340
; %bb.341:
	buffer_load_dword v2, off, s[0:3], 0 offset:16
	buffer_load_dword v3, off, s[0:3], 0 offset:20
	;; [unrolled: 1-line block ×4, first 2 shown]
.LBB2047_342:
	s_or_b64 exec, exec, s[10:11]
	v_and_b32_e32 v1, 1, v1
	v_cmp_eq_u32_e32 vcc, 1, v1
	s_or_b64 s[4:5], vcc, s[4:5]
	v_cndmask_b32_e64 v1, 0, 1, s[4:5]
	s_waitcnt vmcnt(2)
	buffer_store_dword v3, off, s[0:3], 0 offset:292
	buffer_store_dword v2, off, s[0:3], 0 offset:288
	s_waitcnt vmcnt(2)
	buffer_store_dword v5, off, s[0:3], 0 offset:300
	buffer_store_dword v4, off, s[0:3], 0 offset:296
	buffer_store_byte v1, off, s[0:3], 0 offset:304
	s_branch .LBB2047_560
.LBB2047_343:
	v_pk_mov_b32 v[2:3], s[36:37], s[36:37] op_sel:[0,1]
	flat_load_dword v2, v[2:3]
	s_add_i32 s54, s31, s30
	v_cmp_gt_u32_e64 s[10:11], s54, v0
	s_waitcnt vmcnt(0) lgkmcnt(0)
	v_mov_b32_e32 v3, v2
	s_and_saveexec_b64 s[4:5], s[10:11]
	s_cbranch_execz .LBB2047_345
; %bb.344:
	v_lshlrev_b32_e32 v3, 2, v0
	v_mov_b32_e32 v5, s37
	v_add_co_u32_e32 v4, vcc, s36, v3
	v_addc_co_u32_e32 v5, vcc, 0, v5, vcc
	flat_load_dword v3, v[4:5]
.LBB2047_345:
	s_or_b64 exec, exec, s[4:5]
	v_or_b32_e32 v15, 0x100, v0
	v_cmp_gt_u32_e64 s[12:13], s54, v15
	v_mov_b32_e32 v4, v2
	s_and_saveexec_b64 s[4:5], s[12:13]
	s_cbranch_execz .LBB2047_347
; %bb.346:
	v_lshlrev_b32_e32 v4, 2, v0
	v_mov_b32_e32 v5, s37
	v_add_co_u32_e32 v4, vcc, s36, v4
	v_addc_co_u32_e32 v5, vcc, 0, v5, vcc
	flat_load_dword v4, v[4:5] offset:1024
.LBB2047_347:
	s_or_b64 exec, exec, s[4:5]
	v_or_b32_e32 v16, 0x200, v0
	v_cmp_gt_u32_e64 s[14:15], s54, v16
	v_mov_b32_e32 v5, v2
	s_and_saveexec_b64 s[4:5], s[14:15]
	s_cbranch_execz .LBB2047_349
; %bb.348:
	v_lshlrev_b32_e32 v5, 2, v0
	v_mov_b32_e32 v13, s37
	v_add_co_u32_e32 v18, vcc, s36, v5
	v_addc_co_u32_e32 v19, vcc, 0, v13, vcc
	flat_load_dword v5, v[18:19] offset:2048
.LBB2047_349:
	;; [unrolled: 13-line block ×3, first 2 shown]
	s_or_b64 exec, exec, s[4:5]
	v_or_b32_e32 v18, 0x400, v0
	v_cmp_gt_u32_e64 s[18:19], s54, v18
	s_and_saveexec_b64 s[4:5], s[18:19]
	s_cbranch_execz .LBB2047_353
; %bb.352:
	v_lshlrev_b32_e32 v2, 2, v18
	v_mov_b32_e32 v14, s37
	v_add_co_u32_e32 v20, vcc, s36, v2
	v_addc_co_u32_e32 v21, vcc, 0, v14, vcc
	flat_load_dword v2, v[20:21]
.LBB2047_353:
	s_or_b64 exec, exec, s[4:5]
	v_lshlrev_b32_e32 v14, 2, v0
	v_lshlrev_b32_e32 v20, 4, v0
	v_add_u32_e32 v19, v14, v20
	s_waitcnt vmcnt(0) lgkmcnt(0)
	ds_write2st64_b32 v14, v3, v4 offset1:4
	ds_write2st64_b32 v14, v5, v13 offset0:8 offset1:12
	ds_write_b32 v14, v2 offset:4096
	s_waitcnt lgkmcnt(0)
	s_barrier
	ds_read2_b32 v[4:5], v19 offset1:1
	ds_read2_b32 v[2:3], v19 offset0:2 offset1:3
	ds_read_b32 v13, v19 offset:16
	s_cmp_eq_u64 s[40:41], 0
	s_mov_b64 s[4:5], s[36:37]
	s_cbranch_scc1 .LBB2047_357
; %bb.354:
	s_andn2_b64 vcc, exec, s[38:39]
	s_cbranch_vccnz .LBB2047_595
; %bb.355:
	s_lshl_b64 s[4:5], s[40:41], 2
	s_add_u32 s4, s50, s4
	s_addc_u32 s5, s51, s5
	s_add_u32 s4, s4, -4
	s_addc_u32 s5, s5, -1
	s_cbranch_execnz .LBB2047_357
.LBB2047_356:
	s_add_u32 s4, s36, -4
	s_addc_u32 s5, s37, -1
.LBB2047_357:
	v_pk_mov_b32 v[22:23], s[4:5], s[4:5] op_sel:[0,1]
	flat_load_dword v14, v[22:23]
	v_sub_u32_e32 v19, v19, v20
	s_waitcnt lgkmcnt(0)
	ds_write_b32 v19, v13 offset:5120
	s_waitcnt lgkmcnt(0)
	s_barrier
	s_and_saveexec_b64 s[4:5], s[8:9]
	s_cbranch_execz .LBB2047_359
; %bb.358:
	s_waitcnt vmcnt(0)
	ds_read_b32 v14, v19 offset:5116
.LBB2047_359:
	s_or_b64 exec, exec, s[4:5]
	s_waitcnt lgkmcnt(0)
	s_barrier
	s_and_saveexec_b64 s[4:5], s[10:11]
	s_cbranch_execnz .LBB2047_591
; %bb.360:
	s_or_b64 exec, exec, s[4:5]
	s_and_saveexec_b64 s[4:5], s[12:13]
	s_cbranch_execnz .LBB2047_592
.LBB2047_361:
	s_or_b64 exec, exec, s[4:5]
	s_and_saveexec_b64 s[4:5], s[14:15]
	s_cbranch_execnz .LBB2047_593
.LBB2047_362:
	s_or_b64 exec, exec, s[4:5]
	s_and_saveexec_b64 s[4:5], s[16:17]
	s_cbranch_execnz .LBB2047_594
.LBB2047_363:
	s_or_b64 exec, exec, s[4:5]
	s_and_saveexec_b64 s[4:5], s[18:19]
	s_cbranch_execz .LBB2047_365
.LBB2047_364:
	v_lshlrev_b32_e32 v15, 4, v18
	v_mov_b32_e32 v17, s49
	v_add_co_u32_e32 v16, vcc, s48, v15
	v_addc_co_u32_e32 v17, vcc, 0, v17, vcc
	flat_load_dwordx4 v[20:23], v[16:17]
	s_waitcnt vmcnt(0) lgkmcnt(0)
	buffer_store_dword v21, off, s[0:3], 0 offset:164
	buffer_store_dword v20, off, s[0:3], 0 offset:160
	;; [unrolled: 1-line block ×4, first 2 shown]
.LBB2047_365:
	s_or_b64 exec, exec, s[4:5]
	buffer_load_dword v20, off, s[0:3], 0 offset:96
	buffer_load_dword v21, off, s[0:3], 0 offset:100
	;; [unrolled: 1-line block ×4, first 2 shown]
	buffer_load_dword v24, v9, s[0:3], 0 offen
	buffer_load_dword v25, v9, s[0:3], 0 offen offset:4
	buffer_load_dword v26, v9, s[0:3], 0 offen offset:8
	buffer_load_dword v27, v9, s[0:3], 0 offen offset:12
	buffer_load_dword v28, v8, s[0:3], 0 offen
	buffer_load_dword v29, v8, s[0:3], 0 offen offset:4
	buffer_load_dword v30, v8, s[0:3], 0 offen offset:8
	buffer_load_dword v31, v8, s[0:3], 0 offen offset:12
	;; [unrolled: 4-line block ×4, first 2 shown]
	v_mad_u32_u24 v17, v0, 12, v19
	v_lshl_add_u32 v16, v0, 6, v17
	v_mul_u32_u24_e32 v15, 5, v0
	s_mov_b64 s[10:11], 0
	v_cmp_gt_u32_e32 vcc, s54, v15
	s_mov_b64 s[14:15], 0
                                        ; implicit-def: $sgpr4_sgpr5
	s_waitcnt vmcnt(0)
	ds_write_b128 v17, v[20:23]
	ds_write_b128 v17, v[24:27] offset:4096
	ds_write_b128 v17, v[28:31] offset:8192
	;; [unrolled: 1-line block ×4, first 2 shown]
	s_waitcnt lgkmcnt(0)
	s_barrier
	ds_read_b128 v[18:21], v16 offset:16
	ds_read_b128 v[22:25], v16 offset:32
	;; [unrolled: 1-line block ×4, first 2 shown]
	s_waitcnt lgkmcnt(3)
	buffer_store_dword v21, v9, s[0:3], 0 offen offset:12
	buffer_store_dword v20, v9, s[0:3], 0 offen offset:8
	buffer_store_dword v19, v9, s[0:3], 0 offen offset:4
	buffer_store_dword v18, v9, s[0:3], 0 offen
	s_waitcnt lgkmcnt(2)
	buffer_store_dword v25, v8, s[0:3], 0 offen offset:12
	buffer_store_dword v24, v8, s[0:3], 0 offen offset:8
	buffer_store_dword v23, v8, s[0:3], 0 offen offset:4
	buffer_store_dword v22, v8, s[0:3], 0 offen
	;; [unrolled: 5-line block ×4, first 2 shown]
	s_and_saveexec_b64 s[12:13], vcc
	s_cbranch_execz .LBB2047_373
; %bb.366:
	ds_read_b128 v[18:21], v16
	v_cmp_ne_u32_e32 vcc, v14, v4
	v_add_u32_e32 v17, 1, v15
	v_cndmask_b32_e64 v14, 0, 1, vcc
	v_cmp_gt_u32_e32 vcc, s54, v17
	s_mov_b64 s[16:17], 0
	s_waitcnt lgkmcnt(0)
	buffer_store_dword v21, off, s[0:3], 0 offset:220
	buffer_store_dword v20, off, s[0:3], 0 offset:216
	;; [unrolled: 1-line block ×4, first 2 shown]
	buffer_store_byte v14, off, s[0:3], 0 offset:224
                                        ; implicit-def: $sgpr18_sgpr19
	s_and_saveexec_b64 s[14:15], vcc
	s_cbranch_execz .LBB2047_372
; %bb.367:
	v_add_u32_e32 v14, 16, v16
	ds_read2_b32 v[18:19], v14 offset0:2 offset1:3
	ds_read2_b32 v[20:21], v14 offset1:1
	v_cmp_ne_u32_e32 vcc, v4, v5
	v_add_u32_e32 v14, 2, v15
	v_cndmask_b32_e64 v4, 0, 1, vcc
	v_cmp_gt_u32_e32 vcc, s54, v14
	s_mov_b64 s[4:5], 0
	s_waitcnt lgkmcnt(1)
	buffer_store_dword v19, v7, s[0:3], 0 offen offset:12
	buffer_store_dword v18, v7, s[0:3], 0 offen offset:8
	s_waitcnt lgkmcnt(0)
	buffer_store_dword v21, v7, s[0:3], 0 offen offset:4
	buffer_store_dword v20, v7, s[0:3], 0 offen
	buffer_store_byte v4, off, s[0:3], 0 offset:244
                                        ; implicit-def: $sgpr18_sgpr19
	s_and_saveexec_b64 s[16:17], vcc
	s_cbranch_execz .LBB2047_371
; %bb.368:
	v_add_u32_e32 v4, 32, v16
	ds_read2_b64 v[18:21], v4 offset1:1
	v_cmp_ne_u32_e32 vcc, v5, v2
	v_add_u32_e32 v5, 3, v15
	v_cndmask_b32_e64 v4, 0, 1, vcc
	v_cmp_gt_u32_e32 vcc, s54, v5
	s_waitcnt lgkmcnt(0)
	buffer_store_dword v21, v10, s[0:3], 0 offen offset:12
	buffer_store_dword v20, v10, s[0:3], 0 offen offset:8
	;; [unrolled: 1-line block ×3, first 2 shown]
	buffer_store_dword v18, v10, s[0:3], 0 offen
	buffer_store_byte v4, off, s[0:3], 0 offset:264
                                        ; implicit-def: $sgpr44_sgpr45
	s_and_saveexec_b64 s[18:19], vcc
	s_xor_b64 s[18:19], exec, s[18:19]
	s_cbranch_execz .LBB2047_370
; %bb.369:
	v_add_u32_e32 v14, 48, v16
	ds_read2_b32 v[4:5], v14 offset0:2 offset1:3
	ds_read2_b32 v[16:17], v14 offset1:1
	v_cmp_ne_u32_e32 vcc, v3, v13
	v_cmp_ne_u32_e64 s[4:5], v2, v3
	v_add_u32_e32 v3, 4, v15
	v_cndmask_b32_e64 v2, 0, 1, s[4:5]
	v_cmp_gt_u32_e64 s[4:5], s54, v3
	s_and_b64 s[44:45], vcc, exec
	s_and_b64 s[4:5], s[4:5], exec
	s_waitcnt lgkmcnt(1)
	buffer_store_dword v5, v11, s[0:3], 0 offen offset:12
	buffer_store_dword v4, v11, s[0:3], 0 offen offset:8
	s_waitcnt lgkmcnt(0)
	buffer_store_dword v17, v11, s[0:3], 0 offen offset:4
	buffer_store_dword v16, v11, s[0:3], 0 offen
	buffer_store_byte v2, off, s[0:3], 0 offset:284
.LBB2047_370:
	s_or_b64 exec, exec, s[18:19]
	s_and_b64 s[18:19], s[44:45], exec
	s_and_b64 s[4:5], s[4:5], exec
.LBB2047_371:
	s_or_b64 exec, exec, s[16:17]
	s_and_b64 s[18:19], s[18:19], exec
	s_and_b64 s[16:17], s[4:5], exec
.LBB2047_372:
	s_or_b64 exec, exec, s[14:15]
	s_and_b64 s[4:5], s[18:19], exec
	s_and_b64 s[14:15], s[16:17], exec
.LBB2047_373:
	s_or_b64 exec, exec, s[12:13]
	s_and_b64 vcc, exec, s[10:11]
	v_lshlrev_b32_e32 v13, 4, v0
	s_cbranch_vccz .LBB2047_26
.LBB2047_374:
	v_lshlrev_b32_e32 v14, 2, v0
	v_mov_b32_e32 v3, s37
	v_add_co_u32_e32 v2, vcc, s36, v14
	v_addc_co_u32_e32 v3, vcc, 0, v3, vcc
	v_add_co_u32_e32 v4, vcc, 0x1000, v2
	v_addc_co_u32_e32 v5, vcc, 0, v3, vcc
	flat_load_dword v16, v[2:3]
	flat_load_dword v17, v[2:3] offset:1024
	flat_load_dword v18, v[2:3] offset:2048
	;; [unrolled: 1-line block ×3, first 2 shown]
	flat_load_dword v20, v[4:5]
	v_add_u32_e32 v15, v14, v13
	s_cmp_eq_u64 s[40:41], 0
	s_waitcnt vmcnt(0) lgkmcnt(0)
	ds_write2st64_b32 v14, v16, v17 offset1:4
	ds_write2st64_b32 v14, v18, v19 offset0:8 offset1:12
	ds_write_b32 v14, v20 offset:4096
	s_waitcnt lgkmcnt(0)
	s_barrier
	ds_read2_b32 v[2:3], v15 offset1:1
	ds_read2_b32 v[4:5], v15 offset0:2 offset1:3
	ds_read_b32 v14, v15 offset:16
	s_cbranch_scc1 .LBB2047_379
; %bb.375:
	s_andn2_b64 vcc, exec, s[38:39]
	s_cbranch_vccnz .LBB2047_596
; %bb.376:
	s_lshl_b64 s[4:5], s[40:41], 2
	s_add_u32 s4, s50, s4
	s_addc_u32 s5, s51, s5
	s_add_u32 s4, s4, -4
	s_addc_u32 s5, s5, -1
	s_cbranch_execnz .LBB2047_378
.LBB2047_377:
	s_add_u32 s4, s36, -4
	s_addc_u32 s5, s37, -1
.LBB2047_378:
	s_mov_b64 s[36:37], s[4:5]
.LBB2047_379:
	v_pk_mov_b32 v[16:17], s[36:37], s[36:37] op_sel:[0,1]
	flat_load_dword v16, v[16:17]
	v_sub_u32_e32 v15, v15, v13
	s_waitcnt lgkmcnt(0)
	ds_write_b32 v15, v14 offset:5120
	s_waitcnt lgkmcnt(0)
	s_barrier
	s_and_saveexec_b64 s[4:5], s[8:9]
	s_cbranch_execz .LBB2047_381
; %bb.380:
	s_waitcnt vmcnt(0)
	ds_read_b32 v16, v15 offset:5116
.LBB2047_381:
	s_or_b64 exec, exec, s[4:5]
	v_mov_b32_e32 v17, s49
	v_add_co_u32_e32 v26, vcc, s48, v13
	v_addc_co_u32_e32 v27, vcc, 0, v17, vcc
	s_waitcnt lgkmcnt(0)
	s_barrier
	flat_load_dwordx4 v[18:21], v[26:27]
	s_movk_i32 s4, 0x1000
	v_add_co_u32_e32 v22, vcc, s4, v26
	v_addc_co_u32_e32 v23, vcc, 0, v27, vcc
	s_movk_i32 s4, 0x2000
	v_add_co_u32_e32 v28, vcc, s4, v26
	v_addc_co_u32_e32 v29, vcc, 0, v27, vcc
	s_movk_i32 s4, 0x3000
	s_mov_b64 s[14:15], -1
	s_waitcnt vmcnt(0) lgkmcnt(0)
	buffer_store_dword v18, off, s[0:3], 0 offset:96
	buffer_store_dword v19, off, s[0:3], 0 offset:100
	;; [unrolled: 1-line block ×4, first 2 shown]
	flat_load_dwordx4 v[22:25], v[22:23]
	s_waitcnt vmcnt(0) lgkmcnt(0)
	buffer_store_dword v23, off, s[0:3], 0 offset:116
	buffer_store_dword v22, off, s[0:3], 0 offset:112
	;; [unrolled: 1-line block ×4, first 2 shown]
	flat_load_dwordx4 v[22:25], v[28:29]
	v_add_co_u32_e32 v28, vcc, s4, v26
	v_addc_co_u32_e32 v29, vcc, 0, v27, vcc
	s_movk_i32 s4, 0x4000
	v_add_co_u32_e32 v34, vcc, s4, v26
	v_addc_co_u32_e32 v35, vcc, 0, v27, vcc
                                        ; kill: killed $vgpr34 killed $vgpr35
	v_cmp_ne_u32_e32 vcc, v4, v5
	v_cndmask_b32_e64 v38, 0, 1, vcc
	v_cmp_ne_u32_e32 vcc, v3, v4
	v_cndmask_b32_e64 v39, 0, 1, vcc
	;; [unrolled: 2-line block ×3, first 2 shown]
	v_cmp_ne_u32_e32 vcc, v16, v2
	v_mad_u32_u24 v2, v0, 12, v15
	v_lshl_add_u32 v42, v0, 6, v2
	v_cmp_ne_u32_e64 s[4:5], v5, v14
	v_cndmask_b32_e64 v41, 0, 1, vcc
	s_waitcnt vmcnt(0) lgkmcnt(0)
	buffer_store_dword v23, off, s[0:3], 0 offset:132
	buffer_store_dword v22, off, s[0:3], 0 offset:128
	;; [unrolled: 1-line block ×4, first 2 shown]
	flat_load_dwordx4 v[22:25], v[28:29]
	s_waitcnt vmcnt(0) lgkmcnt(0)
	buffer_store_dword v23, off, s[0:3], 0 offset:148
	buffer_store_dword v22, off, s[0:3], 0 offset:144
	;; [unrolled: 1-line block ×4, first 2 shown]
	flat_load_dwordx4 v[22:25], v[34:35]
	s_nop 0
	buffer_load_dword v29, v8, s[0:3], 0 offen offset:12
	buffer_load_dword v28, v8, s[0:3], 0 offen offset:8
	buffer_load_dword v27, v8, s[0:3], 0 offen offset:4
	buffer_load_dword v26, v8, s[0:3], 0 offen
	buffer_load_dword v33, v9, s[0:3], 0 offen offset:12
	buffer_load_dword v32, v9, s[0:3], 0 offen offset:8
	;; [unrolled: 1-line block ×3, first 2 shown]
	buffer_load_dword v30, v9, s[0:3], 0 offen
	s_waitcnt vmcnt(0) lgkmcnt(0)
	buffer_store_dword v23, off, s[0:3], 0 offset:164
	buffer_store_dword v22, off, s[0:3], 0 offset:160
	;; [unrolled: 1-line block ×4, first 2 shown]
	buffer_load_dword v22, v1, s[0:3], 0 offen
	s_nop 0
	buffer_load_dword v37, v6, s[0:3], 0 offen offset:12
	buffer_load_dword v36, v6, s[0:3], 0 offen offset:8
	;; [unrolled: 1-line block ×3, first 2 shown]
	buffer_load_dword v34, v6, s[0:3], 0 offen
	buffer_load_dword v25, v1, s[0:3], 0 offen offset:12
	buffer_load_dword v24, v1, s[0:3], 0 offen offset:8
	;; [unrolled: 1-line block ×3, first 2 shown]
	ds_write_b128 v2, v[18:21]
	ds_write_b128 v2, v[30:33] offset:4096
	ds_write_b128 v2, v[26:29] offset:8192
	s_waitcnt vmcnt(3)
	ds_write_b128 v2, v[34:37] offset:12288
	s_waitcnt vmcnt(0)
	ds_write_b128 v2, v[22:25] offset:16384
	s_waitcnt lgkmcnt(0)
	s_barrier
	ds_read_b128 v[2:5], v42
	ds_read_b128 v[14:17], v42 offset:16
	ds_read_b128 v[18:21], v42 offset:32
	;; [unrolled: 1-line block ×4, first 2 shown]
	buffer_store_byte v41, off, s[0:3], 0 offset:224
	buffer_store_byte v40, off, s[0:3], 0 offset:244
	;; [unrolled: 1-line block ×4, first 2 shown]
	s_waitcnt lgkmcnt(3)
	buffer_store_dword v17, v9, s[0:3], 0 offen offset:12
	buffer_store_dword v16, v9, s[0:3], 0 offen offset:8
	buffer_store_dword v15, v9, s[0:3], 0 offen offset:4
	buffer_store_dword v14, v9, s[0:3], 0 offen
	s_waitcnt lgkmcnt(2)
	buffer_store_dword v21, v8, s[0:3], 0 offen offset:12
	buffer_store_dword v20, v8, s[0:3], 0 offen offset:8
	buffer_store_dword v19, v8, s[0:3], 0 offen offset:4
	buffer_store_dword v18, v8, s[0:3], 0 offen
	;; [unrolled: 5-line block ×4, first 2 shown]
	buffer_store_dword v5, off, s[0:3], 0 offset:220
	buffer_store_dword v4, off, s[0:3], 0 offset:216
	;; [unrolled: 1-line block ×4, first 2 shown]
	buffer_store_dword v17, v7, s[0:3], 0 offen offset:12
	buffer_store_dword v16, v7, s[0:3], 0 offen offset:8
	buffer_store_dword v15, v7, s[0:3], 0 offen offset:4
	buffer_store_dword v14, v7, s[0:3], 0 offen
	buffer_store_dword v21, v10, s[0:3], 0 offen offset:12
	buffer_store_dword v20, v10, s[0:3], 0 offen offset:8
	buffer_store_dword v19, v10, s[0:3], 0 offen offset:4
	buffer_store_dword v18, v10, s[0:3], 0 offen
	;; [unrolled: 4-line block ×3, first 2 shown]
	s_and_saveexec_b64 s[10:11], s[14:15]
	s_cbranch_execnz .LBB2047_27
	s_branch .LBB2047_28
.LBB2047_382:
	s_cbranch_execz .LBB2047_560
; %bb.383:
	s_cmp_lg_u64 s[52:53], 0
	s_cselect_b32 s11, s47, 0
	s_cselect_b32 s10, s46, 0
	s_cmp_lg_u64 s[10:11], 0
	s_cselect_b64 s[4:5], -1, 0
	s_and_b64 s[12:13], s[20:21], s[4:5]
	s_and_saveexec_b64 s[4:5], s[12:13]
	s_cbranch_execz .LBB2047_393
; %bb.384:
	buffer_load_ubyte v1, off, s[0:3], 0 offset:224
                                        ; implicit-def: $vgpr2_vgpr3
                                        ; implicit-def: $vgpr4_vgpr5
	s_waitcnt vmcnt(0)
	v_cmp_ne_u16_e32 vcc, 0, v1
	s_and_saveexec_b64 s[12:13], vcc
	s_xor_b64 s[12:13], exec, s[12:13]
	s_cbranch_execz .LBB2047_386
; %bb.385:
	buffer_load_dword v4, off, s[0:3], 0 offset:208
	buffer_load_dword v5, off, s[0:3], 0 offset:212
	;; [unrolled: 1-line block ×4, first 2 shown]
.LBB2047_386:
	s_andn2_saveexec_b64 s[12:13], s[12:13]
	s_cbranch_execz .LBB2047_392
; %bb.387:
	s_mov_b32 s14, 0
	s_waitcnt vmcnt(1)
	v_mov_b32_e32 v2, 0x60
	s_waitcnt vmcnt(0)
	v_mov_b32_e32 v3, 0
.LBB2047_388:                           ; =>This Inner Loop Header: Depth=1
	v_add_u32_e32 v4, s14, v2
	s_add_i32 s14, s14, 8
	s_cmp_lg_u32 s14, 16
	buffer_store_dword v3, v4, s[0:3], 0 offen offset:4
	buffer_store_dword v3, v4, s[0:3], 0 offen
	s_cbranch_scc1 .LBB2047_388
; %bb.389:
	s_mov_b32 s16, 0
	v_mov_b32_e32 v2, 0
	v_mov_b32_e32 v3, 0xd0
	;; [unrolled: 1-line block ×3, first 2 shown]
	s_mov_b64 s[14:15], s[10:11]
.LBB2047_390:                           ; =>This Inner Loop Header: Depth=1
	v_add_u32_e32 v5, s16, v3
	global_load_dwordx2 v[8:9], v2, s[14:15]
	buffer_load_dword v6, v5, s[0:3], 0 offen
	buffer_load_dword v14, v5, s[0:3], 0 offen offset:4
	s_add_u32 s14, s14, 8
                                        ; kill: killed $vgpr5
	v_add_u32_e32 v5, s16, v4
	s_addc_u32 s15, s15, 0
	s_add_i32 s16, s16, 8
	s_cmp_lg_u32 s16, 16
	s_waitcnt vmcnt(1)
	v_add_u32_e32 v6, v6, v8
	s_waitcnt vmcnt(0)
	v_add_u32_e32 v8, v14, v9
	buffer_store_dword v8, v5, s[0:3], 0 offen offset:4
	buffer_store_dword v6, v5, s[0:3], 0 offen
	s_cbranch_scc1 .LBB2047_390
; %bb.391:
	buffer_load_dword v4, off, s[0:3], 0 offset:96
	buffer_load_dword v5, off, s[0:3], 0 offset:100
	;; [unrolled: 1-line block ×4, first 2 shown]
.LBB2047_392:
	s_or_b64 exec, exec, s[12:13]
	v_mov_b32_e32 v6, 0
	global_load_ubyte v6, v6, s[10:11] offset:16
	s_waitcnt vmcnt(3)
	buffer_store_dword v5, off, s[0:3], 0 offset:212
	buffer_store_dword v4, off, s[0:3], 0 offset:208
	s_waitcnt vmcnt(3)
	buffer_store_dword v3, off, s[0:3], 0 offset:220
	s_waitcnt vmcnt(3)
	v_or_b32_e32 v1, v1, v6
	v_and_b32_e32 v1, 1, v1
	buffer_store_dword v2, off, s[0:3], 0 offset:216
	buffer_store_byte v1, off, s[0:3], 0 offset:224
.LBB2047_393:
	s_or_b64 exec, exec, s[4:5]
	v_mov_b32_e32 v1, 0
	s_mov_b32 s4, 0
	v_mov_b32_e32 v2, 0x4c
	buffer_store_dword v1, off, s[0:3], 0 offset:88
	buffer_store_dword v1, off, s[0:3], 0 offset:84
	;; [unrolled: 1-line block ×5, first 2 shown]
.LBB2047_394:                           ; =>This Inner Loop Header: Depth=1
	v_add_u32_e32 v3, s4, v2
	s_add_i32 s4, s4, 8
	s_cmp_lg_u32 s4, 16
	buffer_store_dword v1, v3, s[0:3], 0 offen offset:4
	buffer_store_dword v1, v3, s[0:3], 0 offen
	s_cbranch_scc1 .LBB2047_394
; %bb.395:
	s_mov_b32 s4, 0
	v_mov_b32_e32 v1, 0
	v_mov_b32_e32 v2, 0x60
	buffer_store_byte v1, off, s[0:3], 0 offset:92
	buffer_store_dword v1, off, s[0:3], 0 offset:112
.LBB2047_396:                           ; =>This Inner Loop Header: Depth=1
	v_add_u32_e32 v3, s4, v2
	s_add_i32 s4, s4, 8
	s_cmp_lg_u32 s4, 16
	buffer_store_dword v1, v3, s[0:3], 0 offen offset:4
	buffer_store_dword v1, v3, s[0:3], 0 offen
	s_cbranch_scc1 .LBB2047_396
; %bb.397:
	buffer_load_dword v2, off, s[0:3], 0 offset:220
	buffer_load_dword v3, off, s[0:3], 0 offset:216
	;; [unrolled: 1-line block ×4, first 2 shown]
	buffer_load_ubyte v6, off, s[0:3], 0 offset:244
	buffer_load_ubyte v1, off, s[0:3], 0 offset:224
	s_waitcnt vmcnt(5)
	buffer_store_dword v2, off, s[0:3], 0 offset:108
	s_waitcnt vmcnt(5)
	buffer_store_dword v3, off, s[0:3], 0 offset:104
	s_waitcnt vmcnt(5)
	buffer_store_dword v4, off, s[0:3], 0 offset:100
	s_waitcnt vmcnt(5)
	buffer_store_dword v5, off, s[0:3], 0 offset:96
	s_waitcnt vmcnt(5)
	v_cmp_ne_u16_e32 vcc, 0, v6
                                        ; implicit-def: $vgpr4_vgpr5
                                        ; implicit-def: $vgpr2_vgpr3
	s_and_saveexec_b64 s[4:5], vcc
	s_xor_b64 s[4:5], exec, s[4:5]
	s_cbranch_execz .LBB2047_399
; %bb.398:
	buffer_load_dword v2, off, s[0:3], 0 offset:228
	buffer_load_dword v3, off, s[0:3], 0 offset:232
	;; [unrolled: 1-line block ×4, first 2 shown]
.LBB2047_399:
	s_andn2_saveexec_b64 s[4:5], s[4:5]
	s_cbranch_execz .LBB2047_405
; %bb.400:
	s_mov_b32 s10, 0
	s_waitcnt vmcnt(3)
	v_mov_b32_e32 v2, 16
	s_waitcnt vmcnt(2)
	v_mov_b32_e32 v3, 0
	s_waitcnt vmcnt(0)
.LBB2047_401:                           ; =>This Inner Loop Header: Depth=1
	v_add_u32_e32 v4, s10, v2
	s_add_i32 s10, s10, 8
	s_cmp_lg_u32 s10, 16
	buffer_store_dword v3, v4, s[0:3], 0 offen offset:4
	buffer_store_dword v3, v4, s[0:3], 0 offen
	s_cbranch_scc1 .LBB2047_401
; %bb.402:
	s_mov_b32 s10, 0
	v_mov_b32_e32 v2, 0x60
	v_mov_b32_e32 v3, 0xd0
	;; [unrolled: 1-line block ×3, first 2 shown]
.LBB2047_403:                           ; =>This Inner Loop Header: Depth=1
	v_add_u32_e32 v5, s10, v2
	v_add_u32_e32 v8, s10, v3
	buffer_load_dword v9, v5, s[0:3], 0 offen offset:4
	buffer_load_dword v14, v8, s[0:3], 0 offen offset:20
	buffer_load_dword v15, v5, s[0:3], 0 offen
	buffer_load_dword v16, v8, s[0:3], 0 offen offset:24
                                        ; kill: killed $vgpr5
	v_add_u32_e32 v5, s10, v4
	s_add_i32 s10, s10, 8
	s_cmp_lg_u32 s10, 16
                                        ; kill: killed $vgpr8
	s_waitcnt vmcnt(1)
	v_add_u32_e32 v8, v14, v15
	s_waitcnt vmcnt(0)
	v_add_u32_e32 v9, v16, v9
	buffer_store_dword v9, v5, s[0:3], 0 offen offset:4
	buffer_store_dword v8, v5, s[0:3], 0 offen
	s_cbranch_scc1 .LBB2047_403
; %bb.404:
	buffer_load_dword v2, off, s[0:3], 0 offset:16
	buffer_load_dword v3, off, s[0:3], 0 offset:20
	;; [unrolled: 1-line block ×4, first 2 shown]
.LBB2047_405:
	s_or_b64 exec, exec, s[4:5]
	buffer_load_ubyte v8, off, s[0:3], 0 offset:264
	s_waitcnt vmcnt(3)
	buffer_store_dword v3, off, s[0:3], 0 offset:100
	buffer_store_dword v2, off, s[0:3], 0 offset:96
	s_waitcnt vmcnt(3)
	buffer_store_dword v5, off, s[0:3], 0 offset:108
	buffer_store_dword v4, off, s[0:3], 0 offset:104
                                        ; implicit-def: $vgpr4_vgpr5
                                        ; implicit-def: $vgpr2_vgpr3
	s_waitcnt vmcnt(4)
	v_cmp_ne_u16_e32 vcc, 0, v8
	s_and_saveexec_b64 s[4:5], vcc
	s_xor_b64 s[4:5], exec, s[4:5]
	s_cbranch_execz .LBB2047_407
; %bb.406:
	buffer_load_dword v2, off, s[0:3], 0 offset:248
	buffer_load_dword v3, off, s[0:3], 0 offset:252
	;; [unrolled: 1-line block ×4, first 2 shown]
.LBB2047_407:
	s_andn2_saveexec_b64 s[4:5], s[4:5]
	s_cbranch_execz .LBB2047_413
; %bb.408:
	s_mov_b32 s10, 0
	s_waitcnt vmcnt(3)
	v_mov_b32_e32 v2, 16
	s_waitcnt vmcnt(2)
	v_mov_b32_e32 v3, 0
	s_waitcnt vmcnt(0)
.LBB2047_409:                           ; =>This Inner Loop Header: Depth=1
	v_add_u32_e32 v4, s10, v2
	s_add_i32 s10, s10, 8
	s_cmp_lg_u32 s10, 16
	buffer_store_dword v3, v4, s[0:3], 0 offen offset:4
	buffer_store_dword v3, v4, s[0:3], 0 offen
	s_cbranch_scc1 .LBB2047_409
; %bb.410:
	s_mov_b32 s10, 0
	v_mov_b32_e32 v2, 0x60
	v_mov_b32_e32 v3, 0xd0
	;; [unrolled: 1-line block ×3, first 2 shown]
.LBB2047_411:                           ; =>This Inner Loop Header: Depth=1
	v_add_u32_e32 v5, s10, v2
	v_add_u32_e32 v9, s10, v3
	buffer_load_dword v14, v5, s[0:3], 0 offen offset:4
	buffer_load_dword v15, v9, s[0:3], 0 offen offset:40
	buffer_load_dword v16, v5, s[0:3], 0 offen
	buffer_load_dword v17, v9, s[0:3], 0 offen offset:44
                                        ; kill: killed $vgpr5
	v_add_u32_e32 v5, s10, v4
	s_add_i32 s10, s10, 8
	s_cmp_lg_u32 s10, 16
                                        ; kill: killed $vgpr9
	s_waitcnt vmcnt(1)
	v_add_u32_e32 v9, v15, v16
	s_waitcnt vmcnt(0)
	v_add_u32_e32 v14, v17, v14
	buffer_store_dword v14, v5, s[0:3], 0 offen offset:4
	buffer_store_dword v9, v5, s[0:3], 0 offen
	s_cbranch_scc1 .LBB2047_411
; %bb.412:
	buffer_load_dword v2, off, s[0:3], 0 offset:16
	buffer_load_dword v3, off, s[0:3], 0 offset:20
	;; [unrolled: 1-line block ×4, first 2 shown]
.LBB2047_413:
	s_or_b64 exec, exec, s[4:5]
	buffer_load_ubyte v9, off, s[0:3], 0 offset:284
	s_waitcnt vmcnt(3)
	buffer_store_dword v3, off, s[0:3], 0 offset:100
	buffer_store_dword v2, off, s[0:3], 0 offset:96
	s_waitcnt vmcnt(3)
	buffer_store_dword v5, off, s[0:3], 0 offset:108
	buffer_store_dword v4, off, s[0:3], 0 offset:104
                                        ; implicit-def: $vgpr4_vgpr5
                                        ; implicit-def: $vgpr2_vgpr3
	s_waitcnt vmcnt(4)
	v_cmp_ne_u16_e32 vcc, 0, v9
	s_and_saveexec_b64 s[4:5], vcc
	s_xor_b64 s[4:5], exec, s[4:5]
	s_cbranch_execz .LBB2047_415
; %bb.414:
	buffer_load_dword v2, off, s[0:3], 0 offset:268
	buffer_load_dword v3, off, s[0:3], 0 offset:272
	;; [unrolled: 1-line block ×4, first 2 shown]
.LBB2047_415:
	s_andn2_saveexec_b64 s[4:5], s[4:5]
	s_cbranch_execz .LBB2047_421
; %bb.416:
	s_mov_b32 s10, 0
	s_waitcnt vmcnt(3)
	v_mov_b32_e32 v2, 16
	s_waitcnt vmcnt(2)
	v_mov_b32_e32 v3, 0
	s_waitcnt vmcnt(0)
.LBB2047_417:                           ; =>This Inner Loop Header: Depth=1
	v_add_u32_e32 v4, s10, v2
	s_add_i32 s10, s10, 8
	s_cmp_lg_u32 s10, 16
	buffer_store_dword v3, v4, s[0:3], 0 offen offset:4
	buffer_store_dword v3, v4, s[0:3], 0 offen
	s_cbranch_scc1 .LBB2047_417
; %bb.418:
	s_mov_b32 s10, 0
	v_mov_b32_e32 v2, 0x60
	v_mov_b32_e32 v3, 0xd0
	;; [unrolled: 1-line block ×3, first 2 shown]
.LBB2047_419:                           ; =>This Inner Loop Header: Depth=1
	v_add_u32_e32 v5, s10, v2
	v_add_u32_e32 v14, s10, v3
	buffer_load_dword v15, v5, s[0:3], 0 offen offset:4
	buffer_load_dword v16, v14, s[0:3], 0 offen offset:60
	buffer_load_dword v17, v5, s[0:3], 0 offen
	buffer_load_dword v18, v14, s[0:3], 0 offen offset:64
                                        ; kill: killed $vgpr5
	v_add_u32_e32 v5, s10, v4
	s_add_i32 s10, s10, 8
	s_cmp_lg_u32 s10, 16
                                        ; kill: killed $vgpr14
	s_waitcnt vmcnt(1)
	v_add_u32_e32 v14, v16, v17
	s_waitcnt vmcnt(0)
	v_add_u32_e32 v15, v18, v15
	buffer_store_dword v15, v5, s[0:3], 0 offen offset:4
	buffer_store_dword v14, v5, s[0:3], 0 offen
	s_cbranch_scc1 .LBB2047_419
; %bb.420:
	buffer_load_dword v2, off, s[0:3], 0 offset:16
	buffer_load_dword v3, off, s[0:3], 0 offset:20
	;; [unrolled: 1-line block ×4, first 2 shown]
.LBB2047_421:
	s_or_b64 exec, exec, s[4:5]
	buffer_load_ubyte v14, off, s[0:3], 0 offset:304
	s_waitcnt vmcnt(3)
	buffer_store_dword v3, off, s[0:3], 0 offset:100
	buffer_store_dword v2, off, s[0:3], 0 offset:96
	s_waitcnt vmcnt(3)
	buffer_store_dword v5, off, s[0:3], 0 offset:108
	buffer_store_dword v4, off, s[0:3], 0 offset:104
                                        ; implicit-def: $vgpr4_vgpr5
                                        ; implicit-def: $vgpr2_vgpr3
	s_waitcnt vmcnt(4)
	v_cmp_ne_u16_e32 vcc, 0, v14
	s_and_saveexec_b64 s[4:5], vcc
	s_xor_b64 s[4:5], exec, s[4:5]
	s_cbranch_execz .LBB2047_423
; %bb.422:
	buffer_load_dword v2, off, s[0:3], 0 offset:288
	buffer_load_dword v3, off, s[0:3], 0 offset:292
	;; [unrolled: 1-line block ×4, first 2 shown]
.LBB2047_423:
	s_andn2_saveexec_b64 s[4:5], s[4:5]
	s_cbranch_execz .LBB2047_429
; %bb.424:
	s_mov_b32 s10, 0
	s_waitcnt vmcnt(3)
	v_mov_b32_e32 v2, 16
	s_waitcnt vmcnt(2)
	v_mov_b32_e32 v3, 0
	s_waitcnt vmcnt(0)
.LBB2047_425:                           ; =>This Inner Loop Header: Depth=1
	v_add_u32_e32 v4, s10, v2
	s_add_i32 s10, s10, 8
	s_cmp_lg_u32 s10, 16
	buffer_store_dword v3, v4, s[0:3], 0 offen offset:4
	buffer_store_dword v3, v4, s[0:3], 0 offen
	s_cbranch_scc1 .LBB2047_425
; %bb.426:
	s_mov_b32 s10, 0
	v_mov_b32_e32 v2, 0x60
	v_mov_b32_e32 v3, 0xd0
	;; [unrolled: 1-line block ×3, first 2 shown]
.LBB2047_427:                           ; =>This Inner Loop Header: Depth=1
	v_add_u32_e32 v5, s10, v2
	v_add_u32_e32 v15, s10, v3
	buffer_load_dword v16, v5, s[0:3], 0 offen offset:4
	buffer_load_dword v17, v15, s[0:3], 0 offen offset:80
	buffer_load_dword v18, v5, s[0:3], 0 offen
	buffer_load_dword v19, v15, s[0:3], 0 offen offset:84
                                        ; kill: killed $vgpr5
	v_add_u32_e32 v5, s10, v4
	s_add_i32 s10, s10, 8
	s_cmp_lg_u32 s10, 16
                                        ; kill: killed $vgpr15
	s_waitcnt vmcnt(1)
	v_add_u32_e32 v15, v17, v18
	s_waitcnt vmcnt(0)
	v_add_u32_e32 v16, v19, v16
	buffer_store_dword v16, v5, s[0:3], 0 offen offset:4
	buffer_store_dword v15, v5, s[0:3], 0 offen
	s_cbranch_scc1 .LBB2047_427
; %bb.428:
	buffer_load_dword v2, off, s[0:3], 0 offset:16
	buffer_load_dword v3, off, s[0:3], 0 offset:20
	;; [unrolled: 1-line block ×4, first 2 shown]
.LBB2047_429:
	s_or_b64 exec, exec, s[4:5]
	buffer_load_ushort v15, off, s[0:3], 0 offset:113
	buffer_load_sbyte v16, off, s[0:3], 0 offset:115
	v_or_b32_e32 v9, v14, v9
	v_or_b32_e32 v9, v9, v8
	;; [unrolled: 1-line block ×3, first 2 shown]
	v_mbcnt_lo_u32_b32 v14, -1, 0
	v_or_b32_e32 v1, v9, v1
	v_mbcnt_hi_u32_b32 v8, -1, v14
	v_and_b32_e32 v1, 1, v1
	v_and_b32_e32 v6, 15, v8
	s_waitcnt vmcnt(5)
	v_mov_b32_dpp v17, v2 row_shr:1 row_mask:0xf bank_mask:0xf
	v_cmp_ne_u32_e32 vcc, 0, v6
	s_waitcnt vmcnt(4)
	buffer_store_dword v3, off, s[0:3], 0 offset:60
	buffer_store_dword v2, off, s[0:3], 0 offset:56
	s_waitcnt vmcnt(4)
	buffer_store_dword v5, off, s[0:3], 0 offset:68
	buffer_store_dword v4, off, s[0:3], 0 offset:64
	v_mov_b32_dpp v18, v3 row_shr:1 row_mask:0xf bank_mask:0xf
	v_mov_b32_dpp v19, v4 row_shr:1 row_mask:0xf bank_mask:0xf
	;; [unrolled: 1-line block ×3, first 2 shown]
	buffer_store_dword v17, off, s[0:3], 0 offset:96
	buffer_store_dword v18, off, s[0:3], 0 offset:100
	;; [unrolled: 1-line block ×4, first 2 shown]
	s_waitcnt vmcnt(9)
	v_lshrrev_b32_e32 v9, 8, v15
	v_lshlrev_b16_e32 v14, 8, v15
	s_waitcnt vmcnt(8)
	v_lshlrev_b16_e32 v15, 8, v16
	v_or_b32_e32 v1, v1, v14
	v_or_b32_sdwa v9, v9, v15 dst_sel:WORD_1 dst_unused:UNUSED_PAD src0_sel:BYTE_0 src1_sel:DWORD
	v_or_b32_sdwa v9, v1, v9 dst_sel:DWORD dst_unused:UNUSED_PAD src0_sel:WORD_0 src1_sel:DWORD
	buffer_store_dword v9, off, s[0:3], 0 offset:72
	s_nop 0
	v_mov_b32_dpp v14, v9 row_shr:1 row_mask:0xf bank_mask:0xf
	buffer_store_dword v14, off, s[0:3], 0 offset:112
	s_and_saveexec_b64 s[4:5], vcc
	s_cbranch_execz .LBB2047_437
; %bb.430:
	v_mov_b32_e32 v15, 0
	v_cmp_eq_u16_sdwa s[12:13], v1, v15 src0_sel:BYTE_0 src1_sel:DWORD
	s_and_saveexec_b64 s[10:11], s[12:13]
	s_cbranch_execz .LBB2047_436
; %bb.431:
	s_mov_b32 s12, 0
	v_mov_b32_e32 v1, 16
.LBB2047_432:                           ; =>This Inner Loop Header: Depth=1
	v_add_u32_e32 v2, s12, v1
	s_add_i32 s12, s12, 8
	s_cmp_lg_u32 s12, 16
	buffer_store_dword v15, v2, s[0:3], 0 offen offset:4
	buffer_store_dword v15, v2, s[0:3], 0 offen
	s_cbranch_scc1 .LBB2047_432
; %bb.433:
	s_mov_b32 s12, 0
	v_mov_b32_e32 v1, 0x60
	v_mov_b32_e32 v2, 56
	;; [unrolled: 1-line block ×3, first 2 shown]
.LBB2047_434:                           ; =>This Inner Loop Header: Depth=1
	v_add_u32_e32 v4, s12, v1
	v_add_u32_e32 v5, s12, v2
	buffer_load_dword v15, v4, s[0:3], 0 offen offset:4
	buffer_load_dword v16, v5, s[0:3], 0 offen
	buffer_load_dword v17, v4, s[0:3], 0 offen
	buffer_load_dword v18, v5, s[0:3], 0 offen offset:4
                                        ; kill: killed $vgpr4
	v_add_u32_e32 v4, s12, v3
	s_add_i32 s12, s12, 8
	s_cmp_lg_u32 s12, 16
                                        ; kill: killed $vgpr5
	s_waitcnt vmcnt(1)
	v_add_u32_e32 v5, v16, v17
	s_waitcnt vmcnt(0)
	v_add_u32_e32 v15, v18, v15
	buffer_store_dword v15, v4, s[0:3], 0 offen offset:4
	buffer_store_dword v5, v4, s[0:3], 0 offen
	s_cbranch_scc1 .LBB2047_434
; %bb.435:
	buffer_load_dword v2, off, s[0:3], 0 offset:16
	buffer_load_dword v3, off, s[0:3], 0 offset:20
	;; [unrolled: 1-line block ×4, first 2 shown]
.LBB2047_436:
	s_or_b64 exec, exec, s[10:11]
	v_or_b32_e32 v1, v14, v9
	v_and_b32_e32 v1, 1, v1
	buffer_store_byte v1, off, s[0:3], 0 offset:72
	buffer_load_dword v9, off, s[0:3], 0 offset:72
	s_waitcnt vmcnt(4)
	buffer_store_dword v3, off, s[0:3], 0 offset:60
	buffer_store_dword v2, off, s[0:3], 0 offset:56
	s_waitcnt vmcnt(4)
	buffer_store_dword v5, off, s[0:3], 0 offset:68
	buffer_store_dword v4, off, s[0:3], 0 offset:64
	s_waitcnt vmcnt(4)
	v_mov_b32_e32 v1, v9
.LBB2047_437:
	s_or_b64 exec, exec, s[4:5]
	v_mov_b32_dpp v15, v2 row_shr:2 row_mask:0xf bank_mask:0xf
	v_mov_b32_dpp v14, v9 row_shr:2 row_mask:0xf bank_mask:0xf
	v_cmp_lt_u32_e32 vcc, 1, v6
	v_mov_b32_dpp v16, v3 row_shr:2 row_mask:0xf bank_mask:0xf
	v_mov_b32_dpp v17, v4 row_shr:2 row_mask:0xf bank_mask:0xf
	;; [unrolled: 1-line block ×3, first 2 shown]
	buffer_store_dword v15, off, s[0:3], 0 offset:96
	buffer_store_dword v16, off, s[0:3], 0 offset:100
	buffer_store_dword v17, off, s[0:3], 0 offset:104
	buffer_store_dword v18, off, s[0:3], 0 offset:108
	buffer_store_dword v14, off, s[0:3], 0 offset:112
	s_and_saveexec_b64 s[10:11], vcc
	s_cbranch_execz .LBB2047_445
; %bb.438:
	v_mov_b32_e32 v9, 0
	s_mov_b32 s12, 0
	v_cmp_eq_u16_sdwa s[14:15], v1, v9 src0_sel:BYTE_0 src1_sel:DWORD
	s_and_saveexec_b64 s[4:5], s[14:15]
	s_cbranch_execz .LBB2047_444
; %bb.439:
	v_mov_b32_e32 v2, 16
.LBB2047_440:                           ; =>This Inner Loop Header: Depth=1
	v_add_u32_e32 v3, s12, v2
	s_add_i32 s12, s12, 8
	s_cmp_lg_u32 s12, 16
	buffer_store_dword v9, v3, s[0:3], 0 offen offset:4
	buffer_store_dword v9, v3, s[0:3], 0 offen
	s_cbranch_scc1 .LBB2047_440
; %bb.441:
	s_mov_b32 s12, 0
	v_mov_b32_e32 v2, 0x60
	v_mov_b32_e32 v3, 56
	;; [unrolled: 1-line block ×3, first 2 shown]
.LBB2047_442:                           ; =>This Inner Loop Header: Depth=1
	v_add_u32_e32 v5, s12, v2
	v_add_u32_e32 v9, s12, v3
	buffer_load_dword v15, v5, s[0:3], 0 offen offset:4
	buffer_load_dword v16, v9, s[0:3], 0 offen
	buffer_load_dword v17, v5, s[0:3], 0 offen
	buffer_load_dword v18, v9, s[0:3], 0 offen offset:4
                                        ; kill: killed $vgpr5
	v_add_u32_e32 v5, s12, v4
	s_add_i32 s12, s12, 8
	s_cmp_lg_u32 s12, 16
                                        ; kill: killed $vgpr9
	s_waitcnt vmcnt(1)
	v_add_u32_e32 v9, v16, v17
	s_waitcnt vmcnt(0)
	v_add_u32_e32 v15, v18, v15
	buffer_store_dword v15, v5, s[0:3], 0 offen offset:4
	buffer_store_dword v9, v5, s[0:3], 0 offen
	s_cbranch_scc1 .LBB2047_442
; %bb.443:
	buffer_load_dword v2, off, s[0:3], 0 offset:16
	buffer_load_dword v3, off, s[0:3], 0 offset:20
	;; [unrolled: 1-line block ×4, first 2 shown]
.LBB2047_444:
	s_or_b64 exec, exec, s[4:5]
	v_and_b32_e32 v1, 1, v1
	v_cmp_eq_u32_e32 vcc, 1, v1
	v_and_b32_e32 v1, 1, v14
	v_cmp_eq_u32_e64 s[4:5], 1, v1
	s_or_b64 s[4:5], vcc, s[4:5]
	v_cndmask_b32_e64 v1, 0, 1, s[4:5]
	buffer_store_byte v1, off, s[0:3], 0 offset:72
	buffer_load_dword v9, off, s[0:3], 0 offset:72
	s_waitcnt vmcnt(4)
	buffer_store_dword v3, off, s[0:3], 0 offset:60
	buffer_store_dword v2, off, s[0:3], 0 offset:56
	s_waitcnt vmcnt(4)
	buffer_store_dword v5, off, s[0:3], 0 offset:68
	buffer_store_dword v4, off, s[0:3], 0 offset:64
	s_waitcnt vmcnt(4)
	v_mov_b32_e32 v1, v9
.LBB2047_445:
	s_or_b64 exec, exec, s[10:11]
	v_mov_b32_dpp v15, v2 row_shr:4 row_mask:0xf bank_mask:0xf
	v_mov_b32_dpp v14, v9 row_shr:4 row_mask:0xf bank_mask:0xf
	v_cmp_lt_u32_e32 vcc, 3, v6
	v_mov_b32_dpp v16, v3 row_shr:4 row_mask:0xf bank_mask:0xf
	v_mov_b32_dpp v17, v4 row_shr:4 row_mask:0xf bank_mask:0xf
	v_mov_b32_dpp v18, v5 row_shr:4 row_mask:0xf bank_mask:0xf
	buffer_store_dword v15, off, s[0:3], 0 offset:96
	buffer_store_dword v16, off, s[0:3], 0 offset:100
	;; [unrolled: 1-line block ×5, first 2 shown]
	s_and_saveexec_b64 s[10:11], vcc
	s_cbranch_execz .LBB2047_453
; %bb.446:
	v_mov_b32_e32 v9, 0
	s_mov_b32 s12, 0
	v_cmp_eq_u16_sdwa s[14:15], v1, v9 src0_sel:BYTE_0 src1_sel:DWORD
	s_and_saveexec_b64 s[4:5], s[14:15]
	s_cbranch_execz .LBB2047_452
; %bb.447:
	v_mov_b32_e32 v2, 16
.LBB2047_448:                           ; =>This Inner Loop Header: Depth=1
	v_add_u32_e32 v3, s12, v2
	s_add_i32 s12, s12, 8
	s_cmp_lg_u32 s12, 16
	buffer_store_dword v9, v3, s[0:3], 0 offen offset:4
	buffer_store_dword v9, v3, s[0:3], 0 offen
	s_cbranch_scc1 .LBB2047_448
; %bb.449:
	s_mov_b32 s12, 0
	v_mov_b32_e32 v2, 0x60
	v_mov_b32_e32 v3, 56
	;; [unrolled: 1-line block ×3, first 2 shown]
.LBB2047_450:                           ; =>This Inner Loop Header: Depth=1
	v_add_u32_e32 v5, s12, v2
	v_add_u32_e32 v9, s12, v3
	buffer_load_dword v15, v5, s[0:3], 0 offen offset:4
	buffer_load_dword v16, v9, s[0:3], 0 offen
	buffer_load_dword v17, v5, s[0:3], 0 offen
	buffer_load_dword v18, v9, s[0:3], 0 offen offset:4
                                        ; kill: killed $vgpr5
	v_add_u32_e32 v5, s12, v4
	s_add_i32 s12, s12, 8
	s_cmp_lg_u32 s12, 16
                                        ; kill: killed $vgpr9
	s_waitcnt vmcnt(1)
	v_add_u32_e32 v9, v16, v17
	s_waitcnt vmcnt(0)
	v_add_u32_e32 v15, v18, v15
	buffer_store_dword v15, v5, s[0:3], 0 offen offset:4
	buffer_store_dword v9, v5, s[0:3], 0 offen
	s_cbranch_scc1 .LBB2047_450
; %bb.451:
	buffer_load_dword v2, off, s[0:3], 0 offset:16
	buffer_load_dword v3, off, s[0:3], 0 offset:20
	;; [unrolled: 1-line block ×4, first 2 shown]
.LBB2047_452:
	s_or_b64 exec, exec, s[4:5]
	v_and_b32_e32 v1, 1, v1
	v_cmp_eq_u32_e32 vcc, 1, v1
	v_and_b32_e32 v1, 1, v14
	v_cmp_eq_u32_e64 s[4:5], 1, v1
	s_or_b64 s[4:5], vcc, s[4:5]
	v_cndmask_b32_e64 v1, 0, 1, s[4:5]
	buffer_store_byte v1, off, s[0:3], 0 offset:72
	buffer_load_dword v9, off, s[0:3], 0 offset:72
	s_waitcnt vmcnt(4)
	buffer_store_dword v3, off, s[0:3], 0 offset:60
	buffer_store_dword v2, off, s[0:3], 0 offset:56
	s_waitcnt vmcnt(4)
	buffer_store_dword v5, off, s[0:3], 0 offset:68
	buffer_store_dword v4, off, s[0:3], 0 offset:64
	s_waitcnt vmcnt(4)
	v_mov_b32_e32 v1, v9
.LBB2047_453:
	s_or_b64 exec, exec, s[10:11]
	v_mov_b32_dpp v15, v2 row_shr:8 row_mask:0xf bank_mask:0xf
	v_mov_b32_dpp v14, v9 row_shr:8 row_mask:0xf bank_mask:0xf
	v_cmp_lt_u32_e32 vcc, 7, v6
	v_mov_b32_dpp v16, v3 row_shr:8 row_mask:0xf bank_mask:0xf
	v_mov_b32_dpp v17, v4 row_shr:8 row_mask:0xf bank_mask:0xf
	;; [unrolled: 1-line block ×3, first 2 shown]
	buffer_store_dword v15, off, s[0:3], 0 offset:96
	buffer_store_dword v16, off, s[0:3], 0 offset:100
	;; [unrolled: 1-line block ×5, first 2 shown]
	s_and_saveexec_b64 s[10:11], vcc
	s_cbranch_execz .LBB2047_461
; %bb.454:
	v_mov_b32_e32 v6, 0
	s_mov_b32 s12, 0
	v_cmp_eq_u16_sdwa s[14:15], v1, v6 src0_sel:BYTE_0 src1_sel:DWORD
	s_and_saveexec_b64 s[4:5], s[14:15]
	s_cbranch_execz .LBB2047_460
; %bb.455:
	v_mov_b32_e32 v2, 16
.LBB2047_456:                           ; =>This Inner Loop Header: Depth=1
	v_add_u32_e32 v3, s12, v2
	s_add_i32 s12, s12, 8
	s_cmp_lg_u32 s12, 16
	buffer_store_dword v6, v3, s[0:3], 0 offen offset:4
	buffer_store_dword v6, v3, s[0:3], 0 offen
	s_cbranch_scc1 .LBB2047_456
; %bb.457:
	s_mov_b32 s12, 0
	v_mov_b32_e32 v2, 0x60
	v_mov_b32_e32 v3, 56
	;; [unrolled: 1-line block ×3, first 2 shown]
.LBB2047_458:                           ; =>This Inner Loop Header: Depth=1
	v_add_u32_e32 v5, s12, v2
	v_add_u32_e32 v6, s12, v3
	buffer_load_dword v9, v5, s[0:3], 0 offen offset:4
	buffer_load_dword v15, v6, s[0:3], 0 offen
	buffer_load_dword v16, v5, s[0:3], 0 offen
	buffer_load_dword v17, v6, s[0:3], 0 offen offset:4
                                        ; kill: killed $vgpr5
	v_add_u32_e32 v5, s12, v4
	s_add_i32 s12, s12, 8
	s_cmp_lg_u32 s12, 16
                                        ; kill: killed $vgpr6
	s_waitcnt vmcnt(1)
	v_add_u32_e32 v6, v15, v16
	s_waitcnt vmcnt(0)
	v_add_u32_e32 v9, v17, v9
	buffer_store_dword v9, v5, s[0:3], 0 offen offset:4
	buffer_store_dword v6, v5, s[0:3], 0 offen
	s_cbranch_scc1 .LBB2047_458
; %bb.459:
	buffer_load_dword v2, off, s[0:3], 0 offset:16
	buffer_load_dword v3, off, s[0:3], 0 offset:20
	;; [unrolled: 1-line block ×4, first 2 shown]
.LBB2047_460:
	s_or_b64 exec, exec, s[4:5]
	v_and_b32_e32 v1, 1, v1
	v_cmp_eq_u32_e32 vcc, 1, v1
	v_and_b32_e32 v1, 1, v14
	v_cmp_eq_u32_e64 s[4:5], 1, v1
	s_or_b64 s[4:5], vcc, s[4:5]
	v_cndmask_b32_e64 v1, 0, 1, s[4:5]
	buffer_store_byte v1, off, s[0:3], 0 offset:72
	buffer_load_dword v9, off, s[0:3], 0 offset:72
	s_waitcnt vmcnt(4)
	buffer_store_dword v3, off, s[0:3], 0 offset:60
	buffer_store_dword v2, off, s[0:3], 0 offset:56
	s_waitcnt vmcnt(4)
	buffer_store_dword v5, off, s[0:3], 0 offset:68
	buffer_store_dword v4, off, s[0:3], 0 offset:64
	s_waitcnt vmcnt(4)
	v_mov_b32_e32 v1, v9
.LBB2047_461:
	s_or_b64 exec, exec, s[10:11]
	v_mov_b32_dpp v14, v2 row_bcast:15 row_mask:0xf bank_mask:0xf
	v_mov_b32_dpp v15, v3 row_bcast:15 row_mask:0xf bank_mask:0xf
	;; [unrolled: 1-line block ×5, first 2 shown]
	buffer_store_dword v14, off, s[0:3], 0 offset:96
	buffer_store_dword v15, off, s[0:3], 0 offset:100
	;; [unrolled: 1-line block ×5, first 2 shown]
	v_and_b32_e32 v14, 16, v8
	v_cmp_ne_u32_e32 vcc, 0, v14
	s_and_saveexec_b64 s[10:11], vcc
	s_cbranch_execz .LBB2047_469
; %bb.462:
	v_mov_b32_e32 v9, 0
	s_mov_b32 s12, 0
	v_cmp_eq_u16_sdwa s[14:15], v1, v9 src0_sel:BYTE_0 src1_sel:DWORD
	s_and_saveexec_b64 s[4:5], s[14:15]
	s_cbranch_execz .LBB2047_468
; %bb.463:
	v_mov_b32_e32 v2, 16
.LBB2047_464:                           ; =>This Inner Loop Header: Depth=1
	v_add_u32_e32 v3, s12, v2
	s_add_i32 s12, s12, 8
	s_cmp_lg_u32 s12, 16
	buffer_store_dword v9, v3, s[0:3], 0 offen offset:4
	buffer_store_dword v9, v3, s[0:3], 0 offen
	s_cbranch_scc1 .LBB2047_464
; %bb.465:
	s_mov_b32 s12, 0
	v_mov_b32_e32 v2, 0x60
	v_mov_b32_e32 v3, 56
	;; [unrolled: 1-line block ×3, first 2 shown]
.LBB2047_466:                           ; =>This Inner Loop Header: Depth=1
	v_add_u32_e32 v5, s12, v2
	v_add_u32_e32 v9, s12, v3
	buffer_load_dword v14, v5, s[0:3], 0 offen offset:4
	buffer_load_dword v15, v9, s[0:3], 0 offen
	buffer_load_dword v16, v5, s[0:3], 0 offen
	buffer_load_dword v17, v9, s[0:3], 0 offen offset:4
                                        ; kill: killed $vgpr5
	v_add_u32_e32 v5, s12, v4
	s_add_i32 s12, s12, 8
	s_cmp_lg_u32 s12, 16
                                        ; kill: killed $vgpr9
	s_waitcnt vmcnt(1)
	v_add_u32_e32 v9, v15, v16
	s_waitcnt vmcnt(0)
	v_add_u32_e32 v14, v17, v14
	buffer_store_dword v14, v5, s[0:3], 0 offen offset:4
	buffer_store_dword v9, v5, s[0:3], 0 offen
	s_cbranch_scc1 .LBB2047_466
; %bb.467:
	buffer_load_dword v2, off, s[0:3], 0 offset:16
	buffer_load_dword v3, off, s[0:3], 0 offset:20
	;; [unrolled: 1-line block ×4, first 2 shown]
.LBB2047_468:
	s_or_b64 exec, exec, s[4:5]
	v_and_b32_e32 v1, 1, v1
	v_cmp_eq_u32_e32 vcc, 1, v1
	v_and_b32_e32 v1, 1, v6
	v_cmp_eq_u32_e64 s[4:5], 1, v1
	s_or_b64 s[4:5], vcc, s[4:5]
	v_cndmask_b32_e64 v1, 0, 1, s[4:5]
	buffer_store_byte v1, off, s[0:3], 0 offset:72
	buffer_load_dword v9, off, s[0:3], 0 offset:72
	s_waitcnt vmcnt(4)
	buffer_store_dword v3, off, s[0:3], 0 offset:60
	buffer_store_dword v2, off, s[0:3], 0 offset:56
	s_waitcnt vmcnt(4)
	buffer_store_dword v5, off, s[0:3], 0 offset:68
	buffer_store_dword v4, off, s[0:3], 0 offset:64
	s_waitcnt vmcnt(4)
	v_mov_b32_e32 v1, v9
.LBB2047_469:
	s_or_b64 exec, exec, s[10:11]
	v_mov_b32_dpp v14, v2 row_bcast:31 row_mask:0xf bank_mask:0xf
	v_mov_b32_dpp v6, v9 row_bcast:31 row_mask:0xf bank_mask:0xf
	v_cmp_lt_u32_e32 vcc, 31, v8
	v_mov_b32_dpp v15, v3 row_bcast:31 row_mask:0xf bank_mask:0xf
	v_mov_b32_dpp v16, v4 row_bcast:31 row_mask:0xf bank_mask:0xf
	;; [unrolled: 1-line block ×3, first 2 shown]
	buffer_store_dword v14, off, s[0:3], 0 offset:96
	buffer_store_dword v15, off, s[0:3], 0 offset:100
	;; [unrolled: 1-line block ×5, first 2 shown]
	s_and_saveexec_b64 s[10:11], vcc
	s_cbranch_execz .LBB2047_477
; %bb.470:
	v_mov_b32_e32 v9, 0
	s_mov_b32 s12, 0
	v_cmp_eq_u16_sdwa s[14:15], v1, v9 src0_sel:BYTE_0 src1_sel:DWORD
	s_and_saveexec_b64 s[4:5], s[14:15]
	s_cbranch_execz .LBB2047_476
; %bb.471:
	v_mov_b32_e32 v2, 16
.LBB2047_472:                           ; =>This Inner Loop Header: Depth=1
	v_add_u32_e32 v3, s12, v2
	s_add_i32 s12, s12, 8
	s_cmp_lg_u32 s12, 16
	buffer_store_dword v9, v3, s[0:3], 0 offen offset:4
	buffer_store_dword v9, v3, s[0:3], 0 offen
	s_cbranch_scc1 .LBB2047_472
; %bb.473:
	s_mov_b32 s12, 0
	v_mov_b32_e32 v2, 0x60
	v_mov_b32_e32 v3, 56
	;; [unrolled: 1-line block ×3, first 2 shown]
.LBB2047_474:                           ; =>This Inner Loop Header: Depth=1
	v_add_u32_e32 v5, s12, v2
	v_add_u32_e32 v9, s12, v3
	buffer_load_dword v14, v5, s[0:3], 0 offen offset:4
	buffer_load_dword v15, v9, s[0:3], 0 offen
	buffer_load_dword v16, v5, s[0:3], 0 offen
	buffer_load_dword v17, v9, s[0:3], 0 offen offset:4
                                        ; kill: killed $vgpr5
	v_add_u32_e32 v5, s12, v4
	s_add_i32 s12, s12, 8
	s_cmp_lg_u32 s12, 16
                                        ; kill: killed $vgpr9
	s_waitcnt vmcnt(1)
	v_add_u32_e32 v9, v15, v16
	s_waitcnt vmcnt(0)
	v_add_u32_e32 v14, v17, v14
	buffer_store_dword v14, v5, s[0:3], 0 offen offset:4
	buffer_store_dword v9, v5, s[0:3], 0 offen
	s_cbranch_scc1 .LBB2047_474
; %bb.475:
	buffer_load_dword v2, off, s[0:3], 0 offset:16
	buffer_load_dword v3, off, s[0:3], 0 offset:20
	;; [unrolled: 1-line block ×4, first 2 shown]
.LBB2047_476:
	s_or_b64 exec, exec, s[4:5]
	v_and_b32_e32 v1, 1, v1
	v_cmp_eq_u32_e32 vcc, 1, v1
	v_and_b32_e32 v1, 1, v6
	v_cmp_eq_u32_e64 s[4:5], 1, v1
	s_or_b64 s[4:5], vcc, s[4:5]
	v_cndmask_b32_e64 v1, 0, 1, s[4:5]
	s_waitcnt vmcnt(2)
	buffer_store_dword v3, off, s[0:3], 0 offset:60
	buffer_store_dword v2, off, s[0:3], 0 offset:56
	s_waitcnt vmcnt(2)
	buffer_store_dword v5, off, s[0:3], 0 offset:68
	buffer_store_dword v4, off, s[0:3], 0 offset:64
	buffer_store_byte v1, off, s[0:3], 0 offset:72
.LBB2047_477:
	s_or_b64 exec, exec, s[10:11]
	v_or_b32_e32 v9, 63, v0
	v_lshrrev_b32_e32 v6, 6, v0
	v_cmp_eq_u32_e32 vcc, v9, v0
	s_and_saveexec_b64 s[4:5], vcc
	s_cbranch_execz .LBB2047_479
; %bb.478:
	v_mul_u32_u24_e32 v9, 20, v6
	ds_write2_b32 v9, v2, v3 offset1:1
	ds_write2_b32 v9, v4, v5 offset0:2 offset1:3
	ds_write_b8 v9, v1 offset:16
.LBB2047_479:
	s_or_b64 exec, exec, s[4:5]
	v_cmp_gt_u32_e32 vcc, 4, v0
	s_waitcnt lgkmcnt(0)
	s_barrier
	s_and_saveexec_b64 s[10:11], vcc
	s_cbranch_execz .LBB2047_497
; %bb.480:
	v_mul_u32_u24_e32 v1, 20, v0
	ds_read_b32 v9, v1 offset:16
	ds_read2_b32 v[2:3], v1 offset0:2 offset1:3
	ds_read2_b32 v[4:5], v1 offset1:1
	v_and_b32_e32 v14, 3, v8
	v_cmp_ne_u32_e32 vcc, 0, v14
	s_waitcnt lgkmcnt(2)
	v_mov_b32_dpp v15, v9 row_shr:1 row_mask:0xf bank_mask:0xf
	s_waitcnt lgkmcnt(1)
	v_mov_b32_dpp v18, v2 row_shr:1 row_mask:0xf bank_mask:0xf
	;; [unrolled: 2-line block ×3, first 2 shown]
	buffer_store_dword v9, off, s[0:3], 0 offset:32
	buffer_store_dword v3, off, s[0:3], 0 offset:28
	;; [unrolled: 1-line block ×5, first 2 shown]
	v_mov_b32_dpp v17, v5 row_shr:1 row_mask:0xf bank_mask:0xf
	v_mov_b32_dpp v19, v3 row_shr:1 row_mask:0xf bank_mask:0xf
	buffer_store_dword v16, off, s[0:3], 0 offset:96
	buffer_store_dword v17, off, s[0:3], 0 offset:100
	;; [unrolled: 1-line block ×5, first 2 shown]
	s_and_saveexec_b64 s[4:5], vcc
	s_cbranch_execz .LBB2047_488
; %bb.481:
	v_mov_b32_e32 v16, 0
	v_cmp_eq_u16_sdwa s[14:15], v9, v16 src0_sel:BYTE_0 src1_sel:DWORD
	s_and_saveexec_b64 s[12:13], s[14:15]
	s_cbranch_execz .LBB2047_487
; %bb.482:
	s_mov_b32 s14, 0
	v_mov_b32_e32 v2, 36
.LBB2047_483:                           ; =>This Inner Loop Header: Depth=1
	v_add_u32_e32 v3, s14, v2
	s_add_i32 s14, s14, 8
	s_cmp_lg_u32 s14, 16
	buffer_store_dword v16, v3, s[0:3], 0 offen offset:4
	buffer_store_dword v16, v3, s[0:3], 0 offen
	s_cbranch_scc1 .LBB2047_483
; %bb.484:
	s_mov_b32 s14, 0
	v_mov_b32_e32 v2, 0x60
	v_mov_b32_e32 v3, 16
	;; [unrolled: 1-line block ×3, first 2 shown]
.LBB2047_485:                           ; =>This Inner Loop Header: Depth=1
	v_add_u32_e32 v5, s14, v2
	v_add_u32_e32 v16, s14, v3
	buffer_load_dword v17, v5, s[0:3], 0 offen offset:4
	buffer_load_dword v18, v16, s[0:3], 0 offen
	buffer_load_dword v19, v5, s[0:3], 0 offen
	buffer_load_dword v20, v16, s[0:3], 0 offen offset:4
                                        ; kill: killed $vgpr5
	v_add_u32_e32 v5, s14, v4
	s_add_i32 s14, s14, 8
	s_cmp_lg_u32 s14, 16
                                        ; kill: killed $vgpr16
	s_waitcnt vmcnt(1)
	v_add_u32_e32 v16, v18, v19
	s_waitcnt vmcnt(0)
	v_add_u32_e32 v17, v20, v17
	buffer_store_dword v17, v5, s[0:3], 0 offen offset:4
	buffer_store_dword v16, v5, s[0:3], 0 offen
	s_cbranch_scc1 .LBB2047_485
; %bb.486:
	buffer_load_dword v4, off, s[0:3], 0 offset:36
	buffer_load_dword v5, off, s[0:3], 0 offset:40
	;; [unrolled: 1-line block ×4, first 2 shown]
.LBB2047_487:
	s_or_b64 exec, exec, s[12:13]
	v_or_b32_e32 v9, v15, v9
	v_and_b32_e32 v9, 1, v9
	buffer_store_byte v9, off, s[0:3], 0 offset:32
	buffer_load_dword v9, off, s[0:3], 0 offset:32
	s_waitcnt vmcnt(4)
	buffer_store_dword v5, off, s[0:3], 0 offset:20
	buffer_store_dword v4, off, s[0:3], 0 offset:16
	s_waitcnt vmcnt(4)
	buffer_store_dword v3, off, s[0:3], 0 offset:28
	buffer_store_dword v2, off, s[0:3], 0 offset:24
.LBB2047_488:
	s_or_b64 exec, exec, s[4:5]
	v_mov_b32_dpp v16, v4 row_shr:2 row_mask:0xf bank_mask:0xf
	s_waitcnt vmcnt(4)
	v_mov_b32_dpp v15, v9 row_shr:2 row_mask:0xf bank_mask:0xf
	v_cmp_lt_u32_e32 vcc, 1, v14
	v_mov_b32_dpp v17, v5 row_shr:2 row_mask:0xf bank_mask:0xf
	v_mov_b32_dpp v18, v2 row_shr:2 row_mask:0xf bank_mask:0xf
	v_mov_b32_dpp v19, v3 row_shr:2 row_mask:0xf bank_mask:0xf
	buffer_store_dword v16, off, s[0:3], 0 offset:96
	buffer_store_dword v17, off, s[0:3], 0 offset:100
	;; [unrolled: 1-line block ×5, first 2 shown]
	s_and_saveexec_b64 s[12:13], vcc
	s_cbranch_execz .LBB2047_496
; %bb.489:
	v_mov_b32_e32 v14, 0
	s_mov_b32 s14, 0
	v_cmp_eq_u16_sdwa s[16:17], v9, v14 src0_sel:BYTE_0 src1_sel:DWORD
	s_and_saveexec_b64 s[4:5], s[16:17]
	s_cbranch_execz .LBB2047_495
; %bb.490:
	v_mov_b32_e32 v2, 36
.LBB2047_491:                           ; =>This Inner Loop Header: Depth=1
	v_add_u32_e32 v3, s14, v2
	s_add_i32 s14, s14, 8
	s_cmp_lg_u32 s14, 16
	buffer_store_dword v14, v3, s[0:3], 0 offen offset:4
	buffer_store_dword v14, v3, s[0:3], 0 offen
	s_cbranch_scc1 .LBB2047_491
; %bb.492:
	s_mov_b32 s14, 0
	v_mov_b32_e32 v2, 0x60
	v_mov_b32_e32 v3, 16
	;; [unrolled: 1-line block ×3, first 2 shown]
.LBB2047_493:                           ; =>This Inner Loop Header: Depth=1
	v_add_u32_e32 v5, s14, v2
	v_add_u32_e32 v14, s14, v3
	buffer_load_dword v16, v5, s[0:3], 0 offen offset:4
	buffer_load_dword v17, v14, s[0:3], 0 offen
	buffer_load_dword v18, v5, s[0:3], 0 offen
	buffer_load_dword v19, v14, s[0:3], 0 offen offset:4
                                        ; kill: killed $vgpr5
	v_add_u32_e32 v5, s14, v4
	s_add_i32 s14, s14, 8
	s_cmp_lg_u32 s14, 16
                                        ; kill: killed $vgpr14
	s_waitcnt vmcnt(1)
	v_add_u32_e32 v14, v17, v18
	s_waitcnt vmcnt(0)
	v_add_u32_e32 v16, v19, v16
	buffer_store_dword v16, v5, s[0:3], 0 offen offset:4
	buffer_store_dword v14, v5, s[0:3], 0 offen
	s_cbranch_scc1 .LBB2047_493
; %bb.494:
	buffer_load_dword v4, off, s[0:3], 0 offset:36
	buffer_load_dword v5, off, s[0:3], 0 offset:40
	buffer_load_dword v2, off, s[0:3], 0 offset:44
	buffer_load_dword v3, off, s[0:3], 0 offset:48
.LBB2047_495:
	s_or_b64 exec, exec, s[4:5]
	v_and_b32_e32 v9, 1, v9
	v_cmp_eq_u32_e32 vcc, 1, v9
	v_and_b32_e32 v9, 1, v15
	v_cmp_eq_u32_e64 s[4:5], 1, v9
	s_or_b64 s[4:5], vcc, s[4:5]
	v_cndmask_b32_e64 v9, 0, 1, s[4:5]
	s_waitcnt vmcnt(2)
	buffer_store_dword v5, off, s[0:3], 0 offset:20
	buffer_store_dword v4, off, s[0:3], 0 offset:16
	s_waitcnt vmcnt(2)
	buffer_store_dword v3, off, s[0:3], 0 offset:28
	buffer_store_dword v2, off, s[0:3], 0 offset:24
.LBB2047_496:
	s_or_b64 exec, exec, s[12:13]
	buffer_load_dword v2, off, s[0:3], 0 offset:24
	buffer_load_dword v3, off, s[0:3], 0 offset:28
	;; [unrolled: 1-line block ×4, first 2 shown]
	s_waitcnt vmcnt(2)
	ds_write2_b32 v1, v2, v3 offset0:2 offset1:3
	s_waitcnt vmcnt(0)
	ds_write2_b32 v1, v4, v5 offset1:1
	ds_write_b8 v1, v9 offset:16
.LBB2047_497:
	s_or_b64 exec, exec, s[10:11]
	v_mov_b32_e32 v1, 0
	s_mov_b32 s4, 0
	v_mov_b32_e32 v2, 0x60
	s_waitcnt lgkmcnt(0)
	s_barrier
	buffer_store_dword v1, off, s[0:3], 0 offset:108
	buffer_store_dword v1, off, s[0:3], 0 offset:104
	;; [unrolled: 1-line block ×5, first 2 shown]
.LBB2047_498:                           ; =>This Inner Loop Header: Depth=1
	v_add_u32_e32 v3, s4, v2
	s_add_i32 s4, s4, 8
	s_cmp_lg_u32 s4, 16
	buffer_store_dword v1, v3, s[0:3], 0 offen offset:4
	buffer_store_dword v1, v3, s[0:3], 0 offen
	s_cbranch_scc1 .LBB2047_498
; %bb.499:
	v_cmp_lt_u32_e32 vcc, 63, v0
                                        ; implicit-def: $vgpr2_vgpr3
                                        ; implicit-def: $vgpr4_vgpr5
                                        ; implicit-def: $vgpr9
	s_and_saveexec_b64 s[4:5], vcc
	s_xor_b64 s[4:5], exec, s[4:5]
	s_cbranch_execz .LBB2047_509
; %bb.500:
	buffer_load_ubyte v1, off, s[0:3], 0 offset:72
	v_not_b32_e32 v2, 19
	v_mad_u32_u24 v4, v6, 20, v2
	ds_read2_b32 v[2:3], v4 offset0:2 offset1:3
	ds_read_u8 v9, v4 offset:16
	ds_read2_b32 v[4:5], v4 offset1:1
	s_waitcnt lgkmcnt(2)
	buffer_store_dword v3, off, s[0:3], 0 offset:108
	buffer_store_dword v2, off, s[0:3], 0 offset:104
	s_waitcnt lgkmcnt(0)
	buffer_store_dword v5, off, s[0:3], 0 offset:100
	buffer_store_dword v4, off, s[0:3], 0 offset:96
                                        ; implicit-def: $vgpr2_vgpr3
                                        ; implicit-def: $vgpr4_vgpr5
	s_waitcnt vmcnt(4)
	v_cmp_ne_u16_e32 vcc, 0, v1
	s_and_saveexec_b64 s[10:11], vcc
	s_xor_b64 s[10:11], exec, s[10:11]
	s_cbranch_execz .LBB2047_502
; %bb.501:
	buffer_load_dword v2, off, s[0:3], 0 offset:56
	buffer_load_dword v3, off, s[0:3], 0 offset:60
	;; [unrolled: 1-line block ×4, first 2 shown]
.LBB2047_502:
	s_andn2_saveexec_b64 s[10:11], s[10:11]
	s_cbranch_execz .LBB2047_508
; %bb.503:
	s_mov_b32 s12, 0
	s_waitcnt vmcnt(3)
	v_mov_b32_e32 v2, 16
	s_waitcnt vmcnt(2)
	v_mov_b32_e32 v3, 0
	s_waitcnt vmcnt(0)
.LBB2047_504:                           ; =>This Inner Loop Header: Depth=1
	v_add_u32_e32 v4, s12, v2
	s_add_i32 s12, s12, 8
	s_cmp_lg_u32 s12, 16
	buffer_store_dword v3, v4, s[0:3], 0 offen offset:4
	buffer_store_dword v3, v4, s[0:3], 0 offen
	s_cbranch_scc1 .LBB2047_504
; %bb.505:
	s_mov_b32 s12, 0
	v_mov_b32_e32 v2, 0x60
	v_mov_b32_e32 v3, 56
	;; [unrolled: 1-line block ×3, first 2 shown]
.LBB2047_506:                           ; =>This Inner Loop Header: Depth=1
	v_add_u32_e32 v5, s12, v2
	v_add_u32_e32 v6, s12, v3
	buffer_load_dword v14, v5, s[0:3], 0 offen offset:4
	buffer_load_dword v15, v6, s[0:3], 0 offen
	buffer_load_dword v16, v5, s[0:3], 0 offen
	buffer_load_dword v17, v6, s[0:3], 0 offen offset:4
                                        ; kill: killed $vgpr5
	v_add_u32_e32 v5, s12, v4
	s_add_i32 s12, s12, 8
	s_cmp_lg_u32 s12, 16
                                        ; kill: killed $vgpr6
	s_waitcnt vmcnt(1)
	v_add_u32_e32 v6, v15, v16
	s_waitcnt vmcnt(0)
	v_add_u32_e32 v14, v17, v14
	buffer_store_dword v14, v5, s[0:3], 0 offen offset:4
	buffer_store_dword v6, v5, s[0:3], 0 offen
	s_cbranch_scc1 .LBB2047_506
; %bb.507:
	buffer_load_dword v2, off, s[0:3], 0 offset:16
	buffer_load_dword v3, off, s[0:3], 0 offset:20
	;; [unrolled: 1-line block ×4, first 2 shown]
.LBB2047_508:
	s_or_b64 exec, exec, s[10:11]
	v_or_b32_e32 v1, v1, v9
	v_and_b32_e32 v1, 1, v1
	buffer_store_byte v1, off, s[0:3], 0 offset:72
.LBB2047_509:
	s_andn2_saveexec_b64 s[4:5], s[4:5]
	s_cbranch_execz .LBB2047_511
; %bb.510:
	buffer_load_dword v2, off, s[0:3], 0 offset:56
	buffer_load_dword v3, off, s[0:3], 0 offset:60
	;; [unrolled: 1-line block ×4, first 2 shown]
	v_mov_b32_e32 v9, 0
.LBB2047_511:
	s_or_b64 exec, exec, s[4:5]
	buffer_load_dword v15, off, s[0:3], 0 offset:72
	v_add_u32_e32 v1, -1, v8
	v_and_b32_e32 v6, 64, v8
	v_cmp_lt_i32_e32 vcc, v1, v6
	v_cndmask_b32_e32 v1, v1, v8, vcc
	v_lshlrev_b32_e32 v14, 2, v1
	s_waitcnt vmcnt(4)
	ds_bpermute_b32 v6, v14, v2
	s_waitcnt vmcnt(3)
	ds_bpermute_b32 v3, v14, v3
	;; [unrolled: 2-line block ×4, first 2 shown]
	v_cmp_eq_u32_e32 vcc, 0, v8
	s_waitcnt vmcnt(0)
	ds_bpermute_b32 v14, v14, v15
	s_waitcnt lgkmcnt(4)
	buffer_store_dword v6, off, s[0:3], 0 offset:56
	s_waitcnt lgkmcnt(3)
	buffer_store_dword v3, off, s[0:3], 0 offset:60
	;; [unrolled: 2-line block ×4, first 2 shown]
	s_waitcnt lgkmcnt(0)
	buffer_store_byte v14, off, s[0:3], 0 offset:72
	s_and_saveexec_b64 s[4:5], vcc
	s_cbranch_execz .LBB2047_513
; %bb.512:
	buffer_load_dword v1, off, s[0:3], 0 offset:108
	buffer_load_dword v2, off, s[0:3], 0 offset:104
	;; [unrolled: 1-line block ×4, first 2 shown]
	v_mov_b32_e32 v14, v9
	buffer_store_byte v9, off, s[0:3], 0 offset:72
	s_waitcnt vmcnt(4)
	buffer_store_dword v1, off, s[0:3], 0 offset:68
	s_waitcnt vmcnt(4)
	buffer_store_dword v2, off, s[0:3], 0 offset:64
	;; [unrolled: 2-line block ×4, first 2 shown]
.LBB2047_513:
	s_or_b64 exec, exec, s[4:5]
	buffer_load_dword v4, off, s[0:3], 0 offset:220
	buffer_load_dword v5, off, s[0:3], 0 offset:216
	;; [unrolled: 1-line block ×5, first 2 shown]
	s_mov_b32 s4, 0x3020104
	buffer_store_dword v3, off, s[0:3], 0 offset:20
	buffer_store_dword v6, off, s[0:3], 0 offset:16
	;; [unrolled: 1-line block ×4, first 2 shown]
	v_perm_b32 v1, v14, v15, s4
                                        ; implicit-def: $vgpr2_vgpr3
	buffer_store_dword v1, off, s[0:3], 0 offset:32
	s_waitcnt vmcnt(9)
	buffer_store_dword v4, off, s[0:3], 0 offset:48
	s_waitcnt vmcnt(9)
	;; [unrolled: 2-line block ×5, first 2 shown]
	buffer_store_dword v8, off, s[0:3], 0 offset:52
                                        ; implicit-def: $vgpr4_vgpr5
	s_and_saveexec_b64 s[4:5], s[8:9]
	s_xor_b64 s[4:5], exec, s[4:5]
	s_cbranch_execz .LBB2047_523
; %bb.514:
	v_mov_b32_e32 v1, 0
	v_cmp_ne_u16_sdwa s[8:9], v8, v1 src0_sel:BYTE_0 src1_sel:DWORD
                                        ; implicit-def: $vgpr4_vgpr5
                                        ; implicit-def: $vgpr2_vgpr3
	s_and_saveexec_b64 s[10:11], s[8:9]
	s_xor_b64 s[8:9], exec, s[10:11]
	s_cbranch_execz .LBB2047_516
; %bb.515:
	buffer_load_dword v2, off, s[0:3], 0 offset:36
	buffer_load_dword v3, off, s[0:3], 0 offset:40
	;; [unrolled: 1-line block ×4, first 2 shown]
.LBB2047_516:
	s_andn2_saveexec_b64 s[8:9], s[8:9]
	s_cbranch_execz .LBB2047_522
; %bb.517:
	s_mov_b32 s10, 0
	v_mov_b32_e32 v1, 0x60
	s_waitcnt vmcnt(3)
	v_mov_b32_e32 v2, 0
	s_waitcnt vmcnt(0)
.LBB2047_518:                           ; =>This Inner Loop Header: Depth=1
	v_add_u32_e32 v3, s10, v1
	s_add_i32 s10, s10, 8
	s_cmp_lg_u32 s10, 16
	buffer_store_dword v2, v3, s[0:3], 0 offen offset:4
	buffer_store_dword v2, v3, s[0:3], 0 offen
	s_cbranch_scc1 .LBB2047_518
; %bb.519:
	s_mov_b32 s10, 0
	v_mov_b32_e32 v1, 16
	v_mov_b32_e32 v2, 36
	;; [unrolled: 1-line block ×3, first 2 shown]
.LBB2047_520:                           ; =>This Inner Loop Header: Depth=1
	v_add_u32_e32 v4, s10, v1
	v_add_u32_e32 v5, s10, v2
	buffer_load_dword v6, v4, s[0:3], 0 offen offset:4
	buffer_load_dword v9, v5, s[0:3], 0 offen
	buffer_load_dword v15, v4, s[0:3], 0 offen
	buffer_load_dword v16, v5, s[0:3], 0 offen offset:4
                                        ; kill: killed $vgpr4
	v_add_u32_e32 v4, s10, v3
	s_add_i32 s10, s10, 8
	s_cmp_lg_u32 s10, 16
                                        ; kill: killed $vgpr5
	s_waitcnt vmcnt(1)
	v_add_u32_e32 v5, v9, v15
	s_waitcnt vmcnt(0)
	v_add_u32_e32 v6, v16, v6
	buffer_store_dword v6, v4, s[0:3], 0 offen offset:4
	buffer_store_dword v5, v4, s[0:3], 0 offen
	s_cbranch_scc1 .LBB2047_520
; %bb.521:
	buffer_load_dword v2, off, s[0:3], 0 offset:96
	buffer_load_dword v3, off, s[0:3], 0 offset:100
	;; [unrolled: 1-line block ×4, first 2 shown]
.LBB2047_522:
	s_or_b64 exec, exec, s[8:9]
	v_or_b32_e32 v1, v8, v14
	v_and_b32_e32 v8, 1, v1
	s_waitcnt vmcnt(2)
	buffer_store_dword v3, off, s[0:3], 0 offset:40
	buffer_store_dword v2, off, s[0:3], 0 offset:36
	s_waitcnt vmcnt(2)
	buffer_store_dword v5, off, s[0:3], 0 offset:48
	buffer_store_dword v4, off, s[0:3], 0 offset:44
	;;#ASMSTART
	;;#ASMEND
.LBB2047_523:
	s_andn2_saveexec_b64 s[4:5], s[4:5]
	s_cbranch_execz .LBB2047_525
; %bb.524:
	buffer_load_dword v2, off, s[0:3], 0 offset:36
	buffer_load_dword v3, off, s[0:3], 0 offset:40
	;; [unrolled: 1-line block ×4, first 2 shown]
.LBB2047_525:
	s_or_b64 exec, exec, s[4:5]
	buffer_load_dword v6, off, s[0:3], 0 offset:48
	buffer_load_dword v9, off, s[0:3], 0 offset:44
	;; [unrolled: 1-line block ×4, first 2 shown]
	buffer_load_ushort v16, off, s[0:3], 0 offset:53
	buffer_load_ubyte v17, off, s[0:3], 0 offset:55
	buffer_load_ubyte v1, off, s[0:3], 0 offset:244
	s_nop 0
	buffer_store_byte v8, off, s[0:3], 0 offset:224
	s_waitcnt vmcnt(10)
	buffer_store_dword v3, off, s[0:3], 0 offset:100
	buffer_store_dword v2, off, s[0:3], 0 offset:96
	s_waitcnt vmcnt(10)
	buffer_store_dword v5, off, s[0:3], 0 offset:108
	buffer_store_dword v4, off, s[0:3], 0 offset:104
	s_waitcnt vmcnt(11)
	buffer_store_dword v6, off, s[0:3], 0 offset:220
	s_waitcnt vmcnt(11)
	;; [unrolled: 2-line block ×5, first 2 shown]
	v_lshrrev_b32_e32 v2, 8, v16
	v_lshlrev_b16_e32 v3, 8, v16
	s_waitcnt vmcnt(10)
	v_lshlrev_b16_e32 v4, 8, v17
	v_or_b32_sdwa v3, v8, v3 dst_sel:DWORD dst_unused:UNUSED_PAD src0_sel:BYTE_0 src1_sel:DWORD
	v_or_b32_sdwa v2, v2, v4 dst_sel:WORD_1 dst_unused:UNUSED_PAD src0_sel:BYTE_0 src1_sel:DWORD
	v_or_b32_sdwa v2, v3, v2 dst_sel:DWORD dst_unused:UNUSED_PAD src0_sel:WORD_0 src1_sel:DWORD
	s_waitcnt vmcnt(9)
	v_cmp_ne_u16_e32 vcc, 0, v1
	buffer_store_dword v2, off, s[0:3], 0 offset:112
                                        ; implicit-def: $vgpr4_vgpr5
                                        ; implicit-def: $vgpr2_vgpr3
	s_and_saveexec_b64 s[4:5], vcc
	s_xor_b64 s[4:5], exec, s[4:5]
	s_cbranch_execz .LBB2047_527
; %bb.526:
	buffer_load_dword v2, off, s[0:3], 0 offset:228
	buffer_load_dword v3, off, s[0:3], 0 offset:232
	;; [unrolled: 1-line block ×4, first 2 shown]
.LBB2047_527:
	s_andn2_saveexec_b64 s[4:5], s[4:5]
	s_cbranch_execz .LBB2047_533
; %bb.528:
	s_mov_b32 s8, 0
	s_waitcnt vmcnt(3)
	v_mov_b32_e32 v2, 0xb0
	s_waitcnt vmcnt(2)
	v_mov_b32_e32 v3, 0
	s_waitcnt vmcnt(0)
.LBB2047_529:                           ; =>This Inner Loop Header: Depth=1
	v_add_u32_e32 v4, s8, v2
	s_add_i32 s8, s8, 8
	s_cmp_lg_u32 s8, 16
	buffer_store_dword v3, v4, s[0:3], 0 offen offset:4
	buffer_store_dword v3, v4, s[0:3], 0 offen
	s_cbranch_scc1 .LBB2047_529
; %bb.530:
	s_mov_b32 s8, 0
	v_mov_b32_e32 v2, 0x60
	v_mov_b32_e32 v3, 0xd0
	;; [unrolled: 1-line block ×3, first 2 shown]
.LBB2047_531:                           ; =>This Inner Loop Header: Depth=1
	v_add_u32_e32 v5, s8, v2
	v_add_u32_e32 v6, s8, v3
	buffer_load_dword v9, v5, s[0:3], 0 offen offset:4
	buffer_load_dword v14, v6, s[0:3], 0 offen offset:20
	buffer_load_dword v15, v5, s[0:3], 0 offen
	buffer_load_dword v16, v6, s[0:3], 0 offen offset:24
                                        ; kill: killed $vgpr5
	v_add_u32_e32 v5, s8, v4
	s_add_i32 s8, s8, 8
	s_cmp_lg_u32 s8, 16
                                        ; kill: killed $vgpr6
	s_waitcnt vmcnt(1)
	v_add_u32_e32 v6, v14, v15
	s_waitcnt vmcnt(0)
	v_add_u32_e32 v9, v16, v9
	buffer_store_dword v9, v5, s[0:3], 0 offen offset:4
	buffer_store_dword v6, v5, s[0:3], 0 offen
	s_cbranch_scc1 .LBB2047_531
; %bb.532:
	buffer_load_dword v2, off, s[0:3], 0 offset:176
	buffer_load_dword v3, off, s[0:3], 0 offset:180
	buffer_load_dword v4, off, s[0:3], 0 offset:184
	buffer_load_dword v5, off, s[0:3], 0 offset:188
.LBB2047_533:
	s_or_b64 exec, exec, s[4:5]
	buffer_load_ubyte v6, off, s[0:3], 0 offset:264
	v_or_b32_e32 v1, v1, v8
	v_and_b32_e32 v1, 1, v1
	v_cmp_eq_u32_e32 vcc, 1, v1
	s_waitcnt vmcnt(3)
	buffer_store_dword v3, off, s[0:3], 0 offset:100
	buffer_store_dword v2, off, s[0:3], 0 offset:96
	s_waitcnt vmcnt(3)
	buffer_store_dword v5, off, s[0:3], 0 offset:108
	buffer_store_dword v4, off, s[0:3], 0 offset:104
	buffer_store_dword v5, v7, s[0:3], 0 offen offset:12
	buffer_store_dword v4, v7, s[0:3], 0 offen offset:8
	;; [unrolled: 1-line block ×3, first 2 shown]
	buffer_store_dword v2, v7, s[0:3], 0 offen
	buffer_store_byte v1, off, s[0:3], 0 offset:244
                                        ; implicit-def: $vgpr4_vgpr5
                                        ; implicit-def: $vgpr2_vgpr3
	s_waitcnt vmcnt(9)
	v_cmp_ne_u16_e64 s[4:5], 0, v6
	s_and_saveexec_b64 s[8:9], s[4:5]
	s_xor_b64 s[4:5], exec, s[8:9]
	s_cbranch_execz .LBB2047_535
; %bb.534:
	buffer_load_dword v2, off, s[0:3], 0 offset:248
	buffer_load_dword v3, off, s[0:3], 0 offset:252
	;; [unrolled: 1-line block ×4, first 2 shown]
.LBB2047_535:
	s_andn2_saveexec_b64 s[4:5], s[4:5]
	s_cbranch_execz .LBB2047_541
; %bb.536:
	s_mov_b32 s8, 0
	v_mov_b32_e32 v1, 0xb0
	s_waitcnt vmcnt(3)
	v_mov_b32_e32 v2, 0
	s_waitcnt vmcnt(0)
.LBB2047_537:                           ; =>This Inner Loop Header: Depth=1
	v_add_u32_e32 v3, s8, v1
	s_add_i32 s8, s8, 8
	s_cmp_lg_u32 s8, 16
	buffer_store_dword v2, v3, s[0:3], 0 offen offset:4
	buffer_store_dword v2, v3, s[0:3], 0 offen
	s_cbranch_scc1 .LBB2047_537
; %bb.538:
	s_mov_b32 s8, 0
	v_mov_b32_e32 v1, 0x60
	v_mov_b32_e32 v2, 0xd0
	;; [unrolled: 1-line block ×3, first 2 shown]
.LBB2047_539:                           ; =>This Inner Loop Header: Depth=1
	v_add_u32_e32 v4, s8, v1
	v_add_u32_e32 v5, s8, v2
	buffer_load_dword v8, v4, s[0:3], 0 offen offset:4
	buffer_load_dword v9, v5, s[0:3], 0 offen offset:40
	buffer_load_dword v14, v4, s[0:3], 0 offen
	buffer_load_dword v15, v5, s[0:3], 0 offen offset:44
                                        ; kill: killed $vgpr4
	v_add_u32_e32 v4, s8, v3
	s_add_i32 s8, s8, 8
	s_cmp_lg_u32 s8, 16
                                        ; kill: killed $vgpr5
	s_waitcnt vmcnt(1)
	v_add_u32_e32 v5, v9, v14
	s_waitcnt vmcnt(0)
	v_add_u32_e32 v8, v15, v8
	buffer_store_dword v8, v4, s[0:3], 0 offen offset:4
	buffer_store_dword v5, v4, s[0:3], 0 offen
	s_cbranch_scc1 .LBB2047_539
; %bb.540:
	buffer_load_dword v2, off, s[0:3], 0 offset:176
	buffer_load_dword v3, off, s[0:3], 0 offset:180
	;; [unrolled: 1-line block ×4, first 2 shown]
.LBB2047_541:
	s_or_b64 exec, exec, s[4:5]
	buffer_load_ubyte v1, off, s[0:3], 0 offset:284
	v_and_b32_e32 v6, 1, v6
	v_cmp_eq_u32_e64 s[4:5], 1, v6
	s_or_b64 s[4:5], s[4:5], vcc
	v_cndmask_b32_e64 v6, 0, 1, s[4:5]
	s_waitcnt vmcnt(3)
	buffer_store_dword v3, off, s[0:3], 0 offset:100
	buffer_store_dword v2, off, s[0:3], 0 offset:96
	s_waitcnt vmcnt(3)
	buffer_store_dword v5, off, s[0:3], 0 offset:108
	buffer_store_dword v4, off, s[0:3], 0 offset:104
	buffer_store_dword v5, v10, s[0:3], 0 offen offset:12
	buffer_store_dword v4, v10, s[0:3], 0 offen offset:8
	;; [unrolled: 1-line block ×3, first 2 shown]
	buffer_store_dword v2, v10, s[0:3], 0 offen
	buffer_store_byte v6, off, s[0:3], 0 offset:264
                                        ; implicit-def: $vgpr4_vgpr5
                                        ; implicit-def: $vgpr2_vgpr3
	s_waitcnt vmcnt(9)
	v_cmp_ne_u16_e32 vcc, 0, v1
	s_and_saveexec_b64 s[8:9], vcc
	s_xor_b64 s[8:9], exec, s[8:9]
	s_cbranch_execz .LBB2047_543
; %bb.542:
	buffer_load_dword v2, off, s[0:3], 0 offset:268
	buffer_load_dword v3, off, s[0:3], 0 offset:272
	;; [unrolled: 1-line block ×4, first 2 shown]
.LBB2047_543:
	s_andn2_saveexec_b64 s[8:9], s[8:9]
	s_cbranch_execz .LBB2047_549
; %bb.544:
	s_mov_b32 s10, 0
	s_waitcnt vmcnt(3)
	v_mov_b32_e32 v2, 0xb0
	s_waitcnt vmcnt(2)
	v_mov_b32_e32 v3, 0
	s_waitcnt vmcnt(0)
.LBB2047_545:                           ; =>This Inner Loop Header: Depth=1
	v_add_u32_e32 v4, s10, v2
	s_add_i32 s10, s10, 8
	s_cmp_lg_u32 s10, 16
	buffer_store_dword v3, v4, s[0:3], 0 offen offset:4
	buffer_store_dword v3, v4, s[0:3], 0 offen
	s_cbranch_scc1 .LBB2047_545
; %bb.546:
	s_mov_b32 s10, 0
	v_mov_b32_e32 v2, 0x60
	v_mov_b32_e32 v3, 0xd0
	;; [unrolled: 1-line block ×3, first 2 shown]
.LBB2047_547:                           ; =>This Inner Loop Header: Depth=1
	v_add_u32_e32 v5, s10, v2
	v_add_u32_e32 v6, s10, v3
	buffer_load_dword v8, v5, s[0:3], 0 offen offset:4
	buffer_load_dword v9, v6, s[0:3], 0 offen offset:60
	buffer_load_dword v14, v5, s[0:3], 0 offen
	buffer_load_dword v15, v6, s[0:3], 0 offen offset:64
                                        ; kill: killed $vgpr5
	v_add_u32_e32 v5, s10, v4
	s_add_i32 s10, s10, 8
	s_cmp_lg_u32 s10, 16
                                        ; kill: killed $vgpr6
	s_waitcnt vmcnt(1)
	v_add_u32_e32 v6, v9, v14
	s_waitcnt vmcnt(0)
	v_add_u32_e32 v8, v15, v8
	buffer_store_dword v8, v5, s[0:3], 0 offen offset:4
	buffer_store_dword v6, v5, s[0:3], 0 offen
	s_cbranch_scc1 .LBB2047_547
; %bb.548:
	buffer_load_dword v2, off, s[0:3], 0 offset:176
	buffer_load_dword v3, off, s[0:3], 0 offset:180
	;; [unrolled: 1-line block ×4, first 2 shown]
.LBB2047_549:
	s_or_b64 exec, exec, s[8:9]
	buffer_load_ubyte v6, off, s[0:3], 0 offset:304
	v_and_b32_e32 v1, 1, v1
	v_cmp_eq_u32_e32 vcc, 1, v1
	s_or_b64 s[4:5], vcc, s[4:5]
	v_cndmask_b32_e64 v1, 0, 1, s[4:5]
	s_waitcnt vmcnt(3)
	buffer_store_dword v3, off, s[0:3], 0 offset:100
	buffer_store_dword v2, off, s[0:3], 0 offset:96
	s_waitcnt vmcnt(3)
	buffer_store_dword v5, off, s[0:3], 0 offset:108
	buffer_store_dword v4, off, s[0:3], 0 offset:104
	buffer_store_dword v5, v11, s[0:3], 0 offen offset:12
	buffer_store_dword v4, v11, s[0:3], 0 offen offset:8
	;; [unrolled: 1-line block ×3, first 2 shown]
	buffer_store_dword v2, v11, s[0:3], 0 offen
	buffer_store_byte v1, off, s[0:3], 0 offset:284
                                        ; implicit-def: $vgpr4_vgpr5
                                        ; implicit-def: $vgpr2_vgpr3
	s_waitcnt vmcnt(9)
	v_cmp_ne_u16_e32 vcc, 0, v6
	s_and_saveexec_b64 s[8:9], vcc
	s_xor_b64 s[8:9], exec, s[8:9]
	s_cbranch_execz .LBB2047_551
; %bb.550:
	buffer_load_dword v2, off, s[0:3], 0 offset:288
	buffer_load_dword v3, off, s[0:3], 0 offset:292
	;; [unrolled: 1-line block ×4, first 2 shown]
.LBB2047_551:
	s_andn2_saveexec_b64 s[8:9], s[8:9]
	s_cbranch_execz .LBB2047_557
; %bb.552:
	s_mov_b32 s10, 0
	v_mov_b32_e32 v1, 0xb0
	s_waitcnt vmcnt(3)
	v_mov_b32_e32 v2, 0
	s_waitcnt vmcnt(0)
.LBB2047_553:                           ; =>This Inner Loop Header: Depth=1
	v_add_u32_e32 v3, s10, v1
	s_add_i32 s10, s10, 8
	s_cmp_lg_u32 s10, 16
	buffer_store_dword v2, v3, s[0:3], 0 offen offset:4
	buffer_store_dword v2, v3, s[0:3], 0 offen
	s_cbranch_scc1 .LBB2047_553
; %bb.554:
	s_mov_b32 s10, 0
	v_mov_b32_e32 v1, 0x60
	v_mov_b32_e32 v2, 0xd0
	;; [unrolled: 1-line block ×3, first 2 shown]
.LBB2047_555:                           ; =>This Inner Loop Header: Depth=1
	v_add_u32_e32 v4, s10, v1
	v_add_u32_e32 v5, s10, v2
	buffer_load_dword v8, v4, s[0:3], 0 offen offset:4
	buffer_load_dword v9, v5, s[0:3], 0 offen offset:80
	buffer_load_dword v14, v4, s[0:3], 0 offen
	buffer_load_dword v15, v5, s[0:3], 0 offen offset:84
                                        ; kill: killed $vgpr4
	v_add_u32_e32 v4, s10, v3
	s_add_i32 s10, s10, 8
	s_cmp_lg_u32 s10, 16
                                        ; kill: killed $vgpr5
	s_waitcnt vmcnt(1)
	v_add_u32_e32 v5, v9, v14
	s_waitcnt vmcnt(0)
	v_add_u32_e32 v8, v15, v8
	buffer_store_dword v8, v4, s[0:3], 0 offen offset:4
	buffer_store_dword v5, v4, s[0:3], 0 offen
	s_cbranch_scc1 .LBB2047_555
; %bb.556:
	buffer_load_dword v2, off, s[0:3], 0 offset:176
	buffer_load_dword v3, off, s[0:3], 0 offset:180
	;; [unrolled: 1-line block ×4, first 2 shown]
.LBB2047_557:
	s_or_b64 exec, exec, s[8:9]
	v_and_b32_e32 v1, 1, v6
	v_cmp_eq_u32_e32 vcc, 1, v1
	s_waitcnt vmcnt(0)
	buffer_store_dword v5, v12, s[0:3], 0 offen offset:12
	buffer_store_dword v4, v12, s[0:3], 0 offen offset:8
	;; [unrolled: 1-line block ×3, first 2 shown]
	v_mov_b32_e32 v1, 0
	ds_read2_b32 v[4:5], v1 offset0:17 offset1:18
	ds_read_u8 v3, v1 offset:76
	ds_read2_b32 v[8:9], v1 offset0:15 offset1:16
	s_or_b64 s[4:5], vcc, s[4:5]
	v_cndmask_b32_e64 v6, 0, 1, s[4:5]
	buffer_store_dword v2, v12, s[0:3], 0 offen
	buffer_store_byte v6, off, s[0:3], 0 offset:304
	s_waitcnt lgkmcnt(2)
	buffer_store_dword v5, off, s[0:3], 0 offset:88
	buffer_store_dword v4, off, s[0:3], 0 offset:84
	s_waitcnt lgkmcnt(0)
	buffer_store_dword v9, off, s[0:3], 0 offset:80
	buffer_store_dword v8, off, s[0:3], 0 offset:76
	buffer_store_byte v3, off, s[0:3], 0 offset:92
	s_and_saveexec_b64 s[4:5], s[20:21]
	s_cbranch_execz .LBB2047_559
; %bb.558:
	buffer_load_dword v14, off, s[0:3], 0 offset:76
	buffer_load_dword v15, off, s[0:3], 0 offset:80
	;; [unrolled: 1-line block ×4, first 2 shown]
	v_mov_b32_e32 v2, 2
	global_store_byte v1, v3, s[26:27] offset:1296
	s_waitcnt vmcnt(1)
	global_store_dwordx4 v1, v[14:17], s[26:27] offset:1280
	s_waitcnt vmcnt(0)
	buffer_wbinvl1_vol
	global_store_byte v1, v2, s[28:29] offset:64
.LBB2047_559:
	s_or_b64 exec, exec, s[4:5]
.LBB2047_560:
	s_mov_b32 s4, 0
	v_mov_b32_e32 v1, 0x60
	v_mov_b32_e32 v2, 0
.LBB2047_561:                           ; =>This Inner Loop Header: Depth=1
	v_add_u32_e32 v3, s4, v1
	s_add_i32 s4, s4, 8
	s_cmp_lg_u32 s4, 16
	buffer_store_dword v2, v3, s[0:3], 0 offen offset:4
	buffer_store_dword v2, v3, s[0:3], 0 offen
	s_cbranch_scc1 .LBB2047_561
; %bb.562:
	s_mov_b32 s4, 16
	v_mov_b32_e32 v1, 0x60
	v_mov_b32_e32 v2, 0
.LBB2047_563:                           ; =>This Inner Loop Header: Depth=1
	v_add_u32_e32 v3, s4, v1
	s_add_i32 s4, s4, 8
	s_cmp_lg_u32 s4, 32
	buffer_store_dword v2, v3, s[0:3], 0 offen offset:4
	buffer_store_dword v2, v3, s[0:3], 0 offen
	s_cbranch_scc1 .LBB2047_563
; %bb.564:
	;; [unrolled: 11-line block ×4, first 2 shown]
	s_mov_b32 s4, 64
	v_mov_b32_e32 v1, 0x60
	v_mov_b32_e32 v2, 0
.LBB2047_569:                           ; =>This Inner Loop Header: Depth=1
	v_add_u32_e32 v3, s4, v1
	s_add_i32 s4, s4, 8
	s_cmpk_lg_i32 s4, 0x50
	buffer_store_dword v2, v3, s[0:3], 0 offen offset:4
	buffer_store_dword v2, v3, s[0:3], 0 offen
	s_cbranch_scc1 .LBB2047_569
; %bb.570:
	s_add_u32 s4, s42, s22
	s_addc_u32 s5, s43, s23
	v_mov_b32_e32 v1, 0x60
	s_add_u32 s8, s4, s34
	v_add_u32_e32 v4, 64, v1
	v_add_u32_e32 v5, 48, v1
	v_add_u32_e32 v6, 32, v1
	v_add_u32_e32 v8, 16, v1
	s_addc_u32 s9, s5, s35
	s_and_b64 vcc, exec, s[6:7]
	s_cbranch_vccz .LBB2047_586
; %bb.571:
	s_add_i32 s31, s31, s30
	v_mul_u32_u24_e32 v1, 5, v0
	v_cmp_gt_u32_e32 vcc, s31, v1
	s_and_saveexec_b64 s[4:5], vcc
	s_cbranch_execz .LBB2047_577
; %bb.572:
	buffer_load_dword v2, off, s[0:3], 0 offset:220
	buffer_load_dword v3, off, s[0:3], 0 offset:216
	;; [unrolled: 1-line block ×4, first 2 shown]
	v_add_u32_e32 v15, 1, v1
	v_cmp_gt_u32_e32 vcc, s31, v15
	s_waitcnt vmcnt(3)
	buffer_store_dword v2, off, s[0:3], 0 offset:108
	s_waitcnt vmcnt(3)
	buffer_store_dword v3, off, s[0:3], 0 offset:104
	;; [unrolled: 2-line block ×4, first 2 shown]
	s_and_b64 exec, exec, vcc
	s_cbranch_execz .LBB2047_577
; %bb.573:
	buffer_load_dword v2, v7, s[0:3], 0 offen offset:12
	buffer_load_dword v3, v7, s[0:3], 0 offen offset:8
	buffer_load_dword v9, v7, s[0:3], 0 offen offset:4
	buffer_load_dword v14, v7, s[0:3], 0 offen
	v_add_u32_e32 v15, 2, v1
	v_cmp_gt_u32_e32 vcc, s31, v15
	s_waitcnt vmcnt(3)
	buffer_store_dword v2, v8, s[0:3], 0 offen offset:12
	s_waitcnt vmcnt(3)
	buffer_store_dword v3, v8, s[0:3], 0 offen offset:8
	s_waitcnt vmcnt(3)
	buffer_store_dword v9, v8, s[0:3], 0 offen offset:4
	s_waitcnt vmcnt(3)
	buffer_store_dword v14, v8, s[0:3], 0 offen
	s_and_b64 exec, exec, vcc
	s_cbranch_execz .LBB2047_577
; %bb.574:
	buffer_load_dword v2, v10, s[0:3], 0 offen offset:12
	buffer_load_dword v3, v10, s[0:3], 0 offen offset:8
	buffer_load_dword v9, v10, s[0:3], 0 offen offset:4
	buffer_load_dword v14, v10, s[0:3], 0 offen
	v_add_u32_e32 v15, 3, v1
	v_cmp_gt_u32_e32 vcc, s31, v15
	s_waitcnt vmcnt(3)
	buffer_store_dword v2, v6, s[0:3], 0 offen offset:12
	s_waitcnt vmcnt(3)
	buffer_store_dword v3, v6, s[0:3], 0 offen offset:8
	s_waitcnt vmcnt(3)
	buffer_store_dword v9, v6, s[0:3], 0 offen offset:4
	s_waitcnt vmcnt(3)
	buffer_store_dword v14, v6, s[0:3], 0 offen
	;; [unrolled: 17-line block ×3, first 2 shown]
	s_and_b64 exec, exec, vcc
	s_cbranch_execz .LBB2047_577
; %bb.576:
	buffer_load_dword v2, v12, s[0:3], 0 offen offset:12
	buffer_load_dword v3, v12, s[0:3], 0 offen offset:8
	;; [unrolled: 1-line block ×3, first 2 shown]
	buffer_load_dword v14, v12, s[0:3], 0 offen
	s_waitcnt vmcnt(3)
	buffer_store_dword v2, v4, s[0:3], 0 offen offset:12
	s_waitcnt vmcnt(3)
	buffer_store_dword v3, v4, s[0:3], 0 offen offset:8
	;; [unrolled: 2-line block ×3, first 2 shown]
	s_waitcnt vmcnt(3)
	buffer_store_dword v14, v4, s[0:3], 0 offen
.LBB2047_577:
	s_or_b64 exec, exec, s[4:5]
	s_barrier
	buffer_load_dword v14, off, s[0:3], 0 offset:96
	buffer_load_dword v15, off, s[0:3], 0 offset:100
	;; [unrolled: 1-line block ×4, first 2 shown]
	buffer_load_dword v18, v8, s[0:3], 0 offen
	buffer_load_dword v19, v8, s[0:3], 0 offen offset:4
	buffer_load_dword v20, v8, s[0:3], 0 offen offset:8
	buffer_load_dword v21, v8, s[0:3], 0 offen offset:12
	buffer_load_dword v22, v6, s[0:3], 0 offen
	buffer_load_dword v23, v6, s[0:3], 0 offen offset:4
	buffer_load_dword v24, v6, s[0:3], 0 offen offset:8
	buffer_load_dword v25, v6, s[0:3], 0 offen offset:12
	;; [unrolled: 4-line block ×4, first 2 shown]
	v_lshlrev_b32_e32 v2, 4, v1
	v_lshlrev_b32_e32 v3, 6, v0
	v_sub_u32_e32 v9, v2, v3
	v_mov_b32_e32 v34, s9
	v_mov_b32_e32 v1, 0
	s_waitcnt vmcnt(16)
	ds_write_b128 v2, v[14:17]
	s_waitcnt vmcnt(12)
	ds_write_b128 v2, v[18:21] offset:16
	s_waitcnt vmcnt(8)
	ds_write_b128 v2, v[22:25] offset:32
	s_waitcnt vmcnt(4)
	ds_write_b128 v2, v[26:29] offset:48
	s_waitcnt vmcnt(0)
	ds_write_b128 v2, v[30:33] offset:64
	s_waitcnt lgkmcnt(0)
	s_barrier
	ds_read_b128 v[14:17], v9 offset:4096
	ds_read_b128 v[18:21], v9 offset:8192
	;; [unrolled: 1-line block ×4, first 2 shown]
	v_add_co_u32_e32 v2, vcc, s8, v13
	v_addc_co_u32_e32 v3, vcc, 0, v34, vcc
	v_cmp_gt_u32_e32 vcc, s31, v0
	s_waitcnt lgkmcnt(3)
	buffer_store_dword v17, v8, s[0:3], 0 offen offset:12
	buffer_store_dword v16, v8, s[0:3], 0 offen offset:8
	buffer_store_dword v15, v8, s[0:3], 0 offen offset:4
	buffer_store_dword v14, v8, s[0:3], 0 offen
	s_waitcnt lgkmcnt(2)
	buffer_store_dword v21, v6, s[0:3], 0 offen offset:12
	buffer_store_dword v20, v6, s[0:3], 0 offen offset:8
	buffer_store_dword v19, v6, s[0:3], 0 offen offset:4
	buffer_store_dword v18, v6, s[0:3], 0 offen
	;; [unrolled: 5-line block ×4, first 2 shown]
	s_and_saveexec_b64 s[4:5], vcc
	s_cbranch_execz .LBB2047_579
; %bb.578:
	ds_read2_b32 v[16:17], v9 offset0:2 offset1:3
	ds_read2_b32 v[14:15], v9 offset1:1
	s_waitcnt lgkmcnt(0)
	flat_store_dwordx4 v[2:3], v[14:17]
.LBB2047_579:
	s_or_b64 exec, exec, s[4:5]
	v_or_b32_e32 v9, 0x100, v0
	v_cmp_gt_u32_e32 vcc, s31, v9
	s_and_saveexec_b64 s[4:5], vcc
	s_cbranch_execz .LBB2047_581
; %bb.580:
	buffer_load_dword v14, v8, s[0:3], 0 offen
	buffer_load_dword v15, v8, s[0:3], 0 offen offset:4
	buffer_load_dword v16, v8, s[0:3], 0 offen offset:8
	buffer_load_dword v17, v8, s[0:3], 0 offen offset:12
	v_add_co_u32_e32 v18, vcc, 0x1000, v2
	v_addc_co_u32_e32 v19, vcc, 0, v3, vcc
	s_waitcnt vmcnt(0)
	flat_store_dwordx4 v[18:19], v[14:17]
.LBB2047_581:
	s_or_b64 exec, exec, s[4:5]
	v_or_b32_e32 v9, 0x200, v0
	v_cmp_gt_u32_e32 vcc, s31, v9
	s_and_saveexec_b64 s[4:5], vcc
	s_cbranch_execz .LBB2047_583
; %bb.582:
	buffer_load_dword v14, v6, s[0:3], 0 offen
	buffer_load_dword v15, v6, s[0:3], 0 offen offset:4
	buffer_load_dword v16, v6, s[0:3], 0 offen offset:8
	buffer_load_dword v17, v6, s[0:3], 0 offen offset:12
	v_add_co_u32_e32 v18, vcc, 0x2000, v2
	v_addc_co_u32_e32 v19, vcc, 0, v3, vcc
	s_waitcnt vmcnt(0)
	flat_store_dwordx4 v[18:19], v[14:17]
.LBB2047_583:
	;; [unrolled: 15-line block ×3, first 2 shown]
	s_or_b64 exec, exec, s[4:5]
	v_or_b32_e32 v2, 0x400, v0
	v_cmp_gt_u32_e64 s[4:5], s31, v2
	s_branch .LBB2047_588
.LBB2047_586:
	s_mov_b64 s[4:5], 0
	s_cbranch_execz .LBB2047_588
; %bb.587:
	buffer_load_dword v1, off, s[0:3], 0 offset:220
	buffer_load_dword v2, off, s[0:3], 0 offset:216
	;; [unrolled: 1-line block ×4, first 2 shown]
	buffer_load_dword v14, v7, s[0:3], 0 offen offset:12
	buffer_load_dword v15, v7, s[0:3], 0 offen offset:8
	buffer_load_dword v16, v7, s[0:3], 0 offen offset:4
	buffer_load_dword v17, v7, s[0:3], 0 offen
	buffer_load_dword v18, v10, s[0:3], 0 offen offset:12
	buffer_load_dword v19, v10, s[0:3], 0 offen offset:8
	buffer_load_dword v20, v10, s[0:3], 0 offen offset:4
	buffer_load_dword v21, v10, s[0:3], 0 offen
	;; [unrolled: 4-line block ×3, first 2 shown]
	buffer_load_dword v26, v12, s[0:3], 0 offen offset:12
	buffer_load_dword v27, v12, s[0:3], 0 offen offset:8
	;; [unrolled: 1-line block ×3, first 2 shown]
                                        ; kill: killed $vgpr7
                                        ; kill: killed $vgpr10
                                        ; kill: killed $vgpr11
	buffer_load_dword v7, v12, s[0:3], 0 offen
	s_movk_i32 s6, 0x1000
	s_movk_i32 s7, 0x2000
	s_or_b64 s[4:5], s[4:5], exec
	s_waitcnt vmcnt(0)
	buffer_store_dword v1, off, s[0:3], 0 offset:108
	buffer_store_dword v2, off, s[0:3], 0 offset:104
	;; [unrolled: 1-line block ×4, first 2 shown]
	buffer_store_dword v14, v8, s[0:3], 0 offen offset:12
	buffer_store_dword v15, v8, s[0:3], 0 offen offset:8
	buffer_store_dword v16, v8, s[0:3], 0 offen offset:4
	buffer_store_dword v17, v8, s[0:3], 0 offen
	buffer_store_dword v18, v6, s[0:3], 0 offen offset:12
	buffer_store_dword v19, v6, s[0:3], 0 offen offset:8
	buffer_store_dword v20, v6, s[0:3], 0 offen offset:4
	buffer_store_dword v21, v6, s[0:3], 0 offen
	;; [unrolled: 4-line block ×4, first 2 shown]
	s_waitcnt lgkmcnt(0)
	s_barrier
	buffer_load_dword v14, off, s[0:3], 0 offset:96
	buffer_load_dword v15, off, s[0:3], 0 offset:100
	;; [unrolled: 1-line block ×4, first 2 shown]
	buffer_load_dword v18, v8, s[0:3], 0 offen
	buffer_load_dword v19, v8, s[0:3], 0 offen offset:4
	buffer_load_dword v20, v8, s[0:3], 0 offen offset:8
	buffer_load_dword v21, v8, s[0:3], 0 offen offset:12
	buffer_load_dword v22, v6, s[0:3], 0 offen
	buffer_load_dword v23, v6, s[0:3], 0 offen offset:4
	buffer_load_dword v24, v6, s[0:3], 0 offen offset:8
	buffer_load_dword v25, v6, s[0:3], 0 offen offset:12
	;; [unrolled: 4-line block ×4, first 2 shown]
	v_mul_u32_u24_e32 v1, 0x50, v0
	v_lshlrev_b32_e32 v2, 6, v0
	v_sub_u32_e32 v7, v1, v2
	v_mov_b32_e32 v3, s9
	v_add_co_u32_e32 v2, vcc, s8, v13
	v_addc_co_u32_e32 v3, vcc, 0, v3, vcc
	v_add_co_u32_e32 v34, vcc, s6, v2
	v_addc_co_u32_e32 v35, vcc, 0, v3, vcc
	;; [unrolled: 2-line block ×3, first 2 shown]
	s_waitcnt vmcnt(16)
	ds_write_b128 v1, v[14:17]
	s_waitcnt vmcnt(12)
	ds_write_b128 v1, v[18:21] offset:16
	s_waitcnt vmcnt(8)
	ds_write_b128 v1, v[22:25] offset:32
	;; [unrolled: 2-line block ×4, first 2 shown]
	s_waitcnt lgkmcnt(0)
	s_barrier
	ds_read_b128 v[10:13], v7 offset:4096
	ds_read_b128 v[14:17], v7 offset:8192
	;; [unrolled: 1-line block ×4, first 2 shown]
	ds_read2_b32 v[28:29], v7 offset0:2 offset1:3
	ds_read2_b32 v[26:27], v7 offset1:1
	s_waitcnt lgkmcnt(5)
	buffer_store_dword v13, v8, s[0:3], 0 offen offset:12
	buffer_store_dword v12, v8, s[0:3], 0 offen offset:8
	buffer_store_dword v11, v8, s[0:3], 0 offen offset:4
	buffer_store_dword v10, v8, s[0:3], 0 offen
	s_waitcnt lgkmcnt(4)
	buffer_store_dword v17, v6, s[0:3], 0 offen offset:12
	buffer_store_dword v16, v6, s[0:3], 0 offen offset:8
	buffer_store_dword v15, v6, s[0:3], 0 offen offset:4
	buffer_store_dword v14, v6, s[0:3], 0 offen
	;; [unrolled: 5-line block ×4, first 2 shown]
	s_waitcnt lgkmcnt(0)
	flat_store_dwordx4 v[2:3], v[26:29]
	flat_store_dwordx4 v[34:35], v[10:13]
	;; [unrolled: 1-line block ×3, first 2 shown]
	buffer_load_dword v6, v5, s[0:3], 0 offen
	buffer_load_dword v7, v5, s[0:3], 0 offen offset:4
	buffer_load_dword v8, v5, s[0:3], 0 offen offset:8
	;; [unrolled: 1-line block ×3, first 2 shown]
	v_add_co_u32_e32 v2, vcc, 0x3000, v2
	v_mov_b32_e32 v1, 0
	v_addc_co_u32_e32 v3, vcc, 0, v3, vcc
	s_waitcnt vmcnt(0)
	flat_store_dwordx4 v[2:3], v[6:9]
.LBB2047_588:
	s_and_saveexec_b64 s[6:7], s[4:5]
	s_cbranch_execnz .LBB2047_590
; %bb.589:
	s_endpgm
.LBB2047_590:
	buffer_load_dword v6, v4, s[0:3], 0 offen
	buffer_load_dword v7, v4, s[0:3], 0 offen offset:4
	buffer_load_dword v8, v4, s[0:3], 0 offen offset:8
	;; [unrolled: 1-line block ×3, first 2 shown]
	v_lshlrev_b64 v[0:1], 4, v[0:1]
	v_mov_b32_e32 v2, s9
	v_add_co_u32_e32 v0, vcc, s8, v0
	v_addc_co_u32_e32 v1, vcc, v2, v1, vcc
	v_add_co_u32_e32 v0, vcc, 0x4000, v0
	v_addc_co_u32_e32 v1, vcc, 0, v1, vcc
	s_waitcnt vmcnt(0)
	flat_store_dwordx4 v[0:1], v[6:9]
	s_endpgm
.LBB2047_591:
	v_mov_b32_e32 v21, s49
	v_add_co_u32_e32 v20, vcc, s48, v20
	v_addc_co_u32_e32 v21, vcc, 0, v21, vcc
	flat_load_dwordx4 v[20:23], v[20:21]
	s_waitcnt vmcnt(0) lgkmcnt(0)
	buffer_store_dword v21, off, s[0:3], 0 offset:100
	buffer_store_dword v20, off, s[0:3], 0 offset:96
	;; [unrolled: 1-line block ×4, first 2 shown]
	s_or_b64 exec, exec, s[4:5]
	s_and_saveexec_b64 s[4:5], s[12:13]
	s_cbranch_execz .LBB2047_361
.LBB2047_592:
	v_lshlrev_b32_e32 v15, 4, v15
	v_mov_b32_e32 v21, s49
	v_add_co_u32_e32 v20, vcc, s48, v15
	v_addc_co_u32_e32 v21, vcc, 0, v21, vcc
	flat_load_dwordx4 v[20:23], v[20:21]
	s_waitcnt vmcnt(0) lgkmcnt(0)
	buffer_store_dword v21, off, s[0:3], 0 offset:116
	buffer_store_dword v20, off, s[0:3], 0 offset:112
	;; [unrolled: 1-line block ×4, first 2 shown]
	s_or_b64 exec, exec, s[4:5]
	s_and_saveexec_b64 s[4:5], s[14:15]
	s_cbranch_execz .LBB2047_362
.LBB2047_593:
	v_lshlrev_b32_e32 v15, 4, v16
	v_mov_b32_e32 v16, s49
	v_add_co_u32_e32 v20, vcc, s48, v15
	v_addc_co_u32_e32 v21, vcc, 0, v16, vcc
	flat_load_dwordx4 v[20:23], v[20:21]
	s_waitcnt vmcnt(0) lgkmcnt(0)
	buffer_store_dword v21, off, s[0:3], 0 offset:132
	buffer_store_dword v20, off, s[0:3], 0 offset:128
	;; [unrolled: 1-line block ×4, first 2 shown]
	s_or_b64 exec, exec, s[4:5]
	s_and_saveexec_b64 s[4:5], s[16:17]
	s_cbranch_execz .LBB2047_363
.LBB2047_594:
	v_lshlrev_b32_e32 v15, 4, v17
	v_mov_b32_e32 v17, s49
	v_add_co_u32_e32 v16, vcc, s48, v15
	v_addc_co_u32_e32 v17, vcc, 0, v17, vcc
	flat_load_dwordx4 v[20:23], v[16:17]
	s_waitcnt vmcnt(0) lgkmcnt(0)
	buffer_store_dword v21, off, s[0:3], 0 offset:148
	buffer_store_dword v20, off, s[0:3], 0 offset:144
	;; [unrolled: 1-line block ×4, first 2 shown]
	s_or_b64 exec, exec, s[4:5]
	s_and_saveexec_b64 s[4:5], s[18:19]
	s_cbranch_execnz .LBB2047_364
	s_branch .LBB2047_365
.LBB2047_595:
                                        ; implicit-def: $sgpr4_sgpr5
	s_branch .LBB2047_356
.LBB2047_596:
                                        ; implicit-def: $sgpr4_sgpr5
	s_branch .LBB2047_377
	.section	.rodata,"a",@progbits
	.p2align	6, 0x0
	.amdhsa_kernel _ZN7rocprim17ROCPRIM_400000_NS6detail17trampoline_kernelINS0_14default_configENS1_27scan_by_key_config_selectorIj11FixedVectorIiLj4EEEEZZNS1_16scan_by_key_implILNS1_25lookback_scan_determinismE0ELb0ES3_N6thrust23THRUST_200600_302600_NS6detail15normal_iteratorINSB_10device_ptrIjEEEENSD_INSE_IS6_EEEESI_S6_NSB_4plusIvEENSB_8equal_toIvEES6_EE10hipError_tPvRmT2_T3_T4_T5_mT6_T7_P12ihipStream_tbENKUlT_T0_E_clISt17integral_constantIbLb1EES13_EEDaSY_SZ_EUlSY_E_NS1_11comp_targetILNS1_3genE4ELNS1_11target_archE910ELNS1_3gpuE8ELNS1_3repE0EEENS1_30default_config_static_selectorELNS0_4arch9wavefront6targetE1EEEvT1_
		.amdhsa_group_segment_fixed_size 20480
		.amdhsa_private_segment_fixed_size 320
		.amdhsa_kernarg_size 144
		.amdhsa_user_sgpr_count 8
		.amdhsa_user_sgpr_private_segment_buffer 1
		.amdhsa_user_sgpr_dispatch_ptr 0
		.amdhsa_user_sgpr_queue_ptr 0
		.amdhsa_user_sgpr_kernarg_segment_ptr 1
		.amdhsa_user_sgpr_dispatch_id 0
		.amdhsa_user_sgpr_flat_scratch_init 1
		.amdhsa_user_sgpr_kernarg_preload_length 0
		.amdhsa_user_sgpr_kernarg_preload_offset 0
		.amdhsa_user_sgpr_private_segment_size 0
		.amdhsa_uses_dynamic_stack 0
		.amdhsa_system_sgpr_private_segment_wavefront_offset 1
		.amdhsa_system_sgpr_workgroup_id_x 1
		.amdhsa_system_sgpr_workgroup_id_y 0
		.amdhsa_system_sgpr_workgroup_id_z 0
		.amdhsa_system_sgpr_workgroup_info 0
		.amdhsa_system_vgpr_workitem_id 0
		.amdhsa_next_free_vgpr 43
		.amdhsa_next_free_sgpr 55
		.amdhsa_accum_offset 44
		.amdhsa_reserve_vcc 1
		.amdhsa_reserve_flat_scratch 1
		.amdhsa_float_round_mode_32 0
		.amdhsa_float_round_mode_16_64 0
		.amdhsa_float_denorm_mode_32 3
		.amdhsa_float_denorm_mode_16_64 3
		.amdhsa_dx10_clamp 1
		.amdhsa_ieee_mode 1
		.amdhsa_fp16_overflow 0
		.amdhsa_tg_split 0
		.amdhsa_exception_fp_ieee_invalid_op 0
		.amdhsa_exception_fp_denorm_src 0
		.amdhsa_exception_fp_ieee_div_zero 0
		.amdhsa_exception_fp_ieee_overflow 0
		.amdhsa_exception_fp_ieee_underflow 0
		.amdhsa_exception_fp_ieee_inexact 0
		.amdhsa_exception_int_div_zero 0
	.end_amdhsa_kernel
	.section	.text._ZN7rocprim17ROCPRIM_400000_NS6detail17trampoline_kernelINS0_14default_configENS1_27scan_by_key_config_selectorIj11FixedVectorIiLj4EEEEZZNS1_16scan_by_key_implILNS1_25lookback_scan_determinismE0ELb0ES3_N6thrust23THRUST_200600_302600_NS6detail15normal_iteratorINSB_10device_ptrIjEEEENSD_INSE_IS6_EEEESI_S6_NSB_4plusIvEENSB_8equal_toIvEES6_EE10hipError_tPvRmT2_T3_T4_T5_mT6_T7_P12ihipStream_tbENKUlT_T0_E_clISt17integral_constantIbLb1EES13_EEDaSY_SZ_EUlSY_E_NS1_11comp_targetILNS1_3genE4ELNS1_11target_archE910ELNS1_3gpuE8ELNS1_3repE0EEENS1_30default_config_static_selectorELNS0_4arch9wavefront6targetE1EEEvT1_,"axG",@progbits,_ZN7rocprim17ROCPRIM_400000_NS6detail17trampoline_kernelINS0_14default_configENS1_27scan_by_key_config_selectorIj11FixedVectorIiLj4EEEEZZNS1_16scan_by_key_implILNS1_25lookback_scan_determinismE0ELb0ES3_N6thrust23THRUST_200600_302600_NS6detail15normal_iteratorINSB_10device_ptrIjEEEENSD_INSE_IS6_EEEESI_S6_NSB_4plusIvEENSB_8equal_toIvEES6_EE10hipError_tPvRmT2_T3_T4_T5_mT6_T7_P12ihipStream_tbENKUlT_T0_E_clISt17integral_constantIbLb1EES13_EEDaSY_SZ_EUlSY_E_NS1_11comp_targetILNS1_3genE4ELNS1_11target_archE910ELNS1_3gpuE8ELNS1_3repE0EEENS1_30default_config_static_selectorELNS0_4arch9wavefront6targetE1EEEvT1_,comdat
.Lfunc_end2047:
	.size	_ZN7rocprim17ROCPRIM_400000_NS6detail17trampoline_kernelINS0_14default_configENS1_27scan_by_key_config_selectorIj11FixedVectorIiLj4EEEEZZNS1_16scan_by_key_implILNS1_25lookback_scan_determinismE0ELb0ES3_N6thrust23THRUST_200600_302600_NS6detail15normal_iteratorINSB_10device_ptrIjEEEENSD_INSE_IS6_EEEESI_S6_NSB_4plusIvEENSB_8equal_toIvEES6_EE10hipError_tPvRmT2_T3_T4_T5_mT6_T7_P12ihipStream_tbENKUlT_T0_E_clISt17integral_constantIbLb1EES13_EEDaSY_SZ_EUlSY_E_NS1_11comp_targetILNS1_3genE4ELNS1_11target_archE910ELNS1_3gpuE8ELNS1_3repE0EEENS1_30default_config_static_selectorELNS0_4arch9wavefront6targetE1EEEvT1_, .Lfunc_end2047-_ZN7rocprim17ROCPRIM_400000_NS6detail17trampoline_kernelINS0_14default_configENS1_27scan_by_key_config_selectorIj11FixedVectorIiLj4EEEEZZNS1_16scan_by_key_implILNS1_25lookback_scan_determinismE0ELb0ES3_N6thrust23THRUST_200600_302600_NS6detail15normal_iteratorINSB_10device_ptrIjEEEENSD_INSE_IS6_EEEESI_S6_NSB_4plusIvEENSB_8equal_toIvEES6_EE10hipError_tPvRmT2_T3_T4_T5_mT6_T7_P12ihipStream_tbENKUlT_T0_E_clISt17integral_constantIbLb1EES13_EEDaSY_SZ_EUlSY_E_NS1_11comp_targetILNS1_3genE4ELNS1_11target_archE910ELNS1_3gpuE8ELNS1_3repE0EEENS1_30default_config_static_selectorELNS0_4arch9wavefront6targetE1EEEvT1_
                                        ; -- End function
	.section	.AMDGPU.csdata,"",@progbits
; Kernel info:
; codeLenInByte = 29848
; NumSgprs: 61
; NumVgprs: 43
; NumAgprs: 0
; TotalNumVgprs: 43
; ScratchSize: 320
; MemoryBound: 0
; FloatMode: 240
; IeeeMode: 1
; LDSByteSize: 20480 bytes/workgroup (compile time only)
; SGPRBlocks: 7
; VGPRBlocks: 5
; NumSGPRsForWavesPerEU: 61
; NumVGPRsForWavesPerEU: 43
; AccumOffset: 44
; Occupancy: 3
; WaveLimiterHint : 1
; COMPUTE_PGM_RSRC2:SCRATCH_EN: 1
; COMPUTE_PGM_RSRC2:USER_SGPR: 8
; COMPUTE_PGM_RSRC2:TRAP_HANDLER: 0
; COMPUTE_PGM_RSRC2:TGID_X_EN: 1
; COMPUTE_PGM_RSRC2:TGID_Y_EN: 0
; COMPUTE_PGM_RSRC2:TGID_Z_EN: 0
; COMPUTE_PGM_RSRC2:TIDIG_COMP_CNT: 0
; COMPUTE_PGM_RSRC3_GFX90A:ACCUM_OFFSET: 10
; COMPUTE_PGM_RSRC3_GFX90A:TG_SPLIT: 0
	.section	.text._ZN7rocprim17ROCPRIM_400000_NS6detail17trampoline_kernelINS0_14default_configENS1_27scan_by_key_config_selectorIj11FixedVectorIiLj4EEEEZZNS1_16scan_by_key_implILNS1_25lookback_scan_determinismE0ELb0ES3_N6thrust23THRUST_200600_302600_NS6detail15normal_iteratorINSB_10device_ptrIjEEEENSD_INSE_IS6_EEEESI_S6_NSB_4plusIvEENSB_8equal_toIvEES6_EE10hipError_tPvRmT2_T3_T4_T5_mT6_T7_P12ihipStream_tbENKUlT_T0_E_clISt17integral_constantIbLb1EES13_EEDaSY_SZ_EUlSY_E_NS1_11comp_targetILNS1_3genE3ELNS1_11target_archE908ELNS1_3gpuE7ELNS1_3repE0EEENS1_30default_config_static_selectorELNS0_4arch9wavefront6targetE1EEEvT1_,"axG",@progbits,_ZN7rocprim17ROCPRIM_400000_NS6detail17trampoline_kernelINS0_14default_configENS1_27scan_by_key_config_selectorIj11FixedVectorIiLj4EEEEZZNS1_16scan_by_key_implILNS1_25lookback_scan_determinismE0ELb0ES3_N6thrust23THRUST_200600_302600_NS6detail15normal_iteratorINSB_10device_ptrIjEEEENSD_INSE_IS6_EEEESI_S6_NSB_4plusIvEENSB_8equal_toIvEES6_EE10hipError_tPvRmT2_T3_T4_T5_mT6_T7_P12ihipStream_tbENKUlT_T0_E_clISt17integral_constantIbLb1EES13_EEDaSY_SZ_EUlSY_E_NS1_11comp_targetILNS1_3genE3ELNS1_11target_archE908ELNS1_3gpuE7ELNS1_3repE0EEENS1_30default_config_static_selectorELNS0_4arch9wavefront6targetE1EEEvT1_,comdat
	.protected	_ZN7rocprim17ROCPRIM_400000_NS6detail17trampoline_kernelINS0_14default_configENS1_27scan_by_key_config_selectorIj11FixedVectorIiLj4EEEEZZNS1_16scan_by_key_implILNS1_25lookback_scan_determinismE0ELb0ES3_N6thrust23THRUST_200600_302600_NS6detail15normal_iteratorINSB_10device_ptrIjEEEENSD_INSE_IS6_EEEESI_S6_NSB_4plusIvEENSB_8equal_toIvEES6_EE10hipError_tPvRmT2_T3_T4_T5_mT6_T7_P12ihipStream_tbENKUlT_T0_E_clISt17integral_constantIbLb1EES13_EEDaSY_SZ_EUlSY_E_NS1_11comp_targetILNS1_3genE3ELNS1_11target_archE908ELNS1_3gpuE7ELNS1_3repE0EEENS1_30default_config_static_selectorELNS0_4arch9wavefront6targetE1EEEvT1_ ; -- Begin function _ZN7rocprim17ROCPRIM_400000_NS6detail17trampoline_kernelINS0_14default_configENS1_27scan_by_key_config_selectorIj11FixedVectorIiLj4EEEEZZNS1_16scan_by_key_implILNS1_25lookback_scan_determinismE0ELb0ES3_N6thrust23THRUST_200600_302600_NS6detail15normal_iteratorINSB_10device_ptrIjEEEENSD_INSE_IS6_EEEESI_S6_NSB_4plusIvEENSB_8equal_toIvEES6_EE10hipError_tPvRmT2_T3_T4_T5_mT6_T7_P12ihipStream_tbENKUlT_T0_E_clISt17integral_constantIbLb1EES13_EEDaSY_SZ_EUlSY_E_NS1_11comp_targetILNS1_3genE3ELNS1_11target_archE908ELNS1_3gpuE7ELNS1_3repE0EEENS1_30default_config_static_selectorELNS0_4arch9wavefront6targetE1EEEvT1_
	.globl	_ZN7rocprim17ROCPRIM_400000_NS6detail17trampoline_kernelINS0_14default_configENS1_27scan_by_key_config_selectorIj11FixedVectorIiLj4EEEEZZNS1_16scan_by_key_implILNS1_25lookback_scan_determinismE0ELb0ES3_N6thrust23THRUST_200600_302600_NS6detail15normal_iteratorINSB_10device_ptrIjEEEENSD_INSE_IS6_EEEESI_S6_NSB_4plusIvEENSB_8equal_toIvEES6_EE10hipError_tPvRmT2_T3_T4_T5_mT6_T7_P12ihipStream_tbENKUlT_T0_E_clISt17integral_constantIbLb1EES13_EEDaSY_SZ_EUlSY_E_NS1_11comp_targetILNS1_3genE3ELNS1_11target_archE908ELNS1_3gpuE7ELNS1_3repE0EEENS1_30default_config_static_selectorELNS0_4arch9wavefront6targetE1EEEvT1_
	.p2align	8
	.type	_ZN7rocprim17ROCPRIM_400000_NS6detail17trampoline_kernelINS0_14default_configENS1_27scan_by_key_config_selectorIj11FixedVectorIiLj4EEEEZZNS1_16scan_by_key_implILNS1_25lookback_scan_determinismE0ELb0ES3_N6thrust23THRUST_200600_302600_NS6detail15normal_iteratorINSB_10device_ptrIjEEEENSD_INSE_IS6_EEEESI_S6_NSB_4plusIvEENSB_8equal_toIvEES6_EE10hipError_tPvRmT2_T3_T4_T5_mT6_T7_P12ihipStream_tbENKUlT_T0_E_clISt17integral_constantIbLb1EES13_EEDaSY_SZ_EUlSY_E_NS1_11comp_targetILNS1_3genE3ELNS1_11target_archE908ELNS1_3gpuE7ELNS1_3repE0EEENS1_30default_config_static_selectorELNS0_4arch9wavefront6targetE1EEEvT1_,@function
_ZN7rocprim17ROCPRIM_400000_NS6detail17trampoline_kernelINS0_14default_configENS1_27scan_by_key_config_selectorIj11FixedVectorIiLj4EEEEZZNS1_16scan_by_key_implILNS1_25lookback_scan_determinismE0ELb0ES3_N6thrust23THRUST_200600_302600_NS6detail15normal_iteratorINSB_10device_ptrIjEEEENSD_INSE_IS6_EEEESI_S6_NSB_4plusIvEENSB_8equal_toIvEES6_EE10hipError_tPvRmT2_T3_T4_T5_mT6_T7_P12ihipStream_tbENKUlT_T0_E_clISt17integral_constantIbLb1EES13_EEDaSY_SZ_EUlSY_E_NS1_11comp_targetILNS1_3genE3ELNS1_11target_archE908ELNS1_3gpuE7ELNS1_3repE0EEENS1_30default_config_static_selectorELNS0_4arch9wavefront6targetE1EEEvT1_: ; @_ZN7rocprim17ROCPRIM_400000_NS6detail17trampoline_kernelINS0_14default_configENS1_27scan_by_key_config_selectorIj11FixedVectorIiLj4EEEEZZNS1_16scan_by_key_implILNS1_25lookback_scan_determinismE0ELb0ES3_N6thrust23THRUST_200600_302600_NS6detail15normal_iteratorINSB_10device_ptrIjEEEENSD_INSE_IS6_EEEESI_S6_NSB_4plusIvEENSB_8equal_toIvEES6_EE10hipError_tPvRmT2_T3_T4_T5_mT6_T7_P12ihipStream_tbENKUlT_T0_E_clISt17integral_constantIbLb1EES13_EEDaSY_SZ_EUlSY_E_NS1_11comp_targetILNS1_3genE3ELNS1_11target_archE908ELNS1_3gpuE7ELNS1_3repE0EEENS1_30default_config_static_selectorELNS0_4arch9wavefront6targetE1EEEvT1_
; %bb.0:
	.section	.rodata,"a",@progbits
	.p2align	6, 0x0
	.amdhsa_kernel _ZN7rocprim17ROCPRIM_400000_NS6detail17trampoline_kernelINS0_14default_configENS1_27scan_by_key_config_selectorIj11FixedVectorIiLj4EEEEZZNS1_16scan_by_key_implILNS1_25lookback_scan_determinismE0ELb0ES3_N6thrust23THRUST_200600_302600_NS6detail15normal_iteratorINSB_10device_ptrIjEEEENSD_INSE_IS6_EEEESI_S6_NSB_4plusIvEENSB_8equal_toIvEES6_EE10hipError_tPvRmT2_T3_T4_T5_mT6_T7_P12ihipStream_tbENKUlT_T0_E_clISt17integral_constantIbLb1EES13_EEDaSY_SZ_EUlSY_E_NS1_11comp_targetILNS1_3genE3ELNS1_11target_archE908ELNS1_3gpuE7ELNS1_3repE0EEENS1_30default_config_static_selectorELNS0_4arch9wavefront6targetE1EEEvT1_
		.amdhsa_group_segment_fixed_size 0
		.amdhsa_private_segment_fixed_size 0
		.amdhsa_kernarg_size 144
		.amdhsa_user_sgpr_count 6
		.amdhsa_user_sgpr_private_segment_buffer 1
		.amdhsa_user_sgpr_dispatch_ptr 0
		.amdhsa_user_sgpr_queue_ptr 0
		.amdhsa_user_sgpr_kernarg_segment_ptr 1
		.amdhsa_user_sgpr_dispatch_id 0
		.amdhsa_user_sgpr_flat_scratch_init 0
		.amdhsa_user_sgpr_kernarg_preload_length 0
		.amdhsa_user_sgpr_kernarg_preload_offset 0
		.amdhsa_user_sgpr_private_segment_size 0
		.amdhsa_uses_dynamic_stack 0
		.amdhsa_system_sgpr_private_segment_wavefront_offset 0
		.amdhsa_system_sgpr_workgroup_id_x 1
		.amdhsa_system_sgpr_workgroup_id_y 0
		.amdhsa_system_sgpr_workgroup_id_z 0
		.amdhsa_system_sgpr_workgroup_info 0
		.amdhsa_system_vgpr_workitem_id 0
		.amdhsa_next_free_vgpr 1
		.amdhsa_next_free_sgpr 0
		.amdhsa_accum_offset 4
		.amdhsa_reserve_vcc 0
		.amdhsa_reserve_flat_scratch 0
		.amdhsa_float_round_mode_32 0
		.amdhsa_float_round_mode_16_64 0
		.amdhsa_float_denorm_mode_32 3
		.amdhsa_float_denorm_mode_16_64 3
		.amdhsa_dx10_clamp 1
		.amdhsa_ieee_mode 1
		.amdhsa_fp16_overflow 0
		.amdhsa_tg_split 0
		.amdhsa_exception_fp_ieee_invalid_op 0
		.amdhsa_exception_fp_denorm_src 0
		.amdhsa_exception_fp_ieee_div_zero 0
		.amdhsa_exception_fp_ieee_overflow 0
		.amdhsa_exception_fp_ieee_underflow 0
		.amdhsa_exception_fp_ieee_inexact 0
		.amdhsa_exception_int_div_zero 0
	.end_amdhsa_kernel
	.section	.text._ZN7rocprim17ROCPRIM_400000_NS6detail17trampoline_kernelINS0_14default_configENS1_27scan_by_key_config_selectorIj11FixedVectorIiLj4EEEEZZNS1_16scan_by_key_implILNS1_25lookback_scan_determinismE0ELb0ES3_N6thrust23THRUST_200600_302600_NS6detail15normal_iteratorINSB_10device_ptrIjEEEENSD_INSE_IS6_EEEESI_S6_NSB_4plusIvEENSB_8equal_toIvEES6_EE10hipError_tPvRmT2_T3_T4_T5_mT6_T7_P12ihipStream_tbENKUlT_T0_E_clISt17integral_constantIbLb1EES13_EEDaSY_SZ_EUlSY_E_NS1_11comp_targetILNS1_3genE3ELNS1_11target_archE908ELNS1_3gpuE7ELNS1_3repE0EEENS1_30default_config_static_selectorELNS0_4arch9wavefront6targetE1EEEvT1_,"axG",@progbits,_ZN7rocprim17ROCPRIM_400000_NS6detail17trampoline_kernelINS0_14default_configENS1_27scan_by_key_config_selectorIj11FixedVectorIiLj4EEEEZZNS1_16scan_by_key_implILNS1_25lookback_scan_determinismE0ELb0ES3_N6thrust23THRUST_200600_302600_NS6detail15normal_iteratorINSB_10device_ptrIjEEEENSD_INSE_IS6_EEEESI_S6_NSB_4plusIvEENSB_8equal_toIvEES6_EE10hipError_tPvRmT2_T3_T4_T5_mT6_T7_P12ihipStream_tbENKUlT_T0_E_clISt17integral_constantIbLb1EES13_EEDaSY_SZ_EUlSY_E_NS1_11comp_targetILNS1_3genE3ELNS1_11target_archE908ELNS1_3gpuE7ELNS1_3repE0EEENS1_30default_config_static_selectorELNS0_4arch9wavefront6targetE1EEEvT1_,comdat
.Lfunc_end2048:
	.size	_ZN7rocprim17ROCPRIM_400000_NS6detail17trampoline_kernelINS0_14default_configENS1_27scan_by_key_config_selectorIj11FixedVectorIiLj4EEEEZZNS1_16scan_by_key_implILNS1_25lookback_scan_determinismE0ELb0ES3_N6thrust23THRUST_200600_302600_NS6detail15normal_iteratorINSB_10device_ptrIjEEEENSD_INSE_IS6_EEEESI_S6_NSB_4plusIvEENSB_8equal_toIvEES6_EE10hipError_tPvRmT2_T3_T4_T5_mT6_T7_P12ihipStream_tbENKUlT_T0_E_clISt17integral_constantIbLb1EES13_EEDaSY_SZ_EUlSY_E_NS1_11comp_targetILNS1_3genE3ELNS1_11target_archE908ELNS1_3gpuE7ELNS1_3repE0EEENS1_30default_config_static_selectorELNS0_4arch9wavefront6targetE1EEEvT1_, .Lfunc_end2048-_ZN7rocprim17ROCPRIM_400000_NS6detail17trampoline_kernelINS0_14default_configENS1_27scan_by_key_config_selectorIj11FixedVectorIiLj4EEEEZZNS1_16scan_by_key_implILNS1_25lookback_scan_determinismE0ELb0ES3_N6thrust23THRUST_200600_302600_NS6detail15normal_iteratorINSB_10device_ptrIjEEEENSD_INSE_IS6_EEEESI_S6_NSB_4plusIvEENSB_8equal_toIvEES6_EE10hipError_tPvRmT2_T3_T4_T5_mT6_T7_P12ihipStream_tbENKUlT_T0_E_clISt17integral_constantIbLb1EES13_EEDaSY_SZ_EUlSY_E_NS1_11comp_targetILNS1_3genE3ELNS1_11target_archE908ELNS1_3gpuE7ELNS1_3repE0EEENS1_30default_config_static_selectorELNS0_4arch9wavefront6targetE1EEEvT1_
                                        ; -- End function
	.section	.AMDGPU.csdata,"",@progbits
; Kernel info:
; codeLenInByte = 0
; NumSgprs: 4
; NumVgprs: 0
; NumAgprs: 0
; TotalNumVgprs: 0
; ScratchSize: 0
; MemoryBound: 0
; FloatMode: 240
; IeeeMode: 1
; LDSByteSize: 0 bytes/workgroup (compile time only)
; SGPRBlocks: 0
; VGPRBlocks: 0
; NumSGPRsForWavesPerEU: 4
; NumVGPRsForWavesPerEU: 1
; AccumOffset: 4
; Occupancy: 8
; WaveLimiterHint : 0
; COMPUTE_PGM_RSRC2:SCRATCH_EN: 0
; COMPUTE_PGM_RSRC2:USER_SGPR: 6
; COMPUTE_PGM_RSRC2:TRAP_HANDLER: 0
; COMPUTE_PGM_RSRC2:TGID_X_EN: 1
; COMPUTE_PGM_RSRC2:TGID_Y_EN: 0
; COMPUTE_PGM_RSRC2:TGID_Z_EN: 0
; COMPUTE_PGM_RSRC2:TIDIG_COMP_CNT: 0
; COMPUTE_PGM_RSRC3_GFX90A:ACCUM_OFFSET: 0
; COMPUTE_PGM_RSRC3_GFX90A:TG_SPLIT: 0
	.section	.text._ZN7rocprim17ROCPRIM_400000_NS6detail17trampoline_kernelINS0_14default_configENS1_27scan_by_key_config_selectorIj11FixedVectorIiLj4EEEEZZNS1_16scan_by_key_implILNS1_25lookback_scan_determinismE0ELb0ES3_N6thrust23THRUST_200600_302600_NS6detail15normal_iteratorINSB_10device_ptrIjEEEENSD_INSE_IS6_EEEESI_S6_NSB_4plusIvEENSB_8equal_toIvEES6_EE10hipError_tPvRmT2_T3_T4_T5_mT6_T7_P12ihipStream_tbENKUlT_T0_E_clISt17integral_constantIbLb1EES13_EEDaSY_SZ_EUlSY_E_NS1_11comp_targetILNS1_3genE2ELNS1_11target_archE906ELNS1_3gpuE6ELNS1_3repE0EEENS1_30default_config_static_selectorELNS0_4arch9wavefront6targetE1EEEvT1_,"axG",@progbits,_ZN7rocprim17ROCPRIM_400000_NS6detail17trampoline_kernelINS0_14default_configENS1_27scan_by_key_config_selectorIj11FixedVectorIiLj4EEEEZZNS1_16scan_by_key_implILNS1_25lookback_scan_determinismE0ELb0ES3_N6thrust23THRUST_200600_302600_NS6detail15normal_iteratorINSB_10device_ptrIjEEEENSD_INSE_IS6_EEEESI_S6_NSB_4plusIvEENSB_8equal_toIvEES6_EE10hipError_tPvRmT2_T3_T4_T5_mT6_T7_P12ihipStream_tbENKUlT_T0_E_clISt17integral_constantIbLb1EES13_EEDaSY_SZ_EUlSY_E_NS1_11comp_targetILNS1_3genE2ELNS1_11target_archE906ELNS1_3gpuE6ELNS1_3repE0EEENS1_30default_config_static_selectorELNS0_4arch9wavefront6targetE1EEEvT1_,comdat
	.protected	_ZN7rocprim17ROCPRIM_400000_NS6detail17trampoline_kernelINS0_14default_configENS1_27scan_by_key_config_selectorIj11FixedVectorIiLj4EEEEZZNS1_16scan_by_key_implILNS1_25lookback_scan_determinismE0ELb0ES3_N6thrust23THRUST_200600_302600_NS6detail15normal_iteratorINSB_10device_ptrIjEEEENSD_INSE_IS6_EEEESI_S6_NSB_4plusIvEENSB_8equal_toIvEES6_EE10hipError_tPvRmT2_T3_T4_T5_mT6_T7_P12ihipStream_tbENKUlT_T0_E_clISt17integral_constantIbLb1EES13_EEDaSY_SZ_EUlSY_E_NS1_11comp_targetILNS1_3genE2ELNS1_11target_archE906ELNS1_3gpuE6ELNS1_3repE0EEENS1_30default_config_static_selectorELNS0_4arch9wavefront6targetE1EEEvT1_ ; -- Begin function _ZN7rocprim17ROCPRIM_400000_NS6detail17trampoline_kernelINS0_14default_configENS1_27scan_by_key_config_selectorIj11FixedVectorIiLj4EEEEZZNS1_16scan_by_key_implILNS1_25lookback_scan_determinismE0ELb0ES3_N6thrust23THRUST_200600_302600_NS6detail15normal_iteratorINSB_10device_ptrIjEEEENSD_INSE_IS6_EEEESI_S6_NSB_4plusIvEENSB_8equal_toIvEES6_EE10hipError_tPvRmT2_T3_T4_T5_mT6_T7_P12ihipStream_tbENKUlT_T0_E_clISt17integral_constantIbLb1EES13_EEDaSY_SZ_EUlSY_E_NS1_11comp_targetILNS1_3genE2ELNS1_11target_archE906ELNS1_3gpuE6ELNS1_3repE0EEENS1_30default_config_static_selectorELNS0_4arch9wavefront6targetE1EEEvT1_
	.globl	_ZN7rocprim17ROCPRIM_400000_NS6detail17trampoline_kernelINS0_14default_configENS1_27scan_by_key_config_selectorIj11FixedVectorIiLj4EEEEZZNS1_16scan_by_key_implILNS1_25lookback_scan_determinismE0ELb0ES3_N6thrust23THRUST_200600_302600_NS6detail15normal_iteratorINSB_10device_ptrIjEEEENSD_INSE_IS6_EEEESI_S6_NSB_4plusIvEENSB_8equal_toIvEES6_EE10hipError_tPvRmT2_T3_T4_T5_mT6_T7_P12ihipStream_tbENKUlT_T0_E_clISt17integral_constantIbLb1EES13_EEDaSY_SZ_EUlSY_E_NS1_11comp_targetILNS1_3genE2ELNS1_11target_archE906ELNS1_3gpuE6ELNS1_3repE0EEENS1_30default_config_static_selectorELNS0_4arch9wavefront6targetE1EEEvT1_
	.p2align	8
	.type	_ZN7rocprim17ROCPRIM_400000_NS6detail17trampoline_kernelINS0_14default_configENS1_27scan_by_key_config_selectorIj11FixedVectorIiLj4EEEEZZNS1_16scan_by_key_implILNS1_25lookback_scan_determinismE0ELb0ES3_N6thrust23THRUST_200600_302600_NS6detail15normal_iteratorINSB_10device_ptrIjEEEENSD_INSE_IS6_EEEESI_S6_NSB_4plusIvEENSB_8equal_toIvEES6_EE10hipError_tPvRmT2_T3_T4_T5_mT6_T7_P12ihipStream_tbENKUlT_T0_E_clISt17integral_constantIbLb1EES13_EEDaSY_SZ_EUlSY_E_NS1_11comp_targetILNS1_3genE2ELNS1_11target_archE906ELNS1_3gpuE6ELNS1_3repE0EEENS1_30default_config_static_selectorELNS0_4arch9wavefront6targetE1EEEvT1_,@function
_ZN7rocprim17ROCPRIM_400000_NS6detail17trampoline_kernelINS0_14default_configENS1_27scan_by_key_config_selectorIj11FixedVectorIiLj4EEEEZZNS1_16scan_by_key_implILNS1_25lookback_scan_determinismE0ELb0ES3_N6thrust23THRUST_200600_302600_NS6detail15normal_iteratorINSB_10device_ptrIjEEEENSD_INSE_IS6_EEEESI_S6_NSB_4plusIvEENSB_8equal_toIvEES6_EE10hipError_tPvRmT2_T3_T4_T5_mT6_T7_P12ihipStream_tbENKUlT_T0_E_clISt17integral_constantIbLb1EES13_EEDaSY_SZ_EUlSY_E_NS1_11comp_targetILNS1_3genE2ELNS1_11target_archE906ELNS1_3gpuE6ELNS1_3repE0EEENS1_30default_config_static_selectorELNS0_4arch9wavefront6targetE1EEEvT1_: ; @_ZN7rocprim17ROCPRIM_400000_NS6detail17trampoline_kernelINS0_14default_configENS1_27scan_by_key_config_selectorIj11FixedVectorIiLj4EEEEZZNS1_16scan_by_key_implILNS1_25lookback_scan_determinismE0ELb0ES3_N6thrust23THRUST_200600_302600_NS6detail15normal_iteratorINSB_10device_ptrIjEEEENSD_INSE_IS6_EEEESI_S6_NSB_4plusIvEENSB_8equal_toIvEES6_EE10hipError_tPvRmT2_T3_T4_T5_mT6_T7_P12ihipStream_tbENKUlT_T0_E_clISt17integral_constantIbLb1EES13_EEDaSY_SZ_EUlSY_E_NS1_11comp_targetILNS1_3genE2ELNS1_11target_archE906ELNS1_3gpuE6ELNS1_3repE0EEENS1_30default_config_static_selectorELNS0_4arch9wavefront6targetE1EEEvT1_
; %bb.0:
	.section	.rodata,"a",@progbits
	.p2align	6, 0x0
	.amdhsa_kernel _ZN7rocprim17ROCPRIM_400000_NS6detail17trampoline_kernelINS0_14default_configENS1_27scan_by_key_config_selectorIj11FixedVectorIiLj4EEEEZZNS1_16scan_by_key_implILNS1_25lookback_scan_determinismE0ELb0ES3_N6thrust23THRUST_200600_302600_NS6detail15normal_iteratorINSB_10device_ptrIjEEEENSD_INSE_IS6_EEEESI_S6_NSB_4plusIvEENSB_8equal_toIvEES6_EE10hipError_tPvRmT2_T3_T4_T5_mT6_T7_P12ihipStream_tbENKUlT_T0_E_clISt17integral_constantIbLb1EES13_EEDaSY_SZ_EUlSY_E_NS1_11comp_targetILNS1_3genE2ELNS1_11target_archE906ELNS1_3gpuE6ELNS1_3repE0EEENS1_30default_config_static_selectorELNS0_4arch9wavefront6targetE1EEEvT1_
		.amdhsa_group_segment_fixed_size 0
		.amdhsa_private_segment_fixed_size 0
		.amdhsa_kernarg_size 144
		.amdhsa_user_sgpr_count 6
		.amdhsa_user_sgpr_private_segment_buffer 1
		.amdhsa_user_sgpr_dispatch_ptr 0
		.amdhsa_user_sgpr_queue_ptr 0
		.amdhsa_user_sgpr_kernarg_segment_ptr 1
		.amdhsa_user_sgpr_dispatch_id 0
		.amdhsa_user_sgpr_flat_scratch_init 0
		.amdhsa_user_sgpr_kernarg_preload_length 0
		.amdhsa_user_sgpr_kernarg_preload_offset 0
		.amdhsa_user_sgpr_private_segment_size 0
		.amdhsa_uses_dynamic_stack 0
		.amdhsa_system_sgpr_private_segment_wavefront_offset 0
		.amdhsa_system_sgpr_workgroup_id_x 1
		.amdhsa_system_sgpr_workgroup_id_y 0
		.amdhsa_system_sgpr_workgroup_id_z 0
		.amdhsa_system_sgpr_workgroup_info 0
		.amdhsa_system_vgpr_workitem_id 0
		.amdhsa_next_free_vgpr 1
		.amdhsa_next_free_sgpr 0
		.amdhsa_accum_offset 4
		.amdhsa_reserve_vcc 0
		.amdhsa_reserve_flat_scratch 0
		.amdhsa_float_round_mode_32 0
		.amdhsa_float_round_mode_16_64 0
		.amdhsa_float_denorm_mode_32 3
		.amdhsa_float_denorm_mode_16_64 3
		.amdhsa_dx10_clamp 1
		.amdhsa_ieee_mode 1
		.amdhsa_fp16_overflow 0
		.amdhsa_tg_split 0
		.amdhsa_exception_fp_ieee_invalid_op 0
		.amdhsa_exception_fp_denorm_src 0
		.amdhsa_exception_fp_ieee_div_zero 0
		.amdhsa_exception_fp_ieee_overflow 0
		.amdhsa_exception_fp_ieee_underflow 0
		.amdhsa_exception_fp_ieee_inexact 0
		.amdhsa_exception_int_div_zero 0
	.end_amdhsa_kernel
	.section	.text._ZN7rocprim17ROCPRIM_400000_NS6detail17trampoline_kernelINS0_14default_configENS1_27scan_by_key_config_selectorIj11FixedVectorIiLj4EEEEZZNS1_16scan_by_key_implILNS1_25lookback_scan_determinismE0ELb0ES3_N6thrust23THRUST_200600_302600_NS6detail15normal_iteratorINSB_10device_ptrIjEEEENSD_INSE_IS6_EEEESI_S6_NSB_4plusIvEENSB_8equal_toIvEES6_EE10hipError_tPvRmT2_T3_T4_T5_mT6_T7_P12ihipStream_tbENKUlT_T0_E_clISt17integral_constantIbLb1EES13_EEDaSY_SZ_EUlSY_E_NS1_11comp_targetILNS1_3genE2ELNS1_11target_archE906ELNS1_3gpuE6ELNS1_3repE0EEENS1_30default_config_static_selectorELNS0_4arch9wavefront6targetE1EEEvT1_,"axG",@progbits,_ZN7rocprim17ROCPRIM_400000_NS6detail17trampoline_kernelINS0_14default_configENS1_27scan_by_key_config_selectorIj11FixedVectorIiLj4EEEEZZNS1_16scan_by_key_implILNS1_25lookback_scan_determinismE0ELb0ES3_N6thrust23THRUST_200600_302600_NS6detail15normal_iteratorINSB_10device_ptrIjEEEENSD_INSE_IS6_EEEESI_S6_NSB_4plusIvEENSB_8equal_toIvEES6_EE10hipError_tPvRmT2_T3_T4_T5_mT6_T7_P12ihipStream_tbENKUlT_T0_E_clISt17integral_constantIbLb1EES13_EEDaSY_SZ_EUlSY_E_NS1_11comp_targetILNS1_3genE2ELNS1_11target_archE906ELNS1_3gpuE6ELNS1_3repE0EEENS1_30default_config_static_selectorELNS0_4arch9wavefront6targetE1EEEvT1_,comdat
.Lfunc_end2049:
	.size	_ZN7rocprim17ROCPRIM_400000_NS6detail17trampoline_kernelINS0_14default_configENS1_27scan_by_key_config_selectorIj11FixedVectorIiLj4EEEEZZNS1_16scan_by_key_implILNS1_25lookback_scan_determinismE0ELb0ES3_N6thrust23THRUST_200600_302600_NS6detail15normal_iteratorINSB_10device_ptrIjEEEENSD_INSE_IS6_EEEESI_S6_NSB_4plusIvEENSB_8equal_toIvEES6_EE10hipError_tPvRmT2_T3_T4_T5_mT6_T7_P12ihipStream_tbENKUlT_T0_E_clISt17integral_constantIbLb1EES13_EEDaSY_SZ_EUlSY_E_NS1_11comp_targetILNS1_3genE2ELNS1_11target_archE906ELNS1_3gpuE6ELNS1_3repE0EEENS1_30default_config_static_selectorELNS0_4arch9wavefront6targetE1EEEvT1_, .Lfunc_end2049-_ZN7rocprim17ROCPRIM_400000_NS6detail17trampoline_kernelINS0_14default_configENS1_27scan_by_key_config_selectorIj11FixedVectorIiLj4EEEEZZNS1_16scan_by_key_implILNS1_25lookback_scan_determinismE0ELb0ES3_N6thrust23THRUST_200600_302600_NS6detail15normal_iteratorINSB_10device_ptrIjEEEENSD_INSE_IS6_EEEESI_S6_NSB_4plusIvEENSB_8equal_toIvEES6_EE10hipError_tPvRmT2_T3_T4_T5_mT6_T7_P12ihipStream_tbENKUlT_T0_E_clISt17integral_constantIbLb1EES13_EEDaSY_SZ_EUlSY_E_NS1_11comp_targetILNS1_3genE2ELNS1_11target_archE906ELNS1_3gpuE6ELNS1_3repE0EEENS1_30default_config_static_selectorELNS0_4arch9wavefront6targetE1EEEvT1_
                                        ; -- End function
	.section	.AMDGPU.csdata,"",@progbits
; Kernel info:
; codeLenInByte = 0
; NumSgprs: 4
; NumVgprs: 0
; NumAgprs: 0
; TotalNumVgprs: 0
; ScratchSize: 0
; MemoryBound: 0
; FloatMode: 240
; IeeeMode: 1
; LDSByteSize: 0 bytes/workgroup (compile time only)
; SGPRBlocks: 0
; VGPRBlocks: 0
; NumSGPRsForWavesPerEU: 4
; NumVGPRsForWavesPerEU: 1
; AccumOffset: 4
; Occupancy: 8
; WaveLimiterHint : 0
; COMPUTE_PGM_RSRC2:SCRATCH_EN: 0
; COMPUTE_PGM_RSRC2:USER_SGPR: 6
; COMPUTE_PGM_RSRC2:TRAP_HANDLER: 0
; COMPUTE_PGM_RSRC2:TGID_X_EN: 1
; COMPUTE_PGM_RSRC2:TGID_Y_EN: 0
; COMPUTE_PGM_RSRC2:TGID_Z_EN: 0
; COMPUTE_PGM_RSRC2:TIDIG_COMP_CNT: 0
; COMPUTE_PGM_RSRC3_GFX90A:ACCUM_OFFSET: 0
; COMPUTE_PGM_RSRC3_GFX90A:TG_SPLIT: 0
	.section	.text._ZN7rocprim17ROCPRIM_400000_NS6detail17trampoline_kernelINS0_14default_configENS1_27scan_by_key_config_selectorIj11FixedVectorIiLj4EEEEZZNS1_16scan_by_key_implILNS1_25lookback_scan_determinismE0ELb0ES3_N6thrust23THRUST_200600_302600_NS6detail15normal_iteratorINSB_10device_ptrIjEEEENSD_INSE_IS6_EEEESI_S6_NSB_4plusIvEENSB_8equal_toIvEES6_EE10hipError_tPvRmT2_T3_T4_T5_mT6_T7_P12ihipStream_tbENKUlT_T0_E_clISt17integral_constantIbLb1EES13_EEDaSY_SZ_EUlSY_E_NS1_11comp_targetILNS1_3genE10ELNS1_11target_archE1200ELNS1_3gpuE4ELNS1_3repE0EEENS1_30default_config_static_selectorELNS0_4arch9wavefront6targetE1EEEvT1_,"axG",@progbits,_ZN7rocprim17ROCPRIM_400000_NS6detail17trampoline_kernelINS0_14default_configENS1_27scan_by_key_config_selectorIj11FixedVectorIiLj4EEEEZZNS1_16scan_by_key_implILNS1_25lookback_scan_determinismE0ELb0ES3_N6thrust23THRUST_200600_302600_NS6detail15normal_iteratorINSB_10device_ptrIjEEEENSD_INSE_IS6_EEEESI_S6_NSB_4plusIvEENSB_8equal_toIvEES6_EE10hipError_tPvRmT2_T3_T4_T5_mT6_T7_P12ihipStream_tbENKUlT_T0_E_clISt17integral_constantIbLb1EES13_EEDaSY_SZ_EUlSY_E_NS1_11comp_targetILNS1_3genE10ELNS1_11target_archE1200ELNS1_3gpuE4ELNS1_3repE0EEENS1_30default_config_static_selectorELNS0_4arch9wavefront6targetE1EEEvT1_,comdat
	.protected	_ZN7rocprim17ROCPRIM_400000_NS6detail17trampoline_kernelINS0_14default_configENS1_27scan_by_key_config_selectorIj11FixedVectorIiLj4EEEEZZNS1_16scan_by_key_implILNS1_25lookback_scan_determinismE0ELb0ES3_N6thrust23THRUST_200600_302600_NS6detail15normal_iteratorINSB_10device_ptrIjEEEENSD_INSE_IS6_EEEESI_S6_NSB_4plusIvEENSB_8equal_toIvEES6_EE10hipError_tPvRmT2_T3_T4_T5_mT6_T7_P12ihipStream_tbENKUlT_T0_E_clISt17integral_constantIbLb1EES13_EEDaSY_SZ_EUlSY_E_NS1_11comp_targetILNS1_3genE10ELNS1_11target_archE1200ELNS1_3gpuE4ELNS1_3repE0EEENS1_30default_config_static_selectorELNS0_4arch9wavefront6targetE1EEEvT1_ ; -- Begin function _ZN7rocprim17ROCPRIM_400000_NS6detail17trampoline_kernelINS0_14default_configENS1_27scan_by_key_config_selectorIj11FixedVectorIiLj4EEEEZZNS1_16scan_by_key_implILNS1_25lookback_scan_determinismE0ELb0ES3_N6thrust23THRUST_200600_302600_NS6detail15normal_iteratorINSB_10device_ptrIjEEEENSD_INSE_IS6_EEEESI_S6_NSB_4plusIvEENSB_8equal_toIvEES6_EE10hipError_tPvRmT2_T3_T4_T5_mT6_T7_P12ihipStream_tbENKUlT_T0_E_clISt17integral_constantIbLb1EES13_EEDaSY_SZ_EUlSY_E_NS1_11comp_targetILNS1_3genE10ELNS1_11target_archE1200ELNS1_3gpuE4ELNS1_3repE0EEENS1_30default_config_static_selectorELNS0_4arch9wavefront6targetE1EEEvT1_
	.globl	_ZN7rocprim17ROCPRIM_400000_NS6detail17trampoline_kernelINS0_14default_configENS1_27scan_by_key_config_selectorIj11FixedVectorIiLj4EEEEZZNS1_16scan_by_key_implILNS1_25lookback_scan_determinismE0ELb0ES3_N6thrust23THRUST_200600_302600_NS6detail15normal_iteratorINSB_10device_ptrIjEEEENSD_INSE_IS6_EEEESI_S6_NSB_4plusIvEENSB_8equal_toIvEES6_EE10hipError_tPvRmT2_T3_T4_T5_mT6_T7_P12ihipStream_tbENKUlT_T0_E_clISt17integral_constantIbLb1EES13_EEDaSY_SZ_EUlSY_E_NS1_11comp_targetILNS1_3genE10ELNS1_11target_archE1200ELNS1_3gpuE4ELNS1_3repE0EEENS1_30default_config_static_selectorELNS0_4arch9wavefront6targetE1EEEvT1_
	.p2align	8
	.type	_ZN7rocprim17ROCPRIM_400000_NS6detail17trampoline_kernelINS0_14default_configENS1_27scan_by_key_config_selectorIj11FixedVectorIiLj4EEEEZZNS1_16scan_by_key_implILNS1_25lookback_scan_determinismE0ELb0ES3_N6thrust23THRUST_200600_302600_NS6detail15normal_iteratorINSB_10device_ptrIjEEEENSD_INSE_IS6_EEEESI_S6_NSB_4plusIvEENSB_8equal_toIvEES6_EE10hipError_tPvRmT2_T3_T4_T5_mT6_T7_P12ihipStream_tbENKUlT_T0_E_clISt17integral_constantIbLb1EES13_EEDaSY_SZ_EUlSY_E_NS1_11comp_targetILNS1_3genE10ELNS1_11target_archE1200ELNS1_3gpuE4ELNS1_3repE0EEENS1_30default_config_static_selectorELNS0_4arch9wavefront6targetE1EEEvT1_,@function
_ZN7rocprim17ROCPRIM_400000_NS6detail17trampoline_kernelINS0_14default_configENS1_27scan_by_key_config_selectorIj11FixedVectorIiLj4EEEEZZNS1_16scan_by_key_implILNS1_25lookback_scan_determinismE0ELb0ES3_N6thrust23THRUST_200600_302600_NS6detail15normal_iteratorINSB_10device_ptrIjEEEENSD_INSE_IS6_EEEESI_S6_NSB_4plusIvEENSB_8equal_toIvEES6_EE10hipError_tPvRmT2_T3_T4_T5_mT6_T7_P12ihipStream_tbENKUlT_T0_E_clISt17integral_constantIbLb1EES13_EEDaSY_SZ_EUlSY_E_NS1_11comp_targetILNS1_3genE10ELNS1_11target_archE1200ELNS1_3gpuE4ELNS1_3repE0EEENS1_30default_config_static_selectorELNS0_4arch9wavefront6targetE1EEEvT1_: ; @_ZN7rocprim17ROCPRIM_400000_NS6detail17trampoline_kernelINS0_14default_configENS1_27scan_by_key_config_selectorIj11FixedVectorIiLj4EEEEZZNS1_16scan_by_key_implILNS1_25lookback_scan_determinismE0ELb0ES3_N6thrust23THRUST_200600_302600_NS6detail15normal_iteratorINSB_10device_ptrIjEEEENSD_INSE_IS6_EEEESI_S6_NSB_4plusIvEENSB_8equal_toIvEES6_EE10hipError_tPvRmT2_T3_T4_T5_mT6_T7_P12ihipStream_tbENKUlT_T0_E_clISt17integral_constantIbLb1EES13_EEDaSY_SZ_EUlSY_E_NS1_11comp_targetILNS1_3genE10ELNS1_11target_archE1200ELNS1_3gpuE4ELNS1_3repE0EEENS1_30default_config_static_selectorELNS0_4arch9wavefront6targetE1EEEvT1_
; %bb.0:
	.section	.rodata,"a",@progbits
	.p2align	6, 0x0
	.amdhsa_kernel _ZN7rocprim17ROCPRIM_400000_NS6detail17trampoline_kernelINS0_14default_configENS1_27scan_by_key_config_selectorIj11FixedVectorIiLj4EEEEZZNS1_16scan_by_key_implILNS1_25lookback_scan_determinismE0ELb0ES3_N6thrust23THRUST_200600_302600_NS6detail15normal_iteratorINSB_10device_ptrIjEEEENSD_INSE_IS6_EEEESI_S6_NSB_4plusIvEENSB_8equal_toIvEES6_EE10hipError_tPvRmT2_T3_T4_T5_mT6_T7_P12ihipStream_tbENKUlT_T0_E_clISt17integral_constantIbLb1EES13_EEDaSY_SZ_EUlSY_E_NS1_11comp_targetILNS1_3genE10ELNS1_11target_archE1200ELNS1_3gpuE4ELNS1_3repE0EEENS1_30default_config_static_selectorELNS0_4arch9wavefront6targetE1EEEvT1_
		.amdhsa_group_segment_fixed_size 0
		.amdhsa_private_segment_fixed_size 0
		.amdhsa_kernarg_size 144
		.amdhsa_user_sgpr_count 6
		.amdhsa_user_sgpr_private_segment_buffer 1
		.amdhsa_user_sgpr_dispatch_ptr 0
		.amdhsa_user_sgpr_queue_ptr 0
		.amdhsa_user_sgpr_kernarg_segment_ptr 1
		.amdhsa_user_sgpr_dispatch_id 0
		.amdhsa_user_sgpr_flat_scratch_init 0
		.amdhsa_user_sgpr_kernarg_preload_length 0
		.amdhsa_user_sgpr_kernarg_preload_offset 0
		.amdhsa_user_sgpr_private_segment_size 0
		.amdhsa_uses_dynamic_stack 0
		.amdhsa_system_sgpr_private_segment_wavefront_offset 0
		.amdhsa_system_sgpr_workgroup_id_x 1
		.amdhsa_system_sgpr_workgroup_id_y 0
		.amdhsa_system_sgpr_workgroup_id_z 0
		.amdhsa_system_sgpr_workgroup_info 0
		.amdhsa_system_vgpr_workitem_id 0
		.amdhsa_next_free_vgpr 1
		.amdhsa_next_free_sgpr 0
		.amdhsa_accum_offset 4
		.amdhsa_reserve_vcc 0
		.amdhsa_reserve_flat_scratch 0
		.amdhsa_float_round_mode_32 0
		.amdhsa_float_round_mode_16_64 0
		.amdhsa_float_denorm_mode_32 3
		.amdhsa_float_denorm_mode_16_64 3
		.amdhsa_dx10_clamp 1
		.amdhsa_ieee_mode 1
		.amdhsa_fp16_overflow 0
		.amdhsa_tg_split 0
		.amdhsa_exception_fp_ieee_invalid_op 0
		.amdhsa_exception_fp_denorm_src 0
		.amdhsa_exception_fp_ieee_div_zero 0
		.amdhsa_exception_fp_ieee_overflow 0
		.amdhsa_exception_fp_ieee_underflow 0
		.amdhsa_exception_fp_ieee_inexact 0
		.amdhsa_exception_int_div_zero 0
	.end_amdhsa_kernel
	.section	.text._ZN7rocprim17ROCPRIM_400000_NS6detail17trampoline_kernelINS0_14default_configENS1_27scan_by_key_config_selectorIj11FixedVectorIiLj4EEEEZZNS1_16scan_by_key_implILNS1_25lookback_scan_determinismE0ELb0ES3_N6thrust23THRUST_200600_302600_NS6detail15normal_iteratorINSB_10device_ptrIjEEEENSD_INSE_IS6_EEEESI_S6_NSB_4plusIvEENSB_8equal_toIvEES6_EE10hipError_tPvRmT2_T3_T4_T5_mT6_T7_P12ihipStream_tbENKUlT_T0_E_clISt17integral_constantIbLb1EES13_EEDaSY_SZ_EUlSY_E_NS1_11comp_targetILNS1_3genE10ELNS1_11target_archE1200ELNS1_3gpuE4ELNS1_3repE0EEENS1_30default_config_static_selectorELNS0_4arch9wavefront6targetE1EEEvT1_,"axG",@progbits,_ZN7rocprim17ROCPRIM_400000_NS6detail17trampoline_kernelINS0_14default_configENS1_27scan_by_key_config_selectorIj11FixedVectorIiLj4EEEEZZNS1_16scan_by_key_implILNS1_25lookback_scan_determinismE0ELb0ES3_N6thrust23THRUST_200600_302600_NS6detail15normal_iteratorINSB_10device_ptrIjEEEENSD_INSE_IS6_EEEESI_S6_NSB_4plusIvEENSB_8equal_toIvEES6_EE10hipError_tPvRmT2_T3_T4_T5_mT6_T7_P12ihipStream_tbENKUlT_T0_E_clISt17integral_constantIbLb1EES13_EEDaSY_SZ_EUlSY_E_NS1_11comp_targetILNS1_3genE10ELNS1_11target_archE1200ELNS1_3gpuE4ELNS1_3repE0EEENS1_30default_config_static_selectorELNS0_4arch9wavefront6targetE1EEEvT1_,comdat
.Lfunc_end2050:
	.size	_ZN7rocprim17ROCPRIM_400000_NS6detail17trampoline_kernelINS0_14default_configENS1_27scan_by_key_config_selectorIj11FixedVectorIiLj4EEEEZZNS1_16scan_by_key_implILNS1_25lookback_scan_determinismE0ELb0ES3_N6thrust23THRUST_200600_302600_NS6detail15normal_iteratorINSB_10device_ptrIjEEEENSD_INSE_IS6_EEEESI_S6_NSB_4plusIvEENSB_8equal_toIvEES6_EE10hipError_tPvRmT2_T3_T4_T5_mT6_T7_P12ihipStream_tbENKUlT_T0_E_clISt17integral_constantIbLb1EES13_EEDaSY_SZ_EUlSY_E_NS1_11comp_targetILNS1_3genE10ELNS1_11target_archE1200ELNS1_3gpuE4ELNS1_3repE0EEENS1_30default_config_static_selectorELNS0_4arch9wavefront6targetE1EEEvT1_, .Lfunc_end2050-_ZN7rocprim17ROCPRIM_400000_NS6detail17trampoline_kernelINS0_14default_configENS1_27scan_by_key_config_selectorIj11FixedVectorIiLj4EEEEZZNS1_16scan_by_key_implILNS1_25lookback_scan_determinismE0ELb0ES3_N6thrust23THRUST_200600_302600_NS6detail15normal_iteratorINSB_10device_ptrIjEEEENSD_INSE_IS6_EEEESI_S6_NSB_4plusIvEENSB_8equal_toIvEES6_EE10hipError_tPvRmT2_T3_T4_T5_mT6_T7_P12ihipStream_tbENKUlT_T0_E_clISt17integral_constantIbLb1EES13_EEDaSY_SZ_EUlSY_E_NS1_11comp_targetILNS1_3genE10ELNS1_11target_archE1200ELNS1_3gpuE4ELNS1_3repE0EEENS1_30default_config_static_selectorELNS0_4arch9wavefront6targetE1EEEvT1_
                                        ; -- End function
	.section	.AMDGPU.csdata,"",@progbits
; Kernel info:
; codeLenInByte = 0
; NumSgprs: 4
; NumVgprs: 0
; NumAgprs: 0
; TotalNumVgprs: 0
; ScratchSize: 0
; MemoryBound: 0
; FloatMode: 240
; IeeeMode: 1
; LDSByteSize: 0 bytes/workgroup (compile time only)
; SGPRBlocks: 0
; VGPRBlocks: 0
; NumSGPRsForWavesPerEU: 4
; NumVGPRsForWavesPerEU: 1
; AccumOffset: 4
; Occupancy: 8
; WaveLimiterHint : 0
; COMPUTE_PGM_RSRC2:SCRATCH_EN: 0
; COMPUTE_PGM_RSRC2:USER_SGPR: 6
; COMPUTE_PGM_RSRC2:TRAP_HANDLER: 0
; COMPUTE_PGM_RSRC2:TGID_X_EN: 1
; COMPUTE_PGM_RSRC2:TGID_Y_EN: 0
; COMPUTE_PGM_RSRC2:TGID_Z_EN: 0
; COMPUTE_PGM_RSRC2:TIDIG_COMP_CNT: 0
; COMPUTE_PGM_RSRC3_GFX90A:ACCUM_OFFSET: 0
; COMPUTE_PGM_RSRC3_GFX90A:TG_SPLIT: 0
	.section	.text._ZN7rocprim17ROCPRIM_400000_NS6detail17trampoline_kernelINS0_14default_configENS1_27scan_by_key_config_selectorIj11FixedVectorIiLj4EEEEZZNS1_16scan_by_key_implILNS1_25lookback_scan_determinismE0ELb0ES3_N6thrust23THRUST_200600_302600_NS6detail15normal_iteratorINSB_10device_ptrIjEEEENSD_INSE_IS6_EEEESI_S6_NSB_4plusIvEENSB_8equal_toIvEES6_EE10hipError_tPvRmT2_T3_T4_T5_mT6_T7_P12ihipStream_tbENKUlT_T0_E_clISt17integral_constantIbLb1EES13_EEDaSY_SZ_EUlSY_E_NS1_11comp_targetILNS1_3genE9ELNS1_11target_archE1100ELNS1_3gpuE3ELNS1_3repE0EEENS1_30default_config_static_selectorELNS0_4arch9wavefront6targetE1EEEvT1_,"axG",@progbits,_ZN7rocprim17ROCPRIM_400000_NS6detail17trampoline_kernelINS0_14default_configENS1_27scan_by_key_config_selectorIj11FixedVectorIiLj4EEEEZZNS1_16scan_by_key_implILNS1_25lookback_scan_determinismE0ELb0ES3_N6thrust23THRUST_200600_302600_NS6detail15normal_iteratorINSB_10device_ptrIjEEEENSD_INSE_IS6_EEEESI_S6_NSB_4plusIvEENSB_8equal_toIvEES6_EE10hipError_tPvRmT2_T3_T4_T5_mT6_T7_P12ihipStream_tbENKUlT_T0_E_clISt17integral_constantIbLb1EES13_EEDaSY_SZ_EUlSY_E_NS1_11comp_targetILNS1_3genE9ELNS1_11target_archE1100ELNS1_3gpuE3ELNS1_3repE0EEENS1_30default_config_static_selectorELNS0_4arch9wavefront6targetE1EEEvT1_,comdat
	.protected	_ZN7rocprim17ROCPRIM_400000_NS6detail17trampoline_kernelINS0_14default_configENS1_27scan_by_key_config_selectorIj11FixedVectorIiLj4EEEEZZNS1_16scan_by_key_implILNS1_25lookback_scan_determinismE0ELb0ES3_N6thrust23THRUST_200600_302600_NS6detail15normal_iteratorINSB_10device_ptrIjEEEENSD_INSE_IS6_EEEESI_S6_NSB_4plusIvEENSB_8equal_toIvEES6_EE10hipError_tPvRmT2_T3_T4_T5_mT6_T7_P12ihipStream_tbENKUlT_T0_E_clISt17integral_constantIbLb1EES13_EEDaSY_SZ_EUlSY_E_NS1_11comp_targetILNS1_3genE9ELNS1_11target_archE1100ELNS1_3gpuE3ELNS1_3repE0EEENS1_30default_config_static_selectorELNS0_4arch9wavefront6targetE1EEEvT1_ ; -- Begin function _ZN7rocprim17ROCPRIM_400000_NS6detail17trampoline_kernelINS0_14default_configENS1_27scan_by_key_config_selectorIj11FixedVectorIiLj4EEEEZZNS1_16scan_by_key_implILNS1_25lookback_scan_determinismE0ELb0ES3_N6thrust23THRUST_200600_302600_NS6detail15normal_iteratorINSB_10device_ptrIjEEEENSD_INSE_IS6_EEEESI_S6_NSB_4plusIvEENSB_8equal_toIvEES6_EE10hipError_tPvRmT2_T3_T4_T5_mT6_T7_P12ihipStream_tbENKUlT_T0_E_clISt17integral_constantIbLb1EES13_EEDaSY_SZ_EUlSY_E_NS1_11comp_targetILNS1_3genE9ELNS1_11target_archE1100ELNS1_3gpuE3ELNS1_3repE0EEENS1_30default_config_static_selectorELNS0_4arch9wavefront6targetE1EEEvT1_
	.globl	_ZN7rocprim17ROCPRIM_400000_NS6detail17trampoline_kernelINS0_14default_configENS1_27scan_by_key_config_selectorIj11FixedVectorIiLj4EEEEZZNS1_16scan_by_key_implILNS1_25lookback_scan_determinismE0ELb0ES3_N6thrust23THRUST_200600_302600_NS6detail15normal_iteratorINSB_10device_ptrIjEEEENSD_INSE_IS6_EEEESI_S6_NSB_4plusIvEENSB_8equal_toIvEES6_EE10hipError_tPvRmT2_T3_T4_T5_mT6_T7_P12ihipStream_tbENKUlT_T0_E_clISt17integral_constantIbLb1EES13_EEDaSY_SZ_EUlSY_E_NS1_11comp_targetILNS1_3genE9ELNS1_11target_archE1100ELNS1_3gpuE3ELNS1_3repE0EEENS1_30default_config_static_selectorELNS0_4arch9wavefront6targetE1EEEvT1_
	.p2align	8
	.type	_ZN7rocprim17ROCPRIM_400000_NS6detail17trampoline_kernelINS0_14default_configENS1_27scan_by_key_config_selectorIj11FixedVectorIiLj4EEEEZZNS1_16scan_by_key_implILNS1_25lookback_scan_determinismE0ELb0ES3_N6thrust23THRUST_200600_302600_NS6detail15normal_iteratorINSB_10device_ptrIjEEEENSD_INSE_IS6_EEEESI_S6_NSB_4plusIvEENSB_8equal_toIvEES6_EE10hipError_tPvRmT2_T3_T4_T5_mT6_T7_P12ihipStream_tbENKUlT_T0_E_clISt17integral_constantIbLb1EES13_EEDaSY_SZ_EUlSY_E_NS1_11comp_targetILNS1_3genE9ELNS1_11target_archE1100ELNS1_3gpuE3ELNS1_3repE0EEENS1_30default_config_static_selectorELNS0_4arch9wavefront6targetE1EEEvT1_,@function
_ZN7rocprim17ROCPRIM_400000_NS6detail17trampoline_kernelINS0_14default_configENS1_27scan_by_key_config_selectorIj11FixedVectorIiLj4EEEEZZNS1_16scan_by_key_implILNS1_25lookback_scan_determinismE0ELb0ES3_N6thrust23THRUST_200600_302600_NS6detail15normal_iteratorINSB_10device_ptrIjEEEENSD_INSE_IS6_EEEESI_S6_NSB_4plusIvEENSB_8equal_toIvEES6_EE10hipError_tPvRmT2_T3_T4_T5_mT6_T7_P12ihipStream_tbENKUlT_T0_E_clISt17integral_constantIbLb1EES13_EEDaSY_SZ_EUlSY_E_NS1_11comp_targetILNS1_3genE9ELNS1_11target_archE1100ELNS1_3gpuE3ELNS1_3repE0EEENS1_30default_config_static_selectorELNS0_4arch9wavefront6targetE1EEEvT1_: ; @_ZN7rocprim17ROCPRIM_400000_NS6detail17trampoline_kernelINS0_14default_configENS1_27scan_by_key_config_selectorIj11FixedVectorIiLj4EEEEZZNS1_16scan_by_key_implILNS1_25lookback_scan_determinismE0ELb0ES3_N6thrust23THRUST_200600_302600_NS6detail15normal_iteratorINSB_10device_ptrIjEEEENSD_INSE_IS6_EEEESI_S6_NSB_4plusIvEENSB_8equal_toIvEES6_EE10hipError_tPvRmT2_T3_T4_T5_mT6_T7_P12ihipStream_tbENKUlT_T0_E_clISt17integral_constantIbLb1EES13_EEDaSY_SZ_EUlSY_E_NS1_11comp_targetILNS1_3genE9ELNS1_11target_archE1100ELNS1_3gpuE3ELNS1_3repE0EEENS1_30default_config_static_selectorELNS0_4arch9wavefront6targetE1EEEvT1_
; %bb.0:
	.section	.rodata,"a",@progbits
	.p2align	6, 0x0
	.amdhsa_kernel _ZN7rocprim17ROCPRIM_400000_NS6detail17trampoline_kernelINS0_14default_configENS1_27scan_by_key_config_selectorIj11FixedVectorIiLj4EEEEZZNS1_16scan_by_key_implILNS1_25lookback_scan_determinismE0ELb0ES3_N6thrust23THRUST_200600_302600_NS6detail15normal_iteratorINSB_10device_ptrIjEEEENSD_INSE_IS6_EEEESI_S6_NSB_4plusIvEENSB_8equal_toIvEES6_EE10hipError_tPvRmT2_T3_T4_T5_mT6_T7_P12ihipStream_tbENKUlT_T0_E_clISt17integral_constantIbLb1EES13_EEDaSY_SZ_EUlSY_E_NS1_11comp_targetILNS1_3genE9ELNS1_11target_archE1100ELNS1_3gpuE3ELNS1_3repE0EEENS1_30default_config_static_selectorELNS0_4arch9wavefront6targetE1EEEvT1_
		.amdhsa_group_segment_fixed_size 0
		.amdhsa_private_segment_fixed_size 0
		.amdhsa_kernarg_size 144
		.amdhsa_user_sgpr_count 6
		.amdhsa_user_sgpr_private_segment_buffer 1
		.amdhsa_user_sgpr_dispatch_ptr 0
		.amdhsa_user_sgpr_queue_ptr 0
		.amdhsa_user_sgpr_kernarg_segment_ptr 1
		.amdhsa_user_sgpr_dispatch_id 0
		.amdhsa_user_sgpr_flat_scratch_init 0
		.amdhsa_user_sgpr_kernarg_preload_length 0
		.amdhsa_user_sgpr_kernarg_preload_offset 0
		.amdhsa_user_sgpr_private_segment_size 0
		.amdhsa_uses_dynamic_stack 0
		.amdhsa_system_sgpr_private_segment_wavefront_offset 0
		.amdhsa_system_sgpr_workgroup_id_x 1
		.amdhsa_system_sgpr_workgroup_id_y 0
		.amdhsa_system_sgpr_workgroup_id_z 0
		.amdhsa_system_sgpr_workgroup_info 0
		.amdhsa_system_vgpr_workitem_id 0
		.amdhsa_next_free_vgpr 1
		.amdhsa_next_free_sgpr 0
		.amdhsa_accum_offset 4
		.amdhsa_reserve_vcc 0
		.amdhsa_reserve_flat_scratch 0
		.amdhsa_float_round_mode_32 0
		.amdhsa_float_round_mode_16_64 0
		.amdhsa_float_denorm_mode_32 3
		.amdhsa_float_denorm_mode_16_64 3
		.amdhsa_dx10_clamp 1
		.amdhsa_ieee_mode 1
		.amdhsa_fp16_overflow 0
		.amdhsa_tg_split 0
		.amdhsa_exception_fp_ieee_invalid_op 0
		.amdhsa_exception_fp_denorm_src 0
		.amdhsa_exception_fp_ieee_div_zero 0
		.amdhsa_exception_fp_ieee_overflow 0
		.amdhsa_exception_fp_ieee_underflow 0
		.amdhsa_exception_fp_ieee_inexact 0
		.amdhsa_exception_int_div_zero 0
	.end_amdhsa_kernel
	.section	.text._ZN7rocprim17ROCPRIM_400000_NS6detail17trampoline_kernelINS0_14default_configENS1_27scan_by_key_config_selectorIj11FixedVectorIiLj4EEEEZZNS1_16scan_by_key_implILNS1_25lookback_scan_determinismE0ELb0ES3_N6thrust23THRUST_200600_302600_NS6detail15normal_iteratorINSB_10device_ptrIjEEEENSD_INSE_IS6_EEEESI_S6_NSB_4plusIvEENSB_8equal_toIvEES6_EE10hipError_tPvRmT2_T3_T4_T5_mT6_T7_P12ihipStream_tbENKUlT_T0_E_clISt17integral_constantIbLb1EES13_EEDaSY_SZ_EUlSY_E_NS1_11comp_targetILNS1_3genE9ELNS1_11target_archE1100ELNS1_3gpuE3ELNS1_3repE0EEENS1_30default_config_static_selectorELNS0_4arch9wavefront6targetE1EEEvT1_,"axG",@progbits,_ZN7rocprim17ROCPRIM_400000_NS6detail17trampoline_kernelINS0_14default_configENS1_27scan_by_key_config_selectorIj11FixedVectorIiLj4EEEEZZNS1_16scan_by_key_implILNS1_25lookback_scan_determinismE0ELb0ES3_N6thrust23THRUST_200600_302600_NS6detail15normal_iteratorINSB_10device_ptrIjEEEENSD_INSE_IS6_EEEESI_S6_NSB_4plusIvEENSB_8equal_toIvEES6_EE10hipError_tPvRmT2_T3_T4_T5_mT6_T7_P12ihipStream_tbENKUlT_T0_E_clISt17integral_constantIbLb1EES13_EEDaSY_SZ_EUlSY_E_NS1_11comp_targetILNS1_3genE9ELNS1_11target_archE1100ELNS1_3gpuE3ELNS1_3repE0EEENS1_30default_config_static_selectorELNS0_4arch9wavefront6targetE1EEEvT1_,comdat
.Lfunc_end2051:
	.size	_ZN7rocprim17ROCPRIM_400000_NS6detail17trampoline_kernelINS0_14default_configENS1_27scan_by_key_config_selectorIj11FixedVectorIiLj4EEEEZZNS1_16scan_by_key_implILNS1_25lookback_scan_determinismE0ELb0ES3_N6thrust23THRUST_200600_302600_NS6detail15normal_iteratorINSB_10device_ptrIjEEEENSD_INSE_IS6_EEEESI_S6_NSB_4plusIvEENSB_8equal_toIvEES6_EE10hipError_tPvRmT2_T3_T4_T5_mT6_T7_P12ihipStream_tbENKUlT_T0_E_clISt17integral_constantIbLb1EES13_EEDaSY_SZ_EUlSY_E_NS1_11comp_targetILNS1_3genE9ELNS1_11target_archE1100ELNS1_3gpuE3ELNS1_3repE0EEENS1_30default_config_static_selectorELNS0_4arch9wavefront6targetE1EEEvT1_, .Lfunc_end2051-_ZN7rocprim17ROCPRIM_400000_NS6detail17trampoline_kernelINS0_14default_configENS1_27scan_by_key_config_selectorIj11FixedVectorIiLj4EEEEZZNS1_16scan_by_key_implILNS1_25lookback_scan_determinismE0ELb0ES3_N6thrust23THRUST_200600_302600_NS6detail15normal_iteratorINSB_10device_ptrIjEEEENSD_INSE_IS6_EEEESI_S6_NSB_4plusIvEENSB_8equal_toIvEES6_EE10hipError_tPvRmT2_T3_T4_T5_mT6_T7_P12ihipStream_tbENKUlT_T0_E_clISt17integral_constantIbLb1EES13_EEDaSY_SZ_EUlSY_E_NS1_11comp_targetILNS1_3genE9ELNS1_11target_archE1100ELNS1_3gpuE3ELNS1_3repE0EEENS1_30default_config_static_selectorELNS0_4arch9wavefront6targetE1EEEvT1_
                                        ; -- End function
	.section	.AMDGPU.csdata,"",@progbits
; Kernel info:
; codeLenInByte = 0
; NumSgprs: 4
; NumVgprs: 0
; NumAgprs: 0
; TotalNumVgprs: 0
; ScratchSize: 0
; MemoryBound: 0
; FloatMode: 240
; IeeeMode: 1
; LDSByteSize: 0 bytes/workgroup (compile time only)
; SGPRBlocks: 0
; VGPRBlocks: 0
; NumSGPRsForWavesPerEU: 4
; NumVGPRsForWavesPerEU: 1
; AccumOffset: 4
; Occupancy: 8
; WaveLimiterHint : 0
; COMPUTE_PGM_RSRC2:SCRATCH_EN: 0
; COMPUTE_PGM_RSRC2:USER_SGPR: 6
; COMPUTE_PGM_RSRC2:TRAP_HANDLER: 0
; COMPUTE_PGM_RSRC2:TGID_X_EN: 1
; COMPUTE_PGM_RSRC2:TGID_Y_EN: 0
; COMPUTE_PGM_RSRC2:TGID_Z_EN: 0
; COMPUTE_PGM_RSRC2:TIDIG_COMP_CNT: 0
; COMPUTE_PGM_RSRC3_GFX90A:ACCUM_OFFSET: 0
; COMPUTE_PGM_RSRC3_GFX90A:TG_SPLIT: 0
	.section	.text._ZN7rocprim17ROCPRIM_400000_NS6detail17trampoline_kernelINS0_14default_configENS1_27scan_by_key_config_selectorIj11FixedVectorIiLj4EEEEZZNS1_16scan_by_key_implILNS1_25lookback_scan_determinismE0ELb0ES3_N6thrust23THRUST_200600_302600_NS6detail15normal_iteratorINSB_10device_ptrIjEEEENSD_INSE_IS6_EEEESI_S6_NSB_4plusIvEENSB_8equal_toIvEES6_EE10hipError_tPvRmT2_T3_T4_T5_mT6_T7_P12ihipStream_tbENKUlT_T0_E_clISt17integral_constantIbLb1EES13_EEDaSY_SZ_EUlSY_E_NS1_11comp_targetILNS1_3genE8ELNS1_11target_archE1030ELNS1_3gpuE2ELNS1_3repE0EEENS1_30default_config_static_selectorELNS0_4arch9wavefront6targetE1EEEvT1_,"axG",@progbits,_ZN7rocprim17ROCPRIM_400000_NS6detail17trampoline_kernelINS0_14default_configENS1_27scan_by_key_config_selectorIj11FixedVectorIiLj4EEEEZZNS1_16scan_by_key_implILNS1_25lookback_scan_determinismE0ELb0ES3_N6thrust23THRUST_200600_302600_NS6detail15normal_iteratorINSB_10device_ptrIjEEEENSD_INSE_IS6_EEEESI_S6_NSB_4plusIvEENSB_8equal_toIvEES6_EE10hipError_tPvRmT2_T3_T4_T5_mT6_T7_P12ihipStream_tbENKUlT_T0_E_clISt17integral_constantIbLb1EES13_EEDaSY_SZ_EUlSY_E_NS1_11comp_targetILNS1_3genE8ELNS1_11target_archE1030ELNS1_3gpuE2ELNS1_3repE0EEENS1_30default_config_static_selectorELNS0_4arch9wavefront6targetE1EEEvT1_,comdat
	.protected	_ZN7rocprim17ROCPRIM_400000_NS6detail17trampoline_kernelINS0_14default_configENS1_27scan_by_key_config_selectorIj11FixedVectorIiLj4EEEEZZNS1_16scan_by_key_implILNS1_25lookback_scan_determinismE0ELb0ES3_N6thrust23THRUST_200600_302600_NS6detail15normal_iteratorINSB_10device_ptrIjEEEENSD_INSE_IS6_EEEESI_S6_NSB_4plusIvEENSB_8equal_toIvEES6_EE10hipError_tPvRmT2_T3_T4_T5_mT6_T7_P12ihipStream_tbENKUlT_T0_E_clISt17integral_constantIbLb1EES13_EEDaSY_SZ_EUlSY_E_NS1_11comp_targetILNS1_3genE8ELNS1_11target_archE1030ELNS1_3gpuE2ELNS1_3repE0EEENS1_30default_config_static_selectorELNS0_4arch9wavefront6targetE1EEEvT1_ ; -- Begin function _ZN7rocprim17ROCPRIM_400000_NS6detail17trampoline_kernelINS0_14default_configENS1_27scan_by_key_config_selectorIj11FixedVectorIiLj4EEEEZZNS1_16scan_by_key_implILNS1_25lookback_scan_determinismE0ELb0ES3_N6thrust23THRUST_200600_302600_NS6detail15normal_iteratorINSB_10device_ptrIjEEEENSD_INSE_IS6_EEEESI_S6_NSB_4plusIvEENSB_8equal_toIvEES6_EE10hipError_tPvRmT2_T3_T4_T5_mT6_T7_P12ihipStream_tbENKUlT_T0_E_clISt17integral_constantIbLb1EES13_EEDaSY_SZ_EUlSY_E_NS1_11comp_targetILNS1_3genE8ELNS1_11target_archE1030ELNS1_3gpuE2ELNS1_3repE0EEENS1_30default_config_static_selectorELNS0_4arch9wavefront6targetE1EEEvT1_
	.globl	_ZN7rocprim17ROCPRIM_400000_NS6detail17trampoline_kernelINS0_14default_configENS1_27scan_by_key_config_selectorIj11FixedVectorIiLj4EEEEZZNS1_16scan_by_key_implILNS1_25lookback_scan_determinismE0ELb0ES3_N6thrust23THRUST_200600_302600_NS6detail15normal_iteratorINSB_10device_ptrIjEEEENSD_INSE_IS6_EEEESI_S6_NSB_4plusIvEENSB_8equal_toIvEES6_EE10hipError_tPvRmT2_T3_T4_T5_mT6_T7_P12ihipStream_tbENKUlT_T0_E_clISt17integral_constantIbLb1EES13_EEDaSY_SZ_EUlSY_E_NS1_11comp_targetILNS1_3genE8ELNS1_11target_archE1030ELNS1_3gpuE2ELNS1_3repE0EEENS1_30default_config_static_selectorELNS0_4arch9wavefront6targetE1EEEvT1_
	.p2align	8
	.type	_ZN7rocprim17ROCPRIM_400000_NS6detail17trampoline_kernelINS0_14default_configENS1_27scan_by_key_config_selectorIj11FixedVectorIiLj4EEEEZZNS1_16scan_by_key_implILNS1_25lookback_scan_determinismE0ELb0ES3_N6thrust23THRUST_200600_302600_NS6detail15normal_iteratorINSB_10device_ptrIjEEEENSD_INSE_IS6_EEEESI_S6_NSB_4plusIvEENSB_8equal_toIvEES6_EE10hipError_tPvRmT2_T3_T4_T5_mT6_T7_P12ihipStream_tbENKUlT_T0_E_clISt17integral_constantIbLb1EES13_EEDaSY_SZ_EUlSY_E_NS1_11comp_targetILNS1_3genE8ELNS1_11target_archE1030ELNS1_3gpuE2ELNS1_3repE0EEENS1_30default_config_static_selectorELNS0_4arch9wavefront6targetE1EEEvT1_,@function
_ZN7rocprim17ROCPRIM_400000_NS6detail17trampoline_kernelINS0_14default_configENS1_27scan_by_key_config_selectorIj11FixedVectorIiLj4EEEEZZNS1_16scan_by_key_implILNS1_25lookback_scan_determinismE0ELb0ES3_N6thrust23THRUST_200600_302600_NS6detail15normal_iteratorINSB_10device_ptrIjEEEENSD_INSE_IS6_EEEESI_S6_NSB_4plusIvEENSB_8equal_toIvEES6_EE10hipError_tPvRmT2_T3_T4_T5_mT6_T7_P12ihipStream_tbENKUlT_T0_E_clISt17integral_constantIbLb1EES13_EEDaSY_SZ_EUlSY_E_NS1_11comp_targetILNS1_3genE8ELNS1_11target_archE1030ELNS1_3gpuE2ELNS1_3repE0EEENS1_30default_config_static_selectorELNS0_4arch9wavefront6targetE1EEEvT1_: ; @_ZN7rocprim17ROCPRIM_400000_NS6detail17trampoline_kernelINS0_14default_configENS1_27scan_by_key_config_selectorIj11FixedVectorIiLj4EEEEZZNS1_16scan_by_key_implILNS1_25lookback_scan_determinismE0ELb0ES3_N6thrust23THRUST_200600_302600_NS6detail15normal_iteratorINSB_10device_ptrIjEEEENSD_INSE_IS6_EEEESI_S6_NSB_4plusIvEENSB_8equal_toIvEES6_EE10hipError_tPvRmT2_T3_T4_T5_mT6_T7_P12ihipStream_tbENKUlT_T0_E_clISt17integral_constantIbLb1EES13_EEDaSY_SZ_EUlSY_E_NS1_11comp_targetILNS1_3genE8ELNS1_11target_archE1030ELNS1_3gpuE2ELNS1_3repE0EEENS1_30default_config_static_selectorELNS0_4arch9wavefront6targetE1EEEvT1_
; %bb.0:
	.section	.rodata,"a",@progbits
	.p2align	6, 0x0
	.amdhsa_kernel _ZN7rocprim17ROCPRIM_400000_NS6detail17trampoline_kernelINS0_14default_configENS1_27scan_by_key_config_selectorIj11FixedVectorIiLj4EEEEZZNS1_16scan_by_key_implILNS1_25lookback_scan_determinismE0ELb0ES3_N6thrust23THRUST_200600_302600_NS6detail15normal_iteratorINSB_10device_ptrIjEEEENSD_INSE_IS6_EEEESI_S6_NSB_4plusIvEENSB_8equal_toIvEES6_EE10hipError_tPvRmT2_T3_T4_T5_mT6_T7_P12ihipStream_tbENKUlT_T0_E_clISt17integral_constantIbLb1EES13_EEDaSY_SZ_EUlSY_E_NS1_11comp_targetILNS1_3genE8ELNS1_11target_archE1030ELNS1_3gpuE2ELNS1_3repE0EEENS1_30default_config_static_selectorELNS0_4arch9wavefront6targetE1EEEvT1_
		.amdhsa_group_segment_fixed_size 0
		.amdhsa_private_segment_fixed_size 0
		.amdhsa_kernarg_size 144
		.amdhsa_user_sgpr_count 6
		.amdhsa_user_sgpr_private_segment_buffer 1
		.amdhsa_user_sgpr_dispatch_ptr 0
		.amdhsa_user_sgpr_queue_ptr 0
		.amdhsa_user_sgpr_kernarg_segment_ptr 1
		.amdhsa_user_sgpr_dispatch_id 0
		.amdhsa_user_sgpr_flat_scratch_init 0
		.amdhsa_user_sgpr_kernarg_preload_length 0
		.amdhsa_user_sgpr_kernarg_preload_offset 0
		.amdhsa_user_sgpr_private_segment_size 0
		.amdhsa_uses_dynamic_stack 0
		.amdhsa_system_sgpr_private_segment_wavefront_offset 0
		.amdhsa_system_sgpr_workgroup_id_x 1
		.amdhsa_system_sgpr_workgroup_id_y 0
		.amdhsa_system_sgpr_workgroup_id_z 0
		.amdhsa_system_sgpr_workgroup_info 0
		.amdhsa_system_vgpr_workitem_id 0
		.amdhsa_next_free_vgpr 1
		.amdhsa_next_free_sgpr 0
		.amdhsa_accum_offset 4
		.amdhsa_reserve_vcc 0
		.amdhsa_reserve_flat_scratch 0
		.amdhsa_float_round_mode_32 0
		.amdhsa_float_round_mode_16_64 0
		.amdhsa_float_denorm_mode_32 3
		.amdhsa_float_denorm_mode_16_64 3
		.amdhsa_dx10_clamp 1
		.amdhsa_ieee_mode 1
		.amdhsa_fp16_overflow 0
		.amdhsa_tg_split 0
		.amdhsa_exception_fp_ieee_invalid_op 0
		.amdhsa_exception_fp_denorm_src 0
		.amdhsa_exception_fp_ieee_div_zero 0
		.amdhsa_exception_fp_ieee_overflow 0
		.amdhsa_exception_fp_ieee_underflow 0
		.amdhsa_exception_fp_ieee_inexact 0
		.amdhsa_exception_int_div_zero 0
	.end_amdhsa_kernel
	.section	.text._ZN7rocprim17ROCPRIM_400000_NS6detail17trampoline_kernelINS0_14default_configENS1_27scan_by_key_config_selectorIj11FixedVectorIiLj4EEEEZZNS1_16scan_by_key_implILNS1_25lookback_scan_determinismE0ELb0ES3_N6thrust23THRUST_200600_302600_NS6detail15normal_iteratorINSB_10device_ptrIjEEEENSD_INSE_IS6_EEEESI_S6_NSB_4plusIvEENSB_8equal_toIvEES6_EE10hipError_tPvRmT2_T3_T4_T5_mT6_T7_P12ihipStream_tbENKUlT_T0_E_clISt17integral_constantIbLb1EES13_EEDaSY_SZ_EUlSY_E_NS1_11comp_targetILNS1_3genE8ELNS1_11target_archE1030ELNS1_3gpuE2ELNS1_3repE0EEENS1_30default_config_static_selectorELNS0_4arch9wavefront6targetE1EEEvT1_,"axG",@progbits,_ZN7rocprim17ROCPRIM_400000_NS6detail17trampoline_kernelINS0_14default_configENS1_27scan_by_key_config_selectorIj11FixedVectorIiLj4EEEEZZNS1_16scan_by_key_implILNS1_25lookback_scan_determinismE0ELb0ES3_N6thrust23THRUST_200600_302600_NS6detail15normal_iteratorINSB_10device_ptrIjEEEENSD_INSE_IS6_EEEESI_S6_NSB_4plusIvEENSB_8equal_toIvEES6_EE10hipError_tPvRmT2_T3_T4_T5_mT6_T7_P12ihipStream_tbENKUlT_T0_E_clISt17integral_constantIbLb1EES13_EEDaSY_SZ_EUlSY_E_NS1_11comp_targetILNS1_3genE8ELNS1_11target_archE1030ELNS1_3gpuE2ELNS1_3repE0EEENS1_30default_config_static_selectorELNS0_4arch9wavefront6targetE1EEEvT1_,comdat
.Lfunc_end2052:
	.size	_ZN7rocprim17ROCPRIM_400000_NS6detail17trampoline_kernelINS0_14default_configENS1_27scan_by_key_config_selectorIj11FixedVectorIiLj4EEEEZZNS1_16scan_by_key_implILNS1_25lookback_scan_determinismE0ELb0ES3_N6thrust23THRUST_200600_302600_NS6detail15normal_iteratorINSB_10device_ptrIjEEEENSD_INSE_IS6_EEEESI_S6_NSB_4plusIvEENSB_8equal_toIvEES6_EE10hipError_tPvRmT2_T3_T4_T5_mT6_T7_P12ihipStream_tbENKUlT_T0_E_clISt17integral_constantIbLb1EES13_EEDaSY_SZ_EUlSY_E_NS1_11comp_targetILNS1_3genE8ELNS1_11target_archE1030ELNS1_3gpuE2ELNS1_3repE0EEENS1_30default_config_static_selectorELNS0_4arch9wavefront6targetE1EEEvT1_, .Lfunc_end2052-_ZN7rocprim17ROCPRIM_400000_NS6detail17trampoline_kernelINS0_14default_configENS1_27scan_by_key_config_selectorIj11FixedVectorIiLj4EEEEZZNS1_16scan_by_key_implILNS1_25lookback_scan_determinismE0ELb0ES3_N6thrust23THRUST_200600_302600_NS6detail15normal_iteratorINSB_10device_ptrIjEEEENSD_INSE_IS6_EEEESI_S6_NSB_4plusIvEENSB_8equal_toIvEES6_EE10hipError_tPvRmT2_T3_T4_T5_mT6_T7_P12ihipStream_tbENKUlT_T0_E_clISt17integral_constantIbLb1EES13_EEDaSY_SZ_EUlSY_E_NS1_11comp_targetILNS1_3genE8ELNS1_11target_archE1030ELNS1_3gpuE2ELNS1_3repE0EEENS1_30default_config_static_selectorELNS0_4arch9wavefront6targetE1EEEvT1_
                                        ; -- End function
	.section	.AMDGPU.csdata,"",@progbits
; Kernel info:
; codeLenInByte = 0
; NumSgprs: 4
; NumVgprs: 0
; NumAgprs: 0
; TotalNumVgprs: 0
; ScratchSize: 0
; MemoryBound: 0
; FloatMode: 240
; IeeeMode: 1
; LDSByteSize: 0 bytes/workgroup (compile time only)
; SGPRBlocks: 0
; VGPRBlocks: 0
; NumSGPRsForWavesPerEU: 4
; NumVGPRsForWavesPerEU: 1
; AccumOffset: 4
; Occupancy: 8
; WaveLimiterHint : 0
; COMPUTE_PGM_RSRC2:SCRATCH_EN: 0
; COMPUTE_PGM_RSRC2:USER_SGPR: 6
; COMPUTE_PGM_RSRC2:TRAP_HANDLER: 0
; COMPUTE_PGM_RSRC2:TGID_X_EN: 1
; COMPUTE_PGM_RSRC2:TGID_Y_EN: 0
; COMPUTE_PGM_RSRC2:TGID_Z_EN: 0
; COMPUTE_PGM_RSRC2:TIDIG_COMP_CNT: 0
; COMPUTE_PGM_RSRC3_GFX90A:ACCUM_OFFSET: 0
; COMPUTE_PGM_RSRC3_GFX90A:TG_SPLIT: 0
	.section	.text._ZN7rocprim17ROCPRIM_400000_NS6detail30init_device_scan_by_key_kernelINS1_19lookback_scan_stateINS0_5tupleIJ11FixedVectorIiLj4EEbEEELb1ELb0EEEN6thrust23THRUST_200600_302600_NS6detail15normal_iteratorINSA_10device_ptrIjEEEEjNS1_16block_id_wrapperIjLb0EEEEEvT_jjPNSI_10value_typeET0_PNSt15iterator_traitsISL_E10value_typeEmT1_T2_,"axG",@progbits,_ZN7rocprim17ROCPRIM_400000_NS6detail30init_device_scan_by_key_kernelINS1_19lookback_scan_stateINS0_5tupleIJ11FixedVectorIiLj4EEbEEELb1ELb0EEEN6thrust23THRUST_200600_302600_NS6detail15normal_iteratorINSA_10device_ptrIjEEEEjNS1_16block_id_wrapperIjLb0EEEEEvT_jjPNSI_10value_typeET0_PNSt15iterator_traitsISL_E10value_typeEmT1_T2_,comdat
	.protected	_ZN7rocprim17ROCPRIM_400000_NS6detail30init_device_scan_by_key_kernelINS1_19lookback_scan_stateINS0_5tupleIJ11FixedVectorIiLj4EEbEEELb1ELb0EEEN6thrust23THRUST_200600_302600_NS6detail15normal_iteratorINSA_10device_ptrIjEEEEjNS1_16block_id_wrapperIjLb0EEEEEvT_jjPNSI_10value_typeET0_PNSt15iterator_traitsISL_E10value_typeEmT1_T2_ ; -- Begin function _ZN7rocprim17ROCPRIM_400000_NS6detail30init_device_scan_by_key_kernelINS1_19lookback_scan_stateINS0_5tupleIJ11FixedVectorIiLj4EEbEEELb1ELb0EEEN6thrust23THRUST_200600_302600_NS6detail15normal_iteratorINSA_10device_ptrIjEEEEjNS1_16block_id_wrapperIjLb0EEEEEvT_jjPNSI_10value_typeET0_PNSt15iterator_traitsISL_E10value_typeEmT1_T2_
	.globl	_ZN7rocprim17ROCPRIM_400000_NS6detail30init_device_scan_by_key_kernelINS1_19lookback_scan_stateINS0_5tupleIJ11FixedVectorIiLj4EEbEEELb1ELb0EEEN6thrust23THRUST_200600_302600_NS6detail15normal_iteratorINSA_10device_ptrIjEEEEjNS1_16block_id_wrapperIjLb0EEEEEvT_jjPNSI_10value_typeET0_PNSt15iterator_traitsISL_E10value_typeEmT1_T2_
	.p2align	8
	.type	_ZN7rocprim17ROCPRIM_400000_NS6detail30init_device_scan_by_key_kernelINS1_19lookback_scan_stateINS0_5tupleIJ11FixedVectorIiLj4EEbEEELb1ELb0EEEN6thrust23THRUST_200600_302600_NS6detail15normal_iteratorINSA_10device_ptrIjEEEEjNS1_16block_id_wrapperIjLb0EEEEEvT_jjPNSI_10value_typeET0_PNSt15iterator_traitsISL_E10value_typeEmT1_T2_,@function
_ZN7rocprim17ROCPRIM_400000_NS6detail30init_device_scan_by_key_kernelINS1_19lookback_scan_stateINS0_5tupleIJ11FixedVectorIiLj4EEbEEELb1ELb0EEEN6thrust23THRUST_200600_302600_NS6detail15normal_iteratorINSA_10device_ptrIjEEEEjNS1_16block_id_wrapperIjLb0EEEEEvT_jjPNSI_10value_typeET0_PNSt15iterator_traitsISL_E10value_typeEmT1_T2_: ; @_ZN7rocprim17ROCPRIM_400000_NS6detail30init_device_scan_by_key_kernelINS1_19lookback_scan_stateINS0_5tupleIJ11FixedVectorIiLj4EEbEEELb1ELb0EEEN6thrust23THRUST_200600_302600_NS6detail15normal_iteratorINSA_10device_ptrIjEEEEjNS1_16block_id_wrapperIjLb0EEEEEvT_jjPNSI_10value_typeET0_PNSt15iterator_traitsISL_E10value_typeEmT1_T2_
; %bb.0:
	s_load_dword s0, s[6:7], 0x54
	s_load_dwordx8 s[12:19], s[6:7], 0x10
	s_load_dword s10, s[6:7], 0x48
	v_and_b32_e32 v1, 0x3ff, v0
	s_waitcnt lgkmcnt(0)
	s_and_b32 s11, s0, 0xffff
	s_mul_i32 s8, s8, s11
	s_cmp_eq_u64 s[16:17], 0
	v_add_u32_e32 v2, s8, v1
	s_cbranch_scc1 .LBB2053_13
; %bb.1:
	s_cmp_lt_u32 s15, s14
	s_cselect_b32 s0, s15, 0
	s_mov_b32 s20, 0
	v_cmp_eq_u32_e32 vcc, s0, v2
	s_and_saveexec_b64 s[8:9], vcc
	s_cbranch_execz .LBB2053_12
; %bb.2:
	s_load_dwordx2 s[22:23], s[4:5], 0x4
	s_load_dwordx4 s[0:3], s[6:7], 0x0
	v_bfe_u32 v3, v0, 10, 10
	v_bfe_u32 v0, v0, 20, 10
	s_waitcnt lgkmcnt(0)
	s_lshr_b32 s4, s22, 16
	s_mul_i32 s4, s4, s23
	v_mul_u32_u24_e32 v3, s23, v3
	v_mul_lo_u32 v1, s4, v1
	v_add3_u32 v0, v1, v3, v0
	v_mul_lo_u32 v0, v0, 20
	v_mov_b32_e32 v1, 0
	ds_write2_b32 v0, v1, v1 offset0:2 offset1:3
	ds_write2_b32 v0, v1, v1 offset1:1
	ds_write_b32 v0, v1 offset:16
.LBB2053_3:                             ; =>This Inner Loop Header: Depth=1
	v_add_u32_e32 v3, s20, v0
	s_add_i32 s20, s20, 8
	s_cmp_lg_u32 s20, 16
	ds_write2_b32 v3, v1, v1 offset1:1
	s_cbranch_scc1 .LBB2053_3
; %bb.4:
	v_mov_b32_e32 v1, 0
	s_add_i32 s15, s15, 64
	ds_write_b8 v0, v1 offset:16
	v_mov_b32_e32 v3, s15
	global_load_ubyte v3, v3, s[12:13] glc
	s_add_u32 s4, s12, s15
	s_addc_u32 s5, s13, 0
	s_waitcnt vmcnt(0)
	v_cmp_ne_u16_e32 vcc, 0, v3
	v_readfirstlane_b32 s20, v3
	s_cbranch_vccz .LBB2053_6
; %bb.5:
	s_and_b32 s4, 0xffff, s20
	s_branch .LBB2053_11
.LBB2053_6:
	s_mov_b32 s20, 1
.LBB2053_7:                             ; =>This Loop Header: Depth=1
                                        ;     Child Loop BB2053_8 Depth 2
	s_max_u32 s21, s20, 1
.LBB2053_8:                             ;   Parent Loop BB2053_7 Depth=1
                                        ; =>  This Inner Loop Header: Depth=2
	s_add_i32 s21, s21, -1
	s_cmp_eq_u32 s21, 0
	s_sleep 1
	s_cbranch_scc0 .LBB2053_8
; %bb.9:                                ;   in Loop: Header=BB2053_7 Depth=1
	global_load_ubyte v3, v1, s[4:5] glc
	s_cmp_lt_u32 s20, 32
	s_cselect_b64 s[22:23], -1, 0
	s_cmp_lg_u64 s[22:23], 0
	s_addc_u32 s20, s20, 0
	s_waitcnt vmcnt(0)
	v_cmp_ne_u16_e32 vcc, 0, v3
	v_readfirstlane_b32 s21, v3
	s_cbranch_vccz .LBB2053_7
; %bb.10:
	s_and_b32 s4, 0xffff, s21
.LBB2053_11:
	s_cmp_eq_u32 s4, 1
	s_cselect_b32 s1, s1, s3
	s_cselect_b32 s0, s0, s2
	s_mul_i32 s3, s15, 20
	s_mul_hi_u32 s2, s15, 20
	s_add_u32 s0, s0, s3
	s_addc_u32 s1, s1, s2
	v_mov_b32_e32 v1, 0
	s_waitcnt lgkmcnt(0)
	buffer_wbinvl1_vol
	global_load_dwordx4 v[4:7], v1, s[0:1]
	global_load_ubyte v3, v1, s[0:1] offset:16
	s_waitcnt vmcnt(1)
	ds_write2_b32 v0, v4, v5 offset1:1
	ds_write2_b32 v0, v6, v7 offset0:2 offset1:3
	global_store_dwordx4 v1, v[4:7], s[16:17]
	s_waitcnt vmcnt(1)
	global_store_byte v1, v3, s[16:17] offset:16
.LBB2053_12:
	s_or_b64 exec, exec, s[8:9]
.LBB2053_13:
	v_cmp_gt_u32_e32 vcc, s14, v2
	s_and_saveexec_b64 s[0:1], vcc
	s_cbranch_execz .LBB2053_15
; %bb.14:
	v_add_u32_e32 v0, 64, v2
	v_mov_b32_e32 v1, 0
	global_store_byte v0, v1, s[12:13]
.LBB2053_15:
	s_or_b64 exec, exec, s[0:1]
	v_cmp_gt_u32_e32 vcc, 64, v2
	v_mov_b32_e32 v3, 0
	s_and_saveexec_b64 s[0:1], vcc
	s_cbranch_execz .LBB2053_17
; %bb.16:
	v_mov_b32_e32 v1, s13
	v_add_co_u32_e32 v0, vcc, s12, v2
	v_addc_co_u32_e32 v1, vcc, 0, v1, vcc
	v_mov_b32_e32 v4, 0xff
	global_store_byte v[0:1], v4, off
.LBB2053_17:
	s_or_b64 exec, exec, s[0:1]
	s_load_dwordx2 s[0:1], s[6:7], 0x38
	s_waitcnt lgkmcnt(0)
	v_cmp_gt_u64_e32 vcc, s[0:1], v[2:3]
	s_and_saveexec_b64 s[2:3], vcc
	s_cbranch_execz .LBB2053_20
; %bb.18:
	s_load_dword s12, s[6:7], 0x40
	s_load_dwordx2 s[8:9], s[6:7], 0x30
	s_mov_b32 s5, 0
	s_mov_b32 s3, s5
	s_mul_i32 s2, s10, s11
	s_waitcnt lgkmcnt(0)
	s_add_i32 s4, s12, -1
	s_lshl_b64 s[4:5], s[4:5], 2
	v_mad_u64_u32 v[0:1], s[6:7], s12, v2, 0
	s_add_u32 s4, s18, s4
	v_lshlrev_b64 v[0:1], 2, v[0:1]
	s_addc_u32 s5, s19, s5
	v_mov_b32_e32 v4, s5
	v_add_co_u32_e32 v0, vcc, s4, v0
	v_addc_co_u32_e32 v1, vcc, v4, v1, vcc
	s_mul_hi_u32 s5, s12, s2
	s_mul_i32 s4, s12, s2
	v_lshlrev_b64 v[4:5], 2, v[2:3]
	s_lshl_b64 s[4:5], s[4:5], 2
	v_mov_b32_e32 v6, s9
	v_add_co_u32_e32 v4, vcc, s8, v4
	s_lshl_b64 s[6:7], s[2:3], 2
	v_addc_co_u32_e32 v5, vcc, v6, v5, vcc
	s_mov_b64 s[8:9], 0
	v_mov_b32_e32 v6, s3
	v_mov_b32_e32 v7, s5
	;; [unrolled: 1-line block ×3, first 2 shown]
.LBB2053_19:                            ; =>This Inner Loop Header: Depth=1
	global_load_dword v9, v[0:1], off
	v_add_co_u32_e32 v2, vcc, s2, v2
	v_addc_co_u32_e32 v3, vcc, v3, v6, vcc
	v_add_co_u32_e32 v0, vcc, s4, v0
	v_addc_co_u32_e32 v1, vcc, v1, v7, vcc
	v_cmp_le_u64_e32 vcc, s[0:1], v[2:3]
	s_or_b64 s[8:9], vcc, s[8:9]
	s_waitcnt vmcnt(0)
	global_store_dword v[4:5], v9, off
	v_add_co_u32_e32 v4, vcc, s6, v4
	v_addc_co_u32_e32 v5, vcc, v5, v8, vcc
	s_andn2_b64 exec, exec, s[8:9]
	s_cbranch_execnz .LBB2053_19
.LBB2053_20:
	s_endpgm
	.section	.rodata,"a",@progbits
	.p2align	6, 0x0
	.amdhsa_kernel _ZN7rocprim17ROCPRIM_400000_NS6detail30init_device_scan_by_key_kernelINS1_19lookback_scan_stateINS0_5tupleIJ11FixedVectorIiLj4EEbEEELb1ELb0EEEN6thrust23THRUST_200600_302600_NS6detail15normal_iteratorINSA_10device_ptrIjEEEEjNS1_16block_id_wrapperIjLb0EEEEEvT_jjPNSI_10value_typeET0_PNSt15iterator_traitsISL_E10value_typeEmT1_T2_
		.amdhsa_group_segment_fixed_size 5120
		.amdhsa_private_segment_fixed_size 0
		.amdhsa_kernarg_size 328
		.amdhsa_user_sgpr_count 8
		.amdhsa_user_sgpr_private_segment_buffer 1
		.amdhsa_user_sgpr_dispatch_ptr 1
		.amdhsa_user_sgpr_queue_ptr 0
		.amdhsa_user_sgpr_kernarg_segment_ptr 1
		.amdhsa_user_sgpr_dispatch_id 0
		.amdhsa_user_sgpr_flat_scratch_init 0
		.amdhsa_user_sgpr_kernarg_preload_length 0
		.amdhsa_user_sgpr_kernarg_preload_offset 0
		.amdhsa_user_sgpr_private_segment_size 0
		.amdhsa_uses_dynamic_stack 0
		.amdhsa_system_sgpr_private_segment_wavefront_offset 0
		.amdhsa_system_sgpr_workgroup_id_x 1
		.amdhsa_system_sgpr_workgroup_id_y 0
		.amdhsa_system_sgpr_workgroup_id_z 0
		.amdhsa_system_sgpr_workgroup_info 0
		.amdhsa_system_vgpr_workitem_id 2
		.amdhsa_next_free_vgpr 10
		.amdhsa_next_free_sgpr 24
		.amdhsa_accum_offset 12
		.amdhsa_reserve_vcc 1
		.amdhsa_reserve_flat_scratch 0
		.amdhsa_float_round_mode_32 0
		.amdhsa_float_round_mode_16_64 0
		.amdhsa_float_denorm_mode_32 3
		.amdhsa_float_denorm_mode_16_64 3
		.amdhsa_dx10_clamp 1
		.amdhsa_ieee_mode 1
		.amdhsa_fp16_overflow 0
		.amdhsa_tg_split 0
		.amdhsa_exception_fp_ieee_invalid_op 0
		.amdhsa_exception_fp_denorm_src 0
		.amdhsa_exception_fp_ieee_div_zero 0
		.amdhsa_exception_fp_ieee_overflow 0
		.amdhsa_exception_fp_ieee_underflow 0
		.amdhsa_exception_fp_ieee_inexact 0
		.amdhsa_exception_int_div_zero 0
	.end_amdhsa_kernel
	.section	.text._ZN7rocprim17ROCPRIM_400000_NS6detail30init_device_scan_by_key_kernelINS1_19lookback_scan_stateINS0_5tupleIJ11FixedVectorIiLj4EEbEEELb1ELb0EEEN6thrust23THRUST_200600_302600_NS6detail15normal_iteratorINSA_10device_ptrIjEEEEjNS1_16block_id_wrapperIjLb0EEEEEvT_jjPNSI_10value_typeET0_PNSt15iterator_traitsISL_E10value_typeEmT1_T2_,"axG",@progbits,_ZN7rocprim17ROCPRIM_400000_NS6detail30init_device_scan_by_key_kernelINS1_19lookback_scan_stateINS0_5tupleIJ11FixedVectorIiLj4EEbEEELb1ELb0EEEN6thrust23THRUST_200600_302600_NS6detail15normal_iteratorINSA_10device_ptrIjEEEEjNS1_16block_id_wrapperIjLb0EEEEEvT_jjPNSI_10value_typeET0_PNSt15iterator_traitsISL_E10value_typeEmT1_T2_,comdat
.Lfunc_end2053:
	.size	_ZN7rocprim17ROCPRIM_400000_NS6detail30init_device_scan_by_key_kernelINS1_19lookback_scan_stateINS0_5tupleIJ11FixedVectorIiLj4EEbEEELb1ELb0EEEN6thrust23THRUST_200600_302600_NS6detail15normal_iteratorINSA_10device_ptrIjEEEEjNS1_16block_id_wrapperIjLb0EEEEEvT_jjPNSI_10value_typeET0_PNSt15iterator_traitsISL_E10value_typeEmT1_T2_, .Lfunc_end2053-_ZN7rocprim17ROCPRIM_400000_NS6detail30init_device_scan_by_key_kernelINS1_19lookback_scan_stateINS0_5tupleIJ11FixedVectorIiLj4EEbEEELb1ELb0EEEN6thrust23THRUST_200600_302600_NS6detail15normal_iteratorINSA_10device_ptrIjEEEEjNS1_16block_id_wrapperIjLb0EEEEEvT_jjPNSI_10value_typeET0_PNSt15iterator_traitsISL_E10value_typeEmT1_T2_
                                        ; -- End function
	.section	.AMDGPU.csdata,"",@progbits
; Kernel info:
; codeLenInByte = 744
; NumSgprs: 28
; NumVgprs: 10
; NumAgprs: 0
; TotalNumVgprs: 10
; ScratchSize: 0
; MemoryBound: 0
; FloatMode: 240
; IeeeMode: 1
; LDSByteSize: 5120 bytes/workgroup (compile time only)
; SGPRBlocks: 3
; VGPRBlocks: 1
; NumSGPRsForWavesPerEU: 28
; NumVGPRsForWavesPerEU: 10
; AccumOffset: 12
; Occupancy: 8
; WaveLimiterHint : 0
; COMPUTE_PGM_RSRC2:SCRATCH_EN: 0
; COMPUTE_PGM_RSRC2:USER_SGPR: 8
; COMPUTE_PGM_RSRC2:TRAP_HANDLER: 0
; COMPUTE_PGM_RSRC2:TGID_X_EN: 1
; COMPUTE_PGM_RSRC2:TGID_Y_EN: 0
; COMPUTE_PGM_RSRC2:TGID_Z_EN: 0
; COMPUTE_PGM_RSRC2:TIDIG_COMP_CNT: 2
; COMPUTE_PGM_RSRC3_GFX90A:ACCUM_OFFSET: 2
; COMPUTE_PGM_RSRC3_GFX90A:TG_SPLIT: 0
	.section	.text._ZN7rocprim17ROCPRIM_400000_NS6detail30init_device_scan_by_key_kernelINS1_19lookback_scan_stateINS0_5tupleIJ11FixedVectorIiLj4EEbEEELb1ELb0EEENS1_16block_id_wrapperIjLb0EEEEEvT_jjPNSB_10value_typeET0_,"axG",@progbits,_ZN7rocprim17ROCPRIM_400000_NS6detail30init_device_scan_by_key_kernelINS1_19lookback_scan_stateINS0_5tupleIJ11FixedVectorIiLj4EEbEEELb1ELb0EEENS1_16block_id_wrapperIjLb0EEEEEvT_jjPNSB_10value_typeET0_,comdat
	.protected	_ZN7rocprim17ROCPRIM_400000_NS6detail30init_device_scan_by_key_kernelINS1_19lookback_scan_stateINS0_5tupleIJ11FixedVectorIiLj4EEbEEELb1ELb0EEENS1_16block_id_wrapperIjLb0EEEEEvT_jjPNSB_10value_typeET0_ ; -- Begin function _ZN7rocprim17ROCPRIM_400000_NS6detail30init_device_scan_by_key_kernelINS1_19lookback_scan_stateINS0_5tupleIJ11FixedVectorIiLj4EEbEEELb1ELb0EEENS1_16block_id_wrapperIjLb0EEEEEvT_jjPNSB_10value_typeET0_
	.globl	_ZN7rocprim17ROCPRIM_400000_NS6detail30init_device_scan_by_key_kernelINS1_19lookback_scan_stateINS0_5tupleIJ11FixedVectorIiLj4EEbEEELb1ELb0EEENS1_16block_id_wrapperIjLb0EEEEEvT_jjPNSB_10value_typeET0_
	.p2align	8
	.type	_ZN7rocprim17ROCPRIM_400000_NS6detail30init_device_scan_by_key_kernelINS1_19lookback_scan_stateINS0_5tupleIJ11FixedVectorIiLj4EEbEEELb1ELb0EEENS1_16block_id_wrapperIjLb0EEEEEvT_jjPNSB_10value_typeET0_,@function
_ZN7rocprim17ROCPRIM_400000_NS6detail30init_device_scan_by_key_kernelINS1_19lookback_scan_stateINS0_5tupleIJ11FixedVectorIiLj4EEbEEELb1ELb0EEENS1_16block_id_wrapperIjLb0EEEEEvT_jjPNSB_10value_typeET0_: ; @_ZN7rocprim17ROCPRIM_400000_NS6detail30init_device_scan_by_key_kernelINS1_19lookback_scan_stateINS0_5tupleIJ11FixedVectorIiLj4EEbEEELb1ELb0EEENS1_16block_id_wrapperIjLb0EEEEEvT_jjPNSB_10value_typeET0_
; %bb.0:
	s_load_dword s9, s[6:7], 0x3c
	s_load_dwordx2 s[12:13], s[6:7], 0x20
	s_load_dwordx4 s[0:3], s[6:7], 0x10
	v_and_b32_e32 v2, 0x3ff, v0
	s_waitcnt lgkmcnt(0)
	s_and_b32 s9, s9, 0xffff
	s_mul_i32 s8, s8, s9
	s_cmp_eq_u64 s[12:13], 0
	v_add_u32_e32 v1, s8, v2
	s_cbranch_scc1 .LBB2054_13
; %bb.1:
	s_cmp_lt_u32 s3, s2
	s_cselect_b32 s8, s3, 0
	s_mov_b32 s16, 0
	v_cmp_eq_u32_e32 vcc, s8, v1
	s_and_saveexec_b64 s[14:15], vcc
	s_cbranch_execz .LBB2054_12
; %bb.2:
	s_load_dwordx2 s[18:19], s[4:5], 0x4
	s_load_dwordx4 s[8:11], s[6:7], 0x0
	v_bfe_u32 v3, v0, 10, 10
	v_bfe_u32 v0, v0, 20, 10
	s_waitcnt lgkmcnt(0)
	s_lshr_b32 s4, s18, 16
	s_mul_i32 s4, s4, s19
	v_mul_u32_u24_e32 v3, s19, v3
	v_mul_lo_u32 v2, s4, v2
	v_add3_u32 v0, v2, v3, v0
	v_mul_lo_u32 v0, v0, 20
	v_mov_b32_e32 v2, 0
	ds_write2_b32 v0, v2, v2 offset0:2 offset1:3
	ds_write2_b32 v0, v2, v2 offset1:1
	ds_write_b32 v0, v2 offset:16
.LBB2054_3:                             ; =>This Inner Loop Header: Depth=1
	v_add_u32_e32 v3, s16, v0
	s_add_i32 s16, s16, 8
	s_cmp_lg_u32 s16, 16
	ds_write2_b32 v3, v2, v2 offset1:1
	s_cbranch_scc1 .LBB2054_3
; %bb.4:
	v_mov_b32_e32 v2, 0
	s_add_i32 s3, s3, 64
	ds_write_b8 v0, v2 offset:16
	v_mov_b32_e32 v3, s3
	global_load_ubyte v3, v3, s[0:1] glc
	s_add_u32 s4, s0, s3
	s_addc_u32 s5, s1, 0
	s_waitcnt vmcnt(0)
	v_cmp_ne_u16_e32 vcc, 0, v3
	v_readfirstlane_b32 s6, v3
	s_cbranch_vccz .LBB2054_6
; %bb.5:
	s_and_b32 s4, 0xffff, s6
	s_branch .LBB2054_11
.LBB2054_6:
	s_mov_b32 s6, 1
.LBB2054_7:                             ; =>This Loop Header: Depth=1
                                        ;     Child Loop BB2054_8 Depth 2
	s_max_u32 s7, s6, 1
.LBB2054_8:                             ;   Parent Loop BB2054_7 Depth=1
                                        ; =>  This Inner Loop Header: Depth=2
	s_add_i32 s7, s7, -1
	s_cmp_eq_u32 s7, 0
	s_sleep 1
	s_cbranch_scc0 .LBB2054_8
; %bb.9:                                ;   in Loop: Header=BB2054_7 Depth=1
	global_load_ubyte v3, v2, s[4:5] glc
	s_cmp_lt_u32 s6, 32
	s_cselect_b64 s[16:17], -1, 0
	s_cmp_lg_u64 s[16:17], 0
	s_addc_u32 s6, s6, 0
	s_waitcnt vmcnt(0)
	v_cmp_ne_u16_e32 vcc, 0, v3
	v_readfirstlane_b32 s7, v3
	s_cbranch_vccz .LBB2054_7
; %bb.10:
	s_and_b32 s4, 0xffff, s7
.LBB2054_11:
	s_cmp_eq_u32 s4, 1
	s_cselect_b32 s4, s8, s10
	s_mul_hi_u32 s6, s3, 20
	s_mul_i32 s3, s3, 20
	s_cselect_b32 s5, s9, s11
	s_add_u32 s4, s4, s3
	s_addc_u32 s5, s5, s6
	v_mov_b32_e32 v6, 0
	s_waitcnt lgkmcnt(0)
	buffer_wbinvl1_vol
	global_load_dwordx4 v[2:5], v6, s[4:5]
	global_load_ubyte v7, v6, s[4:5] offset:16
	s_waitcnt vmcnt(1)
	ds_write2_b32 v0, v2, v3 offset1:1
	ds_write2_b32 v0, v4, v5 offset0:2 offset1:3
	global_store_dwordx4 v6, v[2:5], s[12:13]
	s_waitcnt vmcnt(1)
	global_store_byte v6, v7, s[12:13] offset:16
.LBB2054_12:
	s_or_b64 exec, exec, s[14:15]
.LBB2054_13:
	v_cmp_gt_u32_e32 vcc, s2, v1
	s_and_saveexec_b64 s[2:3], vcc
	s_cbranch_execnz .LBB2054_16
; %bb.14:
	s_or_b64 exec, exec, s[2:3]
	v_cmp_gt_u32_e32 vcc, 64, v1
	s_and_saveexec_b64 s[2:3], vcc
	s_cbranch_execnz .LBB2054_17
.LBB2054_15:
	s_endpgm
.LBB2054_16:
	v_add_u32_e32 v0, 64, v1
	v_mov_b32_e32 v2, 0
	global_store_byte v0, v2, s[0:1]
	s_or_b64 exec, exec, s[2:3]
	v_cmp_gt_u32_e32 vcc, 64, v1
	s_and_saveexec_b64 s[2:3], vcc
	s_cbranch_execz .LBB2054_15
.LBB2054_17:
	v_mov_b32_e32 v0, 0xff
	global_store_byte v1, v0, s[0:1]
	s_endpgm
	.section	.rodata,"a",@progbits
	.p2align	6, 0x0
	.amdhsa_kernel _ZN7rocprim17ROCPRIM_400000_NS6detail30init_device_scan_by_key_kernelINS1_19lookback_scan_stateINS0_5tupleIJ11FixedVectorIiLj4EEbEEELb1ELb0EEENS1_16block_id_wrapperIjLb0EEEEEvT_jjPNSB_10value_typeET0_
		.amdhsa_group_segment_fixed_size 5120
		.amdhsa_private_segment_fixed_size 0
		.amdhsa_kernarg_size 304
		.amdhsa_user_sgpr_count 8
		.amdhsa_user_sgpr_private_segment_buffer 1
		.amdhsa_user_sgpr_dispatch_ptr 1
		.amdhsa_user_sgpr_queue_ptr 0
		.amdhsa_user_sgpr_kernarg_segment_ptr 1
		.amdhsa_user_sgpr_dispatch_id 0
		.amdhsa_user_sgpr_flat_scratch_init 0
		.amdhsa_user_sgpr_kernarg_preload_length 0
		.amdhsa_user_sgpr_kernarg_preload_offset 0
		.amdhsa_user_sgpr_private_segment_size 0
		.amdhsa_uses_dynamic_stack 0
		.amdhsa_system_sgpr_private_segment_wavefront_offset 0
		.amdhsa_system_sgpr_workgroup_id_x 1
		.amdhsa_system_sgpr_workgroup_id_y 0
		.amdhsa_system_sgpr_workgroup_id_z 0
		.amdhsa_system_sgpr_workgroup_info 0
		.amdhsa_system_vgpr_workitem_id 2
		.amdhsa_next_free_vgpr 8
		.amdhsa_next_free_sgpr 20
		.amdhsa_accum_offset 8
		.amdhsa_reserve_vcc 1
		.amdhsa_reserve_flat_scratch 0
		.amdhsa_float_round_mode_32 0
		.amdhsa_float_round_mode_16_64 0
		.amdhsa_float_denorm_mode_32 3
		.amdhsa_float_denorm_mode_16_64 3
		.amdhsa_dx10_clamp 1
		.amdhsa_ieee_mode 1
		.amdhsa_fp16_overflow 0
		.amdhsa_tg_split 0
		.amdhsa_exception_fp_ieee_invalid_op 0
		.amdhsa_exception_fp_denorm_src 0
		.amdhsa_exception_fp_ieee_div_zero 0
		.amdhsa_exception_fp_ieee_overflow 0
		.amdhsa_exception_fp_ieee_underflow 0
		.amdhsa_exception_fp_ieee_inexact 0
		.amdhsa_exception_int_div_zero 0
	.end_amdhsa_kernel
	.section	.text._ZN7rocprim17ROCPRIM_400000_NS6detail30init_device_scan_by_key_kernelINS1_19lookback_scan_stateINS0_5tupleIJ11FixedVectorIiLj4EEbEEELb1ELb0EEENS1_16block_id_wrapperIjLb0EEEEEvT_jjPNSB_10value_typeET0_,"axG",@progbits,_ZN7rocprim17ROCPRIM_400000_NS6detail30init_device_scan_by_key_kernelINS1_19lookback_scan_stateINS0_5tupleIJ11FixedVectorIiLj4EEbEEELb1ELb0EEENS1_16block_id_wrapperIjLb0EEEEEvT_jjPNSB_10value_typeET0_,comdat
.Lfunc_end2054:
	.size	_ZN7rocprim17ROCPRIM_400000_NS6detail30init_device_scan_by_key_kernelINS1_19lookback_scan_stateINS0_5tupleIJ11FixedVectorIiLj4EEbEEELb1ELb0EEENS1_16block_id_wrapperIjLb0EEEEEvT_jjPNSB_10value_typeET0_, .Lfunc_end2054-_ZN7rocprim17ROCPRIM_400000_NS6detail30init_device_scan_by_key_kernelINS1_19lookback_scan_stateINS0_5tupleIJ11FixedVectorIiLj4EEbEEELb1ELb0EEENS1_16block_id_wrapperIjLb0EEEEEvT_jjPNSB_10value_typeET0_
                                        ; -- End function
	.section	.AMDGPU.csdata,"",@progbits
; Kernel info:
; codeLenInByte = 532
; NumSgprs: 24
; NumVgprs: 8
; NumAgprs: 0
; TotalNumVgprs: 8
; ScratchSize: 0
; MemoryBound: 0
; FloatMode: 240
; IeeeMode: 1
; LDSByteSize: 5120 bytes/workgroup (compile time only)
; SGPRBlocks: 2
; VGPRBlocks: 0
; NumSGPRsForWavesPerEU: 24
; NumVGPRsForWavesPerEU: 8
; AccumOffset: 8
; Occupancy: 8
; WaveLimiterHint : 0
; COMPUTE_PGM_RSRC2:SCRATCH_EN: 0
; COMPUTE_PGM_RSRC2:USER_SGPR: 8
; COMPUTE_PGM_RSRC2:TRAP_HANDLER: 0
; COMPUTE_PGM_RSRC2:TGID_X_EN: 1
; COMPUTE_PGM_RSRC2:TGID_Y_EN: 0
; COMPUTE_PGM_RSRC2:TGID_Z_EN: 0
; COMPUTE_PGM_RSRC2:TIDIG_COMP_CNT: 2
; COMPUTE_PGM_RSRC3_GFX90A:ACCUM_OFFSET: 1
; COMPUTE_PGM_RSRC3_GFX90A:TG_SPLIT: 0
	.section	.text._ZN7rocprim17ROCPRIM_400000_NS6detail17trampoline_kernelINS0_14default_configENS1_27scan_by_key_config_selectorIj11FixedVectorIiLj4EEEEZZNS1_16scan_by_key_implILNS1_25lookback_scan_determinismE0ELb0ES3_N6thrust23THRUST_200600_302600_NS6detail15normal_iteratorINSB_10device_ptrIjEEEENSD_INSE_IS6_EEEESI_S6_NSB_4plusIvEENSB_8equal_toIvEES6_EE10hipError_tPvRmT2_T3_T4_T5_mT6_T7_P12ihipStream_tbENKUlT_T0_E_clISt17integral_constantIbLb1EES12_IbLb0EEEEDaSY_SZ_EUlSY_E_NS1_11comp_targetILNS1_3genE0ELNS1_11target_archE4294967295ELNS1_3gpuE0ELNS1_3repE0EEENS1_30default_config_static_selectorELNS0_4arch9wavefront6targetE1EEEvT1_,"axG",@progbits,_ZN7rocprim17ROCPRIM_400000_NS6detail17trampoline_kernelINS0_14default_configENS1_27scan_by_key_config_selectorIj11FixedVectorIiLj4EEEEZZNS1_16scan_by_key_implILNS1_25lookback_scan_determinismE0ELb0ES3_N6thrust23THRUST_200600_302600_NS6detail15normal_iteratorINSB_10device_ptrIjEEEENSD_INSE_IS6_EEEESI_S6_NSB_4plusIvEENSB_8equal_toIvEES6_EE10hipError_tPvRmT2_T3_T4_T5_mT6_T7_P12ihipStream_tbENKUlT_T0_E_clISt17integral_constantIbLb1EES12_IbLb0EEEEDaSY_SZ_EUlSY_E_NS1_11comp_targetILNS1_3genE0ELNS1_11target_archE4294967295ELNS1_3gpuE0ELNS1_3repE0EEENS1_30default_config_static_selectorELNS0_4arch9wavefront6targetE1EEEvT1_,comdat
	.protected	_ZN7rocprim17ROCPRIM_400000_NS6detail17trampoline_kernelINS0_14default_configENS1_27scan_by_key_config_selectorIj11FixedVectorIiLj4EEEEZZNS1_16scan_by_key_implILNS1_25lookback_scan_determinismE0ELb0ES3_N6thrust23THRUST_200600_302600_NS6detail15normal_iteratorINSB_10device_ptrIjEEEENSD_INSE_IS6_EEEESI_S6_NSB_4plusIvEENSB_8equal_toIvEES6_EE10hipError_tPvRmT2_T3_T4_T5_mT6_T7_P12ihipStream_tbENKUlT_T0_E_clISt17integral_constantIbLb1EES12_IbLb0EEEEDaSY_SZ_EUlSY_E_NS1_11comp_targetILNS1_3genE0ELNS1_11target_archE4294967295ELNS1_3gpuE0ELNS1_3repE0EEENS1_30default_config_static_selectorELNS0_4arch9wavefront6targetE1EEEvT1_ ; -- Begin function _ZN7rocprim17ROCPRIM_400000_NS6detail17trampoline_kernelINS0_14default_configENS1_27scan_by_key_config_selectorIj11FixedVectorIiLj4EEEEZZNS1_16scan_by_key_implILNS1_25lookback_scan_determinismE0ELb0ES3_N6thrust23THRUST_200600_302600_NS6detail15normal_iteratorINSB_10device_ptrIjEEEENSD_INSE_IS6_EEEESI_S6_NSB_4plusIvEENSB_8equal_toIvEES6_EE10hipError_tPvRmT2_T3_T4_T5_mT6_T7_P12ihipStream_tbENKUlT_T0_E_clISt17integral_constantIbLb1EES12_IbLb0EEEEDaSY_SZ_EUlSY_E_NS1_11comp_targetILNS1_3genE0ELNS1_11target_archE4294967295ELNS1_3gpuE0ELNS1_3repE0EEENS1_30default_config_static_selectorELNS0_4arch9wavefront6targetE1EEEvT1_
	.globl	_ZN7rocprim17ROCPRIM_400000_NS6detail17trampoline_kernelINS0_14default_configENS1_27scan_by_key_config_selectorIj11FixedVectorIiLj4EEEEZZNS1_16scan_by_key_implILNS1_25lookback_scan_determinismE0ELb0ES3_N6thrust23THRUST_200600_302600_NS6detail15normal_iteratorINSB_10device_ptrIjEEEENSD_INSE_IS6_EEEESI_S6_NSB_4plusIvEENSB_8equal_toIvEES6_EE10hipError_tPvRmT2_T3_T4_T5_mT6_T7_P12ihipStream_tbENKUlT_T0_E_clISt17integral_constantIbLb1EES12_IbLb0EEEEDaSY_SZ_EUlSY_E_NS1_11comp_targetILNS1_3genE0ELNS1_11target_archE4294967295ELNS1_3gpuE0ELNS1_3repE0EEENS1_30default_config_static_selectorELNS0_4arch9wavefront6targetE1EEEvT1_
	.p2align	8
	.type	_ZN7rocprim17ROCPRIM_400000_NS6detail17trampoline_kernelINS0_14default_configENS1_27scan_by_key_config_selectorIj11FixedVectorIiLj4EEEEZZNS1_16scan_by_key_implILNS1_25lookback_scan_determinismE0ELb0ES3_N6thrust23THRUST_200600_302600_NS6detail15normal_iteratorINSB_10device_ptrIjEEEENSD_INSE_IS6_EEEESI_S6_NSB_4plusIvEENSB_8equal_toIvEES6_EE10hipError_tPvRmT2_T3_T4_T5_mT6_T7_P12ihipStream_tbENKUlT_T0_E_clISt17integral_constantIbLb1EES12_IbLb0EEEEDaSY_SZ_EUlSY_E_NS1_11comp_targetILNS1_3genE0ELNS1_11target_archE4294967295ELNS1_3gpuE0ELNS1_3repE0EEENS1_30default_config_static_selectorELNS0_4arch9wavefront6targetE1EEEvT1_,@function
_ZN7rocprim17ROCPRIM_400000_NS6detail17trampoline_kernelINS0_14default_configENS1_27scan_by_key_config_selectorIj11FixedVectorIiLj4EEEEZZNS1_16scan_by_key_implILNS1_25lookback_scan_determinismE0ELb0ES3_N6thrust23THRUST_200600_302600_NS6detail15normal_iteratorINSB_10device_ptrIjEEEENSD_INSE_IS6_EEEESI_S6_NSB_4plusIvEENSB_8equal_toIvEES6_EE10hipError_tPvRmT2_T3_T4_T5_mT6_T7_P12ihipStream_tbENKUlT_T0_E_clISt17integral_constantIbLb1EES12_IbLb0EEEEDaSY_SZ_EUlSY_E_NS1_11comp_targetILNS1_3genE0ELNS1_11target_archE4294967295ELNS1_3gpuE0ELNS1_3repE0EEENS1_30default_config_static_selectorELNS0_4arch9wavefront6targetE1EEEvT1_: ; @_ZN7rocprim17ROCPRIM_400000_NS6detail17trampoline_kernelINS0_14default_configENS1_27scan_by_key_config_selectorIj11FixedVectorIiLj4EEEEZZNS1_16scan_by_key_implILNS1_25lookback_scan_determinismE0ELb0ES3_N6thrust23THRUST_200600_302600_NS6detail15normal_iteratorINSB_10device_ptrIjEEEENSD_INSE_IS6_EEEESI_S6_NSB_4plusIvEENSB_8equal_toIvEES6_EE10hipError_tPvRmT2_T3_T4_T5_mT6_T7_P12ihipStream_tbENKUlT_T0_E_clISt17integral_constantIbLb1EES12_IbLb0EEEEDaSY_SZ_EUlSY_E_NS1_11comp_targetILNS1_3genE0ELNS1_11target_archE4294967295ELNS1_3gpuE0ELNS1_3repE0EEENS1_30default_config_static_selectorELNS0_4arch9wavefront6targetE1EEEvT1_
; %bb.0:
	.section	.rodata,"a",@progbits
	.p2align	6, 0x0
	.amdhsa_kernel _ZN7rocprim17ROCPRIM_400000_NS6detail17trampoline_kernelINS0_14default_configENS1_27scan_by_key_config_selectorIj11FixedVectorIiLj4EEEEZZNS1_16scan_by_key_implILNS1_25lookback_scan_determinismE0ELb0ES3_N6thrust23THRUST_200600_302600_NS6detail15normal_iteratorINSB_10device_ptrIjEEEENSD_INSE_IS6_EEEESI_S6_NSB_4plusIvEENSB_8equal_toIvEES6_EE10hipError_tPvRmT2_T3_T4_T5_mT6_T7_P12ihipStream_tbENKUlT_T0_E_clISt17integral_constantIbLb1EES12_IbLb0EEEEDaSY_SZ_EUlSY_E_NS1_11comp_targetILNS1_3genE0ELNS1_11target_archE4294967295ELNS1_3gpuE0ELNS1_3repE0EEENS1_30default_config_static_selectorELNS0_4arch9wavefront6targetE1EEEvT1_
		.amdhsa_group_segment_fixed_size 0
		.amdhsa_private_segment_fixed_size 0
		.amdhsa_kernarg_size 144
		.amdhsa_user_sgpr_count 6
		.amdhsa_user_sgpr_private_segment_buffer 1
		.amdhsa_user_sgpr_dispatch_ptr 0
		.amdhsa_user_sgpr_queue_ptr 0
		.amdhsa_user_sgpr_kernarg_segment_ptr 1
		.amdhsa_user_sgpr_dispatch_id 0
		.amdhsa_user_sgpr_flat_scratch_init 0
		.amdhsa_user_sgpr_kernarg_preload_length 0
		.amdhsa_user_sgpr_kernarg_preload_offset 0
		.amdhsa_user_sgpr_private_segment_size 0
		.amdhsa_uses_dynamic_stack 0
		.amdhsa_system_sgpr_private_segment_wavefront_offset 0
		.amdhsa_system_sgpr_workgroup_id_x 1
		.amdhsa_system_sgpr_workgroup_id_y 0
		.amdhsa_system_sgpr_workgroup_id_z 0
		.amdhsa_system_sgpr_workgroup_info 0
		.amdhsa_system_vgpr_workitem_id 0
		.amdhsa_next_free_vgpr 1
		.amdhsa_next_free_sgpr 0
		.amdhsa_accum_offset 4
		.amdhsa_reserve_vcc 0
		.amdhsa_reserve_flat_scratch 0
		.amdhsa_float_round_mode_32 0
		.amdhsa_float_round_mode_16_64 0
		.amdhsa_float_denorm_mode_32 3
		.amdhsa_float_denorm_mode_16_64 3
		.amdhsa_dx10_clamp 1
		.amdhsa_ieee_mode 1
		.amdhsa_fp16_overflow 0
		.amdhsa_tg_split 0
		.amdhsa_exception_fp_ieee_invalid_op 0
		.amdhsa_exception_fp_denorm_src 0
		.amdhsa_exception_fp_ieee_div_zero 0
		.amdhsa_exception_fp_ieee_overflow 0
		.amdhsa_exception_fp_ieee_underflow 0
		.amdhsa_exception_fp_ieee_inexact 0
		.amdhsa_exception_int_div_zero 0
	.end_amdhsa_kernel
	.section	.text._ZN7rocprim17ROCPRIM_400000_NS6detail17trampoline_kernelINS0_14default_configENS1_27scan_by_key_config_selectorIj11FixedVectorIiLj4EEEEZZNS1_16scan_by_key_implILNS1_25lookback_scan_determinismE0ELb0ES3_N6thrust23THRUST_200600_302600_NS6detail15normal_iteratorINSB_10device_ptrIjEEEENSD_INSE_IS6_EEEESI_S6_NSB_4plusIvEENSB_8equal_toIvEES6_EE10hipError_tPvRmT2_T3_T4_T5_mT6_T7_P12ihipStream_tbENKUlT_T0_E_clISt17integral_constantIbLb1EES12_IbLb0EEEEDaSY_SZ_EUlSY_E_NS1_11comp_targetILNS1_3genE0ELNS1_11target_archE4294967295ELNS1_3gpuE0ELNS1_3repE0EEENS1_30default_config_static_selectorELNS0_4arch9wavefront6targetE1EEEvT1_,"axG",@progbits,_ZN7rocprim17ROCPRIM_400000_NS6detail17trampoline_kernelINS0_14default_configENS1_27scan_by_key_config_selectorIj11FixedVectorIiLj4EEEEZZNS1_16scan_by_key_implILNS1_25lookback_scan_determinismE0ELb0ES3_N6thrust23THRUST_200600_302600_NS6detail15normal_iteratorINSB_10device_ptrIjEEEENSD_INSE_IS6_EEEESI_S6_NSB_4plusIvEENSB_8equal_toIvEES6_EE10hipError_tPvRmT2_T3_T4_T5_mT6_T7_P12ihipStream_tbENKUlT_T0_E_clISt17integral_constantIbLb1EES12_IbLb0EEEEDaSY_SZ_EUlSY_E_NS1_11comp_targetILNS1_3genE0ELNS1_11target_archE4294967295ELNS1_3gpuE0ELNS1_3repE0EEENS1_30default_config_static_selectorELNS0_4arch9wavefront6targetE1EEEvT1_,comdat
.Lfunc_end2055:
	.size	_ZN7rocprim17ROCPRIM_400000_NS6detail17trampoline_kernelINS0_14default_configENS1_27scan_by_key_config_selectorIj11FixedVectorIiLj4EEEEZZNS1_16scan_by_key_implILNS1_25lookback_scan_determinismE0ELb0ES3_N6thrust23THRUST_200600_302600_NS6detail15normal_iteratorINSB_10device_ptrIjEEEENSD_INSE_IS6_EEEESI_S6_NSB_4plusIvEENSB_8equal_toIvEES6_EE10hipError_tPvRmT2_T3_T4_T5_mT6_T7_P12ihipStream_tbENKUlT_T0_E_clISt17integral_constantIbLb1EES12_IbLb0EEEEDaSY_SZ_EUlSY_E_NS1_11comp_targetILNS1_3genE0ELNS1_11target_archE4294967295ELNS1_3gpuE0ELNS1_3repE0EEENS1_30default_config_static_selectorELNS0_4arch9wavefront6targetE1EEEvT1_, .Lfunc_end2055-_ZN7rocprim17ROCPRIM_400000_NS6detail17trampoline_kernelINS0_14default_configENS1_27scan_by_key_config_selectorIj11FixedVectorIiLj4EEEEZZNS1_16scan_by_key_implILNS1_25lookback_scan_determinismE0ELb0ES3_N6thrust23THRUST_200600_302600_NS6detail15normal_iteratorINSB_10device_ptrIjEEEENSD_INSE_IS6_EEEESI_S6_NSB_4plusIvEENSB_8equal_toIvEES6_EE10hipError_tPvRmT2_T3_T4_T5_mT6_T7_P12ihipStream_tbENKUlT_T0_E_clISt17integral_constantIbLb1EES12_IbLb0EEEEDaSY_SZ_EUlSY_E_NS1_11comp_targetILNS1_3genE0ELNS1_11target_archE4294967295ELNS1_3gpuE0ELNS1_3repE0EEENS1_30default_config_static_selectorELNS0_4arch9wavefront6targetE1EEEvT1_
                                        ; -- End function
	.section	.AMDGPU.csdata,"",@progbits
; Kernel info:
; codeLenInByte = 0
; NumSgprs: 4
; NumVgprs: 0
; NumAgprs: 0
; TotalNumVgprs: 0
; ScratchSize: 0
; MemoryBound: 0
; FloatMode: 240
; IeeeMode: 1
; LDSByteSize: 0 bytes/workgroup (compile time only)
; SGPRBlocks: 0
; VGPRBlocks: 0
; NumSGPRsForWavesPerEU: 4
; NumVGPRsForWavesPerEU: 1
; AccumOffset: 4
; Occupancy: 8
; WaveLimiterHint : 0
; COMPUTE_PGM_RSRC2:SCRATCH_EN: 0
; COMPUTE_PGM_RSRC2:USER_SGPR: 6
; COMPUTE_PGM_RSRC2:TRAP_HANDLER: 0
; COMPUTE_PGM_RSRC2:TGID_X_EN: 1
; COMPUTE_PGM_RSRC2:TGID_Y_EN: 0
; COMPUTE_PGM_RSRC2:TGID_Z_EN: 0
; COMPUTE_PGM_RSRC2:TIDIG_COMP_CNT: 0
; COMPUTE_PGM_RSRC3_GFX90A:ACCUM_OFFSET: 0
; COMPUTE_PGM_RSRC3_GFX90A:TG_SPLIT: 0
	.section	.text._ZN7rocprim17ROCPRIM_400000_NS6detail17trampoline_kernelINS0_14default_configENS1_27scan_by_key_config_selectorIj11FixedVectorIiLj4EEEEZZNS1_16scan_by_key_implILNS1_25lookback_scan_determinismE0ELb0ES3_N6thrust23THRUST_200600_302600_NS6detail15normal_iteratorINSB_10device_ptrIjEEEENSD_INSE_IS6_EEEESI_S6_NSB_4plusIvEENSB_8equal_toIvEES6_EE10hipError_tPvRmT2_T3_T4_T5_mT6_T7_P12ihipStream_tbENKUlT_T0_E_clISt17integral_constantIbLb1EES12_IbLb0EEEEDaSY_SZ_EUlSY_E_NS1_11comp_targetILNS1_3genE10ELNS1_11target_archE1201ELNS1_3gpuE5ELNS1_3repE0EEENS1_30default_config_static_selectorELNS0_4arch9wavefront6targetE1EEEvT1_,"axG",@progbits,_ZN7rocprim17ROCPRIM_400000_NS6detail17trampoline_kernelINS0_14default_configENS1_27scan_by_key_config_selectorIj11FixedVectorIiLj4EEEEZZNS1_16scan_by_key_implILNS1_25lookback_scan_determinismE0ELb0ES3_N6thrust23THRUST_200600_302600_NS6detail15normal_iteratorINSB_10device_ptrIjEEEENSD_INSE_IS6_EEEESI_S6_NSB_4plusIvEENSB_8equal_toIvEES6_EE10hipError_tPvRmT2_T3_T4_T5_mT6_T7_P12ihipStream_tbENKUlT_T0_E_clISt17integral_constantIbLb1EES12_IbLb0EEEEDaSY_SZ_EUlSY_E_NS1_11comp_targetILNS1_3genE10ELNS1_11target_archE1201ELNS1_3gpuE5ELNS1_3repE0EEENS1_30default_config_static_selectorELNS0_4arch9wavefront6targetE1EEEvT1_,comdat
	.protected	_ZN7rocprim17ROCPRIM_400000_NS6detail17trampoline_kernelINS0_14default_configENS1_27scan_by_key_config_selectorIj11FixedVectorIiLj4EEEEZZNS1_16scan_by_key_implILNS1_25lookback_scan_determinismE0ELb0ES3_N6thrust23THRUST_200600_302600_NS6detail15normal_iteratorINSB_10device_ptrIjEEEENSD_INSE_IS6_EEEESI_S6_NSB_4plusIvEENSB_8equal_toIvEES6_EE10hipError_tPvRmT2_T3_T4_T5_mT6_T7_P12ihipStream_tbENKUlT_T0_E_clISt17integral_constantIbLb1EES12_IbLb0EEEEDaSY_SZ_EUlSY_E_NS1_11comp_targetILNS1_3genE10ELNS1_11target_archE1201ELNS1_3gpuE5ELNS1_3repE0EEENS1_30default_config_static_selectorELNS0_4arch9wavefront6targetE1EEEvT1_ ; -- Begin function _ZN7rocprim17ROCPRIM_400000_NS6detail17trampoline_kernelINS0_14default_configENS1_27scan_by_key_config_selectorIj11FixedVectorIiLj4EEEEZZNS1_16scan_by_key_implILNS1_25lookback_scan_determinismE0ELb0ES3_N6thrust23THRUST_200600_302600_NS6detail15normal_iteratorINSB_10device_ptrIjEEEENSD_INSE_IS6_EEEESI_S6_NSB_4plusIvEENSB_8equal_toIvEES6_EE10hipError_tPvRmT2_T3_T4_T5_mT6_T7_P12ihipStream_tbENKUlT_T0_E_clISt17integral_constantIbLb1EES12_IbLb0EEEEDaSY_SZ_EUlSY_E_NS1_11comp_targetILNS1_3genE10ELNS1_11target_archE1201ELNS1_3gpuE5ELNS1_3repE0EEENS1_30default_config_static_selectorELNS0_4arch9wavefront6targetE1EEEvT1_
	.globl	_ZN7rocprim17ROCPRIM_400000_NS6detail17trampoline_kernelINS0_14default_configENS1_27scan_by_key_config_selectorIj11FixedVectorIiLj4EEEEZZNS1_16scan_by_key_implILNS1_25lookback_scan_determinismE0ELb0ES3_N6thrust23THRUST_200600_302600_NS6detail15normal_iteratorINSB_10device_ptrIjEEEENSD_INSE_IS6_EEEESI_S6_NSB_4plusIvEENSB_8equal_toIvEES6_EE10hipError_tPvRmT2_T3_T4_T5_mT6_T7_P12ihipStream_tbENKUlT_T0_E_clISt17integral_constantIbLb1EES12_IbLb0EEEEDaSY_SZ_EUlSY_E_NS1_11comp_targetILNS1_3genE10ELNS1_11target_archE1201ELNS1_3gpuE5ELNS1_3repE0EEENS1_30default_config_static_selectorELNS0_4arch9wavefront6targetE1EEEvT1_
	.p2align	8
	.type	_ZN7rocprim17ROCPRIM_400000_NS6detail17trampoline_kernelINS0_14default_configENS1_27scan_by_key_config_selectorIj11FixedVectorIiLj4EEEEZZNS1_16scan_by_key_implILNS1_25lookback_scan_determinismE0ELb0ES3_N6thrust23THRUST_200600_302600_NS6detail15normal_iteratorINSB_10device_ptrIjEEEENSD_INSE_IS6_EEEESI_S6_NSB_4plusIvEENSB_8equal_toIvEES6_EE10hipError_tPvRmT2_T3_T4_T5_mT6_T7_P12ihipStream_tbENKUlT_T0_E_clISt17integral_constantIbLb1EES12_IbLb0EEEEDaSY_SZ_EUlSY_E_NS1_11comp_targetILNS1_3genE10ELNS1_11target_archE1201ELNS1_3gpuE5ELNS1_3repE0EEENS1_30default_config_static_selectorELNS0_4arch9wavefront6targetE1EEEvT1_,@function
_ZN7rocprim17ROCPRIM_400000_NS6detail17trampoline_kernelINS0_14default_configENS1_27scan_by_key_config_selectorIj11FixedVectorIiLj4EEEEZZNS1_16scan_by_key_implILNS1_25lookback_scan_determinismE0ELb0ES3_N6thrust23THRUST_200600_302600_NS6detail15normal_iteratorINSB_10device_ptrIjEEEENSD_INSE_IS6_EEEESI_S6_NSB_4plusIvEENSB_8equal_toIvEES6_EE10hipError_tPvRmT2_T3_T4_T5_mT6_T7_P12ihipStream_tbENKUlT_T0_E_clISt17integral_constantIbLb1EES12_IbLb0EEEEDaSY_SZ_EUlSY_E_NS1_11comp_targetILNS1_3genE10ELNS1_11target_archE1201ELNS1_3gpuE5ELNS1_3repE0EEENS1_30default_config_static_selectorELNS0_4arch9wavefront6targetE1EEEvT1_: ; @_ZN7rocprim17ROCPRIM_400000_NS6detail17trampoline_kernelINS0_14default_configENS1_27scan_by_key_config_selectorIj11FixedVectorIiLj4EEEEZZNS1_16scan_by_key_implILNS1_25lookback_scan_determinismE0ELb0ES3_N6thrust23THRUST_200600_302600_NS6detail15normal_iteratorINSB_10device_ptrIjEEEENSD_INSE_IS6_EEEESI_S6_NSB_4plusIvEENSB_8equal_toIvEES6_EE10hipError_tPvRmT2_T3_T4_T5_mT6_T7_P12ihipStream_tbENKUlT_T0_E_clISt17integral_constantIbLb1EES12_IbLb0EEEEDaSY_SZ_EUlSY_E_NS1_11comp_targetILNS1_3genE10ELNS1_11target_archE1201ELNS1_3gpuE5ELNS1_3repE0EEENS1_30default_config_static_selectorELNS0_4arch9wavefront6targetE1EEEvT1_
; %bb.0:
	.section	.rodata,"a",@progbits
	.p2align	6, 0x0
	.amdhsa_kernel _ZN7rocprim17ROCPRIM_400000_NS6detail17trampoline_kernelINS0_14default_configENS1_27scan_by_key_config_selectorIj11FixedVectorIiLj4EEEEZZNS1_16scan_by_key_implILNS1_25lookback_scan_determinismE0ELb0ES3_N6thrust23THRUST_200600_302600_NS6detail15normal_iteratorINSB_10device_ptrIjEEEENSD_INSE_IS6_EEEESI_S6_NSB_4plusIvEENSB_8equal_toIvEES6_EE10hipError_tPvRmT2_T3_T4_T5_mT6_T7_P12ihipStream_tbENKUlT_T0_E_clISt17integral_constantIbLb1EES12_IbLb0EEEEDaSY_SZ_EUlSY_E_NS1_11comp_targetILNS1_3genE10ELNS1_11target_archE1201ELNS1_3gpuE5ELNS1_3repE0EEENS1_30default_config_static_selectorELNS0_4arch9wavefront6targetE1EEEvT1_
		.amdhsa_group_segment_fixed_size 0
		.amdhsa_private_segment_fixed_size 0
		.amdhsa_kernarg_size 144
		.amdhsa_user_sgpr_count 6
		.amdhsa_user_sgpr_private_segment_buffer 1
		.amdhsa_user_sgpr_dispatch_ptr 0
		.amdhsa_user_sgpr_queue_ptr 0
		.amdhsa_user_sgpr_kernarg_segment_ptr 1
		.amdhsa_user_sgpr_dispatch_id 0
		.amdhsa_user_sgpr_flat_scratch_init 0
		.amdhsa_user_sgpr_kernarg_preload_length 0
		.amdhsa_user_sgpr_kernarg_preload_offset 0
		.amdhsa_user_sgpr_private_segment_size 0
		.amdhsa_uses_dynamic_stack 0
		.amdhsa_system_sgpr_private_segment_wavefront_offset 0
		.amdhsa_system_sgpr_workgroup_id_x 1
		.amdhsa_system_sgpr_workgroup_id_y 0
		.amdhsa_system_sgpr_workgroup_id_z 0
		.amdhsa_system_sgpr_workgroup_info 0
		.amdhsa_system_vgpr_workitem_id 0
		.amdhsa_next_free_vgpr 1
		.amdhsa_next_free_sgpr 0
		.amdhsa_accum_offset 4
		.amdhsa_reserve_vcc 0
		.amdhsa_reserve_flat_scratch 0
		.amdhsa_float_round_mode_32 0
		.amdhsa_float_round_mode_16_64 0
		.amdhsa_float_denorm_mode_32 3
		.amdhsa_float_denorm_mode_16_64 3
		.amdhsa_dx10_clamp 1
		.amdhsa_ieee_mode 1
		.amdhsa_fp16_overflow 0
		.amdhsa_tg_split 0
		.amdhsa_exception_fp_ieee_invalid_op 0
		.amdhsa_exception_fp_denorm_src 0
		.amdhsa_exception_fp_ieee_div_zero 0
		.amdhsa_exception_fp_ieee_overflow 0
		.amdhsa_exception_fp_ieee_underflow 0
		.amdhsa_exception_fp_ieee_inexact 0
		.amdhsa_exception_int_div_zero 0
	.end_amdhsa_kernel
	.section	.text._ZN7rocprim17ROCPRIM_400000_NS6detail17trampoline_kernelINS0_14default_configENS1_27scan_by_key_config_selectorIj11FixedVectorIiLj4EEEEZZNS1_16scan_by_key_implILNS1_25lookback_scan_determinismE0ELb0ES3_N6thrust23THRUST_200600_302600_NS6detail15normal_iteratorINSB_10device_ptrIjEEEENSD_INSE_IS6_EEEESI_S6_NSB_4plusIvEENSB_8equal_toIvEES6_EE10hipError_tPvRmT2_T3_T4_T5_mT6_T7_P12ihipStream_tbENKUlT_T0_E_clISt17integral_constantIbLb1EES12_IbLb0EEEEDaSY_SZ_EUlSY_E_NS1_11comp_targetILNS1_3genE10ELNS1_11target_archE1201ELNS1_3gpuE5ELNS1_3repE0EEENS1_30default_config_static_selectorELNS0_4arch9wavefront6targetE1EEEvT1_,"axG",@progbits,_ZN7rocprim17ROCPRIM_400000_NS6detail17trampoline_kernelINS0_14default_configENS1_27scan_by_key_config_selectorIj11FixedVectorIiLj4EEEEZZNS1_16scan_by_key_implILNS1_25lookback_scan_determinismE0ELb0ES3_N6thrust23THRUST_200600_302600_NS6detail15normal_iteratorINSB_10device_ptrIjEEEENSD_INSE_IS6_EEEESI_S6_NSB_4plusIvEENSB_8equal_toIvEES6_EE10hipError_tPvRmT2_T3_T4_T5_mT6_T7_P12ihipStream_tbENKUlT_T0_E_clISt17integral_constantIbLb1EES12_IbLb0EEEEDaSY_SZ_EUlSY_E_NS1_11comp_targetILNS1_3genE10ELNS1_11target_archE1201ELNS1_3gpuE5ELNS1_3repE0EEENS1_30default_config_static_selectorELNS0_4arch9wavefront6targetE1EEEvT1_,comdat
.Lfunc_end2056:
	.size	_ZN7rocprim17ROCPRIM_400000_NS6detail17trampoline_kernelINS0_14default_configENS1_27scan_by_key_config_selectorIj11FixedVectorIiLj4EEEEZZNS1_16scan_by_key_implILNS1_25lookback_scan_determinismE0ELb0ES3_N6thrust23THRUST_200600_302600_NS6detail15normal_iteratorINSB_10device_ptrIjEEEENSD_INSE_IS6_EEEESI_S6_NSB_4plusIvEENSB_8equal_toIvEES6_EE10hipError_tPvRmT2_T3_T4_T5_mT6_T7_P12ihipStream_tbENKUlT_T0_E_clISt17integral_constantIbLb1EES12_IbLb0EEEEDaSY_SZ_EUlSY_E_NS1_11comp_targetILNS1_3genE10ELNS1_11target_archE1201ELNS1_3gpuE5ELNS1_3repE0EEENS1_30default_config_static_selectorELNS0_4arch9wavefront6targetE1EEEvT1_, .Lfunc_end2056-_ZN7rocprim17ROCPRIM_400000_NS6detail17trampoline_kernelINS0_14default_configENS1_27scan_by_key_config_selectorIj11FixedVectorIiLj4EEEEZZNS1_16scan_by_key_implILNS1_25lookback_scan_determinismE0ELb0ES3_N6thrust23THRUST_200600_302600_NS6detail15normal_iteratorINSB_10device_ptrIjEEEENSD_INSE_IS6_EEEESI_S6_NSB_4plusIvEENSB_8equal_toIvEES6_EE10hipError_tPvRmT2_T3_T4_T5_mT6_T7_P12ihipStream_tbENKUlT_T0_E_clISt17integral_constantIbLb1EES12_IbLb0EEEEDaSY_SZ_EUlSY_E_NS1_11comp_targetILNS1_3genE10ELNS1_11target_archE1201ELNS1_3gpuE5ELNS1_3repE0EEENS1_30default_config_static_selectorELNS0_4arch9wavefront6targetE1EEEvT1_
                                        ; -- End function
	.section	.AMDGPU.csdata,"",@progbits
; Kernel info:
; codeLenInByte = 0
; NumSgprs: 4
; NumVgprs: 0
; NumAgprs: 0
; TotalNumVgprs: 0
; ScratchSize: 0
; MemoryBound: 0
; FloatMode: 240
; IeeeMode: 1
; LDSByteSize: 0 bytes/workgroup (compile time only)
; SGPRBlocks: 0
; VGPRBlocks: 0
; NumSGPRsForWavesPerEU: 4
; NumVGPRsForWavesPerEU: 1
; AccumOffset: 4
; Occupancy: 8
; WaveLimiterHint : 0
; COMPUTE_PGM_RSRC2:SCRATCH_EN: 0
; COMPUTE_PGM_RSRC2:USER_SGPR: 6
; COMPUTE_PGM_RSRC2:TRAP_HANDLER: 0
; COMPUTE_PGM_RSRC2:TGID_X_EN: 1
; COMPUTE_PGM_RSRC2:TGID_Y_EN: 0
; COMPUTE_PGM_RSRC2:TGID_Z_EN: 0
; COMPUTE_PGM_RSRC2:TIDIG_COMP_CNT: 0
; COMPUTE_PGM_RSRC3_GFX90A:ACCUM_OFFSET: 0
; COMPUTE_PGM_RSRC3_GFX90A:TG_SPLIT: 0
	.section	.text._ZN7rocprim17ROCPRIM_400000_NS6detail17trampoline_kernelINS0_14default_configENS1_27scan_by_key_config_selectorIj11FixedVectorIiLj4EEEEZZNS1_16scan_by_key_implILNS1_25lookback_scan_determinismE0ELb0ES3_N6thrust23THRUST_200600_302600_NS6detail15normal_iteratorINSB_10device_ptrIjEEEENSD_INSE_IS6_EEEESI_S6_NSB_4plusIvEENSB_8equal_toIvEES6_EE10hipError_tPvRmT2_T3_T4_T5_mT6_T7_P12ihipStream_tbENKUlT_T0_E_clISt17integral_constantIbLb1EES12_IbLb0EEEEDaSY_SZ_EUlSY_E_NS1_11comp_targetILNS1_3genE5ELNS1_11target_archE942ELNS1_3gpuE9ELNS1_3repE0EEENS1_30default_config_static_selectorELNS0_4arch9wavefront6targetE1EEEvT1_,"axG",@progbits,_ZN7rocprim17ROCPRIM_400000_NS6detail17trampoline_kernelINS0_14default_configENS1_27scan_by_key_config_selectorIj11FixedVectorIiLj4EEEEZZNS1_16scan_by_key_implILNS1_25lookback_scan_determinismE0ELb0ES3_N6thrust23THRUST_200600_302600_NS6detail15normal_iteratorINSB_10device_ptrIjEEEENSD_INSE_IS6_EEEESI_S6_NSB_4plusIvEENSB_8equal_toIvEES6_EE10hipError_tPvRmT2_T3_T4_T5_mT6_T7_P12ihipStream_tbENKUlT_T0_E_clISt17integral_constantIbLb1EES12_IbLb0EEEEDaSY_SZ_EUlSY_E_NS1_11comp_targetILNS1_3genE5ELNS1_11target_archE942ELNS1_3gpuE9ELNS1_3repE0EEENS1_30default_config_static_selectorELNS0_4arch9wavefront6targetE1EEEvT1_,comdat
	.protected	_ZN7rocprim17ROCPRIM_400000_NS6detail17trampoline_kernelINS0_14default_configENS1_27scan_by_key_config_selectorIj11FixedVectorIiLj4EEEEZZNS1_16scan_by_key_implILNS1_25lookback_scan_determinismE0ELb0ES3_N6thrust23THRUST_200600_302600_NS6detail15normal_iteratorINSB_10device_ptrIjEEEENSD_INSE_IS6_EEEESI_S6_NSB_4plusIvEENSB_8equal_toIvEES6_EE10hipError_tPvRmT2_T3_T4_T5_mT6_T7_P12ihipStream_tbENKUlT_T0_E_clISt17integral_constantIbLb1EES12_IbLb0EEEEDaSY_SZ_EUlSY_E_NS1_11comp_targetILNS1_3genE5ELNS1_11target_archE942ELNS1_3gpuE9ELNS1_3repE0EEENS1_30default_config_static_selectorELNS0_4arch9wavefront6targetE1EEEvT1_ ; -- Begin function _ZN7rocprim17ROCPRIM_400000_NS6detail17trampoline_kernelINS0_14default_configENS1_27scan_by_key_config_selectorIj11FixedVectorIiLj4EEEEZZNS1_16scan_by_key_implILNS1_25lookback_scan_determinismE0ELb0ES3_N6thrust23THRUST_200600_302600_NS6detail15normal_iteratorINSB_10device_ptrIjEEEENSD_INSE_IS6_EEEESI_S6_NSB_4plusIvEENSB_8equal_toIvEES6_EE10hipError_tPvRmT2_T3_T4_T5_mT6_T7_P12ihipStream_tbENKUlT_T0_E_clISt17integral_constantIbLb1EES12_IbLb0EEEEDaSY_SZ_EUlSY_E_NS1_11comp_targetILNS1_3genE5ELNS1_11target_archE942ELNS1_3gpuE9ELNS1_3repE0EEENS1_30default_config_static_selectorELNS0_4arch9wavefront6targetE1EEEvT1_
	.globl	_ZN7rocprim17ROCPRIM_400000_NS6detail17trampoline_kernelINS0_14default_configENS1_27scan_by_key_config_selectorIj11FixedVectorIiLj4EEEEZZNS1_16scan_by_key_implILNS1_25lookback_scan_determinismE0ELb0ES3_N6thrust23THRUST_200600_302600_NS6detail15normal_iteratorINSB_10device_ptrIjEEEENSD_INSE_IS6_EEEESI_S6_NSB_4plusIvEENSB_8equal_toIvEES6_EE10hipError_tPvRmT2_T3_T4_T5_mT6_T7_P12ihipStream_tbENKUlT_T0_E_clISt17integral_constantIbLb1EES12_IbLb0EEEEDaSY_SZ_EUlSY_E_NS1_11comp_targetILNS1_3genE5ELNS1_11target_archE942ELNS1_3gpuE9ELNS1_3repE0EEENS1_30default_config_static_selectorELNS0_4arch9wavefront6targetE1EEEvT1_
	.p2align	8
	.type	_ZN7rocprim17ROCPRIM_400000_NS6detail17trampoline_kernelINS0_14default_configENS1_27scan_by_key_config_selectorIj11FixedVectorIiLj4EEEEZZNS1_16scan_by_key_implILNS1_25lookback_scan_determinismE0ELb0ES3_N6thrust23THRUST_200600_302600_NS6detail15normal_iteratorINSB_10device_ptrIjEEEENSD_INSE_IS6_EEEESI_S6_NSB_4plusIvEENSB_8equal_toIvEES6_EE10hipError_tPvRmT2_T3_T4_T5_mT6_T7_P12ihipStream_tbENKUlT_T0_E_clISt17integral_constantIbLb1EES12_IbLb0EEEEDaSY_SZ_EUlSY_E_NS1_11comp_targetILNS1_3genE5ELNS1_11target_archE942ELNS1_3gpuE9ELNS1_3repE0EEENS1_30default_config_static_selectorELNS0_4arch9wavefront6targetE1EEEvT1_,@function
_ZN7rocprim17ROCPRIM_400000_NS6detail17trampoline_kernelINS0_14default_configENS1_27scan_by_key_config_selectorIj11FixedVectorIiLj4EEEEZZNS1_16scan_by_key_implILNS1_25lookback_scan_determinismE0ELb0ES3_N6thrust23THRUST_200600_302600_NS6detail15normal_iteratorINSB_10device_ptrIjEEEENSD_INSE_IS6_EEEESI_S6_NSB_4plusIvEENSB_8equal_toIvEES6_EE10hipError_tPvRmT2_T3_T4_T5_mT6_T7_P12ihipStream_tbENKUlT_T0_E_clISt17integral_constantIbLb1EES12_IbLb0EEEEDaSY_SZ_EUlSY_E_NS1_11comp_targetILNS1_3genE5ELNS1_11target_archE942ELNS1_3gpuE9ELNS1_3repE0EEENS1_30default_config_static_selectorELNS0_4arch9wavefront6targetE1EEEvT1_: ; @_ZN7rocprim17ROCPRIM_400000_NS6detail17trampoline_kernelINS0_14default_configENS1_27scan_by_key_config_selectorIj11FixedVectorIiLj4EEEEZZNS1_16scan_by_key_implILNS1_25lookback_scan_determinismE0ELb0ES3_N6thrust23THRUST_200600_302600_NS6detail15normal_iteratorINSB_10device_ptrIjEEEENSD_INSE_IS6_EEEESI_S6_NSB_4plusIvEENSB_8equal_toIvEES6_EE10hipError_tPvRmT2_T3_T4_T5_mT6_T7_P12ihipStream_tbENKUlT_T0_E_clISt17integral_constantIbLb1EES12_IbLb0EEEEDaSY_SZ_EUlSY_E_NS1_11comp_targetILNS1_3genE5ELNS1_11target_archE942ELNS1_3gpuE9ELNS1_3repE0EEENS1_30default_config_static_selectorELNS0_4arch9wavefront6targetE1EEEvT1_
; %bb.0:
	.section	.rodata,"a",@progbits
	.p2align	6, 0x0
	.amdhsa_kernel _ZN7rocprim17ROCPRIM_400000_NS6detail17trampoline_kernelINS0_14default_configENS1_27scan_by_key_config_selectorIj11FixedVectorIiLj4EEEEZZNS1_16scan_by_key_implILNS1_25lookback_scan_determinismE0ELb0ES3_N6thrust23THRUST_200600_302600_NS6detail15normal_iteratorINSB_10device_ptrIjEEEENSD_INSE_IS6_EEEESI_S6_NSB_4plusIvEENSB_8equal_toIvEES6_EE10hipError_tPvRmT2_T3_T4_T5_mT6_T7_P12ihipStream_tbENKUlT_T0_E_clISt17integral_constantIbLb1EES12_IbLb0EEEEDaSY_SZ_EUlSY_E_NS1_11comp_targetILNS1_3genE5ELNS1_11target_archE942ELNS1_3gpuE9ELNS1_3repE0EEENS1_30default_config_static_selectorELNS0_4arch9wavefront6targetE1EEEvT1_
		.amdhsa_group_segment_fixed_size 0
		.amdhsa_private_segment_fixed_size 0
		.amdhsa_kernarg_size 144
		.amdhsa_user_sgpr_count 6
		.amdhsa_user_sgpr_private_segment_buffer 1
		.amdhsa_user_sgpr_dispatch_ptr 0
		.amdhsa_user_sgpr_queue_ptr 0
		.amdhsa_user_sgpr_kernarg_segment_ptr 1
		.amdhsa_user_sgpr_dispatch_id 0
		.amdhsa_user_sgpr_flat_scratch_init 0
		.amdhsa_user_sgpr_kernarg_preload_length 0
		.amdhsa_user_sgpr_kernarg_preload_offset 0
		.amdhsa_user_sgpr_private_segment_size 0
		.amdhsa_uses_dynamic_stack 0
		.amdhsa_system_sgpr_private_segment_wavefront_offset 0
		.amdhsa_system_sgpr_workgroup_id_x 1
		.amdhsa_system_sgpr_workgroup_id_y 0
		.amdhsa_system_sgpr_workgroup_id_z 0
		.amdhsa_system_sgpr_workgroup_info 0
		.amdhsa_system_vgpr_workitem_id 0
		.amdhsa_next_free_vgpr 1
		.amdhsa_next_free_sgpr 0
		.amdhsa_accum_offset 4
		.amdhsa_reserve_vcc 0
		.amdhsa_reserve_flat_scratch 0
		.amdhsa_float_round_mode_32 0
		.amdhsa_float_round_mode_16_64 0
		.amdhsa_float_denorm_mode_32 3
		.amdhsa_float_denorm_mode_16_64 3
		.amdhsa_dx10_clamp 1
		.amdhsa_ieee_mode 1
		.amdhsa_fp16_overflow 0
		.amdhsa_tg_split 0
		.amdhsa_exception_fp_ieee_invalid_op 0
		.amdhsa_exception_fp_denorm_src 0
		.amdhsa_exception_fp_ieee_div_zero 0
		.amdhsa_exception_fp_ieee_overflow 0
		.amdhsa_exception_fp_ieee_underflow 0
		.amdhsa_exception_fp_ieee_inexact 0
		.amdhsa_exception_int_div_zero 0
	.end_amdhsa_kernel
	.section	.text._ZN7rocprim17ROCPRIM_400000_NS6detail17trampoline_kernelINS0_14default_configENS1_27scan_by_key_config_selectorIj11FixedVectorIiLj4EEEEZZNS1_16scan_by_key_implILNS1_25lookback_scan_determinismE0ELb0ES3_N6thrust23THRUST_200600_302600_NS6detail15normal_iteratorINSB_10device_ptrIjEEEENSD_INSE_IS6_EEEESI_S6_NSB_4plusIvEENSB_8equal_toIvEES6_EE10hipError_tPvRmT2_T3_T4_T5_mT6_T7_P12ihipStream_tbENKUlT_T0_E_clISt17integral_constantIbLb1EES12_IbLb0EEEEDaSY_SZ_EUlSY_E_NS1_11comp_targetILNS1_3genE5ELNS1_11target_archE942ELNS1_3gpuE9ELNS1_3repE0EEENS1_30default_config_static_selectorELNS0_4arch9wavefront6targetE1EEEvT1_,"axG",@progbits,_ZN7rocprim17ROCPRIM_400000_NS6detail17trampoline_kernelINS0_14default_configENS1_27scan_by_key_config_selectorIj11FixedVectorIiLj4EEEEZZNS1_16scan_by_key_implILNS1_25lookback_scan_determinismE0ELb0ES3_N6thrust23THRUST_200600_302600_NS6detail15normal_iteratorINSB_10device_ptrIjEEEENSD_INSE_IS6_EEEESI_S6_NSB_4plusIvEENSB_8equal_toIvEES6_EE10hipError_tPvRmT2_T3_T4_T5_mT6_T7_P12ihipStream_tbENKUlT_T0_E_clISt17integral_constantIbLb1EES12_IbLb0EEEEDaSY_SZ_EUlSY_E_NS1_11comp_targetILNS1_3genE5ELNS1_11target_archE942ELNS1_3gpuE9ELNS1_3repE0EEENS1_30default_config_static_selectorELNS0_4arch9wavefront6targetE1EEEvT1_,comdat
.Lfunc_end2057:
	.size	_ZN7rocprim17ROCPRIM_400000_NS6detail17trampoline_kernelINS0_14default_configENS1_27scan_by_key_config_selectorIj11FixedVectorIiLj4EEEEZZNS1_16scan_by_key_implILNS1_25lookback_scan_determinismE0ELb0ES3_N6thrust23THRUST_200600_302600_NS6detail15normal_iteratorINSB_10device_ptrIjEEEENSD_INSE_IS6_EEEESI_S6_NSB_4plusIvEENSB_8equal_toIvEES6_EE10hipError_tPvRmT2_T3_T4_T5_mT6_T7_P12ihipStream_tbENKUlT_T0_E_clISt17integral_constantIbLb1EES12_IbLb0EEEEDaSY_SZ_EUlSY_E_NS1_11comp_targetILNS1_3genE5ELNS1_11target_archE942ELNS1_3gpuE9ELNS1_3repE0EEENS1_30default_config_static_selectorELNS0_4arch9wavefront6targetE1EEEvT1_, .Lfunc_end2057-_ZN7rocprim17ROCPRIM_400000_NS6detail17trampoline_kernelINS0_14default_configENS1_27scan_by_key_config_selectorIj11FixedVectorIiLj4EEEEZZNS1_16scan_by_key_implILNS1_25lookback_scan_determinismE0ELb0ES3_N6thrust23THRUST_200600_302600_NS6detail15normal_iteratorINSB_10device_ptrIjEEEENSD_INSE_IS6_EEEESI_S6_NSB_4plusIvEENSB_8equal_toIvEES6_EE10hipError_tPvRmT2_T3_T4_T5_mT6_T7_P12ihipStream_tbENKUlT_T0_E_clISt17integral_constantIbLb1EES12_IbLb0EEEEDaSY_SZ_EUlSY_E_NS1_11comp_targetILNS1_3genE5ELNS1_11target_archE942ELNS1_3gpuE9ELNS1_3repE0EEENS1_30default_config_static_selectorELNS0_4arch9wavefront6targetE1EEEvT1_
                                        ; -- End function
	.section	.AMDGPU.csdata,"",@progbits
; Kernel info:
; codeLenInByte = 0
; NumSgprs: 4
; NumVgprs: 0
; NumAgprs: 0
; TotalNumVgprs: 0
; ScratchSize: 0
; MemoryBound: 0
; FloatMode: 240
; IeeeMode: 1
; LDSByteSize: 0 bytes/workgroup (compile time only)
; SGPRBlocks: 0
; VGPRBlocks: 0
; NumSGPRsForWavesPerEU: 4
; NumVGPRsForWavesPerEU: 1
; AccumOffset: 4
; Occupancy: 8
; WaveLimiterHint : 0
; COMPUTE_PGM_RSRC2:SCRATCH_EN: 0
; COMPUTE_PGM_RSRC2:USER_SGPR: 6
; COMPUTE_PGM_RSRC2:TRAP_HANDLER: 0
; COMPUTE_PGM_RSRC2:TGID_X_EN: 1
; COMPUTE_PGM_RSRC2:TGID_Y_EN: 0
; COMPUTE_PGM_RSRC2:TGID_Z_EN: 0
; COMPUTE_PGM_RSRC2:TIDIG_COMP_CNT: 0
; COMPUTE_PGM_RSRC3_GFX90A:ACCUM_OFFSET: 0
; COMPUTE_PGM_RSRC3_GFX90A:TG_SPLIT: 0
	.section	.text._ZN7rocprim17ROCPRIM_400000_NS6detail17trampoline_kernelINS0_14default_configENS1_27scan_by_key_config_selectorIj11FixedVectorIiLj4EEEEZZNS1_16scan_by_key_implILNS1_25lookback_scan_determinismE0ELb0ES3_N6thrust23THRUST_200600_302600_NS6detail15normal_iteratorINSB_10device_ptrIjEEEENSD_INSE_IS6_EEEESI_S6_NSB_4plusIvEENSB_8equal_toIvEES6_EE10hipError_tPvRmT2_T3_T4_T5_mT6_T7_P12ihipStream_tbENKUlT_T0_E_clISt17integral_constantIbLb1EES12_IbLb0EEEEDaSY_SZ_EUlSY_E_NS1_11comp_targetILNS1_3genE4ELNS1_11target_archE910ELNS1_3gpuE8ELNS1_3repE0EEENS1_30default_config_static_selectorELNS0_4arch9wavefront6targetE1EEEvT1_,"axG",@progbits,_ZN7rocprim17ROCPRIM_400000_NS6detail17trampoline_kernelINS0_14default_configENS1_27scan_by_key_config_selectorIj11FixedVectorIiLj4EEEEZZNS1_16scan_by_key_implILNS1_25lookback_scan_determinismE0ELb0ES3_N6thrust23THRUST_200600_302600_NS6detail15normal_iteratorINSB_10device_ptrIjEEEENSD_INSE_IS6_EEEESI_S6_NSB_4plusIvEENSB_8equal_toIvEES6_EE10hipError_tPvRmT2_T3_T4_T5_mT6_T7_P12ihipStream_tbENKUlT_T0_E_clISt17integral_constantIbLb1EES12_IbLb0EEEEDaSY_SZ_EUlSY_E_NS1_11comp_targetILNS1_3genE4ELNS1_11target_archE910ELNS1_3gpuE8ELNS1_3repE0EEENS1_30default_config_static_selectorELNS0_4arch9wavefront6targetE1EEEvT1_,comdat
	.protected	_ZN7rocprim17ROCPRIM_400000_NS6detail17trampoline_kernelINS0_14default_configENS1_27scan_by_key_config_selectorIj11FixedVectorIiLj4EEEEZZNS1_16scan_by_key_implILNS1_25lookback_scan_determinismE0ELb0ES3_N6thrust23THRUST_200600_302600_NS6detail15normal_iteratorINSB_10device_ptrIjEEEENSD_INSE_IS6_EEEESI_S6_NSB_4plusIvEENSB_8equal_toIvEES6_EE10hipError_tPvRmT2_T3_T4_T5_mT6_T7_P12ihipStream_tbENKUlT_T0_E_clISt17integral_constantIbLb1EES12_IbLb0EEEEDaSY_SZ_EUlSY_E_NS1_11comp_targetILNS1_3genE4ELNS1_11target_archE910ELNS1_3gpuE8ELNS1_3repE0EEENS1_30default_config_static_selectorELNS0_4arch9wavefront6targetE1EEEvT1_ ; -- Begin function _ZN7rocprim17ROCPRIM_400000_NS6detail17trampoline_kernelINS0_14default_configENS1_27scan_by_key_config_selectorIj11FixedVectorIiLj4EEEEZZNS1_16scan_by_key_implILNS1_25lookback_scan_determinismE0ELb0ES3_N6thrust23THRUST_200600_302600_NS6detail15normal_iteratorINSB_10device_ptrIjEEEENSD_INSE_IS6_EEEESI_S6_NSB_4plusIvEENSB_8equal_toIvEES6_EE10hipError_tPvRmT2_T3_T4_T5_mT6_T7_P12ihipStream_tbENKUlT_T0_E_clISt17integral_constantIbLb1EES12_IbLb0EEEEDaSY_SZ_EUlSY_E_NS1_11comp_targetILNS1_3genE4ELNS1_11target_archE910ELNS1_3gpuE8ELNS1_3repE0EEENS1_30default_config_static_selectorELNS0_4arch9wavefront6targetE1EEEvT1_
	.globl	_ZN7rocprim17ROCPRIM_400000_NS6detail17trampoline_kernelINS0_14default_configENS1_27scan_by_key_config_selectorIj11FixedVectorIiLj4EEEEZZNS1_16scan_by_key_implILNS1_25lookback_scan_determinismE0ELb0ES3_N6thrust23THRUST_200600_302600_NS6detail15normal_iteratorINSB_10device_ptrIjEEEENSD_INSE_IS6_EEEESI_S6_NSB_4plusIvEENSB_8equal_toIvEES6_EE10hipError_tPvRmT2_T3_T4_T5_mT6_T7_P12ihipStream_tbENKUlT_T0_E_clISt17integral_constantIbLb1EES12_IbLb0EEEEDaSY_SZ_EUlSY_E_NS1_11comp_targetILNS1_3genE4ELNS1_11target_archE910ELNS1_3gpuE8ELNS1_3repE0EEENS1_30default_config_static_selectorELNS0_4arch9wavefront6targetE1EEEvT1_
	.p2align	8
	.type	_ZN7rocprim17ROCPRIM_400000_NS6detail17trampoline_kernelINS0_14default_configENS1_27scan_by_key_config_selectorIj11FixedVectorIiLj4EEEEZZNS1_16scan_by_key_implILNS1_25lookback_scan_determinismE0ELb0ES3_N6thrust23THRUST_200600_302600_NS6detail15normal_iteratorINSB_10device_ptrIjEEEENSD_INSE_IS6_EEEESI_S6_NSB_4plusIvEENSB_8equal_toIvEES6_EE10hipError_tPvRmT2_T3_T4_T5_mT6_T7_P12ihipStream_tbENKUlT_T0_E_clISt17integral_constantIbLb1EES12_IbLb0EEEEDaSY_SZ_EUlSY_E_NS1_11comp_targetILNS1_3genE4ELNS1_11target_archE910ELNS1_3gpuE8ELNS1_3repE0EEENS1_30default_config_static_selectorELNS0_4arch9wavefront6targetE1EEEvT1_,@function
_ZN7rocprim17ROCPRIM_400000_NS6detail17trampoline_kernelINS0_14default_configENS1_27scan_by_key_config_selectorIj11FixedVectorIiLj4EEEEZZNS1_16scan_by_key_implILNS1_25lookback_scan_determinismE0ELb0ES3_N6thrust23THRUST_200600_302600_NS6detail15normal_iteratorINSB_10device_ptrIjEEEENSD_INSE_IS6_EEEESI_S6_NSB_4plusIvEENSB_8equal_toIvEES6_EE10hipError_tPvRmT2_T3_T4_T5_mT6_T7_P12ihipStream_tbENKUlT_T0_E_clISt17integral_constantIbLb1EES12_IbLb0EEEEDaSY_SZ_EUlSY_E_NS1_11comp_targetILNS1_3genE4ELNS1_11target_archE910ELNS1_3gpuE8ELNS1_3repE0EEENS1_30default_config_static_selectorELNS0_4arch9wavefront6targetE1EEEvT1_: ; @_ZN7rocprim17ROCPRIM_400000_NS6detail17trampoline_kernelINS0_14default_configENS1_27scan_by_key_config_selectorIj11FixedVectorIiLj4EEEEZZNS1_16scan_by_key_implILNS1_25lookback_scan_determinismE0ELb0ES3_N6thrust23THRUST_200600_302600_NS6detail15normal_iteratorINSB_10device_ptrIjEEEENSD_INSE_IS6_EEEESI_S6_NSB_4plusIvEENSB_8equal_toIvEES6_EE10hipError_tPvRmT2_T3_T4_T5_mT6_T7_P12ihipStream_tbENKUlT_T0_E_clISt17integral_constantIbLb1EES12_IbLb0EEEEDaSY_SZ_EUlSY_E_NS1_11comp_targetILNS1_3genE4ELNS1_11target_archE910ELNS1_3gpuE8ELNS1_3repE0EEENS1_30default_config_static_selectorELNS0_4arch9wavefront6targetE1EEEvT1_
; %bb.0:
	s_add_u32 flat_scratch_lo, s6, s9
	s_load_dwordx8 s[12:19], s[4:5], 0x0
	s_load_dwordx8 s[20:27], s[4:5], 0x38
	s_load_dwordx2 s[34:35], s[4:5], 0x58
	s_load_dword s6, s[4:5], 0x60
	s_load_dwordx8 s[36:43], s[4:5], 0x68
	s_addc_u32 flat_scratch_hi, s7, 0
	s_add_u32 s0, s0, s9
	s_addc_u32 s1, s1, 0
	v_mov_b32_e32 v1, 0
	s_mov_b32 s4, 0
	v_mov_b32_e32 v2, 0xd0
	s_waitcnt lgkmcnt(0)
	s_barrier
	buffer_store_dword v1, off, s[0:3], 0 offset:220
	buffer_store_dword v1, off, s[0:3], 0 offset:216
	buffer_store_dword v1, off, s[0:3], 0 offset:212
	buffer_store_dword v1, off, s[0:3], 0 offset:208
	buffer_store_dword v1, off, s[0:3], 0 offset:224
.LBB2058_1:                             ; =>This Inner Loop Header: Depth=1
	v_add_u32_e32 v3, s4, v2
	s_add_i32 s4, s4, 8
	s_cmp_lg_u32 s4, 16
	buffer_store_dword v1, v3, s[0:3], 0 offen offset:4
	buffer_store_dword v1, v3, s[0:3], 0 offen
	s_cbranch_scc1 .LBB2058_1
; %bb.2:
	v_mov_b32_e32 v2, 0xd0
	v_mov_b32_e32 v1, 0
	s_mov_b32 s4, 20
	v_add_u32_e32 v7, 20, v2
	buffer_store_byte v1, off, s[0:3], 0 offset:224
	buffer_store_dword v1, off, s[0:3], 0 offset:240
	buffer_store_dword v1, off, s[0:3], 0 offset:236
	buffer_store_dword v1, off, s[0:3], 0 offset:232
	buffer_store_dword v1, off, s[0:3], 0 offset:228
	buffer_store_dword v1, off, s[0:3], 0 offset:244
.LBB2058_3:                             ; =>This Inner Loop Header: Depth=1
	v_add_u32_e32 v3, s4, v2
	s_add_i32 s4, s4, 8
	s_cmp_lg_u32 s4, 36
	buffer_store_dword v1, v3, s[0:3], 0 offen offset:4
	buffer_store_dword v1, v3, s[0:3], 0 offen
	s_cbranch_scc1 .LBB2058_3
; %bb.4:
	v_mov_b32_e32 v2, 0xd0
	v_mov_b32_e32 v1, 0
	s_mov_b32 s4, 40
	v_add_u32_e32 v10, 40, v2
	buffer_store_byte v1, off, s[0:3], 0 offset:244
	;; [unrolled: 18-line block ×3, first 2 shown]
	buffer_store_dword v1, off, s[0:3], 0 offset:280
	buffer_store_dword v1, off, s[0:3], 0 offset:276
	;; [unrolled: 1-line block ×5, first 2 shown]
.LBB2058_7:                             ; =>This Inner Loop Header: Depth=1
	v_add_u32_e32 v3, s4, v2
	s_add_i32 s4, s4, 8
	s_cmpk_lg_i32 s4, 0x4c
	buffer_store_dword v1, v3, s[0:3], 0 offen offset:4
	buffer_store_dword v1, v3, s[0:3], 0 offen
	s_cbranch_scc1 .LBB2058_7
; %bb.8:
	v_mov_b32_e32 v2, 0xd0
	v_mov_b32_e32 v1, 0
	s_movk_i32 s4, 0x50
	v_add_u32_e32 v12, 0x50, v2
	buffer_store_byte v1, off, s[0:3], 0 offset:284
	buffer_store_dword v1, off, s[0:3], 0 offset:300
	buffer_store_dword v1, off, s[0:3], 0 offset:296
	;; [unrolled: 1-line block ×5, first 2 shown]
.LBB2058_9:                             ; =>This Inner Loop Header: Depth=1
	v_add_u32_e32 v3, s4, v2
	s_add_i32 s4, s4, 8
	s_cmpk_lg_i32 s4, 0x60
	buffer_store_dword v1, v3, s[0:3], 0 offen offset:4
	buffer_store_dword v1, v3, s[0:3], 0 offen
	s_cbranch_scc1 .LBB2058_9
; %bb.10:
	s_mov_b32 s4, 0
	v_mov_b32_e32 v1, 0
	v_mov_b32_e32 v2, 0x60
	buffer_store_byte v1, off, s[0:3], 0 offset:304
.LBB2058_11:                            ; =>This Inner Loop Header: Depth=1
	v_add_u32_e32 v3, s4, v2
	s_add_i32 s4, s4, 8
	s_cmp_lg_u32 s4, 16
	buffer_store_dword v1, v3, s[0:3], 0 offen offset:4
	buffer_store_dword v1, v3, s[0:3], 0 offen
	s_cbranch_scc1 .LBB2058_11
; %bb.12:
	s_mov_b32 s4, 16
	v_mov_b32_e32 v1, 0x60
	v_mov_b32_e32 v2, 0
.LBB2058_13:                            ; =>This Inner Loop Header: Depth=1
	v_add_u32_e32 v3, s4, v1
	s_add_i32 s4, s4, 8
	s_cmp_lg_u32 s4, 32
	buffer_store_dword v2, v3, s[0:3], 0 offen offset:4
	buffer_store_dword v2, v3, s[0:3], 0 offen
	s_cbranch_scc1 .LBB2058_13
; %bb.14:
	s_mov_b32 s4, 32
	v_mov_b32_e32 v1, 0x60
	v_mov_b32_e32 v2, 0
	;; [unrolled: 11-line block ×4, first 2 shown]
.LBB2058_19:                            ; =>This Inner Loop Header: Depth=1
	v_add_u32_e32 v3, s4, v1
	s_add_i32 s4, s4, 8
	s_cmpk_lg_i32 s4, 0x50
	buffer_store_dword v2, v3, s[0:3], 0 offen offset:4
	buffer_store_dword v2, v3, s[0:3], 0 offen
	s_cbranch_scc1 .LBB2058_19
; %bb.20:
	s_cmp_lg_u64 s[40:41], 0
	s_mul_i32 s5, s35, s6
	s_mul_hi_u32 s7, s34, s6
	s_cselect_b64 s[44:45], -1, 0
	s_add_i32 s10, s7, s5
	s_lshl_b64 s[28:29], s[14:15], 4
	s_add_u32 s9, s16, s28
	s_mul_i32 s11, s34, s6
	s_addc_u32 s16, s17, s29
	s_lshl_b64 s[6:7], s[14:15], 2
	s_mul_i32 s4, s8, 0x500
	s_add_u32 s12, s12, s6
	s_mov_b32 s5, 0
	s_addc_u32 s13, s13, s7
	s_lshl_b64 s[6:7], s[4:5], 2
	s_add_u32 s40, s12, s6
	s_addc_u32 s41, s13, s7
	s_lshl_b64 s[30:31], s[4:5], 4
	s_add_u32 s9, s9, s30
	s_addc_u32 s33, s16, s31
	s_add_u32 s46, s11, s8
	s_addc_u32 s47, s10, 0
	s_add_u32 s6, s36, -1
	v_mov_b32_e32 v2, 0x60
	s_addc_u32 s7, s37, -1
	v_add_u32_e32 v1, 64, v2
	v_add_u32_e32 v6, 48, v2
	;; [unrolled: 1-line block ×4, first 2 shown]
	v_pk_mov_b32 v[2:3], s[6:7], s[6:7] op_sel:[0,1]
	v_cmp_ge_u64_e64 s[4:5], s[46:47], v[2:3]
	s_mov_b64 s[48:49], 0
	s_mov_b64 s[10:11], -1
	s_and_b64 vcc, exec, s[4:5]
	s_mul_i32 s27, s6, 0xfffffb00
                                        ; implicit-def: $sgpr6_sgpr7
	s_cbranch_vccnz .LBB2058_339
; %bb.21:
	s_and_b64 vcc, exec, s[10:11]
	v_lshlrev_b32_e32 v13, 4, v0
	s_cbranch_vccnz .LBB2058_370
.LBB2058_22:
	s_and_saveexec_b64 s[10:11], s[48:49]
	s_cbranch_execz .LBB2058_24
.LBB2058_23:
	buffer_load_dword v2, v1, s[0:3], 0 offen offset:12
	buffer_load_dword v3, v1, s[0:3], 0 offen offset:8
	;; [unrolled: 1-line block ×3, first 2 shown]
	buffer_load_dword v5, v1, s[0:3], 0 offen
                                        ; kill: killed $vgpr1
	v_cndmask_b32_e64 v1, 0, 1, s[6:7]
	s_waitcnt vmcnt(3)
	buffer_store_dword v2, v12, s[0:3], 0 offen offset:12
	s_waitcnt vmcnt(3)
	buffer_store_dword v3, v12, s[0:3], 0 offen offset:8
	;; [unrolled: 2-line block ×3, first 2 shown]
	s_waitcnt vmcnt(3)
	buffer_store_dword v5, v12, s[0:3], 0 offen
	buffer_store_byte v1, off, s[0:3], 0 offset:304
.LBB2058_24:
	s_or_b64 exec, exec, s[10:11]
	s_cmp_lg_u32 s8, 0
	s_mov_b32 s6, 0
	s_barrier
	s_cbranch_scc0 .LBB2058_378
; %bb.25:
	v_mov_b32_e32 v1, 0
	v_mov_b32_e32 v2, 0x60
	buffer_store_dword v1, off, s[0:3], 0 offset:112
.LBB2058_26:                            ; =>This Inner Loop Header: Depth=1
	v_add_u32_e32 v3, s6, v2
	s_add_i32 s6, s6, 8
	s_cmp_lg_u32 s6, 16
	buffer_store_dword v1, v3, s[0:3], 0 offen offset:4
	buffer_store_dword v1, v3, s[0:3], 0 offen
	s_cbranch_scc1 .LBB2058_26
; %bb.27:
	buffer_load_dword v1, off, s[0:3], 0 offset:220
	buffer_load_dword v2, off, s[0:3], 0 offset:216
	;; [unrolled: 1-line block ×4, first 2 shown]
	buffer_load_ubyte v8, off, s[0:3], 0 offset:244
	buffer_load_ubyte v6, off, s[0:3], 0 offset:224
	s_waitcnt vmcnt(5)
	buffer_store_dword v1, off, s[0:3], 0 offset:108
	s_waitcnt vmcnt(5)
	buffer_store_dword v2, off, s[0:3], 0 offset:104
	;; [unrolled: 2-line block ×4, first 2 shown]
	s_waitcnt vmcnt(5)
	v_cmp_ne_u16_e32 vcc, 0, v8
                                        ; implicit-def: $vgpr4_vgpr5
                                        ; implicit-def: $vgpr2_vgpr3
	s_and_saveexec_b64 s[6:7], vcc
	s_xor_b64 s[6:7], exec, s[6:7]
	s_cbranch_execz .LBB2058_29
; %bb.28:
	buffer_load_dword v2, off, s[0:3], 0 offset:228
	buffer_load_dword v3, off, s[0:3], 0 offset:232
	;; [unrolled: 1-line block ×4, first 2 shown]
.LBB2058_29:
	s_andn2_saveexec_b64 s[6:7], s[6:7]
	s_cbranch_execz .LBB2058_35
; %bb.30:
	s_mov_b32 s9, 0
	v_mov_b32_e32 v1, 16
	s_waitcnt vmcnt(3)
	v_mov_b32_e32 v2, 0
	s_waitcnt vmcnt(0)
.LBB2058_31:                            ; =>This Inner Loop Header: Depth=1
	v_add_u32_e32 v3, s9, v1
	s_add_i32 s9, s9, 8
	s_cmp_lg_u32 s9, 16
	buffer_store_dword v2, v3, s[0:3], 0 offen offset:4
	buffer_store_dword v2, v3, s[0:3], 0 offen
	s_cbranch_scc1 .LBB2058_31
; %bb.32:
	s_mov_b32 s9, 0
	v_mov_b32_e32 v1, 0x60
	v_mov_b32_e32 v2, 0xd0
	v_mov_b32_e32 v3, 16
.LBB2058_33:                            ; =>This Inner Loop Header: Depth=1
	v_add_u32_e32 v4, s9, v1
	v_add_u32_e32 v5, s9, v2
	buffer_load_dword v9, v4, s[0:3], 0 offen offset:4
	buffer_load_dword v14, v5, s[0:3], 0 offen offset:20
	buffer_load_dword v15, v4, s[0:3], 0 offen
	buffer_load_dword v16, v5, s[0:3], 0 offen offset:24
                                        ; kill: killed $vgpr4
	v_add_u32_e32 v4, s9, v3
	s_add_i32 s9, s9, 8
	s_cmp_lg_u32 s9, 16
                                        ; kill: killed $vgpr5
	s_waitcnt vmcnt(1)
	v_add_u32_e32 v5, v14, v15
	s_waitcnt vmcnt(0)
	v_add_u32_e32 v9, v16, v9
	buffer_store_dword v9, v4, s[0:3], 0 offen offset:4
	buffer_store_dword v5, v4, s[0:3], 0 offen
	s_cbranch_scc1 .LBB2058_33
; %bb.34:
	buffer_load_dword v2, off, s[0:3], 0 offset:16
	buffer_load_dword v3, off, s[0:3], 0 offset:20
	;; [unrolled: 1-line block ×4, first 2 shown]
.LBB2058_35:
	s_or_b64 exec, exec, s[6:7]
	buffer_load_ubyte v1, off, s[0:3], 0 offset:264
	s_waitcnt vmcnt(3)
	buffer_store_dword v3, off, s[0:3], 0 offset:100
	buffer_store_dword v2, off, s[0:3], 0 offset:96
	s_waitcnt vmcnt(3)
	buffer_store_dword v5, off, s[0:3], 0 offset:108
	buffer_store_dword v4, off, s[0:3], 0 offset:104
                                        ; implicit-def: $vgpr4_vgpr5
                                        ; implicit-def: $vgpr2_vgpr3
	s_waitcnt vmcnt(4)
	v_cmp_ne_u16_e32 vcc, 0, v1
	s_and_saveexec_b64 s[6:7], vcc
	s_xor_b64 s[6:7], exec, s[6:7]
	s_cbranch_execz .LBB2058_37
; %bb.36:
	buffer_load_dword v2, off, s[0:3], 0 offset:248
	buffer_load_dword v3, off, s[0:3], 0 offset:252
	;; [unrolled: 1-line block ×4, first 2 shown]
.LBB2058_37:
	s_andn2_saveexec_b64 s[6:7], s[6:7]
	s_cbranch_execz .LBB2058_43
; %bb.38:
	s_mov_b32 s9, 0
	s_waitcnt vmcnt(3)
	v_mov_b32_e32 v2, 16
	s_waitcnt vmcnt(2)
	v_mov_b32_e32 v3, 0
	s_waitcnt vmcnt(0)
.LBB2058_39:                            ; =>This Inner Loop Header: Depth=1
	v_add_u32_e32 v4, s9, v2
	s_add_i32 s9, s9, 8
	s_cmp_lg_u32 s9, 16
	buffer_store_dword v3, v4, s[0:3], 0 offen offset:4
	buffer_store_dword v3, v4, s[0:3], 0 offen
	s_cbranch_scc1 .LBB2058_39
; %bb.40:
	s_mov_b32 s9, 0
	v_mov_b32_e32 v2, 0x60
	v_mov_b32_e32 v3, 0xd0
	;; [unrolled: 1-line block ×3, first 2 shown]
.LBB2058_41:                            ; =>This Inner Loop Header: Depth=1
	v_add_u32_e32 v5, s9, v2
	v_add_u32_e32 v9, s9, v3
	buffer_load_dword v14, v5, s[0:3], 0 offen offset:4
	buffer_load_dword v15, v9, s[0:3], 0 offen offset:40
	buffer_load_dword v16, v5, s[0:3], 0 offen
	buffer_load_dword v17, v9, s[0:3], 0 offen offset:44
                                        ; kill: killed $vgpr5
	v_add_u32_e32 v5, s9, v4
	s_add_i32 s9, s9, 8
	s_cmp_lg_u32 s9, 16
                                        ; kill: killed $vgpr9
	s_waitcnt vmcnt(1)
	v_add_u32_e32 v9, v15, v16
	s_waitcnt vmcnt(0)
	v_add_u32_e32 v14, v17, v14
	buffer_store_dword v14, v5, s[0:3], 0 offen offset:4
	buffer_store_dword v9, v5, s[0:3], 0 offen
	s_cbranch_scc1 .LBB2058_41
; %bb.42:
	buffer_load_dword v2, off, s[0:3], 0 offset:16
	buffer_load_dword v3, off, s[0:3], 0 offset:20
	buffer_load_dword v4, off, s[0:3], 0 offset:24
	buffer_load_dword v5, off, s[0:3], 0 offset:28
.LBB2058_43:
	s_or_b64 exec, exec, s[6:7]
	buffer_load_ubyte v9, off, s[0:3], 0 offset:284
	s_waitcnt vmcnt(3)
	buffer_store_dword v3, off, s[0:3], 0 offset:100
	buffer_store_dword v2, off, s[0:3], 0 offset:96
	s_waitcnt vmcnt(3)
	buffer_store_dword v5, off, s[0:3], 0 offset:108
	buffer_store_dword v4, off, s[0:3], 0 offset:104
                                        ; implicit-def: $vgpr4_vgpr5
                                        ; implicit-def: $vgpr2_vgpr3
	s_waitcnt vmcnt(4)
	v_cmp_ne_u16_e32 vcc, 0, v9
	s_and_saveexec_b64 s[6:7], vcc
	s_xor_b64 s[6:7], exec, s[6:7]
	s_cbranch_execz .LBB2058_45
; %bb.44:
	buffer_load_dword v2, off, s[0:3], 0 offset:268
	buffer_load_dword v3, off, s[0:3], 0 offset:272
	;; [unrolled: 1-line block ×4, first 2 shown]
.LBB2058_45:
	s_andn2_saveexec_b64 s[6:7], s[6:7]
	s_cbranch_execz .LBB2058_51
; %bb.46:
	s_mov_b32 s9, 0
	s_waitcnt vmcnt(3)
	v_mov_b32_e32 v2, 16
	s_waitcnt vmcnt(2)
	v_mov_b32_e32 v3, 0
	s_waitcnt vmcnt(0)
.LBB2058_47:                            ; =>This Inner Loop Header: Depth=1
	v_add_u32_e32 v4, s9, v2
	s_add_i32 s9, s9, 8
	s_cmp_lg_u32 s9, 16
	buffer_store_dword v3, v4, s[0:3], 0 offen offset:4
	buffer_store_dword v3, v4, s[0:3], 0 offen
	s_cbranch_scc1 .LBB2058_47
; %bb.48:
	s_mov_b32 s9, 0
	v_mov_b32_e32 v2, 0x60
	v_mov_b32_e32 v3, 0xd0
	;; [unrolled: 1-line block ×3, first 2 shown]
.LBB2058_49:                            ; =>This Inner Loop Header: Depth=1
	v_add_u32_e32 v5, s9, v2
	v_add_u32_e32 v14, s9, v3
	buffer_load_dword v15, v5, s[0:3], 0 offen offset:4
	buffer_load_dword v16, v14, s[0:3], 0 offen offset:60
	buffer_load_dword v17, v5, s[0:3], 0 offen
	buffer_load_dword v18, v14, s[0:3], 0 offen offset:64
                                        ; kill: killed $vgpr5
	v_add_u32_e32 v5, s9, v4
	s_add_i32 s9, s9, 8
	s_cmp_lg_u32 s9, 16
                                        ; kill: killed $vgpr14
	s_waitcnt vmcnt(1)
	v_add_u32_e32 v14, v16, v17
	s_waitcnt vmcnt(0)
	v_add_u32_e32 v15, v18, v15
	buffer_store_dword v15, v5, s[0:3], 0 offen offset:4
	buffer_store_dword v14, v5, s[0:3], 0 offen
	s_cbranch_scc1 .LBB2058_49
; %bb.50:
	buffer_load_dword v2, off, s[0:3], 0 offset:16
	buffer_load_dword v3, off, s[0:3], 0 offset:20
	;; [unrolled: 1-line block ×4, first 2 shown]
.LBB2058_51:
	s_or_b64 exec, exec, s[6:7]
	buffer_load_ubyte v14, off, s[0:3], 0 offset:304
	s_waitcnt vmcnt(3)
	buffer_store_dword v3, off, s[0:3], 0 offset:100
	buffer_store_dword v2, off, s[0:3], 0 offset:96
	s_waitcnt vmcnt(3)
	buffer_store_dword v5, off, s[0:3], 0 offset:108
	buffer_store_dword v4, off, s[0:3], 0 offset:104
                                        ; implicit-def: $vgpr4_vgpr5
                                        ; implicit-def: $vgpr2_vgpr3
	s_waitcnt vmcnt(4)
	v_cmp_ne_u16_e32 vcc, 0, v14
	s_and_saveexec_b64 s[6:7], vcc
	s_xor_b64 s[6:7], exec, s[6:7]
	s_cbranch_execz .LBB2058_53
; %bb.52:
	buffer_load_dword v2, off, s[0:3], 0 offset:288
	buffer_load_dword v3, off, s[0:3], 0 offset:292
	;; [unrolled: 1-line block ×4, first 2 shown]
.LBB2058_53:
	s_andn2_saveexec_b64 s[6:7], s[6:7]
	s_cbranch_execz .LBB2058_59
; %bb.54:
	s_mov_b32 s9, 0
	s_waitcnt vmcnt(3)
	v_mov_b32_e32 v2, 16
	s_waitcnt vmcnt(2)
	v_mov_b32_e32 v3, 0
	s_waitcnt vmcnt(0)
.LBB2058_55:                            ; =>This Inner Loop Header: Depth=1
	v_add_u32_e32 v4, s9, v2
	s_add_i32 s9, s9, 8
	s_cmp_lg_u32 s9, 16
	buffer_store_dword v3, v4, s[0:3], 0 offen offset:4
	buffer_store_dword v3, v4, s[0:3], 0 offen
	s_cbranch_scc1 .LBB2058_55
; %bb.56:
	s_mov_b32 s9, 0
	v_mov_b32_e32 v2, 0x60
	v_mov_b32_e32 v3, 0xd0
	;; [unrolled: 1-line block ×3, first 2 shown]
.LBB2058_57:                            ; =>This Inner Loop Header: Depth=1
	v_add_u32_e32 v5, s9, v2
	v_add_u32_e32 v15, s9, v3
	buffer_load_dword v16, v5, s[0:3], 0 offen offset:4
	buffer_load_dword v17, v15, s[0:3], 0 offen offset:80
	buffer_load_dword v18, v5, s[0:3], 0 offen
	buffer_load_dword v19, v15, s[0:3], 0 offen offset:84
                                        ; kill: killed $vgpr5
	v_add_u32_e32 v5, s9, v4
	s_add_i32 s9, s9, 8
	s_cmp_lg_u32 s9, 16
                                        ; kill: killed $vgpr15
	s_waitcnt vmcnt(1)
	v_add_u32_e32 v15, v17, v18
	s_waitcnt vmcnt(0)
	v_add_u32_e32 v16, v19, v16
	buffer_store_dword v16, v5, s[0:3], 0 offen offset:4
	buffer_store_dword v15, v5, s[0:3], 0 offen
	s_cbranch_scc1 .LBB2058_57
; %bb.58:
	buffer_load_dword v2, off, s[0:3], 0 offset:16
	buffer_load_dword v3, off, s[0:3], 0 offset:20
	;; [unrolled: 1-line block ×4, first 2 shown]
.LBB2058_59:
	s_or_b64 exec, exec, s[6:7]
	buffer_load_ushort v15, off, s[0:3], 0 offset:113
	buffer_load_sbyte v16, off, s[0:3], 0 offset:115
	v_or_b32_e32 v9, v14, v9
	v_or_b32_e32 v9, v9, v1
	;; [unrolled: 1-line block ×3, first 2 shown]
	v_mbcnt_lo_u32_b32 v14, -1, 0
	v_or_b32_e32 v6, v9, v6
	v_mbcnt_hi_u32_b32 v1, -1, v14
	v_and_b32_e32 v6, 1, v6
	v_and_b32_e32 v8, 15, v1
	s_waitcnt vmcnt(5)
	v_mov_b32_dpp v17, v2 row_shr:1 row_mask:0xf bank_mask:0xf
	v_cmp_ne_u32_e32 vcc, 0, v8
	s_waitcnt vmcnt(4)
	buffer_store_dword v3, off, s[0:3], 0 offset:180
	buffer_store_dword v2, off, s[0:3], 0 offset:176
	s_waitcnt vmcnt(4)
	buffer_store_dword v5, off, s[0:3], 0 offset:188
	buffer_store_dword v4, off, s[0:3], 0 offset:184
	v_mov_b32_dpp v18, v3 row_shr:1 row_mask:0xf bank_mask:0xf
	v_mov_b32_dpp v19, v4 row_shr:1 row_mask:0xf bank_mask:0xf
	;; [unrolled: 1-line block ×3, first 2 shown]
	buffer_store_dword v17, off, s[0:3], 0 offset:96
	buffer_store_dword v18, off, s[0:3], 0 offset:100
	;; [unrolled: 1-line block ×4, first 2 shown]
	s_waitcnt vmcnt(9)
	v_lshrrev_b32_e32 v9, 8, v15
	v_lshlrev_b16_e32 v14, 8, v15
	s_waitcnt vmcnt(8)
	v_lshlrev_b16_e32 v15, 8, v16
	v_or_b32_e32 v6, v6, v14
	v_or_b32_sdwa v9, v9, v15 dst_sel:WORD_1 dst_unused:UNUSED_PAD src0_sel:BYTE_0 src1_sel:DWORD
	v_or_b32_sdwa v9, v6, v9 dst_sel:DWORD dst_unused:UNUSED_PAD src0_sel:WORD_0 src1_sel:DWORD
	buffer_store_dword v9, off, s[0:3], 0 offset:192
	s_nop 0
	v_mov_b32_dpp v14, v9 row_shr:1 row_mask:0xf bank_mask:0xf
	buffer_store_dword v14, off, s[0:3], 0 offset:112
	s_and_saveexec_b64 s[6:7], vcc
	s_cbranch_execz .LBB2058_67
; %bb.60:
	v_mov_b32_e32 v15, 0
	v_cmp_eq_u16_sdwa s[12:13], v6, v15 src0_sel:BYTE_0 src1_sel:DWORD
	s_and_saveexec_b64 s[10:11], s[12:13]
	s_cbranch_execz .LBB2058_66
; %bb.61:
	s_mov_b32 s9, 0
	v_mov_b32_e32 v2, 16
.LBB2058_62:                            ; =>This Inner Loop Header: Depth=1
	v_add_u32_e32 v3, s9, v2
	s_add_i32 s9, s9, 8
	s_cmp_lg_u32 s9, 16
	buffer_store_dword v15, v3, s[0:3], 0 offen offset:4
	buffer_store_dword v15, v3, s[0:3], 0 offen
	s_cbranch_scc1 .LBB2058_62
; %bb.63:
	s_mov_b32 s9, 0
	v_mov_b32_e32 v2, 0x60
	v_mov_b32_e32 v3, 0xb0
	;; [unrolled: 1-line block ×3, first 2 shown]
.LBB2058_64:                            ; =>This Inner Loop Header: Depth=1
	v_add_u32_e32 v5, s9, v2
	v_add_u32_e32 v6, s9, v3
	buffer_load_dword v15, v5, s[0:3], 0 offen offset:4
	buffer_load_dword v16, v6, s[0:3], 0 offen
	buffer_load_dword v17, v5, s[0:3], 0 offen
	buffer_load_dword v18, v6, s[0:3], 0 offen offset:4
                                        ; kill: killed $vgpr5
	v_add_u32_e32 v5, s9, v4
	s_add_i32 s9, s9, 8
	s_cmp_lg_u32 s9, 16
                                        ; kill: killed $vgpr6
	s_waitcnt vmcnt(1)
	v_add_u32_e32 v6, v16, v17
	s_waitcnt vmcnt(0)
	v_add_u32_e32 v15, v18, v15
	buffer_store_dword v15, v5, s[0:3], 0 offen offset:4
	buffer_store_dword v6, v5, s[0:3], 0 offen
	s_cbranch_scc1 .LBB2058_64
; %bb.65:
	buffer_load_dword v2, off, s[0:3], 0 offset:16
	buffer_load_dword v3, off, s[0:3], 0 offset:20
	;; [unrolled: 1-line block ×4, first 2 shown]
.LBB2058_66:
	s_or_b64 exec, exec, s[10:11]
	v_or_b32_e32 v6, v14, v9
	v_and_b32_e32 v6, 1, v6
	buffer_store_byte v6, off, s[0:3], 0 offset:192
	buffer_load_dword v9, off, s[0:3], 0 offset:192
	s_waitcnt vmcnt(4)
	buffer_store_dword v3, off, s[0:3], 0 offset:180
	buffer_store_dword v2, off, s[0:3], 0 offset:176
	s_waitcnt vmcnt(4)
	buffer_store_dword v5, off, s[0:3], 0 offset:188
	buffer_store_dword v4, off, s[0:3], 0 offset:184
	s_waitcnt vmcnt(4)
	v_mov_b32_e32 v6, v9
.LBB2058_67:
	s_or_b64 exec, exec, s[6:7]
	v_mov_b32_dpp v15, v2 row_shr:2 row_mask:0xf bank_mask:0xf
	v_mov_b32_dpp v14, v9 row_shr:2 row_mask:0xf bank_mask:0xf
	v_cmp_lt_u32_e32 vcc, 1, v8
	v_mov_b32_dpp v16, v3 row_shr:2 row_mask:0xf bank_mask:0xf
	v_mov_b32_dpp v17, v4 row_shr:2 row_mask:0xf bank_mask:0xf
	;; [unrolled: 1-line block ×3, first 2 shown]
	buffer_store_dword v15, off, s[0:3], 0 offset:96
	buffer_store_dword v16, off, s[0:3], 0 offset:100
	;; [unrolled: 1-line block ×5, first 2 shown]
	s_and_saveexec_b64 s[10:11], vcc
	s_cbranch_execz .LBB2058_75
; %bb.68:
	v_mov_b32_e32 v9, 0
	s_mov_b32 s9, 0
	v_cmp_eq_u16_sdwa s[12:13], v6, v9 src0_sel:BYTE_0 src1_sel:DWORD
	s_and_saveexec_b64 s[6:7], s[12:13]
	s_cbranch_execz .LBB2058_74
; %bb.69:
	v_mov_b32_e32 v2, 16
.LBB2058_70:                            ; =>This Inner Loop Header: Depth=1
	v_add_u32_e32 v3, s9, v2
	s_add_i32 s9, s9, 8
	s_cmp_lg_u32 s9, 16
	buffer_store_dword v9, v3, s[0:3], 0 offen offset:4
	buffer_store_dword v9, v3, s[0:3], 0 offen
	s_cbranch_scc1 .LBB2058_70
; %bb.71:
	s_mov_b32 s9, 0
	v_mov_b32_e32 v2, 0x60
	v_mov_b32_e32 v3, 0xb0
	;; [unrolled: 1-line block ×3, first 2 shown]
.LBB2058_72:                            ; =>This Inner Loop Header: Depth=1
	v_add_u32_e32 v5, s9, v2
	v_add_u32_e32 v9, s9, v3
	buffer_load_dword v15, v5, s[0:3], 0 offen offset:4
	buffer_load_dword v16, v9, s[0:3], 0 offen
	buffer_load_dword v17, v5, s[0:3], 0 offen
	buffer_load_dword v18, v9, s[0:3], 0 offen offset:4
                                        ; kill: killed $vgpr5
	v_add_u32_e32 v5, s9, v4
	s_add_i32 s9, s9, 8
	s_cmp_lg_u32 s9, 16
                                        ; kill: killed $vgpr9
	s_waitcnt vmcnt(1)
	v_add_u32_e32 v9, v16, v17
	s_waitcnt vmcnt(0)
	v_add_u32_e32 v15, v18, v15
	buffer_store_dword v15, v5, s[0:3], 0 offen offset:4
	buffer_store_dword v9, v5, s[0:3], 0 offen
	s_cbranch_scc1 .LBB2058_72
; %bb.73:
	buffer_load_dword v2, off, s[0:3], 0 offset:16
	buffer_load_dword v3, off, s[0:3], 0 offset:20
	;; [unrolled: 1-line block ×4, first 2 shown]
.LBB2058_74:
	s_or_b64 exec, exec, s[6:7]
	v_and_b32_e32 v6, 1, v6
	v_cmp_eq_u32_e32 vcc, 1, v6
	v_and_b32_e32 v6, 1, v14
	v_cmp_eq_u32_e64 s[6:7], 1, v6
	s_or_b64 s[6:7], vcc, s[6:7]
	v_cndmask_b32_e64 v6, 0, 1, s[6:7]
	buffer_store_byte v6, off, s[0:3], 0 offset:192
	buffer_load_dword v9, off, s[0:3], 0 offset:192
	s_waitcnt vmcnt(4)
	buffer_store_dword v3, off, s[0:3], 0 offset:180
	buffer_store_dword v2, off, s[0:3], 0 offset:176
	s_waitcnt vmcnt(4)
	buffer_store_dword v5, off, s[0:3], 0 offset:188
	buffer_store_dword v4, off, s[0:3], 0 offset:184
	s_waitcnt vmcnt(4)
	v_mov_b32_e32 v6, v9
.LBB2058_75:
	s_or_b64 exec, exec, s[10:11]
	v_mov_b32_dpp v15, v2 row_shr:4 row_mask:0xf bank_mask:0xf
	v_mov_b32_dpp v14, v9 row_shr:4 row_mask:0xf bank_mask:0xf
	v_cmp_lt_u32_e32 vcc, 3, v8
	v_mov_b32_dpp v16, v3 row_shr:4 row_mask:0xf bank_mask:0xf
	v_mov_b32_dpp v17, v4 row_shr:4 row_mask:0xf bank_mask:0xf
	;; [unrolled: 1-line block ×3, first 2 shown]
	buffer_store_dword v15, off, s[0:3], 0 offset:96
	buffer_store_dword v16, off, s[0:3], 0 offset:100
	buffer_store_dword v17, off, s[0:3], 0 offset:104
	buffer_store_dword v18, off, s[0:3], 0 offset:108
	buffer_store_dword v14, off, s[0:3], 0 offset:112
	s_and_saveexec_b64 s[10:11], vcc
	s_cbranch_execz .LBB2058_83
; %bb.76:
	v_mov_b32_e32 v9, 0
	s_mov_b32 s9, 0
	v_cmp_eq_u16_sdwa s[12:13], v6, v9 src0_sel:BYTE_0 src1_sel:DWORD
	s_and_saveexec_b64 s[6:7], s[12:13]
	s_cbranch_execz .LBB2058_82
; %bb.77:
	v_mov_b32_e32 v2, 16
.LBB2058_78:                            ; =>This Inner Loop Header: Depth=1
	v_add_u32_e32 v3, s9, v2
	s_add_i32 s9, s9, 8
	s_cmp_lg_u32 s9, 16
	buffer_store_dword v9, v3, s[0:3], 0 offen offset:4
	buffer_store_dword v9, v3, s[0:3], 0 offen
	s_cbranch_scc1 .LBB2058_78
; %bb.79:
	s_mov_b32 s9, 0
	v_mov_b32_e32 v2, 0x60
	v_mov_b32_e32 v3, 0xb0
	;; [unrolled: 1-line block ×3, first 2 shown]
.LBB2058_80:                            ; =>This Inner Loop Header: Depth=1
	v_add_u32_e32 v5, s9, v2
	v_add_u32_e32 v9, s9, v3
	buffer_load_dword v15, v5, s[0:3], 0 offen offset:4
	buffer_load_dword v16, v9, s[0:3], 0 offen
	buffer_load_dword v17, v5, s[0:3], 0 offen
	buffer_load_dword v18, v9, s[0:3], 0 offen offset:4
                                        ; kill: killed $vgpr5
	v_add_u32_e32 v5, s9, v4
	s_add_i32 s9, s9, 8
	s_cmp_lg_u32 s9, 16
                                        ; kill: killed $vgpr9
	s_waitcnt vmcnt(1)
	v_add_u32_e32 v9, v16, v17
	s_waitcnt vmcnt(0)
	v_add_u32_e32 v15, v18, v15
	buffer_store_dword v15, v5, s[0:3], 0 offen offset:4
	buffer_store_dword v9, v5, s[0:3], 0 offen
	s_cbranch_scc1 .LBB2058_80
; %bb.81:
	buffer_load_dword v2, off, s[0:3], 0 offset:16
	buffer_load_dword v3, off, s[0:3], 0 offset:20
	;; [unrolled: 1-line block ×4, first 2 shown]
.LBB2058_82:
	s_or_b64 exec, exec, s[6:7]
	v_and_b32_e32 v6, 1, v6
	v_cmp_eq_u32_e32 vcc, 1, v6
	v_and_b32_e32 v6, 1, v14
	v_cmp_eq_u32_e64 s[6:7], 1, v6
	s_or_b64 s[6:7], vcc, s[6:7]
	v_cndmask_b32_e64 v6, 0, 1, s[6:7]
	buffer_store_byte v6, off, s[0:3], 0 offset:192
	buffer_load_dword v9, off, s[0:3], 0 offset:192
	s_waitcnt vmcnt(4)
	buffer_store_dword v3, off, s[0:3], 0 offset:180
	buffer_store_dword v2, off, s[0:3], 0 offset:176
	s_waitcnt vmcnt(4)
	buffer_store_dword v5, off, s[0:3], 0 offset:188
	buffer_store_dword v4, off, s[0:3], 0 offset:184
	s_waitcnt vmcnt(4)
	v_mov_b32_e32 v6, v9
.LBB2058_83:
	s_or_b64 exec, exec, s[10:11]
	v_mov_b32_dpp v15, v2 row_shr:8 row_mask:0xf bank_mask:0xf
	v_mov_b32_dpp v14, v9 row_shr:8 row_mask:0xf bank_mask:0xf
	v_cmp_lt_u32_e32 vcc, 7, v8
	v_mov_b32_dpp v16, v3 row_shr:8 row_mask:0xf bank_mask:0xf
	v_mov_b32_dpp v17, v4 row_shr:8 row_mask:0xf bank_mask:0xf
	;; [unrolled: 1-line block ×3, first 2 shown]
	buffer_store_dword v15, off, s[0:3], 0 offset:96
	buffer_store_dword v16, off, s[0:3], 0 offset:100
	buffer_store_dword v17, off, s[0:3], 0 offset:104
	buffer_store_dword v18, off, s[0:3], 0 offset:108
	buffer_store_dword v14, off, s[0:3], 0 offset:112
	s_and_saveexec_b64 s[10:11], vcc
	s_cbranch_execz .LBB2058_91
; %bb.84:
	v_mov_b32_e32 v8, 0
	s_mov_b32 s9, 0
	v_cmp_eq_u16_sdwa s[12:13], v6, v8 src0_sel:BYTE_0 src1_sel:DWORD
	s_and_saveexec_b64 s[6:7], s[12:13]
	s_cbranch_execz .LBB2058_90
; %bb.85:
	v_mov_b32_e32 v2, 16
.LBB2058_86:                            ; =>This Inner Loop Header: Depth=1
	v_add_u32_e32 v3, s9, v2
	s_add_i32 s9, s9, 8
	s_cmp_lg_u32 s9, 16
	buffer_store_dword v8, v3, s[0:3], 0 offen offset:4
	buffer_store_dword v8, v3, s[0:3], 0 offen
	s_cbranch_scc1 .LBB2058_86
; %bb.87:
	s_mov_b32 s9, 0
	v_mov_b32_e32 v2, 0x60
	v_mov_b32_e32 v3, 0xb0
	;; [unrolled: 1-line block ×3, first 2 shown]
.LBB2058_88:                            ; =>This Inner Loop Header: Depth=1
	v_add_u32_e32 v5, s9, v2
	v_add_u32_e32 v8, s9, v3
	buffer_load_dword v9, v5, s[0:3], 0 offen offset:4
	buffer_load_dword v15, v8, s[0:3], 0 offen
	buffer_load_dword v16, v5, s[0:3], 0 offen
	buffer_load_dword v17, v8, s[0:3], 0 offen offset:4
                                        ; kill: killed $vgpr5
	v_add_u32_e32 v5, s9, v4
	s_add_i32 s9, s9, 8
	s_cmp_lg_u32 s9, 16
                                        ; kill: killed $vgpr8
	s_waitcnt vmcnt(1)
	v_add_u32_e32 v8, v15, v16
	s_waitcnt vmcnt(0)
	v_add_u32_e32 v9, v17, v9
	buffer_store_dword v9, v5, s[0:3], 0 offen offset:4
	buffer_store_dword v8, v5, s[0:3], 0 offen
	s_cbranch_scc1 .LBB2058_88
; %bb.89:
	buffer_load_dword v2, off, s[0:3], 0 offset:16
	buffer_load_dword v3, off, s[0:3], 0 offset:20
	;; [unrolled: 1-line block ×4, first 2 shown]
.LBB2058_90:
	s_or_b64 exec, exec, s[6:7]
	v_and_b32_e32 v6, 1, v6
	v_cmp_eq_u32_e32 vcc, 1, v6
	v_and_b32_e32 v6, 1, v14
	v_cmp_eq_u32_e64 s[6:7], 1, v6
	s_or_b64 s[6:7], vcc, s[6:7]
	v_cndmask_b32_e64 v6, 0, 1, s[6:7]
	buffer_store_byte v6, off, s[0:3], 0 offset:192
	buffer_load_dword v9, off, s[0:3], 0 offset:192
	s_waitcnt vmcnt(4)
	buffer_store_dword v3, off, s[0:3], 0 offset:180
	buffer_store_dword v2, off, s[0:3], 0 offset:176
	s_waitcnt vmcnt(4)
	buffer_store_dword v5, off, s[0:3], 0 offset:188
	buffer_store_dword v4, off, s[0:3], 0 offset:184
	s_waitcnt vmcnt(4)
	v_mov_b32_e32 v6, v9
.LBB2058_91:
	s_or_b64 exec, exec, s[10:11]
	v_mov_b32_dpp v14, v2 row_bcast:15 row_mask:0xf bank_mask:0xf
	v_mov_b32_dpp v15, v3 row_bcast:15 row_mask:0xf bank_mask:0xf
	;; [unrolled: 1-line block ×5, first 2 shown]
	buffer_store_dword v14, off, s[0:3], 0 offset:96
	buffer_store_dword v15, off, s[0:3], 0 offset:100
	;; [unrolled: 1-line block ×5, first 2 shown]
	v_and_b32_e32 v14, 16, v1
	v_cmp_ne_u32_e32 vcc, 0, v14
	s_and_saveexec_b64 s[10:11], vcc
	s_cbranch_execz .LBB2058_99
; %bb.92:
	v_mov_b32_e32 v9, 0
	s_mov_b32 s9, 0
	v_cmp_eq_u16_sdwa s[12:13], v6, v9 src0_sel:BYTE_0 src1_sel:DWORD
	s_and_saveexec_b64 s[6:7], s[12:13]
	s_cbranch_execz .LBB2058_98
; %bb.93:
	v_mov_b32_e32 v2, 16
.LBB2058_94:                            ; =>This Inner Loop Header: Depth=1
	v_add_u32_e32 v3, s9, v2
	s_add_i32 s9, s9, 8
	s_cmp_lg_u32 s9, 16
	buffer_store_dword v9, v3, s[0:3], 0 offen offset:4
	buffer_store_dword v9, v3, s[0:3], 0 offen
	s_cbranch_scc1 .LBB2058_94
; %bb.95:
	s_mov_b32 s9, 0
	v_mov_b32_e32 v2, 0x60
	v_mov_b32_e32 v3, 0xb0
	;; [unrolled: 1-line block ×3, first 2 shown]
.LBB2058_96:                            ; =>This Inner Loop Header: Depth=1
	v_add_u32_e32 v5, s9, v2
	v_add_u32_e32 v9, s9, v3
	buffer_load_dword v14, v5, s[0:3], 0 offen offset:4
	buffer_load_dword v15, v9, s[0:3], 0 offen
	buffer_load_dword v16, v5, s[0:3], 0 offen
	buffer_load_dword v17, v9, s[0:3], 0 offen offset:4
                                        ; kill: killed $vgpr5
	v_add_u32_e32 v5, s9, v4
	s_add_i32 s9, s9, 8
	s_cmp_lg_u32 s9, 16
                                        ; kill: killed $vgpr9
	s_waitcnt vmcnt(1)
	v_add_u32_e32 v9, v15, v16
	s_waitcnt vmcnt(0)
	v_add_u32_e32 v14, v17, v14
	buffer_store_dword v14, v5, s[0:3], 0 offen offset:4
	buffer_store_dword v9, v5, s[0:3], 0 offen
	s_cbranch_scc1 .LBB2058_96
; %bb.97:
	buffer_load_dword v2, off, s[0:3], 0 offset:16
	buffer_load_dword v3, off, s[0:3], 0 offset:20
	;; [unrolled: 1-line block ×4, first 2 shown]
.LBB2058_98:
	s_or_b64 exec, exec, s[6:7]
	v_and_b32_e32 v6, 1, v6
	v_cmp_eq_u32_e32 vcc, 1, v6
	v_and_b32_e32 v6, 1, v8
	v_cmp_eq_u32_e64 s[6:7], 1, v6
	s_or_b64 s[6:7], vcc, s[6:7]
	v_cndmask_b32_e64 v6, 0, 1, s[6:7]
	buffer_store_byte v6, off, s[0:3], 0 offset:192
	buffer_load_dword v9, off, s[0:3], 0 offset:192
	s_waitcnt vmcnt(4)
	buffer_store_dword v3, off, s[0:3], 0 offset:180
	buffer_store_dword v2, off, s[0:3], 0 offset:176
	s_waitcnt vmcnt(4)
	buffer_store_dword v5, off, s[0:3], 0 offset:188
	buffer_store_dword v4, off, s[0:3], 0 offset:184
	s_waitcnt vmcnt(4)
	v_mov_b32_e32 v6, v9
.LBB2058_99:
	s_or_b64 exec, exec, s[10:11]
	v_mov_b32_dpp v14, v2 row_bcast:31 row_mask:0xf bank_mask:0xf
	v_mov_b32_dpp v8, v9 row_bcast:31 row_mask:0xf bank_mask:0xf
	v_cmp_lt_u32_e32 vcc, 31, v1
	v_mov_b32_dpp v15, v3 row_bcast:31 row_mask:0xf bank_mask:0xf
	v_mov_b32_dpp v16, v4 row_bcast:31 row_mask:0xf bank_mask:0xf
	;; [unrolled: 1-line block ×3, first 2 shown]
	buffer_store_dword v14, off, s[0:3], 0 offset:96
	buffer_store_dword v15, off, s[0:3], 0 offset:100
	;; [unrolled: 1-line block ×5, first 2 shown]
	s_and_saveexec_b64 s[10:11], vcc
	s_cbranch_execz .LBB2058_107
; %bb.100:
	v_mov_b32_e32 v9, 0
	s_mov_b32 s9, 0
	v_cmp_eq_u16_sdwa s[12:13], v6, v9 src0_sel:BYTE_0 src1_sel:DWORD
	s_and_saveexec_b64 s[6:7], s[12:13]
	s_cbranch_execz .LBB2058_106
; %bb.101:
	v_mov_b32_e32 v2, 16
.LBB2058_102:                           ; =>This Inner Loop Header: Depth=1
	v_add_u32_e32 v3, s9, v2
	s_add_i32 s9, s9, 8
	s_cmp_lg_u32 s9, 16
	buffer_store_dword v9, v3, s[0:3], 0 offen offset:4
	buffer_store_dword v9, v3, s[0:3], 0 offen
	s_cbranch_scc1 .LBB2058_102
; %bb.103:
	s_mov_b32 s9, 0
	v_mov_b32_e32 v2, 0x60
	v_mov_b32_e32 v3, 0xb0
	;; [unrolled: 1-line block ×3, first 2 shown]
.LBB2058_104:                           ; =>This Inner Loop Header: Depth=1
	v_add_u32_e32 v5, s9, v2
	v_add_u32_e32 v9, s9, v3
	buffer_load_dword v14, v5, s[0:3], 0 offen offset:4
	buffer_load_dword v15, v9, s[0:3], 0 offen
	buffer_load_dword v16, v5, s[0:3], 0 offen
	buffer_load_dword v17, v9, s[0:3], 0 offen offset:4
                                        ; kill: killed $vgpr5
	v_add_u32_e32 v5, s9, v4
	s_add_i32 s9, s9, 8
	s_cmp_lg_u32 s9, 16
                                        ; kill: killed $vgpr9
	s_waitcnt vmcnt(1)
	v_add_u32_e32 v9, v15, v16
	s_waitcnt vmcnt(0)
	v_add_u32_e32 v14, v17, v14
	buffer_store_dword v14, v5, s[0:3], 0 offen offset:4
	buffer_store_dword v9, v5, s[0:3], 0 offen
	s_cbranch_scc1 .LBB2058_104
; %bb.105:
	buffer_load_dword v2, off, s[0:3], 0 offset:16
	buffer_load_dword v3, off, s[0:3], 0 offset:20
	;; [unrolled: 1-line block ×4, first 2 shown]
.LBB2058_106:
	s_or_b64 exec, exec, s[6:7]
	v_and_b32_e32 v6, 1, v6
	v_cmp_eq_u32_e32 vcc, 1, v6
	v_and_b32_e32 v6, 1, v8
	v_cmp_eq_u32_e64 s[6:7], 1, v6
	s_or_b64 s[6:7], vcc, s[6:7]
	v_cndmask_b32_e64 v6, 0, 1, s[6:7]
	s_waitcnt vmcnt(2)
	buffer_store_dword v3, off, s[0:3], 0 offset:180
	buffer_store_dword v2, off, s[0:3], 0 offset:176
	s_waitcnt vmcnt(2)
	buffer_store_dword v5, off, s[0:3], 0 offset:188
	buffer_store_dword v4, off, s[0:3], 0 offset:184
	buffer_store_byte v6, off, s[0:3], 0 offset:192
.LBB2058_107:
	s_or_b64 exec, exec, s[10:11]
	v_or_b32_e32 v9, 63, v0
	v_lshrrev_b32_e32 v8, 6, v0
	v_cmp_eq_u32_e32 vcc, v9, v0
	s_and_saveexec_b64 s[6:7], vcc
	s_cbranch_execz .LBB2058_109
; %bb.108:
	v_mul_u32_u24_e32 v9, 20, v8
	ds_write2_b32 v9, v2, v3 offset1:1
	ds_write2_b32 v9, v4, v5 offset0:2 offset1:3
	ds_write_b8 v9, v6 offset:16
.LBB2058_109:
	s_or_b64 exec, exec, s[6:7]
	v_cmp_gt_u32_e32 vcc, 4, v0
	s_waitcnt lgkmcnt(0)
	s_barrier
	s_and_saveexec_b64 s[10:11], vcc
	s_cbranch_execz .LBB2058_127
; %bb.110:
	v_mul_u32_u24_e32 v6, 20, v0
	ds_read_b32 v9, v6 offset:16
	ds_read2_b32 v[2:3], v6 offset0:2 offset1:3
	ds_read2_b32 v[4:5], v6 offset1:1
	v_and_b32_e32 v14, 3, v1
	v_cmp_ne_u32_e32 vcc, 0, v14
	s_waitcnt lgkmcnt(2)
	v_mov_b32_dpp v15, v9 row_shr:1 row_mask:0xf bank_mask:0xf
	s_waitcnt lgkmcnt(1)
	v_mov_b32_dpp v18, v2 row_shr:1 row_mask:0xf bank_mask:0xf
	s_waitcnt lgkmcnt(0)
	v_mov_b32_dpp v16, v4 row_shr:1 row_mask:0xf bank_mask:0xf
	buffer_store_dword v9, off, s[0:3], 0 offset:32
	buffer_store_dword v3, off, s[0:3], 0 offset:28
	;; [unrolled: 1-line block ×5, first 2 shown]
	v_mov_b32_dpp v17, v5 row_shr:1 row_mask:0xf bank_mask:0xf
	v_mov_b32_dpp v19, v3 row_shr:1 row_mask:0xf bank_mask:0xf
	buffer_store_dword v16, off, s[0:3], 0 offset:96
	buffer_store_dword v17, off, s[0:3], 0 offset:100
	buffer_store_dword v18, off, s[0:3], 0 offset:104
	buffer_store_dword v19, off, s[0:3], 0 offset:108
	buffer_store_dword v15, off, s[0:3], 0 offset:112
	s_and_saveexec_b64 s[6:7], vcc
	s_cbranch_execz .LBB2058_118
; %bb.111:
	v_mov_b32_e32 v16, 0
	v_cmp_eq_u16_sdwa s[14:15], v9, v16 src0_sel:BYTE_0 src1_sel:DWORD
	s_and_saveexec_b64 s[12:13], s[14:15]
	s_cbranch_execz .LBB2058_117
; %bb.112:
	s_mov_b32 s9, 0
	v_mov_b32_e32 v2, 36
.LBB2058_113:                           ; =>This Inner Loop Header: Depth=1
	v_add_u32_e32 v3, s9, v2
	s_add_i32 s9, s9, 8
	s_cmp_lg_u32 s9, 16
	buffer_store_dword v16, v3, s[0:3], 0 offen offset:4
	buffer_store_dword v16, v3, s[0:3], 0 offen
	s_cbranch_scc1 .LBB2058_113
; %bb.114:
	s_mov_b32 s9, 0
	v_mov_b32_e32 v2, 0x60
	v_mov_b32_e32 v3, 16
	v_mov_b32_e32 v4, 36
.LBB2058_115:                           ; =>This Inner Loop Header: Depth=1
	v_add_u32_e32 v5, s9, v2
	v_add_u32_e32 v16, s9, v3
	buffer_load_dword v17, v5, s[0:3], 0 offen offset:4
	buffer_load_dword v18, v16, s[0:3], 0 offen
	buffer_load_dword v19, v5, s[0:3], 0 offen
	buffer_load_dword v20, v16, s[0:3], 0 offen offset:4
                                        ; kill: killed $vgpr5
	v_add_u32_e32 v5, s9, v4
	s_add_i32 s9, s9, 8
	s_cmp_lg_u32 s9, 16
                                        ; kill: killed $vgpr16
	s_waitcnt vmcnt(1)
	v_add_u32_e32 v16, v18, v19
	s_waitcnt vmcnt(0)
	v_add_u32_e32 v17, v20, v17
	buffer_store_dword v17, v5, s[0:3], 0 offen offset:4
	buffer_store_dword v16, v5, s[0:3], 0 offen
	s_cbranch_scc1 .LBB2058_115
; %bb.116:
	buffer_load_dword v4, off, s[0:3], 0 offset:36
	buffer_load_dword v5, off, s[0:3], 0 offset:40
	;; [unrolled: 1-line block ×4, first 2 shown]
.LBB2058_117:
	s_or_b64 exec, exec, s[12:13]
	v_or_b32_e32 v9, v15, v9
	v_and_b32_e32 v9, 1, v9
	buffer_store_byte v9, off, s[0:3], 0 offset:32
	buffer_load_dword v9, off, s[0:3], 0 offset:32
	s_waitcnt vmcnt(4)
	buffer_store_dword v5, off, s[0:3], 0 offset:20
	buffer_store_dword v4, off, s[0:3], 0 offset:16
	s_waitcnt vmcnt(4)
	buffer_store_dword v3, off, s[0:3], 0 offset:28
	buffer_store_dword v2, off, s[0:3], 0 offset:24
.LBB2058_118:
	s_or_b64 exec, exec, s[6:7]
	v_mov_b32_dpp v16, v4 row_shr:2 row_mask:0xf bank_mask:0xf
	s_waitcnt vmcnt(4)
	v_mov_b32_dpp v15, v9 row_shr:2 row_mask:0xf bank_mask:0xf
	v_cmp_lt_u32_e32 vcc, 1, v14
	v_mov_b32_dpp v17, v5 row_shr:2 row_mask:0xf bank_mask:0xf
	v_mov_b32_dpp v18, v2 row_shr:2 row_mask:0xf bank_mask:0xf
	;; [unrolled: 1-line block ×3, first 2 shown]
	buffer_store_dword v16, off, s[0:3], 0 offset:96
	buffer_store_dword v17, off, s[0:3], 0 offset:100
	;; [unrolled: 1-line block ×5, first 2 shown]
	s_and_saveexec_b64 s[12:13], vcc
	s_cbranch_execz .LBB2058_126
; %bb.119:
	v_mov_b32_e32 v14, 0
	s_mov_b32 s9, 0
	v_cmp_eq_u16_sdwa s[14:15], v9, v14 src0_sel:BYTE_0 src1_sel:DWORD
	s_and_saveexec_b64 s[6:7], s[14:15]
	s_cbranch_execz .LBB2058_125
; %bb.120:
	v_mov_b32_e32 v2, 36
.LBB2058_121:                           ; =>This Inner Loop Header: Depth=1
	v_add_u32_e32 v3, s9, v2
	s_add_i32 s9, s9, 8
	s_cmp_lg_u32 s9, 16
	buffer_store_dword v14, v3, s[0:3], 0 offen offset:4
	buffer_store_dword v14, v3, s[0:3], 0 offen
	s_cbranch_scc1 .LBB2058_121
; %bb.122:
	s_mov_b32 s9, 0
	v_mov_b32_e32 v2, 0x60
	v_mov_b32_e32 v3, 16
	;; [unrolled: 1-line block ×3, first 2 shown]
.LBB2058_123:                           ; =>This Inner Loop Header: Depth=1
	v_add_u32_e32 v5, s9, v2
	v_add_u32_e32 v14, s9, v3
	buffer_load_dword v16, v5, s[0:3], 0 offen offset:4
	buffer_load_dword v17, v14, s[0:3], 0 offen
	buffer_load_dword v18, v5, s[0:3], 0 offen
	buffer_load_dword v19, v14, s[0:3], 0 offen offset:4
                                        ; kill: killed $vgpr5
	v_add_u32_e32 v5, s9, v4
	s_add_i32 s9, s9, 8
	s_cmp_lg_u32 s9, 16
                                        ; kill: killed $vgpr14
	s_waitcnt vmcnt(1)
	v_add_u32_e32 v14, v17, v18
	s_waitcnt vmcnt(0)
	v_add_u32_e32 v16, v19, v16
	buffer_store_dword v16, v5, s[0:3], 0 offen offset:4
	buffer_store_dword v14, v5, s[0:3], 0 offen
	s_cbranch_scc1 .LBB2058_123
; %bb.124:
	buffer_load_dword v4, off, s[0:3], 0 offset:36
	buffer_load_dword v5, off, s[0:3], 0 offset:40
	;; [unrolled: 1-line block ×4, first 2 shown]
.LBB2058_125:
	s_or_b64 exec, exec, s[6:7]
	v_and_b32_e32 v9, 1, v9
	v_cmp_eq_u32_e32 vcc, 1, v9
	v_and_b32_e32 v9, 1, v15
	v_cmp_eq_u32_e64 s[6:7], 1, v9
	s_or_b64 s[6:7], vcc, s[6:7]
	v_cndmask_b32_e64 v9, 0, 1, s[6:7]
	s_waitcnt vmcnt(2)
	buffer_store_dword v5, off, s[0:3], 0 offset:20
	buffer_store_dword v4, off, s[0:3], 0 offset:16
	s_waitcnt vmcnt(2)
	buffer_store_dword v3, off, s[0:3], 0 offset:28
	buffer_store_dword v2, off, s[0:3], 0 offset:24
.LBB2058_126:
	s_or_b64 exec, exec, s[12:13]
	buffer_load_dword v2, off, s[0:3], 0 offset:24
	buffer_load_dword v3, off, s[0:3], 0 offset:28
	;; [unrolled: 1-line block ×4, first 2 shown]
	s_waitcnt vmcnt(2)
	ds_write2_b32 v6, v2, v3 offset0:2 offset1:3
	s_waitcnt vmcnt(0)
	ds_write2_b32 v6, v4, v5 offset1:1
	ds_write_b8 v6, v9 offset:16
.LBB2058_127:
	s_or_b64 exec, exec, s[10:11]
	v_mov_b32_e32 v2, 0
	s_mov_b32 s6, 0
	v_mov_b32_e32 v3, 0x60
	s_waitcnt lgkmcnt(0)
	s_barrier
	buffer_store_dword v2, off, s[0:3], 0 offset:108
	buffer_store_dword v2, off, s[0:3], 0 offset:104
	;; [unrolled: 1-line block ×5, first 2 shown]
.LBB2058_128:                           ; =>This Inner Loop Header: Depth=1
	v_add_u32_e32 v4, s6, v3
	s_add_i32 s6, s6, 8
	s_cmp_lg_u32 s6, 16
	buffer_store_dword v2, v4, s[0:3], 0 offen offset:4
	buffer_store_dword v2, v4, s[0:3], 0 offen
	s_cbranch_scc1 .LBB2058_128
; %bb.129:
	v_cmp_gt_u32_e32 vcc, 64, v0
	v_cmp_lt_u32_e64 s[6:7], 63, v0
                                        ; implicit-def: $vgpr2_vgpr3
                                        ; implicit-def: $vgpr4_vgpr5
                                        ; implicit-def: $vgpr6
	s_and_saveexec_b64 s[10:11], s[6:7]
	s_xor_b64 s[10:11], exec, s[10:11]
	s_cbranch_execz .LBB2058_139
; %bb.130:
	buffer_load_ubyte v9, off, s[0:3], 0 offset:192
	v_not_b32_e32 v2, 19
	v_mad_u32_u24 v4, v8, 20, v2
	ds_read2_b32 v[2:3], v4 offset0:2 offset1:3
	ds_read_u8 v6, v4 offset:16
	ds_read2_b32 v[4:5], v4 offset1:1
	s_waitcnt lgkmcnt(2)
	buffer_store_dword v3, off, s[0:3], 0 offset:108
	buffer_store_dword v2, off, s[0:3], 0 offset:104
	s_waitcnt lgkmcnt(0)
	buffer_store_dword v5, off, s[0:3], 0 offset:100
	buffer_store_dword v4, off, s[0:3], 0 offset:96
                                        ; implicit-def: $vgpr2_vgpr3
                                        ; implicit-def: $vgpr4_vgpr5
	s_waitcnt vmcnt(4)
	v_cmp_ne_u16_e64 s[6:7], 0, v9
	s_and_saveexec_b64 s[12:13], s[6:7]
	s_xor_b64 s[6:7], exec, s[12:13]
	s_cbranch_execz .LBB2058_132
; %bb.131:
	buffer_load_dword v2, off, s[0:3], 0 offset:176
	buffer_load_dword v3, off, s[0:3], 0 offset:180
	;; [unrolled: 1-line block ×4, first 2 shown]
.LBB2058_132:
	s_andn2_saveexec_b64 s[6:7], s[6:7]
	s_cbranch_execz .LBB2058_138
; %bb.133:
	s_mov_b32 s9, 0
	s_waitcnt vmcnt(3)
	v_mov_b32_e32 v2, 16
	s_waitcnt vmcnt(2)
	v_mov_b32_e32 v3, 0
	s_waitcnt vmcnt(0)
.LBB2058_134:                           ; =>This Inner Loop Header: Depth=1
	v_add_u32_e32 v4, s9, v2
	s_add_i32 s9, s9, 8
	s_cmp_lg_u32 s9, 16
	buffer_store_dword v3, v4, s[0:3], 0 offen offset:4
	buffer_store_dword v3, v4, s[0:3], 0 offen
	s_cbranch_scc1 .LBB2058_134
; %bb.135:
	s_mov_b32 s9, 0
	v_mov_b32_e32 v2, 0x60
	v_mov_b32_e32 v3, 0xb0
	;; [unrolled: 1-line block ×3, first 2 shown]
.LBB2058_136:                           ; =>This Inner Loop Header: Depth=1
	v_add_u32_e32 v5, s9, v2
	v_add_u32_e32 v8, s9, v3
	buffer_load_dword v14, v5, s[0:3], 0 offen offset:4
	buffer_load_dword v15, v8, s[0:3], 0 offen
	buffer_load_dword v16, v5, s[0:3], 0 offen
	buffer_load_dword v17, v8, s[0:3], 0 offen offset:4
                                        ; kill: killed $vgpr5
	v_add_u32_e32 v5, s9, v4
	s_add_i32 s9, s9, 8
	s_cmp_lg_u32 s9, 16
                                        ; kill: killed $vgpr8
	s_waitcnt vmcnt(1)
	v_add_u32_e32 v8, v15, v16
	s_waitcnt vmcnt(0)
	v_add_u32_e32 v14, v17, v14
	buffer_store_dword v14, v5, s[0:3], 0 offen offset:4
	buffer_store_dword v8, v5, s[0:3], 0 offen
	s_cbranch_scc1 .LBB2058_136
; %bb.137:
	buffer_load_dword v2, off, s[0:3], 0 offset:16
	buffer_load_dword v3, off, s[0:3], 0 offset:20
	;; [unrolled: 1-line block ×4, first 2 shown]
.LBB2058_138:
	s_or_b64 exec, exec, s[6:7]
	v_or_b32_e32 v8, v9, v6
	v_and_b32_e32 v8, 1, v8
	buffer_store_byte v8, off, s[0:3], 0 offset:192
.LBB2058_139:
	s_andn2_saveexec_b64 s[6:7], s[10:11]
	s_cbranch_execz .LBB2058_141
; %bb.140:
	buffer_load_dword v2, off, s[0:3], 0 offset:176
	buffer_load_dword v3, off, s[0:3], 0 offset:180
	;; [unrolled: 1-line block ×4, first 2 shown]
	v_mov_b32_e32 v6, 0
.LBB2058_141:
	s_or_b64 exec, exec, s[6:7]
	buffer_load_dword v8, off, s[0:3], 0 offset:192
	v_add_u32_e32 v9, -1, v1
	v_and_b32_e32 v14, 64, v1
	v_cmp_lt_i32_e64 s[10:11], v9, v14
	v_cndmask_b32_e64 v9, v9, v1, s[10:11]
	v_lshlrev_b32_e32 v9, 2, v9
	s_waitcnt vmcnt(4)
	ds_bpermute_b32 v2, v9, v2
	s_waitcnt vmcnt(3)
	ds_bpermute_b32 v3, v9, v3
	;; [unrolled: 2-line block ×4, first 2 shown]
	v_cmp_eq_u32_e64 s[6:7], 0, v1
	s_waitcnt vmcnt(0)
	ds_bpermute_b32 v8, v9, v8
	s_waitcnt lgkmcnt(4)
	buffer_store_dword v2, off, s[0:3], 0 offset:176
	s_waitcnt lgkmcnt(3)
	buffer_store_dword v3, off, s[0:3], 0 offset:180
	;; [unrolled: 2-line block ×4, first 2 shown]
	s_waitcnt lgkmcnt(0)
	buffer_store_byte v8, off, s[0:3], 0 offset:192
	v_and_b32_e32 v2, 1, v8
	v_cmp_eq_u32_e64 s[12:13], 1, v2
	s_and_saveexec_b64 s[14:15], s[6:7]
	s_cbranch_execz .LBB2058_143
; %bb.142:
	buffer_load_dword v2, off, s[0:3], 0 offset:108
	buffer_load_dword v3, off, s[0:3], 0 offset:104
	;; [unrolled: 1-line block ×4, first 2 shown]
	v_and_b32_e32 v8, 1, v6
	v_cmp_eq_u32_e64 s[10:11], 1, v8
	s_andn2_b64 s[12:13], s[12:13], exec
	s_and_b64 s[10:11], s[10:11], exec
	s_or_b64 s[12:13], s[12:13], s[10:11]
	buffer_store_byte v6, off, s[0:3], 0 offset:192
	s_waitcnt vmcnt(4)
	buffer_store_dword v2, off, s[0:3], 0 offset:188
	s_waitcnt vmcnt(4)
	buffer_store_dword v3, off, s[0:3], 0 offset:184
	;; [unrolled: 2-line block ×4, first 2 shown]
.LBB2058_143:
	s_or_b64 exec, exec, s[14:15]
	s_and_saveexec_b64 s[14:15], vcc
	s_cbranch_execz .LBB2058_288
; %bb.144:
	v_mov_b32_e32 v6, 0
	ds_read2_b32 v[2:3], v6 offset0:15 offset1:16
	ds_read2_b32 v[4:5], v6 offset0:17 offset1:18
	ds_read_b32 v8, v6 offset:76
	s_waitcnt lgkmcnt(2)
	buffer_store_dword v3, off, s[0:3], 0 offset:80
	buffer_store_dword v2, off, s[0:3], 0 offset:76
	s_waitcnt lgkmcnt(1)
	buffer_store_dword v5, off, s[0:3], 0 offset:88
	buffer_store_dword v4, off, s[0:3], 0 offset:84
	s_waitcnt lgkmcnt(0)
	buffer_store_dword v8, off, s[0:3], 0 offset:92
	s_and_saveexec_b64 s[10:11], s[6:7]
	s_cbranch_execz .LBB2058_146
; %bb.145:
	s_add_i32 s9, s8, 64
	s_mul_i32 s16, s9, 20
	s_mul_hi_u32 s17, s9, 20
	s_add_u32 s16, s20, s16
	s_addc_u32 s17, s21, s17
	global_store_dwordx4 v6, v[2:5], s[16:17]
	global_store_byte v6, v8, s[16:17] offset:16
	v_mov_b32_e32 v2, s9
	v_mov_b32_e32 v3, 1
	s_waitcnt vmcnt(0)
	buffer_wbinvl1_vol
	global_store_byte v2, v3, s[24:25]
.LBB2058_146:
	s_or_b64 exec, exec, s[10:11]
	s_mov_b32 s9, 0
	v_mov_b32_e32 v2, 56
	buffer_store_dword v6, off, s[0:3], 0 offset:68
	buffer_store_dword v6, off, s[0:3], 0 offset:64
	;; [unrolled: 1-line block ×5, first 2 shown]
.LBB2058_147:                           ; =>This Inner Loop Header: Depth=1
	v_add_u32_e32 v3, s9, v2
	s_add_i32 s9, s9, 8
	s_cmp_lg_u32 s9, 16
	buffer_store_dword v6, v3, s[0:3], 0 offen offset:4
	buffer_store_dword v6, v3, s[0:3], 0 offen
	s_cbranch_scc1 .LBB2058_147
; %bb.148:
	s_mov_b32 s9, 0
	v_mov_b32_e32 v2, 0
	v_mov_b32_e32 v3, 16
	buffer_store_byte v2, off, s[0:3], 0 offset:72
	buffer_store_dword v2, off, s[0:3], 0 offset:28
	buffer_store_dword v2, off, s[0:3], 0 offset:24
	buffer_store_dword v2, off, s[0:3], 0 offset:20
	buffer_store_dword v2, off, s[0:3], 0 offset:16
	buffer_store_dword v2, off, s[0:3], 0 offset:32
.LBB2058_149:                           ; =>This Inner Loop Header: Depth=1
	v_add_u32_e32 v4, s9, v3
	s_add_i32 s9, s9, 8
	s_cmp_lg_u32 s9, 16
	buffer_store_dword v2, v4, s[0:3], 0 offen offset:4
	buffer_store_dword v2, v4, s[0:3], 0 offen
	s_cbranch_scc1 .LBB2058_149
; %bb.150:
	v_xad_u32 v6, v1, -1, s8
	v_mov_b32_e32 v2, 0
	buffer_store_byte v2, off, s[0:3], 0 offset:32
	v_add_u32_e32 v2, 64, v6
	global_load_ubyte v14, v2, s[24:25] glc
	s_waitcnt vmcnt(0)
	v_cmp_eq_u16_e32 vcc, 0, v14
	s_and_saveexec_b64 s[10:11], vcc
	s_cbranch_execz .LBB2058_156
; %bb.151:
	v_mov_b32_e32 v3, s25
	v_add_co_u32_e32 v4, vcc, s24, v2
	v_addc_co_u32_e32 v5, vcc, 0, v3, vcc
	s_mov_b32 s9, 1
	s_mov_b64 s[16:17], 0
.LBB2058_152:                           ; =>This Loop Header: Depth=1
                                        ;     Child Loop BB2058_153 Depth 2
	s_max_u32 s33, s9, 1
.LBB2058_153:                           ;   Parent Loop BB2058_152 Depth=1
                                        ; =>  This Inner Loop Header: Depth=2
	s_add_i32 s33, s33, -1
	s_cmp_eq_u32 s33, 0
	s_sleep 1
	s_cbranch_scc0 .LBB2058_153
; %bb.154:                              ;   in Loop: Header=BB2058_152 Depth=1
	global_load_ubyte v14, v[4:5], off glc
	s_cmp_lt_u32 s9, 32
	s_cselect_b64 s[36:37], -1, 0
	s_cmp_lg_u64 s[36:37], 0
	s_addc_u32 s9, s9, 0
	s_waitcnt vmcnt(0)
	v_cmp_ne_u16_e32 vcc, 0, v14
	s_or_b64 s[16:17], vcc, s[16:17]
	s_andn2_b64 exec, exec, s[16:17]
	s_cbranch_execnz .LBB2058_152
; %bb.155:
	s_or_b64 exec, exec, s[16:17]
.LBB2058_156:
	s_or_b64 exec, exec, s[10:11]
	v_mov_b32_e32 v3, s23
	v_mov_b32_e32 v4, s21
	v_cmp_eq_u16_e32 vcc, 1, v14
	v_cndmask_b32_e32 v5, v3, v4, vcc
	v_mov_b32_e32 v3, s22
	v_mov_b32_e32 v4, s20
	v_cndmask_b32_e32 v4, v3, v4, vcc
	v_mad_u64_u32 v[8:9], s[10:11], v2, 20, v[4:5]
	buffer_wbinvl1_vol
	global_load_dwordx4 v[2:5], v[8:9], off
	global_load_ubyte v15, v[8:9], off offset:16
                                        ; kill: killed $vgpr8_vgpr9
	v_mov_b32_e32 v8, 0
	s_mov_b32 s9, 0
	v_mov_b32_e32 v9, 0x60
	buffer_store_dword v8, off, s[0:3], 0 offset:112
	s_waitcnt vmcnt(2)
	buffer_store_dword v5, off, s[0:3], 0 offset:28
	buffer_store_dword v4, off, s[0:3], 0 offset:24
	;; [unrolled: 1-line block ×4, first 2 shown]
	s_waitcnt vmcnt(5)
	buffer_store_byte v15, off, s[0:3], 0 offset:32
	buffer_store_dword v3, off, s[0:3], 0 offset:60
	buffer_store_dword v2, off, s[0:3], 0 offset:56
	;; [unrolled: 1-line block ×4, first 2 shown]
	buffer_store_byte v15, off, s[0:3], 0 offset:72
.LBB2058_157:                           ; =>This Inner Loop Header: Depth=1
	v_add_u32_e32 v15, s9, v9
	s_add_i32 s9, s9, 8
	s_cmp_lg_u32 s9, 16
	buffer_store_dword v8, v15, s[0:3], 0 offen offset:4
	buffer_store_dword v8, v15, s[0:3], 0 offen
	s_cbranch_scc1 .LBB2058_157
; %bb.158:
	buffer_load_dword v26, off, s[0:3], 0 offset:72
	v_lshlrev_b64 v[8:9], v1, -1
	v_cmp_eq_u16_e32 vcc, 2, v14
	v_and_b32_e32 v15, 63, v1
	v_and_b32_e32 v16, vcc_hi, v9
	v_and_b32_e32 v17, vcc_lo, v8
	v_cmp_ne_u32_e32 vcc, 63, v15
	v_addc_co_u32_e32 v18, vcc, 0, v1, vcc
	v_or_b32_e32 v19, 0x80000000, v16
	v_lshlrev_b32_e32 v16, 2, v18
	v_ffbl_b32_e32 v18, v19
	v_ffbl_b32_e32 v17, v17
	v_add_u32_e32 v18, 32, v18
	ds_bpermute_b32 v19, v16, v2
	v_min_u32_e32 v27, v17, v18
	ds_bpermute_b32 v20, v16, v3
	ds_bpermute_b32 v21, v16, v4
	;; [unrolled: 1-line block ×3, first 2 shown]
	v_cmp_lt_u32_e32 vcc, v15, v27
	s_waitcnt lgkmcnt(3)
	buffer_store_dword v19, off, s[0:3], 0 offset:96
	s_waitcnt lgkmcnt(2)
	buffer_store_dword v20, off, s[0:3], 0 offset:100
	;; [unrolled: 2-line block ×4, first 2 shown]
	s_waitcnt vmcnt(4)
	ds_bpermute_b32 v17, v16, v26
	s_and_saveexec_b64 s[10:11], vcc
	s_cbranch_execz .LBB2058_166
; %bb.159:
	v_mov_b32_e32 v18, 0
	v_cmp_eq_u16_sdwa s[36:37], v26, v18 src0_sel:BYTE_0 src1_sel:DWORD
	s_and_saveexec_b64 s[16:17], s[36:37]
	s_cbranch_execz .LBB2058_165
; %bb.160:
	s_mov_b32 s9, 0
	v_mov_b32_e32 v2, 36
.LBB2058_161:                           ; =>This Inner Loop Header: Depth=1
	v_add_u32_e32 v3, s9, v2
	s_add_i32 s9, s9, 8
	s_cmp_lg_u32 s9, 16
	buffer_store_dword v18, v3, s[0:3], 0 offen offset:4
	buffer_store_dword v18, v3, s[0:3], 0 offen
	s_cbranch_scc1 .LBB2058_161
; %bb.162:
	s_mov_b32 s9, 0
	v_mov_b32_e32 v2, 0x60
	v_mov_b32_e32 v3, 56
	;; [unrolled: 1-line block ×3, first 2 shown]
.LBB2058_163:                           ; =>This Inner Loop Header: Depth=1
	v_add_u32_e32 v5, s9, v2
	v_add_u32_e32 v18, s9, v3
	buffer_load_dword v19, v5, s[0:3], 0 offen offset:4
	buffer_load_dword v20, v18, s[0:3], 0 offen
	buffer_load_dword v21, v5, s[0:3], 0 offen
	buffer_load_dword v22, v18, s[0:3], 0 offen offset:4
                                        ; kill: killed $vgpr5
	v_add_u32_e32 v5, s9, v4
	s_add_i32 s9, s9, 8
	s_cmp_lg_u32 s9, 16
                                        ; kill: killed $vgpr18
	s_waitcnt vmcnt(1)
	v_add_u32_e32 v18, v20, v21
	s_waitcnt vmcnt(0)
	v_add_u32_e32 v19, v22, v19
	buffer_store_dword v19, v5, s[0:3], 0 offen offset:4
	buffer_store_dword v18, v5, s[0:3], 0 offen
	s_cbranch_scc1 .LBB2058_163
; %bb.164:
	buffer_load_dword v2, off, s[0:3], 0 offset:36
	buffer_load_dword v3, off, s[0:3], 0 offset:40
	;; [unrolled: 1-line block ×4, first 2 shown]
.LBB2058_165:
	s_or_b64 exec, exec, s[16:17]
	s_waitcnt lgkmcnt(0)
	v_or_b32_e32 v17, v17, v26
	v_and_b32_e32 v17, 1, v17
	buffer_store_byte v17, off, s[0:3], 0 offset:72
	buffer_load_dword v26, off, s[0:3], 0 offset:72
	s_waitcnt vmcnt(4)
	buffer_store_dword v3, off, s[0:3], 0 offset:60
	buffer_store_dword v2, off, s[0:3], 0 offset:56
	s_waitcnt vmcnt(4)
	buffer_store_dword v5, off, s[0:3], 0 offset:68
	buffer_store_dword v4, off, s[0:3], 0 offset:64
.LBB2058_166:
	s_or_b64 exec, exec, s[10:11]
	v_cmp_gt_u32_e32 vcc, 62, v15
	v_cndmask_b32_e64 v18, 0, 1, vcc
	v_lshlrev_b32_e32 v18, 1, v18
	v_add_lshl_u32 v18, v18, v1, 2
	ds_bpermute_b32 v20, v18, v2
	s_waitcnt vmcnt(4)
	ds_bpermute_b32 v19, v18, v26
	ds_bpermute_b32 v21, v18, v3
	ds_bpermute_b32 v22, v18, v4
	s_waitcnt lgkmcnt(4)
	v_add_u32_e32 v17, 2, v15
	ds_bpermute_b32 v23, v18, v5
	v_cmp_le_u32_e32 vcc, v17, v27
	s_waitcnt lgkmcnt(4)
	buffer_store_dword v20, off, s[0:3], 0 offset:96
	s_waitcnt lgkmcnt(2)
	buffer_store_dword v21, off, s[0:3], 0 offset:100
	;; [unrolled: 2-line block ×4, first 2 shown]
	s_and_saveexec_b64 s[16:17], vcc
	s_cbranch_execz .LBB2058_174
; %bb.167:
	v_mov_b32_e32 v20, 0
	s_mov_b32 s9, 0
	v_cmp_eq_u16_sdwa s[36:37], v26, v20 src0_sel:BYTE_0 src1_sel:DWORD
	s_and_saveexec_b64 s[10:11], s[36:37]
	s_cbranch_execz .LBB2058_173
; %bb.168:
	v_mov_b32_e32 v2, 36
.LBB2058_169:                           ; =>This Inner Loop Header: Depth=1
	v_add_u32_e32 v3, s9, v2
	s_add_i32 s9, s9, 8
	s_cmp_lg_u32 s9, 16
	buffer_store_dword v20, v3, s[0:3], 0 offen offset:4
	buffer_store_dword v20, v3, s[0:3], 0 offen
	s_cbranch_scc1 .LBB2058_169
; %bb.170:
	s_mov_b32 s9, 0
	v_mov_b32_e32 v2, 0x60
	v_mov_b32_e32 v3, 56
	;; [unrolled: 1-line block ×3, first 2 shown]
.LBB2058_171:                           ; =>This Inner Loop Header: Depth=1
	v_add_u32_e32 v5, s9, v2
	v_add_u32_e32 v20, s9, v3
	buffer_load_dword v21, v5, s[0:3], 0 offen offset:4
	buffer_load_dword v22, v20, s[0:3], 0 offen
	buffer_load_dword v23, v5, s[0:3], 0 offen
	buffer_load_dword v24, v20, s[0:3], 0 offen offset:4
                                        ; kill: killed $vgpr5
	v_add_u32_e32 v5, s9, v4
	s_add_i32 s9, s9, 8
	s_cmp_lg_u32 s9, 16
                                        ; kill: killed $vgpr20
	s_waitcnt vmcnt(1)
	v_add_u32_e32 v20, v22, v23
	s_waitcnt vmcnt(0)
	v_add_u32_e32 v21, v24, v21
	buffer_store_dword v21, v5, s[0:3], 0 offen offset:4
	buffer_store_dword v20, v5, s[0:3], 0 offen
	s_cbranch_scc1 .LBB2058_171
; %bb.172:
	buffer_load_dword v2, off, s[0:3], 0 offset:36
	buffer_load_dword v3, off, s[0:3], 0 offset:40
	;; [unrolled: 1-line block ×4, first 2 shown]
.LBB2058_173:
	s_or_b64 exec, exec, s[10:11]
	v_and_b32_e32 v20, 1, v26
	v_and_b32_e32 v19, 1, v19
	v_cmp_eq_u32_e32 vcc, 1, v20
	v_cmp_eq_u32_e64 s[10:11], 1, v19
	s_or_b64 s[10:11], vcc, s[10:11]
	v_cndmask_b32_e64 v19, 0, 1, s[10:11]
	buffer_store_byte v19, off, s[0:3], 0 offset:72
	buffer_load_dword v26, off, s[0:3], 0 offset:72
	s_waitcnt vmcnt(4)
	buffer_store_dword v3, off, s[0:3], 0 offset:60
	buffer_store_dword v2, off, s[0:3], 0 offset:56
	s_waitcnt vmcnt(4)
	buffer_store_dword v5, off, s[0:3], 0 offset:68
	buffer_store_dword v4, off, s[0:3], 0 offset:64
.LBB2058_174:
	s_or_b64 exec, exec, s[16:17]
	v_cmp_gt_u32_e32 vcc, 60, v15
	v_cndmask_b32_e64 v20, 0, 1, vcc
	v_lshlrev_b32_e32 v20, 2, v20
	v_add_lshl_u32 v20, v20, v1, 2
	ds_bpermute_b32 v22, v20, v2
	s_waitcnt vmcnt(4)
	ds_bpermute_b32 v21, v20, v26
	ds_bpermute_b32 v23, v20, v3
	;; [unrolled: 1-line block ×3, first 2 shown]
	v_add_u32_e32 v19, 4, v15
	ds_bpermute_b32 v25, v20, v5
	v_cmp_le_u32_e32 vcc, v19, v27
	s_waitcnt lgkmcnt(4)
	buffer_store_dword v22, off, s[0:3], 0 offset:96
	s_waitcnt lgkmcnt(2)
	buffer_store_dword v23, off, s[0:3], 0 offset:100
	;; [unrolled: 2-line block ×4, first 2 shown]
	s_and_saveexec_b64 s[16:17], vcc
	s_cbranch_execz .LBB2058_182
; %bb.175:
	v_mov_b32_e32 v22, 0
	s_mov_b32 s9, 0
	v_cmp_eq_u16_sdwa s[36:37], v26, v22 src0_sel:BYTE_0 src1_sel:DWORD
	s_and_saveexec_b64 s[10:11], s[36:37]
	s_cbranch_execz .LBB2058_181
; %bb.176:
	v_mov_b32_e32 v2, 36
.LBB2058_177:                           ; =>This Inner Loop Header: Depth=1
	v_add_u32_e32 v3, s9, v2
	s_add_i32 s9, s9, 8
	s_cmp_lg_u32 s9, 16
	buffer_store_dword v22, v3, s[0:3], 0 offen offset:4
	buffer_store_dword v22, v3, s[0:3], 0 offen
	s_cbranch_scc1 .LBB2058_177
; %bb.178:
	s_mov_b32 s9, 0
	v_mov_b32_e32 v2, 0x60
	v_mov_b32_e32 v3, 56
	;; [unrolled: 1-line block ×3, first 2 shown]
.LBB2058_179:                           ; =>This Inner Loop Header: Depth=1
	v_add_u32_e32 v5, s9, v2
	v_add_u32_e32 v22, s9, v3
	buffer_load_dword v23, v5, s[0:3], 0 offen offset:4
	buffer_load_dword v24, v22, s[0:3], 0 offen
	buffer_load_dword v25, v5, s[0:3], 0 offen
	buffer_load_dword v28, v22, s[0:3], 0 offen offset:4
                                        ; kill: killed $vgpr5
	v_add_u32_e32 v5, s9, v4
	s_add_i32 s9, s9, 8
	s_cmp_lg_u32 s9, 16
                                        ; kill: killed $vgpr22
	s_waitcnt vmcnt(1)
	v_add_u32_e32 v22, v24, v25
	s_waitcnt vmcnt(0)
	v_add_u32_e32 v23, v28, v23
	buffer_store_dword v23, v5, s[0:3], 0 offen offset:4
	buffer_store_dword v22, v5, s[0:3], 0 offen
	s_cbranch_scc1 .LBB2058_179
; %bb.180:
	buffer_load_dword v2, off, s[0:3], 0 offset:36
	buffer_load_dword v3, off, s[0:3], 0 offset:40
	buffer_load_dword v4, off, s[0:3], 0 offset:44
	buffer_load_dword v5, off, s[0:3], 0 offset:48
.LBB2058_181:
	s_or_b64 exec, exec, s[10:11]
	v_and_b32_e32 v22, 1, v26
	v_and_b32_e32 v21, 1, v21
	v_cmp_eq_u32_e32 vcc, 1, v22
	v_cmp_eq_u32_e64 s[10:11], 1, v21
	s_or_b64 s[10:11], vcc, s[10:11]
	v_cndmask_b32_e64 v21, 0, 1, s[10:11]
	buffer_store_byte v21, off, s[0:3], 0 offset:72
	buffer_load_dword v26, off, s[0:3], 0 offset:72
	s_waitcnt vmcnt(4)
	buffer_store_dword v3, off, s[0:3], 0 offset:60
	buffer_store_dword v2, off, s[0:3], 0 offset:56
	s_waitcnt vmcnt(4)
	buffer_store_dword v5, off, s[0:3], 0 offset:68
	buffer_store_dword v4, off, s[0:3], 0 offset:64
.LBB2058_182:
	s_or_b64 exec, exec, s[16:17]
	v_cmp_gt_u32_e32 vcc, 56, v15
	v_cndmask_b32_e64 v22, 0, 1, vcc
	v_lshlrev_b32_e32 v22, 3, v22
	v_add_lshl_u32 v22, v22, v1, 2
	ds_bpermute_b32 v24, v22, v2
	s_waitcnt vmcnt(4)
	ds_bpermute_b32 v23, v22, v26
	ds_bpermute_b32 v25, v22, v3
	;; [unrolled: 1-line block ×3, first 2 shown]
	v_add_u32_e32 v21, 8, v15
	ds_bpermute_b32 v29, v22, v5
	v_cmp_le_u32_e32 vcc, v21, v27
	s_waitcnt lgkmcnt(4)
	buffer_store_dword v24, off, s[0:3], 0 offset:96
	s_waitcnt lgkmcnt(2)
	buffer_store_dword v25, off, s[0:3], 0 offset:100
	;; [unrolled: 2-line block ×4, first 2 shown]
	s_and_saveexec_b64 s[16:17], vcc
	s_cbranch_execz .LBB2058_190
; %bb.183:
	v_mov_b32_e32 v24, 0
	s_mov_b32 s9, 0
	v_cmp_eq_u16_sdwa s[36:37], v26, v24 src0_sel:BYTE_0 src1_sel:DWORD
	s_and_saveexec_b64 s[10:11], s[36:37]
	s_cbranch_execz .LBB2058_189
; %bb.184:
	v_mov_b32_e32 v2, 36
.LBB2058_185:                           ; =>This Inner Loop Header: Depth=1
	v_add_u32_e32 v3, s9, v2
	s_add_i32 s9, s9, 8
	s_cmp_lg_u32 s9, 16
	buffer_store_dword v24, v3, s[0:3], 0 offen offset:4
	buffer_store_dword v24, v3, s[0:3], 0 offen
	s_cbranch_scc1 .LBB2058_185
; %bb.186:
	s_mov_b32 s9, 0
	v_mov_b32_e32 v2, 0x60
	v_mov_b32_e32 v3, 56
	;; [unrolled: 1-line block ×3, first 2 shown]
.LBB2058_187:                           ; =>This Inner Loop Header: Depth=1
	v_add_u32_e32 v5, s9, v2
	v_add_u32_e32 v24, s9, v3
	buffer_load_dword v25, v5, s[0:3], 0 offen offset:4
	buffer_load_dword v28, v24, s[0:3], 0 offen
	buffer_load_dword v29, v5, s[0:3], 0 offen
	buffer_load_dword v30, v24, s[0:3], 0 offen offset:4
                                        ; kill: killed $vgpr5
	v_add_u32_e32 v5, s9, v4
	s_add_i32 s9, s9, 8
	s_cmp_lg_u32 s9, 16
                                        ; kill: killed $vgpr24
	s_waitcnt vmcnt(1)
	v_add_u32_e32 v24, v28, v29
	s_waitcnt vmcnt(0)
	v_add_u32_e32 v25, v30, v25
	buffer_store_dword v25, v5, s[0:3], 0 offen offset:4
	buffer_store_dword v24, v5, s[0:3], 0 offen
	s_cbranch_scc1 .LBB2058_187
; %bb.188:
	buffer_load_dword v2, off, s[0:3], 0 offset:36
	buffer_load_dword v3, off, s[0:3], 0 offset:40
	buffer_load_dword v4, off, s[0:3], 0 offset:44
	buffer_load_dword v5, off, s[0:3], 0 offset:48
.LBB2058_189:
	s_or_b64 exec, exec, s[10:11]
	v_and_b32_e32 v24, 1, v26
	v_and_b32_e32 v23, 1, v23
	v_cmp_eq_u32_e32 vcc, 1, v24
	v_cmp_eq_u32_e64 s[10:11], 1, v23
	s_or_b64 s[10:11], vcc, s[10:11]
	v_cndmask_b32_e64 v23, 0, 1, s[10:11]
	buffer_store_byte v23, off, s[0:3], 0 offset:72
	buffer_load_dword v26, off, s[0:3], 0 offset:72
	s_waitcnt vmcnt(4)
	buffer_store_dword v3, off, s[0:3], 0 offset:60
	buffer_store_dword v2, off, s[0:3], 0 offset:56
	s_waitcnt vmcnt(4)
	buffer_store_dword v5, off, s[0:3], 0 offset:68
	buffer_store_dword v4, off, s[0:3], 0 offset:64
.LBB2058_190:
	s_or_b64 exec, exec, s[16:17]
	v_cmp_gt_u32_e32 vcc, 48, v15
	v_cndmask_b32_e64 v24, 0, 1, vcc
	v_lshlrev_b32_e32 v24, 4, v24
	v_add_lshl_u32 v24, v24, v1, 2
	ds_bpermute_b32 v28, v24, v2
	s_waitcnt vmcnt(4)
	ds_bpermute_b32 v25, v24, v26
	ds_bpermute_b32 v29, v24, v3
	;; [unrolled: 1-line block ×3, first 2 shown]
	v_add_u32_e32 v23, 16, v15
	ds_bpermute_b32 v31, v24, v5
	v_cmp_le_u32_e32 vcc, v23, v27
	s_waitcnt lgkmcnt(4)
	buffer_store_dword v28, off, s[0:3], 0 offset:96
	s_waitcnt lgkmcnt(2)
	buffer_store_dword v29, off, s[0:3], 0 offset:100
	;; [unrolled: 2-line block ×4, first 2 shown]
	s_and_saveexec_b64 s[16:17], vcc
	s_cbranch_execz .LBB2058_198
; %bb.191:
	v_mov_b32_e32 v28, 0
	s_mov_b32 s9, 0
	v_cmp_eq_u16_sdwa s[36:37], v26, v28 src0_sel:BYTE_0 src1_sel:DWORD
	s_and_saveexec_b64 s[10:11], s[36:37]
	s_cbranch_execz .LBB2058_197
; %bb.192:
	v_mov_b32_e32 v2, 36
.LBB2058_193:                           ; =>This Inner Loop Header: Depth=1
	v_add_u32_e32 v3, s9, v2
	s_add_i32 s9, s9, 8
	s_cmp_lg_u32 s9, 16
	buffer_store_dword v28, v3, s[0:3], 0 offen offset:4
	buffer_store_dword v28, v3, s[0:3], 0 offen
	s_cbranch_scc1 .LBB2058_193
; %bb.194:
	s_mov_b32 s9, 0
	v_mov_b32_e32 v2, 0x60
	v_mov_b32_e32 v3, 56
	;; [unrolled: 1-line block ×3, first 2 shown]
.LBB2058_195:                           ; =>This Inner Loop Header: Depth=1
	v_add_u32_e32 v5, s9, v2
	v_add_u32_e32 v28, s9, v3
	buffer_load_dword v29, v5, s[0:3], 0 offen offset:4
	buffer_load_dword v30, v28, s[0:3], 0 offen
	buffer_load_dword v31, v5, s[0:3], 0 offen
	buffer_load_dword v32, v28, s[0:3], 0 offen offset:4
                                        ; kill: killed $vgpr5
	v_add_u32_e32 v5, s9, v4
	s_add_i32 s9, s9, 8
	s_cmp_lg_u32 s9, 16
                                        ; kill: killed $vgpr28
	s_waitcnt vmcnt(1)
	v_add_u32_e32 v28, v30, v31
	s_waitcnt vmcnt(0)
	v_add_u32_e32 v29, v32, v29
	buffer_store_dword v29, v5, s[0:3], 0 offen offset:4
	buffer_store_dword v28, v5, s[0:3], 0 offen
	s_cbranch_scc1 .LBB2058_195
; %bb.196:
	buffer_load_dword v2, off, s[0:3], 0 offset:36
	buffer_load_dword v3, off, s[0:3], 0 offset:40
	;; [unrolled: 1-line block ×4, first 2 shown]
.LBB2058_197:
	s_or_b64 exec, exec, s[10:11]
	v_and_b32_e32 v26, 1, v26
	v_and_b32_e32 v25, 1, v25
	v_cmp_eq_u32_e32 vcc, 1, v26
	v_cmp_eq_u32_e64 s[10:11], 1, v25
	s_or_b64 s[10:11], vcc, s[10:11]
	v_cndmask_b32_e64 v25, 0, 1, s[10:11]
	buffer_store_byte v25, off, s[0:3], 0 offset:72
	buffer_load_dword v26, off, s[0:3], 0 offset:72
	s_waitcnt vmcnt(4)
	buffer_store_dword v3, off, s[0:3], 0 offset:60
	buffer_store_dword v2, off, s[0:3], 0 offset:56
	s_waitcnt vmcnt(4)
	buffer_store_dword v5, off, s[0:3], 0 offset:68
	buffer_store_dword v4, off, s[0:3], 0 offset:64
.LBB2058_198:
	s_or_b64 exec, exec, s[16:17]
	v_cmp_gt_u32_e32 vcc, 32, v15
	v_cndmask_b32_e64 v28, 0, 1, vcc
	v_lshlrev_b32_e32 v28, 5, v28
	v_add_lshl_u32 v1, v28, v1, 2
	ds_bpermute_b32 v29, v1, v2
	s_waitcnt vmcnt(4)
	ds_bpermute_b32 v28, v1, v26
	ds_bpermute_b32 v30, v1, v3
	;; [unrolled: 1-line block ×3, first 2 shown]
	v_add_u32_e32 v25, 32, v15
	ds_bpermute_b32 v32, v1, v5
	v_cmp_le_u32_e32 vcc, v25, v27
	s_waitcnt lgkmcnt(4)
	buffer_store_dword v29, off, s[0:3], 0 offset:96
	s_waitcnt lgkmcnt(2)
	buffer_store_dword v30, off, s[0:3], 0 offset:100
	;; [unrolled: 2-line block ×4, first 2 shown]
	s_and_saveexec_b64 s[16:17], vcc
	s_cbranch_execz .LBB2058_206
; %bb.199:
	v_mov_b32_e32 v27, 0
	s_mov_b32 s9, 0
	v_cmp_eq_u16_sdwa s[36:37], v26, v27 src0_sel:BYTE_0 src1_sel:DWORD
	s_and_saveexec_b64 s[10:11], s[36:37]
	s_cbranch_execz .LBB2058_205
; %bb.200:
	v_mov_b32_e32 v2, 36
.LBB2058_201:                           ; =>This Inner Loop Header: Depth=1
	v_add_u32_e32 v3, s9, v2
	s_add_i32 s9, s9, 8
	s_cmp_lg_u32 s9, 16
	buffer_store_dword v27, v3, s[0:3], 0 offen offset:4
	buffer_store_dword v27, v3, s[0:3], 0 offen
	s_cbranch_scc1 .LBB2058_201
; %bb.202:
	s_mov_b32 s9, 0
	v_mov_b32_e32 v2, 0x60
	v_mov_b32_e32 v3, 56
	v_mov_b32_e32 v4, 36
.LBB2058_203:                           ; =>This Inner Loop Header: Depth=1
	v_add_u32_e32 v5, s9, v2
	v_add_u32_e32 v27, s9, v3
	buffer_load_dword v29, v5, s[0:3], 0 offen offset:4
	buffer_load_dword v30, v27, s[0:3], 0 offen
	buffer_load_dword v31, v5, s[0:3], 0 offen
	buffer_load_dword v32, v27, s[0:3], 0 offen offset:4
                                        ; kill: killed $vgpr5
	v_add_u32_e32 v5, s9, v4
	s_add_i32 s9, s9, 8
	s_cmp_lg_u32 s9, 16
                                        ; kill: killed $vgpr27
	s_waitcnt vmcnt(1)
	v_add_u32_e32 v27, v30, v31
	s_waitcnt vmcnt(0)
	v_add_u32_e32 v29, v32, v29
	buffer_store_dword v29, v5, s[0:3], 0 offen offset:4
	buffer_store_dword v27, v5, s[0:3], 0 offen
	s_cbranch_scc1 .LBB2058_203
; %bb.204:
	buffer_load_dword v2, off, s[0:3], 0 offset:36
	buffer_load_dword v3, off, s[0:3], 0 offset:40
	buffer_load_dword v4, off, s[0:3], 0 offset:44
	buffer_load_dword v5, off, s[0:3], 0 offset:48
.LBB2058_205:
	s_or_b64 exec, exec, s[10:11]
	v_and_b32_e32 v26, 1, v26
	v_cmp_eq_u32_e32 vcc, 1, v26
	v_and_b32_e32 v26, 1, v28
	v_cmp_eq_u32_e64 s[10:11], 1, v26
	s_or_b64 s[10:11], vcc, s[10:11]
	v_cndmask_b32_e64 v26, 0, 1, s[10:11]
	s_waitcnt vmcnt(2)
	buffer_store_dword v3, off, s[0:3], 0 offset:60
	buffer_store_dword v2, off, s[0:3], 0 offset:56
	s_waitcnt vmcnt(2)
	buffer_store_dword v5, off, s[0:3], 0 offset:68
	buffer_store_dword v4, off, s[0:3], 0 offset:64
	buffer_store_byte v26, off, s[0:3], 0 offset:72
.LBB2058_206:
	s_or_b64 exec, exec, s[16:17]
	buffer_load_dword v2, off, s[0:3], 0 offset:68
	buffer_load_dword v3, off, s[0:3], 0 offset:64
	;; [unrolled: 1-line block ×5, first 2 shown]
	v_mov_b32_e32 v26, 0
	v_mov_b32_e32 v27, 16
	;; [unrolled: 1-line block ×6, first 2 shown]
	s_waitcnt vmcnt(4)
	buffer_store_dword v2, off, s[0:3], 0 offset:48
	s_waitcnt vmcnt(4)
	buffer_store_dword v3, off, s[0:3], 0 offset:44
	;; [unrolled: 2-line block ×5, first 2 shown]
	v_mov_b32_e32 v32, 2
	s_branch .LBB2058_208
.LBB2058_207:                           ;   in Loop: Header=BB2058_208 Depth=1
                                        ; implicit-def: $vgpr6
                                        ; implicit-def: $vgpr14
	s_cbranch_execnz .LBB2058_276
.LBB2058_208:                           ; =>This Loop Header: Depth=1
                                        ;     Child Loop BB2058_210 Depth 2
                                        ;     Child Loop BB2058_213 Depth 2
                                        ;       Child Loop BB2058_214 Depth 3
                                        ;     Child Loop BB2058_218 Depth 2
                                        ;     Child Loop BB2058_222 Depth 2
	;; [unrolled: 1-line block ×15, first 2 shown]
	v_cmp_ne_u16_sdwa s[10:11], v14, v32 src0_sel:BYTE_0 src1_sel:DWORD
	v_cndmask_b32_e64 v2, 0, 1, s[10:11]
	;;#ASMSTART
	;;#ASMEND
	v_cmp_ne_u32_e32 vcc, 0, v2
	s_cmp_lg_u64 vcc, exec
	s_cbranch_scc1 .LBB2058_207
; %bb.209:                              ;   in Loop: Header=BB2058_208 Depth=1
	s_mov_b32 s9, 0
	buffer_store_dword v26, off, s[0:3], 0 offset:28
	buffer_store_dword v26, off, s[0:3], 0 offset:24
	;; [unrolled: 1-line block ×5, first 2 shown]
.LBB2058_210:                           ;   Parent Loop BB2058_208 Depth=1
                                        ; =>  This Inner Loop Header: Depth=2
	v_add_u32_e32 v2, s9, v27
	s_add_i32 s9, s9, 8
	s_cmp_lg_u32 s9, 16
	buffer_store_dword v26, v2, s[0:3], 0 offen offset:4
	buffer_store_dword v26, v2, s[0:3], 0 offen
	s_cbranch_scc1 .LBB2058_210
; %bb.211:                              ;   in Loop: Header=BB2058_208 Depth=1
	buffer_store_byte v26, off, s[0:3], 0 offset:32
	global_load_ubyte v14, v6, s[24:25] glc
	s_waitcnt vmcnt(0)
	v_cmp_eq_u16_e32 vcc, 0, v14
	s_and_saveexec_b64 s[10:11], vcc
	s_cbranch_execz .LBB2058_217
; %bb.212:                              ;   in Loop: Header=BB2058_208 Depth=1
	v_mov_b32_e32 v3, s25
	v_add_co_u32_e32 v2, vcc, s24, v6
	v_addc_co_u32_e32 v3, vcc, 0, v3, vcc
	s_mov_b32 s9, 1
	s_mov_b64 s[16:17], 0
.LBB2058_213:                           ;   Parent Loop BB2058_208 Depth=1
                                        ; =>  This Loop Header: Depth=2
                                        ;       Child Loop BB2058_214 Depth 3
	s_max_u32 s33, s9, 1
.LBB2058_214:                           ;   Parent Loop BB2058_208 Depth=1
                                        ;     Parent Loop BB2058_213 Depth=2
                                        ; =>    This Inner Loop Header: Depth=3
	s_add_i32 s33, s33, -1
	s_cmp_eq_u32 s33, 0
	s_sleep 1
	s_cbranch_scc0 .LBB2058_214
; %bb.215:                              ;   in Loop: Header=BB2058_213 Depth=2
	global_load_ubyte v14, v[2:3], off glc
	s_cmp_lt_u32 s9, 32
	s_cselect_b64 s[36:37], -1, 0
	s_cmp_lg_u64 s[36:37], 0
	s_addc_u32 s9, s9, 0
	s_waitcnt vmcnt(0)
	v_cmp_ne_u16_e32 vcc, 0, v14
	s_or_b64 s[16:17], vcc, s[16:17]
	s_andn2_b64 exec, exec, s[16:17]
	s_cbranch_execnz .LBB2058_213
; %bb.216:                              ;   in Loop: Header=BB2058_208 Depth=1
	s_or_b64 exec, exec, s[16:17]
.LBB2058_217:                           ;   in Loop: Header=BB2058_208 Depth=1
	s_or_b64 exec, exec, s[10:11]
	v_mov_b32_e32 v2, s23
	v_mov_b32_e32 v3, s21
	v_cmp_eq_u16_e32 vcc, 1, v14
	v_cndmask_b32_e32 v3, v2, v3, vcc
	v_mov_b32_e32 v2, s22
	v_mov_b32_e32 v4, s20
	v_cndmask_b32_e32 v2, v2, v4, vcc
	v_mad_u64_u32 v[34:35], s[10:11], v6, 20, v[2:3]
	buffer_wbinvl1_vol
	global_load_dwordx4 v[2:5], v[34:35], off
	global_load_ubyte v33, v[34:35], off offset:16
	s_mov_b32 s9, 0
	buffer_store_dword v26, off, s[0:3], 0 offset:112
	s_waitcnt vmcnt(2)
	buffer_store_dword v5, off, s[0:3], 0 offset:28
	buffer_store_dword v4, off, s[0:3], 0 offset:24
	;; [unrolled: 1-line block ×4, first 2 shown]
	s_waitcnt vmcnt(5)
	buffer_store_byte v33, off, s[0:3], 0 offset:32
	buffer_store_dword v3, off, s[0:3], 0 offset:60
	buffer_store_dword v2, off, s[0:3], 0 offset:56
	;; [unrolled: 1-line block ×4, first 2 shown]
	buffer_store_byte v33, off, s[0:3], 0 offset:72
.LBB2058_218:                           ;   Parent Loop BB2058_208 Depth=1
                                        ; =>  This Inner Loop Header: Depth=2
	v_add_u32_e32 v33, s9, v28
	s_add_i32 s9, s9, 8
	s_cmp_lg_u32 s9, 16
	buffer_store_dword v26, v33, s[0:3], 0 offen offset:4
	buffer_store_dword v26, v33, s[0:3], 0 offen
	s_cbranch_scc1 .LBB2058_218
; %bb.219:                              ;   in Loop: Header=BB2058_208 Depth=1
	buffer_load_dword v34, off, s[0:3], 0 offset:72
	v_cmp_eq_u16_e32 vcc, 2, v14
	v_and_b32_e32 v33, vcc_hi, v9
	v_or_b32_e32 v33, 0x80000000, v33
	v_and_b32_e32 v35, vcc_lo, v8
	v_ffbl_b32_e32 v33, v33
	v_ffbl_b32_e32 v35, v35
	v_add_u32_e32 v33, 32, v33
	ds_bpermute_b32 v36, v16, v2
	v_min_u32_e32 v33, v35, v33
	ds_bpermute_b32 v37, v16, v3
	ds_bpermute_b32 v38, v16, v4
	;; [unrolled: 1-line block ×3, first 2 shown]
	v_cmp_lt_u32_e32 vcc, v15, v33
	s_waitcnt lgkmcnt(3)
	buffer_store_dword v36, off, s[0:3], 0 offset:96
	s_waitcnt lgkmcnt(2)
	buffer_store_dword v37, off, s[0:3], 0 offset:100
	;; [unrolled: 2-line block ×4, first 2 shown]
	s_waitcnt vmcnt(4)
	ds_bpermute_b32 v35, v16, v34
	s_and_saveexec_b64 s[10:11], vcc
	s_cbranch_execz .LBB2058_227
; %bb.220:                              ;   in Loop: Header=BB2058_208 Depth=1
	v_cmp_eq_u16_sdwa s[36:37], v34, v26 src0_sel:BYTE_0 src1_sel:DWORD
	s_and_saveexec_b64 s[16:17], s[36:37]
	s_cbranch_execz .LBB2058_226
; %bb.221:                              ;   in Loop: Header=BB2058_208 Depth=1
	s_mov_b32 s9, 0
.LBB2058_222:                           ;   Parent Loop BB2058_208 Depth=1
                                        ; =>  This Inner Loop Header: Depth=2
	v_add_u32_e32 v2, s9, v29
	s_add_i32 s9, s9, 8
	s_cmp_lg_u32 s9, 16
	buffer_store_dword v26, v2, s[0:3], 0 offen offset:4
	buffer_store_dword v26, v2, s[0:3], 0 offen
	s_cbranch_scc1 .LBB2058_222
; %bb.223:                              ;   in Loop: Header=BB2058_208 Depth=1
	s_mov_b32 s9, 0
.LBB2058_224:                           ;   Parent Loop BB2058_208 Depth=1
                                        ; =>  This Inner Loop Header: Depth=2
	v_add_u32_e32 v2, s9, v28
	v_add_u32_e32 v3, s9, v30
	buffer_load_dword v4, v2, s[0:3], 0 offen offset:4
	buffer_load_dword v5, v3, s[0:3], 0 offen
	buffer_load_dword v36, v2, s[0:3], 0 offen
	buffer_load_dword v37, v3, s[0:3], 0 offen offset:4
	v_add_u32_e32 v2, s9, v29
	s_add_i32 s9, s9, 8
	s_cmp_lg_u32 s9, 16
	s_waitcnt vmcnt(1)
	v_add_u32_e32 v3, v5, v36
	s_waitcnt vmcnt(0)
	v_add_u32_e32 v4, v37, v4
	buffer_store_dword v4, v2, s[0:3], 0 offen offset:4
	buffer_store_dword v3, v2, s[0:3], 0 offen
	s_cbranch_scc1 .LBB2058_224
; %bb.225:                              ;   in Loop: Header=BB2058_208 Depth=1
	buffer_load_dword v2, off, s[0:3], 0
	buffer_load_dword v3, off, s[0:3], 0 offset:4
	buffer_load_dword v4, off, s[0:3], 0 offset:8
	;; [unrolled: 1-line block ×3, first 2 shown]
.LBB2058_226:                           ;   in Loop: Header=BB2058_208 Depth=1
	s_or_b64 exec, exec, s[16:17]
	s_waitcnt lgkmcnt(0)
	v_or_b32_e32 v34, v35, v34
	v_and_b32_e32 v34, 1, v34
	buffer_store_byte v34, off, s[0:3], 0 offset:72
	buffer_load_dword v34, off, s[0:3], 0 offset:72
	s_waitcnt vmcnt(4)
	buffer_store_dword v3, off, s[0:3], 0 offset:60
	buffer_store_dword v2, off, s[0:3], 0 offset:56
	s_waitcnt vmcnt(4)
	buffer_store_dword v5, off, s[0:3], 0 offset:68
	buffer_store_dword v4, off, s[0:3], 0 offset:64
.LBB2058_227:                           ;   in Loop: Header=BB2058_208 Depth=1
	s_or_b64 exec, exec, s[10:11]
	ds_bpermute_b32 v36, v18, v2
	s_waitcnt vmcnt(4) lgkmcnt(1)
	ds_bpermute_b32 v35, v18, v34
	ds_bpermute_b32 v37, v18, v3
	;; [unrolled: 1-line block ×4, first 2 shown]
	v_cmp_le_u32_e32 vcc, v17, v33
	s_waitcnt lgkmcnt(4)
	buffer_store_dword v36, off, s[0:3], 0 offset:96
	s_waitcnt lgkmcnt(2)
	buffer_store_dword v37, off, s[0:3], 0 offset:100
	;; [unrolled: 2-line block ×4, first 2 shown]
	s_and_saveexec_b64 s[16:17], vcc
	s_cbranch_execz .LBB2058_235
; %bb.228:                              ;   in Loop: Header=BB2058_208 Depth=1
	v_cmp_eq_u16_sdwa s[36:37], v34, v26 src0_sel:BYTE_0 src1_sel:DWORD
	s_and_saveexec_b64 s[10:11], s[36:37]
	s_cbranch_execz .LBB2058_234
; %bb.229:                              ;   in Loop: Header=BB2058_208 Depth=1
	s_mov_b32 s9, 0
.LBB2058_230:                           ;   Parent Loop BB2058_208 Depth=1
                                        ; =>  This Inner Loop Header: Depth=2
	v_add_u32_e32 v2, s9, v29
	s_add_i32 s9, s9, 8
	s_cmp_lg_u32 s9, 16
	buffer_store_dword v26, v2, s[0:3], 0 offen offset:4
	buffer_store_dword v26, v2, s[0:3], 0 offen
	s_cbranch_scc1 .LBB2058_230
; %bb.231:                              ;   in Loop: Header=BB2058_208 Depth=1
	s_mov_b32 s9, 0
.LBB2058_232:                           ;   Parent Loop BB2058_208 Depth=1
                                        ; =>  This Inner Loop Header: Depth=2
	v_add_u32_e32 v2, s9, v28
	v_add_u32_e32 v3, s9, v30
	buffer_load_dword v4, v2, s[0:3], 0 offen offset:4
	buffer_load_dword v5, v3, s[0:3], 0 offen
	buffer_load_dword v36, v2, s[0:3], 0 offen
	buffer_load_dword v37, v3, s[0:3], 0 offen offset:4
	v_add_u32_e32 v2, s9, v29
	s_add_i32 s9, s9, 8
	s_cmp_lg_u32 s9, 16
	s_waitcnt vmcnt(1)
	v_add_u32_e32 v3, v5, v36
	s_waitcnt vmcnt(0)
	v_add_u32_e32 v4, v37, v4
	buffer_store_dword v4, v2, s[0:3], 0 offen offset:4
	buffer_store_dword v3, v2, s[0:3], 0 offen
	s_cbranch_scc1 .LBB2058_232
; %bb.233:                              ;   in Loop: Header=BB2058_208 Depth=1
	buffer_load_dword v2, off, s[0:3], 0
	buffer_load_dword v3, off, s[0:3], 0 offset:4
	buffer_load_dword v4, off, s[0:3], 0 offset:8
	;; [unrolled: 1-line block ×3, first 2 shown]
.LBB2058_234:                           ;   in Loop: Header=BB2058_208 Depth=1
	s_or_b64 exec, exec, s[10:11]
	v_and_b32_e32 v34, 1, v34
	v_cmp_eq_u32_e32 vcc, 1, v34
	v_and_b32_e32 v34, 1, v35
	v_cmp_eq_u32_e64 s[10:11], 1, v34
	s_or_b64 s[10:11], vcc, s[10:11]
	v_cndmask_b32_e64 v34, 0, 1, s[10:11]
	buffer_store_byte v34, off, s[0:3], 0 offset:72
	buffer_load_dword v34, off, s[0:3], 0 offset:72
	s_waitcnt vmcnt(4)
	buffer_store_dword v3, off, s[0:3], 0 offset:60
	buffer_store_dword v2, off, s[0:3], 0 offset:56
	s_waitcnt vmcnt(4)
	buffer_store_dword v5, off, s[0:3], 0 offset:68
	buffer_store_dword v4, off, s[0:3], 0 offset:64
.LBB2058_235:                           ;   in Loop: Header=BB2058_208 Depth=1
	s_or_b64 exec, exec, s[16:17]
	ds_bpermute_b32 v36, v20, v2
	s_waitcnt vmcnt(4)
	ds_bpermute_b32 v35, v20, v34
	ds_bpermute_b32 v37, v20, v3
	ds_bpermute_b32 v38, v20, v4
	ds_bpermute_b32 v39, v20, v5
	v_cmp_le_u32_e32 vcc, v19, v33
	s_waitcnt lgkmcnt(4)
	buffer_store_dword v36, off, s[0:3], 0 offset:96
	s_waitcnt lgkmcnt(2)
	buffer_store_dword v37, off, s[0:3], 0 offset:100
	;; [unrolled: 2-line block ×4, first 2 shown]
	s_and_saveexec_b64 s[16:17], vcc
	s_cbranch_execz .LBB2058_243
; %bb.236:                              ;   in Loop: Header=BB2058_208 Depth=1
	v_cmp_eq_u16_sdwa s[36:37], v34, v26 src0_sel:BYTE_0 src1_sel:DWORD
	s_and_saveexec_b64 s[10:11], s[36:37]
	s_cbranch_execz .LBB2058_242
; %bb.237:                              ;   in Loop: Header=BB2058_208 Depth=1
	s_mov_b32 s9, 0
.LBB2058_238:                           ;   Parent Loop BB2058_208 Depth=1
                                        ; =>  This Inner Loop Header: Depth=2
	v_add_u32_e32 v2, s9, v29
	s_add_i32 s9, s9, 8
	s_cmp_lg_u32 s9, 16
	buffer_store_dword v26, v2, s[0:3], 0 offen offset:4
	buffer_store_dword v26, v2, s[0:3], 0 offen
	s_cbranch_scc1 .LBB2058_238
; %bb.239:                              ;   in Loop: Header=BB2058_208 Depth=1
	s_mov_b32 s9, 0
.LBB2058_240:                           ;   Parent Loop BB2058_208 Depth=1
                                        ; =>  This Inner Loop Header: Depth=2
	v_add_u32_e32 v2, s9, v28
	v_add_u32_e32 v3, s9, v30
	buffer_load_dword v4, v2, s[0:3], 0 offen offset:4
	buffer_load_dword v5, v3, s[0:3], 0 offen
	buffer_load_dword v36, v2, s[0:3], 0 offen
	buffer_load_dword v37, v3, s[0:3], 0 offen offset:4
	v_add_u32_e32 v2, s9, v29
	s_add_i32 s9, s9, 8
	s_cmp_lg_u32 s9, 16
	s_waitcnt vmcnt(1)
	v_add_u32_e32 v3, v5, v36
	s_waitcnt vmcnt(0)
	v_add_u32_e32 v4, v37, v4
	buffer_store_dword v4, v2, s[0:3], 0 offen offset:4
	buffer_store_dword v3, v2, s[0:3], 0 offen
	s_cbranch_scc1 .LBB2058_240
; %bb.241:                              ;   in Loop: Header=BB2058_208 Depth=1
	buffer_load_dword v2, off, s[0:3], 0
	buffer_load_dword v3, off, s[0:3], 0 offset:4
	buffer_load_dword v4, off, s[0:3], 0 offset:8
	;; [unrolled: 1-line block ×3, first 2 shown]
.LBB2058_242:                           ;   in Loop: Header=BB2058_208 Depth=1
	s_or_b64 exec, exec, s[10:11]
	v_and_b32_e32 v34, 1, v34
	v_cmp_eq_u32_e32 vcc, 1, v34
	v_and_b32_e32 v34, 1, v35
	v_cmp_eq_u32_e64 s[10:11], 1, v34
	s_or_b64 s[10:11], vcc, s[10:11]
	v_cndmask_b32_e64 v34, 0, 1, s[10:11]
	buffer_store_byte v34, off, s[0:3], 0 offset:72
	buffer_load_dword v34, off, s[0:3], 0 offset:72
	s_waitcnt vmcnt(4)
	buffer_store_dword v3, off, s[0:3], 0 offset:60
	buffer_store_dword v2, off, s[0:3], 0 offset:56
	s_waitcnt vmcnt(4)
	buffer_store_dword v5, off, s[0:3], 0 offset:68
	buffer_store_dword v4, off, s[0:3], 0 offset:64
.LBB2058_243:                           ;   in Loop: Header=BB2058_208 Depth=1
	s_or_b64 exec, exec, s[16:17]
	ds_bpermute_b32 v36, v22, v2
	s_waitcnt vmcnt(4)
	ds_bpermute_b32 v35, v22, v34
	ds_bpermute_b32 v37, v22, v3
	;; [unrolled: 1-line block ×4, first 2 shown]
	v_cmp_le_u32_e32 vcc, v21, v33
	s_waitcnt lgkmcnt(4)
	buffer_store_dword v36, off, s[0:3], 0 offset:96
	s_waitcnt lgkmcnt(2)
	buffer_store_dword v37, off, s[0:3], 0 offset:100
	;; [unrolled: 2-line block ×4, first 2 shown]
	s_and_saveexec_b64 s[16:17], vcc
	s_cbranch_execz .LBB2058_251
; %bb.244:                              ;   in Loop: Header=BB2058_208 Depth=1
	v_cmp_eq_u16_sdwa s[36:37], v34, v26 src0_sel:BYTE_0 src1_sel:DWORD
	s_and_saveexec_b64 s[10:11], s[36:37]
	s_cbranch_execz .LBB2058_250
; %bb.245:                              ;   in Loop: Header=BB2058_208 Depth=1
	s_mov_b32 s9, 0
.LBB2058_246:                           ;   Parent Loop BB2058_208 Depth=1
                                        ; =>  This Inner Loop Header: Depth=2
	v_add_u32_e32 v2, s9, v29
	s_add_i32 s9, s9, 8
	s_cmp_lg_u32 s9, 16
	buffer_store_dword v26, v2, s[0:3], 0 offen offset:4
	buffer_store_dword v26, v2, s[0:3], 0 offen
	s_cbranch_scc1 .LBB2058_246
; %bb.247:                              ;   in Loop: Header=BB2058_208 Depth=1
	s_mov_b32 s9, 0
.LBB2058_248:                           ;   Parent Loop BB2058_208 Depth=1
                                        ; =>  This Inner Loop Header: Depth=2
	v_add_u32_e32 v2, s9, v28
	v_add_u32_e32 v3, s9, v30
	buffer_load_dword v4, v2, s[0:3], 0 offen offset:4
	buffer_load_dword v5, v3, s[0:3], 0 offen
	buffer_load_dword v36, v2, s[0:3], 0 offen
	buffer_load_dword v37, v3, s[0:3], 0 offen offset:4
	v_add_u32_e32 v2, s9, v29
	s_add_i32 s9, s9, 8
	s_cmp_lg_u32 s9, 16
	s_waitcnt vmcnt(1)
	v_add_u32_e32 v3, v5, v36
	s_waitcnt vmcnt(0)
	v_add_u32_e32 v4, v37, v4
	buffer_store_dword v4, v2, s[0:3], 0 offen offset:4
	buffer_store_dword v3, v2, s[0:3], 0 offen
	s_cbranch_scc1 .LBB2058_248
; %bb.249:                              ;   in Loop: Header=BB2058_208 Depth=1
	buffer_load_dword v2, off, s[0:3], 0
	buffer_load_dword v3, off, s[0:3], 0 offset:4
	buffer_load_dword v4, off, s[0:3], 0 offset:8
	;; [unrolled: 1-line block ×3, first 2 shown]
.LBB2058_250:                           ;   in Loop: Header=BB2058_208 Depth=1
	s_or_b64 exec, exec, s[10:11]
	v_and_b32_e32 v34, 1, v34
	v_cmp_eq_u32_e32 vcc, 1, v34
	v_and_b32_e32 v34, 1, v35
	v_cmp_eq_u32_e64 s[10:11], 1, v34
	s_or_b64 s[10:11], vcc, s[10:11]
	v_cndmask_b32_e64 v34, 0, 1, s[10:11]
	buffer_store_byte v34, off, s[0:3], 0 offset:72
	buffer_load_dword v34, off, s[0:3], 0 offset:72
	s_waitcnt vmcnt(4)
	buffer_store_dword v3, off, s[0:3], 0 offset:60
	buffer_store_dword v2, off, s[0:3], 0 offset:56
	s_waitcnt vmcnt(4)
	buffer_store_dword v5, off, s[0:3], 0 offset:68
	buffer_store_dword v4, off, s[0:3], 0 offset:64
.LBB2058_251:                           ;   in Loop: Header=BB2058_208 Depth=1
	s_or_b64 exec, exec, s[16:17]
	ds_bpermute_b32 v36, v24, v2
	s_waitcnt vmcnt(4)
	ds_bpermute_b32 v35, v24, v34
	ds_bpermute_b32 v37, v24, v3
	;; [unrolled: 1-line block ×4, first 2 shown]
	v_cmp_le_u32_e32 vcc, v23, v33
	s_waitcnt lgkmcnt(4)
	buffer_store_dword v36, off, s[0:3], 0 offset:96
	s_waitcnt lgkmcnt(2)
	buffer_store_dword v37, off, s[0:3], 0 offset:100
	;; [unrolled: 2-line block ×4, first 2 shown]
	s_and_saveexec_b64 s[16:17], vcc
	s_cbranch_execz .LBB2058_259
; %bb.252:                              ;   in Loop: Header=BB2058_208 Depth=1
	v_cmp_eq_u16_sdwa s[36:37], v34, v26 src0_sel:BYTE_0 src1_sel:DWORD
	s_and_saveexec_b64 s[10:11], s[36:37]
	s_cbranch_execz .LBB2058_258
; %bb.253:                              ;   in Loop: Header=BB2058_208 Depth=1
	s_mov_b32 s9, 0
.LBB2058_254:                           ;   Parent Loop BB2058_208 Depth=1
                                        ; =>  This Inner Loop Header: Depth=2
	v_add_u32_e32 v2, s9, v29
	s_add_i32 s9, s9, 8
	s_cmp_lg_u32 s9, 16
	buffer_store_dword v26, v2, s[0:3], 0 offen offset:4
	buffer_store_dword v26, v2, s[0:3], 0 offen
	s_cbranch_scc1 .LBB2058_254
; %bb.255:                              ;   in Loop: Header=BB2058_208 Depth=1
	s_mov_b32 s9, 0
.LBB2058_256:                           ;   Parent Loop BB2058_208 Depth=1
                                        ; =>  This Inner Loop Header: Depth=2
	v_add_u32_e32 v2, s9, v28
	v_add_u32_e32 v3, s9, v30
	buffer_load_dword v4, v2, s[0:3], 0 offen offset:4
	buffer_load_dword v5, v3, s[0:3], 0 offen
	buffer_load_dword v36, v2, s[0:3], 0 offen
	buffer_load_dword v37, v3, s[0:3], 0 offen offset:4
	v_add_u32_e32 v2, s9, v29
	s_add_i32 s9, s9, 8
	s_cmp_lg_u32 s9, 16
	s_waitcnt vmcnt(1)
	v_add_u32_e32 v3, v5, v36
	s_waitcnt vmcnt(0)
	v_add_u32_e32 v4, v37, v4
	buffer_store_dword v4, v2, s[0:3], 0 offen offset:4
	buffer_store_dword v3, v2, s[0:3], 0 offen
	s_cbranch_scc1 .LBB2058_256
; %bb.257:                              ;   in Loop: Header=BB2058_208 Depth=1
	buffer_load_dword v2, off, s[0:3], 0
	buffer_load_dword v3, off, s[0:3], 0 offset:4
	buffer_load_dword v4, off, s[0:3], 0 offset:8
	;; [unrolled: 1-line block ×3, first 2 shown]
.LBB2058_258:                           ;   in Loop: Header=BB2058_208 Depth=1
	s_or_b64 exec, exec, s[10:11]
	v_and_b32_e32 v34, 1, v34
	v_cmp_eq_u32_e32 vcc, 1, v34
	v_and_b32_e32 v34, 1, v35
	v_cmp_eq_u32_e64 s[10:11], 1, v34
	s_or_b64 s[10:11], vcc, s[10:11]
	v_cndmask_b32_e64 v34, 0, 1, s[10:11]
	buffer_store_byte v34, off, s[0:3], 0 offset:72
	buffer_load_dword v34, off, s[0:3], 0 offset:72
	s_waitcnt vmcnt(4)
	buffer_store_dword v3, off, s[0:3], 0 offset:60
	buffer_store_dword v2, off, s[0:3], 0 offset:56
	s_waitcnt vmcnt(4)
	buffer_store_dword v5, off, s[0:3], 0 offset:68
	buffer_store_dword v4, off, s[0:3], 0 offset:64
.LBB2058_259:                           ;   in Loop: Header=BB2058_208 Depth=1
	s_or_b64 exec, exec, s[16:17]
	ds_bpermute_b32 v36, v1, v2
	s_waitcnt vmcnt(4)
	ds_bpermute_b32 v35, v1, v34
	ds_bpermute_b32 v37, v1, v3
	;; [unrolled: 1-line block ×4, first 2 shown]
	v_cmp_le_u32_e32 vcc, v25, v33
	v_and_b32_e32 v33, 1, v34
	v_cmp_eq_u32_e64 s[10:11], 1, v33
	s_waitcnt lgkmcnt(4)
	buffer_store_dword v36, off, s[0:3], 0 offset:96
	s_waitcnt lgkmcnt(2)
	buffer_store_dword v37, off, s[0:3], 0 offset:100
	;; [unrolled: 2-line block ×4, first 2 shown]
	s_and_saveexec_b64 s[16:17], vcc
	s_cbranch_execz .LBB2058_267
; %bb.260:                              ;   in Loop: Header=BB2058_208 Depth=1
	v_cmp_eq_u16_sdwa s[40:41], v34, v26 src0_sel:BYTE_0 src1_sel:DWORD
	s_and_saveexec_b64 s[36:37], s[40:41]
	s_cbranch_execz .LBB2058_266
; %bb.261:                              ;   in Loop: Header=BB2058_208 Depth=1
	s_mov_b32 s9, 0
.LBB2058_262:                           ;   Parent Loop BB2058_208 Depth=1
                                        ; =>  This Inner Loop Header: Depth=2
	v_add_u32_e32 v2, s9, v29
	s_add_i32 s9, s9, 8
	s_cmp_lg_u32 s9, 16
	buffer_store_dword v26, v2, s[0:3], 0 offen offset:4
	buffer_store_dword v26, v2, s[0:3], 0 offen
	s_cbranch_scc1 .LBB2058_262
; %bb.263:                              ;   in Loop: Header=BB2058_208 Depth=1
	s_mov_b32 s9, 0
.LBB2058_264:                           ;   Parent Loop BB2058_208 Depth=1
                                        ; =>  This Inner Loop Header: Depth=2
	v_add_u32_e32 v2, s9, v28
	v_add_u32_e32 v3, s9, v30
	buffer_load_dword v4, v2, s[0:3], 0 offen offset:4
	buffer_load_dword v5, v3, s[0:3], 0 offen
	buffer_load_dword v33, v2, s[0:3], 0 offen
	buffer_load_dword v34, v3, s[0:3], 0 offen offset:4
	v_add_u32_e32 v2, s9, v29
	s_add_i32 s9, s9, 8
	s_cmp_lg_u32 s9, 16
	s_waitcnt vmcnt(1)
	v_add_u32_e32 v3, v5, v33
	s_waitcnt vmcnt(0)
	v_add_u32_e32 v4, v34, v4
	buffer_store_dword v4, v2, s[0:3], 0 offen offset:4
	buffer_store_dword v3, v2, s[0:3], 0 offen
	s_cbranch_scc1 .LBB2058_264
; %bb.265:                              ;   in Loop: Header=BB2058_208 Depth=1
	buffer_load_dword v2, off, s[0:3], 0
	buffer_load_dword v3, off, s[0:3], 0 offset:4
	buffer_load_dword v4, off, s[0:3], 0 offset:8
	;; [unrolled: 1-line block ×3, first 2 shown]
.LBB2058_266:                           ;   in Loop: Header=BB2058_208 Depth=1
	s_or_b64 exec, exec, s[36:37]
	v_and_b32_e32 v33, 1, v35
	v_cmp_eq_u32_e32 vcc, 1, v33
	s_or_b64 s[36:37], s[10:11], vcc
	v_cndmask_b32_e64 v33, 0, 1, s[36:37]
	s_andn2_b64 s[10:11], s[10:11], exec
	s_and_b64 s[36:37], s[36:37], exec
	s_or_b64 s[10:11], s[10:11], s[36:37]
	s_waitcnt vmcnt(2)
	buffer_store_dword v3, off, s[0:3], 0 offset:60
	buffer_store_dword v2, off, s[0:3], 0 offset:56
	s_waitcnt vmcnt(2)
	buffer_store_dword v5, off, s[0:3], 0 offset:68
	buffer_store_dword v4, off, s[0:3], 0 offset:64
	buffer_store_byte v33, off, s[0:3], 0 offset:72
.LBB2058_267:                           ;   in Loop: Header=BB2058_208 Depth=1
	s_or_b64 exec, exec, s[16:17]
	buffer_load_ubyte v33, off, s[0:3], 0 offset:52
                                        ; implicit-def: $vgpr4_vgpr5
                                        ; implicit-def: $vgpr2_vgpr3
	s_waitcnt vmcnt(0)
	v_cmp_ne_u16_e32 vcc, 0, v33
	s_and_saveexec_b64 s[16:17], vcc
	s_xor_b64 s[16:17], exec, s[16:17]
	s_cbranch_execz .LBB2058_269
; %bb.268:                              ;   in Loop: Header=BB2058_208 Depth=1
	buffer_load_dword v2, off, s[0:3], 0 offset:36
	buffer_load_dword v3, off, s[0:3], 0 offset:40
	;; [unrolled: 1-line block ×4, first 2 shown]
.LBB2058_269:                           ;   in Loop: Header=BB2058_208 Depth=1
	s_andn2_saveexec_b64 s[16:17], s[16:17]
	s_cbranch_execz .LBB2058_275
; %bb.270:                              ;   in Loop: Header=BB2058_208 Depth=1
	s_mov_b32 s9, 0
	s_waitcnt vmcnt(0)
.LBB2058_271:                           ;   Parent Loop BB2058_208 Depth=1
                                        ; =>  This Inner Loop Header: Depth=2
	v_add_u32_e32 v2, s9, v28
	s_add_i32 s9, s9, 8
	s_cmp_lg_u32 s9, 16
	buffer_store_dword v26, v2, s[0:3], 0 offen offset:4
	buffer_store_dword v26, v2, s[0:3], 0 offen
	s_cbranch_scc1 .LBB2058_271
; %bb.272:                              ;   in Loop: Header=BB2058_208 Depth=1
	s_mov_b32 s9, 0
.LBB2058_273:                           ;   Parent Loop BB2058_208 Depth=1
                                        ; =>  This Inner Loop Header: Depth=2
	v_add_u32_e32 v2, s9, v30
	v_add_u32_e32 v3, s9, v31
	buffer_load_dword v4, v2, s[0:3], 0 offen offset:4
	buffer_load_dword v5, v3, s[0:3], 0 offen
	buffer_load_dword v34, v2, s[0:3], 0 offen
	buffer_load_dword v35, v3, s[0:3], 0 offen offset:4
	v_add_u32_e32 v2, s9, v28
	s_add_i32 s9, s9, 8
	s_cmp_lg_u32 s9, 16
	s_waitcnt vmcnt(1)
	v_add_u32_e32 v3, v5, v34
	s_waitcnt vmcnt(0)
	v_add_u32_e32 v4, v35, v4
	buffer_store_dword v4, v2, s[0:3], 0 offen offset:4
	buffer_store_dword v3, v2, s[0:3], 0 offen
	s_cbranch_scc1 .LBB2058_273
; %bb.274:                              ;   in Loop: Header=BB2058_208 Depth=1
	buffer_load_dword v2, off, s[0:3], 0 offset:96
	buffer_load_dword v3, off, s[0:3], 0 offset:100
	;; [unrolled: 1-line block ×4, first 2 shown]
.LBB2058_275:                           ;   in Loop: Header=BB2058_208 Depth=1
	s_or_b64 exec, exec, s[16:17]
	v_and_b32_e32 v33, 1, v33
	v_cmp_eq_u32_e32 vcc, 1, v33
	s_or_b64 s[10:11], vcc, s[10:11]
	v_subrev_u32_e32 v6, 64, v6
	v_cndmask_b32_e64 v33, 0, 1, s[10:11]
	s_waitcnt vmcnt(2)
	buffer_store_dword v3, off, s[0:3], 0 offset:40
	buffer_store_dword v2, off, s[0:3], 0 offset:36
	s_waitcnt vmcnt(2)
	buffer_store_dword v5, off, s[0:3], 0 offset:48
	buffer_store_dword v4, off, s[0:3], 0 offset:44
	buffer_store_byte v33, off, s[0:3], 0 offset:52
	s_branch .LBB2058_208
.LBB2058_276:
	buffer_load_dword v1, off, s[0:3], 0 offset:40
	buffer_load_dword v2, off, s[0:3], 0 offset:36
	;; [unrolled: 1-line block ×5, first 2 shown]
	s_waitcnt vmcnt(4)
	buffer_store_dword v1, off, s[0:3], 0 offset:100
	s_waitcnt vmcnt(4)
	buffer_store_dword v2, off, s[0:3], 0 offset:96
	;; [unrolled: 2-line block ×5, first 2 shown]
	s_and_saveexec_b64 s[10:11], s[6:7]
	s_cbranch_execz .LBB2058_286
; %bb.277:
	buffer_load_ubyte v1, off, s[0:3], 0 offset:92
                                        ; implicit-def: $vgpr4_vgpr5
	s_waitcnt vmcnt(0)
	v_cmp_ne_u16_e32 vcc, 0, v1
	s_and_saveexec_b64 s[6:7], vcc
	s_xor_b64 s[6:7], exec, s[6:7]
	s_cbranch_execz .LBB2058_279
; %bb.278:
	buffer_load_dword v2, off, s[0:3], 0 offset:76
	buffer_load_dword v3, off, s[0:3], 0 offset:80
	buffer_load_dword v4, off, s[0:3], 0 offset:84
	buffer_load_dword v5, off, s[0:3], 0 offset:88
.LBB2058_279:
	s_andn2_saveexec_b64 s[6:7], s[6:7]
	s_cbranch_execz .LBB2058_285
; %bb.280:
	s_mov_b32 s9, 0
	s_waitcnt vmcnt(3)
	v_mov_b32_e32 v2, 16
	s_waitcnt vmcnt(2)
	v_mov_b32_e32 v3, 0
	s_waitcnt vmcnt(0)
.LBB2058_281:                           ; =>This Inner Loop Header: Depth=1
	v_add_u32_e32 v4, s9, v2
	s_add_i32 s9, s9, 8
	s_cmp_lg_u32 s9, 16
	buffer_store_dword v3, v4, s[0:3], 0 offen offset:4
	buffer_store_dword v3, v4, s[0:3], 0 offen
	s_cbranch_scc1 .LBB2058_281
; %bb.282:
	s_mov_b32 s9, 0
	v_mov_b32_e32 v2, 0x60
	v_mov_b32_e32 v3, 0x4c
	v_mov_b32_e32 v4, 16
.LBB2058_283:                           ; =>This Inner Loop Header: Depth=1
	v_add_u32_e32 v5, s9, v2
	v_add_u32_e32 v8, s9, v3
	buffer_load_dword v9, v5, s[0:3], 0 offen offset:4
	buffer_load_dword v14, v8, s[0:3], 0 offen
	buffer_load_dword v15, v5, s[0:3], 0 offen
	buffer_load_dword v16, v8, s[0:3], 0 offen offset:4
                                        ; kill: killed $vgpr5
	v_add_u32_e32 v5, s9, v4
	s_add_i32 s9, s9, 8
	s_cmp_lg_u32 s9, 16
                                        ; kill: killed $vgpr8
	s_waitcnt vmcnt(1)
	v_add_u32_e32 v8, v14, v15
	s_waitcnt vmcnt(0)
	v_add_u32_e32 v9, v16, v9
	buffer_store_dword v9, v5, s[0:3], 0 offen offset:4
	buffer_store_dword v8, v5, s[0:3], 0 offen
	s_cbranch_scc1 .LBB2058_283
; %bb.284:
	buffer_load_dword v2, off, s[0:3], 0 offset:16
	buffer_load_dword v3, off, s[0:3], 0 offset:20
	;; [unrolled: 1-line block ×4, first 2 shown]
.LBB2058_285:
	s_or_b64 exec, exec, s[6:7]
	s_add_i32 s8, s8, 64
	s_mul_i32 s6, s8, 20
	v_or_b32_e32 v1, v1, v6
	s_mul_hi_u32 s7, s8, 20
	s_add_u32 s6, s22, s6
	v_and_b32_e32 v1, 1, v1
	s_addc_u32 s7, s23, s7
	v_mov_b32_e32 v6, 0
	s_waitcnt vmcnt(0)
	global_store_dwordx4 v6, v[2:5], s[6:7]
	global_store_byte v6, v1, s[6:7] offset:16
	v_mov_b32_e32 v1, s8
	v_mov_b32_e32 v2, 2
	s_waitcnt vmcnt(0)
	buffer_wbinvl1_vol
	global_store_byte v1, v2, s[24:25]
	buffer_load_dword v2, off, s[0:3], 0 offset:96
	s_nop 0
	buffer_load_dword v1, off, s[0:3], 0 offset:100
	buffer_load_dword v4, off, s[0:3], 0 offset:104
	;; [unrolled: 1-line block ×3, first 2 shown]
	buffer_load_ubyte v6, off, s[0:3], 0 offset:112
.LBB2058_286:
	s_or_b64 exec, exec, s[10:11]
	v_cmp_eq_u32_e32 vcc, 0, v0
	s_and_b64 exec, exec, vcc
	s_cbranch_execz .LBB2058_288
; %bb.287:
	v_mov_b32_e32 v5, 0
	s_waitcnt vmcnt(3)
	ds_write2_b32 v5, v2, v1 offset0:15 offset1:16
	s_waitcnt vmcnt(1)
	ds_write2_b32 v5, v4, v3 offset0:17 offset1:18
	s_waitcnt vmcnt(0)
	ds_write_b8 v5, v6 offset:76
.LBB2058_288:
	s_or_b64 exec, exec, s[14:15]
	s_waitcnt lgkmcnt(0)
	s_barrier
	buffer_load_ubyte v1, off, s[0:3], 0 offset:224
	s_waitcnt vmcnt(5)
	v_mov_b32_e32 v2, 0
	s_waitcnt vmcnt(3)
	ds_read2_b32 v[4:5], v2 offset0:15 offset1:16
	ds_read2_b32 v[8:9], v2 offset0:17 offset1:18
	s_waitcnt vmcnt(1)
	ds_read_b32 v6, v2 offset:76
	v_cmp_ne_u32_e32 vcc, 0, v0
	s_waitcnt lgkmcnt(2)
	buffer_store_dword v5, off, s[0:3], 0 offset:100
	buffer_store_dword v4, off, s[0:3], 0 offset:96
	s_waitcnt lgkmcnt(1)
	buffer_store_dword v9, off, s[0:3], 0 offset:108
	buffer_store_dword v8, off, s[0:3], 0 offset:104
	s_waitcnt lgkmcnt(0)
	buffer_store_dword v6, off, s[0:3], 0 offset:112
	s_and_saveexec_b64 s[6:7], vcc
	s_cbranch_execz .LBB2058_298
; %bb.289:
	s_waitcnt vmcnt(5)
	v_cmp_ne_u16_sdwa s[8:9], v1, v2 src0_sel:BYTE_0 src1_sel:DWORD
                                        ; implicit-def: $vgpr4_vgpr5
                                        ; implicit-def: $vgpr2_vgpr3
	s_and_saveexec_b64 s[10:11], s[8:9]
	s_xor_b64 s[8:9], exec, s[10:11]
	s_cbranch_execz .LBB2058_291
; %bb.290:
	buffer_load_dword v2, off, s[0:3], 0 offset:208
	buffer_load_dword v3, off, s[0:3], 0 offset:212
	;; [unrolled: 1-line block ×4, first 2 shown]
.LBB2058_291:
	s_andn2_saveexec_b64 s[8:9], s[8:9]
	s_cbranch_execz .LBB2058_297
; %bb.292:
	s_mov_b32 s10, 0
	s_waitcnt vmcnt(3)
	v_mov_b32_e32 v2, 16
	s_waitcnt vmcnt(2)
	v_mov_b32_e32 v3, 0
	s_waitcnt vmcnt(0)
.LBB2058_293:                           ; =>This Inner Loop Header: Depth=1
	v_add_u32_e32 v4, s10, v2
	s_add_i32 s10, s10, 8
	s_cmp_lg_u32 s10, 16
	buffer_store_dword v3, v4, s[0:3], 0 offen offset:4
	buffer_store_dword v3, v4, s[0:3], 0 offen
	s_cbranch_scc1 .LBB2058_293
; %bb.294:
	s_mov_b32 s10, 0
	v_mov_b32_e32 v2, 0xb0
	v_mov_b32_e32 v3, 0xd0
	;; [unrolled: 1-line block ×3, first 2 shown]
.LBB2058_295:                           ; =>This Inner Loop Header: Depth=1
	v_add_u32_e32 v5, s10, v2
	v_add_u32_e32 v8, s10, v3
	buffer_load_dword v9, v5, s[0:3], 0 offen offset:4
	buffer_load_dword v14, v8, s[0:3], 0 offen
	buffer_load_dword v15, v5, s[0:3], 0 offen
	buffer_load_dword v16, v8, s[0:3], 0 offen offset:4
                                        ; kill: killed $vgpr5
	v_add_u32_e32 v5, s10, v4
	s_add_i32 s10, s10, 8
	s_cmp_lg_u32 s10, 16
                                        ; kill: killed $vgpr8
	s_waitcnt vmcnt(1)
	v_add_u32_e32 v8, v14, v15
	s_waitcnt vmcnt(0)
	v_add_u32_e32 v9, v16, v9
	buffer_store_dword v9, v5, s[0:3], 0 offen offset:4
	buffer_store_dword v8, v5, s[0:3], 0 offen
	s_cbranch_scc1 .LBB2058_295
; %bb.296:
	buffer_load_dword v2, off, s[0:3], 0 offset:16
	buffer_load_dword v3, off, s[0:3], 0 offset:20
	;; [unrolled: 1-line block ×4, first 2 shown]
.LBB2058_297:
	s_or_b64 exec, exec, s[8:9]
	v_and_b32_e32 v1, 1, v1
	v_cmp_eq_u32_e32 vcc, 1, v1
	s_or_b64 s[8:9], vcc, s[12:13]
	v_cndmask_b32_e64 v1, 0, 1, s[8:9]
	s_waitcnt vmcnt(2)
	buffer_store_dword v3, off, s[0:3], 0 offset:212
	buffer_store_dword v2, off, s[0:3], 0 offset:208
	s_waitcnt vmcnt(2)
	buffer_store_dword v5, off, s[0:3], 0 offset:220
	buffer_store_dword v4, off, s[0:3], 0 offset:216
.LBB2058_298:
	s_or_b64 exec, exec, s[6:7]
	v_mov_b32_e32 v2, 0
	s_waitcnt vmcnt(5)
	v_cmp_ne_u16_sdwa s[6:7], v1, v2 src0_sel:BYTE_0 src1_sel:DWORD
                                        ; implicit-def: $vgpr4_vgpr5
                                        ; implicit-def: $vgpr2_vgpr3
	s_and_saveexec_b64 s[8:9], s[6:7]
	s_xor_b64 s[6:7], exec, s[8:9]
	s_cbranch_execz .LBB2058_300
; %bb.299:
	buffer_load_dword v2, off, s[0:3], 0 offset:208
	buffer_load_dword v3, off, s[0:3], 0 offset:212
	;; [unrolled: 1-line block ×4, first 2 shown]
.LBB2058_300:
	s_andn2_saveexec_b64 s[6:7], s[6:7]
	s_cbranch_execz .LBB2058_306
; %bb.301:
	s_mov_b32 s8, 0
	s_waitcnt vmcnt(3)
	v_mov_b32_e32 v2, 16
	s_waitcnt vmcnt(2)
	v_mov_b32_e32 v3, 0
	s_waitcnt vmcnt(0)
.LBB2058_302:                           ; =>This Inner Loop Header: Depth=1
	v_add_u32_e32 v4, s8, v2
	s_add_i32 s8, s8, 8
	s_cmp_lg_u32 s8, 16
	buffer_store_dword v3, v4, s[0:3], 0 offen offset:4
	buffer_store_dword v3, v4, s[0:3], 0 offen
	s_cbranch_scc1 .LBB2058_302
; %bb.303:
	s_mov_b32 s8, 0
	v_mov_b32_e32 v2, 0x60
	v_mov_b32_e32 v3, 0xd0
	;; [unrolled: 1-line block ×3, first 2 shown]
.LBB2058_304:                           ; =>This Inner Loop Header: Depth=1
	v_add_u32_e32 v5, s8, v2
	v_add_u32_e32 v8, s8, v3
	buffer_load_dword v9, v5, s[0:3], 0 offen offset:4
	buffer_load_dword v14, v8, s[0:3], 0 offen
	buffer_load_dword v15, v5, s[0:3], 0 offen
	buffer_load_dword v16, v8, s[0:3], 0 offen offset:4
                                        ; kill: killed $vgpr5
	v_add_u32_e32 v5, s8, v4
	s_add_i32 s8, s8, 8
	s_cmp_lg_u32 s8, 16
                                        ; kill: killed $vgpr8
	s_waitcnt vmcnt(1)
	v_add_u32_e32 v8, v14, v15
	s_waitcnt vmcnt(0)
	v_add_u32_e32 v9, v16, v9
	buffer_store_dword v9, v5, s[0:3], 0 offen offset:4
	buffer_store_dword v8, v5, s[0:3], 0 offen
	s_cbranch_scc1 .LBB2058_304
; %bb.305:
	buffer_load_dword v2, off, s[0:3], 0 offset:16
	buffer_load_dword v3, off, s[0:3], 0 offset:20
	;; [unrolled: 1-line block ×4, first 2 shown]
.LBB2058_306:
	s_or_b64 exec, exec, s[6:7]
	buffer_load_ubyte v8, off, s[0:3], 0 offset:244
	v_or_b32_e32 v1, v1, v6
	v_and_b32_e32 v1, 1, v1
	v_cmp_eq_u32_e32 vcc, 1, v1
	s_waitcnt vmcnt(3)
	buffer_store_dword v3, off, s[0:3], 0 offset:212
	buffer_store_dword v2, off, s[0:3], 0 offset:208
	s_waitcnt vmcnt(3)
	buffer_store_dword v5, off, s[0:3], 0 offset:220
	buffer_store_dword v4, off, s[0:3], 0 offset:216
	buffer_store_byte v1, off, s[0:3], 0 offset:224
                                        ; implicit-def: $vgpr4_vgpr5
                                        ; implicit-def: $vgpr2_vgpr3
	s_waitcnt vmcnt(5)
	v_cmp_ne_u16_e64 s[6:7], 0, v8
	s_and_saveexec_b64 s[8:9], s[6:7]
	s_xor_b64 s[6:7], exec, s[8:9]
	s_cbranch_execz .LBB2058_308
; %bb.307:
	buffer_load_dword v2, off, s[0:3], 0 offset:228
	buffer_load_dword v3, off, s[0:3], 0 offset:232
	;; [unrolled: 1-line block ×4, first 2 shown]
.LBB2058_308:
	s_andn2_saveexec_b64 s[6:7], s[6:7]
	s_cbranch_execz .LBB2058_314
; %bb.309:
	s_mov_b32 s8, 0
	v_mov_b32_e32 v1, 16
	s_waitcnt vmcnt(3)
	v_mov_b32_e32 v2, 0
	s_waitcnt vmcnt(0)
.LBB2058_310:                           ; =>This Inner Loop Header: Depth=1
	v_add_u32_e32 v3, s8, v1
	s_add_i32 s8, s8, 8
	s_cmp_lg_u32 s8, 16
	buffer_store_dword v2, v3, s[0:3], 0 offen offset:4
	buffer_store_dword v2, v3, s[0:3], 0 offen
	s_cbranch_scc1 .LBB2058_310
; %bb.311:
	s_mov_b32 s8, 0
	v_mov_b32_e32 v1, 0xd0
	v_mov_b32_e32 v2, 16
.LBB2058_312:                           ; =>This Inner Loop Header: Depth=1
	v_add_u32_e32 v3, s8, v1
	buffer_load_dword v4, v3, s[0:3], 0 offen
	buffer_load_dword v5, v3, s[0:3], 0 offen offset:4
	buffer_load_dword v6, v3, s[0:3], 0 offen offset:20
	;; [unrolled: 1-line block ×3, first 2 shown]
                                        ; kill: killed $vgpr3
	v_add_u32_e32 v3, s8, v2
	s_add_i32 s8, s8, 8
	s_cmp_lg_u32 s8, 16
	s_waitcnt vmcnt(1)
	v_add_u32_e32 v4, v6, v4
	s_waitcnt vmcnt(0)
	v_add_u32_e32 v5, v9, v5
	buffer_store_dword v5, v3, s[0:3], 0 offen offset:4
	buffer_store_dword v4, v3, s[0:3], 0 offen
	s_cbranch_scc1 .LBB2058_312
; %bb.313:
	buffer_load_dword v2, off, s[0:3], 0 offset:16
	buffer_load_dword v3, off, s[0:3], 0 offset:20
	;; [unrolled: 1-line block ×4, first 2 shown]
.LBB2058_314:
	s_or_b64 exec, exec, s[6:7]
	buffer_load_ubyte v1, off, s[0:3], 0 offset:264
	v_and_b32_e32 v6, 1, v8
	v_cmp_eq_u32_e64 s[6:7], 1, v6
	s_or_b64 s[6:7], s[6:7], vcc
	v_cndmask_b32_e64 v6, 0, 1, s[6:7]
	s_waitcnt vmcnt(3)
	buffer_store_dword v3, off, s[0:3], 0 offset:232
	buffer_store_dword v2, off, s[0:3], 0 offset:228
	s_waitcnt vmcnt(3)
	buffer_store_dword v5, off, s[0:3], 0 offset:240
	buffer_store_dword v4, off, s[0:3], 0 offset:236
	buffer_store_byte v6, off, s[0:3], 0 offset:244
                                        ; implicit-def: $vgpr4_vgpr5
                                        ; implicit-def: $vgpr2_vgpr3
	s_waitcnt vmcnt(5)
	v_cmp_ne_u16_e32 vcc, 0, v1
	s_and_saveexec_b64 s[8:9], vcc
	s_xor_b64 s[8:9], exec, s[8:9]
	s_cbranch_execz .LBB2058_316
; %bb.315:
	buffer_load_dword v2, off, s[0:3], 0 offset:248
	buffer_load_dword v3, off, s[0:3], 0 offset:252
	;; [unrolled: 1-line block ×4, first 2 shown]
.LBB2058_316:
	s_andn2_saveexec_b64 s[8:9], s[8:9]
	s_cbranch_execz .LBB2058_322
; %bb.317:
	s_mov_b32 s10, 0
	s_waitcnt vmcnt(3)
	v_mov_b32_e32 v2, 16
	s_waitcnt vmcnt(2)
	v_mov_b32_e32 v3, 0
	s_waitcnt vmcnt(0)
.LBB2058_318:                           ; =>This Inner Loop Header: Depth=1
	v_add_u32_e32 v4, s10, v2
	s_add_i32 s10, s10, 8
	s_cmp_lg_u32 s10, 16
	buffer_store_dword v3, v4, s[0:3], 0 offen offset:4
	buffer_store_dword v3, v4, s[0:3], 0 offen
	s_cbranch_scc1 .LBB2058_318
; %bb.319:
	s_mov_b32 s10, 0
	v_mov_b32_e32 v2, 0xd0
	v_mov_b32_e32 v3, 16
.LBB2058_320:                           ; =>This Inner Loop Header: Depth=1
	v_add_u32_e32 v4, s10, v2
	buffer_load_dword v5, v4, s[0:3], 0 offen offset:20
	buffer_load_dword v6, v4, s[0:3], 0 offen offset:24
	;; [unrolled: 1-line block ×4, first 2 shown]
                                        ; kill: killed $vgpr4
	v_add_u32_e32 v4, s10, v3
	s_add_i32 s10, s10, 8
	s_cmp_lg_u32 s10, 16
	s_waitcnt vmcnt(1)
	v_add_u32_e32 v5, v8, v5
	s_waitcnt vmcnt(0)
	v_add_u32_e32 v6, v9, v6
	buffer_store_dword v6, v4, s[0:3], 0 offen offset:4
	buffer_store_dword v5, v4, s[0:3], 0 offen
	s_cbranch_scc1 .LBB2058_320
; %bb.321:
	buffer_load_dword v2, off, s[0:3], 0 offset:16
	buffer_load_dword v3, off, s[0:3], 0 offset:20
	;; [unrolled: 1-line block ×4, first 2 shown]
.LBB2058_322:
	s_or_b64 exec, exec, s[8:9]
	buffer_load_ubyte v6, off, s[0:3], 0 offset:284
	v_and_b32_e32 v1, 1, v1
	v_cmp_eq_u32_e32 vcc, 1, v1
	s_or_b64 s[6:7], vcc, s[6:7]
	v_cndmask_b32_e64 v1, 0, 1, s[6:7]
	s_waitcnt vmcnt(3)
	buffer_store_dword v3, off, s[0:3], 0 offset:252
	buffer_store_dword v2, off, s[0:3], 0 offset:248
	s_waitcnt vmcnt(3)
	buffer_store_dword v5, off, s[0:3], 0 offset:260
	buffer_store_dword v4, off, s[0:3], 0 offset:256
	buffer_store_byte v1, off, s[0:3], 0 offset:264
                                        ; implicit-def: $vgpr4_vgpr5
                                        ; implicit-def: $vgpr2_vgpr3
	s_waitcnt vmcnt(5)
	v_cmp_ne_u16_e32 vcc, 0, v6
	s_and_saveexec_b64 s[8:9], vcc
	s_xor_b64 s[8:9], exec, s[8:9]
	s_cbranch_execz .LBB2058_324
; %bb.323:
	buffer_load_dword v2, off, s[0:3], 0 offset:268
	buffer_load_dword v3, off, s[0:3], 0 offset:272
	;; [unrolled: 1-line block ×4, first 2 shown]
.LBB2058_324:
	s_andn2_saveexec_b64 s[8:9], s[8:9]
	s_cbranch_execz .LBB2058_330
; %bb.325:
	s_mov_b32 s10, 0
	v_mov_b32_e32 v1, 16
	s_waitcnt vmcnt(3)
	v_mov_b32_e32 v2, 0
	s_waitcnt vmcnt(0)
.LBB2058_326:                           ; =>This Inner Loop Header: Depth=1
	v_add_u32_e32 v3, s10, v1
	s_add_i32 s10, s10, 8
	s_cmp_lg_u32 s10, 16
	buffer_store_dword v2, v3, s[0:3], 0 offen offset:4
	buffer_store_dword v2, v3, s[0:3], 0 offen
	s_cbranch_scc1 .LBB2058_326
; %bb.327:
	s_mov_b32 s10, 0
	v_mov_b32_e32 v1, 0xd0
	v_mov_b32_e32 v2, 16
.LBB2058_328:                           ; =>This Inner Loop Header: Depth=1
	v_add_u32_e32 v3, s10, v1
	buffer_load_dword v4, v3, s[0:3], 0 offen offset:40
	buffer_load_dword v5, v3, s[0:3], 0 offen offset:44
	;; [unrolled: 1-line block ×4, first 2 shown]
                                        ; kill: killed $vgpr3
	v_add_u32_e32 v3, s10, v2
	s_add_i32 s10, s10, 8
	s_cmp_lg_u32 s10, 16
	s_waitcnt vmcnt(1)
	v_add_u32_e32 v4, v8, v4
	s_waitcnt vmcnt(0)
	v_add_u32_e32 v5, v9, v5
	buffer_store_dword v5, v3, s[0:3], 0 offen offset:4
	buffer_store_dword v4, v3, s[0:3], 0 offen
	s_cbranch_scc1 .LBB2058_328
; %bb.329:
	buffer_load_dword v2, off, s[0:3], 0 offset:16
	buffer_load_dword v3, off, s[0:3], 0 offset:20
	;; [unrolled: 1-line block ×4, first 2 shown]
.LBB2058_330:
	s_or_b64 exec, exec, s[8:9]
	buffer_load_ubyte v1, off, s[0:3], 0 offset:304
	v_and_b32_e32 v6, 1, v6
	v_cmp_eq_u32_e32 vcc, 1, v6
	s_or_b64 s[6:7], vcc, s[6:7]
	v_cndmask_b32_e64 v6, 0, 1, s[6:7]
	s_waitcnt vmcnt(3)
	buffer_store_dword v3, off, s[0:3], 0 offset:272
	buffer_store_dword v2, off, s[0:3], 0 offset:268
	s_waitcnt vmcnt(3)
	buffer_store_dword v5, off, s[0:3], 0 offset:280
	buffer_store_dword v4, off, s[0:3], 0 offset:276
	buffer_store_byte v6, off, s[0:3], 0 offset:284
                                        ; implicit-def: $vgpr4_vgpr5
                                        ; implicit-def: $vgpr2_vgpr3
	s_waitcnt vmcnt(5)
	v_cmp_ne_u16_e32 vcc, 0, v1
	s_and_saveexec_b64 s[8:9], vcc
	s_xor_b64 s[8:9], exec, s[8:9]
	s_cbranch_execz .LBB2058_332
; %bb.331:
	buffer_load_dword v2, off, s[0:3], 0 offset:288
	buffer_load_dword v3, off, s[0:3], 0 offset:292
	;; [unrolled: 1-line block ×4, first 2 shown]
.LBB2058_332:
	s_andn2_saveexec_b64 s[8:9], s[8:9]
	s_cbranch_execz .LBB2058_338
; %bb.333:
	s_mov_b32 s10, 0
	s_waitcnt vmcnt(3)
	v_mov_b32_e32 v2, 16
	s_waitcnt vmcnt(2)
	v_mov_b32_e32 v3, 0
	s_waitcnt vmcnt(0)
.LBB2058_334:                           ; =>This Inner Loop Header: Depth=1
	v_add_u32_e32 v4, s10, v2
	s_add_i32 s10, s10, 8
	s_cmp_lg_u32 s10, 16
	buffer_store_dword v3, v4, s[0:3], 0 offen offset:4
	buffer_store_dword v3, v4, s[0:3], 0 offen
	s_cbranch_scc1 .LBB2058_334
; %bb.335:
	s_mov_b32 s10, 0
	v_mov_b32_e32 v2, 0xd0
	v_mov_b32_e32 v3, 16
.LBB2058_336:                           ; =>This Inner Loop Header: Depth=1
	v_add_u32_e32 v4, s10, v2
	buffer_load_dword v5, v4, s[0:3], 0 offen offset:60
	buffer_load_dword v6, v4, s[0:3], 0 offen offset:64
	;; [unrolled: 1-line block ×4, first 2 shown]
                                        ; kill: killed $vgpr4
	v_add_u32_e32 v4, s10, v3
	s_add_i32 s10, s10, 8
	s_cmp_lg_u32 s10, 16
	s_waitcnt vmcnt(1)
	v_add_u32_e32 v5, v8, v5
	s_waitcnt vmcnt(0)
	v_add_u32_e32 v6, v9, v6
	buffer_store_dword v6, v4, s[0:3], 0 offen offset:4
	buffer_store_dword v5, v4, s[0:3], 0 offen
	s_cbranch_scc1 .LBB2058_336
; %bb.337:
	buffer_load_dword v2, off, s[0:3], 0 offset:16
	buffer_load_dword v3, off, s[0:3], 0 offset:20
	;; [unrolled: 1-line block ×4, first 2 shown]
.LBB2058_338:
	s_or_b64 exec, exec, s[8:9]
	v_and_b32_e32 v1, 1, v1
	v_cmp_eq_u32_e32 vcc, 1, v1
	s_or_b64 s[6:7], vcc, s[6:7]
	v_cndmask_b32_e64 v1, 0, 1, s[6:7]
	s_waitcnt vmcnt(2)
	buffer_store_dword v3, off, s[0:3], 0 offset:292
	buffer_store_dword v2, off, s[0:3], 0 offset:288
	s_waitcnt vmcnt(2)
	buffer_store_dword v5, off, s[0:3], 0 offset:300
	buffer_store_dword v4, off, s[0:3], 0 offset:296
	buffer_store_byte v1, off, s[0:3], 0 offset:304
	s_branch .LBB2058_556
.LBB2058_339:
	v_pk_mov_b32 v[2:3], s[40:41], s[40:41] op_sel:[0,1]
	flat_load_dword v2, v[2:3]
	s_add_i32 s50, s27, s26
	v_cmp_gt_u32_e64 s[6:7], s50, v0
	s_waitcnt vmcnt(0) lgkmcnt(0)
	v_mov_b32_e32 v3, v2
	s_and_saveexec_b64 s[10:11], s[6:7]
	s_cbranch_execz .LBB2058_341
; %bb.340:
	v_lshlrev_b32_e32 v3, 2, v0
	v_mov_b32_e32 v5, s41
	v_add_co_u32_e32 v4, vcc, s40, v3
	v_addc_co_u32_e32 v5, vcc, 0, v5, vcc
	flat_load_dword v3, v[4:5]
.LBB2058_341:
	s_or_b64 exec, exec, s[10:11]
	v_or_b32_e32 v15, 0x100, v0
	v_cmp_gt_u32_e64 s[16:17], s50, v15
	v_mov_b32_e32 v4, v2
	s_and_saveexec_b64 s[10:11], s[16:17]
	s_cbranch_execz .LBB2058_343
; %bb.342:
	v_lshlrev_b32_e32 v4, 2, v0
	v_mov_b32_e32 v5, s41
	v_add_co_u32_e32 v4, vcc, s40, v4
	v_addc_co_u32_e32 v5, vcc, 0, v5, vcc
	flat_load_dword v4, v[4:5] offset:1024
.LBB2058_343:
	s_or_b64 exec, exec, s[10:11]
	v_or_b32_e32 v16, 0x200, v0
	v_cmp_gt_u32_e64 s[10:11], s50, v16
	v_mov_b32_e32 v5, v2
	s_and_saveexec_b64 s[12:13], s[10:11]
	s_cbranch_execz .LBB2058_345
; %bb.344:
	v_lshlrev_b32_e32 v5, 2, v0
	v_mov_b32_e32 v13, s41
	v_add_co_u32_e32 v18, vcc, s40, v5
	v_addc_co_u32_e32 v19, vcc, 0, v13, vcc
	flat_load_dword v5, v[18:19] offset:2048
.LBB2058_345:
	;; [unrolled: 13-line block ×3, first 2 shown]
	s_or_b64 exec, exec, s[14:15]
	v_or_b32_e32 v18, 0x400, v0
	v_cmp_gt_u32_e64 s[14:15], s50, v18
	s_and_saveexec_b64 s[36:37], s[14:15]
	s_cbranch_execz .LBB2058_349
; %bb.348:
	v_lshlrev_b32_e32 v2, 2, v18
	v_mov_b32_e32 v14, s41
	v_add_co_u32_e32 v20, vcc, s40, v2
	v_addc_co_u32_e32 v21, vcc, 0, v14, vcc
	flat_load_dword v2, v[20:21]
.LBB2058_349:
	s_or_b64 exec, exec, s[36:37]
	v_lshlrev_b32_e32 v14, 2, v0
	v_lshlrev_b32_e32 v20, 4, v0
	v_add_u32_e32 v19, v14, v20
	s_waitcnt vmcnt(0) lgkmcnt(0)
	ds_write2st64_b32 v14, v3, v4 offset1:4
	ds_write2st64_b32 v14, v5, v13 offset0:8 offset1:12
	ds_write_b32 v14, v2 offset:4096
	s_waitcnt lgkmcnt(0)
	s_barrier
	ds_read2_b32 v[4:5], v19 offset1:1
	ds_read2_b32 v[2:3], v19 offset0:2 offset1:3
	ds_read_b32 v13, v19 offset:16
	s_cmp_eq_u64 s[46:47], 0
	s_mov_b64 s[36:37], s[40:41]
	s_cbranch_scc1 .LBB2058_353
; %bb.350:
	s_andn2_b64 vcc, exec, s[44:45]
	s_cbranch_vccnz .LBB2058_591
; %bb.351:
	s_lshl_b64 s[36:37], s[46:47], 2
	s_add_u32 s36, s42, s36
	s_addc_u32 s37, s43, s37
	s_add_u32 s36, s36, -4
	s_addc_u32 s37, s37, -1
	s_andn2_b64 vcc, exec, s[48:49]
	s_cbranch_vccnz .LBB2058_353
.LBB2058_352:
	s_add_u32 s36, s40, -4
	s_addc_u32 s37, s41, -1
.LBB2058_353:
	v_pk_mov_b32 v[22:23], s[36:37], s[36:37] op_sel:[0,1]
	flat_load_dword v14, v[22:23]
	v_sub_u32_e32 v19, v19, v20
	v_cmp_ne_u32_e32 vcc, 0, v0
	s_waitcnt lgkmcnt(0)
	ds_write_b32 v19, v13 offset:5120
	s_waitcnt lgkmcnt(0)
	s_barrier
	s_and_saveexec_b64 s[36:37], vcc
	s_cbranch_execz .LBB2058_355
; %bb.354:
	s_waitcnt vmcnt(0)
	ds_read_b32 v14, v19 offset:5116
.LBB2058_355:
	s_or_b64 exec, exec, s[36:37]
	s_waitcnt lgkmcnt(0)
	s_barrier
	s_and_saveexec_b64 s[36:37], s[6:7]
	s_cbranch_execnz .LBB2058_587
; %bb.356:
	s_or_b64 exec, exec, s[36:37]
	s_and_saveexec_b64 s[6:7], s[16:17]
	s_cbranch_execnz .LBB2058_588
.LBB2058_357:
	s_or_b64 exec, exec, s[6:7]
	s_and_saveexec_b64 s[6:7], s[10:11]
	s_cbranch_execnz .LBB2058_589
.LBB2058_358:
	s_or_b64 exec, exec, s[6:7]
	s_and_saveexec_b64 s[6:7], s[12:13]
	s_cbranch_execnz .LBB2058_590
.LBB2058_359:
	s_or_b64 exec, exec, s[6:7]
	s_and_saveexec_b64 s[6:7], s[14:15]
	s_cbranch_execz .LBB2058_361
.LBB2058_360:
	v_lshlrev_b32_e32 v15, 4, v18
	v_mov_b32_e32 v17, s33
	v_add_co_u32_e32 v16, vcc, s9, v15
	v_addc_co_u32_e32 v17, vcc, 0, v17, vcc
	flat_load_dwordx4 v[20:23], v[16:17]
	s_waitcnt vmcnt(0) lgkmcnt(0)
	buffer_store_dword v21, off, s[0:3], 0 offset:164
	buffer_store_dword v20, off, s[0:3], 0 offset:160
	;; [unrolled: 1-line block ×4, first 2 shown]
.LBB2058_361:
	s_or_b64 exec, exec, s[6:7]
	buffer_load_dword v20, off, s[0:3], 0 offset:96
	buffer_load_dword v21, off, s[0:3], 0 offset:100
	;; [unrolled: 1-line block ×4, first 2 shown]
	buffer_load_dword v24, v9, s[0:3], 0 offen
	buffer_load_dword v25, v9, s[0:3], 0 offen offset:4
	buffer_load_dword v26, v9, s[0:3], 0 offen offset:8
	buffer_load_dword v27, v9, s[0:3], 0 offen offset:12
	buffer_load_dword v28, v8, s[0:3], 0 offen
	buffer_load_dword v29, v8, s[0:3], 0 offen offset:4
	buffer_load_dword v30, v8, s[0:3], 0 offen offset:8
	buffer_load_dword v31, v8, s[0:3], 0 offen offset:12
	;; [unrolled: 4-line block ×4, first 2 shown]
	v_mad_u32_u24 v17, v0, 12, v19
	v_lshl_add_u32 v16, v0, 6, v17
	v_mul_u32_u24_e32 v15, 5, v0
	s_mov_b64 s[10:11], 0
	v_cmp_gt_u32_e32 vcc, s50, v15
	s_mov_b64 s[48:49], 0
                                        ; implicit-def: $sgpr6_sgpr7
	s_waitcnt vmcnt(0)
	ds_write_b128 v17, v[20:23]
	ds_write_b128 v17, v[24:27] offset:4096
	ds_write_b128 v17, v[28:31] offset:8192
	;; [unrolled: 1-line block ×4, first 2 shown]
	s_waitcnt lgkmcnt(0)
	s_barrier
	ds_read_b128 v[18:21], v16 offset:16
	ds_read_b128 v[22:25], v16 offset:32
	;; [unrolled: 1-line block ×4, first 2 shown]
	s_waitcnt lgkmcnt(3)
	buffer_store_dword v21, v9, s[0:3], 0 offen offset:12
	buffer_store_dword v20, v9, s[0:3], 0 offen offset:8
	buffer_store_dword v19, v9, s[0:3], 0 offen offset:4
	buffer_store_dword v18, v9, s[0:3], 0 offen
	s_waitcnt lgkmcnt(2)
	buffer_store_dword v25, v8, s[0:3], 0 offen offset:12
	buffer_store_dword v24, v8, s[0:3], 0 offen offset:8
	buffer_store_dword v23, v8, s[0:3], 0 offen offset:4
	buffer_store_dword v22, v8, s[0:3], 0 offen
	s_waitcnt lgkmcnt(1)
	buffer_store_dword v29, v6, s[0:3], 0 offen offset:12
	buffer_store_dword v28, v6, s[0:3], 0 offen offset:8
	buffer_store_dword v27, v6, s[0:3], 0 offen offset:4
	buffer_store_dword v26, v6, s[0:3], 0 offen
	s_waitcnt lgkmcnt(0)
	buffer_store_dword v33, v1, s[0:3], 0 offen offset:12
	buffer_store_dword v32, v1, s[0:3], 0 offen offset:8
	buffer_store_dword v31, v1, s[0:3], 0 offen offset:4
	buffer_store_dword v30, v1, s[0:3], 0 offen
	s_and_saveexec_b64 s[12:13], vcc
	s_cbranch_execz .LBB2058_369
; %bb.362:
	ds_read_b128 v[18:21], v16
	v_cmp_ne_u32_e32 vcc, v14, v4
	v_add_u32_e32 v17, 1, v15
	v_cndmask_b32_e64 v14, 0, 1, vcc
	v_cmp_gt_u32_e32 vcc, s50, v17
	s_mov_b64 s[16:17], 0
	s_waitcnt lgkmcnt(0)
	buffer_store_dword v21, off, s[0:3], 0 offset:220
	buffer_store_dword v20, off, s[0:3], 0 offset:216
	;; [unrolled: 1-line block ×4, first 2 shown]
	buffer_store_byte v14, off, s[0:3], 0 offset:224
                                        ; implicit-def: $sgpr36_sgpr37
	s_and_saveexec_b64 s[14:15], vcc
	s_cbranch_execz .LBB2058_368
; %bb.363:
	v_add_u32_e32 v14, 16, v16
	ds_read2_b32 v[18:19], v14 offset0:2 offset1:3
	ds_read2_b32 v[20:21], v14 offset1:1
	v_cmp_ne_u32_e32 vcc, v4, v5
	v_add_u32_e32 v14, 2, v15
	v_cndmask_b32_e64 v4, 0, 1, vcc
	v_cmp_gt_u32_e32 vcc, s50, v14
	s_mov_b64 s[6:7], 0
	s_waitcnt lgkmcnt(1)
	buffer_store_dword v19, v7, s[0:3], 0 offen offset:12
	buffer_store_dword v18, v7, s[0:3], 0 offen offset:8
	s_waitcnt lgkmcnt(0)
	buffer_store_dword v21, v7, s[0:3], 0 offen offset:4
	buffer_store_dword v20, v7, s[0:3], 0 offen
	buffer_store_byte v4, off, s[0:3], 0 offset:244
                                        ; implicit-def: $sgpr36_sgpr37
	s_and_saveexec_b64 s[16:17], vcc
	s_cbranch_execz .LBB2058_367
; %bb.364:
	v_add_u32_e32 v4, 32, v16
	ds_read2_b64 v[18:21], v4 offset1:1
	v_cmp_ne_u32_e32 vcc, v5, v2
	v_add_u32_e32 v5, 3, v15
	v_cndmask_b32_e64 v4, 0, 1, vcc
	v_cmp_gt_u32_e32 vcc, s50, v5
	s_waitcnt lgkmcnt(0)
	buffer_store_dword v21, v10, s[0:3], 0 offen offset:12
	buffer_store_dword v20, v10, s[0:3], 0 offen offset:8
	;; [unrolled: 1-line block ×3, first 2 shown]
	buffer_store_dword v18, v10, s[0:3], 0 offen
	buffer_store_byte v4, off, s[0:3], 0 offset:264
                                        ; implicit-def: $sgpr48_sgpr49
	s_and_saveexec_b64 s[36:37], vcc
	s_xor_b64 s[36:37], exec, s[36:37]
	s_cbranch_execz .LBB2058_366
; %bb.365:
	v_add_u32_e32 v14, 48, v16
	ds_read2_b32 v[4:5], v14 offset0:2 offset1:3
	ds_read2_b32 v[16:17], v14 offset1:1
	v_cmp_ne_u32_e32 vcc, v3, v13
	v_cmp_ne_u32_e64 s[6:7], v2, v3
	v_add_u32_e32 v3, 4, v15
	v_cndmask_b32_e64 v2, 0, 1, s[6:7]
	v_cmp_gt_u32_e64 s[6:7], s50, v3
	s_and_b64 s[48:49], vcc, exec
	s_and_b64 s[6:7], s[6:7], exec
	s_waitcnt lgkmcnt(1)
	buffer_store_dword v5, v11, s[0:3], 0 offen offset:12
	buffer_store_dword v4, v11, s[0:3], 0 offen offset:8
	s_waitcnt lgkmcnt(0)
	buffer_store_dword v17, v11, s[0:3], 0 offen offset:4
	buffer_store_dword v16, v11, s[0:3], 0 offen
	buffer_store_byte v2, off, s[0:3], 0 offset:284
.LBB2058_366:
	s_or_b64 exec, exec, s[36:37]
	s_and_b64 s[36:37], s[48:49], exec
	s_and_b64 s[6:7], s[6:7], exec
.LBB2058_367:
	s_or_b64 exec, exec, s[16:17]
	s_and_b64 s[36:37], s[36:37], exec
	s_and_b64 s[16:17], s[6:7], exec
.LBB2058_368:
	s_or_b64 exec, exec, s[14:15]
	s_and_b64 s[6:7], s[36:37], exec
	s_and_b64 s[48:49], s[16:17], exec
.LBB2058_369:
	s_or_b64 exec, exec, s[12:13]
	s_and_b64 vcc, exec, s[10:11]
	v_lshlrev_b32_e32 v13, 4, v0
	s_cbranch_vccz .LBB2058_22
.LBB2058_370:
	v_lshlrev_b32_e32 v14, 2, v0
	v_mov_b32_e32 v3, s41
	v_add_co_u32_e32 v2, vcc, s40, v14
	v_addc_co_u32_e32 v3, vcc, 0, v3, vcc
	v_add_co_u32_e32 v4, vcc, 0x1000, v2
	v_addc_co_u32_e32 v5, vcc, 0, v3, vcc
	flat_load_dword v16, v[2:3]
	flat_load_dword v17, v[2:3] offset:1024
	flat_load_dword v18, v[2:3] offset:2048
	;; [unrolled: 1-line block ×3, first 2 shown]
	flat_load_dword v20, v[4:5]
	v_add_u32_e32 v15, v14, v13
	s_cmp_eq_u64 s[46:47], 0
	s_waitcnt vmcnt(0) lgkmcnt(0)
	ds_write2st64_b32 v14, v16, v17 offset1:4
	ds_write2st64_b32 v14, v18, v19 offset0:8 offset1:12
	ds_write_b32 v14, v20 offset:4096
	s_waitcnt lgkmcnt(0)
	s_barrier
	ds_read2_b32 v[2:3], v15 offset1:1
	ds_read2_b32 v[4:5], v15 offset0:2 offset1:3
	ds_read_b32 v14, v15 offset:16
	s_cbranch_scc1 .LBB2058_375
; %bb.371:
	s_andn2_b64 vcc, exec, s[44:45]
	s_cbranch_vccnz .LBB2058_592
; %bb.372:
	s_lshl_b64 s[6:7], s[46:47], 2
	s_add_u32 s6, s42, s6
	s_addc_u32 s7, s43, s7
	s_add_u32 s6, s6, -4
	s_addc_u32 s7, s7, -1
	s_cbranch_execnz .LBB2058_374
.LBB2058_373:
	s_add_u32 s6, s40, -4
	s_addc_u32 s7, s41, -1
.LBB2058_374:
	s_mov_b64 s[40:41], s[6:7]
.LBB2058_375:
	v_pk_mov_b32 v[16:17], s[40:41], s[40:41] op_sel:[0,1]
	flat_load_dword v16, v[16:17]
	v_sub_u32_e32 v15, v15, v13
	v_cmp_ne_u32_e32 vcc, 0, v0
	s_waitcnt lgkmcnt(0)
	ds_write_b32 v15, v14 offset:5120
	s_waitcnt lgkmcnt(0)
	s_barrier
	s_and_saveexec_b64 s[6:7], vcc
	s_cbranch_execz .LBB2058_377
; %bb.376:
	s_waitcnt vmcnt(0)
	ds_read_b32 v16, v15 offset:5116
.LBB2058_377:
	s_or_b64 exec, exec, s[6:7]
	v_mov_b32_e32 v17, s33
	v_add_co_u32_e32 v26, vcc, s9, v13
	v_addc_co_u32_e32 v27, vcc, 0, v17, vcc
	s_waitcnt lgkmcnt(0)
	s_barrier
	flat_load_dwordx4 v[18:21], v[26:27]
	s_movk_i32 s6, 0x1000
	v_add_co_u32_e32 v22, vcc, s6, v26
	v_addc_co_u32_e32 v23, vcc, 0, v27, vcc
	s_movk_i32 s6, 0x2000
	v_add_co_u32_e32 v28, vcc, s6, v26
	v_addc_co_u32_e32 v29, vcc, 0, v27, vcc
	s_movk_i32 s6, 0x3000
	s_mov_b64 s[48:49], -1
	s_waitcnt vmcnt(0) lgkmcnt(0)
	buffer_store_dword v18, off, s[0:3], 0 offset:96
	buffer_store_dword v19, off, s[0:3], 0 offset:100
	;; [unrolled: 1-line block ×4, first 2 shown]
	flat_load_dwordx4 v[22:25], v[22:23]
	s_waitcnt vmcnt(0) lgkmcnt(0)
	buffer_store_dword v23, off, s[0:3], 0 offset:116
	buffer_store_dword v22, off, s[0:3], 0 offset:112
	;; [unrolled: 1-line block ×4, first 2 shown]
	flat_load_dwordx4 v[22:25], v[28:29]
	v_add_co_u32_e32 v28, vcc, s6, v26
	v_addc_co_u32_e32 v29, vcc, 0, v27, vcc
	s_movk_i32 s6, 0x4000
	v_add_co_u32_e32 v34, vcc, s6, v26
	v_addc_co_u32_e32 v35, vcc, 0, v27, vcc
                                        ; kill: killed $vgpr34 killed $vgpr35
	v_cmp_ne_u32_e32 vcc, v4, v5
	v_cndmask_b32_e64 v38, 0, 1, vcc
	v_cmp_ne_u32_e32 vcc, v3, v4
	v_cndmask_b32_e64 v39, 0, 1, vcc
	;; [unrolled: 2-line block ×3, first 2 shown]
	v_cmp_ne_u32_e32 vcc, v16, v2
	v_mad_u32_u24 v2, v0, 12, v15
	v_lshl_add_u32 v42, v0, 6, v2
	v_cmp_ne_u32_e64 s[6:7], v5, v14
	v_cndmask_b32_e64 v41, 0, 1, vcc
	s_waitcnt vmcnt(0) lgkmcnt(0)
	buffer_store_dword v23, off, s[0:3], 0 offset:132
	buffer_store_dword v22, off, s[0:3], 0 offset:128
	;; [unrolled: 1-line block ×4, first 2 shown]
	flat_load_dwordx4 v[22:25], v[28:29]
	s_waitcnt vmcnt(0) lgkmcnt(0)
	buffer_store_dword v23, off, s[0:3], 0 offset:148
	buffer_store_dword v22, off, s[0:3], 0 offset:144
	;; [unrolled: 1-line block ×4, first 2 shown]
	flat_load_dwordx4 v[22:25], v[34:35]
	s_nop 0
	buffer_load_dword v29, v8, s[0:3], 0 offen offset:12
	buffer_load_dword v28, v8, s[0:3], 0 offen offset:8
	;; [unrolled: 1-line block ×3, first 2 shown]
	buffer_load_dword v26, v8, s[0:3], 0 offen
	buffer_load_dword v33, v9, s[0:3], 0 offen offset:12
	buffer_load_dword v32, v9, s[0:3], 0 offen offset:8
	;; [unrolled: 1-line block ×3, first 2 shown]
	buffer_load_dword v30, v9, s[0:3], 0 offen
	s_waitcnt vmcnt(0) lgkmcnt(0)
	buffer_store_dword v23, off, s[0:3], 0 offset:164
	buffer_store_dword v22, off, s[0:3], 0 offset:160
	;; [unrolled: 1-line block ×4, first 2 shown]
	buffer_load_dword v22, v1, s[0:3], 0 offen
	s_nop 0
	buffer_load_dword v37, v6, s[0:3], 0 offen offset:12
	buffer_load_dword v36, v6, s[0:3], 0 offen offset:8
	;; [unrolled: 1-line block ×3, first 2 shown]
	buffer_load_dword v34, v6, s[0:3], 0 offen
	buffer_load_dword v25, v1, s[0:3], 0 offen offset:12
	buffer_load_dword v24, v1, s[0:3], 0 offen offset:8
	;; [unrolled: 1-line block ×3, first 2 shown]
	ds_write_b128 v2, v[18:21]
	ds_write_b128 v2, v[30:33] offset:4096
	ds_write_b128 v2, v[26:29] offset:8192
	s_waitcnt vmcnt(3)
	ds_write_b128 v2, v[34:37] offset:12288
	s_waitcnt vmcnt(0)
	ds_write_b128 v2, v[22:25] offset:16384
	s_waitcnt lgkmcnt(0)
	s_barrier
	ds_read_b128 v[2:5], v42
	ds_read_b128 v[14:17], v42 offset:16
	ds_read_b128 v[18:21], v42 offset:32
	;; [unrolled: 1-line block ×4, first 2 shown]
	buffer_store_byte v41, off, s[0:3], 0 offset:224
	buffer_store_byte v40, off, s[0:3], 0 offset:244
	buffer_store_byte v39, off, s[0:3], 0 offset:264
	buffer_store_byte v38, off, s[0:3], 0 offset:284
	s_waitcnt lgkmcnt(3)
	buffer_store_dword v17, v9, s[0:3], 0 offen offset:12
	buffer_store_dword v16, v9, s[0:3], 0 offen offset:8
	buffer_store_dword v15, v9, s[0:3], 0 offen offset:4
	buffer_store_dword v14, v9, s[0:3], 0 offen
	s_waitcnt lgkmcnt(2)
	buffer_store_dword v21, v8, s[0:3], 0 offen offset:12
	buffer_store_dword v20, v8, s[0:3], 0 offen offset:8
	buffer_store_dword v19, v8, s[0:3], 0 offen offset:4
	buffer_store_dword v18, v8, s[0:3], 0 offen
	;; [unrolled: 5-line block ×4, first 2 shown]
	buffer_store_dword v5, off, s[0:3], 0 offset:220
	buffer_store_dword v4, off, s[0:3], 0 offset:216
	;; [unrolled: 1-line block ×4, first 2 shown]
	buffer_store_dword v17, v7, s[0:3], 0 offen offset:12
	buffer_store_dword v16, v7, s[0:3], 0 offen offset:8
	buffer_store_dword v15, v7, s[0:3], 0 offen offset:4
	buffer_store_dword v14, v7, s[0:3], 0 offen
	buffer_store_dword v21, v10, s[0:3], 0 offen offset:12
	buffer_store_dword v20, v10, s[0:3], 0 offen offset:8
	buffer_store_dword v19, v10, s[0:3], 0 offen offset:4
	buffer_store_dword v18, v10, s[0:3], 0 offen
	;; [unrolled: 4-line block ×3, first 2 shown]
	s_and_saveexec_b64 s[10:11], s[48:49]
	s_cbranch_execnz .LBB2058_23
	s_branch .LBB2058_24
.LBB2058_378:
	s_cbranch_execz .LBB2058_556
; %bb.379:
	s_cmp_lg_u64 s[34:35], 0
	s_cselect_b32 s13, s39, 0
	s_cselect_b32 s12, s38, 0
	s_cmp_lg_u64 s[12:13], 0
	s_cselect_b64 s[8:9], -1, 0
	v_cmp_eq_u32_e32 vcc, 0, v0
	v_cmp_ne_u32_e64 s[6:7], 0, v0
	s_and_b64 s[8:9], vcc, s[8:9]
	s_and_saveexec_b64 s[10:11], s[8:9]
	s_cbranch_execz .LBB2058_389
; %bb.380:
	buffer_load_ubyte v1, off, s[0:3], 0 offset:224
                                        ; implicit-def: $vgpr2_vgpr3
                                        ; implicit-def: $vgpr4_vgpr5
	s_waitcnt vmcnt(0)
	v_cmp_ne_u16_e64 s[8:9], 0, v1
	s_and_saveexec_b64 s[14:15], s[8:9]
	s_xor_b64 s[8:9], exec, s[14:15]
	s_cbranch_execz .LBB2058_382
; %bb.381:
	buffer_load_dword v4, off, s[0:3], 0 offset:208
	buffer_load_dword v5, off, s[0:3], 0 offset:212
	;; [unrolled: 1-line block ×4, first 2 shown]
.LBB2058_382:
	s_andn2_saveexec_b64 s[8:9], s[8:9]
	s_cbranch_execz .LBB2058_388
; %bb.383:
	s_mov_b32 s14, 0
	s_waitcnt vmcnt(1)
	v_mov_b32_e32 v2, 0x60
	s_waitcnt vmcnt(0)
	v_mov_b32_e32 v3, 0
.LBB2058_384:                           ; =>This Inner Loop Header: Depth=1
	v_add_u32_e32 v4, s14, v2
	s_add_i32 s14, s14, 8
	s_cmp_lg_u32 s14, 16
	buffer_store_dword v3, v4, s[0:3], 0 offen offset:4
	buffer_store_dword v3, v4, s[0:3], 0 offen
	s_cbranch_scc1 .LBB2058_384
; %bb.385:
	s_mov_b32 s16, 0
	v_mov_b32_e32 v2, 0
	v_mov_b32_e32 v3, 0xd0
	;; [unrolled: 1-line block ×3, first 2 shown]
	s_mov_b64 s[14:15], s[12:13]
.LBB2058_386:                           ; =>This Inner Loop Header: Depth=1
	v_add_u32_e32 v5, s16, v3
	global_load_dwordx2 v[8:9], v2, s[14:15]
	buffer_load_dword v6, v5, s[0:3], 0 offen
	buffer_load_dword v14, v5, s[0:3], 0 offen offset:4
	s_add_u32 s14, s14, 8
                                        ; kill: killed $vgpr5
	v_add_u32_e32 v5, s16, v4
	s_addc_u32 s15, s15, 0
	s_add_i32 s16, s16, 8
	s_cmp_lg_u32 s16, 16
	s_waitcnt vmcnt(1)
	v_add_u32_e32 v6, v6, v8
	s_waitcnt vmcnt(0)
	v_add_u32_e32 v8, v14, v9
	buffer_store_dword v8, v5, s[0:3], 0 offen offset:4
	buffer_store_dword v6, v5, s[0:3], 0 offen
	s_cbranch_scc1 .LBB2058_386
; %bb.387:
	buffer_load_dword v4, off, s[0:3], 0 offset:96
	buffer_load_dword v5, off, s[0:3], 0 offset:100
	;; [unrolled: 1-line block ×4, first 2 shown]
.LBB2058_388:
	s_or_b64 exec, exec, s[8:9]
	v_mov_b32_e32 v6, 0
	global_load_ubyte v6, v6, s[12:13] offset:16
	s_waitcnt vmcnt(3)
	buffer_store_dword v5, off, s[0:3], 0 offset:212
	buffer_store_dword v4, off, s[0:3], 0 offset:208
	s_waitcnt vmcnt(3)
	buffer_store_dword v3, off, s[0:3], 0 offset:220
	s_waitcnt vmcnt(3)
	v_or_b32_e32 v1, v1, v6
	v_and_b32_e32 v1, 1, v1
	buffer_store_dword v2, off, s[0:3], 0 offset:216
	buffer_store_byte v1, off, s[0:3], 0 offset:224
.LBB2058_389:
	s_or_b64 exec, exec, s[10:11]
	v_mov_b32_e32 v1, 0
	s_mov_b32 s8, 0
	v_mov_b32_e32 v2, 0x4c
	buffer_store_dword v1, off, s[0:3], 0 offset:88
	buffer_store_dword v1, off, s[0:3], 0 offset:84
	;; [unrolled: 1-line block ×5, first 2 shown]
.LBB2058_390:                           ; =>This Inner Loop Header: Depth=1
	v_add_u32_e32 v3, s8, v2
	s_add_i32 s8, s8, 8
	s_cmp_lg_u32 s8, 16
	buffer_store_dword v1, v3, s[0:3], 0 offen offset:4
	buffer_store_dword v1, v3, s[0:3], 0 offen
	s_cbranch_scc1 .LBB2058_390
; %bb.391:
	s_mov_b32 s8, 0
	v_mov_b32_e32 v1, 0
	v_mov_b32_e32 v2, 0x60
	buffer_store_byte v1, off, s[0:3], 0 offset:92
	buffer_store_dword v1, off, s[0:3], 0 offset:112
.LBB2058_392:                           ; =>This Inner Loop Header: Depth=1
	v_add_u32_e32 v3, s8, v2
	s_add_i32 s8, s8, 8
	s_cmp_lg_u32 s8, 16
	buffer_store_dword v1, v3, s[0:3], 0 offen offset:4
	buffer_store_dword v1, v3, s[0:3], 0 offen
	s_cbranch_scc1 .LBB2058_392
; %bb.393:
	buffer_load_dword v2, off, s[0:3], 0 offset:220
	buffer_load_dword v3, off, s[0:3], 0 offset:216
	;; [unrolled: 1-line block ×4, first 2 shown]
	buffer_load_ubyte v6, off, s[0:3], 0 offset:244
	buffer_load_ubyte v1, off, s[0:3], 0 offset:224
	s_waitcnt vmcnt(5)
	buffer_store_dword v2, off, s[0:3], 0 offset:108
	s_waitcnt vmcnt(5)
	buffer_store_dword v3, off, s[0:3], 0 offset:104
	s_waitcnt vmcnt(5)
	buffer_store_dword v4, off, s[0:3], 0 offset:100
	s_waitcnt vmcnt(5)
	buffer_store_dword v5, off, s[0:3], 0 offset:96
	s_waitcnt vmcnt(5)
	v_cmp_ne_u16_e64 s[8:9], 0, v6
                                        ; implicit-def: $vgpr4_vgpr5
                                        ; implicit-def: $vgpr2_vgpr3
	s_and_saveexec_b64 s[10:11], s[8:9]
	s_xor_b64 s[8:9], exec, s[10:11]
	s_cbranch_execz .LBB2058_395
; %bb.394:
	buffer_load_dword v2, off, s[0:3], 0 offset:228
	buffer_load_dword v3, off, s[0:3], 0 offset:232
	;; [unrolled: 1-line block ×4, first 2 shown]
.LBB2058_395:
	s_andn2_saveexec_b64 s[8:9], s[8:9]
	s_cbranch_execz .LBB2058_401
; %bb.396:
	s_mov_b32 s10, 0
	s_waitcnt vmcnt(3)
	v_mov_b32_e32 v2, 16
	s_waitcnt vmcnt(2)
	v_mov_b32_e32 v3, 0
	s_waitcnt vmcnt(0)
.LBB2058_397:                           ; =>This Inner Loop Header: Depth=1
	v_add_u32_e32 v4, s10, v2
	s_add_i32 s10, s10, 8
	s_cmp_lg_u32 s10, 16
	buffer_store_dword v3, v4, s[0:3], 0 offen offset:4
	buffer_store_dword v3, v4, s[0:3], 0 offen
	s_cbranch_scc1 .LBB2058_397
; %bb.398:
	s_mov_b32 s10, 0
	v_mov_b32_e32 v2, 0x60
	v_mov_b32_e32 v3, 0xd0
	;; [unrolled: 1-line block ×3, first 2 shown]
.LBB2058_399:                           ; =>This Inner Loop Header: Depth=1
	v_add_u32_e32 v5, s10, v2
	v_add_u32_e32 v8, s10, v3
	buffer_load_dword v9, v5, s[0:3], 0 offen offset:4
	buffer_load_dword v14, v8, s[0:3], 0 offen offset:20
	buffer_load_dword v15, v5, s[0:3], 0 offen
	buffer_load_dword v16, v8, s[0:3], 0 offen offset:24
                                        ; kill: killed $vgpr5
	v_add_u32_e32 v5, s10, v4
	s_add_i32 s10, s10, 8
	s_cmp_lg_u32 s10, 16
                                        ; kill: killed $vgpr8
	s_waitcnt vmcnt(1)
	v_add_u32_e32 v8, v14, v15
	s_waitcnt vmcnt(0)
	v_add_u32_e32 v9, v16, v9
	buffer_store_dword v9, v5, s[0:3], 0 offen offset:4
	buffer_store_dword v8, v5, s[0:3], 0 offen
	s_cbranch_scc1 .LBB2058_399
; %bb.400:
	buffer_load_dword v2, off, s[0:3], 0 offset:16
	buffer_load_dword v3, off, s[0:3], 0 offset:20
	;; [unrolled: 1-line block ×4, first 2 shown]
.LBB2058_401:
	s_or_b64 exec, exec, s[8:9]
	buffer_load_ubyte v8, off, s[0:3], 0 offset:264
	s_waitcnt vmcnt(3)
	buffer_store_dword v3, off, s[0:3], 0 offset:100
	buffer_store_dword v2, off, s[0:3], 0 offset:96
	s_waitcnt vmcnt(3)
	buffer_store_dword v5, off, s[0:3], 0 offset:108
	buffer_store_dword v4, off, s[0:3], 0 offset:104
                                        ; implicit-def: $vgpr4_vgpr5
                                        ; implicit-def: $vgpr2_vgpr3
	s_waitcnt vmcnt(4)
	v_cmp_ne_u16_e64 s[8:9], 0, v8
	s_and_saveexec_b64 s[10:11], s[8:9]
	s_xor_b64 s[8:9], exec, s[10:11]
	s_cbranch_execz .LBB2058_403
; %bb.402:
	buffer_load_dword v2, off, s[0:3], 0 offset:248
	buffer_load_dword v3, off, s[0:3], 0 offset:252
	;; [unrolled: 1-line block ×4, first 2 shown]
.LBB2058_403:
	s_andn2_saveexec_b64 s[8:9], s[8:9]
	s_cbranch_execz .LBB2058_409
; %bb.404:
	s_mov_b32 s10, 0
	s_waitcnt vmcnt(3)
	v_mov_b32_e32 v2, 16
	s_waitcnt vmcnt(2)
	v_mov_b32_e32 v3, 0
	s_waitcnt vmcnt(0)
.LBB2058_405:                           ; =>This Inner Loop Header: Depth=1
	v_add_u32_e32 v4, s10, v2
	s_add_i32 s10, s10, 8
	s_cmp_lg_u32 s10, 16
	buffer_store_dword v3, v4, s[0:3], 0 offen offset:4
	buffer_store_dword v3, v4, s[0:3], 0 offen
	s_cbranch_scc1 .LBB2058_405
; %bb.406:
	s_mov_b32 s10, 0
	v_mov_b32_e32 v2, 0x60
	v_mov_b32_e32 v3, 0xd0
	;; [unrolled: 1-line block ×3, first 2 shown]
.LBB2058_407:                           ; =>This Inner Loop Header: Depth=1
	v_add_u32_e32 v5, s10, v2
	v_add_u32_e32 v9, s10, v3
	buffer_load_dword v14, v5, s[0:3], 0 offen offset:4
	buffer_load_dword v15, v9, s[0:3], 0 offen offset:40
	buffer_load_dword v16, v5, s[0:3], 0 offen
	buffer_load_dword v17, v9, s[0:3], 0 offen offset:44
                                        ; kill: killed $vgpr5
	v_add_u32_e32 v5, s10, v4
	s_add_i32 s10, s10, 8
	s_cmp_lg_u32 s10, 16
                                        ; kill: killed $vgpr9
	s_waitcnt vmcnt(1)
	v_add_u32_e32 v9, v15, v16
	s_waitcnt vmcnt(0)
	v_add_u32_e32 v14, v17, v14
	buffer_store_dword v14, v5, s[0:3], 0 offen offset:4
	buffer_store_dword v9, v5, s[0:3], 0 offen
	s_cbranch_scc1 .LBB2058_407
; %bb.408:
	buffer_load_dword v2, off, s[0:3], 0 offset:16
	buffer_load_dword v3, off, s[0:3], 0 offset:20
	;; [unrolled: 1-line block ×4, first 2 shown]
.LBB2058_409:
	s_or_b64 exec, exec, s[8:9]
	buffer_load_ubyte v9, off, s[0:3], 0 offset:284
	s_waitcnt vmcnt(3)
	buffer_store_dword v3, off, s[0:3], 0 offset:100
	buffer_store_dword v2, off, s[0:3], 0 offset:96
	s_waitcnt vmcnt(3)
	buffer_store_dword v5, off, s[0:3], 0 offset:108
	buffer_store_dword v4, off, s[0:3], 0 offset:104
                                        ; implicit-def: $vgpr4_vgpr5
                                        ; implicit-def: $vgpr2_vgpr3
	s_waitcnt vmcnt(4)
	v_cmp_ne_u16_e64 s[8:9], 0, v9
	s_and_saveexec_b64 s[10:11], s[8:9]
	s_xor_b64 s[8:9], exec, s[10:11]
	s_cbranch_execz .LBB2058_411
; %bb.410:
	buffer_load_dword v2, off, s[0:3], 0 offset:268
	buffer_load_dword v3, off, s[0:3], 0 offset:272
	;; [unrolled: 1-line block ×4, first 2 shown]
.LBB2058_411:
	s_andn2_saveexec_b64 s[8:9], s[8:9]
	s_cbranch_execz .LBB2058_417
; %bb.412:
	s_mov_b32 s10, 0
	s_waitcnt vmcnt(3)
	v_mov_b32_e32 v2, 16
	s_waitcnt vmcnt(2)
	v_mov_b32_e32 v3, 0
	s_waitcnt vmcnt(0)
.LBB2058_413:                           ; =>This Inner Loop Header: Depth=1
	v_add_u32_e32 v4, s10, v2
	s_add_i32 s10, s10, 8
	s_cmp_lg_u32 s10, 16
	buffer_store_dword v3, v4, s[0:3], 0 offen offset:4
	buffer_store_dword v3, v4, s[0:3], 0 offen
	s_cbranch_scc1 .LBB2058_413
; %bb.414:
	s_mov_b32 s10, 0
	v_mov_b32_e32 v2, 0x60
	v_mov_b32_e32 v3, 0xd0
	;; [unrolled: 1-line block ×3, first 2 shown]
.LBB2058_415:                           ; =>This Inner Loop Header: Depth=1
	v_add_u32_e32 v5, s10, v2
	v_add_u32_e32 v14, s10, v3
	buffer_load_dword v15, v5, s[0:3], 0 offen offset:4
	buffer_load_dword v16, v14, s[0:3], 0 offen offset:60
	buffer_load_dword v17, v5, s[0:3], 0 offen
	buffer_load_dword v18, v14, s[0:3], 0 offen offset:64
                                        ; kill: killed $vgpr5
	v_add_u32_e32 v5, s10, v4
	s_add_i32 s10, s10, 8
	s_cmp_lg_u32 s10, 16
                                        ; kill: killed $vgpr14
	s_waitcnt vmcnt(1)
	v_add_u32_e32 v14, v16, v17
	s_waitcnt vmcnt(0)
	v_add_u32_e32 v15, v18, v15
	buffer_store_dword v15, v5, s[0:3], 0 offen offset:4
	buffer_store_dword v14, v5, s[0:3], 0 offen
	s_cbranch_scc1 .LBB2058_415
; %bb.416:
	buffer_load_dword v2, off, s[0:3], 0 offset:16
	buffer_load_dword v3, off, s[0:3], 0 offset:20
	;; [unrolled: 1-line block ×4, first 2 shown]
.LBB2058_417:
	s_or_b64 exec, exec, s[8:9]
	buffer_load_ubyte v14, off, s[0:3], 0 offset:304
	s_waitcnt vmcnt(3)
	buffer_store_dword v3, off, s[0:3], 0 offset:100
	buffer_store_dword v2, off, s[0:3], 0 offset:96
	s_waitcnt vmcnt(3)
	buffer_store_dword v5, off, s[0:3], 0 offset:108
	buffer_store_dword v4, off, s[0:3], 0 offset:104
                                        ; implicit-def: $vgpr4_vgpr5
                                        ; implicit-def: $vgpr2_vgpr3
	s_waitcnt vmcnt(4)
	v_cmp_ne_u16_e64 s[8:9], 0, v14
	s_and_saveexec_b64 s[10:11], s[8:9]
	s_xor_b64 s[8:9], exec, s[10:11]
	s_cbranch_execz .LBB2058_419
; %bb.418:
	buffer_load_dword v2, off, s[0:3], 0 offset:288
	buffer_load_dword v3, off, s[0:3], 0 offset:292
	;; [unrolled: 1-line block ×4, first 2 shown]
.LBB2058_419:
	s_andn2_saveexec_b64 s[8:9], s[8:9]
	s_cbranch_execz .LBB2058_425
; %bb.420:
	s_mov_b32 s10, 0
	s_waitcnt vmcnt(3)
	v_mov_b32_e32 v2, 16
	s_waitcnt vmcnt(2)
	v_mov_b32_e32 v3, 0
	s_waitcnt vmcnt(0)
.LBB2058_421:                           ; =>This Inner Loop Header: Depth=1
	v_add_u32_e32 v4, s10, v2
	s_add_i32 s10, s10, 8
	s_cmp_lg_u32 s10, 16
	buffer_store_dword v3, v4, s[0:3], 0 offen offset:4
	buffer_store_dword v3, v4, s[0:3], 0 offen
	s_cbranch_scc1 .LBB2058_421
; %bb.422:
	s_mov_b32 s10, 0
	v_mov_b32_e32 v2, 0x60
	v_mov_b32_e32 v3, 0xd0
	;; [unrolled: 1-line block ×3, first 2 shown]
.LBB2058_423:                           ; =>This Inner Loop Header: Depth=1
	v_add_u32_e32 v5, s10, v2
	v_add_u32_e32 v15, s10, v3
	buffer_load_dword v16, v5, s[0:3], 0 offen offset:4
	buffer_load_dword v17, v15, s[0:3], 0 offen offset:80
	buffer_load_dword v18, v5, s[0:3], 0 offen
	buffer_load_dword v19, v15, s[0:3], 0 offen offset:84
                                        ; kill: killed $vgpr5
	v_add_u32_e32 v5, s10, v4
	s_add_i32 s10, s10, 8
	s_cmp_lg_u32 s10, 16
                                        ; kill: killed $vgpr15
	s_waitcnt vmcnt(1)
	v_add_u32_e32 v15, v17, v18
	s_waitcnt vmcnt(0)
	v_add_u32_e32 v16, v19, v16
	buffer_store_dword v16, v5, s[0:3], 0 offen offset:4
	buffer_store_dword v15, v5, s[0:3], 0 offen
	s_cbranch_scc1 .LBB2058_423
; %bb.424:
	buffer_load_dword v2, off, s[0:3], 0 offset:16
	buffer_load_dword v3, off, s[0:3], 0 offset:20
	;; [unrolled: 1-line block ×4, first 2 shown]
.LBB2058_425:
	s_or_b64 exec, exec, s[8:9]
	buffer_load_ushort v15, off, s[0:3], 0 offset:113
	buffer_load_sbyte v16, off, s[0:3], 0 offset:115
	v_or_b32_e32 v9, v14, v9
	v_or_b32_e32 v9, v9, v8
	;; [unrolled: 1-line block ×3, first 2 shown]
	v_mbcnt_lo_u32_b32 v14, -1, 0
	v_or_b32_e32 v1, v9, v1
	v_mbcnt_hi_u32_b32 v8, -1, v14
	v_and_b32_e32 v1, 1, v1
	v_and_b32_e32 v6, 15, v8
	s_waitcnt vmcnt(5)
	v_mov_b32_dpp v17, v2 row_shr:1 row_mask:0xf bank_mask:0xf
	v_cmp_ne_u32_e64 s[8:9], 0, v6
	s_waitcnt vmcnt(4)
	buffer_store_dword v3, off, s[0:3], 0 offset:60
	buffer_store_dword v2, off, s[0:3], 0 offset:56
	s_waitcnt vmcnt(4)
	buffer_store_dword v5, off, s[0:3], 0 offset:68
	buffer_store_dword v4, off, s[0:3], 0 offset:64
	v_mov_b32_dpp v18, v3 row_shr:1 row_mask:0xf bank_mask:0xf
	v_mov_b32_dpp v19, v4 row_shr:1 row_mask:0xf bank_mask:0xf
	;; [unrolled: 1-line block ×3, first 2 shown]
	buffer_store_dword v17, off, s[0:3], 0 offset:96
	buffer_store_dword v18, off, s[0:3], 0 offset:100
	;; [unrolled: 1-line block ×4, first 2 shown]
	s_waitcnt vmcnt(9)
	v_lshrrev_b32_e32 v9, 8, v15
	v_lshlrev_b16_e32 v14, 8, v15
	s_waitcnt vmcnt(8)
	v_lshlrev_b16_e32 v15, 8, v16
	v_or_b32_e32 v1, v1, v14
	v_or_b32_sdwa v9, v9, v15 dst_sel:WORD_1 dst_unused:UNUSED_PAD src0_sel:BYTE_0 src1_sel:DWORD
	v_or_b32_sdwa v9, v1, v9 dst_sel:DWORD dst_unused:UNUSED_PAD src0_sel:WORD_0 src1_sel:DWORD
	buffer_store_dword v9, off, s[0:3], 0 offset:72
	s_nop 0
	v_mov_b32_dpp v14, v9 row_shr:1 row_mask:0xf bank_mask:0xf
	buffer_store_dword v14, off, s[0:3], 0 offset:112
	s_and_saveexec_b64 s[10:11], s[8:9]
	s_cbranch_execz .LBB2058_433
; %bb.426:
	v_mov_b32_e32 v15, 0
	v_cmp_eq_u16_sdwa s[12:13], v1, v15 src0_sel:BYTE_0 src1_sel:DWORD
	s_and_saveexec_b64 s[8:9], s[12:13]
	s_cbranch_execz .LBB2058_432
; %bb.427:
	s_mov_b32 s12, 0
	v_mov_b32_e32 v1, 16
.LBB2058_428:                           ; =>This Inner Loop Header: Depth=1
	v_add_u32_e32 v2, s12, v1
	s_add_i32 s12, s12, 8
	s_cmp_lg_u32 s12, 16
	buffer_store_dword v15, v2, s[0:3], 0 offen offset:4
	buffer_store_dword v15, v2, s[0:3], 0 offen
	s_cbranch_scc1 .LBB2058_428
; %bb.429:
	s_mov_b32 s12, 0
	v_mov_b32_e32 v1, 0x60
	v_mov_b32_e32 v2, 56
	;; [unrolled: 1-line block ×3, first 2 shown]
.LBB2058_430:                           ; =>This Inner Loop Header: Depth=1
	v_add_u32_e32 v4, s12, v1
	v_add_u32_e32 v5, s12, v2
	buffer_load_dword v15, v4, s[0:3], 0 offen offset:4
	buffer_load_dword v16, v5, s[0:3], 0 offen
	buffer_load_dword v17, v4, s[0:3], 0 offen
	buffer_load_dword v18, v5, s[0:3], 0 offen offset:4
                                        ; kill: killed $vgpr4
	v_add_u32_e32 v4, s12, v3
	s_add_i32 s12, s12, 8
	s_cmp_lg_u32 s12, 16
                                        ; kill: killed $vgpr5
	s_waitcnt vmcnt(1)
	v_add_u32_e32 v5, v16, v17
	s_waitcnt vmcnt(0)
	v_add_u32_e32 v15, v18, v15
	buffer_store_dword v15, v4, s[0:3], 0 offen offset:4
	buffer_store_dword v5, v4, s[0:3], 0 offen
	s_cbranch_scc1 .LBB2058_430
; %bb.431:
	buffer_load_dword v2, off, s[0:3], 0 offset:16
	buffer_load_dword v3, off, s[0:3], 0 offset:20
	buffer_load_dword v4, off, s[0:3], 0 offset:24
	buffer_load_dword v5, off, s[0:3], 0 offset:28
.LBB2058_432:
	s_or_b64 exec, exec, s[8:9]
	v_or_b32_e32 v1, v14, v9
	v_and_b32_e32 v1, 1, v1
	buffer_store_byte v1, off, s[0:3], 0 offset:72
	buffer_load_dword v9, off, s[0:3], 0 offset:72
	s_waitcnt vmcnt(4)
	buffer_store_dword v3, off, s[0:3], 0 offset:60
	buffer_store_dword v2, off, s[0:3], 0 offset:56
	s_waitcnt vmcnt(4)
	buffer_store_dword v5, off, s[0:3], 0 offset:68
	buffer_store_dword v4, off, s[0:3], 0 offset:64
	s_waitcnt vmcnt(4)
	v_mov_b32_e32 v1, v9
.LBB2058_433:
	s_or_b64 exec, exec, s[10:11]
	v_mov_b32_dpp v15, v2 row_shr:2 row_mask:0xf bank_mask:0xf
	v_mov_b32_dpp v14, v9 row_shr:2 row_mask:0xf bank_mask:0xf
	v_cmp_lt_u32_e64 s[8:9], 1, v6
	v_mov_b32_dpp v16, v3 row_shr:2 row_mask:0xf bank_mask:0xf
	v_mov_b32_dpp v17, v4 row_shr:2 row_mask:0xf bank_mask:0xf
	;; [unrolled: 1-line block ×3, first 2 shown]
	buffer_store_dword v15, off, s[0:3], 0 offset:96
	buffer_store_dword v16, off, s[0:3], 0 offset:100
	;; [unrolled: 1-line block ×5, first 2 shown]
	s_and_saveexec_b64 s[12:13], s[8:9]
	s_cbranch_execz .LBB2058_441
; %bb.434:
	v_mov_b32_e32 v9, 0
	s_mov_b32 s10, 0
	v_cmp_eq_u16_sdwa s[14:15], v1, v9 src0_sel:BYTE_0 src1_sel:DWORD
	s_and_saveexec_b64 s[8:9], s[14:15]
	s_cbranch_execz .LBB2058_440
; %bb.435:
	v_mov_b32_e32 v2, 16
.LBB2058_436:                           ; =>This Inner Loop Header: Depth=1
	v_add_u32_e32 v3, s10, v2
	s_add_i32 s10, s10, 8
	s_cmp_lg_u32 s10, 16
	buffer_store_dword v9, v3, s[0:3], 0 offen offset:4
	buffer_store_dword v9, v3, s[0:3], 0 offen
	s_cbranch_scc1 .LBB2058_436
; %bb.437:
	s_mov_b32 s10, 0
	v_mov_b32_e32 v2, 0x60
	v_mov_b32_e32 v3, 56
	;; [unrolled: 1-line block ×3, first 2 shown]
.LBB2058_438:                           ; =>This Inner Loop Header: Depth=1
	v_add_u32_e32 v5, s10, v2
	v_add_u32_e32 v9, s10, v3
	buffer_load_dword v15, v5, s[0:3], 0 offen offset:4
	buffer_load_dword v16, v9, s[0:3], 0 offen
	buffer_load_dword v17, v5, s[0:3], 0 offen
	buffer_load_dword v18, v9, s[0:3], 0 offen offset:4
                                        ; kill: killed $vgpr5
	v_add_u32_e32 v5, s10, v4
	s_add_i32 s10, s10, 8
	s_cmp_lg_u32 s10, 16
                                        ; kill: killed $vgpr9
	s_waitcnt vmcnt(1)
	v_add_u32_e32 v9, v16, v17
	s_waitcnt vmcnt(0)
	v_add_u32_e32 v15, v18, v15
	buffer_store_dword v15, v5, s[0:3], 0 offen offset:4
	buffer_store_dword v9, v5, s[0:3], 0 offen
	s_cbranch_scc1 .LBB2058_438
; %bb.439:
	buffer_load_dword v2, off, s[0:3], 0 offset:16
	buffer_load_dword v3, off, s[0:3], 0 offset:20
	;; [unrolled: 1-line block ×4, first 2 shown]
.LBB2058_440:
	s_or_b64 exec, exec, s[8:9]
	v_and_b32_e32 v1, 1, v1
	v_cmp_eq_u32_e64 s[8:9], 1, v1
	v_and_b32_e32 v1, 1, v14
	v_cmp_eq_u32_e64 s[10:11], 1, v1
	s_or_b64 s[8:9], s[8:9], s[10:11]
	v_cndmask_b32_e64 v1, 0, 1, s[8:9]
	buffer_store_byte v1, off, s[0:3], 0 offset:72
	buffer_load_dword v9, off, s[0:3], 0 offset:72
	s_waitcnt vmcnt(4)
	buffer_store_dword v3, off, s[0:3], 0 offset:60
	buffer_store_dword v2, off, s[0:3], 0 offset:56
	s_waitcnt vmcnt(4)
	buffer_store_dword v5, off, s[0:3], 0 offset:68
	buffer_store_dword v4, off, s[0:3], 0 offset:64
	s_waitcnt vmcnt(4)
	v_mov_b32_e32 v1, v9
.LBB2058_441:
	s_or_b64 exec, exec, s[12:13]
	v_mov_b32_dpp v15, v2 row_shr:4 row_mask:0xf bank_mask:0xf
	v_mov_b32_dpp v14, v9 row_shr:4 row_mask:0xf bank_mask:0xf
	v_cmp_lt_u32_e64 s[8:9], 3, v6
	v_mov_b32_dpp v16, v3 row_shr:4 row_mask:0xf bank_mask:0xf
	v_mov_b32_dpp v17, v4 row_shr:4 row_mask:0xf bank_mask:0xf
	;; [unrolled: 1-line block ×3, first 2 shown]
	buffer_store_dword v15, off, s[0:3], 0 offset:96
	buffer_store_dword v16, off, s[0:3], 0 offset:100
	;; [unrolled: 1-line block ×5, first 2 shown]
	s_and_saveexec_b64 s[12:13], s[8:9]
	s_cbranch_execz .LBB2058_449
; %bb.442:
	v_mov_b32_e32 v9, 0
	s_mov_b32 s10, 0
	v_cmp_eq_u16_sdwa s[14:15], v1, v9 src0_sel:BYTE_0 src1_sel:DWORD
	s_and_saveexec_b64 s[8:9], s[14:15]
	s_cbranch_execz .LBB2058_448
; %bb.443:
	v_mov_b32_e32 v2, 16
.LBB2058_444:                           ; =>This Inner Loop Header: Depth=1
	v_add_u32_e32 v3, s10, v2
	s_add_i32 s10, s10, 8
	s_cmp_lg_u32 s10, 16
	buffer_store_dword v9, v3, s[0:3], 0 offen offset:4
	buffer_store_dword v9, v3, s[0:3], 0 offen
	s_cbranch_scc1 .LBB2058_444
; %bb.445:
	s_mov_b32 s10, 0
	v_mov_b32_e32 v2, 0x60
	v_mov_b32_e32 v3, 56
	;; [unrolled: 1-line block ×3, first 2 shown]
.LBB2058_446:                           ; =>This Inner Loop Header: Depth=1
	v_add_u32_e32 v5, s10, v2
	v_add_u32_e32 v9, s10, v3
	buffer_load_dword v15, v5, s[0:3], 0 offen offset:4
	buffer_load_dword v16, v9, s[0:3], 0 offen
	buffer_load_dword v17, v5, s[0:3], 0 offen
	buffer_load_dword v18, v9, s[0:3], 0 offen offset:4
                                        ; kill: killed $vgpr5
	v_add_u32_e32 v5, s10, v4
	s_add_i32 s10, s10, 8
	s_cmp_lg_u32 s10, 16
                                        ; kill: killed $vgpr9
	s_waitcnt vmcnt(1)
	v_add_u32_e32 v9, v16, v17
	s_waitcnt vmcnt(0)
	v_add_u32_e32 v15, v18, v15
	buffer_store_dword v15, v5, s[0:3], 0 offen offset:4
	buffer_store_dword v9, v5, s[0:3], 0 offen
	s_cbranch_scc1 .LBB2058_446
; %bb.447:
	buffer_load_dword v2, off, s[0:3], 0 offset:16
	buffer_load_dword v3, off, s[0:3], 0 offset:20
	buffer_load_dword v4, off, s[0:3], 0 offset:24
	buffer_load_dword v5, off, s[0:3], 0 offset:28
.LBB2058_448:
	s_or_b64 exec, exec, s[8:9]
	v_and_b32_e32 v1, 1, v1
	v_cmp_eq_u32_e64 s[8:9], 1, v1
	v_and_b32_e32 v1, 1, v14
	v_cmp_eq_u32_e64 s[10:11], 1, v1
	s_or_b64 s[8:9], s[8:9], s[10:11]
	v_cndmask_b32_e64 v1, 0, 1, s[8:9]
	buffer_store_byte v1, off, s[0:3], 0 offset:72
	buffer_load_dword v9, off, s[0:3], 0 offset:72
	s_waitcnt vmcnt(4)
	buffer_store_dword v3, off, s[0:3], 0 offset:60
	buffer_store_dword v2, off, s[0:3], 0 offset:56
	s_waitcnt vmcnt(4)
	buffer_store_dword v5, off, s[0:3], 0 offset:68
	buffer_store_dword v4, off, s[0:3], 0 offset:64
	s_waitcnt vmcnt(4)
	v_mov_b32_e32 v1, v9
.LBB2058_449:
	s_or_b64 exec, exec, s[12:13]
	v_mov_b32_dpp v15, v2 row_shr:8 row_mask:0xf bank_mask:0xf
	v_mov_b32_dpp v14, v9 row_shr:8 row_mask:0xf bank_mask:0xf
	v_cmp_lt_u32_e64 s[8:9], 7, v6
	v_mov_b32_dpp v16, v3 row_shr:8 row_mask:0xf bank_mask:0xf
	v_mov_b32_dpp v17, v4 row_shr:8 row_mask:0xf bank_mask:0xf
	;; [unrolled: 1-line block ×3, first 2 shown]
	buffer_store_dword v15, off, s[0:3], 0 offset:96
	buffer_store_dword v16, off, s[0:3], 0 offset:100
	;; [unrolled: 1-line block ×5, first 2 shown]
	s_and_saveexec_b64 s[12:13], s[8:9]
	s_cbranch_execz .LBB2058_457
; %bb.450:
	v_mov_b32_e32 v6, 0
	s_mov_b32 s10, 0
	v_cmp_eq_u16_sdwa s[14:15], v1, v6 src0_sel:BYTE_0 src1_sel:DWORD
	s_and_saveexec_b64 s[8:9], s[14:15]
	s_cbranch_execz .LBB2058_456
; %bb.451:
	v_mov_b32_e32 v2, 16
.LBB2058_452:                           ; =>This Inner Loop Header: Depth=1
	v_add_u32_e32 v3, s10, v2
	s_add_i32 s10, s10, 8
	s_cmp_lg_u32 s10, 16
	buffer_store_dword v6, v3, s[0:3], 0 offen offset:4
	buffer_store_dword v6, v3, s[0:3], 0 offen
	s_cbranch_scc1 .LBB2058_452
; %bb.453:
	s_mov_b32 s10, 0
	v_mov_b32_e32 v2, 0x60
	v_mov_b32_e32 v3, 56
	v_mov_b32_e32 v4, 16
.LBB2058_454:                           ; =>This Inner Loop Header: Depth=1
	v_add_u32_e32 v5, s10, v2
	v_add_u32_e32 v6, s10, v3
	buffer_load_dword v9, v5, s[0:3], 0 offen offset:4
	buffer_load_dword v15, v6, s[0:3], 0 offen
	buffer_load_dword v16, v5, s[0:3], 0 offen
	buffer_load_dword v17, v6, s[0:3], 0 offen offset:4
                                        ; kill: killed $vgpr5
	v_add_u32_e32 v5, s10, v4
	s_add_i32 s10, s10, 8
	s_cmp_lg_u32 s10, 16
                                        ; kill: killed $vgpr6
	s_waitcnt vmcnt(1)
	v_add_u32_e32 v6, v15, v16
	s_waitcnt vmcnt(0)
	v_add_u32_e32 v9, v17, v9
	buffer_store_dword v9, v5, s[0:3], 0 offen offset:4
	buffer_store_dword v6, v5, s[0:3], 0 offen
	s_cbranch_scc1 .LBB2058_454
; %bb.455:
	buffer_load_dword v2, off, s[0:3], 0 offset:16
	buffer_load_dword v3, off, s[0:3], 0 offset:20
	;; [unrolled: 1-line block ×4, first 2 shown]
.LBB2058_456:
	s_or_b64 exec, exec, s[8:9]
	v_and_b32_e32 v1, 1, v1
	v_cmp_eq_u32_e64 s[8:9], 1, v1
	v_and_b32_e32 v1, 1, v14
	v_cmp_eq_u32_e64 s[10:11], 1, v1
	s_or_b64 s[8:9], s[8:9], s[10:11]
	v_cndmask_b32_e64 v1, 0, 1, s[8:9]
	buffer_store_byte v1, off, s[0:3], 0 offset:72
	buffer_load_dword v9, off, s[0:3], 0 offset:72
	s_waitcnt vmcnt(4)
	buffer_store_dword v3, off, s[0:3], 0 offset:60
	buffer_store_dword v2, off, s[0:3], 0 offset:56
	s_waitcnt vmcnt(4)
	buffer_store_dword v5, off, s[0:3], 0 offset:68
	buffer_store_dword v4, off, s[0:3], 0 offset:64
	s_waitcnt vmcnt(4)
	v_mov_b32_e32 v1, v9
.LBB2058_457:
	s_or_b64 exec, exec, s[12:13]
	v_mov_b32_dpp v14, v2 row_bcast:15 row_mask:0xf bank_mask:0xf
	v_mov_b32_dpp v15, v3 row_bcast:15 row_mask:0xf bank_mask:0xf
	;; [unrolled: 1-line block ×5, first 2 shown]
	buffer_store_dword v14, off, s[0:3], 0 offset:96
	buffer_store_dword v15, off, s[0:3], 0 offset:100
	;; [unrolled: 1-line block ×5, first 2 shown]
	v_and_b32_e32 v14, 16, v8
	v_cmp_ne_u32_e64 s[8:9], 0, v14
	s_and_saveexec_b64 s[12:13], s[8:9]
	s_cbranch_execz .LBB2058_465
; %bb.458:
	v_mov_b32_e32 v9, 0
	s_mov_b32 s10, 0
	v_cmp_eq_u16_sdwa s[14:15], v1, v9 src0_sel:BYTE_0 src1_sel:DWORD
	s_and_saveexec_b64 s[8:9], s[14:15]
	s_cbranch_execz .LBB2058_464
; %bb.459:
	v_mov_b32_e32 v2, 16
.LBB2058_460:                           ; =>This Inner Loop Header: Depth=1
	v_add_u32_e32 v3, s10, v2
	s_add_i32 s10, s10, 8
	s_cmp_lg_u32 s10, 16
	buffer_store_dword v9, v3, s[0:3], 0 offen offset:4
	buffer_store_dword v9, v3, s[0:3], 0 offen
	s_cbranch_scc1 .LBB2058_460
; %bb.461:
	s_mov_b32 s10, 0
	v_mov_b32_e32 v2, 0x60
	v_mov_b32_e32 v3, 56
	v_mov_b32_e32 v4, 16
.LBB2058_462:                           ; =>This Inner Loop Header: Depth=1
	v_add_u32_e32 v5, s10, v2
	v_add_u32_e32 v9, s10, v3
	buffer_load_dword v14, v5, s[0:3], 0 offen offset:4
	buffer_load_dword v15, v9, s[0:3], 0 offen
	buffer_load_dword v16, v5, s[0:3], 0 offen
	buffer_load_dword v17, v9, s[0:3], 0 offen offset:4
                                        ; kill: killed $vgpr5
	v_add_u32_e32 v5, s10, v4
	s_add_i32 s10, s10, 8
	s_cmp_lg_u32 s10, 16
                                        ; kill: killed $vgpr9
	s_waitcnt vmcnt(1)
	v_add_u32_e32 v9, v15, v16
	s_waitcnt vmcnt(0)
	v_add_u32_e32 v14, v17, v14
	buffer_store_dword v14, v5, s[0:3], 0 offen offset:4
	buffer_store_dword v9, v5, s[0:3], 0 offen
	s_cbranch_scc1 .LBB2058_462
; %bb.463:
	buffer_load_dword v2, off, s[0:3], 0 offset:16
	buffer_load_dword v3, off, s[0:3], 0 offset:20
	;; [unrolled: 1-line block ×4, first 2 shown]
.LBB2058_464:
	s_or_b64 exec, exec, s[8:9]
	v_and_b32_e32 v1, 1, v1
	v_cmp_eq_u32_e64 s[8:9], 1, v1
	v_and_b32_e32 v1, 1, v6
	v_cmp_eq_u32_e64 s[10:11], 1, v1
	s_or_b64 s[8:9], s[8:9], s[10:11]
	v_cndmask_b32_e64 v1, 0, 1, s[8:9]
	buffer_store_byte v1, off, s[0:3], 0 offset:72
	buffer_load_dword v9, off, s[0:3], 0 offset:72
	s_waitcnt vmcnt(4)
	buffer_store_dword v3, off, s[0:3], 0 offset:60
	buffer_store_dword v2, off, s[0:3], 0 offset:56
	s_waitcnt vmcnt(4)
	buffer_store_dword v5, off, s[0:3], 0 offset:68
	buffer_store_dword v4, off, s[0:3], 0 offset:64
	s_waitcnt vmcnt(4)
	v_mov_b32_e32 v1, v9
.LBB2058_465:
	s_or_b64 exec, exec, s[12:13]
	v_mov_b32_dpp v14, v2 row_bcast:31 row_mask:0xf bank_mask:0xf
	v_mov_b32_dpp v6, v9 row_bcast:31 row_mask:0xf bank_mask:0xf
	v_cmp_lt_u32_e64 s[8:9], 31, v8
	v_mov_b32_dpp v15, v3 row_bcast:31 row_mask:0xf bank_mask:0xf
	v_mov_b32_dpp v16, v4 row_bcast:31 row_mask:0xf bank_mask:0xf
	;; [unrolled: 1-line block ×3, first 2 shown]
	buffer_store_dword v14, off, s[0:3], 0 offset:96
	buffer_store_dword v15, off, s[0:3], 0 offset:100
	;; [unrolled: 1-line block ×5, first 2 shown]
	s_and_saveexec_b64 s[12:13], s[8:9]
	s_cbranch_execz .LBB2058_473
; %bb.466:
	v_mov_b32_e32 v9, 0
	s_mov_b32 s10, 0
	v_cmp_eq_u16_sdwa s[14:15], v1, v9 src0_sel:BYTE_0 src1_sel:DWORD
	s_and_saveexec_b64 s[8:9], s[14:15]
	s_cbranch_execz .LBB2058_472
; %bb.467:
	v_mov_b32_e32 v2, 16
.LBB2058_468:                           ; =>This Inner Loop Header: Depth=1
	v_add_u32_e32 v3, s10, v2
	s_add_i32 s10, s10, 8
	s_cmp_lg_u32 s10, 16
	buffer_store_dword v9, v3, s[0:3], 0 offen offset:4
	buffer_store_dword v9, v3, s[0:3], 0 offen
	s_cbranch_scc1 .LBB2058_468
; %bb.469:
	s_mov_b32 s10, 0
	v_mov_b32_e32 v2, 0x60
	v_mov_b32_e32 v3, 56
	;; [unrolled: 1-line block ×3, first 2 shown]
.LBB2058_470:                           ; =>This Inner Loop Header: Depth=1
	v_add_u32_e32 v5, s10, v2
	v_add_u32_e32 v9, s10, v3
	buffer_load_dword v14, v5, s[0:3], 0 offen offset:4
	buffer_load_dword v15, v9, s[0:3], 0 offen
	buffer_load_dword v16, v5, s[0:3], 0 offen
	buffer_load_dword v17, v9, s[0:3], 0 offen offset:4
                                        ; kill: killed $vgpr5
	v_add_u32_e32 v5, s10, v4
	s_add_i32 s10, s10, 8
	s_cmp_lg_u32 s10, 16
                                        ; kill: killed $vgpr9
	s_waitcnt vmcnt(1)
	v_add_u32_e32 v9, v15, v16
	s_waitcnt vmcnt(0)
	v_add_u32_e32 v14, v17, v14
	buffer_store_dword v14, v5, s[0:3], 0 offen offset:4
	buffer_store_dword v9, v5, s[0:3], 0 offen
	s_cbranch_scc1 .LBB2058_470
; %bb.471:
	buffer_load_dword v2, off, s[0:3], 0 offset:16
	buffer_load_dword v3, off, s[0:3], 0 offset:20
	;; [unrolled: 1-line block ×4, first 2 shown]
.LBB2058_472:
	s_or_b64 exec, exec, s[8:9]
	v_and_b32_e32 v1, 1, v1
	v_cmp_eq_u32_e64 s[8:9], 1, v1
	v_and_b32_e32 v1, 1, v6
	v_cmp_eq_u32_e64 s[10:11], 1, v1
	s_or_b64 s[8:9], s[8:9], s[10:11]
	v_cndmask_b32_e64 v1, 0, 1, s[8:9]
	s_waitcnt vmcnt(2)
	buffer_store_dword v3, off, s[0:3], 0 offset:60
	buffer_store_dword v2, off, s[0:3], 0 offset:56
	s_waitcnt vmcnt(2)
	buffer_store_dword v5, off, s[0:3], 0 offset:68
	buffer_store_dword v4, off, s[0:3], 0 offset:64
	buffer_store_byte v1, off, s[0:3], 0 offset:72
.LBB2058_473:
	s_or_b64 exec, exec, s[12:13]
	v_or_b32_e32 v9, 63, v0
	v_lshrrev_b32_e32 v6, 6, v0
	v_cmp_eq_u32_e64 s[8:9], v9, v0
	s_and_saveexec_b64 s[10:11], s[8:9]
	s_cbranch_execz .LBB2058_475
; %bb.474:
	v_mul_u32_u24_e32 v9, 20, v6
	ds_write2_b32 v9, v2, v3 offset1:1
	ds_write2_b32 v9, v4, v5 offset0:2 offset1:3
	ds_write_b8 v9, v1 offset:16
.LBB2058_475:
	s_or_b64 exec, exec, s[10:11]
	v_cmp_gt_u32_e64 s[8:9], 4, v0
	s_waitcnt lgkmcnt(0)
	s_barrier
	s_and_saveexec_b64 s[12:13], s[8:9]
	s_cbranch_execz .LBB2058_493
; %bb.476:
	v_mul_u32_u24_e32 v1, 20, v0
	ds_read_b32 v9, v1 offset:16
	ds_read2_b32 v[2:3], v1 offset0:2 offset1:3
	ds_read2_b32 v[4:5], v1 offset1:1
	v_and_b32_e32 v14, 3, v8
	v_cmp_ne_u32_e64 s[8:9], 0, v14
	s_waitcnt lgkmcnt(2)
	v_mov_b32_dpp v15, v9 row_shr:1 row_mask:0xf bank_mask:0xf
	s_waitcnt lgkmcnt(1)
	v_mov_b32_dpp v18, v2 row_shr:1 row_mask:0xf bank_mask:0xf
	s_waitcnt lgkmcnt(0)
	v_mov_b32_dpp v16, v4 row_shr:1 row_mask:0xf bank_mask:0xf
	buffer_store_dword v9, off, s[0:3], 0 offset:32
	buffer_store_dword v3, off, s[0:3], 0 offset:28
	;; [unrolled: 1-line block ×5, first 2 shown]
	v_mov_b32_dpp v17, v5 row_shr:1 row_mask:0xf bank_mask:0xf
	v_mov_b32_dpp v19, v3 row_shr:1 row_mask:0xf bank_mask:0xf
	buffer_store_dword v16, off, s[0:3], 0 offset:96
	buffer_store_dword v17, off, s[0:3], 0 offset:100
	;; [unrolled: 1-line block ×5, first 2 shown]
	s_and_saveexec_b64 s[10:11], s[8:9]
	s_cbranch_execz .LBB2058_484
; %bb.477:
	v_mov_b32_e32 v16, 0
	v_cmp_eq_u16_sdwa s[14:15], v9, v16 src0_sel:BYTE_0 src1_sel:DWORD
	s_and_saveexec_b64 s[8:9], s[14:15]
	s_cbranch_execz .LBB2058_483
; %bb.478:
	s_mov_b32 s14, 0
	v_mov_b32_e32 v2, 36
.LBB2058_479:                           ; =>This Inner Loop Header: Depth=1
	v_add_u32_e32 v3, s14, v2
	s_add_i32 s14, s14, 8
	s_cmp_lg_u32 s14, 16
	buffer_store_dword v16, v3, s[0:3], 0 offen offset:4
	buffer_store_dword v16, v3, s[0:3], 0 offen
	s_cbranch_scc1 .LBB2058_479
; %bb.480:
	s_mov_b32 s14, 0
	v_mov_b32_e32 v2, 0x60
	v_mov_b32_e32 v3, 16
	;; [unrolled: 1-line block ×3, first 2 shown]
.LBB2058_481:                           ; =>This Inner Loop Header: Depth=1
	v_add_u32_e32 v5, s14, v2
	v_add_u32_e32 v16, s14, v3
	buffer_load_dword v17, v5, s[0:3], 0 offen offset:4
	buffer_load_dword v18, v16, s[0:3], 0 offen
	buffer_load_dword v19, v5, s[0:3], 0 offen
	buffer_load_dword v20, v16, s[0:3], 0 offen offset:4
                                        ; kill: killed $vgpr5
	v_add_u32_e32 v5, s14, v4
	s_add_i32 s14, s14, 8
	s_cmp_lg_u32 s14, 16
                                        ; kill: killed $vgpr16
	s_waitcnt vmcnt(1)
	v_add_u32_e32 v16, v18, v19
	s_waitcnt vmcnt(0)
	v_add_u32_e32 v17, v20, v17
	buffer_store_dword v17, v5, s[0:3], 0 offen offset:4
	buffer_store_dword v16, v5, s[0:3], 0 offen
	s_cbranch_scc1 .LBB2058_481
; %bb.482:
	buffer_load_dword v4, off, s[0:3], 0 offset:36
	buffer_load_dword v5, off, s[0:3], 0 offset:40
	;; [unrolled: 1-line block ×4, first 2 shown]
.LBB2058_483:
	s_or_b64 exec, exec, s[8:9]
	v_or_b32_e32 v9, v15, v9
	v_and_b32_e32 v9, 1, v9
	buffer_store_byte v9, off, s[0:3], 0 offset:32
	buffer_load_dword v9, off, s[0:3], 0 offset:32
	s_waitcnt vmcnt(4)
	buffer_store_dword v5, off, s[0:3], 0 offset:20
	buffer_store_dword v4, off, s[0:3], 0 offset:16
	s_waitcnt vmcnt(4)
	buffer_store_dword v3, off, s[0:3], 0 offset:28
	buffer_store_dword v2, off, s[0:3], 0 offset:24
.LBB2058_484:
	s_or_b64 exec, exec, s[10:11]
	v_mov_b32_dpp v16, v4 row_shr:2 row_mask:0xf bank_mask:0xf
	s_waitcnt vmcnt(4)
	v_mov_b32_dpp v15, v9 row_shr:2 row_mask:0xf bank_mask:0xf
	v_cmp_lt_u32_e64 s[8:9], 1, v14
	v_mov_b32_dpp v17, v5 row_shr:2 row_mask:0xf bank_mask:0xf
	v_mov_b32_dpp v18, v2 row_shr:2 row_mask:0xf bank_mask:0xf
	;; [unrolled: 1-line block ×3, first 2 shown]
	buffer_store_dword v16, off, s[0:3], 0 offset:96
	buffer_store_dword v17, off, s[0:3], 0 offset:100
	;; [unrolled: 1-line block ×5, first 2 shown]
	s_and_saveexec_b64 s[14:15], s[8:9]
	s_cbranch_execz .LBB2058_492
; %bb.485:
	v_mov_b32_e32 v14, 0
	s_mov_b32 s10, 0
	v_cmp_eq_u16_sdwa s[16:17], v9, v14 src0_sel:BYTE_0 src1_sel:DWORD
	s_and_saveexec_b64 s[8:9], s[16:17]
	s_cbranch_execz .LBB2058_491
; %bb.486:
	v_mov_b32_e32 v2, 36
.LBB2058_487:                           ; =>This Inner Loop Header: Depth=1
	v_add_u32_e32 v3, s10, v2
	s_add_i32 s10, s10, 8
	s_cmp_lg_u32 s10, 16
	buffer_store_dword v14, v3, s[0:3], 0 offen offset:4
	buffer_store_dword v14, v3, s[0:3], 0 offen
	s_cbranch_scc1 .LBB2058_487
; %bb.488:
	s_mov_b32 s10, 0
	v_mov_b32_e32 v2, 0x60
	v_mov_b32_e32 v3, 16
	;; [unrolled: 1-line block ×3, first 2 shown]
.LBB2058_489:                           ; =>This Inner Loop Header: Depth=1
	v_add_u32_e32 v5, s10, v2
	v_add_u32_e32 v14, s10, v3
	buffer_load_dword v16, v5, s[0:3], 0 offen offset:4
	buffer_load_dword v17, v14, s[0:3], 0 offen
	buffer_load_dword v18, v5, s[0:3], 0 offen
	buffer_load_dword v19, v14, s[0:3], 0 offen offset:4
                                        ; kill: killed $vgpr5
	v_add_u32_e32 v5, s10, v4
	s_add_i32 s10, s10, 8
	s_cmp_lg_u32 s10, 16
                                        ; kill: killed $vgpr14
	s_waitcnt vmcnt(1)
	v_add_u32_e32 v14, v17, v18
	s_waitcnt vmcnt(0)
	v_add_u32_e32 v16, v19, v16
	buffer_store_dword v16, v5, s[0:3], 0 offen offset:4
	buffer_store_dword v14, v5, s[0:3], 0 offen
	s_cbranch_scc1 .LBB2058_489
; %bb.490:
	buffer_load_dword v4, off, s[0:3], 0 offset:36
	buffer_load_dword v5, off, s[0:3], 0 offset:40
	;; [unrolled: 1-line block ×4, first 2 shown]
.LBB2058_491:
	s_or_b64 exec, exec, s[8:9]
	v_and_b32_e32 v9, 1, v9
	v_cmp_eq_u32_e64 s[8:9], 1, v9
	v_and_b32_e32 v9, 1, v15
	v_cmp_eq_u32_e64 s[10:11], 1, v9
	s_or_b64 s[8:9], s[8:9], s[10:11]
	v_cndmask_b32_e64 v9, 0, 1, s[8:9]
	s_waitcnt vmcnt(2)
	buffer_store_dword v5, off, s[0:3], 0 offset:20
	buffer_store_dword v4, off, s[0:3], 0 offset:16
	s_waitcnt vmcnt(2)
	buffer_store_dword v3, off, s[0:3], 0 offset:28
	buffer_store_dword v2, off, s[0:3], 0 offset:24
.LBB2058_492:
	s_or_b64 exec, exec, s[14:15]
	buffer_load_dword v2, off, s[0:3], 0 offset:24
	buffer_load_dword v3, off, s[0:3], 0 offset:28
	;; [unrolled: 1-line block ×4, first 2 shown]
	s_waitcnt vmcnt(2)
	ds_write2_b32 v1, v2, v3 offset0:2 offset1:3
	s_waitcnt vmcnt(0)
	ds_write2_b32 v1, v4, v5 offset1:1
	ds_write_b8 v1, v9 offset:16
.LBB2058_493:
	s_or_b64 exec, exec, s[12:13]
	v_mov_b32_e32 v1, 0
	s_mov_b32 s8, 0
	v_mov_b32_e32 v2, 0x60
	s_waitcnt lgkmcnt(0)
	s_barrier
	buffer_store_dword v1, off, s[0:3], 0 offset:108
	buffer_store_dword v1, off, s[0:3], 0 offset:104
	;; [unrolled: 1-line block ×5, first 2 shown]
.LBB2058_494:                           ; =>This Inner Loop Header: Depth=1
	v_add_u32_e32 v3, s8, v2
	s_add_i32 s8, s8, 8
	s_cmp_lg_u32 s8, 16
	buffer_store_dword v1, v3, s[0:3], 0 offen offset:4
	buffer_store_dword v1, v3, s[0:3], 0 offen
	s_cbranch_scc1 .LBB2058_494
; %bb.495:
	v_cmp_lt_u32_e64 s[8:9], 63, v0
                                        ; implicit-def: $vgpr2_vgpr3
                                        ; implicit-def: $vgpr4_vgpr5
                                        ; implicit-def: $vgpr9
	s_and_saveexec_b64 s[10:11], s[8:9]
	s_xor_b64 s[10:11], exec, s[10:11]
	s_cbranch_execz .LBB2058_505
; %bb.496:
	buffer_load_ubyte v1, off, s[0:3], 0 offset:72
	v_not_b32_e32 v2, 19
	v_mad_u32_u24 v4, v6, 20, v2
	ds_read2_b32 v[2:3], v4 offset0:2 offset1:3
	ds_read_u8 v9, v4 offset:16
	ds_read2_b32 v[4:5], v4 offset1:1
	s_waitcnt lgkmcnt(2)
	buffer_store_dword v3, off, s[0:3], 0 offset:108
	buffer_store_dword v2, off, s[0:3], 0 offset:104
	s_waitcnt lgkmcnt(0)
	buffer_store_dword v5, off, s[0:3], 0 offset:100
	buffer_store_dword v4, off, s[0:3], 0 offset:96
                                        ; implicit-def: $vgpr2_vgpr3
                                        ; implicit-def: $vgpr4_vgpr5
	s_waitcnt vmcnt(4)
	v_cmp_ne_u16_e64 s[8:9], 0, v1
	s_and_saveexec_b64 s[12:13], s[8:9]
	s_xor_b64 s[8:9], exec, s[12:13]
	s_cbranch_execz .LBB2058_498
; %bb.497:
	buffer_load_dword v2, off, s[0:3], 0 offset:56
	buffer_load_dword v3, off, s[0:3], 0 offset:60
	;; [unrolled: 1-line block ×4, first 2 shown]
.LBB2058_498:
	s_andn2_saveexec_b64 s[8:9], s[8:9]
	s_cbranch_execz .LBB2058_504
; %bb.499:
	s_mov_b32 s12, 0
	s_waitcnt vmcnt(3)
	v_mov_b32_e32 v2, 16
	s_waitcnt vmcnt(2)
	v_mov_b32_e32 v3, 0
	s_waitcnt vmcnt(0)
.LBB2058_500:                           ; =>This Inner Loop Header: Depth=1
	v_add_u32_e32 v4, s12, v2
	s_add_i32 s12, s12, 8
	s_cmp_lg_u32 s12, 16
	buffer_store_dword v3, v4, s[0:3], 0 offen offset:4
	buffer_store_dword v3, v4, s[0:3], 0 offen
	s_cbranch_scc1 .LBB2058_500
; %bb.501:
	s_mov_b32 s12, 0
	v_mov_b32_e32 v2, 0x60
	v_mov_b32_e32 v3, 56
	;; [unrolled: 1-line block ×3, first 2 shown]
.LBB2058_502:                           ; =>This Inner Loop Header: Depth=1
	v_add_u32_e32 v5, s12, v2
	v_add_u32_e32 v6, s12, v3
	buffer_load_dword v14, v5, s[0:3], 0 offen offset:4
	buffer_load_dword v15, v6, s[0:3], 0 offen
	buffer_load_dword v16, v5, s[0:3], 0 offen
	buffer_load_dword v17, v6, s[0:3], 0 offen offset:4
                                        ; kill: killed $vgpr5
	v_add_u32_e32 v5, s12, v4
	s_add_i32 s12, s12, 8
	s_cmp_lg_u32 s12, 16
                                        ; kill: killed $vgpr6
	s_waitcnt vmcnt(1)
	v_add_u32_e32 v6, v15, v16
	s_waitcnt vmcnt(0)
	v_add_u32_e32 v14, v17, v14
	buffer_store_dword v14, v5, s[0:3], 0 offen offset:4
	buffer_store_dword v6, v5, s[0:3], 0 offen
	s_cbranch_scc1 .LBB2058_502
; %bb.503:
	buffer_load_dword v2, off, s[0:3], 0 offset:16
	buffer_load_dword v3, off, s[0:3], 0 offset:20
	;; [unrolled: 1-line block ×4, first 2 shown]
.LBB2058_504:
	s_or_b64 exec, exec, s[8:9]
	v_or_b32_e32 v1, v1, v9
	v_and_b32_e32 v1, 1, v1
	buffer_store_byte v1, off, s[0:3], 0 offset:72
.LBB2058_505:
	s_andn2_saveexec_b64 s[8:9], s[10:11]
	s_cbranch_execz .LBB2058_507
; %bb.506:
	buffer_load_dword v2, off, s[0:3], 0 offset:56
	buffer_load_dword v3, off, s[0:3], 0 offset:60
	;; [unrolled: 1-line block ×4, first 2 shown]
	v_mov_b32_e32 v9, 0
.LBB2058_507:
	s_or_b64 exec, exec, s[8:9]
	buffer_load_dword v15, off, s[0:3], 0 offset:72
	v_add_u32_e32 v1, -1, v8
	v_and_b32_e32 v6, 64, v8
	v_cmp_lt_i32_e64 s[8:9], v1, v6
	v_cndmask_b32_e64 v1, v1, v8, s[8:9]
	v_lshlrev_b32_e32 v14, 2, v1
	s_waitcnt vmcnt(4)
	ds_bpermute_b32 v6, v14, v2
	s_waitcnt vmcnt(3)
	ds_bpermute_b32 v3, v14, v3
	;; [unrolled: 2-line block ×4, first 2 shown]
	v_cmp_eq_u32_e64 s[8:9], 0, v8
	s_waitcnt vmcnt(0)
	ds_bpermute_b32 v14, v14, v15
	s_waitcnt lgkmcnt(4)
	buffer_store_dword v6, off, s[0:3], 0 offset:56
	s_waitcnt lgkmcnt(3)
	buffer_store_dword v3, off, s[0:3], 0 offset:60
	;; [unrolled: 2-line block ×4, first 2 shown]
	s_waitcnt lgkmcnt(0)
	buffer_store_byte v14, off, s[0:3], 0 offset:72
	s_and_saveexec_b64 s[10:11], s[8:9]
	s_cbranch_execz .LBB2058_509
; %bb.508:
	buffer_load_dword v1, off, s[0:3], 0 offset:108
	buffer_load_dword v2, off, s[0:3], 0 offset:104
	;; [unrolled: 1-line block ×4, first 2 shown]
	v_mov_b32_e32 v14, v9
	buffer_store_byte v9, off, s[0:3], 0 offset:72
	s_waitcnt vmcnt(4)
	buffer_store_dword v1, off, s[0:3], 0 offset:68
	s_waitcnt vmcnt(4)
	buffer_store_dword v2, off, s[0:3], 0 offset:64
	;; [unrolled: 2-line block ×4, first 2 shown]
.LBB2058_509:
	s_or_b64 exec, exec, s[10:11]
	buffer_load_dword v4, off, s[0:3], 0 offset:220
	buffer_load_dword v5, off, s[0:3], 0 offset:216
	;; [unrolled: 1-line block ×5, first 2 shown]
	s_mov_b32 s8, 0x3020104
	buffer_store_dword v3, off, s[0:3], 0 offset:20
	buffer_store_dword v6, off, s[0:3], 0 offset:16
	;; [unrolled: 1-line block ×4, first 2 shown]
	v_perm_b32 v1, v14, v15, s8
                                        ; implicit-def: $vgpr2_vgpr3
	buffer_store_dword v1, off, s[0:3], 0 offset:32
	s_waitcnt vmcnt(9)
	buffer_store_dword v4, off, s[0:3], 0 offset:48
	s_waitcnt vmcnt(9)
	;; [unrolled: 2-line block ×5, first 2 shown]
	buffer_store_dword v8, off, s[0:3], 0 offset:52
                                        ; implicit-def: $vgpr4_vgpr5
	s_and_saveexec_b64 s[8:9], s[6:7]
	s_xor_b64 s[6:7], exec, s[8:9]
	s_cbranch_execz .LBB2058_519
; %bb.510:
	v_mov_b32_e32 v1, 0
	v_cmp_ne_u16_sdwa s[8:9], v8, v1 src0_sel:BYTE_0 src1_sel:DWORD
                                        ; implicit-def: $vgpr4_vgpr5
                                        ; implicit-def: $vgpr2_vgpr3
	s_and_saveexec_b64 s[10:11], s[8:9]
	s_xor_b64 s[8:9], exec, s[10:11]
	s_cbranch_execz .LBB2058_512
; %bb.511:
	buffer_load_dword v2, off, s[0:3], 0 offset:36
	buffer_load_dword v3, off, s[0:3], 0 offset:40
	;; [unrolled: 1-line block ×4, first 2 shown]
.LBB2058_512:
	s_andn2_saveexec_b64 s[8:9], s[8:9]
	s_cbranch_execz .LBB2058_518
; %bb.513:
	s_mov_b32 s10, 0
	v_mov_b32_e32 v1, 0x60
	s_waitcnt vmcnt(3)
	v_mov_b32_e32 v2, 0
	s_waitcnt vmcnt(0)
.LBB2058_514:                           ; =>This Inner Loop Header: Depth=1
	v_add_u32_e32 v3, s10, v1
	s_add_i32 s10, s10, 8
	s_cmp_lg_u32 s10, 16
	buffer_store_dword v2, v3, s[0:3], 0 offen offset:4
	buffer_store_dword v2, v3, s[0:3], 0 offen
	s_cbranch_scc1 .LBB2058_514
; %bb.515:
	s_mov_b32 s10, 0
	v_mov_b32_e32 v1, 16
	v_mov_b32_e32 v2, 36
	;; [unrolled: 1-line block ×3, first 2 shown]
.LBB2058_516:                           ; =>This Inner Loop Header: Depth=1
	v_add_u32_e32 v4, s10, v1
	v_add_u32_e32 v5, s10, v2
	buffer_load_dword v6, v4, s[0:3], 0 offen offset:4
	buffer_load_dword v9, v5, s[0:3], 0 offen
	buffer_load_dword v15, v4, s[0:3], 0 offen
	buffer_load_dword v16, v5, s[0:3], 0 offen offset:4
                                        ; kill: killed $vgpr4
	v_add_u32_e32 v4, s10, v3
	s_add_i32 s10, s10, 8
	s_cmp_lg_u32 s10, 16
                                        ; kill: killed $vgpr5
	s_waitcnt vmcnt(1)
	v_add_u32_e32 v5, v9, v15
	s_waitcnt vmcnt(0)
	v_add_u32_e32 v6, v16, v6
	buffer_store_dword v6, v4, s[0:3], 0 offen offset:4
	buffer_store_dword v5, v4, s[0:3], 0 offen
	s_cbranch_scc1 .LBB2058_516
; %bb.517:
	buffer_load_dword v2, off, s[0:3], 0 offset:96
	buffer_load_dword v3, off, s[0:3], 0 offset:100
	;; [unrolled: 1-line block ×4, first 2 shown]
.LBB2058_518:
	s_or_b64 exec, exec, s[8:9]
	v_or_b32_e32 v1, v8, v14
	v_and_b32_e32 v8, 1, v1
	s_waitcnt vmcnt(2)
	buffer_store_dword v3, off, s[0:3], 0 offset:40
	buffer_store_dword v2, off, s[0:3], 0 offset:36
	s_waitcnt vmcnt(2)
	buffer_store_dword v5, off, s[0:3], 0 offset:48
	buffer_store_dword v4, off, s[0:3], 0 offset:44
	;;#ASMSTART
	;;#ASMEND
.LBB2058_519:
	s_andn2_saveexec_b64 s[6:7], s[6:7]
	s_cbranch_execz .LBB2058_521
; %bb.520:
	buffer_load_dword v2, off, s[0:3], 0 offset:36
	buffer_load_dword v3, off, s[0:3], 0 offset:40
	;; [unrolled: 1-line block ×4, first 2 shown]
.LBB2058_521:
	s_or_b64 exec, exec, s[6:7]
	buffer_load_dword v6, off, s[0:3], 0 offset:48
	buffer_load_dword v9, off, s[0:3], 0 offset:44
	;; [unrolled: 1-line block ×4, first 2 shown]
	buffer_load_ushort v16, off, s[0:3], 0 offset:53
	buffer_load_ubyte v17, off, s[0:3], 0 offset:55
	buffer_load_ubyte v1, off, s[0:3], 0 offset:244
	s_nop 0
	buffer_store_byte v8, off, s[0:3], 0 offset:224
	s_waitcnt vmcnt(10)
	buffer_store_dword v3, off, s[0:3], 0 offset:100
	buffer_store_dword v2, off, s[0:3], 0 offset:96
	s_waitcnt vmcnt(10)
	buffer_store_dword v5, off, s[0:3], 0 offset:108
	buffer_store_dword v4, off, s[0:3], 0 offset:104
	s_waitcnt vmcnt(11)
	buffer_store_dword v6, off, s[0:3], 0 offset:220
	s_waitcnt vmcnt(11)
	;; [unrolled: 2-line block ×5, first 2 shown]
	v_lshrrev_b32_e32 v2, 8, v16
	v_lshlrev_b16_e32 v3, 8, v16
	s_waitcnt vmcnt(10)
	v_lshlrev_b16_e32 v4, 8, v17
	v_or_b32_sdwa v3, v8, v3 dst_sel:DWORD dst_unused:UNUSED_PAD src0_sel:BYTE_0 src1_sel:DWORD
	v_or_b32_sdwa v2, v2, v4 dst_sel:WORD_1 dst_unused:UNUSED_PAD src0_sel:BYTE_0 src1_sel:DWORD
	v_or_b32_sdwa v2, v3, v2 dst_sel:DWORD dst_unused:UNUSED_PAD src0_sel:WORD_0 src1_sel:DWORD
	s_waitcnt vmcnt(9)
	v_cmp_ne_u16_e64 s[6:7], 0, v1
	buffer_store_dword v2, off, s[0:3], 0 offset:112
                                        ; implicit-def: $vgpr4_vgpr5
                                        ; implicit-def: $vgpr2_vgpr3
	s_and_saveexec_b64 s[8:9], s[6:7]
	s_xor_b64 s[6:7], exec, s[8:9]
	s_cbranch_execz .LBB2058_523
; %bb.522:
	buffer_load_dword v2, off, s[0:3], 0 offset:228
	buffer_load_dword v3, off, s[0:3], 0 offset:232
	;; [unrolled: 1-line block ×4, first 2 shown]
.LBB2058_523:
	s_andn2_saveexec_b64 s[6:7], s[6:7]
	s_cbranch_execz .LBB2058_529
; %bb.524:
	s_mov_b32 s8, 0
	s_waitcnt vmcnt(3)
	v_mov_b32_e32 v2, 0xb0
	s_waitcnt vmcnt(2)
	v_mov_b32_e32 v3, 0
	s_waitcnt vmcnt(0)
.LBB2058_525:                           ; =>This Inner Loop Header: Depth=1
	v_add_u32_e32 v4, s8, v2
	s_add_i32 s8, s8, 8
	s_cmp_lg_u32 s8, 16
	buffer_store_dword v3, v4, s[0:3], 0 offen offset:4
	buffer_store_dword v3, v4, s[0:3], 0 offen
	s_cbranch_scc1 .LBB2058_525
; %bb.526:
	s_mov_b32 s8, 0
	v_mov_b32_e32 v2, 0x60
	v_mov_b32_e32 v3, 0xd0
	;; [unrolled: 1-line block ×3, first 2 shown]
.LBB2058_527:                           ; =>This Inner Loop Header: Depth=1
	v_add_u32_e32 v5, s8, v2
	v_add_u32_e32 v6, s8, v3
	buffer_load_dword v9, v5, s[0:3], 0 offen offset:4
	buffer_load_dword v14, v6, s[0:3], 0 offen offset:20
	buffer_load_dword v15, v5, s[0:3], 0 offen
	buffer_load_dword v16, v6, s[0:3], 0 offen offset:24
                                        ; kill: killed $vgpr5
	v_add_u32_e32 v5, s8, v4
	s_add_i32 s8, s8, 8
	s_cmp_lg_u32 s8, 16
                                        ; kill: killed $vgpr6
	s_waitcnt vmcnt(1)
	v_add_u32_e32 v6, v14, v15
	s_waitcnt vmcnt(0)
	v_add_u32_e32 v9, v16, v9
	buffer_store_dword v9, v5, s[0:3], 0 offen offset:4
	buffer_store_dword v6, v5, s[0:3], 0 offen
	s_cbranch_scc1 .LBB2058_527
; %bb.528:
	buffer_load_dword v2, off, s[0:3], 0 offset:176
	buffer_load_dword v3, off, s[0:3], 0 offset:180
	;; [unrolled: 1-line block ×4, first 2 shown]
.LBB2058_529:
	s_or_b64 exec, exec, s[6:7]
	buffer_load_ubyte v6, off, s[0:3], 0 offset:264
	v_or_b32_e32 v1, v1, v8
	v_and_b32_e32 v1, 1, v1
	v_cmp_eq_u32_e64 s[6:7], 1, v1
	s_waitcnt vmcnt(3)
	buffer_store_dword v3, off, s[0:3], 0 offset:100
	buffer_store_dword v2, off, s[0:3], 0 offset:96
	s_waitcnt vmcnt(3)
	buffer_store_dword v5, off, s[0:3], 0 offset:108
	buffer_store_dword v4, off, s[0:3], 0 offset:104
	buffer_store_dword v5, v7, s[0:3], 0 offen offset:12
	buffer_store_dword v4, v7, s[0:3], 0 offen offset:8
	;; [unrolled: 1-line block ×3, first 2 shown]
	buffer_store_dword v2, v7, s[0:3], 0 offen
	buffer_store_byte v1, off, s[0:3], 0 offset:244
                                        ; implicit-def: $vgpr4_vgpr5
                                        ; implicit-def: $vgpr2_vgpr3
	s_waitcnt vmcnt(9)
	v_cmp_ne_u16_e64 s[8:9], 0, v6
	s_and_saveexec_b64 s[10:11], s[8:9]
	s_xor_b64 s[8:9], exec, s[10:11]
	s_cbranch_execz .LBB2058_531
; %bb.530:
	buffer_load_dword v2, off, s[0:3], 0 offset:248
	buffer_load_dword v3, off, s[0:3], 0 offset:252
	;; [unrolled: 1-line block ×4, first 2 shown]
.LBB2058_531:
	s_andn2_saveexec_b64 s[8:9], s[8:9]
	s_cbranch_execz .LBB2058_537
; %bb.532:
	s_mov_b32 s10, 0
	v_mov_b32_e32 v1, 0xb0
	s_waitcnt vmcnt(3)
	v_mov_b32_e32 v2, 0
	s_waitcnt vmcnt(0)
.LBB2058_533:                           ; =>This Inner Loop Header: Depth=1
	v_add_u32_e32 v3, s10, v1
	s_add_i32 s10, s10, 8
	s_cmp_lg_u32 s10, 16
	buffer_store_dword v2, v3, s[0:3], 0 offen offset:4
	buffer_store_dword v2, v3, s[0:3], 0 offen
	s_cbranch_scc1 .LBB2058_533
; %bb.534:
	s_mov_b32 s10, 0
	v_mov_b32_e32 v1, 0x60
	v_mov_b32_e32 v2, 0xd0
	;; [unrolled: 1-line block ×3, first 2 shown]
.LBB2058_535:                           ; =>This Inner Loop Header: Depth=1
	v_add_u32_e32 v4, s10, v1
	v_add_u32_e32 v5, s10, v2
	buffer_load_dword v8, v4, s[0:3], 0 offen offset:4
	buffer_load_dword v9, v5, s[0:3], 0 offen offset:40
	buffer_load_dword v14, v4, s[0:3], 0 offen
	buffer_load_dword v15, v5, s[0:3], 0 offen offset:44
                                        ; kill: killed $vgpr4
	v_add_u32_e32 v4, s10, v3
	s_add_i32 s10, s10, 8
	s_cmp_lg_u32 s10, 16
                                        ; kill: killed $vgpr5
	s_waitcnt vmcnt(1)
	v_add_u32_e32 v5, v9, v14
	s_waitcnt vmcnt(0)
	v_add_u32_e32 v8, v15, v8
	buffer_store_dword v8, v4, s[0:3], 0 offen offset:4
	buffer_store_dword v5, v4, s[0:3], 0 offen
	s_cbranch_scc1 .LBB2058_535
; %bb.536:
	buffer_load_dword v2, off, s[0:3], 0 offset:176
	buffer_load_dword v3, off, s[0:3], 0 offset:180
	;; [unrolled: 1-line block ×4, first 2 shown]
.LBB2058_537:
	s_or_b64 exec, exec, s[8:9]
	buffer_load_ubyte v1, off, s[0:3], 0 offset:284
	v_and_b32_e32 v6, 1, v6
	v_cmp_eq_u32_e64 s[8:9], 1, v6
	s_or_b64 s[8:9], s[8:9], s[6:7]
	v_cndmask_b32_e64 v6, 0, 1, s[8:9]
	s_waitcnt vmcnt(3)
	buffer_store_dword v3, off, s[0:3], 0 offset:100
	buffer_store_dword v2, off, s[0:3], 0 offset:96
	s_waitcnt vmcnt(3)
	buffer_store_dword v5, off, s[0:3], 0 offset:108
	buffer_store_dword v4, off, s[0:3], 0 offset:104
	buffer_store_dword v5, v10, s[0:3], 0 offen offset:12
	buffer_store_dword v4, v10, s[0:3], 0 offen offset:8
	buffer_store_dword v3, v10, s[0:3], 0 offen offset:4
	buffer_store_dword v2, v10, s[0:3], 0 offen
	buffer_store_byte v6, off, s[0:3], 0 offset:264
                                        ; implicit-def: $vgpr4_vgpr5
                                        ; implicit-def: $vgpr2_vgpr3
	s_waitcnt vmcnt(9)
	v_cmp_ne_u16_e64 s[6:7], 0, v1
	s_and_saveexec_b64 s[10:11], s[6:7]
	s_xor_b64 s[6:7], exec, s[10:11]
	s_cbranch_execz .LBB2058_539
; %bb.538:
	buffer_load_dword v2, off, s[0:3], 0 offset:268
	buffer_load_dword v3, off, s[0:3], 0 offset:272
	;; [unrolled: 1-line block ×4, first 2 shown]
.LBB2058_539:
	s_andn2_saveexec_b64 s[6:7], s[6:7]
	s_cbranch_execz .LBB2058_545
; %bb.540:
	s_mov_b32 s10, 0
	s_waitcnt vmcnt(3)
	v_mov_b32_e32 v2, 0xb0
	s_waitcnt vmcnt(2)
	v_mov_b32_e32 v3, 0
	s_waitcnt vmcnt(0)
.LBB2058_541:                           ; =>This Inner Loop Header: Depth=1
	v_add_u32_e32 v4, s10, v2
	s_add_i32 s10, s10, 8
	s_cmp_lg_u32 s10, 16
	buffer_store_dword v3, v4, s[0:3], 0 offen offset:4
	buffer_store_dword v3, v4, s[0:3], 0 offen
	s_cbranch_scc1 .LBB2058_541
; %bb.542:
	s_mov_b32 s10, 0
	v_mov_b32_e32 v2, 0x60
	v_mov_b32_e32 v3, 0xd0
	;; [unrolled: 1-line block ×3, first 2 shown]
.LBB2058_543:                           ; =>This Inner Loop Header: Depth=1
	v_add_u32_e32 v5, s10, v2
	v_add_u32_e32 v6, s10, v3
	buffer_load_dword v8, v5, s[0:3], 0 offen offset:4
	buffer_load_dword v9, v6, s[0:3], 0 offen offset:60
	buffer_load_dword v14, v5, s[0:3], 0 offen
	buffer_load_dword v15, v6, s[0:3], 0 offen offset:64
                                        ; kill: killed $vgpr5
	v_add_u32_e32 v5, s10, v4
	s_add_i32 s10, s10, 8
	s_cmp_lg_u32 s10, 16
                                        ; kill: killed $vgpr6
	s_waitcnt vmcnt(1)
	v_add_u32_e32 v6, v9, v14
	s_waitcnt vmcnt(0)
	v_add_u32_e32 v8, v15, v8
	buffer_store_dword v8, v5, s[0:3], 0 offen offset:4
	buffer_store_dword v6, v5, s[0:3], 0 offen
	s_cbranch_scc1 .LBB2058_543
; %bb.544:
	buffer_load_dword v2, off, s[0:3], 0 offset:176
	buffer_load_dword v3, off, s[0:3], 0 offset:180
	;; [unrolled: 1-line block ×4, first 2 shown]
.LBB2058_545:
	s_or_b64 exec, exec, s[6:7]
	buffer_load_ubyte v6, off, s[0:3], 0 offset:304
	v_and_b32_e32 v1, 1, v1
	v_cmp_eq_u32_e64 s[6:7], 1, v1
	s_or_b64 s[8:9], s[6:7], s[8:9]
	v_cndmask_b32_e64 v1, 0, 1, s[8:9]
	s_waitcnt vmcnt(3)
	buffer_store_dword v3, off, s[0:3], 0 offset:100
	buffer_store_dword v2, off, s[0:3], 0 offset:96
	s_waitcnt vmcnt(3)
	buffer_store_dword v5, off, s[0:3], 0 offset:108
	buffer_store_dword v4, off, s[0:3], 0 offset:104
	buffer_store_dword v5, v11, s[0:3], 0 offen offset:12
	buffer_store_dword v4, v11, s[0:3], 0 offen offset:8
	;; [unrolled: 1-line block ×3, first 2 shown]
	buffer_store_dword v2, v11, s[0:3], 0 offen
	buffer_store_byte v1, off, s[0:3], 0 offset:284
                                        ; implicit-def: $vgpr4_vgpr5
                                        ; implicit-def: $vgpr2_vgpr3
	s_waitcnt vmcnt(9)
	v_cmp_ne_u16_e64 s[6:7], 0, v6
	s_and_saveexec_b64 s[10:11], s[6:7]
	s_xor_b64 s[6:7], exec, s[10:11]
	s_cbranch_execz .LBB2058_547
; %bb.546:
	buffer_load_dword v2, off, s[0:3], 0 offset:288
	buffer_load_dword v3, off, s[0:3], 0 offset:292
	;; [unrolled: 1-line block ×4, first 2 shown]
.LBB2058_547:
	s_andn2_saveexec_b64 s[6:7], s[6:7]
	s_cbranch_execz .LBB2058_553
; %bb.548:
	s_mov_b32 s10, 0
	v_mov_b32_e32 v1, 0xb0
	s_waitcnt vmcnt(3)
	v_mov_b32_e32 v2, 0
	s_waitcnt vmcnt(0)
.LBB2058_549:                           ; =>This Inner Loop Header: Depth=1
	v_add_u32_e32 v3, s10, v1
	s_add_i32 s10, s10, 8
	s_cmp_lg_u32 s10, 16
	buffer_store_dword v2, v3, s[0:3], 0 offen offset:4
	buffer_store_dword v2, v3, s[0:3], 0 offen
	s_cbranch_scc1 .LBB2058_549
; %bb.550:
	s_mov_b32 s10, 0
	v_mov_b32_e32 v1, 0x60
	v_mov_b32_e32 v2, 0xd0
	;; [unrolled: 1-line block ×3, first 2 shown]
.LBB2058_551:                           ; =>This Inner Loop Header: Depth=1
	v_add_u32_e32 v4, s10, v1
	v_add_u32_e32 v5, s10, v2
	buffer_load_dword v8, v4, s[0:3], 0 offen offset:4
	buffer_load_dword v9, v5, s[0:3], 0 offen offset:80
	buffer_load_dword v14, v4, s[0:3], 0 offen
	buffer_load_dword v15, v5, s[0:3], 0 offen offset:84
                                        ; kill: killed $vgpr4
	v_add_u32_e32 v4, s10, v3
	s_add_i32 s10, s10, 8
	s_cmp_lg_u32 s10, 16
                                        ; kill: killed $vgpr5
	s_waitcnt vmcnt(1)
	v_add_u32_e32 v5, v9, v14
	s_waitcnt vmcnt(0)
	v_add_u32_e32 v8, v15, v8
	buffer_store_dword v8, v4, s[0:3], 0 offen offset:4
	buffer_store_dword v5, v4, s[0:3], 0 offen
	s_cbranch_scc1 .LBB2058_551
; %bb.552:
	buffer_load_dword v2, off, s[0:3], 0 offset:176
	buffer_load_dword v3, off, s[0:3], 0 offset:180
	;; [unrolled: 1-line block ×4, first 2 shown]
.LBB2058_553:
	s_or_b64 exec, exec, s[6:7]
	v_and_b32_e32 v1, 1, v6
	v_cmp_eq_u32_e64 s[6:7], 1, v1
	s_waitcnt vmcnt(0)
	buffer_store_dword v5, v12, s[0:3], 0 offen offset:12
	buffer_store_dword v4, v12, s[0:3], 0 offen offset:8
	;; [unrolled: 1-line block ×3, first 2 shown]
	v_mov_b32_e32 v1, 0
	ds_read2_b32 v[4:5], v1 offset0:17 offset1:18
	ds_read_u8 v3, v1 offset:76
	ds_read2_b32 v[8:9], v1 offset0:15 offset1:16
	s_or_b64 s[6:7], s[6:7], s[8:9]
	v_cndmask_b32_e64 v6, 0, 1, s[6:7]
	buffer_store_dword v2, v12, s[0:3], 0 offen
	buffer_store_byte v6, off, s[0:3], 0 offset:304
	s_waitcnt lgkmcnt(2)
	buffer_store_dword v5, off, s[0:3], 0 offset:88
	buffer_store_dword v4, off, s[0:3], 0 offset:84
	s_waitcnt lgkmcnt(0)
	buffer_store_dword v9, off, s[0:3], 0 offset:80
	buffer_store_dword v8, off, s[0:3], 0 offset:76
	buffer_store_byte v3, off, s[0:3], 0 offset:92
	s_and_saveexec_b64 s[6:7], vcc
	s_cbranch_execz .LBB2058_555
; %bb.554:
	buffer_load_dword v14, off, s[0:3], 0 offset:76
	buffer_load_dword v15, off, s[0:3], 0 offset:80
	;; [unrolled: 1-line block ×4, first 2 shown]
	v_mov_b32_e32 v2, 2
	global_store_byte v1, v3, s[22:23] offset:1296
	s_waitcnt vmcnt(1)
	global_store_dwordx4 v1, v[14:17], s[22:23] offset:1280
	s_waitcnt vmcnt(0)
	buffer_wbinvl1_vol
	global_store_byte v1, v2, s[24:25] offset:64
.LBB2058_555:
	s_or_b64 exec, exec, s[6:7]
.LBB2058_556:
	s_mov_b32 s6, 0
	v_mov_b32_e32 v1, 0x60
	v_mov_b32_e32 v2, 0
.LBB2058_557:                           ; =>This Inner Loop Header: Depth=1
	v_add_u32_e32 v3, s6, v1
	s_add_i32 s6, s6, 8
	s_cmp_lg_u32 s6, 16
	buffer_store_dword v2, v3, s[0:3], 0 offen offset:4
	buffer_store_dword v2, v3, s[0:3], 0 offen
	s_cbranch_scc1 .LBB2058_557
; %bb.558:
	s_mov_b32 s6, 16
	v_mov_b32_e32 v1, 0x60
	v_mov_b32_e32 v2, 0
.LBB2058_559:                           ; =>This Inner Loop Header: Depth=1
	v_add_u32_e32 v3, s6, v1
	s_add_i32 s6, s6, 8
	s_cmp_lg_u32 s6, 32
	buffer_store_dword v2, v3, s[0:3], 0 offen offset:4
	buffer_store_dword v2, v3, s[0:3], 0 offen
	s_cbranch_scc1 .LBB2058_559
; %bb.560:
	;; [unrolled: 11-line block ×4, first 2 shown]
	s_mov_b32 s6, 64
	v_mov_b32_e32 v1, 0x60
	v_mov_b32_e32 v2, 0
.LBB2058_565:                           ; =>This Inner Loop Header: Depth=1
	v_add_u32_e32 v3, s6, v1
	s_add_i32 s6, s6, 8
	s_cmpk_lg_i32 s6, 0x50
	buffer_store_dword v2, v3, s[0:3], 0 offen offset:4
	buffer_store_dword v2, v3, s[0:3], 0 offen
	s_cbranch_scc1 .LBB2058_565
; %bb.566:
	s_add_u32 s6, s18, s28
	s_addc_u32 s7, s19, s29
	v_mov_b32_e32 v1, 0x60
	s_add_u32 s8, s6, s30
	v_add_u32_e32 v4, 64, v1
	v_add_u32_e32 v5, 48, v1
	;; [unrolled: 1-line block ×4, first 2 shown]
	s_addc_u32 s9, s7, s31
	s_and_b64 vcc, exec, s[4:5]
	s_cbranch_vccz .LBB2058_582
; %bb.567:
	s_add_i32 s27, s27, s26
	v_mul_u32_u24_e32 v1, 5, v0
	v_cmp_gt_u32_e32 vcc, s27, v1
	s_and_saveexec_b64 s[4:5], vcc
	s_cbranch_execz .LBB2058_573
; %bb.568:
	buffer_load_dword v2, off, s[0:3], 0 offset:220
	buffer_load_dword v3, off, s[0:3], 0 offset:216
	;; [unrolled: 1-line block ×4, first 2 shown]
	v_add_u32_e32 v15, 1, v1
	v_cmp_gt_u32_e32 vcc, s27, v15
	s_waitcnt vmcnt(3)
	buffer_store_dword v2, off, s[0:3], 0 offset:108
	s_waitcnt vmcnt(3)
	buffer_store_dword v3, off, s[0:3], 0 offset:104
	;; [unrolled: 2-line block ×4, first 2 shown]
	s_and_b64 exec, exec, vcc
	s_cbranch_execz .LBB2058_573
; %bb.569:
	buffer_load_dword v2, v7, s[0:3], 0 offen offset:12
	buffer_load_dword v3, v7, s[0:3], 0 offen offset:8
	buffer_load_dword v9, v7, s[0:3], 0 offen offset:4
	buffer_load_dword v14, v7, s[0:3], 0 offen
	v_add_u32_e32 v15, 2, v1
	v_cmp_gt_u32_e32 vcc, s27, v15
	s_waitcnt vmcnt(3)
	buffer_store_dword v2, v8, s[0:3], 0 offen offset:12
	s_waitcnt vmcnt(3)
	buffer_store_dword v3, v8, s[0:3], 0 offen offset:8
	s_waitcnt vmcnt(3)
	buffer_store_dword v9, v8, s[0:3], 0 offen offset:4
	s_waitcnt vmcnt(3)
	buffer_store_dword v14, v8, s[0:3], 0 offen
	s_and_b64 exec, exec, vcc
	s_cbranch_execz .LBB2058_573
; %bb.570:
	buffer_load_dword v2, v10, s[0:3], 0 offen offset:12
	buffer_load_dword v3, v10, s[0:3], 0 offen offset:8
	buffer_load_dword v9, v10, s[0:3], 0 offen offset:4
	buffer_load_dword v14, v10, s[0:3], 0 offen
	v_add_u32_e32 v15, 3, v1
	v_cmp_gt_u32_e32 vcc, s27, v15
	s_waitcnt vmcnt(3)
	buffer_store_dword v2, v6, s[0:3], 0 offen offset:12
	s_waitcnt vmcnt(3)
	buffer_store_dword v3, v6, s[0:3], 0 offen offset:8
	s_waitcnt vmcnt(3)
	buffer_store_dword v9, v6, s[0:3], 0 offen offset:4
	s_waitcnt vmcnt(3)
	buffer_store_dword v14, v6, s[0:3], 0 offen
	;; [unrolled: 17-line block ×3, first 2 shown]
	s_and_b64 exec, exec, vcc
	s_cbranch_execz .LBB2058_573
; %bb.572:
	buffer_load_dword v2, v12, s[0:3], 0 offen offset:12
	buffer_load_dword v3, v12, s[0:3], 0 offen offset:8
	;; [unrolled: 1-line block ×3, first 2 shown]
	buffer_load_dword v14, v12, s[0:3], 0 offen
	s_waitcnt vmcnt(3)
	buffer_store_dword v2, v4, s[0:3], 0 offen offset:12
	s_waitcnt vmcnt(3)
	buffer_store_dword v3, v4, s[0:3], 0 offen offset:8
	;; [unrolled: 2-line block ×3, first 2 shown]
	s_waitcnt vmcnt(3)
	buffer_store_dword v14, v4, s[0:3], 0 offen
.LBB2058_573:
	s_or_b64 exec, exec, s[4:5]
	s_barrier
	buffer_load_dword v14, off, s[0:3], 0 offset:96
	buffer_load_dword v15, off, s[0:3], 0 offset:100
	buffer_load_dword v16, off, s[0:3], 0 offset:104
	buffer_load_dword v17, off, s[0:3], 0 offset:108
	buffer_load_dword v18, v8, s[0:3], 0 offen
	buffer_load_dword v19, v8, s[0:3], 0 offen offset:4
	buffer_load_dword v20, v8, s[0:3], 0 offen offset:8
	buffer_load_dword v21, v8, s[0:3], 0 offen offset:12
	buffer_load_dword v22, v6, s[0:3], 0 offen
	buffer_load_dword v23, v6, s[0:3], 0 offen offset:4
	buffer_load_dword v24, v6, s[0:3], 0 offen offset:8
	buffer_load_dword v25, v6, s[0:3], 0 offen offset:12
	;; [unrolled: 4-line block ×4, first 2 shown]
	v_lshlrev_b32_e32 v2, 4, v1
	v_lshlrev_b32_e32 v3, 6, v0
	v_sub_u32_e32 v9, v2, v3
	v_mov_b32_e32 v34, s9
	v_mov_b32_e32 v1, 0
	s_waitcnt vmcnt(16)
	ds_write_b128 v2, v[14:17]
	s_waitcnt vmcnt(12)
	ds_write_b128 v2, v[18:21] offset:16
	s_waitcnt vmcnt(8)
	ds_write_b128 v2, v[22:25] offset:32
	;; [unrolled: 2-line block ×4, first 2 shown]
	s_waitcnt lgkmcnt(0)
	s_barrier
	ds_read_b128 v[14:17], v9 offset:4096
	ds_read_b128 v[18:21], v9 offset:8192
	;; [unrolled: 1-line block ×4, first 2 shown]
	v_add_co_u32_e32 v2, vcc, s8, v13
	v_addc_co_u32_e32 v3, vcc, 0, v34, vcc
	v_cmp_gt_u32_e32 vcc, s27, v0
	s_waitcnt lgkmcnt(3)
	buffer_store_dword v17, v8, s[0:3], 0 offen offset:12
	buffer_store_dword v16, v8, s[0:3], 0 offen offset:8
	buffer_store_dword v15, v8, s[0:3], 0 offen offset:4
	buffer_store_dword v14, v8, s[0:3], 0 offen
	s_waitcnt lgkmcnt(2)
	buffer_store_dword v21, v6, s[0:3], 0 offen offset:12
	buffer_store_dword v20, v6, s[0:3], 0 offen offset:8
	buffer_store_dword v19, v6, s[0:3], 0 offen offset:4
	buffer_store_dword v18, v6, s[0:3], 0 offen
	;; [unrolled: 5-line block ×4, first 2 shown]
	s_and_saveexec_b64 s[4:5], vcc
	s_cbranch_execz .LBB2058_575
; %bb.574:
	ds_read2_b32 v[16:17], v9 offset0:2 offset1:3
	ds_read2_b32 v[14:15], v9 offset1:1
	s_waitcnt lgkmcnt(0)
	flat_store_dwordx4 v[2:3], v[14:17]
.LBB2058_575:
	s_or_b64 exec, exec, s[4:5]
	v_or_b32_e32 v9, 0x100, v0
	v_cmp_gt_u32_e32 vcc, s27, v9
	s_and_saveexec_b64 s[4:5], vcc
	s_cbranch_execz .LBB2058_577
; %bb.576:
	buffer_load_dword v14, v8, s[0:3], 0 offen
	buffer_load_dword v15, v8, s[0:3], 0 offen offset:4
	buffer_load_dword v16, v8, s[0:3], 0 offen offset:8
	buffer_load_dword v17, v8, s[0:3], 0 offen offset:12
	v_add_co_u32_e32 v18, vcc, 0x1000, v2
	v_addc_co_u32_e32 v19, vcc, 0, v3, vcc
	s_waitcnt vmcnt(0)
	flat_store_dwordx4 v[18:19], v[14:17]
.LBB2058_577:
	s_or_b64 exec, exec, s[4:5]
	v_or_b32_e32 v9, 0x200, v0
	v_cmp_gt_u32_e32 vcc, s27, v9
	s_and_saveexec_b64 s[4:5], vcc
	s_cbranch_execz .LBB2058_579
; %bb.578:
	buffer_load_dword v14, v6, s[0:3], 0 offen
	buffer_load_dword v15, v6, s[0:3], 0 offen offset:4
	buffer_load_dword v16, v6, s[0:3], 0 offen offset:8
	buffer_load_dword v17, v6, s[0:3], 0 offen offset:12
	v_add_co_u32_e32 v18, vcc, 0x2000, v2
	v_addc_co_u32_e32 v19, vcc, 0, v3, vcc
	s_waitcnt vmcnt(0)
	flat_store_dwordx4 v[18:19], v[14:17]
.LBB2058_579:
	;; [unrolled: 15-line block ×3, first 2 shown]
	s_or_b64 exec, exec, s[4:5]
	v_or_b32_e32 v2, 0x400, v0
	v_cmp_gt_u32_e64 s[4:5], s27, v2
	s_branch .LBB2058_584
.LBB2058_582:
	s_mov_b64 s[4:5], 0
	s_cbranch_execz .LBB2058_584
; %bb.583:
	buffer_load_dword v1, off, s[0:3], 0 offset:220
	buffer_load_dword v2, off, s[0:3], 0 offset:216
	;; [unrolled: 1-line block ×4, first 2 shown]
	buffer_load_dword v14, v7, s[0:3], 0 offen offset:12
	buffer_load_dword v15, v7, s[0:3], 0 offen offset:8
	buffer_load_dword v16, v7, s[0:3], 0 offen offset:4
	buffer_load_dword v17, v7, s[0:3], 0 offen
	buffer_load_dword v18, v10, s[0:3], 0 offen offset:12
	buffer_load_dword v19, v10, s[0:3], 0 offen offset:8
	buffer_load_dword v20, v10, s[0:3], 0 offen offset:4
	buffer_load_dword v21, v10, s[0:3], 0 offen
	;; [unrolled: 4-line block ×3, first 2 shown]
	buffer_load_dword v26, v12, s[0:3], 0 offen offset:12
	buffer_load_dword v27, v12, s[0:3], 0 offen offset:8
	;; [unrolled: 1-line block ×3, first 2 shown]
                                        ; kill: killed $vgpr7
                                        ; kill: killed $vgpr10
                                        ; kill: killed $vgpr11
	buffer_load_dword v7, v12, s[0:3], 0 offen
	s_movk_i32 s6, 0x1000
	s_movk_i32 s7, 0x2000
	s_or_b64 s[4:5], s[4:5], exec
	s_waitcnt vmcnt(0)
	buffer_store_dword v1, off, s[0:3], 0 offset:108
	buffer_store_dword v2, off, s[0:3], 0 offset:104
	;; [unrolled: 1-line block ×4, first 2 shown]
	buffer_store_dword v14, v8, s[0:3], 0 offen offset:12
	buffer_store_dword v15, v8, s[0:3], 0 offen offset:8
	buffer_store_dword v16, v8, s[0:3], 0 offen offset:4
	buffer_store_dword v17, v8, s[0:3], 0 offen
	buffer_store_dword v18, v6, s[0:3], 0 offen offset:12
	buffer_store_dword v19, v6, s[0:3], 0 offen offset:8
	buffer_store_dword v20, v6, s[0:3], 0 offen offset:4
	buffer_store_dword v21, v6, s[0:3], 0 offen
	;; [unrolled: 4-line block ×4, first 2 shown]
	s_waitcnt lgkmcnt(0)
	s_barrier
	buffer_load_dword v14, off, s[0:3], 0 offset:96
	buffer_load_dword v15, off, s[0:3], 0 offset:100
	;; [unrolled: 1-line block ×4, first 2 shown]
	buffer_load_dword v18, v8, s[0:3], 0 offen
	buffer_load_dword v19, v8, s[0:3], 0 offen offset:4
	buffer_load_dword v20, v8, s[0:3], 0 offen offset:8
	buffer_load_dword v21, v8, s[0:3], 0 offen offset:12
	buffer_load_dword v22, v6, s[0:3], 0 offen
	buffer_load_dword v23, v6, s[0:3], 0 offen offset:4
	buffer_load_dword v24, v6, s[0:3], 0 offen offset:8
	buffer_load_dword v25, v6, s[0:3], 0 offen offset:12
	;; [unrolled: 4-line block ×4, first 2 shown]
	v_mul_u32_u24_e32 v1, 0x50, v0
	v_lshlrev_b32_e32 v2, 6, v0
	v_sub_u32_e32 v7, v1, v2
	v_mov_b32_e32 v3, s9
	v_add_co_u32_e32 v2, vcc, s8, v13
	v_addc_co_u32_e32 v3, vcc, 0, v3, vcc
	v_add_co_u32_e32 v34, vcc, s6, v2
	v_addc_co_u32_e32 v35, vcc, 0, v3, vcc
	;; [unrolled: 2-line block ×3, first 2 shown]
	s_waitcnt vmcnt(16)
	ds_write_b128 v1, v[14:17]
	s_waitcnt vmcnt(12)
	ds_write_b128 v1, v[18:21] offset:16
	s_waitcnt vmcnt(8)
	ds_write_b128 v1, v[22:25] offset:32
	;; [unrolled: 2-line block ×4, first 2 shown]
	s_waitcnt lgkmcnt(0)
	s_barrier
	ds_read_b128 v[10:13], v7 offset:4096
	ds_read_b128 v[14:17], v7 offset:8192
	;; [unrolled: 1-line block ×4, first 2 shown]
	ds_read2_b32 v[28:29], v7 offset0:2 offset1:3
	ds_read2_b32 v[26:27], v7 offset1:1
	s_waitcnt lgkmcnt(5)
	buffer_store_dword v13, v8, s[0:3], 0 offen offset:12
	buffer_store_dword v12, v8, s[0:3], 0 offen offset:8
	buffer_store_dword v11, v8, s[0:3], 0 offen offset:4
	buffer_store_dword v10, v8, s[0:3], 0 offen
	s_waitcnt lgkmcnt(4)
	buffer_store_dword v17, v6, s[0:3], 0 offen offset:12
	buffer_store_dword v16, v6, s[0:3], 0 offen offset:8
	buffer_store_dword v15, v6, s[0:3], 0 offen offset:4
	buffer_store_dword v14, v6, s[0:3], 0 offen
	s_waitcnt lgkmcnt(3)
	buffer_store_dword v21, v5, s[0:3], 0 offen offset:12
	buffer_store_dword v20, v5, s[0:3], 0 offen offset:8
	buffer_store_dword v19, v5, s[0:3], 0 offen offset:4
	buffer_store_dword v18, v5, s[0:3], 0 offen
	s_waitcnt lgkmcnt(2)
	buffer_store_dword v25, v4, s[0:3], 0 offen offset:12
	buffer_store_dword v24, v4, s[0:3], 0 offen offset:8
	buffer_store_dword v23, v4, s[0:3], 0 offen offset:4
	buffer_store_dword v22, v4, s[0:3], 0 offen
	s_waitcnt lgkmcnt(0)
	flat_store_dwordx4 v[2:3], v[26:29]
	flat_store_dwordx4 v[34:35], v[10:13]
	;; [unrolled: 1-line block ×3, first 2 shown]
	buffer_load_dword v6, v5, s[0:3], 0 offen
	buffer_load_dword v7, v5, s[0:3], 0 offen offset:4
	buffer_load_dword v8, v5, s[0:3], 0 offen offset:8
	;; [unrolled: 1-line block ×3, first 2 shown]
	v_add_co_u32_e32 v2, vcc, 0x3000, v2
	v_mov_b32_e32 v1, 0
	v_addc_co_u32_e32 v3, vcc, 0, v3, vcc
	s_waitcnt vmcnt(0)
	flat_store_dwordx4 v[2:3], v[6:9]
.LBB2058_584:
	s_and_saveexec_b64 s[6:7], s[4:5]
	s_cbranch_execnz .LBB2058_586
; %bb.585:
	s_endpgm
.LBB2058_586:
	buffer_load_dword v6, v4, s[0:3], 0 offen
	buffer_load_dword v7, v4, s[0:3], 0 offen offset:4
	buffer_load_dword v8, v4, s[0:3], 0 offen offset:8
	;; [unrolled: 1-line block ×3, first 2 shown]
	v_lshlrev_b64 v[0:1], 4, v[0:1]
	v_mov_b32_e32 v2, s9
	v_add_co_u32_e32 v0, vcc, s8, v0
	v_addc_co_u32_e32 v1, vcc, v2, v1, vcc
	v_add_co_u32_e32 v0, vcc, 0x4000, v0
	v_addc_co_u32_e32 v1, vcc, 0, v1, vcc
	s_waitcnt vmcnt(0)
	flat_store_dwordx4 v[0:1], v[6:9]
	s_endpgm
.LBB2058_587:
	v_mov_b32_e32 v21, s33
	v_add_co_u32_e32 v20, vcc, s9, v20
	v_addc_co_u32_e32 v21, vcc, 0, v21, vcc
	flat_load_dwordx4 v[20:23], v[20:21]
	s_waitcnt vmcnt(0) lgkmcnt(0)
	buffer_store_dword v21, off, s[0:3], 0 offset:100
	buffer_store_dword v20, off, s[0:3], 0 offset:96
	buffer_store_dword v23, off, s[0:3], 0 offset:108
	buffer_store_dword v22, off, s[0:3], 0 offset:104
	s_or_b64 exec, exec, s[36:37]
	s_and_saveexec_b64 s[6:7], s[16:17]
	s_cbranch_execz .LBB2058_357
.LBB2058_588:
	v_lshlrev_b32_e32 v15, 4, v15
	v_mov_b32_e32 v21, s33
	v_add_co_u32_e32 v20, vcc, s9, v15
	v_addc_co_u32_e32 v21, vcc, 0, v21, vcc
	flat_load_dwordx4 v[20:23], v[20:21]
	s_waitcnt vmcnt(0) lgkmcnt(0)
	buffer_store_dword v21, off, s[0:3], 0 offset:116
	buffer_store_dword v20, off, s[0:3], 0 offset:112
	;; [unrolled: 1-line block ×4, first 2 shown]
	s_or_b64 exec, exec, s[6:7]
	s_and_saveexec_b64 s[6:7], s[10:11]
	s_cbranch_execz .LBB2058_358
.LBB2058_589:
	v_lshlrev_b32_e32 v15, 4, v16
	v_mov_b32_e32 v16, s33
	v_add_co_u32_e32 v20, vcc, s9, v15
	v_addc_co_u32_e32 v21, vcc, 0, v16, vcc
	flat_load_dwordx4 v[20:23], v[20:21]
	s_waitcnt vmcnt(0) lgkmcnt(0)
	buffer_store_dword v21, off, s[0:3], 0 offset:132
	buffer_store_dword v20, off, s[0:3], 0 offset:128
	;; [unrolled: 1-line block ×4, first 2 shown]
	s_or_b64 exec, exec, s[6:7]
	s_and_saveexec_b64 s[6:7], s[12:13]
	s_cbranch_execz .LBB2058_359
.LBB2058_590:
	v_lshlrev_b32_e32 v15, 4, v17
	v_mov_b32_e32 v17, s33
	v_add_co_u32_e32 v16, vcc, s9, v15
	v_addc_co_u32_e32 v17, vcc, 0, v17, vcc
	flat_load_dwordx4 v[20:23], v[16:17]
	s_waitcnt vmcnt(0) lgkmcnt(0)
	buffer_store_dword v21, off, s[0:3], 0 offset:148
	buffer_store_dword v20, off, s[0:3], 0 offset:144
	;; [unrolled: 1-line block ×4, first 2 shown]
	s_or_b64 exec, exec, s[6:7]
	s_and_saveexec_b64 s[6:7], s[14:15]
	s_cbranch_execnz .LBB2058_360
	s_branch .LBB2058_361
.LBB2058_591:
                                        ; implicit-def: $sgpr36_sgpr37
	s_branch .LBB2058_352
.LBB2058_592:
                                        ; implicit-def: $sgpr6_sgpr7
	s_branch .LBB2058_373
	.section	.rodata,"a",@progbits
	.p2align	6, 0x0
	.amdhsa_kernel _ZN7rocprim17ROCPRIM_400000_NS6detail17trampoline_kernelINS0_14default_configENS1_27scan_by_key_config_selectorIj11FixedVectorIiLj4EEEEZZNS1_16scan_by_key_implILNS1_25lookback_scan_determinismE0ELb0ES3_N6thrust23THRUST_200600_302600_NS6detail15normal_iteratorINSB_10device_ptrIjEEEENSD_INSE_IS6_EEEESI_S6_NSB_4plusIvEENSB_8equal_toIvEES6_EE10hipError_tPvRmT2_T3_T4_T5_mT6_T7_P12ihipStream_tbENKUlT_T0_E_clISt17integral_constantIbLb1EES12_IbLb0EEEEDaSY_SZ_EUlSY_E_NS1_11comp_targetILNS1_3genE4ELNS1_11target_archE910ELNS1_3gpuE8ELNS1_3repE0EEENS1_30default_config_static_selectorELNS0_4arch9wavefront6targetE1EEEvT1_
		.amdhsa_group_segment_fixed_size 20480
		.amdhsa_private_segment_fixed_size 320
		.amdhsa_kernarg_size 144
		.amdhsa_user_sgpr_count 8
		.amdhsa_user_sgpr_private_segment_buffer 1
		.amdhsa_user_sgpr_dispatch_ptr 0
		.amdhsa_user_sgpr_queue_ptr 0
		.amdhsa_user_sgpr_kernarg_segment_ptr 1
		.amdhsa_user_sgpr_dispatch_id 0
		.amdhsa_user_sgpr_flat_scratch_init 1
		.amdhsa_user_sgpr_kernarg_preload_length 0
		.amdhsa_user_sgpr_kernarg_preload_offset 0
		.amdhsa_user_sgpr_private_segment_size 0
		.amdhsa_uses_dynamic_stack 0
		.amdhsa_system_sgpr_private_segment_wavefront_offset 1
		.amdhsa_system_sgpr_workgroup_id_x 1
		.amdhsa_system_sgpr_workgroup_id_y 0
		.amdhsa_system_sgpr_workgroup_id_z 0
		.amdhsa_system_sgpr_workgroup_info 0
		.amdhsa_system_vgpr_workitem_id 0
		.amdhsa_next_free_vgpr 43
		.amdhsa_next_free_sgpr 51
		.amdhsa_accum_offset 44
		.amdhsa_reserve_vcc 1
		.amdhsa_reserve_flat_scratch 1
		.amdhsa_float_round_mode_32 0
		.amdhsa_float_round_mode_16_64 0
		.amdhsa_float_denorm_mode_32 3
		.amdhsa_float_denorm_mode_16_64 3
		.amdhsa_dx10_clamp 1
		.amdhsa_ieee_mode 1
		.amdhsa_fp16_overflow 0
		.amdhsa_tg_split 0
		.amdhsa_exception_fp_ieee_invalid_op 0
		.amdhsa_exception_fp_denorm_src 0
		.amdhsa_exception_fp_ieee_div_zero 0
		.amdhsa_exception_fp_ieee_overflow 0
		.amdhsa_exception_fp_ieee_underflow 0
		.amdhsa_exception_fp_ieee_inexact 0
		.amdhsa_exception_int_div_zero 0
	.end_amdhsa_kernel
	.section	.text._ZN7rocprim17ROCPRIM_400000_NS6detail17trampoline_kernelINS0_14default_configENS1_27scan_by_key_config_selectorIj11FixedVectorIiLj4EEEEZZNS1_16scan_by_key_implILNS1_25lookback_scan_determinismE0ELb0ES3_N6thrust23THRUST_200600_302600_NS6detail15normal_iteratorINSB_10device_ptrIjEEEENSD_INSE_IS6_EEEESI_S6_NSB_4plusIvEENSB_8equal_toIvEES6_EE10hipError_tPvRmT2_T3_T4_T5_mT6_T7_P12ihipStream_tbENKUlT_T0_E_clISt17integral_constantIbLb1EES12_IbLb0EEEEDaSY_SZ_EUlSY_E_NS1_11comp_targetILNS1_3genE4ELNS1_11target_archE910ELNS1_3gpuE8ELNS1_3repE0EEENS1_30default_config_static_selectorELNS0_4arch9wavefront6targetE1EEEvT1_,"axG",@progbits,_ZN7rocprim17ROCPRIM_400000_NS6detail17trampoline_kernelINS0_14default_configENS1_27scan_by_key_config_selectorIj11FixedVectorIiLj4EEEEZZNS1_16scan_by_key_implILNS1_25lookback_scan_determinismE0ELb0ES3_N6thrust23THRUST_200600_302600_NS6detail15normal_iteratorINSB_10device_ptrIjEEEENSD_INSE_IS6_EEEESI_S6_NSB_4plusIvEENSB_8equal_toIvEES6_EE10hipError_tPvRmT2_T3_T4_T5_mT6_T7_P12ihipStream_tbENKUlT_T0_E_clISt17integral_constantIbLb1EES12_IbLb0EEEEDaSY_SZ_EUlSY_E_NS1_11comp_targetILNS1_3genE4ELNS1_11target_archE910ELNS1_3gpuE8ELNS1_3repE0EEENS1_30default_config_static_selectorELNS0_4arch9wavefront6targetE1EEEvT1_,comdat
.Lfunc_end2058:
	.size	_ZN7rocprim17ROCPRIM_400000_NS6detail17trampoline_kernelINS0_14default_configENS1_27scan_by_key_config_selectorIj11FixedVectorIiLj4EEEEZZNS1_16scan_by_key_implILNS1_25lookback_scan_determinismE0ELb0ES3_N6thrust23THRUST_200600_302600_NS6detail15normal_iteratorINSB_10device_ptrIjEEEENSD_INSE_IS6_EEEESI_S6_NSB_4plusIvEENSB_8equal_toIvEES6_EE10hipError_tPvRmT2_T3_T4_T5_mT6_T7_P12ihipStream_tbENKUlT_T0_E_clISt17integral_constantIbLb1EES12_IbLb0EEEEDaSY_SZ_EUlSY_E_NS1_11comp_targetILNS1_3genE4ELNS1_11target_archE910ELNS1_3gpuE8ELNS1_3repE0EEENS1_30default_config_static_selectorELNS0_4arch9wavefront6targetE1EEEvT1_, .Lfunc_end2058-_ZN7rocprim17ROCPRIM_400000_NS6detail17trampoline_kernelINS0_14default_configENS1_27scan_by_key_config_selectorIj11FixedVectorIiLj4EEEEZZNS1_16scan_by_key_implILNS1_25lookback_scan_determinismE0ELb0ES3_N6thrust23THRUST_200600_302600_NS6detail15normal_iteratorINSB_10device_ptrIjEEEENSD_INSE_IS6_EEEESI_S6_NSB_4plusIvEENSB_8equal_toIvEES6_EE10hipError_tPvRmT2_T3_T4_T5_mT6_T7_P12ihipStream_tbENKUlT_T0_E_clISt17integral_constantIbLb1EES12_IbLb0EEEEDaSY_SZ_EUlSY_E_NS1_11comp_targetILNS1_3genE4ELNS1_11target_archE910ELNS1_3gpuE8ELNS1_3repE0EEENS1_30default_config_static_selectorELNS0_4arch9wavefront6targetE1EEEvT1_
                                        ; -- End function
	.section	.AMDGPU.csdata,"",@progbits
; Kernel info:
; codeLenInByte = 29864
; NumSgprs: 57
; NumVgprs: 43
; NumAgprs: 0
; TotalNumVgprs: 43
; ScratchSize: 320
; MemoryBound: 0
; FloatMode: 240
; IeeeMode: 1
; LDSByteSize: 20480 bytes/workgroup (compile time only)
; SGPRBlocks: 7
; VGPRBlocks: 5
; NumSGPRsForWavesPerEU: 57
; NumVGPRsForWavesPerEU: 43
; AccumOffset: 44
; Occupancy: 3
; WaveLimiterHint : 1
; COMPUTE_PGM_RSRC2:SCRATCH_EN: 1
; COMPUTE_PGM_RSRC2:USER_SGPR: 8
; COMPUTE_PGM_RSRC2:TRAP_HANDLER: 0
; COMPUTE_PGM_RSRC2:TGID_X_EN: 1
; COMPUTE_PGM_RSRC2:TGID_Y_EN: 0
; COMPUTE_PGM_RSRC2:TGID_Z_EN: 0
; COMPUTE_PGM_RSRC2:TIDIG_COMP_CNT: 0
; COMPUTE_PGM_RSRC3_GFX90A:ACCUM_OFFSET: 10
; COMPUTE_PGM_RSRC3_GFX90A:TG_SPLIT: 0
	.section	.text._ZN7rocprim17ROCPRIM_400000_NS6detail17trampoline_kernelINS0_14default_configENS1_27scan_by_key_config_selectorIj11FixedVectorIiLj4EEEEZZNS1_16scan_by_key_implILNS1_25lookback_scan_determinismE0ELb0ES3_N6thrust23THRUST_200600_302600_NS6detail15normal_iteratorINSB_10device_ptrIjEEEENSD_INSE_IS6_EEEESI_S6_NSB_4plusIvEENSB_8equal_toIvEES6_EE10hipError_tPvRmT2_T3_T4_T5_mT6_T7_P12ihipStream_tbENKUlT_T0_E_clISt17integral_constantIbLb1EES12_IbLb0EEEEDaSY_SZ_EUlSY_E_NS1_11comp_targetILNS1_3genE3ELNS1_11target_archE908ELNS1_3gpuE7ELNS1_3repE0EEENS1_30default_config_static_selectorELNS0_4arch9wavefront6targetE1EEEvT1_,"axG",@progbits,_ZN7rocprim17ROCPRIM_400000_NS6detail17trampoline_kernelINS0_14default_configENS1_27scan_by_key_config_selectorIj11FixedVectorIiLj4EEEEZZNS1_16scan_by_key_implILNS1_25lookback_scan_determinismE0ELb0ES3_N6thrust23THRUST_200600_302600_NS6detail15normal_iteratorINSB_10device_ptrIjEEEENSD_INSE_IS6_EEEESI_S6_NSB_4plusIvEENSB_8equal_toIvEES6_EE10hipError_tPvRmT2_T3_T4_T5_mT6_T7_P12ihipStream_tbENKUlT_T0_E_clISt17integral_constantIbLb1EES12_IbLb0EEEEDaSY_SZ_EUlSY_E_NS1_11comp_targetILNS1_3genE3ELNS1_11target_archE908ELNS1_3gpuE7ELNS1_3repE0EEENS1_30default_config_static_selectorELNS0_4arch9wavefront6targetE1EEEvT1_,comdat
	.protected	_ZN7rocprim17ROCPRIM_400000_NS6detail17trampoline_kernelINS0_14default_configENS1_27scan_by_key_config_selectorIj11FixedVectorIiLj4EEEEZZNS1_16scan_by_key_implILNS1_25lookback_scan_determinismE0ELb0ES3_N6thrust23THRUST_200600_302600_NS6detail15normal_iteratorINSB_10device_ptrIjEEEENSD_INSE_IS6_EEEESI_S6_NSB_4plusIvEENSB_8equal_toIvEES6_EE10hipError_tPvRmT2_T3_T4_T5_mT6_T7_P12ihipStream_tbENKUlT_T0_E_clISt17integral_constantIbLb1EES12_IbLb0EEEEDaSY_SZ_EUlSY_E_NS1_11comp_targetILNS1_3genE3ELNS1_11target_archE908ELNS1_3gpuE7ELNS1_3repE0EEENS1_30default_config_static_selectorELNS0_4arch9wavefront6targetE1EEEvT1_ ; -- Begin function _ZN7rocprim17ROCPRIM_400000_NS6detail17trampoline_kernelINS0_14default_configENS1_27scan_by_key_config_selectorIj11FixedVectorIiLj4EEEEZZNS1_16scan_by_key_implILNS1_25lookback_scan_determinismE0ELb0ES3_N6thrust23THRUST_200600_302600_NS6detail15normal_iteratorINSB_10device_ptrIjEEEENSD_INSE_IS6_EEEESI_S6_NSB_4plusIvEENSB_8equal_toIvEES6_EE10hipError_tPvRmT2_T3_T4_T5_mT6_T7_P12ihipStream_tbENKUlT_T0_E_clISt17integral_constantIbLb1EES12_IbLb0EEEEDaSY_SZ_EUlSY_E_NS1_11comp_targetILNS1_3genE3ELNS1_11target_archE908ELNS1_3gpuE7ELNS1_3repE0EEENS1_30default_config_static_selectorELNS0_4arch9wavefront6targetE1EEEvT1_
	.globl	_ZN7rocprim17ROCPRIM_400000_NS6detail17trampoline_kernelINS0_14default_configENS1_27scan_by_key_config_selectorIj11FixedVectorIiLj4EEEEZZNS1_16scan_by_key_implILNS1_25lookback_scan_determinismE0ELb0ES3_N6thrust23THRUST_200600_302600_NS6detail15normal_iteratorINSB_10device_ptrIjEEEENSD_INSE_IS6_EEEESI_S6_NSB_4plusIvEENSB_8equal_toIvEES6_EE10hipError_tPvRmT2_T3_T4_T5_mT6_T7_P12ihipStream_tbENKUlT_T0_E_clISt17integral_constantIbLb1EES12_IbLb0EEEEDaSY_SZ_EUlSY_E_NS1_11comp_targetILNS1_3genE3ELNS1_11target_archE908ELNS1_3gpuE7ELNS1_3repE0EEENS1_30default_config_static_selectorELNS0_4arch9wavefront6targetE1EEEvT1_
	.p2align	8
	.type	_ZN7rocprim17ROCPRIM_400000_NS6detail17trampoline_kernelINS0_14default_configENS1_27scan_by_key_config_selectorIj11FixedVectorIiLj4EEEEZZNS1_16scan_by_key_implILNS1_25lookback_scan_determinismE0ELb0ES3_N6thrust23THRUST_200600_302600_NS6detail15normal_iteratorINSB_10device_ptrIjEEEENSD_INSE_IS6_EEEESI_S6_NSB_4plusIvEENSB_8equal_toIvEES6_EE10hipError_tPvRmT2_T3_T4_T5_mT6_T7_P12ihipStream_tbENKUlT_T0_E_clISt17integral_constantIbLb1EES12_IbLb0EEEEDaSY_SZ_EUlSY_E_NS1_11comp_targetILNS1_3genE3ELNS1_11target_archE908ELNS1_3gpuE7ELNS1_3repE0EEENS1_30default_config_static_selectorELNS0_4arch9wavefront6targetE1EEEvT1_,@function
_ZN7rocprim17ROCPRIM_400000_NS6detail17trampoline_kernelINS0_14default_configENS1_27scan_by_key_config_selectorIj11FixedVectorIiLj4EEEEZZNS1_16scan_by_key_implILNS1_25lookback_scan_determinismE0ELb0ES3_N6thrust23THRUST_200600_302600_NS6detail15normal_iteratorINSB_10device_ptrIjEEEENSD_INSE_IS6_EEEESI_S6_NSB_4plusIvEENSB_8equal_toIvEES6_EE10hipError_tPvRmT2_T3_T4_T5_mT6_T7_P12ihipStream_tbENKUlT_T0_E_clISt17integral_constantIbLb1EES12_IbLb0EEEEDaSY_SZ_EUlSY_E_NS1_11comp_targetILNS1_3genE3ELNS1_11target_archE908ELNS1_3gpuE7ELNS1_3repE0EEENS1_30default_config_static_selectorELNS0_4arch9wavefront6targetE1EEEvT1_: ; @_ZN7rocprim17ROCPRIM_400000_NS6detail17trampoline_kernelINS0_14default_configENS1_27scan_by_key_config_selectorIj11FixedVectorIiLj4EEEEZZNS1_16scan_by_key_implILNS1_25lookback_scan_determinismE0ELb0ES3_N6thrust23THRUST_200600_302600_NS6detail15normal_iteratorINSB_10device_ptrIjEEEENSD_INSE_IS6_EEEESI_S6_NSB_4plusIvEENSB_8equal_toIvEES6_EE10hipError_tPvRmT2_T3_T4_T5_mT6_T7_P12ihipStream_tbENKUlT_T0_E_clISt17integral_constantIbLb1EES12_IbLb0EEEEDaSY_SZ_EUlSY_E_NS1_11comp_targetILNS1_3genE3ELNS1_11target_archE908ELNS1_3gpuE7ELNS1_3repE0EEENS1_30default_config_static_selectorELNS0_4arch9wavefront6targetE1EEEvT1_
; %bb.0:
	.section	.rodata,"a",@progbits
	.p2align	6, 0x0
	.amdhsa_kernel _ZN7rocprim17ROCPRIM_400000_NS6detail17trampoline_kernelINS0_14default_configENS1_27scan_by_key_config_selectorIj11FixedVectorIiLj4EEEEZZNS1_16scan_by_key_implILNS1_25lookback_scan_determinismE0ELb0ES3_N6thrust23THRUST_200600_302600_NS6detail15normal_iteratorINSB_10device_ptrIjEEEENSD_INSE_IS6_EEEESI_S6_NSB_4plusIvEENSB_8equal_toIvEES6_EE10hipError_tPvRmT2_T3_T4_T5_mT6_T7_P12ihipStream_tbENKUlT_T0_E_clISt17integral_constantIbLb1EES12_IbLb0EEEEDaSY_SZ_EUlSY_E_NS1_11comp_targetILNS1_3genE3ELNS1_11target_archE908ELNS1_3gpuE7ELNS1_3repE0EEENS1_30default_config_static_selectorELNS0_4arch9wavefront6targetE1EEEvT1_
		.amdhsa_group_segment_fixed_size 0
		.amdhsa_private_segment_fixed_size 0
		.amdhsa_kernarg_size 144
		.amdhsa_user_sgpr_count 6
		.amdhsa_user_sgpr_private_segment_buffer 1
		.amdhsa_user_sgpr_dispatch_ptr 0
		.amdhsa_user_sgpr_queue_ptr 0
		.amdhsa_user_sgpr_kernarg_segment_ptr 1
		.amdhsa_user_sgpr_dispatch_id 0
		.amdhsa_user_sgpr_flat_scratch_init 0
		.amdhsa_user_sgpr_kernarg_preload_length 0
		.amdhsa_user_sgpr_kernarg_preload_offset 0
		.amdhsa_user_sgpr_private_segment_size 0
		.amdhsa_uses_dynamic_stack 0
		.amdhsa_system_sgpr_private_segment_wavefront_offset 0
		.amdhsa_system_sgpr_workgroup_id_x 1
		.amdhsa_system_sgpr_workgroup_id_y 0
		.amdhsa_system_sgpr_workgroup_id_z 0
		.amdhsa_system_sgpr_workgroup_info 0
		.amdhsa_system_vgpr_workitem_id 0
		.amdhsa_next_free_vgpr 1
		.amdhsa_next_free_sgpr 0
		.amdhsa_accum_offset 4
		.amdhsa_reserve_vcc 0
		.amdhsa_reserve_flat_scratch 0
		.amdhsa_float_round_mode_32 0
		.amdhsa_float_round_mode_16_64 0
		.amdhsa_float_denorm_mode_32 3
		.amdhsa_float_denorm_mode_16_64 3
		.amdhsa_dx10_clamp 1
		.amdhsa_ieee_mode 1
		.amdhsa_fp16_overflow 0
		.amdhsa_tg_split 0
		.amdhsa_exception_fp_ieee_invalid_op 0
		.amdhsa_exception_fp_denorm_src 0
		.amdhsa_exception_fp_ieee_div_zero 0
		.amdhsa_exception_fp_ieee_overflow 0
		.amdhsa_exception_fp_ieee_underflow 0
		.amdhsa_exception_fp_ieee_inexact 0
		.amdhsa_exception_int_div_zero 0
	.end_amdhsa_kernel
	.section	.text._ZN7rocprim17ROCPRIM_400000_NS6detail17trampoline_kernelINS0_14default_configENS1_27scan_by_key_config_selectorIj11FixedVectorIiLj4EEEEZZNS1_16scan_by_key_implILNS1_25lookback_scan_determinismE0ELb0ES3_N6thrust23THRUST_200600_302600_NS6detail15normal_iteratorINSB_10device_ptrIjEEEENSD_INSE_IS6_EEEESI_S6_NSB_4plusIvEENSB_8equal_toIvEES6_EE10hipError_tPvRmT2_T3_T4_T5_mT6_T7_P12ihipStream_tbENKUlT_T0_E_clISt17integral_constantIbLb1EES12_IbLb0EEEEDaSY_SZ_EUlSY_E_NS1_11comp_targetILNS1_3genE3ELNS1_11target_archE908ELNS1_3gpuE7ELNS1_3repE0EEENS1_30default_config_static_selectorELNS0_4arch9wavefront6targetE1EEEvT1_,"axG",@progbits,_ZN7rocprim17ROCPRIM_400000_NS6detail17trampoline_kernelINS0_14default_configENS1_27scan_by_key_config_selectorIj11FixedVectorIiLj4EEEEZZNS1_16scan_by_key_implILNS1_25lookback_scan_determinismE0ELb0ES3_N6thrust23THRUST_200600_302600_NS6detail15normal_iteratorINSB_10device_ptrIjEEEENSD_INSE_IS6_EEEESI_S6_NSB_4plusIvEENSB_8equal_toIvEES6_EE10hipError_tPvRmT2_T3_T4_T5_mT6_T7_P12ihipStream_tbENKUlT_T0_E_clISt17integral_constantIbLb1EES12_IbLb0EEEEDaSY_SZ_EUlSY_E_NS1_11comp_targetILNS1_3genE3ELNS1_11target_archE908ELNS1_3gpuE7ELNS1_3repE0EEENS1_30default_config_static_selectorELNS0_4arch9wavefront6targetE1EEEvT1_,comdat
.Lfunc_end2059:
	.size	_ZN7rocprim17ROCPRIM_400000_NS6detail17trampoline_kernelINS0_14default_configENS1_27scan_by_key_config_selectorIj11FixedVectorIiLj4EEEEZZNS1_16scan_by_key_implILNS1_25lookback_scan_determinismE0ELb0ES3_N6thrust23THRUST_200600_302600_NS6detail15normal_iteratorINSB_10device_ptrIjEEEENSD_INSE_IS6_EEEESI_S6_NSB_4plusIvEENSB_8equal_toIvEES6_EE10hipError_tPvRmT2_T3_T4_T5_mT6_T7_P12ihipStream_tbENKUlT_T0_E_clISt17integral_constantIbLb1EES12_IbLb0EEEEDaSY_SZ_EUlSY_E_NS1_11comp_targetILNS1_3genE3ELNS1_11target_archE908ELNS1_3gpuE7ELNS1_3repE0EEENS1_30default_config_static_selectorELNS0_4arch9wavefront6targetE1EEEvT1_, .Lfunc_end2059-_ZN7rocprim17ROCPRIM_400000_NS6detail17trampoline_kernelINS0_14default_configENS1_27scan_by_key_config_selectorIj11FixedVectorIiLj4EEEEZZNS1_16scan_by_key_implILNS1_25lookback_scan_determinismE0ELb0ES3_N6thrust23THRUST_200600_302600_NS6detail15normal_iteratorINSB_10device_ptrIjEEEENSD_INSE_IS6_EEEESI_S6_NSB_4plusIvEENSB_8equal_toIvEES6_EE10hipError_tPvRmT2_T3_T4_T5_mT6_T7_P12ihipStream_tbENKUlT_T0_E_clISt17integral_constantIbLb1EES12_IbLb0EEEEDaSY_SZ_EUlSY_E_NS1_11comp_targetILNS1_3genE3ELNS1_11target_archE908ELNS1_3gpuE7ELNS1_3repE0EEENS1_30default_config_static_selectorELNS0_4arch9wavefront6targetE1EEEvT1_
                                        ; -- End function
	.section	.AMDGPU.csdata,"",@progbits
; Kernel info:
; codeLenInByte = 0
; NumSgprs: 4
; NumVgprs: 0
; NumAgprs: 0
; TotalNumVgprs: 0
; ScratchSize: 0
; MemoryBound: 0
; FloatMode: 240
; IeeeMode: 1
; LDSByteSize: 0 bytes/workgroup (compile time only)
; SGPRBlocks: 0
; VGPRBlocks: 0
; NumSGPRsForWavesPerEU: 4
; NumVGPRsForWavesPerEU: 1
; AccumOffset: 4
; Occupancy: 8
; WaveLimiterHint : 0
; COMPUTE_PGM_RSRC2:SCRATCH_EN: 0
; COMPUTE_PGM_RSRC2:USER_SGPR: 6
; COMPUTE_PGM_RSRC2:TRAP_HANDLER: 0
; COMPUTE_PGM_RSRC2:TGID_X_EN: 1
; COMPUTE_PGM_RSRC2:TGID_Y_EN: 0
; COMPUTE_PGM_RSRC2:TGID_Z_EN: 0
; COMPUTE_PGM_RSRC2:TIDIG_COMP_CNT: 0
; COMPUTE_PGM_RSRC3_GFX90A:ACCUM_OFFSET: 0
; COMPUTE_PGM_RSRC3_GFX90A:TG_SPLIT: 0
	.section	.text._ZN7rocprim17ROCPRIM_400000_NS6detail17trampoline_kernelINS0_14default_configENS1_27scan_by_key_config_selectorIj11FixedVectorIiLj4EEEEZZNS1_16scan_by_key_implILNS1_25lookback_scan_determinismE0ELb0ES3_N6thrust23THRUST_200600_302600_NS6detail15normal_iteratorINSB_10device_ptrIjEEEENSD_INSE_IS6_EEEESI_S6_NSB_4plusIvEENSB_8equal_toIvEES6_EE10hipError_tPvRmT2_T3_T4_T5_mT6_T7_P12ihipStream_tbENKUlT_T0_E_clISt17integral_constantIbLb1EES12_IbLb0EEEEDaSY_SZ_EUlSY_E_NS1_11comp_targetILNS1_3genE2ELNS1_11target_archE906ELNS1_3gpuE6ELNS1_3repE0EEENS1_30default_config_static_selectorELNS0_4arch9wavefront6targetE1EEEvT1_,"axG",@progbits,_ZN7rocprim17ROCPRIM_400000_NS6detail17trampoline_kernelINS0_14default_configENS1_27scan_by_key_config_selectorIj11FixedVectorIiLj4EEEEZZNS1_16scan_by_key_implILNS1_25lookback_scan_determinismE0ELb0ES3_N6thrust23THRUST_200600_302600_NS6detail15normal_iteratorINSB_10device_ptrIjEEEENSD_INSE_IS6_EEEESI_S6_NSB_4plusIvEENSB_8equal_toIvEES6_EE10hipError_tPvRmT2_T3_T4_T5_mT6_T7_P12ihipStream_tbENKUlT_T0_E_clISt17integral_constantIbLb1EES12_IbLb0EEEEDaSY_SZ_EUlSY_E_NS1_11comp_targetILNS1_3genE2ELNS1_11target_archE906ELNS1_3gpuE6ELNS1_3repE0EEENS1_30default_config_static_selectorELNS0_4arch9wavefront6targetE1EEEvT1_,comdat
	.protected	_ZN7rocprim17ROCPRIM_400000_NS6detail17trampoline_kernelINS0_14default_configENS1_27scan_by_key_config_selectorIj11FixedVectorIiLj4EEEEZZNS1_16scan_by_key_implILNS1_25lookback_scan_determinismE0ELb0ES3_N6thrust23THRUST_200600_302600_NS6detail15normal_iteratorINSB_10device_ptrIjEEEENSD_INSE_IS6_EEEESI_S6_NSB_4plusIvEENSB_8equal_toIvEES6_EE10hipError_tPvRmT2_T3_T4_T5_mT6_T7_P12ihipStream_tbENKUlT_T0_E_clISt17integral_constantIbLb1EES12_IbLb0EEEEDaSY_SZ_EUlSY_E_NS1_11comp_targetILNS1_3genE2ELNS1_11target_archE906ELNS1_3gpuE6ELNS1_3repE0EEENS1_30default_config_static_selectorELNS0_4arch9wavefront6targetE1EEEvT1_ ; -- Begin function _ZN7rocprim17ROCPRIM_400000_NS6detail17trampoline_kernelINS0_14default_configENS1_27scan_by_key_config_selectorIj11FixedVectorIiLj4EEEEZZNS1_16scan_by_key_implILNS1_25lookback_scan_determinismE0ELb0ES3_N6thrust23THRUST_200600_302600_NS6detail15normal_iteratorINSB_10device_ptrIjEEEENSD_INSE_IS6_EEEESI_S6_NSB_4plusIvEENSB_8equal_toIvEES6_EE10hipError_tPvRmT2_T3_T4_T5_mT6_T7_P12ihipStream_tbENKUlT_T0_E_clISt17integral_constantIbLb1EES12_IbLb0EEEEDaSY_SZ_EUlSY_E_NS1_11comp_targetILNS1_3genE2ELNS1_11target_archE906ELNS1_3gpuE6ELNS1_3repE0EEENS1_30default_config_static_selectorELNS0_4arch9wavefront6targetE1EEEvT1_
	.globl	_ZN7rocprim17ROCPRIM_400000_NS6detail17trampoline_kernelINS0_14default_configENS1_27scan_by_key_config_selectorIj11FixedVectorIiLj4EEEEZZNS1_16scan_by_key_implILNS1_25lookback_scan_determinismE0ELb0ES3_N6thrust23THRUST_200600_302600_NS6detail15normal_iteratorINSB_10device_ptrIjEEEENSD_INSE_IS6_EEEESI_S6_NSB_4plusIvEENSB_8equal_toIvEES6_EE10hipError_tPvRmT2_T3_T4_T5_mT6_T7_P12ihipStream_tbENKUlT_T0_E_clISt17integral_constantIbLb1EES12_IbLb0EEEEDaSY_SZ_EUlSY_E_NS1_11comp_targetILNS1_3genE2ELNS1_11target_archE906ELNS1_3gpuE6ELNS1_3repE0EEENS1_30default_config_static_selectorELNS0_4arch9wavefront6targetE1EEEvT1_
	.p2align	8
	.type	_ZN7rocprim17ROCPRIM_400000_NS6detail17trampoline_kernelINS0_14default_configENS1_27scan_by_key_config_selectorIj11FixedVectorIiLj4EEEEZZNS1_16scan_by_key_implILNS1_25lookback_scan_determinismE0ELb0ES3_N6thrust23THRUST_200600_302600_NS6detail15normal_iteratorINSB_10device_ptrIjEEEENSD_INSE_IS6_EEEESI_S6_NSB_4plusIvEENSB_8equal_toIvEES6_EE10hipError_tPvRmT2_T3_T4_T5_mT6_T7_P12ihipStream_tbENKUlT_T0_E_clISt17integral_constantIbLb1EES12_IbLb0EEEEDaSY_SZ_EUlSY_E_NS1_11comp_targetILNS1_3genE2ELNS1_11target_archE906ELNS1_3gpuE6ELNS1_3repE0EEENS1_30default_config_static_selectorELNS0_4arch9wavefront6targetE1EEEvT1_,@function
_ZN7rocprim17ROCPRIM_400000_NS6detail17trampoline_kernelINS0_14default_configENS1_27scan_by_key_config_selectorIj11FixedVectorIiLj4EEEEZZNS1_16scan_by_key_implILNS1_25lookback_scan_determinismE0ELb0ES3_N6thrust23THRUST_200600_302600_NS6detail15normal_iteratorINSB_10device_ptrIjEEEENSD_INSE_IS6_EEEESI_S6_NSB_4plusIvEENSB_8equal_toIvEES6_EE10hipError_tPvRmT2_T3_T4_T5_mT6_T7_P12ihipStream_tbENKUlT_T0_E_clISt17integral_constantIbLb1EES12_IbLb0EEEEDaSY_SZ_EUlSY_E_NS1_11comp_targetILNS1_3genE2ELNS1_11target_archE906ELNS1_3gpuE6ELNS1_3repE0EEENS1_30default_config_static_selectorELNS0_4arch9wavefront6targetE1EEEvT1_: ; @_ZN7rocprim17ROCPRIM_400000_NS6detail17trampoline_kernelINS0_14default_configENS1_27scan_by_key_config_selectorIj11FixedVectorIiLj4EEEEZZNS1_16scan_by_key_implILNS1_25lookback_scan_determinismE0ELb0ES3_N6thrust23THRUST_200600_302600_NS6detail15normal_iteratorINSB_10device_ptrIjEEEENSD_INSE_IS6_EEEESI_S6_NSB_4plusIvEENSB_8equal_toIvEES6_EE10hipError_tPvRmT2_T3_T4_T5_mT6_T7_P12ihipStream_tbENKUlT_T0_E_clISt17integral_constantIbLb1EES12_IbLb0EEEEDaSY_SZ_EUlSY_E_NS1_11comp_targetILNS1_3genE2ELNS1_11target_archE906ELNS1_3gpuE6ELNS1_3repE0EEENS1_30default_config_static_selectorELNS0_4arch9wavefront6targetE1EEEvT1_
; %bb.0:
	.section	.rodata,"a",@progbits
	.p2align	6, 0x0
	.amdhsa_kernel _ZN7rocprim17ROCPRIM_400000_NS6detail17trampoline_kernelINS0_14default_configENS1_27scan_by_key_config_selectorIj11FixedVectorIiLj4EEEEZZNS1_16scan_by_key_implILNS1_25lookback_scan_determinismE0ELb0ES3_N6thrust23THRUST_200600_302600_NS6detail15normal_iteratorINSB_10device_ptrIjEEEENSD_INSE_IS6_EEEESI_S6_NSB_4plusIvEENSB_8equal_toIvEES6_EE10hipError_tPvRmT2_T3_T4_T5_mT6_T7_P12ihipStream_tbENKUlT_T0_E_clISt17integral_constantIbLb1EES12_IbLb0EEEEDaSY_SZ_EUlSY_E_NS1_11comp_targetILNS1_3genE2ELNS1_11target_archE906ELNS1_3gpuE6ELNS1_3repE0EEENS1_30default_config_static_selectorELNS0_4arch9wavefront6targetE1EEEvT1_
		.amdhsa_group_segment_fixed_size 0
		.amdhsa_private_segment_fixed_size 0
		.amdhsa_kernarg_size 144
		.amdhsa_user_sgpr_count 6
		.amdhsa_user_sgpr_private_segment_buffer 1
		.amdhsa_user_sgpr_dispatch_ptr 0
		.amdhsa_user_sgpr_queue_ptr 0
		.amdhsa_user_sgpr_kernarg_segment_ptr 1
		.amdhsa_user_sgpr_dispatch_id 0
		.amdhsa_user_sgpr_flat_scratch_init 0
		.amdhsa_user_sgpr_kernarg_preload_length 0
		.amdhsa_user_sgpr_kernarg_preload_offset 0
		.amdhsa_user_sgpr_private_segment_size 0
		.amdhsa_uses_dynamic_stack 0
		.amdhsa_system_sgpr_private_segment_wavefront_offset 0
		.amdhsa_system_sgpr_workgroup_id_x 1
		.amdhsa_system_sgpr_workgroup_id_y 0
		.amdhsa_system_sgpr_workgroup_id_z 0
		.amdhsa_system_sgpr_workgroup_info 0
		.amdhsa_system_vgpr_workitem_id 0
		.amdhsa_next_free_vgpr 1
		.amdhsa_next_free_sgpr 0
		.amdhsa_accum_offset 4
		.amdhsa_reserve_vcc 0
		.amdhsa_reserve_flat_scratch 0
		.amdhsa_float_round_mode_32 0
		.amdhsa_float_round_mode_16_64 0
		.amdhsa_float_denorm_mode_32 3
		.amdhsa_float_denorm_mode_16_64 3
		.amdhsa_dx10_clamp 1
		.amdhsa_ieee_mode 1
		.amdhsa_fp16_overflow 0
		.amdhsa_tg_split 0
		.amdhsa_exception_fp_ieee_invalid_op 0
		.amdhsa_exception_fp_denorm_src 0
		.amdhsa_exception_fp_ieee_div_zero 0
		.amdhsa_exception_fp_ieee_overflow 0
		.amdhsa_exception_fp_ieee_underflow 0
		.amdhsa_exception_fp_ieee_inexact 0
		.amdhsa_exception_int_div_zero 0
	.end_amdhsa_kernel
	.section	.text._ZN7rocprim17ROCPRIM_400000_NS6detail17trampoline_kernelINS0_14default_configENS1_27scan_by_key_config_selectorIj11FixedVectorIiLj4EEEEZZNS1_16scan_by_key_implILNS1_25lookback_scan_determinismE0ELb0ES3_N6thrust23THRUST_200600_302600_NS6detail15normal_iteratorINSB_10device_ptrIjEEEENSD_INSE_IS6_EEEESI_S6_NSB_4plusIvEENSB_8equal_toIvEES6_EE10hipError_tPvRmT2_T3_T4_T5_mT6_T7_P12ihipStream_tbENKUlT_T0_E_clISt17integral_constantIbLb1EES12_IbLb0EEEEDaSY_SZ_EUlSY_E_NS1_11comp_targetILNS1_3genE2ELNS1_11target_archE906ELNS1_3gpuE6ELNS1_3repE0EEENS1_30default_config_static_selectorELNS0_4arch9wavefront6targetE1EEEvT1_,"axG",@progbits,_ZN7rocprim17ROCPRIM_400000_NS6detail17trampoline_kernelINS0_14default_configENS1_27scan_by_key_config_selectorIj11FixedVectorIiLj4EEEEZZNS1_16scan_by_key_implILNS1_25lookback_scan_determinismE0ELb0ES3_N6thrust23THRUST_200600_302600_NS6detail15normal_iteratorINSB_10device_ptrIjEEEENSD_INSE_IS6_EEEESI_S6_NSB_4plusIvEENSB_8equal_toIvEES6_EE10hipError_tPvRmT2_T3_T4_T5_mT6_T7_P12ihipStream_tbENKUlT_T0_E_clISt17integral_constantIbLb1EES12_IbLb0EEEEDaSY_SZ_EUlSY_E_NS1_11comp_targetILNS1_3genE2ELNS1_11target_archE906ELNS1_3gpuE6ELNS1_3repE0EEENS1_30default_config_static_selectorELNS0_4arch9wavefront6targetE1EEEvT1_,comdat
.Lfunc_end2060:
	.size	_ZN7rocprim17ROCPRIM_400000_NS6detail17trampoline_kernelINS0_14default_configENS1_27scan_by_key_config_selectorIj11FixedVectorIiLj4EEEEZZNS1_16scan_by_key_implILNS1_25lookback_scan_determinismE0ELb0ES3_N6thrust23THRUST_200600_302600_NS6detail15normal_iteratorINSB_10device_ptrIjEEEENSD_INSE_IS6_EEEESI_S6_NSB_4plusIvEENSB_8equal_toIvEES6_EE10hipError_tPvRmT2_T3_T4_T5_mT6_T7_P12ihipStream_tbENKUlT_T0_E_clISt17integral_constantIbLb1EES12_IbLb0EEEEDaSY_SZ_EUlSY_E_NS1_11comp_targetILNS1_3genE2ELNS1_11target_archE906ELNS1_3gpuE6ELNS1_3repE0EEENS1_30default_config_static_selectorELNS0_4arch9wavefront6targetE1EEEvT1_, .Lfunc_end2060-_ZN7rocprim17ROCPRIM_400000_NS6detail17trampoline_kernelINS0_14default_configENS1_27scan_by_key_config_selectorIj11FixedVectorIiLj4EEEEZZNS1_16scan_by_key_implILNS1_25lookback_scan_determinismE0ELb0ES3_N6thrust23THRUST_200600_302600_NS6detail15normal_iteratorINSB_10device_ptrIjEEEENSD_INSE_IS6_EEEESI_S6_NSB_4plusIvEENSB_8equal_toIvEES6_EE10hipError_tPvRmT2_T3_T4_T5_mT6_T7_P12ihipStream_tbENKUlT_T0_E_clISt17integral_constantIbLb1EES12_IbLb0EEEEDaSY_SZ_EUlSY_E_NS1_11comp_targetILNS1_3genE2ELNS1_11target_archE906ELNS1_3gpuE6ELNS1_3repE0EEENS1_30default_config_static_selectorELNS0_4arch9wavefront6targetE1EEEvT1_
                                        ; -- End function
	.section	.AMDGPU.csdata,"",@progbits
; Kernel info:
; codeLenInByte = 0
; NumSgprs: 4
; NumVgprs: 0
; NumAgprs: 0
; TotalNumVgprs: 0
; ScratchSize: 0
; MemoryBound: 0
; FloatMode: 240
; IeeeMode: 1
; LDSByteSize: 0 bytes/workgroup (compile time only)
; SGPRBlocks: 0
; VGPRBlocks: 0
; NumSGPRsForWavesPerEU: 4
; NumVGPRsForWavesPerEU: 1
; AccumOffset: 4
; Occupancy: 8
; WaveLimiterHint : 0
; COMPUTE_PGM_RSRC2:SCRATCH_EN: 0
; COMPUTE_PGM_RSRC2:USER_SGPR: 6
; COMPUTE_PGM_RSRC2:TRAP_HANDLER: 0
; COMPUTE_PGM_RSRC2:TGID_X_EN: 1
; COMPUTE_PGM_RSRC2:TGID_Y_EN: 0
; COMPUTE_PGM_RSRC2:TGID_Z_EN: 0
; COMPUTE_PGM_RSRC2:TIDIG_COMP_CNT: 0
; COMPUTE_PGM_RSRC3_GFX90A:ACCUM_OFFSET: 0
; COMPUTE_PGM_RSRC3_GFX90A:TG_SPLIT: 0
	.section	.text._ZN7rocprim17ROCPRIM_400000_NS6detail17trampoline_kernelINS0_14default_configENS1_27scan_by_key_config_selectorIj11FixedVectorIiLj4EEEEZZNS1_16scan_by_key_implILNS1_25lookback_scan_determinismE0ELb0ES3_N6thrust23THRUST_200600_302600_NS6detail15normal_iteratorINSB_10device_ptrIjEEEENSD_INSE_IS6_EEEESI_S6_NSB_4plusIvEENSB_8equal_toIvEES6_EE10hipError_tPvRmT2_T3_T4_T5_mT6_T7_P12ihipStream_tbENKUlT_T0_E_clISt17integral_constantIbLb1EES12_IbLb0EEEEDaSY_SZ_EUlSY_E_NS1_11comp_targetILNS1_3genE10ELNS1_11target_archE1200ELNS1_3gpuE4ELNS1_3repE0EEENS1_30default_config_static_selectorELNS0_4arch9wavefront6targetE1EEEvT1_,"axG",@progbits,_ZN7rocprim17ROCPRIM_400000_NS6detail17trampoline_kernelINS0_14default_configENS1_27scan_by_key_config_selectorIj11FixedVectorIiLj4EEEEZZNS1_16scan_by_key_implILNS1_25lookback_scan_determinismE0ELb0ES3_N6thrust23THRUST_200600_302600_NS6detail15normal_iteratorINSB_10device_ptrIjEEEENSD_INSE_IS6_EEEESI_S6_NSB_4plusIvEENSB_8equal_toIvEES6_EE10hipError_tPvRmT2_T3_T4_T5_mT6_T7_P12ihipStream_tbENKUlT_T0_E_clISt17integral_constantIbLb1EES12_IbLb0EEEEDaSY_SZ_EUlSY_E_NS1_11comp_targetILNS1_3genE10ELNS1_11target_archE1200ELNS1_3gpuE4ELNS1_3repE0EEENS1_30default_config_static_selectorELNS0_4arch9wavefront6targetE1EEEvT1_,comdat
	.protected	_ZN7rocprim17ROCPRIM_400000_NS6detail17trampoline_kernelINS0_14default_configENS1_27scan_by_key_config_selectorIj11FixedVectorIiLj4EEEEZZNS1_16scan_by_key_implILNS1_25lookback_scan_determinismE0ELb0ES3_N6thrust23THRUST_200600_302600_NS6detail15normal_iteratorINSB_10device_ptrIjEEEENSD_INSE_IS6_EEEESI_S6_NSB_4plusIvEENSB_8equal_toIvEES6_EE10hipError_tPvRmT2_T3_T4_T5_mT6_T7_P12ihipStream_tbENKUlT_T0_E_clISt17integral_constantIbLb1EES12_IbLb0EEEEDaSY_SZ_EUlSY_E_NS1_11comp_targetILNS1_3genE10ELNS1_11target_archE1200ELNS1_3gpuE4ELNS1_3repE0EEENS1_30default_config_static_selectorELNS0_4arch9wavefront6targetE1EEEvT1_ ; -- Begin function _ZN7rocprim17ROCPRIM_400000_NS6detail17trampoline_kernelINS0_14default_configENS1_27scan_by_key_config_selectorIj11FixedVectorIiLj4EEEEZZNS1_16scan_by_key_implILNS1_25lookback_scan_determinismE0ELb0ES3_N6thrust23THRUST_200600_302600_NS6detail15normal_iteratorINSB_10device_ptrIjEEEENSD_INSE_IS6_EEEESI_S6_NSB_4plusIvEENSB_8equal_toIvEES6_EE10hipError_tPvRmT2_T3_T4_T5_mT6_T7_P12ihipStream_tbENKUlT_T0_E_clISt17integral_constantIbLb1EES12_IbLb0EEEEDaSY_SZ_EUlSY_E_NS1_11comp_targetILNS1_3genE10ELNS1_11target_archE1200ELNS1_3gpuE4ELNS1_3repE0EEENS1_30default_config_static_selectorELNS0_4arch9wavefront6targetE1EEEvT1_
	.globl	_ZN7rocprim17ROCPRIM_400000_NS6detail17trampoline_kernelINS0_14default_configENS1_27scan_by_key_config_selectorIj11FixedVectorIiLj4EEEEZZNS1_16scan_by_key_implILNS1_25lookback_scan_determinismE0ELb0ES3_N6thrust23THRUST_200600_302600_NS6detail15normal_iteratorINSB_10device_ptrIjEEEENSD_INSE_IS6_EEEESI_S6_NSB_4plusIvEENSB_8equal_toIvEES6_EE10hipError_tPvRmT2_T3_T4_T5_mT6_T7_P12ihipStream_tbENKUlT_T0_E_clISt17integral_constantIbLb1EES12_IbLb0EEEEDaSY_SZ_EUlSY_E_NS1_11comp_targetILNS1_3genE10ELNS1_11target_archE1200ELNS1_3gpuE4ELNS1_3repE0EEENS1_30default_config_static_selectorELNS0_4arch9wavefront6targetE1EEEvT1_
	.p2align	8
	.type	_ZN7rocprim17ROCPRIM_400000_NS6detail17trampoline_kernelINS0_14default_configENS1_27scan_by_key_config_selectorIj11FixedVectorIiLj4EEEEZZNS1_16scan_by_key_implILNS1_25lookback_scan_determinismE0ELb0ES3_N6thrust23THRUST_200600_302600_NS6detail15normal_iteratorINSB_10device_ptrIjEEEENSD_INSE_IS6_EEEESI_S6_NSB_4plusIvEENSB_8equal_toIvEES6_EE10hipError_tPvRmT2_T3_T4_T5_mT6_T7_P12ihipStream_tbENKUlT_T0_E_clISt17integral_constantIbLb1EES12_IbLb0EEEEDaSY_SZ_EUlSY_E_NS1_11comp_targetILNS1_3genE10ELNS1_11target_archE1200ELNS1_3gpuE4ELNS1_3repE0EEENS1_30default_config_static_selectorELNS0_4arch9wavefront6targetE1EEEvT1_,@function
_ZN7rocprim17ROCPRIM_400000_NS6detail17trampoline_kernelINS0_14default_configENS1_27scan_by_key_config_selectorIj11FixedVectorIiLj4EEEEZZNS1_16scan_by_key_implILNS1_25lookback_scan_determinismE0ELb0ES3_N6thrust23THRUST_200600_302600_NS6detail15normal_iteratorINSB_10device_ptrIjEEEENSD_INSE_IS6_EEEESI_S6_NSB_4plusIvEENSB_8equal_toIvEES6_EE10hipError_tPvRmT2_T3_T4_T5_mT6_T7_P12ihipStream_tbENKUlT_T0_E_clISt17integral_constantIbLb1EES12_IbLb0EEEEDaSY_SZ_EUlSY_E_NS1_11comp_targetILNS1_3genE10ELNS1_11target_archE1200ELNS1_3gpuE4ELNS1_3repE0EEENS1_30default_config_static_selectorELNS0_4arch9wavefront6targetE1EEEvT1_: ; @_ZN7rocprim17ROCPRIM_400000_NS6detail17trampoline_kernelINS0_14default_configENS1_27scan_by_key_config_selectorIj11FixedVectorIiLj4EEEEZZNS1_16scan_by_key_implILNS1_25lookback_scan_determinismE0ELb0ES3_N6thrust23THRUST_200600_302600_NS6detail15normal_iteratorINSB_10device_ptrIjEEEENSD_INSE_IS6_EEEESI_S6_NSB_4plusIvEENSB_8equal_toIvEES6_EE10hipError_tPvRmT2_T3_T4_T5_mT6_T7_P12ihipStream_tbENKUlT_T0_E_clISt17integral_constantIbLb1EES12_IbLb0EEEEDaSY_SZ_EUlSY_E_NS1_11comp_targetILNS1_3genE10ELNS1_11target_archE1200ELNS1_3gpuE4ELNS1_3repE0EEENS1_30default_config_static_selectorELNS0_4arch9wavefront6targetE1EEEvT1_
; %bb.0:
	.section	.rodata,"a",@progbits
	.p2align	6, 0x0
	.amdhsa_kernel _ZN7rocprim17ROCPRIM_400000_NS6detail17trampoline_kernelINS0_14default_configENS1_27scan_by_key_config_selectorIj11FixedVectorIiLj4EEEEZZNS1_16scan_by_key_implILNS1_25lookback_scan_determinismE0ELb0ES3_N6thrust23THRUST_200600_302600_NS6detail15normal_iteratorINSB_10device_ptrIjEEEENSD_INSE_IS6_EEEESI_S6_NSB_4plusIvEENSB_8equal_toIvEES6_EE10hipError_tPvRmT2_T3_T4_T5_mT6_T7_P12ihipStream_tbENKUlT_T0_E_clISt17integral_constantIbLb1EES12_IbLb0EEEEDaSY_SZ_EUlSY_E_NS1_11comp_targetILNS1_3genE10ELNS1_11target_archE1200ELNS1_3gpuE4ELNS1_3repE0EEENS1_30default_config_static_selectorELNS0_4arch9wavefront6targetE1EEEvT1_
		.amdhsa_group_segment_fixed_size 0
		.amdhsa_private_segment_fixed_size 0
		.amdhsa_kernarg_size 144
		.amdhsa_user_sgpr_count 6
		.amdhsa_user_sgpr_private_segment_buffer 1
		.amdhsa_user_sgpr_dispatch_ptr 0
		.amdhsa_user_sgpr_queue_ptr 0
		.amdhsa_user_sgpr_kernarg_segment_ptr 1
		.amdhsa_user_sgpr_dispatch_id 0
		.amdhsa_user_sgpr_flat_scratch_init 0
		.amdhsa_user_sgpr_kernarg_preload_length 0
		.amdhsa_user_sgpr_kernarg_preload_offset 0
		.amdhsa_user_sgpr_private_segment_size 0
		.amdhsa_uses_dynamic_stack 0
		.amdhsa_system_sgpr_private_segment_wavefront_offset 0
		.amdhsa_system_sgpr_workgroup_id_x 1
		.amdhsa_system_sgpr_workgroup_id_y 0
		.amdhsa_system_sgpr_workgroup_id_z 0
		.amdhsa_system_sgpr_workgroup_info 0
		.amdhsa_system_vgpr_workitem_id 0
		.amdhsa_next_free_vgpr 1
		.amdhsa_next_free_sgpr 0
		.amdhsa_accum_offset 4
		.amdhsa_reserve_vcc 0
		.amdhsa_reserve_flat_scratch 0
		.amdhsa_float_round_mode_32 0
		.amdhsa_float_round_mode_16_64 0
		.amdhsa_float_denorm_mode_32 3
		.amdhsa_float_denorm_mode_16_64 3
		.amdhsa_dx10_clamp 1
		.amdhsa_ieee_mode 1
		.amdhsa_fp16_overflow 0
		.amdhsa_tg_split 0
		.amdhsa_exception_fp_ieee_invalid_op 0
		.amdhsa_exception_fp_denorm_src 0
		.amdhsa_exception_fp_ieee_div_zero 0
		.amdhsa_exception_fp_ieee_overflow 0
		.amdhsa_exception_fp_ieee_underflow 0
		.amdhsa_exception_fp_ieee_inexact 0
		.amdhsa_exception_int_div_zero 0
	.end_amdhsa_kernel
	.section	.text._ZN7rocprim17ROCPRIM_400000_NS6detail17trampoline_kernelINS0_14default_configENS1_27scan_by_key_config_selectorIj11FixedVectorIiLj4EEEEZZNS1_16scan_by_key_implILNS1_25lookback_scan_determinismE0ELb0ES3_N6thrust23THRUST_200600_302600_NS6detail15normal_iteratorINSB_10device_ptrIjEEEENSD_INSE_IS6_EEEESI_S6_NSB_4plusIvEENSB_8equal_toIvEES6_EE10hipError_tPvRmT2_T3_T4_T5_mT6_T7_P12ihipStream_tbENKUlT_T0_E_clISt17integral_constantIbLb1EES12_IbLb0EEEEDaSY_SZ_EUlSY_E_NS1_11comp_targetILNS1_3genE10ELNS1_11target_archE1200ELNS1_3gpuE4ELNS1_3repE0EEENS1_30default_config_static_selectorELNS0_4arch9wavefront6targetE1EEEvT1_,"axG",@progbits,_ZN7rocprim17ROCPRIM_400000_NS6detail17trampoline_kernelINS0_14default_configENS1_27scan_by_key_config_selectorIj11FixedVectorIiLj4EEEEZZNS1_16scan_by_key_implILNS1_25lookback_scan_determinismE0ELb0ES3_N6thrust23THRUST_200600_302600_NS6detail15normal_iteratorINSB_10device_ptrIjEEEENSD_INSE_IS6_EEEESI_S6_NSB_4plusIvEENSB_8equal_toIvEES6_EE10hipError_tPvRmT2_T3_T4_T5_mT6_T7_P12ihipStream_tbENKUlT_T0_E_clISt17integral_constantIbLb1EES12_IbLb0EEEEDaSY_SZ_EUlSY_E_NS1_11comp_targetILNS1_3genE10ELNS1_11target_archE1200ELNS1_3gpuE4ELNS1_3repE0EEENS1_30default_config_static_selectorELNS0_4arch9wavefront6targetE1EEEvT1_,comdat
.Lfunc_end2061:
	.size	_ZN7rocprim17ROCPRIM_400000_NS6detail17trampoline_kernelINS0_14default_configENS1_27scan_by_key_config_selectorIj11FixedVectorIiLj4EEEEZZNS1_16scan_by_key_implILNS1_25lookback_scan_determinismE0ELb0ES3_N6thrust23THRUST_200600_302600_NS6detail15normal_iteratorINSB_10device_ptrIjEEEENSD_INSE_IS6_EEEESI_S6_NSB_4plusIvEENSB_8equal_toIvEES6_EE10hipError_tPvRmT2_T3_T4_T5_mT6_T7_P12ihipStream_tbENKUlT_T0_E_clISt17integral_constantIbLb1EES12_IbLb0EEEEDaSY_SZ_EUlSY_E_NS1_11comp_targetILNS1_3genE10ELNS1_11target_archE1200ELNS1_3gpuE4ELNS1_3repE0EEENS1_30default_config_static_selectorELNS0_4arch9wavefront6targetE1EEEvT1_, .Lfunc_end2061-_ZN7rocprim17ROCPRIM_400000_NS6detail17trampoline_kernelINS0_14default_configENS1_27scan_by_key_config_selectorIj11FixedVectorIiLj4EEEEZZNS1_16scan_by_key_implILNS1_25lookback_scan_determinismE0ELb0ES3_N6thrust23THRUST_200600_302600_NS6detail15normal_iteratorINSB_10device_ptrIjEEEENSD_INSE_IS6_EEEESI_S6_NSB_4plusIvEENSB_8equal_toIvEES6_EE10hipError_tPvRmT2_T3_T4_T5_mT6_T7_P12ihipStream_tbENKUlT_T0_E_clISt17integral_constantIbLb1EES12_IbLb0EEEEDaSY_SZ_EUlSY_E_NS1_11comp_targetILNS1_3genE10ELNS1_11target_archE1200ELNS1_3gpuE4ELNS1_3repE0EEENS1_30default_config_static_selectorELNS0_4arch9wavefront6targetE1EEEvT1_
                                        ; -- End function
	.section	.AMDGPU.csdata,"",@progbits
; Kernel info:
; codeLenInByte = 0
; NumSgprs: 4
; NumVgprs: 0
; NumAgprs: 0
; TotalNumVgprs: 0
; ScratchSize: 0
; MemoryBound: 0
; FloatMode: 240
; IeeeMode: 1
; LDSByteSize: 0 bytes/workgroup (compile time only)
; SGPRBlocks: 0
; VGPRBlocks: 0
; NumSGPRsForWavesPerEU: 4
; NumVGPRsForWavesPerEU: 1
; AccumOffset: 4
; Occupancy: 8
; WaveLimiterHint : 0
; COMPUTE_PGM_RSRC2:SCRATCH_EN: 0
; COMPUTE_PGM_RSRC2:USER_SGPR: 6
; COMPUTE_PGM_RSRC2:TRAP_HANDLER: 0
; COMPUTE_PGM_RSRC2:TGID_X_EN: 1
; COMPUTE_PGM_RSRC2:TGID_Y_EN: 0
; COMPUTE_PGM_RSRC2:TGID_Z_EN: 0
; COMPUTE_PGM_RSRC2:TIDIG_COMP_CNT: 0
; COMPUTE_PGM_RSRC3_GFX90A:ACCUM_OFFSET: 0
; COMPUTE_PGM_RSRC3_GFX90A:TG_SPLIT: 0
	.section	.text._ZN7rocprim17ROCPRIM_400000_NS6detail17trampoline_kernelINS0_14default_configENS1_27scan_by_key_config_selectorIj11FixedVectorIiLj4EEEEZZNS1_16scan_by_key_implILNS1_25lookback_scan_determinismE0ELb0ES3_N6thrust23THRUST_200600_302600_NS6detail15normal_iteratorINSB_10device_ptrIjEEEENSD_INSE_IS6_EEEESI_S6_NSB_4plusIvEENSB_8equal_toIvEES6_EE10hipError_tPvRmT2_T3_T4_T5_mT6_T7_P12ihipStream_tbENKUlT_T0_E_clISt17integral_constantIbLb1EES12_IbLb0EEEEDaSY_SZ_EUlSY_E_NS1_11comp_targetILNS1_3genE9ELNS1_11target_archE1100ELNS1_3gpuE3ELNS1_3repE0EEENS1_30default_config_static_selectorELNS0_4arch9wavefront6targetE1EEEvT1_,"axG",@progbits,_ZN7rocprim17ROCPRIM_400000_NS6detail17trampoline_kernelINS0_14default_configENS1_27scan_by_key_config_selectorIj11FixedVectorIiLj4EEEEZZNS1_16scan_by_key_implILNS1_25lookback_scan_determinismE0ELb0ES3_N6thrust23THRUST_200600_302600_NS6detail15normal_iteratorINSB_10device_ptrIjEEEENSD_INSE_IS6_EEEESI_S6_NSB_4plusIvEENSB_8equal_toIvEES6_EE10hipError_tPvRmT2_T3_T4_T5_mT6_T7_P12ihipStream_tbENKUlT_T0_E_clISt17integral_constantIbLb1EES12_IbLb0EEEEDaSY_SZ_EUlSY_E_NS1_11comp_targetILNS1_3genE9ELNS1_11target_archE1100ELNS1_3gpuE3ELNS1_3repE0EEENS1_30default_config_static_selectorELNS0_4arch9wavefront6targetE1EEEvT1_,comdat
	.protected	_ZN7rocprim17ROCPRIM_400000_NS6detail17trampoline_kernelINS0_14default_configENS1_27scan_by_key_config_selectorIj11FixedVectorIiLj4EEEEZZNS1_16scan_by_key_implILNS1_25lookback_scan_determinismE0ELb0ES3_N6thrust23THRUST_200600_302600_NS6detail15normal_iteratorINSB_10device_ptrIjEEEENSD_INSE_IS6_EEEESI_S6_NSB_4plusIvEENSB_8equal_toIvEES6_EE10hipError_tPvRmT2_T3_T4_T5_mT6_T7_P12ihipStream_tbENKUlT_T0_E_clISt17integral_constantIbLb1EES12_IbLb0EEEEDaSY_SZ_EUlSY_E_NS1_11comp_targetILNS1_3genE9ELNS1_11target_archE1100ELNS1_3gpuE3ELNS1_3repE0EEENS1_30default_config_static_selectorELNS0_4arch9wavefront6targetE1EEEvT1_ ; -- Begin function _ZN7rocprim17ROCPRIM_400000_NS6detail17trampoline_kernelINS0_14default_configENS1_27scan_by_key_config_selectorIj11FixedVectorIiLj4EEEEZZNS1_16scan_by_key_implILNS1_25lookback_scan_determinismE0ELb0ES3_N6thrust23THRUST_200600_302600_NS6detail15normal_iteratorINSB_10device_ptrIjEEEENSD_INSE_IS6_EEEESI_S6_NSB_4plusIvEENSB_8equal_toIvEES6_EE10hipError_tPvRmT2_T3_T4_T5_mT6_T7_P12ihipStream_tbENKUlT_T0_E_clISt17integral_constantIbLb1EES12_IbLb0EEEEDaSY_SZ_EUlSY_E_NS1_11comp_targetILNS1_3genE9ELNS1_11target_archE1100ELNS1_3gpuE3ELNS1_3repE0EEENS1_30default_config_static_selectorELNS0_4arch9wavefront6targetE1EEEvT1_
	.globl	_ZN7rocprim17ROCPRIM_400000_NS6detail17trampoline_kernelINS0_14default_configENS1_27scan_by_key_config_selectorIj11FixedVectorIiLj4EEEEZZNS1_16scan_by_key_implILNS1_25lookback_scan_determinismE0ELb0ES3_N6thrust23THRUST_200600_302600_NS6detail15normal_iteratorINSB_10device_ptrIjEEEENSD_INSE_IS6_EEEESI_S6_NSB_4plusIvEENSB_8equal_toIvEES6_EE10hipError_tPvRmT2_T3_T4_T5_mT6_T7_P12ihipStream_tbENKUlT_T0_E_clISt17integral_constantIbLb1EES12_IbLb0EEEEDaSY_SZ_EUlSY_E_NS1_11comp_targetILNS1_3genE9ELNS1_11target_archE1100ELNS1_3gpuE3ELNS1_3repE0EEENS1_30default_config_static_selectorELNS0_4arch9wavefront6targetE1EEEvT1_
	.p2align	8
	.type	_ZN7rocprim17ROCPRIM_400000_NS6detail17trampoline_kernelINS0_14default_configENS1_27scan_by_key_config_selectorIj11FixedVectorIiLj4EEEEZZNS1_16scan_by_key_implILNS1_25lookback_scan_determinismE0ELb0ES3_N6thrust23THRUST_200600_302600_NS6detail15normal_iteratorINSB_10device_ptrIjEEEENSD_INSE_IS6_EEEESI_S6_NSB_4plusIvEENSB_8equal_toIvEES6_EE10hipError_tPvRmT2_T3_T4_T5_mT6_T7_P12ihipStream_tbENKUlT_T0_E_clISt17integral_constantIbLb1EES12_IbLb0EEEEDaSY_SZ_EUlSY_E_NS1_11comp_targetILNS1_3genE9ELNS1_11target_archE1100ELNS1_3gpuE3ELNS1_3repE0EEENS1_30default_config_static_selectorELNS0_4arch9wavefront6targetE1EEEvT1_,@function
_ZN7rocprim17ROCPRIM_400000_NS6detail17trampoline_kernelINS0_14default_configENS1_27scan_by_key_config_selectorIj11FixedVectorIiLj4EEEEZZNS1_16scan_by_key_implILNS1_25lookback_scan_determinismE0ELb0ES3_N6thrust23THRUST_200600_302600_NS6detail15normal_iteratorINSB_10device_ptrIjEEEENSD_INSE_IS6_EEEESI_S6_NSB_4plusIvEENSB_8equal_toIvEES6_EE10hipError_tPvRmT2_T3_T4_T5_mT6_T7_P12ihipStream_tbENKUlT_T0_E_clISt17integral_constantIbLb1EES12_IbLb0EEEEDaSY_SZ_EUlSY_E_NS1_11comp_targetILNS1_3genE9ELNS1_11target_archE1100ELNS1_3gpuE3ELNS1_3repE0EEENS1_30default_config_static_selectorELNS0_4arch9wavefront6targetE1EEEvT1_: ; @_ZN7rocprim17ROCPRIM_400000_NS6detail17trampoline_kernelINS0_14default_configENS1_27scan_by_key_config_selectorIj11FixedVectorIiLj4EEEEZZNS1_16scan_by_key_implILNS1_25lookback_scan_determinismE0ELb0ES3_N6thrust23THRUST_200600_302600_NS6detail15normal_iteratorINSB_10device_ptrIjEEEENSD_INSE_IS6_EEEESI_S6_NSB_4plusIvEENSB_8equal_toIvEES6_EE10hipError_tPvRmT2_T3_T4_T5_mT6_T7_P12ihipStream_tbENKUlT_T0_E_clISt17integral_constantIbLb1EES12_IbLb0EEEEDaSY_SZ_EUlSY_E_NS1_11comp_targetILNS1_3genE9ELNS1_11target_archE1100ELNS1_3gpuE3ELNS1_3repE0EEENS1_30default_config_static_selectorELNS0_4arch9wavefront6targetE1EEEvT1_
; %bb.0:
	.section	.rodata,"a",@progbits
	.p2align	6, 0x0
	.amdhsa_kernel _ZN7rocprim17ROCPRIM_400000_NS6detail17trampoline_kernelINS0_14default_configENS1_27scan_by_key_config_selectorIj11FixedVectorIiLj4EEEEZZNS1_16scan_by_key_implILNS1_25lookback_scan_determinismE0ELb0ES3_N6thrust23THRUST_200600_302600_NS6detail15normal_iteratorINSB_10device_ptrIjEEEENSD_INSE_IS6_EEEESI_S6_NSB_4plusIvEENSB_8equal_toIvEES6_EE10hipError_tPvRmT2_T3_T4_T5_mT6_T7_P12ihipStream_tbENKUlT_T0_E_clISt17integral_constantIbLb1EES12_IbLb0EEEEDaSY_SZ_EUlSY_E_NS1_11comp_targetILNS1_3genE9ELNS1_11target_archE1100ELNS1_3gpuE3ELNS1_3repE0EEENS1_30default_config_static_selectorELNS0_4arch9wavefront6targetE1EEEvT1_
		.amdhsa_group_segment_fixed_size 0
		.amdhsa_private_segment_fixed_size 0
		.amdhsa_kernarg_size 144
		.amdhsa_user_sgpr_count 6
		.amdhsa_user_sgpr_private_segment_buffer 1
		.amdhsa_user_sgpr_dispatch_ptr 0
		.amdhsa_user_sgpr_queue_ptr 0
		.amdhsa_user_sgpr_kernarg_segment_ptr 1
		.amdhsa_user_sgpr_dispatch_id 0
		.amdhsa_user_sgpr_flat_scratch_init 0
		.amdhsa_user_sgpr_kernarg_preload_length 0
		.amdhsa_user_sgpr_kernarg_preload_offset 0
		.amdhsa_user_sgpr_private_segment_size 0
		.amdhsa_uses_dynamic_stack 0
		.amdhsa_system_sgpr_private_segment_wavefront_offset 0
		.amdhsa_system_sgpr_workgroup_id_x 1
		.amdhsa_system_sgpr_workgroup_id_y 0
		.amdhsa_system_sgpr_workgroup_id_z 0
		.amdhsa_system_sgpr_workgroup_info 0
		.amdhsa_system_vgpr_workitem_id 0
		.amdhsa_next_free_vgpr 1
		.amdhsa_next_free_sgpr 0
		.amdhsa_accum_offset 4
		.amdhsa_reserve_vcc 0
		.amdhsa_reserve_flat_scratch 0
		.amdhsa_float_round_mode_32 0
		.amdhsa_float_round_mode_16_64 0
		.amdhsa_float_denorm_mode_32 3
		.amdhsa_float_denorm_mode_16_64 3
		.amdhsa_dx10_clamp 1
		.amdhsa_ieee_mode 1
		.amdhsa_fp16_overflow 0
		.amdhsa_tg_split 0
		.amdhsa_exception_fp_ieee_invalid_op 0
		.amdhsa_exception_fp_denorm_src 0
		.amdhsa_exception_fp_ieee_div_zero 0
		.amdhsa_exception_fp_ieee_overflow 0
		.amdhsa_exception_fp_ieee_underflow 0
		.amdhsa_exception_fp_ieee_inexact 0
		.amdhsa_exception_int_div_zero 0
	.end_amdhsa_kernel
	.section	.text._ZN7rocprim17ROCPRIM_400000_NS6detail17trampoline_kernelINS0_14default_configENS1_27scan_by_key_config_selectorIj11FixedVectorIiLj4EEEEZZNS1_16scan_by_key_implILNS1_25lookback_scan_determinismE0ELb0ES3_N6thrust23THRUST_200600_302600_NS6detail15normal_iteratorINSB_10device_ptrIjEEEENSD_INSE_IS6_EEEESI_S6_NSB_4plusIvEENSB_8equal_toIvEES6_EE10hipError_tPvRmT2_T3_T4_T5_mT6_T7_P12ihipStream_tbENKUlT_T0_E_clISt17integral_constantIbLb1EES12_IbLb0EEEEDaSY_SZ_EUlSY_E_NS1_11comp_targetILNS1_3genE9ELNS1_11target_archE1100ELNS1_3gpuE3ELNS1_3repE0EEENS1_30default_config_static_selectorELNS0_4arch9wavefront6targetE1EEEvT1_,"axG",@progbits,_ZN7rocprim17ROCPRIM_400000_NS6detail17trampoline_kernelINS0_14default_configENS1_27scan_by_key_config_selectorIj11FixedVectorIiLj4EEEEZZNS1_16scan_by_key_implILNS1_25lookback_scan_determinismE0ELb0ES3_N6thrust23THRUST_200600_302600_NS6detail15normal_iteratorINSB_10device_ptrIjEEEENSD_INSE_IS6_EEEESI_S6_NSB_4plusIvEENSB_8equal_toIvEES6_EE10hipError_tPvRmT2_T3_T4_T5_mT6_T7_P12ihipStream_tbENKUlT_T0_E_clISt17integral_constantIbLb1EES12_IbLb0EEEEDaSY_SZ_EUlSY_E_NS1_11comp_targetILNS1_3genE9ELNS1_11target_archE1100ELNS1_3gpuE3ELNS1_3repE0EEENS1_30default_config_static_selectorELNS0_4arch9wavefront6targetE1EEEvT1_,comdat
.Lfunc_end2062:
	.size	_ZN7rocprim17ROCPRIM_400000_NS6detail17trampoline_kernelINS0_14default_configENS1_27scan_by_key_config_selectorIj11FixedVectorIiLj4EEEEZZNS1_16scan_by_key_implILNS1_25lookback_scan_determinismE0ELb0ES3_N6thrust23THRUST_200600_302600_NS6detail15normal_iteratorINSB_10device_ptrIjEEEENSD_INSE_IS6_EEEESI_S6_NSB_4plusIvEENSB_8equal_toIvEES6_EE10hipError_tPvRmT2_T3_T4_T5_mT6_T7_P12ihipStream_tbENKUlT_T0_E_clISt17integral_constantIbLb1EES12_IbLb0EEEEDaSY_SZ_EUlSY_E_NS1_11comp_targetILNS1_3genE9ELNS1_11target_archE1100ELNS1_3gpuE3ELNS1_3repE0EEENS1_30default_config_static_selectorELNS0_4arch9wavefront6targetE1EEEvT1_, .Lfunc_end2062-_ZN7rocprim17ROCPRIM_400000_NS6detail17trampoline_kernelINS0_14default_configENS1_27scan_by_key_config_selectorIj11FixedVectorIiLj4EEEEZZNS1_16scan_by_key_implILNS1_25lookback_scan_determinismE0ELb0ES3_N6thrust23THRUST_200600_302600_NS6detail15normal_iteratorINSB_10device_ptrIjEEEENSD_INSE_IS6_EEEESI_S6_NSB_4plusIvEENSB_8equal_toIvEES6_EE10hipError_tPvRmT2_T3_T4_T5_mT6_T7_P12ihipStream_tbENKUlT_T0_E_clISt17integral_constantIbLb1EES12_IbLb0EEEEDaSY_SZ_EUlSY_E_NS1_11comp_targetILNS1_3genE9ELNS1_11target_archE1100ELNS1_3gpuE3ELNS1_3repE0EEENS1_30default_config_static_selectorELNS0_4arch9wavefront6targetE1EEEvT1_
                                        ; -- End function
	.section	.AMDGPU.csdata,"",@progbits
; Kernel info:
; codeLenInByte = 0
; NumSgprs: 4
; NumVgprs: 0
; NumAgprs: 0
; TotalNumVgprs: 0
; ScratchSize: 0
; MemoryBound: 0
; FloatMode: 240
; IeeeMode: 1
; LDSByteSize: 0 bytes/workgroup (compile time only)
; SGPRBlocks: 0
; VGPRBlocks: 0
; NumSGPRsForWavesPerEU: 4
; NumVGPRsForWavesPerEU: 1
; AccumOffset: 4
; Occupancy: 8
; WaveLimiterHint : 0
; COMPUTE_PGM_RSRC2:SCRATCH_EN: 0
; COMPUTE_PGM_RSRC2:USER_SGPR: 6
; COMPUTE_PGM_RSRC2:TRAP_HANDLER: 0
; COMPUTE_PGM_RSRC2:TGID_X_EN: 1
; COMPUTE_PGM_RSRC2:TGID_Y_EN: 0
; COMPUTE_PGM_RSRC2:TGID_Z_EN: 0
; COMPUTE_PGM_RSRC2:TIDIG_COMP_CNT: 0
; COMPUTE_PGM_RSRC3_GFX90A:ACCUM_OFFSET: 0
; COMPUTE_PGM_RSRC3_GFX90A:TG_SPLIT: 0
	.section	.text._ZN7rocprim17ROCPRIM_400000_NS6detail17trampoline_kernelINS0_14default_configENS1_27scan_by_key_config_selectorIj11FixedVectorIiLj4EEEEZZNS1_16scan_by_key_implILNS1_25lookback_scan_determinismE0ELb0ES3_N6thrust23THRUST_200600_302600_NS6detail15normal_iteratorINSB_10device_ptrIjEEEENSD_INSE_IS6_EEEESI_S6_NSB_4plusIvEENSB_8equal_toIvEES6_EE10hipError_tPvRmT2_T3_T4_T5_mT6_T7_P12ihipStream_tbENKUlT_T0_E_clISt17integral_constantIbLb1EES12_IbLb0EEEEDaSY_SZ_EUlSY_E_NS1_11comp_targetILNS1_3genE8ELNS1_11target_archE1030ELNS1_3gpuE2ELNS1_3repE0EEENS1_30default_config_static_selectorELNS0_4arch9wavefront6targetE1EEEvT1_,"axG",@progbits,_ZN7rocprim17ROCPRIM_400000_NS6detail17trampoline_kernelINS0_14default_configENS1_27scan_by_key_config_selectorIj11FixedVectorIiLj4EEEEZZNS1_16scan_by_key_implILNS1_25lookback_scan_determinismE0ELb0ES3_N6thrust23THRUST_200600_302600_NS6detail15normal_iteratorINSB_10device_ptrIjEEEENSD_INSE_IS6_EEEESI_S6_NSB_4plusIvEENSB_8equal_toIvEES6_EE10hipError_tPvRmT2_T3_T4_T5_mT6_T7_P12ihipStream_tbENKUlT_T0_E_clISt17integral_constantIbLb1EES12_IbLb0EEEEDaSY_SZ_EUlSY_E_NS1_11comp_targetILNS1_3genE8ELNS1_11target_archE1030ELNS1_3gpuE2ELNS1_3repE0EEENS1_30default_config_static_selectorELNS0_4arch9wavefront6targetE1EEEvT1_,comdat
	.protected	_ZN7rocprim17ROCPRIM_400000_NS6detail17trampoline_kernelINS0_14default_configENS1_27scan_by_key_config_selectorIj11FixedVectorIiLj4EEEEZZNS1_16scan_by_key_implILNS1_25lookback_scan_determinismE0ELb0ES3_N6thrust23THRUST_200600_302600_NS6detail15normal_iteratorINSB_10device_ptrIjEEEENSD_INSE_IS6_EEEESI_S6_NSB_4plusIvEENSB_8equal_toIvEES6_EE10hipError_tPvRmT2_T3_T4_T5_mT6_T7_P12ihipStream_tbENKUlT_T0_E_clISt17integral_constantIbLb1EES12_IbLb0EEEEDaSY_SZ_EUlSY_E_NS1_11comp_targetILNS1_3genE8ELNS1_11target_archE1030ELNS1_3gpuE2ELNS1_3repE0EEENS1_30default_config_static_selectorELNS0_4arch9wavefront6targetE1EEEvT1_ ; -- Begin function _ZN7rocprim17ROCPRIM_400000_NS6detail17trampoline_kernelINS0_14default_configENS1_27scan_by_key_config_selectorIj11FixedVectorIiLj4EEEEZZNS1_16scan_by_key_implILNS1_25lookback_scan_determinismE0ELb0ES3_N6thrust23THRUST_200600_302600_NS6detail15normal_iteratorINSB_10device_ptrIjEEEENSD_INSE_IS6_EEEESI_S6_NSB_4plusIvEENSB_8equal_toIvEES6_EE10hipError_tPvRmT2_T3_T4_T5_mT6_T7_P12ihipStream_tbENKUlT_T0_E_clISt17integral_constantIbLb1EES12_IbLb0EEEEDaSY_SZ_EUlSY_E_NS1_11comp_targetILNS1_3genE8ELNS1_11target_archE1030ELNS1_3gpuE2ELNS1_3repE0EEENS1_30default_config_static_selectorELNS0_4arch9wavefront6targetE1EEEvT1_
	.globl	_ZN7rocprim17ROCPRIM_400000_NS6detail17trampoline_kernelINS0_14default_configENS1_27scan_by_key_config_selectorIj11FixedVectorIiLj4EEEEZZNS1_16scan_by_key_implILNS1_25lookback_scan_determinismE0ELb0ES3_N6thrust23THRUST_200600_302600_NS6detail15normal_iteratorINSB_10device_ptrIjEEEENSD_INSE_IS6_EEEESI_S6_NSB_4plusIvEENSB_8equal_toIvEES6_EE10hipError_tPvRmT2_T3_T4_T5_mT6_T7_P12ihipStream_tbENKUlT_T0_E_clISt17integral_constantIbLb1EES12_IbLb0EEEEDaSY_SZ_EUlSY_E_NS1_11comp_targetILNS1_3genE8ELNS1_11target_archE1030ELNS1_3gpuE2ELNS1_3repE0EEENS1_30default_config_static_selectorELNS0_4arch9wavefront6targetE1EEEvT1_
	.p2align	8
	.type	_ZN7rocprim17ROCPRIM_400000_NS6detail17trampoline_kernelINS0_14default_configENS1_27scan_by_key_config_selectorIj11FixedVectorIiLj4EEEEZZNS1_16scan_by_key_implILNS1_25lookback_scan_determinismE0ELb0ES3_N6thrust23THRUST_200600_302600_NS6detail15normal_iteratorINSB_10device_ptrIjEEEENSD_INSE_IS6_EEEESI_S6_NSB_4plusIvEENSB_8equal_toIvEES6_EE10hipError_tPvRmT2_T3_T4_T5_mT6_T7_P12ihipStream_tbENKUlT_T0_E_clISt17integral_constantIbLb1EES12_IbLb0EEEEDaSY_SZ_EUlSY_E_NS1_11comp_targetILNS1_3genE8ELNS1_11target_archE1030ELNS1_3gpuE2ELNS1_3repE0EEENS1_30default_config_static_selectorELNS0_4arch9wavefront6targetE1EEEvT1_,@function
_ZN7rocprim17ROCPRIM_400000_NS6detail17trampoline_kernelINS0_14default_configENS1_27scan_by_key_config_selectorIj11FixedVectorIiLj4EEEEZZNS1_16scan_by_key_implILNS1_25lookback_scan_determinismE0ELb0ES3_N6thrust23THRUST_200600_302600_NS6detail15normal_iteratorINSB_10device_ptrIjEEEENSD_INSE_IS6_EEEESI_S6_NSB_4plusIvEENSB_8equal_toIvEES6_EE10hipError_tPvRmT2_T3_T4_T5_mT6_T7_P12ihipStream_tbENKUlT_T0_E_clISt17integral_constantIbLb1EES12_IbLb0EEEEDaSY_SZ_EUlSY_E_NS1_11comp_targetILNS1_3genE8ELNS1_11target_archE1030ELNS1_3gpuE2ELNS1_3repE0EEENS1_30default_config_static_selectorELNS0_4arch9wavefront6targetE1EEEvT1_: ; @_ZN7rocprim17ROCPRIM_400000_NS6detail17trampoline_kernelINS0_14default_configENS1_27scan_by_key_config_selectorIj11FixedVectorIiLj4EEEEZZNS1_16scan_by_key_implILNS1_25lookback_scan_determinismE0ELb0ES3_N6thrust23THRUST_200600_302600_NS6detail15normal_iteratorINSB_10device_ptrIjEEEENSD_INSE_IS6_EEEESI_S6_NSB_4plusIvEENSB_8equal_toIvEES6_EE10hipError_tPvRmT2_T3_T4_T5_mT6_T7_P12ihipStream_tbENKUlT_T0_E_clISt17integral_constantIbLb1EES12_IbLb0EEEEDaSY_SZ_EUlSY_E_NS1_11comp_targetILNS1_3genE8ELNS1_11target_archE1030ELNS1_3gpuE2ELNS1_3repE0EEENS1_30default_config_static_selectorELNS0_4arch9wavefront6targetE1EEEvT1_
; %bb.0:
	.section	.rodata,"a",@progbits
	.p2align	6, 0x0
	.amdhsa_kernel _ZN7rocprim17ROCPRIM_400000_NS6detail17trampoline_kernelINS0_14default_configENS1_27scan_by_key_config_selectorIj11FixedVectorIiLj4EEEEZZNS1_16scan_by_key_implILNS1_25lookback_scan_determinismE0ELb0ES3_N6thrust23THRUST_200600_302600_NS6detail15normal_iteratorINSB_10device_ptrIjEEEENSD_INSE_IS6_EEEESI_S6_NSB_4plusIvEENSB_8equal_toIvEES6_EE10hipError_tPvRmT2_T3_T4_T5_mT6_T7_P12ihipStream_tbENKUlT_T0_E_clISt17integral_constantIbLb1EES12_IbLb0EEEEDaSY_SZ_EUlSY_E_NS1_11comp_targetILNS1_3genE8ELNS1_11target_archE1030ELNS1_3gpuE2ELNS1_3repE0EEENS1_30default_config_static_selectorELNS0_4arch9wavefront6targetE1EEEvT1_
		.amdhsa_group_segment_fixed_size 0
		.amdhsa_private_segment_fixed_size 0
		.amdhsa_kernarg_size 144
		.amdhsa_user_sgpr_count 6
		.amdhsa_user_sgpr_private_segment_buffer 1
		.amdhsa_user_sgpr_dispatch_ptr 0
		.amdhsa_user_sgpr_queue_ptr 0
		.amdhsa_user_sgpr_kernarg_segment_ptr 1
		.amdhsa_user_sgpr_dispatch_id 0
		.amdhsa_user_sgpr_flat_scratch_init 0
		.amdhsa_user_sgpr_kernarg_preload_length 0
		.amdhsa_user_sgpr_kernarg_preload_offset 0
		.amdhsa_user_sgpr_private_segment_size 0
		.amdhsa_uses_dynamic_stack 0
		.amdhsa_system_sgpr_private_segment_wavefront_offset 0
		.amdhsa_system_sgpr_workgroup_id_x 1
		.amdhsa_system_sgpr_workgroup_id_y 0
		.amdhsa_system_sgpr_workgroup_id_z 0
		.amdhsa_system_sgpr_workgroup_info 0
		.amdhsa_system_vgpr_workitem_id 0
		.amdhsa_next_free_vgpr 1
		.amdhsa_next_free_sgpr 0
		.amdhsa_accum_offset 4
		.amdhsa_reserve_vcc 0
		.amdhsa_reserve_flat_scratch 0
		.amdhsa_float_round_mode_32 0
		.amdhsa_float_round_mode_16_64 0
		.amdhsa_float_denorm_mode_32 3
		.amdhsa_float_denorm_mode_16_64 3
		.amdhsa_dx10_clamp 1
		.amdhsa_ieee_mode 1
		.amdhsa_fp16_overflow 0
		.amdhsa_tg_split 0
		.amdhsa_exception_fp_ieee_invalid_op 0
		.amdhsa_exception_fp_denorm_src 0
		.amdhsa_exception_fp_ieee_div_zero 0
		.amdhsa_exception_fp_ieee_overflow 0
		.amdhsa_exception_fp_ieee_underflow 0
		.amdhsa_exception_fp_ieee_inexact 0
		.amdhsa_exception_int_div_zero 0
	.end_amdhsa_kernel
	.section	.text._ZN7rocprim17ROCPRIM_400000_NS6detail17trampoline_kernelINS0_14default_configENS1_27scan_by_key_config_selectorIj11FixedVectorIiLj4EEEEZZNS1_16scan_by_key_implILNS1_25lookback_scan_determinismE0ELb0ES3_N6thrust23THRUST_200600_302600_NS6detail15normal_iteratorINSB_10device_ptrIjEEEENSD_INSE_IS6_EEEESI_S6_NSB_4plusIvEENSB_8equal_toIvEES6_EE10hipError_tPvRmT2_T3_T4_T5_mT6_T7_P12ihipStream_tbENKUlT_T0_E_clISt17integral_constantIbLb1EES12_IbLb0EEEEDaSY_SZ_EUlSY_E_NS1_11comp_targetILNS1_3genE8ELNS1_11target_archE1030ELNS1_3gpuE2ELNS1_3repE0EEENS1_30default_config_static_selectorELNS0_4arch9wavefront6targetE1EEEvT1_,"axG",@progbits,_ZN7rocprim17ROCPRIM_400000_NS6detail17trampoline_kernelINS0_14default_configENS1_27scan_by_key_config_selectorIj11FixedVectorIiLj4EEEEZZNS1_16scan_by_key_implILNS1_25lookback_scan_determinismE0ELb0ES3_N6thrust23THRUST_200600_302600_NS6detail15normal_iteratorINSB_10device_ptrIjEEEENSD_INSE_IS6_EEEESI_S6_NSB_4plusIvEENSB_8equal_toIvEES6_EE10hipError_tPvRmT2_T3_T4_T5_mT6_T7_P12ihipStream_tbENKUlT_T0_E_clISt17integral_constantIbLb1EES12_IbLb0EEEEDaSY_SZ_EUlSY_E_NS1_11comp_targetILNS1_3genE8ELNS1_11target_archE1030ELNS1_3gpuE2ELNS1_3repE0EEENS1_30default_config_static_selectorELNS0_4arch9wavefront6targetE1EEEvT1_,comdat
.Lfunc_end2063:
	.size	_ZN7rocprim17ROCPRIM_400000_NS6detail17trampoline_kernelINS0_14default_configENS1_27scan_by_key_config_selectorIj11FixedVectorIiLj4EEEEZZNS1_16scan_by_key_implILNS1_25lookback_scan_determinismE0ELb0ES3_N6thrust23THRUST_200600_302600_NS6detail15normal_iteratorINSB_10device_ptrIjEEEENSD_INSE_IS6_EEEESI_S6_NSB_4plusIvEENSB_8equal_toIvEES6_EE10hipError_tPvRmT2_T3_T4_T5_mT6_T7_P12ihipStream_tbENKUlT_T0_E_clISt17integral_constantIbLb1EES12_IbLb0EEEEDaSY_SZ_EUlSY_E_NS1_11comp_targetILNS1_3genE8ELNS1_11target_archE1030ELNS1_3gpuE2ELNS1_3repE0EEENS1_30default_config_static_selectorELNS0_4arch9wavefront6targetE1EEEvT1_, .Lfunc_end2063-_ZN7rocprim17ROCPRIM_400000_NS6detail17trampoline_kernelINS0_14default_configENS1_27scan_by_key_config_selectorIj11FixedVectorIiLj4EEEEZZNS1_16scan_by_key_implILNS1_25lookback_scan_determinismE0ELb0ES3_N6thrust23THRUST_200600_302600_NS6detail15normal_iteratorINSB_10device_ptrIjEEEENSD_INSE_IS6_EEEESI_S6_NSB_4plusIvEENSB_8equal_toIvEES6_EE10hipError_tPvRmT2_T3_T4_T5_mT6_T7_P12ihipStream_tbENKUlT_T0_E_clISt17integral_constantIbLb1EES12_IbLb0EEEEDaSY_SZ_EUlSY_E_NS1_11comp_targetILNS1_3genE8ELNS1_11target_archE1030ELNS1_3gpuE2ELNS1_3repE0EEENS1_30default_config_static_selectorELNS0_4arch9wavefront6targetE1EEEvT1_
                                        ; -- End function
	.section	.AMDGPU.csdata,"",@progbits
; Kernel info:
; codeLenInByte = 0
; NumSgprs: 4
; NumVgprs: 0
; NumAgprs: 0
; TotalNumVgprs: 0
; ScratchSize: 0
; MemoryBound: 0
; FloatMode: 240
; IeeeMode: 1
; LDSByteSize: 0 bytes/workgroup (compile time only)
; SGPRBlocks: 0
; VGPRBlocks: 0
; NumSGPRsForWavesPerEU: 4
; NumVGPRsForWavesPerEU: 1
; AccumOffset: 4
; Occupancy: 8
; WaveLimiterHint : 0
; COMPUTE_PGM_RSRC2:SCRATCH_EN: 0
; COMPUTE_PGM_RSRC2:USER_SGPR: 6
; COMPUTE_PGM_RSRC2:TRAP_HANDLER: 0
; COMPUTE_PGM_RSRC2:TGID_X_EN: 1
; COMPUTE_PGM_RSRC2:TGID_Y_EN: 0
; COMPUTE_PGM_RSRC2:TGID_Z_EN: 0
; COMPUTE_PGM_RSRC2:TIDIG_COMP_CNT: 0
; COMPUTE_PGM_RSRC3_GFX90A:ACCUM_OFFSET: 0
; COMPUTE_PGM_RSRC3_GFX90A:TG_SPLIT: 0
	.section	.text._ZN7rocprim17ROCPRIM_400000_NS6detail30init_device_scan_by_key_kernelINS1_19lookback_scan_stateINS0_5tupleIJ11FixedVectorIiLj4EEbEEELb0ELb0EEEN6thrust23THRUST_200600_302600_NS6detail15normal_iteratorINSA_10device_ptrIjEEEEjNS1_16block_id_wrapperIjLb1EEEEEvT_jjPNSI_10value_typeET0_PNSt15iterator_traitsISL_E10value_typeEmT1_T2_,"axG",@progbits,_ZN7rocprim17ROCPRIM_400000_NS6detail30init_device_scan_by_key_kernelINS1_19lookback_scan_stateINS0_5tupleIJ11FixedVectorIiLj4EEbEEELb0ELb0EEEN6thrust23THRUST_200600_302600_NS6detail15normal_iteratorINSA_10device_ptrIjEEEEjNS1_16block_id_wrapperIjLb1EEEEEvT_jjPNSI_10value_typeET0_PNSt15iterator_traitsISL_E10value_typeEmT1_T2_,comdat
	.protected	_ZN7rocprim17ROCPRIM_400000_NS6detail30init_device_scan_by_key_kernelINS1_19lookback_scan_stateINS0_5tupleIJ11FixedVectorIiLj4EEbEEELb0ELb0EEEN6thrust23THRUST_200600_302600_NS6detail15normal_iteratorINSA_10device_ptrIjEEEEjNS1_16block_id_wrapperIjLb1EEEEEvT_jjPNSI_10value_typeET0_PNSt15iterator_traitsISL_E10value_typeEmT1_T2_ ; -- Begin function _ZN7rocprim17ROCPRIM_400000_NS6detail30init_device_scan_by_key_kernelINS1_19lookback_scan_stateINS0_5tupleIJ11FixedVectorIiLj4EEbEEELb0ELb0EEEN6thrust23THRUST_200600_302600_NS6detail15normal_iteratorINSA_10device_ptrIjEEEEjNS1_16block_id_wrapperIjLb1EEEEEvT_jjPNSI_10value_typeET0_PNSt15iterator_traitsISL_E10value_typeEmT1_T2_
	.globl	_ZN7rocprim17ROCPRIM_400000_NS6detail30init_device_scan_by_key_kernelINS1_19lookback_scan_stateINS0_5tupleIJ11FixedVectorIiLj4EEbEEELb0ELb0EEEN6thrust23THRUST_200600_302600_NS6detail15normal_iteratorINSA_10device_ptrIjEEEEjNS1_16block_id_wrapperIjLb1EEEEEvT_jjPNSI_10value_typeET0_PNSt15iterator_traitsISL_E10value_typeEmT1_T2_
	.p2align	8
	.type	_ZN7rocprim17ROCPRIM_400000_NS6detail30init_device_scan_by_key_kernelINS1_19lookback_scan_stateINS0_5tupleIJ11FixedVectorIiLj4EEbEEELb0ELb0EEEN6thrust23THRUST_200600_302600_NS6detail15normal_iteratorINSA_10device_ptrIjEEEEjNS1_16block_id_wrapperIjLb1EEEEEvT_jjPNSI_10value_typeET0_PNSt15iterator_traitsISL_E10value_typeEmT1_T2_,@function
_ZN7rocprim17ROCPRIM_400000_NS6detail30init_device_scan_by_key_kernelINS1_19lookback_scan_stateINS0_5tupleIJ11FixedVectorIiLj4EEbEEELb0ELb0EEEN6thrust23THRUST_200600_302600_NS6detail15normal_iteratorINSA_10device_ptrIjEEEEjNS1_16block_id_wrapperIjLb1EEEEEvT_jjPNSI_10value_typeET0_PNSt15iterator_traitsISL_E10value_typeEmT1_T2_: ; @_ZN7rocprim17ROCPRIM_400000_NS6detail30init_device_scan_by_key_kernelINS1_19lookback_scan_stateINS0_5tupleIJ11FixedVectorIiLj4EEbEEELb0ELb0EEEN6thrust23THRUST_200600_302600_NS6detail15normal_iteratorINSA_10device_ptrIjEEEEjNS1_16block_id_wrapperIjLb1EEEEEvT_jjPNSI_10value_typeET0_PNSt15iterator_traitsISL_E10value_typeEmT1_T2_
; %bb.0:
	s_load_dword s0, s[6:7], 0x5c
	s_load_dwordx8 s[12:19], s[6:7], 0x10
	s_load_dword s10, s[6:7], 0x50
	v_and_b32_e32 v1, 0x3ff, v0
	s_waitcnt lgkmcnt(0)
	s_and_b32 s11, s0, 0xffff
	s_mul_i32 s8, s8, s11
	s_cmp_eq_u64 s[16:17], 0
	v_add_u32_e32 v2, s8, v1
	s_cbranch_scc1 .LBB2064_8
; %bb.1:
	s_cmp_lt_u32 s15, s14
	s_cselect_b32 s0, s15, 0
	s_mov_b32 s20, 0
	v_cmp_eq_u32_e32 vcc, s0, v2
	s_and_saveexec_b64 s[8:9], vcc
	s_cbranch_execz .LBB2064_7
; %bb.2:
	s_load_dwordx2 s[22:23], s[4:5], 0x4
	s_load_dwordx4 s[0:3], s[6:7], 0x0
	v_bfe_u32 v3, v0, 10, 10
	v_bfe_u32 v0, v0, 20, 10
	s_waitcnt lgkmcnt(0)
	s_lshr_b32 s4, s22, 16
	s_mul_i32 s4, s4, s23
	v_mul_u32_u24_e32 v3, s23, v3
	v_mul_lo_u32 v1, s4, v1
	v_add3_u32 v0, v1, v3, v0
	v_mul_lo_u32 v0, v0, 20
	v_mov_b32_e32 v1, 0
	ds_write2_b32 v0, v1, v1 offset0:2 offset1:3
	ds_write2_b32 v0, v1, v1 offset1:1
	ds_write_b32 v0, v1 offset:16
.LBB2064_3:                             ; =>This Inner Loop Header: Depth=1
	v_add_u32_e32 v3, s20, v0
	s_add_i32 s20, s20, 8
	s_cmp_lg_u32 s20, 16
	ds_write2_b32 v3, v1, v1 offset1:1
	s_cbranch_scc1 .LBB2064_3
; %bb.4:
	v_mov_b32_e32 v1, 0
	s_add_i32 s15, s15, 64
	ds_write_b8 v0, v1 offset:16
	v_mov_b32_e32 v3, s15
	global_load_ubyte v3, v3, s[12:13] glc
	s_add_u32 s4, s12, s15
	s_addc_u32 s5, s13, 0
	s_waitcnt vmcnt(0)
	v_cmp_ne_u16_e32 vcc, 0, v3
	v_readfirstlane_b32 s20, v3
	s_cbranch_vccnz .LBB2064_6
.LBB2064_5:                             ; =>This Inner Loop Header: Depth=1
	global_load_ubyte v3, v1, s[4:5] glc
	s_waitcnt vmcnt(0)
	v_cmp_eq_u16_e32 vcc, 0, v3
	v_readfirstlane_b32 s20, v3
	s_cbranch_vccnz .LBB2064_5
.LBB2064_6:
	s_and_b32 s4, 0xffff, s20
	s_cmp_eq_u32 s4, 1
	s_cselect_b32 s1, s1, s3
	s_cselect_b32 s0, s0, s2
	s_mul_i32 s3, s15, 20
	s_mul_hi_u32 s2, s15, 20
	s_add_u32 s0, s0, s3
	s_addc_u32 s1, s1, s2
	v_mov_b32_e32 v1, 0
	s_waitcnt lgkmcnt(0)
	buffer_wbinvl1_vol
	global_load_dwordx4 v[4:7], v1, s[0:1]
	global_load_ubyte v3, v1, s[0:1] offset:16
	s_waitcnt vmcnt(1)
	ds_write2_b32 v0, v4, v5 offset1:1
	ds_write2_b32 v0, v6, v7 offset0:2 offset1:3
	global_store_dwordx4 v1, v[4:7], s[16:17]
	s_waitcnt vmcnt(1)
	global_store_byte v1, v3, s[16:17] offset:16
.LBB2064_7:
	s_or_b64 exec, exec, s[8:9]
.LBB2064_8:
	v_cmp_eq_u32_e32 vcc, 0, v2
	s_and_saveexec_b64 s[0:1], vcc
	s_cbranch_execz .LBB2064_10
; %bb.9:
	s_load_dwordx2 s[2:3], s[6:7], 0x48
	v_mov_b32_e32 v0, 0
	s_waitcnt lgkmcnt(0)
	global_store_dword v0, v0, s[2:3]
.LBB2064_10:
	s_or_b64 exec, exec, s[0:1]
	v_cmp_gt_u32_e32 vcc, s14, v2
	s_and_saveexec_b64 s[0:1], vcc
	s_cbranch_execz .LBB2064_12
; %bb.11:
	v_add_u32_e32 v0, 64, v2
	v_mov_b32_e32 v1, 0
	global_store_byte v0, v1, s[12:13]
.LBB2064_12:
	s_or_b64 exec, exec, s[0:1]
	v_cmp_gt_u32_e32 vcc, 64, v2
	v_mov_b32_e32 v3, 0
	s_and_saveexec_b64 s[0:1], vcc
	s_cbranch_execz .LBB2064_14
; %bb.13:
	v_mov_b32_e32 v1, s13
	v_add_co_u32_e32 v0, vcc, s12, v2
	v_addc_co_u32_e32 v1, vcc, 0, v1, vcc
	v_mov_b32_e32 v4, 0xff
	global_store_byte v[0:1], v4, off
.LBB2064_14:
	s_or_b64 exec, exec, s[0:1]
	s_load_dwordx2 s[0:1], s[6:7], 0x38
	s_waitcnt lgkmcnt(0)
	v_cmp_gt_u64_e32 vcc, s[0:1], v[2:3]
	s_and_saveexec_b64 s[2:3], vcc
	s_cbranch_execz .LBB2064_17
; %bb.15:
	s_load_dword s12, s[6:7], 0x40
	s_load_dwordx2 s[8:9], s[6:7], 0x30
	s_mov_b32 s5, 0
	s_mov_b32 s3, s5
	s_mul_i32 s2, s10, s11
	s_waitcnt lgkmcnt(0)
	s_add_i32 s4, s12, -1
	s_lshl_b64 s[4:5], s[4:5], 2
	v_mad_u64_u32 v[0:1], s[6:7], s12, v2, 0
	s_add_u32 s4, s18, s4
	v_lshlrev_b64 v[0:1], 2, v[0:1]
	s_addc_u32 s5, s19, s5
	v_mov_b32_e32 v4, s5
	v_add_co_u32_e32 v0, vcc, s4, v0
	v_addc_co_u32_e32 v1, vcc, v4, v1, vcc
	s_mul_hi_u32 s5, s12, s2
	s_mul_i32 s4, s12, s2
	v_lshlrev_b64 v[4:5], 2, v[2:3]
	s_lshl_b64 s[4:5], s[4:5], 2
	v_mov_b32_e32 v6, s9
	v_add_co_u32_e32 v4, vcc, s8, v4
	s_lshl_b64 s[6:7], s[2:3], 2
	v_addc_co_u32_e32 v5, vcc, v6, v5, vcc
	s_mov_b64 s[8:9], 0
	v_mov_b32_e32 v6, s3
	v_mov_b32_e32 v7, s5
	;; [unrolled: 1-line block ×3, first 2 shown]
.LBB2064_16:                            ; =>This Inner Loop Header: Depth=1
	global_load_dword v9, v[0:1], off
	v_add_co_u32_e32 v2, vcc, s2, v2
	v_addc_co_u32_e32 v3, vcc, v3, v6, vcc
	v_add_co_u32_e32 v0, vcc, s4, v0
	v_addc_co_u32_e32 v1, vcc, v1, v7, vcc
	v_cmp_le_u64_e32 vcc, s[0:1], v[2:3]
	s_or_b64 s[8:9], vcc, s[8:9]
	s_waitcnt vmcnt(0)
	global_store_dword v[4:5], v9, off
	v_add_co_u32_e32 v4, vcc, s6, v4
	v_addc_co_u32_e32 v5, vcc, v5, v8, vcc
	s_andn2_b64 exec, exec, s[8:9]
	s_cbranch_execnz .LBB2064_16
.LBB2064_17:
	s_endpgm
	.section	.rodata,"a",@progbits
	.p2align	6, 0x0
	.amdhsa_kernel _ZN7rocprim17ROCPRIM_400000_NS6detail30init_device_scan_by_key_kernelINS1_19lookback_scan_stateINS0_5tupleIJ11FixedVectorIiLj4EEbEEELb0ELb0EEEN6thrust23THRUST_200600_302600_NS6detail15normal_iteratorINSA_10device_ptrIjEEEEjNS1_16block_id_wrapperIjLb1EEEEEvT_jjPNSI_10value_typeET0_PNSt15iterator_traitsISL_E10value_typeEmT1_T2_
		.amdhsa_group_segment_fixed_size 5120
		.amdhsa_private_segment_fixed_size 0
		.amdhsa_kernarg_size 336
		.amdhsa_user_sgpr_count 8
		.amdhsa_user_sgpr_private_segment_buffer 1
		.amdhsa_user_sgpr_dispatch_ptr 1
		.amdhsa_user_sgpr_queue_ptr 0
		.amdhsa_user_sgpr_kernarg_segment_ptr 1
		.amdhsa_user_sgpr_dispatch_id 0
		.amdhsa_user_sgpr_flat_scratch_init 0
		.amdhsa_user_sgpr_kernarg_preload_length 0
		.amdhsa_user_sgpr_kernarg_preload_offset 0
		.amdhsa_user_sgpr_private_segment_size 0
		.amdhsa_uses_dynamic_stack 0
		.amdhsa_system_sgpr_private_segment_wavefront_offset 0
		.amdhsa_system_sgpr_workgroup_id_x 1
		.amdhsa_system_sgpr_workgroup_id_y 0
		.amdhsa_system_sgpr_workgroup_id_z 0
		.amdhsa_system_sgpr_workgroup_info 0
		.amdhsa_system_vgpr_workitem_id 2
		.amdhsa_next_free_vgpr 10
		.amdhsa_next_free_sgpr 24
		.amdhsa_accum_offset 12
		.amdhsa_reserve_vcc 1
		.amdhsa_reserve_flat_scratch 0
		.amdhsa_float_round_mode_32 0
		.amdhsa_float_round_mode_16_64 0
		.amdhsa_float_denorm_mode_32 3
		.amdhsa_float_denorm_mode_16_64 3
		.amdhsa_dx10_clamp 1
		.amdhsa_ieee_mode 1
		.amdhsa_fp16_overflow 0
		.amdhsa_tg_split 0
		.amdhsa_exception_fp_ieee_invalid_op 0
		.amdhsa_exception_fp_denorm_src 0
		.amdhsa_exception_fp_ieee_div_zero 0
		.amdhsa_exception_fp_ieee_overflow 0
		.amdhsa_exception_fp_ieee_underflow 0
		.amdhsa_exception_fp_ieee_inexact 0
		.amdhsa_exception_int_div_zero 0
	.end_amdhsa_kernel
	.section	.text._ZN7rocprim17ROCPRIM_400000_NS6detail30init_device_scan_by_key_kernelINS1_19lookback_scan_stateINS0_5tupleIJ11FixedVectorIiLj4EEbEEELb0ELb0EEEN6thrust23THRUST_200600_302600_NS6detail15normal_iteratorINSA_10device_ptrIjEEEEjNS1_16block_id_wrapperIjLb1EEEEEvT_jjPNSI_10value_typeET0_PNSt15iterator_traitsISL_E10value_typeEmT1_T2_,"axG",@progbits,_ZN7rocprim17ROCPRIM_400000_NS6detail30init_device_scan_by_key_kernelINS1_19lookback_scan_stateINS0_5tupleIJ11FixedVectorIiLj4EEbEEELb0ELb0EEEN6thrust23THRUST_200600_302600_NS6detail15normal_iteratorINSA_10device_ptrIjEEEEjNS1_16block_id_wrapperIjLb1EEEEEvT_jjPNSI_10value_typeET0_PNSt15iterator_traitsISL_E10value_typeEmT1_T2_,comdat
.Lfunc_end2064:
	.size	_ZN7rocprim17ROCPRIM_400000_NS6detail30init_device_scan_by_key_kernelINS1_19lookback_scan_stateINS0_5tupleIJ11FixedVectorIiLj4EEbEEELb0ELb0EEEN6thrust23THRUST_200600_302600_NS6detail15normal_iteratorINSA_10device_ptrIjEEEEjNS1_16block_id_wrapperIjLb1EEEEEvT_jjPNSI_10value_typeET0_PNSt15iterator_traitsISL_E10value_typeEmT1_T2_, .Lfunc_end2064-_ZN7rocprim17ROCPRIM_400000_NS6detail30init_device_scan_by_key_kernelINS1_19lookback_scan_stateINS0_5tupleIJ11FixedVectorIiLj4EEbEEELb0ELb0EEEN6thrust23THRUST_200600_302600_NS6detail15normal_iteratorINSA_10device_ptrIjEEEEjNS1_16block_id_wrapperIjLb1EEEEEvT_jjPNSI_10value_typeET0_PNSt15iterator_traitsISL_E10value_typeEmT1_T2_
                                        ; -- End function
	.section	.AMDGPU.csdata,"",@progbits
; Kernel info:
; codeLenInByte = 732
; NumSgprs: 28
; NumVgprs: 10
; NumAgprs: 0
; TotalNumVgprs: 10
; ScratchSize: 0
; MemoryBound: 0
; FloatMode: 240
; IeeeMode: 1
; LDSByteSize: 5120 bytes/workgroup (compile time only)
; SGPRBlocks: 3
; VGPRBlocks: 1
; NumSGPRsForWavesPerEU: 28
; NumVGPRsForWavesPerEU: 10
; AccumOffset: 12
; Occupancy: 8
; WaveLimiterHint : 0
; COMPUTE_PGM_RSRC2:SCRATCH_EN: 0
; COMPUTE_PGM_RSRC2:USER_SGPR: 8
; COMPUTE_PGM_RSRC2:TRAP_HANDLER: 0
; COMPUTE_PGM_RSRC2:TGID_X_EN: 1
; COMPUTE_PGM_RSRC2:TGID_Y_EN: 0
; COMPUTE_PGM_RSRC2:TGID_Z_EN: 0
; COMPUTE_PGM_RSRC2:TIDIG_COMP_CNT: 2
; COMPUTE_PGM_RSRC3_GFX90A:ACCUM_OFFSET: 2
; COMPUTE_PGM_RSRC3_GFX90A:TG_SPLIT: 0
	.section	.text._ZN7rocprim17ROCPRIM_400000_NS6detail30init_device_scan_by_key_kernelINS1_19lookback_scan_stateINS0_5tupleIJ11FixedVectorIiLj4EEbEEELb0ELb0EEENS1_16block_id_wrapperIjLb1EEEEEvT_jjPNSB_10value_typeET0_,"axG",@progbits,_ZN7rocprim17ROCPRIM_400000_NS6detail30init_device_scan_by_key_kernelINS1_19lookback_scan_stateINS0_5tupleIJ11FixedVectorIiLj4EEbEEELb0ELb0EEENS1_16block_id_wrapperIjLb1EEEEEvT_jjPNSB_10value_typeET0_,comdat
	.protected	_ZN7rocprim17ROCPRIM_400000_NS6detail30init_device_scan_by_key_kernelINS1_19lookback_scan_stateINS0_5tupleIJ11FixedVectorIiLj4EEbEEELb0ELb0EEENS1_16block_id_wrapperIjLb1EEEEEvT_jjPNSB_10value_typeET0_ ; -- Begin function _ZN7rocprim17ROCPRIM_400000_NS6detail30init_device_scan_by_key_kernelINS1_19lookback_scan_stateINS0_5tupleIJ11FixedVectorIiLj4EEbEEELb0ELb0EEENS1_16block_id_wrapperIjLb1EEEEEvT_jjPNSB_10value_typeET0_
	.globl	_ZN7rocprim17ROCPRIM_400000_NS6detail30init_device_scan_by_key_kernelINS1_19lookback_scan_stateINS0_5tupleIJ11FixedVectorIiLj4EEbEEELb0ELb0EEENS1_16block_id_wrapperIjLb1EEEEEvT_jjPNSB_10value_typeET0_
	.p2align	8
	.type	_ZN7rocprim17ROCPRIM_400000_NS6detail30init_device_scan_by_key_kernelINS1_19lookback_scan_stateINS0_5tupleIJ11FixedVectorIiLj4EEbEEELb0ELb0EEENS1_16block_id_wrapperIjLb1EEEEEvT_jjPNSB_10value_typeET0_,@function
_ZN7rocprim17ROCPRIM_400000_NS6detail30init_device_scan_by_key_kernelINS1_19lookback_scan_stateINS0_5tupleIJ11FixedVectorIiLj4EEbEEELb0ELb0EEENS1_16block_id_wrapperIjLb1EEEEEvT_jjPNSB_10value_typeET0_: ; @_ZN7rocprim17ROCPRIM_400000_NS6detail30init_device_scan_by_key_kernelINS1_19lookback_scan_stateINS0_5tupleIJ11FixedVectorIiLj4EEbEEELb0ELb0EEENS1_16block_id_wrapperIjLb1EEEEEvT_jjPNSB_10value_typeET0_
; %bb.0:
	s_load_dword s0, s[6:7], 0x3c
	s_load_dwordx8 s[12:19], s[6:7], 0x10
	v_and_b32_e32 v2, 0x3ff, v0
	s_waitcnt lgkmcnt(0)
	s_and_b32 s0, s0, 0xffff
	s_mul_i32 s8, s8, s0
	s_cmp_eq_u64 s[16:17], 0
	v_add_u32_e32 v1, s8, v2
	s_cbranch_scc1 .LBB2065_8
; %bb.1:
	s_cmp_lt_u32 s15, s14
	s_cselect_b32 s0, s15, 0
	s_mov_b32 s10, 0
	v_cmp_eq_u32_e32 vcc, s0, v1
	s_and_saveexec_b64 s[8:9], vcc
	s_cbranch_execz .LBB2065_7
; %bb.2:
	s_load_dwordx2 s[20:21], s[4:5], 0x4
	s_load_dwordx4 s[0:3], s[6:7], 0x0
	v_bfe_u32 v3, v0, 10, 10
	v_bfe_u32 v0, v0, 20, 10
	s_waitcnt lgkmcnt(0)
	s_lshr_b32 s4, s20, 16
	s_mul_i32 s4, s4, s21
	v_mul_u32_u24_e32 v3, s21, v3
	v_mul_lo_u32 v2, s4, v2
	v_add3_u32 v0, v2, v3, v0
	v_mul_lo_u32 v0, v0, 20
	v_mov_b32_e32 v2, 0
	ds_write2_b32 v0, v2, v2 offset0:2 offset1:3
	ds_write2_b32 v0, v2, v2 offset1:1
	ds_write_b32 v0, v2 offset:16
.LBB2065_3:                             ; =>This Inner Loop Header: Depth=1
	v_add_u32_e32 v3, s10, v0
	s_add_i32 s10, s10, 8
	s_cmp_lg_u32 s10, 16
	ds_write2_b32 v3, v2, v2 offset1:1
	s_cbranch_scc1 .LBB2065_3
; %bb.4:
	v_mov_b32_e32 v2, 0
	s_add_i32 s6, s15, 64
	ds_write_b8 v0, v2 offset:16
	v_mov_b32_e32 v3, s6
	global_load_ubyte v3, v3, s[12:13] glc
	s_add_u32 s4, s12, s6
	s_addc_u32 s5, s13, 0
	s_waitcnt vmcnt(0)
	v_cmp_ne_u16_e32 vcc, 0, v3
	v_readfirstlane_b32 s7, v3
	s_cbranch_vccnz .LBB2065_6
.LBB2065_5:                             ; =>This Inner Loop Header: Depth=1
	global_load_ubyte v3, v2, s[4:5] glc
	s_waitcnt vmcnt(0)
	v_cmp_eq_u16_e32 vcc, 0, v3
	v_readfirstlane_b32 s7, v3
	s_cbranch_vccnz .LBB2065_5
.LBB2065_6:
	s_and_b32 s4, 0xffff, s7
	s_cmp_eq_u32 s4, 1
	s_cselect_b32 s1, s1, s3
	s_cselect_b32 s0, s0, s2
	s_mul_i32 s3, s6, 20
	s_mul_hi_u32 s2, s6, 20
	s_add_u32 s0, s0, s3
	s_addc_u32 s1, s1, s2
	v_mov_b32_e32 v6, 0
	s_waitcnt lgkmcnt(0)
	buffer_wbinvl1_vol
	global_load_dwordx4 v[2:5], v6, s[0:1]
	global_load_ubyte v7, v6, s[0:1] offset:16
	s_waitcnt vmcnt(1)
	ds_write2_b32 v0, v2, v3 offset1:1
	ds_write2_b32 v0, v4, v5 offset0:2 offset1:3
	global_store_dwordx4 v6, v[2:5], s[16:17]
	s_waitcnt vmcnt(1)
	global_store_byte v6, v7, s[16:17] offset:16
.LBB2065_7:
	s_or_b64 exec, exec, s[8:9]
.LBB2065_8:
	v_cmp_eq_u32_e32 vcc, 0, v1
	s_and_saveexec_b64 s[0:1], vcc
	s_cbranch_execnz .LBB2065_12
; %bb.9:
	s_or_b64 exec, exec, s[0:1]
	v_cmp_gt_u32_e32 vcc, s14, v1
	s_and_saveexec_b64 s[0:1], vcc
	s_cbranch_execnz .LBB2065_13
.LBB2065_10:
	s_or_b64 exec, exec, s[0:1]
	v_cmp_gt_u32_e32 vcc, 64, v1
	s_and_saveexec_b64 s[0:1], vcc
	s_cbranch_execnz .LBB2065_14
.LBB2065_11:
	s_endpgm
.LBB2065_12:
	v_mov_b32_e32 v0, 0
	global_store_dword v0, v0, s[18:19]
	s_or_b64 exec, exec, s[0:1]
	v_cmp_gt_u32_e32 vcc, s14, v1
	s_and_saveexec_b64 s[0:1], vcc
	s_cbranch_execz .LBB2065_10
.LBB2065_13:
	v_add_u32_e32 v0, 64, v1
	v_mov_b32_e32 v2, 0
	global_store_byte v0, v2, s[12:13]
	s_or_b64 exec, exec, s[0:1]
	v_cmp_gt_u32_e32 vcc, 64, v1
	s_and_saveexec_b64 s[0:1], vcc
	s_cbranch_execz .LBB2065_11
.LBB2065_14:
	v_mov_b32_e32 v0, 0xff
	global_store_byte v1, v0, s[12:13]
	s_endpgm
	.section	.rodata,"a",@progbits
	.p2align	6, 0x0
	.amdhsa_kernel _ZN7rocprim17ROCPRIM_400000_NS6detail30init_device_scan_by_key_kernelINS1_19lookback_scan_stateINS0_5tupleIJ11FixedVectorIiLj4EEbEEELb0ELb0EEENS1_16block_id_wrapperIjLb1EEEEEvT_jjPNSB_10value_typeET0_
		.amdhsa_group_segment_fixed_size 5120
		.amdhsa_private_segment_fixed_size 0
		.amdhsa_kernarg_size 304
		.amdhsa_user_sgpr_count 8
		.amdhsa_user_sgpr_private_segment_buffer 1
		.amdhsa_user_sgpr_dispatch_ptr 1
		.amdhsa_user_sgpr_queue_ptr 0
		.amdhsa_user_sgpr_kernarg_segment_ptr 1
		.amdhsa_user_sgpr_dispatch_id 0
		.amdhsa_user_sgpr_flat_scratch_init 0
		.amdhsa_user_sgpr_kernarg_preload_length 0
		.amdhsa_user_sgpr_kernarg_preload_offset 0
		.amdhsa_user_sgpr_private_segment_size 0
		.amdhsa_uses_dynamic_stack 0
		.amdhsa_system_sgpr_private_segment_wavefront_offset 0
		.amdhsa_system_sgpr_workgroup_id_x 1
		.amdhsa_system_sgpr_workgroup_id_y 0
		.amdhsa_system_sgpr_workgroup_id_z 0
		.amdhsa_system_sgpr_workgroup_info 0
		.amdhsa_system_vgpr_workitem_id 2
		.amdhsa_next_free_vgpr 8
		.amdhsa_next_free_sgpr 22
		.amdhsa_accum_offset 8
		.amdhsa_reserve_vcc 1
		.amdhsa_reserve_flat_scratch 0
		.amdhsa_float_round_mode_32 0
		.amdhsa_float_round_mode_16_64 0
		.amdhsa_float_denorm_mode_32 3
		.amdhsa_float_denorm_mode_16_64 3
		.amdhsa_dx10_clamp 1
		.amdhsa_ieee_mode 1
		.amdhsa_fp16_overflow 0
		.amdhsa_tg_split 0
		.amdhsa_exception_fp_ieee_invalid_op 0
		.amdhsa_exception_fp_denorm_src 0
		.amdhsa_exception_fp_ieee_div_zero 0
		.amdhsa_exception_fp_ieee_overflow 0
		.amdhsa_exception_fp_ieee_underflow 0
		.amdhsa_exception_fp_ieee_inexact 0
		.amdhsa_exception_int_div_zero 0
	.end_amdhsa_kernel
	.section	.text._ZN7rocprim17ROCPRIM_400000_NS6detail30init_device_scan_by_key_kernelINS1_19lookback_scan_stateINS0_5tupleIJ11FixedVectorIiLj4EEbEEELb0ELb0EEENS1_16block_id_wrapperIjLb1EEEEEvT_jjPNSB_10value_typeET0_,"axG",@progbits,_ZN7rocprim17ROCPRIM_400000_NS6detail30init_device_scan_by_key_kernelINS1_19lookback_scan_stateINS0_5tupleIJ11FixedVectorIiLj4EEbEEELb0ELb0EEENS1_16block_id_wrapperIjLb1EEEEEvT_jjPNSB_10value_typeET0_,comdat
.Lfunc_end2065:
	.size	_ZN7rocprim17ROCPRIM_400000_NS6detail30init_device_scan_by_key_kernelINS1_19lookback_scan_stateINS0_5tupleIJ11FixedVectorIiLj4EEbEEELb0ELb0EEENS1_16block_id_wrapperIjLb1EEEEEvT_jjPNSB_10value_typeET0_, .Lfunc_end2065-_ZN7rocprim17ROCPRIM_400000_NS6detail30init_device_scan_by_key_kernelINS1_19lookback_scan_stateINS0_5tupleIJ11FixedVectorIiLj4EEbEEELb0ELb0EEENS1_16block_id_wrapperIjLb1EEEEEvT_jjPNSB_10value_typeET0_
                                        ; -- End function
	.section	.AMDGPU.csdata,"",@progbits
; Kernel info:
; codeLenInByte = 516
; NumSgprs: 26
; NumVgprs: 8
; NumAgprs: 0
; TotalNumVgprs: 8
; ScratchSize: 0
; MemoryBound: 0
; FloatMode: 240
; IeeeMode: 1
; LDSByteSize: 5120 bytes/workgroup (compile time only)
; SGPRBlocks: 3
; VGPRBlocks: 0
; NumSGPRsForWavesPerEU: 26
; NumVGPRsForWavesPerEU: 8
; AccumOffset: 8
; Occupancy: 8
; WaveLimiterHint : 0
; COMPUTE_PGM_RSRC2:SCRATCH_EN: 0
; COMPUTE_PGM_RSRC2:USER_SGPR: 8
; COMPUTE_PGM_RSRC2:TRAP_HANDLER: 0
; COMPUTE_PGM_RSRC2:TGID_X_EN: 1
; COMPUTE_PGM_RSRC2:TGID_Y_EN: 0
; COMPUTE_PGM_RSRC2:TGID_Z_EN: 0
; COMPUTE_PGM_RSRC2:TIDIG_COMP_CNT: 2
; COMPUTE_PGM_RSRC3_GFX90A:ACCUM_OFFSET: 1
; COMPUTE_PGM_RSRC3_GFX90A:TG_SPLIT: 0
	.section	.text._ZN7rocprim17ROCPRIM_400000_NS6detail17trampoline_kernelINS0_14default_configENS1_27scan_by_key_config_selectorIj11FixedVectorIiLj4EEEEZZNS1_16scan_by_key_implILNS1_25lookback_scan_determinismE0ELb0ES3_N6thrust23THRUST_200600_302600_NS6detail15normal_iteratorINSB_10device_ptrIjEEEENSD_INSE_IS6_EEEESI_S6_NSB_4plusIvEENSB_8equal_toIvEES6_EE10hipError_tPvRmT2_T3_T4_T5_mT6_T7_P12ihipStream_tbENKUlT_T0_E_clISt17integral_constantIbLb0EES12_IbLb1EEEEDaSY_SZ_EUlSY_E_NS1_11comp_targetILNS1_3genE0ELNS1_11target_archE4294967295ELNS1_3gpuE0ELNS1_3repE0EEENS1_30default_config_static_selectorELNS0_4arch9wavefront6targetE1EEEvT1_,"axG",@progbits,_ZN7rocprim17ROCPRIM_400000_NS6detail17trampoline_kernelINS0_14default_configENS1_27scan_by_key_config_selectorIj11FixedVectorIiLj4EEEEZZNS1_16scan_by_key_implILNS1_25lookback_scan_determinismE0ELb0ES3_N6thrust23THRUST_200600_302600_NS6detail15normal_iteratorINSB_10device_ptrIjEEEENSD_INSE_IS6_EEEESI_S6_NSB_4plusIvEENSB_8equal_toIvEES6_EE10hipError_tPvRmT2_T3_T4_T5_mT6_T7_P12ihipStream_tbENKUlT_T0_E_clISt17integral_constantIbLb0EES12_IbLb1EEEEDaSY_SZ_EUlSY_E_NS1_11comp_targetILNS1_3genE0ELNS1_11target_archE4294967295ELNS1_3gpuE0ELNS1_3repE0EEENS1_30default_config_static_selectorELNS0_4arch9wavefront6targetE1EEEvT1_,comdat
	.protected	_ZN7rocprim17ROCPRIM_400000_NS6detail17trampoline_kernelINS0_14default_configENS1_27scan_by_key_config_selectorIj11FixedVectorIiLj4EEEEZZNS1_16scan_by_key_implILNS1_25lookback_scan_determinismE0ELb0ES3_N6thrust23THRUST_200600_302600_NS6detail15normal_iteratorINSB_10device_ptrIjEEEENSD_INSE_IS6_EEEESI_S6_NSB_4plusIvEENSB_8equal_toIvEES6_EE10hipError_tPvRmT2_T3_T4_T5_mT6_T7_P12ihipStream_tbENKUlT_T0_E_clISt17integral_constantIbLb0EES12_IbLb1EEEEDaSY_SZ_EUlSY_E_NS1_11comp_targetILNS1_3genE0ELNS1_11target_archE4294967295ELNS1_3gpuE0ELNS1_3repE0EEENS1_30default_config_static_selectorELNS0_4arch9wavefront6targetE1EEEvT1_ ; -- Begin function _ZN7rocprim17ROCPRIM_400000_NS6detail17trampoline_kernelINS0_14default_configENS1_27scan_by_key_config_selectorIj11FixedVectorIiLj4EEEEZZNS1_16scan_by_key_implILNS1_25lookback_scan_determinismE0ELb0ES3_N6thrust23THRUST_200600_302600_NS6detail15normal_iteratorINSB_10device_ptrIjEEEENSD_INSE_IS6_EEEESI_S6_NSB_4plusIvEENSB_8equal_toIvEES6_EE10hipError_tPvRmT2_T3_T4_T5_mT6_T7_P12ihipStream_tbENKUlT_T0_E_clISt17integral_constantIbLb0EES12_IbLb1EEEEDaSY_SZ_EUlSY_E_NS1_11comp_targetILNS1_3genE0ELNS1_11target_archE4294967295ELNS1_3gpuE0ELNS1_3repE0EEENS1_30default_config_static_selectorELNS0_4arch9wavefront6targetE1EEEvT1_
	.globl	_ZN7rocprim17ROCPRIM_400000_NS6detail17trampoline_kernelINS0_14default_configENS1_27scan_by_key_config_selectorIj11FixedVectorIiLj4EEEEZZNS1_16scan_by_key_implILNS1_25lookback_scan_determinismE0ELb0ES3_N6thrust23THRUST_200600_302600_NS6detail15normal_iteratorINSB_10device_ptrIjEEEENSD_INSE_IS6_EEEESI_S6_NSB_4plusIvEENSB_8equal_toIvEES6_EE10hipError_tPvRmT2_T3_T4_T5_mT6_T7_P12ihipStream_tbENKUlT_T0_E_clISt17integral_constantIbLb0EES12_IbLb1EEEEDaSY_SZ_EUlSY_E_NS1_11comp_targetILNS1_3genE0ELNS1_11target_archE4294967295ELNS1_3gpuE0ELNS1_3repE0EEENS1_30default_config_static_selectorELNS0_4arch9wavefront6targetE1EEEvT1_
	.p2align	8
	.type	_ZN7rocprim17ROCPRIM_400000_NS6detail17trampoline_kernelINS0_14default_configENS1_27scan_by_key_config_selectorIj11FixedVectorIiLj4EEEEZZNS1_16scan_by_key_implILNS1_25lookback_scan_determinismE0ELb0ES3_N6thrust23THRUST_200600_302600_NS6detail15normal_iteratorINSB_10device_ptrIjEEEENSD_INSE_IS6_EEEESI_S6_NSB_4plusIvEENSB_8equal_toIvEES6_EE10hipError_tPvRmT2_T3_T4_T5_mT6_T7_P12ihipStream_tbENKUlT_T0_E_clISt17integral_constantIbLb0EES12_IbLb1EEEEDaSY_SZ_EUlSY_E_NS1_11comp_targetILNS1_3genE0ELNS1_11target_archE4294967295ELNS1_3gpuE0ELNS1_3repE0EEENS1_30default_config_static_selectorELNS0_4arch9wavefront6targetE1EEEvT1_,@function
_ZN7rocprim17ROCPRIM_400000_NS6detail17trampoline_kernelINS0_14default_configENS1_27scan_by_key_config_selectorIj11FixedVectorIiLj4EEEEZZNS1_16scan_by_key_implILNS1_25lookback_scan_determinismE0ELb0ES3_N6thrust23THRUST_200600_302600_NS6detail15normal_iteratorINSB_10device_ptrIjEEEENSD_INSE_IS6_EEEESI_S6_NSB_4plusIvEENSB_8equal_toIvEES6_EE10hipError_tPvRmT2_T3_T4_T5_mT6_T7_P12ihipStream_tbENKUlT_T0_E_clISt17integral_constantIbLb0EES12_IbLb1EEEEDaSY_SZ_EUlSY_E_NS1_11comp_targetILNS1_3genE0ELNS1_11target_archE4294967295ELNS1_3gpuE0ELNS1_3repE0EEENS1_30default_config_static_selectorELNS0_4arch9wavefront6targetE1EEEvT1_: ; @_ZN7rocprim17ROCPRIM_400000_NS6detail17trampoline_kernelINS0_14default_configENS1_27scan_by_key_config_selectorIj11FixedVectorIiLj4EEEEZZNS1_16scan_by_key_implILNS1_25lookback_scan_determinismE0ELb0ES3_N6thrust23THRUST_200600_302600_NS6detail15normal_iteratorINSB_10device_ptrIjEEEENSD_INSE_IS6_EEEESI_S6_NSB_4plusIvEENSB_8equal_toIvEES6_EE10hipError_tPvRmT2_T3_T4_T5_mT6_T7_P12ihipStream_tbENKUlT_T0_E_clISt17integral_constantIbLb0EES12_IbLb1EEEEDaSY_SZ_EUlSY_E_NS1_11comp_targetILNS1_3genE0ELNS1_11target_archE4294967295ELNS1_3gpuE0ELNS1_3repE0EEENS1_30default_config_static_selectorELNS0_4arch9wavefront6targetE1EEEvT1_
; %bb.0:
	.section	.rodata,"a",@progbits
	.p2align	6, 0x0
	.amdhsa_kernel _ZN7rocprim17ROCPRIM_400000_NS6detail17trampoline_kernelINS0_14default_configENS1_27scan_by_key_config_selectorIj11FixedVectorIiLj4EEEEZZNS1_16scan_by_key_implILNS1_25lookback_scan_determinismE0ELb0ES3_N6thrust23THRUST_200600_302600_NS6detail15normal_iteratorINSB_10device_ptrIjEEEENSD_INSE_IS6_EEEESI_S6_NSB_4plusIvEENSB_8equal_toIvEES6_EE10hipError_tPvRmT2_T3_T4_T5_mT6_T7_P12ihipStream_tbENKUlT_T0_E_clISt17integral_constantIbLb0EES12_IbLb1EEEEDaSY_SZ_EUlSY_E_NS1_11comp_targetILNS1_3genE0ELNS1_11target_archE4294967295ELNS1_3gpuE0ELNS1_3repE0EEENS1_30default_config_static_selectorELNS0_4arch9wavefront6targetE1EEEvT1_
		.amdhsa_group_segment_fixed_size 0
		.amdhsa_private_segment_fixed_size 0
		.amdhsa_kernarg_size 144
		.amdhsa_user_sgpr_count 6
		.amdhsa_user_sgpr_private_segment_buffer 1
		.amdhsa_user_sgpr_dispatch_ptr 0
		.amdhsa_user_sgpr_queue_ptr 0
		.amdhsa_user_sgpr_kernarg_segment_ptr 1
		.amdhsa_user_sgpr_dispatch_id 0
		.amdhsa_user_sgpr_flat_scratch_init 0
		.amdhsa_user_sgpr_kernarg_preload_length 0
		.amdhsa_user_sgpr_kernarg_preload_offset 0
		.amdhsa_user_sgpr_private_segment_size 0
		.amdhsa_uses_dynamic_stack 0
		.amdhsa_system_sgpr_private_segment_wavefront_offset 0
		.amdhsa_system_sgpr_workgroup_id_x 1
		.amdhsa_system_sgpr_workgroup_id_y 0
		.amdhsa_system_sgpr_workgroup_id_z 0
		.amdhsa_system_sgpr_workgroup_info 0
		.amdhsa_system_vgpr_workitem_id 0
		.amdhsa_next_free_vgpr 1
		.amdhsa_next_free_sgpr 0
		.amdhsa_accum_offset 4
		.amdhsa_reserve_vcc 0
		.amdhsa_reserve_flat_scratch 0
		.amdhsa_float_round_mode_32 0
		.amdhsa_float_round_mode_16_64 0
		.amdhsa_float_denorm_mode_32 3
		.amdhsa_float_denorm_mode_16_64 3
		.amdhsa_dx10_clamp 1
		.amdhsa_ieee_mode 1
		.amdhsa_fp16_overflow 0
		.amdhsa_tg_split 0
		.amdhsa_exception_fp_ieee_invalid_op 0
		.amdhsa_exception_fp_denorm_src 0
		.amdhsa_exception_fp_ieee_div_zero 0
		.amdhsa_exception_fp_ieee_overflow 0
		.amdhsa_exception_fp_ieee_underflow 0
		.amdhsa_exception_fp_ieee_inexact 0
		.amdhsa_exception_int_div_zero 0
	.end_amdhsa_kernel
	.section	.text._ZN7rocprim17ROCPRIM_400000_NS6detail17trampoline_kernelINS0_14default_configENS1_27scan_by_key_config_selectorIj11FixedVectorIiLj4EEEEZZNS1_16scan_by_key_implILNS1_25lookback_scan_determinismE0ELb0ES3_N6thrust23THRUST_200600_302600_NS6detail15normal_iteratorINSB_10device_ptrIjEEEENSD_INSE_IS6_EEEESI_S6_NSB_4plusIvEENSB_8equal_toIvEES6_EE10hipError_tPvRmT2_T3_T4_T5_mT6_T7_P12ihipStream_tbENKUlT_T0_E_clISt17integral_constantIbLb0EES12_IbLb1EEEEDaSY_SZ_EUlSY_E_NS1_11comp_targetILNS1_3genE0ELNS1_11target_archE4294967295ELNS1_3gpuE0ELNS1_3repE0EEENS1_30default_config_static_selectorELNS0_4arch9wavefront6targetE1EEEvT1_,"axG",@progbits,_ZN7rocprim17ROCPRIM_400000_NS6detail17trampoline_kernelINS0_14default_configENS1_27scan_by_key_config_selectorIj11FixedVectorIiLj4EEEEZZNS1_16scan_by_key_implILNS1_25lookback_scan_determinismE0ELb0ES3_N6thrust23THRUST_200600_302600_NS6detail15normal_iteratorINSB_10device_ptrIjEEEENSD_INSE_IS6_EEEESI_S6_NSB_4plusIvEENSB_8equal_toIvEES6_EE10hipError_tPvRmT2_T3_T4_T5_mT6_T7_P12ihipStream_tbENKUlT_T0_E_clISt17integral_constantIbLb0EES12_IbLb1EEEEDaSY_SZ_EUlSY_E_NS1_11comp_targetILNS1_3genE0ELNS1_11target_archE4294967295ELNS1_3gpuE0ELNS1_3repE0EEENS1_30default_config_static_selectorELNS0_4arch9wavefront6targetE1EEEvT1_,comdat
.Lfunc_end2066:
	.size	_ZN7rocprim17ROCPRIM_400000_NS6detail17trampoline_kernelINS0_14default_configENS1_27scan_by_key_config_selectorIj11FixedVectorIiLj4EEEEZZNS1_16scan_by_key_implILNS1_25lookback_scan_determinismE0ELb0ES3_N6thrust23THRUST_200600_302600_NS6detail15normal_iteratorINSB_10device_ptrIjEEEENSD_INSE_IS6_EEEESI_S6_NSB_4plusIvEENSB_8equal_toIvEES6_EE10hipError_tPvRmT2_T3_T4_T5_mT6_T7_P12ihipStream_tbENKUlT_T0_E_clISt17integral_constantIbLb0EES12_IbLb1EEEEDaSY_SZ_EUlSY_E_NS1_11comp_targetILNS1_3genE0ELNS1_11target_archE4294967295ELNS1_3gpuE0ELNS1_3repE0EEENS1_30default_config_static_selectorELNS0_4arch9wavefront6targetE1EEEvT1_, .Lfunc_end2066-_ZN7rocprim17ROCPRIM_400000_NS6detail17trampoline_kernelINS0_14default_configENS1_27scan_by_key_config_selectorIj11FixedVectorIiLj4EEEEZZNS1_16scan_by_key_implILNS1_25lookback_scan_determinismE0ELb0ES3_N6thrust23THRUST_200600_302600_NS6detail15normal_iteratorINSB_10device_ptrIjEEEENSD_INSE_IS6_EEEESI_S6_NSB_4plusIvEENSB_8equal_toIvEES6_EE10hipError_tPvRmT2_T3_T4_T5_mT6_T7_P12ihipStream_tbENKUlT_T0_E_clISt17integral_constantIbLb0EES12_IbLb1EEEEDaSY_SZ_EUlSY_E_NS1_11comp_targetILNS1_3genE0ELNS1_11target_archE4294967295ELNS1_3gpuE0ELNS1_3repE0EEENS1_30default_config_static_selectorELNS0_4arch9wavefront6targetE1EEEvT1_
                                        ; -- End function
	.section	.AMDGPU.csdata,"",@progbits
; Kernel info:
; codeLenInByte = 0
; NumSgprs: 4
; NumVgprs: 0
; NumAgprs: 0
; TotalNumVgprs: 0
; ScratchSize: 0
; MemoryBound: 0
; FloatMode: 240
; IeeeMode: 1
; LDSByteSize: 0 bytes/workgroup (compile time only)
; SGPRBlocks: 0
; VGPRBlocks: 0
; NumSGPRsForWavesPerEU: 4
; NumVGPRsForWavesPerEU: 1
; AccumOffset: 4
; Occupancy: 8
; WaveLimiterHint : 0
; COMPUTE_PGM_RSRC2:SCRATCH_EN: 0
; COMPUTE_PGM_RSRC2:USER_SGPR: 6
; COMPUTE_PGM_RSRC2:TRAP_HANDLER: 0
; COMPUTE_PGM_RSRC2:TGID_X_EN: 1
; COMPUTE_PGM_RSRC2:TGID_Y_EN: 0
; COMPUTE_PGM_RSRC2:TGID_Z_EN: 0
; COMPUTE_PGM_RSRC2:TIDIG_COMP_CNT: 0
; COMPUTE_PGM_RSRC3_GFX90A:ACCUM_OFFSET: 0
; COMPUTE_PGM_RSRC3_GFX90A:TG_SPLIT: 0
	.section	.text._ZN7rocprim17ROCPRIM_400000_NS6detail17trampoline_kernelINS0_14default_configENS1_27scan_by_key_config_selectorIj11FixedVectorIiLj4EEEEZZNS1_16scan_by_key_implILNS1_25lookback_scan_determinismE0ELb0ES3_N6thrust23THRUST_200600_302600_NS6detail15normal_iteratorINSB_10device_ptrIjEEEENSD_INSE_IS6_EEEESI_S6_NSB_4plusIvEENSB_8equal_toIvEES6_EE10hipError_tPvRmT2_T3_T4_T5_mT6_T7_P12ihipStream_tbENKUlT_T0_E_clISt17integral_constantIbLb0EES12_IbLb1EEEEDaSY_SZ_EUlSY_E_NS1_11comp_targetILNS1_3genE10ELNS1_11target_archE1201ELNS1_3gpuE5ELNS1_3repE0EEENS1_30default_config_static_selectorELNS0_4arch9wavefront6targetE1EEEvT1_,"axG",@progbits,_ZN7rocprim17ROCPRIM_400000_NS6detail17trampoline_kernelINS0_14default_configENS1_27scan_by_key_config_selectorIj11FixedVectorIiLj4EEEEZZNS1_16scan_by_key_implILNS1_25lookback_scan_determinismE0ELb0ES3_N6thrust23THRUST_200600_302600_NS6detail15normal_iteratorINSB_10device_ptrIjEEEENSD_INSE_IS6_EEEESI_S6_NSB_4plusIvEENSB_8equal_toIvEES6_EE10hipError_tPvRmT2_T3_T4_T5_mT6_T7_P12ihipStream_tbENKUlT_T0_E_clISt17integral_constantIbLb0EES12_IbLb1EEEEDaSY_SZ_EUlSY_E_NS1_11comp_targetILNS1_3genE10ELNS1_11target_archE1201ELNS1_3gpuE5ELNS1_3repE0EEENS1_30default_config_static_selectorELNS0_4arch9wavefront6targetE1EEEvT1_,comdat
	.protected	_ZN7rocprim17ROCPRIM_400000_NS6detail17trampoline_kernelINS0_14default_configENS1_27scan_by_key_config_selectorIj11FixedVectorIiLj4EEEEZZNS1_16scan_by_key_implILNS1_25lookback_scan_determinismE0ELb0ES3_N6thrust23THRUST_200600_302600_NS6detail15normal_iteratorINSB_10device_ptrIjEEEENSD_INSE_IS6_EEEESI_S6_NSB_4plusIvEENSB_8equal_toIvEES6_EE10hipError_tPvRmT2_T3_T4_T5_mT6_T7_P12ihipStream_tbENKUlT_T0_E_clISt17integral_constantIbLb0EES12_IbLb1EEEEDaSY_SZ_EUlSY_E_NS1_11comp_targetILNS1_3genE10ELNS1_11target_archE1201ELNS1_3gpuE5ELNS1_3repE0EEENS1_30default_config_static_selectorELNS0_4arch9wavefront6targetE1EEEvT1_ ; -- Begin function _ZN7rocprim17ROCPRIM_400000_NS6detail17trampoline_kernelINS0_14default_configENS1_27scan_by_key_config_selectorIj11FixedVectorIiLj4EEEEZZNS1_16scan_by_key_implILNS1_25lookback_scan_determinismE0ELb0ES3_N6thrust23THRUST_200600_302600_NS6detail15normal_iteratorINSB_10device_ptrIjEEEENSD_INSE_IS6_EEEESI_S6_NSB_4plusIvEENSB_8equal_toIvEES6_EE10hipError_tPvRmT2_T3_T4_T5_mT6_T7_P12ihipStream_tbENKUlT_T0_E_clISt17integral_constantIbLb0EES12_IbLb1EEEEDaSY_SZ_EUlSY_E_NS1_11comp_targetILNS1_3genE10ELNS1_11target_archE1201ELNS1_3gpuE5ELNS1_3repE0EEENS1_30default_config_static_selectorELNS0_4arch9wavefront6targetE1EEEvT1_
	.globl	_ZN7rocprim17ROCPRIM_400000_NS6detail17trampoline_kernelINS0_14default_configENS1_27scan_by_key_config_selectorIj11FixedVectorIiLj4EEEEZZNS1_16scan_by_key_implILNS1_25lookback_scan_determinismE0ELb0ES3_N6thrust23THRUST_200600_302600_NS6detail15normal_iteratorINSB_10device_ptrIjEEEENSD_INSE_IS6_EEEESI_S6_NSB_4plusIvEENSB_8equal_toIvEES6_EE10hipError_tPvRmT2_T3_T4_T5_mT6_T7_P12ihipStream_tbENKUlT_T0_E_clISt17integral_constantIbLb0EES12_IbLb1EEEEDaSY_SZ_EUlSY_E_NS1_11comp_targetILNS1_3genE10ELNS1_11target_archE1201ELNS1_3gpuE5ELNS1_3repE0EEENS1_30default_config_static_selectorELNS0_4arch9wavefront6targetE1EEEvT1_
	.p2align	8
	.type	_ZN7rocprim17ROCPRIM_400000_NS6detail17trampoline_kernelINS0_14default_configENS1_27scan_by_key_config_selectorIj11FixedVectorIiLj4EEEEZZNS1_16scan_by_key_implILNS1_25lookback_scan_determinismE0ELb0ES3_N6thrust23THRUST_200600_302600_NS6detail15normal_iteratorINSB_10device_ptrIjEEEENSD_INSE_IS6_EEEESI_S6_NSB_4plusIvEENSB_8equal_toIvEES6_EE10hipError_tPvRmT2_T3_T4_T5_mT6_T7_P12ihipStream_tbENKUlT_T0_E_clISt17integral_constantIbLb0EES12_IbLb1EEEEDaSY_SZ_EUlSY_E_NS1_11comp_targetILNS1_3genE10ELNS1_11target_archE1201ELNS1_3gpuE5ELNS1_3repE0EEENS1_30default_config_static_selectorELNS0_4arch9wavefront6targetE1EEEvT1_,@function
_ZN7rocprim17ROCPRIM_400000_NS6detail17trampoline_kernelINS0_14default_configENS1_27scan_by_key_config_selectorIj11FixedVectorIiLj4EEEEZZNS1_16scan_by_key_implILNS1_25lookback_scan_determinismE0ELb0ES3_N6thrust23THRUST_200600_302600_NS6detail15normal_iteratorINSB_10device_ptrIjEEEENSD_INSE_IS6_EEEESI_S6_NSB_4plusIvEENSB_8equal_toIvEES6_EE10hipError_tPvRmT2_T3_T4_T5_mT6_T7_P12ihipStream_tbENKUlT_T0_E_clISt17integral_constantIbLb0EES12_IbLb1EEEEDaSY_SZ_EUlSY_E_NS1_11comp_targetILNS1_3genE10ELNS1_11target_archE1201ELNS1_3gpuE5ELNS1_3repE0EEENS1_30default_config_static_selectorELNS0_4arch9wavefront6targetE1EEEvT1_: ; @_ZN7rocprim17ROCPRIM_400000_NS6detail17trampoline_kernelINS0_14default_configENS1_27scan_by_key_config_selectorIj11FixedVectorIiLj4EEEEZZNS1_16scan_by_key_implILNS1_25lookback_scan_determinismE0ELb0ES3_N6thrust23THRUST_200600_302600_NS6detail15normal_iteratorINSB_10device_ptrIjEEEENSD_INSE_IS6_EEEESI_S6_NSB_4plusIvEENSB_8equal_toIvEES6_EE10hipError_tPvRmT2_T3_T4_T5_mT6_T7_P12ihipStream_tbENKUlT_T0_E_clISt17integral_constantIbLb0EES12_IbLb1EEEEDaSY_SZ_EUlSY_E_NS1_11comp_targetILNS1_3genE10ELNS1_11target_archE1201ELNS1_3gpuE5ELNS1_3repE0EEENS1_30default_config_static_selectorELNS0_4arch9wavefront6targetE1EEEvT1_
; %bb.0:
	.section	.rodata,"a",@progbits
	.p2align	6, 0x0
	.amdhsa_kernel _ZN7rocprim17ROCPRIM_400000_NS6detail17trampoline_kernelINS0_14default_configENS1_27scan_by_key_config_selectorIj11FixedVectorIiLj4EEEEZZNS1_16scan_by_key_implILNS1_25lookback_scan_determinismE0ELb0ES3_N6thrust23THRUST_200600_302600_NS6detail15normal_iteratorINSB_10device_ptrIjEEEENSD_INSE_IS6_EEEESI_S6_NSB_4plusIvEENSB_8equal_toIvEES6_EE10hipError_tPvRmT2_T3_T4_T5_mT6_T7_P12ihipStream_tbENKUlT_T0_E_clISt17integral_constantIbLb0EES12_IbLb1EEEEDaSY_SZ_EUlSY_E_NS1_11comp_targetILNS1_3genE10ELNS1_11target_archE1201ELNS1_3gpuE5ELNS1_3repE0EEENS1_30default_config_static_selectorELNS0_4arch9wavefront6targetE1EEEvT1_
		.amdhsa_group_segment_fixed_size 0
		.amdhsa_private_segment_fixed_size 0
		.amdhsa_kernarg_size 144
		.amdhsa_user_sgpr_count 6
		.amdhsa_user_sgpr_private_segment_buffer 1
		.amdhsa_user_sgpr_dispatch_ptr 0
		.amdhsa_user_sgpr_queue_ptr 0
		.amdhsa_user_sgpr_kernarg_segment_ptr 1
		.amdhsa_user_sgpr_dispatch_id 0
		.amdhsa_user_sgpr_flat_scratch_init 0
		.amdhsa_user_sgpr_kernarg_preload_length 0
		.amdhsa_user_sgpr_kernarg_preload_offset 0
		.amdhsa_user_sgpr_private_segment_size 0
		.amdhsa_uses_dynamic_stack 0
		.amdhsa_system_sgpr_private_segment_wavefront_offset 0
		.amdhsa_system_sgpr_workgroup_id_x 1
		.amdhsa_system_sgpr_workgroup_id_y 0
		.amdhsa_system_sgpr_workgroup_id_z 0
		.amdhsa_system_sgpr_workgroup_info 0
		.amdhsa_system_vgpr_workitem_id 0
		.amdhsa_next_free_vgpr 1
		.amdhsa_next_free_sgpr 0
		.amdhsa_accum_offset 4
		.amdhsa_reserve_vcc 0
		.amdhsa_reserve_flat_scratch 0
		.amdhsa_float_round_mode_32 0
		.amdhsa_float_round_mode_16_64 0
		.amdhsa_float_denorm_mode_32 3
		.amdhsa_float_denorm_mode_16_64 3
		.amdhsa_dx10_clamp 1
		.amdhsa_ieee_mode 1
		.amdhsa_fp16_overflow 0
		.amdhsa_tg_split 0
		.amdhsa_exception_fp_ieee_invalid_op 0
		.amdhsa_exception_fp_denorm_src 0
		.amdhsa_exception_fp_ieee_div_zero 0
		.amdhsa_exception_fp_ieee_overflow 0
		.amdhsa_exception_fp_ieee_underflow 0
		.amdhsa_exception_fp_ieee_inexact 0
		.amdhsa_exception_int_div_zero 0
	.end_amdhsa_kernel
	.section	.text._ZN7rocprim17ROCPRIM_400000_NS6detail17trampoline_kernelINS0_14default_configENS1_27scan_by_key_config_selectorIj11FixedVectorIiLj4EEEEZZNS1_16scan_by_key_implILNS1_25lookback_scan_determinismE0ELb0ES3_N6thrust23THRUST_200600_302600_NS6detail15normal_iteratorINSB_10device_ptrIjEEEENSD_INSE_IS6_EEEESI_S6_NSB_4plusIvEENSB_8equal_toIvEES6_EE10hipError_tPvRmT2_T3_T4_T5_mT6_T7_P12ihipStream_tbENKUlT_T0_E_clISt17integral_constantIbLb0EES12_IbLb1EEEEDaSY_SZ_EUlSY_E_NS1_11comp_targetILNS1_3genE10ELNS1_11target_archE1201ELNS1_3gpuE5ELNS1_3repE0EEENS1_30default_config_static_selectorELNS0_4arch9wavefront6targetE1EEEvT1_,"axG",@progbits,_ZN7rocprim17ROCPRIM_400000_NS6detail17trampoline_kernelINS0_14default_configENS1_27scan_by_key_config_selectorIj11FixedVectorIiLj4EEEEZZNS1_16scan_by_key_implILNS1_25lookback_scan_determinismE0ELb0ES3_N6thrust23THRUST_200600_302600_NS6detail15normal_iteratorINSB_10device_ptrIjEEEENSD_INSE_IS6_EEEESI_S6_NSB_4plusIvEENSB_8equal_toIvEES6_EE10hipError_tPvRmT2_T3_T4_T5_mT6_T7_P12ihipStream_tbENKUlT_T0_E_clISt17integral_constantIbLb0EES12_IbLb1EEEEDaSY_SZ_EUlSY_E_NS1_11comp_targetILNS1_3genE10ELNS1_11target_archE1201ELNS1_3gpuE5ELNS1_3repE0EEENS1_30default_config_static_selectorELNS0_4arch9wavefront6targetE1EEEvT1_,comdat
.Lfunc_end2067:
	.size	_ZN7rocprim17ROCPRIM_400000_NS6detail17trampoline_kernelINS0_14default_configENS1_27scan_by_key_config_selectorIj11FixedVectorIiLj4EEEEZZNS1_16scan_by_key_implILNS1_25lookback_scan_determinismE0ELb0ES3_N6thrust23THRUST_200600_302600_NS6detail15normal_iteratorINSB_10device_ptrIjEEEENSD_INSE_IS6_EEEESI_S6_NSB_4plusIvEENSB_8equal_toIvEES6_EE10hipError_tPvRmT2_T3_T4_T5_mT6_T7_P12ihipStream_tbENKUlT_T0_E_clISt17integral_constantIbLb0EES12_IbLb1EEEEDaSY_SZ_EUlSY_E_NS1_11comp_targetILNS1_3genE10ELNS1_11target_archE1201ELNS1_3gpuE5ELNS1_3repE0EEENS1_30default_config_static_selectorELNS0_4arch9wavefront6targetE1EEEvT1_, .Lfunc_end2067-_ZN7rocprim17ROCPRIM_400000_NS6detail17trampoline_kernelINS0_14default_configENS1_27scan_by_key_config_selectorIj11FixedVectorIiLj4EEEEZZNS1_16scan_by_key_implILNS1_25lookback_scan_determinismE0ELb0ES3_N6thrust23THRUST_200600_302600_NS6detail15normal_iteratorINSB_10device_ptrIjEEEENSD_INSE_IS6_EEEESI_S6_NSB_4plusIvEENSB_8equal_toIvEES6_EE10hipError_tPvRmT2_T3_T4_T5_mT6_T7_P12ihipStream_tbENKUlT_T0_E_clISt17integral_constantIbLb0EES12_IbLb1EEEEDaSY_SZ_EUlSY_E_NS1_11comp_targetILNS1_3genE10ELNS1_11target_archE1201ELNS1_3gpuE5ELNS1_3repE0EEENS1_30default_config_static_selectorELNS0_4arch9wavefront6targetE1EEEvT1_
                                        ; -- End function
	.section	.AMDGPU.csdata,"",@progbits
; Kernel info:
; codeLenInByte = 0
; NumSgprs: 4
; NumVgprs: 0
; NumAgprs: 0
; TotalNumVgprs: 0
; ScratchSize: 0
; MemoryBound: 0
; FloatMode: 240
; IeeeMode: 1
; LDSByteSize: 0 bytes/workgroup (compile time only)
; SGPRBlocks: 0
; VGPRBlocks: 0
; NumSGPRsForWavesPerEU: 4
; NumVGPRsForWavesPerEU: 1
; AccumOffset: 4
; Occupancy: 8
; WaveLimiterHint : 0
; COMPUTE_PGM_RSRC2:SCRATCH_EN: 0
; COMPUTE_PGM_RSRC2:USER_SGPR: 6
; COMPUTE_PGM_RSRC2:TRAP_HANDLER: 0
; COMPUTE_PGM_RSRC2:TGID_X_EN: 1
; COMPUTE_PGM_RSRC2:TGID_Y_EN: 0
; COMPUTE_PGM_RSRC2:TGID_Z_EN: 0
; COMPUTE_PGM_RSRC2:TIDIG_COMP_CNT: 0
; COMPUTE_PGM_RSRC3_GFX90A:ACCUM_OFFSET: 0
; COMPUTE_PGM_RSRC3_GFX90A:TG_SPLIT: 0
	.section	.text._ZN7rocprim17ROCPRIM_400000_NS6detail17trampoline_kernelINS0_14default_configENS1_27scan_by_key_config_selectorIj11FixedVectorIiLj4EEEEZZNS1_16scan_by_key_implILNS1_25lookback_scan_determinismE0ELb0ES3_N6thrust23THRUST_200600_302600_NS6detail15normal_iteratorINSB_10device_ptrIjEEEENSD_INSE_IS6_EEEESI_S6_NSB_4plusIvEENSB_8equal_toIvEES6_EE10hipError_tPvRmT2_T3_T4_T5_mT6_T7_P12ihipStream_tbENKUlT_T0_E_clISt17integral_constantIbLb0EES12_IbLb1EEEEDaSY_SZ_EUlSY_E_NS1_11comp_targetILNS1_3genE5ELNS1_11target_archE942ELNS1_3gpuE9ELNS1_3repE0EEENS1_30default_config_static_selectorELNS0_4arch9wavefront6targetE1EEEvT1_,"axG",@progbits,_ZN7rocprim17ROCPRIM_400000_NS6detail17trampoline_kernelINS0_14default_configENS1_27scan_by_key_config_selectorIj11FixedVectorIiLj4EEEEZZNS1_16scan_by_key_implILNS1_25lookback_scan_determinismE0ELb0ES3_N6thrust23THRUST_200600_302600_NS6detail15normal_iteratorINSB_10device_ptrIjEEEENSD_INSE_IS6_EEEESI_S6_NSB_4plusIvEENSB_8equal_toIvEES6_EE10hipError_tPvRmT2_T3_T4_T5_mT6_T7_P12ihipStream_tbENKUlT_T0_E_clISt17integral_constantIbLb0EES12_IbLb1EEEEDaSY_SZ_EUlSY_E_NS1_11comp_targetILNS1_3genE5ELNS1_11target_archE942ELNS1_3gpuE9ELNS1_3repE0EEENS1_30default_config_static_selectorELNS0_4arch9wavefront6targetE1EEEvT1_,comdat
	.protected	_ZN7rocprim17ROCPRIM_400000_NS6detail17trampoline_kernelINS0_14default_configENS1_27scan_by_key_config_selectorIj11FixedVectorIiLj4EEEEZZNS1_16scan_by_key_implILNS1_25lookback_scan_determinismE0ELb0ES3_N6thrust23THRUST_200600_302600_NS6detail15normal_iteratorINSB_10device_ptrIjEEEENSD_INSE_IS6_EEEESI_S6_NSB_4plusIvEENSB_8equal_toIvEES6_EE10hipError_tPvRmT2_T3_T4_T5_mT6_T7_P12ihipStream_tbENKUlT_T0_E_clISt17integral_constantIbLb0EES12_IbLb1EEEEDaSY_SZ_EUlSY_E_NS1_11comp_targetILNS1_3genE5ELNS1_11target_archE942ELNS1_3gpuE9ELNS1_3repE0EEENS1_30default_config_static_selectorELNS0_4arch9wavefront6targetE1EEEvT1_ ; -- Begin function _ZN7rocprim17ROCPRIM_400000_NS6detail17trampoline_kernelINS0_14default_configENS1_27scan_by_key_config_selectorIj11FixedVectorIiLj4EEEEZZNS1_16scan_by_key_implILNS1_25lookback_scan_determinismE0ELb0ES3_N6thrust23THRUST_200600_302600_NS6detail15normal_iteratorINSB_10device_ptrIjEEEENSD_INSE_IS6_EEEESI_S6_NSB_4plusIvEENSB_8equal_toIvEES6_EE10hipError_tPvRmT2_T3_T4_T5_mT6_T7_P12ihipStream_tbENKUlT_T0_E_clISt17integral_constantIbLb0EES12_IbLb1EEEEDaSY_SZ_EUlSY_E_NS1_11comp_targetILNS1_3genE5ELNS1_11target_archE942ELNS1_3gpuE9ELNS1_3repE0EEENS1_30default_config_static_selectorELNS0_4arch9wavefront6targetE1EEEvT1_
	.globl	_ZN7rocprim17ROCPRIM_400000_NS6detail17trampoline_kernelINS0_14default_configENS1_27scan_by_key_config_selectorIj11FixedVectorIiLj4EEEEZZNS1_16scan_by_key_implILNS1_25lookback_scan_determinismE0ELb0ES3_N6thrust23THRUST_200600_302600_NS6detail15normal_iteratorINSB_10device_ptrIjEEEENSD_INSE_IS6_EEEESI_S6_NSB_4plusIvEENSB_8equal_toIvEES6_EE10hipError_tPvRmT2_T3_T4_T5_mT6_T7_P12ihipStream_tbENKUlT_T0_E_clISt17integral_constantIbLb0EES12_IbLb1EEEEDaSY_SZ_EUlSY_E_NS1_11comp_targetILNS1_3genE5ELNS1_11target_archE942ELNS1_3gpuE9ELNS1_3repE0EEENS1_30default_config_static_selectorELNS0_4arch9wavefront6targetE1EEEvT1_
	.p2align	8
	.type	_ZN7rocprim17ROCPRIM_400000_NS6detail17trampoline_kernelINS0_14default_configENS1_27scan_by_key_config_selectorIj11FixedVectorIiLj4EEEEZZNS1_16scan_by_key_implILNS1_25lookback_scan_determinismE0ELb0ES3_N6thrust23THRUST_200600_302600_NS6detail15normal_iteratorINSB_10device_ptrIjEEEENSD_INSE_IS6_EEEESI_S6_NSB_4plusIvEENSB_8equal_toIvEES6_EE10hipError_tPvRmT2_T3_T4_T5_mT6_T7_P12ihipStream_tbENKUlT_T0_E_clISt17integral_constantIbLb0EES12_IbLb1EEEEDaSY_SZ_EUlSY_E_NS1_11comp_targetILNS1_3genE5ELNS1_11target_archE942ELNS1_3gpuE9ELNS1_3repE0EEENS1_30default_config_static_selectorELNS0_4arch9wavefront6targetE1EEEvT1_,@function
_ZN7rocprim17ROCPRIM_400000_NS6detail17trampoline_kernelINS0_14default_configENS1_27scan_by_key_config_selectorIj11FixedVectorIiLj4EEEEZZNS1_16scan_by_key_implILNS1_25lookback_scan_determinismE0ELb0ES3_N6thrust23THRUST_200600_302600_NS6detail15normal_iteratorINSB_10device_ptrIjEEEENSD_INSE_IS6_EEEESI_S6_NSB_4plusIvEENSB_8equal_toIvEES6_EE10hipError_tPvRmT2_T3_T4_T5_mT6_T7_P12ihipStream_tbENKUlT_T0_E_clISt17integral_constantIbLb0EES12_IbLb1EEEEDaSY_SZ_EUlSY_E_NS1_11comp_targetILNS1_3genE5ELNS1_11target_archE942ELNS1_3gpuE9ELNS1_3repE0EEENS1_30default_config_static_selectorELNS0_4arch9wavefront6targetE1EEEvT1_: ; @_ZN7rocprim17ROCPRIM_400000_NS6detail17trampoline_kernelINS0_14default_configENS1_27scan_by_key_config_selectorIj11FixedVectorIiLj4EEEEZZNS1_16scan_by_key_implILNS1_25lookback_scan_determinismE0ELb0ES3_N6thrust23THRUST_200600_302600_NS6detail15normal_iteratorINSB_10device_ptrIjEEEENSD_INSE_IS6_EEEESI_S6_NSB_4plusIvEENSB_8equal_toIvEES6_EE10hipError_tPvRmT2_T3_T4_T5_mT6_T7_P12ihipStream_tbENKUlT_T0_E_clISt17integral_constantIbLb0EES12_IbLb1EEEEDaSY_SZ_EUlSY_E_NS1_11comp_targetILNS1_3genE5ELNS1_11target_archE942ELNS1_3gpuE9ELNS1_3repE0EEENS1_30default_config_static_selectorELNS0_4arch9wavefront6targetE1EEEvT1_
; %bb.0:
	.section	.rodata,"a",@progbits
	.p2align	6, 0x0
	.amdhsa_kernel _ZN7rocprim17ROCPRIM_400000_NS6detail17trampoline_kernelINS0_14default_configENS1_27scan_by_key_config_selectorIj11FixedVectorIiLj4EEEEZZNS1_16scan_by_key_implILNS1_25lookback_scan_determinismE0ELb0ES3_N6thrust23THRUST_200600_302600_NS6detail15normal_iteratorINSB_10device_ptrIjEEEENSD_INSE_IS6_EEEESI_S6_NSB_4plusIvEENSB_8equal_toIvEES6_EE10hipError_tPvRmT2_T3_T4_T5_mT6_T7_P12ihipStream_tbENKUlT_T0_E_clISt17integral_constantIbLb0EES12_IbLb1EEEEDaSY_SZ_EUlSY_E_NS1_11comp_targetILNS1_3genE5ELNS1_11target_archE942ELNS1_3gpuE9ELNS1_3repE0EEENS1_30default_config_static_selectorELNS0_4arch9wavefront6targetE1EEEvT1_
		.amdhsa_group_segment_fixed_size 0
		.amdhsa_private_segment_fixed_size 0
		.amdhsa_kernarg_size 144
		.amdhsa_user_sgpr_count 6
		.amdhsa_user_sgpr_private_segment_buffer 1
		.amdhsa_user_sgpr_dispatch_ptr 0
		.amdhsa_user_sgpr_queue_ptr 0
		.amdhsa_user_sgpr_kernarg_segment_ptr 1
		.amdhsa_user_sgpr_dispatch_id 0
		.amdhsa_user_sgpr_flat_scratch_init 0
		.amdhsa_user_sgpr_kernarg_preload_length 0
		.amdhsa_user_sgpr_kernarg_preload_offset 0
		.amdhsa_user_sgpr_private_segment_size 0
		.amdhsa_uses_dynamic_stack 0
		.amdhsa_system_sgpr_private_segment_wavefront_offset 0
		.amdhsa_system_sgpr_workgroup_id_x 1
		.amdhsa_system_sgpr_workgroup_id_y 0
		.amdhsa_system_sgpr_workgroup_id_z 0
		.amdhsa_system_sgpr_workgroup_info 0
		.amdhsa_system_vgpr_workitem_id 0
		.amdhsa_next_free_vgpr 1
		.amdhsa_next_free_sgpr 0
		.amdhsa_accum_offset 4
		.amdhsa_reserve_vcc 0
		.amdhsa_reserve_flat_scratch 0
		.amdhsa_float_round_mode_32 0
		.amdhsa_float_round_mode_16_64 0
		.amdhsa_float_denorm_mode_32 3
		.amdhsa_float_denorm_mode_16_64 3
		.amdhsa_dx10_clamp 1
		.amdhsa_ieee_mode 1
		.amdhsa_fp16_overflow 0
		.amdhsa_tg_split 0
		.amdhsa_exception_fp_ieee_invalid_op 0
		.amdhsa_exception_fp_denorm_src 0
		.amdhsa_exception_fp_ieee_div_zero 0
		.amdhsa_exception_fp_ieee_overflow 0
		.amdhsa_exception_fp_ieee_underflow 0
		.amdhsa_exception_fp_ieee_inexact 0
		.amdhsa_exception_int_div_zero 0
	.end_amdhsa_kernel
	.section	.text._ZN7rocprim17ROCPRIM_400000_NS6detail17trampoline_kernelINS0_14default_configENS1_27scan_by_key_config_selectorIj11FixedVectorIiLj4EEEEZZNS1_16scan_by_key_implILNS1_25lookback_scan_determinismE0ELb0ES3_N6thrust23THRUST_200600_302600_NS6detail15normal_iteratorINSB_10device_ptrIjEEEENSD_INSE_IS6_EEEESI_S6_NSB_4plusIvEENSB_8equal_toIvEES6_EE10hipError_tPvRmT2_T3_T4_T5_mT6_T7_P12ihipStream_tbENKUlT_T0_E_clISt17integral_constantIbLb0EES12_IbLb1EEEEDaSY_SZ_EUlSY_E_NS1_11comp_targetILNS1_3genE5ELNS1_11target_archE942ELNS1_3gpuE9ELNS1_3repE0EEENS1_30default_config_static_selectorELNS0_4arch9wavefront6targetE1EEEvT1_,"axG",@progbits,_ZN7rocprim17ROCPRIM_400000_NS6detail17trampoline_kernelINS0_14default_configENS1_27scan_by_key_config_selectorIj11FixedVectorIiLj4EEEEZZNS1_16scan_by_key_implILNS1_25lookback_scan_determinismE0ELb0ES3_N6thrust23THRUST_200600_302600_NS6detail15normal_iteratorINSB_10device_ptrIjEEEENSD_INSE_IS6_EEEESI_S6_NSB_4plusIvEENSB_8equal_toIvEES6_EE10hipError_tPvRmT2_T3_T4_T5_mT6_T7_P12ihipStream_tbENKUlT_T0_E_clISt17integral_constantIbLb0EES12_IbLb1EEEEDaSY_SZ_EUlSY_E_NS1_11comp_targetILNS1_3genE5ELNS1_11target_archE942ELNS1_3gpuE9ELNS1_3repE0EEENS1_30default_config_static_selectorELNS0_4arch9wavefront6targetE1EEEvT1_,comdat
.Lfunc_end2068:
	.size	_ZN7rocprim17ROCPRIM_400000_NS6detail17trampoline_kernelINS0_14default_configENS1_27scan_by_key_config_selectorIj11FixedVectorIiLj4EEEEZZNS1_16scan_by_key_implILNS1_25lookback_scan_determinismE0ELb0ES3_N6thrust23THRUST_200600_302600_NS6detail15normal_iteratorINSB_10device_ptrIjEEEENSD_INSE_IS6_EEEESI_S6_NSB_4plusIvEENSB_8equal_toIvEES6_EE10hipError_tPvRmT2_T3_T4_T5_mT6_T7_P12ihipStream_tbENKUlT_T0_E_clISt17integral_constantIbLb0EES12_IbLb1EEEEDaSY_SZ_EUlSY_E_NS1_11comp_targetILNS1_3genE5ELNS1_11target_archE942ELNS1_3gpuE9ELNS1_3repE0EEENS1_30default_config_static_selectorELNS0_4arch9wavefront6targetE1EEEvT1_, .Lfunc_end2068-_ZN7rocprim17ROCPRIM_400000_NS6detail17trampoline_kernelINS0_14default_configENS1_27scan_by_key_config_selectorIj11FixedVectorIiLj4EEEEZZNS1_16scan_by_key_implILNS1_25lookback_scan_determinismE0ELb0ES3_N6thrust23THRUST_200600_302600_NS6detail15normal_iteratorINSB_10device_ptrIjEEEENSD_INSE_IS6_EEEESI_S6_NSB_4plusIvEENSB_8equal_toIvEES6_EE10hipError_tPvRmT2_T3_T4_T5_mT6_T7_P12ihipStream_tbENKUlT_T0_E_clISt17integral_constantIbLb0EES12_IbLb1EEEEDaSY_SZ_EUlSY_E_NS1_11comp_targetILNS1_3genE5ELNS1_11target_archE942ELNS1_3gpuE9ELNS1_3repE0EEENS1_30default_config_static_selectorELNS0_4arch9wavefront6targetE1EEEvT1_
                                        ; -- End function
	.section	.AMDGPU.csdata,"",@progbits
; Kernel info:
; codeLenInByte = 0
; NumSgprs: 4
; NumVgprs: 0
; NumAgprs: 0
; TotalNumVgprs: 0
; ScratchSize: 0
; MemoryBound: 0
; FloatMode: 240
; IeeeMode: 1
; LDSByteSize: 0 bytes/workgroup (compile time only)
; SGPRBlocks: 0
; VGPRBlocks: 0
; NumSGPRsForWavesPerEU: 4
; NumVGPRsForWavesPerEU: 1
; AccumOffset: 4
; Occupancy: 8
; WaveLimiterHint : 0
; COMPUTE_PGM_RSRC2:SCRATCH_EN: 0
; COMPUTE_PGM_RSRC2:USER_SGPR: 6
; COMPUTE_PGM_RSRC2:TRAP_HANDLER: 0
; COMPUTE_PGM_RSRC2:TGID_X_EN: 1
; COMPUTE_PGM_RSRC2:TGID_Y_EN: 0
; COMPUTE_PGM_RSRC2:TGID_Z_EN: 0
; COMPUTE_PGM_RSRC2:TIDIG_COMP_CNT: 0
; COMPUTE_PGM_RSRC3_GFX90A:ACCUM_OFFSET: 0
; COMPUTE_PGM_RSRC3_GFX90A:TG_SPLIT: 0
	.section	.text._ZN7rocprim17ROCPRIM_400000_NS6detail17trampoline_kernelINS0_14default_configENS1_27scan_by_key_config_selectorIj11FixedVectorIiLj4EEEEZZNS1_16scan_by_key_implILNS1_25lookback_scan_determinismE0ELb0ES3_N6thrust23THRUST_200600_302600_NS6detail15normal_iteratorINSB_10device_ptrIjEEEENSD_INSE_IS6_EEEESI_S6_NSB_4plusIvEENSB_8equal_toIvEES6_EE10hipError_tPvRmT2_T3_T4_T5_mT6_T7_P12ihipStream_tbENKUlT_T0_E_clISt17integral_constantIbLb0EES12_IbLb1EEEEDaSY_SZ_EUlSY_E_NS1_11comp_targetILNS1_3genE4ELNS1_11target_archE910ELNS1_3gpuE8ELNS1_3repE0EEENS1_30default_config_static_selectorELNS0_4arch9wavefront6targetE1EEEvT1_,"axG",@progbits,_ZN7rocprim17ROCPRIM_400000_NS6detail17trampoline_kernelINS0_14default_configENS1_27scan_by_key_config_selectorIj11FixedVectorIiLj4EEEEZZNS1_16scan_by_key_implILNS1_25lookback_scan_determinismE0ELb0ES3_N6thrust23THRUST_200600_302600_NS6detail15normal_iteratorINSB_10device_ptrIjEEEENSD_INSE_IS6_EEEESI_S6_NSB_4plusIvEENSB_8equal_toIvEES6_EE10hipError_tPvRmT2_T3_T4_T5_mT6_T7_P12ihipStream_tbENKUlT_T0_E_clISt17integral_constantIbLb0EES12_IbLb1EEEEDaSY_SZ_EUlSY_E_NS1_11comp_targetILNS1_3genE4ELNS1_11target_archE910ELNS1_3gpuE8ELNS1_3repE0EEENS1_30default_config_static_selectorELNS0_4arch9wavefront6targetE1EEEvT1_,comdat
	.protected	_ZN7rocprim17ROCPRIM_400000_NS6detail17trampoline_kernelINS0_14default_configENS1_27scan_by_key_config_selectorIj11FixedVectorIiLj4EEEEZZNS1_16scan_by_key_implILNS1_25lookback_scan_determinismE0ELb0ES3_N6thrust23THRUST_200600_302600_NS6detail15normal_iteratorINSB_10device_ptrIjEEEENSD_INSE_IS6_EEEESI_S6_NSB_4plusIvEENSB_8equal_toIvEES6_EE10hipError_tPvRmT2_T3_T4_T5_mT6_T7_P12ihipStream_tbENKUlT_T0_E_clISt17integral_constantIbLb0EES12_IbLb1EEEEDaSY_SZ_EUlSY_E_NS1_11comp_targetILNS1_3genE4ELNS1_11target_archE910ELNS1_3gpuE8ELNS1_3repE0EEENS1_30default_config_static_selectorELNS0_4arch9wavefront6targetE1EEEvT1_ ; -- Begin function _ZN7rocprim17ROCPRIM_400000_NS6detail17trampoline_kernelINS0_14default_configENS1_27scan_by_key_config_selectorIj11FixedVectorIiLj4EEEEZZNS1_16scan_by_key_implILNS1_25lookback_scan_determinismE0ELb0ES3_N6thrust23THRUST_200600_302600_NS6detail15normal_iteratorINSB_10device_ptrIjEEEENSD_INSE_IS6_EEEESI_S6_NSB_4plusIvEENSB_8equal_toIvEES6_EE10hipError_tPvRmT2_T3_T4_T5_mT6_T7_P12ihipStream_tbENKUlT_T0_E_clISt17integral_constantIbLb0EES12_IbLb1EEEEDaSY_SZ_EUlSY_E_NS1_11comp_targetILNS1_3genE4ELNS1_11target_archE910ELNS1_3gpuE8ELNS1_3repE0EEENS1_30default_config_static_selectorELNS0_4arch9wavefront6targetE1EEEvT1_
	.globl	_ZN7rocprim17ROCPRIM_400000_NS6detail17trampoline_kernelINS0_14default_configENS1_27scan_by_key_config_selectorIj11FixedVectorIiLj4EEEEZZNS1_16scan_by_key_implILNS1_25lookback_scan_determinismE0ELb0ES3_N6thrust23THRUST_200600_302600_NS6detail15normal_iteratorINSB_10device_ptrIjEEEENSD_INSE_IS6_EEEESI_S6_NSB_4plusIvEENSB_8equal_toIvEES6_EE10hipError_tPvRmT2_T3_T4_T5_mT6_T7_P12ihipStream_tbENKUlT_T0_E_clISt17integral_constantIbLb0EES12_IbLb1EEEEDaSY_SZ_EUlSY_E_NS1_11comp_targetILNS1_3genE4ELNS1_11target_archE910ELNS1_3gpuE8ELNS1_3repE0EEENS1_30default_config_static_selectorELNS0_4arch9wavefront6targetE1EEEvT1_
	.p2align	8
	.type	_ZN7rocprim17ROCPRIM_400000_NS6detail17trampoline_kernelINS0_14default_configENS1_27scan_by_key_config_selectorIj11FixedVectorIiLj4EEEEZZNS1_16scan_by_key_implILNS1_25lookback_scan_determinismE0ELb0ES3_N6thrust23THRUST_200600_302600_NS6detail15normal_iteratorINSB_10device_ptrIjEEEENSD_INSE_IS6_EEEESI_S6_NSB_4plusIvEENSB_8equal_toIvEES6_EE10hipError_tPvRmT2_T3_T4_T5_mT6_T7_P12ihipStream_tbENKUlT_T0_E_clISt17integral_constantIbLb0EES12_IbLb1EEEEDaSY_SZ_EUlSY_E_NS1_11comp_targetILNS1_3genE4ELNS1_11target_archE910ELNS1_3gpuE8ELNS1_3repE0EEENS1_30default_config_static_selectorELNS0_4arch9wavefront6targetE1EEEvT1_,@function
_ZN7rocprim17ROCPRIM_400000_NS6detail17trampoline_kernelINS0_14default_configENS1_27scan_by_key_config_selectorIj11FixedVectorIiLj4EEEEZZNS1_16scan_by_key_implILNS1_25lookback_scan_determinismE0ELb0ES3_N6thrust23THRUST_200600_302600_NS6detail15normal_iteratorINSB_10device_ptrIjEEEENSD_INSE_IS6_EEEESI_S6_NSB_4plusIvEENSB_8equal_toIvEES6_EE10hipError_tPvRmT2_T3_T4_T5_mT6_T7_P12ihipStream_tbENKUlT_T0_E_clISt17integral_constantIbLb0EES12_IbLb1EEEEDaSY_SZ_EUlSY_E_NS1_11comp_targetILNS1_3genE4ELNS1_11target_archE910ELNS1_3gpuE8ELNS1_3repE0EEENS1_30default_config_static_selectorELNS0_4arch9wavefront6targetE1EEEvT1_: ; @_ZN7rocprim17ROCPRIM_400000_NS6detail17trampoline_kernelINS0_14default_configENS1_27scan_by_key_config_selectorIj11FixedVectorIiLj4EEEEZZNS1_16scan_by_key_implILNS1_25lookback_scan_determinismE0ELb0ES3_N6thrust23THRUST_200600_302600_NS6detail15normal_iteratorINSB_10device_ptrIjEEEENSD_INSE_IS6_EEEESI_S6_NSB_4plusIvEENSB_8equal_toIvEES6_EE10hipError_tPvRmT2_T3_T4_T5_mT6_T7_P12ihipStream_tbENKUlT_T0_E_clISt17integral_constantIbLb0EES12_IbLb1EEEEDaSY_SZ_EUlSY_E_NS1_11comp_targetILNS1_3genE4ELNS1_11target_archE910ELNS1_3gpuE8ELNS1_3repE0EEENS1_30default_config_static_selectorELNS0_4arch9wavefront6targetE1EEEvT1_
; %bb.0:
	s_load_dwordx8 s[24:31], s[4:5], 0x38
	s_load_dwordx2 s[52:53], s[4:5], 0x58
	s_add_u32 flat_scratch_lo, s6, s9
	s_addc_u32 flat_scratch_hi, s7, 0
	s_add_u32 s0, s0, s9
	s_addc_u32 s1, s1, 0
	v_cmp_ne_u32_e64 s[8:9], 0, v0
	v_cmp_eq_u32_e64 s[20:21], 0, v0
	s_and_saveexec_b64 s[6:7], s[20:21]
	s_cbranch_execz .LBB2069_4
; %bb.1:
	s_mov_b64 s[12:13], exec
	v_mbcnt_lo_u32_b32 v1, s12, 0
	v_mbcnt_hi_u32_b32 v1, s13, v1
	v_cmp_eq_u32_e32 vcc, 0, v1
                                        ; implicit-def: $vgpr2
	s_and_saveexec_b64 s[10:11], vcc
	s_cbranch_execz .LBB2069_3
; %bb.2:
	s_load_dwordx2 s[14:15], s[4:5], 0x88
	s_bcnt1_i32_b64 s12, s[12:13]
	v_mov_b32_e32 v2, 0
	v_mov_b32_e32 v3, s12
	s_waitcnt lgkmcnt(0)
	global_atomic_add v2, v2, v3, s[14:15] glc
.LBB2069_3:
	s_or_b64 exec, exec, s[10:11]
	s_waitcnt vmcnt(0)
	v_readfirstlane_b32 s10, v2
	v_add_u32_e32 v1, s10, v1
	v_mov_b32_e32 v2, 0
	ds_write_b32 v2, v1
.LBB2069_4:
	s_or_b64 exec, exec, s[6:7]
	v_mov_b32_e32 v1, 0
	s_load_dwordx8 s[36:43], s[4:5], 0x0
	s_load_dword s6, s[4:5], 0x60
	s_load_dwordx8 s[44:51], s[4:5], 0x68
	s_waitcnt lgkmcnt(0)
	s_barrier
	ds_read_b32 v2, v1
	s_mov_b32 s4, 0
	s_waitcnt lgkmcnt(0)
	s_barrier
	v_readfirstlane_b32 s33, v2
	v_mov_b32_e32 v2, 0xd0
	s_barrier
	buffer_store_dword v1, off, s[0:3], 0 offset:220
	buffer_store_dword v1, off, s[0:3], 0 offset:216
	buffer_store_dword v1, off, s[0:3], 0 offset:212
	buffer_store_dword v1, off, s[0:3], 0 offset:208
	buffer_store_dword v1, off, s[0:3], 0 offset:224
.LBB2069_5:                             ; =>This Inner Loop Header: Depth=1
	v_add_u32_e32 v3, s4, v2
	s_add_i32 s4, s4, 8
	s_cmp_lg_u32 s4, 16
	buffer_store_dword v1, v3, s[0:3], 0 offen offset:4
	buffer_store_dword v1, v3, s[0:3], 0 offen
	s_cbranch_scc1 .LBB2069_5
; %bb.6:
	v_mov_b32_e32 v2, 0xd0
	v_mov_b32_e32 v1, 0
	s_mov_b32 s4, 20
	v_add_u32_e32 v7, 20, v2
	buffer_store_byte v1, off, s[0:3], 0 offset:224
	buffer_store_dword v1, off, s[0:3], 0 offset:240
	buffer_store_dword v1, off, s[0:3], 0 offset:236
	buffer_store_dword v1, off, s[0:3], 0 offset:232
	buffer_store_dword v1, off, s[0:3], 0 offset:228
	buffer_store_dword v1, off, s[0:3], 0 offset:244
.LBB2069_7:                             ; =>This Inner Loop Header: Depth=1
	v_add_u32_e32 v3, s4, v2
	s_add_i32 s4, s4, 8
	s_cmp_lg_u32 s4, 36
	buffer_store_dword v1, v3, s[0:3], 0 offen offset:4
	buffer_store_dword v1, v3, s[0:3], 0 offen
	s_cbranch_scc1 .LBB2069_7
; %bb.8:
	v_mov_b32_e32 v2, 0xd0
	v_mov_b32_e32 v1, 0
	s_mov_b32 s4, 40
	v_add_u32_e32 v10, 40, v2
	buffer_store_byte v1, off, s[0:3], 0 offset:244
	;; [unrolled: 18-line block ×3, first 2 shown]
	buffer_store_dword v1, off, s[0:3], 0 offset:280
	buffer_store_dword v1, off, s[0:3], 0 offset:276
	;; [unrolled: 1-line block ×5, first 2 shown]
.LBB2069_11:                            ; =>This Inner Loop Header: Depth=1
	v_add_u32_e32 v3, s4, v2
	s_add_i32 s4, s4, 8
	s_cmpk_lg_i32 s4, 0x4c
	buffer_store_dword v1, v3, s[0:3], 0 offen offset:4
	buffer_store_dword v1, v3, s[0:3], 0 offen
	s_cbranch_scc1 .LBB2069_11
; %bb.12:
	v_mov_b32_e32 v2, 0xd0
	v_mov_b32_e32 v1, 0
	s_movk_i32 s4, 0x50
	v_add_u32_e32 v12, 0x50, v2
	buffer_store_byte v1, off, s[0:3], 0 offset:284
	buffer_store_dword v1, off, s[0:3], 0 offset:300
	buffer_store_dword v1, off, s[0:3], 0 offset:296
	;; [unrolled: 1-line block ×5, first 2 shown]
.LBB2069_13:                            ; =>This Inner Loop Header: Depth=1
	v_add_u32_e32 v3, s4, v2
	s_add_i32 s4, s4, 8
	s_cmpk_lg_i32 s4, 0x60
	buffer_store_dword v1, v3, s[0:3], 0 offen offset:4
	buffer_store_dword v1, v3, s[0:3], 0 offen
	s_cbranch_scc1 .LBB2069_13
; %bb.14:
	s_mov_b32 s4, 0
	v_mov_b32_e32 v1, 0
	v_mov_b32_e32 v2, 0x60
	buffer_store_byte v1, off, s[0:3], 0 offset:304
.LBB2069_15:                            ; =>This Inner Loop Header: Depth=1
	v_add_u32_e32 v3, s4, v2
	s_add_i32 s4, s4, 8
	s_cmp_lg_u32 s4, 16
	buffer_store_dword v1, v3, s[0:3], 0 offen offset:4
	buffer_store_dword v1, v3, s[0:3], 0 offen
	s_cbranch_scc1 .LBB2069_15
; %bb.16:
	s_mov_b32 s4, 16
	v_mov_b32_e32 v1, 0x60
	v_mov_b32_e32 v2, 0
.LBB2069_17:                            ; =>This Inner Loop Header: Depth=1
	v_add_u32_e32 v3, s4, v1
	s_add_i32 s4, s4, 8
	s_cmp_lg_u32 s4, 32
	buffer_store_dword v2, v3, s[0:3], 0 offen offset:4
	buffer_store_dword v2, v3, s[0:3], 0 offen
	s_cbranch_scc1 .LBB2069_17
; %bb.18:
	s_mov_b32 s4, 32
	v_mov_b32_e32 v1, 0x60
	v_mov_b32_e32 v2, 0
	;; [unrolled: 11-line block ×4, first 2 shown]
.LBB2069_23:                            ; =>This Inner Loop Header: Depth=1
	v_add_u32_e32 v3, s4, v1
	s_add_i32 s4, s4, 8
	s_cmpk_lg_i32 s4, 0x50
	buffer_store_dword v2, v3, s[0:3], 0 offen offset:4
	buffer_store_dword v2, v3, s[0:3], 0 offen
	s_cbranch_scc1 .LBB2069_23
; %bb.24:
	s_lshl_b64 s[4:5], s[38:39], 2
	s_add_u32 s10, s36, s4
	s_addc_u32 s11, s37, s5
	s_lshl_b64 s[22:23], s[38:39], 4
	s_add_u32 s12, s40, s22
	s_mul_i32 s4, s53, s6
	s_mul_hi_u32 s5, s52, s6
	s_addc_u32 s13, s41, s23
	s_add_i32 s16, s5, s4
	s_cmp_lg_u64 s[48:49], 0
	s_mul_i32 s4, s33, 0x500
	s_mov_b32 s5, 0
	s_mul_i32 s17, s52, s6
	s_cselect_b64 s[38:39], -1, 0
	s_lshl_b64 s[6:7], s[4:5], 2
	s_add_u32 s36, s10, s6
	s_addc_u32 s37, s11, s7
	s_lshl_b64 s[34:35], s[4:5], 4
	s_add_u32 s48, s12, s34
	s_addc_u32 s49, s13, s35
	s_add_u32 s40, s17, s33
	s_addc_u32 s41, s16, 0
	s_add_u32 s4, s44, -1
	v_mov_b32_e32 v2, 0x60
	s_addc_u32 s5, s45, -1
	v_add_u32_e32 v1, 64, v2
	v_add_u32_e32 v6, 48, v2
	;; [unrolled: 1-line block ×4, first 2 shown]
	v_pk_mov_b32 v[2:3], s[4:5], s[4:5] op_sel:[0,1]
	v_cmp_ge_u64_e64 s[6:7], s[40:41], v[2:3]
	s_mov_b64 s[14:15], 0
	s_mov_b64 s[10:11], -1
	s_and_b64 vcc, exec, s[6:7]
	s_mul_i32 s31, s4, 0xfffffb00
                                        ; implicit-def: $sgpr4_sgpr5
	s_cbranch_vccnz .LBB2069_339
; %bb.25:
	s_and_b64 vcc, exec, s[10:11]
	v_lshlrev_b32_e32 v13, 4, v0
	s_cbranch_vccnz .LBB2069_370
.LBB2069_26:
	s_and_saveexec_b64 s[10:11], s[14:15]
	s_cbranch_execz .LBB2069_28
.LBB2069_27:
	buffer_load_dword v2, v1, s[0:3], 0 offen offset:12
	buffer_load_dword v3, v1, s[0:3], 0 offen offset:8
	;; [unrolled: 1-line block ×3, first 2 shown]
	buffer_load_dword v5, v1, s[0:3], 0 offen
                                        ; kill: killed $vgpr1
	v_cndmask_b32_e64 v1, 0, 1, s[4:5]
	s_waitcnt vmcnt(3)
	buffer_store_dword v2, v12, s[0:3], 0 offen offset:12
	s_waitcnt vmcnt(3)
	buffer_store_dword v3, v12, s[0:3], 0 offen offset:8
	;; [unrolled: 2-line block ×3, first 2 shown]
	s_waitcnt vmcnt(3)
	buffer_store_dword v5, v12, s[0:3], 0 offen
	buffer_store_byte v1, off, s[0:3], 0 offset:304
.LBB2069_28:
	s_or_b64 exec, exec, s[10:11]
	s_cmp_lg_u32 s33, 0
	s_mov_b32 s4, 0
	s_barrier
	s_cbranch_scc0 .LBB2069_378
; %bb.29:
	v_mov_b32_e32 v1, 0
	v_mov_b32_e32 v2, 0x60
	buffer_store_dword v1, off, s[0:3], 0 offset:112
.LBB2069_30:                            ; =>This Inner Loop Header: Depth=1
	v_add_u32_e32 v3, s4, v2
	s_add_i32 s4, s4, 8
	s_cmp_lg_u32 s4, 16
	buffer_store_dword v1, v3, s[0:3], 0 offen offset:4
	buffer_store_dword v1, v3, s[0:3], 0 offen
	s_cbranch_scc1 .LBB2069_30
; %bb.31:
	buffer_load_dword v1, off, s[0:3], 0 offset:220
	buffer_load_dword v2, off, s[0:3], 0 offset:216
	;; [unrolled: 1-line block ×4, first 2 shown]
	buffer_load_ubyte v8, off, s[0:3], 0 offset:244
	buffer_load_ubyte v6, off, s[0:3], 0 offset:224
	s_waitcnt vmcnt(5)
	buffer_store_dword v1, off, s[0:3], 0 offset:108
	s_waitcnt vmcnt(5)
	buffer_store_dword v2, off, s[0:3], 0 offset:104
	;; [unrolled: 2-line block ×4, first 2 shown]
	s_waitcnt vmcnt(5)
	v_cmp_ne_u16_e32 vcc, 0, v8
                                        ; implicit-def: $vgpr4_vgpr5
                                        ; implicit-def: $vgpr2_vgpr3
	s_and_saveexec_b64 s[4:5], vcc
	s_xor_b64 s[4:5], exec, s[4:5]
	s_cbranch_execz .LBB2069_33
; %bb.32:
	buffer_load_dword v2, off, s[0:3], 0 offset:228
	buffer_load_dword v3, off, s[0:3], 0 offset:232
	;; [unrolled: 1-line block ×4, first 2 shown]
.LBB2069_33:
	s_andn2_saveexec_b64 s[4:5], s[4:5]
	s_cbranch_execz .LBB2069_39
; %bb.34:
	s_mov_b32 s10, 0
	v_mov_b32_e32 v1, 16
	s_waitcnt vmcnt(3)
	v_mov_b32_e32 v2, 0
	s_waitcnt vmcnt(0)
.LBB2069_35:                            ; =>This Inner Loop Header: Depth=1
	v_add_u32_e32 v3, s10, v1
	s_add_i32 s10, s10, 8
	s_cmp_lg_u32 s10, 16
	buffer_store_dword v2, v3, s[0:3], 0 offen offset:4
	buffer_store_dword v2, v3, s[0:3], 0 offen
	s_cbranch_scc1 .LBB2069_35
; %bb.36:
	s_mov_b32 s10, 0
	v_mov_b32_e32 v1, 0x60
	v_mov_b32_e32 v2, 0xd0
	;; [unrolled: 1-line block ×3, first 2 shown]
.LBB2069_37:                            ; =>This Inner Loop Header: Depth=1
	v_add_u32_e32 v4, s10, v1
	v_add_u32_e32 v5, s10, v2
	buffer_load_dword v9, v4, s[0:3], 0 offen offset:4
	buffer_load_dword v14, v5, s[0:3], 0 offen offset:20
	buffer_load_dword v15, v4, s[0:3], 0 offen
	buffer_load_dword v16, v5, s[0:3], 0 offen offset:24
                                        ; kill: killed $vgpr4
	v_add_u32_e32 v4, s10, v3
	s_add_i32 s10, s10, 8
	s_cmp_lg_u32 s10, 16
                                        ; kill: killed $vgpr5
	s_waitcnt vmcnt(1)
	v_add_u32_e32 v5, v14, v15
	s_waitcnt vmcnt(0)
	v_add_u32_e32 v9, v16, v9
	buffer_store_dword v9, v4, s[0:3], 0 offen offset:4
	buffer_store_dword v5, v4, s[0:3], 0 offen
	s_cbranch_scc1 .LBB2069_37
; %bb.38:
	buffer_load_dword v2, off, s[0:3], 0 offset:16
	buffer_load_dword v3, off, s[0:3], 0 offset:20
	buffer_load_dword v4, off, s[0:3], 0 offset:24
	buffer_load_dword v5, off, s[0:3], 0 offset:28
.LBB2069_39:
	s_or_b64 exec, exec, s[4:5]
	buffer_load_ubyte v1, off, s[0:3], 0 offset:264
	s_waitcnt vmcnt(3)
	buffer_store_dword v3, off, s[0:3], 0 offset:100
	buffer_store_dword v2, off, s[0:3], 0 offset:96
	s_waitcnt vmcnt(3)
	buffer_store_dword v5, off, s[0:3], 0 offset:108
	buffer_store_dword v4, off, s[0:3], 0 offset:104
                                        ; implicit-def: $vgpr4_vgpr5
                                        ; implicit-def: $vgpr2_vgpr3
	s_waitcnt vmcnt(4)
	v_cmp_ne_u16_e32 vcc, 0, v1
	s_and_saveexec_b64 s[4:5], vcc
	s_xor_b64 s[4:5], exec, s[4:5]
	s_cbranch_execz .LBB2069_41
; %bb.40:
	buffer_load_dword v2, off, s[0:3], 0 offset:248
	buffer_load_dword v3, off, s[0:3], 0 offset:252
	;; [unrolled: 1-line block ×4, first 2 shown]
.LBB2069_41:
	s_andn2_saveexec_b64 s[4:5], s[4:5]
	s_cbranch_execz .LBB2069_47
; %bb.42:
	s_mov_b32 s10, 0
	s_waitcnt vmcnt(3)
	v_mov_b32_e32 v2, 16
	s_waitcnt vmcnt(2)
	v_mov_b32_e32 v3, 0
	s_waitcnt vmcnt(0)
.LBB2069_43:                            ; =>This Inner Loop Header: Depth=1
	v_add_u32_e32 v4, s10, v2
	s_add_i32 s10, s10, 8
	s_cmp_lg_u32 s10, 16
	buffer_store_dword v3, v4, s[0:3], 0 offen offset:4
	buffer_store_dword v3, v4, s[0:3], 0 offen
	s_cbranch_scc1 .LBB2069_43
; %bb.44:
	s_mov_b32 s10, 0
	v_mov_b32_e32 v2, 0x60
	v_mov_b32_e32 v3, 0xd0
	;; [unrolled: 1-line block ×3, first 2 shown]
.LBB2069_45:                            ; =>This Inner Loop Header: Depth=1
	v_add_u32_e32 v5, s10, v2
	v_add_u32_e32 v9, s10, v3
	buffer_load_dword v14, v5, s[0:3], 0 offen offset:4
	buffer_load_dword v15, v9, s[0:3], 0 offen offset:40
	buffer_load_dword v16, v5, s[0:3], 0 offen
	buffer_load_dword v17, v9, s[0:3], 0 offen offset:44
                                        ; kill: killed $vgpr5
	v_add_u32_e32 v5, s10, v4
	s_add_i32 s10, s10, 8
	s_cmp_lg_u32 s10, 16
                                        ; kill: killed $vgpr9
	s_waitcnt vmcnt(1)
	v_add_u32_e32 v9, v15, v16
	s_waitcnt vmcnt(0)
	v_add_u32_e32 v14, v17, v14
	buffer_store_dword v14, v5, s[0:3], 0 offen offset:4
	buffer_store_dword v9, v5, s[0:3], 0 offen
	s_cbranch_scc1 .LBB2069_45
; %bb.46:
	buffer_load_dword v2, off, s[0:3], 0 offset:16
	buffer_load_dword v3, off, s[0:3], 0 offset:20
	;; [unrolled: 1-line block ×4, first 2 shown]
.LBB2069_47:
	s_or_b64 exec, exec, s[4:5]
	buffer_load_ubyte v9, off, s[0:3], 0 offset:284
	s_waitcnt vmcnt(3)
	buffer_store_dword v3, off, s[0:3], 0 offset:100
	buffer_store_dword v2, off, s[0:3], 0 offset:96
	s_waitcnt vmcnt(3)
	buffer_store_dword v5, off, s[0:3], 0 offset:108
	buffer_store_dword v4, off, s[0:3], 0 offset:104
                                        ; implicit-def: $vgpr4_vgpr5
                                        ; implicit-def: $vgpr2_vgpr3
	s_waitcnt vmcnt(4)
	v_cmp_ne_u16_e32 vcc, 0, v9
	s_and_saveexec_b64 s[4:5], vcc
	s_xor_b64 s[4:5], exec, s[4:5]
	s_cbranch_execz .LBB2069_49
; %bb.48:
	buffer_load_dword v2, off, s[0:3], 0 offset:268
	buffer_load_dword v3, off, s[0:3], 0 offset:272
	;; [unrolled: 1-line block ×4, first 2 shown]
.LBB2069_49:
	s_andn2_saveexec_b64 s[4:5], s[4:5]
	s_cbranch_execz .LBB2069_55
; %bb.50:
	s_mov_b32 s10, 0
	s_waitcnt vmcnt(3)
	v_mov_b32_e32 v2, 16
	s_waitcnt vmcnt(2)
	v_mov_b32_e32 v3, 0
	s_waitcnt vmcnt(0)
.LBB2069_51:                            ; =>This Inner Loop Header: Depth=1
	v_add_u32_e32 v4, s10, v2
	s_add_i32 s10, s10, 8
	s_cmp_lg_u32 s10, 16
	buffer_store_dword v3, v4, s[0:3], 0 offen offset:4
	buffer_store_dword v3, v4, s[0:3], 0 offen
	s_cbranch_scc1 .LBB2069_51
; %bb.52:
	s_mov_b32 s10, 0
	v_mov_b32_e32 v2, 0x60
	v_mov_b32_e32 v3, 0xd0
	;; [unrolled: 1-line block ×3, first 2 shown]
.LBB2069_53:                            ; =>This Inner Loop Header: Depth=1
	v_add_u32_e32 v5, s10, v2
	v_add_u32_e32 v14, s10, v3
	buffer_load_dword v15, v5, s[0:3], 0 offen offset:4
	buffer_load_dword v16, v14, s[0:3], 0 offen offset:60
	buffer_load_dword v17, v5, s[0:3], 0 offen
	buffer_load_dword v18, v14, s[0:3], 0 offen offset:64
                                        ; kill: killed $vgpr5
	v_add_u32_e32 v5, s10, v4
	s_add_i32 s10, s10, 8
	s_cmp_lg_u32 s10, 16
                                        ; kill: killed $vgpr14
	s_waitcnt vmcnt(1)
	v_add_u32_e32 v14, v16, v17
	s_waitcnt vmcnt(0)
	v_add_u32_e32 v15, v18, v15
	buffer_store_dword v15, v5, s[0:3], 0 offen offset:4
	buffer_store_dword v14, v5, s[0:3], 0 offen
	s_cbranch_scc1 .LBB2069_53
; %bb.54:
	buffer_load_dword v2, off, s[0:3], 0 offset:16
	buffer_load_dword v3, off, s[0:3], 0 offset:20
	;; [unrolled: 1-line block ×4, first 2 shown]
.LBB2069_55:
	s_or_b64 exec, exec, s[4:5]
	buffer_load_ubyte v14, off, s[0:3], 0 offset:304
	s_waitcnt vmcnt(3)
	buffer_store_dword v3, off, s[0:3], 0 offset:100
	buffer_store_dword v2, off, s[0:3], 0 offset:96
	s_waitcnt vmcnt(3)
	buffer_store_dword v5, off, s[0:3], 0 offset:108
	buffer_store_dword v4, off, s[0:3], 0 offset:104
                                        ; implicit-def: $vgpr4_vgpr5
                                        ; implicit-def: $vgpr2_vgpr3
	s_waitcnt vmcnt(4)
	v_cmp_ne_u16_e32 vcc, 0, v14
	s_and_saveexec_b64 s[4:5], vcc
	s_xor_b64 s[4:5], exec, s[4:5]
	s_cbranch_execz .LBB2069_57
; %bb.56:
	buffer_load_dword v2, off, s[0:3], 0 offset:288
	buffer_load_dword v3, off, s[0:3], 0 offset:292
	;; [unrolled: 1-line block ×4, first 2 shown]
.LBB2069_57:
	s_andn2_saveexec_b64 s[4:5], s[4:5]
	s_cbranch_execz .LBB2069_63
; %bb.58:
	s_mov_b32 s10, 0
	s_waitcnt vmcnt(3)
	v_mov_b32_e32 v2, 16
	s_waitcnt vmcnt(2)
	v_mov_b32_e32 v3, 0
	s_waitcnt vmcnt(0)
.LBB2069_59:                            ; =>This Inner Loop Header: Depth=1
	v_add_u32_e32 v4, s10, v2
	s_add_i32 s10, s10, 8
	s_cmp_lg_u32 s10, 16
	buffer_store_dword v3, v4, s[0:3], 0 offen offset:4
	buffer_store_dword v3, v4, s[0:3], 0 offen
	s_cbranch_scc1 .LBB2069_59
; %bb.60:
	s_mov_b32 s10, 0
	v_mov_b32_e32 v2, 0x60
	v_mov_b32_e32 v3, 0xd0
	;; [unrolled: 1-line block ×3, first 2 shown]
.LBB2069_61:                            ; =>This Inner Loop Header: Depth=1
	v_add_u32_e32 v5, s10, v2
	v_add_u32_e32 v15, s10, v3
	buffer_load_dword v16, v5, s[0:3], 0 offen offset:4
	buffer_load_dword v17, v15, s[0:3], 0 offen offset:80
	buffer_load_dword v18, v5, s[0:3], 0 offen
	buffer_load_dword v19, v15, s[0:3], 0 offen offset:84
                                        ; kill: killed $vgpr5
	v_add_u32_e32 v5, s10, v4
	s_add_i32 s10, s10, 8
	s_cmp_lg_u32 s10, 16
                                        ; kill: killed $vgpr15
	s_waitcnt vmcnt(1)
	v_add_u32_e32 v15, v17, v18
	s_waitcnt vmcnt(0)
	v_add_u32_e32 v16, v19, v16
	buffer_store_dword v16, v5, s[0:3], 0 offen offset:4
	buffer_store_dword v15, v5, s[0:3], 0 offen
	s_cbranch_scc1 .LBB2069_61
; %bb.62:
	buffer_load_dword v2, off, s[0:3], 0 offset:16
	buffer_load_dword v3, off, s[0:3], 0 offset:20
	buffer_load_dword v4, off, s[0:3], 0 offset:24
	buffer_load_dword v5, off, s[0:3], 0 offset:28
.LBB2069_63:
	s_or_b64 exec, exec, s[4:5]
	buffer_load_ushort v15, off, s[0:3], 0 offset:113
	buffer_load_sbyte v16, off, s[0:3], 0 offset:115
	v_or_b32_e32 v9, v14, v9
	v_or_b32_e32 v9, v9, v1
	;; [unrolled: 1-line block ×3, first 2 shown]
	v_mbcnt_lo_u32_b32 v14, -1, 0
	v_or_b32_e32 v6, v9, v6
	v_mbcnt_hi_u32_b32 v1, -1, v14
	v_and_b32_e32 v6, 1, v6
	v_and_b32_e32 v8, 15, v1
	s_waitcnt vmcnt(5)
	v_mov_b32_dpp v17, v2 row_shr:1 row_mask:0xf bank_mask:0xf
	v_cmp_ne_u32_e32 vcc, 0, v8
	s_waitcnt vmcnt(4)
	buffer_store_dword v3, off, s[0:3], 0 offset:180
	buffer_store_dword v2, off, s[0:3], 0 offset:176
	s_waitcnt vmcnt(4)
	buffer_store_dword v5, off, s[0:3], 0 offset:188
	buffer_store_dword v4, off, s[0:3], 0 offset:184
	v_mov_b32_dpp v18, v3 row_shr:1 row_mask:0xf bank_mask:0xf
	v_mov_b32_dpp v19, v4 row_shr:1 row_mask:0xf bank_mask:0xf
	;; [unrolled: 1-line block ×3, first 2 shown]
	buffer_store_dword v17, off, s[0:3], 0 offset:96
	buffer_store_dword v18, off, s[0:3], 0 offset:100
	;; [unrolled: 1-line block ×4, first 2 shown]
	s_waitcnt vmcnt(9)
	v_lshrrev_b32_e32 v9, 8, v15
	v_lshlrev_b16_e32 v14, 8, v15
	s_waitcnt vmcnt(8)
	v_lshlrev_b16_e32 v15, 8, v16
	v_or_b32_e32 v6, v6, v14
	v_or_b32_sdwa v9, v9, v15 dst_sel:WORD_1 dst_unused:UNUSED_PAD src0_sel:BYTE_0 src1_sel:DWORD
	v_or_b32_sdwa v9, v6, v9 dst_sel:DWORD dst_unused:UNUSED_PAD src0_sel:WORD_0 src1_sel:DWORD
	buffer_store_dword v9, off, s[0:3], 0 offset:192
	s_nop 0
	v_mov_b32_dpp v14, v9 row_shr:1 row_mask:0xf bank_mask:0xf
	buffer_store_dword v14, off, s[0:3], 0 offset:112
	s_and_saveexec_b64 s[4:5], vcc
	s_cbranch_execz .LBB2069_71
; %bb.64:
	v_mov_b32_e32 v15, 0
	v_cmp_eq_u16_sdwa s[12:13], v6, v15 src0_sel:BYTE_0 src1_sel:DWORD
	s_and_saveexec_b64 s[10:11], s[12:13]
	s_cbranch_execz .LBB2069_70
; %bb.65:
	s_mov_b32 s12, 0
	v_mov_b32_e32 v2, 16
.LBB2069_66:                            ; =>This Inner Loop Header: Depth=1
	v_add_u32_e32 v3, s12, v2
	s_add_i32 s12, s12, 8
	s_cmp_lg_u32 s12, 16
	buffer_store_dword v15, v3, s[0:3], 0 offen offset:4
	buffer_store_dword v15, v3, s[0:3], 0 offen
	s_cbranch_scc1 .LBB2069_66
; %bb.67:
	s_mov_b32 s12, 0
	v_mov_b32_e32 v2, 0x60
	v_mov_b32_e32 v3, 0xb0
	;; [unrolled: 1-line block ×3, first 2 shown]
.LBB2069_68:                            ; =>This Inner Loop Header: Depth=1
	v_add_u32_e32 v5, s12, v2
	v_add_u32_e32 v6, s12, v3
	buffer_load_dword v15, v5, s[0:3], 0 offen offset:4
	buffer_load_dword v16, v6, s[0:3], 0 offen
	buffer_load_dword v17, v5, s[0:3], 0 offen
	buffer_load_dword v18, v6, s[0:3], 0 offen offset:4
                                        ; kill: killed $vgpr5
	v_add_u32_e32 v5, s12, v4
	s_add_i32 s12, s12, 8
	s_cmp_lg_u32 s12, 16
                                        ; kill: killed $vgpr6
	s_waitcnt vmcnt(1)
	v_add_u32_e32 v6, v16, v17
	s_waitcnt vmcnt(0)
	v_add_u32_e32 v15, v18, v15
	buffer_store_dword v15, v5, s[0:3], 0 offen offset:4
	buffer_store_dword v6, v5, s[0:3], 0 offen
	s_cbranch_scc1 .LBB2069_68
; %bb.69:
	buffer_load_dword v2, off, s[0:3], 0 offset:16
	buffer_load_dword v3, off, s[0:3], 0 offset:20
	buffer_load_dword v4, off, s[0:3], 0 offset:24
	buffer_load_dword v5, off, s[0:3], 0 offset:28
.LBB2069_70:
	s_or_b64 exec, exec, s[10:11]
	v_or_b32_e32 v6, v14, v9
	v_and_b32_e32 v6, 1, v6
	buffer_store_byte v6, off, s[0:3], 0 offset:192
	buffer_load_dword v9, off, s[0:3], 0 offset:192
	s_waitcnt vmcnt(4)
	buffer_store_dword v3, off, s[0:3], 0 offset:180
	buffer_store_dword v2, off, s[0:3], 0 offset:176
	s_waitcnt vmcnt(4)
	buffer_store_dword v5, off, s[0:3], 0 offset:188
	buffer_store_dword v4, off, s[0:3], 0 offset:184
	s_waitcnt vmcnt(4)
	v_mov_b32_e32 v6, v9
.LBB2069_71:
	s_or_b64 exec, exec, s[4:5]
	v_mov_b32_dpp v15, v2 row_shr:2 row_mask:0xf bank_mask:0xf
	v_mov_b32_dpp v14, v9 row_shr:2 row_mask:0xf bank_mask:0xf
	v_cmp_lt_u32_e32 vcc, 1, v8
	v_mov_b32_dpp v16, v3 row_shr:2 row_mask:0xf bank_mask:0xf
	v_mov_b32_dpp v17, v4 row_shr:2 row_mask:0xf bank_mask:0xf
	;; [unrolled: 1-line block ×3, first 2 shown]
	buffer_store_dword v15, off, s[0:3], 0 offset:96
	buffer_store_dword v16, off, s[0:3], 0 offset:100
	;; [unrolled: 1-line block ×5, first 2 shown]
	s_and_saveexec_b64 s[10:11], vcc
	s_cbranch_execz .LBB2069_79
; %bb.72:
	v_mov_b32_e32 v9, 0
	s_mov_b32 s12, 0
	v_cmp_eq_u16_sdwa s[14:15], v6, v9 src0_sel:BYTE_0 src1_sel:DWORD
	s_and_saveexec_b64 s[4:5], s[14:15]
	s_cbranch_execz .LBB2069_78
; %bb.73:
	v_mov_b32_e32 v2, 16
.LBB2069_74:                            ; =>This Inner Loop Header: Depth=1
	v_add_u32_e32 v3, s12, v2
	s_add_i32 s12, s12, 8
	s_cmp_lg_u32 s12, 16
	buffer_store_dword v9, v3, s[0:3], 0 offen offset:4
	buffer_store_dword v9, v3, s[0:3], 0 offen
	s_cbranch_scc1 .LBB2069_74
; %bb.75:
	s_mov_b32 s12, 0
	v_mov_b32_e32 v2, 0x60
	v_mov_b32_e32 v3, 0xb0
	;; [unrolled: 1-line block ×3, first 2 shown]
.LBB2069_76:                            ; =>This Inner Loop Header: Depth=1
	v_add_u32_e32 v5, s12, v2
	v_add_u32_e32 v9, s12, v3
	buffer_load_dword v15, v5, s[0:3], 0 offen offset:4
	buffer_load_dword v16, v9, s[0:3], 0 offen
	buffer_load_dword v17, v5, s[0:3], 0 offen
	buffer_load_dword v18, v9, s[0:3], 0 offen offset:4
                                        ; kill: killed $vgpr5
	v_add_u32_e32 v5, s12, v4
	s_add_i32 s12, s12, 8
	s_cmp_lg_u32 s12, 16
                                        ; kill: killed $vgpr9
	s_waitcnt vmcnt(1)
	v_add_u32_e32 v9, v16, v17
	s_waitcnt vmcnt(0)
	v_add_u32_e32 v15, v18, v15
	buffer_store_dword v15, v5, s[0:3], 0 offen offset:4
	buffer_store_dword v9, v5, s[0:3], 0 offen
	s_cbranch_scc1 .LBB2069_76
; %bb.77:
	buffer_load_dword v2, off, s[0:3], 0 offset:16
	buffer_load_dword v3, off, s[0:3], 0 offset:20
	;; [unrolled: 1-line block ×4, first 2 shown]
.LBB2069_78:
	s_or_b64 exec, exec, s[4:5]
	v_and_b32_e32 v6, 1, v6
	v_cmp_eq_u32_e32 vcc, 1, v6
	v_and_b32_e32 v6, 1, v14
	v_cmp_eq_u32_e64 s[4:5], 1, v6
	s_or_b64 s[4:5], vcc, s[4:5]
	v_cndmask_b32_e64 v6, 0, 1, s[4:5]
	buffer_store_byte v6, off, s[0:3], 0 offset:192
	buffer_load_dword v9, off, s[0:3], 0 offset:192
	s_waitcnt vmcnt(4)
	buffer_store_dword v3, off, s[0:3], 0 offset:180
	buffer_store_dword v2, off, s[0:3], 0 offset:176
	s_waitcnt vmcnt(4)
	buffer_store_dword v5, off, s[0:3], 0 offset:188
	buffer_store_dword v4, off, s[0:3], 0 offset:184
	s_waitcnt vmcnt(4)
	v_mov_b32_e32 v6, v9
.LBB2069_79:
	s_or_b64 exec, exec, s[10:11]
	v_mov_b32_dpp v15, v2 row_shr:4 row_mask:0xf bank_mask:0xf
	v_mov_b32_dpp v14, v9 row_shr:4 row_mask:0xf bank_mask:0xf
	v_cmp_lt_u32_e32 vcc, 3, v8
	v_mov_b32_dpp v16, v3 row_shr:4 row_mask:0xf bank_mask:0xf
	v_mov_b32_dpp v17, v4 row_shr:4 row_mask:0xf bank_mask:0xf
	v_mov_b32_dpp v18, v5 row_shr:4 row_mask:0xf bank_mask:0xf
	buffer_store_dword v15, off, s[0:3], 0 offset:96
	buffer_store_dword v16, off, s[0:3], 0 offset:100
	;; [unrolled: 1-line block ×5, first 2 shown]
	s_and_saveexec_b64 s[10:11], vcc
	s_cbranch_execz .LBB2069_87
; %bb.80:
	v_mov_b32_e32 v9, 0
	s_mov_b32 s12, 0
	v_cmp_eq_u16_sdwa s[14:15], v6, v9 src0_sel:BYTE_0 src1_sel:DWORD
	s_and_saveexec_b64 s[4:5], s[14:15]
	s_cbranch_execz .LBB2069_86
; %bb.81:
	v_mov_b32_e32 v2, 16
.LBB2069_82:                            ; =>This Inner Loop Header: Depth=1
	v_add_u32_e32 v3, s12, v2
	s_add_i32 s12, s12, 8
	s_cmp_lg_u32 s12, 16
	buffer_store_dword v9, v3, s[0:3], 0 offen offset:4
	buffer_store_dword v9, v3, s[0:3], 0 offen
	s_cbranch_scc1 .LBB2069_82
; %bb.83:
	s_mov_b32 s12, 0
	v_mov_b32_e32 v2, 0x60
	v_mov_b32_e32 v3, 0xb0
	;; [unrolled: 1-line block ×3, first 2 shown]
.LBB2069_84:                            ; =>This Inner Loop Header: Depth=1
	v_add_u32_e32 v5, s12, v2
	v_add_u32_e32 v9, s12, v3
	buffer_load_dword v15, v5, s[0:3], 0 offen offset:4
	buffer_load_dword v16, v9, s[0:3], 0 offen
	buffer_load_dword v17, v5, s[0:3], 0 offen
	buffer_load_dword v18, v9, s[0:3], 0 offen offset:4
                                        ; kill: killed $vgpr5
	v_add_u32_e32 v5, s12, v4
	s_add_i32 s12, s12, 8
	s_cmp_lg_u32 s12, 16
                                        ; kill: killed $vgpr9
	s_waitcnt vmcnt(1)
	v_add_u32_e32 v9, v16, v17
	s_waitcnt vmcnt(0)
	v_add_u32_e32 v15, v18, v15
	buffer_store_dword v15, v5, s[0:3], 0 offen offset:4
	buffer_store_dword v9, v5, s[0:3], 0 offen
	s_cbranch_scc1 .LBB2069_84
; %bb.85:
	buffer_load_dword v2, off, s[0:3], 0 offset:16
	buffer_load_dword v3, off, s[0:3], 0 offset:20
	;; [unrolled: 1-line block ×4, first 2 shown]
.LBB2069_86:
	s_or_b64 exec, exec, s[4:5]
	v_and_b32_e32 v6, 1, v6
	v_cmp_eq_u32_e32 vcc, 1, v6
	v_and_b32_e32 v6, 1, v14
	v_cmp_eq_u32_e64 s[4:5], 1, v6
	s_or_b64 s[4:5], vcc, s[4:5]
	v_cndmask_b32_e64 v6, 0, 1, s[4:5]
	buffer_store_byte v6, off, s[0:3], 0 offset:192
	buffer_load_dword v9, off, s[0:3], 0 offset:192
	s_waitcnt vmcnt(4)
	buffer_store_dword v3, off, s[0:3], 0 offset:180
	buffer_store_dword v2, off, s[0:3], 0 offset:176
	s_waitcnt vmcnt(4)
	buffer_store_dword v5, off, s[0:3], 0 offset:188
	buffer_store_dword v4, off, s[0:3], 0 offset:184
	s_waitcnt vmcnt(4)
	v_mov_b32_e32 v6, v9
.LBB2069_87:
	s_or_b64 exec, exec, s[10:11]
	v_mov_b32_dpp v15, v2 row_shr:8 row_mask:0xf bank_mask:0xf
	v_mov_b32_dpp v14, v9 row_shr:8 row_mask:0xf bank_mask:0xf
	v_cmp_lt_u32_e32 vcc, 7, v8
	v_mov_b32_dpp v16, v3 row_shr:8 row_mask:0xf bank_mask:0xf
	v_mov_b32_dpp v17, v4 row_shr:8 row_mask:0xf bank_mask:0xf
	;; [unrolled: 1-line block ×3, first 2 shown]
	buffer_store_dword v15, off, s[0:3], 0 offset:96
	buffer_store_dword v16, off, s[0:3], 0 offset:100
	;; [unrolled: 1-line block ×5, first 2 shown]
	s_and_saveexec_b64 s[10:11], vcc
	s_cbranch_execz .LBB2069_95
; %bb.88:
	v_mov_b32_e32 v8, 0
	s_mov_b32 s12, 0
	v_cmp_eq_u16_sdwa s[14:15], v6, v8 src0_sel:BYTE_0 src1_sel:DWORD
	s_and_saveexec_b64 s[4:5], s[14:15]
	s_cbranch_execz .LBB2069_94
; %bb.89:
	v_mov_b32_e32 v2, 16
.LBB2069_90:                            ; =>This Inner Loop Header: Depth=1
	v_add_u32_e32 v3, s12, v2
	s_add_i32 s12, s12, 8
	s_cmp_lg_u32 s12, 16
	buffer_store_dword v8, v3, s[0:3], 0 offen offset:4
	buffer_store_dword v8, v3, s[0:3], 0 offen
	s_cbranch_scc1 .LBB2069_90
; %bb.91:
	s_mov_b32 s12, 0
	v_mov_b32_e32 v2, 0x60
	v_mov_b32_e32 v3, 0xb0
	;; [unrolled: 1-line block ×3, first 2 shown]
.LBB2069_92:                            ; =>This Inner Loop Header: Depth=1
	v_add_u32_e32 v5, s12, v2
	v_add_u32_e32 v8, s12, v3
	buffer_load_dword v9, v5, s[0:3], 0 offen offset:4
	buffer_load_dword v15, v8, s[0:3], 0 offen
	buffer_load_dword v16, v5, s[0:3], 0 offen
	buffer_load_dword v17, v8, s[0:3], 0 offen offset:4
                                        ; kill: killed $vgpr5
	v_add_u32_e32 v5, s12, v4
	s_add_i32 s12, s12, 8
	s_cmp_lg_u32 s12, 16
                                        ; kill: killed $vgpr8
	s_waitcnt vmcnt(1)
	v_add_u32_e32 v8, v15, v16
	s_waitcnt vmcnt(0)
	v_add_u32_e32 v9, v17, v9
	buffer_store_dword v9, v5, s[0:3], 0 offen offset:4
	buffer_store_dword v8, v5, s[0:3], 0 offen
	s_cbranch_scc1 .LBB2069_92
; %bb.93:
	buffer_load_dword v2, off, s[0:3], 0 offset:16
	buffer_load_dword v3, off, s[0:3], 0 offset:20
	buffer_load_dword v4, off, s[0:3], 0 offset:24
	buffer_load_dword v5, off, s[0:3], 0 offset:28
.LBB2069_94:
	s_or_b64 exec, exec, s[4:5]
	v_and_b32_e32 v6, 1, v6
	v_cmp_eq_u32_e32 vcc, 1, v6
	v_and_b32_e32 v6, 1, v14
	v_cmp_eq_u32_e64 s[4:5], 1, v6
	s_or_b64 s[4:5], vcc, s[4:5]
	v_cndmask_b32_e64 v6, 0, 1, s[4:5]
	buffer_store_byte v6, off, s[0:3], 0 offset:192
	buffer_load_dword v9, off, s[0:3], 0 offset:192
	s_waitcnt vmcnt(4)
	buffer_store_dword v3, off, s[0:3], 0 offset:180
	buffer_store_dword v2, off, s[0:3], 0 offset:176
	s_waitcnt vmcnt(4)
	buffer_store_dword v5, off, s[0:3], 0 offset:188
	buffer_store_dword v4, off, s[0:3], 0 offset:184
	s_waitcnt vmcnt(4)
	v_mov_b32_e32 v6, v9
.LBB2069_95:
	s_or_b64 exec, exec, s[10:11]
	v_mov_b32_dpp v14, v2 row_bcast:15 row_mask:0xf bank_mask:0xf
	v_mov_b32_dpp v15, v3 row_bcast:15 row_mask:0xf bank_mask:0xf
	;; [unrolled: 1-line block ×5, first 2 shown]
	buffer_store_dword v14, off, s[0:3], 0 offset:96
	buffer_store_dword v15, off, s[0:3], 0 offset:100
	;; [unrolled: 1-line block ×5, first 2 shown]
	v_and_b32_e32 v14, 16, v1
	v_cmp_ne_u32_e32 vcc, 0, v14
	s_and_saveexec_b64 s[10:11], vcc
	s_cbranch_execz .LBB2069_103
; %bb.96:
	v_mov_b32_e32 v9, 0
	s_mov_b32 s12, 0
	v_cmp_eq_u16_sdwa s[14:15], v6, v9 src0_sel:BYTE_0 src1_sel:DWORD
	s_and_saveexec_b64 s[4:5], s[14:15]
	s_cbranch_execz .LBB2069_102
; %bb.97:
	v_mov_b32_e32 v2, 16
.LBB2069_98:                            ; =>This Inner Loop Header: Depth=1
	v_add_u32_e32 v3, s12, v2
	s_add_i32 s12, s12, 8
	s_cmp_lg_u32 s12, 16
	buffer_store_dword v9, v3, s[0:3], 0 offen offset:4
	buffer_store_dword v9, v3, s[0:3], 0 offen
	s_cbranch_scc1 .LBB2069_98
; %bb.99:
	s_mov_b32 s12, 0
	v_mov_b32_e32 v2, 0x60
	v_mov_b32_e32 v3, 0xb0
	;; [unrolled: 1-line block ×3, first 2 shown]
.LBB2069_100:                           ; =>This Inner Loop Header: Depth=1
	v_add_u32_e32 v5, s12, v2
	v_add_u32_e32 v9, s12, v3
	buffer_load_dword v14, v5, s[0:3], 0 offen offset:4
	buffer_load_dword v15, v9, s[0:3], 0 offen
	buffer_load_dword v16, v5, s[0:3], 0 offen
	buffer_load_dword v17, v9, s[0:3], 0 offen offset:4
                                        ; kill: killed $vgpr5
	v_add_u32_e32 v5, s12, v4
	s_add_i32 s12, s12, 8
	s_cmp_lg_u32 s12, 16
                                        ; kill: killed $vgpr9
	s_waitcnt vmcnt(1)
	v_add_u32_e32 v9, v15, v16
	s_waitcnt vmcnt(0)
	v_add_u32_e32 v14, v17, v14
	buffer_store_dword v14, v5, s[0:3], 0 offen offset:4
	buffer_store_dword v9, v5, s[0:3], 0 offen
	s_cbranch_scc1 .LBB2069_100
; %bb.101:
	buffer_load_dword v2, off, s[0:3], 0 offset:16
	buffer_load_dword v3, off, s[0:3], 0 offset:20
	;; [unrolled: 1-line block ×4, first 2 shown]
.LBB2069_102:
	s_or_b64 exec, exec, s[4:5]
	v_and_b32_e32 v6, 1, v6
	v_cmp_eq_u32_e32 vcc, 1, v6
	v_and_b32_e32 v6, 1, v8
	v_cmp_eq_u32_e64 s[4:5], 1, v6
	s_or_b64 s[4:5], vcc, s[4:5]
	v_cndmask_b32_e64 v6, 0, 1, s[4:5]
	buffer_store_byte v6, off, s[0:3], 0 offset:192
	buffer_load_dword v9, off, s[0:3], 0 offset:192
	s_waitcnt vmcnt(4)
	buffer_store_dword v3, off, s[0:3], 0 offset:180
	buffer_store_dword v2, off, s[0:3], 0 offset:176
	s_waitcnt vmcnt(4)
	buffer_store_dword v5, off, s[0:3], 0 offset:188
	buffer_store_dword v4, off, s[0:3], 0 offset:184
	s_waitcnt vmcnt(4)
	v_mov_b32_e32 v6, v9
.LBB2069_103:
	s_or_b64 exec, exec, s[10:11]
	v_mov_b32_dpp v14, v2 row_bcast:31 row_mask:0xf bank_mask:0xf
	v_mov_b32_dpp v8, v9 row_bcast:31 row_mask:0xf bank_mask:0xf
	v_cmp_lt_u32_e32 vcc, 31, v1
	v_mov_b32_dpp v15, v3 row_bcast:31 row_mask:0xf bank_mask:0xf
	v_mov_b32_dpp v16, v4 row_bcast:31 row_mask:0xf bank_mask:0xf
	;; [unrolled: 1-line block ×3, first 2 shown]
	buffer_store_dword v14, off, s[0:3], 0 offset:96
	buffer_store_dword v15, off, s[0:3], 0 offset:100
	;; [unrolled: 1-line block ×5, first 2 shown]
	s_and_saveexec_b64 s[10:11], vcc
	s_cbranch_execz .LBB2069_111
; %bb.104:
	v_mov_b32_e32 v9, 0
	s_mov_b32 s12, 0
	v_cmp_eq_u16_sdwa s[14:15], v6, v9 src0_sel:BYTE_0 src1_sel:DWORD
	s_and_saveexec_b64 s[4:5], s[14:15]
	s_cbranch_execz .LBB2069_110
; %bb.105:
	v_mov_b32_e32 v2, 16
.LBB2069_106:                           ; =>This Inner Loop Header: Depth=1
	v_add_u32_e32 v3, s12, v2
	s_add_i32 s12, s12, 8
	s_cmp_lg_u32 s12, 16
	buffer_store_dword v9, v3, s[0:3], 0 offen offset:4
	buffer_store_dword v9, v3, s[0:3], 0 offen
	s_cbranch_scc1 .LBB2069_106
; %bb.107:
	s_mov_b32 s12, 0
	v_mov_b32_e32 v2, 0x60
	v_mov_b32_e32 v3, 0xb0
	;; [unrolled: 1-line block ×3, first 2 shown]
.LBB2069_108:                           ; =>This Inner Loop Header: Depth=1
	v_add_u32_e32 v5, s12, v2
	v_add_u32_e32 v9, s12, v3
	buffer_load_dword v14, v5, s[0:3], 0 offen offset:4
	buffer_load_dword v15, v9, s[0:3], 0 offen
	buffer_load_dword v16, v5, s[0:3], 0 offen
	buffer_load_dword v17, v9, s[0:3], 0 offen offset:4
                                        ; kill: killed $vgpr5
	v_add_u32_e32 v5, s12, v4
	s_add_i32 s12, s12, 8
	s_cmp_lg_u32 s12, 16
                                        ; kill: killed $vgpr9
	s_waitcnt vmcnt(1)
	v_add_u32_e32 v9, v15, v16
	s_waitcnt vmcnt(0)
	v_add_u32_e32 v14, v17, v14
	buffer_store_dword v14, v5, s[0:3], 0 offen offset:4
	buffer_store_dword v9, v5, s[0:3], 0 offen
	s_cbranch_scc1 .LBB2069_108
; %bb.109:
	buffer_load_dword v2, off, s[0:3], 0 offset:16
	buffer_load_dword v3, off, s[0:3], 0 offset:20
	;; [unrolled: 1-line block ×4, first 2 shown]
.LBB2069_110:
	s_or_b64 exec, exec, s[4:5]
	v_and_b32_e32 v6, 1, v6
	v_cmp_eq_u32_e32 vcc, 1, v6
	v_and_b32_e32 v6, 1, v8
	v_cmp_eq_u32_e64 s[4:5], 1, v6
	s_or_b64 s[4:5], vcc, s[4:5]
	v_cndmask_b32_e64 v6, 0, 1, s[4:5]
	s_waitcnt vmcnt(2)
	buffer_store_dword v3, off, s[0:3], 0 offset:180
	buffer_store_dword v2, off, s[0:3], 0 offset:176
	s_waitcnt vmcnt(2)
	buffer_store_dword v5, off, s[0:3], 0 offset:188
	buffer_store_dword v4, off, s[0:3], 0 offset:184
	buffer_store_byte v6, off, s[0:3], 0 offset:192
.LBB2069_111:
	s_or_b64 exec, exec, s[10:11]
	v_or_b32_e32 v9, 63, v0
	v_lshrrev_b32_e32 v8, 6, v0
	v_cmp_eq_u32_e32 vcc, v9, v0
	s_and_saveexec_b64 s[4:5], vcc
	s_cbranch_execz .LBB2069_113
; %bb.112:
	v_mul_u32_u24_e32 v9, 20, v8
	ds_write2_b32 v9, v2, v3 offset1:1
	ds_write2_b32 v9, v4, v5 offset0:2 offset1:3
	ds_write_b8 v9, v6 offset:16
.LBB2069_113:
	s_or_b64 exec, exec, s[4:5]
	v_cmp_gt_u32_e32 vcc, 4, v0
	s_waitcnt lgkmcnt(0)
	s_barrier
	s_and_saveexec_b64 s[10:11], vcc
	s_cbranch_execz .LBB2069_131
; %bb.114:
	v_mul_u32_u24_e32 v6, 20, v0
	ds_read_b32 v9, v6 offset:16
	ds_read2_b32 v[2:3], v6 offset0:2 offset1:3
	ds_read2_b32 v[4:5], v6 offset1:1
	v_and_b32_e32 v14, 3, v1
	v_cmp_ne_u32_e32 vcc, 0, v14
	s_waitcnt lgkmcnt(2)
	v_mov_b32_dpp v15, v9 row_shr:1 row_mask:0xf bank_mask:0xf
	s_waitcnt lgkmcnt(1)
	v_mov_b32_dpp v18, v2 row_shr:1 row_mask:0xf bank_mask:0xf
	;; [unrolled: 2-line block ×3, first 2 shown]
	buffer_store_dword v9, off, s[0:3], 0 offset:32
	buffer_store_dword v3, off, s[0:3], 0 offset:28
	;; [unrolled: 1-line block ×5, first 2 shown]
	v_mov_b32_dpp v17, v5 row_shr:1 row_mask:0xf bank_mask:0xf
	v_mov_b32_dpp v19, v3 row_shr:1 row_mask:0xf bank_mask:0xf
	buffer_store_dword v16, off, s[0:3], 0 offset:96
	buffer_store_dword v17, off, s[0:3], 0 offset:100
	;; [unrolled: 1-line block ×5, first 2 shown]
	s_and_saveexec_b64 s[4:5], vcc
	s_cbranch_execz .LBB2069_122
; %bb.115:
	v_mov_b32_e32 v16, 0
	v_cmp_eq_u16_sdwa s[14:15], v9, v16 src0_sel:BYTE_0 src1_sel:DWORD
	s_and_saveexec_b64 s[12:13], s[14:15]
	s_cbranch_execz .LBB2069_121
; %bb.116:
	s_mov_b32 s14, 0
	v_mov_b32_e32 v2, 36
.LBB2069_117:                           ; =>This Inner Loop Header: Depth=1
	v_add_u32_e32 v3, s14, v2
	s_add_i32 s14, s14, 8
	s_cmp_lg_u32 s14, 16
	buffer_store_dword v16, v3, s[0:3], 0 offen offset:4
	buffer_store_dword v16, v3, s[0:3], 0 offen
	s_cbranch_scc1 .LBB2069_117
; %bb.118:
	s_mov_b32 s14, 0
	v_mov_b32_e32 v2, 0x60
	v_mov_b32_e32 v3, 16
	;; [unrolled: 1-line block ×3, first 2 shown]
.LBB2069_119:                           ; =>This Inner Loop Header: Depth=1
	v_add_u32_e32 v5, s14, v2
	v_add_u32_e32 v16, s14, v3
	buffer_load_dword v17, v5, s[0:3], 0 offen offset:4
	buffer_load_dword v18, v16, s[0:3], 0 offen
	buffer_load_dword v19, v5, s[0:3], 0 offen
	buffer_load_dword v20, v16, s[0:3], 0 offen offset:4
                                        ; kill: killed $vgpr5
	v_add_u32_e32 v5, s14, v4
	s_add_i32 s14, s14, 8
	s_cmp_lg_u32 s14, 16
                                        ; kill: killed $vgpr16
	s_waitcnt vmcnt(1)
	v_add_u32_e32 v16, v18, v19
	s_waitcnt vmcnt(0)
	v_add_u32_e32 v17, v20, v17
	buffer_store_dword v17, v5, s[0:3], 0 offen offset:4
	buffer_store_dword v16, v5, s[0:3], 0 offen
	s_cbranch_scc1 .LBB2069_119
; %bb.120:
	buffer_load_dword v4, off, s[0:3], 0 offset:36
	buffer_load_dword v5, off, s[0:3], 0 offset:40
	;; [unrolled: 1-line block ×4, first 2 shown]
.LBB2069_121:
	s_or_b64 exec, exec, s[12:13]
	v_or_b32_e32 v9, v15, v9
	v_and_b32_e32 v9, 1, v9
	buffer_store_byte v9, off, s[0:3], 0 offset:32
	buffer_load_dword v9, off, s[0:3], 0 offset:32
	s_waitcnt vmcnt(4)
	buffer_store_dword v5, off, s[0:3], 0 offset:20
	buffer_store_dword v4, off, s[0:3], 0 offset:16
	s_waitcnt vmcnt(4)
	buffer_store_dword v3, off, s[0:3], 0 offset:28
	buffer_store_dword v2, off, s[0:3], 0 offset:24
.LBB2069_122:
	s_or_b64 exec, exec, s[4:5]
	v_mov_b32_dpp v16, v4 row_shr:2 row_mask:0xf bank_mask:0xf
	s_waitcnt vmcnt(4)
	v_mov_b32_dpp v15, v9 row_shr:2 row_mask:0xf bank_mask:0xf
	v_cmp_lt_u32_e32 vcc, 1, v14
	v_mov_b32_dpp v17, v5 row_shr:2 row_mask:0xf bank_mask:0xf
	v_mov_b32_dpp v18, v2 row_shr:2 row_mask:0xf bank_mask:0xf
	;; [unrolled: 1-line block ×3, first 2 shown]
	buffer_store_dword v16, off, s[0:3], 0 offset:96
	buffer_store_dword v17, off, s[0:3], 0 offset:100
	;; [unrolled: 1-line block ×5, first 2 shown]
	s_and_saveexec_b64 s[12:13], vcc
	s_cbranch_execz .LBB2069_130
; %bb.123:
	v_mov_b32_e32 v14, 0
	s_mov_b32 s14, 0
	v_cmp_eq_u16_sdwa s[16:17], v9, v14 src0_sel:BYTE_0 src1_sel:DWORD
	s_and_saveexec_b64 s[4:5], s[16:17]
	s_cbranch_execz .LBB2069_129
; %bb.124:
	v_mov_b32_e32 v2, 36
.LBB2069_125:                           ; =>This Inner Loop Header: Depth=1
	v_add_u32_e32 v3, s14, v2
	s_add_i32 s14, s14, 8
	s_cmp_lg_u32 s14, 16
	buffer_store_dword v14, v3, s[0:3], 0 offen offset:4
	buffer_store_dword v14, v3, s[0:3], 0 offen
	s_cbranch_scc1 .LBB2069_125
; %bb.126:
	s_mov_b32 s14, 0
	v_mov_b32_e32 v2, 0x60
	v_mov_b32_e32 v3, 16
	;; [unrolled: 1-line block ×3, first 2 shown]
.LBB2069_127:                           ; =>This Inner Loop Header: Depth=1
	v_add_u32_e32 v5, s14, v2
	v_add_u32_e32 v14, s14, v3
	buffer_load_dword v16, v5, s[0:3], 0 offen offset:4
	buffer_load_dword v17, v14, s[0:3], 0 offen
	buffer_load_dword v18, v5, s[0:3], 0 offen
	buffer_load_dword v19, v14, s[0:3], 0 offen offset:4
                                        ; kill: killed $vgpr5
	v_add_u32_e32 v5, s14, v4
	s_add_i32 s14, s14, 8
	s_cmp_lg_u32 s14, 16
                                        ; kill: killed $vgpr14
	s_waitcnt vmcnt(1)
	v_add_u32_e32 v14, v17, v18
	s_waitcnt vmcnt(0)
	v_add_u32_e32 v16, v19, v16
	buffer_store_dword v16, v5, s[0:3], 0 offen offset:4
	buffer_store_dword v14, v5, s[0:3], 0 offen
	s_cbranch_scc1 .LBB2069_127
; %bb.128:
	buffer_load_dword v4, off, s[0:3], 0 offset:36
	buffer_load_dword v5, off, s[0:3], 0 offset:40
	;; [unrolled: 1-line block ×4, first 2 shown]
.LBB2069_129:
	s_or_b64 exec, exec, s[4:5]
	v_and_b32_e32 v9, 1, v9
	v_cmp_eq_u32_e32 vcc, 1, v9
	v_and_b32_e32 v9, 1, v15
	v_cmp_eq_u32_e64 s[4:5], 1, v9
	s_or_b64 s[4:5], vcc, s[4:5]
	v_cndmask_b32_e64 v9, 0, 1, s[4:5]
	s_waitcnt vmcnt(2)
	buffer_store_dword v5, off, s[0:3], 0 offset:20
	buffer_store_dword v4, off, s[0:3], 0 offset:16
	s_waitcnt vmcnt(2)
	buffer_store_dword v3, off, s[0:3], 0 offset:28
	buffer_store_dword v2, off, s[0:3], 0 offset:24
.LBB2069_130:
	s_or_b64 exec, exec, s[12:13]
	buffer_load_dword v2, off, s[0:3], 0 offset:24
	buffer_load_dword v3, off, s[0:3], 0 offset:28
	;; [unrolled: 1-line block ×4, first 2 shown]
	s_waitcnt vmcnt(2)
	ds_write2_b32 v6, v2, v3 offset0:2 offset1:3
	s_waitcnt vmcnt(0)
	ds_write2_b32 v6, v4, v5 offset1:1
	ds_write_b8 v6, v9 offset:16
.LBB2069_131:
	s_or_b64 exec, exec, s[10:11]
	v_mov_b32_e32 v2, 0
	s_mov_b32 s4, 0
	v_mov_b32_e32 v3, 0x60
	s_waitcnt lgkmcnt(0)
	s_barrier
	buffer_store_dword v2, off, s[0:3], 0 offset:108
	buffer_store_dword v2, off, s[0:3], 0 offset:104
	;; [unrolled: 1-line block ×5, first 2 shown]
.LBB2069_132:                           ; =>This Inner Loop Header: Depth=1
	v_add_u32_e32 v4, s4, v3
	s_add_i32 s4, s4, 8
	s_cmp_lg_u32 s4, 16
	buffer_store_dword v2, v4, s[0:3], 0 offen offset:4
	buffer_store_dword v2, v4, s[0:3], 0 offen
	s_cbranch_scc1 .LBB2069_132
; %bb.133:
	v_cmp_gt_u32_e32 vcc, 64, v0
	v_cmp_lt_u32_e64 s[4:5], 63, v0
                                        ; implicit-def: $vgpr2_vgpr3
                                        ; implicit-def: $vgpr4_vgpr5
                                        ; implicit-def: $vgpr6
	s_and_saveexec_b64 s[10:11], s[4:5]
	s_xor_b64 s[10:11], exec, s[10:11]
	s_cbranch_execz .LBB2069_143
; %bb.134:
	buffer_load_ubyte v9, off, s[0:3], 0 offset:192
	v_not_b32_e32 v2, 19
	v_mad_u32_u24 v4, v8, 20, v2
	ds_read2_b32 v[2:3], v4 offset0:2 offset1:3
	ds_read_u8 v6, v4 offset:16
	ds_read2_b32 v[4:5], v4 offset1:1
	s_waitcnt lgkmcnt(2)
	buffer_store_dword v3, off, s[0:3], 0 offset:108
	buffer_store_dword v2, off, s[0:3], 0 offset:104
	s_waitcnt lgkmcnt(0)
	buffer_store_dword v5, off, s[0:3], 0 offset:100
	buffer_store_dword v4, off, s[0:3], 0 offset:96
                                        ; implicit-def: $vgpr2_vgpr3
                                        ; implicit-def: $vgpr4_vgpr5
	s_waitcnt vmcnt(4)
	v_cmp_ne_u16_e64 s[4:5], 0, v9
	s_and_saveexec_b64 s[12:13], s[4:5]
	s_xor_b64 s[4:5], exec, s[12:13]
	s_cbranch_execz .LBB2069_136
; %bb.135:
	buffer_load_dword v2, off, s[0:3], 0 offset:176
	buffer_load_dword v3, off, s[0:3], 0 offset:180
	;; [unrolled: 1-line block ×4, first 2 shown]
.LBB2069_136:
	s_andn2_saveexec_b64 s[4:5], s[4:5]
	s_cbranch_execz .LBB2069_142
; %bb.137:
	s_mov_b32 s12, 0
	s_waitcnt vmcnt(3)
	v_mov_b32_e32 v2, 16
	s_waitcnt vmcnt(2)
	v_mov_b32_e32 v3, 0
	s_waitcnt vmcnt(0)
.LBB2069_138:                           ; =>This Inner Loop Header: Depth=1
	v_add_u32_e32 v4, s12, v2
	s_add_i32 s12, s12, 8
	s_cmp_lg_u32 s12, 16
	buffer_store_dword v3, v4, s[0:3], 0 offen offset:4
	buffer_store_dword v3, v4, s[0:3], 0 offen
	s_cbranch_scc1 .LBB2069_138
; %bb.139:
	s_mov_b32 s12, 0
	v_mov_b32_e32 v2, 0x60
	v_mov_b32_e32 v3, 0xb0
	;; [unrolled: 1-line block ×3, first 2 shown]
.LBB2069_140:                           ; =>This Inner Loop Header: Depth=1
	v_add_u32_e32 v5, s12, v2
	v_add_u32_e32 v8, s12, v3
	buffer_load_dword v14, v5, s[0:3], 0 offen offset:4
	buffer_load_dword v15, v8, s[0:3], 0 offen
	buffer_load_dword v16, v5, s[0:3], 0 offen
	buffer_load_dword v17, v8, s[0:3], 0 offen offset:4
                                        ; kill: killed $vgpr5
	v_add_u32_e32 v5, s12, v4
	s_add_i32 s12, s12, 8
	s_cmp_lg_u32 s12, 16
                                        ; kill: killed $vgpr8
	s_waitcnt vmcnt(1)
	v_add_u32_e32 v8, v15, v16
	s_waitcnt vmcnt(0)
	v_add_u32_e32 v14, v17, v14
	buffer_store_dword v14, v5, s[0:3], 0 offen offset:4
	buffer_store_dword v8, v5, s[0:3], 0 offen
	s_cbranch_scc1 .LBB2069_140
; %bb.141:
	buffer_load_dword v2, off, s[0:3], 0 offset:16
	buffer_load_dword v3, off, s[0:3], 0 offset:20
	;; [unrolled: 1-line block ×4, first 2 shown]
.LBB2069_142:
	s_or_b64 exec, exec, s[4:5]
	v_or_b32_e32 v8, v9, v6
	v_and_b32_e32 v8, 1, v8
	buffer_store_byte v8, off, s[0:3], 0 offset:192
.LBB2069_143:
	s_andn2_saveexec_b64 s[4:5], s[10:11]
	s_cbranch_execz .LBB2069_145
; %bb.144:
	buffer_load_dword v2, off, s[0:3], 0 offset:176
	buffer_load_dword v3, off, s[0:3], 0 offset:180
	buffer_load_dword v4, off, s[0:3], 0 offset:184
	buffer_load_dword v5, off, s[0:3], 0 offset:188
	v_mov_b32_e32 v6, 0
.LBB2069_145:
	s_or_b64 exec, exec, s[4:5]
	buffer_load_dword v8, off, s[0:3], 0 offset:192
	v_add_u32_e32 v9, -1, v1
	v_and_b32_e32 v14, 64, v1
	v_cmp_lt_i32_e64 s[4:5], v9, v14
	v_cndmask_b32_e64 v9, v9, v1, s[4:5]
	v_lshlrev_b32_e32 v9, 2, v9
	s_waitcnt vmcnt(4)
	ds_bpermute_b32 v2, v9, v2
	s_waitcnt vmcnt(3)
	ds_bpermute_b32 v3, v9, v3
	;; [unrolled: 2-line block ×4, first 2 shown]
	v_cmp_eq_u32_e64 s[10:11], 0, v1
	s_waitcnt vmcnt(0)
	ds_bpermute_b32 v8, v9, v8
	s_waitcnt lgkmcnt(4)
	buffer_store_dword v2, off, s[0:3], 0 offset:176
	s_waitcnt lgkmcnt(3)
	buffer_store_dword v3, off, s[0:3], 0 offset:180
	;; [unrolled: 2-line block ×4, first 2 shown]
	s_waitcnt lgkmcnt(0)
	buffer_store_byte v8, off, s[0:3], 0 offset:192
	v_and_b32_e32 v2, 1, v8
	v_cmp_eq_u32_e64 s[12:13], 1, v2
	s_and_saveexec_b64 s[14:15], s[10:11]
	s_cbranch_execz .LBB2069_147
; %bb.146:
	buffer_load_dword v2, off, s[0:3], 0 offset:108
	buffer_load_dword v3, off, s[0:3], 0 offset:104
	;; [unrolled: 1-line block ×4, first 2 shown]
	v_and_b32_e32 v8, 1, v6
	v_cmp_eq_u32_e64 s[4:5], 1, v8
	s_andn2_b64 s[12:13], s[12:13], exec
	s_and_b64 s[4:5], s[4:5], exec
	s_or_b64 s[12:13], s[12:13], s[4:5]
	buffer_store_byte v6, off, s[0:3], 0 offset:192
	s_waitcnt vmcnt(4)
	buffer_store_dword v2, off, s[0:3], 0 offset:188
	s_waitcnt vmcnt(4)
	buffer_store_dword v3, off, s[0:3], 0 offset:184
	;; [unrolled: 2-line block ×4, first 2 shown]
.LBB2069_147:
	s_or_b64 exec, exec, s[14:15]
	s_and_saveexec_b64 s[14:15], vcc
	s_cbranch_execz .LBB2069_288
; %bb.148:
	v_mov_b32_e32 v6, 0
	ds_read2_b32 v[2:3], v6 offset0:15 offset1:16
	ds_read2_b32 v[4:5], v6 offset0:17 offset1:18
	ds_read_b32 v8, v6 offset:76
	s_waitcnt lgkmcnt(2)
	buffer_store_dword v3, off, s[0:3], 0 offset:80
	buffer_store_dword v2, off, s[0:3], 0 offset:76
	s_waitcnt lgkmcnt(1)
	buffer_store_dword v5, off, s[0:3], 0 offset:88
	buffer_store_dword v4, off, s[0:3], 0 offset:84
	s_waitcnt lgkmcnt(0)
	buffer_store_dword v8, off, s[0:3], 0 offset:92
	s_and_saveexec_b64 s[4:5], s[10:11]
	s_cbranch_execz .LBB2069_150
; %bb.149:
	s_add_i32 s18, s33, 64
	s_mul_i32 s16, s18, 20
	s_mul_hi_u32 s17, s18, 20
	s_add_u32 s16, s24, s16
	s_addc_u32 s17, s25, s17
	global_store_dwordx4 v6, v[2:5], s[16:17]
	global_store_byte v6, v8, s[16:17] offset:16
	v_mov_b32_e32 v2, s18
	v_mov_b32_e32 v3, 1
	s_waitcnt vmcnt(0)
	buffer_wbinvl1_vol
	global_store_byte v2, v3, s[28:29]
.LBB2069_150:
	s_or_b64 exec, exec, s[4:5]
	s_mov_b32 s4, 0
	v_mov_b32_e32 v2, 56
	buffer_store_dword v6, off, s[0:3], 0 offset:68
	buffer_store_dword v6, off, s[0:3], 0 offset:64
	;; [unrolled: 1-line block ×5, first 2 shown]
.LBB2069_151:                           ; =>This Inner Loop Header: Depth=1
	v_add_u32_e32 v3, s4, v2
	s_add_i32 s4, s4, 8
	s_cmp_lg_u32 s4, 16
	buffer_store_dword v6, v3, s[0:3], 0 offen offset:4
	buffer_store_dword v6, v3, s[0:3], 0 offen
	s_cbranch_scc1 .LBB2069_151
; %bb.152:
	s_mov_b32 s4, 0
	v_mov_b32_e32 v2, 0
	v_mov_b32_e32 v3, 16
	buffer_store_byte v2, off, s[0:3], 0 offset:72
	buffer_store_dword v2, off, s[0:3], 0 offset:28
	buffer_store_dword v2, off, s[0:3], 0 offset:24
	;; [unrolled: 1-line block ×5, first 2 shown]
.LBB2069_153:                           ; =>This Inner Loop Header: Depth=1
	v_add_u32_e32 v4, s4, v3
	s_add_i32 s4, s4, 8
	s_cmp_lg_u32 s4, 16
	buffer_store_dword v2, v4, s[0:3], 0 offen offset:4
	buffer_store_dword v2, v4, s[0:3], 0 offen
	s_cbranch_scc1 .LBB2069_153
; %bb.154:
	v_xad_u32 v6, v1, -1, s33
	v_mov_b32_e32 v2, 0
	buffer_store_byte v2, off, s[0:3], 0 offset:32
	v_add_u32_e32 v2, 64, v6
	global_load_ubyte v14, v2, s[28:29] glc
	s_waitcnt vmcnt(0)
	v_cmp_eq_u16_e32 vcc, 0, v14
	s_and_saveexec_b64 s[4:5], vcc
	s_cbranch_execz .LBB2069_158
; %bb.155:
	v_mov_b32_e32 v3, s29
	v_add_co_u32_e32 v4, vcc, s28, v2
	v_addc_co_u32_e32 v5, vcc, 0, v3, vcc
	s_mov_b64 s[16:17], 0
.LBB2069_156:                           ; =>This Inner Loop Header: Depth=1
	global_load_ubyte v14, v[4:5], off glc
	s_waitcnt vmcnt(0)
	v_cmp_ne_u16_e32 vcc, 0, v14
	s_or_b64 s[16:17], vcc, s[16:17]
	s_andn2_b64 exec, exec, s[16:17]
	s_cbranch_execnz .LBB2069_156
; %bb.157:
	s_or_b64 exec, exec, s[16:17]
.LBB2069_158:
	s_or_b64 exec, exec, s[4:5]
	v_mov_b32_e32 v3, s27
	v_mov_b32_e32 v4, s25
	v_cmp_eq_u16_e32 vcc, 1, v14
	v_cndmask_b32_e32 v5, v3, v4, vcc
	v_mov_b32_e32 v3, s26
	v_mov_b32_e32 v4, s24
	v_cndmask_b32_e32 v4, v3, v4, vcc
	v_mad_u64_u32 v[8:9], s[4:5], v2, 20, v[4:5]
	buffer_wbinvl1_vol
	global_load_dwordx4 v[2:5], v[8:9], off
	global_load_ubyte v15, v[8:9], off offset:16
                                        ; kill: killed $vgpr8_vgpr9
	v_mov_b32_e32 v8, 0
	s_mov_b32 s4, 0
	v_mov_b32_e32 v9, 0x60
	buffer_store_dword v8, off, s[0:3], 0 offset:112
	s_waitcnt vmcnt(2)
	buffer_store_dword v5, off, s[0:3], 0 offset:28
	buffer_store_dword v4, off, s[0:3], 0 offset:24
	;; [unrolled: 1-line block ×4, first 2 shown]
	s_waitcnt vmcnt(5)
	buffer_store_byte v15, off, s[0:3], 0 offset:32
	buffer_store_dword v3, off, s[0:3], 0 offset:60
	buffer_store_dword v2, off, s[0:3], 0 offset:56
	;; [unrolled: 1-line block ×4, first 2 shown]
	buffer_store_byte v15, off, s[0:3], 0 offset:72
.LBB2069_159:                           ; =>This Inner Loop Header: Depth=1
	v_add_u32_e32 v15, s4, v9
	s_add_i32 s4, s4, 8
	s_cmp_lg_u32 s4, 16
	buffer_store_dword v8, v15, s[0:3], 0 offen offset:4
	buffer_store_dword v8, v15, s[0:3], 0 offen
	s_cbranch_scc1 .LBB2069_159
; %bb.160:
	buffer_load_dword v26, off, s[0:3], 0 offset:72
	v_lshlrev_b64 v[8:9], v1, -1
	v_cmp_eq_u16_e32 vcc, 2, v14
	v_and_b32_e32 v15, 63, v1
	v_and_b32_e32 v16, vcc_hi, v9
	v_and_b32_e32 v17, vcc_lo, v8
	v_cmp_ne_u32_e32 vcc, 63, v15
	v_addc_co_u32_e32 v18, vcc, 0, v1, vcc
	v_or_b32_e32 v19, 0x80000000, v16
	v_lshlrev_b32_e32 v16, 2, v18
	v_ffbl_b32_e32 v18, v19
	v_ffbl_b32_e32 v17, v17
	v_add_u32_e32 v18, 32, v18
	ds_bpermute_b32 v19, v16, v2
	v_min_u32_e32 v27, v17, v18
	ds_bpermute_b32 v20, v16, v3
	ds_bpermute_b32 v21, v16, v4
	;; [unrolled: 1-line block ×3, first 2 shown]
	v_cmp_lt_u32_e32 vcc, v15, v27
	s_waitcnt lgkmcnt(3)
	buffer_store_dword v19, off, s[0:3], 0 offset:96
	s_waitcnt lgkmcnt(2)
	buffer_store_dword v20, off, s[0:3], 0 offset:100
	;; [unrolled: 2-line block ×4, first 2 shown]
	s_waitcnt vmcnt(4)
	ds_bpermute_b32 v17, v16, v26
	s_and_saveexec_b64 s[4:5], vcc
	s_cbranch_execz .LBB2069_168
; %bb.161:
	v_mov_b32_e32 v18, 0
	v_cmp_eq_u16_sdwa s[18:19], v26, v18 src0_sel:BYTE_0 src1_sel:DWORD
	s_and_saveexec_b64 s[16:17], s[18:19]
	s_cbranch_execz .LBB2069_167
; %bb.162:
	s_mov_b32 s18, 0
	v_mov_b32_e32 v2, 36
.LBB2069_163:                           ; =>This Inner Loop Header: Depth=1
	v_add_u32_e32 v3, s18, v2
	s_add_i32 s18, s18, 8
	s_cmp_lg_u32 s18, 16
	buffer_store_dword v18, v3, s[0:3], 0 offen offset:4
	buffer_store_dword v18, v3, s[0:3], 0 offen
	s_cbranch_scc1 .LBB2069_163
; %bb.164:
	s_mov_b32 s18, 0
	v_mov_b32_e32 v2, 0x60
	v_mov_b32_e32 v3, 56
	;; [unrolled: 1-line block ×3, first 2 shown]
.LBB2069_165:                           ; =>This Inner Loop Header: Depth=1
	v_add_u32_e32 v5, s18, v2
	v_add_u32_e32 v18, s18, v3
	buffer_load_dword v19, v5, s[0:3], 0 offen offset:4
	buffer_load_dword v20, v18, s[0:3], 0 offen
	buffer_load_dword v21, v5, s[0:3], 0 offen
	buffer_load_dword v22, v18, s[0:3], 0 offen offset:4
                                        ; kill: killed $vgpr5
	v_add_u32_e32 v5, s18, v4
	s_add_i32 s18, s18, 8
	s_cmp_lg_u32 s18, 16
                                        ; kill: killed $vgpr18
	s_waitcnt vmcnt(1)
	v_add_u32_e32 v18, v20, v21
	s_waitcnt vmcnt(0)
	v_add_u32_e32 v19, v22, v19
	buffer_store_dword v19, v5, s[0:3], 0 offen offset:4
	buffer_store_dword v18, v5, s[0:3], 0 offen
	s_cbranch_scc1 .LBB2069_165
; %bb.166:
	buffer_load_dword v2, off, s[0:3], 0 offset:36
	buffer_load_dword v3, off, s[0:3], 0 offset:40
	;; [unrolled: 1-line block ×4, first 2 shown]
.LBB2069_167:
	s_or_b64 exec, exec, s[16:17]
	s_waitcnt lgkmcnt(0)
	v_or_b32_e32 v17, v17, v26
	v_and_b32_e32 v17, 1, v17
	buffer_store_byte v17, off, s[0:3], 0 offset:72
	buffer_load_dword v26, off, s[0:3], 0 offset:72
	s_waitcnt vmcnt(4)
	buffer_store_dword v3, off, s[0:3], 0 offset:60
	buffer_store_dword v2, off, s[0:3], 0 offset:56
	s_waitcnt vmcnt(4)
	buffer_store_dword v5, off, s[0:3], 0 offset:68
	buffer_store_dword v4, off, s[0:3], 0 offset:64
.LBB2069_168:
	s_or_b64 exec, exec, s[4:5]
	v_cmp_gt_u32_e32 vcc, 62, v15
	v_cndmask_b32_e64 v18, 0, 1, vcc
	v_lshlrev_b32_e32 v18, 1, v18
	v_add_lshl_u32 v18, v18, v1, 2
	ds_bpermute_b32 v20, v18, v2
	s_waitcnt vmcnt(4)
	ds_bpermute_b32 v19, v18, v26
	ds_bpermute_b32 v21, v18, v3
	;; [unrolled: 1-line block ×3, first 2 shown]
	s_waitcnt lgkmcnt(4)
	v_add_u32_e32 v17, 2, v15
	ds_bpermute_b32 v23, v18, v5
	v_cmp_le_u32_e32 vcc, v17, v27
	s_waitcnt lgkmcnt(4)
	buffer_store_dword v20, off, s[0:3], 0 offset:96
	s_waitcnt lgkmcnt(2)
	buffer_store_dword v21, off, s[0:3], 0 offset:100
	;; [unrolled: 2-line block ×4, first 2 shown]
	s_and_saveexec_b64 s[16:17], vcc
	s_cbranch_execz .LBB2069_176
; %bb.169:
	v_mov_b32_e32 v20, 0
	s_mov_b32 s18, 0
	v_cmp_eq_u16_sdwa s[36:37], v26, v20 src0_sel:BYTE_0 src1_sel:DWORD
	s_and_saveexec_b64 s[4:5], s[36:37]
	s_cbranch_execz .LBB2069_175
; %bb.170:
	v_mov_b32_e32 v2, 36
.LBB2069_171:                           ; =>This Inner Loop Header: Depth=1
	v_add_u32_e32 v3, s18, v2
	s_add_i32 s18, s18, 8
	s_cmp_lg_u32 s18, 16
	buffer_store_dword v20, v3, s[0:3], 0 offen offset:4
	buffer_store_dword v20, v3, s[0:3], 0 offen
	s_cbranch_scc1 .LBB2069_171
; %bb.172:
	s_mov_b32 s18, 0
	v_mov_b32_e32 v2, 0x60
	v_mov_b32_e32 v3, 56
	;; [unrolled: 1-line block ×3, first 2 shown]
.LBB2069_173:                           ; =>This Inner Loop Header: Depth=1
	v_add_u32_e32 v5, s18, v2
	v_add_u32_e32 v20, s18, v3
	buffer_load_dword v21, v5, s[0:3], 0 offen offset:4
	buffer_load_dword v22, v20, s[0:3], 0 offen
	buffer_load_dword v23, v5, s[0:3], 0 offen
	buffer_load_dword v24, v20, s[0:3], 0 offen offset:4
                                        ; kill: killed $vgpr5
	v_add_u32_e32 v5, s18, v4
	s_add_i32 s18, s18, 8
	s_cmp_lg_u32 s18, 16
                                        ; kill: killed $vgpr20
	s_waitcnt vmcnt(1)
	v_add_u32_e32 v20, v22, v23
	s_waitcnt vmcnt(0)
	v_add_u32_e32 v21, v24, v21
	buffer_store_dword v21, v5, s[0:3], 0 offen offset:4
	buffer_store_dword v20, v5, s[0:3], 0 offen
	s_cbranch_scc1 .LBB2069_173
; %bb.174:
	buffer_load_dword v2, off, s[0:3], 0 offset:36
	buffer_load_dword v3, off, s[0:3], 0 offset:40
	;; [unrolled: 1-line block ×4, first 2 shown]
.LBB2069_175:
	s_or_b64 exec, exec, s[4:5]
	v_and_b32_e32 v20, 1, v26
	v_and_b32_e32 v19, 1, v19
	v_cmp_eq_u32_e32 vcc, 1, v20
	v_cmp_eq_u32_e64 s[4:5], 1, v19
	s_or_b64 s[4:5], vcc, s[4:5]
	v_cndmask_b32_e64 v19, 0, 1, s[4:5]
	buffer_store_byte v19, off, s[0:3], 0 offset:72
	buffer_load_dword v26, off, s[0:3], 0 offset:72
	s_waitcnt vmcnt(4)
	buffer_store_dword v3, off, s[0:3], 0 offset:60
	buffer_store_dword v2, off, s[0:3], 0 offset:56
	s_waitcnt vmcnt(4)
	buffer_store_dword v5, off, s[0:3], 0 offset:68
	buffer_store_dword v4, off, s[0:3], 0 offset:64
.LBB2069_176:
	s_or_b64 exec, exec, s[16:17]
	v_cmp_gt_u32_e32 vcc, 60, v15
	v_cndmask_b32_e64 v20, 0, 1, vcc
	v_lshlrev_b32_e32 v20, 2, v20
	v_add_lshl_u32 v20, v20, v1, 2
	ds_bpermute_b32 v22, v20, v2
	s_waitcnt vmcnt(4)
	ds_bpermute_b32 v21, v20, v26
	ds_bpermute_b32 v23, v20, v3
	;; [unrolled: 1-line block ×3, first 2 shown]
	v_add_u32_e32 v19, 4, v15
	ds_bpermute_b32 v25, v20, v5
	v_cmp_le_u32_e32 vcc, v19, v27
	s_waitcnt lgkmcnt(4)
	buffer_store_dword v22, off, s[0:3], 0 offset:96
	s_waitcnt lgkmcnt(2)
	buffer_store_dword v23, off, s[0:3], 0 offset:100
	;; [unrolled: 2-line block ×4, first 2 shown]
	s_and_saveexec_b64 s[16:17], vcc
	s_cbranch_execz .LBB2069_184
; %bb.177:
	v_mov_b32_e32 v22, 0
	s_mov_b32 s18, 0
	v_cmp_eq_u16_sdwa s[36:37], v26, v22 src0_sel:BYTE_0 src1_sel:DWORD
	s_and_saveexec_b64 s[4:5], s[36:37]
	s_cbranch_execz .LBB2069_183
; %bb.178:
	v_mov_b32_e32 v2, 36
.LBB2069_179:                           ; =>This Inner Loop Header: Depth=1
	v_add_u32_e32 v3, s18, v2
	s_add_i32 s18, s18, 8
	s_cmp_lg_u32 s18, 16
	buffer_store_dword v22, v3, s[0:3], 0 offen offset:4
	buffer_store_dword v22, v3, s[0:3], 0 offen
	s_cbranch_scc1 .LBB2069_179
; %bb.180:
	s_mov_b32 s18, 0
	v_mov_b32_e32 v2, 0x60
	v_mov_b32_e32 v3, 56
	;; [unrolled: 1-line block ×3, first 2 shown]
.LBB2069_181:                           ; =>This Inner Loop Header: Depth=1
	v_add_u32_e32 v5, s18, v2
	v_add_u32_e32 v22, s18, v3
	buffer_load_dword v23, v5, s[0:3], 0 offen offset:4
	buffer_load_dword v24, v22, s[0:3], 0 offen
	buffer_load_dword v25, v5, s[0:3], 0 offen
	buffer_load_dword v28, v22, s[0:3], 0 offen offset:4
                                        ; kill: killed $vgpr5
	v_add_u32_e32 v5, s18, v4
	s_add_i32 s18, s18, 8
	s_cmp_lg_u32 s18, 16
                                        ; kill: killed $vgpr22
	s_waitcnt vmcnt(1)
	v_add_u32_e32 v22, v24, v25
	s_waitcnt vmcnt(0)
	v_add_u32_e32 v23, v28, v23
	buffer_store_dword v23, v5, s[0:3], 0 offen offset:4
	buffer_store_dword v22, v5, s[0:3], 0 offen
	s_cbranch_scc1 .LBB2069_181
; %bb.182:
	buffer_load_dword v2, off, s[0:3], 0 offset:36
	buffer_load_dword v3, off, s[0:3], 0 offset:40
	;; [unrolled: 1-line block ×4, first 2 shown]
.LBB2069_183:
	s_or_b64 exec, exec, s[4:5]
	v_and_b32_e32 v22, 1, v26
	v_and_b32_e32 v21, 1, v21
	v_cmp_eq_u32_e32 vcc, 1, v22
	v_cmp_eq_u32_e64 s[4:5], 1, v21
	s_or_b64 s[4:5], vcc, s[4:5]
	v_cndmask_b32_e64 v21, 0, 1, s[4:5]
	buffer_store_byte v21, off, s[0:3], 0 offset:72
	buffer_load_dword v26, off, s[0:3], 0 offset:72
	s_waitcnt vmcnt(4)
	buffer_store_dword v3, off, s[0:3], 0 offset:60
	buffer_store_dword v2, off, s[0:3], 0 offset:56
	s_waitcnt vmcnt(4)
	buffer_store_dword v5, off, s[0:3], 0 offset:68
	buffer_store_dword v4, off, s[0:3], 0 offset:64
.LBB2069_184:
	s_or_b64 exec, exec, s[16:17]
	v_cmp_gt_u32_e32 vcc, 56, v15
	v_cndmask_b32_e64 v22, 0, 1, vcc
	v_lshlrev_b32_e32 v22, 3, v22
	v_add_lshl_u32 v22, v22, v1, 2
	ds_bpermute_b32 v24, v22, v2
	s_waitcnt vmcnt(4)
	ds_bpermute_b32 v23, v22, v26
	ds_bpermute_b32 v25, v22, v3
	;; [unrolled: 1-line block ×3, first 2 shown]
	v_add_u32_e32 v21, 8, v15
	ds_bpermute_b32 v29, v22, v5
	v_cmp_le_u32_e32 vcc, v21, v27
	s_waitcnt lgkmcnt(4)
	buffer_store_dword v24, off, s[0:3], 0 offset:96
	s_waitcnt lgkmcnt(2)
	buffer_store_dword v25, off, s[0:3], 0 offset:100
	s_waitcnt lgkmcnt(1)
	buffer_store_dword v28, off, s[0:3], 0 offset:104
	s_waitcnt lgkmcnt(0)
	buffer_store_dword v29, off, s[0:3], 0 offset:108
	s_and_saveexec_b64 s[16:17], vcc
	s_cbranch_execz .LBB2069_192
; %bb.185:
	v_mov_b32_e32 v24, 0
	s_mov_b32 s18, 0
	v_cmp_eq_u16_sdwa s[36:37], v26, v24 src0_sel:BYTE_0 src1_sel:DWORD
	s_and_saveexec_b64 s[4:5], s[36:37]
	s_cbranch_execz .LBB2069_191
; %bb.186:
	v_mov_b32_e32 v2, 36
.LBB2069_187:                           ; =>This Inner Loop Header: Depth=1
	v_add_u32_e32 v3, s18, v2
	s_add_i32 s18, s18, 8
	s_cmp_lg_u32 s18, 16
	buffer_store_dword v24, v3, s[0:3], 0 offen offset:4
	buffer_store_dword v24, v3, s[0:3], 0 offen
	s_cbranch_scc1 .LBB2069_187
; %bb.188:
	s_mov_b32 s18, 0
	v_mov_b32_e32 v2, 0x60
	v_mov_b32_e32 v3, 56
	;; [unrolled: 1-line block ×3, first 2 shown]
.LBB2069_189:                           ; =>This Inner Loop Header: Depth=1
	v_add_u32_e32 v5, s18, v2
	v_add_u32_e32 v24, s18, v3
	buffer_load_dword v25, v5, s[0:3], 0 offen offset:4
	buffer_load_dword v28, v24, s[0:3], 0 offen
	buffer_load_dword v29, v5, s[0:3], 0 offen
	buffer_load_dword v30, v24, s[0:3], 0 offen offset:4
                                        ; kill: killed $vgpr5
	v_add_u32_e32 v5, s18, v4
	s_add_i32 s18, s18, 8
	s_cmp_lg_u32 s18, 16
                                        ; kill: killed $vgpr24
	s_waitcnt vmcnt(1)
	v_add_u32_e32 v24, v28, v29
	s_waitcnt vmcnt(0)
	v_add_u32_e32 v25, v30, v25
	buffer_store_dword v25, v5, s[0:3], 0 offen offset:4
	buffer_store_dword v24, v5, s[0:3], 0 offen
	s_cbranch_scc1 .LBB2069_189
; %bb.190:
	buffer_load_dword v2, off, s[0:3], 0 offset:36
	buffer_load_dword v3, off, s[0:3], 0 offset:40
	;; [unrolled: 1-line block ×4, first 2 shown]
.LBB2069_191:
	s_or_b64 exec, exec, s[4:5]
	v_and_b32_e32 v24, 1, v26
	v_and_b32_e32 v23, 1, v23
	v_cmp_eq_u32_e32 vcc, 1, v24
	v_cmp_eq_u32_e64 s[4:5], 1, v23
	s_or_b64 s[4:5], vcc, s[4:5]
	v_cndmask_b32_e64 v23, 0, 1, s[4:5]
	buffer_store_byte v23, off, s[0:3], 0 offset:72
	buffer_load_dword v26, off, s[0:3], 0 offset:72
	s_waitcnt vmcnt(4)
	buffer_store_dword v3, off, s[0:3], 0 offset:60
	buffer_store_dword v2, off, s[0:3], 0 offset:56
	s_waitcnt vmcnt(4)
	buffer_store_dword v5, off, s[0:3], 0 offset:68
	buffer_store_dword v4, off, s[0:3], 0 offset:64
.LBB2069_192:
	s_or_b64 exec, exec, s[16:17]
	v_cmp_gt_u32_e32 vcc, 48, v15
	v_cndmask_b32_e64 v24, 0, 1, vcc
	v_lshlrev_b32_e32 v24, 4, v24
	v_add_lshl_u32 v24, v24, v1, 2
	ds_bpermute_b32 v28, v24, v2
	s_waitcnt vmcnt(4)
	ds_bpermute_b32 v25, v24, v26
	ds_bpermute_b32 v29, v24, v3
	;; [unrolled: 1-line block ×3, first 2 shown]
	v_add_u32_e32 v23, 16, v15
	ds_bpermute_b32 v31, v24, v5
	v_cmp_le_u32_e32 vcc, v23, v27
	s_waitcnt lgkmcnt(4)
	buffer_store_dword v28, off, s[0:3], 0 offset:96
	s_waitcnt lgkmcnt(2)
	buffer_store_dword v29, off, s[0:3], 0 offset:100
	;; [unrolled: 2-line block ×4, first 2 shown]
	s_and_saveexec_b64 s[16:17], vcc
	s_cbranch_execz .LBB2069_200
; %bb.193:
	v_mov_b32_e32 v28, 0
	s_mov_b32 s18, 0
	v_cmp_eq_u16_sdwa s[36:37], v26, v28 src0_sel:BYTE_0 src1_sel:DWORD
	s_and_saveexec_b64 s[4:5], s[36:37]
	s_cbranch_execz .LBB2069_199
; %bb.194:
	v_mov_b32_e32 v2, 36
.LBB2069_195:                           ; =>This Inner Loop Header: Depth=1
	v_add_u32_e32 v3, s18, v2
	s_add_i32 s18, s18, 8
	s_cmp_lg_u32 s18, 16
	buffer_store_dword v28, v3, s[0:3], 0 offen offset:4
	buffer_store_dword v28, v3, s[0:3], 0 offen
	s_cbranch_scc1 .LBB2069_195
; %bb.196:
	s_mov_b32 s18, 0
	v_mov_b32_e32 v2, 0x60
	v_mov_b32_e32 v3, 56
	;; [unrolled: 1-line block ×3, first 2 shown]
.LBB2069_197:                           ; =>This Inner Loop Header: Depth=1
	v_add_u32_e32 v5, s18, v2
	v_add_u32_e32 v28, s18, v3
	buffer_load_dword v29, v5, s[0:3], 0 offen offset:4
	buffer_load_dword v30, v28, s[0:3], 0 offen
	buffer_load_dword v31, v5, s[0:3], 0 offen
	buffer_load_dword v32, v28, s[0:3], 0 offen offset:4
                                        ; kill: killed $vgpr5
	v_add_u32_e32 v5, s18, v4
	s_add_i32 s18, s18, 8
	s_cmp_lg_u32 s18, 16
                                        ; kill: killed $vgpr28
	s_waitcnt vmcnt(1)
	v_add_u32_e32 v28, v30, v31
	s_waitcnt vmcnt(0)
	v_add_u32_e32 v29, v32, v29
	buffer_store_dword v29, v5, s[0:3], 0 offen offset:4
	buffer_store_dword v28, v5, s[0:3], 0 offen
	s_cbranch_scc1 .LBB2069_197
; %bb.198:
	buffer_load_dword v2, off, s[0:3], 0 offset:36
	buffer_load_dword v3, off, s[0:3], 0 offset:40
	;; [unrolled: 1-line block ×4, first 2 shown]
.LBB2069_199:
	s_or_b64 exec, exec, s[4:5]
	v_and_b32_e32 v26, 1, v26
	v_and_b32_e32 v25, 1, v25
	v_cmp_eq_u32_e32 vcc, 1, v26
	v_cmp_eq_u32_e64 s[4:5], 1, v25
	s_or_b64 s[4:5], vcc, s[4:5]
	v_cndmask_b32_e64 v25, 0, 1, s[4:5]
	buffer_store_byte v25, off, s[0:3], 0 offset:72
	buffer_load_dword v26, off, s[0:3], 0 offset:72
	s_waitcnt vmcnt(4)
	buffer_store_dword v3, off, s[0:3], 0 offset:60
	buffer_store_dword v2, off, s[0:3], 0 offset:56
	s_waitcnt vmcnt(4)
	buffer_store_dword v5, off, s[0:3], 0 offset:68
	buffer_store_dword v4, off, s[0:3], 0 offset:64
.LBB2069_200:
	s_or_b64 exec, exec, s[16:17]
	v_cmp_gt_u32_e32 vcc, 32, v15
	v_cndmask_b32_e64 v28, 0, 1, vcc
	v_lshlrev_b32_e32 v28, 5, v28
	v_add_lshl_u32 v1, v28, v1, 2
	ds_bpermute_b32 v29, v1, v2
	s_waitcnt vmcnt(4)
	ds_bpermute_b32 v28, v1, v26
	ds_bpermute_b32 v30, v1, v3
	;; [unrolled: 1-line block ×3, first 2 shown]
	v_add_u32_e32 v25, 32, v15
	ds_bpermute_b32 v32, v1, v5
	v_cmp_le_u32_e32 vcc, v25, v27
	s_waitcnt lgkmcnt(4)
	buffer_store_dword v29, off, s[0:3], 0 offset:96
	s_waitcnt lgkmcnt(2)
	buffer_store_dword v30, off, s[0:3], 0 offset:100
	;; [unrolled: 2-line block ×4, first 2 shown]
	s_and_saveexec_b64 s[16:17], vcc
	s_cbranch_execz .LBB2069_208
; %bb.201:
	v_mov_b32_e32 v27, 0
	s_mov_b32 s18, 0
	v_cmp_eq_u16_sdwa s[36:37], v26, v27 src0_sel:BYTE_0 src1_sel:DWORD
	s_and_saveexec_b64 s[4:5], s[36:37]
	s_cbranch_execz .LBB2069_207
; %bb.202:
	v_mov_b32_e32 v2, 36
.LBB2069_203:                           ; =>This Inner Loop Header: Depth=1
	v_add_u32_e32 v3, s18, v2
	s_add_i32 s18, s18, 8
	s_cmp_lg_u32 s18, 16
	buffer_store_dword v27, v3, s[0:3], 0 offen offset:4
	buffer_store_dword v27, v3, s[0:3], 0 offen
	s_cbranch_scc1 .LBB2069_203
; %bb.204:
	s_mov_b32 s18, 0
	v_mov_b32_e32 v2, 0x60
	v_mov_b32_e32 v3, 56
	;; [unrolled: 1-line block ×3, first 2 shown]
.LBB2069_205:                           ; =>This Inner Loop Header: Depth=1
	v_add_u32_e32 v5, s18, v2
	v_add_u32_e32 v27, s18, v3
	buffer_load_dword v29, v5, s[0:3], 0 offen offset:4
	buffer_load_dword v30, v27, s[0:3], 0 offen
	buffer_load_dword v31, v5, s[0:3], 0 offen
	buffer_load_dword v32, v27, s[0:3], 0 offen offset:4
                                        ; kill: killed $vgpr5
	v_add_u32_e32 v5, s18, v4
	s_add_i32 s18, s18, 8
	s_cmp_lg_u32 s18, 16
                                        ; kill: killed $vgpr27
	s_waitcnt vmcnt(1)
	v_add_u32_e32 v27, v30, v31
	s_waitcnt vmcnt(0)
	v_add_u32_e32 v29, v32, v29
	buffer_store_dword v29, v5, s[0:3], 0 offen offset:4
	buffer_store_dword v27, v5, s[0:3], 0 offen
	s_cbranch_scc1 .LBB2069_205
; %bb.206:
	buffer_load_dword v2, off, s[0:3], 0 offset:36
	buffer_load_dword v3, off, s[0:3], 0 offset:40
	;; [unrolled: 1-line block ×4, first 2 shown]
.LBB2069_207:
	s_or_b64 exec, exec, s[4:5]
	v_and_b32_e32 v26, 1, v26
	v_cmp_eq_u32_e32 vcc, 1, v26
	v_and_b32_e32 v26, 1, v28
	v_cmp_eq_u32_e64 s[4:5], 1, v26
	s_or_b64 s[4:5], vcc, s[4:5]
	v_cndmask_b32_e64 v26, 0, 1, s[4:5]
	s_waitcnt vmcnt(2)
	buffer_store_dword v3, off, s[0:3], 0 offset:60
	buffer_store_dword v2, off, s[0:3], 0 offset:56
	s_waitcnt vmcnt(2)
	buffer_store_dword v5, off, s[0:3], 0 offset:68
	buffer_store_dword v4, off, s[0:3], 0 offset:64
	buffer_store_byte v26, off, s[0:3], 0 offset:72
.LBB2069_208:
	s_or_b64 exec, exec, s[16:17]
	buffer_load_dword v2, off, s[0:3], 0 offset:68
	buffer_load_dword v3, off, s[0:3], 0 offset:64
	;; [unrolled: 1-line block ×5, first 2 shown]
	v_mov_b32_e32 v26, 0
	v_mov_b32_e32 v27, 16
	;; [unrolled: 1-line block ×6, first 2 shown]
	s_waitcnt vmcnt(4)
	buffer_store_dword v2, off, s[0:3], 0 offset:48
	s_waitcnt vmcnt(4)
	buffer_store_dword v3, off, s[0:3], 0 offset:44
	;; [unrolled: 2-line block ×5, first 2 shown]
	v_mov_b32_e32 v32, 2
	s_branch .LBB2069_210
.LBB2069_209:                           ;   in Loop: Header=BB2069_210 Depth=1
                                        ; implicit-def: $vgpr6
                                        ; implicit-def: $vgpr14
	s_cbranch_execnz .LBB2069_276
.LBB2069_210:                           ; =>This Loop Header: Depth=1
                                        ;     Child Loop BB2069_212 Depth 2
                                        ;     Child Loop BB2069_215 Depth 2
	;; [unrolled: 1-line block ×17, first 2 shown]
	v_cmp_ne_u16_sdwa s[4:5], v14, v32 src0_sel:BYTE_0 src1_sel:DWORD
	v_cndmask_b32_e64 v2, 0, 1, s[4:5]
	;;#ASMSTART
	;;#ASMEND
	v_cmp_ne_u32_e32 vcc, 0, v2
	s_cmp_lg_u64 vcc, exec
	s_cbranch_scc1 .LBB2069_209
; %bb.211:                              ;   in Loop: Header=BB2069_210 Depth=1
	s_mov_b32 s4, 0
	buffer_store_dword v26, off, s[0:3], 0 offset:28
	buffer_store_dword v26, off, s[0:3], 0 offset:24
	;; [unrolled: 1-line block ×5, first 2 shown]
.LBB2069_212:                           ;   Parent Loop BB2069_210 Depth=1
                                        ; =>  This Inner Loop Header: Depth=2
	v_add_u32_e32 v2, s4, v27
	s_add_i32 s4, s4, 8
	s_cmp_lg_u32 s4, 16
	buffer_store_dword v26, v2, s[0:3], 0 offen offset:4
	buffer_store_dword v26, v2, s[0:3], 0 offen
	s_cbranch_scc1 .LBB2069_212
; %bb.213:                              ;   in Loop: Header=BB2069_210 Depth=1
	buffer_store_byte v26, off, s[0:3], 0 offset:32
	global_load_ubyte v14, v6, s[28:29] glc
	s_waitcnt vmcnt(0)
	v_cmp_eq_u16_e32 vcc, 0, v14
	s_and_saveexec_b64 s[4:5], vcc
	s_cbranch_execz .LBB2069_217
; %bb.214:                              ;   in Loop: Header=BB2069_210 Depth=1
	v_mov_b32_e32 v3, s29
	v_add_co_u32_e32 v2, vcc, s28, v6
	v_addc_co_u32_e32 v3, vcc, 0, v3, vcc
	s_mov_b64 s[16:17], 0
.LBB2069_215:                           ;   Parent Loop BB2069_210 Depth=1
                                        ; =>  This Inner Loop Header: Depth=2
	global_load_ubyte v14, v[2:3], off glc
	s_waitcnt vmcnt(0)
	v_cmp_ne_u16_e32 vcc, 0, v14
	s_or_b64 s[16:17], vcc, s[16:17]
	s_andn2_b64 exec, exec, s[16:17]
	s_cbranch_execnz .LBB2069_215
; %bb.216:                              ;   in Loop: Header=BB2069_210 Depth=1
	s_or_b64 exec, exec, s[16:17]
.LBB2069_217:                           ;   in Loop: Header=BB2069_210 Depth=1
	s_or_b64 exec, exec, s[4:5]
	v_mov_b32_e32 v2, s27
	v_mov_b32_e32 v3, s25
	v_cmp_eq_u16_e32 vcc, 1, v14
	v_cndmask_b32_e32 v3, v2, v3, vcc
	v_mov_b32_e32 v2, s26
	v_mov_b32_e32 v4, s24
	v_cndmask_b32_e32 v2, v2, v4, vcc
	v_mad_u64_u32 v[34:35], s[4:5], v6, 20, v[2:3]
	buffer_wbinvl1_vol
	global_load_dwordx4 v[2:5], v[34:35], off
	global_load_ubyte v33, v[34:35], off offset:16
	s_mov_b32 s4, 0
	buffer_store_dword v26, off, s[0:3], 0 offset:112
	s_waitcnt vmcnt(2)
	buffer_store_dword v5, off, s[0:3], 0 offset:28
	buffer_store_dword v4, off, s[0:3], 0 offset:24
	;; [unrolled: 1-line block ×4, first 2 shown]
	s_waitcnt vmcnt(5)
	buffer_store_byte v33, off, s[0:3], 0 offset:32
	buffer_store_dword v3, off, s[0:3], 0 offset:60
	buffer_store_dword v2, off, s[0:3], 0 offset:56
	;; [unrolled: 1-line block ×4, first 2 shown]
	buffer_store_byte v33, off, s[0:3], 0 offset:72
.LBB2069_218:                           ;   Parent Loop BB2069_210 Depth=1
                                        ; =>  This Inner Loop Header: Depth=2
	v_add_u32_e32 v33, s4, v28
	s_add_i32 s4, s4, 8
	s_cmp_lg_u32 s4, 16
	buffer_store_dword v26, v33, s[0:3], 0 offen offset:4
	buffer_store_dword v26, v33, s[0:3], 0 offen
	s_cbranch_scc1 .LBB2069_218
; %bb.219:                              ;   in Loop: Header=BB2069_210 Depth=1
	buffer_load_dword v34, off, s[0:3], 0 offset:72
	v_cmp_eq_u16_e32 vcc, 2, v14
	v_and_b32_e32 v33, vcc_hi, v9
	v_or_b32_e32 v33, 0x80000000, v33
	v_and_b32_e32 v35, vcc_lo, v8
	v_ffbl_b32_e32 v33, v33
	v_ffbl_b32_e32 v35, v35
	v_add_u32_e32 v33, 32, v33
	ds_bpermute_b32 v36, v16, v2
	v_min_u32_e32 v33, v35, v33
	ds_bpermute_b32 v37, v16, v3
	ds_bpermute_b32 v38, v16, v4
	;; [unrolled: 1-line block ×3, first 2 shown]
	v_cmp_lt_u32_e32 vcc, v15, v33
	s_waitcnt lgkmcnt(3)
	buffer_store_dword v36, off, s[0:3], 0 offset:96
	s_waitcnt lgkmcnt(2)
	buffer_store_dword v37, off, s[0:3], 0 offset:100
	;; [unrolled: 2-line block ×4, first 2 shown]
	s_waitcnt vmcnt(4)
	ds_bpermute_b32 v35, v16, v34
	s_and_saveexec_b64 s[4:5], vcc
	s_cbranch_execz .LBB2069_227
; %bb.220:                              ;   in Loop: Header=BB2069_210 Depth=1
	v_cmp_eq_u16_sdwa s[18:19], v34, v26 src0_sel:BYTE_0 src1_sel:DWORD
	s_and_saveexec_b64 s[16:17], s[18:19]
	s_cbranch_execz .LBB2069_226
; %bb.221:                              ;   in Loop: Header=BB2069_210 Depth=1
	s_mov_b32 s18, 0
.LBB2069_222:                           ;   Parent Loop BB2069_210 Depth=1
                                        ; =>  This Inner Loop Header: Depth=2
	v_add_u32_e32 v2, s18, v29
	s_add_i32 s18, s18, 8
	s_cmp_lg_u32 s18, 16
	buffer_store_dword v26, v2, s[0:3], 0 offen offset:4
	buffer_store_dword v26, v2, s[0:3], 0 offen
	s_cbranch_scc1 .LBB2069_222
; %bb.223:                              ;   in Loop: Header=BB2069_210 Depth=1
	s_mov_b32 s18, 0
.LBB2069_224:                           ;   Parent Loop BB2069_210 Depth=1
                                        ; =>  This Inner Loop Header: Depth=2
	v_add_u32_e32 v2, s18, v28
	v_add_u32_e32 v3, s18, v30
	buffer_load_dword v4, v2, s[0:3], 0 offen offset:4
	buffer_load_dword v5, v3, s[0:3], 0 offen
	buffer_load_dword v36, v2, s[0:3], 0 offen
	buffer_load_dword v37, v3, s[0:3], 0 offen offset:4
	v_add_u32_e32 v2, s18, v29
	s_add_i32 s18, s18, 8
	s_cmp_lg_u32 s18, 16
	s_waitcnt vmcnt(1)
	v_add_u32_e32 v3, v5, v36
	s_waitcnt vmcnt(0)
	v_add_u32_e32 v4, v37, v4
	buffer_store_dword v4, v2, s[0:3], 0 offen offset:4
	buffer_store_dword v3, v2, s[0:3], 0 offen
	s_cbranch_scc1 .LBB2069_224
; %bb.225:                              ;   in Loop: Header=BB2069_210 Depth=1
	buffer_load_dword v2, off, s[0:3], 0
	buffer_load_dword v3, off, s[0:3], 0 offset:4
	buffer_load_dword v4, off, s[0:3], 0 offset:8
	buffer_load_dword v5, off, s[0:3], 0 offset:12
.LBB2069_226:                           ;   in Loop: Header=BB2069_210 Depth=1
	s_or_b64 exec, exec, s[16:17]
	s_waitcnt lgkmcnt(0)
	v_or_b32_e32 v34, v35, v34
	v_and_b32_e32 v34, 1, v34
	buffer_store_byte v34, off, s[0:3], 0 offset:72
	buffer_load_dword v34, off, s[0:3], 0 offset:72
	s_waitcnt vmcnt(4)
	buffer_store_dword v3, off, s[0:3], 0 offset:60
	buffer_store_dword v2, off, s[0:3], 0 offset:56
	s_waitcnt vmcnt(4)
	buffer_store_dword v5, off, s[0:3], 0 offset:68
	buffer_store_dword v4, off, s[0:3], 0 offset:64
.LBB2069_227:                           ;   in Loop: Header=BB2069_210 Depth=1
	s_or_b64 exec, exec, s[4:5]
	ds_bpermute_b32 v36, v18, v2
	s_waitcnt vmcnt(4) lgkmcnt(1)
	ds_bpermute_b32 v35, v18, v34
	ds_bpermute_b32 v37, v18, v3
	;; [unrolled: 1-line block ×4, first 2 shown]
	v_cmp_le_u32_e32 vcc, v17, v33
	s_waitcnt lgkmcnt(4)
	buffer_store_dword v36, off, s[0:3], 0 offset:96
	s_waitcnt lgkmcnt(2)
	buffer_store_dword v37, off, s[0:3], 0 offset:100
	;; [unrolled: 2-line block ×4, first 2 shown]
	s_and_saveexec_b64 s[16:17], vcc
	s_cbranch_execz .LBB2069_235
; %bb.228:                              ;   in Loop: Header=BB2069_210 Depth=1
	v_cmp_eq_u16_sdwa s[18:19], v34, v26 src0_sel:BYTE_0 src1_sel:DWORD
	s_and_saveexec_b64 s[4:5], s[18:19]
	s_cbranch_execz .LBB2069_234
; %bb.229:                              ;   in Loop: Header=BB2069_210 Depth=1
	s_mov_b32 s18, 0
.LBB2069_230:                           ;   Parent Loop BB2069_210 Depth=1
                                        ; =>  This Inner Loop Header: Depth=2
	v_add_u32_e32 v2, s18, v29
	s_add_i32 s18, s18, 8
	s_cmp_lg_u32 s18, 16
	buffer_store_dword v26, v2, s[0:3], 0 offen offset:4
	buffer_store_dword v26, v2, s[0:3], 0 offen
	s_cbranch_scc1 .LBB2069_230
; %bb.231:                              ;   in Loop: Header=BB2069_210 Depth=1
	s_mov_b32 s18, 0
.LBB2069_232:                           ;   Parent Loop BB2069_210 Depth=1
                                        ; =>  This Inner Loop Header: Depth=2
	v_add_u32_e32 v2, s18, v28
	v_add_u32_e32 v3, s18, v30
	buffer_load_dword v4, v2, s[0:3], 0 offen offset:4
	buffer_load_dword v5, v3, s[0:3], 0 offen
	buffer_load_dword v36, v2, s[0:3], 0 offen
	buffer_load_dword v37, v3, s[0:3], 0 offen offset:4
	v_add_u32_e32 v2, s18, v29
	s_add_i32 s18, s18, 8
	s_cmp_lg_u32 s18, 16
	s_waitcnt vmcnt(1)
	v_add_u32_e32 v3, v5, v36
	s_waitcnt vmcnt(0)
	v_add_u32_e32 v4, v37, v4
	buffer_store_dword v4, v2, s[0:3], 0 offen offset:4
	buffer_store_dword v3, v2, s[0:3], 0 offen
	s_cbranch_scc1 .LBB2069_232
; %bb.233:                              ;   in Loop: Header=BB2069_210 Depth=1
	buffer_load_dword v2, off, s[0:3], 0
	buffer_load_dword v3, off, s[0:3], 0 offset:4
	buffer_load_dword v4, off, s[0:3], 0 offset:8
	buffer_load_dword v5, off, s[0:3], 0 offset:12
.LBB2069_234:                           ;   in Loop: Header=BB2069_210 Depth=1
	s_or_b64 exec, exec, s[4:5]
	v_and_b32_e32 v34, 1, v34
	v_cmp_eq_u32_e32 vcc, 1, v34
	v_and_b32_e32 v34, 1, v35
	v_cmp_eq_u32_e64 s[4:5], 1, v34
	s_or_b64 s[4:5], vcc, s[4:5]
	v_cndmask_b32_e64 v34, 0, 1, s[4:5]
	buffer_store_byte v34, off, s[0:3], 0 offset:72
	buffer_load_dword v34, off, s[0:3], 0 offset:72
	s_waitcnt vmcnt(4)
	buffer_store_dword v3, off, s[0:3], 0 offset:60
	buffer_store_dword v2, off, s[0:3], 0 offset:56
	s_waitcnt vmcnt(4)
	buffer_store_dword v5, off, s[0:3], 0 offset:68
	buffer_store_dword v4, off, s[0:3], 0 offset:64
.LBB2069_235:                           ;   in Loop: Header=BB2069_210 Depth=1
	s_or_b64 exec, exec, s[16:17]
	ds_bpermute_b32 v36, v20, v2
	s_waitcnt vmcnt(4)
	ds_bpermute_b32 v35, v20, v34
	ds_bpermute_b32 v37, v20, v3
	;; [unrolled: 1-line block ×4, first 2 shown]
	v_cmp_le_u32_e32 vcc, v19, v33
	s_waitcnt lgkmcnt(4)
	buffer_store_dword v36, off, s[0:3], 0 offset:96
	s_waitcnt lgkmcnt(2)
	buffer_store_dword v37, off, s[0:3], 0 offset:100
	;; [unrolled: 2-line block ×4, first 2 shown]
	s_and_saveexec_b64 s[16:17], vcc
	s_cbranch_execz .LBB2069_243
; %bb.236:                              ;   in Loop: Header=BB2069_210 Depth=1
	v_cmp_eq_u16_sdwa s[18:19], v34, v26 src0_sel:BYTE_0 src1_sel:DWORD
	s_and_saveexec_b64 s[4:5], s[18:19]
	s_cbranch_execz .LBB2069_242
; %bb.237:                              ;   in Loop: Header=BB2069_210 Depth=1
	s_mov_b32 s18, 0
.LBB2069_238:                           ;   Parent Loop BB2069_210 Depth=1
                                        ; =>  This Inner Loop Header: Depth=2
	v_add_u32_e32 v2, s18, v29
	s_add_i32 s18, s18, 8
	s_cmp_lg_u32 s18, 16
	buffer_store_dword v26, v2, s[0:3], 0 offen offset:4
	buffer_store_dword v26, v2, s[0:3], 0 offen
	s_cbranch_scc1 .LBB2069_238
; %bb.239:                              ;   in Loop: Header=BB2069_210 Depth=1
	s_mov_b32 s18, 0
.LBB2069_240:                           ;   Parent Loop BB2069_210 Depth=1
                                        ; =>  This Inner Loop Header: Depth=2
	v_add_u32_e32 v2, s18, v28
	v_add_u32_e32 v3, s18, v30
	buffer_load_dword v4, v2, s[0:3], 0 offen offset:4
	buffer_load_dword v5, v3, s[0:3], 0 offen
	buffer_load_dword v36, v2, s[0:3], 0 offen
	buffer_load_dword v37, v3, s[0:3], 0 offen offset:4
	v_add_u32_e32 v2, s18, v29
	s_add_i32 s18, s18, 8
	s_cmp_lg_u32 s18, 16
	s_waitcnt vmcnt(1)
	v_add_u32_e32 v3, v5, v36
	s_waitcnt vmcnt(0)
	v_add_u32_e32 v4, v37, v4
	buffer_store_dword v4, v2, s[0:3], 0 offen offset:4
	buffer_store_dword v3, v2, s[0:3], 0 offen
	s_cbranch_scc1 .LBB2069_240
; %bb.241:                              ;   in Loop: Header=BB2069_210 Depth=1
	buffer_load_dword v2, off, s[0:3], 0
	buffer_load_dword v3, off, s[0:3], 0 offset:4
	buffer_load_dword v4, off, s[0:3], 0 offset:8
	;; [unrolled: 1-line block ×3, first 2 shown]
.LBB2069_242:                           ;   in Loop: Header=BB2069_210 Depth=1
	s_or_b64 exec, exec, s[4:5]
	v_and_b32_e32 v34, 1, v34
	v_cmp_eq_u32_e32 vcc, 1, v34
	v_and_b32_e32 v34, 1, v35
	v_cmp_eq_u32_e64 s[4:5], 1, v34
	s_or_b64 s[4:5], vcc, s[4:5]
	v_cndmask_b32_e64 v34, 0, 1, s[4:5]
	buffer_store_byte v34, off, s[0:3], 0 offset:72
	buffer_load_dword v34, off, s[0:3], 0 offset:72
	s_waitcnt vmcnt(4)
	buffer_store_dword v3, off, s[0:3], 0 offset:60
	buffer_store_dword v2, off, s[0:3], 0 offset:56
	s_waitcnt vmcnt(4)
	buffer_store_dword v5, off, s[0:3], 0 offset:68
	buffer_store_dword v4, off, s[0:3], 0 offset:64
.LBB2069_243:                           ;   in Loop: Header=BB2069_210 Depth=1
	s_or_b64 exec, exec, s[16:17]
	ds_bpermute_b32 v36, v22, v2
	s_waitcnt vmcnt(4)
	ds_bpermute_b32 v35, v22, v34
	ds_bpermute_b32 v37, v22, v3
	;; [unrolled: 1-line block ×4, first 2 shown]
	v_cmp_le_u32_e32 vcc, v21, v33
	s_waitcnt lgkmcnt(4)
	buffer_store_dword v36, off, s[0:3], 0 offset:96
	s_waitcnt lgkmcnt(2)
	buffer_store_dword v37, off, s[0:3], 0 offset:100
	;; [unrolled: 2-line block ×4, first 2 shown]
	s_and_saveexec_b64 s[16:17], vcc
	s_cbranch_execz .LBB2069_251
; %bb.244:                              ;   in Loop: Header=BB2069_210 Depth=1
	v_cmp_eq_u16_sdwa s[18:19], v34, v26 src0_sel:BYTE_0 src1_sel:DWORD
	s_and_saveexec_b64 s[4:5], s[18:19]
	s_cbranch_execz .LBB2069_250
; %bb.245:                              ;   in Loop: Header=BB2069_210 Depth=1
	s_mov_b32 s18, 0
.LBB2069_246:                           ;   Parent Loop BB2069_210 Depth=1
                                        ; =>  This Inner Loop Header: Depth=2
	v_add_u32_e32 v2, s18, v29
	s_add_i32 s18, s18, 8
	s_cmp_lg_u32 s18, 16
	buffer_store_dword v26, v2, s[0:3], 0 offen offset:4
	buffer_store_dword v26, v2, s[0:3], 0 offen
	s_cbranch_scc1 .LBB2069_246
; %bb.247:                              ;   in Loop: Header=BB2069_210 Depth=1
	s_mov_b32 s18, 0
.LBB2069_248:                           ;   Parent Loop BB2069_210 Depth=1
                                        ; =>  This Inner Loop Header: Depth=2
	v_add_u32_e32 v2, s18, v28
	v_add_u32_e32 v3, s18, v30
	buffer_load_dword v4, v2, s[0:3], 0 offen offset:4
	buffer_load_dword v5, v3, s[0:3], 0 offen
	buffer_load_dword v36, v2, s[0:3], 0 offen
	buffer_load_dword v37, v3, s[0:3], 0 offen offset:4
	v_add_u32_e32 v2, s18, v29
	s_add_i32 s18, s18, 8
	s_cmp_lg_u32 s18, 16
	s_waitcnt vmcnt(1)
	v_add_u32_e32 v3, v5, v36
	s_waitcnt vmcnt(0)
	v_add_u32_e32 v4, v37, v4
	buffer_store_dword v4, v2, s[0:3], 0 offen offset:4
	buffer_store_dword v3, v2, s[0:3], 0 offen
	s_cbranch_scc1 .LBB2069_248
; %bb.249:                              ;   in Loop: Header=BB2069_210 Depth=1
	buffer_load_dword v2, off, s[0:3], 0
	buffer_load_dword v3, off, s[0:3], 0 offset:4
	buffer_load_dword v4, off, s[0:3], 0 offset:8
	buffer_load_dword v5, off, s[0:3], 0 offset:12
.LBB2069_250:                           ;   in Loop: Header=BB2069_210 Depth=1
	s_or_b64 exec, exec, s[4:5]
	v_and_b32_e32 v34, 1, v34
	v_cmp_eq_u32_e32 vcc, 1, v34
	v_and_b32_e32 v34, 1, v35
	v_cmp_eq_u32_e64 s[4:5], 1, v34
	s_or_b64 s[4:5], vcc, s[4:5]
	v_cndmask_b32_e64 v34, 0, 1, s[4:5]
	buffer_store_byte v34, off, s[0:3], 0 offset:72
	buffer_load_dword v34, off, s[0:3], 0 offset:72
	s_waitcnt vmcnt(4)
	buffer_store_dword v3, off, s[0:3], 0 offset:60
	buffer_store_dword v2, off, s[0:3], 0 offset:56
	s_waitcnt vmcnt(4)
	buffer_store_dword v5, off, s[0:3], 0 offset:68
	buffer_store_dword v4, off, s[0:3], 0 offset:64
.LBB2069_251:                           ;   in Loop: Header=BB2069_210 Depth=1
	s_or_b64 exec, exec, s[16:17]
	ds_bpermute_b32 v36, v24, v2
	s_waitcnt vmcnt(4)
	ds_bpermute_b32 v35, v24, v34
	ds_bpermute_b32 v37, v24, v3
	;; [unrolled: 1-line block ×4, first 2 shown]
	v_cmp_le_u32_e32 vcc, v23, v33
	s_waitcnt lgkmcnt(4)
	buffer_store_dword v36, off, s[0:3], 0 offset:96
	s_waitcnt lgkmcnt(2)
	buffer_store_dword v37, off, s[0:3], 0 offset:100
	;; [unrolled: 2-line block ×4, first 2 shown]
	s_and_saveexec_b64 s[16:17], vcc
	s_cbranch_execz .LBB2069_259
; %bb.252:                              ;   in Loop: Header=BB2069_210 Depth=1
	v_cmp_eq_u16_sdwa s[18:19], v34, v26 src0_sel:BYTE_0 src1_sel:DWORD
	s_and_saveexec_b64 s[4:5], s[18:19]
	s_cbranch_execz .LBB2069_258
; %bb.253:                              ;   in Loop: Header=BB2069_210 Depth=1
	s_mov_b32 s18, 0
.LBB2069_254:                           ;   Parent Loop BB2069_210 Depth=1
                                        ; =>  This Inner Loop Header: Depth=2
	v_add_u32_e32 v2, s18, v29
	s_add_i32 s18, s18, 8
	s_cmp_lg_u32 s18, 16
	buffer_store_dword v26, v2, s[0:3], 0 offen offset:4
	buffer_store_dword v26, v2, s[0:3], 0 offen
	s_cbranch_scc1 .LBB2069_254
; %bb.255:                              ;   in Loop: Header=BB2069_210 Depth=1
	s_mov_b32 s18, 0
.LBB2069_256:                           ;   Parent Loop BB2069_210 Depth=1
                                        ; =>  This Inner Loop Header: Depth=2
	v_add_u32_e32 v2, s18, v28
	v_add_u32_e32 v3, s18, v30
	buffer_load_dword v4, v2, s[0:3], 0 offen offset:4
	buffer_load_dword v5, v3, s[0:3], 0 offen
	buffer_load_dword v36, v2, s[0:3], 0 offen
	buffer_load_dword v37, v3, s[0:3], 0 offen offset:4
	v_add_u32_e32 v2, s18, v29
	s_add_i32 s18, s18, 8
	s_cmp_lg_u32 s18, 16
	s_waitcnt vmcnt(1)
	v_add_u32_e32 v3, v5, v36
	s_waitcnt vmcnt(0)
	v_add_u32_e32 v4, v37, v4
	buffer_store_dword v4, v2, s[0:3], 0 offen offset:4
	buffer_store_dword v3, v2, s[0:3], 0 offen
	s_cbranch_scc1 .LBB2069_256
; %bb.257:                              ;   in Loop: Header=BB2069_210 Depth=1
	buffer_load_dword v2, off, s[0:3], 0
	buffer_load_dword v3, off, s[0:3], 0 offset:4
	buffer_load_dword v4, off, s[0:3], 0 offset:8
	buffer_load_dword v5, off, s[0:3], 0 offset:12
.LBB2069_258:                           ;   in Loop: Header=BB2069_210 Depth=1
	s_or_b64 exec, exec, s[4:5]
	v_and_b32_e32 v34, 1, v34
	v_cmp_eq_u32_e32 vcc, 1, v34
	v_and_b32_e32 v34, 1, v35
	v_cmp_eq_u32_e64 s[4:5], 1, v34
	s_or_b64 s[4:5], vcc, s[4:5]
	v_cndmask_b32_e64 v34, 0, 1, s[4:5]
	buffer_store_byte v34, off, s[0:3], 0 offset:72
	buffer_load_dword v34, off, s[0:3], 0 offset:72
	s_waitcnt vmcnt(4)
	buffer_store_dword v3, off, s[0:3], 0 offset:60
	buffer_store_dword v2, off, s[0:3], 0 offset:56
	s_waitcnt vmcnt(4)
	buffer_store_dword v5, off, s[0:3], 0 offset:68
	buffer_store_dword v4, off, s[0:3], 0 offset:64
.LBB2069_259:                           ;   in Loop: Header=BB2069_210 Depth=1
	s_or_b64 exec, exec, s[16:17]
	ds_bpermute_b32 v36, v1, v2
	s_waitcnt vmcnt(4)
	ds_bpermute_b32 v35, v1, v34
	ds_bpermute_b32 v37, v1, v3
	;; [unrolled: 1-line block ×4, first 2 shown]
	v_cmp_le_u32_e32 vcc, v25, v33
	v_and_b32_e32 v33, 1, v34
	v_cmp_eq_u32_e64 s[4:5], 1, v33
	s_waitcnt lgkmcnt(4)
	buffer_store_dword v36, off, s[0:3], 0 offset:96
	s_waitcnt lgkmcnt(2)
	buffer_store_dword v37, off, s[0:3], 0 offset:100
	;; [unrolled: 2-line block ×4, first 2 shown]
	s_and_saveexec_b64 s[16:17], vcc
	s_cbranch_execz .LBB2069_267
; %bb.260:                              ;   in Loop: Header=BB2069_210 Depth=1
	v_cmp_eq_u16_sdwa s[36:37], v34, v26 src0_sel:BYTE_0 src1_sel:DWORD
	s_and_saveexec_b64 s[18:19], s[36:37]
	s_cbranch_execz .LBB2069_266
; %bb.261:                              ;   in Loop: Header=BB2069_210 Depth=1
	s_mov_b32 s36, 0
.LBB2069_262:                           ;   Parent Loop BB2069_210 Depth=1
                                        ; =>  This Inner Loop Header: Depth=2
	v_add_u32_e32 v2, s36, v29
	s_add_i32 s36, s36, 8
	s_cmp_lg_u32 s36, 16
	buffer_store_dword v26, v2, s[0:3], 0 offen offset:4
	buffer_store_dword v26, v2, s[0:3], 0 offen
	s_cbranch_scc1 .LBB2069_262
; %bb.263:                              ;   in Loop: Header=BB2069_210 Depth=1
	s_mov_b32 s36, 0
.LBB2069_264:                           ;   Parent Loop BB2069_210 Depth=1
                                        ; =>  This Inner Loop Header: Depth=2
	v_add_u32_e32 v2, s36, v28
	v_add_u32_e32 v3, s36, v30
	buffer_load_dword v4, v2, s[0:3], 0 offen offset:4
	buffer_load_dword v5, v3, s[0:3], 0 offen
	buffer_load_dword v33, v2, s[0:3], 0 offen
	buffer_load_dword v34, v3, s[0:3], 0 offen offset:4
	v_add_u32_e32 v2, s36, v29
	s_add_i32 s36, s36, 8
	s_cmp_lg_u32 s36, 16
	s_waitcnt vmcnt(1)
	v_add_u32_e32 v3, v5, v33
	s_waitcnt vmcnt(0)
	v_add_u32_e32 v4, v34, v4
	buffer_store_dword v4, v2, s[0:3], 0 offen offset:4
	buffer_store_dword v3, v2, s[0:3], 0 offen
	s_cbranch_scc1 .LBB2069_264
; %bb.265:                              ;   in Loop: Header=BB2069_210 Depth=1
	buffer_load_dword v2, off, s[0:3], 0
	buffer_load_dword v3, off, s[0:3], 0 offset:4
	buffer_load_dword v4, off, s[0:3], 0 offset:8
	;; [unrolled: 1-line block ×3, first 2 shown]
.LBB2069_266:                           ;   in Loop: Header=BB2069_210 Depth=1
	s_or_b64 exec, exec, s[18:19]
	v_and_b32_e32 v33, 1, v35
	v_cmp_eq_u32_e32 vcc, 1, v33
	s_or_b64 s[18:19], s[4:5], vcc
	v_cndmask_b32_e64 v33, 0, 1, s[18:19]
	s_andn2_b64 s[4:5], s[4:5], exec
	s_and_b64 s[18:19], s[18:19], exec
	s_or_b64 s[4:5], s[4:5], s[18:19]
	s_waitcnt vmcnt(2)
	buffer_store_dword v3, off, s[0:3], 0 offset:60
	buffer_store_dword v2, off, s[0:3], 0 offset:56
	s_waitcnt vmcnt(2)
	buffer_store_dword v5, off, s[0:3], 0 offset:68
	buffer_store_dword v4, off, s[0:3], 0 offset:64
	buffer_store_byte v33, off, s[0:3], 0 offset:72
.LBB2069_267:                           ;   in Loop: Header=BB2069_210 Depth=1
	s_or_b64 exec, exec, s[16:17]
	buffer_load_ubyte v33, off, s[0:3], 0 offset:52
                                        ; implicit-def: $vgpr4_vgpr5
                                        ; implicit-def: $vgpr2_vgpr3
	s_waitcnt vmcnt(0)
	v_cmp_ne_u16_e32 vcc, 0, v33
	s_and_saveexec_b64 s[16:17], vcc
	s_xor_b64 s[16:17], exec, s[16:17]
	s_cbranch_execz .LBB2069_269
; %bb.268:                              ;   in Loop: Header=BB2069_210 Depth=1
	buffer_load_dword v2, off, s[0:3], 0 offset:36
	buffer_load_dword v3, off, s[0:3], 0 offset:40
	;; [unrolled: 1-line block ×4, first 2 shown]
.LBB2069_269:                           ;   in Loop: Header=BB2069_210 Depth=1
	s_andn2_saveexec_b64 s[16:17], s[16:17]
	s_cbranch_execz .LBB2069_275
; %bb.270:                              ;   in Loop: Header=BB2069_210 Depth=1
	s_mov_b32 s18, 0
	s_waitcnt vmcnt(0)
.LBB2069_271:                           ;   Parent Loop BB2069_210 Depth=1
                                        ; =>  This Inner Loop Header: Depth=2
	v_add_u32_e32 v2, s18, v28
	s_add_i32 s18, s18, 8
	s_cmp_lg_u32 s18, 16
	buffer_store_dword v26, v2, s[0:3], 0 offen offset:4
	buffer_store_dword v26, v2, s[0:3], 0 offen
	s_cbranch_scc1 .LBB2069_271
; %bb.272:                              ;   in Loop: Header=BB2069_210 Depth=1
	s_mov_b32 s18, 0
.LBB2069_273:                           ;   Parent Loop BB2069_210 Depth=1
                                        ; =>  This Inner Loop Header: Depth=2
	v_add_u32_e32 v2, s18, v30
	v_add_u32_e32 v3, s18, v31
	buffer_load_dword v4, v2, s[0:3], 0 offen offset:4
	buffer_load_dword v5, v3, s[0:3], 0 offen
	buffer_load_dword v34, v2, s[0:3], 0 offen
	buffer_load_dword v35, v3, s[0:3], 0 offen offset:4
	v_add_u32_e32 v2, s18, v28
	s_add_i32 s18, s18, 8
	s_cmp_lg_u32 s18, 16
	s_waitcnt vmcnt(1)
	v_add_u32_e32 v3, v5, v34
	s_waitcnt vmcnt(0)
	v_add_u32_e32 v4, v35, v4
	buffer_store_dword v4, v2, s[0:3], 0 offen offset:4
	buffer_store_dword v3, v2, s[0:3], 0 offen
	s_cbranch_scc1 .LBB2069_273
; %bb.274:                              ;   in Loop: Header=BB2069_210 Depth=1
	buffer_load_dword v2, off, s[0:3], 0 offset:96
	buffer_load_dword v3, off, s[0:3], 0 offset:100
	;; [unrolled: 1-line block ×4, first 2 shown]
.LBB2069_275:                           ;   in Loop: Header=BB2069_210 Depth=1
	s_or_b64 exec, exec, s[16:17]
	v_and_b32_e32 v33, 1, v33
	v_cmp_eq_u32_e32 vcc, 1, v33
	s_or_b64 s[4:5], vcc, s[4:5]
	v_subrev_u32_e32 v6, 64, v6
	v_cndmask_b32_e64 v33, 0, 1, s[4:5]
	s_waitcnt vmcnt(2)
	buffer_store_dword v3, off, s[0:3], 0 offset:40
	buffer_store_dword v2, off, s[0:3], 0 offset:36
	s_waitcnt vmcnt(2)
	buffer_store_dword v5, off, s[0:3], 0 offset:48
	buffer_store_dword v4, off, s[0:3], 0 offset:44
	buffer_store_byte v33, off, s[0:3], 0 offset:52
	s_branch .LBB2069_210
.LBB2069_276:
	buffer_load_dword v1, off, s[0:3], 0 offset:40
	buffer_load_dword v2, off, s[0:3], 0 offset:36
	;; [unrolled: 1-line block ×5, first 2 shown]
	s_waitcnt vmcnt(4)
	buffer_store_dword v1, off, s[0:3], 0 offset:100
	s_waitcnt vmcnt(4)
	buffer_store_dword v2, off, s[0:3], 0 offset:96
	s_waitcnt vmcnt(4)
	buffer_store_dword v3, off, s[0:3], 0 offset:108
	s_waitcnt vmcnt(4)
	buffer_store_dword v4, off, s[0:3], 0 offset:104
	s_waitcnt vmcnt(4)
	buffer_store_dword v6, off, s[0:3], 0 offset:112
	s_and_saveexec_b64 s[4:5], s[10:11]
	s_cbranch_execz .LBB2069_286
; %bb.277:
	buffer_load_ubyte v1, off, s[0:3], 0 offset:92
                                        ; implicit-def: $vgpr4_vgpr5
	s_waitcnt vmcnt(0)
	v_cmp_ne_u16_e32 vcc, 0, v1
	s_and_saveexec_b64 s[10:11], vcc
	s_xor_b64 s[10:11], exec, s[10:11]
	s_cbranch_execz .LBB2069_279
; %bb.278:
	buffer_load_dword v2, off, s[0:3], 0 offset:76
	buffer_load_dword v3, off, s[0:3], 0 offset:80
	;; [unrolled: 1-line block ×4, first 2 shown]
.LBB2069_279:
	s_andn2_saveexec_b64 s[10:11], s[10:11]
	s_cbranch_execz .LBB2069_285
; %bb.280:
	s_mov_b32 s16, 0
	s_waitcnt vmcnt(3)
	v_mov_b32_e32 v2, 16
	s_waitcnt vmcnt(2)
	v_mov_b32_e32 v3, 0
	s_waitcnt vmcnt(0)
.LBB2069_281:                           ; =>This Inner Loop Header: Depth=1
	v_add_u32_e32 v4, s16, v2
	s_add_i32 s16, s16, 8
	s_cmp_lg_u32 s16, 16
	buffer_store_dword v3, v4, s[0:3], 0 offen offset:4
	buffer_store_dword v3, v4, s[0:3], 0 offen
	s_cbranch_scc1 .LBB2069_281
; %bb.282:
	s_mov_b32 s16, 0
	v_mov_b32_e32 v2, 0x60
	v_mov_b32_e32 v3, 0x4c
	;; [unrolled: 1-line block ×3, first 2 shown]
.LBB2069_283:                           ; =>This Inner Loop Header: Depth=1
	v_add_u32_e32 v5, s16, v2
	v_add_u32_e32 v8, s16, v3
	buffer_load_dword v9, v5, s[0:3], 0 offen offset:4
	buffer_load_dword v14, v8, s[0:3], 0 offen
	buffer_load_dword v15, v5, s[0:3], 0 offen
	buffer_load_dword v16, v8, s[0:3], 0 offen offset:4
                                        ; kill: killed $vgpr5
	v_add_u32_e32 v5, s16, v4
	s_add_i32 s16, s16, 8
	s_cmp_lg_u32 s16, 16
                                        ; kill: killed $vgpr8
	s_waitcnt vmcnt(1)
	v_add_u32_e32 v8, v14, v15
	s_waitcnt vmcnt(0)
	v_add_u32_e32 v9, v16, v9
	buffer_store_dword v9, v5, s[0:3], 0 offen offset:4
	buffer_store_dword v8, v5, s[0:3], 0 offen
	s_cbranch_scc1 .LBB2069_283
; %bb.284:
	buffer_load_dword v2, off, s[0:3], 0 offset:16
	buffer_load_dword v3, off, s[0:3], 0 offset:20
	;; [unrolled: 1-line block ×4, first 2 shown]
.LBB2069_285:
	s_or_b64 exec, exec, s[10:11]
	s_add_i32 s16, s33, 64
	s_mul_i32 s10, s16, 20
	v_or_b32_e32 v1, v1, v6
	s_mul_hi_u32 s11, s16, 20
	s_add_u32 s10, s26, s10
	v_and_b32_e32 v1, 1, v1
	s_addc_u32 s11, s27, s11
	v_mov_b32_e32 v6, 0
	s_waitcnt vmcnt(0)
	global_store_dwordx4 v6, v[2:5], s[10:11]
	global_store_byte v6, v1, s[10:11] offset:16
	v_mov_b32_e32 v1, s16
	v_mov_b32_e32 v2, 2
	s_waitcnt vmcnt(0)
	buffer_wbinvl1_vol
	global_store_byte v1, v2, s[28:29]
	buffer_load_dword v2, off, s[0:3], 0 offset:96
	s_nop 0
	buffer_load_dword v1, off, s[0:3], 0 offset:100
	buffer_load_dword v4, off, s[0:3], 0 offset:104
	;; [unrolled: 1-line block ×3, first 2 shown]
	buffer_load_ubyte v6, off, s[0:3], 0 offset:112
.LBB2069_286:
	s_or_b64 exec, exec, s[4:5]
	s_and_b64 exec, exec, s[20:21]
	s_cbranch_execz .LBB2069_288
; %bb.287:
	v_mov_b32_e32 v5, 0
	s_waitcnt vmcnt(3)
	ds_write2_b32 v5, v2, v1 offset0:15 offset1:16
	s_waitcnt vmcnt(1)
	ds_write2_b32 v5, v4, v3 offset0:17 offset1:18
	s_waitcnt vmcnt(0)
	ds_write_b8 v5, v6 offset:76
.LBB2069_288:
	s_or_b64 exec, exec, s[14:15]
	s_waitcnt lgkmcnt(0)
	s_barrier
	buffer_load_ubyte v1, off, s[0:3], 0 offset:224
	s_waitcnt vmcnt(5)
	v_mov_b32_e32 v2, 0
	s_waitcnt vmcnt(3)
	ds_read2_b32 v[4:5], v2 offset0:15 offset1:16
	ds_read2_b32 v[8:9], v2 offset0:17 offset1:18
	s_waitcnt vmcnt(1)
	ds_read_b32 v6, v2 offset:76
	s_waitcnt lgkmcnt(2)
	buffer_store_dword v5, off, s[0:3], 0 offset:100
	buffer_store_dword v4, off, s[0:3], 0 offset:96
	s_waitcnt lgkmcnt(1)
	buffer_store_dword v9, off, s[0:3], 0 offset:108
	buffer_store_dword v8, off, s[0:3], 0 offset:104
	s_waitcnt lgkmcnt(0)
	buffer_store_dword v6, off, s[0:3], 0 offset:112
	s_and_saveexec_b64 s[4:5], s[8:9]
	s_cbranch_execz .LBB2069_298
; %bb.289:
	s_waitcnt vmcnt(5)
	v_cmp_ne_u16_sdwa s[10:11], v1, v2 src0_sel:BYTE_0 src1_sel:DWORD
                                        ; implicit-def: $vgpr4_vgpr5
                                        ; implicit-def: $vgpr2_vgpr3
	s_and_saveexec_b64 s[14:15], s[10:11]
	s_xor_b64 s[10:11], exec, s[14:15]
	s_cbranch_execz .LBB2069_291
; %bb.290:
	buffer_load_dword v2, off, s[0:3], 0 offset:208
	buffer_load_dword v3, off, s[0:3], 0 offset:212
	;; [unrolled: 1-line block ×4, first 2 shown]
.LBB2069_291:
	s_andn2_saveexec_b64 s[10:11], s[10:11]
	s_cbranch_execz .LBB2069_297
; %bb.292:
	s_mov_b32 s14, 0
	s_waitcnt vmcnt(3)
	v_mov_b32_e32 v2, 16
	s_waitcnt vmcnt(2)
	v_mov_b32_e32 v3, 0
	s_waitcnt vmcnt(0)
.LBB2069_293:                           ; =>This Inner Loop Header: Depth=1
	v_add_u32_e32 v4, s14, v2
	s_add_i32 s14, s14, 8
	s_cmp_lg_u32 s14, 16
	buffer_store_dword v3, v4, s[0:3], 0 offen offset:4
	buffer_store_dword v3, v4, s[0:3], 0 offen
	s_cbranch_scc1 .LBB2069_293
; %bb.294:
	s_mov_b32 s14, 0
	v_mov_b32_e32 v2, 0xb0
	v_mov_b32_e32 v3, 0xd0
	;; [unrolled: 1-line block ×3, first 2 shown]
.LBB2069_295:                           ; =>This Inner Loop Header: Depth=1
	v_add_u32_e32 v5, s14, v2
	v_add_u32_e32 v8, s14, v3
	buffer_load_dword v9, v5, s[0:3], 0 offen offset:4
	buffer_load_dword v14, v8, s[0:3], 0 offen
	buffer_load_dword v15, v5, s[0:3], 0 offen
	buffer_load_dword v16, v8, s[0:3], 0 offen offset:4
                                        ; kill: killed $vgpr5
	v_add_u32_e32 v5, s14, v4
	s_add_i32 s14, s14, 8
	s_cmp_lg_u32 s14, 16
                                        ; kill: killed $vgpr8
	s_waitcnt vmcnt(1)
	v_add_u32_e32 v8, v14, v15
	s_waitcnt vmcnt(0)
	v_add_u32_e32 v9, v16, v9
	buffer_store_dword v9, v5, s[0:3], 0 offen offset:4
	buffer_store_dword v8, v5, s[0:3], 0 offen
	s_cbranch_scc1 .LBB2069_295
; %bb.296:
	buffer_load_dword v2, off, s[0:3], 0 offset:16
	buffer_load_dword v3, off, s[0:3], 0 offset:20
	;; [unrolled: 1-line block ×4, first 2 shown]
.LBB2069_297:
	s_or_b64 exec, exec, s[10:11]
	v_and_b32_e32 v1, 1, v1
	v_cmp_eq_u32_e32 vcc, 1, v1
	s_or_b64 s[10:11], vcc, s[12:13]
	v_cndmask_b32_e64 v1, 0, 1, s[10:11]
	s_waitcnt vmcnt(2)
	buffer_store_dword v3, off, s[0:3], 0 offset:212
	buffer_store_dword v2, off, s[0:3], 0 offset:208
	s_waitcnt vmcnt(2)
	buffer_store_dword v5, off, s[0:3], 0 offset:220
	buffer_store_dword v4, off, s[0:3], 0 offset:216
.LBB2069_298:
	s_or_b64 exec, exec, s[4:5]
	v_mov_b32_e32 v2, 0
	s_waitcnt vmcnt(5)
	v_cmp_ne_u16_sdwa s[4:5], v1, v2 src0_sel:BYTE_0 src1_sel:DWORD
                                        ; implicit-def: $vgpr4_vgpr5
                                        ; implicit-def: $vgpr2_vgpr3
	s_and_saveexec_b64 s[10:11], s[4:5]
	s_xor_b64 s[4:5], exec, s[10:11]
	s_cbranch_execz .LBB2069_300
; %bb.299:
	buffer_load_dword v2, off, s[0:3], 0 offset:208
	buffer_load_dword v3, off, s[0:3], 0 offset:212
	;; [unrolled: 1-line block ×4, first 2 shown]
.LBB2069_300:
	s_andn2_saveexec_b64 s[4:5], s[4:5]
	s_cbranch_execz .LBB2069_306
; %bb.301:
	s_mov_b32 s10, 0
	s_waitcnt vmcnt(3)
	v_mov_b32_e32 v2, 16
	s_waitcnt vmcnt(2)
	v_mov_b32_e32 v3, 0
	s_waitcnt vmcnt(0)
.LBB2069_302:                           ; =>This Inner Loop Header: Depth=1
	v_add_u32_e32 v4, s10, v2
	s_add_i32 s10, s10, 8
	s_cmp_lg_u32 s10, 16
	buffer_store_dword v3, v4, s[0:3], 0 offen offset:4
	buffer_store_dword v3, v4, s[0:3], 0 offen
	s_cbranch_scc1 .LBB2069_302
; %bb.303:
	s_mov_b32 s10, 0
	v_mov_b32_e32 v2, 0x60
	v_mov_b32_e32 v3, 0xd0
	;; [unrolled: 1-line block ×3, first 2 shown]
.LBB2069_304:                           ; =>This Inner Loop Header: Depth=1
	v_add_u32_e32 v5, s10, v2
	v_add_u32_e32 v8, s10, v3
	buffer_load_dword v9, v5, s[0:3], 0 offen offset:4
	buffer_load_dword v14, v8, s[0:3], 0 offen
	buffer_load_dword v15, v5, s[0:3], 0 offen
	buffer_load_dword v16, v8, s[0:3], 0 offen offset:4
                                        ; kill: killed $vgpr5
	v_add_u32_e32 v5, s10, v4
	s_add_i32 s10, s10, 8
	s_cmp_lg_u32 s10, 16
                                        ; kill: killed $vgpr8
	s_waitcnt vmcnt(1)
	v_add_u32_e32 v8, v14, v15
	s_waitcnt vmcnt(0)
	v_add_u32_e32 v9, v16, v9
	buffer_store_dword v9, v5, s[0:3], 0 offen offset:4
	buffer_store_dword v8, v5, s[0:3], 0 offen
	s_cbranch_scc1 .LBB2069_304
; %bb.305:
	buffer_load_dword v2, off, s[0:3], 0 offset:16
	buffer_load_dword v3, off, s[0:3], 0 offset:20
	;; [unrolled: 1-line block ×4, first 2 shown]
.LBB2069_306:
	s_or_b64 exec, exec, s[4:5]
	buffer_load_ubyte v8, off, s[0:3], 0 offset:244
	v_or_b32_e32 v1, v1, v6
	v_and_b32_e32 v1, 1, v1
	v_cmp_eq_u32_e32 vcc, 1, v1
	s_waitcnt vmcnt(3)
	buffer_store_dword v3, off, s[0:3], 0 offset:212
	buffer_store_dword v2, off, s[0:3], 0 offset:208
	s_waitcnt vmcnt(3)
	buffer_store_dword v5, off, s[0:3], 0 offset:220
	buffer_store_dword v4, off, s[0:3], 0 offset:216
	buffer_store_byte v1, off, s[0:3], 0 offset:224
                                        ; implicit-def: $vgpr4_vgpr5
                                        ; implicit-def: $vgpr2_vgpr3
	s_waitcnt vmcnt(5)
	v_cmp_ne_u16_e64 s[4:5], 0, v8
	s_and_saveexec_b64 s[10:11], s[4:5]
	s_xor_b64 s[4:5], exec, s[10:11]
	s_cbranch_execz .LBB2069_308
; %bb.307:
	buffer_load_dword v2, off, s[0:3], 0 offset:228
	buffer_load_dword v3, off, s[0:3], 0 offset:232
	;; [unrolled: 1-line block ×4, first 2 shown]
.LBB2069_308:
	s_andn2_saveexec_b64 s[4:5], s[4:5]
	s_cbranch_execz .LBB2069_314
; %bb.309:
	s_mov_b32 s10, 0
	v_mov_b32_e32 v1, 16
	s_waitcnt vmcnt(3)
	v_mov_b32_e32 v2, 0
	s_waitcnt vmcnt(0)
.LBB2069_310:                           ; =>This Inner Loop Header: Depth=1
	v_add_u32_e32 v3, s10, v1
	s_add_i32 s10, s10, 8
	s_cmp_lg_u32 s10, 16
	buffer_store_dword v2, v3, s[0:3], 0 offen offset:4
	buffer_store_dword v2, v3, s[0:3], 0 offen
	s_cbranch_scc1 .LBB2069_310
; %bb.311:
	s_mov_b32 s10, 0
	v_mov_b32_e32 v1, 0xd0
	v_mov_b32_e32 v2, 16
.LBB2069_312:                           ; =>This Inner Loop Header: Depth=1
	v_add_u32_e32 v3, s10, v1
	buffer_load_dword v4, v3, s[0:3], 0 offen
	buffer_load_dword v5, v3, s[0:3], 0 offen offset:4
	buffer_load_dword v6, v3, s[0:3], 0 offen offset:20
	;; [unrolled: 1-line block ×3, first 2 shown]
                                        ; kill: killed $vgpr3
	v_add_u32_e32 v3, s10, v2
	s_add_i32 s10, s10, 8
	s_cmp_lg_u32 s10, 16
	s_waitcnt vmcnt(1)
	v_add_u32_e32 v4, v6, v4
	s_waitcnt vmcnt(0)
	v_add_u32_e32 v5, v9, v5
	buffer_store_dword v5, v3, s[0:3], 0 offen offset:4
	buffer_store_dword v4, v3, s[0:3], 0 offen
	s_cbranch_scc1 .LBB2069_312
; %bb.313:
	buffer_load_dword v2, off, s[0:3], 0 offset:16
	buffer_load_dword v3, off, s[0:3], 0 offset:20
	;; [unrolled: 1-line block ×4, first 2 shown]
.LBB2069_314:
	s_or_b64 exec, exec, s[4:5]
	buffer_load_ubyte v1, off, s[0:3], 0 offset:264
	v_and_b32_e32 v6, 1, v8
	v_cmp_eq_u32_e64 s[4:5], 1, v6
	s_or_b64 s[4:5], s[4:5], vcc
	v_cndmask_b32_e64 v6, 0, 1, s[4:5]
	s_waitcnt vmcnt(3)
	buffer_store_dword v3, off, s[0:3], 0 offset:232
	buffer_store_dword v2, off, s[0:3], 0 offset:228
	s_waitcnt vmcnt(3)
	buffer_store_dword v5, off, s[0:3], 0 offset:240
	buffer_store_dword v4, off, s[0:3], 0 offset:236
	buffer_store_byte v6, off, s[0:3], 0 offset:244
                                        ; implicit-def: $vgpr4_vgpr5
                                        ; implicit-def: $vgpr2_vgpr3
	s_waitcnt vmcnt(5)
	v_cmp_ne_u16_e32 vcc, 0, v1
	s_and_saveexec_b64 s[10:11], vcc
	s_xor_b64 s[10:11], exec, s[10:11]
	s_cbranch_execz .LBB2069_316
; %bb.315:
	buffer_load_dword v2, off, s[0:3], 0 offset:248
	buffer_load_dword v3, off, s[0:3], 0 offset:252
	;; [unrolled: 1-line block ×4, first 2 shown]
.LBB2069_316:
	s_andn2_saveexec_b64 s[10:11], s[10:11]
	s_cbranch_execz .LBB2069_322
; %bb.317:
	s_mov_b32 s12, 0
	s_waitcnt vmcnt(3)
	v_mov_b32_e32 v2, 16
	s_waitcnt vmcnt(2)
	v_mov_b32_e32 v3, 0
	s_waitcnt vmcnt(0)
.LBB2069_318:                           ; =>This Inner Loop Header: Depth=1
	v_add_u32_e32 v4, s12, v2
	s_add_i32 s12, s12, 8
	s_cmp_lg_u32 s12, 16
	buffer_store_dword v3, v4, s[0:3], 0 offen offset:4
	buffer_store_dword v3, v4, s[0:3], 0 offen
	s_cbranch_scc1 .LBB2069_318
; %bb.319:
	s_mov_b32 s12, 0
	v_mov_b32_e32 v2, 0xd0
	v_mov_b32_e32 v3, 16
.LBB2069_320:                           ; =>This Inner Loop Header: Depth=1
	v_add_u32_e32 v4, s12, v2
	buffer_load_dword v5, v4, s[0:3], 0 offen offset:20
	buffer_load_dword v6, v4, s[0:3], 0 offen offset:24
	;; [unrolled: 1-line block ×4, first 2 shown]
                                        ; kill: killed $vgpr4
	v_add_u32_e32 v4, s12, v3
	s_add_i32 s12, s12, 8
	s_cmp_lg_u32 s12, 16
	s_waitcnt vmcnt(1)
	v_add_u32_e32 v5, v8, v5
	s_waitcnt vmcnt(0)
	v_add_u32_e32 v6, v9, v6
	buffer_store_dword v6, v4, s[0:3], 0 offen offset:4
	buffer_store_dword v5, v4, s[0:3], 0 offen
	s_cbranch_scc1 .LBB2069_320
; %bb.321:
	buffer_load_dword v2, off, s[0:3], 0 offset:16
	buffer_load_dword v3, off, s[0:3], 0 offset:20
	;; [unrolled: 1-line block ×4, first 2 shown]
.LBB2069_322:
	s_or_b64 exec, exec, s[10:11]
	buffer_load_ubyte v6, off, s[0:3], 0 offset:284
	v_and_b32_e32 v1, 1, v1
	v_cmp_eq_u32_e32 vcc, 1, v1
	s_or_b64 s[4:5], vcc, s[4:5]
	v_cndmask_b32_e64 v1, 0, 1, s[4:5]
	s_waitcnt vmcnt(3)
	buffer_store_dword v3, off, s[0:3], 0 offset:252
	buffer_store_dword v2, off, s[0:3], 0 offset:248
	s_waitcnt vmcnt(3)
	buffer_store_dword v5, off, s[0:3], 0 offset:260
	buffer_store_dword v4, off, s[0:3], 0 offset:256
	buffer_store_byte v1, off, s[0:3], 0 offset:264
                                        ; implicit-def: $vgpr4_vgpr5
                                        ; implicit-def: $vgpr2_vgpr3
	s_waitcnt vmcnt(5)
	v_cmp_ne_u16_e32 vcc, 0, v6
	s_and_saveexec_b64 s[10:11], vcc
	s_xor_b64 s[10:11], exec, s[10:11]
	s_cbranch_execz .LBB2069_324
; %bb.323:
	buffer_load_dword v2, off, s[0:3], 0 offset:268
	buffer_load_dword v3, off, s[0:3], 0 offset:272
	;; [unrolled: 1-line block ×4, first 2 shown]
.LBB2069_324:
	s_andn2_saveexec_b64 s[10:11], s[10:11]
	s_cbranch_execz .LBB2069_330
; %bb.325:
	s_mov_b32 s12, 0
	v_mov_b32_e32 v1, 16
	s_waitcnt vmcnt(3)
	v_mov_b32_e32 v2, 0
	s_waitcnt vmcnt(0)
.LBB2069_326:                           ; =>This Inner Loop Header: Depth=1
	v_add_u32_e32 v3, s12, v1
	s_add_i32 s12, s12, 8
	s_cmp_lg_u32 s12, 16
	buffer_store_dword v2, v3, s[0:3], 0 offen offset:4
	buffer_store_dword v2, v3, s[0:3], 0 offen
	s_cbranch_scc1 .LBB2069_326
; %bb.327:
	s_mov_b32 s12, 0
	v_mov_b32_e32 v1, 0xd0
	v_mov_b32_e32 v2, 16
.LBB2069_328:                           ; =>This Inner Loop Header: Depth=1
	v_add_u32_e32 v3, s12, v1
	buffer_load_dword v4, v3, s[0:3], 0 offen offset:40
	buffer_load_dword v5, v3, s[0:3], 0 offen offset:44
	;; [unrolled: 1-line block ×4, first 2 shown]
                                        ; kill: killed $vgpr3
	v_add_u32_e32 v3, s12, v2
	s_add_i32 s12, s12, 8
	s_cmp_lg_u32 s12, 16
	s_waitcnt vmcnt(1)
	v_add_u32_e32 v4, v8, v4
	s_waitcnt vmcnt(0)
	v_add_u32_e32 v5, v9, v5
	buffer_store_dword v5, v3, s[0:3], 0 offen offset:4
	buffer_store_dword v4, v3, s[0:3], 0 offen
	s_cbranch_scc1 .LBB2069_328
; %bb.329:
	buffer_load_dword v2, off, s[0:3], 0 offset:16
	buffer_load_dword v3, off, s[0:3], 0 offset:20
	;; [unrolled: 1-line block ×4, first 2 shown]
.LBB2069_330:
	s_or_b64 exec, exec, s[10:11]
	buffer_load_ubyte v1, off, s[0:3], 0 offset:304
	v_and_b32_e32 v6, 1, v6
	v_cmp_eq_u32_e32 vcc, 1, v6
	s_or_b64 s[4:5], vcc, s[4:5]
	v_cndmask_b32_e64 v6, 0, 1, s[4:5]
	s_waitcnt vmcnt(3)
	buffer_store_dword v3, off, s[0:3], 0 offset:272
	buffer_store_dword v2, off, s[0:3], 0 offset:268
	s_waitcnt vmcnt(3)
	buffer_store_dword v5, off, s[0:3], 0 offset:280
	buffer_store_dword v4, off, s[0:3], 0 offset:276
	buffer_store_byte v6, off, s[0:3], 0 offset:284
                                        ; implicit-def: $vgpr4_vgpr5
                                        ; implicit-def: $vgpr2_vgpr3
	s_waitcnt vmcnt(5)
	v_cmp_ne_u16_e32 vcc, 0, v1
	s_and_saveexec_b64 s[10:11], vcc
	s_xor_b64 s[10:11], exec, s[10:11]
	s_cbranch_execz .LBB2069_332
; %bb.331:
	buffer_load_dword v2, off, s[0:3], 0 offset:288
	buffer_load_dword v3, off, s[0:3], 0 offset:292
	;; [unrolled: 1-line block ×4, first 2 shown]
.LBB2069_332:
	s_andn2_saveexec_b64 s[10:11], s[10:11]
	s_cbranch_execz .LBB2069_338
; %bb.333:
	s_mov_b32 s12, 0
	s_waitcnt vmcnt(3)
	v_mov_b32_e32 v2, 16
	s_waitcnt vmcnt(2)
	v_mov_b32_e32 v3, 0
	s_waitcnt vmcnt(0)
.LBB2069_334:                           ; =>This Inner Loop Header: Depth=1
	v_add_u32_e32 v4, s12, v2
	s_add_i32 s12, s12, 8
	s_cmp_lg_u32 s12, 16
	buffer_store_dword v3, v4, s[0:3], 0 offen offset:4
	buffer_store_dword v3, v4, s[0:3], 0 offen
	s_cbranch_scc1 .LBB2069_334
; %bb.335:
	s_mov_b32 s12, 0
	v_mov_b32_e32 v2, 0xd0
	v_mov_b32_e32 v3, 16
.LBB2069_336:                           ; =>This Inner Loop Header: Depth=1
	v_add_u32_e32 v4, s12, v2
	buffer_load_dword v5, v4, s[0:3], 0 offen offset:60
	buffer_load_dword v6, v4, s[0:3], 0 offen offset:64
	;; [unrolled: 1-line block ×4, first 2 shown]
                                        ; kill: killed $vgpr4
	v_add_u32_e32 v4, s12, v3
	s_add_i32 s12, s12, 8
	s_cmp_lg_u32 s12, 16
	s_waitcnt vmcnt(1)
	v_add_u32_e32 v5, v8, v5
	s_waitcnt vmcnt(0)
	v_add_u32_e32 v6, v9, v6
	buffer_store_dword v6, v4, s[0:3], 0 offen offset:4
	buffer_store_dword v5, v4, s[0:3], 0 offen
	s_cbranch_scc1 .LBB2069_336
; %bb.337:
	buffer_load_dword v2, off, s[0:3], 0 offset:16
	buffer_load_dword v3, off, s[0:3], 0 offset:20
	;; [unrolled: 1-line block ×4, first 2 shown]
.LBB2069_338:
	s_or_b64 exec, exec, s[10:11]
	v_and_b32_e32 v1, 1, v1
	v_cmp_eq_u32_e32 vcc, 1, v1
	s_or_b64 s[4:5], vcc, s[4:5]
	v_cndmask_b32_e64 v1, 0, 1, s[4:5]
	s_waitcnt vmcnt(2)
	buffer_store_dword v3, off, s[0:3], 0 offset:292
	buffer_store_dword v2, off, s[0:3], 0 offset:288
	s_waitcnt vmcnt(2)
	buffer_store_dword v5, off, s[0:3], 0 offset:300
	buffer_store_dword v4, off, s[0:3], 0 offset:296
	buffer_store_byte v1, off, s[0:3], 0 offset:304
	s_branch .LBB2069_556
.LBB2069_339:
	v_pk_mov_b32 v[2:3], s[36:37], s[36:37] op_sel:[0,1]
	flat_load_dword v2, v[2:3]
	s_add_i32 s54, s31, s30
	v_cmp_gt_u32_e64 s[10:11], s54, v0
	s_waitcnt vmcnt(0) lgkmcnt(0)
	v_mov_b32_e32 v3, v2
	s_and_saveexec_b64 s[4:5], s[10:11]
	s_cbranch_execz .LBB2069_341
; %bb.340:
	v_lshlrev_b32_e32 v3, 2, v0
	v_mov_b32_e32 v5, s37
	v_add_co_u32_e32 v4, vcc, s36, v3
	v_addc_co_u32_e32 v5, vcc, 0, v5, vcc
	flat_load_dword v3, v[4:5]
.LBB2069_341:
	s_or_b64 exec, exec, s[4:5]
	v_or_b32_e32 v15, 0x100, v0
	v_cmp_gt_u32_e64 s[12:13], s54, v15
	v_mov_b32_e32 v4, v2
	s_and_saveexec_b64 s[4:5], s[12:13]
	s_cbranch_execz .LBB2069_343
; %bb.342:
	v_lshlrev_b32_e32 v4, 2, v0
	v_mov_b32_e32 v5, s37
	v_add_co_u32_e32 v4, vcc, s36, v4
	v_addc_co_u32_e32 v5, vcc, 0, v5, vcc
	flat_load_dword v4, v[4:5] offset:1024
.LBB2069_343:
	s_or_b64 exec, exec, s[4:5]
	v_or_b32_e32 v16, 0x200, v0
	v_cmp_gt_u32_e64 s[14:15], s54, v16
	v_mov_b32_e32 v5, v2
	s_and_saveexec_b64 s[4:5], s[14:15]
	s_cbranch_execz .LBB2069_345
; %bb.344:
	v_lshlrev_b32_e32 v5, 2, v0
	v_mov_b32_e32 v13, s37
	v_add_co_u32_e32 v18, vcc, s36, v5
	v_addc_co_u32_e32 v19, vcc, 0, v13, vcc
	flat_load_dword v5, v[18:19] offset:2048
.LBB2069_345:
	;; [unrolled: 13-line block ×3, first 2 shown]
	s_or_b64 exec, exec, s[4:5]
	v_or_b32_e32 v18, 0x400, v0
	v_cmp_gt_u32_e64 s[18:19], s54, v18
	s_and_saveexec_b64 s[4:5], s[18:19]
	s_cbranch_execz .LBB2069_349
; %bb.348:
	v_lshlrev_b32_e32 v2, 2, v18
	v_mov_b32_e32 v14, s37
	v_add_co_u32_e32 v20, vcc, s36, v2
	v_addc_co_u32_e32 v21, vcc, 0, v14, vcc
	flat_load_dword v2, v[20:21]
.LBB2069_349:
	s_or_b64 exec, exec, s[4:5]
	v_lshlrev_b32_e32 v14, 2, v0
	v_lshlrev_b32_e32 v20, 4, v0
	v_add_u32_e32 v19, v14, v20
	s_waitcnt vmcnt(0) lgkmcnt(0)
	ds_write2st64_b32 v14, v3, v4 offset1:4
	ds_write2st64_b32 v14, v5, v13 offset0:8 offset1:12
	ds_write_b32 v14, v2 offset:4096
	s_waitcnt lgkmcnt(0)
	s_barrier
	ds_read2_b32 v[4:5], v19 offset1:1
	ds_read2_b32 v[2:3], v19 offset0:2 offset1:3
	ds_read_b32 v13, v19 offset:16
	s_cmp_eq_u64 s[40:41], 0
	s_mov_b64 s[4:5], s[36:37]
	s_cbranch_scc1 .LBB2069_353
; %bb.350:
	s_andn2_b64 vcc, exec, s[38:39]
	s_cbranch_vccnz .LBB2069_591
; %bb.351:
	s_lshl_b64 s[4:5], s[40:41], 2
	s_add_u32 s4, s50, s4
	s_addc_u32 s5, s51, s5
	s_add_u32 s4, s4, -4
	s_addc_u32 s5, s5, -1
	s_cbranch_execnz .LBB2069_353
.LBB2069_352:
	s_add_u32 s4, s36, -4
	s_addc_u32 s5, s37, -1
.LBB2069_353:
	v_pk_mov_b32 v[22:23], s[4:5], s[4:5] op_sel:[0,1]
	flat_load_dword v14, v[22:23]
	v_sub_u32_e32 v19, v19, v20
	s_waitcnt lgkmcnt(0)
	ds_write_b32 v19, v13 offset:5120
	s_waitcnt lgkmcnt(0)
	s_barrier
	s_and_saveexec_b64 s[4:5], s[8:9]
	s_cbranch_execz .LBB2069_355
; %bb.354:
	s_waitcnt vmcnt(0)
	ds_read_b32 v14, v19 offset:5116
.LBB2069_355:
	s_or_b64 exec, exec, s[4:5]
	s_waitcnt lgkmcnt(0)
	s_barrier
	s_and_saveexec_b64 s[4:5], s[10:11]
	s_cbranch_execnz .LBB2069_587
; %bb.356:
	s_or_b64 exec, exec, s[4:5]
	s_and_saveexec_b64 s[4:5], s[12:13]
	s_cbranch_execnz .LBB2069_588
.LBB2069_357:
	s_or_b64 exec, exec, s[4:5]
	s_and_saveexec_b64 s[4:5], s[14:15]
	s_cbranch_execnz .LBB2069_589
.LBB2069_358:
	s_or_b64 exec, exec, s[4:5]
	s_and_saveexec_b64 s[4:5], s[16:17]
	s_cbranch_execnz .LBB2069_590
.LBB2069_359:
	s_or_b64 exec, exec, s[4:5]
	s_and_saveexec_b64 s[4:5], s[18:19]
	s_cbranch_execz .LBB2069_361
.LBB2069_360:
	v_lshlrev_b32_e32 v15, 4, v18
	v_mov_b32_e32 v17, s49
	v_add_co_u32_e32 v16, vcc, s48, v15
	v_addc_co_u32_e32 v17, vcc, 0, v17, vcc
	flat_load_dwordx4 v[20:23], v[16:17]
	s_waitcnt vmcnt(0) lgkmcnt(0)
	buffer_store_dword v21, off, s[0:3], 0 offset:164
	buffer_store_dword v20, off, s[0:3], 0 offset:160
	;; [unrolled: 1-line block ×4, first 2 shown]
.LBB2069_361:
	s_or_b64 exec, exec, s[4:5]
	buffer_load_dword v20, off, s[0:3], 0 offset:96
	buffer_load_dword v21, off, s[0:3], 0 offset:100
	;; [unrolled: 1-line block ×4, first 2 shown]
	buffer_load_dword v24, v9, s[0:3], 0 offen
	buffer_load_dword v25, v9, s[0:3], 0 offen offset:4
	buffer_load_dword v26, v9, s[0:3], 0 offen offset:8
	buffer_load_dword v27, v9, s[0:3], 0 offen offset:12
	buffer_load_dword v28, v8, s[0:3], 0 offen
	buffer_load_dword v29, v8, s[0:3], 0 offen offset:4
	buffer_load_dword v30, v8, s[0:3], 0 offen offset:8
	buffer_load_dword v31, v8, s[0:3], 0 offen offset:12
	;; [unrolled: 4-line block ×4, first 2 shown]
	v_mad_u32_u24 v17, v0, 12, v19
	v_lshl_add_u32 v16, v0, 6, v17
	v_mul_u32_u24_e32 v15, 5, v0
	s_mov_b64 s[10:11], 0
	v_cmp_gt_u32_e32 vcc, s54, v15
	s_mov_b64 s[14:15], 0
                                        ; implicit-def: $sgpr4_sgpr5
	s_waitcnt vmcnt(0)
	ds_write_b128 v17, v[20:23]
	ds_write_b128 v17, v[24:27] offset:4096
	ds_write_b128 v17, v[28:31] offset:8192
	;; [unrolled: 1-line block ×4, first 2 shown]
	s_waitcnt lgkmcnt(0)
	s_barrier
	ds_read_b128 v[18:21], v16 offset:16
	ds_read_b128 v[22:25], v16 offset:32
	ds_read_b128 v[26:29], v16 offset:48
	ds_read_b128 v[30:33], v16 offset:64
	s_waitcnt lgkmcnt(3)
	buffer_store_dword v21, v9, s[0:3], 0 offen offset:12
	buffer_store_dword v20, v9, s[0:3], 0 offen offset:8
	buffer_store_dword v19, v9, s[0:3], 0 offen offset:4
	buffer_store_dword v18, v9, s[0:3], 0 offen
	s_waitcnt lgkmcnt(2)
	buffer_store_dword v25, v8, s[0:3], 0 offen offset:12
	buffer_store_dword v24, v8, s[0:3], 0 offen offset:8
	buffer_store_dword v23, v8, s[0:3], 0 offen offset:4
	buffer_store_dword v22, v8, s[0:3], 0 offen
	;; [unrolled: 5-line block ×4, first 2 shown]
	s_and_saveexec_b64 s[12:13], vcc
	s_cbranch_execz .LBB2069_369
; %bb.362:
	ds_read_b128 v[18:21], v16
	v_cmp_ne_u32_e32 vcc, v14, v4
	v_add_u32_e32 v17, 1, v15
	v_cndmask_b32_e64 v14, 0, 1, vcc
	v_cmp_gt_u32_e32 vcc, s54, v17
	s_mov_b64 s[16:17], 0
	s_waitcnt lgkmcnt(0)
	buffer_store_dword v21, off, s[0:3], 0 offset:220
	buffer_store_dword v20, off, s[0:3], 0 offset:216
	;; [unrolled: 1-line block ×4, first 2 shown]
	buffer_store_byte v14, off, s[0:3], 0 offset:224
                                        ; implicit-def: $sgpr18_sgpr19
	s_and_saveexec_b64 s[14:15], vcc
	s_cbranch_execz .LBB2069_368
; %bb.363:
	v_add_u32_e32 v14, 16, v16
	ds_read2_b32 v[18:19], v14 offset0:2 offset1:3
	ds_read2_b32 v[20:21], v14 offset1:1
	v_cmp_ne_u32_e32 vcc, v4, v5
	v_add_u32_e32 v14, 2, v15
	v_cndmask_b32_e64 v4, 0, 1, vcc
	v_cmp_gt_u32_e32 vcc, s54, v14
	s_mov_b64 s[4:5], 0
	s_waitcnt lgkmcnt(1)
	buffer_store_dword v19, v7, s[0:3], 0 offen offset:12
	buffer_store_dword v18, v7, s[0:3], 0 offen offset:8
	s_waitcnt lgkmcnt(0)
	buffer_store_dword v21, v7, s[0:3], 0 offen offset:4
	buffer_store_dword v20, v7, s[0:3], 0 offen
	buffer_store_byte v4, off, s[0:3], 0 offset:244
                                        ; implicit-def: $sgpr18_sgpr19
	s_and_saveexec_b64 s[16:17], vcc
	s_cbranch_execz .LBB2069_367
; %bb.364:
	v_add_u32_e32 v4, 32, v16
	ds_read2_b64 v[18:21], v4 offset1:1
	v_cmp_ne_u32_e32 vcc, v5, v2
	v_add_u32_e32 v5, 3, v15
	v_cndmask_b32_e64 v4, 0, 1, vcc
	v_cmp_gt_u32_e32 vcc, s54, v5
	s_waitcnt lgkmcnt(0)
	buffer_store_dword v21, v10, s[0:3], 0 offen offset:12
	buffer_store_dword v20, v10, s[0:3], 0 offen offset:8
	;; [unrolled: 1-line block ×3, first 2 shown]
	buffer_store_dword v18, v10, s[0:3], 0 offen
	buffer_store_byte v4, off, s[0:3], 0 offset:264
                                        ; implicit-def: $sgpr44_sgpr45
	s_and_saveexec_b64 s[18:19], vcc
	s_xor_b64 s[18:19], exec, s[18:19]
	s_cbranch_execz .LBB2069_366
; %bb.365:
	v_add_u32_e32 v14, 48, v16
	ds_read2_b32 v[4:5], v14 offset0:2 offset1:3
	ds_read2_b32 v[16:17], v14 offset1:1
	v_cmp_ne_u32_e32 vcc, v3, v13
	v_cmp_ne_u32_e64 s[4:5], v2, v3
	v_add_u32_e32 v3, 4, v15
	v_cndmask_b32_e64 v2, 0, 1, s[4:5]
	v_cmp_gt_u32_e64 s[4:5], s54, v3
	s_and_b64 s[44:45], vcc, exec
	s_and_b64 s[4:5], s[4:5], exec
	s_waitcnt lgkmcnt(1)
	buffer_store_dword v5, v11, s[0:3], 0 offen offset:12
	buffer_store_dword v4, v11, s[0:3], 0 offen offset:8
	s_waitcnt lgkmcnt(0)
	buffer_store_dword v17, v11, s[0:3], 0 offen offset:4
	buffer_store_dword v16, v11, s[0:3], 0 offen
	buffer_store_byte v2, off, s[0:3], 0 offset:284
.LBB2069_366:
	s_or_b64 exec, exec, s[18:19]
	s_and_b64 s[18:19], s[44:45], exec
	s_and_b64 s[4:5], s[4:5], exec
.LBB2069_367:
	s_or_b64 exec, exec, s[16:17]
	s_and_b64 s[18:19], s[18:19], exec
	s_and_b64 s[16:17], s[4:5], exec
.LBB2069_368:
	s_or_b64 exec, exec, s[14:15]
	s_and_b64 s[4:5], s[18:19], exec
	s_and_b64 s[14:15], s[16:17], exec
.LBB2069_369:
	s_or_b64 exec, exec, s[12:13]
	s_and_b64 vcc, exec, s[10:11]
	v_lshlrev_b32_e32 v13, 4, v0
	s_cbranch_vccz .LBB2069_26
.LBB2069_370:
	v_lshlrev_b32_e32 v14, 2, v0
	v_mov_b32_e32 v3, s37
	v_add_co_u32_e32 v2, vcc, s36, v14
	v_addc_co_u32_e32 v3, vcc, 0, v3, vcc
	v_add_co_u32_e32 v4, vcc, 0x1000, v2
	v_addc_co_u32_e32 v5, vcc, 0, v3, vcc
	flat_load_dword v16, v[2:3]
	flat_load_dword v17, v[2:3] offset:1024
	flat_load_dword v18, v[2:3] offset:2048
	;; [unrolled: 1-line block ×3, first 2 shown]
	flat_load_dword v20, v[4:5]
	v_add_u32_e32 v15, v14, v13
	s_cmp_eq_u64 s[40:41], 0
	s_waitcnt vmcnt(0) lgkmcnt(0)
	ds_write2st64_b32 v14, v16, v17 offset1:4
	ds_write2st64_b32 v14, v18, v19 offset0:8 offset1:12
	ds_write_b32 v14, v20 offset:4096
	s_waitcnt lgkmcnt(0)
	s_barrier
	ds_read2_b32 v[2:3], v15 offset1:1
	ds_read2_b32 v[4:5], v15 offset0:2 offset1:3
	ds_read_b32 v14, v15 offset:16
	s_cbranch_scc1 .LBB2069_375
; %bb.371:
	s_andn2_b64 vcc, exec, s[38:39]
	s_cbranch_vccnz .LBB2069_592
; %bb.372:
	s_lshl_b64 s[4:5], s[40:41], 2
	s_add_u32 s4, s50, s4
	s_addc_u32 s5, s51, s5
	s_add_u32 s4, s4, -4
	s_addc_u32 s5, s5, -1
	s_cbranch_execnz .LBB2069_374
.LBB2069_373:
	s_add_u32 s4, s36, -4
	s_addc_u32 s5, s37, -1
.LBB2069_374:
	s_mov_b64 s[36:37], s[4:5]
.LBB2069_375:
	v_pk_mov_b32 v[16:17], s[36:37], s[36:37] op_sel:[0,1]
	flat_load_dword v16, v[16:17]
	v_sub_u32_e32 v15, v15, v13
	s_waitcnt lgkmcnt(0)
	ds_write_b32 v15, v14 offset:5120
	s_waitcnt lgkmcnt(0)
	s_barrier
	s_and_saveexec_b64 s[4:5], s[8:9]
	s_cbranch_execz .LBB2069_377
; %bb.376:
	s_waitcnt vmcnt(0)
	ds_read_b32 v16, v15 offset:5116
.LBB2069_377:
	s_or_b64 exec, exec, s[4:5]
	v_mov_b32_e32 v17, s49
	v_add_co_u32_e32 v26, vcc, s48, v13
	v_addc_co_u32_e32 v27, vcc, 0, v17, vcc
	s_waitcnt lgkmcnt(0)
	s_barrier
	flat_load_dwordx4 v[18:21], v[26:27]
	s_movk_i32 s4, 0x1000
	v_add_co_u32_e32 v22, vcc, s4, v26
	v_addc_co_u32_e32 v23, vcc, 0, v27, vcc
	s_movk_i32 s4, 0x2000
	v_add_co_u32_e32 v28, vcc, s4, v26
	v_addc_co_u32_e32 v29, vcc, 0, v27, vcc
	s_movk_i32 s4, 0x3000
	s_mov_b64 s[14:15], -1
	s_waitcnt vmcnt(0) lgkmcnt(0)
	buffer_store_dword v18, off, s[0:3], 0 offset:96
	buffer_store_dword v19, off, s[0:3], 0 offset:100
	;; [unrolled: 1-line block ×4, first 2 shown]
	flat_load_dwordx4 v[22:25], v[22:23]
	s_waitcnt vmcnt(0) lgkmcnt(0)
	buffer_store_dword v23, off, s[0:3], 0 offset:116
	buffer_store_dword v22, off, s[0:3], 0 offset:112
	;; [unrolled: 1-line block ×4, first 2 shown]
	flat_load_dwordx4 v[22:25], v[28:29]
	v_add_co_u32_e32 v28, vcc, s4, v26
	v_addc_co_u32_e32 v29, vcc, 0, v27, vcc
	s_movk_i32 s4, 0x4000
	v_add_co_u32_e32 v34, vcc, s4, v26
	v_addc_co_u32_e32 v35, vcc, 0, v27, vcc
                                        ; kill: killed $vgpr34 killed $vgpr35
	v_cmp_ne_u32_e32 vcc, v4, v5
	v_cndmask_b32_e64 v38, 0, 1, vcc
	v_cmp_ne_u32_e32 vcc, v3, v4
	v_cndmask_b32_e64 v39, 0, 1, vcc
	;; [unrolled: 2-line block ×3, first 2 shown]
	v_cmp_ne_u32_e32 vcc, v16, v2
	v_mad_u32_u24 v2, v0, 12, v15
	v_lshl_add_u32 v42, v0, 6, v2
	v_cmp_ne_u32_e64 s[4:5], v5, v14
	v_cndmask_b32_e64 v41, 0, 1, vcc
	s_waitcnt vmcnt(0) lgkmcnt(0)
	buffer_store_dword v23, off, s[0:3], 0 offset:132
	buffer_store_dword v22, off, s[0:3], 0 offset:128
	;; [unrolled: 1-line block ×4, first 2 shown]
	flat_load_dwordx4 v[22:25], v[28:29]
	s_waitcnt vmcnt(0) lgkmcnt(0)
	buffer_store_dword v23, off, s[0:3], 0 offset:148
	buffer_store_dword v22, off, s[0:3], 0 offset:144
	;; [unrolled: 1-line block ×4, first 2 shown]
	flat_load_dwordx4 v[22:25], v[34:35]
	s_nop 0
	buffer_load_dword v29, v8, s[0:3], 0 offen offset:12
	buffer_load_dword v28, v8, s[0:3], 0 offen offset:8
	;; [unrolled: 1-line block ×3, first 2 shown]
	buffer_load_dword v26, v8, s[0:3], 0 offen
	buffer_load_dword v33, v9, s[0:3], 0 offen offset:12
	buffer_load_dword v32, v9, s[0:3], 0 offen offset:8
	;; [unrolled: 1-line block ×3, first 2 shown]
	buffer_load_dword v30, v9, s[0:3], 0 offen
	s_waitcnt vmcnt(0) lgkmcnt(0)
	buffer_store_dword v23, off, s[0:3], 0 offset:164
	buffer_store_dword v22, off, s[0:3], 0 offset:160
	;; [unrolled: 1-line block ×4, first 2 shown]
	buffer_load_dword v22, v1, s[0:3], 0 offen
	s_nop 0
	buffer_load_dword v37, v6, s[0:3], 0 offen offset:12
	buffer_load_dword v36, v6, s[0:3], 0 offen offset:8
	;; [unrolled: 1-line block ×3, first 2 shown]
	buffer_load_dword v34, v6, s[0:3], 0 offen
	buffer_load_dword v25, v1, s[0:3], 0 offen offset:12
	buffer_load_dword v24, v1, s[0:3], 0 offen offset:8
	;; [unrolled: 1-line block ×3, first 2 shown]
	ds_write_b128 v2, v[18:21]
	ds_write_b128 v2, v[30:33] offset:4096
	ds_write_b128 v2, v[26:29] offset:8192
	s_waitcnt vmcnt(3)
	ds_write_b128 v2, v[34:37] offset:12288
	s_waitcnt vmcnt(0)
	ds_write_b128 v2, v[22:25] offset:16384
	s_waitcnt lgkmcnt(0)
	s_barrier
	ds_read_b128 v[2:5], v42
	ds_read_b128 v[14:17], v42 offset:16
	ds_read_b128 v[18:21], v42 offset:32
	;; [unrolled: 1-line block ×4, first 2 shown]
	buffer_store_byte v41, off, s[0:3], 0 offset:224
	buffer_store_byte v40, off, s[0:3], 0 offset:244
	;; [unrolled: 1-line block ×4, first 2 shown]
	s_waitcnt lgkmcnt(3)
	buffer_store_dword v17, v9, s[0:3], 0 offen offset:12
	buffer_store_dword v16, v9, s[0:3], 0 offen offset:8
	buffer_store_dword v15, v9, s[0:3], 0 offen offset:4
	buffer_store_dword v14, v9, s[0:3], 0 offen
	s_waitcnt lgkmcnt(2)
	buffer_store_dword v21, v8, s[0:3], 0 offen offset:12
	buffer_store_dword v20, v8, s[0:3], 0 offen offset:8
	buffer_store_dword v19, v8, s[0:3], 0 offen offset:4
	buffer_store_dword v18, v8, s[0:3], 0 offen
	;; [unrolled: 5-line block ×4, first 2 shown]
	buffer_store_dword v5, off, s[0:3], 0 offset:220
	buffer_store_dword v4, off, s[0:3], 0 offset:216
	;; [unrolled: 1-line block ×4, first 2 shown]
	buffer_store_dword v17, v7, s[0:3], 0 offen offset:12
	buffer_store_dword v16, v7, s[0:3], 0 offen offset:8
	buffer_store_dword v15, v7, s[0:3], 0 offen offset:4
	buffer_store_dword v14, v7, s[0:3], 0 offen
	buffer_store_dword v21, v10, s[0:3], 0 offen offset:12
	buffer_store_dword v20, v10, s[0:3], 0 offen offset:8
	buffer_store_dword v19, v10, s[0:3], 0 offen offset:4
	buffer_store_dword v18, v10, s[0:3], 0 offen
	;; [unrolled: 4-line block ×3, first 2 shown]
	s_and_saveexec_b64 s[10:11], s[14:15]
	s_cbranch_execnz .LBB2069_27
	s_branch .LBB2069_28
.LBB2069_378:
	s_cbranch_execz .LBB2069_556
; %bb.379:
	s_cmp_lg_u64 s[52:53], 0
	s_cselect_b32 s11, s47, 0
	s_cselect_b32 s10, s46, 0
	s_cmp_lg_u64 s[10:11], 0
	s_cselect_b64 s[4:5], -1, 0
	s_and_b64 s[12:13], s[20:21], s[4:5]
	s_and_saveexec_b64 s[4:5], s[12:13]
	s_cbranch_execz .LBB2069_389
; %bb.380:
	buffer_load_ubyte v1, off, s[0:3], 0 offset:224
                                        ; implicit-def: $vgpr2_vgpr3
                                        ; implicit-def: $vgpr4_vgpr5
	s_waitcnt vmcnt(0)
	v_cmp_ne_u16_e32 vcc, 0, v1
	s_and_saveexec_b64 s[12:13], vcc
	s_xor_b64 s[12:13], exec, s[12:13]
	s_cbranch_execz .LBB2069_382
; %bb.381:
	buffer_load_dword v4, off, s[0:3], 0 offset:208
	buffer_load_dword v5, off, s[0:3], 0 offset:212
	;; [unrolled: 1-line block ×4, first 2 shown]
.LBB2069_382:
	s_andn2_saveexec_b64 s[12:13], s[12:13]
	s_cbranch_execz .LBB2069_388
; %bb.383:
	s_mov_b32 s14, 0
	s_waitcnt vmcnt(1)
	v_mov_b32_e32 v2, 0x60
	s_waitcnt vmcnt(0)
	v_mov_b32_e32 v3, 0
.LBB2069_384:                           ; =>This Inner Loop Header: Depth=1
	v_add_u32_e32 v4, s14, v2
	s_add_i32 s14, s14, 8
	s_cmp_lg_u32 s14, 16
	buffer_store_dword v3, v4, s[0:3], 0 offen offset:4
	buffer_store_dword v3, v4, s[0:3], 0 offen
	s_cbranch_scc1 .LBB2069_384
; %bb.385:
	s_mov_b32 s16, 0
	v_mov_b32_e32 v2, 0
	v_mov_b32_e32 v3, 0xd0
	v_mov_b32_e32 v4, 0x60
	s_mov_b64 s[14:15], s[10:11]
.LBB2069_386:                           ; =>This Inner Loop Header: Depth=1
	v_add_u32_e32 v5, s16, v3
	global_load_dwordx2 v[8:9], v2, s[14:15]
	buffer_load_dword v6, v5, s[0:3], 0 offen
	buffer_load_dword v14, v5, s[0:3], 0 offen offset:4
	s_add_u32 s14, s14, 8
                                        ; kill: killed $vgpr5
	v_add_u32_e32 v5, s16, v4
	s_addc_u32 s15, s15, 0
	s_add_i32 s16, s16, 8
	s_cmp_lg_u32 s16, 16
	s_waitcnt vmcnt(1)
	v_add_u32_e32 v6, v6, v8
	s_waitcnt vmcnt(0)
	v_add_u32_e32 v8, v14, v9
	buffer_store_dword v8, v5, s[0:3], 0 offen offset:4
	buffer_store_dword v6, v5, s[0:3], 0 offen
	s_cbranch_scc1 .LBB2069_386
; %bb.387:
	buffer_load_dword v4, off, s[0:3], 0 offset:96
	buffer_load_dword v5, off, s[0:3], 0 offset:100
	;; [unrolled: 1-line block ×4, first 2 shown]
.LBB2069_388:
	s_or_b64 exec, exec, s[12:13]
	v_mov_b32_e32 v6, 0
	global_load_ubyte v6, v6, s[10:11] offset:16
	s_waitcnt vmcnt(3)
	buffer_store_dword v5, off, s[0:3], 0 offset:212
	buffer_store_dword v4, off, s[0:3], 0 offset:208
	s_waitcnt vmcnt(3)
	buffer_store_dword v3, off, s[0:3], 0 offset:220
	s_waitcnt vmcnt(3)
	v_or_b32_e32 v1, v1, v6
	v_and_b32_e32 v1, 1, v1
	buffer_store_dword v2, off, s[0:3], 0 offset:216
	buffer_store_byte v1, off, s[0:3], 0 offset:224
.LBB2069_389:
	s_or_b64 exec, exec, s[4:5]
	v_mov_b32_e32 v1, 0
	s_mov_b32 s4, 0
	v_mov_b32_e32 v2, 0x4c
	buffer_store_dword v1, off, s[0:3], 0 offset:88
	buffer_store_dword v1, off, s[0:3], 0 offset:84
	;; [unrolled: 1-line block ×5, first 2 shown]
.LBB2069_390:                           ; =>This Inner Loop Header: Depth=1
	v_add_u32_e32 v3, s4, v2
	s_add_i32 s4, s4, 8
	s_cmp_lg_u32 s4, 16
	buffer_store_dword v1, v3, s[0:3], 0 offen offset:4
	buffer_store_dword v1, v3, s[0:3], 0 offen
	s_cbranch_scc1 .LBB2069_390
; %bb.391:
	s_mov_b32 s4, 0
	v_mov_b32_e32 v1, 0
	v_mov_b32_e32 v2, 0x60
	buffer_store_byte v1, off, s[0:3], 0 offset:92
	buffer_store_dword v1, off, s[0:3], 0 offset:112
.LBB2069_392:                           ; =>This Inner Loop Header: Depth=1
	v_add_u32_e32 v3, s4, v2
	s_add_i32 s4, s4, 8
	s_cmp_lg_u32 s4, 16
	buffer_store_dword v1, v3, s[0:3], 0 offen offset:4
	buffer_store_dword v1, v3, s[0:3], 0 offen
	s_cbranch_scc1 .LBB2069_392
; %bb.393:
	buffer_load_dword v2, off, s[0:3], 0 offset:220
	buffer_load_dword v3, off, s[0:3], 0 offset:216
	;; [unrolled: 1-line block ×4, first 2 shown]
	buffer_load_ubyte v6, off, s[0:3], 0 offset:244
	buffer_load_ubyte v1, off, s[0:3], 0 offset:224
	s_waitcnt vmcnt(5)
	buffer_store_dword v2, off, s[0:3], 0 offset:108
	s_waitcnt vmcnt(5)
	buffer_store_dword v3, off, s[0:3], 0 offset:104
	;; [unrolled: 2-line block ×4, first 2 shown]
	s_waitcnt vmcnt(5)
	v_cmp_ne_u16_e32 vcc, 0, v6
                                        ; implicit-def: $vgpr4_vgpr5
                                        ; implicit-def: $vgpr2_vgpr3
	s_and_saveexec_b64 s[4:5], vcc
	s_xor_b64 s[4:5], exec, s[4:5]
	s_cbranch_execz .LBB2069_395
; %bb.394:
	buffer_load_dword v2, off, s[0:3], 0 offset:228
	buffer_load_dword v3, off, s[0:3], 0 offset:232
	;; [unrolled: 1-line block ×4, first 2 shown]
.LBB2069_395:
	s_andn2_saveexec_b64 s[4:5], s[4:5]
	s_cbranch_execz .LBB2069_401
; %bb.396:
	s_mov_b32 s10, 0
	s_waitcnt vmcnt(3)
	v_mov_b32_e32 v2, 16
	s_waitcnt vmcnt(2)
	v_mov_b32_e32 v3, 0
	s_waitcnt vmcnt(0)
.LBB2069_397:                           ; =>This Inner Loop Header: Depth=1
	v_add_u32_e32 v4, s10, v2
	s_add_i32 s10, s10, 8
	s_cmp_lg_u32 s10, 16
	buffer_store_dword v3, v4, s[0:3], 0 offen offset:4
	buffer_store_dword v3, v4, s[0:3], 0 offen
	s_cbranch_scc1 .LBB2069_397
; %bb.398:
	s_mov_b32 s10, 0
	v_mov_b32_e32 v2, 0x60
	v_mov_b32_e32 v3, 0xd0
	;; [unrolled: 1-line block ×3, first 2 shown]
.LBB2069_399:                           ; =>This Inner Loop Header: Depth=1
	v_add_u32_e32 v5, s10, v2
	v_add_u32_e32 v8, s10, v3
	buffer_load_dword v9, v5, s[0:3], 0 offen offset:4
	buffer_load_dword v14, v8, s[0:3], 0 offen offset:20
	buffer_load_dword v15, v5, s[0:3], 0 offen
	buffer_load_dword v16, v8, s[0:3], 0 offen offset:24
                                        ; kill: killed $vgpr5
	v_add_u32_e32 v5, s10, v4
	s_add_i32 s10, s10, 8
	s_cmp_lg_u32 s10, 16
                                        ; kill: killed $vgpr8
	s_waitcnt vmcnt(1)
	v_add_u32_e32 v8, v14, v15
	s_waitcnt vmcnt(0)
	v_add_u32_e32 v9, v16, v9
	buffer_store_dword v9, v5, s[0:3], 0 offen offset:4
	buffer_store_dword v8, v5, s[0:3], 0 offen
	s_cbranch_scc1 .LBB2069_399
; %bb.400:
	buffer_load_dword v2, off, s[0:3], 0 offset:16
	buffer_load_dword v3, off, s[0:3], 0 offset:20
	;; [unrolled: 1-line block ×4, first 2 shown]
.LBB2069_401:
	s_or_b64 exec, exec, s[4:5]
	buffer_load_ubyte v8, off, s[0:3], 0 offset:264
	s_waitcnt vmcnt(3)
	buffer_store_dword v3, off, s[0:3], 0 offset:100
	buffer_store_dword v2, off, s[0:3], 0 offset:96
	s_waitcnt vmcnt(3)
	buffer_store_dword v5, off, s[0:3], 0 offset:108
	buffer_store_dword v4, off, s[0:3], 0 offset:104
                                        ; implicit-def: $vgpr4_vgpr5
                                        ; implicit-def: $vgpr2_vgpr3
	s_waitcnt vmcnt(4)
	v_cmp_ne_u16_e32 vcc, 0, v8
	s_and_saveexec_b64 s[4:5], vcc
	s_xor_b64 s[4:5], exec, s[4:5]
	s_cbranch_execz .LBB2069_403
; %bb.402:
	buffer_load_dword v2, off, s[0:3], 0 offset:248
	buffer_load_dword v3, off, s[0:3], 0 offset:252
	;; [unrolled: 1-line block ×4, first 2 shown]
.LBB2069_403:
	s_andn2_saveexec_b64 s[4:5], s[4:5]
	s_cbranch_execz .LBB2069_409
; %bb.404:
	s_mov_b32 s10, 0
	s_waitcnt vmcnt(3)
	v_mov_b32_e32 v2, 16
	s_waitcnt vmcnt(2)
	v_mov_b32_e32 v3, 0
	s_waitcnt vmcnt(0)
.LBB2069_405:                           ; =>This Inner Loop Header: Depth=1
	v_add_u32_e32 v4, s10, v2
	s_add_i32 s10, s10, 8
	s_cmp_lg_u32 s10, 16
	buffer_store_dword v3, v4, s[0:3], 0 offen offset:4
	buffer_store_dword v3, v4, s[0:3], 0 offen
	s_cbranch_scc1 .LBB2069_405
; %bb.406:
	s_mov_b32 s10, 0
	v_mov_b32_e32 v2, 0x60
	v_mov_b32_e32 v3, 0xd0
	;; [unrolled: 1-line block ×3, first 2 shown]
.LBB2069_407:                           ; =>This Inner Loop Header: Depth=1
	v_add_u32_e32 v5, s10, v2
	v_add_u32_e32 v9, s10, v3
	buffer_load_dword v14, v5, s[0:3], 0 offen offset:4
	buffer_load_dword v15, v9, s[0:3], 0 offen offset:40
	buffer_load_dword v16, v5, s[0:3], 0 offen
	buffer_load_dword v17, v9, s[0:3], 0 offen offset:44
                                        ; kill: killed $vgpr5
	v_add_u32_e32 v5, s10, v4
	s_add_i32 s10, s10, 8
	s_cmp_lg_u32 s10, 16
                                        ; kill: killed $vgpr9
	s_waitcnt vmcnt(1)
	v_add_u32_e32 v9, v15, v16
	s_waitcnt vmcnt(0)
	v_add_u32_e32 v14, v17, v14
	buffer_store_dword v14, v5, s[0:3], 0 offen offset:4
	buffer_store_dword v9, v5, s[0:3], 0 offen
	s_cbranch_scc1 .LBB2069_407
; %bb.408:
	buffer_load_dword v2, off, s[0:3], 0 offset:16
	buffer_load_dword v3, off, s[0:3], 0 offset:20
	;; [unrolled: 1-line block ×4, first 2 shown]
.LBB2069_409:
	s_or_b64 exec, exec, s[4:5]
	buffer_load_ubyte v9, off, s[0:3], 0 offset:284
	s_waitcnt vmcnt(3)
	buffer_store_dword v3, off, s[0:3], 0 offset:100
	buffer_store_dword v2, off, s[0:3], 0 offset:96
	s_waitcnt vmcnt(3)
	buffer_store_dword v5, off, s[0:3], 0 offset:108
	buffer_store_dword v4, off, s[0:3], 0 offset:104
                                        ; implicit-def: $vgpr4_vgpr5
                                        ; implicit-def: $vgpr2_vgpr3
	s_waitcnt vmcnt(4)
	v_cmp_ne_u16_e32 vcc, 0, v9
	s_and_saveexec_b64 s[4:5], vcc
	s_xor_b64 s[4:5], exec, s[4:5]
	s_cbranch_execz .LBB2069_411
; %bb.410:
	buffer_load_dword v2, off, s[0:3], 0 offset:268
	buffer_load_dword v3, off, s[0:3], 0 offset:272
	;; [unrolled: 1-line block ×4, first 2 shown]
.LBB2069_411:
	s_andn2_saveexec_b64 s[4:5], s[4:5]
	s_cbranch_execz .LBB2069_417
; %bb.412:
	s_mov_b32 s10, 0
	s_waitcnt vmcnt(3)
	v_mov_b32_e32 v2, 16
	s_waitcnt vmcnt(2)
	v_mov_b32_e32 v3, 0
	s_waitcnt vmcnt(0)
.LBB2069_413:                           ; =>This Inner Loop Header: Depth=1
	v_add_u32_e32 v4, s10, v2
	s_add_i32 s10, s10, 8
	s_cmp_lg_u32 s10, 16
	buffer_store_dword v3, v4, s[0:3], 0 offen offset:4
	buffer_store_dword v3, v4, s[0:3], 0 offen
	s_cbranch_scc1 .LBB2069_413
; %bb.414:
	s_mov_b32 s10, 0
	v_mov_b32_e32 v2, 0x60
	v_mov_b32_e32 v3, 0xd0
	;; [unrolled: 1-line block ×3, first 2 shown]
.LBB2069_415:                           ; =>This Inner Loop Header: Depth=1
	v_add_u32_e32 v5, s10, v2
	v_add_u32_e32 v14, s10, v3
	buffer_load_dword v15, v5, s[0:3], 0 offen offset:4
	buffer_load_dword v16, v14, s[0:3], 0 offen offset:60
	buffer_load_dword v17, v5, s[0:3], 0 offen
	buffer_load_dword v18, v14, s[0:3], 0 offen offset:64
                                        ; kill: killed $vgpr5
	v_add_u32_e32 v5, s10, v4
	s_add_i32 s10, s10, 8
	s_cmp_lg_u32 s10, 16
                                        ; kill: killed $vgpr14
	s_waitcnt vmcnt(1)
	v_add_u32_e32 v14, v16, v17
	s_waitcnt vmcnt(0)
	v_add_u32_e32 v15, v18, v15
	buffer_store_dword v15, v5, s[0:3], 0 offen offset:4
	buffer_store_dword v14, v5, s[0:3], 0 offen
	s_cbranch_scc1 .LBB2069_415
; %bb.416:
	buffer_load_dword v2, off, s[0:3], 0 offset:16
	buffer_load_dword v3, off, s[0:3], 0 offset:20
	;; [unrolled: 1-line block ×4, first 2 shown]
.LBB2069_417:
	s_or_b64 exec, exec, s[4:5]
	buffer_load_ubyte v14, off, s[0:3], 0 offset:304
	s_waitcnt vmcnt(3)
	buffer_store_dword v3, off, s[0:3], 0 offset:100
	buffer_store_dword v2, off, s[0:3], 0 offset:96
	s_waitcnt vmcnt(3)
	buffer_store_dword v5, off, s[0:3], 0 offset:108
	buffer_store_dword v4, off, s[0:3], 0 offset:104
                                        ; implicit-def: $vgpr4_vgpr5
                                        ; implicit-def: $vgpr2_vgpr3
	s_waitcnt vmcnt(4)
	v_cmp_ne_u16_e32 vcc, 0, v14
	s_and_saveexec_b64 s[4:5], vcc
	s_xor_b64 s[4:5], exec, s[4:5]
	s_cbranch_execz .LBB2069_419
; %bb.418:
	buffer_load_dword v2, off, s[0:3], 0 offset:288
	buffer_load_dword v3, off, s[0:3], 0 offset:292
	;; [unrolled: 1-line block ×4, first 2 shown]
.LBB2069_419:
	s_andn2_saveexec_b64 s[4:5], s[4:5]
	s_cbranch_execz .LBB2069_425
; %bb.420:
	s_mov_b32 s10, 0
	s_waitcnt vmcnt(3)
	v_mov_b32_e32 v2, 16
	s_waitcnt vmcnt(2)
	v_mov_b32_e32 v3, 0
	s_waitcnt vmcnt(0)
.LBB2069_421:                           ; =>This Inner Loop Header: Depth=1
	v_add_u32_e32 v4, s10, v2
	s_add_i32 s10, s10, 8
	s_cmp_lg_u32 s10, 16
	buffer_store_dword v3, v4, s[0:3], 0 offen offset:4
	buffer_store_dword v3, v4, s[0:3], 0 offen
	s_cbranch_scc1 .LBB2069_421
; %bb.422:
	s_mov_b32 s10, 0
	v_mov_b32_e32 v2, 0x60
	v_mov_b32_e32 v3, 0xd0
	;; [unrolled: 1-line block ×3, first 2 shown]
.LBB2069_423:                           ; =>This Inner Loop Header: Depth=1
	v_add_u32_e32 v5, s10, v2
	v_add_u32_e32 v15, s10, v3
	buffer_load_dword v16, v5, s[0:3], 0 offen offset:4
	buffer_load_dword v17, v15, s[0:3], 0 offen offset:80
	buffer_load_dword v18, v5, s[0:3], 0 offen
	buffer_load_dword v19, v15, s[0:3], 0 offen offset:84
                                        ; kill: killed $vgpr5
	v_add_u32_e32 v5, s10, v4
	s_add_i32 s10, s10, 8
	s_cmp_lg_u32 s10, 16
                                        ; kill: killed $vgpr15
	s_waitcnt vmcnt(1)
	v_add_u32_e32 v15, v17, v18
	s_waitcnt vmcnt(0)
	v_add_u32_e32 v16, v19, v16
	buffer_store_dword v16, v5, s[0:3], 0 offen offset:4
	buffer_store_dword v15, v5, s[0:3], 0 offen
	s_cbranch_scc1 .LBB2069_423
; %bb.424:
	buffer_load_dword v2, off, s[0:3], 0 offset:16
	buffer_load_dword v3, off, s[0:3], 0 offset:20
	;; [unrolled: 1-line block ×4, first 2 shown]
.LBB2069_425:
	s_or_b64 exec, exec, s[4:5]
	buffer_load_ushort v15, off, s[0:3], 0 offset:113
	buffer_load_sbyte v16, off, s[0:3], 0 offset:115
	v_or_b32_e32 v9, v14, v9
	v_or_b32_e32 v9, v9, v8
	;; [unrolled: 1-line block ×3, first 2 shown]
	v_mbcnt_lo_u32_b32 v14, -1, 0
	v_or_b32_e32 v1, v9, v1
	v_mbcnt_hi_u32_b32 v8, -1, v14
	v_and_b32_e32 v1, 1, v1
	v_and_b32_e32 v6, 15, v8
	s_waitcnt vmcnt(5)
	v_mov_b32_dpp v17, v2 row_shr:1 row_mask:0xf bank_mask:0xf
	v_cmp_ne_u32_e32 vcc, 0, v6
	s_waitcnt vmcnt(4)
	buffer_store_dword v3, off, s[0:3], 0 offset:60
	buffer_store_dword v2, off, s[0:3], 0 offset:56
	s_waitcnt vmcnt(4)
	buffer_store_dword v5, off, s[0:3], 0 offset:68
	buffer_store_dword v4, off, s[0:3], 0 offset:64
	v_mov_b32_dpp v18, v3 row_shr:1 row_mask:0xf bank_mask:0xf
	v_mov_b32_dpp v19, v4 row_shr:1 row_mask:0xf bank_mask:0xf
	v_mov_b32_dpp v20, v5 row_shr:1 row_mask:0xf bank_mask:0xf
	buffer_store_dword v17, off, s[0:3], 0 offset:96
	buffer_store_dword v18, off, s[0:3], 0 offset:100
	;; [unrolled: 1-line block ×4, first 2 shown]
	s_waitcnt vmcnt(9)
	v_lshrrev_b32_e32 v9, 8, v15
	v_lshlrev_b16_e32 v14, 8, v15
	s_waitcnt vmcnt(8)
	v_lshlrev_b16_e32 v15, 8, v16
	v_or_b32_e32 v1, v1, v14
	v_or_b32_sdwa v9, v9, v15 dst_sel:WORD_1 dst_unused:UNUSED_PAD src0_sel:BYTE_0 src1_sel:DWORD
	v_or_b32_sdwa v9, v1, v9 dst_sel:DWORD dst_unused:UNUSED_PAD src0_sel:WORD_0 src1_sel:DWORD
	buffer_store_dword v9, off, s[0:3], 0 offset:72
	s_nop 0
	v_mov_b32_dpp v14, v9 row_shr:1 row_mask:0xf bank_mask:0xf
	buffer_store_dword v14, off, s[0:3], 0 offset:112
	s_and_saveexec_b64 s[4:5], vcc
	s_cbranch_execz .LBB2069_433
; %bb.426:
	v_mov_b32_e32 v15, 0
	v_cmp_eq_u16_sdwa s[12:13], v1, v15 src0_sel:BYTE_0 src1_sel:DWORD
	s_and_saveexec_b64 s[10:11], s[12:13]
	s_cbranch_execz .LBB2069_432
; %bb.427:
	s_mov_b32 s12, 0
	v_mov_b32_e32 v1, 16
.LBB2069_428:                           ; =>This Inner Loop Header: Depth=1
	v_add_u32_e32 v2, s12, v1
	s_add_i32 s12, s12, 8
	s_cmp_lg_u32 s12, 16
	buffer_store_dword v15, v2, s[0:3], 0 offen offset:4
	buffer_store_dword v15, v2, s[0:3], 0 offen
	s_cbranch_scc1 .LBB2069_428
; %bb.429:
	s_mov_b32 s12, 0
	v_mov_b32_e32 v1, 0x60
	v_mov_b32_e32 v2, 56
	;; [unrolled: 1-line block ×3, first 2 shown]
.LBB2069_430:                           ; =>This Inner Loop Header: Depth=1
	v_add_u32_e32 v4, s12, v1
	v_add_u32_e32 v5, s12, v2
	buffer_load_dword v15, v4, s[0:3], 0 offen offset:4
	buffer_load_dword v16, v5, s[0:3], 0 offen
	buffer_load_dword v17, v4, s[0:3], 0 offen
	buffer_load_dword v18, v5, s[0:3], 0 offen offset:4
                                        ; kill: killed $vgpr4
	v_add_u32_e32 v4, s12, v3
	s_add_i32 s12, s12, 8
	s_cmp_lg_u32 s12, 16
                                        ; kill: killed $vgpr5
	s_waitcnt vmcnt(1)
	v_add_u32_e32 v5, v16, v17
	s_waitcnt vmcnt(0)
	v_add_u32_e32 v15, v18, v15
	buffer_store_dword v15, v4, s[0:3], 0 offen offset:4
	buffer_store_dword v5, v4, s[0:3], 0 offen
	s_cbranch_scc1 .LBB2069_430
; %bb.431:
	buffer_load_dword v2, off, s[0:3], 0 offset:16
	buffer_load_dword v3, off, s[0:3], 0 offset:20
	;; [unrolled: 1-line block ×4, first 2 shown]
.LBB2069_432:
	s_or_b64 exec, exec, s[10:11]
	v_or_b32_e32 v1, v14, v9
	v_and_b32_e32 v1, 1, v1
	buffer_store_byte v1, off, s[0:3], 0 offset:72
	buffer_load_dword v9, off, s[0:3], 0 offset:72
	s_waitcnt vmcnt(4)
	buffer_store_dword v3, off, s[0:3], 0 offset:60
	buffer_store_dword v2, off, s[0:3], 0 offset:56
	s_waitcnt vmcnt(4)
	buffer_store_dword v5, off, s[0:3], 0 offset:68
	buffer_store_dword v4, off, s[0:3], 0 offset:64
	s_waitcnt vmcnt(4)
	v_mov_b32_e32 v1, v9
.LBB2069_433:
	s_or_b64 exec, exec, s[4:5]
	v_mov_b32_dpp v15, v2 row_shr:2 row_mask:0xf bank_mask:0xf
	v_mov_b32_dpp v14, v9 row_shr:2 row_mask:0xf bank_mask:0xf
	v_cmp_lt_u32_e32 vcc, 1, v6
	v_mov_b32_dpp v16, v3 row_shr:2 row_mask:0xf bank_mask:0xf
	v_mov_b32_dpp v17, v4 row_shr:2 row_mask:0xf bank_mask:0xf
	;; [unrolled: 1-line block ×3, first 2 shown]
	buffer_store_dword v15, off, s[0:3], 0 offset:96
	buffer_store_dword v16, off, s[0:3], 0 offset:100
	;; [unrolled: 1-line block ×5, first 2 shown]
	s_and_saveexec_b64 s[10:11], vcc
	s_cbranch_execz .LBB2069_441
; %bb.434:
	v_mov_b32_e32 v9, 0
	s_mov_b32 s12, 0
	v_cmp_eq_u16_sdwa s[14:15], v1, v9 src0_sel:BYTE_0 src1_sel:DWORD
	s_and_saveexec_b64 s[4:5], s[14:15]
	s_cbranch_execz .LBB2069_440
; %bb.435:
	v_mov_b32_e32 v2, 16
.LBB2069_436:                           ; =>This Inner Loop Header: Depth=1
	v_add_u32_e32 v3, s12, v2
	s_add_i32 s12, s12, 8
	s_cmp_lg_u32 s12, 16
	buffer_store_dword v9, v3, s[0:3], 0 offen offset:4
	buffer_store_dword v9, v3, s[0:3], 0 offen
	s_cbranch_scc1 .LBB2069_436
; %bb.437:
	s_mov_b32 s12, 0
	v_mov_b32_e32 v2, 0x60
	v_mov_b32_e32 v3, 56
	;; [unrolled: 1-line block ×3, first 2 shown]
.LBB2069_438:                           ; =>This Inner Loop Header: Depth=1
	v_add_u32_e32 v5, s12, v2
	v_add_u32_e32 v9, s12, v3
	buffer_load_dword v15, v5, s[0:3], 0 offen offset:4
	buffer_load_dword v16, v9, s[0:3], 0 offen
	buffer_load_dword v17, v5, s[0:3], 0 offen
	buffer_load_dword v18, v9, s[0:3], 0 offen offset:4
                                        ; kill: killed $vgpr5
	v_add_u32_e32 v5, s12, v4
	s_add_i32 s12, s12, 8
	s_cmp_lg_u32 s12, 16
                                        ; kill: killed $vgpr9
	s_waitcnt vmcnt(1)
	v_add_u32_e32 v9, v16, v17
	s_waitcnt vmcnt(0)
	v_add_u32_e32 v15, v18, v15
	buffer_store_dword v15, v5, s[0:3], 0 offen offset:4
	buffer_store_dword v9, v5, s[0:3], 0 offen
	s_cbranch_scc1 .LBB2069_438
; %bb.439:
	buffer_load_dword v2, off, s[0:3], 0 offset:16
	buffer_load_dword v3, off, s[0:3], 0 offset:20
	;; [unrolled: 1-line block ×4, first 2 shown]
.LBB2069_440:
	s_or_b64 exec, exec, s[4:5]
	v_and_b32_e32 v1, 1, v1
	v_cmp_eq_u32_e32 vcc, 1, v1
	v_and_b32_e32 v1, 1, v14
	v_cmp_eq_u32_e64 s[4:5], 1, v1
	s_or_b64 s[4:5], vcc, s[4:5]
	v_cndmask_b32_e64 v1, 0, 1, s[4:5]
	buffer_store_byte v1, off, s[0:3], 0 offset:72
	buffer_load_dword v9, off, s[0:3], 0 offset:72
	s_waitcnt vmcnt(4)
	buffer_store_dword v3, off, s[0:3], 0 offset:60
	buffer_store_dword v2, off, s[0:3], 0 offset:56
	s_waitcnt vmcnt(4)
	buffer_store_dword v5, off, s[0:3], 0 offset:68
	buffer_store_dword v4, off, s[0:3], 0 offset:64
	s_waitcnt vmcnt(4)
	v_mov_b32_e32 v1, v9
.LBB2069_441:
	s_or_b64 exec, exec, s[10:11]
	v_mov_b32_dpp v15, v2 row_shr:4 row_mask:0xf bank_mask:0xf
	v_mov_b32_dpp v14, v9 row_shr:4 row_mask:0xf bank_mask:0xf
	v_cmp_lt_u32_e32 vcc, 3, v6
	v_mov_b32_dpp v16, v3 row_shr:4 row_mask:0xf bank_mask:0xf
	v_mov_b32_dpp v17, v4 row_shr:4 row_mask:0xf bank_mask:0xf
	;; [unrolled: 1-line block ×3, first 2 shown]
	buffer_store_dword v15, off, s[0:3], 0 offset:96
	buffer_store_dword v16, off, s[0:3], 0 offset:100
	buffer_store_dword v17, off, s[0:3], 0 offset:104
	buffer_store_dword v18, off, s[0:3], 0 offset:108
	buffer_store_dword v14, off, s[0:3], 0 offset:112
	s_and_saveexec_b64 s[10:11], vcc
	s_cbranch_execz .LBB2069_449
; %bb.442:
	v_mov_b32_e32 v9, 0
	s_mov_b32 s12, 0
	v_cmp_eq_u16_sdwa s[14:15], v1, v9 src0_sel:BYTE_0 src1_sel:DWORD
	s_and_saveexec_b64 s[4:5], s[14:15]
	s_cbranch_execz .LBB2069_448
; %bb.443:
	v_mov_b32_e32 v2, 16
.LBB2069_444:                           ; =>This Inner Loop Header: Depth=1
	v_add_u32_e32 v3, s12, v2
	s_add_i32 s12, s12, 8
	s_cmp_lg_u32 s12, 16
	buffer_store_dword v9, v3, s[0:3], 0 offen offset:4
	buffer_store_dword v9, v3, s[0:3], 0 offen
	s_cbranch_scc1 .LBB2069_444
; %bb.445:
	s_mov_b32 s12, 0
	v_mov_b32_e32 v2, 0x60
	v_mov_b32_e32 v3, 56
	;; [unrolled: 1-line block ×3, first 2 shown]
.LBB2069_446:                           ; =>This Inner Loop Header: Depth=1
	v_add_u32_e32 v5, s12, v2
	v_add_u32_e32 v9, s12, v3
	buffer_load_dword v15, v5, s[0:3], 0 offen offset:4
	buffer_load_dword v16, v9, s[0:3], 0 offen
	buffer_load_dword v17, v5, s[0:3], 0 offen
	buffer_load_dword v18, v9, s[0:3], 0 offen offset:4
                                        ; kill: killed $vgpr5
	v_add_u32_e32 v5, s12, v4
	s_add_i32 s12, s12, 8
	s_cmp_lg_u32 s12, 16
                                        ; kill: killed $vgpr9
	s_waitcnt vmcnt(1)
	v_add_u32_e32 v9, v16, v17
	s_waitcnt vmcnt(0)
	v_add_u32_e32 v15, v18, v15
	buffer_store_dword v15, v5, s[0:3], 0 offen offset:4
	buffer_store_dword v9, v5, s[0:3], 0 offen
	s_cbranch_scc1 .LBB2069_446
; %bb.447:
	buffer_load_dword v2, off, s[0:3], 0 offset:16
	buffer_load_dword v3, off, s[0:3], 0 offset:20
	;; [unrolled: 1-line block ×4, first 2 shown]
.LBB2069_448:
	s_or_b64 exec, exec, s[4:5]
	v_and_b32_e32 v1, 1, v1
	v_cmp_eq_u32_e32 vcc, 1, v1
	v_and_b32_e32 v1, 1, v14
	v_cmp_eq_u32_e64 s[4:5], 1, v1
	s_or_b64 s[4:5], vcc, s[4:5]
	v_cndmask_b32_e64 v1, 0, 1, s[4:5]
	buffer_store_byte v1, off, s[0:3], 0 offset:72
	buffer_load_dword v9, off, s[0:3], 0 offset:72
	s_waitcnt vmcnt(4)
	buffer_store_dword v3, off, s[0:3], 0 offset:60
	buffer_store_dword v2, off, s[0:3], 0 offset:56
	s_waitcnt vmcnt(4)
	buffer_store_dword v5, off, s[0:3], 0 offset:68
	buffer_store_dword v4, off, s[0:3], 0 offset:64
	s_waitcnt vmcnt(4)
	v_mov_b32_e32 v1, v9
.LBB2069_449:
	s_or_b64 exec, exec, s[10:11]
	v_mov_b32_dpp v15, v2 row_shr:8 row_mask:0xf bank_mask:0xf
	v_mov_b32_dpp v14, v9 row_shr:8 row_mask:0xf bank_mask:0xf
	v_cmp_lt_u32_e32 vcc, 7, v6
	v_mov_b32_dpp v16, v3 row_shr:8 row_mask:0xf bank_mask:0xf
	v_mov_b32_dpp v17, v4 row_shr:8 row_mask:0xf bank_mask:0xf
	;; [unrolled: 1-line block ×3, first 2 shown]
	buffer_store_dword v15, off, s[0:3], 0 offset:96
	buffer_store_dword v16, off, s[0:3], 0 offset:100
	;; [unrolled: 1-line block ×5, first 2 shown]
	s_and_saveexec_b64 s[10:11], vcc
	s_cbranch_execz .LBB2069_457
; %bb.450:
	v_mov_b32_e32 v6, 0
	s_mov_b32 s12, 0
	v_cmp_eq_u16_sdwa s[14:15], v1, v6 src0_sel:BYTE_0 src1_sel:DWORD
	s_and_saveexec_b64 s[4:5], s[14:15]
	s_cbranch_execz .LBB2069_456
; %bb.451:
	v_mov_b32_e32 v2, 16
.LBB2069_452:                           ; =>This Inner Loop Header: Depth=1
	v_add_u32_e32 v3, s12, v2
	s_add_i32 s12, s12, 8
	s_cmp_lg_u32 s12, 16
	buffer_store_dword v6, v3, s[0:3], 0 offen offset:4
	buffer_store_dword v6, v3, s[0:3], 0 offen
	s_cbranch_scc1 .LBB2069_452
; %bb.453:
	s_mov_b32 s12, 0
	v_mov_b32_e32 v2, 0x60
	v_mov_b32_e32 v3, 56
	;; [unrolled: 1-line block ×3, first 2 shown]
.LBB2069_454:                           ; =>This Inner Loop Header: Depth=1
	v_add_u32_e32 v5, s12, v2
	v_add_u32_e32 v6, s12, v3
	buffer_load_dword v9, v5, s[0:3], 0 offen offset:4
	buffer_load_dword v15, v6, s[0:3], 0 offen
	buffer_load_dword v16, v5, s[0:3], 0 offen
	buffer_load_dword v17, v6, s[0:3], 0 offen offset:4
                                        ; kill: killed $vgpr5
	v_add_u32_e32 v5, s12, v4
	s_add_i32 s12, s12, 8
	s_cmp_lg_u32 s12, 16
                                        ; kill: killed $vgpr6
	s_waitcnt vmcnt(1)
	v_add_u32_e32 v6, v15, v16
	s_waitcnt vmcnt(0)
	v_add_u32_e32 v9, v17, v9
	buffer_store_dword v9, v5, s[0:3], 0 offen offset:4
	buffer_store_dword v6, v5, s[0:3], 0 offen
	s_cbranch_scc1 .LBB2069_454
; %bb.455:
	buffer_load_dword v2, off, s[0:3], 0 offset:16
	buffer_load_dword v3, off, s[0:3], 0 offset:20
	;; [unrolled: 1-line block ×4, first 2 shown]
.LBB2069_456:
	s_or_b64 exec, exec, s[4:5]
	v_and_b32_e32 v1, 1, v1
	v_cmp_eq_u32_e32 vcc, 1, v1
	v_and_b32_e32 v1, 1, v14
	v_cmp_eq_u32_e64 s[4:5], 1, v1
	s_or_b64 s[4:5], vcc, s[4:5]
	v_cndmask_b32_e64 v1, 0, 1, s[4:5]
	buffer_store_byte v1, off, s[0:3], 0 offset:72
	buffer_load_dword v9, off, s[0:3], 0 offset:72
	s_waitcnt vmcnt(4)
	buffer_store_dword v3, off, s[0:3], 0 offset:60
	buffer_store_dword v2, off, s[0:3], 0 offset:56
	s_waitcnt vmcnt(4)
	buffer_store_dword v5, off, s[0:3], 0 offset:68
	buffer_store_dword v4, off, s[0:3], 0 offset:64
	s_waitcnt vmcnt(4)
	v_mov_b32_e32 v1, v9
.LBB2069_457:
	s_or_b64 exec, exec, s[10:11]
	v_mov_b32_dpp v14, v2 row_bcast:15 row_mask:0xf bank_mask:0xf
	v_mov_b32_dpp v15, v3 row_bcast:15 row_mask:0xf bank_mask:0xf
	;; [unrolled: 1-line block ×5, first 2 shown]
	buffer_store_dword v14, off, s[0:3], 0 offset:96
	buffer_store_dword v15, off, s[0:3], 0 offset:100
	;; [unrolled: 1-line block ×5, first 2 shown]
	v_and_b32_e32 v14, 16, v8
	v_cmp_ne_u32_e32 vcc, 0, v14
	s_and_saveexec_b64 s[10:11], vcc
	s_cbranch_execz .LBB2069_465
; %bb.458:
	v_mov_b32_e32 v9, 0
	s_mov_b32 s12, 0
	v_cmp_eq_u16_sdwa s[14:15], v1, v9 src0_sel:BYTE_0 src1_sel:DWORD
	s_and_saveexec_b64 s[4:5], s[14:15]
	s_cbranch_execz .LBB2069_464
; %bb.459:
	v_mov_b32_e32 v2, 16
.LBB2069_460:                           ; =>This Inner Loop Header: Depth=1
	v_add_u32_e32 v3, s12, v2
	s_add_i32 s12, s12, 8
	s_cmp_lg_u32 s12, 16
	buffer_store_dword v9, v3, s[0:3], 0 offen offset:4
	buffer_store_dword v9, v3, s[0:3], 0 offen
	s_cbranch_scc1 .LBB2069_460
; %bb.461:
	s_mov_b32 s12, 0
	v_mov_b32_e32 v2, 0x60
	v_mov_b32_e32 v3, 56
	v_mov_b32_e32 v4, 16
.LBB2069_462:                           ; =>This Inner Loop Header: Depth=1
	v_add_u32_e32 v5, s12, v2
	v_add_u32_e32 v9, s12, v3
	buffer_load_dword v14, v5, s[0:3], 0 offen offset:4
	buffer_load_dword v15, v9, s[0:3], 0 offen
	buffer_load_dword v16, v5, s[0:3], 0 offen
	buffer_load_dword v17, v9, s[0:3], 0 offen offset:4
                                        ; kill: killed $vgpr5
	v_add_u32_e32 v5, s12, v4
	s_add_i32 s12, s12, 8
	s_cmp_lg_u32 s12, 16
                                        ; kill: killed $vgpr9
	s_waitcnt vmcnt(1)
	v_add_u32_e32 v9, v15, v16
	s_waitcnt vmcnt(0)
	v_add_u32_e32 v14, v17, v14
	buffer_store_dword v14, v5, s[0:3], 0 offen offset:4
	buffer_store_dword v9, v5, s[0:3], 0 offen
	s_cbranch_scc1 .LBB2069_462
; %bb.463:
	buffer_load_dword v2, off, s[0:3], 0 offset:16
	buffer_load_dword v3, off, s[0:3], 0 offset:20
	;; [unrolled: 1-line block ×4, first 2 shown]
.LBB2069_464:
	s_or_b64 exec, exec, s[4:5]
	v_and_b32_e32 v1, 1, v1
	v_cmp_eq_u32_e32 vcc, 1, v1
	v_and_b32_e32 v1, 1, v6
	v_cmp_eq_u32_e64 s[4:5], 1, v1
	s_or_b64 s[4:5], vcc, s[4:5]
	v_cndmask_b32_e64 v1, 0, 1, s[4:5]
	buffer_store_byte v1, off, s[0:3], 0 offset:72
	buffer_load_dword v9, off, s[0:3], 0 offset:72
	s_waitcnt vmcnt(4)
	buffer_store_dword v3, off, s[0:3], 0 offset:60
	buffer_store_dword v2, off, s[0:3], 0 offset:56
	s_waitcnt vmcnt(4)
	buffer_store_dword v5, off, s[0:3], 0 offset:68
	buffer_store_dword v4, off, s[0:3], 0 offset:64
	s_waitcnt vmcnt(4)
	v_mov_b32_e32 v1, v9
.LBB2069_465:
	s_or_b64 exec, exec, s[10:11]
	v_mov_b32_dpp v14, v2 row_bcast:31 row_mask:0xf bank_mask:0xf
	v_mov_b32_dpp v6, v9 row_bcast:31 row_mask:0xf bank_mask:0xf
	v_cmp_lt_u32_e32 vcc, 31, v8
	v_mov_b32_dpp v15, v3 row_bcast:31 row_mask:0xf bank_mask:0xf
	v_mov_b32_dpp v16, v4 row_bcast:31 row_mask:0xf bank_mask:0xf
	;; [unrolled: 1-line block ×3, first 2 shown]
	buffer_store_dword v14, off, s[0:3], 0 offset:96
	buffer_store_dword v15, off, s[0:3], 0 offset:100
	;; [unrolled: 1-line block ×5, first 2 shown]
	s_and_saveexec_b64 s[10:11], vcc
	s_cbranch_execz .LBB2069_473
; %bb.466:
	v_mov_b32_e32 v9, 0
	s_mov_b32 s12, 0
	v_cmp_eq_u16_sdwa s[14:15], v1, v9 src0_sel:BYTE_0 src1_sel:DWORD
	s_and_saveexec_b64 s[4:5], s[14:15]
	s_cbranch_execz .LBB2069_472
; %bb.467:
	v_mov_b32_e32 v2, 16
.LBB2069_468:                           ; =>This Inner Loop Header: Depth=1
	v_add_u32_e32 v3, s12, v2
	s_add_i32 s12, s12, 8
	s_cmp_lg_u32 s12, 16
	buffer_store_dword v9, v3, s[0:3], 0 offen offset:4
	buffer_store_dword v9, v3, s[0:3], 0 offen
	s_cbranch_scc1 .LBB2069_468
; %bb.469:
	s_mov_b32 s12, 0
	v_mov_b32_e32 v2, 0x60
	v_mov_b32_e32 v3, 56
	;; [unrolled: 1-line block ×3, first 2 shown]
.LBB2069_470:                           ; =>This Inner Loop Header: Depth=1
	v_add_u32_e32 v5, s12, v2
	v_add_u32_e32 v9, s12, v3
	buffer_load_dword v14, v5, s[0:3], 0 offen offset:4
	buffer_load_dword v15, v9, s[0:3], 0 offen
	buffer_load_dword v16, v5, s[0:3], 0 offen
	buffer_load_dword v17, v9, s[0:3], 0 offen offset:4
                                        ; kill: killed $vgpr5
	v_add_u32_e32 v5, s12, v4
	s_add_i32 s12, s12, 8
	s_cmp_lg_u32 s12, 16
                                        ; kill: killed $vgpr9
	s_waitcnt vmcnt(1)
	v_add_u32_e32 v9, v15, v16
	s_waitcnt vmcnt(0)
	v_add_u32_e32 v14, v17, v14
	buffer_store_dword v14, v5, s[0:3], 0 offen offset:4
	buffer_store_dword v9, v5, s[0:3], 0 offen
	s_cbranch_scc1 .LBB2069_470
; %bb.471:
	buffer_load_dword v2, off, s[0:3], 0 offset:16
	buffer_load_dword v3, off, s[0:3], 0 offset:20
	;; [unrolled: 1-line block ×4, first 2 shown]
.LBB2069_472:
	s_or_b64 exec, exec, s[4:5]
	v_and_b32_e32 v1, 1, v1
	v_cmp_eq_u32_e32 vcc, 1, v1
	v_and_b32_e32 v1, 1, v6
	v_cmp_eq_u32_e64 s[4:5], 1, v1
	s_or_b64 s[4:5], vcc, s[4:5]
	v_cndmask_b32_e64 v1, 0, 1, s[4:5]
	s_waitcnt vmcnt(2)
	buffer_store_dword v3, off, s[0:3], 0 offset:60
	buffer_store_dword v2, off, s[0:3], 0 offset:56
	s_waitcnt vmcnt(2)
	buffer_store_dword v5, off, s[0:3], 0 offset:68
	buffer_store_dword v4, off, s[0:3], 0 offset:64
	buffer_store_byte v1, off, s[0:3], 0 offset:72
.LBB2069_473:
	s_or_b64 exec, exec, s[10:11]
	v_or_b32_e32 v9, 63, v0
	v_lshrrev_b32_e32 v6, 6, v0
	v_cmp_eq_u32_e32 vcc, v9, v0
	s_and_saveexec_b64 s[4:5], vcc
	s_cbranch_execz .LBB2069_475
; %bb.474:
	v_mul_u32_u24_e32 v9, 20, v6
	ds_write2_b32 v9, v2, v3 offset1:1
	ds_write2_b32 v9, v4, v5 offset0:2 offset1:3
	ds_write_b8 v9, v1 offset:16
.LBB2069_475:
	s_or_b64 exec, exec, s[4:5]
	v_cmp_gt_u32_e32 vcc, 4, v0
	s_waitcnt lgkmcnt(0)
	s_barrier
	s_and_saveexec_b64 s[10:11], vcc
	s_cbranch_execz .LBB2069_493
; %bb.476:
	v_mul_u32_u24_e32 v1, 20, v0
	ds_read_b32 v9, v1 offset:16
	ds_read2_b32 v[2:3], v1 offset0:2 offset1:3
	ds_read2_b32 v[4:5], v1 offset1:1
	v_and_b32_e32 v14, 3, v8
	v_cmp_ne_u32_e32 vcc, 0, v14
	s_waitcnt lgkmcnt(2)
	v_mov_b32_dpp v15, v9 row_shr:1 row_mask:0xf bank_mask:0xf
	s_waitcnt lgkmcnt(1)
	v_mov_b32_dpp v18, v2 row_shr:1 row_mask:0xf bank_mask:0xf
	;; [unrolled: 2-line block ×3, first 2 shown]
	buffer_store_dword v9, off, s[0:3], 0 offset:32
	buffer_store_dword v3, off, s[0:3], 0 offset:28
	;; [unrolled: 1-line block ×5, first 2 shown]
	v_mov_b32_dpp v17, v5 row_shr:1 row_mask:0xf bank_mask:0xf
	v_mov_b32_dpp v19, v3 row_shr:1 row_mask:0xf bank_mask:0xf
	buffer_store_dword v16, off, s[0:3], 0 offset:96
	buffer_store_dword v17, off, s[0:3], 0 offset:100
	buffer_store_dword v18, off, s[0:3], 0 offset:104
	buffer_store_dword v19, off, s[0:3], 0 offset:108
	buffer_store_dword v15, off, s[0:3], 0 offset:112
	s_and_saveexec_b64 s[4:5], vcc
	s_cbranch_execz .LBB2069_484
; %bb.477:
	v_mov_b32_e32 v16, 0
	v_cmp_eq_u16_sdwa s[14:15], v9, v16 src0_sel:BYTE_0 src1_sel:DWORD
	s_and_saveexec_b64 s[12:13], s[14:15]
	s_cbranch_execz .LBB2069_483
; %bb.478:
	s_mov_b32 s14, 0
	v_mov_b32_e32 v2, 36
.LBB2069_479:                           ; =>This Inner Loop Header: Depth=1
	v_add_u32_e32 v3, s14, v2
	s_add_i32 s14, s14, 8
	s_cmp_lg_u32 s14, 16
	buffer_store_dword v16, v3, s[0:3], 0 offen offset:4
	buffer_store_dword v16, v3, s[0:3], 0 offen
	s_cbranch_scc1 .LBB2069_479
; %bb.480:
	s_mov_b32 s14, 0
	v_mov_b32_e32 v2, 0x60
	v_mov_b32_e32 v3, 16
	;; [unrolled: 1-line block ×3, first 2 shown]
.LBB2069_481:                           ; =>This Inner Loop Header: Depth=1
	v_add_u32_e32 v5, s14, v2
	v_add_u32_e32 v16, s14, v3
	buffer_load_dword v17, v5, s[0:3], 0 offen offset:4
	buffer_load_dword v18, v16, s[0:3], 0 offen
	buffer_load_dword v19, v5, s[0:3], 0 offen
	buffer_load_dword v20, v16, s[0:3], 0 offen offset:4
                                        ; kill: killed $vgpr5
	v_add_u32_e32 v5, s14, v4
	s_add_i32 s14, s14, 8
	s_cmp_lg_u32 s14, 16
                                        ; kill: killed $vgpr16
	s_waitcnt vmcnt(1)
	v_add_u32_e32 v16, v18, v19
	s_waitcnt vmcnt(0)
	v_add_u32_e32 v17, v20, v17
	buffer_store_dword v17, v5, s[0:3], 0 offen offset:4
	buffer_store_dword v16, v5, s[0:3], 0 offen
	s_cbranch_scc1 .LBB2069_481
; %bb.482:
	buffer_load_dword v4, off, s[0:3], 0 offset:36
	buffer_load_dword v5, off, s[0:3], 0 offset:40
	;; [unrolled: 1-line block ×4, first 2 shown]
.LBB2069_483:
	s_or_b64 exec, exec, s[12:13]
	v_or_b32_e32 v9, v15, v9
	v_and_b32_e32 v9, 1, v9
	buffer_store_byte v9, off, s[0:3], 0 offset:32
	buffer_load_dword v9, off, s[0:3], 0 offset:32
	s_waitcnt vmcnt(4)
	buffer_store_dword v5, off, s[0:3], 0 offset:20
	buffer_store_dword v4, off, s[0:3], 0 offset:16
	s_waitcnt vmcnt(4)
	buffer_store_dword v3, off, s[0:3], 0 offset:28
	buffer_store_dword v2, off, s[0:3], 0 offset:24
.LBB2069_484:
	s_or_b64 exec, exec, s[4:5]
	v_mov_b32_dpp v16, v4 row_shr:2 row_mask:0xf bank_mask:0xf
	s_waitcnt vmcnt(4)
	v_mov_b32_dpp v15, v9 row_shr:2 row_mask:0xf bank_mask:0xf
	v_cmp_lt_u32_e32 vcc, 1, v14
	v_mov_b32_dpp v17, v5 row_shr:2 row_mask:0xf bank_mask:0xf
	v_mov_b32_dpp v18, v2 row_shr:2 row_mask:0xf bank_mask:0xf
	;; [unrolled: 1-line block ×3, first 2 shown]
	buffer_store_dword v16, off, s[0:3], 0 offset:96
	buffer_store_dword v17, off, s[0:3], 0 offset:100
	buffer_store_dword v18, off, s[0:3], 0 offset:104
	buffer_store_dword v19, off, s[0:3], 0 offset:108
	buffer_store_dword v15, off, s[0:3], 0 offset:112
	s_and_saveexec_b64 s[12:13], vcc
	s_cbranch_execz .LBB2069_492
; %bb.485:
	v_mov_b32_e32 v14, 0
	s_mov_b32 s14, 0
	v_cmp_eq_u16_sdwa s[16:17], v9, v14 src0_sel:BYTE_0 src1_sel:DWORD
	s_and_saveexec_b64 s[4:5], s[16:17]
	s_cbranch_execz .LBB2069_491
; %bb.486:
	v_mov_b32_e32 v2, 36
.LBB2069_487:                           ; =>This Inner Loop Header: Depth=1
	v_add_u32_e32 v3, s14, v2
	s_add_i32 s14, s14, 8
	s_cmp_lg_u32 s14, 16
	buffer_store_dword v14, v3, s[0:3], 0 offen offset:4
	buffer_store_dword v14, v3, s[0:3], 0 offen
	s_cbranch_scc1 .LBB2069_487
; %bb.488:
	s_mov_b32 s14, 0
	v_mov_b32_e32 v2, 0x60
	v_mov_b32_e32 v3, 16
	v_mov_b32_e32 v4, 36
.LBB2069_489:                           ; =>This Inner Loop Header: Depth=1
	v_add_u32_e32 v5, s14, v2
	v_add_u32_e32 v14, s14, v3
	buffer_load_dword v16, v5, s[0:3], 0 offen offset:4
	buffer_load_dword v17, v14, s[0:3], 0 offen
	buffer_load_dword v18, v5, s[0:3], 0 offen
	buffer_load_dword v19, v14, s[0:3], 0 offen offset:4
                                        ; kill: killed $vgpr5
	v_add_u32_e32 v5, s14, v4
	s_add_i32 s14, s14, 8
	s_cmp_lg_u32 s14, 16
                                        ; kill: killed $vgpr14
	s_waitcnt vmcnt(1)
	v_add_u32_e32 v14, v17, v18
	s_waitcnt vmcnt(0)
	v_add_u32_e32 v16, v19, v16
	buffer_store_dword v16, v5, s[0:3], 0 offen offset:4
	buffer_store_dword v14, v5, s[0:3], 0 offen
	s_cbranch_scc1 .LBB2069_489
; %bb.490:
	buffer_load_dword v4, off, s[0:3], 0 offset:36
	buffer_load_dword v5, off, s[0:3], 0 offset:40
	buffer_load_dword v2, off, s[0:3], 0 offset:44
	buffer_load_dword v3, off, s[0:3], 0 offset:48
.LBB2069_491:
	s_or_b64 exec, exec, s[4:5]
	v_and_b32_e32 v9, 1, v9
	v_cmp_eq_u32_e32 vcc, 1, v9
	v_and_b32_e32 v9, 1, v15
	v_cmp_eq_u32_e64 s[4:5], 1, v9
	s_or_b64 s[4:5], vcc, s[4:5]
	v_cndmask_b32_e64 v9, 0, 1, s[4:5]
	s_waitcnt vmcnt(2)
	buffer_store_dword v5, off, s[0:3], 0 offset:20
	buffer_store_dword v4, off, s[0:3], 0 offset:16
	s_waitcnt vmcnt(2)
	buffer_store_dword v3, off, s[0:3], 0 offset:28
	buffer_store_dword v2, off, s[0:3], 0 offset:24
.LBB2069_492:
	s_or_b64 exec, exec, s[12:13]
	buffer_load_dword v2, off, s[0:3], 0 offset:24
	buffer_load_dword v3, off, s[0:3], 0 offset:28
	;; [unrolled: 1-line block ×4, first 2 shown]
	s_waitcnt vmcnt(2)
	ds_write2_b32 v1, v2, v3 offset0:2 offset1:3
	s_waitcnt vmcnt(0)
	ds_write2_b32 v1, v4, v5 offset1:1
	ds_write_b8 v1, v9 offset:16
.LBB2069_493:
	s_or_b64 exec, exec, s[10:11]
	v_mov_b32_e32 v1, 0
	s_mov_b32 s4, 0
	v_mov_b32_e32 v2, 0x60
	s_waitcnt lgkmcnt(0)
	s_barrier
	buffer_store_dword v1, off, s[0:3], 0 offset:108
	buffer_store_dword v1, off, s[0:3], 0 offset:104
	;; [unrolled: 1-line block ×5, first 2 shown]
.LBB2069_494:                           ; =>This Inner Loop Header: Depth=1
	v_add_u32_e32 v3, s4, v2
	s_add_i32 s4, s4, 8
	s_cmp_lg_u32 s4, 16
	buffer_store_dword v1, v3, s[0:3], 0 offen offset:4
	buffer_store_dword v1, v3, s[0:3], 0 offen
	s_cbranch_scc1 .LBB2069_494
; %bb.495:
	v_cmp_lt_u32_e32 vcc, 63, v0
                                        ; implicit-def: $vgpr2_vgpr3
                                        ; implicit-def: $vgpr4_vgpr5
                                        ; implicit-def: $vgpr9
	s_and_saveexec_b64 s[4:5], vcc
	s_xor_b64 s[4:5], exec, s[4:5]
	s_cbranch_execz .LBB2069_505
; %bb.496:
	buffer_load_ubyte v1, off, s[0:3], 0 offset:72
	v_not_b32_e32 v2, 19
	v_mad_u32_u24 v4, v6, 20, v2
	ds_read2_b32 v[2:3], v4 offset0:2 offset1:3
	ds_read_u8 v9, v4 offset:16
	ds_read2_b32 v[4:5], v4 offset1:1
	s_waitcnt lgkmcnt(2)
	buffer_store_dword v3, off, s[0:3], 0 offset:108
	buffer_store_dword v2, off, s[0:3], 0 offset:104
	s_waitcnt lgkmcnt(0)
	buffer_store_dword v5, off, s[0:3], 0 offset:100
	buffer_store_dword v4, off, s[0:3], 0 offset:96
                                        ; implicit-def: $vgpr2_vgpr3
                                        ; implicit-def: $vgpr4_vgpr5
	s_waitcnt vmcnt(4)
	v_cmp_ne_u16_e32 vcc, 0, v1
	s_and_saveexec_b64 s[10:11], vcc
	s_xor_b64 s[10:11], exec, s[10:11]
	s_cbranch_execz .LBB2069_498
; %bb.497:
	buffer_load_dword v2, off, s[0:3], 0 offset:56
	buffer_load_dword v3, off, s[0:3], 0 offset:60
	;; [unrolled: 1-line block ×4, first 2 shown]
.LBB2069_498:
	s_andn2_saveexec_b64 s[10:11], s[10:11]
	s_cbranch_execz .LBB2069_504
; %bb.499:
	s_mov_b32 s12, 0
	s_waitcnt vmcnt(3)
	v_mov_b32_e32 v2, 16
	s_waitcnt vmcnt(2)
	v_mov_b32_e32 v3, 0
	s_waitcnt vmcnt(0)
.LBB2069_500:                           ; =>This Inner Loop Header: Depth=1
	v_add_u32_e32 v4, s12, v2
	s_add_i32 s12, s12, 8
	s_cmp_lg_u32 s12, 16
	buffer_store_dword v3, v4, s[0:3], 0 offen offset:4
	buffer_store_dword v3, v4, s[0:3], 0 offen
	s_cbranch_scc1 .LBB2069_500
; %bb.501:
	s_mov_b32 s12, 0
	v_mov_b32_e32 v2, 0x60
	v_mov_b32_e32 v3, 56
	;; [unrolled: 1-line block ×3, first 2 shown]
.LBB2069_502:                           ; =>This Inner Loop Header: Depth=1
	v_add_u32_e32 v5, s12, v2
	v_add_u32_e32 v6, s12, v3
	buffer_load_dword v14, v5, s[0:3], 0 offen offset:4
	buffer_load_dword v15, v6, s[0:3], 0 offen
	buffer_load_dword v16, v5, s[0:3], 0 offen
	buffer_load_dword v17, v6, s[0:3], 0 offen offset:4
                                        ; kill: killed $vgpr5
	v_add_u32_e32 v5, s12, v4
	s_add_i32 s12, s12, 8
	s_cmp_lg_u32 s12, 16
                                        ; kill: killed $vgpr6
	s_waitcnt vmcnt(1)
	v_add_u32_e32 v6, v15, v16
	s_waitcnt vmcnt(0)
	v_add_u32_e32 v14, v17, v14
	buffer_store_dword v14, v5, s[0:3], 0 offen offset:4
	buffer_store_dword v6, v5, s[0:3], 0 offen
	s_cbranch_scc1 .LBB2069_502
; %bb.503:
	buffer_load_dword v2, off, s[0:3], 0 offset:16
	buffer_load_dword v3, off, s[0:3], 0 offset:20
	;; [unrolled: 1-line block ×4, first 2 shown]
.LBB2069_504:
	s_or_b64 exec, exec, s[10:11]
	v_or_b32_e32 v1, v1, v9
	v_and_b32_e32 v1, 1, v1
	buffer_store_byte v1, off, s[0:3], 0 offset:72
.LBB2069_505:
	s_andn2_saveexec_b64 s[4:5], s[4:5]
	s_cbranch_execz .LBB2069_507
; %bb.506:
	buffer_load_dword v2, off, s[0:3], 0 offset:56
	buffer_load_dword v3, off, s[0:3], 0 offset:60
	;; [unrolled: 1-line block ×4, first 2 shown]
	v_mov_b32_e32 v9, 0
.LBB2069_507:
	s_or_b64 exec, exec, s[4:5]
	buffer_load_dword v15, off, s[0:3], 0 offset:72
	v_add_u32_e32 v1, -1, v8
	v_and_b32_e32 v6, 64, v8
	v_cmp_lt_i32_e32 vcc, v1, v6
	v_cndmask_b32_e32 v1, v1, v8, vcc
	v_lshlrev_b32_e32 v14, 2, v1
	s_waitcnt vmcnt(4)
	ds_bpermute_b32 v6, v14, v2
	s_waitcnt vmcnt(3)
	ds_bpermute_b32 v3, v14, v3
	;; [unrolled: 2-line block ×4, first 2 shown]
	v_cmp_eq_u32_e32 vcc, 0, v8
	s_waitcnt vmcnt(0)
	ds_bpermute_b32 v14, v14, v15
	s_waitcnt lgkmcnt(4)
	buffer_store_dword v6, off, s[0:3], 0 offset:56
	s_waitcnt lgkmcnt(3)
	buffer_store_dword v3, off, s[0:3], 0 offset:60
	s_waitcnt lgkmcnt(2)
	buffer_store_dword v2, off, s[0:3], 0 offset:64
	s_waitcnt lgkmcnt(1)
	buffer_store_dword v1, off, s[0:3], 0 offset:68
	s_waitcnt lgkmcnt(0)
	buffer_store_byte v14, off, s[0:3], 0 offset:72
	s_and_saveexec_b64 s[4:5], vcc
	s_cbranch_execz .LBB2069_509
; %bb.508:
	buffer_load_dword v1, off, s[0:3], 0 offset:108
	buffer_load_dword v2, off, s[0:3], 0 offset:104
	;; [unrolled: 1-line block ×4, first 2 shown]
	v_mov_b32_e32 v14, v9
	buffer_store_byte v9, off, s[0:3], 0 offset:72
	s_waitcnt vmcnt(4)
	buffer_store_dword v1, off, s[0:3], 0 offset:68
	s_waitcnt vmcnt(4)
	buffer_store_dword v2, off, s[0:3], 0 offset:64
	;; [unrolled: 2-line block ×4, first 2 shown]
.LBB2069_509:
	s_or_b64 exec, exec, s[4:5]
	buffer_load_dword v4, off, s[0:3], 0 offset:220
	buffer_load_dword v5, off, s[0:3], 0 offset:216
	buffer_load_dword v9, off, s[0:3], 0 offset:212
	buffer_load_dword v16, off, s[0:3], 0 offset:208
	buffer_load_dword v8, off, s[0:3], 0 offset:224
	s_mov_b32 s4, 0x3020104
	buffer_store_dword v3, off, s[0:3], 0 offset:20
	buffer_store_dword v6, off, s[0:3], 0 offset:16
	;; [unrolled: 1-line block ×4, first 2 shown]
	v_perm_b32 v1, v14, v15, s4
                                        ; implicit-def: $vgpr2_vgpr3
	buffer_store_dword v1, off, s[0:3], 0 offset:32
	s_waitcnt vmcnt(9)
	buffer_store_dword v4, off, s[0:3], 0 offset:48
	s_waitcnt vmcnt(9)
	;; [unrolled: 2-line block ×5, first 2 shown]
	buffer_store_dword v8, off, s[0:3], 0 offset:52
                                        ; implicit-def: $vgpr4_vgpr5
	s_and_saveexec_b64 s[4:5], s[8:9]
	s_xor_b64 s[4:5], exec, s[4:5]
	s_cbranch_execz .LBB2069_519
; %bb.510:
	v_mov_b32_e32 v1, 0
	v_cmp_ne_u16_sdwa s[8:9], v8, v1 src0_sel:BYTE_0 src1_sel:DWORD
                                        ; implicit-def: $vgpr4_vgpr5
                                        ; implicit-def: $vgpr2_vgpr3
	s_and_saveexec_b64 s[10:11], s[8:9]
	s_xor_b64 s[8:9], exec, s[10:11]
	s_cbranch_execz .LBB2069_512
; %bb.511:
	buffer_load_dword v2, off, s[0:3], 0 offset:36
	buffer_load_dword v3, off, s[0:3], 0 offset:40
	;; [unrolled: 1-line block ×4, first 2 shown]
.LBB2069_512:
	s_andn2_saveexec_b64 s[8:9], s[8:9]
	s_cbranch_execz .LBB2069_518
; %bb.513:
	s_mov_b32 s10, 0
	v_mov_b32_e32 v1, 0x60
	s_waitcnt vmcnt(3)
	v_mov_b32_e32 v2, 0
	s_waitcnt vmcnt(0)
.LBB2069_514:                           ; =>This Inner Loop Header: Depth=1
	v_add_u32_e32 v3, s10, v1
	s_add_i32 s10, s10, 8
	s_cmp_lg_u32 s10, 16
	buffer_store_dword v2, v3, s[0:3], 0 offen offset:4
	buffer_store_dword v2, v3, s[0:3], 0 offen
	s_cbranch_scc1 .LBB2069_514
; %bb.515:
	s_mov_b32 s10, 0
	v_mov_b32_e32 v1, 16
	v_mov_b32_e32 v2, 36
	v_mov_b32_e32 v3, 0x60
.LBB2069_516:                           ; =>This Inner Loop Header: Depth=1
	v_add_u32_e32 v4, s10, v1
	v_add_u32_e32 v5, s10, v2
	buffer_load_dword v6, v4, s[0:3], 0 offen offset:4
	buffer_load_dword v9, v5, s[0:3], 0 offen
	buffer_load_dword v15, v4, s[0:3], 0 offen
	buffer_load_dword v16, v5, s[0:3], 0 offen offset:4
                                        ; kill: killed $vgpr4
	v_add_u32_e32 v4, s10, v3
	s_add_i32 s10, s10, 8
	s_cmp_lg_u32 s10, 16
                                        ; kill: killed $vgpr5
	s_waitcnt vmcnt(1)
	v_add_u32_e32 v5, v9, v15
	s_waitcnt vmcnt(0)
	v_add_u32_e32 v6, v16, v6
	buffer_store_dword v6, v4, s[0:3], 0 offen offset:4
	buffer_store_dword v5, v4, s[0:3], 0 offen
	s_cbranch_scc1 .LBB2069_516
; %bb.517:
	buffer_load_dword v2, off, s[0:3], 0 offset:96
	buffer_load_dword v3, off, s[0:3], 0 offset:100
	;; [unrolled: 1-line block ×4, first 2 shown]
.LBB2069_518:
	s_or_b64 exec, exec, s[8:9]
	v_or_b32_e32 v1, v8, v14
	v_and_b32_e32 v8, 1, v1
	s_waitcnt vmcnt(2)
	buffer_store_dword v3, off, s[0:3], 0 offset:40
	buffer_store_dword v2, off, s[0:3], 0 offset:36
	s_waitcnt vmcnt(2)
	buffer_store_dword v5, off, s[0:3], 0 offset:48
	buffer_store_dword v4, off, s[0:3], 0 offset:44
	;;#ASMSTART
	;;#ASMEND
.LBB2069_519:
	s_andn2_saveexec_b64 s[4:5], s[4:5]
	s_cbranch_execz .LBB2069_521
; %bb.520:
	buffer_load_dword v2, off, s[0:3], 0 offset:36
	buffer_load_dword v3, off, s[0:3], 0 offset:40
	;; [unrolled: 1-line block ×4, first 2 shown]
.LBB2069_521:
	s_or_b64 exec, exec, s[4:5]
	buffer_load_dword v6, off, s[0:3], 0 offset:48
	buffer_load_dword v9, off, s[0:3], 0 offset:44
	;; [unrolled: 1-line block ×4, first 2 shown]
	buffer_load_ushort v16, off, s[0:3], 0 offset:53
	buffer_load_ubyte v17, off, s[0:3], 0 offset:55
	buffer_load_ubyte v1, off, s[0:3], 0 offset:244
	s_nop 0
	buffer_store_byte v8, off, s[0:3], 0 offset:224
	s_waitcnt vmcnt(10)
	buffer_store_dword v3, off, s[0:3], 0 offset:100
	buffer_store_dword v2, off, s[0:3], 0 offset:96
	s_waitcnt vmcnt(10)
	buffer_store_dword v5, off, s[0:3], 0 offset:108
	buffer_store_dword v4, off, s[0:3], 0 offset:104
	s_waitcnt vmcnt(11)
	buffer_store_dword v6, off, s[0:3], 0 offset:220
	s_waitcnt vmcnt(11)
	;; [unrolled: 2-line block ×5, first 2 shown]
	v_lshrrev_b32_e32 v2, 8, v16
	v_lshlrev_b16_e32 v3, 8, v16
	s_waitcnt vmcnt(10)
	v_lshlrev_b16_e32 v4, 8, v17
	v_or_b32_sdwa v3, v8, v3 dst_sel:DWORD dst_unused:UNUSED_PAD src0_sel:BYTE_0 src1_sel:DWORD
	v_or_b32_sdwa v2, v2, v4 dst_sel:WORD_1 dst_unused:UNUSED_PAD src0_sel:BYTE_0 src1_sel:DWORD
	v_or_b32_sdwa v2, v3, v2 dst_sel:DWORD dst_unused:UNUSED_PAD src0_sel:WORD_0 src1_sel:DWORD
	s_waitcnt vmcnt(9)
	v_cmp_ne_u16_e32 vcc, 0, v1
	buffer_store_dword v2, off, s[0:3], 0 offset:112
                                        ; implicit-def: $vgpr4_vgpr5
                                        ; implicit-def: $vgpr2_vgpr3
	s_and_saveexec_b64 s[4:5], vcc
	s_xor_b64 s[4:5], exec, s[4:5]
	s_cbranch_execz .LBB2069_523
; %bb.522:
	buffer_load_dword v2, off, s[0:3], 0 offset:228
	buffer_load_dword v3, off, s[0:3], 0 offset:232
	;; [unrolled: 1-line block ×4, first 2 shown]
.LBB2069_523:
	s_andn2_saveexec_b64 s[4:5], s[4:5]
	s_cbranch_execz .LBB2069_529
; %bb.524:
	s_mov_b32 s8, 0
	s_waitcnt vmcnt(3)
	v_mov_b32_e32 v2, 0xb0
	s_waitcnt vmcnt(2)
	v_mov_b32_e32 v3, 0
	s_waitcnt vmcnt(0)
.LBB2069_525:                           ; =>This Inner Loop Header: Depth=1
	v_add_u32_e32 v4, s8, v2
	s_add_i32 s8, s8, 8
	s_cmp_lg_u32 s8, 16
	buffer_store_dword v3, v4, s[0:3], 0 offen offset:4
	buffer_store_dword v3, v4, s[0:3], 0 offen
	s_cbranch_scc1 .LBB2069_525
; %bb.526:
	s_mov_b32 s8, 0
	v_mov_b32_e32 v2, 0x60
	v_mov_b32_e32 v3, 0xd0
	;; [unrolled: 1-line block ×3, first 2 shown]
.LBB2069_527:                           ; =>This Inner Loop Header: Depth=1
	v_add_u32_e32 v5, s8, v2
	v_add_u32_e32 v6, s8, v3
	buffer_load_dword v9, v5, s[0:3], 0 offen offset:4
	buffer_load_dword v14, v6, s[0:3], 0 offen offset:20
	buffer_load_dword v15, v5, s[0:3], 0 offen
	buffer_load_dword v16, v6, s[0:3], 0 offen offset:24
                                        ; kill: killed $vgpr5
	v_add_u32_e32 v5, s8, v4
	s_add_i32 s8, s8, 8
	s_cmp_lg_u32 s8, 16
                                        ; kill: killed $vgpr6
	s_waitcnt vmcnt(1)
	v_add_u32_e32 v6, v14, v15
	s_waitcnt vmcnt(0)
	v_add_u32_e32 v9, v16, v9
	buffer_store_dword v9, v5, s[0:3], 0 offen offset:4
	buffer_store_dword v6, v5, s[0:3], 0 offen
	s_cbranch_scc1 .LBB2069_527
; %bb.528:
	buffer_load_dword v2, off, s[0:3], 0 offset:176
	buffer_load_dword v3, off, s[0:3], 0 offset:180
	;; [unrolled: 1-line block ×4, first 2 shown]
.LBB2069_529:
	s_or_b64 exec, exec, s[4:5]
	buffer_load_ubyte v6, off, s[0:3], 0 offset:264
	v_or_b32_e32 v1, v1, v8
	v_and_b32_e32 v1, 1, v1
	v_cmp_eq_u32_e32 vcc, 1, v1
	s_waitcnt vmcnt(3)
	buffer_store_dword v3, off, s[0:3], 0 offset:100
	buffer_store_dword v2, off, s[0:3], 0 offset:96
	s_waitcnt vmcnt(3)
	buffer_store_dword v5, off, s[0:3], 0 offset:108
	buffer_store_dword v4, off, s[0:3], 0 offset:104
	buffer_store_dword v5, v7, s[0:3], 0 offen offset:12
	buffer_store_dword v4, v7, s[0:3], 0 offen offset:8
	;; [unrolled: 1-line block ×3, first 2 shown]
	buffer_store_dword v2, v7, s[0:3], 0 offen
	buffer_store_byte v1, off, s[0:3], 0 offset:244
                                        ; implicit-def: $vgpr4_vgpr5
                                        ; implicit-def: $vgpr2_vgpr3
	s_waitcnt vmcnt(9)
	v_cmp_ne_u16_e64 s[4:5], 0, v6
	s_and_saveexec_b64 s[8:9], s[4:5]
	s_xor_b64 s[4:5], exec, s[8:9]
	s_cbranch_execz .LBB2069_531
; %bb.530:
	buffer_load_dword v2, off, s[0:3], 0 offset:248
	buffer_load_dword v3, off, s[0:3], 0 offset:252
	;; [unrolled: 1-line block ×4, first 2 shown]
.LBB2069_531:
	s_andn2_saveexec_b64 s[4:5], s[4:5]
	s_cbranch_execz .LBB2069_537
; %bb.532:
	s_mov_b32 s8, 0
	v_mov_b32_e32 v1, 0xb0
	s_waitcnt vmcnt(3)
	v_mov_b32_e32 v2, 0
	s_waitcnt vmcnt(0)
.LBB2069_533:                           ; =>This Inner Loop Header: Depth=1
	v_add_u32_e32 v3, s8, v1
	s_add_i32 s8, s8, 8
	s_cmp_lg_u32 s8, 16
	buffer_store_dword v2, v3, s[0:3], 0 offen offset:4
	buffer_store_dword v2, v3, s[0:3], 0 offen
	s_cbranch_scc1 .LBB2069_533
; %bb.534:
	s_mov_b32 s8, 0
	v_mov_b32_e32 v1, 0x60
	v_mov_b32_e32 v2, 0xd0
	;; [unrolled: 1-line block ×3, first 2 shown]
.LBB2069_535:                           ; =>This Inner Loop Header: Depth=1
	v_add_u32_e32 v4, s8, v1
	v_add_u32_e32 v5, s8, v2
	buffer_load_dword v8, v4, s[0:3], 0 offen offset:4
	buffer_load_dword v9, v5, s[0:3], 0 offen offset:40
	buffer_load_dword v14, v4, s[0:3], 0 offen
	buffer_load_dword v15, v5, s[0:3], 0 offen offset:44
                                        ; kill: killed $vgpr4
	v_add_u32_e32 v4, s8, v3
	s_add_i32 s8, s8, 8
	s_cmp_lg_u32 s8, 16
                                        ; kill: killed $vgpr5
	s_waitcnt vmcnt(1)
	v_add_u32_e32 v5, v9, v14
	s_waitcnt vmcnt(0)
	v_add_u32_e32 v8, v15, v8
	buffer_store_dword v8, v4, s[0:3], 0 offen offset:4
	buffer_store_dword v5, v4, s[0:3], 0 offen
	s_cbranch_scc1 .LBB2069_535
; %bb.536:
	buffer_load_dword v2, off, s[0:3], 0 offset:176
	buffer_load_dword v3, off, s[0:3], 0 offset:180
	;; [unrolled: 1-line block ×4, first 2 shown]
.LBB2069_537:
	s_or_b64 exec, exec, s[4:5]
	buffer_load_ubyte v1, off, s[0:3], 0 offset:284
	v_and_b32_e32 v6, 1, v6
	v_cmp_eq_u32_e64 s[4:5], 1, v6
	s_or_b64 s[4:5], s[4:5], vcc
	v_cndmask_b32_e64 v6, 0, 1, s[4:5]
	s_waitcnt vmcnt(3)
	buffer_store_dword v3, off, s[0:3], 0 offset:100
	buffer_store_dword v2, off, s[0:3], 0 offset:96
	s_waitcnt vmcnt(3)
	buffer_store_dword v5, off, s[0:3], 0 offset:108
	buffer_store_dword v4, off, s[0:3], 0 offset:104
	buffer_store_dword v5, v10, s[0:3], 0 offen offset:12
	buffer_store_dword v4, v10, s[0:3], 0 offen offset:8
	;; [unrolled: 1-line block ×3, first 2 shown]
	buffer_store_dword v2, v10, s[0:3], 0 offen
	buffer_store_byte v6, off, s[0:3], 0 offset:264
                                        ; implicit-def: $vgpr4_vgpr5
                                        ; implicit-def: $vgpr2_vgpr3
	s_waitcnt vmcnt(9)
	v_cmp_ne_u16_e32 vcc, 0, v1
	s_and_saveexec_b64 s[8:9], vcc
	s_xor_b64 s[8:9], exec, s[8:9]
	s_cbranch_execz .LBB2069_539
; %bb.538:
	buffer_load_dword v2, off, s[0:3], 0 offset:268
	buffer_load_dword v3, off, s[0:3], 0 offset:272
	;; [unrolled: 1-line block ×4, first 2 shown]
.LBB2069_539:
	s_andn2_saveexec_b64 s[8:9], s[8:9]
	s_cbranch_execz .LBB2069_545
; %bb.540:
	s_mov_b32 s10, 0
	s_waitcnt vmcnt(3)
	v_mov_b32_e32 v2, 0xb0
	s_waitcnt vmcnt(2)
	v_mov_b32_e32 v3, 0
	s_waitcnt vmcnt(0)
.LBB2069_541:                           ; =>This Inner Loop Header: Depth=1
	v_add_u32_e32 v4, s10, v2
	s_add_i32 s10, s10, 8
	s_cmp_lg_u32 s10, 16
	buffer_store_dword v3, v4, s[0:3], 0 offen offset:4
	buffer_store_dword v3, v4, s[0:3], 0 offen
	s_cbranch_scc1 .LBB2069_541
; %bb.542:
	s_mov_b32 s10, 0
	v_mov_b32_e32 v2, 0x60
	v_mov_b32_e32 v3, 0xd0
	;; [unrolled: 1-line block ×3, first 2 shown]
.LBB2069_543:                           ; =>This Inner Loop Header: Depth=1
	v_add_u32_e32 v5, s10, v2
	v_add_u32_e32 v6, s10, v3
	buffer_load_dword v8, v5, s[0:3], 0 offen offset:4
	buffer_load_dword v9, v6, s[0:3], 0 offen offset:60
	buffer_load_dword v14, v5, s[0:3], 0 offen
	buffer_load_dword v15, v6, s[0:3], 0 offen offset:64
                                        ; kill: killed $vgpr5
	v_add_u32_e32 v5, s10, v4
	s_add_i32 s10, s10, 8
	s_cmp_lg_u32 s10, 16
                                        ; kill: killed $vgpr6
	s_waitcnt vmcnt(1)
	v_add_u32_e32 v6, v9, v14
	s_waitcnt vmcnt(0)
	v_add_u32_e32 v8, v15, v8
	buffer_store_dword v8, v5, s[0:3], 0 offen offset:4
	buffer_store_dword v6, v5, s[0:3], 0 offen
	s_cbranch_scc1 .LBB2069_543
; %bb.544:
	buffer_load_dword v2, off, s[0:3], 0 offset:176
	buffer_load_dword v3, off, s[0:3], 0 offset:180
	;; [unrolled: 1-line block ×4, first 2 shown]
.LBB2069_545:
	s_or_b64 exec, exec, s[8:9]
	buffer_load_ubyte v6, off, s[0:3], 0 offset:304
	v_and_b32_e32 v1, 1, v1
	v_cmp_eq_u32_e32 vcc, 1, v1
	s_or_b64 s[4:5], vcc, s[4:5]
	v_cndmask_b32_e64 v1, 0, 1, s[4:5]
	s_waitcnt vmcnt(3)
	buffer_store_dword v3, off, s[0:3], 0 offset:100
	buffer_store_dword v2, off, s[0:3], 0 offset:96
	s_waitcnt vmcnt(3)
	buffer_store_dword v5, off, s[0:3], 0 offset:108
	buffer_store_dword v4, off, s[0:3], 0 offset:104
	buffer_store_dword v5, v11, s[0:3], 0 offen offset:12
	buffer_store_dword v4, v11, s[0:3], 0 offen offset:8
	;; [unrolled: 1-line block ×3, first 2 shown]
	buffer_store_dword v2, v11, s[0:3], 0 offen
	buffer_store_byte v1, off, s[0:3], 0 offset:284
                                        ; implicit-def: $vgpr4_vgpr5
                                        ; implicit-def: $vgpr2_vgpr3
	s_waitcnt vmcnt(9)
	v_cmp_ne_u16_e32 vcc, 0, v6
	s_and_saveexec_b64 s[8:9], vcc
	s_xor_b64 s[8:9], exec, s[8:9]
	s_cbranch_execz .LBB2069_547
; %bb.546:
	buffer_load_dword v2, off, s[0:3], 0 offset:288
	buffer_load_dword v3, off, s[0:3], 0 offset:292
	;; [unrolled: 1-line block ×4, first 2 shown]
.LBB2069_547:
	s_andn2_saveexec_b64 s[8:9], s[8:9]
	s_cbranch_execz .LBB2069_553
; %bb.548:
	s_mov_b32 s10, 0
	v_mov_b32_e32 v1, 0xb0
	s_waitcnt vmcnt(3)
	v_mov_b32_e32 v2, 0
	s_waitcnt vmcnt(0)
.LBB2069_549:                           ; =>This Inner Loop Header: Depth=1
	v_add_u32_e32 v3, s10, v1
	s_add_i32 s10, s10, 8
	s_cmp_lg_u32 s10, 16
	buffer_store_dword v2, v3, s[0:3], 0 offen offset:4
	buffer_store_dword v2, v3, s[0:3], 0 offen
	s_cbranch_scc1 .LBB2069_549
; %bb.550:
	s_mov_b32 s10, 0
	v_mov_b32_e32 v1, 0x60
	v_mov_b32_e32 v2, 0xd0
	;; [unrolled: 1-line block ×3, first 2 shown]
.LBB2069_551:                           ; =>This Inner Loop Header: Depth=1
	v_add_u32_e32 v4, s10, v1
	v_add_u32_e32 v5, s10, v2
	buffer_load_dword v8, v4, s[0:3], 0 offen offset:4
	buffer_load_dword v9, v5, s[0:3], 0 offen offset:80
	buffer_load_dword v14, v4, s[0:3], 0 offen
	buffer_load_dword v15, v5, s[0:3], 0 offen offset:84
                                        ; kill: killed $vgpr4
	v_add_u32_e32 v4, s10, v3
	s_add_i32 s10, s10, 8
	s_cmp_lg_u32 s10, 16
                                        ; kill: killed $vgpr5
	s_waitcnt vmcnt(1)
	v_add_u32_e32 v5, v9, v14
	s_waitcnt vmcnt(0)
	v_add_u32_e32 v8, v15, v8
	buffer_store_dword v8, v4, s[0:3], 0 offen offset:4
	buffer_store_dword v5, v4, s[0:3], 0 offen
	s_cbranch_scc1 .LBB2069_551
; %bb.552:
	buffer_load_dword v2, off, s[0:3], 0 offset:176
	buffer_load_dword v3, off, s[0:3], 0 offset:180
	;; [unrolled: 1-line block ×4, first 2 shown]
.LBB2069_553:
	s_or_b64 exec, exec, s[8:9]
	v_and_b32_e32 v1, 1, v6
	v_cmp_eq_u32_e32 vcc, 1, v1
	s_waitcnt vmcnt(0)
	buffer_store_dword v5, v12, s[0:3], 0 offen offset:12
	buffer_store_dword v4, v12, s[0:3], 0 offen offset:8
	;; [unrolled: 1-line block ×3, first 2 shown]
	v_mov_b32_e32 v1, 0
	ds_read2_b32 v[4:5], v1 offset0:17 offset1:18
	ds_read_u8 v3, v1 offset:76
	ds_read2_b32 v[8:9], v1 offset0:15 offset1:16
	s_or_b64 s[4:5], vcc, s[4:5]
	v_cndmask_b32_e64 v6, 0, 1, s[4:5]
	buffer_store_dword v2, v12, s[0:3], 0 offen
	buffer_store_byte v6, off, s[0:3], 0 offset:304
	s_waitcnt lgkmcnt(2)
	buffer_store_dword v5, off, s[0:3], 0 offset:88
	buffer_store_dword v4, off, s[0:3], 0 offset:84
	s_waitcnt lgkmcnt(0)
	buffer_store_dword v9, off, s[0:3], 0 offset:80
	buffer_store_dword v8, off, s[0:3], 0 offset:76
	buffer_store_byte v3, off, s[0:3], 0 offset:92
	s_and_saveexec_b64 s[4:5], s[20:21]
	s_cbranch_execz .LBB2069_555
; %bb.554:
	buffer_load_dword v14, off, s[0:3], 0 offset:76
	buffer_load_dword v15, off, s[0:3], 0 offset:80
	;; [unrolled: 1-line block ×4, first 2 shown]
	v_mov_b32_e32 v2, 2
	global_store_byte v1, v3, s[26:27] offset:1296
	s_waitcnt vmcnt(1)
	global_store_dwordx4 v1, v[14:17], s[26:27] offset:1280
	s_waitcnt vmcnt(0)
	buffer_wbinvl1_vol
	global_store_byte v1, v2, s[28:29] offset:64
.LBB2069_555:
	s_or_b64 exec, exec, s[4:5]
.LBB2069_556:
	s_mov_b32 s4, 0
	v_mov_b32_e32 v1, 0x60
	v_mov_b32_e32 v2, 0
.LBB2069_557:                           ; =>This Inner Loop Header: Depth=1
	v_add_u32_e32 v3, s4, v1
	s_add_i32 s4, s4, 8
	s_cmp_lg_u32 s4, 16
	buffer_store_dword v2, v3, s[0:3], 0 offen offset:4
	buffer_store_dword v2, v3, s[0:3], 0 offen
	s_cbranch_scc1 .LBB2069_557
; %bb.558:
	s_mov_b32 s4, 16
	v_mov_b32_e32 v1, 0x60
	v_mov_b32_e32 v2, 0
.LBB2069_559:                           ; =>This Inner Loop Header: Depth=1
	v_add_u32_e32 v3, s4, v1
	s_add_i32 s4, s4, 8
	s_cmp_lg_u32 s4, 32
	buffer_store_dword v2, v3, s[0:3], 0 offen offset:4
	buffer_store_dword v2, v3, s[0:3], 0 offen
	s_cbranch_scc1 .LBB2069_559
; %bb.560:
	;; [unrolled: 11-line block ×4, first 2 shown]
	s_mov_b32 s4, 64
	v_mov_b32_e32 v1, 0x60
	v_mov_b32_e32 v2, 0
.LBB2069_565:                           ; =>This Inner Loop Header: Depth=1
	v_add_u32_e32 v3, s4, v1
	s_add_i32 s4, s4, 8
	s_cmpk_lg_i32 s4, 0x50
	buffer_store_dword v2, v3, s[0:3], 0 offen offset:4
	buffer_store_dword v2, v3, s[0:3], 0 offen
	s_cbranch_scc1 .LBB2069_565
; %bb.566:
	s_add_u32 s4, s42, s22
	s_addc_u32 s5, s43, s23
	v_mov_b32_e32 v1, 0x60
	s_add_u32 s8, s4, s34
	v_add_u32_e32 v4, 64, v1
	v_add_u32_e32 v5, 48, v1
	;; [unrolled: 1-line block ×4, first 2 shown]
	s_addc_u32 s9, s5, s35
	s_and_b64 vcc, exec, s[6:7]
	s_cbranch_vccz .LBB2069_582
; %bb.567:
	s_add_i32 s31, s31, s30
	v_mul_u32_u24_e32 v1, 5, v0
	v_cmp_gt_u32_e32 vcc, s31, v1
	s_and_saveexec_b64 s[4:5], vcc
	s_cbranch_execz .LBB2069_573
; %bb.568:
	buffer_load_dword v2, off, s[0:3], 0 offset:220
	buffer_load_dword v3, off, s[0:3], 0 offset:216
	;; [unrolled: 1-line block ×4, first 2 shown]
	v_add_u32_e32 v15, 1, v1
	v_cmp_gt_u32_e32 vcc, s31, v15
	s_waitcnt vmcnt(3)
	buffer_store_dword v2, off, s[0:3], 0 offset:108
	s_waitcnt vmcnt(3)
	buffer_store_dword v3, off, s[0:3], 0 offset:104
	;; [unrolled: 2-line block ×4, first 2 shown]
	s_and_b64 exec, exec, vcc
	s_cbranch_execz .LBB2069_573
; %bb.569:
	buffer_load_dword v2, v7, s[0:3], 0 offen offset:12
	buffer_load_dword v3, v7, s[0:3], 0 offen offset:8
	buffer_load_dword v9, v7, s[0:3], 0 offen offset:4
	buffer_load_dword v14, v7, s[0:3], 0 offen
	v_add_u32_e32 v15, 2, v1
	v_cmp_gt_u32_e32 vcc, s31, v15
	s_waitcnt vmcnt(3)
	buffer_store_dword v2, v8, s[0:3], 0 offen offset:12
	s_waitcnt vmcnt(3)
	buffer_store_dword v3, v8, s[0:3], 0 offen offset:8
	s_waitcnt vmcnt(3)
	buffer_store_dword v9, v8, s[0:3], 0 offen offset:4
	s_waitcnt vmcnt(3)
	buffer_store_dword v14, v8, s[0:3], 0 offen
	s_and_b64 exec, exec, vcc
	s_cbranch_execz .LBB2069_573
; %bb.570:
	buffer_load_dword v2, v10, s[0:3], 0 offen offset:12
	buffer_load_dword v3, v10, s[0:3], 0 offen offset:8
	buffer_load_dword v9, v10, s[0:3], 0 offen offset:4
	buffer_load_dword v14, v10, s[0:3], 0 offen
	v_add_u32_e32 v15, 3, v1
	v_cmp_gt_u32_e32 vcc, s31, v15
	s_waitcnt vmcnt(3)
	buffer_store_dword v2, v6, s[0:3], 0 offen offset:12
	s_waitcnt vmcnt(3)
	buffer_store_dword v3, v6, s[0:3], 0 offen offset:8
	s_waitcnt vmcnt(3)
	buffer_store_dword v9, v6, s[0:3], 0 offen offset:4
	s_waitcnt vmcnt(3)
	buffer_store_dword v14, v6, s[0:3], 0 offen
	;; [unrolled: 17-line block ×3, first 2 shown]
	s_and_b64 exec, exec, vcc
	s_cbranch_execz .LBB2069_573
; %bb.572:
	buffer_load_dword v2, v12, s[0:3], 0 offen offset:12
	buffer_load_dword v3, v12, s[0:3], 0 offen offset:8
	;; [unrolled: 1-line block ×3, first 2 shown]
	buffer_load_dword v14, v12, s[0:3], 0 offen
	s_waitcnt vmcnt(3)
	buffer_store_dword v2, v4, s[0:3], 0 offen offset:12
	s_waitcnt vmcnt(3)
	buffer_store_dword v3, v4, s[0:3], 0 offen offset:8
	;; [unrolled: 2-line block ×3, first 2 shown]
	s_waitcnt vmcnt(3)
	buffer_store_dword v14, v4, s[0:3], 0 offen
.LBB2069_573:
	s_or_b64 exec, exec, s[4:5]
	s_barrier
	buffer_load_dword v14, off, s[0:3], 0 offset:96
	buffer_load_dword v15, off, s[0:3], 0 offset:100
	;; [unrolled: 1-line block ×4, first 2 shown]
	buffer_load_dword v18, v8, s[0:3], 0 offen
	buffer_load_dword v19, v8, s[0:3], 0 offen offset:4
	buffer_load_dword v20, v8, s[0:3], 0 offen offset:8
	buffer_load_dword v21, v8, s[0:3], 0 offen offset:12
	buffer_load_dword v22, v6, s[0:3], 0 offen
	buffer_load_dword v23, v6, s[0:3], 0 offen offset:4
	buffer_load_dword v24, v6, s[0:3], 0 offen offset:8
	buffer_load_dword v25, v6, s[0:3], 0 offen offset:12
	;; [unrolled: 4-line block ×4, first 2 shown]
	v_lshlrev_b32_e32 v2, 4, v1
	v_lshlrev_b32_e32 v3, 6, v0
	v_sub_u32_e32 v9, v2, v3
	v_mov_b32_e32 v34, s9
	v_mov_b32_e32 v1, 0
	s_waitcnt vmcnt(16)
	ds_write_b128 v2, v[14:17]
	s_waitcnt vmcnt(12)
	ds_write_b128 v2, v[18:21] offset:16
	s_waitcnt vmcnt(8)
	ds_write_b128 v2, v[22:25] offset:32
	;; [unrolled: 2-line block ×4, first 2 shown]
	s_waitcnt lgkmcnt(0)
	s_barrier
	ds_read_b128 v[14:17], v9 offset:4096
	ds_read_b128 v[18:21], v9 offset:8192
	ds_read_b128 v[22:25], v9 offset:12288
	ds_read_b128 v[26:29], v9 offset:16384
	v_add_co_u32_e32 v2, vcc, s8, v13
	v_addc_co_u32_e32 v3, vcc, 0, v34, vcc
	v_cmp_gt_u32_e32 vcc, s31, v0
	s_waitcnt lgkmcnt(3)
	buffer_store_dword v17, v8, s[0:3], 0 offen offset:12
	buffer_store_dword v16, v8, s[0:3], 0 offen offset:8
	buffer_store_dword v15, v8, s[0:3], 0 offen offset:4
	buffer_store_dword v14, v8, s[0:3], 0 offen
	s_waitcnt lgkmcnt(2)
	buffer_store_dword v21, v6, s[0:3], 0 offen offset:12
	buffer_store_dword v20, v6, s[0:3], 0 offen offset:8
	buffer_store_dword v19, v6, s[0:3], 0 offen offset:4
	buffer_store_dword v18, v6, s[0:3], 0 offen
	;; [unrolled: 5-line block ×4, first 2 shown]
	s_and_saveexec_b64 s[4:5], vcc
	s_cbranch_execz .LBB2069_575
; %bb.574:
	ds_read2_b32 v[16:17], v9 offset0:2 offset1:3
	ds_read2_b32 v[14:15], v9 offset1:1
	s_waitcnt lgkmcnt(0)
	flat_store_dwordx4 v[2:3], v[14:17]
.LBB2069_575:
	s_or_b64 exec, exec, s[4:5]
	v_or_b32_e32 v9, 0x100, v0
	v_cmp_gt_u32_e32 vcc, s31, v9
	s_and_saveexec_b64 s[4:5], vcc
	s_cbranch_execz .LBB2069_577
; %bb.576:
	buffer_load_dword v14, v8, s[0:3], 0 offen
	buffer_load_dword v15, v8, s[0:3], 0 offen offset:4
	buffer_load_dword v16, v8, s[0:3], 0 offen offset:8
	buffer_load_dword v17, v8, s[0:3], 0 offen offset:12
	v_add_co_u32_e32 v18, vcc, 0x1000, v2
	v_addc_co_u32_e32 v19, vcc, 0, v3, vcc
	s_waitcnt vmcnt(0)
	flat_store_dwordx4 v[18:19], v[14:17]
.LBB2069_577:
	s_or_b64 exec, exec, s[4:5]
	v_or_b32_e32 v9, 0x200, v0
	v_cmp_gt_u32_e32 vcc, s31, v9
	s_and_saveexec_b64 s[4:5], vcc
	s_cbranch_execz .LBB2069_579
; %bb.578:
	buffer_load_dword v14, v6, s[0:3], 0 offen
	buffer_load_dword v15, v6, s[0:3], 0 offen offset:4
	buffer_load_dword v16, v6, s[0:3], 0 offen offset:8
	buffer_load_dword v17, v6, s[0:3], 0 offen offset:12
	v_add_co_u32_e32 v18, vcc, 0x2000, v2
	v_addc_co_u32_e32 v19, vcc, 0, v3, vcc
	s_waitcnt vmcnt(0)
	flat_store_dwordx4 v[18:19], v[14:17]
.LBB2069_579:
	;; [unrolled: 15-line block ×3, first 2 shown]
	s_or_b64 exec, exec, s[4:5]
	v_or_b32_e32 v2, 0x400, v0
	v_cmp_gt_u32_e64 s[4:5], s31, v2
	s_branch .LBB2069_584
.LBB2069_582:
	s_mov_b64 s[4:5], 0
	s_cbranch_execz .LBB2069_584
; %bb.583:
	buffer_load_dword v1, off, s[0:3], 0 offset:220
	buffer_load_dword v2, off, s[0:3], 0 offset:216
	;; [unrolled: 1-line block ×4, first 2 shown]
	buffer_load_dword v14, v7, s[0:3], 0 offen offset:12
	buffer_load_dword v15, v7, s[0:3], 0 offen offset:8
	buffer_load_dword v16, v7, s[0:3], 0 offen offset:4
	buffer_load_dword v17, v7, s[0:3], 0 offen
	buffer_load_dword v18, v10, s[0:3], 0 offen offset:12
	buffer_load_dword v19, v10, s[0:3], 0 offen offset:8
	buffer_load_dword v20, v10, s[0:3], 0 offen offset:4
	buffer_load_dword v21, v10, s[0:3], 0 offen
	;; [unrolled: 4-line block ×3, first 2 shown]
	buffer_load_dword v26, v12, s[0:3], 0 offen offset:12
	buffer_load_dword v27, v12, s[0:3], 0 offen offset:8
	buffer_load_dword v28, v12, s[0:3], 0 offen offset:4
                                        ; kill: killed $vgpr7
                                        ; kill: killed $vgpr10
                                        ; kill: killed $vgpr11
	buffer_load_dword v7, v12, s[0:3], 0 offen
	s_movk_i32 s6, 0x1000
	s_movk_i32 s7, 0x2000
	s_or_b64 s[4:5], s[4:5], exec
	s_waitcnt vmcnt(0)
	buffer_store_dword v1, off, s[0:3], 0 offset:108
	buffer_store_dword v2, off, s[0:3], 0 offset:104
	;; [unrolled: 1-line block ×4, first 2 shown]
	buffer_store_dword v14, v8, s[0:3], 0 offen offset:12
	buffer_store_dword v15, v8, s[0:3], 0 offen offset:8
	buffer_store_dword v16, v8, s[0:3], 0 offen offset:4
	buffer_store_dword v17, v8, s[0:3], 0 offen
	buffer_store_dword v18, v6, s[0:3], 0 offen offset:12
	buffer_store_dword v19, v6, s[0:3], 0 offen offset:8
	buffer_store_dword v20, v6, s[0:3], 0 offen offset:4
	buffer_store_dword v21, v6, s[0:3], 0 offen
	buffer_store_dword v22, v5, s[0:3], 0 offen offset:12
	buffer_store_dword v23, v5, s[0:3], 0 offen offset:8
	buffer_store_dword v24, v5, s[0:3], 0 offen offset:4
	buffer_store_dword v25, v5, s[0:3], 0 offen
	buffer_store_dword v26, v4, s[0:3], 0 offen offset:12
	buffer_store_dword v27, v4, s[0:3], 0 offen offset:8
	buffer_store_dword v28, v4, s[0:3], 0 offen offset:4
	buffer_store_dword v7, v4, s[0:3], 0 offen
	s_waitcnt lgkmcnt(0)
	s_barrier
	buffer_load_dword v14, off, s[0:3], 0 offset:96
	buffer_load_dword v15, off, s[0:3], 0 offset:100
	;; [unrolled: 1-line block ×4, first 2 shown]
	buffer_load_dword v18, v8, s[0:3], 0 offen
	buffer_load_dword v19, v8, s[0:3], 0 offen offset:4
	buffer_load_dword v20, v8, s[0:3], 0 offen offset:8
	buffer_load_dword v21, v8, s[0:3], 0 offen offset:12
	buffer_load_dword v22, v6, s[0:3], 0 offen
	buffer_load_dword v23, v6, s[0:3], 0 offen offset:4
	buffer_load_dword v24, v6, s[0:3], 0 offen offset:8
	buffer_load_dword v25, v6, s[0:3], 0 offen offset:12
	;; [unrolled: 4-line block ×4, first 2 shown]
	v_mul_u32_u24_e32 v1, 0x50, v0
	v_lshlrev_b32_e32 v2, 6, v0
	v_sub_u32_e32 v7, v1, v2
	v_mov_b32_e32 v3, s9
	v_add_co_u32_e32 v2, vcc, s8, v13
	v_addc_co_u32_e32 v3, vcc, 0, v3, vcc
	v_add_co_u32_e32 v34, vcc, s6, v2
	v_addc_co_u32_e32 v35, vcc, 0, v3, vcc
	;; [unrolled: 2-line block ×3, first 2 shown]
	s_waitcnt vmcnt(16)
	ds_write_b128 v1, v[14:17]
	s_waitcnt vmcnt(12)
	ds_write_b128 v1, v[18:21] offset:16
	s_waitcnt vmcnt(8)
	ds_write_b128 v1, v[22:25] offset:32
	;; [unrolled: 2-line block ×4, first 2 shown]
	s_waitcnt lgkmcnt(0)
	s_barrier
	ds_read_b128 v[10:13], v7 offset:4096
	ds_read_b128 v[14:17], v7 offset:8192
	;; [unrolled: 1-line block ×4, first 2 shown]
	ds_read2_b32 v[28:29], v7 offset0:2 offset1:3
	ds_read2_b32 v[26:27], v7 offset1:1
	s_waitcnt lgkmcnt(5)
	buffer_store_dword v13, v8, s[0:3], 0 offen offset:12
	buffer_store_dword v12, v8, s[0:3], 0 offen offset:8
	buffer_store_dword v11, v8, s[0:3], 0 offen offset:4
	buffer_store_dword v10, v8, s[0:3], 0 offen
	s_waitcnt lgkmcnt(4)
	buffer_store_dword v17, v6, s[0:3], 0 offen offset:12
	buffer_store_dword v16, v6, s[0:3], 0 offen offset:8
	buffer_store_dword v15, v6, s[0:3], 0 offen offset:4
	buffer_store_dword v14, v6, s[0:3], 0 offen
	;; [unrolled: 5-line block ×4, first 2 shown]
	s_waitcnt lgkmcnt(0)
	flat_store_dwordx4 v[2:3], v[26:29]
	flat_store_dwordx4 v[34:35], v[10:13]
	;; [unrolled: 1-line block ×3, first 2 shown]
	buffer_load_dword v6, v5, s[0:3], 0 offen
	buffer_load_dword v7, v5, s[0:3], 0 offen offset:4
	buffer_load_dword v8, v5, s[0:3], 0 offen offset:8
	buffer_load_dword v9, v5, s[0:3], 0 offen offset:12
	v_add_co_u32_e32 v2, vcc, 0x3000, v2
	v_mov_b32_e32 v1, 0
	v_addc_co_u32_e32 v3, vcc, 0, v3, vcc
	s_waitcnt vmcnt(0)
	flat_store_dwordx4 v[2:3], v[6:9]
.LBB2069_584:
	s_and_saveexec_b64 s[6:7], s[4:5]
	s_cbranch_execnz .LBB2069_586
; %bb.585:
	s_endpgm
.LBB2069_586:
	buffer_load_dword v6, v4, s[0:3], 0 offen
	buffer_load_dword v7, v4, s[0:3], 0 offen offset:4
	buffer_load_dword v8, v4, s[0:3], 0 offen offset:8
	;; [unrolled: 1-line block ×3, first 2 shown]
	v_lshlrev_b64 v[0:1], 4, v[0:1]
	v_mov_b32_e32 v2, s9
	v_add_co_u32_e32 v0, vcc, s8, v0
	v_addc_co_u32_e32 v1, vcc, v2, v1, vcc
	v_add_co_u32_e32 v0, vcc, 0x4000, v0
	v_addc_co_u32_e32 v1, vcc, 0, v1, vcc
	s_waitcnt vmcnt(0)
	flat_store_dwordx4 v[0:1], v[6:9]
	s_endpgm
.LBB2069_587:
	v_mov_b32_e32 v21, s49
	v_add_co_u32_e32 v20, vcc, s48, v20
	v_addc_co_u32_e32 v21, vcc, 0, v21, vcc
	flat_load_dwordx4 v[20:23], v[20:21]
	s_waitcnt vmcnt(0) lgkmcnt(0)
	buffer_store_dword v21, off, s[0:3], 0 offset:100
	buffer_store_dword v20, off, s[0:3], 0 offset:96
	;; [unrolled: 1-line block ×4, first 2 shown]
	s_or_b64 exec, exec, s[4:5]
	s_and_saveexec_b64 s[4:5], s[12:13]
	s_cbranch_execz .LBB2069_357
.LBB2069_588:
	v_lshlrev_b32_e32 v15, 4, v15
	v_mov_b32_e32 v21, s49
	v_add_co_u32_e32 v20, vcc, s48, v15
	v_addc_co_u32_e32 v21, vcc, 0, v21, vcc
	flat_load_dwordx4 v[20:23], v[20:21]
	s_waitcnt vmcnt(0) lgkmcnt(0)
	buffer_store_dword v21, off, s[0:3], 0 offset:116
	buffer_store_dword v20, off, s[0:3], 0 offset:112
	;; [unrolled: 1-line block ×4, first 2 shown]
	s_or_b64 exec, exec, s[4:5]
	s_and_saveexec_b64 s[4:5], s[14:15]
	s_cbranch_execz .LBB2069_358
.LBB2069_589:
	v_lshlrev_b32_e32 v15, 4, v16
	v_mov_b32_e32 v16, s49
	v_add_co_u32_e32 v20, vcc, s48, v15
	v_addc_co_u32_e32 v21, vcc, 0, v16, vcc
	flat_load_dwordx4 v[20:23], v[20:21]
	s_waitcnt vmcnt(0) lgkmcnt(0)
	buffer_store_dword v21, off, s[0:3], 0 offset:132
	buffer_store_dword v20, off, s[0:3], 0 offset:128
	;; [unrolled: 1-line block ×4, first 2 shown]
	s_or_b64 exec, exec, s[4:5]
	s_and_saveexec_b64 s[4:5], s[16:17]
	s_cbranch_execz .LBB2069_359
.LBB2069_590:
	v_lshlrev_b32_e32 v15, 4, v17
	v_mov_b32_e32 v17, s49
	v_add_co_u32_e32 v16, vcc, s48, v15
	v_addc_co_u32_e32 v17, vcc, 0, v17, vcc
	flat_load_dwordx4 v[20:23], v[16:17]
	s_waitcnt vmcnt(0) lgkmcnt(0)
	buffer_store_dword v21, off, s[0:3], 0 offset:148
	buffer_store_dword v20, off, s[0:3], 0 offset:144
	;; [unrolled: 1-line block ×4, first 2 shown]
	s_or_b64 exec, exec, s[4:5]
	s_and_saveexec_b64 s[4:5], s[18:19]
	s_cbranch_execnz .LBB2069_360
	s_branch .LBB2069_361
.LBB2069_591:
                                        ; implicit-def: $sgpr4_sgpr5
	s_branch .LBB2069_352
.LBB2069_592:
                                        ; implicit-def: $sgpr4_sgpr5
	s_branch .LBB2069_373
	.section	.rodata,"a",@progbits
	.p2align	6, 0x0
	.amdhsa_kernel _ZN7rocprim17ROCPRIM_400000_NS6detail17trampoline_kernelINS0_14default_configENS1_27scan_by_key_config_selectorIj11FixedVectorIiLj4EEEEZZNS1_16scan_by_key_implILNS1_25lookback_scan_determinismE0ELb0ES3_N6thrust23THRUST_200600_302600_NS6detail15normal_iteratorINSB_10device_ptrIjEEEENSD_INSE_IS6_EEEESI_S6_NSB_4plusIvEENSB_8equal_toIvEES6_EE10hipError_tPvRmT2_T3_T4_T5_mT6_T7_P12ihipStream_tbENKUlT_T0_E_clISt17integral_constantIbLb0EES12_IbLb1EEEEDaSY_SZ_EUlSY_E_NS1_11comp_targetILNS1_3genE4ELNS1_11target_archE910ELNS1_3gpuE8ELNS1_3repE0EEENS1_30default_config_static_selectorELNS0_4arch9wavefront6targetE1EEEvT1_
		.amdhsa_group_segment_fixed_size 20480
		.amdhsa_private_segment_fixed_size 320
		.amdhsa_kernarg_size 144
		.amdhsa_user_sgpr_count 8
		.amdhsa_user_sgpr_private_segment_buffer 1
		.amdhsa_user_sgpr_dispatch_ptr 0
		.amdhsa_user_sgpr_queue_ptr 0
		.amdhsa_user_sgpr_kernarg_segment_ptr 1
		.amdhsa_user_sgpr_dispatch_id 0
		.amdhsa_user_sgpr_flat_scratch_init 1
		.amdhsa_user_sgpr_kernarg_preload_length 0
		.amdhsa_user_sgpr_kernarg_preload_offset 0
		.amdhsa_user_sgpr_private_segment_size 0
		.amdhsa_uses_dynamic_stack 0
		.amdhsa_system_sgpr_private_segment_wavefront_offset 1
		.amdhsa_system_sgpr_workgroup_id_x 1
		.amdhsa_system_sgpr_workgroup_id_y 0
		.amdhsa_system_sgpr_workgroup_id_z 0
		.amdhsa_system_sgpr_workgroup_info 0
		.amdhsa_system_vgpr_workitem_id 0
		.amdhsa_next_free_vgpr 43
		.amdhsa_next_free_sgpr 55
		.amdhsa_accum_offset 44
		.amdhsa_reserve_vcc 1
		.amdhsa_reserve_flat_scratch 1
		.amdhsa_float_round_mode_32 0
		.amdhsa_float_round_mode_16_64 0
		.amdhsa_float_denorm_mode_32 3
		.amdhsa_float_denorm_mode_16_64 3
		.amdhsa_dx10_clamp 1
		.amdhsa_ieee_mode 1
		.amdhsa_fp16_overflow 0
		.amdhsa_tg_split 0
		.amdhsa_exception_fp_ieee_invalid_op 0
		.amdhsa_exception_fp_denorm_src 0
		.amdhsa_exception_fp_ieee_div_zero 0
		.amdhsa_exception_fp_ieee_overflow 0
		.amdhsa_exception_fp_ieee_underflow 0
		.amdhsa_exception_fp_ieee_inexact 0
		.amdhsa_exception_int_div_zero 0
	.end_amdhsa_kernel
	.section	.text._ZN7rocprim17ROCPRIM_400000_NS6detail17trampoline_kernelINS0_14default_configENS1_27scan_by_key_config_selectorIj11FixedVectorIiLj4EEEEZZNS1_16scan_by_key_implILNS1_25lookback_scan_determinismE0ELb0ES3_N6thrust23THRUST_200600_302600_NS6detail15normal_iteratorINSB_10device_ptrIjEEEENSD_INSE_IS6_EEEESI_S6_NSB_4plusIvEENSB_8equal_toIvEES6_EE10hipError_tPvRmT2_T3_T4_T5_mT6_T7_P12ihipStream_tbENKUlT_T0_E_clISt17integral_constantIbLb0EES12_IbLb1EEEEDaSY_SZ_EUlSY_E_NS1_11comp_targetILNS1_3genE4ELNS1_11target_archE910ELNS1_3gpuE8ELNS1_3repE0EEENS1_30default_config_static_selectorELNS0_4arch9wavefront6targetE1EEEvT1_,"axG",@progbits,_ZN7rocprim17ROCPRIM_400000_NS6detail17trampoline_kernelINS0_14default_configENS1_27scan_by_key_config_selectorIj11FixedVectorIiLj4EEEEZZNS1_16scan_by_key_implILNS1_25lookback_scan_determinismE0ELb0ES3_N6thrust23THRUST_200600_302600_NS6detail15normal_iteratorINSB_10device_ptrIjEEEENSD_INSE_IS6_EEEESI_S6_NSB_4plusIvEENSB_8equal_toIvEES6_EE10hipError_tPvRmT2_T3_T4_T5_mT6_T7_P12ihipStream_tbENKUlT_T0_E_clISt17integral_constantIbLb0EES12_IbLb1EEEEDaSY_SZ_EUlSY_E_NS1_11comp_targetILNS1_3genE4ELNS1_11target_archE910ELNS1_3gpuE8ELNS1_3repE0EEENS1_30default_config_static_selectorELNS0_4arch9wavefront6targetE1EEEvT1_,comdat
.Lfunc_end2069:
	.size	_ZN7rocprim17ROCPRIM_400000_NS6detail17trampoline_kernelINS0_14default_configENS1_27scan_by_key_config_selectorIj11FixedVectorIiLj4EEEEZZNS1_16scan_by_key_implILNS1_25lookback_scan_determinismE0ELb0ES3_N6thrust23THRUST_200600_302600_NS6detail15normal_iteratorINSB_10device_ptrIjEEEENSD_INSE_IS6_EEEESI_S6_NSB_4plusIvEENSB_8equal_toIvEES6_EE10hipError_tPvRmT2_T3_T4_T5_mT6_T7_P12ihipStream_tbENKUlT_T0_E_clISt17integral_constantIbLb0EES12_IbLb1EEEEDaSY_SZ_EUlSY_E_NS1_11comp_targetILNS1_3genE4ELNS1_11target_archE910ELNS1_3gpuE8ELNS1_3repE0EEENS1_30default_config_static_selectorELNS0_4arch9wavefront6targetE1EEEvT1_, .Lfunc_end2069-_ZN7rocprim17ROCPRIM_400000_NS6detail17trampoline_kernelINS0_14default_configENS1_27scan_by_key_config_selectorIj11FixedVectorIiLj4EEEEZZNS1_16scan_by_key_implILNS1_25lookback_scan_determinismE0ELb0ES3_N6thrust23THRUST_200600_302600_NS6detail15normal_iteratorINSB_10device_ptrIjEEEENSD_INSE_IS6_EEEESI_S6_NSB_4plusIvEENSB_8equal_toIvEES6_EE10hipError_tPvRmT2_T3_T4_T5_mT6_T7_P12ihipStream_tbENKUlT_T0_E_clISt17integral_constantIbLb0EES12_IbLb1EEEEDaSY_SZ_EUlSY_E_NS1_11comp_targetILNS1_3genE4ELNS1_11target_archE910ELNS1_3gpuE8ELNS1_3repE0EEENS1_30default_config_static_selectorELNS0_4arch9wavefront6targetE1EEEvT1_
                                        ; -- End function
	.section	.AMDGPU.csdata,"",@progbits
; Kernel info:
; codeLenInByte = 29768
; NumSgprs: 61
; NumVgprs: 43
; NumAgprs: 0
; TotalNumVgprs: 43
; ScratchSize: 320
; MemoryBound: 0
; FloatMode: 240
; IeeeMode: 1
; LDSByteSize: 20480 bytes/workgroup (compile time only)
; SGPRBlocks: 7
; VGPRBlocks: 5
; NumSGPRsForWavesPerEU: 61
; NumVGPRsForWavesPerEU: 43
; AccumOffset: 44
; Occupancy: 3
; WaveLimiterHint : 1
; COMPUTE_PGM_RSRC2:SCRATCH_EN: 1
; COMPUTE_PGM_RSRC2:USER_SGPR: 8
; COMPUTE_PGM_RSRC2:TRAP_HANDLER: 0
; COMPUTE_PGM_RSRC2:TGID_X_EN: 1
; COMPUTE_PGM_RSRC2:TGID_Y_EN: 0
; COMPUTE_PGM_RSRC2:TGID_Z_EN: 0
; COMPUTE_PGM_RSRC2:TIDIG_COMP_CNT: 0
; COMPUTE_PGM_RSRC3_GFX90A:ACCUM_OFFSET: 10
; COMPUTE_PGM_RSRC3_GFX90A:TG_SPLIT: 0
	.section	.text._ZN7rocprim17ROCPRIM_400000_NS6detail17trampoline_kernelINS0_14default_configENS1_27scan_by_key_config_selectorIj11FixedVectorIiLj4EEEEZZNS1_16scan_by_key_implILNS1_25lookback_scan_determinismE0ELb0ES3_N6thrust23THRUST_200600_302600_NS6detail15normal_iteratorINSB_10device_ptrIjEEEENSD_INSE_IS6_EEEESI_S6_NSB_4plusIvEENSB_8equal_toIvEES6_EE10hipError_tPvRmT2_T3_T4_T5_mT6_T7_P12ihipStream_tbENKUlT_T0_E_clISt17integral_constantIbLb0EES12_IbLb1EEEEDaSY_SZ_EUlSY_E_NS1_11comp_targetILNS1_3genE3ELNS1_11target_archE908ELNS1_3gpuE7ELNS1_3repE0EEENS1_30default_config_static_selectorELNS0_4arch9wavefront6targetE1EEEvT1_,"axG",@progbits,_ZN7rocprim17ROCPRIM_400000_NS6detail17trampoline_kernelINS0_14default_configENS1_27scan_by_key_config_selectorIj11FixedVectorIiLj4EEEEZZNS1_16scan_by_key_implILNS1_25lookback_scan_determinismE0ELb0ES3_N6thrust23THRUST_200600_302600_NS6detail15normal_iteratorINSB_10device_ptrIjEEEENSD_INSE_IS6_EEEESI_S6_NSB_4plusIvEENSB_8equal_toIvEES6_EE10hipError_tPvRmT2_T3_T4_T5_mT6_T7_P12ihipStream_tbENKUlT_T0_E_clISt17integral_constantIbLb0EES12_IbLb1EEEEDaSY_SZ_EUlSY_E_NS1_11comp_targetILNS1_3genE3ELNS1_11target_archE908ELNS1_3gpuE7ELNS1_3repE0EEENS1_30default_config_static_selectorELNS0_4arch9wavefront6targetE1EEEvT1_,comdat
	.protected	_ZN7rocprim17ROCPRIM_400000_NS6detail17trampoline_kernelINS0_14default_configENS1_27scan_by_key_config_selectorIj11FixedVectorIiLj4EEEEZZNS1_16scan_by_key_implILNS1_25lookback_scan_determinismE0ELb0ES3_N6thrust23THRUST_200600_302600_NS6detail15normal_iteratorINSB_10device_ptrIjEEEENSD_INSE_IS6_EEEESI_S6_NSB_4plusIvEENSB_8equal_toIvEES6_EE10hipError_tPvRmT2_T3_T4_T5_mT6_T7_P12ihipStream_tbENKUlT_T0_E_clISt17integral_constantIbLb0EES12_IbLb1EEEEDaSY_SZ_EUlSY_E_NS1_11comp_targetILNS1_3genE3ELNS1_11target_archE908ELNS1_3gpuE7ELNS1_3repE0EEENS1_30default_config_static_selectorELNS0_4arch9wavefront6targetE1EEEvT1_ ; -- Begin function _ZN7rocprim17ROCPRIM_400000_NS6detail17trampoline_kernelINS0_14default_configENS1_27scan_by_key_config_selectorIj11FixedVectorIiLj4EEEEZZNS1_16scan_by_key_implILNS1_25lookback_scan_determinismE0ELb0ES3_N6thrust23THRUST_200600_302600_NS6detail15normal_iteratorINSB_10device_ptrIjEEEENSD_INSE_IS6_EEEESI_S6_NSB_4plusIvEENSB_8equal_toIvEES6_EE10hipError_tPvRmT2_T3_T4_T5_mT6_T7_P12ihipStream_tbENKUlT_T0_E_clISt17integral_constantIbLb0EES12_IbLb1EEEEDaSY_SZ_EUlSY_E_NS1_11comp_targetILNS1_3genE3ELNS1_11target_archE908ELNS1_3gpuE7ELNS1_3repE0EEENS1_30default_config_static_selectorELNS0_4arch9wavefront6targetE1EEEvT1_
	.globl	_ZN7rocprim17ROCPRIM_400000_NS6detail17trampoline_kernelINS0_14default_configENS1_27scan_by_key_config_selectorIj11FixedVectorIiLj4EEEEZZNS1_16scan_by_key_implILNS1_25lookback_scan_determinismE0ELb0ES3_N6thrust23THRUST_200600_302600_NS6detail15normal_iteratorINSB_10device_ptrIjEEEENSD_INSE_IS6_EEEESI_S6_NSB_4plusIvEENSB_8equal_toIvEES6_EE10hipError_tPvRmT2_T3_T4_T5_mT6_T7_P12ihipStream_tbENKUlT_T0_E_clISt17integral_constantIbLb0EES12_IbLb1EEEEDaSY_SZ_EUlSY_E_NS1_11comp_targetILNS1_3genE3ELNS1_11target_archE908ELNS1_3gpuE7ELNS1_3repE0EEENS1_30default_config_static_selectorELNS0_4arch9wavefront6targetE1EEEvT1_
	.p2align	8
	.type	_ZN7rocprim17ROCPRIM_400000_NS6detail17trampoline_kernelINS0_14default_configENS1_27scan_by_key_config_selectorIj11FixedVectorIiLj4EEEEZZNS1_16scan_by_key_implILNS1_25lookback_scan_determinismE0ELb0ES3_N6thrust23THRUST_200600_302600_NS6detail15normal_iteratorINSB_10device_ptrIjEEEENSD_INSE_IS6_EEEESI_S6_NSB_4plusIvEENSB_8equal_toIvEES6_EE10hipError_tPvRmT2_T3_T4_T5_mT6_T7_P12ihipStream_tbENKUlT_T0_E_clISt17integral_constantIbLb0EES12_IbLb1EEEEDaSY_SZ_EUlSY_E_NS1_11comp_targetILNS1_3genE3ELNS1_11target_archE908ELNS1_3gpuE7ELNS1_3repE0EEENS1_30default_config_static_selectorELNS0_4arch9wavefront6targetE1EEEvT1_,@function
_ZN7rocprim17ROCPRIM_400000_NS6detail17trampoline_kernelINS0_14default_configENS1_27scan_by_key_config_selectorIj11FixedVectorIiLj4EEEEZZNS1_16scan_by_key_implILNS1_25lookback_scan_determinismE0ELb0ES3_N6thrust23THRUST_200600_302600_NS6detail15normal_iteratorINSB_10device_ptrIjEEEENSD_INSE_IS6_EEEESI_S6_NSB_4plusIvEENSB_8equal_toIvEES6_EE10hipError_tPvRmT2_T3_T4_T5_mT6_T7_P12ihipStream_tbENKUlT_T0_E_clISt17integral_constantIbLb0EES12_IbLb1EEEEDaSY_SZ_EUlSY_E_NS1_11comp_targetILNS1_3genE3ELNS1_11target_archE908ELNS1_3gpuE7ELNS1_3repE0EEENS1_30default_config_static_selectorELNS0_4arch9wavefront6targetE1EEEvT1_: ; @_ZN7rocprim17ROCPRIM_400000_NS6detail17trampoline_kernelINS0_14default_configENS1_27scan_by_key_config_selectorIj11FixedVectorIiLj4EEEEZZNS1_16scan_by_key_implILNS1_25lookback_scan_determinismE0ELb0ES3_N6thrust23THRUST_200600_302600_NS6detail15normal_iteratorINSB_10device_ptrIjEEEENSD_INSE_IS6_EEEESI_S6_NSB_4plusIvEENSB_8equal_toIvEES6_EE10hipError_tPvRmT2_T3_T4_T5_mT6_T7_P12ihipStream_tbENKUlT_T0_E_clISt17integral_constantIbLb0EES12_IbLb1EEEEDaSY_SZ_EUlSY_E_NS1_11comp_targetILNS1_3genE3ELNS1_11target_archE908ELNS1_3gpuE7ELNS1_3repE0EEENS1_30default_config_static_selectorELNS0_4arch9wavefront6targetE1EEEvT1_
; %bb.0:
	.section	.rodata,"a",@progbits
	.p2align	6, 0x0
	.amdhsa_kernel _ZN7rocprim17ROCPRIM_400000_NS6detail17trampoline_kernelINS0_14default_configENS1_27scan_by_key_config_selectorIj11FixedVectorIiLj4EEEEZZNS1_16scan_by_key_implILNS1_25lookback_scan_determinismE0ELb0ES3_N6thrust23THRUST_200600_302600_NS6detail15normal_iteratorINSB_10device_ptrIjEEEENSD_INSE_IS6_EEEESI_S6_NSB_4plusIvEENSB_8equal_toIvEES6_EE10hipError_tPvRmT2_T3_T4_T5_mT6_T7_P12ihipStream_tbENKUlT_T0_E_clISt17integral_constantIbLb0EES12_IbLb1EEEEDaSY_SZ_EUlSY_E_NS1_11comp_targetILNS1_3genE3ELNS1_11target_archE908ELNS1_3gpuE7ELNS1_3repE0EEENS1_30default_config_static_selectorELNS0_4arch9wavefront6targetE1EEEvT1_
		.amdhsa_group_segment_fixed_size 0
		.amdhsa_private_segment_fixed_size 0
		.amdhsa_kernarg_size 144
		.amdhsa_user_sgpr_count 6
		.amdhsa_user_sgpr_private_segment_buffer 1
		.amdhsa_user_sgpr_dispatch_ptr 0
		.amdhsa_user_sgpr_queue_ptr 0
		.amdhsa_user_sgpr_kernarg_segment_ptr 1
		.amdhsa_user_sgpr_dispatch_id 0
		.amdhsa_user_sgpr_flat_scratch_init 0
		.amdhsa_user_sgpr_kernarg_preload_length 0
		.amdhsa_user_sgpr_kernarg_preload_offset 0
		.amdhsa_user_sgpr_private_segment_size 0
		.amdhsa_uses_dynamic_stack 0
		.amdhsa_system_sgpr_private_segment_wavefront_offset 0
		.amdhsa_system_sgpr_workgroup_id_x 1
		.amdhsa_system_sgpr_workgroup_id_y 0
		.amdhsa_system_sgpr_workgroup_id_z 0
		.amdhsa_system_sgpr_workgroup_info 0
		.amdhsa_system_vgpr_workitem_id 0
		.amdhsa_next_free_vgpr 1
		.amdhsa_next_free_sgpr 0
		.amdhsa_accum_offset 4
		.amdhsa_reserve_vcc 0
		.amdhsa_reserve_flat_scratch 0
		.amdhsa_float_round_mode_32 0
		.amdhsa_float_round_mode_16_64 0
		.amdhsa_float_denorm_mode_32 3
		.amdhsa_float_denorm_mode_16_64 3
		.amdhsa_dx10_clamp 1
		.amdhsa_ieee_mode 1
		.amdhsa_fp16_overflow 0
		.amdhsa_tg_split 0
		.amdhsa_exception_fp_ieee_invalid_op 0
		.amdhsa_exception_fp_denorm_src 0
		.amdhsa_exception_fp_ieee_div_zero 0
		.amdhsa_exception_fp_ieee_overflow 0
		.amdhsa_exception_fp_ieee_underflow 0
		.amdhsa_exception_fp_ieee_inexact 0
		.amdhsa_exception_int_div_zero 0
	.end_amdhsa_kernel
	.section	.text._ZN7rocprim17ROCPRIM_400000_NS6detail17trampoline_kernelINS0_14default_configENS1_27scan_by_key_config_selectorIj11FixedVectorIiLj4EEEEZZNS1_16scan_by_key_implILNS1_25lookback_scan_determinismE0ELb0ES3_N6thrust23THRUST_200600_302600_NS6detail15normal_iteratorINSB_10device_ptrIjEEEENSD_INSE_IS6_EEEESI_S6_NSB_4plusIvEENSB_8equal_toIvEES6_EE10hipError_tPvRmT2_T3_T4_T5_mT6_T7_P12ihipStream_tbENKUlT_T0_E_clISt17integral_constantIbLb0EES12_IbLb1EEEEDaSY_SZ_EUlSY_E_NS1_11comp_targetILNS1_3genE3ELNS1_11target_archE908ELNS1_3gpuE7ELNS1_3repE0EEENS1_30default_config_static_selectorELNS0_4arch9wavefront6targetE1EEEvT1_,"axG",@progbits,_ZN7rocprim17ROCPRIM_400000_NS6detail17trampoline_kernelINS0_14default_configENS1_27scan_by_key_config_selectorIj11FixedVectorIiLj4EEEEZZNS1_16scan_by_key_implILNS1_25lookback_scan_determinismE0ELb0ES3_N6thrust23THRUST_200600_302600_NS6detail15normal_iteratorINSB_10device_ptrIjEEEENSD_INSE_IS6_EEEESI_S6_NSB_4plusIvEENSB_8equal_toIvEES6_EE10hipError_tPvRmT2_T3_T4_T5_mT6_T7_P12ihipStream_tbENKUlT_T0_E_clISt17integral_constantIbLb0EES12_IbLb1EEEEDaSY_SZ_EUlSY_E_NS1_11comp_targetILNS1_3genE3ELNS1_11target_archE908ELNS1_3gpuE7ELNS1_3repE0EEENS1_30default_config_static_selectorELNS0_4arch9wavefront6targetE1EEEvT1_,comdat
.Lfunc_end2070:
	.size	_ZN7rocprim17ROCPRIM_400000_NS6detail17trampoline_kernelINS0_14default_configENS1_27scan_by_key_config_selectorIj11FixedVectorIiLj4EEEEZZNS1_16scan_by_key_implILNS1_25lookback_scan_determinismE0ELb0ES3_N6thrust23THRUST_200600_302600_NS6detail15normal_iteratorINSB_10device_ptrIjEEEENSD_INSE_IS6_EEEESI_S6_NSB_4plusIvEENSB_8equal_toIvEES6_EE10hipError_tPvRmT2_T3_T4_T5_mT6_T7_P12ihipStream_tbENKUlT_T0_E_clISt17integral_constantIbLb0EES12_IbLb1EEEEDaSY_SZ_EUlSY_E_NS1_11comp_targetILNS1_3genE3ELNS1_11target_archE908ELNS1_3gpuE7ELNS1_3repE0EEENS1_30default_config_static_selectorELNS0_4arch9wavefront6targetE1EEEvT1_, .Lfunc_end2070-_ZN7rocprim17ROCPRIM_400000_NS6detail17trampoline_kernelINS0_14default_configENS1_27scan_by_key_config_selectorIj11FixedVectorIiLj4EEEEZZNS1_16scan_by_key_implILNS1_25lookback_scan_determinismE0ELb0ES3_N6thrust23THRUST_200600_302600_NS6detail15normal_iteratorINSB_10device_ptrIjEEEENSD_INSE_IS6_EEEESI_S6_NSB_4plusIvEENSB_8equal_toIvEES6_EE10hipError_tPvRmT2_T3_T4_T5_mT6_T7_P12ihipStream_tbENKUlT_T0_E_clISt17integral_constantIbLb0EES12_IbLb1EEEEDaSY_SZ_EUlSY_E_NS1_11comp_targetILNS1_3genE3ELNS1_11target_archE908ELNS1_3gpuE7ELNS1_3repE0EEENS1_30default_config_static_selectorELNS0_4arch9wavefront6targetE1EEEvT1_
                                        ; -- End function
	.section	.AMDGPU.csdata,"",@progbits
; Kernel info:
; codeLenInByte = 0
; NumSgprs: 4
; NumVgprs: 0
; NumAgprs: 0
; TotalNumVgprs: 0
; ScratchSize: 0
; MemoryBound: 0
; FloatMode: 240
; IeeeMode: 1
; LDSByteSize: 0 bytes/workgroup (compile time only)
; SGPRBlocks: 0
; VGPRBlocks: 0
; NumSGPRsForWavesPerEU: 4
; NumVGPRsForWavesPerEU: 1
; AccumOffset: 4
; Occupancy: 8
; WaveLimiterHint : 0
; COMPUTE_PGM_RSRC2:SCRATCH_EN: 0
; COMPUTE_PGM_RSRC2:USER_SGPR: 6
; COMPUTE_PGM_RSRC2:TRAP_HANDLER: 0
; COMPUTE_PGM_RSRC2:TGID_X_EN: 1
; COMPUTE_PGM_RSRC2:TGID_Y_EN: 0
; COMPUTE_PGM_RSRC2:TGID_Z_EN: 0
; COMPUTE_PGM_RSRC2:TIDIG_COMP_CNT: 0
; COMPUTE_PGM_RSRC3_GFX90A:ACCUM_OFFSET: 0
; COMPUTE_PGM_RSRC3_GFX90A:TG_SPLIT: 0
	.section	.text._ZN7rocprim17ROCPRIM_400000_NS6detail17trampoline_kernelINS0_14default_configENS1_27scan_by_key_config_selectorIj11FixedVectorIiLj4EEEEZZNS1_16scan_by_key_implILNS1_25lookback_scan_determinismE0ELb0ES3_N6thrust23THRUST_200600_302600_NS6detail15normal_iteratorINSB_10device_ptrIjEEEENSD_INSE_IS6_EEEESI_S6_NSB_4plusIvEENSB_8equal_toIvEES6_EE10hipError_tPvRmT2_T3_T4_T5_mT6_T7_P12ihipStream_tbENKUlT_T0_E_clISt17integral_constantIbLb0EES12_IbLb1EEEEDaSY_SZ_EUlSY_E_NS1_11comp_targetILNS1_3genE2ELNS1_11target_archE906ELNS1_3gpuE6ELNS1_3repE0EEENS1_30default_config_static_selectorELNS0_4arch9wavefront6targetE1EEEvT1_,"axG",@progbits,_ZN7rocprim17ROCPRIM_400000_NS6detail17trampoline_kernelINS0_14default_configENS1_27scan_by_key_config_selectorIj11FixedVectorIiLj4EEEEZZNS1_16scan_by_key_implILNS1_25lookback_scan_determinismE0ELb0ES3_N6thrust23THRUST_200600_302600_NS6detail15normal_iteratorINSB_10device_ptrIjEEEENSD_INSE_IS6_EEEESI_S6_NSB_4plusIvEENSB_8equal_toIvEES6_EE10hipError_tPvRmT2_T3_T4_T5_mT6_T7_P12ihipStream_tbENKUlT_T0_E_clISt17integral_constantIbLb0EES12_IbLb1EEEEDaSY_SZ_EUlSY_E_NS1_11comp_targetILNS1_3genE2ELNS1_11target_archE906ELNS1_3gpuE6ELNS1_3repE0EEENS1_30default_config_static_selectorELNS0_4arch9wavefront6targetE1EEEvT1_,comdat
	.protected	_ZN7rocprim17ROCPRIM_400000_NS6detail17trampoline_kernelINS0_14default_configENS1_27scan_by_key_config_selectorIj11FixedVectorIiLj4EEEEZZNS1_16scan_by_key_implILNS1_25lookback_scan_determinismE0ELb0ES3_N6thrust23THRUST_200600_302600_NS6detail15normal_iteratorINSB_10device_ptrIjEEEENSD_INSE_IS6_EEEESI_S6_NSB_4plusIvEENSB_8equal_toIvEES6_EE10hipError_tPvRmT2_T3_T4_T5_mT6_T7_P12ihipStream_tbENKUlT_T0_E_clISt17integral_constantIbLb0EES12_IbLb1EEEEDaSY_SZ_EUlSY_E_NS1_11comp_targetILNS1_3genE2ELNS1_11target_archE906ELNS1_3gpuE6ELNS1_3repE0EEENS1_30default_config_static_selectorELNS0_4arch9wavefront6targetE1EEEvT1_ ; -- Begin function _ZN7rocprim17ROCPRIM_400000_NS6detail17trampoline_kernelINS0_14default_configENS1_27scan_by_key_config_selectorIj11FixedVectorIiLj4EEEEZZNS1_16scan_by_key_implILNS1_25lookback_scan_determinismE0ELb0ES3_N6thrust23THRUST_200600_302600_NS6detail15normal_iteratorINSB_10device_ptrIjEEEENSD_INSE_IS6_EEEESI_S6_NSB_4plusIvEENSB_8equal_toIvEES6_EE10hipError_tPvRmT2_T3_T4_T5_mT6_T7_P12ihipStream_tbENKUlT_T0_E_clISt17integral_constantIbLb0EES12_IbLb1EEEEDaSY_SZ_EUlSY_E_NS1_11comp_targetILNS1_3genE2ELNS1_11target_archE906ELNS1_3gpuE6ELNS1_3repE0EEENS1_30default_config_static_selectorELNS0_4arch9wavefront6targetE1EEEvT1_
	.globl	_ZN7rocprim17ROCPRIM_400000_NS6detail17trampoline_kernelINS0_14default_configENS1_27scan_by_key_config_selectorIj11FixedVectorIiLj4EEEEZZNS1_16scan_by_key_implILNS1_25lookback_scan_determinismE0ELb0ES3_N6thrust23THRUST_200600_302600_NS6detail15normal_iteratorINSB_10device_ptrIjEEEENSD_INSE_IS6_EEEESI_S6_NSB_4plusIvEENSB_8equal_toIvEES6_EE10hipError_tPvRmT2_T3_T4_T5_mT6_T7_P12ihipStream_tbENKUlT_T0_E_clISt17integral_constantIbLb0EES12_IbLb1EEEEDaSY_SZ_EUlSY_E_NS1_11comp_targetILNS1_3genE2ELNS1_11target_archE906ELNS1_3gpuE6ELNS1_3repE0EEENS1_30default_config_static_selectorELNS0_4arch9wavefront6targetE1EEEvT1_
	.p2align	8
	.type	_ZN7rocprim17ROCPRIM_400000_NS6detail17trampoline_kernelINS0_14default_configENS1_27scan_by_key_config_selectorIj11FixedVectorIiLj4EEEEZZNS1_16scan_by_key_implILNS1_25lookback_scan_determinismE0ELb0ES3_N6thrust23THRUST_200600_302600_NS6detail15normal_iteratorINSB_10device_ptrIjEEEENSD_INSE_IS6_EEEESI_S6_NSB_4plusIvEENSB_8equal_toIvEES6_EE10hipError_tPvRmT2_T3_T4_T5_mT6_T7_P12ihipStream_tbENKUlT_T0_E_clISt17integral_constantIbLb0EES12_IbLb1EEEEDaSY_SZ_EUlSY_E_NS1_11comp_targetILNS1_3genE2ELNS1_11target_archE906ELNS1_3gpuE6ELNS1_3repE0EEENS1_30default_config_static_selectorELNS0_4arch9wavefront6targetE1EEEvT1_,@function
_ZN7rocprim17ROCPRIM_400000_NS6detail17trampoline_kernelINS0_14default_configENS1_27scan_by_key_config_selectorIj11FixedVectorIiLj4EEEEZZNS1_16scan_by_key_implILNS1_25lookback_scan_determinismE0ELb0ES3_N6thrust23THRUST_200600_302600_NS6detail15normal_iteratorINSB_10device_ptrIjEEEENSD_INSE_IS6_EEEESI_S6_NSB_4plusIvEENSB_8equal_toIvEES6_EE10hipError_tPvRmT2_T3_T4_T5_mT6_T7_P12ihipStream_tbENKUlT_T0_E_clISt17integral_constantIbLb0EES12_IbLb1EEEEDaSY_SZ_EUlSY_E_NS1_11comp_targetILNS1_3genE2ELNS1_11target_archE906ELNS1_3gpuE6ELNS1_3repE0EEENS1_30default_config_static_selectorELNS0_4arch9wavefront6targetE1EEEvT1_: ; @_ZN7rocprim17ROCPRIM_400000_NS6detail17trampoline_kernelINS0_14default_configENS1_27scan_by_key_config_selectorIj11FixedVectorIiLj4EEEEZZNS1_16scan_by_key_implILNS1_25lookback_scan_determinismE0ELb0ES3_N6thrust23THRUST_200600_302600_NS6detail15normal_iteratorINSB_10device_ptrIjEEEENSD_INSE_IS6_EEEESI_S6_NSB_4plusIvEENSB_8equal_toIvEES6_EE10hipError_tPvRmT2_T3_T4_T5_mT6_T7_P12ihipStream_tbENKUlT_T0_E_clISt17integral_constantIbLb0EES12_IbLb1EEEEDaSY_SZ_EUlSY_E_NS1_11comp_targetILNS1_3genE2ELNS1_11target_archE906ELNS1_3gpuE6ELNS1_3repE0EEENS1_30default_config_static_selectorELNS0_4arch9wavefront6targetE1EEEvT1_
; %bb.0:
	.section	.rodata,"a",@progbits
	.p2align	6, 0x0
	.amdhsa_kernel _ZN7rocprim17ROCPRIM_400000_NS6detail17trampoline_kernelINS0_14default_configENS1_27scan_by_key_config_selectorIj11FixedVectorIiLj4EEEEZZNS1_16scan_by_key_implILNS1_25lookback_scan_determinismE0ELb0ES3_N6thrust23THRUST_200600_302600_NS6detail15normal_iteratorINSB_10device_ptrIjEEEENSD_INSE_IS6_EEEESI_S6_NSB_4plusIvEENSB_8equal_toIvEES6_EE10hipError_tPvRmT2_T3_T4_T5_mT6_T7_P12ihipStream_tbENKUlT_T0_E_clISt17integral_constantIbLb0EES12_IbLb1EEEEDaSY_SZ_EUlSY_E_NS1_11comp_targetILNS1_3genE2ELNS1_11target_archE906ELNS1_3gpuE6ELNS1_3repE0EEENS1_30default_config_static_selectorELNS0_4arch9wavefront6targetE1EEEvT1_
		.amdhsa_group_segment_fixed_size 0
		.amdhsa_private_segment_fixed_size 0
		.amdhsa_kernarg_size 144
		.amdhsa_user_sgpr_count 6
		.amdhsa_user_sgpr_private_segment_buffer 1
		.amdhsa_user_sgpr_dispatch_ptr 0
		.amdhsa_user_sgpr_queue_ptr 0
		.amdhsa_user_sgpr_kernarg_segment_ptr 1
		.amdhsa_user_sgpr_dispatch_id 0
		.amdhsa_user_sgpr_flat_scratch_init 0
		.amdhsa_user_sgpr_kernarg_preload_length 0
		.amdhsa_user_sgpr_kernarg_preload_offset 0
		.amdhsa_user_sgpr_private_segment_size 0
		.amdhsa_uses_dynamic_stack 0
		.amdhsa_system_sgpr_private_segment_wavefront_offset 0
		.amdhsa_system_sgpr_workgroup_id_x 1
		.amdhsa_system_sgpr_workgroup_id_y 0
		.amdhsa_system_sgpr_workgroup_id_z 0
		.amdhsa_system_sgpr_workgroup_info 0
		.amdhsa_system_vgpr_workitem_id 0
		.amdhsa_next_free_vgpr 1
		.amdhsa_next_free_sgpr 0
		.amdhsa_accum_offset 4
		.amdhsa_reserve_vcc 0
		.amdhsa_reserve_flat_scratch 0
		.amdhsa_float_round_mode_32 0
		.amdhsa_float_round_mode_16_64 0
		.amdhsa_float_denorm_mode_32 3
		.amdhsa_float_denorm_mode_16_64 3
		.amdhsa_dx10_clamp 1
		.amdhsa_ieee_mode 1
		.amdhsa_fp16_overflow 0
		.amdhsa_tg_split 0
		.amdhsa_exception_fp_ieee_invalid_op 0
		.amdhsa_exception_fp_denorm_src 0
		.amdhsa_exception_fp_ieee_div_zero 0
		.amdhsa_exception_fp_ieee_overflow 0
		.amdhsa_exception_fp_ieee_underflow 0
		.amdhsa_exception_fp_ieee_inexact 0
		.amdhsa_exception_int_div_zero 0
	.end_amdhsa_kernel
	.section	.text._ZN7rocprim17ROCPRIM_400000_NS6detail17trampoline_kernelINS0_14default_configENS1_27scan_by_key_config_selectorIj11FixedVectorIiLj4EEEEZZNS1_16scan_by_key_implILNS1_25lookback_scan_determinismE0ELb0ES3_N6thrust23THRUST_200600_302600_NS6detail15normal_iteratorINSB_10device_ptrIjEEEENSD_INSE_IS6_EEEESI_S6_NSB_4plusIvEENSB_8equal_toIvEES6_EE10hipError_tPvRmT2_T3_T4_T5_mT6_T7_P12ihipStream_tbENKUlT_T0_E_clISt17integral_constantIbLb0EES12_IbLb1EEEEDaSY_SZ_EUlSY_E_NS1_11comp_targetILNS1_3genE2ELNS1_11target_archE906ELNS1_3gpuE6ELNS1_3repE0EEENS1_30default_config_static_selectorELNS0_4arch9wavefront6targetE1EEEvT1_,"axG",@progbits,_ZN7rocprim17ROCPRIM_400000_NS6detail17trampoline_kernelINS0_14default_configENS1_27scan_by_key_config_selectorIj11FixedVectorIiLj4EEEEZZNS1_16scan_by_key_implILNS1_25lookback_scan_determinismE0ELb0ES3_N6thrust23THRUST_200600_302600_NS6detail15normal_iteratorINSB_10device_ptrIjEEEENSD_INSE_IS6_EEEESI_S6_NSB_4plusIvEENSB_8equal_toIvEES6_EE10hipError_tPvRmT2_T3_T4_T5_mT6_T7_P12ihipStream_tbENKUlT_T0_E_clISt17integral_constantIbLb0EES12_IbLb1EEEEDaSY_SZ_EUlSY_E_NS1_11comp_targetILNS1_3genE2ELNS1_11target_archE906ELNS1_3gpuE6ELNS1_3repE0EEENS1_30default_config_static_selectorELNS0_4arch9wavefront6targetE1EEEvT1_,comdat
.Lfunc_end2071:
	.size	_ZN7rocprim17ROCPRIM_400000_NS6detail17trampoline_kernelINS0_14default_configENS1_27scan_by_key_config_selectorIj11FixedVectorIiLj4EEEEZZNS1_16scan_by_key_implILNS1_25lookback_scan_determinismE0ELb0ES3_N6thrust23THRUST_200600_302600_NS6detail15normal_iteratorINSB_10device_ptrIjEEEENSD_INSE_IS6_EEEESI_S6_NSB_4plusIvEENSB_8equal_toIvEES6_EE10hipError_tPvRmT2_T3_T4_T5_mT6_T7_P12ihipStream_tbENKUlT_T0_E_clISt17integral_constantIbLb0EES12_IbLb1EEEEDaSY_SZ_EUlSY_E_NS1_11comp_targetILNS1_3genE2ELNS1_11target_archE906ELNS1_3gpuE6ELNS1_3repE0EEENS1_30default_config_static_selectorELNS0_4arch9wavefront6targetE1EEEvT1_, .Lfunc_end2071-_ZN7rocprim17ROCPRIM_400000_NS6detail17trampoline_kernelINS0_14default_configENS1_27scan_by_key_config_selectorIj11FixedVectorIiLj4EEEEZZNS1_16scan_by_key_implILNS1_25lookback_scan_determinismE0ELb0ES3_N6thrust23THRUST_200600_302600_NS6detail15normal_iteratorINSB_10device_ptrIjEEEENSD_INSE_IS6_EEEESI_S6_NSB_4plusIvEENSB_8equal_toIvEES6_EE10hipError_tPvRmT2_T3_T4_T5_mT6_T7_P12ihipStream_tbENKUlT_T0_E_clISt17integral_constantIbLb0EES12_IbLb1EEEEDaSY_SZ_EUlSY_E_NS1_11comp_targetILNS1_3genE2ELNS1_11target_archE906ELNS1_3gpuE6ELNS1_3repE0EEENS1_30default_config_static_selectorELNS0_4arch9wavefront6targetE1EEEvT1_
                                        ; -- End function
	.section	.AMDGPU.csdata,"",@progbits
; Kernel info:
; codeLenInByte = 0
; NumSgprs: 4
; NumVgprs: 0
; NumAgprs: 0
; TotalNumVgprs: 0
; ScratchSize: 0
; MemoryBound: 0
; FloatMode: 240
; IeeeMode: 1
; LDSByteSize: 0 bytes/workgroup (compile time only)
; SGPRBlocks: 0
; VGPRBlocks: 0
; NumSGPRsForWavesPerEU: 4
; NumVGPRsForWavesPerEU: 1
; AccumOffset: 4
; Occupancy: 8
; WaveLimiterHint : 0
; COMPUTE_PGM_RSRC2:SCRATCH_EN: 0
; COMPUTE_PGM_RSRC2:USER_SGPR: 6
; COMPUTE_PGM_RSRC2:TRAP_HANDLER: 0
; COMPUTE_PGM_RSRC2:TGID_X_EN: 1
; COMPUTE_PGM_RSRC2:TGID_Y_EN: 0
; COMPUTE_PGM_RSRC2:TGID_Z_EN: 0
; COMPUTE_PGM_RSRC2:TIDIG_COMP_CNT: 0
; COMPUTE_PGM_RSRC3_GFX90A:ACCUM_OFFSET: 0
; COMPUTE_PGM_RSRC3_GFX90A:TG_SPLIT: 0
	.section	.text._ZN7rocprim17ROCPRIM_400000_NS6detail17trampoline_kernelINS0_14default_configENS1_27scan_by_key_config_selectorIj11FixedVectorIiLj4EEEEZZNS1_16scan_by_key_implILNS1_25lookback_scan_determinismE0ELb0ES3_N6thrust23THRUST_200600_302600_NS6detail15normal_iteratorINSB_10device_ptrIjEEEENSD_INSE_IS6_EEEESI_S6_NSB_4plusIvEENSB_8equal_toIvEES6_EE10hipError_tPvRmT2_T3_T4_T5_mT6_T7_P12ihipStream_tbENKUlT_T0_E_clISt17integral_constantIbLb0EES12_IbLb1EEEEDaSY_SZ_EUlSY_E_NS1_11comp_targetILNS1_3genE10ELNS1_11target_archE1200ELNS1_3gpuE4ELNS1_3repE0EEENS1_30default_config_static_selectorELNS0_4arch9wavefront6targetE1EEEvT1_,"axG",@progbits,_ZN7rocprim17ROCPRIM_400000_NS6detail17trampoline_kernelINS0_14default_configENS1_27scan_by_key_config_selectorIj11FixedVectorIiLj4EEEEZZNS1_16scan_by_key_implILNS1_25lookback_scan_determinismE0ELb0ES3_N6thrust23THRUST_200600_302600_NS6detail15normal_iteratorINSB_10device_ptrIjEEEENSD_INSE_IS6_EEEESI_S6_NSB_4plusIvEENSB_8equal_toIvEES6_EE10hipError_tPvRmT2_T3_T4_T5_mT6_T7_P12ihipStream_tbENKUlT_T0_E_clISt17integral_constantIbLb0EES12_IbLb1EEEEDaSY_SZ_EUlSY_E_NS1_11comp_targetILNS1_3genE10ELNS1_11target_archE1200ELNS1_3gpuE4ELNS1_3repE0EEENS1_30default_config_static_selectorELNS0_4arch9wavefront6targetE1EEEvT1_,comdat
	.protected	_ZN7rocprim17ROCPRIM_400000_NS6detail17trampoline_kernelINS0_14default_configENS1_27scan_by_key_config_selectorIj11FixedVectorIiLj4EEEEZZNS1_16scan_by_key_implILNS1_25lookback_scan_determinismE0ELb0ES3_N6thrust23THRUST_200600_302600_NS6detail15normal_iteratorINSB_10device_ptrIjEEEENSD_INSE_IS6_EEEESI_S6_NSB_4plusIvEENSB_8equal_toIvEES6_EE10hipError_tPvRmT2_T3_T4_T5_mT6_T7_P12ihipStream_tbENKUlT_T0_E_clISt17integral_constantIbLb0EES12_IbLb1EEEEDaSY_SZ_EUlSY_E_NS1_11comp_targetILNS1_3genE10ELNS1_11target_archE1200ELNS1_3gpuE4ELNS1_3repE0EEENS1_30default_config_static_selectorELNS0_4arch9wavefront6targetE1EEEvT1_ ; -- Begin function _ZN7rocprim17ROCPRIM_400000_NS6detail17trampoline_kernelINS0_14default_configENS1_27scan_by_key_config_selectorIj11FixedVectorIiLj4EEEEZZNS1_16scan_by_key_implILNS1_25lookback_scan_determinismE0ELb0ES3_N6thrust23THRUST_200600_302600_NS6detail15normal_iteratorINSB_10device_ptrIjEEEENSD_INSE_IS6_EEEESI_S6_NSB_4plusIvEENSB_8equal_toIvEES6_EE10hipError_tPvRmT2_T3_T4_T5_mT6_T7_P12ihipStream_tbENKUlT_T0_E_clISt17integral_constantIbLb0EES12_IbLb1EEEEDaSY_SZ_EUlSY_E_NS1_11comp_targetILNS1_3genE10ELNS1_11target_archE1200ELNS1_3gpuE4ELNS1_3repE0EEENS1_30default_config_static_selectorELNS0_4arch9wavefront6targetE1EEEvT1_
	.globl	_ZN7rocprim17ROCPRIM_400000_NS6detail17trampoline_kernelINS0_14default_configENS1_27scan_by_key_config_selectorIj11FixedVectorIiLj4EEEEZZNS1_16scan_by_key_implILNS1_25lookback_scan_determinismE0ELb0ES3_N6thrust23THRUST_200600_302600_NS6detail15normal_iteratorINSB_10device_ptrIjEEEENSD_INSE_IS6_EEEESI_S6_NSB_4plusIvEENSB_8equal_toIvEES6_EE10hipError_tPvRmT2_T3_T4_T5_mT6_T7_P12ihipStream_tbENKUlT_T0_E_clISt17integral_constantIbLb0EES12_IbLb1EEEEDaSY_SZ_EUlSY_E_NS1_11comp_targetILNS1_3genE10ELNS1_11target_archE1200ELNS1_3gpuE4ELNS1_3repE0EEENS1_30default_config_static_selectorELNS0_4arch9wavefront6targetE1EEEvT1_
	.p2align	8
	.type	_ZN7rocprim17ROCPRIM_400000_NS6detail17trampoline_kernelINS0_14default_configENS1_27scan_by_key_config_selectorIj11FixedVectorIiLj4EEEEZZNS1_16scan_by_key_implILNS1_25lookback_scan_determinismE0ELb0ES3_N6thrust23THRUST_200600_302600_NS6detail15normal_iteratorINSB_10device_ptrIjEEEENSD_INSE_IS6_EEEESI_S6_NSB_4plusIvEENSB_8equal_toIvEES6_EE10hipError_tPvRmT2_T3_T4_T5_mT6_T7_P12ihipStream_tbENKUlT_T0_E_clISt17integral_constantIbLb0EES12_IbLb1EEEEDaSY_SZ_EUlSY_E_NS1_11comp_targetILNS1_3genE10ELNS1_11target_archE1200ELNS1_3gpuE4ELNS1_3repE0EEENS1_30default_config_static_selectorELNS0_4arch9wavefront6targetE1EEEvT1_,@function
_ZN7rocprim17ROCPRIM_400000_NS6detail17trampoline_kernelINS0_14default_configENS1_27scan_by_key_config_selectorIj11FixedVectorIiLj4EEEEZZNS1_16scan_by_key_implILNS1_25lookback_scan_determinismE0ELb0ES3_N6thrust23THRUST_200600_302600_NS6detail15normal_iteratorINSB_10device_ptrIjEEEENSD_INSE_IS6_EEEESI_S6_NSB_4plusIvEENSB_8equal_toIvEES6_EE10hipError_tPvRmT2_T3_T4_T5_mT6_T7_P12ihipStream_tbENKUlT_T0_E_clISt17integral_constantIbLb0EES12_IbLb1EEEEDaSY_SZ_EUlSY_E_NS1_11comp_targetILNS1_3genE10ELNS1_11target_archE1200ELNS1_3gpuE4ELNS1_3repE0EEENS1_30default_config_static_selectorELNS0_4arch9wavefront6targetE1EEEvT1_: ; @_ZN7rocprim17ROCPRIM_400000_NS6detail17trampoline_kernelINS0_14default_configENS1_27scan_by_key_config_selectorIj11FixedVectorIiLj4EEEEZZNS1_16scan_by_key_implILNS1_25lookback_scan_determinismE0ELb0ES3_N6thrust23THRUST_200600_302600_NS6detail15normal_iteratorINSB_10device_ptrIjEEEENSD_INSE_IS6_EEEESI_S6_NSB_4plusIvEENSB_8equal_toIvEES6_EE10hipError_tPvRmT2_T3_T4_T5_mT6_T7_P12ihipStream_tbENKUlT_T0_E_clISt17integral_constantIbLb0EES12_IbLb1EEEEDaSY_SZ_EUlSY_E_NS1_11comp_targetILNS1_3genE10ELNS1_11target_archE1200ELNS1_3gpuE4ELNS1_3repE0EEENS1_30default_config_static_selectorELNS0_4arch9wavefront6targetE1EEEvT1_
; %bb.0:
	.section	.rodata,"a",@progbits
	.p2align	6, 0x0
	.amdhsa_kernel _ZN7rocprim17ROCPRIM_400000_NS6detail17trampoline_kernelINS0_14default_configENS1_27scan_by_key_config_selectorIj11FixedVectorIiLj4EEEEZZNS1_16scan_by_key_implILNS1_25lookback_scan_determinismE0ELb0ES3_N6thrust23THRUST_200600_302600_NS6detail15normal_iteratorINSB_10device_ptrIjEEEENSD_INSE_IS6_EEEESI_S6_NSB_4plusIvEENSB_8equal_toIvEES6_EE10hipError_tPvRmT2_T3_T4_T5_mT6_T7_P12ihipStream_tbENKUlT_T0_E_clISt17integral_constantIbLb0EES12_IbLb1EEEEDaSY_SZ_EUlSY_E_NS1_11comp_targetILNS1_3genE10ELNS1_11target_archE1200ELNS1_3gpuE4ELNS1_3repE0EEENS1_30default_config_static_selectorELNS0_4arch9wavefront6targetE1EEEvT1_
		.amdhsa_group_segment_fixed_size 0
		.amdhsa_private_segment_fixed_size 0
		.amdhsa_kernarg_size 144
		.amdhsa_user_sgpr_count 6
		.amdhsa_user_sgpr_private_segment_buffer 1
		.amdhsa_user_sgpr_dispatch_ptr 0
		.amdhsa_user_sgpr_queue_ptr 0
		.amdhsa_user_sgpr_kernarg_segment_ptr 1
		.amdhsa_user_sgpr_dispatch_id 0
		.amdhsa_user_sgpr_flat_scratch_init 0
		.amdhsa_user_sgpr_kernarg_preload_length 0
		.amdhsa_user_sgpr_kernarg_preload_offset 0
		.amdhsa_user_sgpr_private_segment_size 0
		.amdhsa_uses_dynamic_stack 0
		.amdhsa_system_sgpr_private_segment_wavefront_offset 0
		.amdhsa_system_sgpr_workgroup_id_x 1
		.amdhsa_system_sgpr_workgroup_id_y 0
		.amdhsa_system_sgpr_workgroup_id_z 0
		.amdhsa_system_sgpr_workgroup_info 0
		.amdhsa_system_vgpr_workitem_id 0
		.amdhsa_next_free_vgpr 1
		.amdhsa_next_free_sgpr 0
		.amdhsa_accum_offset 4
		.amdhsa_reserve_vcc 0
		.amdhsa_reserve_flat_scratch 0
		.amdhsa_float_round_mode_32 0
		.amdhsa_float_round_mode_16_64 0
		.amdhsa_float_denorm_mode_32 3
		.amdhsa_float_denorm_mode_16_64 3
		.amdhsa_dx10_clamp 1
		.amdhsa_ieee_mode 1
		.amdhsa_fp16_overflow 0
		.amdhsa_tg_split 0
		.amdhsa_exception_fp_ieee_invalid_op 0
		.amdhsa_exception_fp_denorm_src 0
		.amdhsa_exception_fp_ieee_div_zero 0
		.amdhsa_exception_fp_ieee_overflow 0
		.amdhsa_exception_fp_ieee_underflow 0
		.amdhsa_exception_fp_ieee_inexact 0
		.amdhsa_exception_int_div_zero 0
	.end_amdhsa_kernel
	.section	.text._ZN7rocprim17ROCPRIM_400000_NS6detail17trampoline_kernelINS0_14default_configENS1_27scan_by_key_config_selectorIj11FixedVectorIiLj4EEEEZZNS1_16scan_by_key_implILNS1_25lookback_scan_determinismE0ELb0ES3_N6thrust23THRUST_200600_302600_NS6detail15normal_iteratorINSB_10device_ptrIjEEEENSD_INSE_IS6_EEEESI_S6_NSB_4plusIvEENSB_8equal_toIvEES6_EE10hipError_tPvRmT2_T3_T4_T5_mT6_T7_P12ihipStream_tbENKUlT_T0_E_clISt17integral_constantIbLb0EES12_IbLb1EEEEDaSY_SZ_EUlSY_E_NS1_11comp_targetILNS1_3genE10ELNS1_11target_archE1200ELNS1_3gpuE4ELNS1_3repE0EEENS1_30default_config_static_selectorELNS0_4arch9wavefront6targetE1EEEvT1_,"axG",@progbits,_ZN7rocprim17ROCPRIM_400000_NS6detail17trampoline_kernelINS0_14default_configENS1_27scan_by_key_config_selectorIj11FixedVectorIiLj4EEEEZZNS1_16scan_by_key_implILNS1_25lookback_scan_determinismE0ELb0ES3_N6thrust23THRUST_200600_302600_NS6detail15normal_iteratorINSB_10device_ptrIjEEEENSD_INSE_IS6_EEEESI_S6_NSB_4plusIvEENSB_8equal_toIvEES6_EE10hipError_tPvRmT2_T3_T4_T5_mT6_T7_P12ihipStream_tbENKUlT_T0_E_clISt17integral_constantIbLb0EES12_IbLb1EEEEDaSY_SZ_EUlSY_E_NS1_11comp_targetILNS1_3genE10ELNS1_11target_archE1200ELNS1_3gpuE4ELNS1_3repE0EEENS1_30default_config_static_selectorELNS0_4arch9wavefront6targetE1EEEvT1_,comdat
.Lfunc_end2072:
	.size	_ZN7rocprim17ROCPRIM_400000_NS6detail17trampoline_kernelINS0_14default_configENS1_27scan_by_key_config_selectorIj11FixedVectorIiLj4EEEEZZNS1_16scan_by_key_implILNS1_25lookback_scan_determinismE0ELb0ES3_N6thrust23THRUST_200600_302600_NS6detail15normal_iteratorINSB_10device_ptrIjEEEENSD_INSE_IS6_EEEESI_S6_NSB_4plusIvEENSB_8equal_toIvEES6_EE10hipError_tPvRmT2_T3_T4_T5_mT6_T7_P12ihipStream_tbENKUlT_T0_E_clISt17integral_constantIbLb0EES12_IbLb1EEEEDaSY_SZ_EUlSY_E_NS1_11comp_targetILNS1_3genE10ELNS1_11target_archE1200ELNS1_3gpuE4ELNS1_3repE0EEENS1_30default_config_static_selectorELNS0_4arch9wavefront6targetE1EEEvT1_, .Lfunc_end2072-_ZN7rocprim17ROCPRIM_400000_NS6detail17trampoline_kernelINS0_14default_configENS1_27scan_by_key_config_selectorIj11FixedVectorIiLj4EEEEZZNS1_16scan_by_key_implILNS1_25lookback_scan_determinismE0ELb0ES3_N6thrust23THRUST_200600_302600_NS6detail15normal_iteratorINSB_10device_ptrIjEEEENSD_INSE_IS6_EEEESI_S6_NSB_4plusIvEENSB_8equal_toIvEES6_EE10hipError_tPvRmT2_T3_T4_T5_mT6_T7_P12ihipStream_tbENKUlT_T0_E_clISt17integral_constantIbLb0EES12_IbLb1EEEEDaSY_SZ_EUlSY_E_NS1_11comp_targetILNS1_3genE10ELNS1_11target_archE1200ELNS1_3gpuE4ELNS1_3repE0EEENS1_30default_config_static_selectorELNS0_4arch9wavefront6targetE1EEEvT1_
                                        ; -- End function
	.section	.AMDGPU.csdata,"",@progbits
; Kernel info:
; codeLenInByte = 0
; NumSgprs: 4
; NumVgprs: 0
; NumAgprs: 0
; TotalNumVgprs: 0
; ScratchSize: 0
; MemoryBound: 0
; FloatMode: 240
; IeeeMode: 1
; LDSByteSize: 0 bytes/workgroup (compile time only)
; SGPRBlocks: 0
; VGPRBlocks: 0
; NumSGPRsForWavesPerEU: 4
; NumVGPRsForWavesPerEU: 1
; AccumOffset: 4
; Occupancy: 8
; WaveLimiterHint : 0
; COMPUTE_PGM_RSRC2:SCRATCH_EN: 0
; COMPUTE_PGM_RSRC2:USER_SGPR: 6
; COMPUTE_PGM_RSRC2:TRAP_HANDLER: 0
; COMPUTE_PGM_RSRC2:TGID_X_EN: 1
; COMPUTE_PGM_RSRC2:TGID_Y_EN: 0
; COMPUTE_PGM_RSRC2:TGID_Z_EN: 0
; COMPUTE_PGM_RSRC2:TIDIG_COMP_CNT: 0
; COMPUTE_PGM_RSRC3_GFX90A:ACCUM_OFFSET: 0
; COMPUTE_PGM_RSRC3_GFX90A:TG_SPLIT: 0
	.section	.text._ZN7rocprim17ROCPRIM_400000_NS6detail17trampoline_kernelINS0_14default_configENS1_27scan_by_key_config_selectorIj11FixedVectorIiLj4EEEEZZNS1_16scan_by_key_implILNS1_25lookback_scan_determinismE0ELb0ES3_N6thrust23THRUST_200600_302600_NS6detail15normal_iteratorINSB_10device_ptrIjEEEENSD_INSE_IS6_EEEESI_S6_NSB_4plusIvEENSB_8equal_toIvEES6_EE10hipError_tPvRmT2_T3_T4_T5_mT6_T7_P12ihipStream_tbENKUlT_T0_E_clISt17integral_constantIbLb0EES12_IbLb1EEEEDaSY_SZ_EUlSY_E_NS1_11comp_targetILNS1_3genE9ELNS1_11target_archE1100ELNS1_3gpuE3ELNS1_3repE0EEENS1_30default_config_static_selectorELNS0_4arch9wavefront6targetE1EEEvT1_,"axG",@progbits,_ZN7rocprim17ROCPRIM_400000_NS6detail17trampoline_kernelINS0_14default_configENS1_27scan_by_key_config_selectorIj11FixedVectorIiLj4EEEEZZNS1_16scan_by_key_implILNS1_25lookback_scan_determinismE0ELb0ES3_N6thrust23THRUST_200600_302600_NS6detail15normal_iteratorINSB_10device_ptrIjEEEENSD_INSE_IS6_EEEESI_S6_NSB_4plusIvEENSB_8equal_toIvEES6_EE10hipError_tPvRmT2_T3_T4_T5_mT6_T7_P12ihipStream_tbENKUlT_T0_E_clISt17integral_constantIbLb0EES12_IbLb1EEEEDaSY_SZ_EUlSY_E_NS1_11comp_targetILNS1_3genE9ELNS1_11target_archE1100ELNS1_3gpuE3ELNS1_3repE0EEENS1_30default_config_static_selectorELNS0_4arch9wavefront6targetE1EEEvT1_,comdat
	.protected	_ZN7rocprim17ROCPRIM_400000_NS6detail17trampoline_kernelINS0_14default_configENS1_27scan_by_key_config_selectorIj11FixedVectorIiLj4EEEEZZNS1_16scan_by_key_implILNS1_25lookback_scan_determinismE0ELb0ES3_N6thrust23THRUST_200600_302600_NS6detail15normal_iteratorINSB_10device_ptrIjEEEENSD_INSE_IS6_EEEESI_S6_NSB_4plusIvEENSB_8equal_toIvEES6_EE10hipError_tPvRmT2_T3_T4_T5_mT6_T7_P12ihipStream_tbENKUlT_T0_E_clISt17integral_constantIbLb0EES12_IbLb1EEEEDaSY_SZ_EUlSY_E_NS1_11comp_targetILNS1_3genE9ELNS1_11target_archE1100ELNS1_3gpuE3ELNS1_3repE0EEENS1_30default_config_static_selectorELNS0_4arch9wavefront6targetE1EEEvT1_ ; -- Begin function _ZN7rocprim17ROCPRIM_400000_NS6detail17trampoline_kernelINS0_14default_configENS1_27scan_by_key_config_selectorIj11FixedVectorIiLj4EEEEZZNS1_16scan_by_key_implILNS1_25lookback_scan_determinismE0ELb0ES3_N6thrust23THRUST_200600_302600_NS6detail15normal_iteratorINSB_10device_ptrIjEEEENSD_INSE_IS6_EEEESI_S6_NSB_4plusIvEENSB_8equal_toIvEES6_EE10hipError_tPvRmT2_T3_T4_T5_mT6_T7_P12ihipStream_tbENKUlT_T0_E_clISt17integral_constantIbLb0EES12_IbLb1EEEEDaSY_SZ_EUlSY_E_NS1_11comp_targetILNS1_3genE9ELNS1_11target_archE1100ELNS1_3gpuE3ELNS1_3repE0EEENS1_30default_config_static_selectorELNS0_4arch9wavefront6targetE1EEEvT1_
	.globl	_ZN7rocprim17ROCPRIM_400000_NS6detail17trampoline_kernelINS0_14default_configENS1_27scan_by_key_config_selectorIj11FixedVectorIiLj4EEEEZZNS1_16scan_by_key_implILNS1_25lookback_scan_determinismE0ELb0ES3_N6thrust23THRUST_200600_302600_NS6detail15normal_iteratorINSB_10device_ptrIjEEEENSD_INSE_IS6_EEEESI_S6_NSB_4plusIvEENSB_8equal_toIvEES6_EE10hipError_tPvRmT2_T3_T4_T5_mT6_T7_P12ihipStream_tbENKUlT_T0_E_clISt17integral_constantIbLb0EES12_IbLb1EEEEDaSY_SZ_EUlSY_E_NS1_11comp_targetILNS1_3genE9ELNS1_11target_archE1100ELNS1_3gpuE3ELNS1_3repE0EEENS1_30default_config_static_selectorELNS0_4arch9wavefront6targetE1EEEvT1_
	.p2align	8
	.type	_ZN7rocprim17ROCPRIM_400000_NS6detail17trampoline_kernelINS0_14default_configENS1_27scan_by_key_config_selectorIj11FixedVectorIiLj4EEEEZZNS1_16scan_by_key_implILNS1_25lookback_scan_determinismE0ELb0ES3_N6thrust23THRUST_200600_302600_NS6detail15normal_iteratorINSB_10device_ptrIjEEEENSD_INSE_IS6_EEEESI_S6_NSB_4plusIvEENSB_8equal_toIvEES6_EE10hipError_tPvRmT2_T3_T4_T5_mT6_T7_P12ihipStream_tbENKUlT_T0_E_clISt17integral_constantIbLb0EES12_IbLb1EEEEDaSY_SZ_EUlSY_E_NS1_11comp_targetILNS1_3genE9ELNS1_11target_archE1100ELNS1_3gpuE3ELNS1_3repE0EEENS1_30default_config_static_selectorELNS0_4arch9wavefront6targetE1EEEvT1_,@function
_ZN7rocprim17ROCPRIM_400000_NS6detail17trampoline_kernelINS0_14default_configENS1_27scan_by_key_config_selectorIj11FixedVectorIiLj4EEEEZZNS1_16scan_by_key_implILNS1_25lookback_scan_determinismE0ELb0ES3_N6thrust23THRUST_200600_302600_NS6detail15normal_iteratorINSB_10device_ptrIjEEEENSD_INSE_IS6_EEEESI_S6_NSB_4plusIvEENSB_8equal_toIvEES6_EE10hipError_tPvRmT2_T3_T4_T5_mT6_T7_P12ihipStream_tbENKUlT_T0_E_clISt17integral_constantIbLb0EES12_IbLb1EEEEDaSY_SZ_EUlSY_E_NS1_11comp_targetILNS1_3genE9ELNS1_11target_archE1100ELNS1_3gpuE3ELNS1_3repE0EEENS1_30default_config_static_selectorELNS0_4arch9wavefront6targetE1EEEvT1_: ; @_ZN7rocprim17ROCPRIM_400000_NS6detail17trampoline_kernelINS0_14default_configENS1_27scan_by_key_config_selectorIj11FixedVectorIiLj4EEEEZZNS1_16scan_by_key_implILNS1_25lookback_scan_determinismE0ELb0ES3_N6thrust23THRUST_200600_302600_NS6detail15normal_iteratorINSB_10device_ptrIjEEEENSD_INSE_IS6_EEEESI_S6_NSB_4plusIvEENSB_8equal_toIvEES6_EE10hipError_tPvRmT2_T3_T4_T5_mT6_T7_P12ihipStream_tbENKUlT_T0_E_clISt17integral_constantIbLb0EES12_IbLb1EEEEDaSY_SZ_EUlSY_E_NS1_11comp_targetILNS1_3genE9ELNS1_11target_archE1100ELNS1_3gpuE3ELNS1_3repE0EEENS1_30default_config_static_selectorELNS0_4arch9wavefront6targetE1EEEvT1_
; %bb.0:
	.section	.rodata,"a",@progbits
	.p2align	6, 0x0
	.amdhsa_kernel _ZN7rocprim17ROCPRIM_400000_NS6detail17trampoline_kernelINS0_14default_configENS1_27scan_by_key_config_selectorIj11FixedVectorIiLj4EEEEZZNS1_16scan_by_key_implILNS1_25lookback_scan_determinismE0ELb0ES3_N6thrust23THRUST_200600_302600_NS6detail15normal_iteratorINSB_10device_ptrIjEEEENSD_INSE_IS6_EEEESI_S6_NSB_4plusIvEENSB_8equal_toIvEES6_EE10hipError_tPvRmT2_T3_T4_T5_mT6_T7_P12ihipStream_tbENKUlT_T0_E_clISt17integral_constantIbLb0EES12_IbLb1EEEEDaSY_SZ_EUlSY_E_NS1_11comp_targetILNS1_3genE9ELNS1_11target_archE1100ELNS1_3gpuE3ELNS1_3repE0EEENS1_30default_config_static_selectorELNS0_4arch9wavefront6targetE1EEEvT1_
		.amdhsa_group_segment_fixed_size 0
		.amdhsa_private_segment_fixed_size 0
		.amdhsa_kernarg_size 144
		.amdhsa_user_sgpr_count 6
		.amdhsa_user_sgpr_private_segment_buffer 1
		.amdhsa_user_sgpr_dispatch_ptr 0
		.amdhsa_user_sgpr_queue_ptr 0
		.amdhsa_user_sgpr_kernarg_segment_ptr 1
		.amdhsa_user_sgpr_dispatch_id 0
		.amdhsa_user_sgpr_flat_scratch_init 0
		.amdhsa_user_sgpr_kernarg_preload_length 0
		.amdhsa_user_sgpr_kernarg_preload_offset 0
		.amdhsa_user_sgpr_private_segment_size 0
		.amdhsa_uses_dynamic_stack 0
		.amdhsa_system_sgpr_private_segment_wavefront_offset 0
		.amdhsa_system_sgpr_workgroup_id_x 1
		.amdhsa_system_sgpr_workgroup_id_y 0
		.amdhsa_system_sgpr_workgroup_id_z 0
		.amdhsa_system_sgpr_workgroup_info 0
		.amdhsa_system_vgpr_workitem_id 0
		.amdhsa_next_free_vgpr 1
		.amdhsa_next_free_sgpr 0
		.amdhsa_accum_offset 4
		.amdhsa_reserve_vcc 0
		.amdhsa_reserve_flat_scratch 0
		.amdhsa_float_round_mode_32 0
		.amdhsa_float_round_mode_16_64 0
		.amdhsa_float_denorm_mode_32 3
		.amdhsa_float_denorm_mode_16_64 3
		.amdhsa_dx10_clamp 1
		.amdhsa_ieee_mode 1
		.amdhsa_fp16_overflow 0
		.amdhsa_tg_split 0
		.amdhsa_exception_fp_ieee_invalid_op 0
		.amdhsa_exception_fp_denorm_src 0
		.amdhsa_exception_fp_ieee_div_zero 0
		.amdhsa_exception_fp_ieee_overflow 0
		.amdhsa_exception_fp_ieee_underflow 0
		.amdhsa_exception_fp_ieee_inexact 0
		.amdhsa_exception_int_div_zero 0
	.end_amdhsa_kernel
	.section	.text._ZN7rocprim17ROCPRIM_400000_NS6detail17trampoline_kernelINS0_14default_configENS1_27scan_by_key_config_selectorIj11FixedVectorIiLj4EEEEZZNS1_16scan_by_key_implILNS1_25lookback_scan_determinismE0ELb0ES3_N6thrust23THRUST_200600_302600_NS6detail15normal_iteratorINSB_10device_ptrIjEEEENSD_INSE_IS6_EEEESI_S6_NSB_4plusIvEENSB_8equal_toIvEES6_EE10hipError_tPvRmT2_T3_T4_T5_mT6_T7_P12ihipStream_tbENKUlT_T0_E_clISt17integral_constantIbLb0EES12_IbLb1EEEEDaSY_SZ_EUlSY_E_NS1_11comp_targetILNS1_3genE9ELNS1_11target_archE1100ELNS1_3gpuE3ELNS1_3repE0EEENS1_30default_config_static_selectorELNS0_4arch9wavefront6targetE1EEEvT1_,"axG",@progbits,_ZN7rocprim17ROCPRIM_400000_NS6detail17trampoline_kernelINS0_14default_configENS1_27scan_by_key_config_selectorIj11FixedVectorIiLj4EEEEZZNS1_16scan_by_key_implILNS1_25lookback_scan_determinismE0ELb0ES3_N6thrust23THRUST_200600_302600_NS6detail15normal_iteratorINSB_10device_ptrIjEEEENSD_INSE_IS6_EEEESI_S6_NSB_4plusIvEENSB_8equal_toIvEES6_EE10hipError_tPvRmT2_T3_T4_T5_mT6_T7_P12ihipStream_tbENKUlT_T0_E_clISt17integral_constantIbLb0EES12_IbLb1EEEEDaSY_SZ_EUlSY_E_NS1_11comp_targetILNS1_3genE9ELNS1_11target_archE1100ELNS1_3gpuE3ELNS1_3repE0EEENS1_30default_config_static_selectorELNS0_4arch9wavefront6targetE1EEEvT1_,comdat
.Lfunc_end2073:
	.size	_ZN7rocprim17ROCPRIM_400000_NS6detail17trampoline_kernelINS0_14default_configENS1_27scan_by_key_config_selectorIj11FixedVectorIiLj4EEEEZZNS1_16scan_by_key_implILNS1_25lookback_scan_determinismE0ELb0ES3_N6thrust23THRUST_200600_302600_NS6detail15normal_iteratorINSB_10device_ptrIjEEEENSD_INSE_IS6_EEEESI_S6_NSB_4plusIvEENSB_8equal_toIvEES6_EE10hipError_tPvRmT2_T3_T4_T5_mT6_T7_P12ihipStream_tbENKUlT_T0_E_clISt17integral_constantIbLb0EES12_IbLb1EEEEDaSY_SZ_EUlSY_E_NS1_11comp_targetILNS1_3genE9ELNS1_11target_archE1100ELNS1_3gpuE3ELNS1_3repE0EEENS1_30default_config_static_selectorELNS0_4arch9wavefront6targetE1EEEvT1_, .Lfunc_end2073-_ZN7rocprim17ROCPRIM_400000_NS6detail17trampoline_kernelINS0_14default_configENS1_27scan_by_key_config_selectorIj11FixedVectorIiLj4EEEEZZNS1_16scan_by_key_implILNS1_25lookback_scan_determinismE0ELb0ES3_N6thrust23THRUST_200600_302600_NS6detail15normal_iteratorINSB_10device_ptrIjEEEENSD_INSE_IS6_EEEESI_S6_NSB_4plusIvEENSB_8equal_toIvEES6_EE10hipError_tPvRmT2_T3_T4_T5_mT6_T7_P12ihipStream_tbENKUlT_T0_E_clISt17integral_constantIbLb0EES12_IbLb1EEEEDaSY_SZ_EUlSY_E_NS1_11comp_targetILNS1_3genE9ELNS1_11target_archE1100ELNS1_3gpuE3ELNS1_3repE0EEENS1_30default_config_static_selectorELNS0_4arch9wavefront6targetE1EEEvT1_
                                        ; -- End function
	.section	.AMDGPU.csdata,"",@progbits
; Kernel info:
; codeLenInByte = 0
; NumSgprs: 4
; NumVgprs: 0
; NumAgprs: 0
; TotalNumVgprs: 0
; ScratchSize: 0
; MemoryBound: 0
; FloatMode: 240
; IeeeMode: 1
; LDSByteSize: 0 bytes/workgroup (compile time only)
; SGPRBlocks: 0
; VGPRBlocks: 0
; NumSGPRsForWavesPerEU: 4
; NumVGPRsForWavesPerEU: 1
; AccumOffset: 4
; Occupancy: 8
; WaveLimiterHint : 0
; COMPUTE_PGM_RSRC2:SCRATCH_EN: 0
; COMPUTE_PGM_RSRC2:USER_SGPR: 6
; COMPUTE_PGM_RSRC2:TRAP_HANDLER: 0
; COMPUTE_PGM_RSRC2:TGID_X_EN: 1
; COMPUTE_PGM_RSRC2:TGID_Y_EN: 0
; COMPUTE_PGM_RSRC2:TGID_Z_EN: 0
; COMPUTE_PGM_RSRC2:TIDIG_COMP_CNT: 0
; COMPUTE_PGM_RSRC3_GFX90A:ACCUM_OFFSET: 0
; COMPUTE_PGM_RSRC3_GFX90A:TG_SPLIT: 0
	.section	.text._ZN7rocprim17ROCPRIM_400000_NS6detail17trampoline_kernelINS0_14default_configENS1_27scan_by_key_config_selectorIj11FixedVectorIiLj4EEEEZZNS1_16scan_by_key_implILNS1_25lookback_scan_determinismE0ELb0ES3_N6thrust23THRUST_200600_302600_NS6detail15normal_iteratorINSB_10device_ptrIjEEEENSD_INSE_IS6_EEEESI_S6_NSB_4plusIvEENSB_8equal_toIvEES6_EE10hipError_tPvRmT2_T3_T4_T5_mT6_T7_P12ihipStream_tbENKUlT_T0_E_clISt17integral_constantIbLb0EES12_IbLb1EEEEDaSY_SZ_EUlSY_E_NS1_11comp_targetILNS1_3genE8ELNS1_11target_archE1030ELNS1_3gpuE2ELNS1_3repE0EEENS1_30default_config_static_selectorELNS0_4arch9wavefront6targetE1EEEvT1_,"axG",@progbits,_ZN7rocprim17ROCPRIM_400000_NS6detail17trampoline_kernelINS0_14default_configENS1_27scan_by_key_config_selectorIj11FixedVectorIiLj4EEEEZZNS1_16scan_by_key_implILNS1_25lookback_scan_determinismE0ELb0ES3_N6thrust23THRUST_200600_302600_NS6detail15normal_iteratorINSB_10device_ptrIjEEEENSD_INSE_IS6_EEEESI_S6_NSB_4plusIvEENSB_8equal_toIvEES6_EE10hipError_tPvRmT2_T3_T4_T5_mT6_T7_P12ihipStream_tbENKUlT_T0_E_clISt17integral_constantIbLb0EES12_IbLb1EEEEDaSY_SZ_EUlSY_E_NS1_11comp_targetILNS1_3genE8ELNS1_11target_archE1030ELNS1_3gpuE2ELNS1_3repE0EEENS1_30default_config_static_selectorELNS0_4arch9wavefront6targetE1EEEvT1_,comdat
	.protected	_ZN7rocprim17ROCPRIM_400000_NS6detail17trampoline_kernelINS0_14default_configENS1_27scan_by_key_config_selectorIj11FixedVectorIiLj4EEEEZZNS1_16scan_by_key_implILNS1_25lookback_scan_determinismE0ELb0ES3_N6thrust23THRUST_200600_302600_NS6detail15normal_iteratorINSB_10device_ptrIjEEEENSD_INSE_IS6_EEEESI_S6_NSB_4plusIvEENSB_8equal_toIvEES6_EE10hipError_tPvRmT2_T3_T4_T5_mT6_T7_P12ihipStream_tbENKUlT_T0_E_clISt17integral_constantIbLb0EES12_IbLb1EEEEDaSY_SZ_EUlSY_E_NS1_11comp_targetILNS1_3genE8ELNS1_11target_archE1030ELNS1_3gpuE2ELNS1_3repE0EEENS1_30default_config_static_selectorELNS0_4arch9wavefront6targetE1EEEvT1_ ; -- Begin function _ZN7rocprim17ROCPRIM_400000_NS6detail17trampoline_kernelINS0_14default_configENS1_27scan_by_key_config_selectorIj11FixedVectorIiLj4EEEEZZNS1_16scan_by_key_implILNS1_25lookback_scan_determinismE0ELb0ES3_N6thrust23THRUST_200600_302600_NS6detail15normal_iteratorINSB_10device_ptrIjEEEENSD_INSE_IS6_EEEESI_S6_NSB_4plusIvEENSB_8equal_toIvEES6_EE10hipError_tPvRmT2_T3_T4_T5_mT6_T7_P12ihipStream_tbENKUlT_T0_E_clISt17integral_constantIbLb0EES12_IbLb1EEEEDaSY_SZ_EUlSY_E_NS1_11comp_targetILNS1_3genE8ELNS1_11target_archE1030ELNS1_3gpuE2ELNS1_3repE0EEENS1_30default_config_static_selectorELNS0_4arch9wavefront6targetE1EEEvT1_
	.globl	_ZN7rocprim17ROCPRIM_400000_NS6detail17trampoline_kernelINS0_14default_configENS1_27scan_by_key_config_selectorIj11FixedVectorIiLj4EEEEZZNS1_16scan_by_key_implILNS1_25lookback_scan_determinismE0ELb0ES3_N6thrust23THRUST_200600_302600_NS6detail15normal_iteratorINSB_10device_ptrIjEEEENSD_INSE_IS6_EEEESI_S6_NSB_4plusIvEENSB_8equal_toIvEES6_EE10hipError_tPvRmT2_T3_T4_T5_mT6_T7_P12ihipStream_tbENKUlT_T0_E_clISt17integral_constantIbLb0EES12_IbLb1EEEEDaSY_SZ_EUlSY_E_NS1_11comp_targetILNS1_3genE8ELNS1_11target_archE1030ELNS1_3gpuE2ELNS1_3repE0EEENS1_30default_config_static_selectorELNS0_4arch9wavefront6targetE1EEEvT1_
	.p2align	8
	.type	_ZN7rocprim17ROCPRIM_400000_NS6detail17trampoline_kernelINS0_14default_configENS1_27scan_by_key_config_selectorIj11FixedVectorIiLj4EEEEZZNS1_16scan_by_key_implILNS1_25lookback_scan_determinismE0ELb0ES3_N6thrust23THRUST_200600_302600_NS6detail15normal_iteratorINSB_10device_ptrIjEEEENSD_INSE_IS6_EEEESI_S6_NSB_4plusIvEENSB_8equal_toIvEES6_EE10hipError_tPvRmT2_T3_T4_T5_mT6_T7_P12ihipStream_tbENKUlT_T0_E_clISt17integral_constantIbLb0EES12_IbLb1EEEEDaSY_SZ_EUlSY_E_NS1_11comp_targetILNS1_3genE8ELNS1_11target_archE1030ELNS1_3gpuE2ELNS1_3repE0EEENS1_30default_config_static_selectorELNS0_4arch9wavefront6targetE1EEEvT1_,@function
_ZN7rocprim17ROCPRIM_400000_NS6detail17trampoline_kernelINS0_14default_configENS1_27scan_by_key_config_selectorIj11FixedVectorIiLj4EEEEZZNS1_16scan_by_key_implILNS1_25lookback_scan_determinismE0ELb0ES3_N6thrust23THRUST_200600_302600_NS6detail15normal_iteratorINSB_10device_ptrIjEEEENSD_INSE_IS6_EEEESI_S6_NSB_4plusIvEENSB_8equal_toIvEES6_EE10hipError_tPvRmT2_T3_T4_T5_mT6_T7_P12ihipStream_tbENKUlT_T0_E_clISt17integral_constantIbLb0EES12_IbLb1EEEEDaSY_SZ_EUlSY_E_NS1_11comp_targetILNS1_3genE8ELNS1_11target_archE1030ELNS1_3gpuE2ELNS1_3repE0EEENS1_30default_config_static_selectorELNS0_4arch9wavefront6targetE1EEEvT1_: ; @_ZN7rocprim17ROCPRIM_400000_NS6detail17trampoline_kernelINS0_14default_configENS1_27scan_by_key_config_selectorIj11FixedVectorIiLj4EEEEZZNS1_16scan_by_key_implILNS1_25lookback_scan_determinismE0ELb0ES3_N6thrust23THRUST_200600_302600_NS6detail15normal_iteratorINSB_10device_ptrIjEEEENSD_INSE_IS6_EEEESI_S6_NSB_4plusIvEENSB_8equal_toIvEES6_EE10hipError_tPvRmT2_T3_T4_T5_mT6_T7_P12ihipStream_tbENKUlT_T0_E_clISt17integral_constantIbLb0EES12_IbLb1EEEEDaSY_SZ_EUlSY_E_NS1_11comp_targetILNS1_3genE8ELNS1_11target_archE1030ELNS1_3gpuE2ELNS1_3repE0EEENS1_30default_config_static_selectorELNS0_4arch9wavefront6targetE1EEEvT1_
; %bb.0:
	.section	.rodata,"a",@progbits
	.p2align	6, 0x0
	.amdhsa_kernel _ZN7rocprim17ROCPRIM_400000_NS6detail17trampoline_kernelINS0_14default_configENS1_27scan_by_key_config_selectorIj11FixedVectorIiLj4EEEEZZNS1_16scan_by_key_implILNS1_25lookback_scan_determinismE0ELb0ES3_N6thrust23THRUST_200600_302600_NS6detail15normal_iteratorINSB_10device_ptrIjEEEENSD_INSE_IS6_EEEESI_S6_NSB_4plusIvEENSB_8equal_toIvEES6_EE10hipError_tPvRmT2_T3_T4_T5_mT6_T7_P12ihipStream_tbENKUlT_T0_E_clISt17integral_constantIbLb0EES12_IbLb1EEEEDaSY_SZ_EUlSY_E_NS1_11comp_targetILNS1_3genE8ELNS1_11target_archE1030ELNS1_3gpuE2ELNS1_3repE0EEENS1_30default_config_static_selectorELNS0_4arch9wavefront6targetE1EEEvT1_
		.amdhsa_group_segment_fixed_size 0
		.amdhsa_private_segment_fixed_size 0
		.amdhsa_kernarg_size 144
		.amdhsa_user_sgpr_count 6
		.amdhsa_user_sgpr_private_segment_buffer 1
		.amdhsa_user_sgpr_dispatch_ptr 0
		.amdhsa_user_sgpr_queue_ptr 0
		.amdhsa_user_sgpr_kernarg_segment_ptr 1
		.amdhsa_user_sgpr_dispatch_id 0
		.amdhsa_user_sgpr_flat_scratch_init 0
		.amdhsa_user_sgpr_kernarg_preload_length 0
		.amdhsa_user_sgpr_kernarg_preload_offset 0
		.amdhsa_user_sgpr_private_segment_size 0
		.amdhsa_uses_dynamic_stack 0
		.amdhsa_system_sgpr_private_segment_wavefront_offset 0
		.amdhsa_system_sgpr_workgroup_id_x 1
		.amdhsa_system_sgpr_workgroup_id_y 0
		.amdhsa_system_sgpr_workgroup_id_z 0
		.amdhsa_system_sgpr_workgroup_info 0
		.amdhsa_system_vgpr_workitem_id 0
		.amdhsa_next_free_vgpr 1
		.amdhsa_next_free_sgpr 0
		.amdhsa_accum_offset 4
		.amdhsa_reserve_vcc 0
		.amdhsa_reserve_flat_scratch 0
		.amdhsa_float_round_mode_32 0
		.amdhsa_float_round_mode_16_64 0
		.amdhsa_float_denorm_mode_32 3
		.amdhsa_float_denorm_mode_16_64 3
		.amdhsa_dx10_clamp 1
		.amdhsa_ieee_mode 1
		.amdhsa_fp16_overflow 0
		.amdhsa_tg_split 0
		.amdhsa_exception_fp_ieee_invalid_op 0
		.amdhsa_exception_fp_denorm_src 0
		.amdhsa_exception_fp_ieee_div_zero 0
		.amdhsa_exception_fp_ieee_overflow 0
		.amdhsa_exception_fp_ieee_underflow 0
		.amdhsa_exception_fp_ieee_inexact 0
		.amdhsa_exception_int_div_zero 0
	.end_amdhsa_kernel
	.section	.text._ZN7rocprim17ROCPRIM_400000_NS6detail17trampoline_kernelINS0_14default_configENS1_27scan_by_key_config_selectorIj11FixedVectorIiLj4EEEEZZNS1_16scan_by_key_implILNS1_25lookback_scan_determinismE0ELb0ES3_N6thrust23THRUST_200600_302600_NS6detail15normal_iteratorINSB_10device_ptrIjEEEENSD_INSE_IS6_EEEESI_S6_NSB_4plusIvEENSB_8equal_toIvEES6_EE10hipError_tPvRmT2_T3_T4_T5_mT6_T7_P12ihipStream_tbENKUlT_T0_E_clISt17integral_constantIbLb0EES12_IbLb1EEEEDaSY_SZ_EUlSY_E_NS1_11comp_targetILNS1_3genE8ELNS1_11target_archE1030ELNS1_3gpuE2ELNS1_3repE0EEENS1_30default_config_static_selectorELNS0_4arch9wavefront6targetE1EEEvT1_,"axG",@progbits,_ZN7rocprim17ROCPRIM_400000_NS6detail17trampoline_kernelINS0_14default_configENS1_27scan_by_key_config_selectorIj11FixedVectorIiLj4EEEEZZNS1_16scan_by_key_implILNS1_25lookback_scan_determinismE0ELb0ES3_N6thrust23THRUST_200600_302600_NS6detail15normal_iteratorINSB_10device_ptrIjEEEENSD_INSE_IS6_EEEESI_S6_NSB_4plusIvEENSB_8equal_toIvEES6_EE10hipError_tPvRmT2_T3_T4_T5_mT6_T7_P12ihipStream_tbENKUlT_T0_E_clISt17integral_constantIbLb0EES12_IbLb1EEEEDaSY_SZ_EUlSY_E_NS1_11comp_targetILNS1_3genE8ELNS1_11target_archE1030ELNS1_3gpuE2ELNS1_3repE0EEENS1_30default_config_static_selectorELNS0_4arch9wavefront6targetE1EEEvT1_,comdat
.Lfunc_end2074:
	.size	_ZN7rocprim17ROCPRIM_400000_NS6detail17trampoline_kernelINS0_14default_configENS1_27scan_by_key_config_selectorIj11FixedVectorIiLj4EEEEZZNS1_16scan_by_key_implILNS1_25lookback_scan_determinismE0ELb0ES3_N6thrust23THRUST_200600_302600_NS6detail15normal_iteratorINSB_10device_ptrIjEEEENSD_INSE_IS6_EEEESI_S6_NSB_4plusIvEENSB_8equal_toIvEES6_EE10hipError_tPvRmT2_T3_T4_T5_mT6_T7_P12ihipStream_tbENKUlT_T0_E_clISt17integral_constantIbLb0EES12_IbLb1EEEEDaSY_SZ_EUlSY_E_NS1_11comp_targetILNS1_3genE8ELNS1_11target_archE1030ELNS1_3gpuE2ELNS1_3repE0EEENS1_30default_config_static_selectorELNS0_4arch9wavefront6targetE1EEEvT1_, .Lfunc_end2074-_ZN7rocprim17ROCPRIM_400000_NS6detail17trampoline_kernelINS0_14default_configENS1_27scan_by_key_config_selectorIj11FixedVectorIiLj4EEEEZZNS1_16scan_by_key_implILNS1_25lookback_scan_determinismE0ELb0ES3_N6thrust23THRUST_200600_302600_NS6detail15normal_iteratorINSB_10device_ptrIjEEEENSD_INSE_IS6_EEEESI_S6_NSB_4plusIvEENSB_8equal_toIvEES6_EE10hipError_tPvRmT2_T3_T4_T5_mT6_T7_P12ihipStream_tbENKUlT_T0_E_clISt17integral_constantIbLb0EES12_IbLb1EEEEDaSY_SZ_EUlSY_E_NS1_11comp_targetILNS1_3genE8ELNS1_11target_archE1030ELNS1_3gpuE2ELNS1_3repE0EEENS1_30default_config_static_selectorELNS0_4arch9wavefront6targetE1EEEvT1_
                                        ; -- End function
	.section	.AMDGPU.csdata,"",@progbits
; Kernel info:
; codeLenInByte = 0
; NumSgprs: 4
; NumVgprs: 0
; NumAgprs: 0
; TotalNumVgprs: 0
; ScratchSize: 0
; MemoryBound: 0
; FloatMode: 240
; IeeeMode: 1
; LDSByteSize: 0 bytes/workgroup (compile time only)
; SGPRBlocks: 0
; VGPRBlocks: 0
; NumSGPRsForWavesPerEU: 4
; NumVGPRsForWavesPerEU: 1
; AccumOffset: 4
; Occupancy: 8
; WaveLimiterHint : 0
; COMPUTE_PGM_RSRC2:SCRATCH_EN: 0
; COMPUTE_PGM_RSRC2:USER_SGPR: 6
; COMPUTE_PGM_RSRC2:TRAP_HANDLER: 0
; COMPUTE_PGM_RSRC2:TGID_X_EN: 1
; COMPUTE_PGM_RSRC2:TGID_Y_EN: 0
; COMPUTE_PGM_RSRC2:TGID_Z_EN: 0
; COMPUTE_PGM_RSRC2:TIDIG_COMP_CNT: 0
; COMPUTE_PGM_RSRC3_GFX90A:ACCUM_OFFSET: 0
; COMPUTE_PGM_RSRC3_GFX90A:TG_SPLIT: 0
	.section	.text._ZN7rocprim17ROCPRIM_400000_NS6detail17trampoline_kernelINS0_14default_configENS1_27scan_by_key_config_selectorIj11FixedVectorIiLj4EEEEZZNS1_16scan_by_key_implILNS1_25lookback_scan_determinismE0ELb1ES3_N6thrust23THRUST_200600_302600_NS6detail15normal_iteratorINSB_10device_ptrIjEEEENSD_INSE_IS6_EEEESI_S6_NSB_4plusIvEENSB_8equal_toIvEES6_EE10hipError_tPvRmT2_T3_T4_T5_mT6_T7_P12ihipStream_tbENKUlT_T0_E_clISt17integral_constantIbLb0EES13_EEDaSY_SZ_EUlSY_E_NS1_11comp_targetILNS1_3genE0ELNS1_11target_archE4294967295ELNS1_3gpuE0ELNS1_3repE0EEENS1_30default_config_static_selectorELNS0_4arch9wavefront6targetE1EEEvT1_,"axG",@progbits,_ZN7rocprim17ROCPRIM_400000_NS6detail17trampoline_kernelINS0_14default_configENS1_27scan_by_key_config_selectorIj11FixedVectorIiLj4EEEEZZNS1_16scan_by_key_implILNS1_25lookback_scan_determinismE0ELb1ES3_N6thrust23THRUST_200600_302600_NS6detail15normal_iteratorINSB_10device_ptrIjEEEENSD_INSE_IS6_EEEESI_S6_NSB_4plusIvEENSB_8equal_toIvEES6_EE10hipError_tPvRmT2_T3_T4_T5_mT6_T7_P12ihipStream_tbENKUlT_T0_E_clISt17integral_constantIbLb0EES13_EEDaSY_SZ_EUlSY_E_NS1_11comp_targetILNS1_3genE0ELNS1_11target_archE4294967295ELNS1_3gpuE0ELNS1_3repE0EEENS1_30default_config_static_selectorELNS0_4arch9wavefront6targetE1EEEvT1_,comdat
	.protected	_ZN7rocprim17ROCPRIM_400000_NS6detail17trampoline_kernelINS0_14default_configENS1_27scan_by_key_config_selectorIj11FixedVectorIiLj4EEEEZZNS1_16scan_by_key_implILNS1_25lookback_scan_determinismE0ELb1ES3_N6thrust23THRUST_200600_302600_NS6detail15normal_iteratorINSB_10device_ptrIjEEEENSD_INSE_IS6_EEEESI_S6_NSB_4plusIvEENSB_8equal_toIvEES6_EE10hipError_tPvRmT2_T3_T4_T5_mT6_T7_P12ihipStream_tbENKUlT_T0_E_clISt17integral_constantIbLb0EES13_EEDaSY_SZ_EUlSY_E_NS1_11comp_targetILNS1_3genE0ELNS1_11target_archE4294967295ELNS1_3gpuE0ELNS1_3repE0EEENS1_30default_config_static_selectorELNS0_4arch9wavefront6targetE1EEEvT1_ ; -- Begin function _ZN7rocprim17ROCPRIM_400000_NS6detail17trampoline_kernelINS0_14default_configENS1_27scan_by_key_config_selectorIj11FixedVectorIiLj4EEEEZZNS1_16scan_by_key_implILNS1_25lookback_scan_determinismE0ELb1ES3_N6thrust23THRUST_200600_302600_NS6detail15normal_iteratorINSB_10device_ptrIjEEEENSD_INSE_IS6_EEEESI_S6_NSB_4plusIvEENSB_8equal_toIvEES6_EE10hipError_tPvRmT2_T3_T4_T5_mT6_T7_P12ihipStream_tbENKUlT_T0_E_clISt17integral_constantIbLb0EES13_EEDaSY_SZ_EUlSY_E_NS1_11comp_targetILNS1_3genE0ELNS1_11target_archE4294967295ELNS1_3gpuE0ELNS1_3repE0EEENS1_30default_config_static_selectorELNS0_4arch9wavefront6targetE1EEEvT1_
	.globl	_ZN7rocprim17ROCPRIM_400000_NS6detail17trampoline_kernelINS0_14default_configENS1_27scan_by_key_config_selectorIj11FixedVectorIiLj4EEEEZZNS1_16scan_by_key_implILNS1_25lookback_scan_determinismE0ELb1ES3_N6thrust23THRUST_200600_302600_NS6detail15normal_iteratorINSB_10device_ptrIjEEEENSD_INSE_IS6_EEEESI_S6_NSB_4plusIvEENSB_8equal_toIvEES6_EE10hipError_tPvRmT2_T3_T4_T5_mT6_T7_P12ihipStream_tbENKUlT_T0_E_clISt17integral_constantIbLb0EES13_EEDaSY_SZ_EUlSY_E_NS1_11comp_targetILNS1_3genE0ELNS1_11target_archE4294967295ELNS1_3gpuE0ELNS1_3repE0EEENS1_30default_config_static_selectorELNS0_4arch9wavefront6targetE1EEEvT1_
	.p2align	8
	.type	_ZN7rocprim17ROCPRIM_400000_NS6detail17trampoline_kernelINS0_14default_configENS1_27scan_by_key_config_selectorIj11FixedVectorIiLj4EEEEZZNS1_16scan_by_key_implILNS1_25lookback_scan_determinismE0ELb1ES3_N6thrust23THRUST_200600_302600_NS6detail15normal_iteratorINSB_10device_ptrIjEEEENSD_INSE_IS6_EEEESI_S6_NSB_4plusIvEENSB_8equal_toIvEES6_EE10hipError_tPvRmT2_T3_T4_T5_mT6_T7_P12ihipStream_tbENKUlT_T0_E_clISt17integral_constantIbLb0EES13_EEDaSY_SZ_EUlSY_E_NS1_11comp_targetILNS1_3genE0ELNS1_11target_archE4294967295ELNS1_3gpuE0ELNS1_3repE0EEENS1_30default_config_static_selectorELNS0_4arch9wavefront6targetE1EEEvT1_,@function
_ZN7rocprim17ROCPRIM_400000_NS6detail17trampoline_kernelINS0_14default_configENS1_27scan_by_key_config_selectorIj11FixedVectorIiLj4EEEEZZNS1_16scan_by_key_implILNS1_25lookback_scan_determinismE0ELb1ES3_N6thrust23THRUST_200600_302600_NS6detail15normal_iteratorINSB_10device_ptrIjEEEENSD_INSE_IS6_EEEESI_S6_NSB_4plusIvEENSB_8equal_toIvEES6_EE10hipError_tPvRmT2_T3_T4_T5_mT6_T7_P12ihipStream_tbENKUlT_T0_E_clISt17integral_constantIbLb0EES13_EEDaSY_SZ_EUlSY_E_NS1_11comp_targetILNS1_3genE0ELNS1_11target_archE4294967295ELNS1_3gpuE0ELNS1_3repE0EEENS1_30default_config_static_selectorELNS0_4arch9wavefront6targetE1EEEvT1_: ; @_ZN7rocprim17ROCPRIM_400000_NS6detail17trampoline_kernelINS0_14default_configENS1_27scan_by_key_config_selectorIj11FixedVectorIiLj4EEEEZZNS1_16scan_by_key_implILNS1_25lookback_scan_determinismE0ELb1ES3_N6thrust23THRUST_200600_302600_NS6detail15normal_iteratorINSB_10device_ptrIjEEEENSD_INSE_IS6_EEEESI_S6_NSB_4plusIvEENSB_8equal_toIvEES6_EE10hipError_tPvRmT2_T3_T4_T5_mT6_T7_P12ihipStream_tbENKUlT_T0_E_clISt17integral_constantIbLb0EES13_EEDaSY_SZ_EUlSY_E_NS1_11comp_targetILNS1_3genE0ELNS1_11target_archE4294967295ELNS1_3gpuE0ELNS1_3repE0EEENS1_30default_config_static_selectorELNS0_4arch9wavefront6targetE1EEEvT1_
; %bb.0:
	.section	.rodata,"a",@progbits
	.p2align	6, 0x0
	.amdhsa_kernel _ZN7rocprim17ROCPRIM_400000_NS6detail17trampoline_kernelINS0_14default_configENS1_27scan_by_key_config_selectorIj11FixedVectorIiLj4EEEEZZNS1_16scan_by_key_implILNS1_25lookback_scan_determinismE0ELb1ES3_N6thrust23THRUST_200600_302600_NS6detail15normal_iteratorINSB_10device_ptrIjEEEENSD_INSE_IS6_EEEESI_S6_NSB_4plusIvEENSB_8equal_toIvEES6_EE10hipError_tPvRmT2_T3_T4_T5_mT6_T7_P12ihipStream_tbENKUlT_T0_E_clISt17integral_constantIbLb0EES13_EEDaSY_SZ_EUlSY_E_NS1_11comp_targetILNS1_3genE0ELNS1_11target_archE4294967295ELNS1_3gpuE0ELNS1_3repE0EEENS1_30default_config_static_selectorELNS0_4arch9wavefront6targetE1EEEvT1_
		.amdhsa_group_segment_fixed_size 0
		.amdhsa_private_segment_fixed_size 0
		.amdhsa_kernarg_size 144
		.amdhsa_user_sgpr_count 6
		.amdhsa_user_sgpr_private_segment_buffer 1
		.amdhsa_user_sgpr_dispatch_ptr 0
		.amdhsa_user_sgpr_queue_ptr 0
		.amdhsa_user_sgpr_kernarg_segment_ptr 1
		.amdhsa_user_sgpr_dispatch_id 0
		.amdhsa_user_sgpr_flat_scratch_init 0
		.amdhsa_user_sgpr_kernarg_preload_length 0
		.amdhsa_user_sgpr_kernarg_preload_offset 0
		.amdhsa_user_sgpr_private_segment_size 0
		.amdhsa_uses_dynamic_stack 0
		.amdhsa_system_sgpr_private_segment_wavefront_offset 0
		.amdhsa_system_sgpr_workgroup_id_x 1
		.amdhsa_system_sgpr_workgroup_id_y 0
		.amdhsa_system_sgpr_workgroup_id_z 0
		.amdhsa_system_sgpr_workgroup_info 0
		.amdhsa_system_vgpr_workitem_id 0
		.amdhsa_next_free_vgpr 1
		.amdhsa_next_free_sgpr 0
		.amdhsa_accum_offset 4
		.amdhsa_reserve_vcc 0
		.amdhsa_reserve_flat_scratch 0
		.amdhsa_float_round_mode_32 0
		.amdhsa_float_round_mode_16_64 0
		.amdhsa_float_denorm_mode_32 3
		.amdhsa_float_denorm_mode_16_64 3
		.amdhsa_dx10_clamp 1
		.amdhsa_ieee_mode 1
		.amdhsa_fp16_overflow 0
		.amdhsa_tg_split 0
		.amdhsa_exception_fp_ieee_invalid_op 0
		.amdhsa_exception_fp_denorm_src 0
		.amdhsa_exception_fp_ieee_div_zero 0
		.amdhsa_exception_fp_ieee_overflow 0
		.amdhsa_exception_fp_ieee_underflow 0
		.amdhsa_exception_fp_ieee_inexact 0
		.amdhsa_exception_int_div_zero 0
	.end_amdhsa_kernel
	.section	.text._ZN7rocprim17ROCPRIM_400000_NS6detail17trampoline_kernelINS0_14default_configENS1_27scan_by_key_config_selectorIj11FixedVectorIiLj4EEEEZZNS1_16scan_by_key_implILNS1_25lookback_scan_determinismE0ELb1ES3_N6thrust23THRUST_200600_302600_NS6detail15normal_iteratorINSB_10device_ptrIjEEEENSD_INSE_IS6_EEEESI_S6_NSB_4plusIvEENSB_8equal_toIvEES6_EE10hipError_tPvRmT2_T3_T4_T5_mT6_T7_P12ihipStream_tbENKUlT_T0_E_clISt17integral_constantIbLb0EES13_EEDaSY_SZ_EUlSY_E_NS1_11comp_targetILNS1_3genE0ELNS1_11target_archE4294967295ELNS1_3gpuE0ELNS1_3repE0EEENS1_30default_config_static_selectorELNS0_4arch9wavefront6targetE1EEEvT1_,"axG",@progbits,_ZN7rocprim17ROCPRIM_400000_NS6detail17trampoline_kernelINS0_14default_configENS1_27scan_by_key_config_selectorIj11FixedVectorIiLj4EEEEZZNS1_16scan_by_key_implILNS1_25lookback_scan_determinismE0ELb1ES3_N6thrust23THRUST_200600_302600_NS6detail15normal_iteratorINSB_10device_ptrIjEEEENSD_INSE_IS6_EEEESI_S6_NSB_4plusIvEENSB_8equal_toIvEES6_EE10hipError_tPvRmT2_T3_T4_T5_mT6_T7_P12ihipStream_tbENKUlT_T0_E_clISt17integral_constantIbLb0EES13_EEDaSY_SZ_EUlSY_E_NS1_11comp_targetILNS1_3genE0ELNS1_11target_archE4294967295ELNS1_3gpuE0ELNS1_3repE0EEENS1_30default_config_static_selectorELNS0_4arch9wavefront6targetE1EEEvT1_,comdat
.Lfunc_end2075:
	.size	_ZN7rocprim17ROCPRIM_400000_NS6detail17trampoline_kernelINS0_14default_configENS1_27scan_by_key_config_selectorIj11FixedVectorIiLj4EEEEZZNS1_16scan_by_key_implILNS1_25lookback_scan_determinismE0ELb1ES3_N6thrust23THRUST_200600_302600_NS6detail15normal_iteratorINSB_10device_ptrIjEEEENSD_INSE_IS6_EEEESI_S6_NSB_4plusIvEENSB_8equal_toIvEES6_EE10hipError_tPvRmT2_T3_T4_T5_mT6_T7_P12ihipStream_tbENKUlT_T0_E_clISt17integral_constantIbLb0EES13_EEDaSY_SZ_EUlSY_E_NS1_11comp_targetILNS1_3genE0ELNS1_11target_archE4294967295ELNS1_3gpuE0ELNS1_3repE0EEENS1_30default_config_static_selectorELNS0_4arch9wavefront6targetE1EEEvT1_, .Lfunc_end2075-_ZN7rocprim17ROCPRIM_400000_NS6detail17trampoline_kernelINS0_14default_configENS1_27scan_by_key_config_selectorIj11FixedVectorIiLj4EEEEZZNS1_16scan_by_key_implILNS1_25lookback_scan_determinismE0ELb1ES3_N6thrust23THRUST_200600_302600_NS6detail15normal_iteratorINSB_10device_ptrIjEEEENSD_INSE_IS6_EEEESI_S6_NSB_4plusIvEENSB_8equal_toIvEES6_EE10hipError_tPvRmT2_T3_T4_T5_mT6_T7_P12ihipStream_tbENKUlT_T0_E_clISt17integral_constantIbLb0EES13_EEDaSY_SZ_EUlSY_E_NS1_11comp_targetILNS1_3genE0ELNS1_11target_archE4294967295ELNS1_3gpuE0ELNS1_3repE0EEENS1_30default_config_static_selectorELNS0_4arch9wavefront6targetE1EEEvT1_
                                        ; -- End function
	.section	.AMDGPU.csdata,"",@progbits
; Kernel info:
; codeLenInByte = 0
; NumSgprs: 4
; NumVgprs: 0
; NumAgprs: 0
; TotalNumVgprs: 0
; ScratchSize: 0
; MemoryBound: 0
; FloatMode: 240
; IeeeMode: 1
; LDSByteSize: 0 bytes/workgroup (compile time only)
; SGPRBlocks: 0
; VGPRBlocks: 0
; NumSGPRsForWavesPerEU: 4
; NumVGPRsForWavesPerEU: 1
; AccumOffset: 4
; Occupancy: 8
; WaveLimiterHint : 0
; COMPUTE_PGM_RSRC2:SCRATCH_EN: 0
; COMPUTE_PGM_RSRC2:USER_SGPR: 6
; COMPUTE_PGM_RSRC2:TRAP_HANDLER: 0
; COMPUTE_PGM_RSRC2:TGID_X_EN: 1
; COMPUTE_PGM_RSRC2:TGID_Y_EN: 0
; COMPUTE_PGM_RSRC2:TGID_Z_EN: 0
; COMPUTE_PGM_RSRC2:TIDIG_COMP_CNT: 0
; COMPUTE_PGM_RSRC3_GFX90A:ACCUM_OFFSET: 0
; COMPUTE_PGM_RSRC3_GFX90A:TG_SPLIT: 0
	.section	.text._ZN7rocprim17ROCPRIM_400000_NS6detail17trampoline_kernelINS0_14default_configENS1_27scan_by_key_config_selectorIj11FixedVectorIiLj4EEEEZZNS1_16scan_by_key_implILNS1_25lookback_scan_determinismE0ELb1ES3_N6thrust23THRUST_200600_302600_NS6detail15normal_iteratorINSB_10device_ptrIjEEEENSD_INSE_IS6_EEEESI_S6_NSB_4plusIvEENSB_8equal_toIvEES6_EE10hipError_tPvRmT2_T3_T4_T5_mT6_T7_P12ihipStream_tbENKUlT_T0_E_clISt17integral_constantIbLb0EES13_EEDaSY_SZ_EUlSY_E_NS1_11comp_targetILNS1_3genE10ELNS1_11target_archE1201ELNS1_3gpuE5ELNS1_3repE0EEENS1_30default_config_static_selectorELNS0_4arch9wavefront6targetE1EEEvT1_,"axG",@progbits,_ZN7rocprim17ROCPRIM_400000_NS6detail17trampoline_kernelINS0_14default_configENS1_27scan_by_key_config_selectorIj11FixedVectorIiLj4EEEEZZNS1_16scan_by_key_implILNS1_25lookback_scan_determinismE0ELb1ES3_N6thrust23THRUST_200600_302600_NS6detail15normal_iteratorINSB_10device_ptrIjEEEENSD_INSE_IS6_EEEESI_S6_NSB_4plusIvEENSB_8equal_toIvEES6_EE10hipError_tPvRmT2_T3_T4_T5_mT6_T7_P12ihipStream_tbENKUlT_T0_E_clISt17integral_constantIbLb0EES13_EEDaSY_SZ_EUlSY_E_NS1_11comp_targetILNS1_3genE10ELNS1_11target_archE1201ELNS1_3gpuE5ELNS1_3repE0EEENS1_30default_config_static_selectorELNS0_4arch9wavefront6targetE1EEEvT1_,comdat
	.protected	_ZN7rocprim17ROCPRIM_400000_NS6detail17trampoline_kernelINS0_14default_configENS1_27scan_by_key_config_selectorIj11FixedVectorIiLj4EEEEZZNS1_16scan_by_key_implILNS1_25lookback_scan_determinismE0ELb1ES3_N6thrust23THRUST_200600_302600_NS6detail15normal_iteratorINSB_10device_ptrIjEEEENSD_INSE_IS6_EEEESI_S6_NSB_4plusIvEENSB_8equal_toIvEES6_EE10hipError_tPvRmT2_T3_T4_T5_mT6_T7_P12ihipStream_tbENKUlT_T0_E_clISt17integral_constantIbLb0EES13_EEDaSY_SZ_EUlSY_E_NS1_11comp_targetILNS1_3genE10ELNS1_11target_archE1201ELNS1_3gpuE5ELNS1_3repE0EEENS1_30default_config_static_selectorELNS0_4arch9wavefront6targetE1EEEvT1_ ; -- Begin function _ZN7rocprim17ROCPRIM_400000_NS6detail17trampoline_kernelINS0_14default_configENS1_27scan_by_key_config_selectorIj11FixedVectorIiLj4EEEEZZNS1_16scan_by_key_implILNS1_25lookback_scan_determinismE0ELb1ES3_N6thrust23THRUST_200600_302600_NS6detail15normal_iteratorINSB_10device_ptrIjEEEENSD_INSE_IS6_EEEESI_S6_NSB_4plusIvEENSB_8equal_toIvEES6_EE10hipError_tPvRmT2_T3_T4_T5_mT6_T7_P12ihipStream_tbENKUlT_T0_E_clISt17integral_constantIbLb0EES13_EEDaSY_SZ_EUlSY_E_NS1_11comp_targetILNS1_3genE10ELNS1_11target_archE1201ELNS1_3gpuE5ELNS1_3repE0EEENS1_30default_config_static_selectorELNS0_4arch9wavefront6targetE1EEEvT1_
	.globl	_ZN7rocprim17ROCPRIM_400000_NS6detail17trampoline_kernelINS0_14default_configENS1_27scan_by_key_config_selectorIj11FixedVectorIiLj4EEEEZZNS1_16scan_by_key_implILNS1_25lookback_scan_determinismE0ELb1ES3_N6thrust23THRUST_200600_302600_NS6detail15normal_iteratorINSB_10device_ptrIjEEEENSD_INSE_IS6_EEEESI_S6_NSB_4plusIvEENSB_8equal_toIvEES6_EE10hipError_tPvRmT2_T3_T4_T5_mT6_T7_P12ihipStream_tbENKUlT_T0_E_clISt17integral_constantIbLb0EES13_EEDaSY_SZ_EUlSY_E_NS1_11comp_targetILNS1_3genE10ELNS1_11target_archE1201ELNS1_3gpuE5ELNS1_3repE0EEENS1_30default_config_static_selectorELNS0_4arch9wavefront6targetE1EEEvT1_
	.p2align	8
	.type	_ZN7rocprim17ROCPRIM_400000_NS6detail17trampoline_kernelINS0_14default_configENS1_27scan_by_key_config_selectorIj11FixedVectorIiLj4EEEEZZNS1_16scan_by_key_implILNS1_25lookback_scan_determinismE0ELb1ES3_N6thrust23THRUST_200600_302600_NS6detail15normal_iteratorINSB_10device_ptrIjEEEENSD_INSE_IS6_EEEESI_S6_NSB_4plusIvEENSB_8equal_toIvEES6_EE10hipError_tPvRmT2_T3_T4_T5_mT6_T7_P12ihipStream_tbENKUlT_T0_E_clISt17integral_constantIbLb0EES13_EEDaSY_SZ_EUlSY_E_NS1_11comp_targetILNS1_3genE10ELNS1_11target_archE1201ELNS1_3gpuE5ELNS1_3repE0EEENS1_30default_config_static_selectorELNS0_4arch9wavefront6targetE1EEEvT1_,@function
_ZN7rocprim17ROCPRIM_400000_NS6detail17trampoline_kernelINS0_14default_configENS1_27scan_by_key_config_selectorIj11FixedVectorIiLj4EEEEZZNS1_16scan_by_key_implILNS1_25lookback_scan_determinismE0ELb1ES3_N6thrust23THRUST_200600_302600_NS6detail15normal_iteratorINSB_10device_ptrIjEEEENSD_INSE_IS6_EEEESI_S6_NSB_4plusIvEENSB_8equal_toIvEES6_EE10hipError_tPvRmT2_T3_T4_T5_mT6_T7_P12ihipStream_tbENKUlT_T0_E_clISt17integral_constantIbLb0EES13_EEDaSY_SZ_EUlSY_E_NS1_11comp_targetILNS1_3genE10ELNS1_11target_archE1201ELNS1_3gpuE5ELNS1_3repE0EEENS1_30default_config_static_selectorELNS0_4arch9wavefront6targetE1EEEvT1_: ; @_ZN7rocprim17ROCPRIM_400000_NS6detail17trampoline_kernelINS0_14default_configENS1_27scan_by_key_config_selectorIj11FixedVectorIiLj4EEEEZZNS1_16scan_by_key_implILNS1_25lookback_scan_determinismE0ELb1ES3_N6thrust23THRUST_200600_302600_NS6detail15normal_iteratorINSB_10device_ptrIjEEEENSD_INSE_IS6_EEEESI_S6_NSB_4plusIvEENSB_8equal_toIvEES6_EE10hipError_tPvRmT2_T3_T4_T5_mT6_T7_P12ihipStream_tbENKUlT_T0_E_clISt17integral_constantIbLb0EES13_EEDaSY_SZ_EUlSY_E_NS1_11comp_targetILNS1_3genE10ELNS1_11target_archE1201ELNS1_3gpuE5ELNS1_3repE0EEENS1_30default_config_static_selectorELNS0_4arch9wavefront6targetE1EEEvT1_
; %bb.0:
	.section	.rodata,"a",@progbits
	.p2align	6, 0x0
	.amdhsa_kernel _ZN7rocprim17ROCPRIM_400000_NS6detail17trampoline_kernelINS0_14default_configENS1_27scan_by_key_config_selectorIj11FixedVectorIiLj4EEEEZZNS1_16scan_by_key_implILNS1_25lookback_scan_determinismE0ELb1ES3_N6thrust23THRUST_200600_302600_NS6detail15normal_iteratorINSB_10device_ptrIjEEEENSD_INSE_IS6_EEEESI_S6_NSB_4plusIvEENSB_8equal_toIvEES6_EE10hipError_tPvRmT2_T3_T4_T5_mT6_T7_P12ihipStream_tbENKUlT_T0_E_clISt17integral_constantIbLb0EES13_EEDaSY_SZ_EUlSY_E_NS1_11comp_targetILNS1_3genE10ELNS1_11target_archE1201ELNS1_3gpuE5ELNS1_3repE0EEENS1_30default_config_static_selectorELNS0_4arch9wavefront6targetE1EEEvT1_
		.amdhsa_group_segment_fixed_size 0
		.amdhsa_private_segment_fixed_size 0
		.amdhsa_kernarg_size 144
		.amdhsa_user_sgpr_count 6
		.amdhsa_user_sgpr_private_segment_buffer 1
		.amdhsa_user_sgpr_dispatch_ptr 0
		.amdhsa_user_sgpr_queue_ptr 0
		.amdhsa_user_sgpr_kernarg_segment_ptr 1
		.amdhsa_user_sgpr_dispatch_id 0
		.amdhsa_user_sgpr_flat_scratch_init 0
		.amdhsa_user_sgpr_kernarg_preload_length 0
		.amdhsa_user_sgpr_kernarg_preload_offset 0
		.amdhsa_user_sgpr_private_segment_size 0
		.amdhsa_uses_dynamic_stack 0
		.amdhsa_system_sgpr_private_segment_wavefront_offset 0
		.amdhsa_system_sgpr_workgroup_id_x 1
		.amdhsa_system_sgpr_workgroup_id_y 0
		.amdhsa_system_sgpr_workgroup_id_z 0
		.amdhsa_system_sgpr_workgroup_info 0
		.amdhsa_system_vgpr_workitem_id 0
		.amdhsa_next_free_vgpr 1
		.amdhsa_next_free_sgpr 0
		.amdhsa_accum_offset 4
		.amdhsa_reserve_vcc 0
		.amdhsa_reserve_flat_scratch 0
		.amdhsa_float_round_mode_32 0
		.amdhsa_float_round_mode_16_64 0
		.amdhsa_float_denorm_mode_32 3
		.amdhsa_float_denorm_mode_16_64 3
		.amdhsa_dx10_clamp 1
		.amdhsa_ieee_mode 1
		.amdhsa_fp16_overflow 0
		.amdhsa_tg_split 0
		.amdhsa_exception_fp_ieee_invalid_op 0
		.amdhsa_exception_fp_denorm_src 0
		.amdhsa_exception_fp_ieee_div_zero 0
		.amdhsa_exception_fp_ieee_overflow 0
		.amdhsa_exception_fp_ieee_underflow 0
		.amdhsa_exception_fp_ieee_inexact 0
		.amdhsa_exception_int_div_zero 0
	.end_amdhsa_kernel
	.section	.text._ZN7rocprim17ROCPRIM_400000_NS6detail17trampoline_kernelINS0_14default_configENS1_27scan_by_key_config_selectorIj11FixedVectorIiLj4EEEEZZNS1_16scan_by_key_implILNS1_25lookback_scan_determinismE0ELb1ES3_N6thrust23THRUST_200600_302600_NS6detail15normal_iteratorINSB_10device_ptrIjEEEENSD_INSE_IS6_EEEESI_S6_NSB_4plusIvEENSB_8equal_toIvEES6_EE10hipError_tPvRmT2_T3_T4_T5_mT6_T7_P12ihipStream_tbENKUlT_T0_E_clISt17integral_constantIbLb0EES13_EEDaSY_SZ_EUlSY_E_NS1_11comp_targetILNS1_3genE10ELNS1_11target_archE1201ELNS1_3gpuE5ELNS1_3repE0EEENS1_30default_config_static_selectorELNS0_4arch9wavefront6targetE1EEEvT1_,"axG",@progbits,_ZN7rocprim17ROCPRIM_400000_NS6detail17trampoline_kernelINS0_14default_configENS1_27scan_by_key_config_selectorIj11FixedVectorIiLj4EEEEZZNS1_16scan_by_key_implILNS1_25lookback_scan_determinismE0ELb1ES3_N6thrust23THRUST_200600_302600_NS6detail15normal_iteratorINSB_10device_ptrIjEEEENSD_INSE_IS6_EEEESI_S6_NSB_4plusIvEENSB_8equal_toIvEES6_EE10hipError_tPvRmT2_T3_T4_T5_mT6_T7_P12ihipStream_tbENKUlT_T0_E_clISt17integral_constantIbLb0EES13_EEDaSY_SZ_EUlSY_E_NS1_11comp_targetILNS1_3genE10ELNS1_11target_archE1201ELNS1_3gpuE5ELNS1_3repE0EEENS1_30default_config_static_selectorELNS0_4arch9wavefront6targetE1EEEvT1_,comdat
.Lfunc_end2076:
	.size	_ZN7rocprim17ROCPRIM_400000_NS6detail17trampoline_kernelINS0_14default_configENS1_27scan_by_key_config_selectorIj11FixedVectorIiLj4EEEEZZNS1_16scan_by_key_implILNS1_25lookback_scan_determinismE0ELb1ES3_N6thrust23THRUST_200600_302600_NS6detail15normal_iteratorINSB_10device_ptrIjEEEENSD_INSE_IS6_EEEESI_S6_NSB_4plusIvEENSB_8equal_toIvEES6_EE10hipError_tPvRmT2_T3_T4_T5_mT6_T7_P12ihipStream_tbENKUlT_T0_E_clISt17integral_constantIbLb0EES13_EEDaSY_SZ_EUlSY_E_NS1_11comp_targetILNS1_3genE10ELNS1_11target_archE1201ELNS1_3gpuE5ELNS1_3repE0EEENS1_30default_config_static_selectorELNS0_4arch9wavefront6targetE1EEEvT1_, .Lfunc_end2076-_ZN7rocprim17ROCPRIM_400000_NS6detail17trampoline_kernelINS0_14default_configENS1_27scan_by_key_config_selectorIj11FixedVectorIiLj4EEEEZZNS1_16scan_by_key_implILNS1_25lookback_scan_determinismE0ELb1ES3_N6thrust23THRUST_200600_302600_NS6detail15normal_iteratorINSB_10device_ptrIjEEEENSD_INSE_IS6_EEEESI_S6_NSB_4plusIvEENSB_8equal_toIvEES6_EE10hipError_tPvRmT2_T3_T4_T5_mT6_T7_P12ihipStream_tbENKUlT_T0_E_clISt17integral_constantIbLb0EES13_EEDaSY_SZ_EUlSY_E_NS1_11comp_targetILNS1_3genE10ELNS1_11target_archE1201ELNS1_3gpuE5ELNS1_3repE0EEENS1_30default_config_static_selectorELNS0_4arch9wavefront6targetE1EEEvT1_
                                        ; -- End function
	.section	.AMDGPU.csdata,"",@progbits
; Kernel info:
; codeLenInByte = 0
; NumSgprs: 4
; NumVgprs: 0
; NumAgprs: 0
; TotalNumVgprs: 0
; ScratchSize: 0
; MemoryBound: 0
; FloatMode: 240
; IeeeMode: 1
; LDSByteSize: 0 bytes/workgroup (compile time only)
; SGPRBlocks: 0
; VGPRBlocks: 0
; NumSGPRsForWavesPerEU: 4
; NumVGPRsForWavesPerEU: 1
; AccumOffset: 4
; Occupancy: 8
; WaveLimiterHint : 0
; COMPUTE_PGM_RSRC2:SCRATCH_EN: 0
; COMPUTE_PGM_RSRC2:USER_SGPR: 6
; COMPUTE_PGM_RSRC2:TRAP_HANDLER: 0
; COMPUTE_PGM_RSRC2:TGID_X_EN: 1
; COMPUTE_PGM_RSRC2:TGID_Y_EN: 0
; COMPUTE_PGM_RSRC2:TGID_Z_EN: 0
; COMPUTE_PGM_RSRC2:TIDIG_COMP_CNT: 0
; COMPUTE_PGM_RSRC3_GFX90A:ACCUM_OFFSET: 0
; COMPUTE_PGM_RSRC3_GFX90A:TG_SPLIT: 0
	.section	.text._ZN7rocprim17ROCPRIM_400000_NS6detail17trampoline_kernelINS0_14default_configENS1_27scan_by_key_config_selectorIj11FixedVectorIiLj4EEEEZZNS1_16scan_by_key_implILNS1_25lookback_scan_determinismE0ELb1ES3_N6thrust23THRUST_200600_302600_NS6detail15normal_iteratorINSB_10device_ptrIjEEEENSD_INSE_IS6_EEEESI_S6_NSB_4plusIvEENSB_8equal_toIvEES6_EE10hipError_tPvRmT2_T3_T4_T5_mT6_T7_P12ihipStream_tbENKUlT_T0_E_clISt17integral_constantIbLb0EES13_EEDaSY_SZ_EUlSY_E_NS1_11comp_targetILNS1_3genE5ELNS1_11target_archE942ELNS1_3gpuE9ELNS1_3repE0EEENS1_30default_config_static_selectorELNS0_4arch9wavefront6targetE1EEEvT1_,"axG",@progbits,_ZN7rocprim17ROCPRIM_400000_NS6detail17trampoline_kernelINS0_14default_configENS1_27scan_by_key_config_selectorIj11FixedVectorIiLj4EEEEZZNS1_16scan_by_key_implILNS1_25lookback_scan_determinismE0ELb1ES3_N6thrust23THRUST_200600_302600_NS6detail15normal_iteratorINSB_10device_ptrIjEEEENSD_INSE_IS6_EEEESI_S6_NSB_4plusIvEENSB_8equal_toIvEES6_EE10hipError_tPvRmT2_T3_T4_T5_mT6_T7_P12ihipStream_tbENKUlT_T0_E_clISt17integral_constantIbLb0EES13_EEDaSY_SZ_EUlSY_E_NS1_11comp_targetILNS1_3genE5ELNS1_11target_archE942ELNS1_3gpuE9ELNS1_3repE0EEENS1_30default_config_static_selectorELNS0_4arch9wavefront6targetE1EEEvT1_,comdat
	.protected	_ZN7rocprim17ROCPRIM_400000_NS6detail17trampoline_kernelINS0_14default_configENS1_27scan_by_key_config_selectorIj11FixedVectorIiLj4EEEEZZNS1_16scan_by_key_implILNS1_25lookback_scan_determinismE0ELb1ES3_N6thrust23THRUST_200600_302600_NS6detail15normal_iteratorINSB_10device_ptrIjEEEENSD_INSE_IS6_EEEESI_S6_NSB_4plusIvEENSB_8equal_toIvEES6_EE10hipError_tPvRmT2_T3_T4_T5_mT6_T7_P12ihipStream_tbENKUlT_T0_E_clISt17integral_constantIbLb0EES13_EEDaSY_SZ_EUlSY_E_NS1_11comp_targetILNS1_3genE5ELNS1_11target_archE942ELNS1_3gpuE9ELNS1_3repE0EEENS1_30default_config_static_selectorELNS0_4arch9wavefront6targetE1EEEvT1_ ; -- Begin function _ZN7rocprim17ROCPRIM_400000_NS6detail17trampoline_kernelINS0_14default_configENS1_27scan_by_key_config_selectorIj11FixedVectorIiLj4EEEEZZNS1_16scan_by_key_implILNS1_25lookback_scan_determinismE0ELb1ES3_N6thrust23THRUST_200600_302600_NS6detail15normal_iteratorINSB_10device_ptrIjEEEENSD_INSE_IS6_EEEESI_S6_NSB_4plusIvEENSB_8equal_toIvEES6_EE10hipError_tPvRmT2_T3_T4_T5_mT6_T7_P12ihipStream_tbENKUlT_T0_E_clISt17integral_constantIbLb0EES13_EEDaSY_SZ_EUlSY_E_NS1_11comp_targetILNS1_3genE5ELNS1_11target_archE942ELNS1_3gpuE9ELNS1_3repE0EEENS1_30default_config_static_selectorELNS0_4arch9wavefront6targetE1EEEvT1_
	.globl	_ZN7rocprim17ROCPRIM_400000_NS6detail17trampoline_kernelINS0_14default_configENS1_27scan_by_key_config_selectorIj11FixedVectorIiLj4EEEEZZNS1_16scan_by_key_implILNS1_25lookback_scan_determinismE0ELb1ES3_N6thrust23THRUST_200600_302600_NS6detail15normal_iteratorINSB_10device_ptrIjEEEENSD_INSE_IS6_EEEESI_S6_NSB_4plusIvEENSB_8equal_toIvEES6_EE10hipError_tPvRmT2_T3_T4_T5_mT6_T7_P12ihipStream_tbENKUlT_T0_E_clISt17integral_constantIbLb0EES13_EEDaSY_SZ_EUlSY_E_NS1_11comp_targetILNS1_3genE5ELNS1_11target_archE942ELNS1_3gpuE9ELNS1_3repE0EEENS1_30default_config_static_selectorELNS0_4arch9wavefront6targetE1EEEvT1_
	.p2align	8
	.type	_ZN7rocprim17ROCPRIM_400000_NS6detail17trampoline_kernelINS0_14default_configENS1_27scan_by_key_config_selectorIj11FixedVectorIiLj4EEEEZZNS1_16scan_by_key_implILNS1_25lookback_scan_determinismE0ELb1ES3_N6thrust23THRUST_200600_302600_NS6detail15normal_iteratorINSB_10device_ptrIjEEEENSD_INSE_IS6_EEEESI_S6_NSB_4plusIvEENSB_8equal_toIvEES6_EE10hipError_tPvRmT2_T3_T4_T5_mT6_T7_P12ihipStream_tbENKUlT_T0_E_clISt17integral_constantIbLb0EES13_EEDaSY_SZ_EUlSY_E_NS1_11comp_targetILNS1_3genE5ELNS1_11target_archE942ELNS1_3gpuE9ELNS1_3repE0EEENS1_30default_config_static_selectorELNS0_4arch9wavefront6targetE1EEEvT1_,@function
_ZN7rocprim17ROCPRIM_400000_NS6detail17trampoline_kernelINS0_14default_configENS1_27scan_by_key_config_selectorIj11FixedVectorIiLj4EEEEZZNS1_16scan_by_key_implILNS1_25lookback_scan_determinismE0ELb1ES3_N6thrust23THRUST_200600_302600_NS6detail15normal_iteratorINSB_10device_ptrIjEEEENSD_INSE_IS6_EEEESI_S6_NSB_4plusIvEENSB_8equal_toIvEES6_EE10hipError_tPvRmT2_T3_T4_T5_mT6_T7_P12ihipStream_tbENKUlT_T0_E_clISt17integral_constantIbLb0EES13_EEDaSY_SZ_EUlSY_E_NS1_11comp_targetILNS1_3genE5ELNS1_11target_archE942ELNS1_3gpuE9ELNS1_3repE0EEENS1_30default_config_static_selectorELNS0_4arch9wavefront6targetE1EEEvT1_: ; @_ZN7rocprim17ROCPRIM_400000_NS6detail17trampoline_kernelINS0_14default_configENS1_27scan_by_key_config_selectorIj11FixedVectorIiLj4EEEEZZNS1_16scan_by_key_implILNS1_25lookback_scan_determinismE0ELb1ES3_N6thrust23THRUST_200600_302600_NS6detail15normal_iteratorINSB_10device_ptrIjEEEENSD_INSE_IS6_EEEESI_S6_NSB_4plusIvEENSB_8equal_toIvEES6_EE10hipError_tPvRmT2_T3_T4_T5_mT6_T7_P12ihipStream_tbENKUlT_T0_E_clISt17integral_constantIbLb0EES13_EEDaSY_SZ_EUlSY_E_NS1_11comp_targetILNS1_3genE5ELNS1_11target_archE942ELNS1_3gpuE9ELNS1_3repE0EEENS1_30default_config_static_selectorELNS0_4arch9wavefront6targetE1EEEvT1_
; %bb.0:
	.section	.rodata,"a",@progbits
	.p2align	6, 0x0
	.amdhsa_kernel _ZN7rocprim17ROCPRIM_400000_NS6detail17trampoline_kernelINS0_14default_configENS1_27scan_by_key_config_selectorIj11FixedVectorIiLj4EEEEZZNS1_16scan_by_key_implILNS1_25lookback_scan_determinismE0ELb1ES3_N6thrust23THRUST_200600_302600_NS6detail15normal_iteratorINSB_10device_ptrIjEEEENSD_INSE_IS6_EEEESI_S6_NSB_4plusIvEENSB_8equal_toIvEES6_EE10hipError_tPvRmT2_T3_T4_T5_mT6_T7_P12ihipStream_tbENKUlT_T0_E_clISt17integral_constantIbLb0EES13_EEDaSY_SZ_EUlSY_E_NS1_11comp_targetILNS1_3genE5ELNS1_11target_archE942ELNS1_3gpuE9ELNS1_3repE0EEENS1_30default_config_static_selectorELNS0_4arch9wavefront6targetE1EEEvT1_
		.amdhsa_group_segment_fixed_size 0
		.amdhsa_private_segment_fixed_size 0
		.amdhsa_kernarg_size 144
		.amdhsa_user_sgpr_count 6
		.amdhsa_user_sgpr_private_segment_buffer 1
		.amdhsa_user_sgpr_dispatch_ptr 0
		.amdhsa_user_sgpr_queue_ptr 0
		.amdhsa_user_sgpr_kernarg_segment_ptr 1
		.amdhsa_user_sgpr_dispatch_id 0
		.amdhsa_user_sgpr_flat_scratch_init 0
		.amdhsa_user_sgpr_kernarg_preload_length 0
		.amdhsa_user_sgpr_kernarg_preload_offset 0
		.amdhsa_user_sgpr_private_segment_size 0
		.amdhsa_uses_dynamic_stack 0
		.amdhsa_system_sgpr_private_segment_wavefront_offset 0
		.amdhsa_system_sgpr_workgroup_id_x 1
		.amdhsa_system_sgpr_workgroup_id_y 0
		.amdhsa_system_sgpr_workgroup_id_z 0
		.amdhsa_system_sgpr_workgroup_info 0
		.amdhsa_system_vgpr_workitem_id 0
		.amdhsa_next_free_vgpr 1
		.amdhsa_next_free_sgpr 0
		.amdhsa_accum_offset 4
		.amdhsa_reserve_vcc 0
		.amdhsa_reserve_flat_scratch 0
		.amdhsa_float_round_mode_32 0
		.amdhsa_float_round_mode_16_64 0
		.amdhsa_float_denorm_mode_32 3
		.amdhsa_float_denorm_mode_16_64 3
		.amdhsa_dx10_clamp 1
		.amdhsa_ieee_mode 1
		.amdhsa_fp16_overflow 0
		.amdhsa_tg_split 0
		.amdhsa_exception_fp_ieee_invalid_op 0
		.amdhsa_exception_fp_denorm_src 0
		.amdhsa_exception_fp_ieee_div_zero 0
		.amdhsa_exception_fp_ieee_overflow 0
		.amdhsa_exception_fp_ieee_underflow 0
		.amdhsa_exception_fp_ieee_inexact 0
		.amdhsa_exception_int_div_zero 0
	.end_amdhsa_kernel
	.section	.text._ZN7rocprim17ROCPRIM_400000_NS6detail17trampoline_kernelINS0_14default_configENS1_27scan_by_key_config_selectorIj11FixedVectorIiLj4EEEEZZNS1_16scan_by_key_implILNS1_25lookback_scan_determinismE0ELb1ES3_N6thrust23THRUST_200600_302600_NS6detail15normal_iteratorINSB_10device_ptrIjEEEENSD_INSE_IS6_EEEESI_S6_NSB_4plusIvEENSB_8equal_toIvEES6_EE10hipError_tPvRmT2_T3_T4_T5_mT6_T7_P12ihipStream_tbENKUlT_T0_E_clISt17integral_constantIbLb0EES13_EEDaSY_SZ_EUlSY_E_NS1_11comp_targetILNS1_3genE5ELNS1_11target_archE942ELNS1_3gpuE9ELNS1_3repE0EEENS1_30default_config_static_selectorELNS0_4arch9wavefront6targetE1EEEvT1_,"axG",@progbits,_ZN7rocprim17ROCPRIM_400000_NS6detail17trampoline_kernelINS0_14default_configENS1_27scan_by_key_config_selectorIj11FixedVectorIiLj4EEEEZZNS1_16scan_by_key_implILNS1_25lookback_scan_determinismE0ELb1ES3_N6thrust23THRUST_200600_302600_NS6detail15normal_iteratorINSB_10device_ptrIjEEEENSD_INSE_IS6_EEEESI_S6_NSB_4plusIvEENSB_8equal_toIvEES6_EE10hipError_tPvRmT2_T3_T4_T5_mT6_T7_P12ihipStream_tbENKUlT_T0_E_clISt17integral_constantIbLb0EES13_EEDaSY_SZ_EUlSY_E_NS1_11comp_targetILNS1_3genE5ELNS1_11target_archE942ELNS1_3gpuE9ELNS1_3repE0EEENS1_30default_config_static_selectorELNS0_4arch9wavefront6targetE1EEEvT1_,comdat
.Lfunc_end2077:
	.size	_ZN7rocprim17ROCPRIM_400000_NS6detail17trampoline_kernelINS0_14default_configENS1_27scan_by_key_config_selectorIj11FixedVectorIiLj4EEEEZZNS1_16scan_by_key_implILNS1_25lookback_scan_determinismE0ELb1ES3_N6thrust23THRUST_200600_302600_NS6detail15normal_iteratorINSB_10device_ptrIjEEEENSD_INSE_IS6_EEEESI_S6_NSB_4plusIvEENSB_8equal_toIvEES6_EE10hipError_tPvRmT2_T3_T4_T5_mT6_T7_P12ihipStream_tbENKUlT_T0_E_clISt17integral_constantIbLb0EES13_EEDaSY_SZ_EUlSY_E_NS1_11comp_targetILNS1_3genE5ELNS1_11target_archE942ELNS1_3gpuE9ELNS1_3repE0EEENS1_30default_config_static_selectorELNS0_4arch9wavefront6targetE1EEEvT1_, .Lfunc_end2077-_ZN7rocprim17ROCPRIM_400000_NS6detail17trampoline_kernelINS0_14default_configENS1_27scan_by_key_config_selectorIj11FixedVectorIiLj4EEEEZZNS1_16scan_by_key_implILNS1_25lookback_scan_determinismE0ELb1ES3_N6thrust23THRUST_200600_302600_NS6detail15normal_iteratorINSB_10device_ptrIjEEEENSD_INSE_IS6_EEEESI_S6_NSB_4plusIvEENSB_8equal_toIvEES6_EE10hipError_tPvRmT2_T3_T4_T5_mT6_T7_P12ihipStream_tbENKUlT_T0_E_clISt17integral_constantIbLb0EES13_EEDaSY_SZ_EUlSY_E_NS1_11comp_targetILNS1_3genE5ELNS1_11target_archE942ELNS1_3gpuE9ELNS1_3repE0EEENS1_30default_config_static_selectorELNS0_4arch9wavefront6targetE1EEEvT1_
                                        ; -- End function
	.section	.AMDGPU.csdata,"",@progbits
; Kernel info:
; codeLenInByte = 0
; NumSgprs: 4
; NumVgprs: 0
; NumAgprs: 0
; TotalNumVgprs: 0
; ScratchSize: 0
; MemoryBound: 0
; FloatMode: 240
; IeeeMode: 1
; LDSByteSize: 0 bytes/workgroup (compile time only)
; SGPRBlocks: 0
; VGPRBlocks: 0
; NumSGPRsForWavesPerEU: 4
; NumVGPRsForWavesPerEU: 1
; AccumOffset: 4
; Occupancy: 8
; WaveLimiterHint : 0
; COMPUTE_PGM_RSRC2:SCRATCH_EN: 0
; COMPUTE_PGM_RSRC2:USER_SGPR: 6
; COMPUTE_PGM_RSRC2:TRAP_HANDLER: 0
; COMPUTE_PGM_RSRC2:TGID_X_EN: 1
; COMPUTE_PGM_RSRC2:TGID_Y_EN: 0
; COMPUTE_PGM_RSRC2:TGID_Z_EN: 0
; COMPUTE_PGM_RSRC2:TIDIG_COMP_CNT: 0
; COMPUTE_PGM_RSRC3_GFX90A:ACCUM_OFFSET: 0
; COMPUTE_PGM_RSRC3_GFX90A:TG_SPLIT: 0
	.section	.text._ZN7rocprim17ROCPRIM_400000_NS6detail17trampoline_kernelINS0_14default_configENS1_27scan_by_key_config_selectorIj11FixedVectorIiLj4EEEEZZNS1_16scan_by_key_implILNS1_25lookback_scan_determinismE0ELb1ES3_N6thrust23THRUST_200600_302600_NS6detail15normal_iteratorINSB_10device_ptrIjEEEENSD_INSE_IS6_EEEESI_S6_NSB_4plusIvEENSB_8equal_toIvEES6_EE10hipError_tPvRmT2_T3_T4_T5_mT6_T7_P12ihipStream_tbENKUlT_T0_E_clISt17integral_constantIbLb0EES13_EEDaSY_SZ_EUlSY_E_NS1_11comp_targetILNS1_3genE4ELNS1_11target_archE910ELNS1_3gpuE8ELNS1_3repE0EEENS1_30default_config_static_selectorELNS0_4arch9wavefront6targetE1EEEvT1_,"axG",@progbits,_ZN7rocprim17ROCPRIM_400000_NS6detail17trampoline_kernelINS0_14default_configENS1_27scan_by_key_config_selectorIj11FixedVectorIiLj4EEEEZZNS1_16scan_by_key_implILNS1_25lookback_scan_determinismE0ELb1ES3_N6thrust23THRUST_200600_302600_NS6detail15normal_iteratorINSB_10device_ptrIjEEEENSD_INSE_IS6_EEEESI_S6_NSB_4plusIvEENSB_8equal_toIvEES6_EE10hipError_tPvRmT2_T3_T4_T5_mT6_T7_P12ihipStream_tbENKUlT_T0_E_clISt17integral_constantIbLb0EES13_EEDaSY_SZ_EUlSY_E_NS1_11comp_targetILNS1_3genE4ELNS1_11target_archE910ELNS1_3gpuE8ELNS1_3repE0EEENS1_30default_config_static_selectorELNS0_4arch9wavefront6targetE1EEEvT1_,comdat
	.protected	_ZN7rocprim17ROCPRIM_400000_NS6detail17trampoline_kernelINS0_14default_configENS1_27scan_by_key_config_selectorIj11FixedVectorIiLj4EEEEZZNS1_16scan_by_key_implILNS1_25lookback_scan_determinismE0ELb1ES3_N6thrust23THRUST_200600_302600_NS6detail15normal_iteratorINSB_10device_ptrIjEEEENSD_INSE_IS6_EEEESI_S6_NSB_4plusIvEENSB_8equal_toIvEES6_EE10hipError_tPvRmT2_T3_T4_T5_mT6_T7_P12ihipStream_tbENKUlT_T0_E_clISt17integral_constantIbLb0EES13_EEDaSY_SZ_EUlSY_E_NS1_11comp_targetILNS1_3genE4ELNS1_11target_archE910ELNS1_3gpuE8ELNS1_3repE0EEENS1_30default_config_static_selectorELNS0_4arch9wavefront6targetE1EEEvT1_ ; -- Begin function _ZN7rocprim17ROCPRIM_400000_NS6detail17trampoline_kernelINS0_14default_configENS1_27scan_by_key_config_selectorIj11FixedVectorIiLj4EEEEZZNS1_16scan_by_key_implILNS1_25lookback_scan_determinismE0ELb1ES3_N6thrust23THRUST_200600_302600_NS6detail15normal_iteratorINSB_10device_ptrIjEEEENSD_INSE_IS6_EEEESI_S6_NSB_4plusIvEENSB_8equal_toIvEES6_EE10hipError_tPvRmT2_T3_T4_T5_mT6_T7_P12ihipStream_tbENKUlT_T0_E_clISt17integral_constantIbLb0EES13_EEDaSY_SZ_EUlSY_E_NS1_11comp_targetILNS1_3genE4ELNS1_11target_archE910ELNS1_3gpuE8ELNS1_3repE0EEENS1_30default_config_static_selectorELNS0_4arch9wavefront6targetE1EEEvT1_
	.globl	_ZN7rocprim17ROCPRIM_400000_NS6detail17trampoline_kernelINS0_14default_configENS1_27scan_by_key_config_selectorIj11FixedVectorIiLj4EEEEZZNS1_16scan_by_key_implILNS1_25lookback_scan_determinismE0ELb1ES3_N6thrust23THRUST_200600_302600_NS6detail15normal_iteratorINSB_10device_ptrIjEEEENSD_INSE_IS6_EEEESI_S6_NSB_4plusIvEENSB_8equal_toIvEES6_EE10hipError_tPvRmT2_T3_T4_T5_mT6_T7_P12ihipStream_tbENKUlT_T0_E_clISt17integral_constantIbLb0EES13_EEDaSY_SZ_EUlSY_E_NS1_11comp_targetILNS1_3genE4ELNS1_11target_archE910ELNS1_3gpuE8ELNS1_3repE0EEENS1_30default_config_static_selectorELNS0_4arch9wavefront6targetE1EEEvT1_
	.p2align	8
	.type	_ZN7rocprim17ROCPRIM_400000_NS6detail17trampoline_kernelINS0_14default_configENS1_27scan_by_key_config_selectorIj11FixedVectorIiLj4EEEEZZNS1_16scan_by_key_implILNS1_25lookback_scan_determinismE0ELb1ES3_N6thrust23THRUST_200600_302600_NS6detail15normal_iteratorINSB_10device_ptrIjEEEENSD_INSE_IS6_EEEESI_S6_NSB_4plusIvEENSB_8equal_toIvEES6_EE10hipError_tPvRmT2_T3_T4_T5_mT6_T7_P12ihipStream_tbENKUlT_T0_E_clISt17integral_constantIbLb0EES13_EEDaSY_SZ_EUlSY_E_NS1_11comp_targetILNS1_3genE4ELNS1_11target_archE910ELNS1_3gpuE8ELNS1_3repE0EEENS1_30default_config_static_selectorELNS0_4arch9wavefront6targetE1EEEvT1_,@function
_ZN7rocprim17ROCPRIM_400000_NS6detail17trampoline_kernelINS0_14default_configENS1_27scan_by_key_config_selectorIj11FixedVectorIiLj4EEEEZZNS1_16scan_by_key_implILNS1_25lookback_scan_determinismE0ELb1ES3_N6thrust23THRUST_200600_302600_NS6detail15normal_iteratorINSB_10device_ptrIjEEEENSD_INSE_IS6_EEEESI_S6_NSB_4plusIvEENSB_8equal_toIvEES6_EE10hipError_tPvRmT2_T3_T4_T5_mT6_T7_P12ihipStream_tbENKUlT_T0_E_clISt17integral_constantIbLb0EES13_EEDaSY_SZ_EUlSY_E_NS1_11comp_targetILNS1_3genE4ELNS1_11target_archE910ELNS1_3gpuE8ELNS1_3repE0EEENS1_30default_config_static_selectorELNS0_4arch9wavefront6targetE1EEEvT1_: ; @_ZN7rocprim17ROCPRIM_400000_NS6detail17trampoline_kernelINS0_14default_configENS1_27scan_by_key_config_selectorIj11FixedVectorIiLj4EEEEZZNS1_16scan_by_key_implILNS1_25lookback_scan_determinismE0ELb1ES3_N6thrust23THRUST_200600_302600_NS6detail15normal_iteratorINSB_10device_ptrIjEEEENSD_INSE_IS6_EEEESI_S6_NSB_4plusIvEENSB_8equal_toIvEES6_EE10hipError_tPvRmT2_T3_T4_T5_mT6_T7_P12ihipStream_tbENKUlT_T0_E_clISt17integral_constantIbLb0EES13_EEDaSY_SZ_EUlSY_E_NS1_11comp_targetILNS1_3genE4ELNS1_11target_archE910ELNS1_3gpuE8ELNS1_3repE0EEENS1_30default_config_static_selectorELNS0_4arch9wavefront6targetE1EEEvT1_
; %bb.0:
	s_add_u32 flat_scratch_lo, s6, s9
	s_load_dwordx8 s[12:19], s[4:5], 0x0
	s_load_dwordx4 s[28:31], s[4:5], 0x20
	s_load_dwordx8 s[20:27], s[4:5], 0x38
	s_load_dwordx2 s[42:43], s[4:5], 0x58
	s_load_dword s6, s[4:5], 0x60
	s_load_dwordx4 s[36:39], s[4:5], 0x68
	s_addc_u32 flat_scratch_hi, s7, 0
	s_add_u32 s0, s0, s9
	s_addc_u32 s1, s1, 0
	v_mov_b32_e32 v1, 0
	s_mov_b32 s4, 0
	v_mov_b32_e32 v2, 0xd0
	s_waitcnt lgkmcnt(0)
	s_barrier
	buffer_store_dword v1, off, s[0:3], 0 offset:220
	buffer_store_dword v1, off, s[0:3], 0 offset:216
	buffer_store_dword v1, off, s[0:3], 0 offset:212
	buffer_store_dword v1, off, s[0:3], 0 offset:208
	buffer_store_dword v1, off, s[0:3], 0 offset:224
.LBB2078_1:                             ; =>This Inner Loop Header: Depth=1
	v_add_u32_e32 v3, s4, v2
	s_add_i32 s4, s4, 8
	s_cmp_lg_u32 s4, 16
	buffer_store_dword v1, v3, s[0:3], 0 offen offset:4
	buffer_store_dword v1, v3, s[0:3], 0 offen
	s_cbranch_scc1 .LBB2078_1
; %bb.2:
	v_mov_b32_e32 v2, 0xd0
	v_mov_b32_e32 v1, 0
	s_mov_b32 s4, 20
	v_add_u32_e32 v10, 20, v2
	buffer_store_byte v1, off, s[0:3], 0 offset:224
	buffer_store_dword v1, off, s[0:3], 0 offset:240
	buffer_store_dword v1, off, s[0:3], 0 offset:236
	buffer_store_dword v1, off, s[0:3], 0 offset:232
	buffer_store_dword v1, off, s[0:3], 0 offset:228
	buffer_store_dword v1, off, s[0:3], 0 offset:244
.LBB2078_3:                             ; =>This Inner Loop Header: Depth=1
	v_add_u32_e32 v3, s4, v2
	s_add_i32 s4, s4, 8
	s_cmp_lg_u32 s4, 36
	buffer_store_dword v1, v3, s[0:3], 0 offen offset:4
	buffer_store_dword v1, v3, s[0:3], 0 offen
	s_cbranch_scc1 .LBB2078_3
; %bb.4:
	v_mov_b32_e32 v2, 0xd0
	v_mov_b32_e32 v1, 0
	s_mov_b32 s4, 40
	v_add_u32_e32 v11, 40, v2
	buffer_store_byte v1, off, s[0:3], 0 offset:244
	;; [unrolled: 18-line block ×3, first 2 shown]
	buffer_store_dword v1, off, s[0:3], 0 offset:280
	buffer_store_dword v1, off, s[0:3], 0 offset:276
	;; [unrolled: 1-line block ×5, first 2 shown]
.LBB2078_7:                             ; =>This Inner Loop Header: Depth=1
	v_add_u32_e32 v3, s4, v2
	s_add_i32 s4, s4, 8
	s_cmpk_lg_i32 s4, 0x4c
	buffer_store_dword v1, v3, s[0:3], 0 offen offset:4
	buffer_store_dword v1, v3, s[0:3], 0 offen
	s_cbranch_scc1 .LBB2078_7
; %bb.8:
	v_mov_b32_e32 v2, 0xd0
	v_mov_b32_e32 v1, 0
	s_movk_i32 s4, 0x50
	v_add_u32_e32 v13, 0x50, v2
	buffer_store_byte v1, off, s[0:3], 0 offset:284
	buffer_store_dword v1, off, s[0:3], 0 offset:300
	buffer_store_dword v1, off, s[0:3], 0 offset:296
	;; [unrolled: 1-line block ×5, first 2 shown]
.LBB2078_9:                             ; =>This Inner Loop Header: Depth=1
	v_add_u32_e32 v3, s4, v2
	s_add_i32 s4, s4, 8
	s_cmpk_lg_i32 s4, 0x60
	buffer_store_dword v1, v3, s[0:3], 0 offen offset:4
	buffer_store_dword v1, v3, s[0:3], 0 offen
	s_cbranch_scc1 .LBB2078_9
; %bb.10:
	v_mov_b32_e32 v2, s29
	buffer_store_dword v2, off, s[0:3], 0 offset:100
	v_mov_b32_e32 v2, s28
	buffer_store_dword v2, off, s[0:3], 0 offset:96
	;; [unrolled: 2-line block ×3, first 2 shown]
	v_mov_b32_e32 v2, s30
	s_mov_b32 s4, 0
	v_mov_b32_e32 v1, 0
	buffer_store_dword v2, off, s[0:3], 0 offset:104
	v_mov_b32_e32 v2, 0
	buffer_store_byte v1, off, s[0:3], 0 offset:304
.LBB2078_11:                            ; =>This Inner Loop Header: Depth=1
	v_add_u32_e32 v3, s4, v2
	s_add_i32 s4, s4, 8
	s_cmp_lg_u32 s4, 16
	buffer_store_dword v1, v3, s[0:3], 0 offen offset:4
	buffer_store_dword v1, v3, s[0:3], 0 offen
	s_cbranch_scc1 .LBB2078_11
; %bb.12:
	s_mov_b32 s4, 16
	v_mov_b32_e32 v1, 0
	v_mov_b32_e32 v2, 0
.LBB2078_13:                            ; =>This Inner Loop Header: Depth=1
	v_add_u32_e32 v3, s4, v1
	s_add_i32 s4, s4, 8
	s_cmp_lg_u32 s4, 32
	buffer_store_dword v2, v3, s[0:3], 0 offen offset:4
	buffer_store_dword v2, v3, s[0:3], 0 offen
	s_cbranch_scc1 .LBB2078_13
; %bb.14:
	s_mov_b32 s4, 32
	v_mov_b32_e32 v1, 0
	v_mov_b32_e32 v2, 0
	;; [unrolled: 11-line block ×4, first 2 shown]
.LBB2078_19:                            ; =>This Inner Loop Header: Depth=1
	v_add_u32_e32 v3, s4, v1
	s_add_i32 s4, s4, 8
	s_cmpk_lg_i32 s4, 0x50
	buffer_store_dword v2, v3, s[0:3], 0 offen offset:4
	buffer_store_dword v2, v3, s[0:3], 0 offen
	s_cbranch_scc1 .LBB2078_19
; %bb.20:
	s_lshl_b64 s[4:5], s[14:15], 2
	s_add_u32 s9, s12, s4
	s_addc_u32 s10, s13, s5
	s_lshl_b64 s[34:35], s[14:15], 4
	s_add_u32 s11, s16, s34
	s_mul_i32 s5, s43, s6
	s_mul_hi_u32 s7, s42, s6
	s_mul_i32 s4, s8, 0x500
	s_addc_u32 s12, s17, s35
	s_add_i32 s13, s7, s5
	s_mov_b32 s5, 0
	s_mul_i32 s14, s42, s6
	s_lshl_b64 s[6:7], s[4:5], 2
	s_add_u32 s44, s9, s6
	s_addc_u32 s45, s10, s7
	s_lshl_b64 s[40:41], s[4:5], 4
	s_add_u32 s9, s11, s40
	s_addc_u32 s33, s12, s41
	s_add_u32 s4, s14, s8
	s_addc_u32 s5, s13, 0
	s_add_u32 s6, s36, -1
	v_mov_b32_e32 v2, 0
	s_addc_u32 s7, s37, -1
	v_add_u32_e32 v1, 64, v2
	v_add_u32_e32 v6, 48, v2
	;; [unrolled: 1-line block ×4, first 2 shown]
	v_pk_mov_b32 v[2:3], s[6:7], s[6:7] op_sel:[0,1]
	v_cmp_ge_u64_e64 s[4:5], s[4:5], v[2:3]
	s_mov_b64 s[10:11], -1
	s_and_b64 vcc, exec, s[4:5]
	s_mul_i32 s27, s6, 0xfffffb00
	s_cbranch_vccz .LBB2078_48
; %bb.21:
	v_pk_mov_b32 v[2:3], s[44:45], s[44:45] op_sel:[0,1]
	flat_load_dword v2, v[2:3]
	s_add_i32 s48, s27, s26
	v_cmp_gt_u32_e32 vcc, s48, v0
	s_waitcnt vmcnt(0) lgkmcnt(0)
	v_mov_b32_e32 v3, v2
	s_and_saveexec_b64 s[10:11], vcc
	s_cbranch_execz .LBB2078_23
; %bb.22:
	v_lshlrev_b32_e32 v3, 2, v0
	v_mov_b32_e32 v5, s45
	v_add_co_u32_e64 v4, s[6:7], s44, v3
	v_addc_co_u32_e64 v5, s[6:7], 0, v5, s[6:7]
	flat_load_dword v3, v[4:5]
.LBB2078_23:
	s_or_b64 exec, exec, s[10:11]
	v_or_b32_e32 v14, 0x100, v0
	v_cmp_gt_u32_e64 s[6:7], s48, v14
	v_mov_b32_e32 v4, v2
	s_and_saveexec_b64 s[12:13], s[6:7]
	s_cbranch_execz .LBB2078_25
; %bb.24:
	v_lshlrev_b32_e32 v4, 2, v0
	v_mov_b32_e32 v5, s45
	v_add_co_u32_e64 v4, s[10:11], s44, v4
	v_addc_co_u32_e64 v5, s[10:11], 0, v5, s[10:11]
	flat_load_dword v4, v[4:5] offset:1024
.LBB2078_25:
	s_or_b64 exec, exec, s[12:13]
	v_or_b32_e32 v17, 0x200, v0
	v_cmp_gt_u32_e64 s[14:15], s48, v17
	v_mov_b32_e32 v5, v2
	s_and_saveexec_b64 s[12:13], s[14:15]
	s_cbranch_execz .LBB2078_27
; %bb.26:
	v_lshlrev_b32_e32 v5, 2, v0
	v_mov_b32_e32 v9, s45
	v_add_co_u32_e64 v18, s[10:11], s44, v5
	v_addc_co_u32_e64 v19, s[10:11], 0, v9, s[10:11]
	flat_load_dword v5, v[18:19] offset:2048
.LBB2078_27:
	;; [unrolled: 13-line block ×3, first 2 shown]
	s_or_b64 exec, exec, s[16:17]
	v_or_b32_e32 v19, 0x400, v0
	v_cmp_gt_u32_e64 s[12:13], s48, v19
	s_and_saveexec_b64 s[36:37], s[12:13]
	s_cbranch_execz .LBB2078_31
; %bb.30:
	v_lshlrev_b32_e32 v2, 2, v19
	v_mov_b32_e32 v15, s45
	v_add_co_u32_e64 v20, s[16:17], s44, v2
	v_addc_co_u32_e64 v21, s[16:17], 0, v15, s[16:17]
	flat_load_dword v2, v[20:21]
.LBB2078_31:
	s_or_b64 exec, exec, s[36:37]
	v_lshlrev_b32_e32 v16, 2, v0
	s_waitcnt vmcnt(0) lgkmcnt(0)
	ds_write2st64_b32 v16, v3, v4 offset1:4
	ds_write2st64_b32 v16, v5, v9 offset0:8 offset1:12
	ds_write_b32 v16, v2 offset:4096
	v_pk_mov_b32 v[2:3], s[44:45], s[44:45] op_sel:[0,1]
	s_waitcnt lgkmcnt(0)
	s_barrier
	flat_load_dword v9, v[2:3]
	v_lshl_add_u32 v2, v0, 4, v16
	ds_read_b32 v15, v2
	ds_read2_b32 v[4:5], v2 offset0:1 offset1:2
	ds_read2_b32 v[2:3], v2 offset0:3 offset1:4
	s_movk_i32 s16, 0xff
	v_cmp_ne_u32_e64 s[16:17], s16, v0
	s_waitcnt lgkmcnt(0)
	ds_write_b32 v16, v15 offset:6144
	s_waitcnt lgkmcnt(0)
	s_barrier
	s_and_saveexec_b64 s[36:37], s[16:17]
	s_cbranch_execz .LBB2078_33
; %bb.32:
	s_waitcnt vmcnt(0)
	ds_read_b32 v9, v16 offset:6148
.LBB2078_33:
	s_or_b64 exec, exec, s[36:37]
	s_waitcnt lgkmcnt(0)
	s_barrier
	s_and_saveexec_b64 s[16:17], vcc
	s_cbranch_execnz .LBB2078_518
; %bb.34:
	s_or_b64 exec, exec, s[16:17]
	s_and_saveexec_b64 s[16:17], s[6:7]
	s_cbranch_execnz .LBB2078_519
.LBB2078_35:
	s_or_b64 exec, exec, s[16:17]
	s_and_saveexec_b64 s[6:7], s[14:15]
	s_cbranch_execnz .LBB2078_520
.LBB2078_36:
	s_or_b64 exec, exec, s[6:7]
	s_and_saveexec_b64 s[6:7], s[10:11]
	s_cbranch_execnz .LBB2078_521
.LBB2078_37:
	s_or_b64 exec, exec, s[6:7]
	v_mul_u32_u24_e32 v14, 5, v0
	s_and_saveexec_b64 s[6:7], s[12:13]
	s_cbranch_execz .LBB2078_39
.LBB2078_38:
	v_lshlrev_b32_e32 v17, 4, v19
	v_mov_b32_e32 v19, s33
	v_add_co_u32_e32 v18, vcc, s9, v17
	v_addc_co_u32_e32 v19, vcc, 0, v19, vcc
	flat_load_dwordx4 v[18:21], v[18:19]
	s_waitcnt vmcnt(0) lgkmcnt(0)
	buffer_store_dword v19, off, s[0:3], 0 offset:68
	buffer_store_dword v18, off, s[0:3], 0 offset:64
	;; [unrolled: 1-line block ×4, first 2 shown]
.LBB2078_39:
	s_or_b64 exec, exec, s[6:7]
	buffer_load_dword v18, off, s[0:3], 0
	buffer_load_dword v19, off, s[0:3], 0 offset:4
	buffer_load_dword v20, off, s[0:3], 0 offset:8
	;; [unrolled: 1-line block ×3, first 2 shown]
	buffer_load_dword v22, v8, s[0:3], 0 offen
	buffer_load_dword v23, v8, s[0:3], 0 offen offset:4
	buffer_load_dword v24, v8, s[0:3], 0 offen offset:8
	buffer_load_dword v25, v8, s[0:3], 0 offen offset:12
	buffer_load_dword v26, v7, s[0:3], 0 offen
	buffer_load_dword v27, v7, s[0:3], 0 offen offset:4
	buffer_load_dword v28, v7, s[0:3], 0 offen offset:8
	buffer_load_dword v29, v7, s[0:3], 0 offen offset:12
	;; [unrolled: 4-line block ×4, first 2 shown]
	v_mad_u32_u24 v16, v0, 12, v16
	v_lshl_add_u32 v38, v0, 6, v16
	v_cmp_gt_u32_e32 vcc, s48, v14
	s_mov_b64 s[10:11], 0
	s_mov_b64 s[14:15], 0
                                        ; implicit-def: $sgpr6_sgpr7
	s_waitcnt vmcnt(0)
	ds_write_b128 v16, v[18:21]
	ds_write_b128 v16, v[22:25] offset:4096
	ds_write_b128 v16, v[26:29] offset:8192
	;; [unrolled: 1-line block ×4, first 2 shown]
	s_waitcnt lgkmcnt(0)
	s_barrier
	ds_read_b128 v[16:19], v38
	ds_read_b128 v[20:23], v38 offset:16
	ds_read_b128 v[24:27], v38 offset:32
	;; [unrolled: 1-line block ×4, first 2 shown]
	s_waitcnt lgkmcnt(4)
	buffer_store_dword v19, off, s[0:3], 0 offset:12
	buffer_store_dword v18, off, s[0:3], 0 offset:8
	;; [unrolled: 1-line block ×3, first 2 shown]
	buffer_store_dword v16, off, s[0:3], 0
	s_waitcnt lgkmcnt(3)
	buffer_store_dword v23, v8, s[0:3], 0 offen offset:12
	buffer_store_dword v22, v8, s[0:3], 0 offen offset:8
	buffer_store_dword v21, v8, s[0:3], 0 offen offset:4
	buffer_store_dword v20, v8, s[0:3], 0 offen
	s_waitcnt lgkmcnt(2)
	buffer_store_dword v27, v7, s[0:3], 0 offen offset:12
	buffer_store_dword v26, v7, s[0:3], 0 offen offset:8
	buffer_store_dword v25, v7, s[0:3], 0 offen offset:4
	buffer_store_dword v24, v7, s[0:3], 0 offen
	;; [unrolled: 5-line block ×4, first 2 shown]
	s_and_saveexec_b64 s[12:13], vcc
	s_cbranch_execz .LBB2078_47
; %bb.40:
	v_cmp_ne_u32_e32 vcc, v15, v4
	v_mov_b32_e32 v15, 0x60
	v_mov_b32_e32 v17, 0
	v_cndmask_b32_e32 v17, v17, v15, vcc
	buffer_load_dword v18, v17, s[0:3], 0 offen offset:12
	buffer_load_dword v19, v17, s[0:3], 0 offen offset:8
	;; [unrolled: 1-line block ×3, first 2 shown]
	buffer_load_dword v21, v17, s[0:3], 0 offen
                                        ; kill: killed $vgpr17
	v_add_u32_e32 v17, 1, v14
	v_cndmask_b32_e64 v16, 0, 1, vcc
	v_cmp_gt_u32_e32 vcc, s48, v17
	s_mov_b64 s[16:17], 0
	buffer_store_byte v16, off, s[0:3], 0 offset:224
                                        ; implicit-def: $sgpr36_sgpr37
	s_waitcnt vmcnt(4)
	buffer_store_dword v18, off, s[0:3], 0 offset:220
	s_waitcnt vmcnt(4)
	buffer_store_dword v19, off, s[0:3], 0 offset:216
	;; [unrolled: 2-line block ×4, first 2 shown]
	s_and_saveexec_b64 s[14:15], vcc
	s_cbranch_execz .LBB2078_46
; %bb.41:
	v_cmp_ne_u32_e32 vcc, v4, v5
	v_cndmask_b32_e32 v15, v8, v15, vcc
	buffer_load_dword v16, v15, s[0:3], 0 offen offset:12
	buffer_load_dword v17, v15, s[0:3], 0 offen offset:8
	;; [unrolled: 1-line block ×3, first 2 shown]
	buffer_load_dword v19, v15, s[0:3], 0 offen
                                        ; kill: killed $vgpr15
	v_add_u32_e32 v15, 2, v14
	v_cndmask_b32_e64 v4, 0, 1, vcc
	v_cmp_gt_u32_e32 vcc, s48, v15
	s_mov_b64 s[6:7], 0
	buffer_store_byte v4, off, s[0:3], 0 offset:244
                                        ; implicit-def: $sgpr36_sgpr37
	s_waitcnt vmcnt(4)
	buffer_store_dword v16, v10, s[0:3], 0 offen offset:12
	s_waitcnt vmcnt(4)
	buffer_store_dword v17, v10, s[0:3], 0 offen offset:8
	;; [unrolled: 2-line block ×3, first 2 shown]
	s_waitcnt vmcnt(4)
	buffer_store_dword v19, v10, s[0:3], 0 offen
	s_and_saveexec_b64 s[16:17], vcc
	s_cbranch_execz .LBB2078_45
; %bb.42:
	v_cmp_ne_u32_e32 vcc, v5, v2
	v_mov_b32_e32 v4, 0x60
	v_cndmask_b32_e32 v15, v7, v4, vcc
	buffer_load_dword v16, v15, s[0:3], 0 offen offset:12
	buffer_load_dword v17, v15, s[0:3], 0 offen offset:8
	;; [unrolled: 1-line block ×3, first 2 shown]
	buffer_load_dword v19, v15, s[0:3], 0 offen
                                        ; kill: killed $vgpr15
	v_add_u32_e32 v15, 3, v14
	v_cndmask_b32_e64 v5, 0, 1, vcc
	v_cmp_gt_u32_e32 vcc, s48, v15
	buffer_store_byte v5, off, s[0:3], 0 offset:264
                                        ; implicit-def: $sgpr46_sgpr47
	s_waitcnt vmcnt(4)
	buffer_store_dword v16, v11, s[0:3], 0 offen offset:12
	s_waitcnt vmcnt(4)
	buffer_store_dword v17, v11, s[0:3], 0 offen offset:8
	;; [unrolled: 2-line block ×3, first 2 shown]
	s_waitcnt vmcnt(4)
	buffer_store_dword v19, v11, s[0:3], 0 offen
	s_and_saveexec_b64 s[36:37], vcc
	s_xor_b64 s[36:37], exec, s[36:37]
	s_cbranch_execz .LBB2078_44
; %bb.43:
	v_cmp_ne_u32_e32 vcc, v2, v3
	v_cndmask_b32_e32 v4, v6, v4, vcc
	buffer_load_dword v5, v4, s[0:3], 0 offen offset:12
	buffer_load_dword v15, v4, s[0:3], 0 offen offset:8
	;; [unrolled: 1-line block ×3, first 2 shown]
	buffer_load_dword v17, v4, s[0:3], 0 offen
	v_cndmask_b32_e64 v2, 0, 1, vcc
	v_cmp_ne_u32_e32 vcc, v3, v9
	v_add_u32_e32 v3, 4, v14
	v_cmp_gt_u32_e64 s[6:7], s48, v3
	s_and_b64 s[46:47], vcc, exec
	s_and_b64 s[6:7], s[6:7], exec
                                        ; kill: killed $vgpr4
	buffer_store_byte v2, off, s[0:3], 0 offset:284
	s_waitcnt vmcnt(4)
	buffer_store_dword v5, v12, s[0:3], 0 offen offset:12
	s_waitcnt vmcnt(4)
	buffer_store_dword v15, v12, s[0:3], 0 offen offset:8
	;; [unrolled: 2-line block ×3, first 2 shown]
	s_waitcnt vmcnt(4)
	buffer_store_dword v17, v12, s[0:3], 0 offen
.LBB2078_44:
	s_or_b64 exec, exec, s[36:37]
	s_and_b64 s[36:37], s[46:47], exec
	s_and_b64 s[6:7], s[6:7], exec
.LBB2078_45:
	s_or_b64 exec, exec, s[16:17]
	s_and_b64 s[36:37], s[36:37], exec
	s_and_b64 s[16:17], s[6:7], exec
.LBB2078_46:
	s_or_b64 exec, exec, s[14:15]
	s_and_b64 s[6:7], s[36:37], exec
	s_and_b64 s[14:15], s[16:17], exec
.LBB2078_47:
	s_or_b64 exec, exec, s[12:13]
	s_and_b64 vcc, exec, s[10:11]
	s_cbranch_vccnz .LBB2078_49
	s_branch .LBB2078_52
.LBB2078_48:
	s_mov_b64 s[14:15], 0
                                        ; implicit-def: $sgpr6_sgpr7
	s_and_b64 vcc, exec, s[10:11]
	s_cbranch_vccz .LBB2078_52
.LBB2078_49:
	v_lshlrev_b32_e32 v14, 2, v0
	v_mov_b32_e32 v3, s45
	v_add_co_u32_e32 v2, vcc, s44, v14
	v_addc_co_u32_e32 v3, vcc, 0, v3, vcc
	v_add_co_u32_e32 v4, vcc, 0x1000, v2
	v_addc_co_u32_e32 v5, vcc, 0, v3, vcc
	flat_load_dword v9, v[2:3]
	flat_load_dword v15, v[2:3] offset:1024
	flat_load_dword v16, v[2:3] offset:2048
	;; [unrolled: 1-line block ×3, first 2 shown]
	flat_load_dword v18, v[4:5]
	v_mov_b32_e32 v2, s44
	v_mov_b32_e32 v3, s45
	v_add_co_u32_e32 v2, vcc, 0x1000, v2
	v_addc_co_u32_e32 v3, vcc, 0, v3, vcc
	s_movk_i32 s6, 0xff
	s_movk_i32 s10, 0x1000
	v_cmp_ne_u32_e32 vcc, s6, v0
	s_waitcnt vmcnt(0) lgkmcnt(0)
	ds_write2st64_b32 v14, v9, v15 offset1:4
	ds_write2st64_b32 v14, v16, v17 offset0:8 offset1:12
	ds_write_b32 v14, v18 offset:4096
	s_waitcnt lgkmcnt(0)
	s_barrier
	flat_load_dword v9, v[2:3] offset:1024
	v_lshl_add_u32 v2, v0, 4, v14
	ds_read_b32 v15, v2
	ds_read2_b32 v[4:5], v2 offset0:1 offset1:2
	ds_read2_b32 v[2:3], v2 offset0:3 offset1:4
	s_waitcnt lgkmcnt(0)
	ds_write_b32 v14, v15 offset:6144
	s_waitcnt lgkmcnt(0)
	s_barrier
	s_and_saveexec_b64 s[6:7], vcc
	s_cbranch_execz .LBB2078_51
; %bb.50:
	s_waitcnt vmcnt(0)
	ds_read_b32 v9, v14 offset:6148
.LBB2078_51:
	s_or_b64 exec, exec, s[6:7]
	v_lshlrev_b32_e32 v16, 4, v0
	v_mov_b32_e32 v17, s33
	v_add_co_u32_e32 v24, vcc, s9, v16
	v_addc_co_u32_e32 v25, vcc, 0, v17, vcc
	s_waitcnt lgkmcnt(0)
	s_barrier
	flat_load_dwordx4 v[16:19], v[24:25]
	v_add_co_u32_e32 v20, vcc, s10, v24
	v_addc_co_u32_e32 v21, vcc, 0, v25, vcc
	s_movk_i32 s6, 0x2000
	v_add_co_u32_e32 v26, vcc, s6, v24
	v_addc_co_u32_e32 v27, vcc, 0, v25, vcc
	s_movk_i32 s6, 0x3000
	v_cmp_ne_u32_e64 s[10:11], v5, v2
	v_cmp_ne_u32_e64 s[12:13], v2, v3
	v_mad_u32_u24 v2, v0, 12, v14
	v_lshl_add_u32 v40, v0, 6, v2
	s_mov_b64 s[14:15], -1
	v_cndmask_b32_e64 v38, 0, 1, s[10:11]
	v_cndmask_b32_e64 v39, 0, 1, s[12:13]
	s_waitcnt vmcnt(0) lgkmcnt(0)
	buffer_store_dword v16, off, s[0:3], 0
	buffer_store_dword v17, off, s[0:3], 0 offset:4
	buffer_store_dword v19, off, s[0:3], 0 offset:12
	;; [unrolled: 1-line block ×3, first 2 shown]
	flat_load_dwordx4 v[20:23], v[20:21]
	s_waitcnt vmcnt(0) lgkmcnt(0)
	buffer_store_dword v21, off, s[0:3], 0 offset:20
	buffer_store_dword v20, off, s[0:3], 0 offset:16
	buffer_store_dword v23, off, s[0:3], 0 offset:28
	buffer_store_dword v22, off, s[0:3], 0 offset:24
	flat_load_dwordx4 v[20:23], v[26:27]
	v_add_co_u32_e32 v26, vcc, s6, v24
	v_addc_co_u32_e32 v27, vcc, 0, v25, vcc
	s_movk_i32 s6, 0x4000
	v_add_co_u32_e32 v32, vcc, s6, v24
	v_addc_co_u32_e32 v33, vcc, 0, v25, vcc
                                        ; kill: killed $vgpr32 killed $vgpr33
	v_cmp_ne_u32_e32 vcc, v15, v4
	v_cmp_ne_u32_e64 s[6:7], v4, v5
	v_mov_b32_e32 v4, 0x60
	v_mov_b32_e32 v5, 0
	v_cndmask_b32_e32 v5, v5, v4, vcc
	v_cndmask_b32_e64 v41, v8, v4, s[6:7]
	v_cndmask_b32_e64 v42, v7, v4, s[10:11]
	v_cndmask_b32_e64 v36, 0, 1, vcc
	v_cndmask_b32_e64 v37, 0, 1, s[6:7]
                                        ; kill: killed $vgpr5
	v_cmp_ne_u32_e64 s[6:7], v3, v9
                                        ; kill: killed $vgpr41
                                        ; kill: killed $vgpr42
	s_waitcnt vmcnt(0) lgkmcnt(0)
	buffer_store_dword v21, off, s[0:3], 0 offset:36
	buffer_store_dword v20, off, s[0:3], 0 offset:32
	;; [unrolled: 1-line block ×4, first 2 shown]
	flat_load_dwordx4 v[20:23], v[26:27]
	s_waitcnt vmcnt(0) lgkmcnt(0)
	buffer_store_dword v21, off, s[0:3], 0 offset:52
	buffer_store_dword v20, off, s[0:3], 0 offset:48
	;; [unrolled: 1-line block ×4, first 2 shown]
	flat_load_dwordx4 v[20:23], v[32:33]
	s_nop 0
	buffer_load_dword v27, v7, s[0:3], 0 offen offset:12
	buffer_load_dword v26, v7, s[0:3], 0 offen offset:8
	;; [unrolled: 1-line block ×3, first 2 shown]
	buffer_load_dword v24, v7, s[0:3], 0 offen
	buffer_load_dword v31, v8, s[0:3], 0 offen offset:12
	buffer_load_dword v30, v8, s[0:3], 0 offen offset:8
	;; [unrolled: 1-line block ×3, first 2 shown]
	buffer_load_dword v28, v8, s[0:3], 0 offen
	s_waitcnt vmcnt(0) lgkmcnt(0)
	buffer_store_dword v21, off, s[0:3], 0 offset:68
	buffer_store_dword v20, off, s[0:3], 0 offset:64
	;; [unrolled: 1-line block ×4, first 2 shown]
	buffer_load_dword v20, v1, s[0:3], 0 offen
	s_nop 0
	buffer_load_dword v35, v6, s[0:3], 0 offen offset:12
	buffer_load_dword v34, v6, s[0:3], 0 offen offset:8
	;; [unrolled: 1-line block ×3, first 2 shown]
	buffer_load_dword v32, v6, s[0:3], 0 offen
	buffer_load_dword v23, v1, s[0:3], 0 offen offset:12
	buffer_load_dword v22, v1, s[0:3], 0 offen offset:8
	;; [unrolled: 1-line block ×3, first 2 shown]
	ds_write_b128 v2, v[16:19]
	ds_write_b128 v2, v[28:31] offset:4096
	ds_write_b128 v2, v[24:27] offset:8192
	s_waitcnt vmcnt(3)
	ds_write_b128 v2, v[32:35] offset:12288
	s_waitcnt vmcnt(0)
	ds_write_b128 v2, v[20:23] offset:16384
	s_waitcnt lgkmcnt(0)
	s_barrier
	ds_read_b128 v[14:17], v40
	ds_read_b128 v[18:21], v40 offset:16
	ds_read_b128 v[22:25], v40 offset:32
	;; [unrolled: 1-line block ×3, first 2 shown]
	s_waitcnt lgkmcnt(3)
	buffer_store_dword v17, off, s[0:3], 0 offset:12
	buffer_store_dword v16, off, s[0:3], 0 offset:8
	;; [unrolled: 1-line block ×3, first 2 shown]
	buffer_store_dword v14, off, s[0:3], 0
	s_waitcnt lgkmcnt(2)
	buffer_store_dword v21, v8, s[0:3], 0 offen offset:12
	buffer_store_dword v20, v8, s[0:3], 0 offen offset:8
	;; [unrolled: 1-line block ×3, first 2 shown]
	buffer_store_dword v18, v8, s[0:3], 0 offen
	s_waitcnt lgkmcnt(1)
	buffer_store_dword v25, v7, s[0:3], 0 offen offset:12
	buffer_store_dword v24, v7, s[0:3], 0 offen offset:8
	;; [unrolled: 1-line block ×3, first 2 shown]
	buffer_store_dword v22, v7, s[0:3], 0 offen
	s_waitcnt lgkmcnt(0)
	buffer_store_dword v29, v6, s[0:3], 0 offen offset:12
	v_cndmask_b32_e64 v2, v6, v4, s[12:13]
	buffer_load_dword v7, v5, s[0:3], 0 offen
	buffer_load_dword v8, v5, s[0:3], 0 offen offset:4
	buffer_load_dword v14, v5, s[0:3], 0 offen offset:8
	buffer_load_dword v15, v5, s[0:3], 0 offen offset:12
	buffer_load_dword v16, v41, s[0:3], 0 offen
	buffer_load_dword v17, v41, s[0:3], 0 offen offset:4
	buffer_load_dword v18, v41, s[0:3], 0 offen offset:8
	buffer_load_dword v19, v41, s[0:3], 0 offen offset:12
	;; [unrolled: 4-line block ×3, first 2 shown]
	s_nop 0
	buffer_store_dword v28, v6, s[0:3], 0 offen offset:8
	buffer_store_dword v27, v6, s[0:3], 0 offen offset:4
	buffer_store_dword v26, v6, s[0:3], 0 offen
	buffer_load_dword v6, v2, s[0:3], 0 offen offset:12
	s_nop 0
	buffer_load_dword v24, v2, s[0:3], 0 offen offset:8
	buffer_load_dword v25, v2, s[0:3], 0 offen offset:4
	buffer_load_dword v26, v2, s[0:3], 0 offen
                                        ; kill: killed $vgpr2
	ds_read_b128 v[2:5], v40 offset:64
	buffer_store_byte v36, off, s[0:3], 0 offset:224
	buffer_store_byte v37, off, s[0:3], 0 offset:244
	;; [unrolled: 1-line block ×4, first 2 shown]
	s_waitcnt lgkmcnt(0)
	buffer_store_dword v5, v1, s[0:3], 0 offen offset:12
	buffer_store_dword v4, v1, s[0:3], 0 offen offset:8
	;; [unrolled: 1-line block ×3, first 2 shown]
	buffer_store_dword v2, v1, s[0:3], 0 offen
	s_waitcnt vmcnt(23)
	buffer_store_dword v15, off, s[0:3], 0 offset:220
	buffer_store_dword v14, off, s[0:3], 0 offset:216
	;; [unrolled: 1-line block ×4, first 2 shown]
	s_waitcnt vmcnt(23)
	buffer_store_dword v19, v10, s[0:3], 0 offen offset:12
	buffer_store_dword v18, v10, s[0:3], 0 offen offset:8
	;; [unrolled: 1-line block ×3, first 2 shown]
	buffer_store_dword v16, v10, s[0:3], 0 offen
	s_waitcnt vmcnt(23)
	buffer_store_dword v23, v11, s[0:3], 0 offen offset:12
	buffer_store_dword v22, v11, s[0:3], 0 offen offset:8
	;; [unrolled: 1-line block ×3, first 2 shown]
	buffer_store_dword v20, v11, s[0:3], 0 offen
	s_waitcnt vmcnt(23)
	buffer_store_dword v6, v12, s[0:3], 0 offen offset:12
	s_waitcnt vmcnt(23)
	buffer_store_dword v24, v12, s[0:3], 0 offen offset:8
	;; [unrolled: 2-line block ×3, first 2 shown]
	s_waitcnt vmcnt(23)
	buffer_store_dword v26, v12, s[0:3], 0 offen
.LBB2078_52:
	s_and_saveexec_b64 s[10:11], s[14:15]
	s_cbranch_execz .LBB2078_54
; %bb.53:
	v_mov_b32_e32 v2, 0x60
	v_cndmask_b32_e64 v1, v1, v2, s[6:7]
	buffer_load_dword v2, v1, s[0:3], 0 offen offset:12
	buffer_load_dword v3, v1, s[0:3], 0 offen offset:8
	;; [unrolled: 1-line block ×3, first 2 shown]
	buffer_load_dword v5, v1, s[0:3], 0 offen
                                        ; kill: killed $vgpr1
	v_cndmask_b32_e64 v1, 0, 1, s[6:7]
	s_waitcnt vmcnt(3)
	buffer_store_dword v2, v13, s[0:3], 0 offen offset:12
	s_waitcnt vmcnt(3)
	buffer_store_dword v3, v13, s[0:3], 0 offen offset:8
	;; [unrolled: 2-line block ×3, first 2 shown]
	s_waitcnt vmcnt(3)
	buffer_store_dword v5, v13, s[0:3], 0 offen
	buffer_store_byte v1, off, s[0:3], 0 offset:304
.LBB2078_54:
	s_or_b64 exec, exec, s[10:11]
	s_cmp_lg_u32 s8, 0
	s_barrier
	s_cbranch_scc0 .LBB2078_357
; %bb.55:
	buffer_load_dword v2, off, s[0:3], 0 offset:220
	buffer_load_dword v3, off, s[0:3], 0 offset:216
	;; [unrolled: 1-line block ×5, first 2 shown]
	buffer_load_ubyte v6, off, s[0:3], 0 offset:244
	s_waitcnt vmcnt(5)
	buffer_store_dword v2, off, s[0:3], 0 offset:188
	s_waitcnt vmcnt(5)
	buffer_store_dword v3, off, s[0:3], 0 offset:184
	;; [unrolled: 2-line block ×5, first 2 shown]
	s_waitcnt vmcnt(5)
	v_cmp_ne_u16_e32 vcc, 0, v6
                                        ; implicit-def: $vgpr4_vgpr5
                                        ; implicit-def: $vgpr2_vgpr3
	s_and_saveexec_b64 s[6:7], vcc
	s_xor_b64 s[6:7], exec, s[6:7]
	s_cbranch_execz .LBB2078_57
; %bb.56:
	buffer_load_dword v2, off, s[0:3], 0 offset:228
	buffer_load_dword v3, off, s[0:3], 0 offset:232
	buffer_load_dword v4, off, s[0:3], 0 offset:236
	buffer_load_dword v5, off, s[0:3], 0 offset:240
.LBB2078_57:
	s_andn2_saveexec_b64 s[6:7], s[6:7]
	s_cbranch_execz .LBB2078_63
; %bb.58:
	s_mov_b32 s9, 0
	s_waitcnt vmcnt(3)
	v_mov_b32_e32 v2, 0
	s_waitcnt vmcnt(2)
	v_mov_b32_e32 v3, 0
	s_waitcnt vmcnt(0)
.LBB2078_59:                            ; =>This Inner Loop Header: Depth=1
	v_add_u32_e32 v4, s9, v2
	s_add_i32 s9, s9, 8
	s_cmp_lg_u32 s9, 16
	buffer_store_dword v3, v4, s[0:3], 0 offen offset:4
	buffer_store_dword v3, v4, s[0:3], 0 offen
	s_cbranch_scc1 .LBB2078_59
; %bb.60:
	s_mov_b32 s9, 0
	v_mov_b32_e32 v2, 0xb0
	v_mov_b32_e32 v3, 0xd0
	;; [unrolled: 1-line block ×3, first 2 shown]
.LBB2078_61:                            ; =>This Inner Loop Header: Depth=1
	v_add_u32_e32 v5, s9, v2
	v_add_u32_e32 v7, s9, v3
	buffer_load_dword v8, v5, s[0:3], 0 offen offset:4
	buffer_load_dword v9, v7, s[0:3], 0 offen offset:20
	buffer_load_dword v14, v5, s[0:3], 0 offen
	buffer_load_dword v15, v7, s[0:3], 0 offen offset:24
	v_add_u32_e32 v5, s9, v4
	s_add_i32 s9, s9, 8
	s_cmp_lg_u32 s9, 16
	s_waitcnt vmcnt(1)
	v_add_u32_e32 v7, v9, v14
	s_waitcnt vmcnt(0)
	v_add_u32_e32 v8, v15, v8
	buffer_store_dword v8, v5, s[0:3], 0 offen offset:4
	buffer_store_dword v7, v5, s[0:3], 0 offen
	s_cbranch_scc1 .LBB2078_61
; %bb.62:
	buffer_load_dword v2, off, s[0:3], 0
	buffer_load_dword v3, off, s[0:3], 0 offset:4
	buffer_load_dword v4, off, s[0:3], 0 offset:8
	buffer_load_dword v5, off, s[0:3], 0 offset:12
.LBB2078_63:
	s_or_b64 exec, exec, s[6:7]
	buffer_load_ubyte v7, off, s[0:3], 0 offset:264
	s_waitcnt vmcnt(3)
	buffer_store_dword v3, off, s[0:3], 0 offset:180
	buffer_store_dword v2, off, s[0:3], 0 offset:176
	s_waitcnt vmcnt(3)
	buffer_store_dword v5, off, s[0:3], 0 offset:188
	buffer_store_dword v4, off, s[0:3], 0 offset:184
                                        ; implicit-def: $vgpr4_vgpr5
                                        ; implicit-def: $vgpr2_vgpr3
	s_waitcnt vmcnt(4)
	v_cmp_ne_u16_e32 vcc, 0, v7
	s_and_saveexec_b64 s[6:7], vcc
	s_xor_b64 s[6:7], exec, s[6:7]
	s_cbranch_execz .LBB2078_65
; %bb.64:
	buffer_load_dword v2, off, s[0:3], 0 offset:248
	buffer_load_dword v3, off, s[0:3], 0 offset:252
	;; [unrolled: 1-line block ×4, first 2 shown]
.LBB2078_65:
	s_andn2_saveexec_b64 s[6:7], s[6:7]
	s_cbranch_execz .LBB2078_71
; %bb.66:
	s_mov_b32 s9, 0
	s_waitcnt vmcnt(3)
	v_mov_b32_e32 v2, 0
	s_waitcnt vmcnt(2)
	v_mov_b32_e32 v3, 0
	s_waitcnt vmcnt(0)
.LBB2078_67:                            ; =>This Inner Loop Header: Depth=1
	v_add_u32_e32 v4, s9, v2
	s_add_i32 s9, s9, 8
	s_cmp_lg_u32 s9, 16
	buffer_store_dword v3, v4, s[0:3], 0 offen offset:4
	buffer_store_dword v3, v4, s[0:3], 0 offen
	s_cbranch_scc1 .LBB2078_67
; %bb.68:
	s_mov_b32 s9, 0
	v_mov_b32_e32 v2, 0xb0
	v_mov_b32_e32 v3, 0xd0
	;; [unrolled: 1-line block ×3, first 2 shown]
.LBB2078_69:                            ; =>This Inner Loop Header: Depth=1
	v_add_u32_e32 v5, s9, v2
	v_add_u32_e32 v8, s9, v3
	buffer_load_dword v9, v5, s[0:3], 0 offen offset:4
	buffer_load_dword v14, v8, s[0:3], 0 offen offset:40
	buffer_load_dword v15, v5, s[0:3], 0 offen
	buffer_load_dword v16, v8, s[0:3], 0 offen offset:44
	v_add_u32_e32 v5, s9, v4
	s_add_i32 s9, s9, 8
	s_cmp_lg_u32 s9, 16
	s_waitcnt vmcnt(1)
	v_add_u32_e32 v8, v14, v15
	s_waitcnt vmcnt(0)
	v_add_u32_e32 v9, v16, v9
	buffer_store_dword v9, v5, s[0:3], 0 offen offset:4
	buffer_store_dword v8, v5, s[0:3], 0 offen
	s_cbranch_scc1 .LBB2078_69
; %bb.70:
	buffer_load_dword v2, off, s[0:3], 0
	buffer_load_dword v3, off, s[0:3], 0 offset:4
	buffer_load_dword v4, off, s[0:3], 0 offset:8
	;; [unrolled: 1-line block ×3, first 2 shown]
.LBB2078_71:
	s_or_b64 exec, exec, s[6:7]
	buffer_load_ubyte v8, off, s[0:3], 0 offset:284
	s_waitcnt vmcnt(3)
	buffer_store_dword v3, off, s[0:3], 0 offset:180
	buffer_store_dword v2, off, s[0:3], 0 offset:176
	s_waitcnt vmcnt(3)
	buffer_store_dword v5, off, s[0:3], 0 offset:188
	buffer_store_dword v4, off, s[0:3], 0 offset:184
                                        ; implicit-def: $vgpr4_vgpr5
                                        ; implicit-def: $vgpr2_vgpr3
	s_waitcnt vmcnt(4)
	v_cmp_ne_u16_e32 vcc, 0, v8
	s_and_saveexec_b64 s[6:7], vcc
	s_xor_b64 s[6:7], exec, s[6:7]
	s_cbranch_execz .LBB2078_73
; %bb.72:
	buffer_load_dword v2, off, s[0:3], 0 offset:268
	buffer_load_dword v3, off, s[0:3], 0 offset:272
	;; [unrolled: 1-line block ×4, first 2 shown]
.LBB2078_73:
	s_andn2_saveexec_b64 s[6:7], s[6:7]
	s_cbranch_execz .LBB2078_79
; %bb.74:
	s_mov_b32 s9, 0
	s_waitcnt vmcnt(3)
	v_mov_b32_e32 v2, 0
	s_waitcnt vmcnt(2)
	v_mov_b32_e32 v3, 0
	s_waitcnt vmcnt(0)
.LBB2078_75:                            ; =>This Inner Loop Header: Depth=1
	v_add_u32_e32 v4, s9, v2
	s_add_i32 s9, s9, 8
	s_cmp_lg_u32 s9, 16
	buffer_store_dword v3, v4, s[0:3], 0 offen offset:4
	buffer_store_dword v3, v4, s[0:3], 0 offen
	s_cbranch_scc1 .LBB2078_75
; %bb.76:
	s_mov_b32 s9, 0
	v_mov_b32_e32 v2, 0xb0
	v_mov_b32_e32 v3, 0xd0
	;; [unrolled: 1-line block ×3, first 2 shown]
.LBB2078_77:                            ; =>This Inner Loop Header: Depth=1
	v_add_u32_e32 v5, s9, v2
	v_add_u32_e32 v9, s9, v3
	buffer_load_dword v14, v5, s[0:3], 0 offen offset:4
	buffer_load_dword v15, v9, s[0:3], 0 offen offset:60
	buffer_load_dword v16, v5, s[0:3], 0 offen
	buffer_load_dword v17, v9, s[0:3], 0 offen offset:64
	v_add_u32_e32 v5, s9, v4
	s_add_i32 s9, s9, 8
	s_cmp_lg_u32 s9, 16
	s_waitcnt vmcnt(1)
	v_add_u32_e32 v9, v15, v16
	s_waitcnt vmcnt(0)
	v_add_u32_e32 v14, v17, v14
	buffer_store_dword v14, v5, s[0:3], 0 offen offset:4
	buffer_store_dword v9, v5, s[0:3], 0 offen
	s_cbranch_scc1 .LBB2078_77
; %bb.78:
	buffer_load_dword v2, off, s[0:3], 0
	buffer_load_dword v3, off, s[0:3], 0 offset:4
	buffer_load_dword v4, off, s[0:3], 0 offset:8
	;; [unrolled: 1-line block ×3, first 2 shown]
.LBB2078_79:
	s_or_b64 exec, exec, s[6:7]
	buffer_load_ubyte v9, off, s[0:3], 0 offset:304
	s_waitcnt vmcnt(3)
	buffer_store_dword v3, off, s[0:3], 0 offset:180
	buffer_store_dword v2, off, s[0:3], 0 offset:176
	s_waitcnt vmcnt(3)
	buffer_store_dword v5, off, s[0:3], 0 offset:188
	buffer_store_dword v4, off, s[0:3], 0 offset:184
                                        ; implicit-def: $vgpr4_vgpr5
                                        ; implicit-def: $vgpr2_vgpr3
	s_waitcnt vmcnt(4)
	v_cmp_ne_u16_e32 vcc, 0, v9
	s_and_saveexec_b64 s[6:7], vcc
	s_xor_b64 s[6:7], exec, s[6:7]
	s_cbranch_execz .LBB2078_81
; %bb.80:
	buffer_load_dword v2, off, s[0:3], 0 offset:288
	buffer_load_dword v3, off, s[0:3], 0 offset:292
	;; [unrolled: 1-line block ×4, first 2 shown]
.LBB2078_81:
	s_andn2_saveexec_b64 s[6:7], s[6:7]
	s_cbranch_execz .LBB2078_87
; %bb.82:
	s_mov_b32 s9, 0
	s_waitcnt vmcnt(3)
	v_mov_b32_e32 v2, 0
	s_waitcnt vmcnt(2)
	v_mov_b32_e32 v3, 0
	s_waitcnt vmcnt(0)
.LBB2078_83:                            ; =>This Inner Loop Header: Depth=1
	v_add_u32_e32 v4, s9, v2
	s_add_i32 s9, s9, 8
	s_cmp_lg_u32 s9, 16
	buffer_store_dword v3, v4, s[0:3], 0 offen offset:4
	buffer_store_dword v3, v4, s[0:3], 0 offen
	s_cbranch_scc1 .LBB2078_83
; %bb.84:
	s_mov_b32 s9, 0
	v_mov_b32_e32 v2, 0xb0
	v_mov_b32_e32 v3, 0xd0
	;; [unrolled: 1-line block ×3, first 2 shown]
.LBB2078_85:                            ; =>This Inner Loop Header: Depth=1
	v_add_u32_e32 v5, s9, v2
	v_add_u32_e32 v14, s9, v3
	buffer_load_dword v15, v5, s[0:3], 0 offen offset:4
	buffer_load_dword v16, v14, s[0:3], 0 offen offset:80
	buffer_load_dword v17, v5, s[0:3], 0 offen
	buffer_load_dword v18, v14, s[0:3], 0 offen offset:84
	v_add_u32_e32 v5, s9, v4
	s_add_i32 s9, s9, 8
	s_cmp_lg_u32 s9, 16
	s_waitcnt vmcnt(1)
	v_add_u32_e32 v14, v16, v17
	s_waitcnt vmcnt(0)
	v_add_u32_e32 v15, v18, v15
	buffer_store_dword v15, v5, s[0:3], 0 offen offset:4
	buffer_store_dword v14, v5, s[0:3], 0 offen
	s_cbranch_scc1 .LBB2078_85
; %bb.86:
	buffer_load_dword v2, off, s[0:3], 0
	buffer_load_dword v3, off, s[0:3], 0 offset:4
	buffer_load_dword v4, off, s[0:3], 0 offset:8
	;; [unrolled: 1-line block ×3, first 2 shown]
.LBB2078_87:
	s_or_b64 exec, exec, s[6:7]
	v_or_b32_e32 v8, v9, v8
	v_or_b32_e32 v7, v8, v7
	v_or_b32_e32 v6, v7, v6
	v_or_b32_e32 v1, v6, v1
	v_and_b32_e32 v1, 1, v1
	buffer_store_byte v1, off, s[0:3], 0 offset:192
	buffer_load_dword v6, off, s[0:3], 0 offset:192
	v_mbcnt_lo_u32_b32 v1, -1, 0
	s_waitcnt vmcnt(5)
	v_mov_b32_dpp v7, v2 row_shr:1 row_mask:0xf bank_mask:0xf
	v_mbcnt_hi_u32_b32 v1, -1, v1
	s_waitcnt vmcnt(4)
	buffer_store_dword v3, off, s[0:3], 0 offset:180
	buffer_store_dword v2, off, s[0:3], 0 offset:176
	s_waitcnt vmcnt(4)
	buffer_store_dword v5, off, s[0:3], 0 offset:188
	buffer_store_dword v4, off, s[0:3], 0 offset:184
	v_mov_b32_dpp v8, v3 row_shr:1 row_mask:0xf bank_mask:0xf
	v_mov_b32_dpp v9, v4 row_shr:1 row_mask:0xf bank_mask:0xf
	;; [unrolled: 1-line block ×3, first 2 shown]
	buffer_store_dword v7, off, s[0:3], 0
	buffer_store_dword v8, off, s[0:3], 0 offset:4
	buffer_store_dword v9, off, s[0:3], 0 offset:8
	;; [unrolled: 1-line block ×3, first 2 shown]
	v_and_b32_e32 v7, 15, v1
	v_cmp_ne_u32_e32 vcc, 0, v7
	s_waitcnt vmcnt(8)
	v_mov_b32_dpp v8, v6 row_shr:1 row_mask:0xf bank_mask:0xf
	buffer_store_dword v8, off, s[0:3], 0 offset:16
	s_and_saveexec_b64 s[6:7], vcc
	s_xor_b64 s[6:7], exec, s[6:7]
	s_cbranch_execz .LBB2078_95
; %bb.88:
	v_mov_b32_e32 v9, 0
	v_cmp_eq_u16_sdwa s[12:13], v6, v9 src0_sel:BYTE_0 src1_sel:DWORD
	s_and_saveexec_b64 s[10:11], s[12:13]
	s_cbranch_execz .LBB2078_94
; %bb.89:
	s_mov_b32 s9, 0
	v_mov_b32_e32 v2, 0x60
.LBB2078_90:                            ; =>This Inner Loop Header: Depth=1
	v_add_u32_e32 v3, s9, v2
	s_add_i32 s9, s9, 8
	s_cmp_lg_u32 s9, 16
	buffer_store_dword v9, v3, s[0:3], 0 offen offset:4
	buffer_store_dword v9, v3, s[0:3], 0 offen
	s_cbranch_scc1 .LBB2078_90
; %bb.91:
	s_mov_b32 s9, 0
	v_mov_b32_e32 v2, 0
	v_mov_b32_e32 v3, 0xb0
	;; [unrolled: 1-line block ×3, first 2 shown]
.LBB2078_92:                            ; =>This Inner Loop Header: Depth=1
	v_add_u32_e32 v5, s9, v2
	v_add_u32_e32 v9, s9, v3
	buffer_load_dword v14, v5, s[0:3], 0 offen offset:4
	buffer_load_dword v15, v9, s[0:3], 0 offen
	buffer_load_dword v16, v5, s[0:3], 0 offen
	buffer_load_dword v17, v9, s[0:3], 0 offen offset:4
                                        ; kill: killed $vgpr5
	v_add_u32_e32 v5, s9, v4
	s_add_i32 s9, s9, 8
	s_cmp_lg_u32 s9, 16
                                        ; kill: killed $vgpr9
	s_waitcnt vmcnt(1)
	v_add_u32_e32 v9, v15, v16
	s_waitcnt vmcnt(0)
	v_add_u32_e32 v14, v17, v14
	buffer_store_dword v14, v5, s[0:3], 0 offen offset:4
	buffer_store_dword v9, v5, s[0:3], 0 offen
	s_cbranch_scc1 .LBB2078_92
; %bb.93:
	buffer_load_dword v2, off, s[0:3], 0 offset:96
	buffer_load_dword v3, off, s[0:3], 0 offset:100
	;; [unrolled: 1-line block ×4, first 2 shown]
.LBB2078_94:
	s_or_b64 exec, exec, s[10:11]
	v_or_b32_e32 v6, v8, v6
	v_and_b32_e32 v6, 1, v6
	buffer_store_byte v6, off, s[0:3], 0 offset:192
	buffer_load_dword v6, off, s[0:3], 0 offset:192
	s_waitcnt vmcnt(4)
	buffer_store_dword v3, off, s[0:3], 0 offset:180
	buffer_store_dword v2, off, s[0:3], 0 offset:176
	s_waitcnt vmcnt(4)
	buffer_store_dword v5, off, s[0:3], 0 offset:188
	buffer_store_dword v4, off, s[0:3], 0 offset:184
.LBB2078_95:
	s_or_b64 exec, exec, s[6:7]
	v_mov_b32_dpp v9, v2 row_shr:2 row_mask:0xf bank_mask:0xf
	s_waitcnt vmcnt(4)
	v_mov_b32_dpp v8, v6 row_shr:2 row_mask:0xf bank_mask:0xf
	v_cmp_lt_u32_e32 vcc, 1, v7
	v_mov_b32_dpp v14, v3 row_shr:2 row_mask:0xf bank_mask:0xf
	v_mov_b32_dpp v15, v4 row_shr:2 row_mask:0xf bank_mask:0xf
	;; [unrolled: 1-line block ×3, first 2 shown]
	buffer_store_dword v9, off, s[0:3], 0
	buffer_store_dword v14, off, s[0:3], 0 offset:4
	buffer_store_dword v15, off, s[0:3], 0 offset:8
	;; [unrolled: 1-line block ×4, first 2 shown]
	s_and_saveexec_b64 s[10:11], vcc
	s_cbranch_execz .LBB2078_103
; %bb.96:
	v_mov_b32_e32 v9, 0
	s_mov_b32 s9, 0
	v_cmp_eq_u16_sdwa s[12:13], v6, v9 src0_sel:BYTE_0 src1_sel:DWORD
	s_and_saveexec_b64 s[6:7], s[12:13]
	s_cbranch_execz .LBB2078_102
; %bb.97:
	v_mov_b32_e32 v2, 0x60
.LBB2078_98:                            ; =>This Inner Loop Header: Depth=1
	v_add_u32_e32 v3, s9, v2
	s_add_i32 s9, s9, 8
	s_cmp_lg_u32 s9, 16
	buffer_store_dword v9, v3, s[0:3], 0 offen offset:4
	buffer_store_dword v9, v3, s[0:3], 0 offen
	s_cbranch_scc1 .LBB2078_98
; %bb.99:
	s_mov_b32 s9, 0
	v_mov_b32_e32 v2, 0
	v_mov_b32_e32 v3, 0xb0
	;; [unrolled: 1-line block ×3, first 2 shown]
.LBB2078_100:                           ; =>This Inner Loop Header: Depth=1
	v_add_u32_e32 v5, s9, v2
	v_add_u32_e32 v9, s9, v3
	buffer_load_dword v14, v5, s[0:3], 0 offen offset:4
	buffer_load_dword v15, v9, s[0:3], 0 offen
	buffer_load_dword v16, v5, s[0:3], 0 offen
	buffer_load_dword v17, v9, s[0:3], 0 offen offset:4
                                        ; kill: killed $vgpr5
	v_add_u32_e32 v5, s9, v4
	s_add_i32 s9, s9, 8
	s_cmp_lg_u32 s9, 16
                                        ; kill: killed $vgpr9
	s_waitcnt vmcnt(1)
	v_add_u32_e32 v9, v15, v16
	s_waitcnt vmcnt(0)
	v_add_u32_e32 v14, v17, v14
	buffer_store_dword v14, v5, s[0:3], 0 offen offset:4
	buffer_store_dword v9, v5, s[0:3], 0 offen
	s_cbranch_scc1 .LBB2078_100
; %bb.101:
	buffer_load_dword v2, off, s[0:3], 0 offset:96
	buffer_load_dword v3, off, s[0:3], 0 offset:100
	;; [unrolled: 1-line block ×4, first 2 shown]
.LBB2078_102:
	s_or_b64 exec, exec, s[6:7]
	v_and_b32_e32 v6, 1, v6
	v_cmp_eq_u32_e32 vcc, 1, v6
	v_and_b32_e32 v6, 1, v8
	v_cmp_eq_u32_e64 s[6:7], 1, v6
	s_or_b64 s[6:7], vcc, s[6:7]
	v_cndmask_b32_e64 v6, 0, 1, s[6:7]
	buffer_store_byte v6, off, s[0:3], 0 offset:192
	buffer_load_dword v6, off, s[0:3], 0 offset:192
	s_waitcnt vmcnt(4)
	buffer_store_dword v3, off, s[0:3], 0 offset:180
	buffer_store_dword v2, off, s[0:3], 0 offset:176
	s_waitcnt vmcnt(4)
	buffer_store_dword v5, off, s[0:3], 0 offset:188
	buffer_store_dword v4, off, s[0:3], 0 offset:184
.LBB2078_103:
	s_or_b64 exec, exec, s[10:11]
	v_mov_b32_dpp v9, v2 row_shr:4 row_mask:0xf bank_mask:0xf
	s_waitcnt vmcnt(4)
	v_mov_b32_dpp v8, v6 row_shr:4 row_mask:0xf bank_mask:0xf
	v_cmp_lt_u32_e32 vcc, 3, v7
	v_mov_b32_dpp v14, v3 row_shr:4 row_mask:0xf bank_mask:0xf
	v_mov_b32_dpp v15, v4 row_shr:4 row_mask:0xf bank_mask:0xf
	;; [unrolled: 1-line block ×3, first 2 shown]
	buffer_store_dword v9, off, s[0:3], 0
	buffer_store_dword v14, off, s[0:3], 0 offset:4
	buffer_store_dword v15, off, s[0:3], 0 offset:8
	;; [unrolled: 1-line block ×4, first 2 shown]
	s_and_saveexec_b64 s[10:11], vcc
	s_cbranch_execz .LBB2078_111
; %bb.104:
	v_mov_b32_e32 v9, 0
	s_mov_b32 s9, 0
	v_cmp_eq_u16_sdwa s[12:13], v6, v9 src0_sel:BYTE_0 src1_sel:DWORD
	s_and_saveexec_b64 s[6:7], s[12:13]
	s_cbranch_execz .LBB2078_110
; %bb.105:
	v_mov_b32_e32 v2, 0x60
.LBB2078_106:                           ; =>This Inner Loop Header: Depth=1
	v_add_u32_e32 v3, s9, v2
	s_add_i32 s9, s9, 8
	s_cmp_lg_u32 s9, 16
	buffer_store_dword v9, v3, s[0:3], 0 offen offset:4
	buffer_store_dword v9, v3, s[0:3], 0 offen
	s_cbranch_scc1 .LBB2078_106
; %bb.107:
	s_mov_b32 s9, 0
	v_mov_b32_e32 v2, 0
	v_mov_b32_e32 v3, 0xb0
	;; [unrolled: 1-line block ×3, first 2 shown]
.LBB2078_108:                           ; =>This Inner Loop Header: Depth=1
	v_add_u32_e32 v5, s9, v2
	v_add_u32_e32 v9, s9, v3
	buffer_load_dword v14, v5, s[0:3], 0 offen offset:4
	buffer_load_dword v15, v9, s[0:3], 0 offen
	buffer_load_dword v16, v5, s[0:3], 0 offen
	buffer_load_dword v17, v9, s[0:3], 0 offen offset:4
                                        ; kill: killed $vgpr5
	v_add_u32_e32 v5, s9, v4
	s_add_i32 s9, s9, 8
	s_cmp_lg_u32 s9, 16
                                        ; kill: killed $vgpr9
	s_waitcnt vmcnt(1)
	v_add_u32_e32 v9, v15, v16
	s_waitcnt vmcnt(0)
	v_add_u32_e32 v14, v17, v14
	buffer_store_dword v14, v5, s[0:3], 0 offen offset:4
	buffer_store_dword v9, v5, s[0:3], 0 offen
	s_cbranch_scc1 .LBB2078_108
; %bb.109:
	buffer_load_dword v2, off, s[0:3], 0 offset:96
	buffer_load_dword v3, off, s[0:3], 0 offset:100
	;; [unrolled: 1-line block ×4, first 2 shown]
.LBB2078_110:
	s_or_b64 exec, exec, s[6:7]
	v_and_b32_e32 v6, 1, v6
	v_cmp_eq_u32_e32 vcc, 1, v6
	v_and_b32_e32 v6, 1, v8
	v_cmp_eq_u32_e64 s[6:7], 1, v6
	s_or_b64 s[6:7], vcc, s[6:7]
	v_cndmask_b32_e64 v6, 0, 1, s[6:7]
	buffer_store_byte v6, off, s[0:3], 0 offset:192
	buffer_load_dword v6, off, s[0:3], 0 offset:192
	s_waitcnt vmcnt(4)
	buffer_store_dword v3, off, s[0:3], 0 offset:180
	buffer_store_dword v2, off, s[0:3], 0 offset:176
	s_waitcnt vmcnt(4)
	buffer_store_dword v5, off, s[0:3], 0 offset:188
	buffer_store_dword v4, off, s[0:3], 0 offset:184
.LBB2078_111:
	s_or_b64 exec, exec, s[10:11]
	v_mov_b32_dpp v9, v2 row_shr:8 row_mask:0xf bank_mask:0xf
	s_waitcnt vmcnt(4)
	v_mov_b32_dpp v8, v6 row_shr:8 row_mask:0xf bank_mask:0xf
	v_cmp_lt_u32_e32 vcc, 7, v7
	v_mov_b32_dpp v14, v3 row_shr:8 row_mask:0xf bank_mask:0xf
	v_mov_b32_dpp v15, v4 row_shr:8 row_mask:0xf bank_mask:0xf
	;; [unrolled: 1-line block ×3, first 2 shown]
	buffer_store_dword v9, off, s[0:3], 0
	buffer_store_dword v14, off, s[0:3], 0 offset:4
	buffer_store_dword v15, off, s[0:3], 0 offset:8
	;; [unrolled: 1-line block ×4, first 2 shown]
	s_and_saveexec_b64 s[10:11], vcc
	s_cbranch_execz .LBB2078_119
; %bb.112:
	v_mov_b32_e32 v7, 0
	s_mov_b32 s9, 0
	v_cmp_eq_u16_sdwa s[12:13], v6, v7 src0_sel:BYTE_0 src1_sel:DWORD
	s_and_saveexec_b64 s[6:7], s[12:13]
	s_cbranch_execz .LBB2078_118
; %bb.113:
	v_mov_b32_e32 v2, 0x60
.LBB2078_114:                           ; =>This Inner Loop Header: Depth=1
	v_add_u32_e32 v3, s9, v2
	s_add_i32 s9, s9, 8
	s_cmp_lg_u32 s9, 16
	buffer_store_dword v7, v3, s[0:3], 0 offen offset:4
	buffer_store_dword v7, v3, s[0:3], 0 offen
	s_cbranch_scc1 .LBB2078_114
; %bb.115:
	s_mov_b32 s9, 0
	v_mov_b32_e32 v2, 0
	v_mov_b32_e32 v3, 0xb0
	v_mov_b32_e32 v4, 0x60
.LBB2078_116:                           ; =>This Inner Loop Header: Depth=1
	v_add_u32_e32 v5, s9, v2
	v_add_u32_e32 v7, s9, v3
	buffer_load_dword v9, v5, s[0:3], 0 offen offset:4
	buffer_load_dword v14, v7, s[0:3], 0 offen
	buffer_load_dword v15, v5, s[0:3], 0 offen
	buffer_load_dword v16, v7, s[0:3], 0 offen offset:4
                                        ; kill: killed $vgpr5
	v_add_u32_e32 v5, s9, v4
	s_add_i32 s9, s9, 8
	s_cmp_lg_u32 s9, 16
                                        ; kill: killed $vgpr7
	s_waitcnt vmcnt(1)
	v_add_u32_e32 v7, v14, v15
	s_waitcnt vmcnt(0)
	v_add_u32_e32 v9, v16, v9
	buffer_store_dword v9, v5, s[0:3], 0 offen offset:4
	buffer_store_dword v7, v5, s[0:3], 0 offen
	s_cbranch_scc1 .LBB2078_116
; %bb.117:
	buffer_load_dword v2, off, s[0:3], 0 offset:96
	buffer_load_dword v3, off, s[0:3], 0 offset:100
	;; [unrolled: 1-line block ×4, first 2 shown]
.LBB2078_118:
	s_or_b64 exec, exec, s[6:7]
	v_and_b32_e32 v6, 1, v6
	v_cmp_eq_u32_e32 vcc, 1, v6
	v_and_b32_e32 v6, 1, v8
	v_cmp_eq_u32_e64 s[6:7], 1, v6
	s_or_b64 s[6:7], vcc, s[6:7]
	v_cndmask_b32_e64 v6, 0, 1, s[6:7]
	buffer_store_byte v6, off, s[0:3], 0 offset:192
	buffer_load_dword v6, off, s[0:3], 0 offset:192
	s_waitcnt vmcnt(4)
	buffer_store_dword v3, off, s[0:3], 0 offset:180
	buffer_store_dword v2, off, s[0:3], 0 offset:176
	s_waitcnt vmcnt(4)
	buffer_store_dword v5, off, s[0:3], 0 offset:188
	buffer_store_dword v4, off, s[0:3], 0 offset:184
.LBB2078_119:
	s_or_b64 exec, exec, s[10:11]
	v_mov_b32_dpp v8, v2 row_bcast:15 row_mask:0xf bank_mask:0xf
	v_mov_b32_dpp v9, v3 row_bcast:15 row_mask:0xf bank_mask:0xf
	;; [unrolled: 1-line block ×4, first 2 shown]
	s_waitcnt vmcnt(4)
	v_mov_b32_dpp v7, v6 row_bcast:15 row_mask:0xf bank_mask:0xf
	buffer_store_dword v8, off, s[0:3], 0
	buffer_store_dword v9, off, s[0:3], 0 offset:4
	buffer_store_dword v14, off, s[0:3], 0 offset:8
	;; [unrolled: 1-line block ×4, first 2 shown]
	v_and_b32_e32 v8, 16, v1
	v_cmp_ne_u32_e32 vcc, 0, v8
	s_and_saveexec_b64 s[10:11], vcc
	s_cbranch_execz .LBB2078_127
; %bb.120:
	v_mov_b32_e32 v8, 0
	s_mov_b32 s9, 0
	v_cmp_eq_u16_sdwa s[12:13], v6, v8 src0_sel:BYTE_0 src1_sel:DWORD
	s_and_saveexec_b64 s[6:7], s[12:13]
	s_cbranch_execz .LBB2078_126
; %bb.121:
	v_mov_b32_e32 v2, 0x60
.LBB2078_122:                           ; =>This Inner Loop Header: Depth=1
	v_add_u32_e32 v3, s9, v2
	s_add_i32 s9, s9, 8
	s_cmp_lg_u32 s9, 16
	buffer_store_dword v8, v3, s[0:3], 0 offen offset:4
	buffer_store_dword v8, v3, s[0:3], 0 offen
	s_cbranch_scc1 .LBB2078_122
; %bb.123:
	s_mov_b32 s9, 0
	v_mov_b32_e32 v2, 0
	v_mov_b32_e32 v3, 0xb0
	;; [unrolled: 1-line block ×3, first 2 shown]
.LBB2078_124:                           ; =>This Inner Loop Header: Depth=1
	v_add_u32_e32 v5, s9, v2
	v_add_u32_e32 v8, s9, v3
	buffer_load_dword v9, v5, s[0:3], 0 offen offset:4
	buffer_load_dword v14, v8, s[0:3], 0 offen
	buffer_load_dword v15, v5, s[0:3], 0 offen
	buffer_load_dword v16, v8, s[0:3], 0 offen offset:4
                                        ; kill: killed $vgpr5
	v_add_u32_e32 v5, s9, v4
	s_add_i32 s9, s9, 8
	s_cmp_lg_u32 s9, 16
                                        ; kill: killed $vgpr8
	s_waitcnt vmcnt(1)
	v_add_u32_e32 v8, v14, v15
	s_waitcnt vmcnt(0)
	v_add_u32_e32 v9, v16, v9
	buffer_store_dword v9, v5, s[0:3], 0 offen offset:4
	buffer_store_dword v8, v5, s[0:3], 0 offen
	s_cbranch_scc1 .LBB2078_124
; %bb.125:
	buffer_load_dword v2, off, s[0:3], 0 offset:96
	buffer_load_dword v3, off, s[0:3], 0 offset:100
	;; [unrolled: 1-line block ×4, first 2 shown]
.LBB2078_126:
	s_or_b64 exec, exec, s[6:7]
	v_and_b32_e32 v6, 1, v6
	v_cmp_eq_u32_e32 vcc, 1, v6
	v_and_b32_e32 v6, 1, v7
	v_cmp_eq_u32_e64 s[6:7], 1, v6
	s_or_b64 s[6:7], vcc, s[6:7]
	v_cndmask_b32_e64 v6, 0, 1, s[6:7]
	buffer_store_byte v6, off, s[0:3], 0 offset:192
	buffer_load_dword v6, off, s[0:3], 0 offset:192
	s_waitcnt vmcnt(4)
	buffer_store_dword v3, off, s[0:3], 0 offset:180
	buffer_store_dword v2, off, s[0:3], 0 offset:176
	s_waitcnt vmcnt(4)
	buffer_store_dword v5, off, s[0:3], 0 offset:188
	buffer_store_dword v4, off, s[0:3], 0 offset:184
.LBB2078_127:
	s_or_b64 exec, exec, s[10:11]
	v_mov_b32_dpp v8, v2 row_bcast:31 row_mask:0xf bank_mask:0xf
	s_waitcnt vmcnt(4)
	v_mov_b32_dpp v7, v6 row_bcast:31 row_mask:0xf bank_mask:0xf
	v_cmp_lt_u32_e32 vcc, 31, v1
	v_mov_b32_dpp v9, v3 row_bcast:31 row_mask:0xf bank_mask:0xf
	v_mov_b32_dpp v14, v4 row_bcast:31 row_mask:0xf bank_mask:0xf
	;; [unrolled: 1-line block ×3, first 2 shown]
	buffer_store_dword v8, off, s[0:3], 0
	buffer_store_dword v9, off, s[0:3], 0 offset:4
	buffer_store_dword v14, off, s[0:3], 0 offset:8
	buffer_store_dword v15, off, s[0:3], 0 offset:12
	buffer_store_dword v7, off, s[0:3], 0 offset:16
	s_and_saveexec_b64 s[10:11], vcc
	s_cbranch_execz .LBB2078_135
; %bb.128:
	v_mov_b32_e32 v8, 0
	s_mov_b32 s9, 0
	v_cmp_eq_u16_sdwa s[12:13], v6, v8 src0_sel:BYTE_0 src1_sel:DWORD
	s_and_saveexec_b64 s[6:7], s[12:13]
	s_cbranch_execz .LBB2078_134
; %bb.129:
	v_mov_b32_e32 v2, 0x60
.LBB2078_130:                           ; =>This Inner Loop Header: Depth=1
	v_add_u32_e32 v3, s9, v2
	s_add_i32 s9, s9, 8
	s_cmp_lg_u32 s9, 16
	buffer_store_dword v8, v3, s[0:3], 0 offen offset:4
	buffer_store_dword v8, v3, s[0:3], 0 offen
	s_cbranch_scc1 .LBB2078_130
; %bb.131:
	s_mov_b32 s9, 0
	v_mov_b32_e32 v2, 0
	v_mov_b32_e32 v3, 0xb0
	;; [unrolled: 1-line block ×3, first 2 shown]
.LBB2078_132:                           ; =>This Inner Loop Header: Depth=1
	v_add_u32_e32 v5, s9, v2
	v_add_u32_e32 v8, s9, v3
	buffer_load_dword v9, v5, s[0:3], 0 offen offset:4
	buffer_load_dword v14, v8, s[0:3], 0 offen
	buffer_load_dword v15, v5, s[0:3], 0 offen
	buffer_load_dword v16, v8, s[0:3], 0 offen offset:4
                                        ; kill: killed $vgpr5
	v_add_u32_e32 v5, s9, v4
	s_add_i32 s9, s9, 8
	s_cmp_lg_u32 s9, 16
                                        ; kill: killed $vgpr8
	s_waitcnt vmcnt(1)
	v_add_u32_e32 v8, v14, v15
	s_waitcnt vmcnt(0)
	v_add_u32_e32 v9, v16, v9
	buffer_store_dword v9, v5, s[0:3], 0 offen offset:4
	buffer_store_dword v8, v5, s[0:3], 0 offen
	s_cbranch_scc1 .LBB2078_132
; %bb.133:
	buffer_load_dword v2, off, s[0:3], 0 offset:96
	buffer_load_dword v3, off, s[0:3], 0 offset:100
	;; [unrolled: 1-line block ×4, first 2 shown]
.LBB2078_134:
	s_or_b64 exec, exec, s[6:7]
	v_and_b32_e32 v6, 1, v6
	v_cmp_eq_u32_e32 vcc, 1, v6
	v_and_b32_e32 v6, 1, v7
	v_cmp_eq_u32_e64 s[6:7], 1, v6
	s_or_b64 s[6:7], vcc, s[6:7]
	v_cndmask_b32_e64 v6, 0, 1, s[6:7]
	s_waitcnt vmcnt(2)
	buffer_store_dword v3, off, s[0:3], 0 offset:180
	buffer_store_dword v2, off, s[0:3], 0 offset:176
	s_waitcnt vmcnt(2)
	buffer_store_dword v5, off, s[0:3], 0 offset:188
	buffer_store_dword v4, off, s[0:3], 0 offset:184
	buffer_store_byte v6, off, s[0:3], 0 offset:192
.LBB2078_135:
	s_or_b64 exec, exec, s[10:11]
	v_or_b32_e32 v8, 63, v0
	v_lshrrev_b32_e32 v7, 6, v0
	v_cmp_eq_u32_e32 vcc, v8, v0
	s_and_saveexec_b64 s[6:7], vcc
	s_cbranch_execz .LBB2078_137
; %bb.136:
	v_mul_u32_u24_e32 v8, 20, v7
	ds_write2_b32 v8, v2, v3 offset1:1
	ds_write2_b32 v8, v4, v5 offset0:2 offset1:3
	ds_write_b8 v8, v6 offset:16
.LBB2078_137:
	s_or_b64 exec, exec, s[6:7]
	v_cmp_gt_u32_e32 vcc, 4, v0
	s_waitcnt lgkmcnt(0)
	s_barrier
	s_and_saveexec_b64 s[10:11], vcc
	s_cbranch_execz .LBB2078_155
; %bb.138:
	v_mul_u32_u24_e32 v6, 20, v0
	ds_read_b32 v8, v6 offset:16
	ds_read2_b32 v[2:3], v6 offset0:2 offset1:3
	ds_read2_b32 v[4:5], v6 offset1:1
	v_and_b32_e32 v9, 3, v1
	v_cmp_ne_u32_e32 vcc, 0, v9
	s_waitcnt lgkmcnt(2)
	v_mov_b32_dpp v14, v8 row_shr:1 row_mask:0xf bank_mask:0xf
	s_waitcnt lgkmcnt(1)
	v_mov_b32_dpp v17, v2 row_shr:1 row_mask:0xf bank_mask:0xf
	;; [unrolled: 2-line block ×3, first 2 shown]
	buffer_store_dword v8, off, s[0:3], 0 offset:112
	buffer_store_dword v3, off, s[0:3], 0 offset:108
	;; [unrolled: 1-line block ×5, first 2 shown]
	v_mov_b32_dpp v16, v5 row_shr:1 row_mask:0xf bank_mask:0xf
	v_mov_b32_dpp v18, v3 row_shr:1 row_mask:0xf bank_mask:0xf
	buffer_store_dword v15, off, s[0:3], 0
	buffer_store_dword v16, off, s[0:3], 0 offset:4
	buffer_store_dword v17, off, s[0:3], 0 offset:8
	;; [unrolled: 1-line block ×4, first 2 shown]
	s_and_saveexec_b64 s[6:7], vcc
	s_cbranch_execz .LBB2078_146
; %bb.139:
	v_mov_b32_e32 v15, 0
	v_cmp_eq_u16_sdwa s[14:15], v8, v15 src0_sel:BYTE_0 src1_sel:DWORD
	s_and_saveexec_b64 s[12:13], s[14:15]
	s_cbranch_execz .LBB2078_145
; %bb.140:
	s_mov_b32 s9, 0
	v_mov_b32_e32 v2, 0x74
.LBB2078_141:                           ; =>This Inner Loop Header: Depth=1
	v_add_u32_e32 v3, s9, v2
	s_add_i32 s9, s9, 8
	s_cmp_lg_u32 s9, 16
	buffer_store_dword v15, v3, s[0:3], 0 offen offset:4
	buffer_store_dword v15, v3, s[0:3], 0 offen
	s_cbranch_scc1 .LBB2078_141
; %bb.142:
	s_mov_b32 s9, 0
	v_mov_b32_e32 v2, 0
	v_mov_b32_e32 v3, 0x60
	;; [unrolled: 1-line block ×3, first 2 shown]
.LBB2078_143:                           ; =>This Inner Loop Header: Depth=1
	v_add_u32_e32 v5, s9, v2
	v_add_u32_e32 v15, s9, v3
	buffer_load_dword v16, v5, s[0:3], 0 offen offset:4
	buffer_load_dword v17, v15, s[0:3], 0 offen
	buffer_load_dword v18, v5, s[0:3], 0 offen
	buffer_load_dword v19, v15, s[0:3], 0 offen offset:4
                                        ; kill: killed $vgpr5
	v_add_u32_e32 v5, s9, v4
	s_add_i32 s9, s9, 8
	s_cmp_lg_u32 s9, 16
                                        ; kill: killed $vgpr15
	s_waitcnt vmcnt(1)
	v_add_u32_e32 v15, v17, v18
	s_waitcnt vmcnt(0)
	v_add_u32_e32 v16, v19, v16
	buffer_store_dword v16, v5, s[0:3], 0 offen offset:4
	buffer_store_dword v15, v5, s[0:3], 0 offen
	s_cbranch_scc1 .LBB2078_143
; %bb.144:
	buffer_load_dword v4, off, s[0:3], 0 offset:116
	buffer_load_dword v5, off, s[0:3], 0 offset:120
	buffer_load_dword v2, off, s[0:3], 0 offset:124
	buffer_load_dword v3, off, s[0:3], 0 offset:128
.LBB2078_145:
	s_or_b64 exec, exec, s[12:13]
	v_or_b32_e32 v8, v14, v8
	v_and_b32_e32 v8, 1, v8
	buffer_store_byte v8, off, s[0:3], 0 offset:112
	buffer_load_dword v8, off, s[0:3], 0 offset:112
	s_waitcnt vmcnt(4)
	buffer_store_dword v5, off, s[0:3], 0 offset:100
	buffer_store_dword v4, off, s[0:3], 0 offset:96
	s_waitcnt vmcnt(4)
	buffer_store_dword v3, off, s[0:3], 0 offset:108
	buffer_store_dword v2, off, s[0:3], 0 offset:104
.LBB2078_146:
	s_or_b64 exec, exec, s[6:7]
	v_mov_b32_dpp v15, v4 row_shr:2 row_mask:0xf bank_mask:0xf
	s_waitcnt vmcnt(4)
	v_mov_b32_dpp v14, v8 row_shr:2 row_mask:0xf bank_mask:0xf
	v_cmp_lt_u32_e32 vcc, 1, v9
	v_mov_b32_dpp v16, v5 row_shr:2 row_mask:0xf bank_mask:0xf
	v_mov_b32_dpp v17, v2 row_shr:2 row_mask:0xf bank_mask:0xf
	;; [unrolled: 1-line block ×3, first 2 shown]
	buffer_store_dword v15, off, s[0:3], 0
	buffer_store_dword v16, off, s[0:3], 0 offset:4
	buffer_store_dword v17, off, s[0:3], 0 offset:8
	;; [unrolled: 1-line block ×4, first 2 shown]
	s_and_saveexec_b64 s[12:13], vcc
	s_cbranch_execz .LBB2078_154
; %bb.147:
	v_mov_b32_e32 v9, 0
	s_mov_b32 s9, 0
	v_cmp_eq_u16_sdwa s[14:15], v8, v9 src0_sel:BYTE_0 src1_sel:DWORD
	s_and_saveexec_b64 s[6:7], s[14:15]
	s_cbranch_execz .LBB2078_153
; %bb.148:
	v_mov_b32_e32 v2, 0x74
.LBB2078_149:                           ; =>This Inner Loop Header: Depth=1
	v_add_u32_e32 v3, s9, v2
	s_add_i32 s9, s9, 8
	s_cmp_lg_u32 s9, 16
	buffer_store_dword v9, v3, s[0:3], 0 offen offset:4
	buffer_store_dword v9, v3, s[0:3], 0 offen
	s_cbranch_scc1 .LBB2078_149
; %bb.150:
	s_mov_b32 s9, 0
	v_mov_b32_e32 v2, 0
	v_mov_b32_e32 v3, 0x60
	;; [unrolled: 1-line block ×3, first 2 shown]
.LBB2078_151:                           ; =>This Inner Loop Header: Depth=1
	v_add_u32_e32 v5, s9, v2
	v_add_u32_e32 v9, s9, v3
	buffer_load_dword v15, v5, s[0:3], 0 offen offset:4
	buffer_load_dword v16, v9, s[0:3], 0 offen
	buffer_load_dword v17, v5, s[0:3], 0 offen
	buffer_load_dword v18, v9, s[0:3], 0 offen offset:4
                                        ; kill: killed $vgpr5
	v_add_u32_e32 v5, s9, v4
	s_add_i32 s9, s9, 8
	s_cmp_lg_u32 s9, 16
                                        ; kill: killed $vgpr9
	s_waitcnt vmcnt(1)
	v_add_u32_e32 v9, v16, v17
	s_waitcnt vmcnt(0)
	v_add_u32_e32 v15, v18, v15
	buffer_store_dword v15, v5, s[0:3], 0 offen offset:4
	buffer_store_dword v9, v5, s[0:3], 0 offen
	s_cbranch_scc1 .LBB2078_151
; %bb.152:
	buffer_load_dword v4, off, s[0:3], 0 offset:116
	buffer_load_dword v5, off, s[0:3], 0 offset:120
	;; [unrolled: 1-line block ×4, first 2 shown]
.LBB2078_153:
	s_or_b64 exec, exec, s[6:7]
	v_and_b32_e32 v8, 1, v8
	v_cmp_eq_u32_e32 vcc, 1, v8
	v_and_b32_e32 v8, 1, v14
	v_cmp_eq_u32_e64 s[6:7], 1, v8
	s_or_b64 s[6:7], vcc, s[6:7]
	v_cndmask_b32_e64 v8, 0, 1, s[6:7]
	s_waitcnt vmcnt(2)
	buffer_store_dword v5, off, s[0:3], 0 offset:100
	buffer_store_dword v4, off, s[0:3], 0 offset:96
	s_waitcnt vmcnt(2)
	buffer_store_dword v3, off, s[0:3], 0 offset:108
	buffer_store_dword v2, off, s[0:3], 0 offset:104
.LBB2078_154:
	s_or_b64 exec, exec, s[12:13]
	buffer_load_dword v2, off, s[0:3], 0 offset:104
	buffer_load_dword v3, off, s[0:3], 0 offset:108
	;; [unrolled: 1-line block ×4, first 2 shown]
	s_waitcnt vmcnt(2)
	ds_write2_b32 v6, v2, v3 offset0:2 offset1:3
	s_waitcnt vmcnt(0)
	ds_write2_b32 v6, v4, v5 offset1:1
	ds_write_b8 v6, v8 offset:16
.LBB2078_155:
	s_or_b64 exec, exec, s[10:11]
	v_mov_b32_e32 v2, 0
	s_mov_b32 s6, 0
	v_mov_b32_e32 v3, 0
	s_waitcnt lgkmcnt(0)
	s_barrier
	buffer_store_dword v2, off, s[0:3], 0 offset:12
	buffer_store_dword v2, off, s[0:3], 0 offset:8
	;; [unrolled: 1-line block ×3, first 2 shown]
	buffer_store_dword v2, off, s[0:3], 0
	buffer_store_dword v2, off, s[0:3], 0 offset:16
.LBB2078_156:                           ; =>This Inner Loop Header: Depth=1
	v_add_u32_e32 v4, s6, v3
	s_add_i32 s6, s6, 8
	s_cmp_lg_u32 s6, 16
	buffer_store_dword v2, v4, s[0:3], 0 offen offset:4
	buffer_store_dword v2, v4, s[0:3], 0 offen
	s_cbranch_scc1 .LBB2078_156
; %bb.157:
	v_cmp_gt_u32_e32 vcc, 64, v0
	v_cmp_lt_u32_e64 s[6:7], 63, v0
                                        ; implicit-def: $vgpr2_vgpr3
                                        ; implicit-def: $vgpr4_vgpr5
                                        ; implicit-def: $vgpr6
	s_and_saveexec_b64 s[10:11], s[6:7]
	s_xor_b64 s[10:11], exec, s[10:11]
	s_cbranch_execz .LBB2078_167
; %bb.158:
	buffer_load_ubyte v8, off, s[0:3], 0 offset:192
	v_not_b32_e32 v2, 19
	v_mad_u32_u24 v4, v7, 20, v2
	ds_read2_b32 v[2:3], v4 offset0:2 offset1:3
	ds_read_u8 v6, v4 offset:16
	ds_read2_b32 v[4:5], v4 offset1:1
	s_waitcnt lgkmcnt(2)
	buffer_store_dword v3, off, s[0:3], 0 offset:12
	buffer_store_dword v2, off, s[0:3], 0 offset:8
	s_waitcnt lgkmcnt(0)
	buffer_store_dword v5, off, s[0:3], 0 offset:4
	buffer_store_dword v4, off, s[0:3], 0
                                        ; implicit-def: $vgpr2_vgpr3
                                        ; implicit-def: $vgpr4_vgpr5
	s_waitcnt vmcnt(4)
	v_cmp_ne_u16_e64 s[6:7], 0, v8
	s_and_saveexec_b64 s[12:13], s[6:7]
	s_xor_b64 s[6:7], exec, s[12:13]
	s_cbranch_execz .LBB2078_160
; %bb.159:
	buffer_load_dword v2, off, s[0:3], 0 offset:176
	buffer_load_dword v3, off, s[0:3], 0 offset:180
	;; [unrolled: 1-line block ×4, first 2 shown]
.LBB2078_160:
	s_andn2_saveexec_b64 s[6:7], s[6:7]
	s_cbranch_execz .LBB2078_166
; %bb.161:
	s_mov_b32 s9, 0
	s_waitcnt vmcnt(3)
	v_mov_b32_e32 v2, 0x60
	s_waitcnt vmcnt(2)
	v_mov_b32_e32 v3, 0
	s_waitcnt vmcnt(0)
.LBB2078_162:                           ; =>This Inner Loop Header: Depth=1
	v_add_u32_e32 v4, s9, v2
	s_add_i32 s9, s9, 8
	s_cmp_lg_u32 s9, 16
	buffer_store_dword v3, v4, s[0:3], 0 offen offset:4
	buffer_store_dword v3, v4, s[0:3], 0 offen
	s_cbranch_scc1 .LBB2078_162
; %bb.163:
	s_mov_b32 s9, 0
	v_mov_b32_e32 v2, 0
	v_mov_b32_e32 v3, 0xb0
	;; [unrolled: 1-line block ×3, first 2 shown]
.LBB2078_164:                           ; =>This Inner Loop Header: Depth=1
	v_add_u32_e32 v5, s9, v2
	v_add_u32_e32 v7, s9, v3
	buffer_load_dword v9, v5, s[0:3], 0 offen offset:4
	buffer_load_dword v14, v7, s[0:3], 0 offen
	buffer_load_dword v15, v5, s[0:3], 0 offen
	buffer_load_dword v16, v7, s[0:3], 0 offen offset:4
                                        ; kill: killed $vgpr5
	v_add_u32_e32 v5, s9, v4
	s_add_i32 s9, s9, 8
	s_cmp_lg_u32 s9, 16
                                        ; kill: killed $vgpr7
	s_waitcnt vmcnt(1)
	v_add_u32_e32 v7, v14, v15
	s_waitcnt vmcnt(0)
	v_add_u32_e32 v9, v16, v9
	buffer_store_dword v9, v5, s[0:3], 0 offen offset:4
	buffer_store_dword v7, v5, s[0:3], 0 offen
	s_cbranch_scc1 .LBB2078_164
; %bb.165:
	buffer_load_dword v2, off, s[0:3], 0 offset:96
	buffer_load_dword v3, off, s[0:3], 0 offset:100
	;; [unrolled: 1-line block ×4, first 2 shown]
.LBB2078_166:
	s_or_b64 exec, exec, s[6:7]
	v_or_b32_e32 v7, v8, v6
	v_and_b32_e32 v7, 1, v7
	buffer_store_byte v7, off, s[0:3], 0 offset:192
.LBB2078_167:
	s_andn2_saveexec_b64 s[6:7], s[10:11]
	s_cbranch_execz .LBB2078_169
; %bb.168:
	buffer_load_dword v2, off, s[0:3], 0 offset:176
	buffer_load_dword v3, off, s[0:3], 0 offset:180
	;; [unrolled: 1-line block ×4, first 2 shown]
	v_mov_b32_e32 v6, 0
.LBB2078_169:
	s_or_b64 exec, exec, s[6:7]
	buffer_load_dword v7, off, s[0:3], 0 offset:192
	v_add_u32_e32 v8, -1, v1
	v_and_b32_e32 v9, 64, v1
	v_cmp_lt_i32_e64 s[6:7], v8, v9
	v_cndmask_b32_e64 v8, v8, v1, s[6:7]
	v_lshlrev_b32_e32 v8, 2, v8
	s_waitcnt vmcnt(4)
	ds_bpermute_b32 v2, v8, v2
	s_waitcnt vmcnt(3)
	ds_bpermute_b32 v3, v8, v3
	s_waitcnt vmcnt(2)
	ds_bpermute_b32 v4, v8, v4
	s_waitcnt vmcnt(1)
	ds_bpermute_b32 v5, v8, v5
	v_cmp_eq_u32_e64 s[6:7], 0, v1
	s_waitcnt vmcnt(0)
	ds_bpermute_b32 v7, v8, v7
	s_waitcnt lgkmcnt(4)
	buffer_store_dword v2, off, s[0:3], 0 offset:176
	s_waitcnt lgkmcnt(3)
	buffer_store_dword v3, off, s[0:3], 0 offset:180
	;; [unrolled: 2-line block ×4, first 2 shown]
	s_waitcnt lgkmcnt(0)
	buffer_store_byte v7, off, s[0:3], 0 offset:192
	s_and_saveexec_b64 s[10:11], s[6:7]
	s_cbranch_execz .LBB2078_171
; %bb.170:
	buffer_load_dword v2, off, s[0:3], 0 offset:12
	buffer_load_dword v3, off, s[0:3], 0 offset:8
	;; [unrolled: 1-line block ×3, first 2 shown]
	buffer_load_dword v5, off, s[0:3], 0
	s_waitcnt vmcnt(3)
	buffer_store_dword v2, off, s[0:3], 0 offset:188
	s_waitcnt vmcnt(3)
	buffer_store_dword v3, off, s[0:3], 0 offset:184
	;; [unrolled: 2-line block ×4, first 2 shown]
	buffer_store_byte v6, off, s[0:3], 0 offset:192
.LBB2078_171:
	s_or_b64 exec, exec, s[10:11]
	s_and_saveexec_b64 s[12:13], vcc
	s_cbranch_execz .LBB2078_312
; %bb.172:
	v_mov_b32_e32 v6, 0
	ds_read2_b32 v[2:3], v6 offset0:15 offset1:16
	ds_read2_b32 v[4:5], v6 offset0:17 offset1:18
	ds_read_b32 v7, v6 offset:76
	s_waitcnt lgkmcnt(2)
	buffer_store_dword v3, off, s[0:3], 0 offset:160
	buffer_store_dword v2, off, s[0:3], 0 offset:156
	s_waitcnt lgkmcnt(1)
	buffer_store_dword v5, off, s[0:3], 0 offset:168
	buffer_store_dword v4, off, s[0:3], 0 offset:164
	s_waitcnt lgkmcnt(0)
	buffer_store_dword v7, off, s[0:3], 0 offset:172
	s_and_saveexec_b64 s[10:11], s[6:7]
	s_cbranch_execz .LBB2078_174
; %bb.173:
	s_add_i32 s9, s8, 64
	s_mul_i32 s14, s9, 20
	s_mul_hi_u32 s15, s9, 20
	s_add_u32 s14, s20, s14
	s_addc_u32 s15, s21, s15
	global_store_dwordx4 v6, v[2:5], s[14:15]
	global_store_byte v6, v7, s[14:15] offset:16
	v_mov_b32_e32 v2, s9
	v_mov_b32_e32 v3, 1
	s_waitcnt vmcnt(0)
	buffer_wbinvl1_vol
	global_store_byte v2, v3, s[24:25]
.LBB2078_174:
	s_or_b64 exec, exec, s[10:11]
	s_mov_b32 s9, 0
	v_mov_b32_e32 v2, 0x88
	buffer_store_dword v6, off, s[0:3], 0 offset:148
	buffer_store_dword v6, off, s[0:3], 0 offset:144
	;; [unrolled: 1-line block ×5, first 2 shown]
.LBB2078_175:                           ; =>This Inner Loop Header: Depth=1
	v_add_u32_e32 v3, s9, v2
	s_add_i32 s9, s9, 8
	s_cmp_lg_u32 s9, 16
	buffer_store_dword v6, v3, s[0:3], 0 offen offset:4
	buffer_store_dword v6, v3, s[0:3], 0 offen
	s_cbranch_scc1 .LBB2078_175
; %bb.176:
	s_mov_b32 s9, 0
	v_mov_b32_e32 v2, 0
	v_mov_b32_e32 v3, 0x60
	buffer_store_byte v2, off, s[0:3], 0 offset:152
	buffer_store_dword v2, off, s[0:3], 0 offset:108
	buffer_store_dword v2, off, s[0:3], 0 offset:104
	;; [unrolled: 1-line block ×5, first 2 shown]
.LBB2078_177:                           ; =>This Inner Loop Header: Depth=1
	v_add_u32_e32 v4, s9, v3
	s_add_i32 s9, s9, 8
	s_cmp_lg_u32 s9, 16
	buffer_store_dword v2, v4, s[0:3], 0 offen offset:4
	buffer_store_dword v2, v4, s[0:3], 0 offen
	s_cbranch_scc1 .LBB2078_177
; %bb.178:
	v_xad_u32 v6, v1, -1, s8
	v_mov_b32_e32 v2, 0
	buffer_store_byte v2, off, s[0:3], 0 offset:112
	v_add_u32_e32 v2, 64, v6
	global_load_ubyte v7, v2, s[24:25] glc
	s_waitcnt vmcnt(0)
	v_cmp_eq_u16_e32 vcc, 0, v7
	s_and_saveexec_b64 s[10:11], vcc
	s_cbranch_execz .LBB2078_182
; %bb.179:
	v_mov_b32_e32 v3, s25
	v_add_co_u32_e32 v4, vcc, s24, v2
	v_addc_co_u32_e32 v5, vcc, 0, v3, vcc
	s_mov_b64 s[14:15], 0
.LBB2078_180:                           ; =>This Inner Loop Header: Depth=1
	global_load_ubyte v7, v[4:5], off glc
	s_waitcnt vmcnt(0)
	v_cmp_ne_u16_e32 vcc, 0, v7
	s_or_b64 s[14:15], vcc, s[14:15]
	s_andn2_b64 exec, exec, s[14:15]
	s_cbranch_execnz .LBB2078_180
; %bb.181:
	s_or_b64 exec, exec, s[14:15]
.LBB2078_182:
	s_or_b64 exec, exec, s[10:11]
	v_mov_b32_e32 v3, s23
	v_mov_b32_e32 v4, s21
	v_cmp_eq_u16_e32 vcc, 1, v7
	v_cndmask_b32_e32 v5, v3, v4, vcc
	v_mov_b32_e32 v3, s22
	v_mov_b32_e32 v4, s20
	v_cndmask_b32_e32 v4, v3, v4, vcc
	v_mad_u64_u32 v[8:9], s[10:11], v2, 20, v[4:5]
	buffer_wbinvl1_vol
	global_load_dwordx4 v[2:5], v[8:9], off
	global_load_ubyte v14, v[8:9], off offset:16
                                        ; kill: killed $vgpr8_vgpr9
	v_mov_b32_e32 v8, 0
	s_mov_b32 s9, 0
	v_mov_b32_e32 v9, 0
	buffer_store_dword v8, off, s[0:3], 0 offset:16
	s_waitcnt vmcnt(2)
	buffer_store_dword v5, off, s[0:3], 0 offset:108
	buffer_store_dword v4, off, s[0:3], 0 offset:104
	;; [unrolled: 1-line block ×4, first 2 shown]
	s_waitcnt vmcnt(5)
	buffer_store_byte v14, off, s[0:3], 0 offset:112
	buffer_store_dword v3, off, s[0:3], 0 offset:140
	buffer_store_dword v2, off, s[0:3], 0 offset:136
	buffer_store_dword v5, off, s[0:3], 0 offset:148
	buffer_store_dword v4, off, s[0:3], 0 offset:144
	buffer_store_byte v14, off, s[0:3], 0 offset:152
.LBB2078_183:                           ; =>This Inner Loop Header: Depth=1
	v_add_u32_e32 v14, s9, v9
	s_add_i32 s9, s9, 8
	s_cmp_lg_u32 s9, 16
	buffer_store_dword v8, v14, s[0:3], 0 offen offset:4
	buffer_store_dword v8, v14, s[0:3], 0 offen
	s_cbranch_scc1 .LBB2078_183
; %bb.184:
	buffer_load_dword v25, off, s[0:3], 0 offset:152
	v_lshlrev_b64 v[8:9], v1, -1
	v_cmp_eq_u16_e32 vcc, 2, v7
	v_and_b32_e32 v14, 63, v1
	v_and_b32_e32 v15, vcc_hi, v9
	v_and_b32_e32 v16, vcc_lo, v8
	v_cmp_ne_u32_e32 vcc, 63, v14
	v_addc_co_u32_e32 v17, vcc, 0, v1, vcc
	v_or_b32_e32 v18, 0x80000000, v15
	v_lshlrev_b32_e32 v15, 2, v17
	v_ffbl_b32_e32 v17, v18
	v_ffbl_b32_e32 v16, v16
	v_add_u32_e32 v17, 32, v17
	ds_bpermute_b32 v18, v15, v2
	v_min_u32_e32 v26, v16, v17
	ds_bpermute_b32 v19, v15, v3
	ds_bpermute_b32 v20, v15, v4
	;; [unrolled: 1-line block ×3, first 2 shown]
	v_cmp_lt_u32_e32 vcc, v14, v26
	s_waitcnt lgkmcnt(3)
	buffer_store_dword v18, off, s[0:3], 0
	s_waitcnt lgkmcnt(2)
	buffer_store_dword v19, off, s[0:3], 0 offset:4
	s_waitcnt lgkmcnt(1)
	buffer_store_dword v20, off, s[0:3], 0 offset:8
	;; [unrolled: 2-line block ×3, first 2 shown]
	s_waitcnt vmcnt(4)
	ds_bpermute_b32 v16, v15, v25
	s_and_saveexec_b64 s[10:11], vcc
	s_cbranch_execz .LBB2078_192
; %bb.185:
	v_mov_b32_e32 v17, 0
	v_cmp_eq_u16_sdwa s[16:17], v25, v17 src0_sel:BYTE_0 src1_sel:DWORD
	s_and_saveexec_b64 s[14:15], s[16:17]
	s_cbranch_execz .LBB2078_191
; %bb.186:
	s_mov_b32 s9, 0
	v_mov_b32_e32 v2, 0x74
.LBB2078_187:                           ; =>This Inner Loop Header: Depth=1
	v_add_u32_e32 v3, s9, v2
	s_add_i32 s9, s9, 8
	s_cmp_lg_u32 s9, 16
	buffer_store_dword v17, v3, s[0:3], 0 offen offset:4
	buffer_store_dword v17, v3, s[0:3], 0 offen
	s_cbranch_scc1 .LBB2078_187
; %bb.188:
	s_mov_b32 s9, 0
	v_mov_b32_e32 v2, 0
	v_mov_b32_e32 v3, 0x88
	v_mov_b32_e32 v4, 0x74
.LBB2078_189:                           ; =>This Inner Loop Header: Depth=1
	v_add_u32_e32 v5, s9, v2
	v_add_u32_e32 v17, s9, v3
	buffer_load_dword v18, v5, s[0:3], 0 offen offset:4
	buffer_load_dword v19, v17, s[0:3], 0 offen
	buffer_load_dword v20, v5, s[0:3], 0 offen
	buffer_load_dword v21, v17, s[0:3], 0 offen offset:4
                                        ; kill: killed $vgpr5
	v_add_u32_e32 v5, s9, v4
	s_add_i32 s9, s9, 8
	s_cmp_lg_u32 s9, 16
                                        ; kill: killed $vgpr17
	s_waitcnt vmcnt(1)
	v_add_u32_e32 v17, v19, v20
	s_waitcnt vmcnt(0)
	v_add_u32_e32 v18, v21, v18
	buffer_store_dword v18, v5, s[0:3], 0 offen offset:4
	buffer_store_dword v17, v5, s[0:3], 0 offen
	s_cbranch_scc1 .LBB2078_189
; %bb.190:
	buffer_load_dword v2, off, s[0:3], 0 offset:116
	buffer_load_dword v3, off, s[0:3], 0 offset:120
	;; [unrolled: 1-line block ×4, first 2 shown]
.LBB2078_191:
	s_or_b64 exec, exec, s[14:15]
	s_waitcnt lgkmcnt(0)
	v_or_b32_e32 v16, v16, v25
	v_and_b32_e32 v16, 1, v16
	buffer_store_byte v16, off, s[0:3], 0 offset:152
	buffer_load_dword v25, off, s[0:3], 0 offset:152
	s_waitcnt vmcnt(4)
	buffer_store_dword v3, off, s[0:3], 0 offset:140
	buffer_store_dword v2, off, s[0:3], 0 offset:136
	s_waitcnt vmcnt(4)
	buffer_store_dword v5, off, s[0:3], 0 offset:148
	buffer_store_dword v4, off, s[0:3], 0 offset:144
.LBB2078_192:
	s_or_b64 exec, exec, s[10:11]
	v_cmp_gt_u32_e32 vcc, 62, v14
	v_cndmask_b32_e64 v17, 0, 1, vcc
	v_lshlrev_b32_e32 v17, 1, v17
	v_add_lshl_u32 v17, v17, v1, 2
	ds_bpermute_b32 v19, v17, v2
	s_waitcnt vmcnt(4)
	ds_bpermute_b32 v18, v17, v25
	ds_bpermute_b32 v20, v17, v3
	;; [unrolled: 1-line block ×3, first 2 shown]
	s_waitcnt lgkmcnt(4)
	v_add_u32_e32 v16, 2, v14
	ds_bpermute_b32 v22, v17, v5
	v_cmp_le_u32_e32 vcc, v16, v26
	s_waitcnt lgkmcnt(4)
	buffer_store_dword v19, off, s[0:3], 0
	s_waitcnt lgkmcnt(2)
	buffer_store_dword v20, off, s[0:3], 0 offset:4
	s_waitcnt lgkmcnt(1)
	buffer_store_dword v21, off, s[0:3], 0 offset:8
	;; [unrolled: 2-line block ×3, first 2 shown]
	s_and_saveexec_b64 s[14:15], vcc
	s_cbranch_execz .LBB2078_200
; %bb.193:
	v_mov_b32_e32 v19, 0
	s_mov_b32 s9, 0
	v_cmp_eq_u16_sdwa s[16:17], v25, v19 src0_sel:BYTE_0 src1_sel:DWORD
	s_and_saveexec_b64 s[10:11], s[16:17]
	s_cbranch_execz .LBB2078_199
; %bb.194:
	v_mov_b32_e32 v2, 0x74
.LBB2078_195:                           ; =>This Inner Loop Header: Depth=1
	v_add_u32_e32 v3, s9, v2
	s_add_i32 s9, s9, 8
	s_cmp_lg_u32 s9, 16
	buffer_store_dword v19, v3, s[0:3], 0 offen offset:4
	buffer_store_dword v19, v3, s[0:3], 0 offen
	s_cbranch_scc1 .LBB2078_195
; %bb.196:
	s_mov_b32 s9, 0
	v_mov_b32_e32 v2, 0
	v_mov_b32_e32 v3, 0x88
	;; [unrolled: 1-line block ×3, first 2 shown]
.LBB2078_197:                           ; =>This Inner Loop Header: Depth=1
	v_add_u32_e32 v5, s9, v2
	v_add_u32_e32 v19, s9, v3
	buffer_load_dword v20, v5, s[0:3], 0 offen offset:4
	buffer_load_dword v21, v19, s[0:3], 0 offen
	buffer_load_dword v22, v5, s[0:3], 0 offen
	buffer_load_dword v23, v19, s[0:3], 0 offen offset:4
                                        ; kill: killed $vgpr5
	v_add_u32_e32 v5, s9, v4
	s_add_i32 s9, s9, 8
	s_cmp_lg_u32 s9, 16
                                        ; kill: killed $vgpr19
	s_waitcnt vmcnt(1)
	v_add_u32_e32 v19, v21, v22
	s_waitcnt vmcnt(0)
	v_add_u32_e32 v20, v23, v20
	buffer_store_dword v20, v5, s[0:3], 0 offen offset:4
	buffer_store_dword v19, v5, s[0:3], 0 offen
	s_cbranch_scc1 .LBB2078_197
; %bb.198:
	buffer_load_dword v2, off, s[0:3], 0 offset:116
	buffer_load_dword v3, off, s[0:3], 0 offset:120
	;; [unrolled: 1-line block ×4, first 2 shown]
.LBB2078_199:
	s_or_b64 exec, exec, s[10:11]
	v_and_b32_e32 v19, 1, v25
	v_and_b32_e32 v18, 1, v18
	v_cmp_eq_u32_e32 vcc, 1, v19
	v_cmp_eq_u32_e64 s[10:11], 1, v18
	s_or_b64 s[10:11], vcc, s[10:11]
	v_cndmask_b32_e64 v18, 0, 1, s[10:11]
	buffer_store_byte v18, off, s[0:3], 0 offset:152
	buffer_load_dword v25, off, s[0:3], 0 offset:152
	s_waitcnt vmcnt(4)
	buffer_store_dword v3, off, s[0:3], 0 offset:140
	buffer_store_dword v2, off, s[0:3], 0 offset:136
	s_waitcnt vmcnt(4)
	buffer_store_dword v5, off, s[0:3], 0 offset:148
	buffer_store_dword v4, off, s[0:3], 0 offset:144
.LBB2078_200:
	s_or_b64 exec, exec, s[14:15]
	v_cmp_gt_u32_e32 vcc, 60, v14
	v_cndmask_b32_e64 v19, 0, 1, vcc
	v_lshlrev_b32_e32 v19, 2, v19
	v_add_lshl_u32 v19, v19, v1, 2
	ds_bpermute_b32 v21, v19, v2
	s_waitcnt vmcnt(4)
	ds_bpermute_b32 v20, v19, v25
	ds_bpermute_b32 v22, v19, v3
	;; [unrolled: 1-line block ×3, first 2 shown]
	v_add_u32_e32 v18, 4, v14
	ds_bpermute_b32 v24, v19, v5
	v_cmp_le_u32_e32 vcc, v18, v26
	s_waitcnt lgkmcnt(4)
	buffer_store_dword v21, off, s[0:3], 0
	s_waitcnt lgkmcnt(2)
	buffer_store_dword v22, off, s[0:3], 0 offset:4
	s_waitcnt lgkmcnt(1)
	buffer_store_dword v23, off, s[0:3], 0 offset:8
	;; [unrolled: 2-line block ×3, first 2 shown]
	s_and_saveexec_b64 s[14:15], vcc
	s_cbranch_execz .LBB2078_208
; %bb.201:
	v_mov_b32_e32 v21, 0
	s_mov_b32 s9, 0
	v_cmp_eq_u16_sdwa s[16:17], v25, v21 src0_sel:BYTE_0 src1_sel:DWORD
	s_and_saveexec_b64 s[10:11], s[16:17]
	s_cbranch_execz .LBB2078_207
; %bb.202:
	v_mov_b32_e32 v2, 0x74
.LBB2078_203:                           ; =>This Inner Loop Header: Depth=1
	v_add_u32_e32 v3, s9, v2
	s_add_i32 s9, s9, 8
	s_cmp_lg_u32 s9, 16
	buffer_store_dword v21, v3, s[0:3], 0 offen offset:4
	buffer_store_dword v21, v3, s[0:3], 0 offen
	s_cbranch_scc1 .LBB2078_203
; %bb.204:
	s_mov_b32 s9, 0
	v_mov_b32_e32 v2, 0
	v_mov_b32_e32 v3, 0x88
	;; [unrolled: 1-line block ×3, first 2 shown]
.LBB2078_205:                           ; =>This Inner Loop Header: Depth=1
	v_add_u32_e32 v5, s9, v2
	v_add_u32_e32 v21, s9, v3
	buffer_load_dword v22, v5, s[0:3], 0 offen offset:4
	buffer_load_dword v23, v21, s[0:3], 0 offen
	buffer_load_dword v24, v5, s[0:3], 0 offen
	buffer_load_dword v27, v21, s[0:3], 0 offen offset:4
                                        ; kill: killed $vgpr5
	v_add_u32_e32 v5, s9, v4
	s_add_i32 s9, s9, 8
	s_cmp_lg_u32 s9, 16
                                        ; kill: killed $vgpr21
	s_waitcnt vmcnt(1)
	v_add_u32_e32 v21, v23, v24
	s_waitcnt vmcnt(0)
	v_add_u32_e32 v22, v27, v22
	buffer_store_dword v22, v5, s[0:3], 0 offen offset:4
	buffer_store_dword v21, v5, s[0:3], 0 offen
	s_cbranch_scc1 .LBB2078_205
; %bb.206:
	buffer_load_dword v2, off, s[0:3], 0 offset:116
	buffer_load_dword v3, off, s[0:3], 0 offset:120
	;; [unrolled: 1-line block ×4, first 2 shown]
.LBB2078_207:
	s_or_b64 exec, exec, s[10:11]
	v_and_b32_e32 v21, 1, v25
	v_and_b32_e32 v20, 1, v20
	v_cmp_eq_u32_e32 vcc, 1, v21
	v_cmp_eq_u32_e64 s[10:11], 1, v20
	s_or_b64 s[10:11], vcc, s[10:11]
	v_cndmask_b32_e64 v20, 0, 1, s[10:11]
	buffer_store_byte v20, off, s[0:3], 0 offset:152
	buffer_load_dword v25, off, s[0:3], 0 offset:152
	s_waitcnt vmcnt(4)
	buffer_store_dword v3, off, s[0:3], 0 offset:140
	buffer_store_dword v2, off, s[0:3], 0 offset:136
	s_waitcnt vmcnt(4)
	buffer_store_dword v5, off, s[0:3], 0 offset:148
	buffer_store_dword v4, off, s[0:3], 0 offset:144
.LBB2078_208:
	s_or_b64 exec, exec, s[14:15]
	v_cmp_gt_u32_e32 vcc, 56, v14
	v_cndmask_b32_e64 v21, 0, 1, vcc
	v_lshlrev_b32_e32 v21, 3, v21
	v_add_lshl_u32 v21, v21, v1, 2
	ds_bpermute_b32 v23, v21, v2
	s_waitcnt vmcnt(4)
	ds_bpermute_b32 v22, v21, v25
	ds_bpermute_b32 v24, v21, v3
	;; [unrolled: 1-line block ×3, first 2 shown]
	v_add_u32_e32 v20, 8, v14
	ds_bpermute_b32 v28, v21, v5
	v_cmp_le_u32_e32 vcc, v20, v26
	s_waitcnt lgkmcnt(4)
	buffer_store_dword v23, off, s[0:3], 0
	s_waitcnt lgkmcnt(2)
	buffer_store_dword v24, off, s[0:3], 0 offset:4
	s_waitcnt lgkmcnt(1)
	buffer_store_dword v27, off, s[0:3], 0 offset:8
	;; [unrolled: 2-line block ×3, first 2 shown]
	s_and_saveexec_b64 s[14:15], vcc
	s_cbranch_execz .LBB2078_216
; %bb.209:
	v_mov_b32_e32 v23, 0
	s_mov_b32 s9, 0
	v_cmp_eq_u16_sdwa s[16:17], v25, v23 src0_sel:BYTE_0 src1_sel:DWORD
	s_and_saveexec_b64 s[10:11], s[16:17]
	s_cbranch_execz .LBB2078_215
; %bb.210:
	v_mov_b32_e32 v2, 0x74
.LBB2078_211:                           ; =>This Inner Loop Header: Depth=1
	v_add_u32_e32 v3, s9, v2
	s_add_i32 s9, s9, 8
	s_cmp_lg_u32 s9, 16
	buffer_store_dword v23, v3, s[0:3], 0 offen offset:4
	buffer_store_dword v23, v3, s[0:3], 0 offen
	s_cbranch_scc1 .LBB2078_211
; %bb.212:
	s_mov_b32 s9, 0
	v_mov_b32_e32 v2, 0
	v_mov_b32_e32 v3, 0x88
	;; [unrolled: 1-line block ×3, first 2 shown]
.LBB2078_213:                           ; =>This Inner Loop Header: Depth=1
	v_add_u32_e32 v5, s9, v2
	v_add_u32_e32 v23, s9, v3
	buffer_load_dword v24, v5, s[0:3], 0 offen offset:4
	buffer_load_dword v27, v23, s[0:3], 0 offen
	buffer_load_dword v28, v5, s[0:3], 0 offen
	buffer_load_dword v29, v23, s[0:3], 0 offen offset:4
                                        ; kill: killed $vgpr5
	v_add_u32_e32 v5, s9, v4
	s_add_i32 s9, s9, 8
	s_cmp_lg_u32 s9, 16
                                        ; kill: killed $vgpr23
	s_waitcnt vmcnt(1)
	v_add_u32_e32 v23, v27, v28
	s_waitcnt vmcnt(0)
	v_add_u32_e32 v24, v29, v24
	buffer_store_dword v24, v5, s[0:3], 0 offen offset:4
	buffer_store_dword v23, v5, s[0:3], 0 offen
	s_cbranch_scc1 .LBB2078_213
; %bb.214:
	buffer_load_dword v2, off, s[0:3], 0 offset:116
	buffer_load_dword v3, off, s[0:3], 0 offset:120
	;; [unrolled: 1-line block ×4, first 2 shown]
.LBB2078_215:
	s_or_b64 exec, exec, s[10:11]
	v_and_b32_e32 v23, 1, v25
	v_and_b32_e32 v22, 1, v22
	v_cmp_eq_u32_e32 vcc, 1, v23
	v_cmp_eq_u32_e64 s[10:11], 1, v22
	s_or_b64 s[10:11], vcc, s[10:11]
	v_cndmask_b32_e64 v22, 0, 1, s[10:11]
	buffer_store_byte v22, off, s[0:3], 0 offset:152
	buffer_load_dword v25, off, s[0:3], 0 offset:152
	s_waitcnt vmcnt(4)
	buffer_store_dword v3, off, s[0:3], 0 offset:140
	buffer_store_dword v2, off, s[0:3], 0 offset:136
	s_waitcnt vmcnt(4)
	buffer_store_dword v5, off, s[0:3], 0 offset:148
	buffer_store_dword v4, off, s[0:3], 0 offset:144
.LBB2078_216:
	s_or_b64 exec, exec, s[14:15]
	v_cmp_gt_u32_e32 vcc, 48, v14
	v_cndmask_b32_e64 v23, 0, 1, vcc
	v_lshlrev_b32_e32 v23, 4, v23
	v_add_lshl_u32 v23, v23, v1, 2
	ds_bpermute_b32 v27, v23, v2
	s_waitcnt vmcnt(4)
	ds_bpermute_b32 v24, v23, v25
	ds_bpermute_b32 v28, v23, v3
	;; [unrolled: 1-line block ×3, first 2 shown]
	v_add_u32_e32 v22, 16, v14
	ds_bpermute_b32 v30, v23, v5
	v_cmp_le_u32_e32 vcc, v22, v26
	s_waitcnt lgkmcnt(4)
	buffer_store_dword v27, off, s[0:3], 0
	s_waitcnt lgkmcnt(2)
	buffer_store_dword v28, off, s[0:3], 0 offset:4
	s_waitcnt lgkmcnt(1)
	buffer_store_dword v29, off, s[0:3], 0 offset:8
	;; [unrolled: 2-line block ×3, first 2 shown]
	s_and_saveexec_b64 s[14:15], vcc
	s_cbranch_execz .LBB2078_224
; %bb.217:
	v_mov_b32_e32 v27, 0
	s_mov_b32 s9, 0
	v_cmp_eq_u16_sdwa s[16:17], v25, v27 src0_sel:BYTE_0 src1_sel:DWORD
	s_and_saveexec_b64 s[10:11], s[16:17]
	s_cbranch_execz .LBB2078_223
; %bb.218:
	v_mov_b32_e32 v2, 0x74
.LBB2078_219:                           ; =>This Inner Loop Header: Depth=1
	v_add_u32_e32 v3, s9, v2
	s_add_i32 s9, s9, 8
	s_cmp_lg_u32 s9, 16
	buffer_store_dword v27, v3, s[0:3], 0 offen offset:4
	buffer_store_dword v27, v3, s[0:3], 0 offen
	s_cbranch_scc1 .LBB2078_219
; %bb.220:
	s_mov_b32 s9, 0
	v_mov_b32_e32 v2, 0
	v_mov_b32_e32 v3, 0x88
	;; [unrolled: 1-line block ×3, first 2 shown]
.LBB2078_221:                           ; =>This Inner Loop Header: Depth=1
	v_add_u32_e32 v5, s9, v2
	v_add_u32_e32 v27, s9, v3
	buffer_load_dword v28, v5, s[0:3], 0 offen offset:4
	buffer_load_dword v29, v27, s[0:3], 0 offen
	buffer_load_dword v30, v5, s[0:3], 0 offen
	buffer_load_dword v31, v27, s[0:3], 0 offen offset:4
                                        ; kill: killed $vgpr5
	v_add_u32_e32 v5, s9, v4
	s_add_i32 s9, s9, 8
	s_cmp_lg_u32 s9, 16
                                        ; kill: killed $vgpr27
	s_waitcnt vmcnt(1)
	v_add_u32_e32 v27, v29, v30
	s_waitcnt vmcnt(0)
	v_add_u32_e32 v28, v31, v28
	buffer_store_dword v28, v5, s[0:3], 0 offen offset:4
	buffer_store_dword v27, v5, s[0:3], 0 offen
	s_cbranch_scc1 .LBB2078_221
; %bb.222:
	buffer_load_dword v2, off, s[0:3], 0 offset:116
	buffer_load_dword v3, off, s[0:3], 0 offset:120
	;; [unrolled: 1-line block ×4, first 2 shown]
.LBB2078_223:
	s_or_b64 exec, exec, s[10:11]
	v_and_b32_e32 v25, 1, v25
	v_and_b32_e32 v24, 1, v24
	v_cmp_eq_u32_e32 vcc, 1, v25
	v_cmp_eq_u32_e64 s[10:11], 1, v24
	s_or_b64 s[10:11], vcc, s[10:11]
	v_cndmask_b32_e64 v24, 0, 1, s[10:11]
	buffer_store_byte v24, off, s[0:3], 0 offset:152
	buffer_load_dword v25, off, s[0:3], 0 offset:152
	s_waitcnt vmcnt(4)
	buffer_store_dword v3, off, s[0:3], 0 offset:140
	buffer_store_dword v2, off, s[0:3], 0 offset:136
	s_waitcnt vmcnt(4)
	buffer_store_dword v5, off, s[0:3], 0 offset:148
	buffer_store_dword v4, off, s[0:3], 0 offset:144
.LBB2078_224:
	s_or_b64 exec, exec, s[14:15]
	v_cmp_gt_u32_e32 vcc, 32, v14
	v_cndmask_b32_e64 v27, 0, 1, vcc
	v_lshlrev_b32_e32 v27, 5, v27
	v_add_lshl_u32 v1, v27, v1, 2
	ds_bpermute_b32 v28, v1, v2
	s_waitcnt vmcnt(4)
	ds_bpermute_b32 v27, v1, v25
	ds_bpermute_b32 v29, v1, v3
	;; [unrolled: 1-line block ×3, first 2 shown]
	v_add_u32_e32 v24, 32, v14
	ds_bpermute_b32 v31, v1, v5
	v_cmp_le_u32_e32 vcc, v24, v26
	s_waitcnt lgkmcnt(4)
	buffer_store_dword v28, off, s[0:3], 0
	s_waitcnt lgkmcnt(2)
	buffer_store_dword v29, off, s[0:3], 0 offset:4
	s_waitcnt lgkmcnt(1)
	buffer_store_dword v30, off, s[0:3], 0 offset:8
	;; [unrolled: 2-line block ×3, first 2 shown]
	s_and_saveexec_b64 s[14:15], vcc
	s_cbranch_execz .LBB2078_232
; %bb.225:
	v_mov_b32_e32 v26, 0
	s_mov_b32 s9, 0
	v_cmp_eq_u16_sdwa s[16:17], v25, v26 src0_sel:BYTE_0 src1_sel:DWORD
	s_and_saveexec_b64 s[10:11], s[16:17]
	s_cbranch_execz .LBB2078_231
; %bb.226:
	v_mov_b32_e32 v2, 0x74
.LBB2078_227:                           ; =>This Inner Loop Header: Depth=1
	v_add_u32_e32 v3, s9, v2
	s_add_i32 s9, s9, 8
	s_cmp_lg_u32 s9, 16
	buffer_store_dword v26, v3, s[0:3], 0 offen offset:4
	buffer_store_dword v26, v3, s[0:3], 0 offen
	s_cbranch_scc1 .LBB2078_227
; %bb.228:
	s_mov_b32 s9, 0
	v_mov_b32_e32 v2, 0
	v_mov_b32_e32 v3, 0x88
	;; [unrolled: 1-line block ×3, first 2 shown]
.LBB2078_229:                           ; =>This Inner Loop Header: Depth=1
	v_add_u32_e32 v5, s9, v2
	v_add_u32_e32 v26, s9, v3
	buffer_load_dword v28, v5, s[0:3], 0 offen offset:4
	buffer_load_dword v29, v26, s[0:3], 0 offen
	buffer_load_dword v30, v5, s[0:3], 0 offen
	buffer_load_dword v31, v26, s[0:3], 0 offen offset:4
                                        ; kill: killed $vgpr5
	v_add_u32_e32 v5, s9, v4
	s_add_i32 s9, s9, 8
	s_cmp_lg_u32 s9, 16
                                        ; kill: killed $vgpr26
	s_waitcnt vmcnt(1)
	v_add_u32_e32 v26, v29, v30
	s_waitcnt vmcnt(0)
	v_add_u32_e32 v28, v31, v28
	buffer_store_dword v28, v5, s[0:3], 0 offen offset:4
	buffer_store_dword v26, v5, s[0:3], 0 offen
	s_cbranch_scc1 .LBB2078_229
; %bb.230:
	buffer_load_dword v2, off, s[0:3], 0 offset:116
	buffer_load_dword v3, off, s[0:3], 0 offset:120
	;; [unrolled: 1-line block ×4, first 2 shown]
.LBB2078_231:
	s_or_b64 exec, exec, s[10:11]
	v_and_b32_e32 v25, 1, v25
	v_cmp_eq_u32_e32 vcc, 1, v25
	v_and_b32_e32 v25, 1, v27
	v_cmp_eq_u32_e64 s[10:11], 1, v25
	s_or_b64 s[10:11], vcc, s[10:11]
	v_cndmask_b32_e64 v25, 0, 1, s[10:11]
	s_waitcnt vmcnt(2)
	buffer_store_dword v3, off, s[0:3], 0 offset:140
	buffer_store_dword v2, off, s[0:3], 0 offset:136
	s_waitcnt vmcnt(2)
	buffer_store_dword v5, off, s[0:3], 0 offset:148
	buffer_store_dword v4, off, s[0:3], 0 offset:144
	buffer_store_byte v25, off, s[0:3], 0 offset:152
.LBB2078_232:
	s_or_b64 exec, exec, s[14:15]
	buffer_load_dword v2, off, s[0:3], 0 offset:148
	buffer_load_dword v3, off, s[0:3], 0 offset:144
	buffer_load_dword v4, off, s[0:3], 0 offset:140
	buffer_load_dword v5, off, s[0:3], 0 offset:136
	buffer_load_dword v31, off, s[0:3], 0 offset:152
	v_mov_b32_e32 v25, 0
	v_mov_b32_e32 v26, 0x60
	;; [unrolled: 1-line block ×6, first 2 shown]
	s_waitcnt vmcnt(4)
	buffer_store_dword v2, off, s[0:3], 0 offset:128
	s_waitcnt vmcnt(4)
	buffer_store_dword v3, off, s[0:3], 0 offset:124
	;; [unrolled: 2-line block ×5, first 2 shown]
	v_mov_b32_e32 v31, 2
	s_branch .LBB2078_234
.LBB2078_233:                           ;   in Loop: Header=BB2078_234 Depth=1
                                        ; implicit-def: $vgpr6
                                        ; implicit-def: $vgpr7
	s_cbranch_execnz .LBB2078_300
.LBB2078_234:                           ; =>This Loop Header: Depth=1
                                        ;     Child Loop BB2078_236 Depth 2
                                        ;     Child Loop BB2078_239 Depth 2
                                        ;     Child Loop BB2078_242 Depth 2
                                        ;     Child Loop BB2078_246 Depth 2
                                        ;     Child Loop BB2078_248 Depth 2
                                        ;     Child Loop BB2078_254 Depth 2
                                        ;     Child Loop BB2078_256 Depth 2
                                        ;     Child Loop BB2078_262 Depth 2
                                        ;     Child Loop BB2078_264 Depth 2
                                        ;     Child Loop BB2078_270 Depth 2
                                        ;     Child Loop BB2078_272 Depth 2
                                        ;     Child Loop BB2078_278 Depth 2
                                        ;     Child Loop BB2078_280 Depth 2
                                        ;     Child Loop BB2078_286 Depth 2
                                        ;     Child Loop BB2078_288 Depth 2
                                        ;     Child Loop BB2078_295 Depth 2
                                        ;     Child Loop BB2078_297 Depth 2
	v_cmp_ne_u16_sdwa s[10:11], v7, v31 src0_sel:BYTE_0 src1_sel:DWORD
	v_cndmask_b32_e64 v2, 0, 1, s[10:11]
	;;#ASMSTART
	;;#ASMEND
	v_cmp_ne_u32_e32 vcc, 0, v2
	s_cmp_lg_u64 vcc, exec
	s_cbranch_scc1 .LBB2078_233
; %bb.235:                              ;   in Loop: Header=BB2078_234 Depth=1
	s_mov_b32 s9, 0
	buffer_store_dword v25, off, s[0:3], 0 offset:108
	buffer_store_dword v25, off, s[0:3], 0 offset:104
	;; [unrolled: 1-line block ×5, first 2 shown]
.LBB2078_236:                           ;   Parent Loop BB2078_234 Depth=1
                                        ; =>  This Inner Loop Header: Depth=2
	v_add_u32_e32 v2, s9, v26
	s_add_i32 s9, s9, 8
	s_cmp_lg_u32 s9, 16
	buffer_store_dword v25, v2, s[0:3], 0 offen offset:4
	buffer_store_dword v25, v2, s[0:3], 0 offen
	s_cbranch_scc1 .LBB2078_236
; %bb.237:                              ;   in Loop: Header=BB2078_234 Depth=1
	buffer_store_byte v25, off, s[0:3], 0 offset:112
	global_load_ubyte v7, v6, s[24:25] glc
	s_waitcnt vmcnt(0)
	v_cmp_eq_u16_e32 vcc, 0, v7
	s_and_saveexec_b64 s[10:11], vcc
	s_cbranch_execz .LBB2078_241
; %bb.238:                              ;   in Loop: Header=BB2078_234 Depth=1
	v_mov_b32_e32 v3, s25
	v_add_co_u32_e32 v2, vcc, s24, v6
	v_addc_co_u32_e32 v3, vcc, 0, v3, vcc
	s_mov_b64 s[14:15], 0
.LBB2078_239:                           ;   Parent Loop BB2078_234 Depth=1
                                        ; =>  This Inner Loop Header: Depth=2
	global_load_ubyte v7, v[2:3], off glc
	s_waitcnt vmcnt(0)
	v_cmp_ne_u16_e32 vcc, 0, v7
	s_or_b64 s[14:15], vcc, s[14:15]
	s_andn2_b64 exec, exec, s[14:15]
	s_cbranch_execnz .LBB2078_239
; %bb.240:                              ;   in Loop: Header=BB2078_234 Depth=1
	s_or_b64 exec, exec, s[14:15]
.LBB2078_241:                           ;   in Loop: Header=BB2078_234 Depth=1
	s_or_b64 exec, exec, s[10:11]
	v_mov_b32_e32 v2, s23
	v_mov_b32_e32 v3, s21
	v_cmp_eq_u16_e32 vcc, 1, v7
	v_cndmask_b32_e32 v3, v2, v3, vcc
	v_mov_b32_e32 v2, s22
	v_mov_b32_e32 v4, s20
	v_cndmask_b32_e32 v2, v2, v4, vcc
	v_mad_u64_u32 v[32:33], s[10:11], v6, 20, v[2:3]
	buffer_wbinvl1_vol
	global_load_dwordx4 v[2:5], v[32:33], off
	global_load_ubyte v34, v[32:33], off offset:16
	s_mov_b32 s9, 0
	buffer_store_dword v25, off, s[0:3], 0 offset:16
	s_waitcnt vmcnt(2)
	buffer_store_dword v5, off, s[0:3], 0 offset:108
	buffer_store_dword v4, off, s[0:3], 0 offset:104
	buffer_store_dword v3, off, s[0:3], 0 offset:100
	buffer_store_dword v2, off, s[0:3], 0 offset:96
	s_waitcnt vmcnt(5)
	buffer_store_byte v34, off, s[0:3], 0 offset:112
	buffer_store_dword v3, off, s[0:3], 0 offset:140
	buffer_store_dword v2, off, s[0:3], 0 offset:136
	;; [unrolled: 1-line block ×4, first 2 shown]
	buffer_store_byte v34, off, s[0:3], 0 offset:152
.LBB2078_242:                           ;   Parent Loop BB2078_234 Depth=1
                                        ; =>  This Inner Loop Header: Depth=2
	v_add_u32_e32 v32, s9, v27
	s_add_i32 s9, s9, 8
	s_cmp_lg_u32 s9, 16
	buffer_store_dword v25, v32, s[0:3], 0 offen offset:4
	buffer_store_dword v25, v32, s[0:3], 0 offen
	s_cbranch_scc1 .LBB2078_242
; %bb.243:                              ;   in Loop: Header=BB2078_234 Depth=1
	buffer_load_dword v33, off, s[0:3], 0 offset:152
	v_cmp_eq_u16_e32 vcc, 2, v7
	v_and_b32_e32 v32, vcc_hi, v9
	v_or_b32_e32 v32, 0x80000000, v32
	v_and_b32_e32 v34, vcc_lo, v8
	v_ffbl_b32_e32 v32, v32
	v_ffbl_b32_e32 v34, v34
	v_add_u32_e32 v32, 32, v32
	ds_bpermute_b32 v35, v15, v2
	v_min_u32_e32 v32, v34, v32
	ds_bpermute_b32 v36, v15, v3
	ds_bpermute_b32 v37, v15, v4
	;; [unrolled: 1-line block ×3, first 2 shown]
	v_cmp_lt_u32_e32 vcc, v14, v32
	s_waitcnt lgkmcnt(3)
	buffer_store_dword v35, off, s[0:3], 0
	s_waitcnt lgkmcnt(2)
	buffer_store_dword v36, off, s[0:3], 0 offset:4
	s_waitcnt lgkmcnt(1)
	buffer_store_dword v37, off, s[0:3], 0 offset:8
	;; [unrolled: 2-line block ×3, first 2 shown]
	s_waitcnt vmcnt(4)
	ds_bpermute_b32 v34, v15, v33
	s_and_saveexec_b64 s[10:11], vcc
	s_cbranch_execz .LBB2078_251
; %bb.244:                              ;   in Loop: Header=BB2078_234 Depth=1
	v_cmp_eq_u16_sdwa s[16:17], v33, v25 src0_sel:BYTE_0 src1_sel:DWORD
	s_and_saveexec_b64 s[14:15], s[16:17]
	s_cbranch_execz .LBB2078_250
; %bb.245:                              ;   in Loop: Header=BB2078_234 Depth=1
	s_mov_b32 s9, 0
.LBB2078_246:                           ;   Parent Loop BB2078_234 Depth=1
                                        ; =>  This Inner Loop Header: Depth=2
	v_add_u32_e32 v2, s9, v28
	s_add_i32 s9, s9, 8
	s_cmp_lg_u32 s9, 16
	buffer_store_dword v25, v2, s[0:3], 0 offen offset:4
	buffer_store_dword v25, v2, s[0:3], 0 offen
	s_cbranch_scc1 .LBB2078_246
; %bb.247:                              ;   in Loop: Header=BB2078_234 Depth=1
	s_mov_b32 s9, 0
.LBB2078_248:                           ;   Parent Loop BB2078_234 Depth=1
                                        ; =>  This Inner Loop Header: Depth=2
	v_add_u32_e32 v2, s9, v27
	v_add_u32_e32 v3, s9, v29
	buffer_load_dword v4, v2, s[0:3], 0 offen offset:4
	buffer_load_dword v5, v3, s[0:3], 0 offen
	buffer_load_dword v35, v2, s[0:3], 0 offen
	buffer_load_dword v36, v3, s[0:3], 0 offen offset:4
	v_add_u32_e32 v2, s9, v28
	s_add_i32 s9, s9, 8
	s_cmp_lg_u32 s9, 16
	s_waitcnt vmcnt(1)
	v_add_u32_e32 v3, v5, v35
	s_waitcnt vmcnt(0)
	v_add_u32_e32 v4, v36, v4
	buffer_store_dword v4, v2, s[0:3], 0 offen offset:4
	buffer_store_dword v3, v2, s[0:3], 0 offen
	s_cbranch_scc1 .LBB2078_248
; %bb.249:                              ;   in Loop: Header=BB2078_234 Depth=1
	buffer_load_dword v2, off, s[0:3], 0 offset:80
	buffer_load_dword v3, off, s[0:3], 0 offset:84
	;; [unrolled: 1-line block ×4, first 2 shown]
.LBB2078_250:                           ;   in Loop: Header=BB2078_234 Depth=1
	s_or_b64 exec, exec, s[14:15]
	s_waitcnt lgkmcnt(0)
	v_or_b32_e32 v33, v34, v33
	v_and_b32_e32 v33, 1, v33
	buffer_store_byte v33, off, s[0:3], 0 offset:152
	buffer_load_dword v33, off, s[0:3], 0 offset:152
	s_waitcnt vmcnt(4)
	buffer_store_dword v3, off, s[0:3], 0 offset:140
	buffer_store_dword v2, off, s[0:3], 0 offset:136
	s_waitcnt vmcnt(4)
	buffer_store_dword v5, off, s[0:3], 0 offset:148
	buffer_store_dword v4, off, s[0:3], 0 offset:144
.LBB2078_251:                           ;   in Loop: Header=BB2078_234 Depth=1
	s_or_b64 exec, exec, s[10:11]
	ds_bpermute_b32 v35, v17, v2
	s_waitcnt vmcnt(4) lgkmcnt(1)
	ds_bpermute_b32 v34, v17, v33
	ds_bpermute_b32 v36, v17, v3
	;; [unrolled: 1-line block ×4, first 2 shown]
	v_cmp_le_u32_e32 vcc, v16, v32
	s_waitcnt lgkmcnt(4)
	buffer_store_dword v35, off, s[0:3], 0
	s_waitcnt lgkmcnt(2)
	buffer_store_dword v36, off, s[0:3], 0 offset:4
	s_waitcnt lgkmcnt(1)
	buffer_store_dword v37, off, s[0:3], 0 offset:8
	;; [unrolled: 2-line block ×3, first 2 shown]
	s_and_saveexec_b64 s[14:15], vcc
	s_cbranch_execz .LBB2078_259
; %bb.252:                              ;   in Loop: Header=BB2078_234 Depth=1
	v_cmp_eq_u16_sdwa s[16:17], v33, v25 src0_sel:BYTE_0 src1_sel:DWORD
	s_and_saveexec_b64 s[10:11], s[16:17]
	s_cbranch_execz .LBB2078_258
; %bb.253:                              ;   in Loop: Header=BB2078_234 Depth=1
	s_mov_b32 s9, 0
.LBB2078_254:                           ;   Parent Loop BB2078_234 Depth=1
                                        ; =>  This Inner Loop Header: Depth=2
	v_add_u32_e32 v2, s9, v28
	s_add_i32 s9, s9, 8
	s_cmp_lg_u32 s9, 16
	buffer_store_dword v25, v2, s[0:3], 0 offen offset:4
	buffer_store_dword v25, v2, s[0:3], 0 offen
	s_cbranch_scc1 .LBB2078_254
; %bb.255:                              ;   in Loop: Header=BB2078_234 Depth=1
	s_mov_b32 s9, 0
.LBB2078_256:                           ;   Parent Loop BB2078_234 Depth=1
                                        ; =>  This Inner Loop Header: Depth=2
	v_add_u32_e32 v2, s9, v27
	v_add_u32_e32 v3, s9, v29
	buffer_load_dword v4, v2, s[0:3], 0 offen offset:4
	buffer_load_dword v5, v3, s[0:3], 0 offen
	buffer_load_dword v35, v2, s[0:3], 0 offen
	buffer_load_dword v36, v3, s[0:3], 0 offen offset:4
	v_add_u32_e32 v2, s9, v28
	s_add_i32 s9, s9, 8
	s_cmp_lg_u32 s9, 16
	s_waitcnt vmcnt(1)
	v_add_u32_e32 v3, v5, v35
	s_waitcnt vmcnt(0)
	v_add_u32_e32 v4, v36, v4
	buffer_store_dword v4, v2, s[0:3], 0 offen offset:4
	buffer_store_dword v3, v2, s[0:3], 0 offen
	s_cbranch_scc1 .LBB2078_256
; %bb.257:                              ;   in Loop: Header=BB2078_234 Depth=1
	buffer_load_dword v2, off, s[0:3], 0 offset:80
	buffer_load_dword v3, off, s[0:3], 0 offset:84
	;; [unrolled: 1-line block ×4, first 2 shown]
.LBB2078_258:                           ;   in Loop: Header=BB2078_234 Depth=1
	s_or_b64 exec, exec, s[10:11]
	v_and_b32_e32 v33, 1, v33
	v_cmp_eq_u32_e32 vcc, 1, v33
	v_and_b32_e32 v33, 1, v34
	v_cmp_eq_u32_e64 s[10:11], 1, v33
	s_or_b64 s[10:11], vcc, s[10:11]
	v_cndmask_b32_e64 v33, 0, 1, s[10:11]
	buffer_store_byte v33, off, s[0:3], 0 offset:152
	buffer_load_dword v33, off, s[0:3], 0 offset:152
	s_waitcnt vmcnt(4)
	buffer_store_dword v3, off, s[0:3], 0 offset:140
	buffer_store_dword v2, off, s[0:3], 0 offset:136
	s_waitcnt vmcnt(4)
	buffer_store_dword v5, off, s[0:3], 0 offset:148
	buffer_store_dword v4, off, s[0:3], 0 offset:144
.LBB2078_259:                           ;   in Loop: Header=BB2078_234 Depth=1
	s_or_b64 exec, exec, s[14:15]
	ds_bpermute_b32 v35, v19, v2
	s_waitcnt vmcnt(4)
	ds_bpermute_b32 v34, v19, v33
	ds_bpermute_b32 v36, v19, v3
	;; [unrolled: 1-line block ×4, first 2 shown]
	v_cmp_le_u32_e32 vcc, v18, v32
	s_waitcnt lgkmcnt(4)
	buffer_store_dword v35, off, s[0:3], 0
	s_waitcnt lgkmcnt(2)
	buffer_store_dword v36, off, s[0:3], 0 offset:4
	s_waitcnt lgkmcnt(1)
	buffer_store_dword v37, off, s[0:3], 0 offset:8
	;; [unrolled: 2-line block ×3, first 2 shown]
	s_and_saveexec_b64 s[14:15], vcc
	s_cbranch_execz .LBB2078_267
; %bb.260:                              ;   in Loop: Header=BB2078_234 Depth=1
	v_cmp_eq_u16_sdwa s[16:17], v33, v25 src0_sel:BYTE_0 src1_sel:DWORD
	s_and_saveexec_b64 s[10:11], s[16:17]
	s_cbranch_execz .LBB2078_266
; %bb.261:                              ;   in Loop: Header=BB2078_234 Depth=1
	s_mov_b32 s9, 0
.LBB2078_262:                           ;   Parent Loop BB2078_234 Depth=1
                                        ; =>  This Inner Loop Header: Depth=2
	v_add_u32_e32 v2, s9, v28
	s_add_i32 s9, s9, 8
	s_cmp_lg_u32 s9, 16
	buffer_store_dword v25, v2, s[0:3], 0 offen offset:4
	buffer_store_dword v25, v2, s[0:3], 0 offen
	s_cbranch_scc1 .LBB2078_262
; %bb.263:                              ;   in Loop: Header=BB2078_234 Depth=1
	s_mov_b32 s9, 0
.LBB2078_264:                           ;   Parent Loop BB2078_234 Depth=1
                                        ; =>  This Inner Loop Header: Depth=2
	v_add_u32_e32 v2, s9, v27
	v_add_u32_e32 v3, s9, v29
	buffer_load_dword v4, v2, s[0:3], 0 offen offset:4
	buffer_load_dword v5, v3, s[0:3], 0 offen
	buffer_load_dword v35, v2, s[0:3], 0 offen
	buffer_load_dword v36, v3, s[0:3], 0 offen offset:4
	v_add_u32_e32 v2, s9, v28
	s_add_i32 s9, s9, 8
	s_cmp_lg_u32 s9, 16
	s_waitcnt vmcnt(1)
	v_add_u32_e32 v3, v5, v35
	s_waitcnt vmcnt(0)
	v_add_u32_e32 v4, v36, v4
	buffer_store_dword v4, v2, s[0:3], 0 offen offset:4
	buffer_store_dword v3, v2, s[0:3], 0 offen
	s_cbranch_scc1 .LBB2078_264
; %bb.265:                              ;   in Loop: Header=BB2078_234 Depth=1
	buffer_load_dword v2, off, s[0:3], 0 offset:80
	buffer_load_dword v3, off, s[0:3], 0 offset:84
	;; [unrolled: 1-line block ×4, first 2 shown]
.LBB2078_266:                           ;   in Loop: Header=BB2078_234 Depth=1
	s_or_b64 exec, exec, s[10:11]
	v_and_b32_e32 v33, 1, v33
	v_cmp_eq_u32_e32 vcc, 1, v33
	v_and_b32_e32 v33, 1, v34
	v_cmp_eq_u32_e64 s[10:11], 1, v33
	s_or_b64 s[10:11], vcc, s[10:11]
	v_cndmask_b32_e64 v33, 0, 1, s[10:11]
	buffer_store_byte v33, off, s[0:3], 0 offset:152
	buffer_load_dword v33, off, s[0:3], 0 offset:152
	s_waitcnt vmcnt(4)
	buffer_store_dword v3, off, s[0:3], 0 offset:140
	buffer_store_dword v2, off, s[0:3], 0 offset:136
	s_waitcnt vmcnt(4)
	buffer_store_dword v5, off, s[0:3], 0 offset:148
	buffer_store_dword v4, off, s[0:3], 0 offset:144
.LBB2078_267:                           ;   in Loop: Header=BB2078_234 Depth=1
	s_or_b64 exec, exec, s[14:15]
	ds_bpermute_b32 v35, v21, v2
	s_waitcnt vmcnt(4)
	ds_bpermute_b32 v34, v21, v33
	ds_bpermute_b32 v36, v21, v3
	ds_bpermute_b32 v37, v21, v4
	ds_bpermute_b32 v38, v21, v5
	v_cmp_le_u32_e32 vcc, v20, v32
	s_waitcnt lgkmcnt(4)
	buffer_store_dword v35, off, s[0:3], 0
	s_waitcnt lgkmcnt(2)
	buffer_store_dword v36, off, s[0:3], 0 offset:4
	s_waitcnt lgkmcnt(1)
	buffer_store_dword v37, off, s[0:3], 0 offset:8
	;; [unrolled: 2-line block ×3, first 2 shown]
	s_and_saveexec_b64 s[14:15], vcc
	s_cbranch_execz .LBB2078_275
; %bb.268:                              ;   in Loop: Header=BB2078_234 Depth=1
	v_cmp_eq_u16_sdwa s[16:17], v33, v25 src0_sel:BYTE_0 src1_sel:DWORD
	s_and_saveexec_b64 s[10:11], s[16:17]
	s_cbranch_execz .LBB2078_274
; %bb.269:                              ;   in Loop: Header=BB2078_234 Depth=1
	s_mov_b32 s9, 0
.LBB2078_270:                           ;   Parent Loop BB2078_234 Depth=1
                                        ; =>  This Inner Loop Header: Depth=2
	v_add_u32_e32 v2, s9, v28
	s_add_i32 s9, s9, 8
	s_cmp_lg_u32 s9, 16
	buffer_store_dword v25, v2, s[0:3], 0 offen offset:4
	buffer_store_dword v25, v2, s[0:3], 0 offen
	s_cbranch_scc1 .LBB2078_270
; %bb.271:                              ;   in Loop: Header=BB2078_234 Depth=1
	s_mov_b32 s9, 0
.LBB2078_272:                           ;   Parent Loop BB2078_234 Depth=1
                                        ; =>  This Inner Loop Header: Depth=2
	v_add_u32_e32 v2, s9, v27
	v_add_u32_e32 v3, s9, v29
	buffer_load_dword v4, v2, s[0:3], 0 offen offset:4
	buffer_load_dword v5, v3, s[0:3], 0 offen
	buffer_load_dword v35, v2, s[0:3], 0 offen
	buffer_load_dword v36, v3, s[0:3], 0 offen offset:4
	v_add_u32_e32 v2, s9, v28
	s_add_i32 s9, s9, 8
	s_cmp_lg_u32 s9, 16
	s_waitcnt vmcnt(1)
	v_add_u32_e32 v3, v5, v35
	s_waitcnt vmcnt(0)
	v_add_u32_e32 v4, v36, v4
	buffer_store_dword v4, v2, s[0:3], 0 offen offset:4
	buffer_store_dword v3, v2, s[0:3], 0 offen
	s_cbranch_scc1 .LBB2078_272
; %bb.273:                              ;   in Loop: Header=BB2078_234 Depth=1
	buffer_load_dword v2, off, s[0:3], 0 offset:80
	buffer_load_dword v3, off, s[0:3], 0 offset:84
	;; [unrolled: 1-line block ×4, first 2 shown]
.LBB2078_274:                           ;   in Loop: Header=BB2078_234 Depth=1
	s_or_b64 exec, exec, s[10:11]
	v_and_b32_e32 v33, 1, v33
	v_cmp_eq_u32_e32 vcc, 1, v33
	v_and_b32_e32 v33, 1, v34
	v_cmp_eq_u32_e64 s[10:11], 1, v33
	s_or_b64 s[10:11], vcc, s[10:11]
	v_cndmask_b32_e64 v33, 0, 1, s[10:11]
	buffer_store_byte v33, off, s[0:3], 0 offset:152
	buffer_load_dword v33, off, s[0:3], 0 offset:152
	s_waitcnt vmcnt(4)
	buffer_store_dword v3, off, s[0:3], 0 offset:140
	buffer_store_dword v2, off, s[0:3], 0 offset:136
	s_waitcnt vmcnt(4)
	buffer_store_dword v5, off, s[0:3], 0 offset:148
	buffer_store_dword v4, off, s[0:3], 0 offset:144
.LBB2078_275:                           ;   in Loop: Header=BB2078_234 Depth=1
	s_or_b64 exec, exec, s[14:15]
	ds_bpermute_b32 v35, v23, v2
	s_waitcnt vmcnt(4)
	ds_bpermute_b32 v34, v23, v33
	ds_bpermute_b32 v36, v23, v3
	;; [unrolled: 1-line block ×4, first 2 shown]
	v_cmp_le_u32_e32 vcc, v22, v32
	s_waitcnt lgkmcnt(4)
	buffer_store_dword v35, off, s[0:3], 0
	s_waitcnt lgkmcnt(2)
	buffer_store_dword v36, off, s[0:3], 0 offset:4
	s_waitcnt lgkmcnt(1)
	buffer_store_dword v37, off, s[0:3], 0 offset:8
	;; [unrolled: 2-line block ×3, first 2 shown]
	s_and_saveexec_b64 s[14:15], vcc
	s_cbranch_execz .LBB2078_283
; %bb.276:                              ;   in Loop: Header=BB2078_234 Depth=1
	v_cmp_eq_u16_sdwa s[16:17], v33, v25 src0_sel:BYTE_0 src1_sel:DWORD
	s_and_saveexec_b64 s[10:11], s[16:17]
	s_cbranch_execz .LBB2078_282
; %bb.277:                              ;   in Loop: Header=BB2078_234 Depth=1
	s_mov_b32 s9, 0
.LBB2078_278:                           ;   Parent Loop BB2078_234 Depth=1
                                        ; =>  This Inner Loop Header: Depth=2
	v_add_u32_e32 v2, s9, v28
	s_add_i32 s9, s9, 8
	s_cmp_lg_u32 s9, 16
	buffer_store_dword v25, v2, s[0:3], 0 offen offset:4
	buffer_store_dword v25, v2, s[0:3], 0 offen
	s_cbranch_scc1 .LBB2078_278
; %bb.279:                              ;   in Loop: Header=BB2078_234 Depth=1
	s_mov_b32 s9, 0
.LBB2078_280:                           ;   Parent Loop BB2078_234 Depth=1
                                        ; =>  This Inner Loop Header: Depth=2
	v_add_u32_e32 v2, s9, v27
	v_add_u32_e32 v3, s9, v29
	buffer_load_dword v4, v2, s[0:3], 0 offen offset:4
	buffer_load_dword v5, v3, s[0:3], 0 offen
	buffer_load_dword v35, v2, s[0:3], 0 offen
	buffer_load_dword v36, v3, s[0:3], 0 offen offset:4
	v_add_u32_e32 v2, s9, v28
	s_add_i32 s9, s9, 8
	s_cmp_lg_u32 s9, 16
	s_waitcnt vmcnt(1)
	v_add_u32_e32 v3, v5, v35
	s_waitcnt vmcnt(0)
	v_add_u32_e32 v4, v36, v4
	buffer_store_dword v4, v2, s[0:3], 0 offen offset:4
	buffer_store_dword v3, v2, s[0:3], 0 offen
	s_cbranch_scc1 .LBB2078_280
; %bb.281:                              ;   in Loop: Header=BB2078_234 Depth=1
	buffer_load_dword v2, off, s[0:3], 0 offset:80
	buffer_load_dword v3, off, s[0:3], 0 offset:84
	;; [unrolled: 1-line block ×4, first 2 shown]
.LBB2078_282:                           ;   in Loop: Header=BB2078_234 Depth=1
	s_or_b64 exec, exec, s[10:11]
	v_and_b32_e32 v33, 1, v33
	v_cmp_eq_u32_e32 vcc, 1, v33
	v_and_b32_e32 v33, 1, v34
	v_cmp_eq_u32_e64 s[10:11], 1, v33
	s_or_b64 s[10:11], vcc, s[10:11]
	v_cndmask_b32_e64 v33, 0, 1, s[10:11]
	buffer_store_byte v33, off, s[0:3], 0 offset:152
	buffer_load_dword v33, off, s[0:3], 0 offset:152
	s_waitcnt vmcnt(4)
	buffer_store_dword v3, off, s[0:3], 0 offset:140
	buffer_store_dword v2, off, s[0:3], 0 offset:136
	s_waitcnt vmcnt(4)
	buffer_store_dword v5, off, s[0:3], 0 offset:148
	buffer_store_dword v4, off, s[0:3], 0 offset:144
.LBB2078_283:                           ;   in Loop: Header=BB2078_234 Depth=1
	s_or_b64 exec, exec, s[14:15]
	ds_bpermute_b32 v35, v1, v2
	s_waitcnt vmcnt(4)
	ds_bpermute_b32 v34, v1, v33
	ds_bpermute_b32 v36, v1, v3
	;; [unrolled: 1-line block ×4, first 2 shown]
	v_cmp_le_u32_e32 vcc, v24, v32
	v_and_b32_e32 v32, 1, v33
	v_cmp_eq_u32_e64 s[10:11], 1, v32
	s_waitcnt lgkmcnt(4)
	buffer_store_dword v35, off, s[0:3], 0
	s_waitcnt lgkmcnt(2)
	buffer_store_dword v36, off, s[0:3], 0 offset:4
	s_waitcnt lgkmcnt(1)
	buffer_store_dword v37, off, s[0:3], 0 offset:8
	;; [unrolled: 2-line block ×3, first 2 shown]
	s_and_saveexec_b64 s[14:15], vcc
	s_cbranch_execz .LBB2078_291
; %bb.284:                              ;   in Loop: Header=BB2078_234 Depth=1
	v_cmp_eq_u16_sdwa s[36:37], v33, v25 src0_sel:BYTE_0 src1_sel:DWORD
	s_and_saveexec_b64 s[16:17], s[36:37]
	s_cbranch_execz .LBB2078_290
; %bb.285:                              ;   in Loop: Header=BB2078_234 Depth=1
	s_mov_b32 s9, 0
.LBB2078_286:                           ;   Parent Loop BB2078_234 Depth=1
                                        ; =>  This Inner Loop Header: Depth=2
	v_add_u32_e32 v2, s9, v28
	s_add_i32 s9, s9, 8
	s_cmp_lg_u32 s9, 16
	buffer_store_dword v25, v2, s[0:3], 0 offen offset:4
	buffer_store_dword v25, v2, s[0:3], 0 offen
	s_cbranch_scc1 .LBB2078_286
; %bb.287:                              ;   in Loop: Header=BB2078_234 Depth=1
	s_mov_b32 s9, 0
.LBB2078_288:                           ;   Parent Loop BB2078_234 Depth=1
                                        ; =>  This Inner Loop Header: Depth=2
	v_add_u32_e32 v2, s9, v27
	v_add_u32_e32 v3, s9, v29
	buffer_load_dword v4, v2, s[0:3], 0 offen offset:4
	buffer_load_dword v5, v3, s[0:3], 0 offen
	buffer_load_dword v32, v2, s[0:3], 0 offen
	buffer_load_dword v33, v3, s[0:3], 0 offen offset:4
	v_add_u32_e32 v2, s9, v28
	s_add_i32 s9, s9, 8
	s_cmp_lg_u32 s9, 16
	s_waitcnt vmcnt(1)
	v_add_u32_e32 v3, v5, v32
	s_waitcnt vmcnt(0)
	v_add_u32_e32 v4, v33, v4
	buffer_store_dword v4, v2, s[0:3], 0 offen offset:4
	buffer_store_dword v3, v2, s[0:3], 0 offen
	s_cbranch_scc1 .LBB2078_288
; %bb.289:                              ;   in Loop: Header=BB2078_234 Depth=1
	buffer_load_dword v2, off, s[0:3], 0 offset:80
	buffer_load_dword v3, off, s[0:3], 0 offset:84
	;; [unrolled: 1-line block ×4, first 2 shown]
.LBB2078_290:                           ;   in Loop: Header=BB2078_234 Depth=1
	s_or_b64 exec, exec, s[16:17]
	v_and_b32_e32 v32, 1, v34
	v_cmp_eq_u32_e32 vcc, 1, v32
	s_or_b64 s[16:17], s[10:11], vcc
	v_cndmask_b32_e64 v32, 0, 1, s[16:17]
	s_andn2_b64 s[10:11], s[10:11], exec
	s_and_b64 s[16:17], s[16:17], exec
	s_or_b64 s[10:11], s[10:11], s[16:17]
	s_waitcnt vmcnt(2)
	buffer_store_dword v3, off, s[0:3], 0 offset:140
	buffer_store_dword v2, off, s[0:3], 0 offset:136
	s_waitcnt vmcnt(2)
	buffer_store_dword v5, off, s[0:3], 0 offset:148
	buffer_store_dword v4, off, s[0:3], 0 offset:144
	buffer_store_byte v32, off, s[0:3], 0 offset:152
.LBB2078_291:                           ;   in Loop: Header=BB2078_234 Depth=1
	s_or_b64 exec, exec, s[14:15]
	buffer_load_ubyte v32, off, s[0:3], 0 offset:132
                                        ; implicit-def: $vgpr4_vgpr5
                                        ; implicit-def: $vgpr2_vgpr3
	s_waitcnt vmcnt(0)
	v_cmp_ne_u16_e32 vcc, 0, v32
	s_and_saveexec_b64 s[14:15], vcc
	s_xor_b64 s[14:15], exec, s[14:15]
	s_cbranch_execz .LBB2078_293
; %bb.292:                              ;   in Loop: Header=BB2078_234 Depth=1
	buffer_load_dword v2, off, s[0:3], 0 offset:116
	buffer_load_dword v3, off, s[0:3], 0 offset:120
	;; [unrolled: 1-line block ×4, first 2 shown]
.LBB2078_293:                           ;   in Loop: Header=BB2078_234 Depth=1
	s_andn2_saveexec_b64 s[14:15], s[14:15]
	s_cbranch_execz .LBB2078_299
; %bb.294:                              ;   in Loop: Header=BB2078_234 Depth=1
	s_mov_b32 s9, 0
	s_waitcnt vmcnt(0)
.LBB2078_295:                           ;   Parent Loop BB2078_234 Depth=1
                                        ; =>  This Inner Loop Header: Depth=2
	v_add_u32_e32 v2, s9, v27
	s_add_i32 s9, s9, 8
	s_cmp_lg_u32 s9, 16
	buffer_store_dword v25, v2, s[0:3], 0 offen offset:4
	buffer_store_dword v25, v2, s[0:3], 0 offen
	s_cbranch_scc1 .LBB2078_295
; %bb.296:                              ;   in Loop: Header=BB2078_234 Depth=1
	s_mov_b32 s9, 0
.LBB2078_297:                           ;   Parent Loop BB2078_234 Depth=1
                                        ; =>  This Inner Loop Header: Depth=2
	v_add_u32_e32 v2, s9, v29
	v_add_u32_e32 v3, s9, v30
	buffer_load_dword v4, v2, s[0:3], 0 offen offset:4
	buffer_load_dword v5, v3, s[0:3], 0 offen
	buffer_load_dword v33, v2, s[0:3], 0 offen
	buffer_load_dword v34, v3, s[0:3], 0 offen offset:4
	v_add_u32_e32 v2, s9, v27
	s_add_i32 s9, s9, 8
	s_cmp_lg_u32 s9, 16
	s_waitcnt vmcnt(1)
	v_add_u32_e32 v3, v5, v33
	s_waitcnt vmcnt(0)
	v_add_u32_e32 v4, v34, v4
	buffer_store_dword v4, v2, s[0:3], 0 offen offset:4
	buffer_store_dword v3, v2, s[0:3], 0 offen
	s_cbranch_scc1 .LBB2078_297
; %bb.298:                              ;   in Loop: Header=BB2078_234 Depth=1
	buffer_load_dword v2, off, s[0:3], 0
	buffer_load_dword v3, off, s[0:3], 0 offset:4
	buffer_load_dword v4, off, s[0:3], 0 offset:8
	buffer_load_dword v5, off, s[0:3], 0 offset:12
.LBB2078_299:                           ;   in Loop: Header=BB2078_234 Depth=1
	s_or_b64 exec, exec, s[14:15]
	v_and_b32_e32 v32, 1, v32
	v_cmp_eq_u32_e32 vcc, 1, v32
	s_or_b64 s[10:11], vcc, s[10:11]
	v_subrev_u32_e32 v6, 64, v6
	v_cndmask_b32_e64 v32, 0, 1, s[10:11]
	s_waitcnt vmcnt(2)
	buffer_store_dword v3, off, s[0:3], 0 offset:120
	buffer_store_dword v2, off, s[0:3], 0 offset:116
	s_waitcnt vmcnt(2)
	buffer_store_dword v5, off, s[0:3], 0 offset:128
	buffer_store_dword v4, off, s[0:3], 0 offset:124
	buffer_store_byte v32, off, s[0:3], 0 offset:132
	s_branch .LBB2078_234
.LBB2078_300:
	buffer_load_dword v1, off, s[0:3], 0 offset:120
	buffer_load_dword v2, off, s[0:3], 0 offset:116
	buffer_load_dword v3, off, s[0:3], 0 offset:128
	buffer_load_dword v4, off, s[0:3], 0 offset:124
	buffer_load_dword v6, off, s[0:3], 0 offset:132
	s_waitcnt vmcnt(4)
	buffer_store_dword v1, off, s[0:3], 0 offset:4
	s_waitcnt vmcnt(4)
	buffer_store_dword v2, off, s[0:3], 0
	s_waitcnt vmcnt(4)
	buffer_store_dword v3, off, s[0:3], 0 offset:12
	s_waitcnt vmcnt(4)
	buffer_store_dword v4, off, s[0:3], 0 offset:8
	;; [unrolled: 2-line block ×3, first 2 shown]
	s_and_saveexec_b64 s[10:11], s[6:7]
	s_cbranch_execz .LBB2078_310
; %bb.301:
	buffer_load_ubyte v1, off, s[0:3], 0 offset:172
                                        ; implicit-def: $vgpr4_vgpr5
	s_waitcnt vmcnt(0)
	v_cmp_ne_u16_e32 vcc, 0, v1
	s_and_saveexec_b64 s[6:7], vcc
	s_xor_b64 s[6:7], exec, s[6:7]
	s_cbranch_execz .LBB2078_303
; %bb.302:
	buffer_load_dword v2, off, s[0:3], 0 offset:156
	buffer_load_dword v3, off, s[0:3], 0 offset:160
	;; [unrolled: 1-line block ×4, first 2 shown]
.LBB2078_303:
	s_andn2_saveexec_b64 s[6:7], s[6:7]
	s_cbranch_execz .LBB2078_309
; %bb.304:
	s_mov_b32 s9, 0
	s_waitcnt vmcnt(3)
	v_mov_b32_e32 v2, 0x60
	s_waitcnt vmcnt(2)
	v_mov_b32_e32 v3, 0
	s_waitcnt vmcnt(0)
.LBB2078_305:                           ; =>This Inner Loop Header: Depth=1
	v_add_u32_e32 v4, s9, v2
	s_add_i32 s9, s9, 8
	s_cmp_lg_u32 s9, 16
	buffer_store_dword v3, v4, s[0:3], 0 offen offset:4
	buffer_store_dword v3, v4, s[0:3], 0 offen
	s_cbranch_scc1 .LBB2078_305
; %bb.306:
	s_mov_b32 s9, 0
	v_mov_b32_e32 v2, 0
	v_mov_b32_e32 v3, 0x9c
	;; [unrolled: 1-line block ×3, first 2 shown]
.LBB2078_307:                           ; =>This Inner Loop Header: Depth=1
	v_add_u32_e32 v5, s9, v2
	v_add_u32_e32 v7, s9, v3
	buffer_load_dword v8, v5, s[0:3], 0 offen offset:4
	buffer_load_dword v9, v7, s[0:3], 0 offen
	buffer_load_dword v14, v5, s[0:3], 0 offen
	buffer_load_dword v15, v7, s[0:3], 0 offen offset:4
                                        ; kill: killed $vgpr5
	v_add_u32_e32 v5, s9, v4
	s_add_i32 s9, s9, 8
	s_cmp_lg_u32 s9, 16
                                        ; kill: killed $vgpr7
	s_waitcnt vmcnt(1)
	v_add_u32_e32 v7, v9, v14
	s_waitcnt vmcnt(0)
	v_add_u32_e32 v8, v15, v8
	buffer_store_dword v8, v5, s[0:3], 0 offen offset:4
	buffer_store_dword v7, v5, s[0:3], 0 offen
	s_cbranch_scc1 .LBB2078_307
; %bb.308:
	buffer_load_dword v2, off, s[0:3], 0 offset:96
	buffer_load_dword v3, off, s[0:3], 0 offset:100
	;; [unrolled: 1-line block ×4, first 2 shown]
.LBB2078_309:
	s_or_b64 exec, exec, s[6:7]
	s_add_i32 s8, s8, 64
	s_mul_i32 s6, s8, 20
	v_or_b32_e32 v1, v1, v6
	s_mul_hi_u32 s7, s8, 20
	s_add_u32 s6, s22, s6
	v_and_b32_e32 v1, 1, v1
	s_addc_u32 s7, s23, s7
	v_mov_b32_e32 v6, 0
	s_waitcnt vmcnt(0)
	global_store_dwordx4 v6, v[2:5], s[6:7]
	global_store_byte v6, v1, s[6:7] offset:16
	v_mov_b32_e32 v1, s8
	v_mov_b32_e32 v2, 2
	s_waitcnt vmcnt(0)
	buffer_wbinvl1_vol
	global_store_byte v1, v2, s[24:25]
	buffer_load_dword v2, off, s[0:3], 0
	s_nop 0
	buffer_load_dword v1, off, s[0:3], 0 offset:4
	buffer_load_dword v4, off, s[0:3], 0 offset:8
	;; [unrolled: 1-line block ×3, first 2 shown]
	buffer_load_ubyte v6, off, s[0:3], 0 offset:16
.LBB2078_310:
	s_or_b64 exec, exec, s[10:11]
	v_cmp_eq_u32_e32 vcc, 0, v0
	s_and_b64 exec, exec, vcc
	s_cbranch_execz .LBB2078_312
; %bb.311:
	v_mov_b32_e32 v5, 0
	s_waitcnt vmcnt(3)
	ds_write2_b32 v5, v2, v1 offset0:15 offset1:16
	s_waitcnt vmcnt(1)
	ds_write2_b32 v5, v4, v3 offset0:17 offset1:18
	s_waitcnt vmcnt(0)
	ds_write_b8 v5, v6 offset:76
.LBB2078_312:
	s_or_b64 exec, exec, s[12:13]
	s_waitcnt lgkmcnt(0)
	s_barrier
	buffer_load_dword v1, off, s[0:3], 0 offset:220
	buffer_load_dword v7, off, s[0:3], 0 offset:216
	;; [unrolled: 1-line block ×5, first 2 shown]
	s_waitcnt vmcnt(5)
	v_mov_b32_e32 v6, 0
	ds_read2_b32 v[2:3], v6 offset0:15 offset1:16
	ds_read2_b32 v[4:5], v6 offset0:17 offset1:18
	ds_read_b32 v6, v6 offset:76
	v_cmp_ne_u32_e32 vcc, 0, v0
	s_waitcnt lgkmcnt(2)
	buffer_store_dword v3, off, s[0:3], 0 offset:4
	buffer_store_dword v2, off, s[0:3], 0
	s_waitcnt lgkmcnt(1)
	buffer_store_dword v5, off, s[0:3], 0 offset:12
	buffer_store_dword v4, off, s[0:3], 0 offset:8
	s_waitcnt lgkmcnt(0)
	buffer_store_dword v6, off, s[0:3], 0 offset:16
	buffer_store_dword v5, off, s[0:3], 0 offset:128
	;; [unrolled: 1-line block ×6, first 2 shown]
	s_waitcnt vmcnt(14)
	buffer_store_dword v1, off, s[0:3], 0 offset:108
	s_waitcnt vmcnt(14)
	buffer_store_dword v7, off, s[0:3], 0 offset:104
	;; [unrolled: 2-line block ×5, first 2 shown]
                                        ; implicit-def: $vgpr1
	s_and_saveexec_b64 s[6:7], vcc
	s_xor_b64 s[6:7], exec, s[6:7]
	s_cbranch_execz .LBB2078_322
; %bb.313:
	buffer_load_ubyte v1, off, s[0:3], 0 offset:192
                                        ; implicit-def: $vgpr4_vgpr5
                                        ; implicit-def: $vgpr2_vgpr3
	s_waitcnt vmcnt(0)
	v_cmp_ne_u16_e32 vcc, 0, v1
	s_and_saveexec_b64 s[8:9], vcc
	s_xor_b64 s[8:9], exec, s[8:9]
	s_cbranch_execz .LBB2078_315
; %bb.314:
	buffer_load_dword v2, off, s[0:3], 0 offset:176
	buffer_load_dword v3, off, s[0:3], 0 offset:180
	;; [unrolled: 1-line block ×4, first 2 shown]
.LBB2078_315:
	s_andn2_saveexec_b64 s[8:9], s[8:9]
	s_cbranch_execz .LBB2078_321
; %bb.316:
	s_mov_b32 s10, 0
	s_waitcnt vmcnt(3)
	v_mov_b32_e32 v2, 0x88
	s_waitcnt vmcnt(2)
	v_mov_b32_e32 v3, 0
	s_waitcnt vmcnt(0)
.LBB2078_317:                           ; =>This Inner Loop Header: Depth=1
	v_add_u32_e32 v4, s10, v2
	s_add_i32 s10, s10, 8
	s_cmp_lg_u32 s10, 16
	buffer_store_dword v3, v4, s[0:3], 0 offen offset:4
	buffer_store_dword v3, v4, s[0:3], 0 offen
	s_cbranch_scc1 .LBB2078_317
; %bb.318:
	s_mov_b32 s10, 0
	v_mov_b32_e32 v2, 0
	v_mov_b32_e32 v3, 0xb0
	;; [unrolled: 1-line block ×3, first 2 shown]
.LBB2078_319:                           ; =>This Inner Loop Header: Depth=1
	v_add_u32_e32 v5, s10, v2
	v_add_u32_e32 v7, s10, v3
	buffer_load_dword v8, v5, s[0:3], 0 offen offset:4
	buffer_load_dword v9, v7, s[0:3], 0 offen
	buffer_load_dword v14, v5, s[0:3], 0 offen
	buffer_load_dword v15, v7, s[0:3], 0 offen offset:4
                                        ; kill: killed $vgpr5
	v_add_u32_e32 v5, s10, v4
	s_add_i32 s10, s10, 8
	s_cmp_lg_u32 s10, 16
                                        ; kill: killed $vgpr7
	s_waitcnt vmcnt(1)
	v_add_u32_e32 v7, v9, v14
	s_waitcnt vmcnt(0)
	v_add_u32_e32 v8, v15, v8
	buffer_store_dword v8, v5, s[0:3], 0 offen offset:4
	buffer_store_dword v7, v5, s[0:3], 0 offen
	s_cbranch_scc1 .LBB2078_319
; %bb.320:
	buffer_load_dword v2, off, s[0:3], 0 offset:136
	buffer_load_dword v3, off, s[0:3], 0 offset:140
	;; [unrolled: 1-line block ×4, first 2 shown]
.LBB2078_321:
	s_or_b64 exec, exec, s[8:9]
	v_or_b32_e32 v1, v1, v6
	v_and_b32_e32 v1, 1, v1
	s_waitcnt vmcnt(2)
	buffer_store_dword v3, off, s[0:3], 0 offset:120
	buffer_store_dword v2, off, s[0:3], 0 offset:116
	s_waitcnt vmcnt(2)
	buffer_store_dword v5, off, s[0:3], 0 offset:128
	buffer_store_dword v4, off, s[0:3], 0 offset:124
.LBB2078_322:
	s_andn2_saveexec_b64 s[6:7], s[6:7]
	s_cbranch_execz .LBB2078_324
; %bb.323:
	buffer_load_ubyte v1, off, s[0:3], 0 offset:132
.LBB2078_324:
	s_or_b64 exec, exec, s[6:7]
	buffer_load_dword v2, off, s[0:3], 0 offset:128
	buffer_load_dword v3, off, s[0:3], 0 offset:124
	;; [unrolled: 1-line block ×4, first 2 shown]
	buffer_load_ubyte v7, off, s[0:3], 0 offset:112
	s_waitcnt vmcnt(5)
	buffer_store_byte v1, off, s[0:3], 0 offset:224
	s_waitcnt vmcnt(5)
	buffer_store_dword v2, off, s[0:3], 0 offset:220
	s_waitcnt vmcnt(5)
	buffer_store_dword v3, off, s[0:3], 0 offset:216
	s_waitcnt vmcnt(5)
	buffer_store_dword v4, off, s[0:3], 0 offset:212
	s_waitcnt vmcnt(5)
	buffer_store_dword v5, off, s[0:3], 0 offset:208
	s_waitcnt vmcnt(5)
	v_cmp_ne_u16_e32 vcc, 0, v7
                                        ; implicit-def: $vgpr4_vgpr5
                                        ; implicit-def: $vgpr2_vgpr3
	s_and_saveexec_b64 s[6:7], vcc
	s_xor_b64 s[6:7], exec, s[6:7]
	s_cbranch_execz .LBB2078_326
; %bb.325:
	buffer_load_dword v2, off, s[0:3], 0 offset:96
	buffer_load_dword v3, off, s[0:3], 0 offset:100
	;; [unrolled: 1-line block ×4, first 2 shown]
.LBB2078_326:
	s_andn2_saveexec_b64 s[6:7], s[6:7]
	s_cbranch_execz .LBB2078_332
; %bb.327:
	s_mov_b32 s8, 0
	s_waitcnt vmcnt(3)
	v_mov_b32_e32 v2, 0x88
	s_waitcnt vmcnt(2)
	v_mov_b32_e32 v3, 0
	s_waitcnt vmcnt(0)
.LBB2078_328:                           ; =>This Inner Loop Header: Depth=1
	v_add_u32_e32 v4, s8, v2
	s_add_i32 s8, s8, 8
	s_cmp_lg_u32 s8, 16
	buffer_store_dword v3, v4, s[0:3], 0 offen offset:4
	buffer_store_dword v3, v4, s[0:3], 0 offen
	s_cbranch_scc1 .LBB2078_328
; %bb.329:
	s_mov_b32 s8, 0
	v_mov_b32_e32 v2, 0x74
	v_mov_b32_e32 v3, 0x60
	;; [unrolled: 1-line block ×3, first 2 shown]
.LBB2078_330:                           ; =>This Inner Loop Header: Depth=1
	v_add_u32_e32 v5, s8, v2
	v_add_u32_e32 v6, s8, v3
	buffer_load_dword v8, v5, s[0:3], 0 offen offset:4
	buffer_load_dword v9, v6, s[0:3], 0 offen
	buffer_load_dword v14, v5, s[0:3], 0 offen
	buffer_load_dword v15, v6, s[0:3], 0 offen offset:4
                                        ; kill: killed $vgpr5
	v_add_u32_e32 v5, s8, v4
	s_add_i32 s8, s8, 8
	s_cmp_lg_u32 s8, 16
                                        ; kill: killed $vgpr6
	s_waitcnt vmcnt(1)
	v_add_u32_e32 v6, v9, v14
	s_waitcnt vmcnt(0)
	v_add_u32_e32 v8, v15, v8
	buffer_store_dword v8, v5, s[0:3], 0 offen offset:4
	buffer_store_dword v6, v5, s[0:3], 0 offen
	s_cbranch_scc1 .LBB2078_330
; %bb.331:
	buffer_load_dword v2, off, s[0:3], 0 offset:136
	buffer_load_dword v3, off, s[0:3], 0 offset:140
	;; [unrolled: 1-line block ×4, first 2 shown]
.LBB2078_332:
	s_or_b64 exec, exec, s[6:7]
	buffer_load_dword v8, v10, s[0:3], 0 offen offset:12
	buffer_load_dword v9, v10, s[0:3], 0 offen offset:8
	;; [unrolled: 1-line block ×3, first 2 shown]
	buffer_load_dword v15, v10, s[0:3], 0 offen
	buffer_load_ubyte v6, off, s[0:3], 0 offset:244
	v_or_b32_e32 v1, v7, v1
	v_and_b32_e32 v1, 1, v1
	v_cmp_eq_u32_e32 vcc, 1, v1
	s_waitcnt vmcnt(7)
	buffer_store_dword v3, off, s[0:3], 0 offset:120
	buffer_store_dword v2, off, s[0:3], 0 offset:116
	s_waitcnt vmcnt(7)
	buffer_store_dword v5, off, s[0:3], 0 offset:128
	buffer_store_dword v4, off, s[0:3], 0 offset:124
	buffer_store_dword v2, v10, s[0:3], 0 offen
	buffer_store_dword v3, v10, s[0:3], 0 offen offset:4
	buffer_store_dword v4, v10, s[0:3], 0 offen offset:8
	;; [unrolled: 1-line block ×3, first 2 shown]
                                        ; implicit-def: $vgpr4_vgpr5
                                        ; implicit-def: $vgpr2_vgpr3
	buffer_store_byte v1, off, s[0:3], 0 offset:244
	s_waitcnt vmcnt(13)
	buffer_store_dword v8, off, s[0:3], 0 offset:108
	s_waitcnt vmcnt(13)
	buffer_store_dword v9, off, s[0:3], 0 offset:104
	;; [unrolled: 2-line block ×4, first 2 shown]
	s_waitcnt vmcnt(13)
	v_cmp_ne_u16_e64 s[6:7], 0, v6
	s_and_saveexec_b64 s[8:9], s[6:7]
	s_xor_b64 s[6:7], exec, s[8:9]
	s_cbranch_execz .LBB2078_334
; %bb.333:
	buffer_load_dword v2, off, s[0:3], 0 offset:96
	buffer_load_dword v3, off, s[0:3], 0 offset:100
	buffer_load_dword v4, off, s[0:3], 0 offset:104
	buffer_load_dword v5, off, s[0:3], 0 offset:108
.LBB2078_334:
	s_andn2_saveexec_b64 s[6:7], s[6:7]
	s_cbranch_execz .LBB2078_340
; %bb.335:
	s_mov_b32 s8, 0
	v_mov_b32_e32 v1, 0x88
	s_waitcnt vmcnt(3)
	v_mov_b32_e32 v2, 0
	s_waitcnt vmcnt(0)
.LBB2078_336:                           ; =>This Inner Loop Header: Depth=1
	v_add_u32_e32 v3, s8, v1
	s_add_i32 s8, s8, 8
	s_cmp_lg_u32 s8, 16
	buffer_store_dword v2, v3, s[0:3], 0 offen offset:4
	buffer_store_dword v2, v3, s[0:3], 0 offen
	s_cbranch_scc1 .LBB2078_336
; %bb.337:
	s_mov_b32 s8, 0
	v_mov_b32_e32 v1, 0x74
	v_mov_b32_e32 v2, 0x60
	;; [unrolled: 1-line block ×3, first 2 shown]
.LBB2078_338:                           ; =>This Inner Loop Header: Depth=1
	v_add_u32_e32 v4, s8, v1
	v_add_u32_e32 v5, s8, v2
	buffer_load_dword v7, v4, s[0:3], 0 offen offset:4
	buffer_load_dword v8, v5, s[0:3], 0 offen
	buffer_load_dword v9, v4, s[0:3], 0 offen
	buffer_load_dword v14, v5, s[0:3], 0 offen offset:4
                                        ; kill: killed $vgpr4
	v_add_u32_e32 v4, s8, v3
	s_add_i32 s8, s8, 8
	s_cmp_lg_u32 s8, 16
                                        ; kill: killed $vgpr5
	s_waitcnt vmcnt(1)
	v_add_u32_e32 v5, v8, v9
	s_waitcnt vmcnt(0)
	v_add_u32_e32 v7, v14, v7
	buffer_store_dword v7, v4, s[0:3], 0 offen offset:4
	buffer_store_dword v5, v4, s[0:3], 0 offen
	s_cbranch_scc1 .LBB2078_338
; %bb.339:
	buffer_load_dword v2, off, s[0:3], 0 offset:136
	buffer_load_dword v3, off, s[0:3], 0 offset:140
	;; [unrolled: 1-line block ×4, first 2 shown]
.LBB2078_340:
	s_or_b64 exec, exec, s[6:7]
	buffer_load_dword v7, v11, s[0:3], 0 offen offset:12
	buffer_load_dword v8, v11, s[0:3], 0 offen offset:8
	;; [unrolled: 1-line block ×3, first 2 shown]
	buffer_load_dword v14, v11, s[0:3], 0 offen
	buffer_load_ubyte v1, off, s[0:3], 0 offset:264
	v_and_b32_e32 v6, 1, v6
	v_cmp_eq_u32_e64 s[6:7], 1, v6
	s_or_b64 s[6:7], s[6:7], vcc
	s_waitcnt vmcnt(7)
	buffer_store_dword v3, off, s[0:3], 0 offset:120
	buffer_store_dword v2, off, s[0:3], 0 offset:116
	s_waitcnt vmcnt(7)
	buffer_store_dword v5, off, s[0:3], 0 offset:128
	buffer_store_dword v4, off, s[0:3], 0 offset:124
	buffer_store_dword v2, v11, s[0:3], 0 offen
	buffer_store_dword v3, v11, s[0:3], 0 offen offset:4
	buffer_store_dword v4, v11, s[0:3], 0 offen offset:8
	;; [unrolled: 1-line block ×3, first 2 shown]
	v_cndmask_b32_e64 v2, 0, 1, s[6:7]
                                        ; implicit-def: $vgpr4_vgpr5
	buffer_store_byte v2, off, s[0:3], 0 offset:264
	s_waitcnt vmcnt(13)
	buffer_store_dword v7, off, s[0:3], 0 offset:108
	s_waitcnt vmcnt(13)
	buffer_store_dword v8, off, s[0:3], 0 offset:104
	;; [unrolled: 2-line block ×4, first 2 shown]
	s_waitcnt vmcnt(13)
	v_cmp_ne_u16_e32 vcc, 0, v1
                                        ; implicit-def: $vgpr2_vgpr3
	s_and_saveexec_b64 s[8:9], vcc
	s_xor_b64 s[8:9], exec, s[8:9]
	s_cbranch_execz .LBB2078_342
; %bb.341:
	buffer_load_dword v2, off, s[0:3], 0 offset:96
	buffer_load_dword v3, off, s[0:3], 0 offset:100
	;; [unrolled: 1-line block ×4, first 2 shown]
.LBB2078_342:
	s_andn2_saveexec_b64 s[8:9], s[8:9]
	s_cbranch_execz .LBB2078_348
; %bb.343:
	s_mov_b32 s10, 0
	s_waitcnt vmcnt(3)
	v_mov_b32_e32 v2, 0x88
	s_waitcnt vmcnt(2)
	v_mov_b32_e32 v3, 0
	s_waitcnt vmcnt(0)
.LBB2078_344:                           ; =>This Inner Loop Header: Depth=1
	v_add_u32_e32 v4, s10, v2
	s_add_i32 s10, s10, 8
	s_cmp_lg_u32 s10, 16
	buffer_store_dword v3, v4, s[0:3], 0 offen offset:4
	buffer_store_dword v3, v4, s[0:3], 0 offen
	s_cbranch_scc1 .LBB2078_344
; %bb.345:
	s_mov_b32 s10, 0
	v_mov_b32_e32 v2, 0x74
	v_mov_b32_e32 v3, 0x60
	;; [unrolled: 1-line block ×3, first 2 shown]
.LBB2078_346:                           ; =>This Inner Loop Header: Depth=1
	v_add_u32_e32 v5, s10, v2
	v_add_u32_e32 v6, s10, v3
	buffer_load_dword v7, v5, s[0:3], 0 offen offset:4
	buffer_load_dword v8, v6, s[0:3], 0 offen
	buffer_load_dword v9, v5, s[0:3], 0 offen
	buffer_load_dword v14, v6, s[0:3], 0 offen offset:4
                                        ; kill: killed $vgpr5
	v_add_u32_e32 v5, s10, v4
	s_add_i32 s10, s10, 8
	s_cmp_lg_u32 s10, 16
                                        ; kill: killed $vgpr6
	s_waitcnt vmcnt(1)
	v_add_u32_e32 v6, v8, v9
	s_waitcnt vmcnt(0)
	v_add_u32_e32 v7, v14, v7
	buffer_store_dword v7, v5, s[0:3], 0 offen offset:4
	buffer_store_dword v6, v5, s[0:3], 0 offen
	s_cbranch_scc1 .LBB2078_346
; %bb.347:
	buffer_load_dword v2, off, s[0:3], 0 offset:136
	buffer_load_dword v3, off, s[0:3], 0 offset:140
	;; [unrolled: 1-line block ×4, first 2 shown]
.LBB2078_348:
	s_or_b64 exec, exec, s[8:9]
	buffer_load_dword v7, v12, s[0:3], 0 offen offset:12
	buffer_load_dword v8, v12, s[0:3], 0 offen offset:8
	;; [unrolled: 1-line block ×3, first 2 shown]
	buffer_load_dword v14, v12, s[0:3], 0 offen
	buffer_load_ubyte v6, off, s[0:3], 0 offset:284
	v_and_b32_e32 v1, 1, v1
	v_cmp_eq_u32_e32 vcc, 1, v1
	s_or_b64 s[6:7], vcc, s[6:7]
	v_cndmask_b32_e64 v1, 0, 1, s[6:7]
	s_waitcnt vmcnt(7)
	buffer_store_dword v3, off, s[0:3], 0 offset:120
	buffer_store_dword v2, off, s[0:3], 0 offset:116
	s_waitcnt vmcnt(7)
	buffer_store_dword v5, off, s[0:3], 0 offset:128
	buffer_store_dword v4, off, s[0:3], 0 offset:124
	buffer_store_dword v2, v12, s[0:3], 0 offen
	buffer_store_dword v3, v12, s[0:3], 0 offen offset:4
	buffer_store_dword v4, v12, s[0:3], 0 offen offset:8
	;; [unrolled: 1-line block ×3, first 2 shown]
                                        ; implicit-def: $vgpr4_vgpr5
                                        ; implicit-def: $vgpr2_vgpr3
	buffer_store_byte v1, off, s[0:3], 0 offset:284
	s_waitcnt vmcnt(13)
	buffer_store_dword v7, off, s[0:3], 0 offset:108
	s_waitcnt vmcnt(13)
	buffer_store_dword v8, off, s[0:3], 0 offset:104
	s_waitcnt vmcnt(13)
	buffer_store_dword v9, off, s[0:3], 0 offset:100
	s_waitcnt vmcnt(13)
	buffer_store_dword v14, off, s[0:3], 0 offset:96
	s_waitcnt vmcnt(13)
	v_cmp_ne_u16_e32 vcc, 0, v6
	s_and_saveexec_b64 s[8:9], vcc
	s_xor_b64 s[8:9], exec, s[8:9]
	s_cbranch_execz .LBB2078_350
; %bb.349:
	buffer_load_dword v2, off, s[0:3], 0 offset:96
	buffer_load_dword v3, off, s[0:3], 0 offset:100
	;; [unrolled: 1-line block ×4, first 2 shown]
.LBB2078_350:
	s_andn2_saveexec_b64 s[8:9], s[8:9]
	s_cbranch_execz .LBB2078_356
; %bb.351:
	s_mov_b32 s10, 0
	v_mov_b32_e32 v1, 0x88
	s_waitcnt vmcnt(3)
	v_mov_b32_e32 v2, 0
	s_waitcnt vmcnt(0)
.LBB2078_352:                           ; =>This Inner Loop Header: Depth=1
	v_add_u32_e32 v3, s10, v1
	s_add_i32 s10, s10, 8
	s_cmp_lg_u32 s10, 16
	buffer_store_dword v2, v3, s[0:3], 0 offen offset:4
	buffer_store_dword v2, v3, s[0:3], 0 offen
	s_cbranch_scc1 .LBB2078_352
; %bb.353:
	s_mov_b32 s10, 0
	v_mov_b32_e32 v1, 0x74
	v_mov_b32_e32 v2, 0x60
	v_mov_b32_e32 v3, 0x88
.LBB2078_354:                           ; =>This Inner Loop Header: Depth=1
	v_add_u32_e32 v4, s10, v1
	v_add_u32_e32 v5, s10, v2
	buffer_load_dword v7, v4, s[0:3], 0 offen offset:4
	buffer_load_dword v8, v5, s[0:3], 0 offen
	buffer_load_dword v9, v4, s[0:3], 0 offen
	buffer_load_dword v14, v5, s[0:3], 0 offen offset:4
                                        ; kill: killed $vgpr4
	v_add_u32_e32 v4, s10, v3
	s_add_i32 s10, s10, 8
	s_cmp_lg_u32 s10, 16
                                        ; kill: killed $vgpr5
	s_waitcnt vmcnt(1)
	v_add_u32_e32 v5, v8, v9
	s_waitcnt vmcnt(0)
	v_add_u32_e32 v7, v14, v7
	buffer_store_dword v7, v4, s[0:3], 0 offen offset:4
	buffer_store_dword v5, v4, s[0:3], 0 offen
	s_cbranch_scc1 .LBB2078_354
; %bb.355:
	buffer_load_dword v2, off, s[0:3], 0 offset:136
	buffer_load_dword v3, off, s[0:3], 0 offset:140
	;; [unrolled: 1-line block ×4, first 2 shown]
.LBB2078_356:
	s_or_b64 exec, exec, s[8:9]
	v_and_b32_e32 v1, 1, v6
	v_cmp_eq_u32_e32 vcc, 1, v1
	s_or_b64 s[6:7], vcc, s[6:7]
	v_cndmask_b32_e64 v1, 0, 1, s[6:7]
	s_waitcnt vmcnt(0)
	buffer_store_dword v5, v13, s[0:3], 0 offen offset:12
	buffer_store_dword v4, v13, s[0:3], 0 offen offset:8
	;; [unrolled: 1-line block ×3, first 2 shown]
	buffer_store_dword v2, v13, s[0:3], 0 offen
	buffer_store_byte v1, off, s[0:3], 0 offset:304
	s_branch .LBB2078_531
.LBB2078_357:
	s_cbranch_execz .LBB2078_531
; %bb.358:
	s_cmp_lg_u64 s[42:43], 0
	s_cselect_b32 s7, s39, 0
	s_cselect_b32 s6, s38, 0
	s_mov_b32 s8, 0
	s_cmp_eq_u64 s[6:7], 0
	v_pk_mov_b32 v[2:3], s[28:29], s[28:29] op_sel:[0,1]
	v_pk_mov_b32 v[4:5], s[30:31], s[30:31] op_sel:[0,1]
	s_cbranch_scc1 .LBB2078_360
; %bb.359:
	v_mov_b32_e32 v1, 0
	global_load_dwordx4 v[2:5], v1, s[6:7]
.LBB2078_360:
	v_mov_b32_e32 v1, 0
	v_mov_b32_e32 v6, 0xb0
	buffer_store_dword v1, off, s[0:3], 0 offset:188
	buffer_store_dword v1, off, s[0:3], 0 offset:184
	;; [unrolled: 1-line block ×5, first 2 shown]
.LBB2078_361:                           ; =>This Inner Loop Header: Depth=1
	v_add_u32_e32 v7, s8, v6
	s_add_i32 s8, s8, 8
	s_cmp_lg_u32 s8, 16
	buffer_store_dword v1, v7, s[0:3], 0 offen offset:4
	buffer_store_dword v1, v7, s[0:3], 0 offen
	s_cbranch_scc1 .LBB2078_361
; %bb.362:
	buffer_load_dword v6, off, s[0:3], 0 offset:220
	buffer_load_dword v7, off, s[0:3], 0 offset:216
	;; [unrolled: 1-line block ×5, first 2 shown]
	buffer_load_ubyte v14, off, s[0:3], 0 offset:244
	v_mov_b32_e32 v15, 0
	s_waitcnt vmcnt(13)
	buffer_store_dword v3, off, s[0:3], 0 offset:160
	buffer_store_dword v2, off, s[0:3], 0 offset:156
	;; [unrolled: 1-line block ×4, first 2 shown]
	buffer_store_byte v15, off, s[0:3], 0 offset:192
	buffer_store_byte v15, off, s[0:3], 0 offset:172
	s_waitcnt vmcnt(11)
	buffer_store_dword v6, off, s[0:3], 0 offset:148
	s_waitcnt vmcnt(11)
	buffer_store_dword v7, off, s[0:3], 0 offset:144
	;; [unrolled: 2-line block ×5, first 2 shown]
	s_waitcnt vmcnt(11)
	v_cmp_ne_u16_e32 vcc, 0, v14
                                        ; implicit-def: $vgpr8_vgpr9
                                        ; implicit-def: $vgpr6_vgpr7
	s_and_saveexec_b64 s[6:7], vcc
	s_xor_b64 s[6:7], exec, s[6:7]
	s_cbranch_execz .LBB2078_364
; %bb.363:
	buffer_load_dword v6, off, s[0:3], 0 offset:228
	buffer_load_dword v7, off, s[0:3], 0 offset:232
	;; [unrolled: 1-line block ×4, first 2 shown]
.LBB2078_364:
	s_andn2_saveexec_b64 s[6:7], s[6:7]
	s_cbranch_execz .LBB2078_370
; %bb.365:
	s_mov_b32 s8, 0
	s_waitcnt vmcnt(3)
	v_mov_b32_e32 v6, 0
	s_waitcnt vmcnt(2)
	v_mov_b32_e32 v7, 0
	s_waitcnt vmcnt(0)
.LBB2078_366:                           ; =>This Inner Loop Header: Depth=1
	v_add_u32_e32 v8, s8, v6
	s_add_i32 s8, s8, 8
	s_cmp_lg_u32 s8, 16
	buffer_store_dword v7, v8, s[0:3], 0 offen offset:4
	buffer_store_dword v7, v8, s[0:3], 0 offen
	s_cbranch_scc1 .LBB2078_366
; %bb.367:
	s_mov_b32 s8, 0
	v_mov_b32_e32 v6, 0x88
	v_mov_b32_e32 v7, 0xd0
	;; [unrolled: 1-line block ×3, first 2 shown]
.LBB2078_368:                           ; =>This Inner Loop Header: Depth=1
	v_add_u32_e32 v9, s8, v6
	v_add_u32_e32 v15, s8, v7
	buffer_load_dword v16, v9, s[0:3], 0 offen offset:4
	buffer_load_dword v17, v15, s[0:3], 0 offen offset:20
	buffer_load_dword v18, v9, s[0:3], 0 offen
	buffer_load_dword v19, v15, s[0:3], 0 offen offset:24
                                        ; kill: killed $vgpr9
	v_add_u32_e32 v9, s8, v8
	s_add_i32 s8, s8, 8
	s_cmp_lg_u32 s8, 16
                                        ; kill: killed $vgpr15
	s_waitcnt vmcnt(1)
	v_add_u32_e32 v15, v17, v18
	s_waitcnt vmcnt(0)
	v_add_u32_e32 v16, v19, v16
	buffer_store_dword v16, v9, s[0:3], 0 offen offset:4
	buffer_store_dword v15, v9, s[0:3], 0 offen
	s_cbranch_scc1 .LBB2078_368
; %bb.369:
	buffer_load_dword v6, off, s[0:3], 0
	buffer_load_dword v7, off, s[0:3], 0 offset:4
	buffer_load_dword v8, off, s[0:3], 0 offset:8
	;; [unrolled: 1-line block ×3, first 2 shown]
.LBB2078_370:
	s_or_b64 exec, exec, s[6:7]
	buffer_load_ubyte v15, off, s[0:3], 0 offset:264
	s_waitcnt vmcnt(3)
	buffer_store_dword v7, off, s[0:3], 0 offset:140
	buffer_store_dword v6, off, s[0:3], 0 offset:136
	s_waitcnt vmcnt(3)
	buffer_store_dword v9, off, s[0:3], 0 offset:148
	buffer_store_dword v8, off, s[0:3], 0 offset:144
                                        ; implicit-def: $vgpr8_vgpr9
                                        ; implicit-def: $vgpr6_vgpr7
	s_waitcnt vmcnt(4)
	v_cmp_ne_u16_e32 vcc, 0, v15
	s_and_saveexec_b64 s[6:7], vcc
	s_xor_b64 s[6:7], exec, s[6:7]
	s_cbranch_execz .LBB2078_372
; %bb.371:
	buffer_load_dword v6, off, s[0:3], 0 offset:248
	buffer_load_dword v7, off, s[0:3], 0 offset:252
	;; [unrolled: 1-line block ×4, first 2 shown]
.LBB2078_372:
	s_andn2_saveexec_b64 s[6:7], s[6:7]
	s_cbranch_execz .LBB2078_378
; %bb.373:
	s_mov_b32 s8, 0
	s_waitcnt vmcnt(3)
	v_mov_b32_e32 v6, 0
	s_waitcnt vmcnt(2)
	v_mov_b32_e32 v7, 0
	s_waitcnt vmcnt(0)
.LBB2078_374:                           ; =>This Inner Loop Header: Depth=1
	v_add_u32_e32 v8, s8, v6
	s_add_i32 s8, s8, 8
	s_cmp_lg_u32 s8, 16
	buffer_store_dword v7, v8, s[0:3], 0 offen offset:4
	buffer_store_dword v7, v8, s[0:3], 0 offen
	s_cbranch_scc1 .LBB2078_374
; %bb.375:
	s_mov_b32 s8, 0
	v_mov_b32_e32 v6, 0x88
	v_mov_b32_e32 v7, 0xd0
	;; [unrolled: 1-line block ×3, first 2 shown]
.LBB2078_376:                           ; =>This Inner Loop Header: Depth=1
	v_add_u32_e32 v9, s8, v6
	v_add_u32_e32 v16, s8, v7
	buffer_load_dword v17, v9, s[0:3], 0 offen offset:4
	buffer_load_dword v18, v16, s[0:3], 0 offen offset:40
	buffer_load_dword v19, v9, s[0:3], 0 offen
	buffer_load_dword v20, v16, s[0:3], 0 offen offset:44
                                        ; kill: killed $vgpr9
	v_add_u32_e32 v9, s8, v8
	s_add_i32 s8, s8, 8
	s_cmp_lg_u32 s8, 16
                                        ; kill: killed $vgpr16
	s_waitcnt vmcnt(1)
	v_add_u32_e32 v16, v18, v19
	s_waitcnt vmcnt(0)
	v_add_u32_e32 v17, v20, v17
	buffer_store_dword v17, v9, s[0:3], 0 offen offset:4
	buffer_store_dword v16, v9, s[0:3], 0 offen
	s_cbranch_scc1 .LBB2078_376
; %bb.377:
	buffer_load_dword v6, off, s[0:3], 0
	buffer_load_dword v7, off, s[0:3], 0 offset:4
	buffer_load_dword v8, off, s[0:3], 0 offset:8
	;; [unrolled: 1-line block ×3, first 2 shown]
.LBB2078_378:
	s_or_b64 exec, exec, s[6:7]
	buffer_load_ubyte v16, off, s[0:3], 0 offset:284
	s_waitcnt vmcnt(3)
	buffer_store_dword v7, off, s[0:3], 0 offset:140
	buffer_store_dword v6, off, s[0:3], 0 offset:136
	s_waitcnt vmcnt(3)
	buffer_store_dword v9, off, s[0:3], 0 offset:148
	buffer_store_dword v8, off, s[0:3], 0 offset:144
                                        ; implicit-def: $vgpr8_vgpr9
                                        ; implicit-def: $vgpr6_vgpr7
	s_waitcnt vmcnt(4)
	v_cmp_ne_u16_e32 vcc, 0, v16
	s_and_saveexec_b64 s[6:7], vcc
	s_xor_b64 s[6:7], exec, s[6:7]
	s_cbranch_execz .LBB2078_380
; %bb.379:
	buffer_load_dword v6, off, s[0:3], 0 offset:268
	buffer_load_dword v7, off, s[0:3], 0 offset:272
	;; [unrolled: 1-line block ×4, first 2 shown]
.LBB2078_380:
	s_andn2_saveexec_b64 s[6:7], s[6:7]
	s_cbranch_execz .LBB2078_386
; %bb.381:
	s_mov_b32 s8, 0
	s_waitcnt vmcnt(3)
	v_mov_b32_e32 v6, 0
	s_waitcnt vmcnt(2)
	v_mov_b32_e32 v7, 0
	s_waitcnt vmcnt(0)
.LBB2078_382:                           ; =>This Inner Loop Header: Depth=1
	v_add_u32_e32 v8, s8, v6
	s_add_i32 s8, s8, 8
	s_cmp_lg_u32 s8, 16
	buffer_store_dword v7, v8, s[0:3], 0 offen offset:4
	buffer_store_dword v7, v8, s[0:3], 0 offen
	s_cbranch_scc1 .LBB2078_382
; %bb.383:
	s_mov_b32 s8, 0
	v_mov_b32_e32 v6, 0x88
	v_mov_b32_e32 v7, 0xd0
	;; [unrolled: 1-line block ×3, first 2 shown]
.LBB2078_384:                           ; =>This Inner Loop Header: Depth=1
	v_add_u32_e32 v9, s8, v6
	v_add_u32_e32 v17, s8, v7
	buffer_load_dword v18, v9, s[0:3], 0 offen offset:4
	buffer_load_dword v19, v17, s[0:3], 0 offen offset:60
	buffer_load_dword v20, v9, s[0:3], 0 offen
	buffer_load_dword v21, v17, s[0:3], 0 offen offset:64
                                        ; kill: killed $vgpr9
	v_add_u32_e32 v9, s8, v8
	s_add_i32 s8, s8, 8
	s_cmp_lg_u32 s8, 16
                                        ; kill: killed $vgpr17
	s_waitcnt vmcnt(1)
	v_add_u32_e32 v17, v19, v20
	s_waitcnt vmcnt(0)
	v_add_u32_e32 v18, v21, v18
	buffer_store_dword v18, v9, s[0:3], 0 offen offset:4
	buffer_store_dword v17, v9, s[0:3], 0 offen
	s_cbranch_scc1 .LBB2078_384
; %bb.385:
	buffer_load_dword v6, off, s[0:3], 0
	buffer_load_dword v7, off, s[0:3], 0 offset:4
	buffer_load_dword v8, off, s[0:3], 0 offset:8
	;; [unrolled: 1-line block ×3, first 2 shown]
.LBB2078_386:
	s_or_b64 exec, exec, s[6:7]
	buffer_load_ubyte v17, off, s[0:3], 0 offset:304
	s_waitcnt vmcnt(3)
	buffer_store_dword v7, off, s[0:3], 0 offset:140
	buffer_store_dword v6, off, s[0:3], 0 offset:136
	s_waitcnt vmcnt(3)
	buffer_store_dword v9, off, s[0:3], 0 offset:148
	buffer_store_dword v8, off, s[0:3], 0 offset:144
                                        ; implicit-def: $vgpr8_vgpr9
                                        ; implicit-def: $vgpr6_vgpr7
	s_waitcnt vmcnt(4)
	v_cmp_ne_u16_e32 vcc, 0, v17
	s_and_saveexec_b64 s[6:7], vcc
	s_xor_b64 s[6:7], exec, s[6:7]
	s_cbranch_execz .LBB2078_388
; %bb.387:
	buffer_load_dword v6, off, s[0:3], 0 offset:288
	buffer_load_dword v7, off, s[0:3], 0 offset:292
	;; [unrolled: 1-line block ×4, first 2 shown]
.LBB2078_388:
	s_andn2_saveexec_b64 s[6:7], s[6:7]
	s_cbranch_execz .LBB2078_394
; %bb.389:
	s_mov_b32 s8, 0
	s_waitcnt vmcnt(3)
	v_mov_b32_e32 v6, 0
	s_waitcnt vmcnt(2)
	v_mov_b32_e32 v7, 0
	s_waitcnt vmcnt(0)
.LBB2078_390:                           ; =>This Inner Loop Header: Depth=1
	v_add_u32_e32 v8, s8, v6
	s_add_i32 s8, s8, 8
	s_cmp_lg_u32 s8, 16
	buffer_store_dword v7, v8, s[0:3], 0 offen offset:4
	buffer_store_dword v7, v8, s[0:3], 0 offen
	s_cbranch_scc1 .LBB2078_390
; %bb.391:
	s_mov_b32 s8, 0
	v_mov_b32_e32 v6, 0x88
	v_mov_b32_e32 v7, 0xd0
	;; [unrolled: 1-line block ×3, first 2 shown]
.LBB2078_392:                           ; =>This Inner Loop Header: Depth=1
	v_add_u32_e32 v9, s8, v6
	v_add_u32_e32 v18, s8, v7
	buffer_load_dword v19, v9, s[0:3], 0 offen offset:4
	buffer_load_dword v20, v18, s[0:3], 0 offen offset:80
	buffer_load_dword v21, v9, s[0:3], 0 offen
	buffer_load_dword v22, v18, s[0:3], 0 offen offset:84
                                        ; kill: killed $vgpr9
	v_add_u32_e32 v9, s8, v8
	s_add_i32 s8, s8, 8
	s_cmp_lg_u32 s8, 16
                                        ; kill: killed $vgpr18
	s_waitcnt vmcnt(1)
	v_add_u32_e32 v18, v20, v21
	s_waitcnt vmcnt(0)
	v_add_u32_e32 v19, v22, v19
	buffer_store_dword v19, v9, s[0:3], 0 offen offset:4
	buffer_store_dword v18, v9, s[0:3], 0 offen
	s_cbranch_scc1 .LBB2078_392
; %bb.393:
	buffer_load_dword v6, off, s[0:3], 0
	buffer_load_dword v7, off, s[0:3], 0 offset:4
	buffer_load_dword v8, off, s[0:3], 0 offset:8
	;; [unrolled: 1-line block ×3, first 2 shown]
.LBB2078_394:
	s_or_b64 exec, exec, s[6:7]
	v_or_b32_e32 v16, v17, v16
	v_or_b32_e32 v15, v16, v15
	;; [unrolled: 1-line block ×4, first 2 shown]
	v_and_b32_e32 v1, 1, v1
	buffer_store_byte v1, off, s[0:3], 0 offset:152
	buffer_load_dword v14, off, s[0:3], 0 offset:152
	v_mbcnt_lo_u32_b32 v1, -1, 0
	v_mov_b32_e32 v17, 0
	s_waitcnt vmcnt(5)
	v_mov_b32_dpp v15, v6 row_shr:1 row_mask:0xf bank_mask:0xf
	v_mbcnt_hi_u32_b32 v1, -1, v1
	buffer_store_dword v3, off, s[0:3], 0 offset:120
	buffer_store_dword v2, off, s[0:3], 0 offset:116
	;; [unrolled: 1-line block ×4, first 2 shown]
	s_waitcnt vmcnt(8)
	buffer_store_dword v7, off, s[0:3], 0 offset:140
	buffer_store_dword v6, off, s[0:3], 0 offset:136
	s_waitcnt vmcnt(8)
	buffer_store_dword v9, off, s[0:3], 0 offset:148
	buffer_store_dword v8, off, s[0:3], 0 offset:144
	v_mov_b32_dpp v16, v7 row_shr:1 row_mask:0xf bank_mask:0xf
	v_mov_b32_dpp v18, v8 row_shr:1 row_mask:0xf bank_mask:0xf
	v_mov_b32_dpp v19, v9 row_shr:1 row_mask:0xf bank_mask:0xf
	buffer_store_byte v17, off, s[0:3], 0 offset:132
	buffer_store_dword v15, off, s[0:3], 0
	buffer_store_dword v16, off, s[0:3], 0 offset:4
	buffer_store_dword v18, off, s[0:3], 0 offset:8
	;; [unrolled: 1-line block ×3, first 2 shown]
	v_and_b32_e32 v15, 15, v1
	v_cmp_ne_u32_e32 vcc, 0, v15
	s_waitcnt vmcnt(13)
	v_mov_b32_dpp v16, v14 row_shr:1 row_mask:0xf bank_mask:0xf
	buffer_store_dword v16, off, s[0:3], 0 offset:16
	s_and_saveexec_b64 s[6:7], vcc
	s_xor_b64 s[6:7], exec, s[6:7]
	s_cbranch_execz .LBB2078_402
; %bb.395:
	v_cmp_eq_u16_sdwa s[10:11], v14, v17 src0_sel:BYTE_0 src1_sel:DWORD
	s_and_saveexec_b64 s[8:9], s[10:11]
	s_cbranch_execz .LBB2078_401
; %bb.396:
	s_mov_b32 s10, 0
	v_mov_b32_e32 v6, 0x60
	v_mov_b32_e32 v7, 0
.LBB2078_397:                           ; =>This Inner Loop Header: Depth=1
	v_add_u32_e32 v8, s10, v6
	s_add_i32 s10, s10, 8
	s_cmp_lg_u32 s10, 16
	buffer_store_dword v7, v8, s[0:3], 0 offen offset:4
	buffer_store_dword v7, v8, s[0:3], 0 offen
	s_cbranch_scc1 .LBB2078_397
; %bb.398:
	s_mov_b32 s10, 0
	v_mov_b32_e32 v6, 0
	v_mov_b32_e32 v7, 0x88
	;; [unrolled: 1-line block ×3, first 2 shown]
.LBB2078_399:                           ; =>This Inner Loop Header: Depth=1
	v_add_u32_e32 v9, s10, v6
	v_add_u32_e32 v17, s10, v7
	buffer_load_dword v18, v9, s[0:3], 0 offen offset:4
	buffer_load_dword v19, v17, s[0:3], 0 offen
	buffer_load_dword v20, v9, s[0:3], 0 offen
	buffer_load_dword v21, v17, s[0:3], 0 offen offset:4
                                        ; kill: killed $vgpr9
	v_add_u32_e32 v9, s10, v8
	s_add_i32 s10, s10, 8
	s_cmp_lg_u32 s10, 16
                                        ; kill: killed $vgpr17
	s_waitcnt vmcnt(1)
	v_add_u32_e32 v17, v19, v20
	s_waitcnt vmcnt(0)
	v_add_u32_e32 v18, v21, v18
	buffer_store_dword v18, v9, s[0:3], 0 offen offset:4
	buffer_store_dword v17, v9, s[0:3], 0 offen
	s_cbranch_scc1 .LBB2078_399
; %bb.400:
	buffer_load_dword v6, off, s[0:3], 0 offset:96
	buffer_load_dword v7, off, s[0:3], 0 offset:100
	;; [unrolled: 1-line block ×4, first 2 shown]
.LBB2078_401:
	s_or_b64 exec, exec, s[8:9]
	v_or_b32_e32 v14, v16, v14
	v_and_b32_e32 v14, 1, v14
	buffer_store_byte v14, off, s[0:3], 0 offset:152
	buffer_load_dword v14, off, s[0:3], 0 offset:152
	s_waitcnt vmcnt(4)
	buffer_store_dword v7, off, s[0:3], 0 offset:140
	buffer_store_dword v6, off, s[0:3], 0 offset:136
	s_waitcnt vmcnt(4)
	buffer_store_dword v9, off, s[0:3], 0 offset:148
	buffer_store_dword v8, off, s[0:3], 0 offset:144
.LBB2078_402:
	s_or_b64 exec, exec, s[6:7]
	v_mov_b32_dpp v17, v6 row_shr:2 row_mask:0xf bank_mask:0xf
	s_waitcnt vmcnt(4)
	v_mov_b32_dpp v16, v14 row_shr:2 row_mask:0xf bank_mask:0xf
	v_cmp_lt_u32_e32 vcc, 1, v15
	v_mov_b32_dpp v18, v7 row_shr:2 row_mask:0xf bank_mask:0xf
	v_mov_b32_dpp v19, v8 row_shr:2 row_mask:0xf bank_mask:0xf
	;; [unrolled: 1-line block ×3, first 2 shown]
	buffer_store_dword v17, off, s[0:3], 0
	buffer_store_dword v18, off, s[0:3], 0 offset:4
	buffer_store_dword v19, off, s[0:3], 0 offset:8
	;; [unrolled: 1-line block ×4, first 2 shown]
	s_and_saveexec_b64 s[8:9], vcc
	s_cbranch_execz .LBB2078_410
; %bb.403:
	v_mov_b32_e32 v17, 0
	s_mov_b32 s10, 0
	v_cmp_eq_u16_sdwa s[12:13], v14, v17 src0_sel:BYTE_0 src1_sel:DWORD
	s_and_saveexec_b64 s[6:7], s[12:13]
	s_cbranch_execz .LBB2078_409
; %bb.404:
	v_mov_b32_e32 v6, 0x60
.LBB2078_405:                           ; =>This Inner Loop Header: Depth=1
	v_add_u32_e32 v7, s10, v6
	s_add_i32 s10, s10, 8
	s_cmp_lg_u32 s10, 16
	buffer_store_dword v17, v7, s[0:3], 0 offen offset:4
	buffer_store_dword v17, v7, s[0:3], 0 offen
	s_cbranch_scc1 .LBB2078_405
; %bb.406:
	s_mov_b32 s10, 0
	v_mov_b32_e32 v6, 0
	v_mov_b32_e32 v7, 0x88
	;; [unrolled: 1-line block ×3, first 2 shown]
.LBB2078_407:                           ; =>This Inner Loop Header: Depth=1
	v_add_u32_e32 v9, s10, v6
	v_add_u32_e32 v17, s10, v7
	buffer_load_dword v18, v9, s[0:3], 0 offen offset:4
	buffer_load_dword v19, v17, s[0:3], 0 offen
	buffer_load_dword v20, v9, s[0:3], 0 offen
	buffer_load_dword v21, v17, s[0:3], 0 offen offset:4
                                        ; kill: killed $vgpr9
	v_add_u32_e32 v9, s10, v8
	s_add_i32 s10, s10, 8
	s_cmp_lg_u32 s10, 16
                                        ; kill: killed $vgpr17
	s_waitcnt vmcnt(1)
	v_add_u32_e32 v17, v19, v20
	s_waitcnt vmcnt(0)
	v_add_u32_e32 v18, v21, v18
	buffer_store_dword v18, v9, s[0:3], 0 offen offset:4
	buffer_store_dword v17, v9, s[0:3], 0 offen
	s_cbranch_scc1 .LBB2078_407
; %bb.408:
	buffer_load_dword v6, off, s[0:3], 0 offset:96
	buffer_load_dword v7, off, s[0:3], 0 offset:100
	;; [unrolled: 1-line block ×4, first 2 shown]
.LBB2078_409:
	s_or_b64 exec, exec, s[6:7]
	v_and_b32_e32 v14, 1, v14
	v_cmp_eq_u32_e32 vcc, 1, v14
	v_and_b32_e32 v14, 1, v16
	v_cmp_eq_u32_e64 s[6:7], 1, v14
	s_or_b64 s[6:7], vcc, s[6:7]
	v_cndmask_b32_e64 v14, 0, 1, s[6:7]
	buffer_store_byte v14, off, s[0:3], 0 offset:152
	buffer_load_dword v14, off, s[0:3], 0 offset:152
	s_waitcnt vmcnt(4)
	buffer_store_dword v7, off, s[0:3], 0 offset:140
	buffer_store_dword v6, off, s[0:3], 0 offset:136
	s_waitcnt vmcnt(4)
	buffer_store_dword v9, off, s[0:3], 0 offset:148
	buffer_store_dword v8, off, s[0:3], 0 offset:144
.LBB2078_410:
	s_or_b64 exec, exec, s[8:9]
	v_mov_b32_dpp v17, v6 row_shr:4 row_mask:0xf bank_mask:0xf
	s_waitcnt vmcnt(4)
	v_mov_b32_dpp v16, v14 row_shr:4 row_mask:0xf bank_mask:0xf
	v_cmp_lt_u32_e32 vcc, 3, v15
	v_mov_b32_dpp v18, v7 row_shr:4 row_mask:0xf bank_mask:0xf
	v_mov_b32_dpp v19, v8 row_shr:4 row_mask:0xf bank_mask:0xf
	;; [unrolled: 1-line block ×3, first 2 shown]
	buffer_store_dword v17, off, s[0:3], 0
	buffer_store_dword v18, off, s[0:3], 0 offset:4
	buffer_store_dword v19, off, s[0:3], 0 offset:8
	;; [unrolled: 1-line block ×4, first 2 shown]
	s_and_saveexec_b64 s[8:9], vcc
	s_cbranch_execz .LBB2078_418
; %bb.411:
	v_mov_b32_e32 v17, 0
	s_mov_b32 s10, 0
	v_cmp_eq_u16_sdwa s[12:13], v14, v17 src0_sel:BYTE_0 src1_sel:DWORD
	s_and_saveexec_b64 s[6:7], s[12:13]
	s_cbranch_execz .LBB2078_417
; %bb.412:
	v_mov_b32_e32 v6, 0x60
.LBB2078_413:                           ; =>This Inner Loop Header: Depth=1
	v_add_u32_e32 v7, s10, v6
	s_add_i32 s10, s10, 8
	s_cmp_lg_u32 s10, 16
	buffer_store_dword v17, v7, s[0:3], 0 offen offset:4
	buffer_store_dword v17, v7, s[0:3], 0 offen
	s_cbranch_scc1 .LBB2078_413
; %bb.414:
	s_mov_b32 s10, 0
	v_mov_b32_e32 v6, 0
	v_mov_b32_e32 v7, 0x88
	;; [unrolled: 1-line block ×3, first 2 shown]
.LBB2078_415:                           ; =>This Inner Loop Header: Depth=1
	v_add_u32_e32 v9, s10, v6
	v_add_u32_e32 v17, s10, v7
	buffer_load_dword v18, v9, s[0:3], 0 offen offset:4
	buffer_load_dword v19, v17, s[0:3], 0 offen
	buffer_load_dword v20, v9, s[0:3], 0 offen
	buffer_load_dword v21, v17, s[0:3], 0 offen offset:4
                                        ; kill: killed $vgpr9
	v_add_u32_e32 v9, s10, v8
	s_add_i32 s10, s10, 8
	s_cmp_lg_u32 s10, 16
                                        ; kill: killed $vgpr17
	s_waitcnt vmcnt(1)
	v_add_u32_e32 v17, v19, v20
	s_waitcnt vmcnt(0)
	v_add_u32_e32 v18, v21, v18
	buffer_store_dword v18, v9, s[0:3], 0 offen offset:4
	buffer_store_dword v17, v9, s[0:3], 0 offen
	s_cbranch_scc1 .LBB2078_415
; %bb.416:
	buffer_load_dword v6, off, s[0:3], 0 offset:96
	buffer_load_dword v7, off, s[0:3], 0 offset:100
	;; [unrolled: 1-line block ×4, first 2 shown]
.LBB2078_417:
	s_or_b64 exec, exec, s[6:7]
	v_and_b32_e32 v14, 1, v14
	v_cmp_eq_u32_e32 vcc, 1, v14
	v_and_b32_e32 v14, 1, v16
	v_cmp_eq_u32_e64 s[6:7], 1, v14
	s_or_b64 s[6:7], vcc, s[6:7]
	v_cndmask_b32_e64 v14, 0, 1, s[6:7]
	buffer_store_byte v14, off, s[0:3], 0 offset:152
	buffer_load_dword v14, off, s[0:3], 0 offset:152
	s_waitcnt vmcnt(4)
	buffer_store_dword v7, off, s[0:3], 0 offset:140
	buffer_store_dword v6, off, s[0:3], 0 offset:136
	s_waitcnt vmcnt(4)
	buffer_store_dword v9, off, s[0:3], 0 offset:148
	buffer_store_dword v8, off, s[0:3], 0 offset:144
.LBB2078_418:
	s_or_b64 exec, exec, s[8:9]
	v_mov_b32_dpp v17, v6 row_shr:8 row_mask:0xf bank_mask:0xf
	s_waitcnt vmcnt(4)
	v_mov_b32_dpp v16, v14 row_shr:8 row_mask:0xf bank_mask:0xf
	v_cmp_lt_u32_e32 vcc, 7, v15
	v_mov_b32_dpp v18, v7 row_shr:8 row_mask:0xf bank_mask:0xf
	v_mov_b32_dpp v19, v8 row_shr:8 row_mask:0xf bank_mask:0xf
	v_mov_b32_dpp v20, v9 row_shr:8 row_mask:0xf bank_mask:0xf
	buffer_store_dword v17, off, s[0:3], 0
	buffer_store_dword v18, off, s[0:3], 0 offset:4
	buffer_store_dword v19, off, s[0:3], 0 offset:8
	;; [unrolled: 1-line block ×4, first 2 shown]
	s_and_saveexec_b64 s[8:9], vcc
	s_cbranch_execz .LBB2078_426
; %bb.419:
	v_mov_b32_e32 v15, 0
	s_mov_b32 s10, 0
	v_cmp_eq_u16_sdwa s[12:13], v14, v15 src0_sel:BYTE_0 src1_sel:DWORD
	s_and_saveexec_b64 s[6:7], s[12:13]
	s_cbranch_execz .LBB2078_425
; %bb.420:
	v_mov_b32_e32 v6, 0x60
.LBB2078_421:                           ; =>This Inner Loop Header: Depth=1
	v_add_u32_e32 v7, s10, v6
	s_add_i32 s10, s10, 8
	s_cmp_lg_u32 s10, 16
	buffer_store_dword v15, v7, s[0:3], 0 offen offset:4
	buffer_store_dword v15, v7, s[0:3], 0 offen
	s_cbranch_scc1 .LBB2078_421
; %bb.422:
	s_mov_b32 s10, 0
	v_mov_b32_e32 v6, 0
	v_mov_b32_e32 v7, 0x88
	;; [unrolled: 1-line block ×3, first 2 shown]
.LBB2078_423:                           ; =>This Inner Loop Header: Depth=1
	v_add_u32_e32 v9, s10, v6
	v_add_u32_e32 v15, s10, v7
	buffer_load_dword v17, v9, s[0:3], 0 offen offset:4
	buffer_load_dword v18, v15, s[0:3], 0 offen
	buffer_load_dword v19, v9, s[0:3], 0 offen
	buffer_load_dword v20, v15, s[0:3], 0 offen offset:4
                                        ; kill: killed $vgpr9
	v_add_u32_e32 v9, s10, v8
	s_add_i32 s10, s10, 8
	s_cmp_lg_u32 s10, 16
                                        ; kill: killed $vgpr15
	s_waitcnt vmcnt(1)
	v_add_u32_e32 v15, v18, v19
	s_waitcnt vmcnt(0)
	v_add_u32_e32 v17, v20, v17
	buffer_store_dword v17, v9, s[0:3], 0 offen offset:4
	buffer_store_dword v15, v9, s[0:3], 0 offen
	s_cbranch_scc1 .LBB2078_423
; %bb.424:
	buffer_load_dword v6, off, s[0:3], 0 offset:96
	buffer_load_dword v7, off, s[0:3], 0 offset:100
	;; [unrolled: 1-line block ×4, first 2 shown]
.LBB2078_425:
	s_or_b64 exec, exec, s[6:7]
	v_and_b32_e32 v14, 1, v14
	v_cmp_eq_u32_e32 vcc, 1, v14
	v_and_b32_e32 v14, 1, v16
	v_cmp_eq_u32_e64 s[6:7], 1, v14
	s_or_b64 s[6:7], vcc, s[6:7]
	v_cndmask_b32_e64 v14, 0, 1, s[6:7]
	buffer_store_byte v14, off, s[0:3], 0 offset:152
	buffer_load_dword v14, off, s[0:3], 0 offset:152
	s_waitcnt vmcnt(4)
	buffer_store_dword v7, off, s[0:3], 0 offset:140
	buffer_store_dword v6, off, s[0:3], 0 offset:136
	s_waitcnt vmcnt(4)
	buffer_store_dword v9, off, s[0:3], 0 offset:148
	buffer_store_dword v8, off, s[0:3], 0 offset:144
.LBB2078_426:
	s_or_b64 exec, exec, s[8:9]
	v_mov_b32_dpp v16, v6 row_bcast:15 row_mask:0xf bank_mask:0xf
	v_mov_b32_dpp v17, v7 row_bcast:15 row_mask:0xf bank_mask:0xf
	;; [unrolled: 1-line block ×4, first 2 shown]
	s_waitcnt vmcnt(4)
	v_mov_b32_dpp v15, v14 row_bcast:15 row_mask:0xf bank_mask:0xf
	buffer_store_dword v16, off, s[0:3], 0
	buffer_store_dword v17, off, s[0:3], 0 offset:4
	buffer_store_dword v18, off, s[0:3], 0 offset:8
	;; [unrolled: 1-line block ×4, first 2 shown]
	v_and_b32_e32 v16, 16, v1
	v_cmp_ne_u32_e32 vcc, 0, v16
	s_and_saveexec_b64 s[8:9], vcc
	s_cbranch_execz .LBB2078_434
; %bb.427:
	v_mov_b32_e32 v16, 0
	s_mov_b32 s10, 0
	v_cmp_eq_u16_sdwa s[12:13], v14, v16 src0_sel:BYTE_0 src1_sel:DWORD
	s_and_saveexec_b64 s[6:7], s[12:13]
	s_cbranch_execz .LBB2078_433
; %bb.428:
	v_mov_b32_e32 v6, 0x60
.LBB2078_429:                           ; =>This Inner Loop Header: Depth=1
	v_add_u32_e32 v7, s10, v6
	s_add_i32 s10, s10, 8
	s_cmp_lg_u32 s10, 16
	buffer_store_dword v16, v7, s[0:3], 0 offen offset:4
	buffer_store_dword v16, v7, s[0:3], 0 offen
	s_cbranch_scc1 .LBB2078_429
; %bb.430:
	s_mov_b32 s10, 0
	v_mov_b32_e32 v6, 0
	v_mov_b32_e32 v7, 0x88
	;; [unrolled: 1-line block ×3, first 2 shown]
.LBB2078_431:                           ; =>This Inner Loop Header: Depth=1
	v_add_u32_e32 v9, s10, v6
	v_add_u32_e32 v16, s10, v7
	buffer_load_dword v17, v9, s[0:3], 0 offen offset:4
	buffer_load_dword v18, v16, s[0:3], 0 offen
	buffer_load_dword v19, v9, s[0:3], 0 offen
	buffer_load_dword v20, v16, s[0:3], 0 offen offset:4
                                        ; kill: killed $vgpr9
	v_add_u32_e32 v9, s10, v8
	s_add_i32 s10, s10, 8
	s_cmp_lg_u32 s10, 16
                                        ; kill: killed $vgpr16
	s_waitcnt vmcnt(1)
	v_add_u32_e32 v16, v18, v19
	s_waitcnt vmcnt(0)
	v_add_u32_e32 v17, v20, v17
	buffer_store_dword v17, v9, s[0:3], 0 offen offset:4
	buffer_store_dword v16, v9, s[0:3], 0 offen
	s_cbranch_scc1 .LBB2078_431
; %bb.432:
	buffer_load_dword v6, off, s[0:3], 0 offset:96
	buffer_load_dword v7, off, s[0:3], 0 offset:100
	;; [unrolled: 1-line block ×4, first 2 shown]
.LBB2078_433:
	s_or_b64 exec, exec, s[6:7]
	v_and_b32_e32 v14, 1, v14
	v_cmp_eq_u32_e32 vcc, 1, v14
	v_and_b32_e32 v14, 1, v15
	v_cmp_eq_u32_e64 s[6:7], 1, v14
	s_or_b64 s[6:7], vcc, s[6:7]
	v_cndmask_b32_e64 v14, 0, 1, s[6:7]
	buffer_store_byte v14, off, s[0:3], 0 offset:152
	buffer_load_dword v14, off, s[0:3], 0 offset:152
	s_waitcnt vmcnt(4)
	buffer_store_dword v7, off, s[0:3], 0 offset:140
	buffer_store_dword v6, off, s[0:3], 0 offset:136
	s_waitcnt vmcnt(4)
	buffer_store_dword v9, off, s[0:3], 0 offset:148
	buffer_store_dword v8, off, s[0:3], 0 offset:144
.LBB2078_434:
	s_or_b64 exec, exec, s[8:9]
	v_mov_b32_dpp v16, v6 row_bcast:31 row_mask:0xf bank_mask:0xf
	s_waitcnt vmcnt(4)
	v_mov_b32_dpp v15, v14 row_bcast:31 row_mask:0xf bank_mask:0xf
	v_cmp_lt_u32_e32 vcc, 31, v1
	v_mov_b32_dpp v17, v7 row_bcast:31 row_mask:0xf bank_mask:0xf
	v_mov_b32_dpp v18, v8 row_bcast:31 row_mask:0xf bank_mask:0xf
	;; [unrolled: 1-line block ×3, first 2 shown]
	buffer_store_dword v16, off, s[0:3], 0
	buffer_store_dword v17, off, s[0:3], 0 offset:4
	buffer_store_dword v18, off, s[0:3], 0 offset:8
	;; [unrolled: 1-line block ×4, first 2 shown]
	s_and_saveexec_b64 s[8:9], vcc
	s_cbranch_execz .LBB2078_442
; %bb.435:
	v_mov_b32_e32 v16, 0
	s_mov_b32 s10, 0
	v_cmp_eq_u16_sdwa s[12:13], v14, v16 src0_sel:BYTE_0 src1_sel:DWORD
	s_and_saveexec_b64 s[6:7], s[12:13]
	s_cbranch_execz .LBB2078_441
; %bb.436:
	v_mov_b32_e32 v6, 0x60
.LBB2078_437:                           ; =>This Inner Loop Header: Depth=1
	v_add_u32_e32 v7, s10, v6
	s_add_i32 s10, s10, 8
	s_cmp_lg_u32 s10, 16
	buffer_store_dword v16, v7, s[0:3], 0 offen offset:4
	buffer_store_dword v16, v7, s[0:3], 0 offen
	s_cbranch_scc1 .LBB2078_437
; %bb.438:
	s_mov_b32 s10, 0
	v_mov_b32_e32 v6, 0
	v_mov_b32_e32 v7, 0x88
	;; [unrolled: 1-line block ×3, first 2 shown]
.LBB2078_439:                           ; =>This Inner Loop Header: Depth=1
	v_add_u32_e32 v9, s10, v6
	v_add_u32_e32 v16, s10, v7
	buffer_load_dword v17, v9, s[0:3], 0 offen offset:4
	buffer_load_dword v18, v16, s[0:3], 0 offen
	buffer_load_dword v19, v9, s[0:3], 0 offen
	buffer_load_dword v20, v16, s[0:3], 0 offen offset:4
                                        ; kill: killed $vgpr9
	v_add_u32_e32 v9, s10, v8
	s_add_i32 s10, s10, 8
	s_cmp_lg_u32 s10, 16
                                        ; kill: killed $vgpr16
	s_waitcnt vmcnt(1)
	v_add_u32_e32 v16, v18, v19
	s_waitcnt vmcnt(0)
	v_add_u32_e32 v17, v20, v17
	buffer_store_dword v17, v9, s[0:3], 0 offen offset:4
	buffer_store_dword v16, v9, s[0:3], 0 offen
	s_cbranch_scc1 .LBB2078_439
; %bb.440:
	buffer_load_dword v6, off, s[0:3], 0 offset:96
	buffer_load_dword v7, off, s[0:3], 0 offset:100
	;; [unrolled: 1-line block ×4, first 2 shown]
.LBB2078_441:
	s_or_b64 exec, exec, s[6:7]
	v_and_b32_e32 v14, 1, v14
	v_cmp_eq_u32_e32 vcc, 1, v14
	v_and_b32_e32 v14, 1, v15
	v_cmp_eq_u32_e64 s[6:7], 1, v14
	s_or_b64 s[6:7], vcc, s[6:7]
	v_cndmask_b32_e64 v14, 0, 1, s[6:7]
	s_waitcnt vmcnt(2)
	buffer_store_dword v7, off, s[0:3], 0 offset:140
	buffer_store_dword v6, off, s[0:3], 0 offset:136
	s_waitcnt vmcnt(2)
	buffer_store_dword v9, off, s[0:3], 0 offset:148
	buffer_store_dword v8, off, s[0:3], 0 offset:144
	buffer_store_byte v14, off, s[0:3], 0 offset:152
.LBB2078_442:
	s_or_b64 exec, exec, s[8:9]
	v_or_b32_e32 v16, 63, v0
	v_lshrrev_b32_e32 v15, 6, v0
	v_cmp_eq_u32_e32 vcc, v16, v0
	s_and_saveexec_b64 s[6:7], vcc
	s_cbranch_execz .LBB2078_444
; %bb.443:
	v_mul_u32_u24_e32 v16, 20, v15
	ds_write2_b32 v16, v6, v7 offset1:1
	ds_write2_b32 v16, v8, v9 offset0:2 offset1:3
	ds_write_b8 v16, v14 offset:16
.LBB2078_444:
	s_or_b64 exec, exec, s[6:7]
	v_cmp_gt_u32_e32 vcc, 4, v0
	s_waitcnt lgkmcnt(0)
	s_barrier
	s_and_saveexec_b64 s[8:9], vcc
	s_cbranch_execz .LBB2078_462
; %bb.445:
	v_mul_u32_u24_e32 v14, 20, v0
	ds_read_b32 v16, v14 offset:16
	ds_read2_b32 v[6:7], v14 offset0:2 offset1:3
	ds_read2_b32 v[8:9], v14 offset1:1
	v_and_b32_e32 v17, 3, v1
	v_cmp_ne_u32_e32 vcc, 0, v17
	s_waitcnt lgkmcnt(2)
	v_mov_b32_dpp v18, v16 row_shr:1 row_mask:0xf bank_mask:0xf
	s_waitcnt lgkmcnt(1)
	v_mov_b32_dpp v21, v6 row_shr:1 row_mask:0xf bank_mask:0xf
	;; [unrolled: 2-line block ×3, first 2 shown]
	buffer_store_dword v16, off, s[0:3], 0 offset:112
	buffer_store_dword v7, off, s[0:3], 0 offset:108
	buffer_store_dword v6, off, s[0:3], 0 offset:104
	buffer_store_dword v9, off, s[0:3], 0 offset:100
	buffer_store_dword v8, off, s[0:3], 0 offset:96
	v_mov_b32_dpp v20, v9 row_shr:1 row_mask:0xf bank_mask:0xf
	v_mov_b32_dpp v22, v7 row_shr:1 row_mask:0xf bank_mask:0xf
	buffer_store_dword v19, off, s[0:3], 0
	buffer_store_dword v20, off, s[0:3], 0 offset:4
	buffer_store_dword v21, off, s[0:3], 0 offset:8
	;; [unrolled: 1-line block ×4, first 2 shown]
	s_and_saveexec_b64 s[6:7], vcc
	s_cbranch_execz .LBB2078_453
; %bb.446:
	v_mov_b32_e32 v19, 0
	v_cmp_eq_u16_sdwa s[12:13], v16, v19 src0_sel:BYTE_0 src1_sel:DWORD
	s_and_saveexec_b64 s[10:11], s[12:13]
	s_cbranch_execz .LBB2078_452
; %bb.447:
	s_mov_b32 s12, 0
	v_mov_b32_e32 v6, 0x50
.LBB2078_448:                           ; =>This Inner Loop Header: Depth=1
	v_add_u32_e32 v7, s12, v6
	s_add_i32 s12, s12, 8
	s_cmp_lg_u32 s12, 16
	buffer_store_dword v19, v7, s[0:3], 0 offen offset:4
	buffer_store_dword v19, v7, s[0:3], 0 offen
	s_cbranch_scc1 .LBB2078_448
; %bb.449:
	s_mov_b32 s12, 0
	v_mov_b32_e32 v6, 0
	v_mov_b32_e32 v7, 0x60
	;; [unrolled: 1-line block ×3, first 2 shown]
.LBB2078_450:                           ; =>This Inner Loop Header: Depth=1
	v_add_u32_e32 v9, s12, v6
	v_add_u32_e32 v19, s12, v7
	buffer_load_dword v20, v9, s[0:3], 0 offen offset:4
	buffer_load_dword v21, v19, s[0:3], 0 offen
	buffer_load_dword v22, v9, s[0:3], 0 offen
	buffer_load_dword v23, v19, s[0:3], 0 offen offset:4
                                        ; kill: killed $vgpr9
	v_add_u32_e32 v9, s12, v8
	s_add_i32 s12, s12, 8
	s_cmp_lg_u32 s12, 16
                                        ; kill: killed $vgpr19
	s_waitcnt vmcnt(1)
	v_add_u32_e32 v19, v21, v22
	s_waitcnt vmcnt(0)
	v_add_u32_e32 v20, v23, v20
	buffer_store_dword v20, v9, s[0:3], 0 offen offset:4
	buffer_store_dword v19, v9, s[0:3], 0 offen
	s_cbranch_scc1 .LBB2078_450
; %bb.451:
	buffer_load_dword v8, off, s[0:3], 0 offset:80
	buffer_load_dword v9, off, s[0:3], 0 offset:84
	;; [unrolled: 1-line block ×4, first 2 shown]
.LBB2078_452:
	s_or_b64 exec, exec, s[10:11]
	v_or_b32_e32 v16, v18, v16
	v_and_b32_e32 v16, 1, v16
	buffer_store_byte v16, off, s[0:3], 0 offset:112
	buffer_load_dword v16, off, s[0:3], 0 offset:112
	s_waitcnt vmcnt(4)
	buffer_store_dword v9, off, s[0:3], 0 offset:100
	buffer_store_dword v8, off, s[0:3], 0 offset:96
	s_waitcnt vmcnt(4)
	buffer_store_dword v7, off, s[0:3], 0 offset:108
	buffer_store_dword v6, off, s[0:3], 0 offset:104
.LBB2078_453:
	s_or_b64 exec, exec, s[6:7]
	v_mov_b32_dpp v19, v8 row_shr:2 row_mask:0xf bank_mask:0xf
	s_waitcnt vmcnt(4)
	v_mov_b32_dpp v18, v16 row_shr:2 row_mask:0xf bank_mask:0xf
	v_cmp_lt_u32_e32 vcc, 1, v17
	v_mov_b32_dpp v20, v9 row_shr:2 row_mask:0xf bank_mask:0xf
	v_mov_b32_dpp v21, v6 row_shr:2 row_mask:0xf bank_mask:0xf
	;; [unrolled: 1-line block ×3, first 2 shown]
	buffer_store_dword v19, off, s[0:3], 0
	buffer_store_dword v20, off, s[0:3], 0 offset:4
	buffer_store_dword v21, off, s[0:3], 0 offset:8
	;; [unrolled: 1-line block ×4, first 2 shown]
	s_and_saveexec_b64 s[10:11], vcc
	s_cbranch_execz .LBB2078_461
; %bb.454:
	v_mov_b32_e32 v17, 0
	s_mov_b32 s12, 0
	v_cmp_eq_u16_sdwa s[14:15], v16, v17 src0_sel:BYTE_0 src1_sel:DWORD
	s_and_saveexec_b64 s[6:7], s[14:15]
	s_cbranch_execz .LBB2078_460
; %bb.455:
	v_mov_b32_e32 v6, 0x50
.LBB2078_456:                           ; =>This Inner Loop Header: Depth=1
	v_add_u32_e32 v7, s12, v6
	s_add_i32 s12, s12, 8
	s_cmp_lg_u32 s12, 16
	buffer_store_dword v17, v7, s[0:3], 0 offen offset:4
	buffer_store_dword v17, v7, s[0:3], 0 offen
	s_cbranch_scc1 .LBB2078_456
; %bb.457:
	s_mov_b32 s12, 0
	v_mov_b32_e32 v6, 0
	v_mov_b32_e32 v7, 0x60
	;; [unrolled: 1-line block ×3, first 2 shown]
.LBB2078_458:                           ; =>This Inner Loop Header: Depth=1
	v_add_u32_e32 v9, s12, v6
	v_add_u32_e32 v17, s12, v7
	buffer_load_dword v19, v9, s[0:3], 0 offen offset:4
	buffer_load_dword v20, v17, s[0:3], 0 offen
	buffer_load_dword v21, v9, s[0:3], 0 offen
	buffer_load_dword v22, v17, s[0:3], 0 offen offset:4
                                        ; kill: killed $vgpr9
	v_add_u32_e32 v9, s12, v8
	s_add_i32 s12, s12, 8
	s_cmp_lg_u32 s12, 16
                                        ; kill: killed $vgpr17
	s_waitcnt vmcnt(1)
	v_add_u32_e32 v17, v20, v21
	s_waitcnt vmcnt(0)
	v_add_u32_e32 v19, v22, v19
	buffer_store_dword v19, v9, s[0:3], 0 offen offset:4
	buffer_store_dword v17, v9, s[0:3], 0 offen
	s_cbranch_scc1 .LBB2078_458
; %bb.459:
	buffer_load_dword v8, off, s[0:3], 0 offset:80
	buffer_load_dword v9, off, s[0:3], 0 offset:84
	;; [unrolled: 1-line block ×4, first 2 shown]
.LBB2078_460:
	s_or_b64 exec, exec, s[6:7]
	v_and_b32_e32 v16, 1, v16
	v_cmp_eq_u32_e32 vcc, 1, v16
	v_and_b32_e32 v16, 1, v18
	v_cmp_eq_u32_e64 s[6:7], 1, v16
	s_or_b64 s[6:7], vcc, s[6:7]
	v_cndmask_b32_e64 v16, 0, 1, s[6:7]
	s_waitcnt vmcnt(2)
	buffer_store_dword v9, off, s[0:3], 0 offset:100
	buffer_store_dword v8, off, s[0:3], 0 offset:96
	s_waitcnt vmcnt(2)
	buffer_store_dword v7, off, s[0:3], 0 offset:108
	buffer_store_dword v6, off, s[0:3], 0 offset:104
.LBB2078_461:
	s_or_b64 exec, exec, s[10:11]
	buffer_load_dword v6, off, s[0:3], 0 offset:104
	buffer_load_dword v7, off, s[0:3], 0 offset:108
	;; [unrolled: 1-line block ×4, first 2 shown]
	s_waitcnt vmcnt(2)
	ds_write2_b32 v14, v6, v7 offset0:2 offset1:3
	s_waitcnt vmcnt(0)
	ds_write2_b32 v14, v8, v9 offset1:1
	ds_write_b8 v14, v16 offset:16
.LBB2078_462:
	s_or_b64 exec, exec, s[8:9]
	s_waitcnt lgkmcnt(0)
	s_barrier
	buffer_load_dword v6, off, s[0:3], 0 offset:128
	buffer_load_dword v7, off, s[0:3], 0 offset:124
	buffer_load_dword v8, off, s[0:3], 0 offset:120
	buffer_load_dword v9, off, s[0:3], 0 offset:116
	buffer_load_dword v14, off, s[0:3], 0 offset:132
	v_cmp_lt_u32_e32 vcc, 63, v0
	s_waitcnt vmcnt(4)
	buffer_store_dword v6, off, s[0:3], 0 offset:12
	s_waitcnt vmcnt(4)
	buffer_store_dword v7, off, s[0:3], 0 offset:8
	;; [unrolled: 2-line block ×3, first 2 shown]
	s_waitcnt vmcnt(4)
	buffer_store_dword v9, off, s[0:3], 0
	s_waitcnt vmcnt(4)
	buffer_store_dword v14, off, s[0:3], 0 offset:16
	s_and_saveexec_b64 s[6:7], vcc
	s_cbranch_execz .LBB2078_472
; %bb.463:
	v_not_b32_e32 v6, 19
	v_mad_u32_u24 v15, v15, 20, v6
	ds_read_u8 v14, v15 offset:16
                                        ; implicit-def: $vgpr6_vgpr7
                                        ; implicit-def: $vgpr8_vgpr9
	s_waitcnt lgkmcnt(0)
	v_cmp_ne_u16_e32 vcc, 0, v14
	s_and_saveexec_b64 s[8:9], vcc
	s_xor_b64 s[8:9], exec, s[8:9]
	s_cbranch_execz .LBB2078_465
; %bb.464:
	ds_read2_b32 v[8:9], v15 offset1:1
	ds_read2_b32 v[6:7], v15 offset0:2 offset1:3
                                        ; implicit-def: $vgpr15
.LBB2078_465:
	s_andn2_saveexec_b64 s[8:9], s[8:9]
	s_cbranch_execz .LBB2078_471
; %bb.466:
	s_mov_b32 s10, 0
	s_waitcnt lgkmcnt(0)
	v_mov_b32_e32 v6, 0x60
	v_mov_b32_e32 v7, 0
.LBB2078_467:                           ; =>This Inner Loop Header: Depth=1
	v_add_u32_e32 v8, s10, v6
	s_add_i32 s10, s10, 8
	s_cmp_lg_u32 s10, 16
	buffer_store_dword v7, v8, s[0:3], 0 offen offset:4
	buffer_store_dword v7, v8, s[0:3], 0 offen
	s_cbranch_scc1 .LBB2078_467
; %bb.468:
	s_mov_b32 s10, 0
	v_mov_b32_e32 v6, 0x74
	v_mov_b32_e32 v7, 0x60
.LBB2078_469:                           ; =>This Inner Loop Header: Depth=1
	v_add_u32_e32 v8, s10, v6
	buffer_load_dword v16, v8, s[0:3], 0 offen
	buffer_load_dword v17, v8, s[0:3], 0 offen offset:4
                                        ; kill: killed $vgpr8
	v_add_u32_e32 v8, s10, v15
	ds_read2_b32 v[8:9], v8 offset1:1
	v_add_u32_e32 v18, s10, v7
	s_add_i32 s10, s10, 8
	s_cmp_lg_u32 s10, 16
	s_waitcnt vmcnt(1) lgkmcnt(0)
	v_add_u32_e32 v8, v8, v16
	s_waitcnt vmcnt(0)
	v_add_u32_e32 v9, v9, v17
	buffer_store_dword v9, v18, s[0:3], 0 offen offset:4
	buffer_store_dword v8, v18, s[0:3], 0 offen
	s_cbranch_scc1 .LBB2078_469
; %bb.470:
	buffer_load_dword v8, off, s[0:3], 0 offset:96
	buffer_load_dword v9, off, s[0:3], 0 offset:100
	;; [unrolled: 1-line block ×4, first 2 shown]
.LBB2078_471:
	s_or_b64 exec, exec, s[8:9]
	buffer_load_ubyte v15, off, s[0:3], 0 offset:132
	s_waitcnt vmcnt(3) lgkmcnt(1)
	buffer_store_dword v9, off, s[0:3], 0 offset:4
	buffer_store_dword v8, off, s[0:3], 0
	s_waitcnt vmcnt(3) lgkmcnt(0)
	buffer_store_dword v7, off, s[0:3], 0 offset:12
	s_waitcnt vmcnt(3)
	v_or_b32_e32 v7, v14, v15
	v_and_b32_e32 v7, 1, v7
	buffer_store_dword v6, off, s[0:3], 0 offset:8
	buffer_store_byte v7, off, s[0:3], 0 offset:16
.LBB2078_472:
	s_or_b64 exec, exec, s[6:7]
	buffer_load_ubyte v8, off, s[0:3], 0 offset:152
                                        ; implicit-def: $vgpr6_vgpr7
                                        ; implicit-def: $vgpr14
                                        ; implicit-def: $vgpr9
	s_waitcnt vmcnt(0)
	v_cmp_ne_u16_e32 vcc, 0, v8
	s_and_saveexec_b64 s[6:7], vcc
	s_xor_b64 s[6:7], exec, s[6:7]
	s_cbranch_execz .LBB2078_474
; %bb.473:
	buffer_load_dword v9, off, s[0:3], 0 offset:136
	buffer_load_dword v6, off, s[0:3], 0 offset:140
	;; [unrolled: 1-line block ×4, first 2 shown]
.LBB2078_474:
	s_andn2_saveexec_b64 s[6:7], s[6:7]
	s_cbranch_execz .LBB2078_480
; %bb.475:
	s_mov_b32 s8, 0
	s_waitcnt vmcnt(2)
	v_mov_b32_e32 v6, 0x60
	s_waitcnt vmcnt(1)
	v_mov_b32_e32 v7, 0
.LBB2078_476:                           ; =>This Inner Loop Header: Depth=1
	v_add_u32_e32 v9, s8, v6
	s_add_i32 s8, s8, 8
	s_cmp_lg_u32 s8, 16
	buffer_store_dword v7, v9, s[0:3], 0 offen offset:4
	buffer_store_dword v7, v9, s[0:3], 0 offen
	s_cbranch_scc1 .LBB2078_476
; %bb.477:
	s_mov_b32 s8, 0
	v_mov_b32_e32 v6, 0
	v_mov_b32_e32 v7, 0x88
	;; [unrolled: 1-line block ×3, first 2 shown]
.LBB2078_478:                           ; =>This Inner Loop Header: Depth=1
	s_waitcnt vmcnt(2)
	v_add_u32_e32 v14, s8, v6
	v_add_u32_e32 v15, s8, v7
	buffer_load_dword v16, v14, s[0:3], 0 offen offset:4
	buffer_load_dword v17, v15, s[0:3], 0 offen
	buffer_load_dword v18, v14, s[0:3], 0 offen
	buffer_load_dword v19, v15, s[0:3], 0 offen offset:4
                                        ; kill: killed $vgpr14
	v_add_u32_e32 v14, s8, v9
	s_add_i32 s8, s8, 8
	s_cmp_lg_u32 s8, 16
                                        ; kill: killed $vgpr15
	s_waitcnt vmcnt(1)
	v_add_u32_e32 v15, v17, v18
	s_waitcnt vmcnt(0)
	v_add_u32_e32 v16, v19, v16
	buffer_store_dword v16, v14, s[0:3], 0 offen offset:4
	buffer_store_dword v15, v14, s[0:3], 0 offen
	s_cbranch_scc1 .LBB2078_478
; %bb.479:
	buffer_load_dword v9, off, s[0:3], 0 offset:96
	buffer_load_dword v6, off, s[0:3], 0 offset:100
	;; [unrolled: 1-line block ×4, first 2 shown]
.LBB2078_480:
	s_or_b64 exec, exec, s[6:7]
	buffer_load_ubyte v15, off, s[0:3], 0 offset:16
	v_add_u32_e32 v16, -1, v1
	v_and_b32_e32 v17, 64, v1
	v_cmp_lt_i32_e32 vcc, v16, v17
	v_cndmask_b32_e32 v16, v16, v1, vcc
	v_lshlrev_b32_e32 v16, 2, v16
	s_waitcnt vmcnt(4)
	ds_bpermute_b32 v9, v16, v9
	s_waitcnt vmcnt(3)
	ds_bpermute_b32 v17, v16, v6
	;; [unrolled: 2-line block ×4, first 2 shown]
	v_cmp_eq_u32_e32 vcc, 0, v1
	s_waitcnt vmcnt(0)
	v_or_b32_e32 v8, v8, v15
	v_and_b32_e32 v8, 1, v8
	buffer_store_byte v8, off, s[0:3], 0 offset:152
	buffer_load_dword v8, off, s[0:3], 0 offset:152
	s_waitcnt lgkmcnt(3)
	buffer_store_dword v9, off, s[0:3], 0 offset:136
	s_waitcnt lgkmcnt(2)
	buffer_store_dword v17, off, s[0:3], 0 offset:140
	;; [unrolled: 2-line block ×4, first 2 shown]
	s_waitcnt vmcnt(4)
	ds_bpermute_b32 v6, v16, v8
	s_and_saveexec_b64 s[6:7], vcc
	s_cbranch_execz .LBB2078_482
; %bb.481:
	buffer_load_dword v1, off, s[0:3], 0 offset:12
	s_waitcnt lgkmcnt(0)
	buffer_load_dword v6, off, s[0:3], 0 offset:8
	buffer_load_dword v7, off, s[0:3], 0 offset:4
	buffer_load_dword v8, off, s[0:3], 0
	s_waitcnt vmcnt(3)
	buffer_store_dword v1, off, s[0:3], 0 offset:148
	s_waitcnt vmcnt(3)
	buffer_store_dword v6, off, s[0:3], 0 offset:144
	;; [unrolled: 2-line block ×4, first 2 shown]
	v_mov_b32_e32 v6, v15
.LBB2078_482:
	s_or_b64 exec, exec, s[6:7]
	buffer_load_dword v7, off, s[0:3], 0 offset:220
	buffer_load_dword v8, off, s[0:3], 0 offset:216
	;; [unrolled: 1-line block ×5, first 2 shown]
	v_mov_b32_e32 v1, 0
	v_cmp_eq_u32_e64 s[6:7], 0, v0
	v_cmp_ne_u32_e32 vcc, 0, v0
	buffer_store_dword v3, off, s[0:3], 0 offset:100
	buffer_store_dword v2, off, s[0:3], 0 offset:96
	;; [unrolled: 1-line block ×4, first 2 shown]
	buffer_store_byte v1, off, s[0:3], 0 offset:112
	s_waitcnt vmcnt(9)
	buffer_store_dword v7, off, s[0:3], 0 offset:12
	s_waitcnt vmcnt(9)
	buffer_store_dword v8, off, s[0:3], 0 offset:8
	;; [unrolled: 2-line block ×3, first 2 shown]
	s_waitcnt vmcnt(9)
	buffer_store_dword v14, off, s[0:3], 0
	s_waitcnt vmcnt(9)
	buffer_store_dword v15, off, s[0:3], 0 offset:16
	s_and_saveexec_b64 s[8:9], vcc
	s_cbranch_execz .LBB2078_484
; %bb.483:
	buffer_load_dword v1, off, s[0:3], 0 offset:148
	buffer_load_dword v2, off, s[0:3], 0 offset:144
	;; [unrolled: 1-line block ×4, first 2 shown]
	s_waitcnt vmcnt(3)
	buffer_store_dword v1, off, s[0:3], 0 offset:108
	s_waitcnt vmcnt(3)
	buffer_store_dword v2, off, s[0:3], 0 offset:104
	;; [unrolled: 2-line block ×4, first 2 shown]
	s_waitcnt lgkmcnt(0)
	v_mov_b32_e32 v1, v6
.LBB2078_484:
	s_or_b64 exec, exec, s[8:9]
	buffer_load_dword v2, off, s[0:3], 0 offset:108
	buffer_load_dword v3, off, s[0:3], 0 offset:104
	;; [unrolled: 1-line block ×4, first 2 shown]
	buffer_load_ubyte v7, off, s[0:3], 0 offset:16
	s_nop 0
	buffer_store_byte v1, off, s[0:3], 0 offset:224
	s_waitcnt vmcnt(5)
	buffer_store_dword v2, off, s[0:3], 0 offset:220
	s_waitcnt vmcnt(5)
	buffer_store_dword v3, off, s[0:3], 0 offset:216
	;; [unrolled: 2-line block ×4, first 2 shown]
	s_waitcnt vmcnt(5)
	v_cmp_ne_u16_e32 vcc, 0, v7
                                        ; implicit-def: $vgpr4_vgpr5
                                        ; implicit-def: $vgpr2_vgpr3
	s_and_saveexec_b64 s[8:9], vcc
	s_xor_b64 s[8:9], exec, s[8:9]
	s_cbranch_execz .LBB2078_486
; %bb.485:
	buffer_load_dword v2, off, s[0:3], 0
	buffer_load_dword v3, off, s[0:3], 0 offset:4
	buffer_load_dword v4, off, s[0:3], 0 offset:8
	;; [unrolled: 1-line block ×3, first 2 shown]
.LBB2078_486:
	s_andn2_saveexec_b64 s[8:9], s[8:9]
	s_cbranch_execz .LBB2078_492
; %bb.487:
	s_mov_b32 s10, 0
	s_waitcnt vmcnt(3)
	v_mov_b32_e32 v2, 0x74
	s_waitcnt vmcnt(2)
	v_mov_b32_e32 v3, 0
	s_waitcnt vmcnt(0)
.LBB2078_488:                           ; =>This Inner Loop Header: Depth=1
	v_add_u32_e32 v4, s10, v2
	s_add_i32 s10, s10, 8
	s_cmp_lg_u32 s10, 16
	buffer_store_dword v3, v4, s[0:3], 0 offen offset:4
	buffer_store_dword v3, v4, s[0:3], 0 offen
	s_cbranch_scc1 .LBB2078_488
; %bb.489:
	s_mov_b32 s10, 0
	v_mov_b32_e32 v2, 0x60
	v_mov_b32_e32 v3, 0
	;; [unrolled: 1-line block ×3, first 2 shown]
.LBB2078_490:                           ; =>This Inner Loop Header: Depth=1
	v_add_u32_e32 v5, s10, v2
	s_waitcnt lgkmcnt(0)
	v_add_u32_e32 v6, s10, v3
	buffer_load_dword v8, v5, s[0:3], 0 offen offset:4
	buffer_load_dword v9, v6, s[0:3], 0 offen
	buffer_load_dword v14, v5, s[0:3], 0 offen
	buffer_load_dword v15, v6, s[0:3], 0 offen offset:4
                                        ; kill: killed $vgpr5
	v_add_u32_e32 v5, s10, v4
	s_add_i32 s10, s10, 8
	s_cmp_lg_u32 s10, 16
                                        ; kill: killed $vgpr6
	s_waitcnt vmcnt(1)
	v_add_u32_e32 v6, v9, v14
	s_waitcnt vmcnt(0)
	v_add_u32_e32 v8, v15, v8
	buffer_store_dword v8, v5, s[0:3], 0 offen offset:4
	buffer_store_dword v6, v5, s[0:3], 0 offen
	s_cbranch_scc1 .LBB2078_490
; %bb.491:
	buffer_load_dword v2, off, s[0:3], 0 offset:116
	buffer_load_dword v3, off, s[0:3], 0 offset:120
	;; [unrolled: 1-line block ×4, first 2 shown]
.LBB2078_492:
	s_or_b64 exec, exec, s[8:9]
	buffer_load_dword v8, v10, s[0:3], 0 offen offset:12
	buffer_load_dword v9, v10, s[0:3], 0 offen offset:8
	;; [unrolled: 1-line block ×3, first 2 shown]
	buffer_load_dword v15, v10, s[0:3], 0 offen
	s_waitcnt lgkmcnt(0)
	buffer_load_ubyte v6, off, s[0:3], 0 offset:244
	v_or_b32_e32 v1, v7, v1
	v_and_b32_e32 v1, 1, v1
	v_cmp_eq_u32_e32 vcc, 1, v1
	s_waitcnt vmcnt(7)
	buffer_store_dword v3, off, s[0:3], 0 offset:100
	buffer_store_dword v2, off, s[0:3], 0 offset:96
	s_waitcnt vmcnt(7)
	buffer_store_dword v5, off, s[0:3], 0 offset:108
	buffer_store_dword v4, off, s[0:3], 0 offset:104
	buffer_store_dword v2, v10, s[0:3], 0 offen
	buffer_store_dword v3, v10, s[0:3], 0 offen offset:4
	buffer_store_dword v4, v10, s[0:3], 0 offen offset:8
	;; [unrolled: 1-line block ×3, first 2 shown]
                                        ; implicit-def: $vgpr4_vgpr5
                                        ; implicit-def: $vgpr2_vgpr3
	buffer_store_byte v1, off, s[0:3], 0 offset:244
	s_waitcnt vmcnt(13)
	buffer_store_dword v8, off, s[0:3], 0 offset:12
	s_waitcnt vmcnt(13)
	buffer_store_dword v9, off, s[0:3], 0 offset:8
	;; [unrolled: 2-line block ×3, first 2 shown]
	s_waitcnt vmcnt(13)
	buffer_store_dword v15, off, s[0:3], 0
	s_waitcnt vmcnt(13)
	v_cmp_ne_u16_e64 s[8:9], 0, v6
	s_and_saveexec_b64 s[10:11], s[8:9]
	s_xor_b64 s[8:9], exec, s[10:11]
	s_cbranch_execz .LBB2078_494
; %bb.493:
	buffer_load_dword v2, off, s[0:3], 0
	buffer_load_dword v3, off, s[0:3], 0 offset:4
	buffer_load_dword v4, off, s[0:3], 0 offset:8
	;; [unrolled: 1-line block ×3, first 2 shown]
.LBB2078_494:
	s_andn2_saveexec_b64 s[8:9], s[8:9]
	s_cbranch_execz .LBB2078_500
; %bb.495:
	s_mov_b32 s10, 0
	v_mov_b32_e32 v1, 0x74
	s_waitcnt vmcnt(3)
	v_mov_b32_e32 v2, 0
	s_waitcnt vmcnt(0)
.LBB2078_496:                           ; =>This Inner Loop Header: Depth=1
	v_add_u32_e32 v3, s10, v1
	s_add_i32 s10, s10, 8
	s_cmp_lg_u32 s10, 16
	buffer_store_dword v2, v3, s[0:3], 0 offen offset:4
	buffer_store_dword v2, v3, s[0:3], 0 offen
	s_cbranch_scc1 .LBB2078_496
; %bb.497:
	s_mov_b32 s10, 0
	v_mov_b32_e32 v1, 0x60
	v_mov_b32_e32 v2, 0
	;; [unrolled: 1-line block ×3, first 2 shown]
.LBB2078_498:                           ; =>This Inner Loop Header: Depth=1
	v_add_u32_e32 v4, s10, v1
	v_add_u32_e32 v5, s10, v2
	buffer_load_dword v7, v4, s[0:3], 0 offen offset:4
	buffer_load_dword v8, v5, s[0:3], 0 offen
	buffer_load_dword v9, v4, s[0:3], 0 offen
	buffer_load_dword v14, v5, s[0:3], 0 offen offset:4
                                        ; kill: killed $vgpr4
	v_add_u32_e32 v4, s10, v3
	s_add_i32 s10, s10, 8
	s_cmp_lg_u32 s10, 16
                                        ; kill: killed $vgpr5
	s_waitcnt vmcnt(1)
	v_add_u32_e32 v5, v8, v9
	s_waitcnt vmcnt(0)
	v_add_u32_e32 v7, v14, v7
	buffer_store_dword v7, v4, s[0:3], 0 offen offset:4
	buffer_store_dword v5, v4, s[0:3], 0 offen
	s_cbranch_scc1 .LBB2078_498
; %bb.499:
	buffer_load_dword v2, off, s[0:3], 0 offset:116
	buffer_load_dword v3, off, s[0:3], 0 offset:120
	;; [unrolled: 1-line block ×4, first 2 shown]
.LBB2078_500:
	s_or_b64 exec, exec, s[8:9]
	buffer_load_dword v7, v11, s[0:3], 0 offen offset:12
	buffer_load_dword v8, v11, s[0:3], 0 offen offset:8
	;; [unrolled: 1-line block ×3, first 2 shown]
	buffer_load_dword v14, v11, s[0:3], 0 offen
	buffer_load_ubyte v1, off, s[0:3], 0 offset:264
	v_and_b32_e32 v6, 1, v6
	v_cmp_eq_u32_e64 s[8:9], 1, v6
	s_or_b64 s[8:9], s[8:9], vcc
	s_waitcnt vmcnt(7)
	buffer_store_dword v3, off, s[0:3], 0 offset:100
	buffer_store_dword v2, off, s[0:3], 0 offset:96
	s_waitcnt vmcnt(7)
	buffer_store_dword v5, off, s[0:3], 0 offset:108
	buffer_store_dword v4, off, s[0:3], 0 offset:104
	buffer_store_dword v2, v11, s[0:3], 0 offen
	buffer_store_dword v3, v11, s[0:3], 0 offen offset:4
	buffer_store_dword v4, v11, s[0:3], 0 offen offset:8
	buffer_store_dword v5, v11, s[0:3], 0 offen offset:12
	v_cndmask_b32_e64 v2, 0, 1, s[8:9]
                                        ; implicit-def: $vgpr4_vgpr5
	buffer_store_byte v2, off, s[0:3], 0 offset:264
	s_waitcnt vmcnt(13)
	buffer_store_dword v7, off, s[0:3], 0 offset:12
	s_waitcnt vmcnt(13)
	buffer_store_dword v8, off, s[0:3], 0 offset:8
	;; [unrolled: 2-line block ×3, first 2 shown]
	s_waitcnt vmcnt(13)
	buffer_store_dword v14, off, s[0:3], 0
	s_waitcnt vmcnt(13)
	v_cmp_ne_u16_e32 vcc, 0, v1
                                        ; implicit-def: $vgpr2_vgpr3
	s_and_saveexec_b64 s[10:11], vcc
	s_xor_b64 s[10:11], exec, s[10:11]
	s_cbranch_execz .LBB2078_502
; %bb.501:
	buffer_load_dword v2, off, s[0:3], 0
	buffer_load_dword v3, off, s[0:3], 0 offset:4
	buffer_load_dword v4, off, s[0:3], 0 offset:8
	;; [unrolled: 1-line block ×3, first 2 shown]
.LBB2078_502:
	s_andn2_saveexec_b64 s[10:11], s[10:11]
	s_cbranch_execz .LBB2078_508
; %bb.503:
	s_mov_b32 s12, 0
	s_waitcnt vmcnt(3)
	v_mov_b32_e32 v2, 0x74
	s_waitcnt vmcnt(2)
	v_mov_b32_e32 v3, 0
	s_waitcnt vmcnt(0)
.LBB2078_504:                           ; =>This Inner Loop Header: Depth=1
	v_add_u32_e32 v4, s12, v2
	s_add_i32 s12, s12, 8
	s_cmp_lg_u32 s12, 16
	buffer_store_dword v3, v4, s[0:3], 0 offen offset:4
	buffer_store_dword v3, v4, s[0:3], 0 offen
	s_cbranch_scc1 .LBB2078_504
; %bb.505:
	s_mov_b32 s12, 0
	v_mov_b32_e32 v2, 0x60
	v_mov_b32_e32 v3, 0
	;; [unrolled: 1-line block ×3, first 2 shown]
.LBB2078_506:                           ; =>This Inner Loop Header: Depth=1
	v_add_u32_e32 v5, s12, v2
	v_add_u32_e32 v6, s12, v3
	buffer_load_dword v7, v5, s[0:3], 0 offen offset:4
	buffer_load_dword v8, v6, s[0:3], 0 offen
	buffer_load_dword v9, v5, s[0:3], 0 offen
	buffer_load_dword v14, v6, s[0:3], 0 offen offset:4
                                        ; kill: killed $vgpr5
	v_add_u32_e32 v5, s12, v4
	s_add_i32 s12, s12, 8
	s_cmp_lg_u32 s12, 16
                                        ; kill: killed $vgpr6
	s_waitcnt vmcnt(1)
	v_add_u32_e32 v6, v8, v9
	s_waitcnt vmcnt(0)
	v_add_u32_e32 v7, v14, v7
	buffer_store_dword v7, v5, s[0:3], 0 offen offset:4
	buffer_store_dword v6, v5, s[0:3], 0 offen
	s_cbranch_scc1 .LBB2078_506
; %bb.507:
	buffer_load_dword v2, off, s[0:3], 0 offset:116
	buffer_load_dword v3, off, s[0:3], 0 offset:120
	;; [unrolled: 1-line block ×4, first 2 shown]
.LBB2078_508:
	s_or_b64 exec, exec, s[10:11]
	buffer_load_dword v7, v12, s[0:3], 0 offen offset:12
	buffer_load_dword v8, v12, s[0:3], 0 offen offset:8
	;; [unrolled: 1-line block ×3, first 2 shown]
	buffer_load_dword v14, v12, s[0:3], 0 offen
	buffer_load_ubyte v6, off, s[0:3], 0 offset:284
	v_and_b32_e32 v1, 1, v1
	v_cmp_eq_u32_e32 vcc, 1, v1
	s_or_b64 s[8:9], vcc, s[8:9]
	v_cndmask_b32_e64 v1, 0, 1, s[8:9]
	s_waitcnt vmcnt(7)
	buffer_store_dword v3, off, s[0:3], 0 offset:100
	buffer_store_dword v2, off, s[0:3], 0 offset:96
	s_waitcnt vmcnt(7)
	buffer_store_dword v5, off, s[0:3], 0 offset:108
	buffer_store_dword v4, off, s[0:3], 0 offset:104
	buffer_store_dword v2, v12, s[0:3], 0 offen
	buffer_store_dword v3, v12, s[0:3], 0 offen offset:4
	buffer_store_dword v4, v12, s[0:3], 0 offen offset:8
	;; [unrolled: 1-line block ×3, first 2 shown]
                                        ; implicit-def: $vgpr4_vgpr5
                                        ; implicit-def: $vgpr2_vgpr3
	buffer_store_byte v1, off, s[0:3], 0 offset:284
	s_waitcnt vmcnt(13)
	buffer_store_dword v7, off, s[0:3], 0 offset:12
	s_waitcnt vmcnt(13)
	buffer_store_dword v8, off, s[0:3], 0 offset:8
	;; [unrolled: 2-line block ×3, first 2 shown]
	s_waitcnt vmcnt(13)
	buffer_store_dword v14, off, s[0:3], 0
	s_waitcnt vmcnt(13)
	v_cmp_ne_u16_e32 vcc, 0, v6
	s_and_saveexec_b64 s[10:11], vcc
	s_xor_b64 s[10:11], exec, s[10:11]
	s_cbranch_execz .LBB2078_510
; %bb.509:
	buffer_load_dword v2, off, s[0:3], 0
	buffer_load_dword v3, off, s[0:3], 0 offset:4
	buffer_load_dword v4, off, s[0:3], 0 offset:8
	;; [unrolled: 1-line block ×3, first 2 shown]
.LBB2078_510:
	s_andn2_saveexec_b64 s[10:11], s[10:11]
	s_cbranch_execz .LBB2078_516
; %bb.511:
	s_mov_b32 s12, 0
	v_mov_b32_e32 v1, 0x74
	s_waitcnt vmcnt(3)
	v_mov_b32_e32 v2, 0
	s_waitcnt vmcnt(0)
.LBB2078_512:                           ; =>This Inner Loop Header: Depth=1
	v_add_u32_e32 v3, s12, v1
	s_add_i32 s12, s12, 8
	s_cmp_lg_u32 s12, 16
	buffer_store_dword v2, v3, s[0:3], 0 offen offset:4
	buffer_store_dword v2, v3, s[0:3], 0 offen
	s_cbranch_scc1 .LBB2078_512
; %bb.513:
	s_mov_b32 s12, 0
	v_mov_b32_e32 v1, 0x60
	v_mov_b32_e32 v2, 0
	;; [unrolled: 1-line block ×3, first 2 shown]
.LBB2078_514:                           ; =>This Inner Loop Header: Depth=1
	v_add_u32_e32 v4, s12, v1
	v_add_u32_e32 v5, s12, v2
	buffer_load_dword v7, v4, s[0:3], 0 offen offset:4
	buffer_load_dword v8, v5, s[0:3], 0 offen
	buffer_load_dword v9, v4, s[0:3], 0 offen
	buffer_load_dword v14, v5, s[0:3], 0 offen offset:4
                                        ; kill: killed $vgpr4
	v_add_u32_e32 v4, s12, v3
	s_add_i32 s12, s12, 8
	s_cmp_lg_u32 s12, 16
                                        ; kill: killed $vgpr5
	s_waitcnt vmcnt(1)
	v_add_u32_e32 v5, v8, v9
	s_waitcnt vmcnt(0)
	v_add_u32_e32 v7, v14, v7
	buffer_store_dword v7, v4, s[0:3], 0 offen offset:4
	buffer_store_dword v5, v4, s[0:3], 0 offen
	s_cbranch_scc1 .LBB2078_514
; %bb.515:
	buffer_load_dword v2, off, s[0:3], 0 offset:116
	buffer_load_dword v3, off, s[0:3], 0 offset:120
	;; [unrolled: 1-line block ×4, first 2 shown]
.LBB2078_516:
	s_or_b64 exec, exec, s[10:11]
	v_and_b32_e32 v1, 1, v6
	s_waitcnt vmcnt(0)
	buffer_store_dword v5, v13, s[0:3], 0 offen offset:12
	buffer_store_dword v4, v13, s[0:3], 0 offen offset:8
	;; [unrolled: 1-line block ×3, first 2 shown]
	v_mov_b32_e32 v3, 0
	v_cmp_eq_u32_e32 vcc, 1, v1
	ds_read2_b32 v[4:5], v3 offset0:17 offset1:18
	ds_read_u8 v1, v3 offset:76
	ds_read2_b32 v[6:7], v3 offset0:15 offset1:16
	s_or_b64 s[8:9], vcc, s[8:9]
	v_cndmask_b32_e64 v8, 0, 1, s[8:9]
	buffer_store_dword v2, v13, s[0:3], 0 offen
	buffer_store_byte v8, off, s[0:3], 0 offset:304
	s_waitcnt lgkmcnt(2)
	buffer_store_dword v5, off, s[0:3], 0 offset:188
	buffer_store_dword v4, off, s[0:3], 0 offset:184
	s_waitcnt lgkmcnt(0)
	buffer_store_dword v7, off, s[0:3], 0 offset:180
	buffer_store_dword v6, off, s[0:3], 0 offset:176
	v_cmp_ne_u16_e32 vcc, 0, v1
	s_cbranch_vccz .LBB2078_522
; %bb.517:
	buffer_load_dword v2, off, s[0:3], 0 offset:176
	buffer_load_dword v3, off, s[0:3], 0 offset:180
	;; [unrolled: 1-line block ×4, first 2 shown]
	s_cbranch_execz .LBB2078_523
	s_branch .LBB2078_528
.LBB2078_518:
	v_lshlrev_b32_e32 v20, 4, v0
	v_mov_b32_e32 v21, s33
	v_add_co_u32_e32 v20, vcc, s9, v20
	v_addc_co_u32_e32 v21, vcc, 0, v21, vcc
	flat_load_dwordx4 v[20:23], v[20:21]
	s_waitcnt vmcnt(0) lgkmcnt(0)
	buffer_store_dword v21, off, s[0:3], 0 offset:4
	buffer_store_dword v20, off, s[0:3], 0
	buffer_store_dword v23, off, s[0:3], 0 offset:12
	buffer_store_dword v22, off, s[0:3], 0 offset:8
	s_or_b64 exec, exec, s[16:17]
	s_and_saveexec_b64 s[16:17], s[6:7]
	s_cbranch_execz .LBB2078_35
.LBB2078_519:
	v_lshlrev_b32_e32 v14, 4, v14
	v_mov_b32_e32 v21, s33
	v_add_co_u32_e32 v20, vcc, s9, v14
	v_addc_co_u32_e32 v21, vcc, 0, v21, vcc
	flat_load_dwordx4 v[20:23], v[20:21]
	s_waitcnt vmcnt(0) lgkmcnt(0)
	buffer_store_dword v21, off, s[0:3], 0 offset:20
	buffer_store_dword v20, off, s[0:3], 0 offset:16
	;; [unrolled: 1-line block ×4, first 2 shown]
	s_or_b64 exec, exec, s[16:17]
	s_and_saveexec_b64 s[6:7], s[14:15]
	s_cbranch_execz .LBB2078_36
.LBB2078_520:
	v_lshlrev_b32_e32 v14, 4, v17
	v_mov_b32_e32 v17, s33
	v_add_co_u32_e32 v20, vcc, s9, v14
	v_addc_co_u32_e32 v21, vcc, 0, v17, vcc
	flat_load_dwordx4 v[20:23], v[20:21]
	s_waitcnt vmcnt(0) lgkmcnt(0)
	buffer_store_dword v21, off, s[0:3], 0 offset:36
	buffer_store_dword v20, off, s[0:3], 0 offset:32
	;; [unrolled: 1-line block ×4, first 2 shown]
	s_or_b64 exec, exec, s[6:7]
	s_and_saveexec_b64 s[6:7], s[10:11]
	s_cbranch_execz .LBB2078_37
.LBB2078_521:
	v_lshlrev_b32_e32 v14, 4, v18
	v_mov_b32_e32 v17, s33
	v_add_co_u32_e32 v20, vcc, s9, v14
	v_addc_co_u32_e32 v21, vcc, 0, v17, vcc
	flat_load_dwordx4 v[20:23], v[20:21]
	s_waitcnt vmcnt(0) lgkmcnt(0)
	buffer_store_dword v21, off, s[0:3], 0 offset:52
	buffer_store_dword v20, off, s[0:3], 0 offset:48
	;; [unrolled: 1-line block ×4, first 2 shown]
	s_or_b64 exec, exec, s[6:7]
	v_mul_u32_u24_e32 v14, 5, v0
	s_and_saveexec_b64 s[6:7], s[12:13]
	s_cbranch_execnz .LBB2078_38
	s_branch .LBB2078_39
.LBB2078_522:
                                        ; implicit-def: $vgpr4_vgpr5
.LBB2078_523:
	s_mov_b32 s8, 0
	s_waitcnt vmcnt(3)
	v_mov_b32_e32 v2, 0
	s_waitcnt vmcnt(2)
	v_mov_b32_e32 v3, 0
	s_waitcnt vmcnt(0)
.LBB2078_524:                           ; =>This Inner Loop Header: Depth=1
	v_add_u32_e32 v4, s8, v2
	s_add_i32 s8, s8, 8
	s_cmp_lg_u32 s8, 16
	buffer_store_dword v3, v4, s[0:3], 0 offen offset:4
	buffer_store_dword v3, v4, s[0:3], 0 offen
	s_cbranch_scc1 .LBB2078_524
; %bb.525:
	s_mov_b32 s8, 0
	v_mov_b32_e32 v2, 0x9c
	v_mov_b32_e32 v3, 0xb0
	;; [unrolled: 1-line block ×3, first 2 shown]
.LBB2078_526:                           ; =>This Inner Loop Header: Depth=1
	v_add_u32_e32 v5, s8, v2
	v_add_u32_e32 v6, s8, v3
	buffer_load_dword v7, v5, s[0:3], 0 offen offset:4
	buffer_load_dword v8, v6, s[0:3], 0 offen
	buffer_load_dword v9, v5, s[0:3], 0 offen
	buffer_load_dword v14, v6, s[0:3], 0 offen offset:4
                                        ; kill: killed $vgpr5
	v_add_u32_e32 v5, s8, v4
	s_add_i32 s8, s8, 8
	s_cmp_lg_u32 s8, 16
                                        ; kill: killed $vgpr6
	s_waitcnt vmcnt(1)
	v_add_u32_e32 v6, v8, v9
	s_waitcnt vmcnt(0)
	v_add_u32_e32 v7, v14, v7
	buffer_store_dword v7, v5, s[0:3], 0 offen offset:4
	buffer_store_dword v6, v5, s[0:3], 0 offen
	s_cbranch_scc1 .LBB2078_526
; %bb.527:
	buffer_load_dword v2, off, s[0:3], 0
	buffer_load_dword v3, off, s[0:3], 0 offset:4
	buffer_load_dword v4, off, s[0:3], 0 offset:8
	;; [unrolled: 1-line block ×3, first 2 shown]
.LBB2078_528:
	buffer_load_ubyte v6, off, s[0:3], 0 offset:172
	s_waitcnt vmcnt(3)
	buffer_store_dword v3, off, s[0:3], 0 offset:180
	buffer_store_dword v2, off, s[0:3], 0 offset:176
	s_waitcnt vmcnt(3)
	buffer_store_dword v5, off, s[0:3], 0 offset:188
	s_waitcnt vmcnt(3)
	v_or_b32_e32 v1, v1, v6
	v_and_b32_e32 v1, 1, v1
	buffer_store_dword v4, off, s[0:3], 0 offset:184
	buffer_store_byte v1, off, s[0:3], 0 offset:192
	s_and_saveexec_b64 s[8:9], s[6:7]
	s_cbranch_execz .LBB2078_530
; %bb.529:
	v_mov_b32_e32 v6, 0
	global_store_dwordx4 v6, v[2:5], s[22:23] offset:1280
	global_store_byte v6, v1, s[22:23] offset:1296
	v_mov_b32_e32 v1, 2
	s_waitcnt vmcnt(0)
	buffer_wbinvl1_vol
	global_store_byte v6, v1, s[24:25] offset:64
.LBB2078_530:
	s_or_b64 exec, exec, s[8:9]
.LBB2078_531:
	s_mov_b32 s6, 0
	v_mov_b32_e32 v1, 0
	v_mov_b32_e32 v2, 0
.LBB2078_532:                           ; =>This Inner Loop Header: Depth=1
	v_add_u32_e32 v3, s6, v1
	s_add_i32 s6, s6, 8
	s_cmp_lg_u32 s6, 16
	buffer_store_dword v2, v3, s[0:3], 0 offen offset:4
	buffer_store_dword v2, v3, s[0:3], 0 offen
	s_cbranch_scc1 .LBB2078_532
; %bb.533:
	s_mov_b32 s6, 16
	v_mov_b32_e32 v1, 0
	v_mov_b32_e32 v2, 0
.LBB2078_534:                           ; =>This Inner Loop Header: Depth=1
	v_add_u32_e32 v3, s6, v1
	s_add_i32 s6, s6, 8
	s_cmp_lg_u32 s6, 32
	buffer_store_dword v2, v3, s[0:3], 0 offen offset:4
	buffer_store_dword v2, v3, s[0:3], 0 offen
	s_cbranch_scc1 .LBB2078_534
; %bb.535:
	;; [unrolled: 11-line block ×4, first 2 shown]
	s_mov_b32 s6, 64
	v_mov_b32_e32 v1, 0
	v_mov_b32_e32 v2, 0
.LBB2078_540:                           ; =>This Inner Loop Header: Depth=1
	v_add_u32_e32 v3, s6, v1
	s_add_i32 s6, s6, 8
	s_cmpk_lg_i32 s6, 0x50
	buffer_store_dword v2, v3, s[0:3], 0 offen offset:4
	buffer_store_dword v2, v3, s[0:3], 0 offen
	s_cbranch_scc1 .LBB2078_540
; %bb.541:
	s_add_u32 s6, s18, s34
	s_addc_u32 s7, s19, s35
	v_mov_b32_e32 v1, 0
	s_add_u32 s8, s6, s40
	v_add_u32_e32 v4, 64, v1
	v_add_u32_e32 v5, 48, v1
	;; [unrolled: 1-line block ×4, first 2 shown]
	s_addc_u32 s9, s7, s41
	s_and_b64 vcc, exec, s[4:5]
	s_cbranch_vccz .LBB2078_557
; %bb.542:
	s_add_i32 s27, s27, s26
	v_mul_u32_u24_e32 v1, 5, v0
	v_cmp_gt_u32_e32 vcc, s27, v1
	s_and_saveexec_b64 s[4:5], vcc
	s_cbranch_execz .LBB2078_548
; %bb.543:
	buffer_load_dword v2, off, s[0:3], 0 offset:220
	buffer_load_dword v3, off, s[0:3], 0 offset:216
	;; [unrolled: 1-line block ×4, first 2 shown]
	v_add_u32_e32 v14, 1, v1
	v_cmp_gt_u32_e32 vcc, s27, v14
	s_waitcnt vmcnt(3)
	buffer_store_dword v2, off, s[0:3], 0 offset:12
	s_waitcnt vmcnt(3)
	buffer_store_dword v3, off, s[0:3], 0 offset:8
	;; [unrolled: 2-line block ×3, first 2 shown]
	s_waitcnt vmcnt(3)
	buffer_store_dword v9, off, s[0:3], 0
	s_and_b64 exec, exec, vcc
	s_cbranch_execz .LBB2078_548
; %bb.544:
	buffer_load_dword v2, v10, s[0:3], 0 offen offset:12
	buffer_load_dword v3, v10, s[0:3], 0 offen offset:8
	buffer_load_dword v8, v10, s[0:3], 0 offen offset:4
	buffer_load_dword v9, v10, s[0:3], 0 offen
	v_add_u32_e32 v14, 2, v1
	v_cmp_gt_u32_e32 vcc, s27, v14
	s_waitcnt vmcnt(3)
	buffer_store_dword v2, v7, s[0:3], 0 offen offset:12
	s_waitcnt vmcnt(3)
	buffer_store_dword v3, v7, s[0:3], 0 offen offset:8
	s_waitcnt vmcnt(3)
	buffer_store_dword v8, v7, s[0:3], 0 offen offset:4
	s_waitcnt vmcnt(3)
	buffer_store_dword v9, v7, s[0:3], 0 offen
	s_and_b64 exec, exec, vcc
	s_cbranch_execz .LBB2078_548
; %bb.545:
	buffer_load_dword v2, v11, s[0:3], 0 offen offset:12
	buffer_load_dword v3, v11, s[0:3], 0 offen offset:8
	buffer_load_dword v8, v11, s[0:3], 0 offen offset:4
	buffer_load_dword v9, v11, s[0:3], 0 offen
	v_add_u32_e32 v14, 3, v1
	v_cmp_gt_u32_e32 vcc, s27, v14
	s_waitcnt vmcnt(3)
	buffer_store_dword v2, v6, s[0:3], 0 offen offset:12
	s_waitcnt vmcnt(3)
	buffer_store_dword v3, v6, s[0:3], 0 offen offset:8
	s_waitcnt vmcnt(3)
	buffer_store_dword v8, v6, s[0:3], 0 offen offset:4
	s_waitcnt vmcnt(3)
	buffer_store_dword v9, v6, s[0:3], 0 offen
	;; [unrolled: 17-line block ×3, first 2 shown]
	s_and_b64 exec, exec, vcc
	s_cbranch_execz .LBB2078_548
; %bb.547:
	buffer_load_dword v2, v13, s[0:3], 0 offen offset:12
	buffer_load_dword v3, v13, s[0:3], 0 offen offset:8
	;; [unrolled: 1-line block ×3, first 2 shown]
	buffer_load_dword v9, v13, s[0:3], 0 offen
	s_waitcnt vmcnt(3)
	buffer_store_dword v2, v4, s[0:3], 0 offen offset:12
	s_waitcnt vmcnt(3)
	buffer_store_dword v3, v4, s[0:3], 0 offen offset:8
	s_waitcnt vmcnt(3)
	buffer_store_dword v8, v4, s[0:3], 0 offen offset:4
	s_waitcnt vmcnt(3)
	buffer_store_dword v9, v4, s[0:3], 0 offen
.LBB2078_548:
	s_or_b64 exec, exec, s[4:5]
	s_waitcnt vmcnt(63) expcnt(7) lgkmcnt(15)
	s_barrier
	buffer_load_dword v14, off, s[0:3], 0
	buffer_load_dword v15, off, s[0:3], 0 offset:4
	buffer_load_dword v16, off, s[0:3], 0 offset:8
	;; [unrolled: 1-line block ×3, first 2 shown]
	buffer_load_dword v18, v7, s[0:3], 0 offen
	buffer_load_dword v19, v7, s[0:3], 0 offen offset:4
	buffer_load_dword v20, v7, s[0:3], 0 offen offset:8
	buffer_load_dword v21, v7, s[0:3], 0 offen offset:12
	buffer_load_dword v22, v6, s[0:3], 0 offen
	buffer_load_dword v23, v6, s[0:3], 0 offen offset:4
	buffer_load_dword v24, v6, s[0:3], 0 offen offset:8
	buffer_load_dword v25, v6, s[0:3], 0 offen offset:12
	;; [unrolled: 4-line block ×4, first 2 shown]
	v_lshlrev_b32_e32 v2, 4, v1
	v_lshlrev_b32_e32 v3, 6, v0
	v_sub_u32_e32 v8, v2, v3
	v_lshlrev_b32_e32 v9, 4, v0
	v_mov_b32_e32 v34, s9
	v_mov_b32_e32 v1, 0
	s_waitcnt vmcnt(16)
	ds_write_b128 v2, v[14:17]
	s_waitcnt vmcnt(12)
	ds_write_b128 v2, v[18:21] offset:16
	s_waitcnt vmcnt(8)
	ds_write_b128 v2, v[22:25] offset:32
	;; [unrolled: 2-line block ×4, first 2 shown]
	s_waitcnt lgkmcnt(0)
	s_barrier
	ds_read_b128 v[14:17], v8 offset:4096
	ds_read_b128 v[18:21], v8 offset:8192
	;; [unrolled: 1-line block ×4, first 2 shown]
	v_add_co_u32_e32 v2, vcc, s8, v9
	v_addc_co_u32_e32 v3, vcc, 0, v34, vcc
	v_cmp_gt_u32_e32 vcc, s27, v0
	s_waitcnt lgkmcnt(3)
	buffer_store_dword v17, v7, s[0:3], 0 offen offset:12
	buffer_store_dword v16, v7, s[0:3], 0 offen offset:8
	buffer_store_dword v15, v7, s[0:3], 0 offen offset:4
	buffer_store_dword v14, v7, s[0:3], 0 offen
	s_waitcnt lgkmcnt(2)
	buffer_store_dword v21, v6, s[0:3], 0 offen offset:12
	buffer_store_dword v20, v6, s[0:3], 0 offen offset:8
	buffer_store_dword v19, v6, s[0:3], 0 offen offset:4
	buffer_store_dword v18, v6, s[0:3], 0 offen
	;; [unrolled: 5-line block ×4, first 2 shown]
	s_and_saveexec_b64 s[4:5], vcc
	s_cbranch_execz .LBB2078_550
; %bb.549:
	ds_read2_b32 v[16:17], v8 offset0:2 offset1:3
	ds_read2_b32 v[14:15], v8 offset1:1
	s_waitcnt lgkmcnt(0)
	flat_store_dwordx4 v[2:3], v[14:17]
.LBB2078_550:
	s_or_b64 exec, exec, s[4:5]
	v_or_b32_e32 v8, 0x100, v0
	v_cmp_gt_u32_e32 vcc, s27, v8
	s_and_saveexec_b64 s[4:5], vcc
	s_cbranch_execz .LBB2078_552
; %bb.551:
	buffer_load_dword v14, v7, s[0:3], 0 offen
	buffer_load_dword v15, v7, s[0:3], 0 offen offset:4
	buffer_load_dword v16, v7, s[0:3], 0 offen offset:8
	buffer_load_dword v17, v7, s[0:3], 0 offen offset:12
	v_add_co_u32_e32 v8, vcc, 0x1000, v2
	v_addc_co_u32_e32 v9, vcc, 0, v3, vcc
	s_waitcnt vmcnt(0)
	flat_store_dwordx4 v[8:9], v[14:17]
.LBB2078_552:
	s_or_b64 exec, exec, s[4:5]
	v_or_b32_e32 v8, 0x200, v0
	v_cmp_gt_u32_e32 vcc, s27, v8
	s_and_saveexec_b64 s[4:5], vcc
	s_cbranch_execz .LBB2078_554
; %bb.553:
	buffer_load_dword v14, v6, s[0:3], 0 offen
	buffer_load_dword v15, v6, s[0:3], 0 offen offset:4
	buffer_load_dword v16, v6, s[0:3], 0 offen offset:8
	buffer_load_dword v17, v6, s[0:3], 0 offen offset:12
	v_add_co_u32_e32 v8, vcc, 0x2000, v2
	v_addc_co_u32_e32 v9, vcc, 0, v3, vcc
	s_waitcnt vmcnt(0)
	flat_store_dwordx4 v[8:9], v[14:17]
.LBB2078_554:
	;; [unrolled: 15-line block ×3, first 2 shown]
	s_or_b64 exec, exec, s[4:5]
	v_or_b32_e32 v2, 0x400, v0
	v_cmp_gt_u32_e64 s[4:5], s27, v2
	s_branch .LBB2078_559
.LBB2078_557:
	s_mov_b64 s[4:5], 0
	s_cbranch_execz .LBB2078_559
; %bb.558:
	buffer_load_dword v1, off, s[0:3], 0 offset:220
	buffer_load_dword v2, off, s[0:3], 0 offset:216
	;; [unrolled: 1-line block ×4, first 2 shown]
	buffer_load_dword v9, v10, s[0:3], 0 offen offset:12
	buffer_load_dword v14, v10, s[0:3], 0 offen offset:8
	buffer_load_dword v15, v10, s[0:3], 0 offen offset:4
	buffer_load_dword v16, v10, s[0:3], 0 offen
	buffer_load_dword v17, v11, s[0:3], 0 offen offset:12
	buffer_load_dword v18, v11, s[0:3], 0 offen offset:8
	buffer_load_dword v19, v11, s[0:3], 0 offen offset:4
	buffer_load_dword v20, v11, s[0:3], 0 offen
	;; [unrolled: 4-line block ×3, first 2 shown]
	buffer_load_dword v25, v13, s[0:3], 0 offen offset:12
	buffer_load_dword v26, v13, s[0:3], 0 offen offset:8
	buffer_load_dword v27, v13, s[0:3], 0 offen offset:4
                                        ; kill: killed $vgpr10
                                        ; kill: killed $vgpr11
                                        ; kill: killed $vgpr12
	buffer_load_dword v10, v13, s[0:3], 0 offen
	v_mov_b32_e32 v28, s9
	s_movk_i32 s6, 0x1000
	s_movk_i32 s7, 0x2000
	s_or_b64 s[4:5], s[4:5], exec
	s_waitcnt vmcnt(0)
	buffer_store_dword v1, off, s[0:3], 0 offset:12
	buffer_store_dword v2, off, s[0:3], 0 offset:8
	;; [unrolled: 1-line block ×3, first 2 shown]
	buffer_store_dword v8, off, s[0:3], 0
	buffer_store_dword v9, v7, s[0:3], 0 offen offset:12
	buffer_store_dword v14, v7, s[0:3], 0 offen offset:8
	buffer_store_dword v15, v7, s[0:3], 0 offen offset:4
	buffer_store_dword v16, v7, s[0:3], 0 offen
	buffer_store_dword v17, v6, s[0:3], 0 offen offset:12
	buffer_store_dword v18, v6, s[0:3], 0 offen offset:8
	buffer_store_dword v19, v6, s[0:3], 0 offen offset:4
	buffer_store_dword v20, v6, s[0:3], 0 offen
	;; [unrolled: 4-line block ×4, first 2 shown]
	s_waitcnt lgkmcnt(0)
	s_barrier
	buffer_load_dword v8, off, s[0:3], 0
	buffer_load_dword v9, off, s[0:3], 0 offset:4
	buffer_load_dword v10, off, s[0:3], 0 offset:8
	;; [unrolled: 1-line block ×3, first 2 shown]
	buffer_load_dword v12, v7, s[0:3], 0 offen
	buffer_load_dword v13, v7, s[0:3], 0 offen offset:4
	buffer_load_dword v14, v7, s[0:3], 0 offen offset:8
	buffer_load_dword v15, v7, s[0:3], 0 offen offset:12
	buffer_load_dword v16, v6, s[0:3], 0 offen
	buffer_load_dword v17, v6, s[0:3], 0 offen offset:4
	buffer_load_dword v18, v6, s[0:3], 0 offen offset:8
	buffer_load_dword v19, v6, s[0:3], 0 offen offset:12
	;; [unrolled: 4-line block ×4, first 2 shown]
	v_mul_u32_u24_e32 v1, 0x50, v0
	v_lshlrev_b32_e32 v2, 6, v0
	v_lshlrev_b32_e32 v3, 4, v0
	v_sub_u32_e32 v32, v1, v2
	v_add_co_u32_e32 v2, vcc, s8, v3
	v_addc_co_u32_e32 v3, vcc, 0, v28, vcc
	v_add_co_u32_e32 v28, vcc, s6, v2
	v_addc_co_u32_e32 v29, vcc, 0, v3, vcc
	;; [unrolled: 2-line block ×3, first 2 shown]
	s_waitcnt vmcnt(16)
	ds_write_b128 v1, v[8:11]
	s_waitcnt vmcnt(12)
	ds_write_b128 v1, v[12:15] offset:16
	s_waitcnt vmcnt(8)
	ds_write_b128 v1, v[16:19] offset:32
	;; [unrolled: 2-line block ×4, first 2 shown]
	s_waitcnt lgkmcnt(0)
	s_barrier
	ds_read_b128 v[8:11], v32 offset:4096
	ds_read_b128 v[12:15], v32 offset:8192
	;; [unrolled: 1-line block ×4, first 2 shown]
	ds_read2_b32 v[26:27], v32 offset0:2 offset1:3
	ds_read2_b32 v[24:25], v32 offset1:1
	s_waitcnt lgkmcnt(5)
	buffer_store_dword v11, v7, s[0:3], 0 offen offset:12
	buffer_store_dword v10, v7, s[0:3], 0 offen offset:8
	buffer_store_dword v9, v7, s[0:3], 0 offen offset:4
	buffer_store_dword v8, v7, s[0:3], 0 offen
	s_waitcnt lgkmcnt(4)
	buffer_store_dword v15, v6, s[0:3], 0 offen offset:12
	buffer_store_dword v14, v6, s[0:3], 0 offen offset:8
	buffer_store_dword v13, v6, s[0:3], 0 offen offset:4
	buffer_store_dword v12, v6, s[0:3], 0 offen
	s_waitcnt lgkmcnt(3)
	buffer_store_dword v19, v5, s[0:3], 0 offen offset:12
	buffer_store_dword v18, v5, s[0:3], 0 offen offset:8
	buffer_store_dword v17, v5, s[0:3], 0 offen offset:4
	buffer_store_dword v16, v5, s[0:3], 0 offen
	s_waitcnt lgkmcnt(2)
	buffer_store_dword v23, v4, s[0:3], 0 offen offset:12
	buffer_store_dword v22, v4, s[0:3], 0 offen offset:8
	buffer_store_dword v21, v4, s[0:3], 0 offen offset:4
	buffer_store_dword v20, v4, s[0:3], 0 offen
	s_waitcnt lgkmcnt(0)
	flat_store_dwordx4 v[2:3], v[24:27]
	flat_store_dwordx4 v[28:29], v[8:11]
	;; [unrolled: 1-line block ×3, first 2 shown]
	buffer_load_dword v6, v5, s[0:3], 0 offen
	buffer_load_dword v7, v5, s[0:3], 0 offen offset:4
	s_nop 0
	buffer_load_dword v8, v5, s[0:3], 0 offen offset:8
	buffer_load_dword v9, v5, s[0:3], 0 offen offset:12
	v_add_co_u32_e32 v2, vcc, 0x3000, v2
	v_mov_b32_e32 v1, 0
	v_addc_co_u32_e32 v3, vcc, 0, v3, vcc
	s_waitcnt vmcnt(0)
	flat_store_dwordx4 v[2:3], v[6:9]
.LBB2078_559:
	s_and_saveexec_b64 s[6:7], s[4:5]
	s_cbranch_execnz .LBB2078_561
; %bb.560:
	s_endpgm
.LBB2078_561:
	buffer_load_dword v6, v4, s[0:3], 0 offen
	buffer_load_dword v7, v4, s[0:3], 0 offen offset:4
	buffer_load_dword v8, v4, s[0:3], 0 offen offset:8
	;; [unrolled: 1-line block ×3, first 2 shown]
	v_lshlrev_b64 v[0:1], 4, v[0:1]
	v_mov_b32_e32 v2, s9
	v_add_co_u32_e32 v0, vcc, s8, v0
	v_addc_co_u32_e32 v1, vcc, v2, v1, vcc
	v_add_co_u32_e32 v0, vcc, 0x4000, v0
	v_addc_co_u32_e32 v1, vcc, 0, v1, vcc
	s_waitcnt vmcnt(0)
	flat_store_dwordx4 v[0:1], v[6:9]
	s_endpgm
	.section	.rodata,"a",@progbits
	.p2align	6, 0x0
	.amdhsa_kernel _ZN7rocprim17ROCPRIM_400000_NS6detail17trampoline_kernelINS0_14default_configENS1_27scan_by_key_config_selectorIj11FixedVectorIiLj4EEEEZZNS1_16scan_by_key_implILNS1_25lookback_scan_determinismE0ELb1ES3_N6thrust23THRUST_200600_302600_NS6detail15normal_iteratorINSB_10device_ptrIjEEEENSD_INSE_IS6_EEEESI_S6_NSB_4plusIvEENSB_8equal_toIvEES6_EE10hipError_tPvRmT2_T3_T4_T5_mT6_T7_P12ihipStream_tbENKUlT_T0_E_clISt17integral_constantIbLb0EES13_EEDaSY_SZ_EUlSY_E_NS1_11comp_targetILNS1_3genE4ELNS1_11target_archE910ELNS1_3gpuE8ELNS1_3repE0EEENS1_30default_config_static_selectorELNS0_4arch9wavefront6targetE1EEEvT1_
		.amdhsa_group_segment_fixed_size 20480
		.amdhsa_private_segment_fixed_size 320
		.amdhsa_kernarg_size 144
		.amdhsa_user_sgpr_count 8
		.amdhsa_user_sgpr_private_segment_buffer 1
		.amdhsa_user_sgpr_dispatch_ptr 0
		.amdhsa_user_sgpr_queue_ptr 0
		.amdhsa_user_sgpr_kernarg_segment_ptr 1
		.amdhsa_user_sgpr_dispatch_id 0
		.amdhsa_user_sgpr_flat_scratch_init 1
		.amdhsa_user_sgpr_kernarg_preload_length 0
		.amdhsa_user_sgpr_kernarg_preload_offset 0
		.amdhsa_user_sgpr_private_segment_size 0
		.amdhsa_uses_dynamic_stack 0
		.amdhsa_system_sgpr_private_segment_wavefront_offset 1
		.amdhsa_system_sgpr_workgroup_id_x 1
		.amdhsa_system_sgpr_workgroup_id_y 0
		.amdhsa_system_sgpr_workgroup_id_z 0
		.amdhsa_system_sgpr_workgroup_info 0
		.amdhsa_system_vgpr_workitem_id 0
		.amdhsa_next_free_vgpr 43
		.amdhsa_next_free_sgpr 49
		.amdhsa_accum_offset 44
		.amdhsa_reserve_vcc 1
		.amdhsa_reserve_flat_scratch 1
		.amdhsa_float_round_mode_32 0
		.amdhsa_float_round_mode_16_64 0
		.amdhsa_float_denorm_mode_32 3
		.amdhsa_float_denorm_mode_16_64 3
		.amdhsa_dx10_clamp 1
		.amdhsa_ieee_mode 1
		.amdhsa_fp16_overflow 0
		.amdhsa_tg_split 0
		.amdhsa_exception_fp_ieee_invalid_op 0
		.amdhsa_exception_fp_denorm_src 0
		.amdhsa_exception_fp_ieee_div_zero 0
		.amdhsa_exception_fp_ieee_overflow 0
		.amdhsa_exception_fp_ieee_underflow 0
		.amdhsa_exception_fp_ieee_inexact 0
		.amdhsa_exception_int_div_zero 0
	.end_amdhsa_kernel
	.section	.text._ZN7rocprim17ROCPRIM_400000_NS6detail17trampoline_kernelINS0_14default_configENS1_27scan_by_key_config_selectorIj11FixedVectorIiLj4EEEEZZNS1_16scan_by_key_implILNS1_25lookback_scan_determinismE0ELb1ES3_N6thrust23THRUST_200600_302600_NS6detail15normal_iteratorINSB_10device_ptrIjEEEENSD_INSE_IS6_EEEESI_S6_NSB_4plusIvEENSB_8equal_toIvEES6_EE10hipError_tPvRmT2_T3_T4_T5_mT6_T7_P12ihipStream_tbENKUlT_T0_E_clISt17integral_constantIbLb0EES13_EEDaSY_SZ_EUlSY_E_NS1_11comp_targetILNS1_3genE4ELNS1_11target_archE910ELNS1_3gpuE8ELNS1_3repE0EEENS1_30default_config_static_selectorELNS0_4arch9wavefront6targetE1EEEvT1_,"axG",@progbits,_ZN7rocprim17ROCPRIM_400000_NS6detail17trampoline_kernelINS0_14default_configENS1_27scan_by_key_config_selectorIj11FixedVectorIiLj4EEEEZZNS1_16scan_by_key_implILNS1_25lookback_scan_determinismE0ELb1ES3_N6thrust23THRUST_200600_302600_NS6detail15normal_iteratorINSB_10device_ptrIjEEEENSD_INSE_IS6_EEEESI_S6_NSB_4plusIvEENSB_8equal_toIvEES6_EE10hipError_tPvRmT2_T3_T4_T5_mT6_T7_P12ihipStream_tbENKUlT_T0_E_clISt17integral_constantIbLb0EES13_EEDaSY_SZ_EUlSY_E_NS1_11comp_targetILNS1_3genE4ELNS1_11target_archE910ELNS1_3gpuE8ELNS1_3repE0EEENS1_30default_config_static_selectorELNS0_4arch9wavefront6targetE1EEEvT1_,comdat
.Lfunc_end2078:
	.size	_ZN7rocprim17ROCPRIM_400000_NS6detail17trampoline_kernelINS0_14default_configENS1_27scan_by_key_config_selectorIj11FixedVectorIiLj4EEEEZZNS1_16scan_by_key_implILNS1_25lookback_scan_determinismE0ELb1ES3_N6thrust23THRUST_200600_302600_NS6detail15normal_iteratorINSB_10device_ptrIjEEEENSD_INSE_IS6_EEEESI_S6_NSB_4plusIvEENSB_8equal_toIvEES6_EE10hipError_tPvRmT2_T3_T4_T5_mT6_T7_P12ihipStream_tbENKUlT_T0_E_clISt17integral_constantIbLb0EES13_EEDaSY_SZ_EUlSY_E_NS1_11comp_targetILNS1_3genE4ELNS1_11target_archE910ELNS1_3gpuE8ELNS1_3repE0EEENS1_30default_config_static_selectorELNS0_4arch9wavefront6targetE1EEEvT1_, .Lfunc_end2078-_ZN7rocprim17ROCPRIM_400000_NS6detail17trampoline_kernelINS0_14default_configENS1_27scan_by_key_config_selectorIj11FixedVectorIiLj4EEEEZZNS1_16scan_by_key_implILNS1_25lookback_scan_determinismE0ELb1ES3_N6thrust23THRUST_200600_302600_NS6detail15normal_iteratorINSB_10device_ptrIjEEEENSD_INSE_IS6_EEEESI_S6_NSB_4plusIvEENSB_8equal_toIvEES6_EE10hipError_tPvRmT2_T3_T4_T5_mT6_T7_P12ihipStream_tbENKUlT_T0_E_clISt17integral_constantIbLb0EES13_EEDaSY_SZ_EUlSY_E_NS1_11comp_targetILNS1_3genE4ELNS1_11target_archE910ELNS1_3gpuE8ELNS1_3repE0EEENS1_30default_config_static_selectorELNS0_4arch9wavefront6targetE1EEEvT1_
                                        ; -- End function
	.section	.AMDGPU.csdata,"",@progbits
; Kernel info:
; codeLenInByte = 30380
; NumSgprs: 55
; NumVgprs: 43
; NumAgprs: 0
; TotalNumVgprs: 43
; ScratchSize: 320
; MemoryBound: 1
; FloatMode: 240
; IeeeMode: 1
; LDSByteSize: 20480 bytes/workgroup (compile time only)
; SGPRBlocks: 6
; VGPRBlocks: 5
; NumSGPRsForWavesPerEU: 55
; NumVGPRsForWavesPerEU: 43
; AccumOffset: 44
; Occupancy: 3
; WaveLimiterHint : 1
; COMPUTE_PGM_RSRC2:SCRATCH_EN: 1
; COMPUTE_PGM_RSRC2:USER_SGPR: 8
; COMPUTE_PGM_RSRC2:TRAP_HANDLER: 0
; COMPUTE_PGM_RSRC2:TGID_X_EN: 1
; COMPUTE_PGM_RSRC2:TGID_Y_EN: 0
; COMPUTE_PGM_RSRC2:TGID_Z_EN: 0
; COMPUTE_PGM_RSRC2:TIDIG_COMP_CNT: 0
; COMPUTE_PGM_RSRC3_GFX90A:ACCUM_OFFSET: 10
; COMPUTE_PGM_RSRC3_GFX90A:TG_SPLIT: 0
	.section	.text._ZN7rocprim17ROCPRIM_400000_NS6detail17trampoline_kernelINS0_14default_configENS1_27scan_by_key_config_selectorIj11FixedVectorIiLj4EEEEZZNS1_16scan_by_key_implILNS1_25lookback_scan_determinismE0ELb1ES3_N6thrust23THRUST_200600_302600_NS6detail15normal_iteratorINSB_10device_ptrIjEEEENSD_INSE_IS6_EEEESI_S6_NSB_4plusIvEENSB_8equal_toIvEES6_EE10hipError_tPvRmT2_T3_T4_T5_mT6_T7_P12ihipStream_tbENKUlT_T0_E_clISt17integral_constantIbLb0EES13_EEDaSY_SZ_EUlSY_E_NS1_11comp_targetILNS1_3genE3ELNS1_11target_archE908ELNS1_3gpuE7ELNS1_3repE0EEENS1_30default_config_static_selectorELNS0_4arch9wavefront6targetE1EEEvT1_,"axG",@progbits,_ZN7rocprim17ROCPRIM_400000_NS6detail17trampoline_kernelINS0_14default_configENS1_27scan_by_key_config_selectorIj11FixedVectorIiLj4EEEEZZNS1_16scan_by_key_implILNS1_25lookback_scan_determinismE0ELb1ES3_N6thrust23THRUST_200600_302600_NS6detail15normal_iteratorINSB_10device_ptrIjEEEENSD_INSE_IS6_EEEESI_S6_NSB_4plusIvEENSB_8equal_toIvEES6_EE10hipError_tPvRmT2_T3_T4_T5_mT6_T7_P12ihipStream_tbENKUlT_T0_E_clISt17integral_constantIbLb0EES13_EEDaSY_SZ_EUlSY_E_NS1_11comp_targetILNS1_3genE3ELNS1_11target_archE908ELNS1_3gpuE7ELNS1_3repE0EEENS1_30default_config_static_selectorELNS0_4arch9wavefront6targetE1EEEvT1_,comdat
	.protected	_ZN7rocprim17ROCPRIM_400000_NS6detail17trampoline_kernelINS0_14default_configENS1_27scan_by_key_config_selectorIj11FixedVectorIiLj4EEEEZZNS1_16scan_by_key_implILNS1_25lookback_scan_determinismE0ELb1ES3_N6thrust23THRUST_200600_302600_NS6detail15normal_iteratorINSB_10device_ptrIjEEEENSD_INSE_IS6_EEEESI_S6_NSB_4plusIvEENSB_8equal_toIvEES6_EE10hipError_tPvRmT2_T3_T4_T5_mT6_T7_P12ihipStream_tbENKUlT_T0_E_clISt17integral_constantIbLb0EES13_EEDaSY_SZ_EUlSY_E_NS1_11comp_targetILNS1_3genE3ELNS1_11target_archE908ELNS1_3gpuE7ELNS1_3repE0EEENS1_30default_config_static_selectorELNS0_4arch9wavefront6targetE1EEEvT1_ ; -- Begin function _ZN7rocprim17ROCPRIM_400000_NS6detail17trampoline_kernelINS0_14default_configENS1_27scan_by_key_config_selectorIj11FixedVectorIiLj4EEEEZZNS1_16scan_by_key_implILNS1_25lookback_scan_determinismE0ELb1ES3_N6thrust23THRUST_200600_302600_NS6detail15normal_iteratorINSB_10device_ptrIjEEEENSD_INSE_IS6_EEEESI_S6_NSB_4plusIvEENSB_8equal_toIvEES6_EE10hipError_tPvRmT2_T3_T4_T5_mT6_T7_P12ihipStream_tbENKUlT_T0_E_clISt17integral_constantIbLb0EES13_EEDaSY_SZ_EUlSY_E_NS1_11comp_targetILNS1_3genE3ELNS1_11target_archE908ELNS1_3gpuE7ELNS1_3repE0EEENS1_30default_config_static_selectorELNS0_4arch9wavefront6targetE1EEEvT1_
	.globl	_ZN7rocprim17ROCPRIM_400000_NS6detail17trampoline_kernelINS0_14default_configENS1_27scan_by_key_config_selectorIj11FixedVectorIiLj4EEEEZZNS1_16scan_by_key_implILNS1_25lookback_scan_determinismE0ELb1ES3_N6thrust23THRUST_200600_302600_NS6detail15normal_iteratorINSB_10device_ptrIjEEEENSD_INSE_IS6_EEEESI_S6_NSB_4plusIvEENSB_8equal_toIvEES6_EE10hipError_tPvRmT2_T3_T4_T5_mT6_T7_P12ihipStream_tbENKUlT_T0_E_clISt17integral_constantIbLb0EES13_EEDaSY_SZ_EUlSY_E_NS1_11comp_targetILNS1_3genE3ELNS1_11target_archE908ELNS1_3gpuE7ELNS1_3repE0EEENS1_30default_config_static_selectorELNS0_4arch9wavefront6targetE1EEEvT1_
	.p2align	8
	.type	_ZN7rocprim17ROCPRIM_400000_NS6detail17trampoline_kernelINS0_14default_configENS1_27scan_by_key_config_selectorIj11FixedVectorIiLj4EEEEZZNS1_16scan_by_key_implILNS1_25lookback_scan_determinismE0ELb1ES3_N6thrust23THRUST_200600_302600_NS6detail15normal_iteratorINSB_10device_ptrIjEEEENSD_INSE_IS6_EEEESI_S6_NSB_4plusIvEENSB_8equal_toIvEES6_EE10hipError_tPvRmT2_T3_T4_T5_mT6_T7_P12ihipStream_tbENKUlT_T0_E_clISt17integral_constantIbLb0EES13_EEDaSY_SZ_EUlSY_E_NS1_11comp_targetILNS1_3genE3ELNS1_11target_archE908ELNS1_3gpuE7ELNS1_3repE0EEENS1_30default_config_static_selectorELNS0_4arch9wavefront6targetE1EEEvT1_,@function
_ZN7rocprim17ROCPRIM_400000_NS6detail17trampoline_kernelINS0_14default_configENS1_27scan_by_key_config_selectorIj11FixedVectorIiLj4EEEEZZNS1_16scan_by_key_implILNS1_25lookback_scan_determinismE0ELb1ES3_N6thrust23THRUST_200600_302600_NS6detail15normal_iteratorINSB_10device_ptrIjEEEENSD_INSE_IS6_EEEESI_S6_NSB_4plusIvEENSB_8equal_toIvEES6_EE10hipError_tPvRmT2_T3_T4_T5_mT6_T7_P12ihipStream_tbENKUlT_T0_E_clISt17integral_constantIbLb0EES13_EEDaSY_SZ_EUlSY_E_NS1_11comp_targetILNS1_3genE3ELNS1_11target_archE908ELNS1_3gpuE7ELNS1_3repE0EEENS1_30default_config_static_selectorELNS0_4arch9wavefront6targetE1EEEvT1_: ; @_ZN7rocprim17ROCPRIM_400000_NS6detail17trampoline_kernelINS0_14default_configENS1_27scan_by_key_config_selectorIj11FixedVectorIiLj4EEEEZZNS1_16scan_by_key_implILNS1_25lookback_scan_determinismE0ELb1ES3_N6thrust23THRUST_200600_302600_NS6detail15normal_iteratorINSB_10device_ptrIjEEEENSD_INSE_IS6_EEEESI_S6_NSB_4plusIvEENSB_8equal_toIvEES6_EE10hipError_tPvRmT2_T3_T4_T5_mT6_T7_P12ihipStream_tbENKUlT_T0_E_clISt17integral_constantIbLb0EES13_EEDaSY_SZ_EUlSY_E_NS1_11comp_targetILNS1_3genE3ELNS1_11target_archE908ELNS1_3gpuE7ELNS1_3repE0EEENS1_30default_config_static_selectorELNS0_4arch9wavefront6targetE1EEEvT1_
; %bb.0:
	.section	.rodata,"a",@progbits
	.p2align	6, 0x0
	.amdhsa_kernel _ZN7rocprim17ROCPRIM_400000_NS6detail17trampoline_kernelINS0_14default_configENS1_27scan_by_key_config_selectorIj11FixedVectorIiLj4EEEEZZNS1_16scan_by_key_implILNS1_25lookback_scan_determinismE0ELb1ES3_N6thrust23THRUST_200600_302600_NS6detail15normal_iteratorINSB_10device_ptrIjEEEENSD_INSE_IS6_EEEESI_S6_NSB_4plusIvEENSB_8equal_toIvEES6_EE10hipError_tPvRmT2_T3_T4_T5_mT6_T7_P12ihipStream_tbENKUlT_T0_E_clISt17integral_constantIbLb0EES13_EEDaSY_SZ_EUlSY_E_NS1_11comp_targetILNS1_3genE3ELNS1_11target_archE908ELNS1_3gpuE7ELNS1_3repE0EEENS1_30default_config_static_selectorELNS0_4arch9wavefront6targetE1EEEvT1_
		.amdhsa_group_segment_fixed_size 0
		.amdhsa_private_segment_fixed_size 0
		.amdhsa_kernarg_size 144
		.amdhsa_user_sgpr_count 6
		.amdhsa_user_sgpr_private_segment_buffer 1
		.amdhsa_user_sgpr_dispatch_ptr 0
		.amdhsa_user_sgpr_queue_ptr 0
		.amdhsa_user_sgpr_kernarg_segment_ptr 1
		.amdhsa_user_sgpr_dispatch_id 0
		.amdhsa_user_sgpr_flat_scratch_init 0
		.amdhsa_user_sgpr_kernarg_preload_length 0
		.amdhsa_user_sgpr_kernarg_preload_offset 0
		.amdhsa_user_sgpr_private_segment_size 0
		.amdhsa_uses_dynamic_stack 0
		.amdhsa_system_sgpr_private_segment_wavefront_offset 0
		.amdhsa_system_sgpr_workgroup_id_x 1
		.amdhsa_system_sgpr_workgroup_id_y 0
		.amdhsa_system_sgpr_workgroup_id_z 0
		.amdhsa_system_sgpr_workgroup_info 0
		.amdhsa_system_vgpr_workitem_id 0
		.amdhsa_next_free_vgpr 1
		.amdhsa_next_free_sgpr 0
		.amdhsa_accum_offset 4
		.amdhsa_reserve_vcc 0
		.amdhsa_reserve_flat_scratch 0
		.amdhsa_float_round_mode_32 0
		.amdhsa_float_round_mode_16_64 0
		.amdhsa_float_denorm_mode_32 3
		.amdhsa_float_denorm_mode_16_64 3
		.amdhsa_dx10_clamp 1
		.amdhsa_ieee_mode 1
		.amdhsa_fp16_overflow 0
		.amdhsa_tg_split 0
		.amdhsa_exception_fp_ieee_invalid_op 0
		.amdhsa_exception_fp_denorm_src 0
		.amdhsa_exception_fp_ieee_div_zero 0
		.amdhsa_exception_fp_ieee_overflow 0
		.amdhsa_exception_fp_ieee_underflow 0
		.amdhsa_exception_fp_ieee_inexact 0
		.amdhsa_exception_int_div_zero 0
	.end_amdhsa_kernel
	.section	.text._ZN7rocprim17ROCPRIM_400000_NS6detail17trampoline_kernelINS0_14default_configENS1_27scan_by_key_config_selectorIj11FixedVectorIiLj4EEEEZZNS1_16scan_by_key_implILNS1_25lookback_scan_determinismE0ELb1ES3_N6thrust23THRUST_200600_302600_NS6detail15normal_iteratorINSB_10device_ptrIjEEEENSD_INSE_IS6_EEEESI_S6_NSB_4plusIvEENSB_8equal_toIvEES6_EE10hipError_tPvRmT2_T3_T4_T5_mT6_T7_P12ihipStream_tbENKUlT_T0_E_clISt17integral_constantIbLb0EES13_EEDaSY_SZ_EUlSY_E_NS1_11comp_targetILNS1_3genE3ELNS1_11target_archE908ELNS1_3gpuE7ELNS1_3repE0EEENS1_30default_config_static_selectorELNS0_4arch9wavefront6targetE1EEEvT1_,"axG",@progbits,_ZN7rocprim17ROCPRIM_400000_NS6detail17trampoline_kernelINS0_14default_configENS1_27scan_by_key_config_selectorIj11FixedVectorIiLj4EEEEZZNS1_16scan_by_key_implILNS1_25lookback_scan_determinismE0ELb1ES3_N6thrust23THRUST_200600_302600_NS6detail15normal_iteratorINSB_10device_ptrIjEEEENSD_INSE_IS6_EEEESI_S6_NSB_4plusIvEENSB_8equal_toIvEES6_EE10hipError_tPvRmT2_T3_T4_T5_mT6_T7_P12ihipStream_tbENKUlT_T0_E_clISt17integral_constantIbLb0EES13_EEDaSY_SZ_EUlSY_E_NS1_11comp_targetILNS1_3genE3ELNS1_11target_archE908ELNS1_3gpuE7ELNS1_3repE0EEENS1_30default_config_static_selectorELNS0_4arch9wavefront6targetE1EEEvT1_,comdat
.Lfunc_end2079:
	.size	_ZN7rocprim17ROCPRIM_400000_NS6detail17trampoline_kernelINS0_14default_configENS1_27scan_by_key_config_selectorIj11FixedVectorIiLj4EEEEZZNS1_16scan_by_key_implILNS1_25lookback_scan_determinismE0ELb1ES3_N6thrust23THRUST_200600_302600_NS6detail15normal_iteratorINSB_10device_ptrIjEEEENSD_INSE_IS6_EEEESI_S6_NSB_4plusIvEENSB_8equal_toIvEES6_EE10hipError_tPvRmT2_T3_T4_T5_mT6_T7_P12ihipStream_tbENKUlT_T0_E_clISt17integral_constantIbLb0EES13_EEDaSY_SZ_EUlSY_E_NS1_11comp_targetILNS1_3genE3ELNS1_11target_archE908ELNS1_3gpuE7ELNS1_3repE0EEENS1_30default_config_static_selectorELNS0_4arch9wavefront6targetE1EEEvT1_, .Lfunc_end2079-_ZN7rocprim17ROCPRIM_400000_NS6detail17trampoline_kernelINS0_14default_configENS1_27scan_by_key_config_selectorIj11FixedVectorIiLj4EEEEZZNS1_16scan_by_key_implILNS1_25lookback_scan_determinismE0ELb1ES3_N6thrust23THRUST_200600_302600_NS6detail15normal_iteratorINSB_10device_ptrIjEEEENSD_INSE_IS6_EEEESI_S6_NSB_4plusIvEENSB_8equal_toIvEES6_EE10hipError_tPvRmT2_T3_T4_T5_mT6_T7_P12ihipStream_tbENKUlT_T0_E_clISt17integral_constantIbLb0EES13_EEDaSY_SZ_EUlSY_E_NS1_11comp_targetILNS1_3genE3ELNS1_11target_archE908ELNS1_3gpuE7ELNS1_3repE0EEENS1_30default_config_static_selectorELNS0_4arch9wavefront6targetE1EEEvT1_
                                        ; -- End function
	.section	.AMDGPU.csdata,"",@progbits
; Kernel info:
; codeLenInByte = 0
; NumSgprs: 4
; NumVgprs: 0
; NumAgprs: 0
; TotalNumVgprs: 0
; ScratchSize: 0
; MemoryBound: 0
; FloatMode: 240
; IeeeMode: 1
; LDSByteSize: 0 bytes/workgroup (compile time only)
; SGPRBlocks: 0
; VGPRBlocks: 0
; NumSGPRsForWavesPerEU: 4
; NumVGPRsForWavesPerEU: 1
; AccumOffset: 4
; Occupancy: 8
; WaveLimiterHint : 0
; COMPUTE_PGM_RSRC2:SCRATCH_EN: 0
; COMPUTE_PGM_RSRC2:USER_SGPR: 6
; COMPUTE_PGM_RSRC2:TRAP_HANDLER: 0
; COMPUTE_PGM_RSRC2:TGID_X_EN: 1
; COMPUTE_PGM_RSRC2:TGID_Y_EN: 0
; COMPUTE_PGM_RSRC2:TGID_Z_EN: 0
; COMPUTE_PGM_RSRC2:TIDIG_COMP_CNT: 0
; COMPUTE_PGM_RSRC3_GFX90A:ACCUM_OFFSET: 0
; COMPUTE_PGM_RSRC3_GFX90A:TG_SPLIT: 0
	.section	.text._ZN7rocprim17ROCPRIM_400000_NS6detail17trampoline_kernelINS0_14default_configENS1_27scan_by_key_config_selectorIj11FixedVectorIiLj4EEEEZZNS1_16scan_by_key_implILNS1_25lookback_scan_determinismE0ELb1ES3_N6thrust23THRUST_200600_302600_NS6detail15normal_iteratorINSB_10device_ptrIjEEEENSD_INSE_IS6_EEEESI_S6_NSB_4plusIvEENSB_8equal_toIvEES6_EE10hipError_tPvRmT2_T3_T4_T5_mT6_T7_P12ihipStream_tbENKUlT_T0_E_clISt17integral_constantIbLb0EES13_EEDaSY_SZ_EUlSY_E_NS1_11comp_targetILNS1_3genE2ELNS1_11target_archE906ELNS1_3gpuE6ELNS1_3repE0EEENS1_30default_config_static_selectorELNS0_4arch9wavefront6targetE1EEEvT1_,"axG",@progbits,_ZN7rocprim17ROCPRIM_400000_NS6detail17trampoline_kernelINS0_14default_configENS1_27scan_by_key_config_selectorIj11FixedVectorIiLj4EEEEZZNS1_16scan_by_key_implILNS1_25lookback_scan_determinismE0ELb1ES3_N6thrust23THRUST_200600_302600_NS6detail15normal_iteratorINSB_10device_ptrIjEEEENSD_INSE_IS6_EEEESI_S6_NSB_4plusIvEENSB_8equal_toIvEES6_EE10hipError_tPvRmT2_T3_T4_T5_mT6_T7_P12ihipStream_tbENKUlT_T0_E_clISt17integral_constantIbLb0EES13_EEDaSY_SZ_EUlSY_E_NS1_11comp_targetILNS1_3genE2ELNS1_11target_archE906ELNS1_3gpuE6ELNS1_3repE0EEENS1_30default_config_static_selectorELNS0_4arch9wavefront6targetE1EEEvT1_,comdat
	.protected	_ZN7rocprim17ROCPRIM_400000_NS6detail17trampoline_kernelINS0_14default_configENS1_27scan_by_key_config_selectorIj11FixedVectorIiLj4EEEEZZNS1_16scan_by_key_implILNS1_25lookback_scan_determinismE0ELb1ES3_N6thrust23THRUST_200600_302600_NS6detail15normal_iteratorINSB_10device_ptrIjEEEENSD_INSE_IS6_EEEESI_S6_NSB_4plusIvEENSB_8equal_toIvEES6_EE10hipError_tPvRmT2_T3_T4_T5_mT6_T7_P12ihipStream_tbENKUlT_T0_E_clISt17integral_constantIbLb0EES13_EEDaSY_SZ_EUlSY_E_NS1_11comp_targetILNS1_3genE2ELNS1_11target_archE906ELNS1_3gpuE6ELNS1_3repE0EEENS1_30default_config_static_selectorELNS0_4arch9wavefront6targetE1EEEvT1_ ; -- Begin function _ZN7rocprim17ROCPRIM_400000_NS6detail17trampoline_kernelINS0_14default_configENS1_27scan_by_key_config_selectorIj11FixedVectorIiLj4EEEEZZNS1_16scan_by_key_implILNS1_25lookback_scan_determinismE0ELb1ES3_N6thrust23THRUST_200600_302600_NS6detail15normal_iteratorINSB_10device_ptrIjEEEENSD_INSE_IS6_EEEESI_S6_NSB_4plusIvEENSB_8equal_toIvEES6_EE10hipError_tPvRmT2_T3_T4_T5_mT6_T7_P12ihipStream_tbENKUlT_T0_E_clISt17integral_constantIbLb0EES13_EEDaSY_SZ_EUlSY_E_NS1_11comp_targetILNS1_3genE2ELNS1_11target_archE906ELNS1_3gpuE6ELNS1_3repE0EEENS1_30default_config_static_selectorELNS0_4arch9wavefront6targetE1EEEvT1_
	.globl	_ZN7rocprim17ROCPRIM_400000_NS6detail17trampoline_kernelINS0_14default_configENS1_27scan_by_key_config_selectorIj11FixedVectorIiLj4EEEEZZNS1_16scan_by_key_implILNS1_25lookback_scan_determinismE0ELb1ES3_N6thrust23THRUST_200600_302600_NS6detail15normal_iteratorINSB_10device_ptrIjEEEENSD_INSE_IS6_EEEESI_S6_NSB_4plusIvEENSB_8equal_toIvEES6_EE10hipError_tPvRmT2_T3_T4_T5_mT6_T7_P12ihipStream_tbENKUlT_T0_E_clISt17integral_constantIbLb0EES13_EEDaSY_SZ_EUlSY_E_NS1_11comp_targetILNS1_3genE2ELNS1_11target_archE906ELNS1_3gpuE6ELNS1_3repE0EEENS1_30default_config_static_selectorELNS0_4arch9wavefront6targetE1EEEvT1_
	.p2align	8
	.type	_ZN7rocprim17ROCPRIM_400000_NS6detail17trampoline_kernelINS0_14default_configENS1_27scan_by_key_config_selectorIj11FixedVectorIiLj4EEEEZZNS1_16scan_by_key_implILNS1_25lookback_scan_determinismE0ELb1ES3_N6thrust23THRUST_200600_302600_NS6detail15normal_iteratorINSB_10device_ptrIjEEEENSD_INSE_IS6_EEEESI_S6_NSB_4plusIvEENSB_8equal_toIvEES6_EE10hipError_tPvRmT2_T3_T4_T5_mT6_T7_P12ihipStream_tbENKUlT_T0_E_clISt17integral_constantIbLb0EES13_EEDaSY_SZ_EUlSY_E_NS1_11comp_targetILNS1_3genE2ELNS1_11target_archE906ELNS1_3gpuE6ELNS1_3repE0EEENS1_30default_config_static_selectorELNS0_4arch9wavefront6targetE1EEEvT1_,@function
_ZN7rocprim17ROCPRIM_400000_NS6detail17trampoline_kernelINS0_14default_configENS1_27scan_by_key_config_selectorIj11FixedVectorIiLj4EEEEZZNS1_16scan_by_key_implILNS1_25lookback_scan_determinismE0ELb1ES3_N6thrust23THRUST_200600_302600_NS6detail15normal_iteratorINSB_10device_ptrIjEEEENSD_INSE_IS6_EEEESI_S6_NSB_4plusIvEENSB_8equal_toIvEES6_EE10hipError_tPvRmT2_T3_T4_T5_mT6_T7_P12ihipStream_tbENKUlT_T0_E_clISt17integral_constantIbLb0EES13_EEDaSY_SZ_EUlSY_E_NS1_11comp_targetILNS1_3genE2ELNS1_11target_archE906ELNS1_3gpuE6ELNS1_3repE0EEENS1_30default_config_static_selectorELNS0_4arch9wavefront6targetE1EEEvT1_: ; @_ZN7rocprim17ROCPRIM_400000_NS6detail17trampoline_kernelINS0_14default_configENS1_27scan_by_key_config_selectorIj11FixedVectorIiLj4EEEEZZNS1_16scan_by_key_implILNS1_25lookback_scan_determinismE0ELb1ES3_N6thrust23THRUST_200600_302600_NS6detail15normal_iteratorINSB_10device_ptrIjEEEENSD_INSE_IS6_EEEESI_S6_NSB_4plusIvEENSB_8equal_toIvEES6_EE10hipError_tPvRmT2_T3_T4_T5_mT6_T7_P12ihipStream_tbENKUlT_T0_E_clISt17integral_constantIbLb0EES13_EEDaSY_SZ_EUlSY_E_NS1_11comp_targetILNS1_3genE2ELNS1_11target_archE906ELNS1_3gpuE6ELNS1_3repE0EEENS1_30default_config_static_selectorELNS0_4arch9wavefront6targetE1EEEvT1_
; %bb.0:
	.section	.rodata,"a",@progbits
	.p2align	6, 0x0
	.amdhsa_kernel _ZN7rocprim17ROCPRIM_400000_NS6detail17trampoline_kernelINS0_14default_configENS1_27scan_by_key_config_selectorIj11FixedVectorIiLj4EEEEZZNS1_16scan_by_key_implILNS1_25lookback_scan_determinismE0ELb1ES3_N6thrust23THRUST_200600_302600_NS6detail15normal_iteratorINSB_10device_ptrIjEEEENSD_INSE_IS6_EEEESI_S6_NSB_4plusIvEENSB_8equal_toIvEES6_EE10hipError_tPvRmT2_T3_T4_T5_mT6_T7_P12ihipStream_tbENKUlT_T0_E_clISt17integral_constantIbLb0EES13_EEDaSY_SZ_EUlSY_E_NS1_11comp_targetILNS1_3genE2ELNS1_11target_archE906ELNS1_3gpuE6ELNS1_3repE0EEENS1_30default_config_static_selectorELNS0_4arch9wavefront6targetE1EEEvT1_
		.amdhsa_group_segment_fixed_size 0
		.amdhsa_private_segment_fixed_size 0
		.amdhsa_kernarg_size 144
		.amdhsa_user_sgpr_count 6
		.amdhsa_user_sgpr_private_segment_buffer 1
		.amdhsa_user_sgpr_dispatch_ptr 0
		.amdhsa_user_sgpr_queue_ptr 0
		.amdhsa_user_sgpr_kernarg_segment_ptr 1
		.amdhsa_user_sgpr_dispatch_id 0
		.amdhsa_user_sgpr_flat_scratch_init 0
		.amdhsa_user_sgpr_kernarg_preload_length 0
		.amdhsa_user_sgpr_kernarg_preload_offset 0
		.amdhsa_user_sgpr_private_segment_size 0
		.amdhsa_uses_dynamic_stack 0
		.amdhsa_system_sgpr_private_segment_wavefront_offset 0
		.amdhsa_system_sgpr_workgroup_id_x 1
		.amdhsa_system_sgpr_workgroup_id_y 0
		.amdhsa_system_sgpr_workgroup_id_z 0
		.amdhsa_system_sgpr_workgroup_info 0
		.amdhsa_system_vgpr_workitem_id 0
		.amdhsa_next_free_vgpr 1
		.amdhsa_next_free_sgpr 0
		.amdhsa_accum_offset 4
		.amdhsa_reserve_vcc 0
		.amdhsa_reserve_flat_scratch 0
		.amdhsa_float_round_mode_32 0
		.amdhsa_float_round_mode_16_64 0
		.amdhsa_float_denorm_mode_32 3
		.amdhsa_float_denorm_mode_16_64 3
		.amdhsa_dx10_clamp 1
		.amdhsa_ieee_mode 1
		.amdhsa_fp16_overflow 0
		.amdhsa_tg_split 0
		.amdhsa_exception_fp_ieee_invalid_op 0
		.amdhsa_exception_fp_denorm_src 0
		.amdhsa_exception_fp_ieee_div_zero 0
		.amdhsa_exception_fp_ieee_overflow 0
		.amdhsa_exception_fp_ieee_underflow 0
		.amdhsa_exception_fp_ieee_inexact 0
		.amdhsa_exception_int_div_zero 0
	.end_amdhsa_kernel
	.section	.text._ZN7rocprim17ROCPRIM_400000_NS6detail17trampoline_kernelINS0_14default_configENS1_27scan_by_key_config_selectorIj11FixedVectorIiLj4EEEEZZNS1_16scan_by_key_implILNS1_25lookback_scan_determinismE0ELb1ES3_N6thrust23THRUST_200600_302600_NS6detail15normal_iteratorINSB_10device_ptrIjEEEENSD_INSE_IS6_EEEESI_S6_NSB_4plusIvEENSB_8equal_toIvEES6_EE10hipError_tPvRmT2_T3_T4_T5_mT6_T7_P12ihipStream_tbENKUlT_T0_E_clISt17integral_constantIbLb0EES13_EEDaSY_SZ_EUlSY_E_NS1_11comp_targetILNS1_3genE2ELNS1_11target_archE906ELNS1_3gpuE6ELNS1_3repE0EEENS1_30default_config_static_selectorELNS0_4arch9wavefront6targetE1EEEvT1_,"axG",@progbits,_ZN7rocprim17ROCPRIM_400000_NS6detail17trampoline_kernelINS0_14default_configENS1_27scan_by_key_config_selectorIj11FixedVectorIiLj4EEEEZZNS1_16scan_by_key_implILNS1_25lookback_scan_determinismE0ELb1ES3_N6thrust23THRUST_200600_302600_NS6detail15normal_iteratorINSB_10device_ptrIjEEEENSD_INSE_IS6_EEEESI_S6_NSB_4plusIvEENSB_8equal_toIvEES6_EE10hipError_tPvRmT2_T3_T4_T5_mT6_T7_P12ihipStream_tbENKUlT_T0_E_clISt17integral_constantIbLb0EES13_EEDaSY_SZ_EUlSY_E_NS1_11comp_targetILNS1_3genE2ELNS1_11target_archE906ELNS1_3gpuE6ELNS1_3repE0EEENS1_30default_config_static_selectorELNS0_4arch9wavefront6targetE1EEEvT1_,comdat
.Lfunc_end2080:
	.size	_ZN7rocprim17ROCPRIM_400000_NS6detail17trampoline_kernelINS0_14default_configENS1_27scan_by_key_config_selectorIj11FixedVectorIiLj4EEEEZZNS1_16scan_by_key_implILNS1_25lookback_scan_determinismE0ELb1ES3_N6thrust23THRUST_200600_302600_NS6detail15normal_iteratorINSB_10device_ptrIjEEEENSD_INSE_IS6_EEEESI_S6_NSB_4plusIvEENSB_8equal_toIvEES6_EE10hipError_tPvRmT2_T3_T4_T5_mT6_T7_P12ihipStream_tbENKUlT_T0_E_clISt17integral_constantIbLb0EES13_EEDaSY_SZ_EUlSY_E_NS1_11comp_targetILNS1_3genE2ELNS1_11target_archE906ELNS1_3gpuE6ELNS1_3repE0EEENS1_30default_config_static_selectorELNS0_4arch9wavefront6targetE1EEEvT1_, .Lfunc_end2080-_ZN7rocprim17ROCPRIM_400000_NS6detail17trampoline_kernelINS0_14default_configENS1_27scan_by_key_config_selectorIj11FixedVectorIiLj4EEEEZZNS1_16scan_by_key_implILNS1_25lookback_scan_determinismE0ELb1ES3_N6thrust23THRUST_200600_302600_NS6detail15normal_iteratorINSB_10device_ptrIjEEEENSD_INSE_IS6_EEEESI_S6_NSB_4plusIvEENSB_8equal_toIvEES6_EE10hipError_tPvRmT2_T3_T4_T5_mT6_T7_P12ihipStream_tbENKUlT_T0_E_clISt17integral_constantIbLb0EES13_EEDaSY_SZ_EUlSY_E_NS1_11comp_targetILNS1_3genE2ELNS1_11target_archE906ELNS1_3gpuE6ELNS1_3repE0EEENS1_30default_config_static_selectorELNS0_4arch9wavefront6targetE1EEEvT1_
                                        ; -- End function
	.section	.AMDGPU.csdata,"",@progbits
; Kernel info:
; codeLenInByte = 0
; NumSgprs: 4
; NumVgprs: 0
; NumAgprs: 0
; TotalNumVgprs: 0
; ScratchSize: 0
; MemoryBound: 0
; FloatMode: 240
; IeeeMode: 1
; LDSByteSize: 0 bytes/workgroup (compile time only)
; SGPRBlocks: 0
; VGPRBlocks: 0
; NumSGPRsForWavesPerEU: 4
; NumVGPRsForWavesPerEU: 1
; AccumOffset: 4
; Occupancy: 8
; WaveLimiterHint : 0
; COMPUTE_PGM_RSRC2:SCRATCH_EN: 0
; COMPUTE_PGM_RSRC2:USER_SGPR: 6
; COMPUTE_PGM_RSRC2:TRAP_HANDLER: 0
; COMPUTE_PGM_RSRC2:TGID_X_EN: 1
; COMPUTE_PGM_RSRC2:TGID_Y_EN: 0
; COMPUTE_PGM_RSRC2:TGID_Z_EN: 0
; COMPUTE_PGM_RSRC2:TIDIG_COMP_CNT: 0
; COMPUTE_PGM_RSRC3_GFX90A:ACCUM_OFFSET: 0
; COMPUTE_PGM_RSRC3_GFX90A:TG_SPLIT: 0
	.section	.text._ZN7rocprim17ROCPRIM_400000_NS6detail17trampoline_kernelINS0_14default_configENS1_27scan_by_key_config_selectorIj11FixedVectorIiLj4EEEEZZNS1_16scan_by_key_implILNS1_25lookback_scan_determinismE0ELb1ES3_N6thrust23THRUST_200600_302600_NS6detail15normal_iteratorINSB_10device_ptrIjEEEENSD_INSE_IS6_EEEESI_S6_NSB_4plusIvEENSB_8equal_toIvEES6_EE10hipError_tPvRmT2_T3_T4_T5_mT6_T7_P12ihipStream_tbENKUlT_T0_E_clISt17integral_constantIbLb0EES13_EEDaSY_SZ_EUlSY_E_NS1_11comp_targetILNS1_3genE10ELNS1_11target_archE1200ELNS1_3gpuE4ELNS1_3repE0EEENS1_30default_config_static_selectorELNS0_4arch9wavefront6targetE1EEEvT1_,"axG",@progbits,_ZN7rocprim17ROCPRIM_400000_NS6detail17trampoline_kernelINS0_14default_configENS1_27scan_by_key_config_selectorIj11FixedVectorIiLj4EEEEZZNS1_16scan_by_key_implILNS1_25lookback_scan_determinismE0ELb1ES3_N6thrust23THRUST_200600_302600_NS6detail15normal_iteratorINSB_10device_ptrIjEEEENSD_INSE_IS6_EEEESI_S6_NSB_4plusIvEENSB_8equal_toIvEES6_EE10hipError_tPvRmT2_T3_T4_T5_mT6_T7_P12ihipStream_tbENKUlT_T0_E_clISt17integral_constantIbLb0EES13_EEDaSY_SZ_EUlSY_E_NS1_11comp_targetILNS1_3genE10ELNS1_11target_archE1200ELNS1_3gpuE4ELNS1_3repE0EEENS1_30default_config_static_selectorELNS0_4arch9wavefront6targetE1EEEvT1_,comdat
	.protected	_ZN7rocprim17ROCPRIM_400000_NS6detail17trampoline_kernelINS0_14default_configENS1_27scan_by_key_config_selectorIj11FixedVectorIiLj4EEEEZZNS1_16scan_by_key_implILNS1_25lookback_scan_determinismE0ELb1ES3_N6thrust23THRUST_200600_302600_NS6detail15normal_iteratorINSB_10device_ptrIjEEEENSD_INSE_IS6_EEEESI_S6_NSB_4plusIvEENSB_8equal_toIvEES6_EE10hipError_tPvRmT2_T3_T4_T5_mT6_T7_P12ihipStream_tbENKUlT_T0_E_clISt17integral_constantIbLb0EES13_EEDaSY_SZ_EUlSY_E_NS1_11comp_targetILNS1_3genE10ELNS1_11target_archE1200ELNS1_3gpuE4ELNS1_3repE0EEENS1_30default_config_static_selectorELNS0_4arch9wavefront6targetE1EEEvT1_ ; -- Begin function _ZN7rocprim17ROCPRIM_400000_NS6detail17trampoline_kernelINS0_14default_configENS1_27scan_by_key_config_selectorIj11FixedVectorIiLj4EEEEZZNS1_16scan_by_key_implILNS1_25lookback_scan_determinismE0ELb1ES3_N6thrust23THRUST_200600_302600_NS6detail15normal_iteratorINSB_10device_ptrIjEEEENSD_INSE_IS6_EEEESI_S6_NSB_4plusIvEENSB_8equal_toIvEES6_EE10hipError_tPvRmT2_T3_T4_T5_mT6_T7_P12ihipStream_tbENKUlT_T0_E_clISt17integral_constantIbLb0EES13_EEDaSY_SZ_EUlSY_E_NS1_11comp_targetILNS1_3genE10ELNS1_11target_archE1200ELNS1_3gpuE4ELNS1_3repE0EEENS1_30default_config_static_selectorELNS0_4arch9wavefront6targetE1EEEvT1_
	.globl	_ZN7rocprim17ROCPRIM_400000_NS6detail17trampoline_kernelINS0_14default_configENS1_27scan_by_key_config_selectorIj11FixedVectorIiLj4EEEEZZNS1_16scan_by_key_implILNS1_25lookback_scan_determinismE0ELb1ES3_N6thrust23THRUST_200600_302600_NS6detail15normal_iteratorINSB_10device_ptrIjEEEENSD_INSE_IS6_EEEESI_S6_NSB_4plusIvEENSB_8equal_toIvEES6_EE10hipError_tPvRmT2_T3_T4_T5_mT6_T7_P12ihipStream_tbENKUlT_T0_E_clISt17integral_constantIbLb0EES13_EEDaSY_SZ_EUlSY_E_NS1_11comp_targetILNS1_3genE10ELNS1_11target_archE1200ELNS1_3gpuE4ELNS1_3repE0EEENS1_30default_config_static_selectorELNS0_4arch9wavefront6targetE1EEEvT1_
	.p2align	8
	.type	_ZN7rocprim17ROCPRIM_400000_NS6detail17trampoline_kernelINS0_14default_configENS1_27scan_by_key_config_selectorIj11FixedVectorIiLj4EEEEZZNS1_16scan_by_key_implILNS1_25lookback_scan_determinismE0ELb1ES3_N6thrust23THRUST_200600_302600_NS6detail15normal_iteratorINSB_10device_ptrIjEEEENSD_INSE_IS6_EEEESI_S6_NSB_4plusIvEENSB_8equal_toIvEES6_EE10hipError_tPvRmT2_T3_T4_T5_mT6_T7_P12ihipStream_tbENKUlT_T0_E_clISt17integral_constantIbLb0EES13_EEDaSY_SZ_EUlSY_E_NS1_11comp_targetILNS1_3genE10ELNS1_11target_archE1200ELNS1_3gpuE4ELNS1_3repE0EEENS1_30default_config_static_selectorELNS0_4arch9wavefront6targetE1EEEvT1_,@function
_ZN7rocprim17ROCPRIM_400000_NS6detail17trampoline_kernelINS0_14default_configENS1_27scan_by_key_config_selectorIj11FixedVectorIiLj4EEEEZZNS1_16scan_by_key_implILNS1_25lookback_scan_determinismE0ELb1ES3_N6thrust23THRUST_200600_302600_NS6detail15normal_iteratorINSB_10device_ptrIjEEEENSD_INSE_IS6_EEEESI_S6_NSB_4plusIvEENSB_8equal_toIvEES6_EE10hipError_tPvRmT2_T3_T4_T5_mT6_T7_P12ihipStream_tbENKUlT_T0_E_clISt17integral_constantIbLb0EES13_EEDaSY_SZ_EUlSY_E_NS1_11comp_targetILNS1_3genE10ELNS1_11target_archE1200ELNS1_3gpuE4ELNS1_3repE0EEENS1_30default_config_static_selectorELNS0_4arch9wavefront6targetE1EEEvT1_: ; @_ZN7rocprim17ROCPRIM_400000_NS6detail17trampoline_kernelINS0_14default_configENS1_27scan_by_key_config_selectorIj11FixedVectorIiLj4EEEEZZNS1_16scan_by_key_implILNS1_25lookback_scan_determinismE0ELb1ES3_N6thrust23THRUST_200600_302600_NS6detail15normal_iteratorINSB_10device_ptrIjEEEENSD_INSE_IS6_EEEESI_S6_NSB_4plusIvEENSB_8equal_toIvEES6_EE10hipError_tPvRmT2_T3_T4_T5_mT6_T7_P12ihipStream_tbENKUlT_T0_E_clISt17integral_constantIbLb0EES13_EEDaSY_SZ_EUlSY_E_NS1_11comp_targetILNS1_3genE10ELNS1_11target_archE1200ELNS1_3gpuE4ELNS1_3repE0EEENS1_30default_config_static_selectorELNS0_4arch9wavefront6targetE1EEEvT1_
; %bb.0:
	.section	.rodata,"a",@progbits
	.p2align	6, 0x0
	.amdhsa_kernel _ZN7rocprim17ROCPRIM_400000_NS6detail17trampoline_kernelINS0_14default_configENS1_27scan_by_key_config_selectorIj11FixedVectorIiLj4EEEEZZNS1_16scan_by_key_implILNS1_25lookback_scan_determinismE0ELb1ES3_N6thrust23THRUST_200600_302600_NS6detail15normal_iteratorINSB_10device_ptrIjEEEENSD_INSE_IS6_EEEESI_S6_NSB_4plusIvEENSB_8equal_toIvEES6_EE10hipError_tPvRmT2_T3_T4_T5_mT6_T7_P12ihipStream_tbENKUlT_T0_E_clISt17integral_constantIbLb0EES13_EEDaSY_SZ_EUlSY_E_NS1_11comp_targetILNS1_3genE10ELNS1_11target_archE1200ELNS1_3gpuE4ELNS1_3repE0EEENS1_30default_config_static_selectorELNS0_4arch9wavefront6targetE1EEEvT1_
		.amdhsa_group_segment_fixed_size 0
		.amdhsa_private_segment_fixed_size 0
		.amdhsa_kernarg_size 144
		.amdhsa_user_sgpr_count 6
		.amdhsa_user_sgpr_private_segment_buffer 1
		.amdhsa_user_sgpr_dispatch_ptr 0
		.amdhsa_user_sgpr_queue_ptr 0
		.amdhsa_user_sgpr_kernarg_segment_ptr 1
		.amdhsa_user_sgpr_dispatch_id 0
		.amdhsa_user_sgpr_flat_scratch_init 0
		.amdhsa_user_sgpr_kernarg_preload_length 0
		.amdhsa_user_sgpr_kernarg_preload_offset 0
		.amdhsa_user_sgpr_private_segment_size 0
		.amdhsa_uses_dynamic_stack 0
		.amdhsa_system_sgpr_private_segment_wavefront_offset 0
		.amdhsa_system_sgpr_workgroup_id_x 1
		.amdhsa_system_sgpr_workgroup_id_y 0
		.amdhsa_system_sgpr_workgroup_id_z 0
		.amdhsa_system_sgpr_workgroup_info 0
		.amdhsa_system_vgpr_workitem_id 0
		.amdhsa_next_free_vgpr 1
		.amdhsa_next_free_sgpr 0
		.amdhsa_accum_offset 4
		.amdhsa_reserve_vcc 0
		.amdhsa_reserve_flat_scratch 0
		.amdhsa_float_round_mode_32 0
		.amdhsa_float_round_mode_16_64 0
		.amdhsa_float_denorm_mode_32 3
		.amdhsa_float_denorm_mode_16_64 3
		.amdhsa_dx10_clamp 1
		.amdhsa_ieee_mode 1
		.amdhsa_fp16_overflow 0
		.amdhsa_tg_split 0
		.amdhsa_exception_fp_ieee_invalid_op 0
		.amdhsa_exception_fp_denorm_src 0
		.amdhsa_exception_fp_ieee_div_zero 0
		.amdhsa_exception_fp_ieee_overflow 0
		.amdhsa_exception_fp_ieee_underflow 0
		.amdhsa_exception_fp_ieee_inexact 0
		.amdhsa_exception_int_div_zero 0
	.end_amdhsa_kernel
	.section	.text._ZN7rocprim17ROCPRIM_400000_NS6detail17trampoline_kernelINS0_14default_configENS1_27scan_by_key_config_selectorIj11FixedVectorIiLj4EEEEZZNS1_16scan_by_key_implILNS1_25lookback_scan_determinismE0ELb1ES3_N6thrust23THRUST_200600_302600_NS6detail15normal_iteratorINSB_10device_ptrIjEEEENSD_INSE_IS6_EEEESI_S6_NSB_4plusIvEENSB_8equal_toIvEES6_EE10hipError_tPvRmT2_T3_T4_T5_mT6_T7_P12ihipStream_tbENKUlT_T0_E_clISt17integral_constantIbLb0EES13_EEDaSY_SZ_EUlSY_E_NS1_11comp_targetILNS1_3genE10ELNS1_11target_archE1200ELNS1_3gpuE4ELNS1_3repE0EEENS1_30default_config_static_selectorELNS0_4arch9wavefront6targetE1EEEvT1_,"axG",@progbits,_ZN7rocprim17ROCPRIM_400000_NS6detail17trampoline_kernelINS0_14default_configENS1_27scan_by_key_config_selectorIj11FixedVectorIiLj4EEEEZZNS1_16scan_by_key_implILNS1_25lookback_scan_determinismE0ELb1ES3_N6thrust23THRUST_200600_302600_NS6detail15normal_iteratorINSB_10device_ptrIjEEEENSD_INSE_IS6_EEEESI_S6_NSB_4plusIvEENSB_8equal_toIvEES6_EE10hipError_tPvRmT2_T3_T4_T5_mT6_T7_P12ihipStream_tbENKUlT_T0_E_clISt17integral_constantIbLb0EES13_EEDaSY_SZ_EUlSY_E_NS1_11comp_targetILNS1_3genE10ELNS1_11target_archE1200ELNS1_3gpuE4ELNS1_3repE0EEENS1_30default_config_static_selectorELNS0_4arch9wavefront6targetE1EEEvT1_,comdat
.Lfunc_end2081:
	.size	_ZN7rocprim17ROCPRIM_400000_NS6detail17trampoline_kernelINS0_14default_configENS1_27scan_by_key_config_selectorIj11FixedVectorIiLj4EEEEZZNS1_16scan_by_key_implILNS1_25lookback_scan_determinismE0ELb1ES3_N6thrust23THRUST_200600_302600_NS6detail15normal_iteratorINSB_10device_ptrIjEEEENSD_INSE_IS6_EEEESI_S6_NSB_4plusIvEENSB_8equal_toIvEES6_EE10hipError_tPvRmT2_T3_T4_T5_mT6_T7_P12ihipStream_tbENKUlT_T0_E_clISt17integral_constantIbLb0EES13_EEDaSY_SZ_EUlSY_E_NS1_11comp_targetILNS1_3genE10ELNS1_11target_archE1200ELNS1_3gpuE4ELNS1_3repE0EEENS1_30default_config_static_selectorELNS0_4arch9wavefront6targetE1EEEvT1_, .Lfunc_end2081-_ZN7rocprim17ROCPRIM_400000_NS6detail17trampoline_kernelINS0_14default_configENS1_27scan_by_key_config_selectorIj11FixedVectorIiLj4EEEEZZNS1_16scan_by_key_implILNS1_25lookback_scan_determinismE0ELb1ES3_N6thrust23THRUST_200600_302600_NS6detail15normal_iteratorINSB_10device_ptrIjEEEENSD_INSE_IS6_EEEESI_S6_NSB_4plusIvEENSB_8equal_toIvEES6_EE10hipError_tPvRmT2_T3_T4_T5_mT6_T7_P12ihipStream_tbENKUlT_T0_E_clISt17integral_constantIbLb0EES13_EEDaSY_SZ_EUlSY_E_NS1_11comp_targetILNS1_3genE10ELNS1_11target_archE1200ELNS1_3gpuE4ELNS1_3repE0EEENS1_30default_config_static_selectorELNS0_4arch9wavefront6targetE1EEEvT1_
                                        ; -- End function
	.section	.AMDGPU.csdata,"",@progbits
; Kernel info:
; codeLenInByte = 0
; NumSgprs: 4
; NumVgprs: 0
; NumAgprs: 0
; TotalNumVgprs: 0
; ScratchSize: 0
; MemoryBound: 0
; FloatMode: 240
; IeeeMode: 1
; LDSByteSize: 0 bytes/workgroup (compile time only)
; SGPRBlocks: 0
; VGPRBlocks: 0
; NumSGPRsForWavesPerEU: 4
; NumVGPRsForWavesPerEU: 1
; AccumOffset: 4
; Occupancy: 8
; WaveLimiterHint : 0
; COMPUTE_PGM_RSRC2:SCRATCH_EN: 0
; COMPUTE_PGM_RSRC2:USER_SGPR: 6
; COMPUTE_PGM_RSRC2:TRAP_HANDLER: 0
; COMPUTE_PGM_RSRC2:TGID_X_EN: 1
; COMPUTE_PGM_RSRC2:TGID_Y_EN: 0
; COMPUTE_PGM_RSRC2:TGID_Z_EN: 0
; COMPUTE_PGM_RSRC2:TIDIG_COMP_CNT: 0
; COMPUTE_PGM_RSRC3_GFX90A:ACCUM_OFFSET: 0
; COMPUTE_PGM_RSRC3_GFX90A:TG_SPLIT: 0
	.section	.text._ZN7rocprim17ROCPRIM_400000_NS6detail17trampoline_kernelINS0_14default_configENS1_27scan_by_key_config_selectorIj11FixedVectorIiLj4EEEEZZNS1_16scan_by_key_implILNS1_25lookback_scan_determinismE0ELb1ES3_N6thrust23THRUST_200600_302600_NS6detail15normal_iteratorINSB_10device_ptrIjEEEENSD_INSE_IS6_EEEESI_S6_NSB_4plusIvEENSB_8equal_toIvEES6_EE10hipError_tPvRmT2_T3_T4_T5_mT6_T7_P12ihipStream_tbENKUlT_T0_E_clISt17integral_constantIbLb0EES13_EEDaSY_SZ_EUlSY_E_NS1_11comp_targetILNS1_3genE9ELNS1_11target_archE1100ELNS1_3gpuE3ELNS1_3repE0EEENS1_30default_config_static_selectorELNS0_4arch9wavefront6targetE1EEEvT1_,"axG",@progbits,_ZN7rocprim17ROCPRIM_400000_NS6detail17trampoline_kernelINS0_14default_configENS1_27scan_by_key_config_selectorIj11FixedVectorIiLj4EEEEZZNS1_16scan_by_key_implILNS1_25lookback_scan_determinismE0ELb1ES3_N6thrust23THRUST_200600_302600_NS6detail15normal_iteratorINSB_10device_ptrIjEEEENSD_INSE_IS6_EEEESI_S6_NSB_4plusIvEENSB_8equal_toIvEES6_EE10hipError_tPvRmT2_T3_T4_T5_mT6_T7_P12ihipStream_tbENKUlT_T0_E_clISt17integral_constantIbLb0EES13_EEDaSY_SZ_EUlSY_E_NS1_11comp_targetILNS1_3genE9ELNS1_11target_archE1100ELNS1_3gpuE3ELNS1_3repE0EEENS1_30default_config_static_selectorELNS0_4arch9wavefront6targetE1EEEvT1_,comdat
	.protected	_ZN7rocprim17ROCPRIM_400000_NS6detail17trampoline_kernelINS0_14default_configENS1_27scan_by_key_config_selectorIj11FixedVectorIiLj4EEEEZZNS1_16scan_by_key_implILNS1_25lookback_scan_determinismE0ELb1ES3_N6thrust23THRUST_200600_302600_NS6detail15normal_iteratorINSB_10device_ptrIjEEEENSD_INSE_IS6_EEEESI_S6_NSB_4plusIvEENSB_8equal_toIvEES6_EE10hipError_tPvRmT2_T3_T4_T5_mT6_T7_P12ihipStream_tbENKUlT_T0_E_clISt17integral_constantIbLb0EES13_EEDaSY_SZ_EUlSY_E_NS1_11comp_targetILNS1_3genE9ELNS1_11target_archE1100ELNS1_3gpuE3ELNS1_3repE0EEENS1_30default_config_static_selectorELNS0_4arch9wavefront6targetE1EEEvT1_ ; -- Begin function _ZN7rocprim17ROCPRIM_400000_NS6detail17trampoline_kernelINS0_14default_configENS1_27scan_by_key_config_selectorIj11FixedVectorIiLj4EEEEZZNS1_16scan_by_key_implILNS1_25lookback_scan_determinismE0ELb1ES3_N6thrust23THRUST_200600_302600_NS6detail15normal_iteratorINSB_10device_ptrIjEEEENSD_INSE_IS6_EEEESI_S6_NSB_4plusIvEENSB_8equal_toIvEES6_EE10hipError_tPvRmT2_T3_T4_T5_mT6_T7_P12ihipStream_tbENKUlT_T0_E_clISt17integral_constantIbLb0EES13_EEDaSY_SZ_EUlSY_E_NS1_11comp_targetILNS1_3genE9ELNS1_11target_archE1100ELNS1_3gpuE3ELNS1_3repE0EEENS1_30default_config_static_selectorELNS0_4arch9wavefront6targetE1EEEvT1_
	.globl	_ZN7rocprim17ROCPRIM_400000_NS6detail17trampoline_kernelINS0_14default_configENS1_27scan_by_key_config_selectorIj11FixedVectorIiLj4EEEEZZNS1_16scan_by_key_implILNS1_25lookback_scan_determinismE0ELb1ES3_N6thrust23THRUST_200600_302600_NS6detail15normal_iteratorINSB_10device_ptrIjEEEENSD_INSE_IS6_EEEESI_S6_NSB_4plusIvEENSB_8equal_toIvEES6_EE10hipError_tPvRmT2_T3_T4_T5_mT6_T7_P12ihipStream_tbENKUlT_T0_E_clISt17integral_constantIbLb0EES13_EEDaSY_SZ_EUlSY_E_NS1_11comp_targetILNS1_3genE9ELNS1_11target_archE1100ELNS1_3gpuE3ELNS1_3repE0EEENS1_30default_config_static_selectorELNS0_4arch9wavefront6targetE1EEEvT1_
	.p2align	8
	.type	_ZN7rocprim17ROCPRIM_400000_NS6detail17trampoline_kernelINS0_14default_configENS1_27scan_by_key_config_selectorIj11FixedVectorIiLj4EEEEZZNS1_16scan_by_key_implILNS1_25lookback_scan_determinismE0ELb1ES3_N6thrust23THRUST_200600_302600_NS6detail15normal_iteratorINSB_10device_ptrIjEEEENSD_INSE_IS6_EEEESI_S6_NSB_4plusIvEENSB_8equal_toIvEES6_EE10hipError_tPvRmT2_T3_T4_T5_mT6_T7_P12ihipStream_tbENKUlT_T0_E_clISt17integral_constantIbLb0EES13_EEDaSY_SZ_EUlSY_E_NS1_11comp_targetILNS1_3genE9ELNS1_11target_archE1100ELNS1_3gpuE3ELNS1_3repE0EEENS1_30default_config_static_selectorELNS0_4arch9wavefront6targetE1EEEvT1_,@function
_ZN7rocprim17ROCPRIM_400000_NS6detail17trampoline_kernelINS0_14default_configENS1_27scan_by_key_config_selectorIj11FixedVectorIiLj4EEEEZZNS1_16scan_by_key_implILNS1_25lookback_scan_determinismE0ELb1ES3_N6thrust23THRUST_200600_302600_NS6detail15normal_iteratorINSB_10device_ptrIjEEEENSD_INSE_IS6_EEEESI_S6_NSB_4plusIvEENSB_8equal_toIvEES6_EE10hipError_tPvRmT2_T3_T4_T5_mT6_T7_P12ihipStream_tbENKUlT_T0_E_clISt17integral_constantIbLb0EES13_EEDaSY_SZ_EUlSY_E_NS1_11comp_targetILNS1_3genE9ELNS1_11target_archE1100ELNS1_3gpuE3ELNS1_3repE0EEENS1_30default_config_static_selectorELNS0_4arch9wavefront6targetE1EEEvT1_: ; @_ZN7rocprim17ROCPRIM_400000_NS6detail17trampoline_kernelINS0_14default_configENS1_27scan_by_key_config_selectorIj11FixedVectorIiLj4EEEEZZNS1_16scan_by_key_implILNS1_25lookback_scan_determinismE0ELb1ES3_N6thrust23THRUST_200600_302600_NS6detail15normal_iteratorINSB_10device_ptrIjEEEENSD_INSE_IS6_EEEESI_S6_NSB_4plusIvEENSB_8equal_toIvEES6_EE10hipError_tPvRmT2_T3_T4_T5_mT6_T7_P12ihipStream_tbENKUlT_T0_E_clISt17integral_constantIbLb0EES13_EEDaSY_SZ_EUlSY_E_NS1_11comp_targetILNS1_3genE9ELNS1_11target_archE1100ELNS1_3gpuE3ELNS1_3repE0EEENS1_30default_config_static_selectorELNS0_4arch9wavefront6targetE1EEEvT1_
; %bb.0:
	.section	.rodata,"a",@progbits
	.p2align	6, 0x0
	.amdhsa_kernel _ZN7rocprim17ROCPRIM_400000_NS6detail17trampoline_kernelINS0_14default_configENS1_27scan_by_key_config_selectorIj11FixedVectorIiLj4EEEEZZNS1_16scan_by_key_implILNS1_25lookback_scan_determinismE0ELb1ES3_N6thrust23THRUST_200600_302600_NS6detail15normal_iteratorINSB_10device_ptrIjEEEENSD_INSE_IS6_EEEESI_S6_NSB_4plusIvEENSB_8equal_toIvEES6_EE10hipError_tPvRmT2_T3_T4_T5_mT6_T7_P12ihipStream_tbENKUlT_T0_E_clISt17integral_constantIbLb0EES13_EEDaSY_SZ_EUlSY_E_NS1_11comp_targetILNS1_3genE9ELNS1_11target_archE1100ELNS1_3gpuE3ELNS1_3repE0EEENS1_30default_config_static_selectorELNS0_4arch9wavefront6targetE1EEEvT1_
		.amdhsa_group_segment_fixed_size 0
		.amdhsa_private_segment_fixed_size 0
		.amdhsa_kernarg_size 144
		.amdhsa_user_sgpr_count 6
		.amdhsa_user_sgpr_private_segment_buffer 1
		.amdhsa_user_sgpr_dispatch_ptr 0
		.amdhsa_user_sgpr_queue_ptr 0
		.amdhsa_user_sgpr_kernarg_segment_ptr 1
		.amdhsa_user_sgpr_dispatch_id 0
		.amdhsa_user_sgpr_flat_scratch_init 0
		.amdhsa_user_sgpr_kernarg_preload_length 0
		.amdhsa_user_sgpr_kernarg_preload_offset 0
		.amdhsa_user_sgpr_private_segment_size 0
		.amdhsa_uses_dynamic_stack 0
		.amdhsa_system_sgpr_private_segment_wavefront_offset 0
		.amdhsa_system_sgpr_workgroup_id_x 1
		.amdhsa_system_sgpr_workgroup_id_y 0
		.amdhsa_system_sgpr_workgroup_id_z 0
		.amdhsa_system_sgpr_workgroup_info 0
		.amdhsa_system_vgpr_workitem_id 0
		.amdhsa_next_free_vgpr 1
		.amdhsa_next_free_sgpr 0
		.amdhsa_accum_offset 4
		.amdhsa_reserve_vcc 0
		.amdhsa_reserve_flat_scratch 0
		.amdhsa_float_round_mode_32 0
		.amdhsa_float_round_mode_16_64 0
		.amdhsa_float_denorm_mode_32 3
		.amdhsa_float_denorm_mode_16_64 3
		.amdhsa_dx10_clamp 1
		.amdhsa_ieee_mode 1
		.amdhsa_fp16_overflow 0
		.amdhsa_tg_split 0
		.amdhsa_exception_fp_ieee_invalid_op 0
		.amdhsa_exception_fp_denorm_src 0
		.amdhsa_exception_fp_ieee_div_zero 0
		.amdhsa_exception_fp_ieee_overflow 0
		.amdhsa_exception_fp_ieee_underflow 0
		.amdhsa_exception_fp_ieee_inexact 0
		.amdhsa_exception_int_div_zero 0
	.end_amdhsa_kernel
	.section	.text._ZN7rocprim17ROCPRIM_400000_NS6detail17trampoline_kernelINS0_14default_configENS1_27scan_by_key_config_selectorIj11FixedVectorIiLj4EEEEZZNS1_16scan_by_key_implILNS1_25lookback_scan_determinismE0ELb1ES3_N6thrust23THRUST_200600_302600_NS6detail15normal_iteratorINSB_10device_ptrIjEEEENSD_INSE_IS6_EEEESI_S6_NSB_4plusIvEENSB_8equal_toIvEES6_EE10hipError_tPvRmT2_T3_T4_T5_mT6_T7_P12ihipStream_tbENKUlT_T0_E_clISt17integral_constantIbLb0EES13_EEDaSY_SZ_EUlSY_E_NS1_11comp_targetILNS1_3genE9ELNS1_11target_archE1100ELNS1_3gpuE3ELNS1_3repE0EEENS1_30default_config_static_selectorELNS0_4arch9wavefront6targetE1EEEvT1_,"axG",@progbits,_ZN7rocprim17ROCPRIM_400000_NS6detail17trampoline_kernelINS0_14default_configENS1_27scan_by_key_config_selectorIj11FixedVectorIiLj4EEEEZZNS1_16scan_by_key_implILNS1_25lookback_scan_determinismE0ELb1ES3_N6thrust23THRUST_200600_302600_NS6detail15normal_iteratorINSB_10device_ptrIjEEEENSD_INSE_IS6_EEEESI_S6_NSB_4plusIvEENSB_8equal_toIvEES6_EE10hipError_tPvRmT2_T3_T4_T5_mT6_T7_P12ihipStream_tbENKUlT_T0_E_clISt17integral_constantIbLb0EES13_EEDaSY_SZ_EUlSY_E_NS1_11comp_targetILNS1_3genE9ELNS1_11target_archE1100ELNS1_3gpuE3ELNS1_3repE0EEENS1_30default_config_static_selectorELNS0_4arch9wavefront6targetE1EEEvT1_,comdat
.Lfunc_end2082:
	.size	_ZN7rocprim17ROCPRIM_400000_NS6detail17trampoline_kernelINS0_14default_configENS1_27scan_by_key_config_selectorIj11FixedVectorIiLj4EEEEZZNS1_16scan_by_key_implILNS1_25lookback_scan_determinismE0ELb1ES3_N6thrust23THRUST_200600_302600_NS6detail15normal_iteratorINSB_10device_ptrIjEEEENSD_INSE_IS6_EEEESI_S6_NSB_4plusIvEENSB_8equal_toIvEES6_EE10hipError_tPvRmT2_T3_T4_T5_mT6_T7_P12ihipStream_tbENKUlT_T0_E_clISt17integral_constantIbLb0EES13_EEDaSY_SZ_EUlSY_E_NS1_11comp_targetILNS1_3genE9ELNS1_11target_archE1100ELNS1_3gpuE3ELNS1_3repE0EEENS1_30default_config_static_selectorELNS0_4arch9wavefront6targetE1EEEvT1_, .Lfunc_end2082-_ZN7rocprim17ROCPRIM_400000_NS6detail17trampoline_kernelINS0_14default_configENS1_27scan_by_key_config_selectorIj11FixedVectorIiLj4EEEEZZNS1_16scan_by_key_implILNS1_25lookback_scan_determinismE0ELb1ES3_N6thrust23THRUST_200600_302600_NS6detail15normal_iteratorINSB_10device_ptrIjEEEENSD_INSE_IS6_EEEESI_S6_NSB_4plusIvEENSB_8equal_toIvEES6_EE10hipError_tPvRmT2_T3_T4_T5_mT6_T7_P12ihipStream_tbENKUlT_T0_E_clISt17integral_constantIbLb0EES13_EEDaSY_SZ_EUlSY_E_NS1_11comp_targetILNS1_3genE9ELNS1_11target_archE1100ELNS1_3gpuE3ELNS1_3repE0EEENS1_30default_config_static_selectorELNS0_4arch9wavefront6targetE1EEEvT1_
                                        ; -- End function
	.section	.AMDGPU.csdata,"",@progbits
; Kernel info:
; codeLenInByte = 0
; NumSgprs: 4
; NumVgprs: 0
; NumAgprs: 0
; TotalNumVgprs: 0
; ScratchSize: 0
; MemoryBound: 0
; FloatMode: 240
; IeeeMode: 1
; LDSByteSize: 0 bytes/workgroup (compile time only)
; SGPRBlocks: 0
; VGPRBlocks: 0
; NumSGPRsForWavesPerEU: 4
; NumVGPRsForWavesPerEU: 1
; AccumOffset: 4
; Occupancy: 8
; WaveLimiterHint : 0
; COMPUTE_PGM_RSRC2:SCRATCH_EN: 0
; COMPUTE_PGM_RSRC2:USER_SGPR: 6
; COMPUTE_PGM_RSRC2:TRAP_HANDLER: 0
; COMPUTE_PGM_RSRC2:TGID_X_EN: 1
; COMPUTE_PGM_RSRC2:TGID_Y_EN: 0
; COMPUTE_PGM_RSRC2:TGID_Z_EN: 0
; COMPUTE_PGM_RSRC2:TIDIG_COMP_CNT: 0
; COMPUTE_PGM_RSRC3_GFX90A:ACCUM_OFFSET: 0
; COMPUTE_PGM_RSRC3_GFX90A:TG_SPLIT: 0
	.section	.text._ZN7rocprim17ROCPRIM_400000_NS6detail17trampoline_kernelINS0_14default_configENS1_27scan_by_key_config_selectorIj11FixedVectorIiLj4EEEEZZNS1_16scan_by_key_implILNS1_25lookback_scan_determinismE0ELb1ES3_N6thrust23THRUST_200600_302600_NS6detail15normal_iteratorINSB_10device_ptrIjEEEENSD_INSE_IS6_EEEESI_S6_NSB_4plusIvEENSB_8equal_toIvEES6_EE10hipError_tPvRmT2_T3_T4_T5_mT6_T7_P12ihipStream_tbENKUlT_T0_E_clISt17integral_constantIbLb0EES13_EEDaSY_SZ_EUlSY_E_NS1_11comp_targetILNS1_3genE8ELNS1_11target_archE1030ELNS1_3gpuE2ELNS1_3repE0EEENS1_30default_config_static_selectorELNS0_4arch9wavefront6targetE1EEEvT1_,"axG",@progbits,_ZN7rocprim17ROCPRIM_400000_NS6detail17trampoline_kernelINS0_14default_configENS1_27scan_by_key_config_selectorIj11FixedVectorIiLj4EEEEZZNS1_16scan_by_key_implILNS1_25lookback_scan_determinismE0ELb1ES3_N6thrust23THRUST_200600_302600_NS6detail15normal_iteratorINSB_10device_ptrIjEEEENSD_INSE_IS6_EEEESI_S6_NSB_4plusIvEENSB_8equal_toIvEES6_EE10hipError_tPvRmT2_T3_T4_T5_mT6_T7_P12ihipStream_tbENKUlT_T0_E_clISt17integral_constantIbLb0EES13_EEDaSY_SZ_EUlSY_E_NS1_11comp_targetILNS1_3genE8ELNS1_11target_archE1030ELNS1_3gpuE2ELNS1_3repE0EEENS1_30default_config_static_selectorELNS0_4arch9wavefront6targetE1EEEvT1_,comdat
	.protected	_ZN7rocprim17ROCPRIM_400000_NS6detail17trampoline_kernelINS0_14default_configENS1_27scan_by_key_config_selectorIj11FixedVectorIiLj4EEEEZZNS1_16scan_by_key_implILNS1_25lookback_scan_determinismE0ELb1ES3_N6thrust23THRUST_200600_302600_NS6detail15normal_iteratorINSB_10device_ptrIjEEEENSD_INSE_IS6_EEEESI_S6_NSB_4plusIvEENSB_8equal_toIvEES6_EE10hipError_tPvRmT2_T3_T4_T5_mT6_T7_P12ihipStream_tbENKUlT_T0_E_clISt17integral_constantIbLb0EES13_EEDaSY_SZ_EUlSY_E_NS1_11comp_targetILNS1_3genE8ELNS1_11target_archE1030ELNS1_3gpuE2ELNS1_3repE0EEENS1_30default_config_static_selectorELNS0_4arch9wavefront6targetE1EEEvT1_ ; -- Begin function _ZN7rocprim17ROCPRIM_400000_NS6detail17trampoline_kernelINS0_14default_configENS1_27scan_by_key_config_selectorIj11FixedVectorIiLj4EEEEZZNS1_16scan_by_key_implILNS1_25lookback_scan_determinismE0ELb1ES3_N6thrust23THRUST_200600_302600_NS6detail15normal_iteratorINSB_10device_ptrIjEEEENSD_INSE_IS6_EEEESI_S6_NSB_4plusIvEENSB_8equal_toIvEES6_EE10hipError_tPvRmT2_T3_T4_T5_mT6_T7_P12ihipStream_tbENKUlT_T0_E_clISt17integral_constantIbLb0EES13_EEDaSY_SZ_EUlSY_E_NS1_11comp_targetILNS1_3genE8ELNS1_11target_archE1030ELNS1_3gpuE2ELNS1_3repE0EEENS1_30default_config_static_selectorELNS0_4arch9wavefront6targetE1EEEvT1_
	.globl	_ZN7rocprim17ROCPRIM_400000_NS6detail17trampoline_kernelINS0_14default_configENS1_27scan_by_key_config_selectorIj11FixedVectorIiLj4EEEEZZNS1_16scan_by_key_implILNS1_25lookback_scan_determinismE0ELb1ES3_N6thrust23THRUST_200600_302600_NS6detail15normal_iteratorINSB_10device_ptrIjEEEENSD_INSE_IS6_EEEESI_S6_NSB_4plusIvEENSB_8equal_toIvEES6_EE10hipError_tPvRmT2_T3_T4_T5_mT6_T7_P12ihipStream_tbENKUlT_T0_E_clISt17integral_constantIbLb0EES13_EEDaSY_SZ_EUlSY_E_NS1_11comp_targetILNS1_3genE8ELNS1_11target_archE1030ELNS1_3gpuE2ELNS1_3repE0EEENS1_30default_config_static_selectorELNS0_4arch9wavefront6targetE1EEEvT1_
	.p2align	8
	.type	_ZN7rocprim17ROCPRIM_400000_NS6detail17trampoline_kernelINS0_14default_configENS1_27scan_by_key_config_selectorIj11FixedVectorIiLj4EEEEZZNS1_16scan_by_key_implILNS1_25lookback_scan_determinismE0ELb1ES3_N6thrust23THRUST_200600_302600_NS6detail15normal_iteratorINSB_10device_ptrIjEEEENSD_INSE_IS6_EEEESI_S6_NSB_4plusIvEENSB_8equal_toIvEES6_EE10hipError_tPvRmT2_T3_T4_T5_mT6_T7_P12ihipStream_tbENKUlT_T0_E_clISt17integral_constantIbLb0EES13_EEDaSY_SZ_EUlSY_E_NS1_11comp_targetILNS1_3genE8ELNS1_11target_archE1030ELNS1_3gpuE2ELNS1_3repE0EEENS1_30default_config_static_selectorELNS0_4arch9wavefront6targetE1EEEvT1_,@function
_ZN7rocprim17ROCPRIM_400000_NS6detail17trampoline_kernelINS0_14default_configENS1_27scan_by_key_config_selectorIj11FixedVectorIiLj4EEEEZZNS1_16scan_by_key_implILNS1_25lookback_scan_determinismE0ELb1ES3_N6thrust23THRUST_200600_302600_NS6detail15normal_iteratorINSB_10device_ptrIjEEEENSD_INSE_IS6_EEEESI_S6_NSB_4plusIvEENSB_8equal_toIvEES6_EE10hipError_tPvRmT2_T3_T4_T5_mT6_T7_P12ihipStream_tbENKUlT_T0_E_clISt17integral_constantIbLb0EES13_EEDaSY_SZ_EUlSY_E_NS1_11comp_targetILNS1_3genE8ELNS1_11target_archE1030ELNS1_3gpuE2ELNS1_3repE0EEENS1_30default_config_static_selectorELNS0_4arch9wavefront6targetE1EEEvT1_: ; @_ZN7rocprim17ROCPRIM_400000_NS6detail17trampoline_kernelINS0_14default_configENS1_27scan_by_key_config_selectorIj11FixedVectorIiLj4EEEEZZNS1_16scan_by_key_implILNS1_25lookback_scan_determinismE0ELb1ES3_N6thrust23THRUST_200600_302600_NS6detail15normal_iteratorINSB_10device_ptrIjEEEENSD_INSE_IS6_EEEESI_S6_NSB_4plusIvEENSB_8equal_toIvEES6_EE10hipError_tPvRmT2_T3_T4_T5_mT6_T7_P12ihipStream_tbENKUlT_T0_E_clISt17integral_constantIbLb0EES13_EEDaSY_SZ_EUlSY_E_NS1_11comp_targetILNS1_3genE8ELNS1_11target_archE1030ELNS1_3gpuE2ELNS1_3repE0EEENS1_30default_config_static_selectorELNS0_4arch9wavefront6targetE1EEEvT1_
; %bb.0:
	.section	.rodata,"a",@progbits
	.p2align	6, 0x0
	.amdhsa_kernel _ZN7rocprim17ROCPRIM_400000_NS6detail17trampoline_kernelINS0_14default_configENS1_27scan_by_key_config_selectorIj11FixedVectorIiLj4EEEEZZNS1_16scan_by_key_implILNS1_25lookback_scan_determinismE0ELb1ES3_N6thrust23THRUST_200600_302600_NS6detail15normal_iteratorINSB_10device_ptrIjEEEENSD_INSE_IS6_EEEESI_S6_NSB_4plusIvEENSB_8equal_toIvEES6_EE10hipError_tPvRmT2_T3_T4_T5_mT6_T7_P12ihipStream_tbENKUlT_T0_E_clISt17integral_constantIbLb0EES13_EEDaSY_SZ_EUlSY_E_NS1_11comp_targetILNS1_3genE8ELNS1_11target_archE1030ELNS1_3gpuE2ELNS1_3repE0EEENS1_30default_config_static_selectorELNS0_4arch9wavefront6targetE1EEEvT1_
		.amdhsa_group_segment_fixed_size 0
		.amdhsa_private_segment_fixed_size 0
		.amdhsa_kernarg_size 144
		.amdhsa_user_sgpr_count 6
		.amdhsa_user_sgpr_private_segment_buffer 1
		.amdhsa_user_sgpr_dispatch_ptr 0
		.amdhsa_user_sgpr_queue_ptr 0
		.amdhsa_user_sgpr_kernarg_segment_ptr 1
		.amdhsa_user_sgpr_dispatch_id 0
		.amdhsa_user_sgpr_flat_scratch_init 0
		.amdhsa_user_sgpr_kernarg_preload_length 0
		.amdhsa_user_sgpr_kernarg_preload_offset 0
		.amdhsa_user_sgpr_private_segment_size 0
		.amdhsa_uses_dynamic_stack 0
		.amdhsa_system_sgpr_private_segment_wavefront_offset 0
		.amdhsa_system_sgpr_workgroup_id_x 1
		.amdhsa_system_sgpr_workgroup_id_y 0
		.amdhsa_system_sgpr_workgroup_id_z 0
		.amdhsa_system_sgpr_workgroup_info 0
		.amdhsa_system_vgpr_workitem_id 0
		.amdhsa_next_free_vgpr 1
		.amdhsa_next_free_sgpr 0
		.amdhsa_accum_offset 4
		.amdhsa_reserve_vcc 0
		.amdhsa_reserve_flat_scratch 0
		.amdhsa_float_round_mode_32 0
		.amdhsa_float_round_mode_16_64 0
		.amdhsa_float_denorm_mode_32 3
		.amdhsa_float_denorm_mode_16_64 3
		.amdhsa_dx10_clamp 1
		.amdhsa_ieee_mode 1
		.amdhsa_fp16_overflow 0
		.amdhsa_tg_split 0
		.amdhsa_exception_fp_ieee_invalid_op 0
		.amdhsa_exception_fp_denorm_src 0
		.amdhsa_exception_fp_ieee_div_zero 0
		.amdhsa_exception_fp_ieee_overflow 0
		.amdhsa_exception_fp_ieee_underflow 0
		.amdhsa_exception_fp_ieee_inexact 0
		.amdhsa_exception_int_div_zero 0
	.end_amdhsa_kernel
	.section	.text._ZN7rocprim17ROCPRIM_400000_NS6detail17trampoline_kernelINS0_14default_configENS1_27scan_by_key_config_selectorIj11FixedVectorIiLj4EEEEZZNS1_16scan_by_key_implILNS1_25lookback_scan_determinismE0ELb1ES3_N6thrust23THRUST_200600_302600_NS6detail15normal_iteratorINSB_10device_ptrIjEEEENSD_INSE_IS6_EEEESI_S6_NSB_4plusIvEENSB_8equal_toIvEES6_EE10hipError_tPvRmT2_T3_T4_T5_mT6_T7_P12ihipStream_tbENKUlT_T0_E_clISt17integral_constantIbLb0EES13_EEDaSY_SZ_EUlSY_E_NS1_11comp_targetILNS1_3genE8ELNS1_11target_archE1030ELNS1_3gpuE2ELNS1_3repE0EEENS1_30default_config_static_selectorELNS0_4arch9wavefront6targetE1EEEvT1_,"axG",@progbits,_ZN7rocprim17ROCPRIM_400000_NS6detail17trampoline_kernelINS0_14default_configENS1_27scan_by_key_config_selectorIj11FixedVectorIiLj4EEEEZZNS1_16scan_by_key_implILNS1_25lookback_scan_determinismE0ELb1ES3_N6thrust23THRUST_200600_302600_NS6detail15normal_iteratorINSB_10device_ptrIjEEEENSD_INSE_IS6_EEEESI_S6_NSB_4plusIvEENSB_8equal_toIvEES6_EE10hipError_tPvRmT2_T3_T4_T5_mT6_T7_P12ihipStream_tbENKUlT_T0_E_clISt17integral_constantIbLb0EES13_EEDaSY_SZ_EUlSY_E_NS1_11comp_targetILNS1_3genE8ELNS1_11target_archE1030ELNS1_3gpuE2ELNS1_3repE0EEENS1_30default_config_static_selectorELNS0_4arch9wavefront6targetE1EEEvT1_,comdat
.Lfunc_end2083:
	.size	_ZN7rocprim17ROCPRIM_400000_NS6detail17trampoline_kernelINS0_14default_configENS1_27scan_by_key_config_selectorIj11FixedVectorIiLj4EEEEZZNS1_16scan_by_key_implILNS1_25lookback_scan_determinismE0ELb1ES3_N6thrust23THRUST_200600_302600_NS6detail15normal_iteratorINSB_10device_ptrIjEEEENSD_INSE_IS6_EEEESI_S6_NSB_4plusIvEENSB_8equal_toIvEES6_EE10hipError_tPvRmT2_T3_T4_T5_mT6_T7_P12ihipStream_tbENKUlT_T0_E_clISt17integral_constantIbLb0EES13_EEDaSY_SZ_EUlSY_E_NS1_11comp_targetILNS1_3genE8ELNS1_11target_archE1030ELNS1_3gpuE2ELNS1_3repE0EEENS1_30default_config_static_selectorELNS0_4arch9wavefront6targetE1EEEvT1_, .Lfunc_end2083-_ZN7rocprim17ROCPRIM_400000_NS6detail17trampoline_kernelINS0_14default_configENS1_27scan_by_key_config_selectorIj11FixedVectorIiLj4EEEEZZNS1_16scan_by_key_implILNS1_25lookback_scan_determinismE0ELb1ES3_N6thrust23THRUST_200600_302600_NS6detail15normal_iteratorINSB_10device_ptrIjEEEENSD_INSE_IS6_EEEESI_S6_NSB_4plusIvEENSB_8equal_toIvEES6_EE10hipError_tPvRmT2_T3_T4_T5_mT6_T7_P12ihipStream_tbENKUlT_T0_E_clISt17integral_constantIbLb0EES13_EEDaSY_SZ_EUlSY_E_NS1_11comp_targetILNS1_3genE8ELNS1_11target_archE1030ELNS1_3gpuE2ELNS1_3repE0EEENS1_30default_config_static_selectorELNS0_4arch9wavefront6targetE1EEEvT1_
                                        ; -- End function
	.section	.AMDGPU.csdata,"",@progbits
; Kernel info:
; codeLenInByte = 0
; NumSgprs: 4
; NumVgprs: 0
; NumAgprs: 0
; TotalNumVgprs: 0
; ScratchSize: 0
; MemoryBound: 0
; FloatMode: 240
; IeeeMode: 1
; LDSByteSize: 0 bytes/workgroup (compile time only)
; SGPRBlocks: 0
; VGPRBlocks: 0
; NumSGPRsForWavesPerEU: 4
; NumVGPRsForWavesPerEU: 1
; AccumOffset: 4
; Occupancy: 8
; WaveLimiterHint : 0
; COMPUTE_PGM_RSRC2:SCRATCH_EN: 0
; COMPUTE_PGM_RSRC2:USER_SGPR: 6
; COMPUTE_PGM_RSRC2:TRAP_HANDLER: 0
; COMPUTE_PGM_RSRC2:TGID_X_EN: 1
; COMPUTE_PGM_RSRC2:TGID_Y_EN: 0
; COMPUTE_PGM_RSRC2:TGID_Z_EN: 0
; COMPUTE_PGM_RSRC2:TIDIG_COMP_CNT: 0
; COMPUTE_PGM_RSRC3_GFX90A:ACCUM_OFFSET: 0
; COMPUTE_PGM_RSRC3_GFX90A:TG_SPLIT: 0
	.section	.text._ZN7rocprim17ROCPRIM_400000_NS6detail17trampoline_kernelINS0_14default_configENS1_27scan_by_key_config_selectorIj11FixedVectorIiLj4EEEEZZNS1_16scan_by_key_implILNS1_25lookback_scan_determinismE0ELb1ES3_N6thrust23THRUST_200600_302600_NS6detail15normal_iteratorINSB_10device_ptrIjEEEENSD_INSE_IS6_EEEESI_S6_NSB_4plusIvEENSB_8equal_toIvEES6_EE10hipError_tPvRmT2_T3_T4_T5_mT6_T7_P12ihipStream_tbENKUlT_T0_E_clISt17integral_constantIbLb1EES13_EEDaSY_SZ_EUlSY_E_NS1_11comp_targetILNS1_3genE0ELNS1_11target_archE4294967295ELNS1_3gpuE0ELNS1_3repE0EEENS1_30default_config_static_selectorELNS0_4arch9wavefront6targetE1EEEvT1_,"axG",@progbits,_ZN7rocprim17ROCPRIM_400000_NS6detail17trampoline_kernelINS0_14default_configENS1_27scan_by_key_config_selectorIj11FixedVectorIiLj4EEEEZZNS1_16scan_by_key_implILNS1_25lookback_scan_determinismE0ELb1ES3_N6thrust23THRUST_200600_302600_NS6detail15normal_iteratorINSB_10device_ptrIjEEEENSD_INSE_IS6_EEEESI_S6_NSB_4plusIvEENSB_8equal_toIvEES6_EE10hipError_tPvRmT2_T3_T4_T5_mT6_T7_P12ihipStream_tbENKUlT_T0_E_clISt17integral_constantIbLb1EES13_EEDaSY_SZ_EUlSY_E_NS1_11comp_targetILNS1_3genE0ELNS1_11target_archE4294967295ELNS1_3gpuE0ELNS1_3repE0EEENS1_30default_config_static_selectorELNS0_4arch9wavefront6targetE1EEEvT1_,comdat
	.protected	_ZN7rocprim17ROCPRIM_400000_NS6detail17trampoline_kernelINS0_14default_configENS1_27scan_by_key_config_selectorIj11FixedVectorIiLj4EEEEZZNS1_16scan_by_key_implILNS1_25lookback_scan_determinismE0ELb1ES3_N6thrust23THRUST_200600_302600_NS6detail15normal_iteratorINSB_10device_ptrIjEEEENSD_INSE_IS6_EEEESI_S6_NSB_4plusIvEENSB_8equal_toIvEES6_EE10hipError_tPvRmT2_T3_T4_T5_mT6_T7_P12ihipStream_tbENKUlT_T0_E_clISt17integral_constantIbLb1EES13_EEDaSY_SZ_EUlSY_E_NS1_11comp_targetILNS1_3genE0ELNS1_11target_archE4294967295ELNS1_3gpuE0ELNS1_3repE0EEENS1_30default_config_static_selectorELNS0_4arch9wavefront6targetE1EEEvT1_ ; -- Begin function _ZN7rocprim17ROCPRIM_400000_NS6detail17trampoline_kernelINS0_14default_configENS1_27scan_by_key_config_selectorIj11FixedVectorIiLj4EEEEZZNS1_16scan_by_key_implILNS1_25lookback_scan_determinismE0ELb1ES3_N6thrust23THRUST_200600_302600_NS6detail15normal_iteratorINSB_10device_ptrIjEEEENSD_INSE_IS6_EEEESI_S6_NSB_4plusIvEENSB_8equal_toIvEES6_EE10hipError_tPvRmT2_T3_T4_T5_mT6_T7_P12ihipStream_tbENKUlT_T0_E_clISt17integral_constantIbLb1EES13_EEDaSY_SZ_EUlSY_E_NS1_11comp_targetILNS1_3genE0ELNS1_11target_archE4294967295ELNS1_3gpuE0ELNS1_3repE0EEENS1_30default_config_static_selectorELNS0_4arch9wavefront6targetE1EEEvT1_
	.globl	_ZN7rocprim17ROCPRIM_400000_NS6detail17trampoline_kernelINS0_14default_configENS1_27scan_by_key_config_selectorIj11FixedVectorIiLj4EEEEZZNS1_16scan_by_key_implILNS1_25lookback_scan_determinismE0ELb1ES3_N6thrust23THRUST_200600_302600_NS6detail15normal_iteratorINSB_10device_ptrIjEEEENSD_INSE_IS6_EEEESI_S6_NSB_4plusIvEENSB_8equal_toIvEES6_EE10hipError_tPvRmT2_T3_T4_T5_mT6_T7_P12ihipStream_tbENKUlT_T0_E_clISt17integral_constantIbLb1EES13_EEDaSY_SZ_EUlSY_E_NS1_11comp_targetILNS1_3genE0ELNS1_11target_archE4294967295ELNS1_3gpuE0ELNS1_3repE0EEENS1_30default_config_static_selectorELNS0_4arch9wavefront6targetE1EEEvT1_
	.p2align	8
	.type	_ZN7rocprim17ROCPRIM_400000_NS6detail17trampoline_kernelINS0_14default_configENS1_27scan_by_key_config_selectorIj11FixedVectorIiLj4EEEEZZNS1_16scan_by_key_implILNS1_25lookback_scan_determinismE0ELb1ES3_N6thrust23THRUST_200600_302600_NS6detail15normal_iteratorINSB_10device_ptrIjEEEENSD_INSE_IS6_EEEESI_S6_NSB_4plusIvEENSB_8equal_toIvEES6_EE10hipError_tPvRmT2_T3_T4_T5_mT6_T7_P12ihipStream_tbENKUlT_T0_E_clISt17integral_constantIbLb1EES13_EEDaSY_SZ_EUlSY_E_NS1_11comp_targetILNS1_3genE0ELNS1_11target_archE4294967295ELNS1_3gpuE0ELNS1_3repE0EEENS1_30default_config_static_selectorELNS0_4arch9wavefront6targetE1EEEvT1_,@function
_ZN7rocprim17ROCPRIM_400000_NS6detail17trampoline_kernelINS0_14default_configENS1_27scan_by_key_config_selectorIj11FixedVectorIiLj4EEEEZZNS1_16scan_by_key_implILNS1_25lookback_scan_determinismE0ELb1ES3_N6thrust23THRUST_200600_302600_NS6detail15normal_iteratorINSB_10device_ptrIjEEEENSD_INSE_IS6_EEEESI_S6_NSB_4plusIvEENSB_8equal_toIvEES6_EE10hipError_tPvRmT2_T3_T4_T5_mT6_T7_P12ihipStream_tbENKUlT_T0_E_clISt17integral_constantIbLb1EES13_EEDaSY_SZ_EUlSY_E_NS1_11comp_targetILNS1_3genE0ELNS1_11target_archE4294967295ELNS1_3gpuE0ELNS1_3repE0EEENS1_30default_config_static_selectorELNS0_4arch9wavefront6targetE1EEEvT1_: ; @_ZN7rocprim17ROCPRIM_400000_NS6detail17trampoline_kernelINS0_14default_configENS1_27scan_by_key_config_selectorIj11FixedVectorIiLj4EEEEZZNS1_16scan_by_key_implILNS1_25lookback_scan_determinismE0ELb1ES3_N6thrust23THRUST_200600_302600_NS6detail15normal_iteratorINSB_10device_ptrIjEEEENSD_INSE_IS6_EEEESI_S6_NSB_4plusIvEENSB_8equal_toIvEES6_EE10hipError_tPvRmT2_T3_T4_T5_mT6_T7_P12ihipStream_tbENKUlT_T0_E_clISt17integral_constantIbLb1EES13_EEDaSY_SZ_EUlSY_E_NS1_11comp_targetILNS1_3genE0ELNS1_11target_archE4294967295ELNS1_3gpuE0ELNS1_3repE0EEENS1_30default_config_static_selectorELNS0_4arch9wavefront6targetE1EEEvT1_
; %bb.0:
	.section	.rodata,"a",@progbits
	.p2align	6, 0x0
	.amdhsa_kernel _ZN7rocprim17ROCPRIM_400000_NS6detail17trampoline_kernelINS0_14default_configENS1_27scan_by_key_config_selectorIj11FixedVectorIiLj4EEEEZZNS1_16scan_by_key_implILNS1_25lookback_scan_determinismE0ELb1ES3_N6thrust23THRUST_200600_302600_NS6detail15normal_iteratorINSB_10device_ptrIjEEEENSD_INSE_IS6_EEEESI_S6_NSB_4plusIvEENSB_8equal_toIvEES6_EE10hipError_tPvRmT2_T3_T4_T5_mT6_T7_P12ihipStream_tbENKUlT_T0_E_clISt17integral_constantIbLb1EES13_EEDaSY_SZ_EUlSY_E_NS1_11comp_targetILNS1_3genE0ELNS1_11target_archE4294967295ELNS1_3gpuE0ELNS1_3repE0EEENS1_30default_config_static_selectorELNS0_4arch9wavefront6targetE1EEEvT1_
		.amdhsa_group_segment_fixed_size 0
		.amdhsa_private_segment_fixed_size 0
		.amdhsa_kernarg_size 144
		.amdhsa_user_sgpr_count 6
		.amdhsa_user_sgpr_private_segment_buffer 1
		.amdhsa_user_sgpr_dispatch_ptr 0
		.amdhsa_user_sgpr_queue_ptr 0
		.amdhsa_user_sgpr_kernarg_segment_ptr 1
		.amdhsa_user_sgpr_dispatch_id 0
		.amdhsa_user_sgpr_flat_scratch_init 0
		.amdhsa_user_sgpr_kernarg_preload_length 0
		.amdhsa_user_sgpr_kernarg_preload_offset 0
		.amdhsa_user_sgpr_private_segment_size 0
		.amdhsa_uses_dynamic_stack 0
		.amdhsa_system_sgpr_private_segment_wavefront_offset 0
		.amdhsa_system_sgpr_workgroup_id_x 1
		.amdhsa_system_sgpr_workgroup_id_y 0
		.amdhsa_system_sgpr_workgroup_id_z 0
		.amdhsa_system_sgpr_workgroup_info 0
		.amdhsa_system_vgpr_workitem_id 0
		.amdhsa_next_free_vgpr 1
		.amdhsa_next_free_sgpr 0
		.amdhsa_accum_offset 4
		.amdhsa_reserve_vcc 0
		.amdhsa_reserve_flat_scratch 0
		.amdhsa_float_round_mode_32 0
		.amdhsa_float_round_mode_16_64 0
		.amdhsa_float_denorm_mode_32 3
		.amdhsa_float_denorm_mode_16_64 3
		.amdhsa_dx10_clamp 1
		.amdhsa_ieee_mode 1
		.amdhsa_fp16_overflow 0
		.amdhsa_tg_split 0
		.amdhsa_exception_fp_ieee_invalid_op 0
		.amdhsa_exception_fp_denorm_src 0
		.amdhsa_exception_fp_ieee_div_zero 0
		.amdhsa_exception_fp_ieee_overflow 0
		.amdhsa_exception_fp_ieee_underflow 0
		.amdhsa_exception_fp_ieee_inexact 0
		.amdhsa_exception_int_div_zero 0
	.end_amdhsa_kernel
	.section	.text._ZN7rocprim17ROCPRIM_400000_NS6detail17trampoline_kernelINS0_14default_configENS1_27scan_by_key_config_selectorIj11FixedVectorIiLj4EEEEZZNS1_16scan_by_key_implILNS1_25lookback_scan_determinismE0ELb1ES3_N6thrust23THRUST_200600_302600_NS6detail15normal_iteratorINSB_10device_ptrIjEEEENSD_INSE_IS6_EEEESI_S6_NSB_4plusIvEENSB_8equal_toIvEES6_EE10hipError_tPvRmT2_T3_T4_T5_mT6_T7_P12ihipStream_tbENKUlT_T0_E_clISt17integral_constantIbLb1EES13_EEDaSY_SZ_EUlSY_E_NS1_11comp_targetILNS1_3genE0ELNS1_11target_archE4294967295ELNS1_3gpuE0ELNS1_3repE0EEENS1_30default_config_static_selectorELNS0_4arch9wavefront6targetE1EEEvT1_,"axG",@progbits,_ZN7rocprim17ROCPRIM_400000_NS6detail17trampoline_kernelINS0_14default_configENS1_27scan_by_key_config_selectorIj11FixedVectorIiLj4EEEEZZNS1_16scan_by_key_implILNS1_25lookback_scan_determinismE0ELb1ES3_N6thrust23THRUST_200600_302600_NS6detail15normal_iteratorINSB_10device_ptrIjEEEENSD_INSE_IS6_EEEESI_S6_NSB_4plusIvEENSB_8equal_toIvEES6_EE10hipError_tPvRmT2_T3_T4_T5_mT6_T7_P12ihipStream_tbENKUlT_T0_E_clISt17integral_constantIbLb1EES13_EEDaSY_SZ_EUlSY_E_NS1_11comp_targetILNS1_3genE0ELNS1_11target_archE4294967295ELNS1_3gpuE0ELNS1_3repE0EEENS1_30default_config_static_selectorELNS0_4arch9wavefront6targetE1EEEvT1_,comdat
.Lfunc_end2084:
	.size	_ZN7rocprim17ROCPRIM_400000_NS6detail17trampoline_kernelINS0_14default_configENS1_27scan_by_key_config_selectorIj11FixedVectorIiLj4EEEEZZNS1_16scan_by_key_implILNS1_25lookback_scan_determinismE0ELb1ES3_N6thrust23THRUST_200600_302600_NS6detail15normal_iteratorINSB_10device_ptrIjEEEENSD_INSE_IS6_EEEESI_S6_NSB_4plusIvEENSB_8equal_toIvEES6_EE10hipError_tPvRmT2_T3_T4_T5_mT6_T7_P12ihipStream_tbENKUlT_T0_E_clISt17integral_constantIbLb1EES13_EEDaSY_SZ_EUlSY_E_NS1_11comp_targetILNS1_3genE0ELNS1_11target_archE4294967295ELNS1_3gpuE0ELNS1_3repE0EEENS1_30default_config_static_selectorELNS0_4arch9wavefront6targetE1EEEvT1_, .Lfunc_end2084-_ZN7rocprim17ROCPRIM_400000_NS6detail17trampoline_kernelINS0_14default_configENS1_27scan_by_key_config_selectorIj11FixedVectorIiLj4EEEEZZNS1_16scan_by_key_implILNS1_25lookback_scan_determinismE0ELb1ES3_N6thrust23THRUST_200600_302600_NS6detail15normal_iteratorINSB_10device_ptrIjEEEENSD_INSE_IS6_EEEESI_S6_NSB_4plusIvEENSB_8equal_toIvEES6_EE10hipError_tPvRmT2_T3_T4_T5_mT6_T7_P12ihipStream_tbENKUlT_T0_E_clISt17integral_constantIbLb1EES13_EEDaSY_SZ_EUlSY_E_NS1_11comp_targetILNS1_3genE0ELNS1_11target_archE4294967295ELNS1_3gpuE0ELNS1_3repE0EEENS1_30default_config_static_selectorELNS0_4arch9wavefront6targetE1EEEvT1_
                                        ; -- End function
	.section	.AMDGPU.csdata,"",@progbits
; Kernel info:
; codeLenInByte = 0
; NumSgprs: 4
; NumVgprs: 0
; NumAgprs: 0
; TotalNumVgprs: 0
; ScratchSize: 0
; MemoryBound: 0
; FloatMode: 240
; IeeeMode: 1
; LDSByteSize: 0 bytes/workgroup (compile time only)
; SGPRBlocks: 0
; VGPRBlocks: 0
; NumSGPRsForWavesPerEU: 4
; NumVGPRsForWavesPerEU: 1
; AccumOffset: 4
; Occupancy: 8
; WaveLimiterHint : 0
; COMPUTE_PGM_RSRC2:SCRATCH_EN: 0
; COMPUTE_PGM_RSRC2:USER_SGPR: 6
; COMPUTE_PGM_RSRC2:TRAP_HANDLER: 0
; COMPUTE_PGM_RSRC2:TGID_X_EN: 1
; COMPUTE_PGM_RSRC2:TGID_Y_EN: 0
; COMPUTE_PGM_RSRC2:TGID_Z_EN: 0
; COMPUTE_PGM_RSRC2:TIDIG_COMP_CNT: 0
; COMPUTE_PGM_RSRC3_GFX90A:ACCUM_OFFSET: 0
; COMPUTE_PGM_RSRC3_GFX90A:TG_SPLIT: 0
	.section	.text._ZN7rocprim17ROCPRIM_400000_NS6detail17trampoline_kernelINS0_14default_configENS1_27scan_by_key_config_selectorIj11FixedVectorIiLj4EEEEZZNS1_16scan_by_key_implILNS1_25lookback_scan_determinismE0ELb1ES3_N6thrust23THRUST_200600_302600_NS6detail15normal_iteratorINSB_10device_ptrIjEEEENSD_INSE_IS6_EEEESI_S6_NSB_4plusIvEENSB_8equal_toIvEES6_EE10hipError_tPvRmT2_T3_T4_T5_mT6_T7_P12ihipStream_tbENKUlT_T0_E_clISt17integral_constantIbLb1EES13_EEDaSY_SZ_EUlSY_E_NS1_11comp_targetILNS1_3genE10ELNS1_11target_archE1201ELNS1_3gpuE5ELNS1_3repE0EEENS1_30default_config_static_selectorELNS0_4arch9wavefront6targetE1EEEvT1_,"axG",@progbits,_ZN7rocprim17ROCPRIM_400000_NS6detail17trampoline_kernelINS0_14default_configENS1_27scan_by_key_config_selectorIj11FixedVectorIiLj4EEEEZZNS1_16scan_by_key_implILNS1_25lookback_scan_determinismE0ELb1ES3_N6thrust23THRUST_200600_302600_NS6detail15normal_iteratorINSB_10device_ptrIjEEEENSD_INSE_IS6_EEEESI_S6_NSB_4plusIvEENSB_8equal_toIvEES6_EE10hipError_tPvRmT2_T3_T4_T5_mT6_T7_P12ihipStream_tbENKUlT_T0_E_clISt17integral_constantIbLb1EES13_EEDaSY_SZ_EUlSY_E_NS1_11comp_targetILNS1_3genE10ELNS1_11target_archE1201ELNS1_3gpuE5ELNS1_3repE0EEENS1_30default_config_static_selectorELNS0_4arch9wavefront6targetE1EEEvT1_,comdat
	.protected	_ZN7rocprim17ROCPRIM_400000_NS6detail17trampoline_kernelINS0_14default_configENS1_27scan_by_key_config_selectorIj11FixedVectorIiLj4EEEEZZNS1_16scan_by_key_implILNS1_25lookback_scan_determinismE0ELb1ES3_N6thrust23THRUST_200600_302600_NS6detail15normal_iteratorINSB_10device_ptrIjEEEENSD_INSE_IS6_EEEESI_S6_NSB_4plusIvEENSB_8equal_toIvEES6_EE10hipError_tPvRmT2_T3_T4_T5_mT6_T7_P12ihipStream_tbENKUlT_T0_E_clISt17integral_constantIbLb1EES13_EEDaSY_SZ_EUlSY_E_NS1_11comp_targetILNS1_3genE10ELNS1_11target_archE1201ELNS1_3gpuE5ELNS1_3repE0EEENS1_30default_config_static_selectorELNS0_4arch9wavefront6targetE1EEEvT1_ ; -- Begin function _ZN7rocprim17ROCPRIM_400000_NS6detail17trampoline_kernelINS0_14default_configENS1_27scan_by_key_config_selectorIj11FixedVectorIiLj4EEEEZZNS1_16scan_by_key_implILNS1_25lookback_scan_determinismE0ELb1ES3_N6thrust23THRUST_200600_302600_NS6detail15normal_iteratorINSB_10device_ptrIjEEEENSD_INSE_IS6_EEEESI_S6_NSB_4plusIvEENSB_8equal_toIvEES6_EE10hipError_tPvRmT2_T3_T4_T5_mT6_T7_P12ihipStream_tbENKUlT_T0_E_clISt17integral_constantIbLb1EES13_EEDaSY_SZ_EUlSY_E_NS1_11comp_targetILNS1_3genE10ELNS1_11target_archE1201ELNS1_3gpuE5ELNS1_3repE0EEENS1_30default_config_static_selectorELNS0_4arch9wavefront6targetE1EEEvT1_
	.globl	_ZN7rocprim17ROCPRIM_400000_NS6detail17trampoline_kernelINS0_14default_configENS1_27scan_by_key_config_selectorIj11FixedVectorIiLj4EEEEZZNS1_16scan_by_key_implILNS1_25lookback_scan_determinismE0ELb1ES3_N6thrust23THRUST_200600_302600_NS6detail15normal_iteratorINSB_10device_ptrIjEEEENSD_INSE_IS6_EEEESI_S6_NSB_4plusIvEENSB_8equal_toIvEES6_EE10hipError_tPvRmT2_T3_T4_T5_mT6_T7_P12ihipStream_tbENKUlT_T0_E_clISt17integral_constantIbLb1EES13_EEDaSY_SZ_EUlSY_E_NS1_11comp_targetILNS1_3genE10ELNS1_11target_archE1201ELNS1_3gpuE5ELNS1_3repE0EEENS1_30default_config_static_selectorELNS0_4arch9wavefront6targetE1EEEvT1_
	.p2align	8
	.type	_ZN7rocprim17ROCPRIM_400000_NS6detail17trampoline_kernelINS0_14default_configENS1_27scan_by_key_config_selectorIj11FixedVectorIiLj4EEEEZZNS1_16scan_by_key_implILNS1_25lookback_scan_determinismE0ELb1ES3_N6thrust23THRUST_200600_302600_NS6detail15normal_iteratorINSB_10device_ptrIjEEEENSD_INSE_IS6_EEEESI_S6_NSB_4plusIvEENSB_8equal_toIvEES6_EE10hipError_tPvRmT2_T3_T4_T5_mT6_T7_P12ihipStream_tbENKUlT_T0_E_clISt17integral_constantIbLb1EES13_EEDaSY_SZ_EUlSY_E_NS1_11comp_targetILNS1_3genE10ELNS1_11target_archE1201ELNS1_3gpuE5ELNS1_3repE0EEENS1_30default_config_static_selectorELNS0_4arch9wavefront6targetE1EEEvT1_,@function
_ZN7rocprim17ROCPRIM_400000_NS6detail17trampoline_kernelINS0_14default_configENS1_27scan_by_key_config_selectorIj11FixedVectorIiLj4EEEEZZNS1_16scan_by_key_implILNS1_25lookback_scan_determinismE0ELb1ES3_N6thrust23THRUST_200600_302600_NS6detail15normal_iteratorINSB_10device_ptrIjEEEENSD_INSE_IS6_EEEESI_S6_NSB_4plusIvEENSB_8equal_toIvEES6_EE10hipError_tPvRmT2_T3_T4_T5_mT6_T7_P12ihipStream_tbENKUlT_T0_E_clISt17integral_constantIbLb1EES13_EEDaSY_SZ_EUlSY_E_NS1_11comp_targetILNS1_3genE10ELNS1_11target_archE1201ELNS1_3gpuE5ELNS1_3repE0EEENS1_30default_config_static_selectorELNS0_4arch9wavefront6targetE1EEEvT1_: ; @_ZN7rocprim17ROCPRIM_400000_NS6detail17trampoline_kernelINS0_14default_configENS1_27scan_by_key_config_selectorIj11FixedVectorIiLj4EEEEZZNS1_16scan_by_key_implILNS1_25lookback_scan_determinismE0ELb1ES3_N6thrust23THRUST_200600_302600_NS6detail15normal_iteratorINSB_10device_ptrIjEEEENSD_INSE_IS6_EEEESI_S6_NSB_4plusIvEENSB_8equal_toIvEES6_EE10hipError_tPvRmT2_T3_T4_T5_mT6_T7_P12ihipStream_tbENKUlT_T0_E_clISt17integral_constantIbLb1EES13_EEDaSY_SZ_EUlSY_E_NS1_11comp_targetILNS1_3genE10ELNS1_11target_archE1201ELNS1_3gpuE5ELNS1_3repE0EEENS1_30default_config_static_selectorELNS0_4arch9wavefront6targetE1EEEvT1_
; %bb.0:
	.section	.rodata,"a",@progbits
	.p2align	6, 0x0
	.amdhsa_kernel _ZN7rocprim17ROCPRIM_400000_NS6detail17trampoline_kernelINS0_14default_configENS1_27scan_by_key_config_selectorIj11FixedVectorIiLj4EEEEZZNS1_16scan_by_key_implILNS1_25lookback_scan_determinismE0ELb1ES3_N6thrust23THRUST_200600_302600_NS6detail15normal_iteratorINSB_10device_ptrIjEEEENSD_INSE_IS6_EEEESI_S6_NSB_4plusIvEENSB_8equal_toIvEES6_EE10hipError_tPvRmT2_T3_T4_T5_mT6_T7_P12ihipStream_tbENKUlT_T0_E_clISt17integral_constantIbLb1EES13_EEDaSY_SZ_EUlSY_E_NS1_11comp_targetILNS1_3genE10ELNS1_11target_archE1201ELNS1_3gpuE5ELNS1_3repE0EEENS1_30default_config_static_selectorELNS0_4arch9wavefront6targetE1EEEvT1_
		.amdhsa_group_segment_fixed_size 0
		.amdhsa_private_segment_fixed_size 0
		.amdhsa_kernarg_size 144
		.amdhsa_user_sgpr_count 6
		.amdhsa_user_sgpr_private_segment_buffer 1
		.amdhsa_user_sgpr_dispatch_ptr 0
		.amdhsa_user_sgpr_queue_ptr 0
		.amdhsa_user_sgpr_kernarg_segment_ptr 1
		.amdhsa_user_sgpr_dispatch_id 0
		.amdhsa_user_sgpr_flat_scratch_init 0
		.amdhsa_user_sgpr_kernarg_preload_length 0
		.amdhsa_user_sgpr_kernarg_preload_offset 0
		.amdhsa_user_sgpr_private_segment_size 0
		.amdhsa_uses_dynamic_stack 0
		.amdhsa_system_sgpr_private_segment_wavefront_offset 0
		.amdhsa_system_sgpr_workgroup_id_x 1
		.amdhsa_system_sgpr_workgroup_id_y 0
		.amdhsa_system_sgpr_workgroup_id_z 0
		.amdhsa_system_sgpr_workgroup_info 0
		.amdhsa_system_vgpr_workitem_id 0
		.amdhsa_next_free_vgpr 1
		.amdhsa_next_free_sgpr 0
		.amdhsa_accum_offset 4
		.amdhsa_reserve_vcc 0
		.amdhsa_reserve_flat_scratch 0
		.amdhsa_float_round_mode_32 0
		.amdhsa_float_round_mode_16_64 0
		.amdhsa_float_denorm_mode_32 3
		.amdhsa_float_denorm_mode_16_64 3
		.amdhsa_dx10_clamp 1
		.amdhsa_ieee_mode 1
		.amdhsa_fp16_overflow 0
		.amdhsa_tg_split 0
		.amdhsa_exception_fp_ieee_invalid_op 0
		.amdhsa_exception_fp_denorm_src 0
		.amdhsa_exception_fp_ieee_div_zero 0
		.amdhsa_exception_fp_ieee_overflow 0
		.amdhsa_exception_fp_ieee_underflow 0
		.amdhsa_exception_fp_ieee_inexact 0
		.amdhsa_exception_int_div_zero 0
	.end_amdhsa_kernel
	.section	.text._ZN7rocprim17ROCPRIM_400000_NS6detail17trampoline_kernelINS0_14default_configENS1_27scan_by_key_config_selectorIj11FixedVectorIiLj4EEEEZZNS1_16scan_by_key_implILNS1_25lookback_scan_determinismE0ELb1ES3_N6thrust23THRUST_200600_302600_NS6detail15normal_iteratorINSB_10device_ptrIjEEEENSD_INSE_IS6_EEEESI_S6_NSB_4plusIvEENSB_8equal_toIvEES6_EE10hipError_tPvRmT2_T3_T4_T5_mT6_T7_P12ihipStream_tbENKUlT_T0_E_clISt17integral_constantIbLb1EES13_EEDaSY_SZ_EUlSY_E_NS1_11comp_targetILNS1_3genE10ELNS1_11target_archE1201ELNS1_3gpuE5ELNS1_3repE0EEENS1_30default_config_static_selectorELNS0_4arch9wavefront6targetE1EEEvT1_,"axG",@progbits,_ZN7rocprim17ROCPRIM_400000_NS6detail17trampoline_kernelINS0_14default_configENS1_27scan_by_key_config_selectorIj11FixedVectorIiLj4EEEEZZNS1_16scan_by_key_implILNS1_25lookback_scan_determinismE0ELb1ES3_N6thrust23THRUST_200600_302600_NS6detail15normal_iteratorINSB_10device_ptrIjEEEENSD_INSE_IS6_EEEESI_S6_NSB_4plusIvEENSB_8equal_toIvEES6_EE10hipError_tPvRmT2_T3_T4_T5_mT6_T7_P12ihipStream_tbENKUlT_T0_E_clISt17integral_constantIbLb1EES13_EEDaSY_SZ_EUlSY_E_NS1_11comp_targetILNS1_3genE10ELNS1_11target_archE1201ELNS1_3gpuE5ELNS1_3repE0EEENS1_30default_config_static_selectorELNS0_4arch9wavefront6targetE1EEEvT1_,comdat
.Lfunc_end2085:
	.size	_ZN7rocprim17ROCPRIM_400000_NS6detail17trampoline_kernelINS0_14default_configENS1_27scan_by_key_config_selectorIj11FixedVectorIiLj4EEEEZZNS1_16scan_by_key_implILNS1_25lookback_scan_determinismE0ELb1ES3_N6thrust23THRUST_200600_302600_NS6detail15normal_iteratorINSB_10device_ptrIjEEEENSD_INSE_IS6_EEEESI_S6_NSB_4plusIvEENSB_8equal_toIvEES6_EE10hipError_tPvRmT2_T3_T4_T5_mT6_T7_P12ihipStream_tbENKUlT_T0_E_clISt17integral_constantIbLb1EES13_EEDaSY_SZ_EUlSY_E_NS1_11comp_targetILNS1_3genE10ELNS1_11target_archE1201ELNS1_3gpuE5ELNS1_3repE0EEENS1_30default_config_static_selectorELNS0_4arch9wavefront6targetE1EEEvT1_, .Lfunc_end2085-_ZN7rocprim17ROCPRIM_400000_NS6detail17trampoline_kernelINS0_14default_configENS1_27scan_by_key_config_selectorIj11FixedVectorIiLj4EEEEZZNS1_16scan_by_key_implILNS1_25lookback_scan_determinismE0ELb1ES3_N6thrust23THRUST_200600_302600_NS6detail15normal_iteratorINSB_10device_ptrIjEEEENSD_INSE_IS6_EEEESI_S6_NSB_4plusIvEENSB_8equal_toIvEES6_EE10hipError_tPvRmT2_T3_T4_T5_mT6_T7_P12ihipStream_tbENKUlT_T0_E_clISt17integral_constantIbLb1EES13_EEDaSY_SZ_EUlSY_E_NS1_11comp_targetILNS1_3genE10ELNS1_11target_archE1201ELNS1_3gpuE5ELNS1_3repE0EEENS1_30default_config_static_selectorELNS0_4arch9wavefront6targetE1EEEvT1_
                                        ; -- End function
	.section	.AMDGPU.csdata,"",@progbits
; Kernel info:
; codeLenInByte = 0
; NumSgprs: 4
; NumVgprs: 0
; NumAgprs: 0
; TotalNumVgprs: 0
; ScratchSize: 0
; MemoryBound: 0
; FloatMode: 240
; IeeeMode: 1
; LDSByteSize: 0 bytes/workgroup (compile time only)
; SGPRBlocks: 0
; VGPRBlocks: 0
; NumSGPRsForWavesPerEU: 4
; NumVGPRsForWavesPerEU: 1
; AccumOffset: 4
; Occupancy: 8
; WaveLimiterHint : 0
; COMPUTE_PGM_RSRC2:SCRATCH_EN: 0
; COMPUTE_PGM_RSRC2:USER_SGPR: 6
; COMPUTE_PGM_RSRC2:TRAP_HANDLER: 0
; COMPUTE_PGM_RSRC2:TGID_X_EN: 1
; COMPUTE_PGM_RSRC2:TGID_Y_EN: 0
; COMPUTE_PGM_RSRC2:TGID_Z_EN: 0
; COMPUTE_PGM_RSRC2:TIDIG_COMP_CNT: 0
; COMPUTE_PGM_RSRC3_GFX90A:ACCUM_OFFSET: 0
; COMPUTE_PGM_RSRC3_GFX90A:TG_SPLIT: 0
	.section	.text._ZN7rocprim17ROCPRIM_400000_NS6detail17trampoline_kernelINS0_14default_configENS1_27scan_by_key_config_selectorIj11FixedVectorIiLj4EEEEZZNS1_16scan_by_key_implILNS1_25lookback_scan_determinismE0ELb1ES3_N6thrust23THRUST_200600_302600_NS6detail15normal_iteratorINSB_10device_ptrIjEEEENSD_INSE_IS6_EEEESI_S6_NSB_4plusIvEENSB_8equal_toIvEES6_EE10hipError_tPvRmT2_T3_T4_T5_mT6_T7_P12ihipStream_tbENKUlT_T0_E_clISt17integral_constantIbLb1EES13_EEDaSY_SZ_EUlSY_E_NS1_11comp_targetILNS1_3genE5ELNS1_11target_archE942ELNS1_3gpuE9ELNS1_3repE0EEENS1_30default_config_static_selectorELNS0_4arch9wavefront6targetE1EEEvT1_,"axG",@progbits,_ZN7rocprim17ROCPRIM_400000_NS6detail17trampoline_kernelINS0_14default_configENS1_27scan_by_key_config_selectorIj11FixedVectorIiLj4EEEEZZNS1_16scan_by_key_implILNS1_25lookback_scan_determinismE0ELb1ES3_N6thrust23THRUST_200600_302600_NS6detail15normal_iteratorINSB_10device_ptrIjEEEENSD_INSE_IS6_EEEESI_S6_NSB_4plusIvEENSB_8equal_toIvEES6_EE10hipError_tPvRmT2_T3_T4_T5_mT6_T7_P12ihipStream_tbENKUlT_T0_E_clISt17integral_constantIbLb1EES13_EEDaSY_SZ_EUlSY_E_NS1_11comp_targetILNS1_3genE5ELNS1_11target_archE942ELNS1_3gpuE9ELNS1_3repE0EEENS1_30default_config_static_selectorELNS0_4arch9wavefront6targetE1EEEvT1_,comdat
	.protected	_ZN7rocprim17ROCPRIM_400000_NS6detail17trampoline_kernelINS0_14default_configENS1_27scan_by_key_config_selectorIj11FixedVectorIiLj4EEEEZZNS1_16scan_by_key_implILNS1_25lookback_scan_determinismE0ELb1ES3_N6thrust23THRUST_200600_302600_NS6detail15normal_iteratorINSB_10device_ptrIjEEEENSD_INSE_IS6_EEEESI_S6_NSB_4plusIvEENSB_8equal_toIvEES6_EE10hipError_tPvRmT2_T3_T4_T5_mT6_T7_P12ihipStream_tbENKUlT_T0_E_clISt17integral_constantIbLb1EES13_EEDaSY_SZ_EUlSY_E_NS1_11comp_targetILNS1_3genE5ELNS1_11target_archE942ELNS1_3gpuE9ELNS1_3repE0EEENS1_30default_config_static_selectorELNS0_4arch9wavefront6targetE1EEEvT1_ ; -- Begin function _ZN7rocprim17ROCPRIM_400000_NS6detail17trampoline_kernelINS0_14default_configENS1_27scan_by_key_config_selectorIj11FixedVectorIiLj4EEEEZZNS1_16scan_by_key_implILNS1_25lookback_scan_determinismE0ELb1ES3_N6thrust23THRUST_200600_302600_NS6detail15normal_iteratorINSB_10device_ptrIjEEEENSD_INSE_IS6_EEEESI_S6_NSB_4plusIvEENSB_8equal_toIvEES6_EE10hipError_tPvRmT2_T3_T4_T5_mT6_T7_P12ihipStream_tbENKUlT_T0_E_clISt17integral_constantIbLb1EES13_EEDaSY_SZ_EUlSY_E_NS1_11comp_targetILNS1_3genE5ELNS1_11target_archE942ELNS1_3gpuE9ELNS1_3repE0EEENS1_30default_config_static_selectorELNS0_4arch9wavefront6targetE1EEEvT1_
	.globl	_ZN7rocprim17ROCPRIM_400000_NS6detail17trampoline_kernelINS0_14default_configENS1_27scan_by_key_config_selectorIj11FixedVectorIiLj4EEEEZZNS1_16scan_by_key_implILNS1_25lookback_scan_determinismE0ELb1ES3_N6thrust23THRUST_200600_302600_NS6detail15normal_iteratorINSB_10device_ptrIjEEEENSD_INSE_IS6_EEEESI_S6_NSB_4plusIvEENSB_8equal_toIvEES6_EE10hipError_tPvRmT2_T3_T4_T5_mT6_T7_P12ihipStream_tbENKUlT_T0_E_clISt17integral_constantIbLb1EES13_EEDaSY_SZ_EUlSY_E_NS1_11comp_targetILNS1_3genE5ELNS1_11target_archE942ELNS1_3gpuE9ELNS1_3repE0EEENS1_30default_config_static_selectorELNS0_4arch9wavefront6targetE1EEEvT1_
	.p2align	8
	.type	_ZN7rocprim17ROCPRIM_400000_NS6detail17trampoline_kernelINS0_14default_configENS1_27scan_by_key_config_selectorIj11FixedVectorIiLj4EEEEZZNS1_16scan_by_key_implILNS1_25lookback_scan_determinismE0ELb1ES3_N6thrust23THRUST_200600_302600_NS6detail15normal_iteratorINSB_10device_ptrIjEEEENSD_INSE_IS6_EEEESI_S6_NSB_4plusIvEENSB_8equal_toIvEES6_EE10hipError_tPvRmT2_T3_T4_T5_mT6_T7_P12ihipStream_tbENKUlT_T0_E_clISt17integral_constantIbLb1EES13_EEDaSY_SZ_EUlSY_E_NS1_11comp_targetILNS1_3genE5ELNS1_11target_archE942ELNS1_3gpuE9ELNS1_3repE0EEENS1_30default_config_static_selectorELNS0_4arch9wavefront6targetE1EEEvT1_,@function
_ZN7rocprim17ROCPRIM_400000_NS6detail17trampoline_kernelINS0_14default_configENS1_27scan_by_key_config_selectorIj11FixedVectorIiLj4EEEEZZNS1_16scan_by_key_implILNS1_25lookback_scan_determinismE0ELb1ES3_N6thrust23THRUST_200600_302600_NS6detail15normal_iteratorINSB_10device_ptrIjEEEENSD_INSE_IS6_EEEESI_S6_NSB_4plusIvEENSB_8equal_toIvEES6_EE10hipError_tPvRmT2_T3_T4_T5_mT6_T7_P12ihipStream_tbENKUlT_T0_E_clISt17integral_constantIbLb1EES13_EEDaSY_SZ_EUlSY_E_NS1_11comp_targetILNS1_3genE5ELNS1_11target_archE942ELNS1_3gpuE9ELNS1_3repE0EEENS1_30default_config_static_selectorELNS0_4arch9wavefront6targetE1EEEvT1_: ; @_ZN7rocprim17ROCPRIM_400000_NS6detail17trampoline_kernelINS0_14default_configENS1_27scan_by_key_config_selectorIj11FixedVectorIiLj4EEEEZZNS1_16scan_by_key_implILNS1_25lookback_scan_determinismE0ELb1ES3_N6thrust23THRUST_200600_302600_NS6detail15normal_iteratorINSB_10device_ptrIjEEEENSD_INSE_IS6_EEEESI_S6_NSB_4plusIvEENSB_8equal_toIvEES6_EE10hipError_tPvRmT2_T3_T4_T5_mT6_T7_P12ihipStream_tbENKUlT_T0_E_clISt17integral_constantIbLb1EES13_EEDaSY_SZ_EUlSY_E_NS1_11comp_targetILNS1_3genE5ELNS1_11target_archE942ELNS1_3gpuE9ELNS1_3repE0EEENS1_30default_config_static_selectorELNS0_4arch9wavefront6targetE1EEEvT1_
; %bb.0:
	.section	.rodata,"a",@progbits
	.p2align	6, 0x0
	.amdhsa_kernel _ZN7rocprim17ROCPRIM_400000_NS6detail17trampoline_kernelINS0_14default_configENS1_27scan_by_key_config_selectorIj11FixedVectorIiLj4EEEEZZNS1_16scan_by_key_implILNS1_25lookback_scan_determinismE0ELb1ES3_N6thrust23THRUST_200600_302600_NS6detail15normal_iteratorINSB_10device_ptrIjEEEENSD_INSE_IS6_EEEESI_S6_NSB_4plusIvEENSB_8equal_toIvEES6_EE10hipError_tPvRmT2_T3_T4_T5_mT6_T7_P12ihipStream_tbENKUlT_T0_E_clISt17integral_constantIbLb1EES13_EEDaSY_SZ_EUlSY_E_NS1_11comp_targetILNS1_3genE5ELNS1_11target_archE942ELNS1_3gpuE9ELNS1_3repE0EEENS1_30default_config_static_selectorELNS0_4arch9wavefront6targetE1EEEvT1_
		.amdhsa_group_segment_fixed_size 0
		.amdhsa_private_segment_fixed_size 0
		.amdhsa_kernarg_size 144
		.amdhsa_user_sgpr_count 6
		.amdhsa_user_sgpr_private_segment_buffer 1
		.amdhsa_user_sgpr_dispatch_ptr 0
		.amdhsa_user_sgpr_queue_ptr 0
		.amdhsa_user_sgpr_kernarg_segment_ptr 1
		.amdhsa_user_sgpr_dispatch_id 0
		.amdhsa_user_sgpr_flat_scratch_init 0
		.amdhsa_user_sgpr_kernarg_preload_length 0
		.amdhsa_user_sgpr_kernarg_preload_offset 0
		.amdhsa_user_sgpr_private_segment_size 0
		.amdhsa_uses_dynamic_stack 0
		.amdhsa_system_sgpr_private_segment_wavefront_offset 0
		.amdhsa_system_sgpr_workgroup_id_x 1
		.amdhsa_system_sgpr_workgroup_id_y 0
		.amdhsa_system_sgpr_workgroup_id_z 0
		.amdhsa_system_sgpr_workgroup_info 0
		.amdhsa_system_vgpr_workitem_id 0
		.amdhsa_next_free_vgpr 1
		.amdhsa_next_free_sgpr 0
		.amdhsa_accum_offset 4
		.amdhsa_reserve_vcc 0
		.amdhsa_reserve_flat_scratch 0
		.amdhsa_float_round_mode_32 0
		.amdhsa_float_round_mode_16_64 0
		.amdhsa_float_denorm_mode_32 3
		.amdhsa_float_denorm_mode_16_64 3
		.amdhsa_dx10_clamp 1
		.amdhsa_ieee_mode 1
		.amdhsa_fp16_overflow 0
		.amdhsa_tg_split 0
		.amdhsa_exception_fp_ieee_invalid_op 0
		.amdhsa_exception_fp_denorm_src 0
		.amdhsa_exception_fp_ieee_div_zero 0
		.amdhsa_exception_fp_ieee_overflow 0
		.amdhsa_exception_fp_ieee_underflow 0
		.amdhsa_exception_fp_ieee_inexact 0
		.amdhsa_exception_int_div_zero 0
	.end_amdhsa_kernel
	.section	.text._ZN7rocprim17ROCPRIM_400000_NS6detail17trampoline_kernelINS0_14default_configENS1_27scan_by_key_config_selectorIj11FixedVectorIiLj4EEEEZZNS1_16scan_by_key_implILNS1_25lookback_scan_determinismE0ELb1ES3_N6thrust23THRUST_200600_302600_NS6detail15normal_iteratorINSB_10device_ptrIjEEEENSD_INSE_IS6_EEEESI_S6_NSB_4plusIvEENSB_8equal_toIvEES6_EE10hipError_tPvRmT2_T3_T4_T5_mT6_T7_P12ihipStream_tbENKUlT_T0_E_clISt17integral_constantIbLb1EES13_EEDaSY_SZ_EUlSY_E_NS1_11comp_targetILNS1_3genE5ELNS1_11target_archE942ELNS1_3gpuE9ELNS1_3repE0EEENS1_30default_config_static_selectorELNS0_4arch9wavefront6targetE1EEEvT1_,"axG",@progbits,_ZN7rocprim17ROCPRIM_400000_NS6detail17trampoline_kernelINS0_14default_configENS1_27scan_by_key_config_selectorIj11FixedVectorIiLj4EEEEZZNS1_16scan_by_key_implILNS1_25lookback_scan_determinismE0ELb1ES3_N6thrust23THRUST_200600_302600_NS6detail15normal_iteratorINSB_10device_ptrIjEEEENSD_INSE_IS6_EEEESI_S6_NSB_4plusIvEENSB_8equal_toIvEES6_EE10hipError_tPvRmT2_T3_T4_T5_mT6_T7_P12ihipStream_tbENKUlT_T0_E_clISt17integral_constantIbLb1EES13_EEDaSY_SZ_EUlSY_E_NS1_11comp_targetILNS1_3genE5ELNS1_11target_archE942ELNS1_3gpuE9ELNS1_3repE0EEENS1_30default_config_static_selectorELNS0_4arch9wavefront6targetE1EEEvT1_,comdat
.Lfunc_end2086:
	.size	_ZN7rocprim17ROCPRIM_400000_NS6detail17trampoline_kernelINS0_14default_configENS1_27scan_by_key_config_selectorIj11FixedVectorIiLj4EEEEZZNS1_16scan_by_key_implILNS1_25lookback_scan_determinismE0ELb1ES3_N6thrust23THRUST_200600_302600_NS6detail15normal_iteratorINSB_10device_ptrIjEEEENSD_INSE_IS6_EEEESI_S6_NSB_4plusIvEENSB_8equal_toIvEES6_EE10hipError_tPvRmT2_T3_T4_T5_mT6_T7_P12ihipStream_tbENKUlT_T0_E_clISt17integral_constantIbLb1EES13_EEDaSY_SZ_EUlSY_E_NS1_11comp_targetILNS1_3genE5ELNS1_11target_archE942ELNS1_3gpuE9ELNS1_3repE0EEENS1_30default_config_static_selectorELNS0_4arch9wavefront6targetE1EEEvT1_, .Lfunc_end2086-_ZN7rocprim17ROCPRIM_400000_NS6detail17trampoline_kernelINS0_14default_configENS1_27scan_by_key_config_selectorIj11FixedVectorIiLj4EEEEZZNS1_16scan_by_key_implILNS1_25lookback_scan_determinismE0ELb1ES3_N6thrust23THRUST_200600_302600_NS6detail15normal_iteratorINSB_10device_ptrIjEEEENSD_INSE_IS6_EEEESI_S6_NSB_4plusIvEENSB_8equal_toIvEES6_EE10hipError_tPvRmT2_T3_T4_T5_mT6_T7_P12ihipStream_tbENKUlT_T0_E_clISt17integral_constantIbLb1EES13_EEDaSY_SZ_EUlSY_E_NS1_11comp_targetILNS1_3genE5ELNS1_11target_archE942ELNS1_3gpuE9ELNS1_3repE0EEENS1_30default_config_static_selectorELNS0_4arch9wavefront6targetE1EEEvT1_
                                        ; -- End function
	.section	.AMDGPU.csdata,"",@progbits
; Kernel info:
; codeLenInByte = 0
; NumSgprs: 4
; NumVgprs: 0
; NumAgprs: 0
; TotalNumVgprs: 0
; ScratchSize: 0
; MemoryBound: 0
; FloatMode: 240
; IeeeMode: 1
; LDSByteSize: 0 bytes/workgroup (compile time only)
; SGPRBlocks: 0
; VGPRBlocks: 0
; NumSGPRsForWavesPerEU: 4
; NumVGPRsForWavesPerEU: 1
; AccumOffset: 4
; Occupancy: 8
; WaveLimiterHint : 0
; COMPUTE_PGM_RSRC2:SCRATCH_EN: 0
; COMPUTE_PGM_RSRC2:USER_SGPR: 6
; COMPUTE_PGM_RSRC2:TRAP_HANDLER: 0
; COMPUTE_PGM_RSRC2:TGID_X_EN: 1
; COMPUTE_PGM_RSRC2:TGID_Y_EN: 0
; COMPUTE_PGM_RSRC2:TGID_Z_EN: 0
; COMPUTE_PGM_RSRC2:TIDIG_COMP_CNT: 0
; COMPUTE_PGM_RSRC3_GFX90A:ACCUM_OFFSET: 0
; COMPUTE_PGM_RSRC3_GFX90A:TG_SPLIT: 0
	.section	.text._ZN7rocprim17ROCPRIM_400000_NS6detail17trampoline_kernelINS0_14default_configENS1_27scan_by_key_config_selectorIj11FixedVectorIiLj4EEEEZZNS1_16scan_by_key_implILNS1_25lookback_scan_determinismE0ELb1ES3_N6thrust23THRUST_200600_302600_NS6detail15normal_iteratorINSB_10device_ptrIjEEEENSD_INSE_IS6_EEEESI_S6_NSB_4plusIvEENSB_8equal_toIvEES6_EE10hipError_tPvRmT2_T3_T4_T5_mT6_T7_P12ihipStream_tbENKUlT_T0_E_clISt17integral_constantIbLb1EES13_EEDaSY_SZ_EUlSY_E_NS1_11comp_targetILNS1_3genE4ELNS1_11target_archE910ELNS1_3gpuE8ELNS1_3repE0EEENS1_30default_config_static_selectorELNS0_4arch9wavefront6targetE1EEEvT1_,"axG",@progbits,_ZN7rocprim17ROCPRIM_400000_NS6detail17trampoline_kernelINS0_14default_configENS1_27scan_by_key_config_selectorIj11FixedVectorIiLj4EEEEZZNS1_16scan_by_key_implILNS1_25lookback_scan_determinismE0ELb1ES3_N6thrust23THRUST_200600_302600_NS6detail15normal_iteratorINSB_10device_ptrIjEEEENSD_INSE_IS6_EEEESI_S6_NSB_4plusIvEENSB_8equal_toIvEES6_EE10hipError_tPvRmT2_T3_T4_T5_mT6_T7_P12ihipStream_tbENKUlT_T0_E_clISt17integral_constantIbLb1EES13_EEDaSY_SZ_EUlSY_E_NS1_11comp_targetILNS1_3genE4ELNS1_11target_archE910ELNS1_3gpuE8ELNS1_3repE0EEENS1_30default_config_static_selectorELNS0_4arch9wavefront6targetE1EEEvT1_,comdat
	.protected	_ZN7rocprim17ROCPRIM_400000_NS6detail17trampoline_kernelINS0_14default_configENS1_27scan_by_key_config_selectorIj11FixedVectorIiLj4EEEEZZNS1_16scan_by_key_implILNS1_25lookback_scan_determinismE0ELb1ES3_N6thrust23THRUST_200600_302600_NS6detail15normal_iteratorINSB_10device_ptrIjEEEENSD_INSE_IS6_EEEESI_S6_NSB_4plusIvEENSB_8equal_toIvEES6_EE10hipError_tPvRmT2_T3_T4_T5_mT6_T7_P12ihipStream_tbENKUlT_T0_E_clISt17integral_constantIbLb1EES13_EEDaSY_SZ_EUlSY_E_NS1_11comp_targetILNS1_3genE4ELNS1_11target_archE910ELNS1_3gpuE8ELNS1_3repE0EEENS1_30default_config_static_selectorELNS0_4arch9wavefront6targetE1EEEvT1_ ; -- Begin function _ZN7rocprim17ROCPRIM_400000_NS6detail17trampoline_kernelINS0_14default_configENS1_27scan_by_key_config_selectorIj11FixedVectorIiLj4EEEEZZNS1_16scan_by_key_implILNS1_25lookback_scan_determinismE0ELb1ES3_N6thrust23THRUST_200600_302600_NS6detail15normal_iteratorINSB_10device_ptrIjEEEENSD_INSE_IS6_EEEESI_S6_NSB_4plusIvEENSB_8equal_toIvEES6_EE10hipError_tPvRmT2_T3_T4_T5_mT6_T7_P12ihipStream_tbENKUlT_T0_E_clISt17integral_constantIbLb1EES13_EEDaSY_SZ_EUlSY_E_NS1_11comp_targetILNS1_3genE4ELNS1_11target_archE910ELNS1_3gpuE8ELNS1_3repE0EEENS1_30default_config_static_selectorELNS0_4arch9wavefront6targetE1EEEvT1_
	.globl	_ZN7rocprim17ROCPRIM_400000_NS6detail17trampoline_kernelINS0_14default_configENS1_27scan_by_key_config_selectorIj11FixedVectorIiLj4EEEEZZNS1_16scan_by_key_implILNS1_25lookback_scan_determinismE0ELb1ES3_N6thrust23THRUST_200600_302600_NS6detail15normal_iteratorINSB_10device_ptrIjEEEENSD_INSE_IS6_EEEESI_S6_NSB_4plusIvEENSB_8equal_toIvEES6_EE10hipError_tPvRmT2_T3_T4_T5_mT6_T7_P12ihipStream_tbENKUlT_T0_E_clISt17integral_constantIbLb1EES13_EEDaSY_SZ_EUlSY_E_NS1_11comp_targetILNS1_3genE4ELNS1_11target_archE910ELNS1_3gpuE8ELNS1_3repE0EEENS1_30default_config_static_selectorELNS0_4arch9wavefront6targetE1EEEvT1_
	.p2align	8
	.type	_ZN7rocprim17ROCPRIM_400000_NS6detail17trampoline_kernelINS0_14default_configENS1_27scan_by_key_config_selectorIj11FixedVectorIiLj4EEEEZZNS1_16scan_by_key_implILNS1_25lookback_scan_determinismE0ELb1ES3_N6thrust23THRUST_200600_302600_NS6detail15normal_iteratorINSB_10device_ptrIjEEEENSD_INSE_IS6_EEEESI_S6_NSB_4plusIvEENSB_8equal_toIvEES6_EE10hipError_tPvRmT2_T3_T4_T5_mT6_T7_P12ihipStream_tbENKUlT_T0_E_clISt17integral_constantIbLb1EES13_EEDaSY_SZ_EUlSY_E_NS1_11comp_targetILNS1_3genE4ELNS1_11target_archE910ELNS1_3gpuE8ELNS1_3repE0EEENS1_30default_config_static_selectorELNS0_4arch9wavefront6targetE1EEEvT1_,@function
_ZN7rocprim17ROCPRIM_400000_NS6detail17trampoline_kernelINS0_14default_configENS1_27scan_by_key_config_selectorIj11FixedVectorIiLj4EEEEZZNS1_16scan_by_key_implILNS1_25lookback_scan_determinismE0ELb1ES3_N6thrust23THRUST_200600_302600_NS6detail15normal_iteratorINSB_10device_ptrIjEEEENSD_INSE_IS6_EEEESI_S6_NSB_4plusIvEENSB_8equal_toIvEES6_EE10hipError_tPvRmT2_T3_T4_T5_mT6_T7_P12ihipStream_tbENKUlT_T0_E_clISt17integral_constantIbLb1EES13_EEDaSY_SZ_EUlSY_E_NS1_11comp_targetILNS1_3genE4ELNS1_11target_archE910ELNS1_3gpuE8ELNS1_3repE0EEENS1_30default_config_static_selectorELNS0_4arch9wavefront6targetE1EEEvT1_: ; @_ZN7rocprim17ROCPRIM_400000_NS6detail17trampoline_kernelINS0_14default_configENS1_27scan_by_key_config_selectorIj11FixedVectorIiLj4EEEEZZNS1_16scan_by_key_implILNS1_25lookback_scan_determinismE0ELb1ES3_N6thrust23THRUST_200600_302600_NS6detail15normal_iteratorINSB_10device_ptrIjEEEENSD_INSE_IS6_EEEESI_S6_NSB_4plusIvEENSB_8equal_toIvEES6_EE10hipError_tPvRmT2_T3_T4_T5_mT6_T7_P12ihipStream_tbENKUlT_T0_E_clISt17integral_constantIbLb1EES13_EEDaSY_SZ_EUlSY_E_NS1_11comp_targetILNS1_3genE4ELNS1_11target_archE910ELNS1_3gpuE8ELNS1_3repE0EEENS1_30default_config_static_selectorELNS0_4arch9wavefront6targetE1EEEvT1_
; %bb.0:
	s_load_dwordx8 s[20:27], s[4:5], 0x38
	s_load_dwordx2 s[48:49], s[4:5], 0x58
	s_add_u32 flat_scratch_lo, s6, s9
	s_addc_u32 flat_scratch_hi, s7, 0
	s_add_u32 s0, s0, s9
	s_addc_u32 s1, s1, 0
	v_cmp_ne_u32_e64 s[8:9], 0, v0
	v_cmp_eq_u32_e64 s[18:19], 0, v0
	s_and_saveexec_b64 s[6:7], s[18:19]
	s_cbranch_execz .LBB2087_4
; %bb.1:
	s_mov_b64 s[12:13], exec
	v_mbcnt_lo_u32_b32 v1, s12, 0
	v_mbcnt_hi_u32_b32 v1, s13, v1
	v_cmp_eq_u32_e32 vcc, 0, v1
                                        ; implicit-def: $vgpr2
	s_and_saveexec_b64 s[10:11], vcc
	s_cbranch_execz .LBB2087_3
; %bb.2:
	s_load_dwordx2 s[14:15], s[4:5], 0x88
	s_bcnt1_i32_b64 s12, s[12:13]
	v_mov_b32_e32 v2, 0
	v_mov_b32_e32 v3, s12
	s_waitcnt lgkmcnt(0)
	global_atomic_add v2, v2, v3, s[14:15] glc
.LBB2087_3:
	s_or_b64 exec, exec, s[10:11]
	s_waitcnt vmcnt(0)
	v_readfirstlane_b32 s10, v2
	v_add_u32_e32 v1, s10, v1
	v_mov_b32_e32 v2, 0
	ds_write_b32 v2, v1
.LBB2087_4:
	s_or_b64 exec, exec, s[6:7]
	s_load_dwordx8 s[36:43], s[4:5], 0x0
	s_load_dwordx4 s[28:31], s[4:5], 0x20
	s_load_dword s6, s[4:5], 0x60
	s_load_dwordx4 s[44:47], s[4:5], 0x68
	v_mov_b32_e32 v1, 0
	s_waitcnt lgkmcnt(0)
	s_barrier
	ds_read_b32 v2, v1
	s_mov_b32 s4, 0
	s_waitcnt lgkmcnt(0)
	s_barrier
	v_readfirstlane_b32 s33, v2
	v_mov_b32_e32 v2, 0xd0
	s_barrier
	buffer_store_dword v1, off, s[0:3], 0 offset:220
	buffer_store_dword v1, off, s[0:3], 0 offset:216
	buffer_store_dword v1, off, s[0:3], 0 offset:212
	buffer_store_dword v1, off, s[0:3], 0 offset:208
	buffer_store_dword v1, off, s[0:3], 0 offset:224
.LBB2087_5:                             ; =>This Inner Loop Header: Depth=1
	v_add_u32_e32 v3, s4, v2
	s_add_i32 s4, s4, 8
	s_cmp_lg_u32 s4, 16
	buffer_store_dword v1, v3, s[0:3], 0 offen offset:4
	buffer_store_dword v1, v3, s[0:3], 0 offen
	s_cbranch_scc1 .LBB2087_5
; %bb.6:
	v_mov_b32_e32 v2, 0xd0
	v_mov_b32_e32 v1, 0
	s_mov_b32 s4, 20
	v_add_u32_e32 v10, 20, v2
	buffer_store_byte v1, off, s[0:3], 0 offset:224
	buffer_store_dword v1, off, s[0:3], 0 offset:240
	buffer_store_dword v1, off, s[0:3], 0 offset:236
	buffer_store_dword v1, off, s[0:3], 0 offset:232
	buffer_store_dword v1, off, s[0:3], 0 offset:228
	buffer_store_dword v1, off, s[0:3], 0 offset:244
.LBB2087_7:                             ; =>This Inner Loop Header: Depth=1
	v_add_u32_e32 v3, s4, v2
	s_add_i32 s4, s4, 8
	s_cmp_lg_u32 s4, 36
	buffer_store_dword v1, v3, s[0:3], 0 offen offset:4
	buffer_store_dword v1, v3, s[0:3], 0 offen
	s_cbranch_scc1 .LBB2087_7
; %bb.8:
	v_mov_b32_e32 v2, 0xd0
	v_mov_b32_e32 v1, 0
	s_mov_b32 s4, 40
	v_add_u32_e32 v11, 40, v2
	buffer_store_byte v1, off, s[0:3], 0 offset:244
	;; [unrolled: 18-line block ×3, first 2 shown]
	buffer_store_dword v1, off, s[0:3], 0 offset:280
	buffer_store_dword v1, off, s[0:3], 0 offset:276
	;; [unrolled: 1-line block ×5, first 2 shown]
.LBB2087_11:                            ; =>This Inner Loop Header: Depth=1
	v_add_u32_e32 v3, s4, v2
	s_add_i32 s4, s4, 8
	s_cmpk_lg_i32 s4, 0x4c
	buffer_store_dword v1, v3, s[0:3], 0 offen offset:4
	buffer_store_dword v1, v3, s[0:3], 0 offen
	s_cbranch_scc1 .LBB2087_11
; %bb.12:
	v_mov_b32_e32 v2, 0xd0
	v_mov_b32_e32 v1, 0
	s_movk_i32 s4, 0x50
	v_add_u32_e32 v13, 0x50, v2
	buffer_store_byte v1, off, s[0:3], 0 offset:284
	buffer_store_dword v1, off, s[0:3], 0 offset:300
	buffer_store_dword v1, off, s[0:3], 0 offset:296
	;; [unrolled: 1-line block ×5, first 2 shown]
.LBB2087_13:                            ; =>This Inner Loop Header: Depth=1
	v_add_u32_e32 v3, s4, v2
	s_add_i32 s4, s4, 8
	s_cmpk_lg_i32 s4, 0x60
	buffer_store_dword v1, v3, s[0:3], 0 offen offset:4
	buffer_store_dword v1, v3, s[0:3], 0 offen
	s_cbranch_scc1 .LBB2087_13
; %bb.14:
	v_mov_b32_e32 v2, s29
	buffer_store_dword v2, off, s[0:3], 0 offset:100
	v_mov_b32_e32 v2, s28
	buffer_store_dword v2, off, s[0:3], 0 offset:96
	;; [unrolled: 2-line block ×3, first 2 shown]
	v_mov_b32_e32 v2, s30
	s_mov_b32 s4, 0
	v_mov_b32_e32 v1, 0
	buffer_store_dword v2, off, s[0:3], 0 offset:104
	v_mov_b32_e32 v2, 0
	buffer_store_byte v1, off, s[0:3], 0 offset:304
.LBB2087_15:                            ; =>This Inner Loop Header: Depth=1
	v_add_u32_e32 v3, s4, v2
	s_add_i32 s4, s4, 8
	s_cmp_lg_u32 s4, 16
	buffer_store_dword v1, v3, s[0:3], 0 offen offset:4
	buffer_store_dword v1, v3, s[0:3], 0 offen
	s_cbranch_scc1 .LBB2087_15
; %bb.16:
	s_mov_b32 s4, 16
	v_mov_b32_e32 v1, 0
	v_mov_b32_e32 v2, 0
.LBB2087_17:                            ; =>This Inner Loop Header: Depth=1
	v_add_u32_e32 v3, s4, v1
	s_add_i32 s4, s4, 8
	s_cmp_lg_u32 s4, 32
	buffer_store_dword v2, v3, s[0:3], 0 offen offset:4
	buffer_store_dword v2, v3, s[0:3], 0 offen
	s_cbranch_scc1 .LBB2087_17
; %bb.18:
	s_mov_b32 s4, 32
	v_mov_b32_e32 v1, 0
	v_mov_b32_e32 v2, 0
	;; [unrolled: 11-line block ×4, first 2 shown]
.LBB2087_23:                            ; =>This Inner Loop Header: Depth=1
	v_add_u32_e32 v3, s4, v1
	s_add_i32 s4, s4, 8
	s_cmpk_lg_i32 s4, 0x50
	buffer_store_dword v2, v3, s[0:3], 0 offen offset:4
	buffer_store_dword v2, v3, s[0:3], 0 offen
	s_cbranch_scc1 .LBB2087_23
; %bb.24:
	s_lshl_b64 s[4:5], s[38:39], 2
	s_add_u32 s10, s36, s4
	s_addc_u32 s11, s37, s5
	s_lshl_b64 s[34:35], s[38:39], 4
	s_add_u32 s12, s40, s34
	s_mul_i32 s4, s49, s6
	s_mul_hi_u32 s5, s48, s6
	s_addc_u32 s13, s41, s35
	s_add_i32 s14, s5, s4
	s_mul_i32 s4, s33, 0x500
	s_mov_b32 s5, 0
	s_mul_i32 s15, s48, s6
	s_lshl_b64 s[6:7], s[4:5], 2
	s_add_u32 s38, s10, s6
	s_addc_u32 s39, s11, s7
	s_lshl_b64 s[36:37], s[4:5], 4
	s_add_u32 s50, s12, s36
	s_addc_u32 s51, s13, s37
	s_add_u32 s4, s15, s33
	s_addc_u32 s5, s14, 0
	s_add_u32 s12, s44, -1
	v_mov_b32_e32 v2, 0
	s_addc_u32 s13, s45, -1
	v_add_u32_e32 v1, 64, v2
	v_add_u32_e32 v6, 48, v2
	;; [unrolled: 1-line block ×4, first 2 shown]
	v_pk_mov_b32 v[2:3], s[12:13], s[12:13] op_sel:[0,1]
	v_cmp_ge_u64_e64 s[6:7], s[4:5], v[2:3]
	s_mov_b64 s[10:11], -1
	s_and_b64 vcc, exec, s[6:7]
	s_mul_i32 s27, s12, 0xfffffb00
	s_cbranch_vccz .LBB2087_52
; %bb.25:
	v_pk_mov_b32 v[2:3], s[38:39], s[38:39] op_sel:[0,1]
	flat_load_dword v2, v[2:3]
	s_add_i32 s52, s27, s26
	v_cmp_gt_u32_e32 vcc, s52, v0
	s_waitcnt vmcnt(0) lgkmcnt(0)
	v_mov_b32_e32 v3, v2
	s_and_saveexec_b64 s[10:11], vcc
	s_cbranch_execz .LBB2087_27
; %bb.26:
	v_lshlrev_b32_e32 v3, 2, v0
	v_mov_b32_e32 v5, s39
	v_add_co_u32_e64 v4, s[4:5], s38, v3
	v_addc_co_u32_e64 v5, s[4:5], 0, v5, s[4:5]
	flat_load_dword v3, v[4:5]
.LBB2087_27:
	s_or_b64 exec, exec, s[10:11]
	v_or_b32_e32 v14, 0x100, v0
	v_cmp_gt_u32_e64 s[10:11], s52, v14
	v_mov_b32_e32 v4, v2
	s_and_saveexec_b64 s[12:13], s[10:11]
	s_cbranch_execz .LBB2087_29
; %bb.28:
	v_lshlrev_b32_e32 v4, 2, v0
	v_mov_b32_e32 v5, s39
	v_add_co_u32_e64 v4, s[4:5], s38, v4
	v_addc_co_u32_e64 v5, s[4:5], 0, v5, s[4:5]
	flat_load_dword v4, v[4:5] offset:1024
.LBB2087_29:
	s_or_b64 exec, exec, s[12:13]
	v_or_b32_e32 v17, 0x200, v0
	v_cmp_gt_u32_e64 s[12:13], s52, v17
	v_mov_b32_e32 v5, v2
	s_and_saveexec_b64 s[14:15], s[12:13]
	s_cbranch_execz .LBB2087_31
; %bb.30:
	v_lshlrev_b32_e32 v5, 2, v0
	v_mov_b32_e32 v9, s39
	v_add_co_u32_e64 v18, s[4:5], s38, v5
	v_addc_co_u32_e64 v19, s[4:5], 0, v9, s[4:5]
	flat_load_dword v5, v[18:19] offset:2048
.LBB2087_31:
	;; [unrolled: 13-line block ×3, first 2 shown]
	s_or_b64 exec, exec, s[16:17]
	v_or_b32_e32 v19, 0x400, v0
	v_cmp_gt_u32_e64 s[16:17], s52, v19
	s_and_saveexec_b64 s[40:41], s[16:17]
	s_cbranch_execz .LBB2087_35
; %bb.34:
	v_lshlrev_b32_e32 v2, 2, v19
	v_mov_b32_e32 v15, s39
	v_add_co_u32_e64 v20, s[4:5], s38, v2
	v_addc_co_u32_e64 v21, s[4:5], 0, v15, s[4:5]
	flat_load_dword v2, v[20:21]
.LBB2087_35:
	s_or_b64 exec, exec, s[40:41]
	v_lshlrev_b32_e32 v16, 2, v0
	s_waitcnt vmcnt(0) lgkmcnt(0)
	ds_write2st64_b32 v16, v3, v4 offset1:4
	ds_write2st64_b32 v16, v5, v9 offset0:8 offset1:12
	ds_write_b32 v16, v2 offset:4096
	v_pk_mov_b32 v[2:3], s[38:39], s[38:39] op_sel:[0,1]
	s_waitcnt lgkmcnt(0)
	s_barrier
	flat_load_dword v9, v[2:3]
	v_lshl_add_u32 v2, v0, 4, v16
	ds_read_b32 v15, v2
	ds_read2_b32 v[4:5], v2 offset0:1 offset1:2
	ds_read2_b32 v[2:3], v2 offset0:3 offset1:4
	s_movk_i32 s4, 0xff
	v_cmp_ne_u32_e64 s[4:5], s4, v0
	s_waitcnt lgkmcnt(0)
	ds_write_b32 v16, v15 offset:6144
	s_waitcnt lgkmcnt(0)
	s_barrier
	s_and_saveexec_b64 s[40:41], s[4:5]
	s_cbranch_execz .LBB2087_37
; %bb.36:
	s_waitcnt vmcnt(0)
	ds_read_b32 v9, v16 offset:6148
.LBB2087_37:
	s_or_b64 exec, exec, s[40:41]
	s_waitcnt lgkmcnt(0)
	s_barrier
	s_and_saveexec_b64 s[4:5], vcc
	s_cbranch_execnz .LBB2087_526
; %bb.38:
	s_or_b64 exec, exec, s[4:5]
	s_and_saveexec_b64 s[4:5], s[10:11]
	s_cbranch_execnz .LBB2087_527
.LBB2087_39:
	s_or_b64 exec, exec, s[4:5]
	s_and_saveexec_b64 s[4:5], s[12:13]
	s_cbranch_execnz .LBB2087_528
.LBB2087_40:
	s_or_b64 exec, exec, s[4:5]
	s_and_saveexec_b64 s[4:5], s[14:15]
	s_cbranch_execnz .LBB2087_529
.LBB2087_41:
	s_or_b64 exec, exec, s[4:5]
	v_mul_u32_u24_e32 v14, 5, v0
	s_and_saveexec_b64 s[4:5], s[16:17]
	s_cbranch_execz .LBB2087_43
.LBB2087_42:
	v_lshlrev_b32_e32 v17, 4, v19
	v_mov_b32_e32 v19, s51
	v_add_co_u32_e32 v18, vcc, s50, v17
	v_addc_co_u32_e32 v19, vcc, 0, v19, vcc
	flat_load_dwordx4 v[18:21], v[18:19]
	s_waitcnt vmcnt(0) lgkmcnt(0)
	buffer_store_dword v19, off, s[0:3], 0 offset:68
	buffer_store_dword v18, off, s[0:3], 0 offset:64
	;; [unrolled: 1-line block ×4, first 2 shown]
.LBB2087_43:
	s_or_b64 exec, exec, s[4:5]
	buffer_load_dword v18, off, s[0:3], 0
	buffer_load_dword v19, off, s[0:3], 0 offset:4
	buffer_load_dword v20, off, s[0:3], 0 offset:8
	;; [unrolled: 1-line block ×3, first 2 shown]
	buffer_load_dword v22, v8, s[0:3], 0 offen
	buffer_load_dword v23, v8, s[0:3], 0 offen offset:4
	buffer_load_dword v24, v8, s[0:3], 0 offen offset:8
	buffer_load_dword v25, v8, s[0:3], 0 offen offset:12
	buffer_load_dword v26, v7, s[0:3], 0 offen
	buffer_load_dword v27, v7, s[0:3], 0 offen offset:4
	buffer_load_dword v28, v7, s[0:3], 0 offen offset:8
	buffer_load_dword v29, v7, s[0:3], 0 offen offset:12
	;; [unrolled: 4-line block ×4, first 2 shown]
	v_mad_u32_u24 v16, v0, 12, v16
	v_lshl_add_u32 v38, v0, 6, v16
	v_cmp_gt_u32_e32 vcc, s52, v14
	s_mov_b64 s[10:11], 0
	s_mov_b64 s[14:15], 0
                                        ; implicit-def: $sgpr4_sgpr5
	s_waitcnt vmcnt(0)
	ds_write_b128 v16, v[18:21]
	ds_write_b128 v16, v[22:25] offset:4096
	ds_write_b128 v16, v[26:29] offset:8192
	;; [unrolled: 1-line block ×4, first 2 shown]
	s_waitcnt lgkmcnt(0)
	s_barrier
	ds_read_b128 v[16:19], v38
	ds_read_b128 v[20:23], v38 offset:16
	ds_read_b128 v[24:27], v38 offset:32
	;; [unrolled: 1-line block ×4, first 2 shown]
	s_waitcnt lgkmcnt(4)
	buffer_store_dword v19, off, s[0:3], 0 offset:12
	buffer_store_dword v18, off, s[0:3], 0 offset:8
	;; [unrolled: 1-line block ×3, first 2 shown]
	buffer_store_dword v16, off, s[0:3], 0
	s_waitcnt lgkmcnt(3)
	buffer_store_dword v23, v8, s[0:3], 0 offen offset:12
	buffer_store_dword v22, v8, s[0:3], 0 offen offset:8
	buffer_store_dword v21, v8, s[0:3], 0 offen offset:4
	buffer_store_dword v20, v8, s[0:3], 0 offen
	s_waitcnt lgkmcnt(2)
	buffer_store_dword v27, v7, s[0:3], 0 offen offset:12
	buffer_store_dword v26, v7, s[0:3], 0 offen offset:8
	buffer_store_dword v25, v7, s[0:3], 0 offen offset:4
	buffer_store_dword v24, v7, s[0:3], 0 offen
	;; [unrolled: 5-line block ×4, first 2 shown]
	s_and_saveexec_b64 s[12:13], vcc
	s_cbranch_execz .LBB2087_51
; %bb.44:
	v_cmp_ne_u32_e32 vcc, v15, v4
	v_mov_b32_e32 v15, 0x60
	v_mov_b32_e32 v17, 0
	v_cndmask_b32_e32 v17, v17, v15, vcc
	buffer_load_dword v18, v17, s[0:3], 0 offen offset:12
	buffer_load_dword v19, v17, s[0:3], 0 offen offset:8
	;; [unrolled: 1-line block ×3, first 2 shown]
	buffer_load_dword v21, v17, s[0:3], 0 offen
                                        ; kill: killed $vgpr17
	v_add_u32_e32 v17, 1, v14
	v_cndmask_b32_e64 v16, 0, 1, vcc
	v_cmp_gt_u32_e32 vcc, s52, v17
	s_mov_b64 s[16:17], 0
	buffer_store_byte v16, off, s[0:3], 0 offset:224
                                        ; implicit-def: $sgpr40_sgpr41
	s_waitcnt vmcnt(4)
	buffer_store_dword v18, off, s[0:3], 0 offset:220
	s_waitcnt vmcnt(4)
	buffer_store_dword v19, off, s[0:3], 0 offset:216
	;; [unrolled: 2-line block ×4, first 2 shown]
	s_and_saveexec_b64 s[14:15], vcc
	s_cbranch_execz .LBB2087_50
; %bb.45:
	v_cmp_ne_u32_e32 vcc, v4, v5
	v_cndmask_b32_e32 v15, v8, v15, vcc
	buffer_load_dword v16, v15, s[0:3], 0 offen offset:12
	buffer_load_dword v17, v15, s[0:3], 0 offen offset:8
	;; [unrolled: 1-line block ×3, first 2 shown]
	buffer_load_dword v19, v15, s[0:3], 0 offen
                                        ; kill: killed $vgpr15
	v_add_u32_e32 v15, 2, v14
	v_cndmask_b32_e64 v4, 0, 1, vcc
	v_cmp_gt_u32_e32 vcc, s52, v15
	s_mov_b64 s[4:5], 0
	buffer_store_byte v4, off, s[0:3], 0 offset:244
                                        ; implicit-def: $sgpr40_sgpr41
	s_waitcnt vmcnt(4)
	buffer_store_dword v16, v10, s[0:3], 0 offen offset:12
	s_waitcnt vmcnt(4)
	buffer_store_dword v17, v10, s[0:3], 0 offen offset:8
	s_waitcnt vmcnt(4)
	buffer_store_dword v18, v10, s[0:3], 0 offen offset:4
	s_waitcnt vmcnt(4)
	buffer_store_dword v19, v10, s[0:3], 0 offen
	s_and_saveexec_b64 s[16:17], vcc
	s_cbranch_execz .LBB2087_49
; %bb.46:
	v_cmp_ne_u32_e32 vcc, v5, v2
	v_mov_b32_e32 v4, 0x60
	v_cndmask_b32_e32 v15, v7, v4, vcc
	buffer_load_dword v16, v15, s[0:3], 0 offen offset:12
	buffer_load_dword v17, v15, s[0:3], 0 offen offset:8
	;; [unrolled: 1-line block ×3, first 2 shown]
	buffer_load_dword v19, v15, s[0:3], 0 offen
                                        ; kill: killed $vgpr15
	v_add_u32_e32 v15, 3, v14
	v_cndmask_b32_e64 v5, 0, 1, vcc
	v_cmp_gt_u32_e32 vcc, s52, v15
	buffer_store_byte v5, off, s[0:3], 0 offset:264
                                        ; implicit-def: $sgpr44_sgpr45
	s_waitcnt vmcnt(4)
	buffer_store_dword v16, v11, s[0:3], 0 offen offset:12
	s_waitcnt vmcnt(4)
	buffer_store_dword v17, v11, s[0:3], 0 offen offset:8
	;; [unrolled: 2-line block ×3, first 2 shown]
	s_waitcnt vmcnt(4)
	buffer_store_dword v19, v11, s[0:3], 0 offen
	s_and_saveexec_b64 s[40:41], vcc
	s_xor_b64 s[40:41], exec, s[40:41]
	s_cbranch_execz .LBB2087_48
; %bb.47:
	v_cmp_ne_u32_e32 vcc, v2, v3
	v_cndmask_b32_e32 v4, v6, v4, vcc
	buffer_load_dword v5, v4, s[0:3], 0 offen offset:12
	buffer_load_dword v15, v4, s[0:3], 0 offen offset:8
	buffer_load_dword v16, v4, s[0:3], 0 offen offset:4
	buffer_load_dword v17, v4, s[0:3], 0 offen
	v_cndmask_b32_e64 v2, 0, 1, vcc
	v_cmp_ne_u32_e32 vcc, v3, v9
	v_add_u32_e32 v3, 4, v14
	v_cmp_gt_u32_e64 s[4:5], s52, v3
	s_and_b64 s[44:45], vcc, exec
	s_and_b64 s[4:5], s[4:5], exec
                                        ; kill: killed $vgpr4
	buffer_store_byte v2, off, s[0:3], 0 offset:284
	s_waitcnt vmcnt(4)
	buffer_store_dword v5, v12, s[0:3], 0 offen offset:12
	s_waitcnt vmcnt(4)
	buffer_store_dword v15, v12, s[0:3], 0 offen offset:8
	;; [unrolled: 2-line block ×3, first 2 shown]
	s_waitcnt vmcnt(4)
	buffer_store_dword v17, v12, s[0:3], 0 offen
.LBB2087_48:
	s_or_b64 exec, exec, s[40:41]
	s_and_b64 s[40:41], s[44:45], exec
	s_and_b64 s[4:5], s[4:5], exec
.LBB2087_49:
	s_or_b64 exec, exec, s[16:17]
	s_and_b64 s[40:41], s[40:41], exec
	s_and_b64 s[16:17], s[4:5], exec
.LBB2087_50:
	s_or_b64 exec, exec, s[14:15]
	s_and_b64 s[4:5], s[40:41], exec
	s_and_b64 s[14:15], s[16:17], exec
.LBB2087_51:
	s_or_b64 exec, exec, s[12:13]
	s_and_b64 vcc, exec, s[10:11]
	s_cbranch_vccnz .LBB2087_53
	s_branch .LBB2087_56
.LBB2087_52:
	s_mov_b64 s[14:15], 0
                                        ; implicit-def: $sgpr4_sgpr5
	s_and_b64 vcc, exec, s[10:11]
	s_cbranch_vccz .LBB2087_56
.LBB2087_53:
	v_lshlrev_b32_e32 v14, 2, v0
	v_mov_b32_e32 v3, s39
	v_add_co_u32_e32 v2, vcc, s38, v14
	v_addc_co_u32_e32 v3, vcc, 0, v3, vcc
	v_add_co_u32_e32 v4, vcc, 0x1000, v2
	v_addc_co_u32_e32 v5, vcc, 0, v3, vcc
	flat_load_dword v9, v[2:3]
	flat_load_dword v15, v[2:3] offset:1024
	flat_load_dword v16, v[2:3] offset:2048
	;; [unrolled: 1-line block ×3, first 2 shown]
	flat_load_dword v18, v[4:5]
	v_mov_b32_e32 v2, s38
	v_mov_b32_e32 v3, s39
	v_add_co_u32_e32 v2, vcc, 0x1000, v2
	v_addc_co_u32_e32 v3, vcc, 0, v3, vcc
	s_movk_i32 s4, 0xff
	s_movk_i32 s10, 0x1000
	v_cmp_ne_u32_e32 vcc, s4, v0
	s_waitcnt vmcnt(0) lgkmcnt(0)
	ds_write2st64_b32 v14, v9, v15 offset1:4
	ds_write2st64_b32 v14, v16, v17 offset0:8 offset1:12
	ds_write_b32 v14, v18 offset:4096
	s_waitcnt lgkmcnt(0)
	s_barrier
	flat_load_dword v9, v[2:3] offset:1024
	v_lshl_add_u32 v2, v0, 4, v14
	ds_read_b32 v15, v2
	ds_read2_b32 v[4:5], v2 offset0:1 offset1:2
	ds_read2_b32 v[2:3], v2 offset0:3 offset1:4
	s_waitcnt lgkmcnt(0)
	ds_write_b32 v14, v15 offset:6144
	s_waitcnt lgkmcnt(0)
	s_barrier
	s_and_saveexec_b64 s[4:5], vcc
	s_cbranch_execz .LBB2087_55
; %bb.54:
	s_waitcnt vmcnt(0)
	ds_read_b32 v9, v14 offset:6148
.LBB2087_55:
	s_or_b64 exec, exec, s[4:5]
	v_lshlrev_b32_e32 v16, 4, v0
	v_mov_b32_e32 v17, s51
	v_add_co_u32_e32 v24, vcc, s50, v16
	v_addc_co_u32_e32 v25, vcc, 0, v17, vcc
	s_waitcnt lgkmcnt(0)
	s_barrier
	flat_load_dwordx4 v[16:19], v[24:25]
	v_add_co_u32_e32 v20, vcc, s10, v24
	v_addc_co_u32_e32 v21, vcc, 0, v25, vcc
	s_movk_i32 s4, 0x2000
	v_add_co_u32_e32 v26, vcc, s4, v24
	v_addc_co_u32_e32 v27, vcc, 0, v25, vcc
	s_movk_i32 s4, 0x3000
	v_cmp_ne_u32_e64 s[10:11], v5, v2
	v_cmp_ne_u32_e64 s[12:13], v2, v3
	v_mad_u32_u24 v2, v0, 12, v14
	v_lshl_add_u32 v40, v0, 6, v2
	s_mov_b64 s[14:15], -1
	v_cndmask_b32_e64 v38, 0, 1, s[10:11]
	v_cndmask_b32_e64 v39, 0, 1, s[12:13]
	s_waitcnt vmcnt(0) lgkmcnt(0)
	buffer_store_dword v16, off, s[0:3], 0
	buffer_store_dword v17, off, s[0:3], 0 offset:4
	buffer_store_dword v19, off, s[0:3], 0 offset:12
	;; [unrolled: 1-line block ×3, first 2 shown]
	flat_load_dwordx4 v[20:23], v[20:21]
	s_waitcnt vmcnt(0) lgkmcnt(0)
	buffer_store_dword v21, off, s[0:3], 0 offset:20
	buffer_store_dword v20, off, s[0:3], 0 offset:16
	;; [unrolled: 1-line block ×4, first 2 shown]
	flat_load_dwordx4 v[20:23], v[26:27]
	v_add_co_u32_e32 v26, vcc, s4, v24
	v_addc_co_u32_e32 v27, vcc, 0, v25, vcc
	s_movk_i32 s4, 0x4000
	v_add_co_u32_e32 v32, vcc, s4, v24
	v_addc_co_u32_e32 v33, vcc, 0, v25, vcc
                                        ; kill: killed $vgpr32 killed $vgpr33
	v_cmp_ne_u32_e32 vcc, v15, v4
	v_cmp_ne_u32_e64 s[4:5], v4, v5
	v_mov_b32_e32 v4, 0x60
	v_mov_b32_e32 v5, 0
	v_cndmask_b32_e32 v5, v5, v4, vcc
	v_cndmask_b32_e64 v41, v8, v4, s[4:5]
	v_cndmask_b32_e64 v42, v7, v4, s[10:11]
	v_cndmask_b32_e64 v36, 0, 1, vcc
	v_cndmask_b32_e64 v37, 0, 1, s[4:5]
                                        ; kill: killed $vgpr5
	v_cmp_ne_u32_e64 s[4:5], v3, v9
                                        ; kill: killed $vgpr41
                                        ; kill: killed $vgpr42
	s_waitcnt vmcnt(0) lgkmcnt(0)
	buffer_store_dword v21, off, s[0:3], 0 offset:36
	buffer_store_dword v20, off, s[0:3], 0 offset:32
	;; [unrolled: 1-line block ×4, first 2 shown]
	flat_load_dwordx4 v[20:23], v[26:27]
	s_waitcnt vmcnt(0) lgkmcnt(0)
	buffer_store_dword v21, off, s[0:3], 0 offset:52
	buffer_store_dword v20, off, s[0:3], 0 offset:48
	;; [unrolled: 1-line block ×4, first 2 shown]
	flat_load_dwordx4 v[20:23], v[32:33]
	s_nop 0
	buffer_load_dword v27, v7, s[0:3], 0 offen offset:12
	buffer_load_dword v26, v7, s[0:3], 0 offen offset:8
	;; [unrolled: 1-line block ×3, first 2 shown]
	buffer_load_dword v24, v7, s[0:3], 0 offen
	buffer_load_dword v31, v8, s[0:3], 0 offen offset:12
	buffer_load_dword v30, v8, s[0:3], 0 offen offset:8
	;; [unrolled: 1-line block ×3, first 2 shown]
	buffer_load_dword v28, v8, s[0:3], 0 offen
	s_waitcnt vmcnt(0) lgkmcnt(0)
	buffer_store_dword v21, off, s[0:3], 0 offset:68
	buffer_store_dword v20, off, s[0:3], 0 offset:64
	;; [unrolled: 1-line block ×4, first 2 shown]
	buffer_load_dword v20, v1, s[0:3], 0 offen
	s_nop 0
	buffer_load_dword v35, v6, s[0:3], 0 offen offset:12
	buffer_load_dword v34, v6, s[0:3], 0 offen offset:8
	;; [unrolled: 1-line block ×3, first 2 shown]
	buffer_load_dword v32, v6, s[0:3], 0 offen
	buffer_load_dword v23, v1, s[0:3], 0 offen offset:12
	buffer_load_dword v22, v1, s[0:3], 0 offen offset:8
	;; [unrolled: 1-line block ×3, first 2 shown]
	ds_write_b128 v2, v[16:19]
	ds_write_b128 v2, v[28:31] offset:4096
	ds_write_b128 v2, v[24:27] offset:8192
	s_waitcnt vmcnt(3)
	ds_write_b128 v2, v[32:35] offset:12288
	s_waitcnt vmcnt(0)
	ds_write_b128 v2, v[20:23] offset:16384
	s_waitcnt lgkmcnt(0)
	s_barrier
	ds_read_b128 v[14:17], v40
	ds_read_b128 v[18:21], v40 offset:16
	ds_read_b128 v[22:25], v40 offset:32
	;; [unrolled: 1-line block ×3, first 2 shown]
	s_waitcnt lgkmcnt(3)
	buffer_store_dword v17, off, s[0:3], 0 offset:12
	buffer_store_dword v16, off, s[0:3], 0 offset:8
	;; [unrolled: 1-line block ×3, first 2 shown]
	buffer_store_dword v14, off, s[0:3], 0
	s_waitcnt lgkmcnt(2)
	buffer_store_dword v21, v8, s[0:3], 0 offen offset:12
	buffer_store_dword v20, v8, s[0:3], 0 offen offset:8
	;; [unrolled: 1-line block ×3, first 2 shown]
	buffer_store_dword v18, v8, s[0:3], 0 offen
	s_waitcnt lgkmcnt(1)
	buffer_store_dword v25, v7, s[0:3], 0 offen offset:12
	buffer_store_dword v24, v7, s[0:3], 0 offen offset:8
	buffer_store_dword v23, v7, s[0:3], 0 offen offset:4
	buffer_store_dword v22, v7, s[0:3], 0 offen
	s_waitcnt lgkmcnt(0)
	buffer_store_dword v29, v6, s[0:3], 0 offen offset:12
	v_cndmask_b32_e64 v2, v6, v4, s[12:13]
	buffer_load_dword v7, v5, s[0:3], 0 offen
	buffer_load_dword v8, v5, s[0:3], 0 offen offset:4
	buffer_load_dword v14, v5, s[0:3], 0 offen offset:8
	buffer_load_dword v15, v5, s[0:3], 0 offen offset:12
	buffer_load_dword v16, v41, s[0:3], 0 offen
	buffer_load_dword v17, v41, s[0:3], 0 offen offset:4
	buffer_load_dword v18, v41, s[0:3], 0 offen offset:8
	buffer_load_dword v19, v41, s[0:3], 0 offen offset:12
	;; [unrolled: 4-line block ×3, first 2 shown]
	s_nop 0
	buffer_store_dword v28, v6, s[0:3], 0 offen offset:8
	buffer_store_dword v27, v6, s[0:3], 0 offen offset:4
	buffer_store_dword v26, v6, s[0:3], 0 offen
	buffer_load_dword v6, v2, s[0:3], 0 offen offset:12
	s_nop 0
	buffer_load_dword v24, v2, s[0:3], 0 offen offset:8
	buffer_load_dword v25, v2, s[0:3], 0 offen offset:4
	buffer_load_dword v26, v2, s[0:3], 0 offen
                                        ; kill: killed $vgpr2
	ds_read_b128 v[2:5], v40 offset:64
	buffer_store_byte v36, off, s[0:3], 0 offset:224
	buffer_store_byte v37, off, s[0:3], 0 offset:244
	;; [unrolled: 1-line block ×4, first 2 shown]
	s_waitcnt lgkmcnt(0)
	buffer_store_dword v5, v1, s[0:3], 0 offen offset:12
	buffer_store_dword v4, v1, s[0:3], 0 offen offset:8
	;; [unrolled: 1-line block ×3, first 2 shown]
	buffer_store_dword v2, v1, s[0:3], 0 offen
	s_waitcnt vmcnt(23)
	buffer_store_dword v15, off, s[0:3], 0 offset:220
	buffer_store_dword v14, off, s[0:3], 0 offset:216
	buffer_store_dword v8, off, s[0:3], 0 offset:212
	buffer_store_dword v7, off, s[0:3], 0 offset:208
	s_waitcnt vmcnt(23)
	buffer_store_dword v19, v10, s[0:3], 0 offen offset:12
	buffer_store_dword v18, v10, s[0:3], 0 offen offset:8
	;; [unrolled: 1-line block ×3, first 2 shown]
	buffer_store_dword v16, v10, s[0:3], 0 offen
	s_waitcnt vmcnt(23)
	buffer_store_dword v23, v11, s[0:3], 0 offen offset:12
	buffer_store_dword v22, v11, s[0:3], 0 offen offset:8
	;; [unrolled: 1-line block ×3, first 2 shown]
	buffer_store_dword v20, v11, s[0:3], 0 offen
	s_waitcnt vmcnt(23)
	buffer_store_dword v6, v12, s[0:3], 0 offen offset:12
	s_waitcnt vmcnt(23)
	buffer_store_dword v24, v12, s[0:3], 0 offen offset:8
	s_waitcnt vmcnt(23)
	buffer_store_dword v25, v12, s[0:3], 0 offen offset:4
	s_waitcnt vmcnt(23)
	buffer_store_dword v26, v12, s[0:3], 0 offen
.LBB2087_56:
	s_and_saveexec_b64 s[10:11], s[14:15]
	s_cbranch_execz .LBB2087_58
; %bb.57:
	v_mov_b32_e32 v2, 0x60
	v_cndmask_b32_e64 v1, v1, v2, s[4:5]
	buffer_load_dword v2, v1, s[0:3], 0 offen offset:12
	buffer_load_dword v3, v1, s[0:3], 0 offen offset:8
	;; [unrolled: 1-line block ×3, first 2 shown]
	buffer_load_dword v5, v1, s[0:3], 0 offen
                                        ; kill: killed $vgpr1
	v_cndmask_b32_e64 v1, 0, 1, s[4:5]
	s_waitcnt vmcnt(3)
	buffer_store_dword v2, v13, s[0:3], 0 offen offset:12
	s_waitcnt vmcnt(3)
	buffer_store_dword v3, v13, s[0:3], 0 offen offset:8
	;; [unrolled: 2-line block ×3, first 2 shown]
	s_waitcnt vmcnt(3)
	buffer_store_dword v5, v13, s[0:3], 0 offen
	buffer_store_byte v1, off, s[0:3], 0 offset:304
.LBB2087_58:
	s_or_b64 exec, exec, s[10:11]
	s_cmp_lg_u32 s33, 0
	s_barrier
	s_cbranch_scc0 .LBB2087_365
; %bb.59:
	buffer_load_dword v2, off, s[0:3], 0 offset:220
	buffer_load_dword v3, off, s[0:3], 0 offset:216
	;; [unrolled: 1-line block ×5, first 2 shown]
	buffer_load_ubyte v6, off, s[0:3], 0 offset:244
	s_waitcnt vmcnt(5)
	buffer_store_dword v2, off, s[0:3], 0 offset:188
	s_waitcnt vmcnt(5)
	buffer_store_dword v3, off, s[0:3], 0 offset:184
	;; [unrolled: 2-line block ×5, first 2 shown]
	s_waitcnt vmcnt(5)
	v_cmp_ne_u16_e32 vcc, 0, v6
                                        ; implicit-def: $vgpr4_vgpr5
                                        ; implicit-def: $vgpr2_vgpr3
	s_and_saveexec_b64 s[4:5], vcc
	s_xor_b64 s[4:5], exec, s[4:5]
	s_cbranch_execz .LBB2087_61
; %bb.60:
	buffer_load_dword v2, off, s[0:3], 0 offset:228
	buffer_load_dword v3, off, s[0:3], 0 offset:232
	;; [unrolled: 1-line block ×4, first 2 shown]
.LBB2087_61:
	s_andn2_saveexec_b64 s[4:5], s[4:5]
	s_cbranch_execz .LBB2087_67
; %bb.62:
	s_mov_b32 s10, 0
	s_waitcnt vmcnt(3)
	v_mov_b32_e32 v2, 0
	s_waitcnt vmcnt(2)
	v_mov_b32_e32 v3, 0
	s_waitcnt vmcnt(0)
.LBB2087_63:                            ; =>This Inner Loop Header: Depth=1
	v_add_u32_e32 v4, s10, v2
	s_add_i32 s10, s10, 8
	s_cmp_lg_u32 s10, 16
	buffer_store_dword v3, v4, s[0:3], 0 offen offset:4
	buffer_store_dword v3, v4, s[0:3], 0 offen
	s_cbranch_scc1 .LBB2087_63
; %bb.64:
	s_mov_b32 s10, 0
	v_mov_b32_e32 v2, 0xb0
	v_mov_b32_e32 v3, 0xd0
	;; [unrolled: 1-line block ×3, first 2 shown]
.LBB2087_65:                            ; =>This Inner Loop Header: Depth=1
	v_add_u32_e32 v5, s10, v2
	v_add_u32_e32 v7, s10, v3
	buffer_load_dword v8, v5, s[0:3], 0 offen offset:4
	buffer_load_dword v9, v7, s[0:3], 0 offen offset:20
	buffer_load_dword v14, v5, s[0:3], 0 offen
	buffer_load_dword v15, v7, s[0:3], 0 offen offset:24
	v_add_u32_e32 v5, s10, v4
	s_add_i32 s10, s10, 8
	s_cmp_lg_u32 s10, 16
	s_waitcnt vmcnt(1)
	v_add_u32_e32 v7, v9, v14
	s_waitcnt vmcnt(0)
	v_add_u32_e32 v8, v15, v8
	buffer_store_dword v8, v5, s[0:3], 0 offen offset:4
	buffer_store_dword v7, v5, s[0:3], 0 offen
	s_cbranch_scc1 .LBB2087_65
; %bb.66:
	buffer_load_dword v2, off, s[0:3], 0
	buffer_load_dword v3, off, s[0:3], 0 offset:4
	buffer_load_dword v4, off, s[0:3], 0 offset:8
	;; [unrolled: 1-line block ×3, first 2 shown]
.LBB2087_67:
	s_or_b64 exec, exec, s[4:5]
	buffer_load_ubyte v7, off, s[0:3], 0 offset:264
	s_waitcnt vmcnt(3)
	buffer_store_dword v3, off, s[0:3], 0 offset:180
	buffer_store_dword v2, off, s[0:3], 0 offset:176
	s_waitcnt vmcnt(3)
	buffer_store_dword v5, off, s[0:3], 0 offset:188
	buffer_store_dword v4, off, s[0:3], 0 offset:184
                                        ; implicit-def: $vgpr4_vgpr5
                                        ; implicit-def: $vgpr2_vgpr3
	s_waitcnt vmcnt(4)
	v_cmp_ne_u16_e32 vcc, 0, v7
	s_and_saveexec_b64 s[4:5], vcc
	s_xor_b64 s[4:5], exec, s[4:5]
	s_cbranch_execz .LBB2087_69
; %bb.68:
	buffer_load_dword v2, off, s[0:3], 0 offset:248
	buffer_load_dword v3, off, s[0:3], 0 offset:252
	;; [unrolled: 1-line block ×4, first 2 shown]
.LBB2087_69:
	s_andn2_saveexec_b64 s[4:5], s[4:5]
	s_cbranch_execz .LBB2087_75
; %bb.70:
	s_mov_b32 s10, 0
	s_waitcnt vmcnt(3)
	v_mov_b32_e32 v2, 0
	s_waitcnt vmcnt(2)
	v_mov_b32_e32 v3, 0
	s_waitcnt vmcnt(0)
.LBB2087_71:                            ; =>This Inner Loop Header: Depth=1
	v_add_u32_e32 v4, s10, v2
	s_add_i32 s10, s10, 8
	s_cmp_lg_u32 s10, 16
	buffer_store_dword v3, v4, s[0:3], 0 offen offset:4
	buffer_store_dword v3, v4, s[0:3], 0 offen
	s_cbranch_scc1 .LBB2087_71
; %bb.72:
	s_mov_b32 s10, 0
	v_mov_b32_e32 v2, 0xb0
	v_mov_b32_e32 v3, 0xd0
	v_mov_b32_e32 v4, 0
.LBB2087_73:                            ; =>This Inner Loop Header: Depth=1
	v_add_u32_e32 v5, s10, v2
	v_add_u32_e32 v8, s10, v3
	buffer_load_dword v9, v5, s[0:3], 0 offen offset:4
	buffer_load_dword v14, v8, s[0:3], 0 offen offset:40
	buffer_load_dword v15, v5, s[0:3], 0 offen
	buffer_load_dword v16, v8, s[0:3], 0 offen offset:44
	v_add_u32_e32 v5, s10, v4
	s_add_i32 s10, s10, 8
	s_cmp_lg_u32 s10, 16
	s_waitcnt vmcnt(1)
	v_add_u32_e32 v8, v14, v15
	s_waitcnt vmcnt(0)
	v_add_u32_e32 v9, v16, v9
	buffer_store_dword v9, v5, s[0:3], 0 offen offset:4
	buffer_store_dword v8, v5, s[0:3], 0 offen
	s_cbranch_scc1 .LBB2087_73
; %bb.74:
	buffer_load_dword v2, off, s[0:3], 0
	buffer_load_dword v3, off, s[0:3], 0 offset:4
	buffer_load_dword v4, off, s[0:3], 0 offset:8
	;; [unrolled: 1-line block ×3, first 2 shown]
.LBB2087_75:
	s_or_b64 exec, exec, s[4:5]
	buffer_load_ubyte v8, off, s[0:3], 0 offset:284
	s_waitcnt vmcnt(3)
	buffer_store_dword v3, off, s[0:3], 0 offset:180
	buffer_store_dword v2, off, s[0:3], 0 offset:176
	s_waitcnt vmcnt(3)
	buffer_store_dword v5, off, s[0:3], 0 offset:188
	buffer_store_dword v4, off, s[0:3], 0 offset:184
                                        ; implicit-def: $vgpr4_vgpr5
                                        ; implicit-def: $vgpr2_vgpr3
	s_waitcnt vmcnt(4)
	v_cmp_ne_u16_e32 vcc, 0, v8
	s_and_saveexec_b64 s[4:5], vcc
	s_xor_b64 s[4:5], exec, s[4:5]
	s_cbranch_execz .LBB2087_77
; %bb.76:
	buffer_load_dword v2, off, s[0:3], 0 offset:268
	buffer_load_dword v3, off, s[0:3], 0 offset:272
	;; [unrolled: 1-line block ×4, first 2 shown]
.LBB2087_77:
	s_andn2_saveexec_b64 s[4:5], s[4:5]
	s_cbranch_execz .LBB2087_83
; %bb.78:
	s_mov_b32 s10, 0
	s_waitcnt vmcnt(3)
	v_mov_b32_e32 v2, 0
	s_waitcnt vmcnt(2)
	v_mov_b32_e32 v3, 0
	s_waitcnt vmcnt(0)
.LBB2087_79:                            ; =>This Inner Loop Header: Depth=1
	v_add_u32_e32 v4, s10, v2
	s_add_i32 s10, s10, 8
	s_cmp_lg_u32 s10, 16
	buffer_store_dword v3, v4, s[0:3], 0 offen offset:4
	buffer_store_dword v3, v4, s[0:3], 0 offen
	s_cbranch_scc1 .LBB2087_79
; %bb.80:
	s_mov_b32 s10, 0
	v_mov_b32_e32 v2, 0xb0
	v_mov_b32_e32 v3, 0xd0
	;; [unrolled: 1-line block ×3, first 2 shown]
.LBB2087_81:                            ; =>This Inner Loop Header: Depth=1
	v_add_u32_e32 v5, s10, v2
	v_add_u32_e32 v9, s10, v3
	buffer_load_dword v14, v5, s[0:3], 0 offen offset:4
	buffer_load_dword v15, v9, s[0:3], 0 offen offset:60
	buffer_load_dword v16, v5, s[0:3], 0 offen
	buffer_load_dword v17, v9, s[0:3], 0 offen offset:64
	v_add_u32_e32 v5, s10, v4
	s_add_i32 s10, s10, 8
	s_cmp_lg_u32 s10, 16
	s_waitcnt vmcnt(1)
	v_add_u32_e32 v9, v15, v16
	s_waitcnt vmcnt(0)
	v_add_u32_e32 v14, v17, v14
	buffer_store_dword v14, v5, s[0:3], 0 offen offset:4
	buffer_store_dword v9, v5, s[0:3], 0 offen
	s_cbranch_scc1 .LBB2087_81
; %bb.82:
	buffer_load_dword v2, off, s[0:3], 0
	buffer_load_dword v3, off, s[0:3], 0 offset:4
	buffer_load_dword v4, off, s[0:3], 0 offset:8
	;; [unrolled: 1-line block ×3, first 2 shown]
.LBB2087_83:
	s_or_b64 exec, exec, s[4:5]
	buffer_load_ubyte v9, off, s[0:3], 0 offset:304
	s_waitcnt vmcnt(3)
	buffer_store_dword v3, off, s[0:3], 0 offset:180
	buffer_store_dword v2, off, s[0:3], 0 offset:176
	s_waitcnt vmcnt(3)
	buffer_store_dword v5, off, s[0:3], 0 offset:188
	buffer_store_dword v4, off, s[0:3], 0 offset:184
                                        ; implicit-def: $vgpr4_vgpr5
                                        ; implicit-def: $vgpr2_vgpr3
	s_waitcnt vmcnt(4)
	v_cmp_ne_u16_e32 vcc, 0, v9
	s_and_saveexec_b64 s[4:5], vcc
	s_xor_b64 s[4:5], exec, s[4:5]
	s_cbranch_execz .LBB2087_85
; %bb.84:
	buffer_load_dword v2, off, s[0:3], 0 offset:288
	buffer_load_dword v3, off, s[0:3], 0 offset:292
	;; [unrolled: 1-line block ×4, first 2 shown]
.LBB2087_85:
	s_andn2_saveexec_b64 s[4:5], s[4:5]
	s_cbranch_execz .LBB2087_91
; %bb.86:
	s_mov_b32 s10, 0
	s_waitcnt vmcnt(3)
	v_mov_b32_e32 v2, 0
	s_waitcnt vmcnt(2)
	v_mov_b32_e32 v3, 0
	s_waitcnt vmcnt(0)
.LBB2087_87:                            ; =>This Inner Loop Header: Depth=1
	v_add_u32_e32 v4, s10, v2
	s_add_i32 s10, s10, 8
	s_cmp_lg_u32 s10, 16
	buffer_store_dword v3, v4, s[0:3], 0 offen offset:4
	buffer_store_dword v3, v4, s[0:3], 0 offen
	s_cbranch_scc1 .LBB2087_87
; %bb.88:
	s_mov_b32 s10, 0
	v_mov_b32_e32 v2, 0xb0
	v_mov_b32_e32 v3, 0xd0
	;; [unrolled: 1-line block ×3, first 2 shown]
.LBB2087_89:                            ; =>This Inner Loop Header: Depth=1
	v_add_u32_e32 v5, s10, v2
	v_add_u32_e32 v14, s10, v3
	buffer_load_dword v15, v5, s[0:3], 0 offen offset:4
	buffer_load_dword v16, v14, s[0:3], 0 offen offset:80
	buffer_load_dword v17, v5, s[0:3], 0 offen
	buffer_load_dword v18, v14, s[0:3], 0 offen offset:84
	v_add_u32_e32 v5, s10, v4
	s_add_i32 s10, s10, 8
	s_cmp_lg_u32 s10, 16
	s_waitcnt vmcnt(1)
	v_add_u32_e32 v14, v16, v17
	s_waitcnt vmcnt(0)
	v_add_u32_e32 v15, v18, v15
	buffer_store_dword v15, v5, s[0:3], 0 offen offset:4
	buffer_store_dword v14, v5, s[0:3], 0 offen
	s_cbranch_scc1 .LBB2087_89
; %bb.90:
	buffer_load_dword v2, off, s[0:3], 0
	buffer_load_dword v3, off, s[0:3], 0 offset:4
	buffer_load_dword v4, off, s[0:3], 0 offset:8
	;; [unrolled: 1-line block ×3, first 2 shown]
.LBB2087_91:
	s_or_b64 exec, exec, s[4:5]
	v_or_b32_e32 v8, v9, v8
	v_or_b32_e32 v7, v8, v7
	;; [unrolled: 1-line block ×4, first 2 shown]
	v_and_b32_e32 v1, 1, v1
	buffer_store_byte v1, off, s[0:3], 0 offset:192
	buffer_load_dword v6, off, s[0:3], 0 offset:192
	v_mbcnt_lo_u32_b32 v1, -1, 0
	s_waitcnt vmcnt(5)
	v_mov_b32_dpp v7, v2 row_shr:1 row_mask:0xf bank_mask:0xf
	v_mbcnt_hi_u32_b32 v1, -1, v1
	s_waitcnt vmcnt(4)
	buffer_store_dword v3, off, s[0:3], 0 offset:180
	buffer_store_dword v2, off, s[0:3], 0 offset:176
	s_waitcnt vmcnt(4)
	buffer_store_dword v5, off, s[0:3], 0 offset:188
	buffer_store_dword v4, off, s[0:3], 0 offset:184
	v_mov_b32_dpp v8, v3 row_shr:1 row_mask:0xf bank_mask:0xf
	v_mov_b32_dpp v9, v4 row_shr:1 row_mask:0xf bank_mask:0xf
	;; [unrolled: 1-line block ×3, first 2 shown]
	buffer_store_dword v7, off, s[0:3], 0
	buffer_store_dword v8, off, s[0:3], 0 offset:4
	buffer_store_dword v9, off, s[0:3], 0 offset:8
	;; [unrolled: 1-line block ×3, first 2 shown]
	v_and_b32_e32 v7, 15, v1
	v_cmp_ne_u32_e32 vcc, 0, v7
	s_waitcnt vmcnt(8)
	v_mov_b32_dpp v8, v6 row_shr:1 row_mask:0xf bank_mask:0xf
	buffer_store_dword v8, off, s[0:3], 0 offset:16
	s_and_saveexec_b64 s[4:5], vcc
	s_xor_b64 s[4:5], exec, s[4:5]
	s_cbranch_execz .LBB2087_99
; %bb.92:
	v_mov_b32_e32 v9, 0
	v_cmp_eq_u16_sdwa s[12:13], v6, v9 src0_sel:BYTE_0 src1_sel:DWORD
	s_and_saveexec_b64 s[10:11], s[12:13]
	s_cbranch_execz .LBB2087_98
; %bb.93:
	s_mov_b32 s12, 0
	v_mov_b32_e32 v2, 0x60
.LBB2087_94:                            ; =>This Inner Loop Header: Depth=1
	v_add_u32_e32 v3, s12, v2
	s_add_i32 s12, s12, 8
	s_cmp_lg_u32 s12, 16
	buffer_store_dword v9, v3, s[0:3], 0 offen offset:4
	buffer_store_dword v9, v3, s[0:3], 0 offen
	s_cbranch_scc1 .LBB2087_94
; %bb.95:
	s_mov_b32 s12, 0
	v_mov_b32_e32 v2, 0
	v_mov_b32_e32 v3, 0xb0
	;; [unrolled: 1-line block ×3, first 2 shown]
.LBB2087_96:                            ; =>This Inner Loop Header: Depth=1
	v_add_u32_e32 v5, s12, v2
	v_add_u32_e32 v9, s12, v3
	buffer_load_dword v14, v5, s[0:3], 0 offen offset:4
	buffer_load_dword v15, v9, s[0:3], 0 offen
	buffer_load_dword v16, v5, s[0:3], 0 offen
	buffer_load_dword v17, v9, s[0:3], 0 offen offset:4
                                        ; kill: killed $vgpr5
	v_add_u32_e32 v5, s12, v4
	s_add_i32 s12, s12, 8
	s_cmp_lg_u32 s12, 16
                                        ; kill: killed $vgpr9
	s_waitcnt vmcnt(1)
	v_add_u32_e32 v9, v15, v16
	s_waitcnt vmcnt(0)
	v_add_u32_e32 v14, v17, v14
	buffer_store_dword v14, v5, s[0:3], 0 offen offset:4
	buffer_store_dword v9, v5, s[0:3], 0 offen
	s_cbranch_scc1 .LBB2087_96
; %bb.97:
	buffer_load_dword v2, off, s[0:3], 0 offset:96
	buffer_load_dword v3, off, s[0:3], 0 offset:100
	;; [unrolled: 1-line block ×4, first 2 shown]
.LBB2087_98:
	s_or_b64 exec, exec, s[10:11]
	v_or_b32_e32 v6, v8, v6
	v_and_b32_e32 v6, 1, v6
	buffer_store_byte v6, off, s[0:3], 0 offset:192
	buffer_load_dword v6, off, s[0:3], 0 offset:192
	s_waitcnt vmcnt(4)
	buffer_store_dword v3, off, s[0:3], 0 offset:180
	buffer_store_dword v2, off, s[0:3], 0 offset:176
	s_waitcnt vmcnt(4)
	buffer_store_dword v5, off, s[0:3], 0 offset:188
	buffer_store_dword v4, off, s[0:3], 0 offset:184
.LBB2087_99:
	s_or_b64 exec, exec, s[4:5]
	v_mov_b32_dpp v9, v2 row_shr:2 row_mask:0xf bank_mask:0xf
	s_waitcnt vmcnt(4)
	v_mov_b32_dpp v8, v6 row_shr:2 row_mask:0xf bank_mask:0xf
	v_cmp_lt_u32_e32 vcc, 1, v7
	v_mov_b32_dpp v14, v3 row_shr:2 row_mask:0xf bank_mask:0xf
	v_mov_b32_dpp v15, v4 row_shr:2 row_mask:0xf bank_mask:0xf
	;; [unrolled: 1-line block ×3, first 2 shown]
	buffer_store_dword v9, off, s[0:3], 0
	buffer_store_dword v14, off, s[0:3], 0 offset:4
	buffer_store_dword v15, off, s[0:3], 0 offset:8
	;; [unrolled: 1-line block ×4, first 2 shown]
	s_and_saveexec_b64 s[10:11], vcc
	s_cbranch_execz .LBB2087_107
; %bb.100:
	v_mov_b32_e32 v9, 0
	s_mov_b32 s12, 0
	v_cmp_eq_u16_sdwa s[14:15], v6, v9 src0_sel:BYTE_0 src1_sel:DWORD
	s_and_saveexec_b64 s[4:5], s[14:15]
	s_cbranch_execz .LBB2087_106
; %bb.101:
	v_mov_b32_e32 v2, 0x60
.LBB2087_102:                           ; =>This Inner Loop Header: Depth=1
	v_add_u32_e32 v3, s12, v2
	s_add_i32 s12, s12, 8
	s_cmp_lg_u32 s12, 16
	buffer_store_dword v9, v3, s[0:3], 0 offen offset:4
	buffer_store_dword v9, v3, s[0:3], 0 offen
	s_cbranch_scc1 .LBB2087_102
; %bb.103:
	s_mov_b32 s12, 0
	v_mov_b32_e32 v2, 0
	v_mov_b32_e32 v3, 0xb0
	;; [unrolled: 1-line block ×3, first 2 shown]
.LBB2087_104:                           ; =>This Inner Loop Header: Depth=1
	v_add_u32_e32 v5, s12, v2
	v_add_u32_e32 v9, s12, v3
	buffer_load_dword v14, v5, s[0:3], 0 offen offset:4
	buffer_load_dword v15, v9, s[0:3], 0 offen
	buffer_load_dword v16, v5, s[0:3], 0 offen
	buffer_load_dword v17, v9, s[0:3], 0 offen offset:4
                                        ; kill: killed $vgpr5
	v_add_u32_e32 v5, s12, v4
	s_add_i32 s12, s12, 8
	s_cmp_lg_u32 s12, 16
                                        ; kill: killed $vgpr9
	s_waitcnt vmcnt(1)
	v_add_u32_e32 v9, v15, v16
	s_waitcnt vmcnt(0)
	v_add_u32_e32 v14, v17, v14
	buffer_store_dword v14, v5, s[0:3], 0 offen offset:4
	buffer_store_dword v9, v5, s[0:3], 0 offen
	s_cbranch_scc1 .LBB2087_104
; %bb.105:
	buffer_load_dword v2, off, s[0:3], 0 offset:96
	buffer_load_dword v3, off, s[0:3], 0 offset:100
	;; [unrolled: 1-line block ×4, first 2 shown]
.LBB2087_106:
	s_or_b64 exec, exec, s[4:5]
	v_and_b32_e32 v6, 1, v6
	v_cmp_eq_u32_e32 vcc, 1, v6
	v_and_b32_e32 v6, 1, v8
	v_cmp_eq_u32_e64 s[4:5], 1, v6
	s_or_b64 s[4:5], vcc, s[4:5]
	v_cndmask_b32_e64 v6, 0, 1, s[4:5]
	buffer_store_byte v6, off, s[0:3], 0 offset:192
	buffer_load_dword v6, off, s[0:3], 0 offset:192
	s_waitcnt vmcnt(4)
	buffer_store_dword v3, off, s[0:3], 0 offset:180
	buffer_store_dword v2, off, s[0:3], 0 offset:176
	s_waitcnt vmcnt(4)
	buffer_store_dword v5, off, s[0:3], 0 offset:188
	buffer_store_dword v4, off, s[0:3], 0 offset:184
.LBB2087_107:
	s_or_b64 exec, exec, s[10:11]
	v_mov_b32_dpp v9, v2 row_shr:4 row_mask:0xf bank_mask:0xf
	s_waitcnt vmcnt(4)
	v_mov_b32_dpp v8, v6 row_shr:4 row_mask:0xf bank_mask:0xf
	v_cmp_lt_u32_e32 vcc, 3, v7
	v_mov_b32_dpp v14, v3 row_shr:4 row_mask:0xf bank_mask:0xf
	v_mov_b32_dpp v15, v4 row_shr:4 row_mask:0xf bank_mask:0xf
	;; [unrolled: 1-line block ×3, first 2 shown]
	buffer_store_dword v9, off, s[0:3], 0
	buffer_store_dword v14, off, s[0:3], 0 offset:4
	buffer_store_dword v15, off, s[0:3], 0 offset:8
	;; [unrolled: 1-line block ×4, first 2 shown]
	s_and_saveexec_b64 s[10:11], vcc
	s_cbranch_execz .LBB2087_115
; %bb.108:
	v_mov_b32_e32 v9, 0
	s_mov_b32 s12, 0
	v_cmp_eq_u16_sdwa s[14:15], v6, v9 src0_sel:BYTE_0 src1_sel:DWORD
	s_and_saveexec_b64 s[4:5], s[14:15]
	s_cbranch_execz .LBB2087_114
; %bb.109:
	v_mov_b32_e32 v2, 0x60
.LBB2087_110:                           ; =>This Inner Loop Header: Depth=1
	v_add_u32_e32 v3, s12, v2
	s_add_i32 s12, s12, 8
	s_cmp_lg_u32 s12, 16
	buffer_store_dword v9, v3, s[0:3], 0 offen offset:4
	buffer_store_dword v9, v3, s[0:3], 0 offen
	s_cbranch_scc1 .LBB2087_110
; %bb.111:
	s_mov_b32 s12, 0
	v_mov_b32_e32 v2, 0
	v_mov_b32_e32 v3, 0xb0
	;; [unrolled: 1-line block ×3, first 2 shown]
.LBB2087_112:                           ; =>This Inner Loop Header: Depth=1
	v_add_u32_e32 v5, s12, v2
	v_add_u32_e32 v9, s12, v3
	buffer_load_dword v14, v5, s[0:3], 0 offen offset:4
	buffer_load_dword v15, v9, s[0:3], 0 offen
	buffer_load_dword v16, v5, s[0:3], 0 offen
	buffer_load_dword v17, v9, s[0:3], 0 offen offset:4
                                        ; kill: killed $vgpr5
	v_add_u32_e32 v5, s12, v4
	s_add_i32 s12, s12, 8
	s_cmp_lg_u32 s12, 16
                                        ; kill: killed $vgpr9
	s_waitcnt vmcnt(1)
	v_add_u32_e32 v9, v15, v16
	s_waitcnt vmcnt(0)
	v_add_u32_e32 v14, v17, v14
	buffer_store_dword v14, v5, s[0:3], 0 offen offset:4
	buffer_store_dword v9, v5, s[0:3], 0 offen
	s_cbranch_scc1 .LBB2087_112
; %bb.113:
	buffer_load_dword v2, off, s[0:3], 0 offset:96
	buffer_load_dword v3, off, s[0:3], 0 offset:100
	;; [unrolled: 1-line block ×4, first 2 shown]
.LBB2087_114:
	s_or_b64 exec, exec, s[4:5]
	v_and_b32_e32 v6, 1, v6
	v_cmp_eq_u32_e32 vcc, 1, v6
	v_and_b32_e32 v6, 1, v8
	v_cmp_eq_u32_e64 s[4:5], 1, v6
	s_or_b64 s[4:5], vcc, s[4:5]
	v_cndmask_b32_e64 v6, 0, 1, s[4:5]
	buffer_store_byte v6, off, s[0:3], 0 offset:192
	buffer_load_dword v6, off, s[0:3], 0 offset:192
	s_waitcnt vmcnt(4)
	buffer_store_dword v3, off, s[0:3], 0 offset:180
	buffer_store_dword v2, off, s[0:3], 0 offset:176
	s_waitcnt vmcnt(4)
	buffer_store_dword v5, off, s[0:3], 0 offset:188
	buffer_store_dword v4, off, s[0:3], 0 offset:184
.LBB2087_115:
	s_or_b64 exec, exec, s[10:11]
	v_mov_b32_dpp v9, v2 row_shr:8 row_mask:0xf bank_mask:0xf
	s_waitcnt vmcnt(4)
	v_mov_b32_dpp v8, v6 row_shr:8 row_mask:0xf bank_mask:0xf
	v_cmp_lt_u32_e32 vcc, 7, v7
	v_mov_b32_dpp v14, v3 row_shr:8 row_mask:0xf bank_mask:0xf
	v_mov_b32_dpp v15, v4 row_shr:8 row_mask:0xf bank_mask:0xf
	;; [unrolled: 1-line block ×3, first 2 shown]
	buffer_store_dword v9, off, s[0:3], 0
	buffer_store_dword v14, off, s[0:3], 0 offset:4
	buffer_store_dword v15, off, s[0:3], 0 offset:8
	;; [unrolled: 1-line block ×4, first 2 shown]
	s_and_saveexec_b64 s[10:11], vcc
	s_cbranch_execz .LBB2087_123
; %bb.116:
	v_mov_b32_e32 v7, 0
	s_mov_b32 s12, 0
	v_cmp_eq_u16_sdwa s[14:15], v6, v7 src0_sel:BYTE_0 src1_sel:DWORD
	s_and_saveexec_b64 s[4:5], s[14:15]
	s_cbranch_execz .LBB2087_122
; %bb.117:
	v_mov_b32_e32 v2, 0x60
.LBB2087_118:                           ; =>This Inner Loop Header: Depth=1
	v_add_u32_e32 v3, s12, v2
	s_add_i32 s12, s12, 8
	s_cmp_lg_u32 s12, 16
	buffer_store_dword v7, v3, s[0:3], 0 offen offset:4
	buffer_store_dword v7, v3, s[0:3], 0 offen
	s_cbranch_scc1 .LBB2087_118
; %bb.119:
	s_mov_b32 s12, 0
	v_mov_b32_e32 v2, 0
	v_mov_b32_e32 v3, 0xb0
	;; [unrolled: 1-line block ×3, first 2 shown]
.LBB2087_120:                           ; =>This Inner Loop Header: Depth=1
	v_add_u32_e32 v5, s12, v2
	v_add_u32_e32 v7, s12, v3
	buffer_load_dword v9, v5, s[0:3], 0 offen offset:4
	buffer_load_dword v14, v7, s[0:3], 0 offen
	buffer_load_dword v15, v5, s[0:3], 0 offen
	buffer_load_dword v16, v7, s[0:3], 0 offen offset:4
                                        ; kill: killed $vgpr5
	v_add_u32_e32 v5, s12, v4
	s_add_i32 s12, s12, 8
	s_cmp_lg_u32 s12, 16
                                        ; kill: killed $vgpr7
	s_waitcnt vmcnt(1)
	v_add_u32_e32 v7, v14, v15
	s_waitcnt vmcnt(0)
	v_add_u32_e32 v9, v16, v9
	buffer_store_dword v9, v5, s[0:3], 0 offen offset:4
	buffer_store_dword v7, v5, s[0:3], 0 offen
	s_cbranch_scc1 .LBB2087_120
; %bb.121:
	buffer_load_dword v2, off, s[0:3], 0 offset:96
	buffer_load_dword v3, off, s[0:3], 0 offset:100
	;; [unrolled: 1-line block ×4, first 2 shown]
.LBB2087_122:
	s_or_b64 exec, exec, s[4:5]
	v_and_b32_e32 v6, 1, v6
	v_cmp_eq_u32_e32 vcc, 1, v6
	v_and_b32_e32 v6, 1, v8
	v_cmp_eq_u32_e64 s[4:5], 1, v6
	s_or_b64 s[4:5], vcc, s[4:5]
	v_cndmask_b32_e64 v6, 0, 1, s[4:5]
	buffer_store_byte v6, off, s[0:3], 0 offset:192
	buffer_load_dword v6, off, s[0:3], 0 offset:192
	s_waitcnt vmcnt(4)
	buffer_store_dword v3, off, s[0:3], 0 offset:180
	buffer_store_dword v2, off, s[0:3], 0 offset:176
	s_waitcnt vmcnt(4)
	buffer_store_dword v5, off, s[0:3], 0 offset:188
	buffer_store_dword v4, off, s[0:3], 0 offset:184
.LBB2087_123:
	s_or_b64 exec, exec, s[10:11]
	v_mov_b32_dpp v8, v2 row_bcast:15 row_mask:0xf bank_mask:0xf
	v_mov_b32_dpp v9, v3 row_bcast:15 row_mask:0xf bank_mask:0xf
	;; [unrolled: 1-line block ×4, first 2 shown]
	s_waitcnt vmcnt(4)
	v_mov_b32_dpp v7, v6 row_bcast:15 row_mask:0xf bank_mask:0xf
	buffer_store_dword v8, off, s[0:3], 0
	buffer_store_dword v9, off, s[0:3], 0 offset:4
	buffer_store_dword v14, off, s[0:3], 0 offset:8
	;; [unrolled: 1-line block ×4, first 2 shown]
	v_and_b32_e32 v8, 16, v1
	v_cmp_ne_u32_e32 vcc, 0, v8
	s_and_saveexec_b64 s[10:11], vcc
	s_cbranch_execz .LBB2087_131
; %bb.124:
	v_mov_b32_e32 v8, 0
	s_mov_b32 s12, 0
	v_cmp_eq_u16_sdwa s[14:15], v6, v8 src0_sel:BYTE_0 src1_sel:DWORD
	s_and_saveexec_b64 s[4:5], s[14:15]
	s_cbranch_execz .LBB2087_130
; %bb.125:
	v_mov_b32_e32 v2, 0x60
.LBB2087_126:                           ; =>This Inner Loop Header: Depth=1
	v_add_u32_e32 v3, s12, v2
	s_add_i32 s12, s12, 8
	s_cmp_lg_u32 s12, 16
	buffer_store_dword v8, v3, s[0:3], 0 offen offset:4
	buffer_store_dword v8, v3, s[0:3], 0 offen
	s_cbranch_scc1 .LBB2087_126
; %bb.127:
	s_mov_b32 s12, 0
	v_mov_b32_e32 v2, 0
	v_mov_b32_e32 v3, 0xb0
	;; [unrolled: 1-line block ×3, first 2 shown]
.LBB2087_128:                           ; =>This Inner Loop Header: Depth=1
	v_add_u32_e32 v5, s12, v2
	v_add_u32_e32 v8, s12, v3
	buffer_load_dword v9, v5, s[0:3], 0 offen offset:4
	buffer_load_dword v14, v8, s[0:3], 0 offen
	buffer_load_dword v15, v5, s[0:3], 0 offen
	buffer_load_dword v16, v8, s[0:3], 0 offen offset:4
                                        ; kill: killed $vgpr5
	v_add_u32_e32 v5, s12, v4
	s_add_i32 s12, s12, 8
	s_cmp_lg_u32 s12, 16
                                        ; kill: killed $vgpr8
	s_waitcnt vmcnt(1)
	v_add_u32_e32 v8, v14, v15
	s_waitcnt vmcnt(0)
	v_add_u32_e32 v9, v16, v9
	buffer_store_dword v9, v5, s[0:3], 0 offen offset:4
	buffer_store_dword v8, v5, s[0:3], 0 offen
	s_cbranch_scc1 .LBB2087_128
; %bb.129:
	buffer_load_dword v2, off, s[0:3], 0 offset:96
	buffer_load_dword v3, off, s[0:3], 0 offset:100
	;; [unrolled: 1-line block ×4, first 2 shown]
.LBB2087_130:
	s_or_b64 exec, exec, s[4:5]
	v_and_b32_e32 v6, 1, v6
	v_cmp_eq_u32_e32 vcc, 1, v6
	v_and_b32_e32 v6, 1, v7
	v_cmp_eq_u32_e64 s[4:5], 1, v6
	s_or_b64 s[4:5], vcc, s[4:5]
	v_cndmask_b32_e64 v6, 0, 1, s[4:5]
	buffer_store_byte v6, off, s[0:3], 0 offset:192
	buffer_load_dword v6, off, s[0:3], 0 offset:192
	s_waitcnt vmcnt(4)
	buffer_store_dword v3, off, s[0:3], 0 offset:180
	buffer_store_dword v2, off, s[0:3], 0 offset:176
	s_waitcnt vmcnt(4)
	buffer_store_dword v5, off, s[0:3], 0 offset:188
	buffer_store_dword v4, off, s[0:3], 0 offset:184
.LBB2087_131:
	s_or_b64 exec, exec, s[10:11]
	v_mov_b32_dpp v8, v2 row_bcast:31 row_mask:0xf bank_mask:0xf
	s_waitcnt vmcnt(4)
	v_mov_b32_dpp v7, v6 row_bcast:31 row_mask:0xf bank_mask:0xf
	v_cmp_lt_u32_e32 vcc, 31, v1
	v_mov_b32_dpp v9, v3 row_bcast:31 row_mask:0xf bank_mask:0xf
	v_mov_b32_dpp v14, v4 row_bcast:31 row_mask:0xf bank_mask:0xf
	;; [unrolled: 1-line block ×3, first 2 shown]
	buffer_store_dword v8, off, s[0:3], 0
	buffer_store_dword v9, off, s[0:3], 0 offset:4
	buffer_store_dword v14, off, s[0:3], 0 offset:8
	buffer_store_dword v15, off, s[0:3], 0 offset:12
	buffer_store_dword v7, off, s[0:3], 0 offset:16
	s_and_saveexec_b64 s[10:11], vcc
	s_cbranch_execz .LBB2087_139
; %bb.132:
	v_mov_b32_e32 v8, 0
	s_mov_b32 s12, 0
	v_cmp_eq_u16_sdwa s[14:15], v6, v8 src0_sel:BYTE_0 src1_sel:DWORD
	s_and_saveexec_b64 s[4:5], s[14:15]
	s_cbranch_execz .LBB2087_138
; %bb.133:
	v_mov_b32_e32 v2, 0x60
.LBB2087_134:                           ; =>This Inner Loop Header: Depth=1
	v_add_u32_e32 v3, s12, v2
	s_add_i32 s12, s12, 8
	s_cmp_lg_u32 s12, 16
	buffer_store_dword v8, v3, s[0:3], 0 offen offset:4
	buffer_store_dword v8, v3, s[0:3], 0 offen
	s_cbranch_scc1 .LBB2087_134
; %bb.135:
	s_mov_b32 s12, 0
	v_mov_b32_e32 v2, 0
	v_mov_b32_e32 v3, 0xb0
	;; [unrolled: 1-line block ×3, first 2 shown]
.LBB2087_136:                           ; =>This Inner Loop Header: Depth=1
	v_add_u32_e32 v5, s12, v2
	v_add_u32_e32 v8, s12, v3
	buffer_load_dword v9, v5, s[0:3], 0 offen offset:4
	buffer_load_dword v14, v8, s[0:3], 0 offen
	buffer_load_dword v15, v5, s[0:3], 0 offen
	buffer_load_dword v16, v8, s[0:3], 0 offen offset:4
                                        ; kill: killed $vgpr5
	v_add_u32_e32 v5, s12, v4
	s_add_i32 s12, s12, 8
	s_cmp_lg_u32 s12, 16
                                        ; kill: killed $vgpr8
	s_waitcnt vmcnt(1)
	v_add_u32_e32 v8, v14, v15
	s_waitcnt vmcnt(0)
	v_add_u32_e32 v9, v16, v9
	buffer_store_dword v9, v5, s[0:3], 0 offen offset:4
	buffer_store_dword v8, v5, s[0:3], 0 offen
	s_cbranch_scc1 .LBB2087_136
; %bb.137:
	buffer_load_dword v2, off, s[0:3], 0 offset:96
	buffer_load_dword v3, off, s[0:3], 0 offset:100
	;; [unrolled: 1-line block ×4, first 2 shown]
.LBB2087_138:
	s_or_b64 exec, exec, s[4:5]
	v_and_b32_e32 v6, 1, v6
	v_cmp_eq_u32_e32 vcc, 1, v6
	v_and_b32_e32 v6, 1, v7
	v_cmp_eq_u32_e64 s[4:5], 1, v6
	s_or_b64 s[4:5], vcc, s[4:5]
	v_cndmask_b32_e64 v6, 0, 1, s[4:5]
	s_waitcnt vmcnt(2)
	buffer_store_dword v3, off, s[0:3], 0 offset:180
	buffer_store_dword v2, off, s[0:3], 0 offset:176
	s_waitcnt vmcnt(2)
	buffer_store_dword v5, off, s[0:3], 0 offset:188
	buffer_store_dword v4, off, s[0:3], 0 offset:184
	buffer_store_byte v6, off, s[0:3], 0 offset:192
.LBB2087_139:
	s_or_b64 exec, exec, s[10:11]
	v_or_b32_e32 v8, 63, v0
	v_lshrrev_b32_e32 v7, 6, v0
	v_cmp_eq_u32_e32 vcc, v8, v0
	s_and_saveexec_b64 s[4:5], vcc
	s_cbranch_execz .LBB2087_141
; %bb.140:
	v_mul_u32_u24_e32 v8, 20, v7
	ds_write2_b32 v8, v2, v3 offset1:1
	ds_write2_b32 v8, v4, v5 offset0:2 offset1:3
	ds_write_b8 v8, v6 offset:16
.LBB2087_141:
	s_or_b64 exec, exec, s[4:5]
	v_cmp_gt_u32_e32 vcc, 4, v0
	s_waitcnt lgkmcnt(0)
	s_barrier
	s_and_saveexec_b64 s[10:11], vcc
	s_cbranch_execz .LBB2087_159
; %bb.142:
	v_mul_u32_u24_e32 v6, 20, v0
	ds_read_b32 v8, v6 offset:16
	ds_read2_b32 v[2:3], v6 offset0:2 offset1:3
	ds_read2_b32 v[4:5], v6 offset1:1
	v_and_b32_e32 v9, 3, v1
	v_cmp_ne_u32_e32 vcc, 0, v9
	s_waitcnt lgkmcnt(2)
	v_mov_b32_dpp v14, v8 row_shr:1 row_mask:0xf bank_mask:0xf
	s_waitcnt lgkmcnt(1)
	v_mov_b32_dpp v17, v2 row_shr:1 row_mask:0xf bank_mask:0xf
	;; [unrolled: 2-line block ×3, first 2 shown]
	buffer_store_dword v8, off, s[0:3], 0 offset:112
	buffer_store_dword v3, off, s[0:3], 0 offset:108
	buffer_store_dword v2, off, s[0:3], 0 offset:104
	buffer_store_dword v5, off, s[0:3], 0 offset:100
	buffer_store_dword v4, off, s[0:3], 0 offset:96
	v_mov_b32_dpp v16, v5 row_shr:1 row_mask:0xf bank_mask:0xf
	v_mov_b32_dpp v18, v3 row_shr:1 row_mask:0xf bank_mask:0xf
	buffer_store_dword v15, off, s[0:3], 0
	buffer_store_dword v16, off, s[0:3], 0 offset:4
	buffer_store_dword v17, off, s[0:3], 0 offset:8
	;; [unrolled: 1-line block ×4, first 2 shown]
	s_and_saveexec_b64 s[4:5], vcc
	s_cbranch_execz .LBB2087_150
; %bb.143:
	v_mov_b32_e32 v15, 0
	v_cmp_eq_u16_sdwa s[14:15], v8, v15 src0_sel:BYTE_0 src1_sel:DWORD
	s_and_saveexec_b64 s[12:13], s[14:15]
	s_cbranch_execz .LBB2087_149
; %bb.144:
	s_mov_b32 s14, 0
	v_mov_b32_e32 v2, 0x74
.LBB2087_145:                           ; =>This Inner Loop Header: Depth=1
	v_add_u32_e32 v3, s14, v2
	s_add_i32 s14, s14, 8
	s_cmp_lg_u32 s14, 16
	buffer_store_dword v15, v3, s[0:3], 0 offen offset:4
	buffer_store_dword v15, v3, s[0:3], 0 offen
	s_cbranch_scc1 .LBB2087_145
; %bb.146:
	s_mov_b32 s14, 0
	v_mov_b32_e32 v2, 0
	v_mov_b32_e32 v3, 0x60
	;; [unrolled: 1-line block ×3, first 2 shown]
.LBB2087_147:                           ; =>This Inner Loop Header: Depth=1
	v_add_u32_e32 v5, s14, v2
	v_add_u32_e32 v15, s14, v3
	buffer_load_dword v16, v5, s[0:3], 0 offen offset:4
	buffer_load_dword v17, v15, s[0:3], 0 offen
	buffer_load_dword v18, v5, s[0:3], 0 offen
	buffer_load_dword v19, v15, s[0:3], 0 offen offset:4
                                        ; kill: killed $vgpr5
	v_add_u32_e32 v5, s14, v4
	s_add_i32 s14, s14, 8
	s_cmp_lg_u32 s14, 16
                                        ; kill: killed $vgpr15
	s_waitcnt vmcnt(1)
	v_add_u32_e32 v15, v17, v18
	s_waitcnt vmcnt(0)
	v_add_u32_e32 v16, v19, v16
	buffer_store_dword v16, v5, s[0:3], 0 offen offset:4
	buffer_store_dword v15, v5, s[0:3], 0 offen
	s_cbranch_scc1 .LBB2087_147
; %bb.148:
	buffer_load_dword v4, off, s[0:3], 0 offset:116
	buffer_load_dword v5, off, s[0:3], 0 offset:120
	buffer_load_dword v2, off, s[0:3], 0 offset:124
	buffer_load_dword v3, off, s[0:3], 0 offset:128
.LBB2087_149:
	s_or_b64 exec, exec, s[12:13]
	v_or_b32_e32 v8, v14, v8
	v_and_b32_e32 v8, 1, v8
	buffer_store_byte v8, off, s[0:3], 0 offset:112
	buffer_load_dword v8, off, s[0:3], 0 offset:112
	s_waitcnt vmcnt(4)
	buffer_store_dword v5, off, s[0:3], 0 offset:100
	buffer_store_dword v4, off, s[0:3], 0 offset:96
	s_waitcnt vmcnt(4)
	buffer_store_dword v3, off, s[0:3], 0 offset:108
	buffer_store_dword v2, off, s[0:3], 0 offset:104
.LBB2087_150:
	s_or_b64 exec, exec, s[4:5]
	v_mov_b32_dpp v15, v4 row_shr:2 row_mask:0xf bank_mask:0xf
	s_waitcnt vmcnt(4)
	v_mov_b32_dpp v14, v8 row_shr:2 row_mask:0xf bank_mask:0xf
	v_cmp_lt_u32_e32 vcc, 1, v9
	v_mov_b32_dpp v16, v5 row_shr:2 row_mask:0xf bank_mask:0xf
	v_mov_b32_dpp v17, v2 row_shr:2 row_mask:0xf bank_mask:0xf
	;; [unrolled: 1-line block ×3, first 2 shown]
	buffer_store_dword v15, off, s[0:3], 0
	buffer_store_dword v16, off, s[0:3], 0 offset:4
	buffer_store_dword v17, off, s[0:3], 0 offset:8
	;; [unrolled: 1-line block ×4, first 2 shown]
	s_and_saveexec_b64 s[12:13], vcc
	s_cbranch_execz .LBB2087_158
; %bb.151:
	v_mov_b32_e32 v9, 0
	s_mov_b32 s14, 0
	v_cmp_eq_u16_sdwa s[16:17], v8, v9 src0_sel:BYTE_0 src1_sel:DWORD
	s_and_saveexec_b64 s[4:5], s[16:17]
	s_cbranch_execz .LBB2087_157
; %bb.152:
	v_mov_b32_e32 v2, 0x74
.LBB2087_153:                           ; =>This Inner Loop Header: Depth=1
	v_add_u32_e32 v3, s14, v2
	s_add_i32 s14, s14, 8
	s_cmp_lg_u32 s14, 16
	buffer_store_dword v9, v3, s[0:3], 0 offen offset:4
	buffer_store_dword v9, v3, s[0:3], 0 offen
	s_cbranch_scc1 .LBB2087_153
; %bb.154:
	s_mov_b32 s14, 0
	v_mov_b32_e32 v2, 0
	v_mov_b32_e32 v3, 0x60
	;; [unrolled: 1-line block ×3, first 2 shown]
.LBB2087_155:                           ; =>This Inner Loop Header: Depth=1
	v_add_u32_e32 v5, s14, v2
	v_add_u32_e32 v9, s14, v3
	buffer_load_dword v15, v5, s[0:3], 0 offen offset:4
	buffer_load_dword v16, v9, s[0:3], 0 offen
	buffer_load_dword v17, v5, s[0:3], 0 offen
	buffer_load_dword v18, v9, s[0:3], 0 offen offset:4
                                        ; kill: killed $vgpr5
	v_add_u32_e32 v5, s14, v4
	s_add_i32 s14, s14, 8
	s_cmp_lg_u32 s14, 16
                                        ; kill: killed $vgpr9
	s_waitcnt vmcnt(1)
	v_add_u32_e32 v9, v16, v17
	s_waitcnt vmcnt(0)
	v_add_u32_e32 v15, v18, v15
	buffer_store_dword v15, v5, s[0:3], 0 offen offset:4
	buffer_store_dword v9, v5, s[0:3], 0 offen
	s_cbranch_scc1 .LBB2087_155
; %bb.156:
	buffer_load_dword v4, off, s[0:3], 0 offset:116
	buffer_load_dword v5, off, s[0:3], 0 offset:120
	;; [unrolled: 1-line block ×4, first 2 shown]
.LBB2087_157:
	s_or_b64 exec, exec, s[4:5]
	v_and_b32_e32 v8, 1, v8
	v_cmp_eq_u32_e32 vcc, 1, v8
	v_and_b32_e32 v8, 1, v14
	v_cmp_eq_u32_e64 s[4:5], 1, v8
	s_or_b64 s[4:5], vcc, s[4:5]
	v_cndmask_b32_e64 v8, 0, 1, s[4:5]
	s_waitcnt vmcnt(2)
	buffer_store_dword v5, off, s[0:3], 0 offset:100
	buffer_store_dword v4, off, s[0:3], 0 offset:96
	s_waitcnt vmcnt(2)
	buffer_store_dword v3, off, s[0:3], 0 offset:108
	buffer_store_dword v2, off, s[0:3], 0 offset:104
.LBB2087_158:
	s_or_b64 exec, exec, s[12:13]
	buffer_load_dword v2, off, s[0:3], 0 offset:104
	buffer_load_dword v3, off, s[0:3], 0 offset:108
	;; [unrolled: 1-line block ×4, first 2 shown]
	s_waitcnt vmcnt(2)
	ds_write2_b32 v6, v2, v3 offset0:2 offset1:3
	s_waitcnt vmcnt(0)
	ds_write2_b32 v6, v4, v5 offset1:1
	ds_write_b8 v6, v8 offset:16
.LBB2087_159:
	s_or_b64 exec, exec, s[10:11]
	v_mov_b32_e32 v2, 0
	s_mov_b32 s4, 0
	v_mov_b32_e32 v3, 0
	s_waitcnt lgkmcnt(0)
	s_barrier
	buffer_store_dword v2, off, s[0:3], 0 offset:12
	buffer_store_dword v2, off, s[0:3], 0 offset:8
	;; [unrolled: 1-line block ×3, first 2 shown]
	buffer_store_dword v2, off, s[0:3], 0
	buffer_store_dword v2, off, s[0:3], 0 offset:16
.LBB2087_160:                           ; =>This Inner Loop Header: Depth=1
	v_add_u32_e32 v4, s4, v3
	s_add_i32 s4, s4, 8
	s_cmp_lg_u32 s4, 16
	buffer_store_dword v2, v4, s[0:3], 0 offen offset:4
	buffer_store_dword v2, v4, s[0:3], 0 offen
	s_cbranch_scc1 .LBB2087_160
; %bb.161:
	v_cmp_gt_u32_e32 vcc, 64, v0
	v_cmp_lt_u32_e64 s[4:5], 63, v0
                                        ; implicit-def: $vgpr2_vgpr3
                                        ; implicit-def: $vgpr4_vgpr5
                                        ; implicit-def: $vgpr6
	s_and_saveexec_b64 s[10:11], s[4:5]
	s_xor_b64 s[10:11], exec, s[10:11]
	s_cbranch_execz .LBB2087_171
; %bb.162:
	buffer_load_ubyte v8, off, s[0:3], 0 offset:192
	v_not_b32_e32 v2, 19
	v_mad_u32_u24 v4, v7, 20, v2
	ds_read2_b32 v[2:3], v4 offset0:2 offset1:3
	ds_read_u8 v6, v4 offset:16
	ds_read2_b32 v[4:5], v4 offset1:1
	s_waitcnt lgkmcnt(2)
	buffer_store_dword v3, off, s[0:3], 0 offset:12
	buffer_store_dword v2, off, s[0:3], 0 offset:8
	s_waitcnt lgkmcnt(0)
	buffer_store_dword v5, off, s[0:3], 0 offset:4
	buffer_store_dword v4, off, s[0:3], 0
                                        ; implicit-def: $vgpr2_vgpr3
                                        ; implicit-def: $vgpr4_vgpr5
	s_waitcnt vmcnt(4)
	v_cmp_ne_u16_e64 s[4:5], 0, v8
	s_and_saveexec_b64 s[12:13], s[4:5]
	s_xor_b64 s[4:5], exec, s[12:13]
	s_cbranch_execz .LBB2087_164
; %bb.163:
	buffer_load_dword v2, off, s[0:3], 0 offset:176
	buffer_load_dword v3, off, s[0:3], 0 offset:180
	;; [unrolled: 1-line block ×4, first 2 shown]
.LBB2087_164:
	s_andn2_saveexec_b64 s[4:5], s[4:5]
	s_cbranch_execz .LBB2087_170
; %bb.165:
	s_mov_b32 s12, 0
	s_waitcnt vmcnt(3)
	v_mov_b32_e32 v2, 0x60
	s_waitcnt vmcnt(2)
	v_mov_b32_e32 v3, 0
	s_waitcnt vmcnt(0)
.LBB2087_166:                           ; =>This Inner Loop Header: Depth=1
	v_add_u32_e32 v4, s12, v2
	s_add_i32 s12, s12, 8
	s_cmp_lg_u32 s12, 16
	buffer_store_dword v3, v4, s[0:3], 0 offen offset:4
	buffer_store_dword v3, v4, s[0:3], 0 offen
	s_cbranch_scc1 .LBB2087_166
; %bb.167:
	s_mov_b32 s12, 0
	v_mov_b32_e32 v2, 0
	v_mov_b32_e32 v3, 0xb0
	v_mov_b32_e32 v4, 0x60
.LBB2087_168:                           ; =>This Inner Loop Header: Depth=1
	v_add_u32_e32 v5, s12, v2
	v_add_u32_e32 v7, s12, v3
	buffer_load_dword v9, v5, s[0:3], 0 offen offset:4
	buffer_load_dword v14, v7, s[0:3], 0 offen
	buffer_load_dword v15, v5, s[0:3], 0 offen
	buffer_load_dword v16, v7, s[0:3], 0 offen offset:4
                                        ; kill: killed $vgpr5
	v_add_u32_e32 v5, s12, v4
	s_add_i32 s12, s12, 8
	s_cmp_lg_u32 s12, 16
                                        ; kill: killed $vgpr7
	s_waitcnt vmcnt(1)
	v_add_u32_e32 v7, v14, v15
	s_waitcnt vmcnt(0)
	v_add_u32_e32 v9, v16, v9
	buffer_store_dword v9, v5, s[0:3], 0 offen offset:4
	buffer_store_dword v7, v5, s[0:3], 0 offen
	s_cbranch_scc1 .LBB2087_168
; %bb.169:
	buffer_load_dword v2, off, s[0:3], 0 offset:96
	buffer_load_dword v3, off, s[0:3], 0 offset:100
	;; [unrolled: 1-line block ×4, first 2 shown]
.LBB2087_170:
	s_or_b64 exec, exec, s[4:5]
	v_or_b32_e32 v7, v8, v6
	v_and_b32_e32 v7, 1, v7
	buffer_store_byte v7, off, s[0:3], 0 offset:192
.LBB2087_171:
	s_andn2_saveexec_b64 s[4:5], s[10:11]
	s_cbranch_execz .LBB2087_173
; %bb.172:
	buffer_load_dword v2, off, s[0:3], 0 offset:176
	buffer_load_dword v3, off, s[0:3], 0 offset:180
	;; [unrolled: 1-line block ×4, first 2 shown]
	v_mov_b32_e32 v6, 0
.LBB2087_173:
	s_or_b64 exec, exec, s[4:5]
	buffer_load_dword v7, off, s[0:3], 0 offset:192
	v_add_u32_e32 v8, -1, v1
	v_and_b32_e32 v9, 64, v1
	v_cmp_lt_i32_e64 s[4:5], v8, v9
	v_cndmask_b32_e64 v8, v8, v1, s[4:5]
	v_lshlrev_b32_e32 v8, 2, v8
	s_waitcnt vmcnt(4)
	ds_bpermute_b32 v2, v8, v2
	s_waitcnt vmcnt(3)
	ds_bpermute_b32 v3, v8, v3
	;; [unrolled: 2-line block ×4, first 2 shown]
	v_cmp_eq_u32_e64 s[10:11], 0, v1
	s_waitcnt vmcnt(0)
	ds_bpermute_b32 v7, v8, v7
	s_waitcnt lgkmcnt(4)
	buffer_store_dword v2, off, s[0:3], 0 offset:176
	s_waitcnt lgkmcnt(3)
	buffer_store_dword v3, off, s[0:3], 0 offset:180
	;; [unrolled: 2-line block ×4, first 2 shown]
	s_waitcnt lgkmcnt(0)
	buffer_store_byte v7, off, s[0:3], 0 offset:192
	s_and_saveexec_b64 s[4:5], s[10:11]
	s_cbranch_execz .LBB2087_175
; %bb.174:
	buffer_load_dword v2, off, s[0:3], 0 offset:12
	buffer_load_dword v3, off, s[0:3], 0 offset:8
	;; [unrolled: 1-line block ×3, first 2 shown]
	buffer_load_dword v5, off, s[0:3], 0
	s_waitcnt vmcnt(3)
	buffer_store_dword v2, off, s[0:3], 0 offset:188
	s_waitcnt vmcnt(3)
	buffer_store_dword v3, off, s[0:3], 0 offset:184
	;; [unrolled: 2-line block ×4, first 2 shown]
	buffer_store_byte v6, off, s[0:3], 0 offset:192
.LBB2087_175:
	s_or_b64 exec, exec, s[4:5]
	s_and_saveexec_b64 s[12:13], vcc
	s_cbranch_execz .LBB2087_320
; %bb.176:
	v_mov_b32_e32 v6, 0
	ds_read2_b32 v[2:3], v6 offset0:15 offset1:16
	ds_read2_b32 v[4:5], v6 offset0:17 offset1:18
	ds_read_b32 v7, v6 offset:76
	s_waitcnt lgkmcnt(2)
	buffer_store_dword v3, off, s[0:3], 0 offset:160
	buffer_store_dword v2, off, s[0:3], 0 offset:156
	s_waitcnt lgkmcnt(1)
	buffer_store_dword v5, off, s[0:3], 0 offset:168
	buffer_store_dword v4, off, s[0:3], 0 offset:164
	s_waitcnt lgkmcnt(0)
	buffer_store_dword v7, off, s[0:3], 0 offset:172
	s_and_saveexec_b64 s[4:5], s[10:11]
	s_cbranch_execz .LBB2087_178
; %bb.177:
	s_add_i32 s16, s33, 64
	s_mul_i32 s14, s16, 20
	s_mul_hi_u32 s15, s16, 20
	s_add_u32 s14, s20, s14
	s_addc_u32 s15, s21, s15
	global_store_dwordx4 v6, v[2:5], s[14:15]
	global_store_byte v6, v7, s[14:15] offset:16
	v_mov_b32_e32 v2, s16
	v_mov_b32_e32 v3, 1
	s_waitcnt vmcnt(0)
	buffer_wbinvl1_vol
	global_store_byte v2, v3, s[24:25]
.LBB2087_178:
	s_or_b64 exec, exec, s[4:5]
	s_mov_b32 s4, 0
	v_mov_b32_e32 v2, 0x88
	buffer_store_dword v6, off, s[0:3], 0 offset:148
	buffer_store_dword v6, off, s[0:3], 0 offset:144
	;; [unrolled: 1-line block ×5, first 2 shown]
.LBB2087_179:                           ; =>This Inner Loop Header: Depth=1
	v_add_u32_e32 v3, s4, v2
	s_add_i32 s4, s4, 8
	s_cmp_lg_u32 s4, 16
	buffer_store_dword v6, v3, s[0:3], 0 offen offset:4
	buffer_store_dword v6, v3, s[0:3], 0 offen
	s_cbranch_scc1 .LBB2087_179
; %bb.180:
	s_mov_b32 s4, 0
	v_mov_b32_e32 v2, 0
	v_mov_b32_e32 v3, 0x60
	buffer_store_byte v2, off, s[0:3], 0 offset:152
	buffer_store_dword v2, off, s[0:3], 0 offset:108
	buffer_store_dword v2, off, s[0:3], 0 offset:104
	;; [unrolled: 1-line block ×5, first 2 shown]
.LBB2087_181:                           ; =>This Inner Loop Header: Depth=1
	v_add_u32_e32 v4, s4, v3
	s_add_i32 s4, s4, 8
	s_cmp_lg_u32 s4, 16
	buffer_store_dword v2, v4, s[0:3], 0 offen offset:4
	buffer_store_dword v2, v4, s[0:3], 0 offen
	s_cbranch_scc1 .LBB2087_181
; %bb.182:
	v_xad_u32 v6, v1, -1, s33
	v_mov_b32_e32 v2, 0
	buffer_store_byte v2, off, s[0:3], 0 offset:112
	v_add_u32_e32 v2, 64, v6
	global_load_ubyte v7, v2, s[24:25] glc
	s_waitcnt vmcnt(0)
	v_cmp_eq_u16_e32 vcc, 0, v7
	s_and_saveexec_b64 s[4:5], vcc
	s_cbranch_execz .LBB2087_188
; %bb.183:
	v_mov_b32_e32 v3, s25
	v_add_co_u32_e32 v4, vcc, s24, v2
	v_addc_co_u32_e32 v5, vcc, 0, v3, vcc
	s_mov_b32 s16, 1
	s_mov_b64 s[14:15], 0
.LBB2087_184:                           ; =>This Loop Header: Depth=1
                                        ;     Child Loop BB2087_185 Depth 2
	s_max_u32 s17, s16, 1
.LBB2087_185:                           ;   Parent Loop BB2087_184 Depth=1
                                        ; =>  This Inner Loop Header: Depth=2
	s_add_i32 s17, s17, -1
	s_cmp_eq_u32 s17, 0
	s_sleep 1
	s_cbranch_scc0 .LBB2087_185
; %bb.186:                              ;   in Loop: Header=BB2087_184 Depth=1
	global_load_ubyte v7, v[4:5], off glc
	s_cmp_lt_u32 s16, 32
	s_cselect_b64 s[38:39], -1, 0
	s_cmp_lg_u64 s[38:39], 0
	s_addc_u32 s16, s16, 0
	s_waitcnt vmcnt(0)
	v_cmp_ne_u16_e32 vcc, 0, v7
	s_or_b64 s[14:15], vcc, s[14:15]
	s_andn2_b64 exec, exec, s[14:15]
	s_cbranch_execnz .LBB2087_184
; %bb.187:
	s_or_b64 exec, exec, s[14:15]
.LBB2087_188:
	s_or_b64 exec, exec, s[4:5]
	v_mov_b32_e32 v3, s23
	v_mov_b32_e32 v4, s21
	v_cmp_eq_u16_e32 vcc, 1, v7
	v_cndmask_b32_e32 v5, v3, v4, vcc
	v_mov_b32_e32 v3, s22
	v_mov_b32_e32 v4, s20
	v_cndmask_b32_e32 v4, v3, v4, vcc
	v_mad_u64_u32 v[8:9], s[4:5], v2, 20, v[4:5]
	buffer_wbinvl1_vol
	global_load_dwordx4 v[2:5], v[8:9], off
	global_load_ubyte v14, v[8:9], off offset:16
                                        ; kill: killed $vgpr8_vgpr9
	v_mov_b32_e32 v8, 0
	s_mov_b32 s4, 0
	v_mov_b32_e32 v9, 0
	buffer_store_dword v8, off, s[0:3], 0 offset:16
	s_waitcnt vmcnt(2)
	buffer_store_dword v5, off, s[0:3], 0 offset:108
	buffer_store_dword v4, off, s[0:3], 0 offset:104
	;; [unrolled: 1-line block ×4, first 2 shown]
	s_waitcnt vmcnt(5)
	buffer_store_byte v14, off, s[0:3], 0 offset:112
	buffer_store_dword v3, off, s[0:3], 0 offset:140
	buffer_store_dword v2, off, s[0:3], 0 offset:136
	;; [unrolled: 1-line block ×4, first 2 shown]
	buffer_store_byte v14, off, s[0:3], 0 offset:152
.LBB2087_189:                           ; =>This Inner Loop Header: Depth=1
	v_add_u32_e32 v14, s4, v9
	s_add_i32 s4, s4, 8
	s_cmp_lg_u32 s4, 16
	buffer_store_dword v8, v14, s[0:3], 0 offen offset:4
	buffer_store_dword v8, v14, s[0:3], 0 offen
	s_cbranch_scc1 .LBB2087_189
; %bb.190:
	buffer_load_dword v25, off, s[0:3], 0 offset:152
	v_lshlrev_b64 v[8:9], v1, -1
	v_cmp_eq_u16_e32 vcc, 2, v7
	v_and_b32_e32 v14, 63, v1
	v_and_b32_e32 v15, vcc_hi, v9
	v_and_b32_e32 v16, vcc_lo, v8
	v_cmp_ne_u32_e32 vcc, 63, v14
	v_addc_co_u32_e32 v17, vcc, 0, v1, vcc
	v_or_b32_e32 v18, 0x80000000, v15
	v_lshlrev_b32_e32 v15, 2, v17
	v_ffbl_b32_e32 v17, v18
	v_ffbl_b32_e32 v16, v16
	v_add_u32_e32 v17, 32, v17
	ds_bpermute_b32 v18, v15, v2
	v_min_u32_e32 v26, v16, v17
	ds_bpermute_b32 v19, v15, v3
	ds_bpermute_b32 v20, v15, v4
	;; [unrolled: 1-line block ×3, first 2 shown]
	v_cmp_lt_u32_e32 vcc, v14, v26
	s_waitcnt lgkmcnt(3)
	buffer_store_dword v18, off, s[0:3], 0
	s_waitcnt lgkmcnt(2)
	buffer_store_dword v19, off, s[0:3], 0 offset:4
	s_waitcnt lgkmcnt(1)
	buffer_store_dword v20, off, s[0:3], 0 offset:8
	;; [unrolled: 2-line block ×3, first 2 shown]
	s_waitcnt vmcnt(4)
	ds_bpermute_b32 v16, v15, v25
	s_and_saveexec_b64 s[4:5], vcc
	s_cbranch_execz .LBB2087_198
; %bb.191:
	v_mov_b32_e32 v17, 0
	v_cmp_eq_u16_sdwa s[16:17], v25, v17 src0_sel:BYTE_0 src1_sel:DWORD
	s_and_saveexec_b64 s[14:15], s[16:17]
	s_cbranch_execz .LBB2087_197
; %bb.192:
	s_mov_b32 s16, 0
	v_mov_b32_e32 v2, 0x74
.LBB2087_193:                           ; =>This Inner Loop Header: Depth=1
	v_add_u32_e32 v3, s16, v2
	s_add_i32 s16, s16, 8
	s_cmp_lg_u32 s16, 16
	buffer_store_dword v17, v3, s[0:3], 0 offen offset:4
	buffer_store_dword v17, v3, s[0:3], 0 offen
	s_cbranch_scc1 .LBB2087_193
; %bb.194:
	s_mov_b32 s16, 0
	v_mov_b32_e32 v2, 0
	v_mov_b32_e32 v3, 0x88
	;; [unrolled: 1-line block ×3, first 2 shown]
.LBB2087_195:                           ; =>This Inner Loop Header: Depth=1
	v_add_u32_e32 v5, s16, v2
	v_add_u32_e32 v17, s16, v3
	buffer_load_dword v18, v5, s[0:3], 0 offen offset:4
	buffer_load_dword v19, v17, s[0:3], 0 offen
	buffer_load_dword v20, v5, s[0:3], 0 offen
	buffer_load_dword v21, v17, s[0:3], 0 offen offset:4
                                        ; kill: killed $vgpr5
	v_add_u32_e32 v5, s16, v4
	s_add_i32 s16, s16, 8
	s_cmp_lg_u32 s16, 16
                                        ; kill: killed $vgpr17
	s_waitcnt vmcnt(1)
	v_add_u32_e32 v17, v19, v20
	s_waitcnt vmcnt(0)
	v_add_u32_e32 v18, v21, v18
	buffer_store_dword v18, v5, s[0:3], 0 offen offset:4
	buffer_store_dword v17, v5, s[0:3], 0 offen
	s_cbranch_scc1 .LBB2087_195
; %bb.196:
	buffer_load_dword v2, off, s[0:3], 0 offset:116
	buffer_load_dword v3, off, s[0:3], 0 offset:120
	buffer_load_dword v4, off, s[0:3], 0 offset:124
	buffer_load_dword v5, off, s[0:3], 0 offset:128
.LBB2087_197:
	s_or_b64 exec, exec, s[14:15]
	s_waitcnt lgkmcnt(0)
	v_or_b32_e32 v16, v16, v25
	v_and_b32_e32 v16, 1, v16
	buffer_store_byte v16, off, s[0:3], 0 offset:152
	buffer_load_dword v25, off, s[0:3], 0 offset:152
	s_waitcnt vmcnt(4)
	buffer_store_dword v3, off, s[0:3], 0 offset:140
	buffer_store_dword v2, off, s[0:3], 0 offset:136
	s_waitcnt vmcnt(4)
	buffer_store_dword v5, off, s[0:3], 0 offset:148
	buffer_store_dword v4, off, s[0:3], 0 offset:144
.LBB2087_198:
	s_or_b64 exec, exec, s[4:5]
	v_cmp_gt_u32_e32 vcc, 62, v14
	v_cndmask_b32_e64 v17, 0, 1, vcc
	v_lshlrev_b32_e32 v17, 1, v17
	v_add_lshl_u32 v17, v17, v1, 2
	ds_bpermute_b32 v19, v17, v2
	s_waitcnt vmcnt(4)
	ds_bpermute_b32 v18, v17, v25
	ds_bpermute_b32 v20, v17, v3
	;; [unrolled: 1-line block ×3, first 2 shown]
	s_waitcnt lgkmcnt(4)
	v_add_u32_e32 v16, 2, v14
	ds_bpermute_b32 v22, v17, v5
	v_cmp_le_u32_e32 vcc, v16, v26
	s_waitcnt lgkmcnt(4)
	buffer_store_dword v19, off, s[0:3], 0
	s_waitcnt lgkmcnt(2)
	buffer_store_dword v20, off, s[0:3], 0 offset:4
	s_waitcnt lgkmcnt(1)
	buffer_store_dword v21, off, s[0:3], 0 offset:8
	;; [unrolled: 2-line block ×3, first 2 shown]
	s_and_saveexec_b64 s[14:15], vcc
	s_cbranch_execz .LBB2087_206
; %bb.199:
	v_mov_b32_e32 v19, 0
	s_mov_b32 s16, 0
	v_cmp_eq_u16_sdwa s[38:39], v25, v19 src0_sel:BYTE_0 src1_sel:DWORD
	s_and_saveexec_b64 s[4:5], s[38:39]
	s_cbranch_execz .LBB2087_205
; %bb.200:
	v_mov_b32_e32 v2, 0x74
.LBB2087_201:                           ; =>This Inner Loop Header: Depth=1
	v_add_u32_e32 v3, s16, v2
	s_add_i32 s16, s16, 8
	s_cmp_lg_u32 s16, 16
	buffer_store_dword v19, v3, s[0:3], 0 offen offset:4
	buffer_store_dword v19, v3, s[0:3], 0 offen
	s_cbranch_scc1 .LBB2087_201
; %bb.202:
	s_mov_b32 s16, 0
	v_mov_b32_e32 v2, 0
	v_mov_b32_e32 v3, 0x88
	;; [unrolled: 1-line block ×3, first 2 shown]
.LBB2087_203:                           ; =>This Inner Loop Header: Depth=1
	v_add_u32_e32 v5, s16, v2
	v_add_u32_e32 v19, s16, v3
	buffer_load_dword v20, v5, s[0:3], 0 offen offset:4
	buffer_load_dword v21, v19, s[0:3], 0 offen
	buffer_load_dword v22, v5, s[0:3], 0 offen
	buffer_load_dword v23, v19, s[0:3], 0 offen offset:4
                                        ; kill: killed $vgpr5
	v_add_u32_e32 v5, s16, v4
	s_add_i32 s16, s16, 8
	s_cmp_lg_u32 s16, 16
                                        ; kill: killed $vgpr19
	s_waitcnt vmcnt(1)
	v_add_u32_e32 v19, v21, v22
	s_waitcnt vmcnt(0)
	v_add_u32_e32 v20, v23, v20
	buffer_store_dword v20, v5, s[0:3], 0 offen offset:4
	buffer_store_dword v19, v5, s[0:3], 0 offen
	s_cbranch_scc1 .LBB2087_203
; %bb.204:
	buffer_load_dword v2, off, s[0:3], 0 offset:116
	buffer_load_dword v3, off, s[0:3], 0 offset:120
	;; [unrolled: 1-line block ×4, first 2 shown]
.LBB2087_205:
	s_or_b64 exec, exec, s[4:5]
	v_and_b32_e32 v19, 1, v25
	v_and_b32_e32 v18, 1, v18
	v_cmp_eq_u32_e32 vcc, 1, v19
	v_cmp_eq_u32_e64 s[4:5], 1, v18
	s_or_b64 s[4:5], vcc, s[4:5]
	v_cndmask_b32_e64 v18, 0, 1, s[4:5]
	buffer_store_byte v18, off, s[0:3], 0 offset:152
	buffer_load_dword v25, off, s[0:3], 0 offset:152
	s_waitcnt vmcnt(4)
	buffer_store_dword v3, off, s[0:3], 0 offset:140
	buffer_store_dword v2, off, s[0:3], 0 offset:136
	s_waitcnt vmcnt(4)
	buffer_store_dword v5, off, s[0:3], 0 offset:148
	buffer_store_dword v4, off, s[0:3], 0 offset:144
.LBB2087_206:
	s_or_b64 exec, exec, s[14:15]
	v_cmp_gt_u32_e32 vcc, 60, v14
	v_cndmask_b32_e64 v19, 0, 1, vcc
	v_lshlrev_b32_e32 v19, 2, v19
	v_add_lshl_u32 v19, v19, v1, 2
	ds_bpermute_b32 v21, v19, v2
	s_waitcnt vmcnt(4)
	ds_bpermute_b32 v20, v19, v25
	ds_bpermute_b32 v22, v19, v3
	;; [unrolled: 1-line block ×3, first 2 shown]
	v_add_u32_e32 v18, 4, v14
	ds_bpermute_b32 v24, v19, v5
	v_cmp_le_u32_e32 vcc, v18, v26
	s_waitcnt lgkmcnt(4)
	buffer_store_dword v21, off, s[0:3], 0
	s_waitcnt lgkmcnt(2)
	buffer_store_dword v22, off, s[0:3], 0 offset:4
	s_waitcnt lgkmcnt(1)
	buffer_store_dword v23, off, s[0:3], 0 offset:8
	;; [unrolled: 2-line block ×3, first 2 shown]
	s_and_saveexec_b64 s[14:15], vcc
	s_cbranch_execz .LBB2087_214
; %bb.207:
	v_mov_b32_e32 v21, 0
	s_mov_b32 s16, 0
	v_cmp_eq_u16_sdwa s[38:39], v25, v21 src0_sel:BYTE_0 src1_sel:DWORD
	s_and_saveexec_b64 s[4:5], s[38:39]
	s_cbranch_execz .LBB2087_213
; %bb.208:
	v_mov_b32_e32 v2, 0x74
.LBB2087_209:                           ; =>This Inner Loop Header: Depth=1
	v_add_u32_e32 v3, s16, v2
	s_add_i32 s16, s16, 8
	s_cmp_lg_u32 s16, 16
	buffer_store_dword v21, v3, s[0:3], 0 offen offset:4
	buffer_store_dword v21, v3, s[0:3], 0 offen
	s_cbranch_scc1 .LBB2087_209
; %bb.210:
	s_mov_b32 s16, 0
	v_mov_b32_e32 v2, 0
	v_mov_b32_e32 v3, 0x88
	;; [unrolled: 1-line block ×3, first 2 shown]
.LBB2087_211:                           ; =>This Inner Loop Header: Depth=1
	v_add_u32_e32 v5, s16, v2
	v_add_u32_e32 v21, s16, v3
	buffer_load_dword v22, v5, s[0:3], 0 offen offset:4
	buffer_load_dword v23, v21, s[0:3], 0 offen
	buffer_load_dword v24, v5, s[0:3], 0 offen
	buffer_load_dword v27, v21, s[0:3], 0 offen offset:4
                                        ; kill: killed $vgpr5
	v_add_u32_e32 v5, s16, v4
	s_add_i32 s16, s16, 8
	s_cmp_lg_u32 s16, 16
                                        ; kill: killed $vgpr21
	s_waitcnt vmcnt(1)
	v_add_u32_e32 v21, v23, v24
	s_waitcnt vmcnt(0)
	v_add_u32_e32 v22, v27, v22
	buffer_store_dword v22, v5, s[0:3], 0 offen offset:4
	buffer_store_dword v21, v5, s[0:3], 0 offen
	s_cbranch_scc1 .LBB2087_211
; %bb.212:
	buffer_load_dword v2, off, s[0:3], 0 offset:116
	buffer_load_dword v3, off, s[0:3], 0 offset:120
	;; [unrolled: 1-line block ×4, first 2 shown]
.LBB2087_213:
	s_or_b64 exec, exec, s[4:5]
	v_and_b32_e32 v21, 1, v25
	v_and_b32_e32 v20, 1, v20
	v_cmp_eq_u32_e32 vcc, 1, v21
	v_cmp_eq_u32_e64 s[4:5], 1, v20
	s_or_b64 s[4:5], vcc, s[4:5]
	v_cndmask_b32_e64 v20, 0, 1, s[4:5]
	buffer_store_byte v20, off, s[0:3], 0 offset:152
	buffer_load_dword v25, off, s[0:3], 0 offset:152
	s_waitcnt vmcnt(4)
	buffer_store_dword v3, off, s[0:3], 0 offset:140
	buffer_store_dword v2, off, s[0:3], 0 offset:136
	s_waitcnt vmcnt(4)
	buffer_store_dword v5, off, s[0:3], 0 offset:148
	buffer_store_dword v4, off, s[0:3], 0 offset:144
.LBB2087_214:
	s_or_b64 exec, exec, s[14:15]
	v_cmp_gt_u32_e32 vcc, 56, v14
	v_cndmask_b32_e64 v21, 0, 1, vcc
	v_lshlrev_b32_e32 v21, 3, v21
	v_add_lshl_u32 v21, v21, v1, 2
	ds_bpermute_b32 v23, v21, v2
	s_waitcnt vmcnt(4)
	ds_bpermute_b32 v22, v21, v25
	ds_bpermute_b32 v24, v21, v3
	;; [unrolled: 1-line block ×3, first 2 shown]
	v_add_u32_e32 v20, 8, v14
	ds_bpermute_b32 v28, v21, v5
	v_cmp_le_u32_e32 vcc, v20, v26
	s_waitcnt lgkmcnt(4)
	buffer_store_dword v23, off, s[0:3], 0
	s_waitcnt lgkmcnt(2)
	buffer_store_dword v24, off, s[0:3], 0 offset:4
	s_waitcnt lgkmcnt(1)
	buffer_store_dword v27, off, s[0:3], 0 offset:8
	;; [unrolled: 2-line block ×3, first 2 shown]
	s_and_saveexec_b64 s[14:15], vcc
	s_cbranch_execz .LBB2087_222
; %bb.215:
	v_mov_b32_e32 v23, 0
	s_mov_b32 s16, 0
	v_cmp_eq_u16_sdwa s[38:39], v25, v23 src0_sel:BYTE_0 src1_sel:DWORD
	s_and_saveexec_b64 s[4:5], s[38:39]
	s_cbranch_execz .LBB2087_221
; %bb.216:
	v_mov_b32_e32 v2, 0x74
.LBB2087_217:                           ; =>This Inner Loop Header: Depth=1
	v_add_u32_e32 v3, s16, v2
	s_add_i32 s16, s16, 8
	s_cmp_lg_u32 s16, 16
	buffer_store_dword v23, v3, s[0:3], 0 offen offset:4
	buffer_store_dword v23, v3, s[0:3], 0 offen
	s_cbranch_scc1 .LBB2087_217
; %bb.218:
	s_mov_b32 s16, 0
	v_mov_b32_e32 v2, 0
	v_mov_b32_e32 v3, 0x88
	;; [unrolled: 1-line block ×3, first 2 shown]
.LBB2087_219:                           ; =>This Inner Loop Header: Depth=1
	v_add_u32_e32 v5, s16, v2
	v_add_u32_e32 v23, s16, v3
	buffer_load_dword v24, v5, s[0:3], 0 offen offset:4
	buffer_load_dword v27, v23, s[0:3], 0 offen
	buffer_load_dword v28, v5, s[0:3], 0 offen
	buffer_load_dword v29, v23, s[0:3], 0 offen offset:4
                                        ; kill: killed $vgpr5
	v_add_u32_e32 v5, s16, v4
	s_add_i32 s16, s16, 8
	s_cmp_lg_u32 s16, 16
                                        ; kill: killed $vgpr23
	s_waitcnt vmcnt(1)
	v_add_u32_e32 v23, v27, v28
	s_waitcnt vmcnt(0)
	v_add_u32_e32 v24, v29, v24
	buffer_store_dword v24, v5, s[0:3], 0 offen offset:4
	buffer_store_dword v23, v5, s[0:3], 0 offen
	s_cbranch_scc1 .LBB2087_219
; %bb.220:
	buffer_load_dword v2, off, s[0:3], 0 offset:116
	buffer_load_dword v3, off, s[0:3], 0 offset:120
	;; [unrolled: 1-line block ×4, first 2 shown]
.LBB2087_221:
	s_or_b64 exec, exec, s[4:5]
	v_and_b32_e32 v23, 1, v25
	v_and_b32_e32 v22, 1, v22
	v_cmp_eq_u32_e32 vcc, 1, v23
	v_cmp_eq_u32_e64 s[4:5], 1, v22
	s_or_b64 s[4:5], vcc, s[4:5]
	v_cndmask_b32_e64 v22, 0, 1, s[4:5]
	buffer_store_byte v22, off, s[0:3], 0 offset:152
	buffer_load_dword v25, off, s[0:3], 0 offset:152
	s_waitcnt vmcnt(4)
	buffer_store_dword v3, off, s[0:3], 0 offset:140
	buffer_store_dword v2, off, s[0:3], 0 offset:136
	s_waitcnt vmcnt(4)
	buffer_store_dword v5, off, s[0:3], 0 offset:148
	buffer_store_dword v4, off, s[0:3], 0 offset:144
.LBB2087_222:
	s_or_b64 exec, exec, s[14:15]
	v_cmp_gt_u32_e32 vcc, 48, v14
	v_cndmask_b32_e64 v23, 0, 1, vcc
	v_lshlrev_b32_e32 v23, 4, v23
	v_add_lshl_u32 v23, v23, v1, 2
	ds_bpermute_b32 v27, v23, v2
	s_waitcnt vmcnt(4)
	ds_bpermute_b32 v24, v23, v25
	ds_bpermute_b32 v28, v23, v3
	;; [unrolled: 1-line block ×3, first 2 shown]
	v_add_u32_e32 v22, 16, v14
	ds_bpermute_b32 v30, v23, v5
	v_cmp_le_u32_e32 vcc, v22, v26
	s_waitcnt lgkmcnt(4)
	buffer_store_dword v27, off, s[0:3], 0
	s_waitcnt lgkmcnt(2)
	buffer_store_dword v28, off, s[0:3], 0 offset:4
	s_waitcnt lgkmcnt(1)
	buffer_store_dword v29, off, s[0:3], 0 offset:8
	;; [unrolled: 2-line block ×3, first 2 shown]
	s_and_saveexec_b64 s[14:15], vcc
	s_cbranch_execz .LBB2087_230
; %bb.223:
	v_mov_b32_e32 v27, 0
	s_mov_b32 s16, 0
	v_cmp_eq_u16_sdwa s[38:39], v25, v27 src0_sel:BYTE_0 src1_sel:DWORD
	s_and_saveexec_b64 s[4:5], s[38:39]
	s_cbranch_execz .LBB2087_229
; %bb.224:
	v_mov_b32_e32 v2, 0x74
.LBB2087_225:                           ; =>This Inner Loop Header: Depth=1
	v_add_u32_e32 v3, s16, v2
	s_add_i32 s16, s16, 8
	s_cmp_lg_u32 s16, 16
	buffer_store_dword v27, v3, s[0:3], 0 offen offset:4
	buffer_store_dword v27, v3, s[0:3], 0 offen
	s_cbranch_scc1 .LBB2087_225
; %bb.226:
	s_mov_b32 s16, 0
	v_mov_b32_e32 v2, 0
	v_mov_b32_e32 v3, 0x88
	;; [unrolled: 1-line block ×3, first 2 shown]
.LBB2087_227:                           ; =>This Inner Loop Header: Depth=1
	v_add_u32_e32 v5, s16, v2
	v_add_u32_e32 v27, s16, v3
	buffer_load_dword v28, v5, s[0:3], 0 offen offset:4
	buffer_load_dword v29, v27, s[0:3], 0 offen
	buffer_load_dword v30, v5, s[0:3], 0 offen
	buffer_load_dword v31, v27, s[0:3], 0 offen offset:4
                                        ; kill: killed $vgpr5
	v_add_u32_e32 v5, s16, v4
	s_add_i32 s16, s16, 8
	s_cmp_lg_u32 s16, 16
                                        ; kill: killed $vgpr27
	s_waitcnt vmcnt(1)
	v_add_u32_e32 v27, v29, v30
	s_waitcnt vmcnt(0)
	v_add_u32_e32 v28, v31, v28
	buffer_store_dword v28, v5, s[0:3], 0 offen offset:4
	buffer_store_dword v27, v5, s[0:3], 0 offen
	s_cbranch_scc1 .LBB2087_227
; %bb.228:
	buffer_load_dword v2, off, s[0:3], 0 offset:116
	buffer_load_dword v3, off, s[0:3], 0 offset:120
	;; [unrolled: 1-line block ×4, first 2 shown]
.LBB2087_229:
	s_or_b64 exec, exec, s[4:5]
	v_and_b32_e32 v25, 1, v25
	v_and_b32_e32 v24, 1, v24
	v_cmp_eq_u32_e32 vcc, 1, v25
	v_cmp_eq_u32_e64 s[4:5], 1, v24
	s_or_b64 s[4:5], vcc, s[4:5]
	v_cndmask_b32_e64 v24, 0, 1, s[4:5]
	buffer_store_byte v24, off, s[0:3], 0 offset:152
	buffer_load_dword v25, off, s[0:3], 0 offset:152
	s_waitcnt vmcnt(4)
	buffer_store_dword v3, off, s[0:3], 0 offset:140
	buffer_store_dword v2, off, s[0:3], 0 offset:136
	s_waitcnt vmcnt(4)
	buffer_store_dword v5, off, s[0:3], 0 offset:148
	buffer_store_dword v4, off, s[0:3], 0 offset:144
.LBB2087_230:
	s_or_b64 exec, exec, s[14:15]
	v_cmp_gt_u32_e32 vcc, 32, v14
	v_cndmask_b32_e64 v27, 0, 1, vcc
	v_lshlrev_b32_e32 v27, 5, v27
	v_add_lshl_u32 v1, v27, v1, 2
	ds_bpermute_b32 v28, v1, v2
	s_waitcnt vmcnt(4)
	ds_bpermute_b32 v27, v1, v25
	ds_bpermute_b32 v29, v1, v3
	;; [unrolled: 1-line block ×3, first 2 shown]
	v_add_u32_e32 v24, 32, v14
	ds_bpermute_b32 v31, v1, v5
	v_cmp_le_u32_e32 vcc, v24, v26
	s_waitcnt lgkmcnt(4)
	buffer_store_dword v28, off, s[0:3], 0
	s_waitcnt lgkmcnt(2)
	buffer_store_dword v29, off, s[0:3], 0 offset:4
	s_waitcnt lgkmcnt(1)
	buffer_store_dword v30, off, s[0:3], 0 offset:8
	;; [unrolled: 2-line block ×3, first 2 shown]
	s_and_saveexec_b64 s[14:15], vcc
	s_cbranch_execz .LBB2087_238
; %bb.231:
	v_mov_b32_e32 v26, 0
	s_mov_b32 s16, 0
	v_cmp_eq_u16_sdwa s[38:39], v25, v26 src0_sel:BYTE_0 src1_sel:DWORD
	s_and_saveexec_b64 s[4:5], s[38:39]
	s_cbranch_execz .LBB2087_237
; %bb.232:
	v_mov_b32_e32 v2, 0x74
.LBB2087_233:                           ; =>This Inner Loop Header: Depth=1
	v_add_u32_e32 v3, s16, v2
	s_add_i32 s16, s16, 8
	s_cmp_lg_u32 s16, 16
	buffer_store_dword v26, v3, s[0:3], 0 offen offset:4
	buffer_store_dword v26, v3, s[0:3], 0 offen
	s_cbranch_scc1 .LBB2087_233
; %bb.234:
	s_mov_b32 s16, 0
	v_mov_b32_e32 v2, 0
	v_mov_b32_e32 v3, 0x88
	v_mov_b32_e32 v4, 0x74
.LBB2087_235:                           ; =>This Inner Loop Header: Depth=1
	v_add_u32_e32 v5, s16, v2
	v_add_u32_e32 v26, s16, v3
	buffer_load_dword v28, v5, s[0:3], 0 offen offset:4
	buffer_load_dword v29, v26, s[0:3], 0 offen
	buffer_load_dword v30, v5, s[0:3], 0 offen
	buffer_load_dword v31, v26, s[0:3], 0 offen offset:4
                                        ; kill: killed $vgpr5
	v_add_u32_e32 v5, s16, v4
	s_add_i32 s16, s16, 8
	s_cmp_lg_u32 s16, 16
                                        ; kill: killed $vgpr26
	s_waitcnt vmcnt(1)
	v_add_u32_e32 v26, v29, v30
	s_waitcnt vmcnt(0)
	v_add_u32_e32 v28, v31, v28
	buffer_store_dword v28, v5, s[0:3], 0 offen offset:4
	buffer_store_dword v26, v5, s[0:3], 0 offen
	s_cbranch_scc1 .LBB2087_235
; %bb.236:
	buffer_load_dword v2, off, s[0:3], 0 offset:116
	buffer_load_dword v3, off, s[0:3], 0 offset:120
	;; [unrolled: 1-line block ×4, first 2 shown]
.LBB2087_237:
	s_or_b64 exec, exec, s[4:5]
	v_and_b32_e32 v25, 1, v25
	v_cmp_eq_u32_e32 vcc, 1, v25
	v_and_b32_e32 v25, 1, v27
	v_cmp_eq_u32_e64 s[4:5], 1, v25
	s_or_b64 s[4:5], vcc, s[4:5]
	v_cndmask_b32_e64 v25, 0, 1, s[4:5]
	s_waitcnt vmcnt(2)
	buffer_store_dword v3, off, s[0:3], 0 offset:140
	buffer_store_dword v2, off, s[0:3], 0 offset:136
	s_waitcnt vmcnt(2)
	buffer_store_dword v5, off, s[0:3], 0 offset:148
	buffer_store_dword v4, off, s[0:3], 0 offset:144
	buffer_store_byte v25, off, s[0:3], 0 offset:152
.LBB2087_238:
	s_or_b64 exec, exec, s[14:15]
	buffer_load_dword v2, off, s[0:3], 0 offset:148
	buffer_load_dword v3, off, s[0:3], 0 offset:144
	;; [unrolled: 1-line block ×5, first 2 shown]
	v_mov_b32_e32 v25, 0
	v_mov_b32_e32 v26, 0x60
	;; [unrolled: 1-line block ×6, first 2 shown]
	s_waitcnt vmcnt(4)
	buffer_store_dword v2, off, s[0:3], 0 offset:128
	s_waitcnt vmcnt(4)
	buffer_store_dword v3, off, s[0:3], 0 offset:124
	;; [unrolled: 2-line block ×5, first 2 shown]
	v_mov_b32_e32 v31, 2
	s_branch .LBB2087_240
.LBB2087_239:                           ;   in Loop: Header=BB2087_240 Depth=1
                                        ; implicit-def: $vgpr6
                                        ; implicit-def: $vgpr7
	s_cbranch_execnz .LBB2087_308
.LBB2087_240:                           ; =>This Loop Header: Depth=1
                                        ;     Child Loop BB2087_242 Depth 2
                                        ;     Child Loop BB2087_245 Depth 2
                                        ;       Child Loop BB2087_246 Depth 3
                                        ;     Child Loop BB2087_250 Depth 2
                                        ;     Child Loop BB2087_254 Depth 2
	;; [unrolled: 1-line block ×15, first 2 shown]
	v_cmp_ne_u16_sdwa s[4:5], v7, v31 src0_sel:BYTE_0 src1_sel:DWORD
	v_cndmask_b32_e64 v2, 0, 1, s[4:5]
	;;#ASMSTART
	;;#ASMEND
	v_cmp_ne_u32_e32 vcc, 0, v2
	s_cmp_lg_u64 vcc, exec
	s_cbranch_scc1 .LBB2087_239
; %bb.241:                              ;   in Loop: Header=BB2087_240 Depth=1
	s_mov_b32 s4, 0
	buffer_store_dword v25, off, s[0:3], 0 offset:108
	buffer_store_dword v25, off, s[0:3], 0 offset:104
	;; [unrolled: 1-line block ×5, first 2 shown]
.LBB2087_242:                           ;   Parent Loop BB2087_240 Depth=1
                                        ; =>  This Inner Loop Header: Depth=2
	v_add_u32_e32 v2, s4, v26
	s_add_i32 s4, s4, 8
	s_cmp_lg_u32 s4, 16
	buffer_store_dword v25, v2, s[0:3], 0 offen offset:4
	buffer_store_dword v25, v2, s[0:3], 0 offen
	s_cbranch_scc1 .LBB2087_242
; %bb.243:                              ;   in Loop: Header=BB2087_240 Depth=1
	buffer_store_byte v25, off, s[0:3], 0 offset:112
	global_load_ubyte v7, v6, s[24:25] glc
	s_waitcnt vmcnt(0)
	v_cmp_eq_u16_e32 vcc, 0, v7
	s_and_saveexec_b64 s[4:5], vcc
	s_cbranch_execz .LBB2087_249
; %bb.244:                              ;   in Loop: Header=BB2087_240 Depth=1
	v_mov_b32_e32 v3, s25
	v_add_co_u32_e32 v2, vcc, s24, v6
	v_addc_co_u32_e32 v3, vcc, 0, v3, vcc
	s_mov_b32 s16, 1
	s_mov_b64 s[14:15], 0
.LBB2087_245:                           ;   Parent Loop BB2087_240 Depth=1
                                        ; =>  This Loop Header: Depth=2
                                        ;       Child Loop BB2087_246 Depth 3
	s_max_u32 s17, s16, 1
.LBB2087_246:                           ;   Parent Loop BB2087_240 Depth=1
                                        ;     Parent Loop BB2087_245 Depth=2
                                        ; =>    This Inner Loop Header: Depth=3
	s_add_i32 s17, s17, -1
	s_cmp_eq_u32 s17, 0
	s_sleep 1
	s_cbranch_scc0 .LBB2087_246
; %bb.247:                              ;   in Loop: Header=BB2087_245 Depth=2
	global_load_ubyte v7, v[2:3], off glc
	s_cmp_lt_u32 s16, 32
	s_cselect_b64 s[38:39], -1, 0
	s_cmp_lg_u64 s[38:39], 0
	s_addc_u32 s16, s16, 0
	s_waitcnt vmcnt(0)
	v_cmp_ne_u16_e32 vcc, 0, v7
	s_or_b64 s[14:15], vcc, s[14:15]
	s_andn2_b64 exec, exec, s[14:15]
	s_cbranch_execnz .LBB2087_245
; %bb.248:                              ;   in Loop: Header=BB2087_240 Depth=1
	s_or_b64 exec, exec, s[14:15]
.LBB2087_249:                           ;   in Loop: Header=BB2087_240 Depth=1
	s_or_b64 exec, exec, s[4:5]
	v_mov_b32_e32 v2, s23
	v_mov_b32_e32 v3, s21
	v_cmp_eq_u16_e32 vcc, 1, v7
	v_cndmask_b32_e32 v3, v2, v3, vcc
	v_mov_b32_e32 v2, s22
	v_mov_b32_e32 v4, s20
	v_cndmask_b32_e32 v2, v2, v4, vcc
	v_mad_u64_u32 v[32:33], s[4:5], v6, 20, v[2:3]
	buffer_wbinvl1_vol
	global_load_dwordx4 v[2:5], v[32:33], off
	global_load_ubyte v34, v[32:33], off offset:16
	s_mov_b32 s4, 0
	buffer_store_dword v25, off, s[0:3], 0 offset:16
	s_waitcnt vmcnt(2)
	buffer_store_dword v5, off, s[0:3], 0 offset:108
	buffer_store_dword v4, off, s[0:3], 0 offset:104
	;; [unrolled: 1-line block ×4, first 2 shown]
	s_waitcnt vmcnt(5)
	buffer_store_byte v34, off, s[0:3], 0 offset:112
	buffer_store_dword v3, off, s[0:3], 0 offset:140
	buffer_store_dword v2, off, s[0:3], 0 offset:136
	;; [unrolled: 1-line block ×4, first 2 shown]
	buffer_store_byte v34, off, s[0:3], 0 offset:152
.LBB2087_250:                           ;   Parent Loop BB2087_240 Depth=1
                                        ; =>  This Inner Loop Header: Depth=2
	v_add_u32_e32 v32, s4, v27
	s_add_i32 s4, s4, 8
	s_cmp_lg_u32 s4, 16
	buffer_store_dword v25, v32, s[0:3], 0 offen offset:4
	buffer_store_dword v25, v32, s[0:3], 0 offen
	s_cbranch_scc1 .LBB2087_250
; %bb.251:                              ;   in Loop: Header=BB2087_240 Depth=1
	buffer_load_dword v33, off, s[0:3], 0 offset:152
	v_cmp_eq_u16_e32 vcc, 2, v7
	v_and_b32_e32 v32, vcc_hi, v9
	v_or_b32_e32 v32, 0x80000000, v32
	v_and_b32_e32 v34, vcc_lo, v8
	v_ffbl_b32_e32 v32, v32
	v_ffbl_b32_e32 v34, v34
	v_add_u32_e32 v32, 32, v32
	ds_bpermute_b32 v35, v15, v2
	v_min_u32_e32 v32, v34, v32
	ds_bpermute_b32 v36, v15, v3
	ds_bpermute_b32 v37, v15, v4
	;; [unrolled: 1-line block ×3, first 2 shown]
	v_cmp_lt_u32_e32 vcc, v14, v32
	s_waitcnt lgkmcnt(3)
	buffer_store_dword v35, off, s[0:3], 0
	s_waitcnt lgkmcnt(2)
	buffer_store_dword v36, off, s[0:3], 0 offset:4
	s_waitcnt lgkmcnt(1)
	buffer_store_dword v37, off, s[0:3], 0 offset:8
	;; [unrolled: 2-line block ×3, first 2 shown]
	s_waitcnt vmcnt(4)
	ds_bpermute_b32 v34, v15, v33
	s_and_saveexec_b64 s[4:5], vcc
	s_cbranch_execz .LBB2087_259
; %bb.252:                              ;   in Loop: Header=BB2087_240 Depth=1
	v_cmp_eq_u16_sdwa s[16:17], v33, v25 src0_sel:BYTE_0 src1_sel:DWORD
	s_and_saveexec_b64 s[14:15], s[16:17]
	s_cbranch_execz .LBB2087_258
; %bb.253:                              ;   in Loop: Header=BB2087_240 Depth=1
	s_mov_b32 s16, 0
.LBB2087_254:                           ;   Parent Loop BB2087_240 Depth=1
                                        ; =>  This Inner Loop Header: Depth=2
	v_add_u32_e32 v2, s16, v28
	s_add_i32 s16, s16, 8
	s_cmp_lg_u32 s16, 16
	buffer_store_dword v25, v2, s[0:3], 0 offen offset:4
	buffer_store_dword v25, v2, s[0:3], 0 offen
	s_cbranch_scc1 .LBB2087_254
; %bb.255:                              ;   in Loop: Header=BB2087_240 Depth=1
	s_mov_b32 s16, 0
.LBB2087_256:                           ;   Parent Loop BB2087_240 Depth=1
                                        ; =>  This Inner Loop Header: Depth=2
	v_add_u32_e32 v2, s16, v27
	v_add_u32_e32 v3, s16, v29
	buffer_load_dword v4, v2, s[0:3], 0 offen offset:4
	buffer_load_dword v5, v3, s[0:3], 0 offen
	buffer_load_dword v35, v2, s[0:3], 0 offen
	buffer_load_dword v36, v3, s[0:3], 0 offen offset:4
	v_add_u32_e32 v2, s16, v28
	s_add_i32 s16, s16, 8
	s_cmp_lg_u32 s16, 16
	s_waitcnt vmcnt(1)
	v_add_u32_e32 v3, v5, v35
	s_waitcnt vmcnt(0)
	v_add_u32_e32 v4, v36, v4
	buffer_store_dword v4, v2, s[0:3], 0 offen offset:4
	buffer_store_dword v3, v2, s[0:3], 0 offen
	s_cbranch_scc1 .LBB2087_256
; %bb.257:                              ;   in Loop: Header=BB2087_240 Depth=1
	buffer_load_dword v2, off, s[0:3], 0 offset:80
	buffer_load_dword v3, off, s[0:3], 0 offset:84
	;; [unrolled: 1-line block ×4, first 2 shown]
.LBB2087_258:                           ;   in Loop: Header=BB2087_240 Depth=1
	s_or_b64 exec, exec, s[14:15]
	s_waitcnt lgkmcnt(0)
	v_or_b32_e32 v33, v34, v33
	v_and_b32_e32 v33, 1, v33
	buffer_store_byte v33, off, s[0:3], 0 offset:152
	buffer_load_dword v33, off, s[0:3], 0 offset:152
	s_waitcnt vmcnt(4)
	buffer_store_dword v3, off, s[0:3], 0 offset:140
	buffer_store_dword v2, off, s[0:3], 0 offset:136
	s_waitcnt vmcnt(4)
	buffer_store_dword v5, off, s[0:3], 0 offset:148
	buffer_store_dword v4, off, s[0:3], 0 offset:144
.LBB2087_259:                           ;   in Loop: Header=BB2087_240 Depth=1
	s_or_b64 exec, exec, s[4:5]
	ds_bpermute_b32 v35, v17, v2
	s_waitcnt vmcnt(4) lgkmcnt(1)
	ds_bpermute_b32 v34, v17, v33
	ds_bpermute_b32 v36, v17, v3
	;; [unrolled: 1-line block ×4, first 2 shown]
	v_cmp_le_u32_e32 vcc, v16, v32
	s_waitcnt lgkmcnt(4)
	buffer_store_dword v35, off, s[0:3], 0
	s_waitcnt lgkmcnt(2)
	buffer_store_dword v36, off, s[0:3], 0 offset:4
	s_waitcnt lgkmcnt(1)
	buffer_store_dword v37, off, s[0:3], 0 offset:8
	;; [unrolled: 2-line block ×3, first 2 shown]
	s_and_saveexec_b64 s[14:15], vcc
	s_cbranch_execz .LBB2087_267
; %bb.260:                              ;   in Loop: Header=BB2087_240 Depth=1
	v_cmp_eq_u16_sdwa s[16:17], v33, v25 src0_sel:BYTE_0 src1_sel:DWORD
	s_and_saveexec_b64 s[4:5], s[16:17]
	s_cbranch_execz .LBB2087_266
; %bb.261:                              ;   in Loop: Header=BB2087_240 Depth=1
	s_mov_b32 s16, 0
.LBB2087_262:                           ;   Parent Loop BB2087_240 Depth=1
                                        ; =>  This Inner Loop Header: Depth=2
	v_add_u32_e32 v2, s16, v28
	s_add_i32 s16, s16, 8
	s_cmp_lg_u32 s16, 16
	buffer_store_dword v25, v2, s[0:3], 0 offen offset:4
	buffer_store_dword v25, v2, s[0:3], 0 offen
	s_cbranch_scc1 .LBB2087_262
; %bb.263:                              ;   in Loop: Header=BB2087_240 Depth=1
	s_mov_b32 s16, 0
.LBB2087_264:                           ;   Parent Loop BB2087_240 Depth=1
                                        ; =>  This Inner Loop Header: Depth=2
	v_add_u32_e32 v2, s16, v27
	v_add_u32_e32 v3, s16, v29
	buffer_load_dword v4, v2, s[0:3], 0 offen offset:4
	buffer_load_dword v5, v3, s[0:3], 0 offen
	buffer_load_dword v35, v2, s[0:3], 0 offen
	buffer_load_dword v36, v3, s[0:3], 0 offen offset:4
	v_add_u32_e32 v2, s16, v28
	s_add_i32 s16, s16, 8
	s_cmp_lg_u32 s16, 16
	s_waitcnt vmcnt(1)
	v_add_u32_e32 v3, v5, v35
	s_waitcnt vmcnt(0)
	v_add_u32_e32 v4, v36, v4
	buffer_store_dword v4, v2, s[0:3], 0 offen offset:4
	buffer_store_dword v3, v2, s[0:3], 0 offen
	s_cbranch_scc1 .LBB2087_264
; %bb.265:                              ;   in Loop: Header=BB2087_240 Depth=1
	buffer_load_dword v2, off, s[0:3], 0 offset:80
	buffer_load_dword v3, off, s[0:3], 0 offset:84
	;; [unrolled: 1-line block ×4, first 2 shown]
.LBB2087_266:                           ;   in Loop: Header=BB2087_240 Depth=1
	s_or_b64 exec, exec, s[4:5]
	v_and_b32_e32 v33, 1, v33
	v_cmp_eq_u32_e32 vcc, 1, v33
	v_and_b32_e32 v33, 1, v34
	v_cmp_eq_u32_e64 s[4:5], 1, v33
	s_or_b64 s[4:5], vcc, s[4:5]
	v_cndmask_b32_e64 v33, 0, 1, s[4:5]
	buffer_store_byte v33, off, s[0:3], 0 offset:152
	buffer_load_dword v33, off, s[0:3], 0 offset:152
	s_waitcnt vmcnt(4)
	buffer_store_dword v3, off, s[0:3], 0 offset:140
	buffer_store_dword v2, off, s[0:3], 0 offset:136
	s_waitcnt vmcnt(4)
	buffer_store_dword v5, off, s[0:3], 0 offset:148
	buffer_store_dword v4, off, s[0:3], 0 offset:144
.LBB2087_267:                           ;   in Loop: Header=BB2087_240 Depth=1
	s_or_b64 exec, exec, s[14:15]
	ds_bpermute_b32 v35, v19, v2
	s_waitcnt vmcnt(4)
	ds_bpermute_b32 v34, v19, v33
	ds_bpermute_b32 v36, v19, v3
	;; [unrolled: 1-line block ×4, first 2 shown]
	v_cmp_le_u32_e32 vcc, v18, v32
	s_waitcnt lgkmcnt(4)
	buffer_store_dword v35, off, s[0:3], 0
	s_waitcnt lgkmcnt(2)
	buffer_store_dword v36, off, s[0:3], 0 offset:4
	s_waitcnt lgkmcnt(1)
	buffer_store_dword v37, off, s[0:3], 0 offset:8
	;; [unrolled: 2-line block ×3, first 2 shown]
	s_and_saveexec_b64 s[14:15], vcc
	s_cbranch_execz .LBB2087_275
; %bb.268:                              ;   in Loop: Header=BB2087_240 Depth=1
	v_cmp_eq_u16_sdwa s[16:17], v33, v25 src0_sel:BYTE_0 src1_sel:DWORD
	s_and_saveexec_b64 s[4:5], s[16:17]
	s_cbranch_execz .LBB2087_274
; %bb.269:                              ;   in Loop: Header=BB2087_240 Depth=1
	s_mov_b32 s16, 0
.LBB2087_270:                           ;   Parent Loop BB2087_240 Depth=1
                                        ; =>  This Inner Loop Header: Depth=2
	v_add_u32_e32 v2, s16, v28
	s_add_i32 s16, s16, 8
	s_cmp_lg_u32 s16, 16
	buffer_store_dword v25, v2, s[0:3], 0 offen offset:4
	buffer_store_dword v25, v2, s[0:3], 0 offen
	s_cbranch_scc1 .LBB2087_270
; %bb.271:                              ;   in Loop: Header=BB2087_240 Depth=1
	s_mov_b32 s16, 0
.LBB2087_272:                           ;   Parent Loop BB2087_240 Depth=1
                                        ; =>  This Inner Loop Header: Depth=2
	v_add_u32_e32 v2, s16, v27
	v_add_u32_e32 v3, s16, v29
	buffer_load_dword v4, v2, s[0:3], 0 offen offset:4
	buffer_load_dword v5, v3, s[0:3], 0 offen
	buffer_load_dword v35, v2, s[0:3], 0 offen
	buffer_load_dword v36, v3, s[0:3], 0 offen offset:4
	v_add_u32_e32 v2, s16, v28
	s_add_i32 s16, s16, 8
	s_cmp_lg_u32 s16, 16
	s_waitcnt vmcnt(1)
	v_add_u32_e32 v3, v5, v35
	s_waitcnt vmcnt(0)
	v_add_u32_e32 v4, v36, v4
	buffer_store_dword v4, v2, s[0:3], 0 offen offset:4
	buffer_store_dword v3, v2, s[0:3], 0 offen
	s_cbranch_scc1 .LBB2087_272
; %bb.273:                              ;   in Loop: Header=BB2087_240 Depth=1
	buffer_load_dword v2, off, s[0:3], 0 offset:80
	buffer_load_dword v3, off, s[0:3], 0 offset:84
	;; [unrolled: 1-line block ×4, first 2 shown]
.LBB2087_274:                           ;   in Loop: Header=BB2087_240 Depth=1
	s_or_b64 exec, exec, s[4:5]
	v_and_b32_e32 v33, 1, v33
	v_cmp_eq_u32_e32 vcc, 1, v33
	v_and_b32_e32 v33, 1, v34
	v_cmp_eq_u32_e64 s[4:5], 1, v33
	s_or_b64 s[4:5], vcc, s[4:5]
	v_cndmask_b32_e64 v33, 0, 1, s[4:5]
	buffer_store_byte v33, off, s[0:3], 0 offset:152
	buffer_load_dword v33, off, s[0:3], 0 offset:152
	s_waitcnt vmcnt(4)
	buffer_store_dword v3, off, s[0:3], 0 offset:140
	buffer_store_dword v2, off, s[0:3], 0 offset:136
	s_waitcnt vmcnt(4)
	buffer_store_dword v5, off, s[0:3], 0 offset:148
	buffer_store_dword v4, off, s[0:3], 0 offset:144
.LBB2087_275:                           ;   in Loop: Header=BB2087_240 Depth=1
	s_or_b64 exec, exec, s[14:15]
	ds_bpermute_b32 v35, v21, v2
	s_waitcnt vmcnt(4)
	ds_bpermute_b32 v34, v21, v33
	ds_bpermute_b32 v36, v21, v3
	;; [unrolled: 1-line block ×4, first 2 shown]
	v_cmp_le_u32_e32 vcc, v20, v32
	s_waitcnt lgkmcnt(4)
	buffer_store_dword v35, off, s[0:3], 0
	s_waitcnt lgkmcnt(2)
	buffer_store_dword v36, off, s[0:3], 0 offset:4
	s_waitcnt lgkmcnt(1)
	buffer_store_dword v37, off, s[0:3], 0 offset:8
	;; [unrolled: 2-line block ×3, first 2 shown]
	s_and_saveexec_b64 s[14:15], vcc
	s_cbranch_execz .LBB2087_283
; %bb.276:                              ;   in Loop: Header=BB2087_240 Depth=1
	v_cmp_eq_u16_sdwa s[16:17], v33, v25 src0_sel:BYTE_0 src1_sel:DWORD
	s_and_saveexec_b64 s[4:5], s[16:17]
	s_cbranch_execz .LBB2087_282
; %bb.277:                              ;   in Loop: Header=BB2087_240 Depth=1
	s_mov_b32 s16, 0
.LBB2087_278:                           ;   Parent Loop BB2087_240 Depth=1
                                        ; =>  This Inner Loop Header: Depth=2
	v_add_u32_e32 v2, s16, v28
	s_add_i32 s16, s16, 8
	s_cmp_lg_u32 s16, 16
	buffer_store_dword v25, v2, s[0:3], 0 offen offset:4
	buffer_store_dword v25, v2, s[0:3], 0 offen
	s_cbranch_scc1 .LBB2087_278
; %bb.279:                              ;   in Loop: Header=BB2087_240 Depth=1
	s_mov_b32 s16, 0
.LBB2087_280:                           ;   Parent Loop BB2087_240 Depth=1
                                        ; =>  This Inner Loop Header: Depth=2
	v_add_u32_e32 v2, s16, v27
	v_add_u32_e32 v3, s16, v29
	buffer_load_dword v4, v2, s[0:3], 0 offen offset:4
	buffer_load_dword v5, v3, s[0:3], 0 offen
	buffer_load_dword v35, v2, s[0:3], 0 offen
	buffer_load_dword v36, v3, s[0:3], 0 offen offset:4
	v_add_u32_e32 v2, s16, v28
	s_add_i32 s16, s16, 8
	s_cmp_lg_u32 s16, 16
	s_waitcnt vmcnt(1)
	v_add_u32_e32 v3, v5, v35
	s_waitcnt vmcnt(0)
	v_add_u32_e32 v4, v36, v4
	buffer_store_dword v4, v2, s[0:3], 0 offen offset:4
	buffer_store_dword v3, v2, s[0:3], 0 offen
	s_cbranch_scc1 .LBB2087_280
; %bb.281:                              ;   in Loop: Header=BB2087_240 Depth=1
	buffer_load_dword v2, off, s[0:3], 0 offset:80
	buffer_load_dword v3, off, s[0:3], 0 offset:84
	;; [unrolled: 1-line block ×4, first 2 shown]
.LBB2087_282:                           ;   in Loop: Header=BB2087_240 Depth=1
	s_or_b64 exec, exec, s[4:5]
	v_and_b32_e32 v33, 1, v33
	v_cmp_eq_u32_e32 vcc, 1, v33
	v_and_b32_e32 v33, 1, v34
	v_cmp_eq_u32_e64 s[4:5], 1, v33
	s_or_b64 s[4:5], vcc, s[4:5]
	v_cndmask_b32_e64 v33, 0, 1, s[4:5]
	buffer_store_byte v33, off, s[0:3], 0 offset:152
	buffer_load_dword v33, off, s[0:3], 0 offset:152
	s_waitcnt vmcnt(4)
	buffer_store_dword v3, off, s[0:3], 0 offset:140
	buffer_store_dword v2, off, s[0:3], 0 offset:136
	s_waitcnt vmcnt(4)
	buffer_store_dword v5, off, s[0:3], 0 offset:148
	buffer_store_dword v4, off, s[0:3], 0 offset:144
.LBB2087_283:                           ;   in Loop: Header=BB2087_240 Depth=1
	s_or_b64 exec, exec, s[14:15]
	ds_bpermute_b32 v35, v23, v2
	s_waitcnt vmcnt(4)
	ds_bpermute_b32 v34, v23, v33
	ds_bpermute_b32 v36, v23, v3
	;; [unrolled: 1-line block ×4, first 2 shown]
	v_cmp_le_u32_e32 vcc, v22, v32
	s_waitcnt lgkmcnt(4)
	buffer_store_dword v35, off, s[0:3], 0
	s_waitcnt lgkmcnt(2)
	buffer_store_dword v36, off, s[0:3], 0 offset:4
	s_waitcnt lgkmcnt(1)
	buffer_store_dword v37, off, s[0:3], 0 offset:8
	;; [unrolled: 2-line block ×3, first 2 shown]
	s_and_saveexec_b64 s[14:15], vcc
	s_cbranch_execz .LBB2087_291
; %bb.284:                              ;   in Loop: Header=BB2087_240 Depth=1
	v_cmp_eq_u16_sdwa s[16:17], v33, v25 src0_sel:BYTE_0 src1_sel:DWORD
	s_and_saveexec_b64 s[4:5], s[16:17]
	s_cbranch_execz .LBB2087_290
; %bb.285:                              ;   in Loop: Header=BB2087_240 Depth=1
	s_mov_b32 s16, 0
.LBB2087_286:                           ;   Parent Loop BB2087_240 Depth=1
                                        ; =>  This Inner Loop Header: Depth=2
	v_add_u32_e32 v2, s16, v28
	s_add_i32 s16, s16, 8
	s_cmp_lg_u32 s16, 16
	buffer_store_dword v25, v2, s[0:3], 0 offen offset:4
	buffer_store_dword v25, v2, s[0:3], 0 offen
	s_cbranch_scc1 .LBB2087_286
; %bb.287:                              ;   in Loop: Header=BB2087_240 Depth=1
	s_mov_b32 s16, 0
.LBB2087_288:                           ;   Parent Loop BB2087_240 Depth=1
                                        ; =>  This Inner Loop Header: Depth=2
	v_add_u32_e32 v2, s16, v27
	v_add_u32_e32 v3, s16, v29
	buffer_load_dword v4, v2, s[0:3], 0 offen offset:4
	buffer_load_dword v5, v3, s[0:3], 0 offen
	buffer_load_dword v35, v2, s[0:3], 0 offen
	buffer_load_dword v36, v3, s[0:3], 0 offen offset:4
	v_add_u32_e32 v2, s16, v28
	s_add_i32 s16, s16, 8
	s_cmp_lg_u32 s16, 16
	s_waitcnt vmcnt(1)
	v_add_u32_e32 v3, v5, v35
	s_waitcnt vmcnt(0)
	v_add_u32_e32 v4, v36, v4
	buffer_store_dword v4, v2, s[0:3], 0 offen offset:4
	buffer_store_dword v3, v2, s[0:3], 0 offen
	s_cbranch_scc1 .LBB2087_288
; %bb.289:                              ;   in Loop: Header=BB2087_240 Depth=1
	buffer_load_dword v2, off, s[0:3], 0 offset:80
	buffer_load_dword v3, off, s[0:3], 0 offset:84
	;; [unrolled: 1-line block ×4, first 2 shown]
.LBB2087_290:                           ;   in Loop: Header=BB2087_240 Depth=1
	s_or_b64 exec, exec, s[4:5]
	v_and_b32_e32 v33, 1, v33
	v_cmp_eq_u32_e32 vcc, 1, v33
	v_and_b32_e32 v33, 1, v34
	v_cmp_eq_u32_e64 s[4:5], 1, v33
	s_or_b64 s[4:5], vcc, s[4:5]
	v_cndmask_b32_e64 v33, 0, 1, s[4:5]
	buffer_store_byte v33, off, s[0:3], 0 offset:152
	buffer_load_dword v33, off, s[0:3], 0 offset:152
	s_waitcnt vmcnt(4)
	buffer_store_dword v3, off, s[0:3], 0 offset:140
	buffer_store_dword v2, off, s[0:3], 0 offset:136
	s_waitcnt vmcnt(4)
	buffer_store_dword v5, off, s[0:3], 0 offset:148
	buffer_store_dword v4, off, s[0:3], 0 offset:144
.LBB2087_291:                           ;   in Loop: Header=BB2087_240 Depth=1
	s_or_b64 exec, exec, s[14:15]
	ds_bpermute_b32 v35, v1, v2
	s_waitcnt vmcnt(4)
	ds_bpermute_b32 v34, v1, v33
	ds_bpermute_b32 v36, v1, v3
	;; [unrolled: 1-line block ×4, first 2 shown]
	v_cmp_le_u32_e32 vcc, v24, v32
	v_and_b32_e32 v32, 1, v33
	v_cmp_eq_u32_e64 s[4:5], 1, v32
	s_waitcnt lgkmcnt(4)
	buffer_store_dword v35, off, s[0:3], 0
	s_waitcnt lgkmcnt(2)
	buffer_store_dword v36, off, s[0:3], 0 offset:4
	s_waitcnt lgkmcnt(1)
	buffer_store_dword v37, off, s[0:3], 0 offset:8
	;; [unrolled: 2-line block ×3, first 2 shown]
	s_and_saveexec_b64 s[14:15], vcc
	s_cbranch_execz .LBB2087_299
; %bb.292:                              ;   in Loop: Header=BB2087_240 Depth=1
	v_cmp_eq_u16_sdwa s[38:39], v33, v25 src0_sel:BYTE_0 src1_sel:DWORD
	s_and_saveexec_b64 s[16:17], s[38:39]
	s_cbranch_execz .LBB2087_298
; %bb.293:                              ;   in Loop: Header=BB2087_240 Depth=1
	s_mov_b32 s38, 0
.LBB2087_294:                           ;   Parent Loop BB2087_240 Depth=1
                                        ; =>  This Inner Loop Header: Depth=2
	v_add_u32_e32 v2, s38, v28
	s_add_i32 s38, s38, 8
	s_cmp_lg_u32 s38, 16
	buffer_store_dword v25, v2, s[0:3], 0 offen offset:4
	buffer_store_dword v25, v2, s[0:3], 0 offen
	s_cbranch_scc1 .LBB2087_294
; %bb.295:                              ;   in Loop: Header=BB2087_240 Depth=1
	s_mov_b32 s38, 0
.LBB2087_296:                           ;   Parent Loop BB2087_240 Depth=1
                                        ; =>  This Inner Loop Header: Depth=2
	v_add_u32_e32 v2, s38, v27
	v_add_u32_e32 v3, s38, v29
	buffer_load_dword v4, v2, s[0:3], 0 offen offset:4
	buffer_load_dword v5, v3, s[0:3], 0 offen
	buffer_load_dword v32, v2, s[0:3], 0 offen
	buffer_load_dword v33, v3, s[0:3], 0 offen offset:4
	v_add_u32_e32 v2, s38, v28
	s_add_i32 s38, s38, 8
	s_cmp_lg_u32 s38, 16
	s_waitcnt vmcnt(1)
	v_add_u32_e32 v3, v5, v32
	s_waitcnt vmcnt(0)
	v_add_u32_e32 v4, v33, v4
	buffer_store_dword v4, v2, s[0:3], 0 offen offset:4
	buffer_store_dword v3, v2, s[0:3], 0 offen
	s_cbranch_scc1 .LBB2087_296
; %bb.297:                              ;   in Loop: Header=BB2087_240 Depth=1
	buffer_load_dword v2, off, s[0:3], 0 offset:80
	buffer_load_dword v3, off, s[0:3], 0 offset:84
	;; [unrolled: 1-line block ×4, first 2 shown]
.LBB2087_298:                           ;   in Loop: Header=BB2087_240 Depth=1
	s_or_b64 exec, exec, s[16:17]
	v_and_b32_e32 v32, 1, v34
	v_cmp_eq_u32_e32 vcc, 1, v32
	s_or_b64 s[16:17], s[4:5], vcc
	v_cndmask_b32_e64 v32, 0, 1, s[16:17]
	s_andn2_b64 s[4:5], s[4:5], exec
	s_and_b64 s[16:17], s[16:17], exec
	s_or_b64 s[4:5], s[4:5], s[16:17]
	s_waitcnt vmcnt(2)
	buffer_store_dword v3, off, s[0:3], 0 offset:140
	buffer_store_dword v2, off, s[0:3], 0 offset:136
	s_waitcnt vmcnt(2)
	buffer_store_dword v5, off, s[0:3], 0 offset:148
	buffer_store_dword v4, off, s[0:3], 0 offset:144
	buffer_store_byte v32, off, s[0:3], 0 offset:152
.LBB2087_299:                           ;   in Loop: Header=BB2087_240 Depth=1
	s_or_b64 exec, exec, s[14:15]
	buffer_load_ubyte v32, off, s[0:3], 0 offset:132
                                        ; implicit-def: $vgpr4_vgpr5
                                        ; implicit-def: $vgpr2_vgpr3
	s_waitcnt vmcnt(0)
	v_cmp_ne_u16_e32 vcc, 0, v32
	s_and_saveexec_b64 s[14:15], vcc
	s_xor_b64 s[14:15], exec, s[14:15]
	s_cbranch_execz .LBB2087_301
; %bb.300:                              ;   in Loop: Header=BB2087_240 Depth=1
	buffer_load_dword v2, off, s[0:3], 0 offset:116
	buffer_load_dword v3, off, s[0:3], 0 offset:120
	;; [unrolled: 1-line block ×4, first 2 shown]
.LBB2087_301:                           ;   in Loop: Header=BB2087_240 Depth=1
	s_andn2_saveexec_b64 s[14:15], s[14:15]
	s_cbranch_execz .LBB2087_307
; %bb.302:                              ;   in Loop: Header=BB2087_240 Depth=1
	s_mov_b32 s16, 0
	s_waitcnt vmcnt(0)
.LBB2087_303:                           ;   Parent Loop BB2087_240 Depth=1
                                        ; =>  This Inner Loop Header: Depth=2
	v_add_u32_e32 v2, s16, v27
	s_add_i32 s16, s16, 8
	s_cmp_lg_u32 s16, 16
	buffer_store_dword v25, v2, s[0:3], 0 offen offset:4
	buffer_store_dword v25, v2, s[0:3], 0 offen
	s_cbranch_scc1 .LBB2087_303
; %bb.304:                              ;   in Loop: Header=BB2087_240 Depth=1
	s_mov_b32 s16, 0
.LBB2087_305:                           ;   Parent Loop BB2087_240 Depth=1
                                        ; =>  This Inner Loop Header: Depth=2
	v_add_u32_e32 v2, s16, v29
	v_add_u32_e32 v3, s16, v30
	buffer_load_dword v4, v2, s[0:3], 0 offen offset:4
	buffer_load_dword v5, v3, s[0:3], 0 offen
	buffer_load_dword v33, v2, s[0:3], 0 offen
	buffer_load_dword v34, v3, s[0:3], 0 offen offset:4
	v_add_u32_e32 v2, s16, v27
	s_add_i32 s16, s16, 8
	s_cmp_lg_u32 s16, 16
	s_waitcnt vmcnt(1)
	v_add_u32_e32 v3, v5, v33
	s_waitcnt vmcnt(0)
	v_add_u32_e32 v4, v34, v4
	buffer_store_dword v4, v2, s[0:3], 0 offen offset:4
	buffer_store_dword v3, v2, s[0:3], 0 offen
	s_cbranch_scc1 .LBB2087_305
; %bb.306:                              ;   in Loop: Header=BB2087_240 Depth=1
	buffer_load_dword v2, off, s[0:3], 0
	buffer_load_dword v3, off, s[0:3], 0 offset:4
	buffer_load_dword v4, off, s[0:3], 0 offset:8
	;; [unrolled: 1-line block ×3, first 2 shown]
.LBB2087_307:                           ;   in Loop: Header=BB2087_240 Depth=1
	s_or_b64 exec, exec, s[14:15]
	v_and_b32_e32 v32, 1, v32
	v_cmp_eq_u32_e32 vcc, 1, v32
	s_or_b64 s[4:5], vcc, s[4:5]
	v_subrev_u32_e32 v6, 64, v6
	v_cndmask_b32_e64 v32, 0, 1, s[4:5]
	s_waitcnt vmcnt(2)
	buffer_store_dword v3, off, s[0:3], 0 offset:120
	buffer_store_dword v2, off, s[0:3], 0 offset:116
	s_waitcnt vmcnt(2)
	buffer_store_dword v5, off, s[0:3], 0 offset:128
	buffer_store_dword v4, off, s[0:3], 0 offset:124
	buffer_store_byte v32, off, s[0:3], 0 offset:132
	s_branch .LBB2087_240
.LBB2087_308:
	buffer_load_dword v1, off, s[0:3], 0 offset:120
	buffer_load_dword v2, off, s[0:3], 0 offset:116
	;; [unrolled: 1-line block ×5, first 2 shown]
	s_waitcnt vmcnt(4)
	buffer_store_dword v1, off, s[0:3], 0 offset:4
	s_waitcnt vmcnt(4)
	buffer_store_dword v2, off, s[0:3], 0
	s_waitcnt vmcnt(4)
	buffer_store_dword v3, off, s[0:3], 0 offset:12
	s_waitcnt vmcnt(4)
	buffer_store_dword v4, off, s[0:3], 0 offset:8
	;; [unrolled: 2-line block ×3, first 2 shown]
	s_and_saveexec_b64 s[4:5], s[10:11]
	s_cbranch_execz .LBB2087_318
; %bb.309:
	buffer_load_ubyte v1, off, s[0:3], 0 offset:172
                                        ; implicit-def: $vgpr4_vgpr5
	s_waitcnt vmcnt(0)
	v_cmp_ne_u16_e32 vcc, 0, v1
	s_and_saveexec_b64 s[10:11], vcc
	s_xor_b64 s[10:11], exec, s[10:11]
	s_cbranch_execz .LBB2087_311
; %bb.310:
	buffer_load_dword v2, off, s[0:3], 0 offset:156
	buffer_load_dword v3, off, s[0:3], 0 offset:160
	;; [unrolled: 1-line block ×4, first 2 shown]
.LBB2087_311:
	s_andn2_saveexec_b64 s[10:11], s[10:11]
	s_cbranch_execz .LBB2087_317
; %bb.312:
	s_mov_b32 s14, 0
	s_waitcnt vmcnt(3)
	v_mov_b32_e32 v2, 0x60
	s_waitcnt vmcnt(2)
	v_mov_b32_e32 v3, 0
	s_waitcnt vmcnt(0)
.LBB2087_313:                           ; =>This Inner Loop Header: Depth=1
	v_add_u32_e32 v4, s14, v2
	s_add_i32 s14, s14, 8
	s_cmp_lg_u32 s14, 16
	buffer_store_dword v3, v4, s[0:3], 0 offen offset:4
	buffer_store_dword v3, v4, s[0:3], 0 offen
	s_cbranch_scc1 .LBB2087_313
; %bb.314:
	s_mov_b32 s14, 0
	v_mov_b32_e32 v2, 0
	v_mov_b32_e32 v3, 0x9c
	;; [unrolled: 1-line block ×3, first 2 shown]
.LBB2087_315:                           ; =>This Inner Loop Header: Depth=1
	v_add_u32_e32 v5, s14, v2
	v_add_u32_e32 v7, s14, v3
	buffer_load_dword v8, v5, s[0:3], 0 offen offset:4
	buffer_load_dword v9, v7, s[0:3], 0 offen
	buffer_load_dword v14, v5, s[0:3], 0 offen
	buffer_load_dword v15, v7, s[0:3], 0 offen offset:4
                                        ; kill: killed $vgpr5
	v_add_u32_e32 v5, s14, v4
	s_add_i32 s14, s14, 8
	s_cmp_lg_u32 s14, 16
                                        ; kill: killed $vgpr7
	s_waitcnt vmcnt(1)
	v_add_u32_e32 v7, v9, v14
	s_waitcnt vmcnt(0)
	v_add_u32_e32 v8, v15, v8
	buffer_store_dword v8, v5, s[0:3], 0 offen offset:4
	buffer_store_dword v7, v5, s[0:3], 0 offen
	s_cbranch_scc1 .LBB2087_315
; %bb.316:
	buffer_load_dword v2, off, s[0:3], 0 offset:96
	buffer_load_dword v3, off, s[0:3], 0 offset:100
	;; [unrolled: 1-line block ×4, first 2 shown]
.LBB2087_317:
	s_or_b64 exec, exec, s[10:11]
	s_add_i32 s14, s33, 64
	s_mul_i32 s10, s14, 20
	v_or_b32_e32 v1, v1, v6
	s_mul_hi_u32 s11, s14, 20
	s_add_u32 s10, s22, s10
	v_and_b32_e32 v1, 1, v1
	s_addc_u32 s11, s23, s11
	v_mov_b32_e32 v6, 0
	s_waitcnt vmcnt(0)
	global_store_dwordx4 v6, v[2:5], s[10:11]
	global_store_byte v6, v1, s[10:11] offset:16
	v_mov_b32_e32 v1, s14
	v_mov_b32_e32 v2, 2
	s_waitcnt vmcnt(0)
	buffer_wbinvl1_vol
	global_store_byte v1, v2, s[24:25]
	buffer_load_dword v2, off, s[0:3], 0
	s_nop 0
	buffer_load_dword v1, off, s[0:3], 0 offset:4
	buffer_load_dword v4, off, s[0:3], 0 offset:8
	;; [unrolled: 1-line block ×3, first 2 shown]
	buffer_load_ubyte v6, off, s[0:3], 0 offset:16
.LBB2087_318:
	s_or_b64 exec, exec, s[4:5]
	s_and_b64 exec, exec, s[18:19]
	s_cbranch_execz .LBB2087_320
; %bb.319:
	v_mov_b32_e32 v5, 0
	s_waitcnt vmcnt(3)
	ds_write2_b32 v5, v2, v1 offset0:15 offset1:16
	s_waitcnt vmcnt(1)
	ds_write2_b32 v5, v4, v3 offset0:17 offset1:18
	s_waitcnt vmcnt(0)
	ds_write_b8 v5, v6 offset:76
.LBB2087_320:
	s_or_b64 exec, exec, s[12:13]
	s_waitcnt lgkmcnt(0)
	s_barrier
	buffer_load_dword v1, off, s[0:3], 0 offset:220
	buffer_load_dword v7, off, s[0:3], 0 offset:216
	;; [unrolled: 1-line block ×5, first 2 shown]
	s_waitcnt vmcnt(5)
	v_mov_b32_e32 v6, 0
	ds_read2_b32 v[2:3], v6 offset0:15 offset1:16
	ds_read2_b32 v[4:5], v6 offset0:17 offset1:18
	ds_read_b32 v6, v6 offset:76
	s_waitcnt lgkmcnt(2)
	buffer_store_dword v3, off, s[0:3], 0 offset:4
	buffer_store_dword v2, off, s[0:3], 0
	s_waitcnt lgkmcnt(1)
	buffer_store_dword v5, off, s[0:3], 0 offset:12
	buffer_store_dword v4, off, s[0:3], 0 offset:8
	s_waitcnt lgkmcnt(0)
	buffer_store_dword v6, off, s[0:3], 0 offset:16
	buffer_store_dword v5, off, s[0:3], 0 offset:128
	;; [unrolled: 1-line block ×5, first 2 shown]
	s_waitcnt vmcnt(13)
	buffer_store_dword v1, off, s[0:3], 0 offset:108
	s_waitcnt vmcnt(13)
	buffer_store_dword v7, off, s[0:3], 0 offset:104
	;; [unrolled: 2-line block ×5, first 2 shown]
	buffer_store_dword v6, off, s[0:3], 0 offset:132
                                        ; implicit-def: $vgpr1
	s_and_saveexec_b64 s[4:5], s[8:9]
	s_xor_b64 s[4:5], exec, s[4:5]
	s_cbranch_execz .LBB2087_330
; %bb.321:
	buffer_load_ubyte v1, off, s[0:3], 0 offset:192
                                        ; implicit-def: $vgpr4_vgpr5
                                        ; implicit-def: $vgpr2_vgpr3
	s_waitcnt vmcnt(0)
	v_cmp_ne_u16_e32 vcc, 0, v1
	s_and_saveexec_b64 s[10:11], vcc
	s_xor_b64 s[10:11], exec, s[10:11]
	s_cbranch_execz .LBB2087_323
; %bb.322:
	buffer_load_dword v2, off, s[0:3], 0 offset:176
	buffer_load_dword v3, off, s[0:3], 0 offset:180
	;; [unrolled: 1-line block ×4, first 2 shown]
.LBB2087_323:
	s_andn2_saveexec_b64 s[10:11], s[10:11]
	s_cbranch_execz .LBB2087_329
; %bb.324:
	s_mov_b32 s12, 0
	s_waitcnt vmcnt(3)
	v_mov_b32_e32 v2, 0x88
	s_waitcnt vmcnt(2)
	v_mov_b32_e32 v3, 0
	s_waitcnt vmcnt(0)
.LBB2087_325:                           ; =>This Inner Loop Header: Depth=1
	v_add_u32_e32 v4, s12, v2
	s_add_i32 s12, s12, 8
	s_cmp_lg_u32 s12, 16
	buffer_store_dword v3, v4, s[0:3], 0 offen offset:4
	buffer_store_dword v3, v4, s[0:3], 0 offen
	s_cbranch_scc1 .LBB2087_325
; %bb.326:
	s_mov_b32 s12, 0
	v_mov_b32_e32 v2, 0
	v_mov_b32_e32 v3, 0xb0
	;; [unrolled: 1-line block ×3, first 2 shown]
.LBB2087_327:                           ; =>This Inner Loop Header: Depth=1
	v_add_u32_e32 v5, s12, v2
	v_add_u32_e32 v7, s12, v3
	buffer_load_dword v8, v5, s[0:3], 0 offen offset:4
	buffer_load_dword v9, v7, s[0:3], 0 offen
	buffer_load_dword v14, v5, s[0:3], 0 offen
	buffer_load_dword v15, v7, s[0:3], 0 offen offset:4
                                        ; kill: killed $vgpr5
	v_add_u32_e32 v5, s12, v4
	s_add_i32 s12, s12, 8
	s_cmp_lg_u32 s12, 16
                                        ; kill: killed $vgpr7
	s_waitcnt vmcnt(1)
	v_add_u32_e32 v7, v9, v14
	s_waitcnt vmcnt(0)
	v_add_u32_e32 v8, v15, v8
	buffer_store_dword v8, v5, s[0:3], 0 offen offset:4
	buffer_store_dword v7, v5, s[0:3], 0 offen
	s_cbranch_scc1 .LBB2087_327
; %bb.328:
	buffer_load_dword v2, off, s[0:3], 0 offset:136
	buffer_load_dword v3, off, s[0:3], 0 offset:140
	;; [unrolled: 1-line block ×4, first 2 shown]
.LBB2087_329:
	s_or_b64 exec, exec, s[10:11]
	v_or_b32_e32 v1, v1, v6
	v_and_b32_e32 v1, 1, v1
	s_waitcnt vmcnt(2)
	buffer_store_dword v3, off, s[0:3], 0 offset:120
	buffer_store_dword v2, off, s[0:3], 0 offset:116
	s_waitcnt vmcnt(2)
	buffer_store_dword v5, off, s[0:3], 0 offset:128
	buffer_store_dword v4, off, s[0:3], 0 offset:124
.LBB2087_330:
	s_andn2_saveexec_b64 s[4:5], s[4:5]
	s_cbranch_execz .LBB2087_332
; %bb.331:
	buffer_load_ubyte v1, off, s[0:3], 0 offset:132
.LBB2087_332:
	s_or_b64 exec, exec, s[4:5]
	buffer_load_dword v2, off, s[0:3], 0 offset:128
	buffer_load_dword v3, off, s[0:3], 0 offset:124
	;; [unrolled: 1-line block ×4, first 2 shown]
	buffer_load_ubyte v7, off, s[0:3], 0 offset:112
	s_waitcnt vmcnt(5)
	buffer_store_byte v1, off, s[0:3], 0 offset:224
	s_waitcnt vmcnt(5)
	buffer_store_dword v2, off, s[0:3], 0 offset:220
	s_waitcnt vmcnt(5)
	buffer_store_dword v3, off, s[0:3], 0 offset:216
	;; [unrolled: 2-line block ×4, first 2 shown]
	s_waitcnt vmcnt(5)
	v_cmp_ne_u16_e32 vcc, 0, v7
                                        ; implicit-def: $vgpr4_vgpr5
                                        ; implicit-def: $vgpr2_vgpr3
	s_and_saveexec_b64 s[4:5], vcc
	s_xor_b64 s[4:5], exec, s[4:5]
	s_cbranch_execz .LBB2087_334
; %bb.333:
	buffer_load_dword v2, off, s[0:3], 0 offset:96
	buffer_load_dword v3, off, s[0:3], 0 offset:100
	;; [unrolled: 1-line block ×4, first 2 shown]
.LBB2087_334:
	s_andn2_saveexec_b64 s[4:5], s[4:5]
	s_cbranch_execz .LBB2087_340
; %bb.335:
	s_mov_b32 s10, 0
	s_waitcnt vmcnt(3)
	v_mov_b32_e32 v2, 0x88
	s_waitcnt vmcnt(2)
	v_mov_b32_e32 v3, 0
	s_waitcnt vmcnt(0)
.LBB2087_336:                           ; =>This Inner Loop Header: Depth=1
	v_add_u32_e32 v4, s10, v2
	s_add_i32 s10, s10, 8
	s_cmp_lg_u32 s10, 16
	buffer_store_dword v3, v4, s[0:3], 0 offen offset:4
	buffer_store_dword v3, v4, s[0:3], 0 offen
	s_cbranch_scc1 .LBB2087_336
; %bb.337:
	s_mov_b32 s10, 0
	v_mov_b32_e32 v2, 0x74
	v_mov_b32_e32 v3, 0x60
	;; [unrolled: 1-line block ×3, first 2 shown]
.LBB2087_338:                           ; =>This Inner Loop Header: Depth=1
	v_add_u32_e32 v5, s10, v2
	v_add_u32_e32 v6, s10, v3
	buffer_load_dword v8, v5, s[0:3], 0 offen offset:4
	buffer_load_dword v9, v6, s[0:3], 0 offen
	buffer_load_dword v14, v5, s[0:3], 0 offen
	buffer_load_dword v15, v6, s[0:3], 0 offen offset:4
                                        ; kill: killed $vgpr5
	v_add_u32_e32 v5, s10, v4
	s_add_i32 s10, s10, 8
	s_cmp_lg_u32 s10, 16
                                        ; kill: killed $vgpr6
	s_waitcnt vmcnt(1)
	v_add_u32_e32 v6, v9, v14
	s_waitcnt vmcnt(0)
	v_add_u32_e32 v8, v15, v8
	buffer_store_dword v8, v5, s[0:3], 0 offen offset:4
	buffer_store_dword v6, v5, s[0:3], 0 offen
	s_cbranch_scc1 .LBB2087_338
; %bb.339:
	buffer_load_dword v2, off, s[0:3], 0 offset:136
	buffer_load_dword v3, off, s[0:3], 0 offset:140
	;; [unrolled: 1-line block ×4, first 2 shown]
.LBB2087_340:
	s_or_b64 exec, exec, s[4:5]
	buffer_load_dword v8, v10, s[0:3], 0 offen offset:12
	buffer_load_dword v9, v10, s[0:3], 0 offen offset:8
	;; [unrolled: 1-line block ×3, first 2 shown]
	buffer_load_dword v15, v10, s[0:3], 0 offen
	buffer_load_ubyte v6, off, s[0:3], 0 offset:244
	v_or_b32_e32 v1, v7, v1
	v_and_b32_e32 v1, 1, v1
	v_cmp_eq_u32_e32 vcc, 1, v1
	s_waitcnt vmcnt(7)
	buffer_store_dword v3, off, s[0:3], 0 offset:120
	buffer_store_dword v2, off, s[0:3], 0 offset:116
	s_waitcnt vmcnt(7)
	buffer_store_dword v5, off, s[0:3], 0 offset:128
	buffer_store_dword v4, off, s[0:3], 0 offset:124
	buffer_store_dword v2, v10, s[0:3], 0 offen
	buffer_store_dword v3, v10, s[0:3], 0 offen offset:4
	buffer_store_dword v4, v10, s[0:3], 0 offen offset:8
	;; [unrolled: 1-line block ×3, first 2 shown]
                                        ; implicit-def: $vgpr4_vgpr5
                                        ; implicit-def: $vgpr2_vgpr3
	buffer_store_byte v1, off, s[0:3], 0 offset:244
	s_waitcnt vmcnt(13)
	buffer_store_dword v8, off, s[0:3], 0 offset:108
	s_waitcnt vmcnt(13)
	buffer_store_dword v9, off, s[0:3], 0 offset:104
	;; [unrolled: 2-line block ×4, first 2 shown]
	s_waitcnt vmcnt(13)
	v_cmp_ne_u16_e64 s[4:5], 0, v6
	s_and_saveexec_b64 s[10:11], s[4:5]
	s_xor_b64 s[4:5], exec, s[10:11]
	s_cbranch_execz .LBB2087_342
; %bb.341:
	buffer_load_dword v2, off, s[0:3], 0 offset:96
	buffer_load_dword v3, off, s[0:3], 0 offset:100
	;; [unrolled: 1-line block ×4, first 2 shown]
.LBB2087_342:
	s_andn2_saveexec_b64 s[4:5], s[4:5]
	s_cbranch_execz .LBB2087_348
; %bb.343:
	s_mov_b32 s10, 0
	v_mov_b32_e32 v1, 0x88
	s_waitcnt vmcnt(3)
	v_mov_b32_e32 v2, 0
	s_waitcnt vmcnt(0)
.LBB2087_344:                           ; =>This Inner Loop Header: Depth=1
	v_add_u32_e32 v3, s10, v1
	s_add_i32 s10, s10, 8
	s_cmp_lg_u32 s10, 16
	buffer_store_dword v2, v3, s[0:3], 0 offen offset:4
	buffer_store_dword v2, v3, s[0:3], 0 offen
	s_cbranch_scc1 .LBB2087_344
; %bb.345:
	s_mov_b32 s10, 0
	v_mov_b32_e32 v1, 0x74
	v_mov_b32_e32 v2, 0x60
	;; [unrolled: 1-line block ×3, first 2 shown]
.LBB2087_346:                           ; =>This Inner Loop Header: Depth=1
	v_add_u32_e32 v4, s10, v1
	v_add_u32_e32 v5, s10, v2
	buffer_load_dword v7, v4, s[0:3], 0 offen offset:4
	buffer_load_dword v8, v5, s[0:3], 0 offen
	buffer_load_dword v9, v4, s[0:3], 0 offen
	buffer_load_dword v14, v5, s[0:3], 0 offen offset:4
                                        ; kill: killed $vgpr4
	v_add_u32_e32 v4, s10, v3
	s_add_i32 s10, s10, 8
	s_cmp_lg_u32 s10, 16
                                        ; kill: killed $vgpr5
	s_waitcnt vmcnt(1)
	v_add_u32_e32 v5, v8, v9
	s_waitcnt vmcnt(0)
	v_add_u32_e32 v7, v14, v7
	buffer_store_dword v7, v4, s[0:3], 0 offen offset:4
	buffer_store_dword v5, v4, s[0:3], 0 offen
	s_cbranch_scc1 .LBB2087_346
; %bb.347:
	buffer_load_dword v2, off, s[0:3], 0 offset:136
	buffer_load_dword v3, off, s[0:3], 0 offset:140
	buffer_load_dword v4, off, s[0:3], 0 offset:144
	buffer_load_dword v5, off, s[0:3], 0 offset:148
.LBB2087_348:
	s_or_b64 exec, exec, s[4:5]
	buffer_load_dword v7, v11, s[0:3], 0 offen offset:12
	buffer_load_dword v8, v11, s[0:3], 0 offen offset:8
	;; [unrolled: 1-line block ×3, first 2 shown]
	buffer_load_dword v14, v11, s[0:3], 0 offen
	buffer_load_ubyte v1, off, s[0:3], 0 offset:264
	v_and_b32_e32 v6, 1, v6
	v_cmp_eq_u32_e64 s[4:5], 1, v6
	s_or_b64 s[4:5], s[4:5], vcc
	s_waitcnt vmcnt(7)
	buffer_store_dword v3, off, s[0:3], 0 offset:120
	buffer_store_dword v2, off, s[0:3], 0 offset:116
	s_waitcnt vmcnt(7)
	buffer_store_dword v5, off, s[0:3], 0 offset:128
	buffer_store_dword v4, off, s[0:3], 0 offset:124
	buffer_store_dword v2, v11, s[0:3], 0 offen
	buffer_store_dword v3, v11, s[0:3], 0 offen offset:4
	buffer_store_dword v4, v11, s[0:3], 0 offen offset:8
	;; [unrolled: 1-line block ×3, first 2 shown]
	v_cndmask_b32_e64 v2, 0, 1, s[4:5]
                                        ; implicit-def: $vgpr4_vgpr5
	buffer_store_byte v2, off, s[0:3], 0 offset:264
	s_waitcnt vmcnt(13)
	buffer_store_dword v7, off, s[0:3], 0 offset:108
	s_waitcnt vmcnt(13)
	buffer_store_dword v8, off, s[0:3], 0 offset:104
	;; [unrolled: 2-line block ×4, first 2 shown]
	s_waitcnt vmcnt(13)
	v_cmp_ne_u16_e32 vcc, 0, v1
                                        ; implicit-def: $vgpr2_vgpr3
	s_and_saveexec_b64 s[10:11], vcc
	s_xor_b64 s[10:11], exec, s[10:11]
	s_cbranch_execz .LBB2087_350
; %bb.349:
	buffer_load_dword v2, off, s[0:3], 0 offset:96
	buffer_load_dword v3, off, s[0:3], 0 offset:100
	;; [unrolled: 1-line block ×4, first 2 shown]
.LBB2087_350:
	s_andn2_saveexec_b64 s[10:11], s[10:11]
	s_cbranch_execz .LBB2087_356
; %bb.351:
	s_mov_b32 s12, 0
	s_waitcnt vmcnt(3)
	v_mov_b32_e32 v2, 0x88
	s_waitcnt vmcnt(2)
	v_mov_b32_e32 v3, 0
	s_waitcnt vmcnt(0)
.LBB2087_352:                           ; =>This Inner Loop Header: Depth=1
	v_add_u32_e32 v4, s12, v2
	s_add_i32 s12, s12, 8
	s_cmp_lg_u32 s12, 16
	buffer_store_dword v3, v4, s[0:3], 0 offen offset:4
	buffer_store_dword v3, v4, s[0:3], 0 offen
	s_cbranch_scc1 .LBB2087_352
; %bb.353:
	s_mov_b32 s12, 0
	v_mov_b32_e32 v2, 0x74
	v_mov_b32_e32 v3, 0x60
	;; [unrolled: 1-line block ×3, first 2 shown]
.LBB2087_354:                           ; =>This Inner Loop Header: Depth=1
	v_add_u32_e32 v5, s12, v2
	v_add_u32_e32 v6, s12, v3
	buffer_load_dword v7, v5, s[0:3], 0 offen offset:4
	buffer_load_dword v8, v6, s[0:3], 0 offen
	buffer_load_dword v9, v5, s[0:3], 0 offen
	buffer_load_dword v14, v6, s[0:3], 0 offen offset:4
                                        ; kill: killed $vgpr5
	v_add_u32_e32 v5, s12, v4
	s_add_i32 s12, s12, 8
	s_cmp_lg_u32 s12, 16
                                        ; kill: killed $vgpr6
	s_waitcnt vmcnt(1)
	v_add_u32_e32 v6, v8, v9
	s_waitcnt vmcnt(0)
	v_add_u32_e32 v7, v14, v7
	buffer_store_dword v7, v5, s[0:3], 0 offen offset:4
	buffer_store_dword v6, v5, s[0:3], 0 offen
	s_cbranch_scc1 .LBB2087_354
; %bb.355:
	buffer_load_dword v2, off, s[0:3], 0 offset:136
	buffer_load_dword v3, off, s[0:3], 0 offset:140
	buffer_load_dword v4, off, s[0:3], 0 offset:144
	buffer_load_dword v5, off, s[0:3], 0 offset:148
.LBB2087_356:
	s_or_b64 exec, exec, s[10:11]
	buffer_load_dword v7, v12, s[0:3], 0 offen offset:12
	buffer_load_dword v8, v12, s[0:3], 0 offen offset:8
	;; [unrolled: 1-line block ×3, first 2 shown]
	buffer_load_dword v14, v12, s[0:3], 0 offen
	buffer_load_ubyte v6, off, s[0:3], 0 offset:284
	v_and_b32_e32 v1, 1, v1
	v_cmp_eq_u32_e32 vcc, 1, v1
	s_or_b64 s[4:5], vcc, s[4:5]
	v_cndmask_b32_e64 v1, 0, 1, s[4:5]
	s_waitcnt vmcnt(7)
	buffer_store_dword v3, off, s[0:3], 0 offset:120
	buffer_store_dword v2, off, s[0:3], 0 offset:116
	s_waitcnt vmcnt(7)
	buffer_store_dword v5, off, s[0:3], 0 offset:128
	buffer_store_dword v4, off, s[0:3], 0 offset:124
	buffer_store_dword v2, v12, s[0:3], 0 offen
	buffer_store_dword v3, v12, s[0:3], 0 offen offset:4
	buffer_store_dword v4, v12, s[0:3], 0 offen offset:8
	;; [unrolled: 1-line block ×3, first 2 shown]
                                        ; implicit-def: $vgpr4_vgpr5
                                        ; implicit-def: $vgpr2_vgpr3
	buffer_store_byte v1, off, s[0:3], 0 offset:284
	s_waitcnt vmcnt(13)
	buffer_store_dword v7, off, s[0:3], 0 offset:108
	s_waitcnt vmcnt(13)
	buffer_store_dword v8, off, s[0:3], 0 offset:104
	;; [unrolled: 2-line block ×4, first 2 shown]
	s_waitcnt vmcnt(13)
	v_cmp_ne_u16_e32 vcc, 0, v6
	s_and_saveexec_b64 s[10:11], vcc
	s_xor_b64 s[10:11], exec, s[10:11]
	s_cbranch_execz .LBB2087_358
; %bb.357:
	buffer_load_dword v2, off, s[0:3], 0 offset:96
	buffer_load_dword v3, off, s[0:3], 0 offset:100
	;; [unrolled: 1-line block ×4, first 2 shown]
.LBB2087_358:
	s_andn2_saveexec_b64 s[10:11], s[10:11]
	s_cbranch_execz .LBB2087_364
; %bb.359:
	s_mov_b32 s12, 0
	v_mov_b32_e32 v1, 0x88
	s_waitcnt vmcnt(3)
	v_mov_b32_e32 v2, 0
	s_waitcnt vmcnt(0)
.LBB2087_360:                           ; =>This Inner Loop Header: Depth=1
	v_add_u32_e32 v3, s12, v1
	s_add_i32 s12, s12, 8
	s_cmp_lg_u32 s12, 16
	buffer_store_dword v2, v3, s[0:3], 0 offen offset:4
	buffer_store_dword v2, v3, s[0:3], 0 offen
	s_cbranch_scc1 .LBB2087_360
; %bb.361:
	s_mov_b32 s12, 0
	v_mov_b32_e32 v1, 0x74
	v_mov_b32_e32 v2, 0x60
	;; [unrolled: 1-line block ×3, first 2 shown]
.LBB2087_362:                           ; =>This Inner Loop Header: Depth=1
	v_add_u32_e32 v4, s12, v1
	v_add_u32_e32 v5, s12, v2
	buffer_load_dword v7, v4, s[0:3], 0 offen offset:4
	buffer_load_dword v8, v5, s[0:3], 0 offen
	buffer_load_dword v9, v4, s[0:3], 0 offen
	buffer_load_dword v14, v5, s[0:3], 0 offen offset:4
                                        ; kill: killed $vgpr4
	v_add_u32_e32 v4, s12, v3
	s_add_i32 s12, s12, 8
	s_cmp_lg_u32 s12, 16
                                        ; kill: killed $vgpr5
	s_waitcnt vmcnt(1)
	v_add_u32_e32 v5, v8, v9
	s_waitcnt vmcnt(0)
	v_add_u32_e32 v7, v14, v7
	buffer_store_dword v7, v4, s[0:3], 0 offen offset:4
	buffer_store_dword v5, v4, s[0:3], 0 offen
	s_cbranch_scc1 .LBB2087_362
; %bb.363:
	buffer_load_dword v2, off, s[0:3], 0 offset:136
	buffer_load_dword v3, off, s[0:3], 0 offset:140
	;; [unrolled: 1-line block ×4, first 2 shown]
.LBB2087_364:
	s_or_b64 exec, exec, s[10:11]
	v_and_b32_e32 v1, 1, v6
	v_cmp_eq_u32_e32 vcc, 1, v1
	s_or_b64 s[4:5], vcc, s[4:5]
	v_cndmask_b32_e64 v1, 0, 1, s[4:5]
	s_waitcnt vmcnt(0)
	buffer_store_dword v5, v13, s[0:3], 0 offen offset:12
	buffer_store_dword v4, v13, s[0:3], 0 offen offset:8
	;; [unrolled: 1-line block ×3, first 2 shown]
	buffer_store_dword v2, v13, s[0:3], 0 offen
	buffer_store_byte v1, off, s[0:3], 0 offset:304
	s_branch .LBB2087_539
.LBB2087_365:
	s_cbranch_execz .LBB2087_539
; %bb.366:
	s_cmp_lg_u64 s[48:49], 0
	s_cselect_b32 s5, s47, 0
	s_cselect_b32 s4, s46, 0
	s_mov_b32 s10, 0
	s_cmp_eq_u64 s[4:5], 0
	v_pk_mov_b32 v[2:3], s[28:29], s[28:29] op_sel:[0,1]
	v_pk_mov_b32 v[4:5], s[30:31], s[30:31] op_sel:[0,1]
	s_cbranch_scc1 .LBB2087_368
; %bb.367:
	v_mov_b32_e32 v1, 0
	global_load_dwordx4 v[2:5], v1, s[4:5]
.LBB2087_368:
	v_mov_b32_e32 v1, 0
	v_mov_b32_e32 v6, 0xb0
	buffer_store_dword v1, off, s[0:3], 0 offset:188
	buffer_store_dword v1, off, s[0:3], 0 offset:184
	buffer_store_dword v1, off, s[0:3], 0 offset:180
	buffer_store_dword v1, off, s[0:3], 0 offset:176
	buffer_store_dword v1, off, s[0:3], 0 offset:192
.LBB2087_369:                           ; =>This Inner Loop Header: Depth=1
	v_add_u32_e32 v7, s10, v6
	s_add_i32 s10, s10, 8
	s_cmp_lg_u32 s10, 16
	buffer_store_dword v1, v7, s[0:3], 0 offen offset:4
	buffer_store_dword v1, v7, s[0:3], 0 offen
	s_cbranch_scc1 .LBB2087_369
; %bb.370:
	buffer_load_dword v6, off, s[0:3], 0 offset:220
	buffer_load_dword v7, off, s[0:3], 0 offset:216
	buffer_load_dword v8, off, s[0:3], 0 offset:212
	buffer_load_dword v9, off, s[0:3], 0 offset:208
	buffer_load_dword v1, off, s[0:3], 0 offset:224
	buffer_load_ubyte v14, off, s[0:3], 0 offset:244
	v_mov_b32_e32 v15, 0
	s_waitcnt vmcnt(13)
	buffer_store_dword v3, off, s[0:3], 0 offset:160
	buffer_store_dword v2, off, s[0:3], 0 offset:156
	;; [unrolled: 1-line block ×4, first 2 shown]
	buffer_store_byte v15, off, s[0:3], 0 offset:192
	buffer_store_byte v15, off, s[0:3], 0 offset:172
	s_waitcnt vmcnt(11)
	buffer_store_dword v6, off, s[0:3], 0 offset:148
	s_waitcnt vmcnt(11)
	buffer_store_dword v7, off, s[0:3], 0 offset:144
	;; [unrolled: 2-line block ×5, first 2 shown]
	s_waitcnt vmcnt(11)
	v_cmp_ne_u16_e32 vcc, 0, v14
                                        ; implicit-def: $vgpr8_vgpr9
                                        ; implicit-def: $vgpr6_vgpr7
	s_and_saveexec_b64 s[4:5], vcc
	s_xor_b64 s[4:5], exec, s[4:5]
	s_cbranch_execz .LBB2087_372
; %bb.371:
	buffer_load_dword v6, off, s[0:3], 0 offset:228
	buffer_load_dword v7, off, s[0:3], 0 offset:232
	;; [unrolled: 1-line block ×4, first 2 shown]
.LBB2087_372:
	s_andn2_saveexec_b64 s[4:5], s[4:5]
	s_cbranch_execz .LBB2087_378
; %bb.373:
	s_mov_b32 s10, 0
	s_waitcnt vmcnt(3)
	v_mov_b32_e32 v6, 0
	s_waitcnt vmcnt(2)
	v_mov_b32_e32 v7, 0
	s_waitcnt vmcnt(0)
.LBB2087_374:                           ; =>This Inner Loop Header: Depth=1
	v_add_u32_e32 v8, s10, v6
	s_add_i32 s10, s10, 8
	s_cmp_lg_u32 s10, 16
	buffer_store_dword v7, v8, s[0:3], 0 offen offset:4
	buffer_store_dword v7, v8, s[0:3], 0 offen
	s_cbranch_scc1 .LBB2087_374
; %bb.375:
	s_mov_b32 s10, 0
	v_mov_b32_e32 v6, 0x88
	v_mov_b32_e32 v7, 0xd0
	;; [unrolled: 1-line block ×3, first 2 shown]
.LBB2087_376:                           ; =>This Inner Loop Header: Depth=1
	v_add_u32_e32 v9, s10, v6
	v_add_u32_e32 v15, s10, v7
	buffer_load_dword v16, v9, s[0:3], 0 offen offset:4
	buffer_load_dword v17, v15, s[0:3], 0 offen offset:20
	buffer_load_dword v18, v9, s[0:3], 0 offen
	buffer_load_dword v19, v15, s[0:3], 0 offen offset:24
                                        ; kill: killed $vgpr9
	v_add_u32_e32 v9, s10, v8
	s_add_i32 s10, s10, 8
	s_cmp_lg_u32 s10, 16
                                        ; kill: killed $vgpr15
	s_waitcnt vmcnt(1)
	v_add_u32_e32 v15, v17, v18
	s_waitcnt vmcnt(0)
	v_add_u32_e32 v16, v19, v16
	buffer_store_dword v16, v9, s[0:3], 0 offen offset:4
	buffer_store_dword v15, v9, s[0:3], 0 offen
	s_cbranch_scc1 .LBB2087_376
; %bb.377:
	buffer_load_dword v6, off, s[0:3], 0
	buffer_load_dword v7, off, s[0:3], 0 offset:4
	buffer_load_dword v8, off, s[0:3], 0 offset:8
	;; [unrolled: 1-line block ×3, first 2 shown]
.LBB2087_378:
	s_or_b64 exec, exec, s[4:5]
	buffer_load_ubyte v15, off, s[0:3], 0 offset:264
	s_waitcnt vmcnt(3)
	buffer_store_dword v7, off, s[0:3], 0 offset:140
	buffer_store_dword v6, off, s[0:3], 0 offset:136
	s_waitcnt vmcnt(3)
	buffer_store_dword v9, off, s[0:3], 0 offset:148
	buffer_store_dword v8, off, s[0:3], 0 offset:144
                                        ; implicit-def: $vgpr8_vgpr9
                                        ; implicit-def: $vgpr6_vgpr7
	s_waitcnt vmcnt(4)
	v_cmp_ne_u16_e32 vcc, 0, v15
	s_and_saveexec_b64 s[4:5], vcc
	s_xor_b64 s[4:5], exec, s[4:5]
	s_cbranch_execz .LBB2087_380
; %bb.379:
	buffer_load_dword v6, off, s[0:3], 0 offset:248
	buffer_load_dword v7, off, s[0:3], 0 offset:252
	;; [unrolled: 1-line block ×4, first 2 shown]
.LBB2087_380:
	s_andn2_saveexec_b64 s[4:5], s[4:5]
	s_cbranch_execz .LBB2087_386
; %bb.381:
	s_mov_b32 s10, 0
	s_waitcnt vmcnt(3)
	v_mov_b32_e32 v6, 0
	s_waitcnt vmcnt(2)
	v_mov_b32_e32 v7, 0
	s_waitcnt vmcnt(0)
.LBB2087_382:                           ; =>This Inner Loop Header: Depth=1
	v_add_u32_e32 v8, s10, v6
	s_add_i32 s10, s10, 8
	s_cmp_lg_u32 s10, 16
	buffer_store_dword v7, v8, s[0:3], 0 offen offset:4
	buffer_store_dword v7, v8, s[0:3], 0 offen
	s_cbranch_scc1 .LBB2087_382
; %bb.383:
	s_mov_b32 s10, 0
	v_mov_b32_e32 v6, 0x88
	v_mov_b32_e32 v7, 0xd0
	;; [unrolled: 1-line block ×3, first 2 shown]
.LBB2087_384:                           ; =>This Inner Loop Header: Depth=1
	v_add_u32_e32 v9, s10, v6
	v_add_u32_e32 v16, s10, v7
	buffer_load_dword v17, v9, s[0:3], 0 offen offset:4
	buffer_load_dword v18, v16, s[0:3], 0 offen offset:40
	buffer_load_dword v19, v9, s[0:3], 0 offen
	buffer_load_dword v20, v16, s[0:3], 0 offen offset:44
                                        ; kill: killed $vgpr9
	v_add_u32_e32 v9, s10, v8
	s_add_i32 s10, s10, 8
	s_cmp_lg_u32 s10, 16
                                        ; kill: killed $vgpr16
	s_waitcnt vmcnt(1)
	v_add_u32_e32 v16, v18, v19
	s_waitcnt vmcnt(0)
	v_add_u32_e32 v17, v20, v17
	buffer_store_dword v17, v9, s[0:3], 0 offen offset:4
	buffer_store_dword v16, v9, s[0:3], 0 offen
	s_cbranch_scc1 .LBB2087_384
; %bb.385:
	buffer_load_dword v6, off, s[0:3], 0
	buffer_load_dword v7, off, s[0:3], 0 offset:4
	buffer_load_dword v8, off, s[0:3], 0 offset:8
	;; [unrolled: 1-line block ×3, first 2 shown]
.LBB2087_386:
	s_or_b64 exec, exec, s[4:5]
	buffer_load_ubyte v16, off, s[0:3], 0 offset:284
	s_waitcnt vmcnt(3)
	buffer_store_dword v7, off, s[0:3], 0 offset:140
	buffer_store_dword v6, off, s[0:3], 0 offset:136
	s_waitcnt vmcnt(3)
	buffer_store_dword v9, off, s[0:3], 0 offset:148
	buffer_store_dword v8, off, s[0:3], 0 offset:144
                                        ; implicit-def: $vgpr8_vgpr9
                                        ; implicit-def: $vgpr6_vgpr7
	s_waitcnt vmcnt(4)
	v_cmp_ne_u16_e32 vcc, 0, v16
	s_and_saveexec_b64 s[4:5], vcc
	s_xor_b64 s[4:5], exec, s[4:5]
	s_cbranch_execz .LBB2087_388
; %bb.387:
	buffer_load_dword v6, off, s[0:3], 0 offset:268
	buffer_load_dword v7, off, s[0:3], 0 offset:272
	;; [unrolled: 1-line block ×4, first 2 shown]
.LBB2087_388:
	s_andn2_saveexec_b64 s[4:5], s[4:5]
	s_cbranch_execz .LBB2087_394
; %bb.389:
	s_mov_b32 s10, 0
	s_waitcnt vmcnt(3)
	v_mov_b32_e32 v6, 0
	s_waitcnt vmcnt(2)
	v_mov_b32_e32 v7, 0
	s_waitcnt vmcnt(0)
.LBB2087_390:                           ; =>This Inner Loop Header: Depth=1
	v_add_u32_e32 v8, s10, v6
	s_add_i32 s10, s10, 8
	s_cmp_lg_u32 s10, 16
	buffer_store_dword v7, v8, s[0:3], 0 offen offset:4
	buffer_store_dword v7, v8, s[0:3], 0 offen
	s_cbranch_scc1 .LBB2087_390
; %bb.391:
	s_mov_b32 s10, 0
	v_mov_b32_e32 v6, 0x88
	v_mov_b32_e32 v7, 0xd0
	;; [unrolled: 1-line block ×3, first 2 shown]
.LBB2087_392:                           ; =>This Inner Loop Header: Depth=1
	v_add_u32_e32 v9, s10, v6
	v_add_u32_e32 v17, s10, v7
	buffer_load_dword v18, v9, s[0:3], 0 offen offset:4
	buffer_load_dword v19, v17, s[0:3], 0 offen offset:60
	buffer_load_dword v20, v9, s[0:3], 0 offen
	buffer_load_dword v21, v17, s[0:3], 0 offen offset:64
                                        ; kill: killed $vgpr9
	v_add_u32_e32 v9, s10, v8
	s_add_i32 s10, s10, 8
	s_cmp_lg_u32 s10, 16
                                        ; kill: killed $vgpr17
	s_waitcnt vmcnt(1)
	v_add_u32_e32 v17, v19, v20
	s_waitcnt vmcnt(0)
	v_add_u32_e32 v18, v21, v18
	buffer_store_dword v18, v9, s[0:3], 0 offen offset:4
	buffer_store_dword v17, v9, s[0:3], 0 offen
	s_cbranch_scc1 .LBB2087_392
; %bb.393:
	buffer_load_dword v6, off, s[0:3], 0
	buffer_load_dword v7, off, s[0:3], 0 offset:4
	buffer_load_dword v8, off, s[0:3], 0 offset:8
	;; [unrolled: 1-line block ×3, first 2 shown]
.LBB2087_394:
	s_or_b64 exec, exec, s[4:5]
	buffer_load_ubyte v17, off, s[0:3], 0 offset:304
	s_waitcnt vmcnt(3)
	buffer_store_dword v7, off, s[0:3], 0 offset:140
	buffer_store_dword v6, off, s[0:3], 0 offset:136
	s_waitcnt vmcnt(3)
	buffer_store_dword v9, off, s[0:3], 0 offset:148
	buffer_store_dword v8, off, s[0:3], 0 offset:144
                                        ; implicit-def: $vgpr8_vgpr9
                                        ; implicit-def: $vgpr6_vgpr7
	s_waitcnt vmcnt(4)
	v_cmp_ne_u16_e32 vcc, 0, v17
	s_and_saveexec_b64 s[4:5], vcc
	s_xor_b64 s[4:5], exec, s[4:5]
	s_cbranch_execz .LBB2087_396
; %bb.395:
	buffer_load_dword v6, off, s[0:3], 0 offset:288
	buffer_load_dword v7, off, s[0:3], 0 offset:292
	;; [unrolled: 1-line block ×4, first 2 shown]
.LBB2087_396:
	s_andn2_saveexec_b64 s[4:5], s[4:5]
	s_cbranch_execz .LBB2087_402
; %bb.397:
	s_mov_b32 s10, 0
	s_waitcnt vmcnt(3)
	v_mov_b32_e32 v6, 0
	s_waitcnt vmcnt(2)
	v_mov_b32_e32 v7, 0
	s_waitcnt vmcnt(0)
.LBB2087_398:                           ; =>This Inner Loop Header: Depth=1
	v_add_u32_e32 v8, s10, v6
	s_add_i32 s10, s10, 8
	s_cmp_lg_u32 s10, 16
	buffer_store_dword v7, v8, s[0:3], 0 offen offset:4
	buffer_store_dword v7, v8, s[0:3], 0 offen
	s_cbranch_scc1 .LBB2087_398
; %bb.399:
	s_mov_b32 s10, 0
	v_mov_b32_e32 v6, 0x88
	v_mov_b32_e32 v7, 0xd0
	;; [unrolled: 1-line block ×3, first 2 shown]
.LBB2087_400:                           ; =>This Inner Loop Header: Depth=1
	v_add_u32_e32 v9, s10, v6
	v_add_u32_e32 v18, s10, v7
	buffer_load_dword v19, v9, s[0:3], 0 offen offset:4
	buffer_load_dword v20, v18, s[0:3], 0 offen offset:80
	buffer_load_dword v21, v9, s[0:3], 0 offen
	buffer_load_dword v22, v18, s[0:3], 0 offen offset:84
                                        ; kill: killed $vgpr9
	v_add_u32_e32 v9, s10, v8
	s_add_i32 s10, s10, 8
	s_cmp_lg_u32 s10, 16
                                        ; kill: killed $vgpr18
	s_waitcnt vmcnt(1)
	v_add_u32_e32 v18, v20, v21
	s_waitcnt vmcnt(0)
	v_add_u32_e32 v19, v22, v19
	buffer_store_dword v19, v9, s[0:3], 0 offen offset:4
	buffer_store_dword v18, v9, s[0:3], 0 offen
	s_cbranch_scc1 .LBB2087_400
; %bb.401:
	buffer_load_dword v6, off, s[0:3], 0
	buffer_load_dword v7, off, s[0:3], 0 offset:4
	buffer_load_dword v8, off, s[0:3], 0 offset:8
	;; [unrolled: 1-line block ×3, first 2 shown]
.LBB2087_402:
	s_or_b64 exec, exec, s[4:5]
	v_or_b32_e32 v16, v17, v16
	v_or_b32_e32 v15, v16, v15
	;; [unrolled: 1-line block ×4, first 2 shown]
	v_and_b32_e32 v1, 1, v1
	buffer_store_byte v1, off, s[0:3], 0 offset:152
	buffer_load_dword v14, off, s[0:3], 0 offset:152
	v_mbcnt_lo_u32_b32 v1, -1, 0
	v_mov_b32_e32 v17, 0
	s_waitcnt vmcnt(5)
	v_mov_b32_dpp v15, v6 row_shr:1 row_mask:0xf bank_mask:0xf
	v_mbcnt_hi_u32_b32 v1, -1, v1
	buffer_store_dword v3, off, s[0:3], 0 offset:120
	buffer_store_dword v2, off, s[0:3], 0 offset:116
	;; [unrolled: 1-line block ×4, first 2 shown]
	s_waitcnt vmcnt(8)
	buffer_store_dword v7, off, s[0:3], 0 offset:140
	buffer_store_dword v6, off, s[0:3], 0 offset:136
	s_waitcnt vmcnt(8)
	buffer_store_dword v9, off, s[0:3], 0 offset:148
	buffer_store_dword v8, off, s[0:3], 0 offset:144
	v_mov_b32_dpp v16, v7 row_shr:1 row_mask:0xf bank_mask:0xf
	v_mov_b32_dpp v18, v8 row_shr:1 row_mask:0xf bank_mask:0xf
	;; [unrolled: 1-line block ×3, first 2 shown]
	buffer_store_byte v17, off, s[0:3], 0 offset:132
	buffer_store_dword v15, off, s[0:3], 0
	buffer_store_dword v16, off, s[0:3], 0 offset:4
	buffer_store_dword v18, off, s[0:3], 0 offset:8
	;; [unrolled: 1-line block ×3, first 2 shown]
	v_and_b32_e32 v15, 15, v1
	v_cmp_ne_u32_e32 vcc, 0, v15
	s_waitcnt vmcnt(13)
	v_mov_b32_dpp v16, v14 row_shr:1 row_mask:0xf bank_mask:0xf
	buffer_store_dword v16, off, s[0:3], 0 offset:16
	s_and_saveexec_b64 s[4:5], vcc
	s_xor_b64 s[4:5], exec, s[4:5]
	s_cbranch_execz .LBB2087_410
; %bb.403:
	v_cmp_eq_u16_sdwa s[12:13], v14, v17 src0_sel:BYTE_0 src1_sel:DWORD
	s_and_saveexec_b64 s[10:11], s[12:13]
	s_cbranch_execz .LBB2087_409
; %bb.404:
	s_mov_b32 s12, 0
	v_mov_b32_e32 v6, 0x60
	v_mov_b32_e32 v7, 0
.LBB2087_405:                           ; =>This Inner Loop Header: Depth=1
	v_add_u32_e32 v8, s12, v6
	s_add_i32 s12, s12, 8
	s_cmp_lg_u32 s12, 16
	buffer_store_dword v7, v8, s[0:3], 0 offen offset:4
	buffer_store_dword v7, v8, s[0:3], 0 offen
	s_cbranch_scc1 .LBB2087_405
; %bb.406:
	s_mov_b32 s12, 0
	v_mov_b32_e32 v6, 0
	v_mov_b32_e32 v7, 0x88
	;; [unrolled: 1-line block ×3, first 2 shown]
.LBB2087_407:                           ; =>This Inner Loop Header: Depth=1
	v_add_u32_e32 v9, s12, v6
	v_add_u32_e32 v17, s12, v7
	buffer_load_dword v18, v9, s[0:3], 0 offen offset:4
	buffer_load_dword v19, v17, s[0:3], 0 offen
	buffer_load_dword v20, v9, s[0:3], 0 offen
	buffer_load_dword v21, v17, s[0:3], 0 offen offset:4
                                        ; kill: killed $vgpr9
	v_add_u32_e32 v9, s12, v8
	s_add_i32 s12, s12, 8
	s_cmp_lg_u32 s12, 16
                                        ; kill: killed $vgpr17
	s_waitcnt vmcnt(1)
	v_add_u32_e32 v17, v19, v20
	s_waitcnt vmcnt(0)
	v_add_u32_e32 v18, v21, v18
	buffer_store_dword v18, v9, s[0:3], 0 offen offset:4
	buffer_store_dword v17, v9, s[0:3], 0 offen
	s_cbranch_scc1 .LBB2087_407
; %bb.408:
	buffer_load_dword v6, off, s[0:3], 0 offset:96
	buffer_load_dword v7, off, s[0:3], 0 offset:100
	;; [unrolled: 1-line block ×4, first 2 shown]
.LBB2087_409:
	s_or_b64 exec, exec, s[10:11]
	v_or_b32_e32 v14, v16, v14
	v_and_b32_e32 v14, 1, v14
	buffer_store_byte v14, off, s[0:3], 0 offset:152
	buffer_load_dword v14, off, s[0:3], 0 offset:152
	s_waitcnt vmcnt(4)
	buffer_store_dword v7, off, s[0:3], 0 offset:140
	buffer_store_dword v6, off, s[0:3], 0 offset:136
	s_waitcnt vmcnt(4)
	buffer_store_dword v9, off, s[0:3], 0 offset:148
	buffer_store_dword v8, off, s[0:3], 0 offset:144
.LBB2087_410:
	s_or_b64 exec, exec, s[4:5]
	v_mov_b32_dpp v17, v6 row_shr:2 row_mask:0xf bank_mask:0xf
	s_waitcnt vmcnt(4)
	v_mov_b32_dpp v16, v14 row_shr:2 row_mask:0xf bank_mask:0xf
	v_cmp_lt_u32_e32 vcc, 1, v15
	v_mov_b32_dpp v18, v7 row_shr:2 row_mask:0xf bank_mask:0xf
	v_mov_b32_dpp v19, v8 row_shr:2 row_mask:0xf bank_mask:0xf
	;; [unrolled: 1-line block ×3, first 2 shown]
	buffer_store_dword v17, off, s[0:3], 0
	buffer_store_dword v18, off, s[0:3], 0 offset:4
	buffer_store_dword v19, off, s[0:3], 0 offset:8
	buffer_store_dword v20, off, s[0:3], 0 offset:12
	buffer_store_dword v16, off, s[0:3], 0 offset:16
	s_and_saveexec_b64 s[10:11], vcc
	s_cbranch_execz .LBB2087_418
; %bb.411:
	v_mov_b32_e32 v17, 0
	s_mov_b32 s12, 0
	v_cmp_eq_u16_sdwa s[14:15], v14, v17 src0_sel:BYTE_0 src1_sel:DWORD
	s_and_saveexec_b64 s[4:5], s[14:15]
	s_cbranch_execz .LBB2087_417
; %bb.412:
	v_mov_b32_e32 v6, 0x60
.LBB2087_413:                           ; =>This Inner Loop Header: Depth=1
	v_add_u32_e32 v7, s12, v6
	s_add_i32 s12, s12, 8
	s_cmp_lg_u32 s12, 16
	buffer_store_dword v17, v7, s[0:3], 0 offen offset:4
	buffer_store_dword v17, v7, s[0:3], 0 offen
	s_cbranch_scc1 .LBB2087_413
; %bb.414:
	s_mov_b32 s12, 0
	v_mov_b32_e32 v6, 0
	v_mov_b32_e32 v7, 0x88
	v_mov_b32_e32 v8, 0x60
.LBB2087_415:                           ; =>This Inner Loop Header: Depth=1
	v_add_u32_e32 v9, s12, v6
	v_add_u32_e32 v17, s12, v7
	buffer_load_dword v18, v9, s[0:3], 0 offen offset:4
	buffer_load_dword v19, v17, s[0:3], 0 offen
	buffer_load_dword v20, v9, s[0:3], 0 offen
	buffer_load_dword v21, v17, s[0:3], 0 offen offset:4
                                        ; kill: killed $vgpr9
	v_add_u32_e32 v9, s12, v8
	s_add_i32 s12, s12, 8
	s_cmp_lg_u32 s12, 16
                                        ; kill: killed $vgpr17
	s_waitcnt vmcnt(1)
	v_add_u32_e32 v17, v19, v20
	s_waitcnt vmcnt(0)
	v_add_u32_e32 v18, v21, v18
	buffer_store_dword v18, v9, s[0:3], 0 offen offset:4
	buffer_store_dword v17, v9, s[0:3], 0 offen
	s_cbranch_scc1 .LBB2087_415
; %bb.416:
	buffer_load_dword v6, off, s[0:3], 0 offset:96
	buffer_load_dword v7, off, s[0:3], 0 offset:100
	buffer_load_dword v8, off, s[0:3], 0 offset:104
	buffer_load_dword v9, off, s[0:3], 0 offset:108
.LBB2087_417:
	s_or_b64 exec, exec, s[4:5]
	v_and_b32_e32 v14, 1, v14
	v_cmp_eq_u32_e32 vcc, 1, v14
	v_and_b32_e32 v14, 1, v16
	v_cmp_eq_u32_e64 s[4:5], 1, v14
	s_or_b64 s[4:5], vcc, s[4:5]
	v_cndmask_b32_e64 v14, 0, 1, s[4:5]
	buffer_store_byte v14, off, s[0:3], 0 offset:152
	buffer_load_dword v14, off, s[0:3], 0 offset:152
	s_waitcnt vmcnt(4)
	buffer_store_dword v7, off, s[0:3], 0 offset:140
	buffer_store_dword v6, off, s[0:3], 0 offset:136
	s_waitcnt vmcnt(4)
	buffer_store_dword v9, off, s[0:3], 0 offset:148
	buffer_store_dword v8, off, s[0:3], 0 offset:144
.LBB2087_418:
	s_or_b64 exec, exec, s[10:11]
	v_mov_b32_dpp v17, v6 row_shr:4 row_mask:0xf bank_mask:0xf
	s_waitcnt vmcnt(4)
	v_mov_b32_dpp v16, v14 row_shr:4 row_mask:0xf bank_mask:0xf
	v_cmp_lt_u32_e32 vcc, 3, v15
	v_mov_b32_dpp v18, v7 row_shr:4 row_mask:0xf bank_mask:0xf
	v_mov_b32_dpp v19, v8 row_shr:4 row_mask:0xf bank_mask:0xf
	;; [unrolled: 1-line block ×3, first 2 shown]
	buffer_store_dword v17, off, s[0:3], 0
	buffer_store_dword v18, off, s[0:3], 0 offset:4
	buffer_store_dword v19, off, s[0:3], 0 offset:8
	;; [unrolled: 1-line block ×4, first 2 shown]
	s_and_saveexec_b64 s[10:11], vcc
	s_cbranch_execz .LBB2087_426
; %bb.419:
	v_mov_b32_e32 v17, 0
	s_mov_b32 s12, 0
	v_cmp_eq_u16_sdwa s[14:15], v14, v17 src0_sel:BYTE_0 src1_sel:DWORD
	s_and_saveexec_b64 s[4:5], s[14:15]
	s_cbranch_execz .LBB2087_425
; %bb.420:
	v_mov_b32_e32 v6, 0x60
.LBB2087_421:                           ; =>This Inner Loop Header: Depth=1
	v_add_u32_e32 v7, s12, v6
	s_add_i32 s12, s12, 8
	s_cmp_lg_u32 s12, 16
	buffer_store_dword v17, v7, s[0:3], 0 offen offset:4
	buffer_store_dword v17, v7, s[0:3], 0 offen
	s_cbranch_scc1 .LBB2087_421
; %bb.422:
	s_mov_b32 s12, 0
	v_mov_b32_e32 v6, 0
	v_mov_b32_e32 v7, 0x88
	;; [unrolled: 1-line block ×3, first 2 shown]
.LBB2087_423:                           ; =>This Inner Loop Header: Depth=1
	v_add_u32_e32 v9, s12, v6
	v_add_u32_e32 v17, s12, v7
	buffer_load_dword v18, v9, s[0:3], 0 offen offset:4
	buffer_load_dword v19, v17, s[0:3], 0 offen
	buffer_load_dword v20, v9, s[0:3], 0 offen
	buffer_load_dword v21, v17, s[0:3], 0 offen offset:4
                                        ; kill: killed $vgpr9
	v_add_u32_e32 v9, s12, v8
	s_add_i32 s12, s12, 8
	s_cmp_lg_u32 s12, 16
                                        ; kill: killed $vgpr17
	s_waitcnt vmcnt(1)
	v_add_u32_e32 v17, v19, v20
	s_waitcnt vmcnt(0)
	v_add_u32_e32 v18, v21, v18
	buffer_store_dword v18, v9, s[0:3], 0 offen offset:4
	buffer_store_dword v17, v9, s[0:3], 0 offen
	s_cbranch_scc1 .LBB2087_423
; %bb.424:
	buffer_load_dword v6, off, s[0:3], 0 offset:96
	buffer_load_dword v7, off, s[0:3], 0 offset:100
	;; [unrolled: 1-line block ×4, first 2 shown]
.LBB2087_425:
	s_or_b64 exec, exec, s[4:5]
	v_and_b32_e32 v14, 1, v14
	v_cmp_eq_u32_e32 vcc, 1, v14
	v_and_b32_e32 v14, 1, v16
	v_cmp_eq_u32_e64 s[4:5], 1, v14
	s_or_b64 s[4:5], vcc, s[4:5]
	v_cndmask_b32_e64 v14, 0, 1, s[4:5]
	buffer_store_byte v14, off, s[0:3], 0 offset:152
	buffer_load_dword v14, off, s[0:3], 0 offset:152
	s_waitcnt vmcnt(4)
	buffer_store_dword v7, off, s[0:3], 0 offset:140
	buffer_store_dword v6, off, s[0:3], 0 offset:136
	s_waitcnt vmcnt(4)
	buffer_store_dword v9, off, s[0:3], 0 offset:148
	buffer_store_dword v8, off, s[0:3], 0 offset:144
.LBB2087_426:
	s_or_b64 exec, exec, s[10:11]
	v_mov_b32_dpp v17, v6 row_shr:8 row_mask:0xf bank_mask:0xf
	s_waitcnt vmcnt(4)
	v_mov_b32_dpp v16, v14 row_shr:8 row_mask:0xf bank_mask:0xf
	v_cmp_lt_u32_e32 vcc, 7, v15
	v_mov_b32_dpp v18, v7 row_shr:8 row_mask:0xf bank_mask:0xf
	v_mov_b32_dpp v19, v8 row_shr:8 row_mask:0xf bank_mask:0xf
	;; [unrolled: 1-line block ×3, first 2 shown]
	buffer_store_dword v17, off, s[0:3], 0
	buffer_store_dword v18, off, s[0:3], 0 offset:4
	buffer_store_dword v19, off, s[0:3], 0 offset:8
	;; [unrolled: 1-line block ×4, first 2 shown]
	s_and_saveexec_b64 s[10:11], vcc
	s_cbranch_execz .LBB2087_434
; %bb.427:
	v_mov_b32_e32 v15, 0
	s_mov_b32 s12, 0
	v_cmp_eq_u16_sdwa s[14:15], v14, v15 src0_sel:BYTE_0 src1_sel:DWORD
	s_and_saveexec_b64 s[4:5], s[14:15]
	s_cbranch_execz .LBB2087_433
; %bb.428:
	v_mov_b32_e32 v6, 0x60
.LBB2087_429:                           ; =>This Inner Loop Header: Depth=1
	v_add_u32_e32 v7, s12, v6
	s_add_i32 s12, s12, 8
	s_cmp_lg_u32 s12, 16
	buffer_store_dword v15, v7, s[0:3], 0 offen offset:4
	buffer_store_dword v15, v7, s[0:3], 0 offen
	s_cbranch_scc1 .LBB2087_429
; %bb.430:
	s_mov_b32 s12, 0
	v_mov_b32_e32 v6, 0
	v_mov_b32_e32 v7, 0x88
	;; [unrolled: 1-line block ×3, first 2 shown]
.LBB2087_431:                           ; =>This Inner Loop Header: Depth=1
	v_add_u32_e32 v9, s12, v6
	v_add_u32_e32 v15, s12, v7
	buffer_load_dword v17, v9, s[0:3], 0 offen offset:4
	buffer_load_dword v18, v15, s[0:3], 0 offen
	buffer_load_dword v19, v9, s[0:3], 0 offen
	buffer_load_dword v20, v15, s[0:3], 0 offen offset:4
                                        ; kill: killed $vgpr9
	v_add_u32_e32 v9, s12, v8
	s_add_i32 s12, s12, 8
	s_cmp_lg_u32 s12, 16
                                        ; kill: killed $vgpr15
	s_waitcnt vmcnt(1)
	v_add_u32_e32 v15, v18, v19
	s_waitcnt vmcnt(0)
	v_add_u32_e32 v17, v20, v17
	buffer_store_dword v17, v9, s[0:3], 0 offen offset:4
	buffer_store_dword v15, v9, s[0:3], 0 offen
	s_cbranch_scc1 .LBB2087_431
; %bb.432:
	buffer_load_dword v6, off, s[0:3], 0 offset:96
	buffer_load_dword v7, off, s[0:3], 0 offset:100
	;; [unrolled: 1-line block ×4, first 2 shown]
.LBB2087_433:
	s_or_b64 exec, exec, s[4:5]
	v_and_b32_e32 v14, 1, v14
	v_cmp_eq_u32_e32 vcc, 1, v14
	v_and_b32_e32 v14, 1, v16
	v_cmp_eq_u32_e64 s[4:5], 1, v14
	s_or_b64 s[4:5], vcc, s[4:5]
	v_cndmask_b32_e64 v14, 0, 1, s[4:5]
	buffer_store_byte v14, off, s[0:3], 0 offset:152
	buffer_load_dword v14, off, s[0:3], 0 offset:152
	s_waitcnt vmcnt(4)
	buffer_store_dword v7, off, s[0:3], 0 offset:140
	buffer_store_dword v6, off, s[0:3], 0 offset:136
	s_waitcnt vmcnt(4)
	buffer_store_dword v9, off, s[0:3], 0 offset:148
	buffer_store_dword v8, off, s[0:3], 0 offset:144
.LBB2087_434:
	s_or_b64 exec, exec, s[10:11]
	v_mov_b32_dpp v16, v6 row_bcast:15 row_mask:0xf bank_mask:0xf
	v_mov_b32_dpp v17, v7 row_bcast:15 row_mask:0xf bank_mask:0xf
	v_mov_b32_dpp v18, v8 row_bcast:15 row_mask:0xf bank_mask:0xf
	v_mov_b32_dpp v19, v9 row_bcast:15 row_mask:0xf bank_mask:0xf
	s_waitcnt vmcnt(4)
	v_mov_b32_dpp v15, v14 row_bcast:15 row_mask:0xf bank_mask:0xf
	buffer_store_dword v16, off, s[0:3], 0
	buffer_store_dword v17, off, s[0:3], 0 offset:4
	buffer_store_dword v18, off, s[0:3], 0 offset:8
	;; [unrolled: 1-line block ×4, first 2 shown]
	v_and_b32_e32 v16, 16, v1
	v_cmp_ne_u32_e32 vcc, 0, v16
	s_and_saveexec_b64 s[10:11], vcc
	s_cbranch_execz .LBB2087_442
; %bb.435:
	v_mov_b32_e32 v16, 0
	s_mov_b32 s12, 0
	v_cmp_eq_u16_sdwa s[14:15], v14, v16 src0_sel:BYTE_0 src1_sel:DWORD
	s_and_saveexec_b64 s[4:5], s[14:15]
	s_cbranch_execz .LBB2087_441
; %bb.436:
	v_mov_b32_e32 v6, 0x60
.LBB2087_437:                           ; =>This Inner Loop Header: Depth=1
	v_add_u32_e32 v7, s12, v6
	s_add_i32 s12, s12, 8
	s_cmp_lg_u32 s12, 16
	buffer_store_dword v16, v7, s[0:3], 0 offen offset:4
	buffer_store_dword v16, v7, s[0:3], 0 offen
	s_cbranch_scc1 .LBB2087_437
; %bb.438:
	s_mov_b32 s12, 0
	v_mov_b32_e32 v6, 0
	v_mov_b32_e32 v7, 0x88
	;; [unrolled: 1-line block ×3, first 2 shown]
.LBB2087_439:                           ; =>This Inner Loop Header: Depth=1
	v_add_u32_e32 v9, s12, v6
	v_add_u32_e32 v16, s12, v7
	buffer_load_dword v17, v9, s[0:3], 0 offen offset:4
	buffer_load_dword v18, v16, s[0:3], 0 offen
	buffer_load_dword v19, v9, s[0:3], 0 offen
	buffer_load_dword v20, v16, s[0:3], 0 offen offset:4
                                        ; kill: killed $vgpr9
	v_add_u32_e32 v9, s12, v8
	s_add_i32 s12, s12, 8
	s_cmp_lg_u32 s12, 16
                                        ; kill: killed $vgpr16
	s_waitcnt vmcnt(1)
	v_add_u32_e32 v16, v18, v19
	s_waitcnt vmcnt(0)
	v_add_u32_e32 v17, v20, v17
	buffer_store_dword v17, v9, s[0:3], 0 offen offset:4
	buffer_store_dword v16, v9, s[0:3], 0 offen
	s_cbranch_scc1 .LBB2087_439
; %bb.440:
	buffer_load_dword v6, off, s[0:3], 0 offset:96
	buffer_load_dword v7, off, s[0:3], 0 offset:100
	;; [unrolled: 1-line block ×4, first 2 shown]
.LBB2087_441:
	s_or_b64 exec, exec, s[4:5]
	v_and_b32_e32 v14, 1, v14
	v_cmp_eq_u32_e32 vcc, 1, v14
	v_and_b32_e32 v14, 1, v15
	v_cmp_eq_u32_e64 s[4:5], 1, v14
	s_or_b64 s[4:5], vcc, s[4:5]
	v_cndmask_b32_e64 v14, 0, 1, s[4:5]
	buffer_store_byte v14, off, s[0:3], 0 offset:152
	buffer_load_dword v14, off, s[0:3], 0 offset:152
	s_waitcnt vmcnt(4)
	buffer_store_dword v7, off, s[0:3], 0 offset:140
	buffer_store_dword v6, off, s[0:3], 0 offset:136
	s_waitcnt vmcnt(4)
	buffer_store_dword v9, off, s[0:3], 0 offset:148
	buffer_store_dword v8, off, s[0:3], 0 offset:144
.LBB2087_442:
	s_or_b64 exec, exec, s[10:11]
	v_mov_b32_dpp v16, v6 row_bcast:31 row_mask:0xf bank_mask:0xf
	s_waitcnt vmcnt(4)
	v_mov_b32_dpp v15, v14 row_bcast:31 row_mask:0xf bank_mask:0xf
	v_cmp_lt_u32_e32 vcc, 31, v1
	v_mov_b32_dpp v17, v7 row_bcast:31 row_mask:0xf bank_mask:0xf
	v_mov_b32_dpp v18, v8 row_bcast:31 row_mask:0xf bank_mask:0xf
	;; [unrolled: 1-line block ×3, first 2 shown]
	buffer_store_dword v16, off, s[0:3], 0
	buffer_store_dword v17, off, s[0:3], 0 offset:4
	buffer_store_dword v18, off, s[0:3], 0 offset:8
	;; [unrolled: 1-line block ×4, first 2 shown]
	s_and_saveexec_b64 s[10:11], vcc
	s_cbranch_execz .LBB2087_450
; %bb.443:
	v_mov_b32_e32 v16, 0
	s_mov_b32 s12, 0
	v_cmp_eq_u16_sdwa s[14:15], v14, v16 src0_sel:BYTE_0 src1_sel:DWORD
	s_and_saveexec_b64 s[4:5], s[14:15]
	s_cbranch_execz .LBB2087_449
; %bb.444:
	v_mov_b32_e32 v6, 0x60
.LBB2087_445:                           ; =>This Inner Loop Header: Depth=1
	v_add_u32_e32 v7, s12, v6
	s_add_i32 s12, s12, 8
	s_cmp_lg_u32 s12, 16
	buffer_store_dword v16, v7, s[0:3], 0 offen offset:4
	buffer_store_dword v16, v7, s[0:3], 0 offen
	s_cbranch_scc1 .LBB2087_445
; %bb.446:
	s_mov_b32 s12, 0
	v_mov_b32_e32 v6, 0
	v_mov_b32_e32 v7, 0x88
	;; [unrolled: 1-line block ×3, first 2 shown]
.LBB2087_447:                           ; =>This Inner Loop Header: Depth=1
	v_add_u32_e32 v9, s12, v6
	v_add_u32_e32 v16, s12, v7
	buffer_load_dword v17, v9, s[0:3], 0 offen offset:4
	buffer_load_dword v18, v16, s[0:3], 0 offen
	buffer_load_dword v19, v9, s[0:3], 0 offen
	buffer_load_dword v20, v16, s[0:3], 0 offen offset:4
                                        ; kill: killed $vgpr9
	v_add_u32_e32 v9, s12, v8
	s_add_i32 s12, s12, 8
	s_cmp_lg_u32 s12, 16
                                        ; kill: killed $vgpr16
	s_waitcnt vmcnt(1)
	v_add_u32_e32 v16, v18, v19
	s_waitcnt vmcnt(0)
	v_add_u32_e32 v17, v20, v17
	buffer_store_dword v17, v9, s[0:3], 0 offen offset:4
	buffer_store_dword v16, v9, s[0:3], 0 offen
	s_cbranch_scc1 .LBB2087_447
; %bb.448:
	buffer_load_dword v6, off, s[0:3], 0 offset:96
	buffer_load_dword v7, off, s[0:3], 0 offset:100
	;; [unrolled: 1-line block ×4, first 2 shown]
.LBB2087_449:
	s_or_b64 exec, exec, s[4:5]
	v_and_b32_e32 v14, 1, v14
	v_cmp_eq_u32_e32 vcc, 1, v14
	v_and_b32_e32 v14, 1, v15
	v_cmp_eq_u32_e64 s[4:5], 1, v14
	s_or_b64 s[4:5], vcc, s[4:5]
	v_cndmask_b32_e64 v14, 0, 1, s[4:5]
	s_waitcnt vmcnt(2)
	buffer_store_dword v7, off, s[0:3], 0 offset:140
	buffer_store_dword v6, off, s[0:3], 0 offset:136
	s_waitcnt vmcnt(2)
	buffer_store_dword v9, off, s[0:3], 0 offset:148
	buffer_store_dword v8, off, s[0:3], 0 offset:144
	buffer_store_byte v14, off, s[0:3], 0 offset:152
.LBB2087_450:
	s_or_b64 exec, exec, s[10:11]
	v_or_b32_e32 v16, 63, v0
	v_lshrrev_b32_e32 v15, 6, v0
	v_cmp_eq_u32_e32 vcc, v16, v0
	s_and_saveexec_b64 s[4:5], vcc
	s_cbranch_execz .LBB2087_452
; %bb.451:
	v_mul_u32_u24_e32 v16, 20, v15
	ds_write2_b32 v16, v6, v7 offset1:1
	ds_write2_b32 v16, v8, v9 offset0:2 offset1:3
	ds_write_b8 v16, v14 offset:16
.LBB2087_452:
	s_or_b64 exec, exec, s[4:5]
	v_cmp_gt_u32_e32 vcc, 4, v0
	s_waitcnt lgkmcnt(0)
	s_barrier
	s_and_saveexec_b64 s[10:11], vcc
	s_cbranch_execz .LBB2087_470
; %bb.453:
	v_mul_u32_u24_e32 v14, 20, v0
	ds_read_b32 v16, v14 offset:16
	ds_read2_b32 v[6:7], v14 offset0:2 offset1:3
	ds_read2_b32 v[8:9], v14 offset1:1
	v_and_b32_e32 v17, 3, v1
	v_cmp_ne_u32_e32 vcc, 0, v17
	s_waitcnt lgkmcnt(2)
	v_mov_b32_dpp v18, v16 row_shr:1 row_mask:0xf bank_mask:0xf
	s_waitcnt lgkmcnt(1)
	v_mov_b32_dpp v21, v6 row_shr:1 row_mask:0xf bank_mask:0xf
	;; [unrolled: 2-line block ×3, first 2 shown]
	buffer_store_dword v16, off, s[0:3], 0 offset:112
	buffer_store_dword v7, off, s[0:3], 0 offset:108
	;; [unrolled: 1-line block ×5, first 2 shown]
	v_mov_b32_dpp v20, v9 row_shr:1 row_mask:0xf bank_mask:0xf
	v_mov_b32_dpp v22, v7 row_shr:1 row_mask:0xf bank_mask:0xf
	buffer_store_dword v19, off, s[0:3], 0
	buffer_store_dword v20, off, s[0:3], 0 offset:4
	buffer_store_dword v21, off, s[0:3], 0 offset:8
	buffer_store_dword v22, off, s[0:3], 0 offset:12
	buffer_store_dword v18, off, s[0:3], 0 offset:16
	s_and_saveexec_b64 s[4:5], vcc
	s_cbranch_execz .LBB2087_461
; %bb.454:
	v_mov_b32_e32 v19, 0
	v_cmp_eq_u16_sdwa s[14:15], v16, v19 src0_sel:BYTE_0 src1_sel:DWORD
	s_and_saveexec_b64 s[12:13], s[14:15]
	s_cbranch_execz .LBB2087_460
; %bb.455:
	s_mov_b32 s14, 0
	v_mov_b32_e32 v6, 0x50
.LBB2087_456:                           ; =>This Inner Loop Header: Depth=1
	v_add_u32_e32 v7, s14, v6
	s_add_i32 s14, s14, 8
	s_cmp_lg_u32 s14, 16
	buffer_store_dword v19, v7, s[0:3], 0 offen offset:4
	buffer_store_dword v19, v7, s[0:3], 0 offen
	s_cbranch_scc1 .LBB2087_456
; %bb.457:
	s_mov_b32 s14, 0
	v_mov_b32_e32 v6, 0
	v_mov_b32_e32 v7, 0x60
	v_mov_b32_e32 v8, 0x50
.LBB2087_458:                           ; =>This Inner Loop Header: Depth=1
	v_add_u32_e32 v9, s14, v6
	v_add_u32_e32 v19, s14, v7
	buffer_load_dword v20, v9, s[0:3], 0 offen offset:4
	buffer_load_dword v21, v19, s[0:3], 0 offen
	buffer_load_dword v22, v9, s[0:3], 0 offen
	buffer_load_dword v23, v19, s[0:3], 0 offen offset:4
                                        ; kill: killed $vgpr9
	v_add_u32_e32 v9, s14, v8
	s_add_i32 s14, s14, 8
	s_cmp_lg_u32 s14, 16
                                        ; kill: killed $vgpr19
	s_waitcnt vmcnt(1)
	v_add_u32_e32 v19, v21, v22
	s_waitcnt vmcnt(0)
	v_add_u32_e32 v20, v23, v20
	buffer_store_dword v20, v9, s[0:3], 0 offen offset:4
	buffer_store_dword v19, v9, s[0:3], 0 offen
	s_cbranch_scc1 .LBB2087_458
; %bb.459:
	buffer_load_dword v8, off, s[0:3], 0 offset:80
	buffer_load_dword v9, off, s[0:3], 0 offset:84
	;; [unrolled: 1-line block ×4, first 2 shown]
.LBB2087_460:
	s_or_b64 exec, exec, s[12:13]
	v_or_b32_e32 v16, v18, v16
	v_and_b32_e32 v16, 1, v16
	buffer_store_byte v16, off, s[0:3], 0 offset:112
	buffer_load_dword v16, off, s[0:3], 0 offset:112
	s_waitcnt vmcnt(4)
	buffer_store_dword v9, off, s[0:3], 0 offset:100
	buffer_store_dword v8, off, s[0:3], 0 offset:96
	s_waitcnt vmcnt(4)
	buffer_store_dword v7, off, s[0:3], 0 offset:108
	buffer_store_dword v6, off, s[0:3], 0 offset:104
.LBB2087_461:
	s_or_b64 exec, exec, s[4:5]
	v_mov_b32_dpp v19, v8 row_shr:2 row_mask:0xf bank_mask:0xf
	s_waitcnt vmcnt(4)
	v_mov_b32_dpp v18, v16 row_shr:2 row_mask:0xf bank_mask:0xf
	v_cmp_lt_u32_e32 vcc, 1, v17
	v_mov_b32_dpp v20, v9 row_shr:2 row_mask:0xf bank_mask:0xf
	v_mov_b32_dpp v21, v6 row_shr:2 row_mask:0xf bank_mask:0xf
	;; [unrolled: 1-line block ×3, first 2 shown]
	buffer_store_dword v19, off, s[0:3], 0
	buffer_store_dword v20, off, s[0:3], 0 offset:4
	buffer_store_dword v21, off, s[0:3], 0 offset:8
	;; [unrolled: 1-line block ×4, first 2 shown]
	s_and_saveexec_b64 s[12:13], vcc
	s_cbranch_execz .LBB2087_469
; %bb.462:
	v_mov_b32_e32 v17, 0
	s_mov_b32 s14, 0
	v_cmp_eq_u16_sdwa s[16:17], v16, v17 src0_sel:BYTE_0 src1_sel:DWORD
	s_and_saveexec_b64 s[4:5], s[16:17]
	s_cbranch_execz .LBB2087_468
; %bb.463:
	v_mov_b32_e32 v6, 0x50
.LBB2087_464:                           ; =>This Inner Loop Header: Depth=1
	v_add_u32_e32 v7, s14, v6
	s_add_i32 s14, s14, 8
	s_cmp_lg_u32 s14, 16
	buffer_store_dword v17, v7, s[0:3], 0 offen offset:4
	buffer_store_dword v17, v7, s[0:3], 0 offen
	s_cbranch_scc1 .LBB2087_464
; %bb.465:
	s_mov_b32 s14, 0
	v_mov_b32_e32 v6, 0
	v_mov_b32_e32 v7, 0x60
	;; [unrolled: 1-line block ×3, first 2 shown]
.LBB2087_466:                           ; =>This Inner Loop Header: Depth=1
	v_add_u32_e32 v9, s14, v6
	v_add_u32_e32 v17, s14, v7
	buffer_load_dword v19, v9, s[0:3], 0 offen offset:4
	buffer_load_dword v20, v17, s[0:3], 0 offen
	buffer_load_dword v21, v9, s[0:3], 0 offen
	buffer_load_dword v22, v17, s[0:3], 0 offen offset:4
                                        ; kill: killed $vgpr9
	v_add_u32_e32 v9, s14, v8
	s_add_i32 s14, s14, 8
	s_cmp_lg_u32 s14, 16
                                        ; kill: killed $vgpr17
	s_waitcnt vmcnt(1)
	v_add_u32_e32 v17, v20, v21
	s_waitcnt vmcnt(0)
	v_add_u32_e32 v19, v22, v19
	buffer_store_dword v19, v9, s[0:3], 0 offen offset:4
	buffer_store_dword v17, v9, s[0:3], 0 offen
	s_cbranch_scc1 .LBB2087_466
; %bb.467:
	buffer_load_dword v8, off, s[0:3], 0 offset:80
	buffer_load_dword v9, off, s[0:3], 0 offset:84
	;; [unrolled: 1-line block ×4, first 2 shown]
.LBB2087_468:
	s_or_b64 exec, exec, s[4:5]
	v_and_b32_e32 v16, 1, v16
	v_cmp_eq_u32_e32 vcc, 1, v16
	v_and_b32_e32 v16, 1, v18
	v_cmp_eq_u32_e64 s[4:5], 1, v16
	s_or_b64 s[4:5], vcc, s[4:5]
	v_cndmask_b32_e64 v16, 0, 1, s[4:5]
	s_waitcnt vmcnt(2)
	buffer_store_dword v9, off, s[0:3], 0 offset:100
	buffer_store_dword v8, off, s[0:3], 0 offset:96
	s_waitcnt vmcnt(2)
	buffer_store_dword v7, off, s[0:3], 0 offset:108
	buffer_store_dword v6, off, s[0:3], 0 offset:104
.LBB2087_469:
	s_or_b64 exec, exec, s[12:13]
	buffer_load_dword v6, off, s[0:3], 0 offset:104
	buffer_load_dword v7, off, s[0:3], 0 offset:108
	;; [unrolled: 1-line block ×4, first 2 shown]
	s_waitcnt vmcnt(2)
	ds_write2_b32 v14, v6, v7 offset0:2 offset1:3
	s_waitcnt vmcnt(0)
	ds_write2_b32 v14, v8, v9 offset1:1
	ds_write_b8 v14, v16 offset:16
.LBB2087_470:
	s_or_b64 exec, exec, s[10:11]
	s_waitcnt lgkmcnt(0)
	s_barrier
	buffer_load_dword v6, off, s[0:3], 0 offset:128
	buffer_load_dword v7, off, s[0:3], 0 offset:124
	;; [unrolled: 1-line block ×5, first 2 shown]
	v_cmp_lt_u32_e32 vcc, 63, v0
	s_waitcnt vmcnt(4)
	buffer_store_dword v6, off, s[0:3], 0 offset:12
	s_waitcnt vmcnt(4)
	buffer_store_dword v7, off, s[0:3], 0 offset:8
	;; [unrolled: 2-line block ×3, first 2 shown]
	s_waitcnt vmcnt(4)
	buffer_store_dword v9, off, s[0:3], 0
	s_waitcnt vmcnt(4)
	buffer_store_dword v14, off, s[0:3], 0 offset:16
	s_and_saveexec_b64 s[4:5], vcc
	s_cbranch_execz .LBB2087_480
; %bb.471:
	v_not_b32_e32 v6, 19
	v_mad_u32_u24 v15, v15, 20, v6
	ds_read_u8 v14, v15 offset:16
                                        ; implicit-def: $vgpr6_vgpr7
                                        ; implicit-def: $vgpr8_vgpr9
	s_waitcnt lgkmcnt(0)
	v_cmp_ne_u16_e32 vcc, 0, v14
	s_and_saveexec_b64 s[10:11], vcc
	s_xor_b64 s[10:11], exec, s[10:11]
	s_cbranch_execz .LBB2087_473
; %bb.472:
	ds_read2_b32 v[8:9], v15 offset1:1
	ds_read2_b32 v[6:7], v15 offset0:2 offset1:3
                                        ; implicit-def: $vgpr15
.LBB2087_473:
	s_andn2_saveexec_b64 s[10:11], s[10:11]
	s_cbranch_execz .LBB2087_479
; %bb.474:
	s_mov_b32 s12, 0
	s_waitcnt lgkmcnt(0)
	v_mov_b32_e32 v6, 0x60
	v_mov_b32_e32 v7, 0
.LBB2087_475:                           ; =>This Inner Loop Header: Depth=1
	v_add_u32_e32 v8, s12, v6
	s_add_i32 s12, s12, 8
	s_cmp_lg_u32 s12, 16
	buffer_store_dword v7, v8, s[0:3], 0 offen offset:4
	buffer_store_dword v7, v8, s[0:3], 0 offen
	s_cbranch_scc1 .LBB2087_475
; %bb.476:
	s_mov_b32 s12, 0
	v_mov_b32_e32 v6, 0x74
	v_mov_b32_e32 v7, 0x60
.LBB2087_477:                           ; =>This Inner Loop Header: Depth=1
	v_add_u32_e32 v8, s12, v6
	buffer_load_dword v16, v8, s[0:3], 0 offen
	buffer_load_dword v17, v8, s[0:3], 0 offen offset:4
                                        ; kill: killed $vgpr8
	v_add_u32_e32 v8, s12, v15
	ds_read2_b32 v[8:9], v8 offset1:1
	v_add_u32_e32 v18, s12, v7
	s_add_i32 s12, s12, 8
	s_cmp_lg_u32 s12, 16
	s_waitcnt vmcnt(1) lgkmcnt(0)
	v_add_u32_e32 v8, v8, v16
	s_waitcnt vmcnt(0)
	v_add_u32_e32 v9, v9, v17
	buffer_store_dword v9, v18, s[0:3], 0 offen offset:4
	buffer_store_dword v8, v18, s[0:3], 0 offen
	s_cbranch_scc1 .LBB2087_477
; %bb.478:
	buffer_load_dword v8, off, s[0:3], 0 offset:96
	buffer_load_dword v9, off, s[0:3], 0 offset:100
	;; [unrolled: 1-line block ×4, first 2 shown]
.LBB2087_479:
	s_or_b64 exec, exec, s[10:11]
	buffer_load_ubyte v15, off, s[0:3], 0 offset:132
	s_waitcnt vmcnt(3) lgkmcnt(1)
	buffer_store_dword v9, off, s[0:3], 0 offset:4
	buffer_store_dword v8, off, s[0:3], 0
	s_waitcnt vmcnt(3) lgkmcnt(0)
	buffer_store_dword v7, off, s[0:3], 0 offset:12
	s_waitcnt vmcnt(3)
	v_or_b32_e32 v7, v14, v15
	v_and_b32_e32 v7, 1, v7
	buffer_store_dword v6, off, s[0:3], 0 offset:8
	buffer_store_byte v7, off, s[0:3], 0 offset:16
.LBB2087_480:
	s_or_b64 exec, exec, s[4:5]
	buffer_load_ubyte v8, off, s[0:3], 0 offset:152
                                        ; implicit-def: $vgpr6_vgpr7
                                        ; implicit-def: $vgpr14
                                        ; implicit-def: $vgpr9
	s_waitcnt vmcnt(0)
	v_cmp_ne_u16_e32 vcc, 0, v8
	s_and_saveexec_b64 s[4:5], vcc
	s_xor_b64 s[4:5], exec, s[4:5]
	s_cbranch_execz .LBB2087_482
; %bb.481:
	buffer_load_dword v9, off, s[0:3], 0 offset:136
	buffer_load_dword v6, off, s[0:3], 0 offset:140
	;; [unrolled: 1-line block ×4, first 2 shown]
.LBB2087_482:
	s_andn2_saveexec_b64 s[4:5], s[4:5]
	s_cbranch_execz .LBB2087_488
; %bb.483:
	s_mov_b32 s10, 0
	s_waitcnt vmcnt(2)
	v_mov_b32_e32 v6, 0x60
	s_waitcnt vmcnt(1)
	v_mov_b32_e32 v7, 0
.LBB2087_484:                           ; =>This Inner Loop Header: Depth=1
	v_add_u32_e32 v9, s10, v6
	s_add_i32 s10, s10, 8
	s_cmp_lg_u32 s10, 16
	buffer_store_dword v7, v9, s[0:3], 0 offen offset:4
	buffer_store_dword v7, v9, s[0:3], 0 offen
	s_cbranch_scc1 .LBB2087_484
; %bb.485:
	s_mov_b32 s10, 0
	v_mov_b32_e32 v6, 0
	v_mov_b32_e32 v7, 0x88
	;; [unrolled: 1-line block ×3, first 2 shown]
.LBB2087_486:                           ; =>This Inner Loop Header: Depth=1
	s_waitcnt vmcnt(2)
	v_add_u32_e32 v14, s10, v6
	v_add_u32_e32 v15, s10, v7
	buffer_load_dword v16, v14, s[0:3], 0 offen offset:4
	buffer_load_dword v17, v15, s[0:3], 0 offen
	buffer_load_dword v18, v14, s[0:3], 0 offen
	buffer_load_dword v19, v15, s[0:3], 0 offen offset:4
                                        ; kill: killed $vgpr14
	v_add_u32_e32 v14, s10, v9
	s_add_i32 s10, s10, 8
	s_cmp_lg_u32 s10, 16
                                        ; kill: killed $vgpr15
	s_waitcnt vmcnt(1)
	v_add_u32_e32 v15, v17, v18
	s_waitcnt vmcnt(0)
	v_add_u32_e32 v16, v19, v16
	buffer_store_dword v16, v14, s[0:3], 0 offen offset:4
	buffer_store_dword v15, v14, s[0:3], 0 offen
	s_cbranch_scc1 .LBB2087_486
; %bb.487:
	buffer_load_dword v9, off, s[0:3], 0 offset:96
	buffer_load_dword v6, off, s[0:3], 0 offset:100
	;; [unrolled: 1-line block ×4, first 2 shown]
.LBB2087_488:
	s_or_b64 exec, exec, s[4:5]
	buffer_load_ubyte v15, off, s[0:3], 0 offset:16
	v_add_u32_e32 v16, -1, v1
	v_and_b32_e32 v17, 64, v1
	v_cmp_lt_i32_e32 vcc, v16, v17
	v_cndmask_b32_e32 v16, v16, v1, vcc
	v_lshlrev_b32_e32 v16, 2, v16
	s_waitcnt vmcnt(4)
	ds_bpermute_b32 v9, v16, v9
	s_waitcnt vmcnt(3)
	ds_bpermute_b32 v17, v16, v6
	s_waitcnt vmcnt(2)
	ds_bpermute_b32 v7, v16, v7
	s_waitcnt vmcnt(1)
	ds_bpermute_b32 v14, v16, v14
	v_cmp_eq_u32_e32 vcc, 0, v1
	s_waitcnt vmcnt(0)
	v_or_b32_e32 v8, v8, v15
	v_and_b32_e32 v8, 1, v8
	buffer_store_byte v8, off, s[0:3], 0 offset:152
	buffer_load_dword v8, off, s[0:3], 0 offset:152
	s_waitcnt lgkmcnt(3)
	buffer_store_dword v9, off, s[0:3], 0 offset:136
	s_waitcnt lgkmcnt(2)
	buffer_store_dword v17, off, s[0:3], 0 offset:140
	;; [unrolled: 2-line block ×4, first 2 shown]
	s_waitcnt vmcnt(4)
	ds_bpermute_b32 v6, v16, v8
	s_and_saveexec_b64 s[4:5], vcc
	s_cbranch_execz .LBB2087_490
; %bb.489:
	buffer_load_dword v1, off, s[0:3], 0 offset:12
	s_waitcnt lgkmcnt(0)
	buffer_load_dword v6, off, s[0:3], 0 offset:8
	buffer_load_dword v7, off, s[0:3], 0 offset:4
	buffer_load_dword v8, off, s[0:3], 0
	s_waitcnt vmcnt(3)
	buffer_store_dword v1, off, s[0:3], 0 offset:148
	s_waitcnt vmcnt(3)
	buffer_store_dword v6, off, s[0:3], 0 offset:144
	;; [unrolled: 2-line block ×4, first 2 shown]
	v_mov_b32_e32 v6, v15
.LBB2087_490:
	s_or_b64 exec, exec, s[4:5]
	buffer_load_dword v7, off, s[0:3], 0 offset:220
	buffer_load_dword v8, off, s[0:3], 0 offset:216
	;; [unrolled: 1-line block ×5, first 2 shown]
	v_mov_b32_e32 v1, 0
	buffer_store_dword v3, off, s[0:3], 0 offset:100
	buffer_store_dword v2, off, s[0:3], 0 offset:96
	;; [unrolled: 1-line block ×4, first 2 shown]
	s_waitcnt vmcnt(8)
	buffer_store_dword v7, off, s[0:3], 0 offset:12
	s_waitcnt vmcnt(8)
	buffer_store_dword v8, off, s[0:3], 0 offset:8
	;; [unrolled: 2-line block ×3, first 2 shown]
	s_waitcnt vmcnt(8)
	buffer_store_dword v14, off, s[0:3], 0
	s_waitcnt vmcnt(8)
	buffer_store_dword v15, off, s[0:3], 0 offset:16
	buffer_store_byte v1, off, s[0:3], 0 offset:112
	s_and_saveexec_b64 s[4:5], s[8:9]
	s_cbranch_execz .LBB2087_492
; %bb.491:
	buffer_load_dword v1, off, s[0:3], 0 offset:148
	buffer_load_dword v2, off, s[0:3], 0 offset:144
	;; [unrolled: 1-line block ×4, first 2 shown]
	s_waitcnt vmcnt(3)
	buffer_store_dword v1, off, s[0:3], 0 offset:108
	s_waitcnt vmcnt(3)
	buffer_store_dword v2, off, s[0:3], 0 offset:104
	;; [unrolled: 2-line block ×4, first 2 shown]
	s_waitcnt lgkmcnt(0)
	v_mov_b32_e32 v1, v6
.LBB2087_492:
	s_or_b64 exec, exec, s[4:5]
	buffer_load_dword v2, off, s[0:3], 0 offset:108
	buffer_load_dword v3, off, s[0:3], 0 offset:104
	;; [unrolled: 1-line block ×4, first 2 shown]
	buffer_load_ubyte v7, off, s[0:3], 0 offset:16
	s_nop 0
	buffer_store_byte v1, off, s[0:3], 0 offset:224
	s_waitcnt vmcnt(5)
	buffer_store_dword v2, off, s[0:3], 0 offset:220
	s_waitcnt vmcnt(5)
	buffer_store_dword v3, off, s[0:3], 0 offset:216
	s_waitcnt vmcnt(5)
	buffer_store_dword v4, off, s[0:3], 0 offset:212
	s_waitcnt vmcnt(5)
	buffer_store_dword v5, off, s[0:3], 0 offset:208
	s_waitcnt vmcnt(5)
	v_cmp_ne_u16_e32 vcc, 0, v7
                                        ; implicit-def: $vgpr4_vgpr5
                                        ; implicit-def: $vgpr2_vgpr3
	s_and_saveexec_b64 s[4:5], vcc
	s_xor_b64 s[4:5], exec, s[4:5]
	s_cbranch_execz .LBB2087_494
; %bb.493:
	buffer_load_dword v2, off, s[0:3], 0
	buffer_load_dword v3, off, s[0:3], 0 offset:4
	buffer_load_dword v4, off, s[0:3], 0 offset:8
	;; [unrolled: 1-line block ×3, first 2 shown]
.LBB2087_494:
	s_andn2_saveexec_b64 s[4:5], s[4:5]
	s_cbranch_execz .LBB2087_500
; %bb.495:
	s_mov_b32 s8, 0
	s_waitcnt vmcnt(3)
	v_mov_b32_e32 v2, 0x74
	s_waitcnt vmcnt(2)
	v_mov_b32_e32 v3, 0
	s_waitcnt vmcnt(0)
.LBB2087_496:                           ; =>This Inner Loop Header: Depth=1
	v_add_u32_e32 v4, s8, v2
	s_add_i32 s8, s8, 8
	s_cmp_lg_u32 s8, 16
	buffer_store_dword v3, v4, s[0:3], 0 offen offset:4
	buffer_store_dword v3, v4, s[0:3], 0 offen
	s_cbranch_scc1 .LBB2087_496
; %bb.497:
	s_mov_b32 s8, 0
	v_mov_b32_e32 v2, 0x60
	v_mov_b32_e32 v3, 0
	;; [unrolled: 1-line block ×3, first 2 shown]
.LBB2087_498:                           ; =>This Inner Loop Header: Depth=1
	v_add_u32_e32 v5, s8, v2
	s_waitcnt lgkmcnt(0)
	v_add_u32_e32 v6, s8, v3
	buffer_load_dword v8, v5, s[0:3], 0 offen offset:4
	buffer_load_dword v9, v6, s[0:3], 0 offen
	buffer_load_dword v14, v5, s[0:3], 0 offen
	buffer_load_dword v15, v6, s[0:3], 0 offen offset:4
                                        ; kill: killed $vgpr5
	v_add_u32_e32 v5, s8, v4
	s_add_i32 s8, s8, 8
	s_cmp_lg_u32 s8, 16
                                        ; kill: killed $vgpr6
	s_waitcnt vmcnt(1)
	v_add_u32_e32 v6, v9, v14
	s_waitcnt vmcnt(0)
	v_add_u32_e32 v8, v15, v8
	buffer_store_dword v8, v5, s[0:3], 0 offen offset:4
	buffer_store_dword v6, v5, s[0:3], 0 offen
	s_cbranch_scc1 .LBB2087_498
; %bb.499:
	buffer_load_dword v2, off, s[0:3], 0 offset:116
	buffer_load_dword v3, off, s[0:3], 0 offset:120
	;; [unrolled: 1-line block ×4, first 2 shown]
.LBB2087_500:
	s_or_b64 exec, exec, s[4:5]
	buffer_load_dword v8, v10, s[0:3], 0 offen offset:12
	buffer_load_dword v9, v10, s[0:3], 0 offen offset:8
	;; [unrolled: 1-line block ×3, first 2 shown]
	buffer_load_dword v15, v10, s[0:3], 0 offen
	s_waitcnt lgkmcnt(0)
	buffer_load_ubyte v6, off, s[0:3], 0 offset:244
	v_or_b32_e32 v1, v7, v1
	v_and_b32_e32 v1, 1, v1
	v_cmp_eq_u32_e32 vcc, 1, v1
	s_waitcnt vmcnt(7)
	buffer_store_dword v3, off, s[0:3], 0 offset:100
	buffer_store_dword v2, off, s[0:3], 0 offset:96
	s_waitcnt vmcnt(7)
	buffer_store_dword v5, off, s[0:3], 0 offset:108
	buffer_store_dword v4, off, s[0:3], 0 offset:104
	buffer_store_dword v2, v10, s[0:3], 0 offen
	buffer_store_dword v3, v10, s[0:3], 0 offen offset:4
	buffer_store_dword v4, v10, s[0:3], 0 offen offset:8
	buffer_store_dword v5, v10, s[0:3], 0 offen offset:12
                                        ; implicit-def: $vgpr4_vgpr5
                                        ; implicit-def: $vgpr2_vgpr3
	buffer_store_byte v1, off, s[0:3], 0 offset:244
	s_waitcnt vmcnt(13)
	buffer_store_dword v8, off, s[0:3], 0 offset:12
	s_waitcnt vmcnt(13)
	buffer_store_dword v9, off, s[0:3], 0 offset:8
	;; [unrolled: 2-line block ×3, first 2 shown]
	s_waitcnt vmcnt(13)
	buffer_store_dword v15, off, s[0:3], 0
	s_waitcnt vmcnt(13)
	v_cmp_ne_u16_e64 s[4:5], 0, v6
	s_and_saveexec_b64 s[8:9], s[4:5]
	s_xor_b64 s[4:5], exec, s[8:9]
	s_cbranch_execz .LBB2087_502
; %bb.501:
	buffer_load_dword v2, off, s[0:3], 0
	buffer_load_dword v3, off, s[0:3], 0 offset:4
	buffer_load_dword v4, off, s[0:3], 0 offset:8
	buffer_load_dword v5, off, s[0:3], 0 offset:12
.LBB2087_502:
	s_andn2_saveexec_b64 s[4:5], s[4:5]
	s_cbranch_execz .LBB2087_508
; %bb.503:
	s_mov_b32 s8, 0
	v_mov_b32_e32 v1, 0x74
	s_waitcnt vmcnt(3)
	v_mov_b32_e32 v2, 0
	s_waitcnt vmcnt(0)
.LBB2087_504:                           ; =>This Inner Loop Header: Depth=1
	v_add_u32_e32 v3, s8, v1
	s_add_i32 s8, s8, 8
	s_cmp_lg_u32 s8, 16
	buffer_store_dword v2, v3, s[0:3], 0 offen offset:4
	buffer_store_dword v2, v3, s[0:3], 0 offen
	s_cbranch_scc1 .LBB2087_504
; %bb.505:
	s_mov_b32 s8, 0
	v_mov_b32_e32 v1, 0x60
	v_mov_b32_e32 v2, 0
	;; [unrolled: 1-line block ×3, first 2 shown]
.LBB2087_506:                           ; =>This Inner Loop Header: Depth=1
	v_add_u32_e32 v4, s8, v1
	v_add_u32_e32 v5, s8, v2
	buffer_load_dword v7, v4, s[0:3], 0 offen offset:4
	buffer_load_dword v8, v5, s[0:3], 0 offen
	buffer_load_dword v9, v4, s[0:3], 0 offen
	buffer_load_dword v14, v5, s[0:3], 0 offen offset:4
                                        ; kill: killed $vgpr4
	v_add_u32_e32 v4, s8, v3
	s_add_i32 s8, s8, 8
	s_cmp_lg_u32 s8, 16
                                        ; kill: killed $vgpr5
	s_waitcnt vmcnt(1)
	v_add_u32_e32 v5, v8, v9
	s_waitcnt vmcnt(0)
	v_add_u32_e32 v7, v14, v7
	buffer_store_dword v7, v4, s[0:3], 0 offen offset:4
	buffer_store_dword v5, v4, s[0:3], 0 offen
	s_cbranch_scc1 .LBB2087_506
; %bb.507:
	buffer_load_dword v2, off, s[0:3], 0 offset:116
	buffer_load_dword v3, off, s[0:3], 0 offset:120
	;; [unrolled: 1-line block ×4, first 2 shown]
.LBB2087_508:
	s_or_b64 exec, exec, s[4:5]
	buffer_load_dword v7, v11, s[0:3], 0 offen offset:12
	buffer_load_dword v8, v11, s[0:3], 0 offen offset:8
	;; [unrolled: 1-line block ×3, first 2 shown]
	buffer_load_dword v14, v11, s[0:3], 0 offen
	buffer_load_ubyte v1, off, s[0:3], 0 offset:264
	v_and_b32_e32 v6, 1, v6
	v_cmp_eq_u32_e64 s[4:5], 1, v6
	s_or_b64 s[4:5], s[4:5], vcc
	s_waitcnt vmcnt(7)
	buffer_store_dword v3, off, s[0:3], 0 offset:100
	buffer_store_dword v2, off, s[0:3], 0 offset:96
	s_waitcnt vmcnt(7)
	buffer_store_dword v5, off, s[0:3], 0 offset:108
	buffer_store_dword v4, off, s[0:3], 0 offset:104
	buffer_store_dword v2, v11, s[0:3], 0 offen
	buffer_store_dword v3, v11, s[0:3], 0 offen offset:4
	buffer_store_dword v4, v11, s[0:3], 0 offen offset:8
	;; [unrolled: 1-line block ×3, first 2 shown]
	v_cndmask_b32_e64 v2, 0, 1, s[4:5]
                                        ; implicit-def: $vgpr4_vgpr5
	buffer_store_byte v2, off, s[0:3], 0 offset:264
	s_waitcnt vmcnt(13)
	buffer_store_dword v7, off, s[0:3], 0 offset:12
	s_waitcnt vmcnt(13)
	buffer_store_dword v8, off, s[0:3], 0 offset:8
	;; [unrolled: 2-line block ×3, first 2 shown]
	s_waitcnt vmcnt(13)
	buffer_store_dword v14, off, s[0:3], 0
	s_waitcnt vmcnt(13)
	v_cmp_ne_u16_e32 vcc, 0, v1
                                        ; implicit-def: $vgpr2_vgpr3
	s_and_saveexec_b64 s[8:9], vcc
	s_xor_b64 s[8:9], exec, s[8:9]
	s_cbranch_execz .LBB2087_510
; %bb.509:
	buffer_load_dword v2, off, s[0:3], 0
	buffer_load_dword v3, off, s[0:3], 0 offset:4
	buffer_load_dword v4, off, s[0:3], 0 offset:8
	;; [unrolled: 1-line block ×3, first 2 shown]
.LBB2087_510:
	s_andn2_saveexec_b64 s[8:9], s[8:9]
	s_cbranch_execz .LBB2087_516
; %bb.511:
	s_mov_b32 s10, 0
	s_waitcnt vmcnt(3)
	v_mov_b32_e32 v2, 0x74
	s_waitcnt vmcnt(2)
	v_mov_b32_e32 v3, 0
	s_waitcnt vmcnt(0)
.LBB2087_512:                           ; =>This Inner Loop Header: Depth=1
	v_add_u32_e32 v4, s10, v2
	s_add_i32 s10, s10, 8
	s_cmp_lg_u32 s10, 16
	buffer_store_dword v3, v4, s[0:3], 0 offen offset:4
	buffer_store_dword v3, v4, s[0:3], 0 offen
	s_cbranch_scc1 .LBB2087_512
; %bb.513:
	s_mov_b32 s10, 0
	v_mov_b32_e32 v2, 0x60
	v_mov_b32_e32 v3, 0
	;; [unrolled: 1-line block ×3, first 2 shown]
.LBB2087_514:                           ; =>This Inner Loop Header: Depth=1
	v_add_u32_e32 v5, s10, v2
	v_add_u32_e32 v6, s10, v3
	buffer_load_dword v7, v5, s[0:3], 0 offen offset:4
	buffer_load_dword v8, v6, s[0:3], 0 offen
	buffer_load_dword v9, v5, s[0:3], 0 offen
	buffer_load_dword v14, v6, s[0:3], 0 offen offset:4
                                        ; kill: killed $vgpr5
	v_add_u32_e32 v5, s10, v4
	s_add_i32 s10, s10, 8
	s_cmp_lg_u32 s10, 16
                                        ; kill: killed $vgpr6
	s_waitcnt vmcnt(1)
	v_add_u32_e32 v6, v8, v9
	s_waitcnt vmcnt(0)
	v_add_u32_e32 v7, v14, v7
	buffer_store_dword v7, v5, s[0:3], 0 offen offset:4
	buffer_store_dword v6, v5, s[0:3], 0 offen
	s_cbranch_scc1 .LBB2087_514
; %bb.515:
	buffer_load_dword v2, off, s[0:3], 0 offset:116
	buffer_load_dword v3, off, s[0:3], 0 offset:120
	;; [unrolled: 1-line block ×4, first 2 shown]
.LBB2087_516:
	s_or_b64 exec, exec, s[8:9]
	buffer_load_dword v7, v12, s[0:3], 0 offen offset:12
	buffer_load_dword v8, v12, s[0:3], 0 offen offset:8
	;; [unrolled: 1-line block ×3, first 2 shown]
	buffer_load_dword v14, v12, s[0:3], 0 offen
	buffer_load_ubyte v6, off, s[0:3], 0 offset:284
	v_and_b32_e32 v1, 1, v1
	v_cmp_eq_u32_e32 vcc, 1, v1
	s_or_b64 s[4:5], vcc, s[4:5]
	v_cndmask_b32_e64 v1, 0, 1, s[4:5]
	s_waitcnt vmcnt(7)
	buffer_store_dword v3, off, s[0:3], 0 offset:100
	buffer_store_dword v2, off, s[0:3], 0 offset:96
	s_waitcnt vmcnt(7)
	buffer_store_dword v5, off, s[0:3], 0 offset:108
	buffer_store_dword v4, off, s[0:3], 0 offset:104
	buffer_store_dword v2, v12, s[0:3], 0 offen
	buffer_store_dword v3, v12, s[0:3], 0 offen offset:4
	buffer_store_dword v4, v12, s[0:3], 0 offen offset:8
	;; [unrolled: 1-line block ×3, first 2 shown]
                                        ; implicit-def: $vgpr4_vgpr5
                                        ; implicit-def: $vgpr2_vgpr3
	buffer_store_byte v1, off, s[0:3], 0 offset:284
	s_waitcnt vmcnt(13)
	buffer_store_dword v7, off, s[0:3], 0 offset:12
	s_waitcnt vmcnt(13)
	buffer_store_dword v8, off, s[0:3], 0 offset:8
	;; [unrolled: 2-line block ×3, first 2 shown]
	s_waitcnt vmcnt(13)
	buffer_store_dword v14, off, s[0:3], 0
	s_waitcnt vmcnt(13)
	v_cmp_ne_u16_e32 vcc, 0, v6
	s_and_saveexec_b64 s[8:9], vcc
	s_xor_b64 s[8:9], exec, s[8:9]
	s_cbranch_execz .LBB2087_518
; %bb.517:
	buffer_load_dword v2, off, s[0:3], 0
	buffer_load_dword v3, off, s[0:3], 0 offset:4
	buffer_load_dword v4, off, s[0:3], 0 offset:8
	;; [unrolled: 1-line block ×3, first 2 shown]
.LBB2087_518:
	s_andn2_saveexec_b64 s[8:9], s[8:9]
	s_cbranch_execz .LBB2087_524
; %bb.519:
	s_mov_b32 s10, 0
	v_mov_b32_e32 v1, 0x74
	s_waitcnt vmcnt(3)
	v_mov_b32_e32 v2, 0
	s_waitcnt vmcnt(0)
.LBB2087_520:                           ; =>This Inner Loop Header: Depth=1
	v_add_u32_e32 v3, s10, v1
	s_add_i32 s10, s10, 8
	s_cmp_lg_u32 s10, 16
	buffer_store_dword v2, v3, s[0:3], 0 offen offset:4
	buffer_store_dword v2, v3, s[0:3], 0 offen
	s_cbranch_scc1 .LBB2087_520
; %bb.521:
	s_mov_b32 s10, 0
	v_mov_b32_e32 v1, 0x60
	v_mov_b32_e32 v2, 0
	;; [unrolled: 1-line block ×3, first 2 shown]
.LBB2087_522:                           ; =>This Inner Loop Header: Depth=1
	v_add_u32_e32 v4, s10, v1
	v_add_u32_e32 v5, s10, v2
	buffer_load_dword v7, v4, s[0:3], 0 offen offset:4
	buffer_load_dword v8, v5, s[0:3], 0 offen
	buffer_load_dword v9, v4, s[0:3], 0 offen
	buffer_load_dword v14, v5, s[0:3], 0 offen offset:4
                                        ; kill: killed $vgpr4
	v_add_u32_e32 v4, s10, v3
	s_add_i32 s10, s10, 8
	s_cmp_lg_u32 s10, 16
                                        ; kill: killed $vgpr5
	s_waitcnt vmcnt(1)
	v_add_u32_e32 v5, v8, v9
	s_waitcnt vmcnt(0)
	v_add_u32_e32 v7, v14, v7
	buffer_store_dword v7, v4, s[0:3], 0 offen offset:4
	buffer_store_dword v5, v4, s[0:3], 0 offen
	s_cbranch_scc1 .LBB2087_522
; %bb.523:
	buffer_load_dword v2, off, s[0:3], 0 offset:116
	buffer_load_dword v3, off, s[0:3], 0 offset:120
	;; [unrolled: 1-line block ×4, first 2 shown]
.LBB2087_524:
	s_or_b64 exec, exec, s[8:9]
	v_and_b32_e32 v1, 1, v6
	s_waitcnt vmcnt(0)
	buffer_store_dword v5, v13, s[0:3], 0 offen offset:12
	buffer_store_dword v4, v13, s[0:3], 0 offen offset:8
	;; [unrolled: 1-line block ×3, first 2 shown]
	v_mov_b32_e32 v3, 0
	v_cmp_eq_u32_e32 vcc, 1, v1
	ds_read2_b32 v[4:5], v3 offset0:17 offset1:18
	ds_read_u8 v1, v3 offset:76
	ds_read2_b32 v[6:7], v3 offset0:15 offset1:16
	s_or_b64 s[4:5], vcc, s[4:5]
	v_cndmask_b32_e64 v8, 0, 1, s[4:5]
	buffer_store_dword v2, v13, s[0:3], 0 offen
	buffer_store_byte v8, off, s[0:3], 0 offset:304
	s_waitcnt lgkmcnt(2)
	buffer_store_dword v5, off, s[0:3], 0 offset:188
	buffer_store_dword v4, off, s[0:3], 0 offset:184
	s_waitcnt lgkmcnt(0)
	buffer_store_dword v7, off, s[0:3], 0 offset:180
	buffer_store_dword v6, off, s[0:3], 0 offset:176
	v_cmp_ne_u16_e32 vcc, 0, v1
	s_cbranch_vccz .LBB2087_530
; %bb.525:
	buffer_load_dword v2, off, s[0:3], 0 offset:176
	buffer_load_dword v3, off, s[0:3], 0 offset:180
	;; [unrolled: 1-line block ×4, first 2 shown]
	s_cbranch_execz .LBB2087_531
	s_branch .LBB2087_536
.LBB2087_526:
	v_lshlrev_b32_e32 v20, 4, v0
	v_mov_b32_e32 v21, s51
	v_add_co_u32_e32 v20, vcc, s50, v20
	v_addc_co_u32_e32 v21, vcc, 0, v21, vcc
	flat_load_dwordx4 v[20:23], v[20:21]
	s_waitcnt vmcnt(0) lgkmcnt(0)
	buffer_store_dword v21, off, s[0:3], 0 offset:4
	buffer_store_dword v20, off, s[0:3], 0
	buffer_store_dword v23, off, s[0:3], 0 offset:12
	buffer_store_dword v22, off, s[0:3], 0 offset:8
	s_or_b64 exec, exec, s[4:5]
	s_and_saveexec_b64 s[4:5], s[10:11]
	s_cbranch_execz .LBB2087_39
.LBB2087_527:
	v_lshlrev_b32_e32 v14, 4, v14
	v_mov_b32_e32 v21, s51
	v_add_co_u32_e32 v20, vcc, s50, v14
	v_addc_co_u32_e32 v21, vcc, 0, v21, vcc
	flat_load_dwordx4 v[20:23], v[20:21]
	s_waitcnt vmcnt(0) lgkmcnt(0)
	buffer_store_dword v21, off, s[0:3], 0 offset:20
	buffer_store_dword v20, off, s[0:3], 0 offset:16
	buffer_store_dword v23, off, s[0:3], 0 offset:28
	buffer_store_dword v22, off, s[0:3], 0 offset:24
	s_or_b64 exec, exec, s[4:5]
	s_and_saveexec_b64 s[4:5], s[12:13]
	s_cbranch_execz .LBB2087_40
.LBB2087_528:
	v_lshlrev_b32_e32 v14, 4, v17
	v_mov_b32_e32 v17, s51
	v_add_co_u32_e32 v20, vcc, s50, v14
	v_addc_co_u32_e32 v21, vcc, 0, v17, vcc
	flat_load_dwordx4 v[20:23], v[20:21]
	s_waitcnt vmcnt(0) lgkmcnt(0)
	buffer_store_dword v21, off, s[0:3], 0 offset:36
	buffer_store_dword v20, off, s[0:3], 0 offset:32
	;; [unrolled: 1-line block ×4, first 2 shown]
	s_or_b64 exec, exec, s[4:5]
	s_and_saveexec_b64 s[4:5], s[14:15]
	s_cbranch_execz .LBB2087_41
.LBB2087_529:
	v_lshlrev_b32_e32 v14, 4, v18
	v_mov_b32_e32 v17, s51
	v_add_co_u32_e32 v20, vcc, s50, v14
	v_addc_co_u32_e32 v21, vcc, 0, v17, vcc
	flat_load_dwordx4 v[20:23], v[20:21]
	s_waitcnt vmcnt(0) lgkmcnt(0)
	buffer_store_dword v21, off, s[0:3], 0 offset:52
	buffer_store_dword v20, off, s[0:3], 0 offset:48
	;; [unrolled: 1-line block ×4, first 2 shown]
	s_or_b64 exec, exec, s[4:5]
	v_mul_u32_u24_e32 v14, 5, v0
	s_and_saveexec_b64 s[4:5], s[16:17]
	s_cbranch_execnz .LBB2087_42
	s_branch .LBB2087_43
.LBB2087_530:
                                        ; implicit-def: $vgpr4_vgpr5
.LBB2087_531:
	s_mov_b32 s4, 0
	s_waitcnt vmcnt(3)
	v_mov_b32_e32 v2, 0
	s_waitcnt vmcnt(2)
	v_mov_b32_e32 v3, 0
	s_waitcnt vmcnt(0)
.LBB2087_532:                           ; =>This Inner Loop Header: Depth=1
	v_add_u32_e32 v4, s4, v2
	s_add_i32 s4, s4, 8
	s_cmp_lg_u32 s4, 16
	buffer_store_dword v3, v4, s[0:3], 0 offen offset:4
	buffer_store_dword v3, v4, s[0:3], 0 offen
	s_cbranch_scc1 .LBB2087_532
; %bb.533:
	s_mov_b32 s4, 0
	v_mov_b32_e32 v2, 0x9c
	v_mov_b32_e32 v3, 0xb0
	;; [unrolled: 1-line block ×3, first 2 shown]
.LBB2087_534:                           ; =>This Inner Loop Header: Depth=1
	v_add_u32_e32 v5, s4, v2
	v_add_u32_e32 v6, s4, v3
	buffer_load_dword v7, v5, s[0:3], 0 offen offset:4
	buffer_load_dword v8, v6, s[0:3], 0 offen
	buffer_load_dword v9, v5, s[0:3], 0 offen
	buffer_load_dword v14, v6, s[0:3], 0 offen offset:4
                                        ; kill: killed $vgpr5
	v_add_u32_e32 v5, s4, v4
	s_add_i32 s4, s4, 8
	s_cmp_lg_u32 s4, 16
                                        ; kill: killed $vgpr6
	s_waitcnt vmcnt(1)
	v_add_u32_e32 v6, v8, v9
	s_waitcnt vmcnt(0)
	v_add_u32_e32 v7, v14, v7
	buffer_store_dword v7, v5, s[0:3], 0 offen offset:4
	buffer_store_dword v6, v5, s[0:3], 0 offen
	s_cbranch_scc1 .LBB2087_534
; %bb.535:
	buffer_load_dword v2, off, s[0:3], 0
	buffer_load_dword v3, off, s[0:3], 0 offset:4
	buffer_load_dword v4, off, s[0:3], 0 offset:8
	;; [unrolled: 1-line block ×3, first 2 shown]
.LBB2087_536:
	buffer_load_ubyte v6, off, s[0:3], 0 offset:172
	s_waitcnt vmcnt(3)
	buffer_store_dword v3, off, s[0:3], 0 offset:180
	buffer_store_dword v2, off, s[0:3], 0 offset:176
	s_waitcnt vmcnt(3)
	buffer_store_dword v5, off, s[0:3], 0 offset:188
	s_waitcnt vmcnt(3)
	v_or_b32_e32 v1, v1, v6
	v_and_b32_e32 v1, 1, v1
	buffer_store_dword v4, off, s[0:3], 0 offset:184
	buffer_store_byte v1, off, s[0:3], 0 offset:192
	s_and_saveexec_b64 s[4:5], s[18:19]
	s_cbranch_execz .LBB2087_538
; %bb.537:
	v_mov_b32_e32 v6, 0
	global_store_dwordx4 v6, v[2:5], s[22:23] offset:1280
	global_store_byte v6, v1, s[22:23] offset:1296
	v_mov_b32_e32 v1, 2
	s_waitcnt vmcnt(0)
	buffer_wbinvl1_vol
	global_store_byte v6, v1, s[24:25] offset:64
.LBB2087_538:
	s_or_b64 exec, exec, s[4:5]
.LBB2087_539:
	s_mov_b32 s4, 0
	v_mov_b32_e32 v1, 0
	v_mov_b32_e32 v2, 0
.LBB2087_540:                           ; =>This Inner Loop Header: Depth=1
	v_add_u32_e32 v3, s4, v1
	s_add_i32 s4, s4, 8
	s_cmp_lg_u32 s4, 16
	buffer_store_dword v2, v3, s[0:3], 0 offen offset:4
	buffer_store_dword v2, v3, s[0:3], 0 offen
	s_cbranch_scc1 .LBB2087_540
; %bb.541:
	s_mov_b32 s4, 16
	v_mov_b32_e32 v1, 0
	v_mov_b32_e32 v2, 0
.LBB2087_542:                           ; =>This Inner Loop Header: Depth=1
	v_add_u32_e32 v3, s4, v1
	s_add_i32 s4, s4, 8
	s_cmp_lg_u32 s4, 32
	buffer_store_dword v2, v3, s[0:3], 0 offen offset:4
	buffer_store_dword v2, v3, s[0:3], 0 offen
	s_cbranch_scc1 .LBB2087_542
; %bb.543:
	s_mov_b32 s4, 32
	v_mov_b32_e32 v1, 0
	v_mov_b32_e32 v2, 0
.LBB2087_544:                           ; =>This Inner Loop Header: Depth=1
	v_add_u32_e32 v3, s4, v1
	s_add_i32 s4, s4, 8
	s_cmp_lg_u32 s4, 48
	buffer_store_dword v2, v3, s[0:3], 0 offen offset:4
	buffer_store_dword v2, v3, s[0:3], 0 offen
	s_cbranch_scc1 .LBB2087_544
; %bb.545:
	s_mov_b32 s4, 48
	v_mov_b32_e32 v1, 0
	v_mov_b32_e32 v2, 0
.LBB2087_546:                           ; =>This Inner Loop Header: Depth=1
	v_add_u32_e32 v3, s4, v1
	s_add_i32 s4, s4, 8
	s_cmp_lg_u32 s4, 64
	buffer_store_dword v2, v3, s[0:3], 0 offen offset:4
	buffer_store_dword v2, v3, s[0:3], 0 offen
	s_cbranch_scc1 .LBB2087_546
; %bb.547:
	s_mov_b32 s4, 64
	v_mov_b32_e32 v1, 0
	v_mov_b32_e32 v2, 0
.LBB2087_548:                           ; =>This Inner Loop Header: Depth=1
	v_add_u32_e32 v3, s4, v1
	s_add_i32 s4, s4, 8
	s_cmpk_lg_i32 s4, 0x50
	buffer_store_dword v2, v3, s[0:3], 0 offen offset:4
	buffer_store_dword v2, v3, s[0:3], 0 offen
	s_cbranch_scc1 .LBB2087_548
; %bb.549:
	s_add_u32 s4, s42, s34
	s_addc_u32 s5, s43, s35
	v_mov_b32_e32 v1, 0
	s_add_u32 s8, s4, s36
	v_add_u32_e32 v4, 64, v1
	v_add_u32_e32 v5, 48, v1
	;; [unrolled: 1-line block ×4, first 2 shown]
	s_addc_u32 s9, s5, s37
	s_and_b64 vcc, exec, s[6:7]
	s_cbranch_vccz .LBB2087_565
; %bb.550:
	s_add_i32 s27, s27, s26
	v_mul_u32_u24_e32 v1, 5, v0
	v_cmp_gt_u32_e32 vcc, s27, v1
	s_and_saveexec_b64 s[4:5], vcc
	s_cbranch_execz .LBB2087_556
; %bb.551:
	buffer_load_dword v2, off, s[0:3], 0 offset:220
	buffer_load_dword v3, off, s[0:3], 0 offset:216
	;; [unrolled: 1-line block ×4, first 2 shown]
	v_add_u32_e32 v14, 1, v1
	v_cmp_gt_u32_e32 vcc, s27, v14
	s_waitcnt vmcnt(3)
	buffer_store_dword v2, off, s[0:3], 0 offset:12
	s_waitcnt vmcnt(3)
	buffer_store_dword v3, off, s[0:3], 0 offset:8
	;; [unrolled: 2-line block ×3, first 2 shown]
	s_waitcnt vmcnt(3)
	buffer_store_dword v9, off, s[0:3], 0
	s_and_b64 exec, exec, vcc
	s_cbranch_execz .LBB2087_556
; %bb.552:
	buffer_load_dword v2, v10, s[0:3], 0 offen offset:12
	buffer_load_dword v3, v10, s[0:3], 0 offen offset:8
	buffer_load_dword v8, v10, s[0:3], 0 offen offset:4
	buffer_load_dword v9, v10, s[0:3], 0 offen
	v_add_u32_e32 v14, 2, v1
	v_cmp_gt_u32_e32 vcc, s27, v14
	s_waitcnt vmcnt(3)
	buffer_store_dword v2, v7, s[0:3], 0 offen offset:12
	s_waitcnt vmcnt(3)
	buffer_store_dword v3, v7, s[0:3], 0 offen offset:8
	s_waitcnt vmcnt(3)
	buffer_store_dword v8, v7, s[0:3], 0 offen offset:4
	s_waitcnt vmcnt(3)
	buffer_store_dword v9, v7, s[0:3], 0 offen
	s_and_b64 exec, exec, vcc
	s_cbranch_execz .LBB2087_556
; %bb.553:
	buffer_load_dword v2, v11, s[0:3], 0 offen offset:12
	buffer_load_dword v3, v11, s[0:3], 0 offen offset:8
	buffer_load_dword v8, v11, s[0:3], 0 offen offset:4
	buffer_load_dword v9, v11, s[0:3], 0 offen
	v_add_u32_e32 v14, 3, v1
	v_cmp_gt_u32_e32 vcc, s27, v14
	s_waitcnt vmcnt(3)
	buffer_store_dword v2, v6, s[0:3], 0 offen offset:12
	s_waitcnt vmcnt(3)
	buffer_store_dword v3, v6, s[0:3], 0 offen offset:8
	s_waitcnt vmcnt(3)
	buffer_store_dword v8, v6, s[0:3], 0 offen offset:4
	s_waitcnt vmcnt(3)
	buffer_store_dword v9, v6, s[0:3], 0 offen
	;; [unrolled: 17-line block ×3, first 2 shown]
	s_and_b64 exec, exec, vcc
	s_cbranch_execz .LBB2087_556
; %bb.555:
	buffer_load_dword v2, v13, s[0:3], 0 offen offset:12
	buffer_load_dword v3, v13, s[0:3], 0 offen offset:8
	buffer_load_dword v8, v13, s[0:3], 0 offen offset:4
	buffer_load_dword v9, v13, s[0:3], 0 offen
	s_waitcnt vmcnt(3)
	buffer_store_dword v2, v4, s[0:3], 0 offen offset:12
	s_waitcnt vmcnt(3)
	buffer_store_dword v3, v4, s[0:3], 0 offen offset:8
	;; [unrolled: 2-line block ×3, first 2 shown]
	s_waitcnt vmcnt(3)
	buffer_store_dword v9, v4, s[0:3], 0 offen
.LBB2087_556:
	s_or_b64 exec, exec, s[4:5]
	s_waitcnt vmcnt(63) expcnt(7) lgkmcnt(15)
	s_barrier
	buffer_load_dword v14, off, s[0:3], 0
	buffer_load_dword v15, off, s[0:3], 0 offset:4
	buffer_load_dword v16, off, s[0:3], 0 offset:8
	;; [unrolled: 1-line block ×3, first 2 shown]
	buffer_load_dword v18, v7, s[0:3], 0 offen
	buffer_load_dword v19, v7, s[0:3], 0 offen offset:4
	buffer_load_dword v20, v7, s[0:3], 0 offen offset:8
	buffer_load_dword v21, v7, s[0:3], 0 offen offset:12
	buffer_load_dword v22, v6, s[0:3], 0 offen
	buffer_load_dword v23, v6, s[0:3], 0 offen offset:4
	buffer_load_dword v24, v6, s[0:3], 0 offen offset:8
	buffer_load_dword v25, v6, s[0:3], 0 offen offset:12
	;; [unrolled: 4-line block ×4, first 2 shown]
	v_lshlrev_b32_e32 v2, 4, v1
	v_lshlrev_b32_e32 v3, 6, v0
	v_sub_u32_e32 v8, v2, v3
	v_lshlrev_b32_e32 v9, 4, v0
	v_mov_b32_e32 v34, s9
	v_mov_b32_e32 v1, 0
	s_waitcnt vmcnt(16)
	ds_write_b128 v2, v[14:17]
	s_waitcnt vmcnt(12)
	ds_write_b128 v2, v[18:21] offset:16
	s_waitcnt vmcnt(8)
	ds_write_b128 v2, v[22:25] offset:32
	;; [unrolled: 2-line block ×4, first 2 shown]
	s_waitcnt lgkmcnt(0)
	s_barrier
	ds_read_b128 v[14:17], v8 offset:4096
	ds_read_b128 v[18:21], v8 offset:8192
	;; [unrolled: 1-line block ×4, first 2 shown]
	v_add_co_u32_e32 v2, vcc, s8, v9
	v_addc_co_u32_e32 v3, vcc, 0, v34, vcc
	v_cmp_gt_u32_e32 vcc, s27, v0
	s_waitcnt lgkmcnt(3)
	buffer_store_dword v17, v7, s[0:3], 0 offen offset:12
	buffer_store_dword v16, v7, s[0:3], 0 offen offset:8
	buffer_store_dword v15, v7, s[0:3], 0 offen offset:4
	buffer_store_dword v14, v7, s[0:3], 0 offen
	s_waitcnt lgkmcnt(2)
	buffer_store_dword v21, v6, s[0:3], 0 offen offset:12
	buffer_store_dword v20, v6, s[0:3], 0 offen offset:8
	buffer_store_dword v19, v6, s[0:3], 0 offen offset:4
	buffer_store_dword v18, v6, s[0:3], 0 offen
	;; [unrolled: 5-line block ×4, first 2 shown]
	s_and_saveexec_b64 s[4:5], vcc
	s_cbranch_execz .LBB2087_558
; %bb.557:
	ds_read2_b32 v[16:17], v8 offset0:2 offset1:3
	ds_read2_b32 v[14:15], v8 offset1:1
	s_waitcnt lgkmcnt(0)
	flat_store_dwordx4 v[2:3], v[14:17]
.LBB2087_558:
	s_or_b64 exec, exec, s[4:5]
	v_or_b32_e32 v8, 0x100, v0
	v_cmp_gt_u32_e32 vcc, s27, v8
	s_and_saveexec_b64 s[4:5], vcc
	s_cbranch_execz .LBB2087_560
; %bb.559:
	buffer_load_dword v14, v7, s[0:3], 0 offen
	buffer_load_dword v15, v7, s[0:3], 0 offen offset:4
	buffer_load_dword v16, v7, s[0:3], 0 offen offset:8
	buffer_load_dword v17, v7, s[0:3], 0 offen offset:12
	v_add_co_u32_e32 v8, vcc, 0x1000, v2
	v_addc_co_u32_e32 v9, vcc, 0, v3, vcc
	s_waitcnt vmcnt(0)
	flat_store_dwordx4 v[8:9], v[14:17]
.LBB2087_560:
	s_or_b64 exec, exec, s[4:5]
	v_or_b32_e32 v8, 0x200, v0
	v_cmp_gt_u32_e32 vcc, s27, v8
	s_and_saveexec_b64 s[4:5], vcc
	s_cbranch_execz .LBB2087_562
; %bb.561:
	buffer_load_dword v14, v6, s[0:3], 0 offen
	buffer_load_dword v15, v6, s[0:3], 0 offen offset:4
	buffer_load_dword v16, v6, s[0:3], 0 offen offset:8
	buffer_load_dword v17, v6, s[0:3], 0 offen offset:12
	v_add_co_u32_e32 v8, vcc, 0x2000, v2
	v_addc_co_u32_e32 v9, vcc, 0, v3, vcc
	s_waitcnt vmcnt(0)
	flat_store_dwordx4 v[8:9], v[14:17]
.LBB2087_562:
	;; [unrolled: 15-line block ×3, first 2 shown]
	s_or_b64 exec, exec, s[4:5]
	v_or_b32_e32 v2, 0x400, v0
	v_cmp_gt_u32_e64 s[4:5], s27, v2
	s_branch .LBB2087_567
.LBB2087_565:
	s_mov_b64 s[4:5], 0
	s_cbranch_execz .LBB2087_567
; %bb.566:
	buffer_load_dword v1, off, s[0:3], 0 offset:220
	buffer_load_dword v2, off, s[0:3], 0 offset:216
	;; [unrolled: 1-line block ×4, first 2 shown]
	buffer_load_dword v9, v10, s[0:3], 0 offen offset:12
	buffer_load_dword v14, v10, s[0:3], 0 offen offset:8
	buffer_load_dword v15, v10, s[0:3], 0 offen offset:4
	buffer_load_dword v16, v10, s[0:3], 0 offen
	buffer_load_dword v17, v11, s[0:3], 0 offen offset:12
	buffer_load_dword v18, v11, s[0:3], 0 offen offset:8
	buffer_load_dword v19, v11, s[0:3], 0 offen offset:4
	buffer_load_dword v20, v11, s[0:3], 0 offen
	;; [unrolled: 4-line block ×3, first 2 shown]
	buffer_load_dword v25, v13, s[0:3], 0 offen offset:12
	buffer_load_dword v26, v13, s[0:3], 0 offen offset:8
	buffer_load_dword v27, v13, s[0:3], 0 offen offset:4
                                        ; kill: killed $vgpr10
                                        ; kill: killed $vgpr11
                                        ; kill: killed $vgpr12
	buffer_load_dword v10, v13, s[0:3], 0 offen
	v_mov_b32_e32 v28, s9
	s_movk_i32 s6, 0x1000
	s_movk_i32 s7, 0x2000
	s_or_b64 s[4:5], s[4:5], exec
	s_waitcnt vmcnt(0)
	buffer_store_dword v1, off, s[0:3], 0 offset:12
	buffer_store_dword v2, off, s[0:3], 0 offset:8
	;; [unrolled: 1-line block ×3, first 2 shown]
	buffer_store_dword v8, off, s[0:3], 0
	buffer_store_dword v9, v7, s[0:3], 0 offen offset:12
	buffer_store_dword v14, v7, s[0:3], 0 offen offset:8
	buffer_store_dword v15, v7, s[0:3], 0 offen offset:4
	buffer_store_dword v16, v7, s[0:3], 0 offen
	buffer_store_dword v17, v6, s[0:3], 0 offen offset:12
	buffer_store_dword v18, v6, s[0:3], 0 offen offset:8
	buffer_store_dword v19, v6, s[0:3], 0 offen offset:4
	buffer_store_dword v20, v6, s[0:3], 0 offen
	;; [unrolled: 4-line block ×4, first 2 shown]
	s_waitcnt lgkmcnt(0)
	s_barrier
	buffer_load_dword v8, off, s[0:3], 0
	buffer_load_dword v9, off, s[0:3], 0 offset:4
	buffer_load_dword v10, off, s[0:3], 0 offset:8
	;; [unrolled: 1-line block ×3, first 2 shown]
	buffer_load_dword v12, v7, s[0:3], 0 offen
	buffer_load_dword v13, v7, s[0:3], 0 offen offset:4
	buffer_load_dword v14, v7, s[0:3], 0 offen offset:8
	buffer_load_dword v15, v7, s[0:3], 0 offen offset:12
	buffer_load_dword v16, v6, s[0:3], 0 offen
	buffer_load_dword v17, v6, s[0:3], 0 offen offset:4
	buffer_load_dword v18, v6, s[0:3], 0 offen offset:8
	buffer_load_dword v19, v6, s[0:3], 0 offen offset:12
	;; [unrolled: 4-line block ×4, first 2 shown]
	v_mul_u32_u24_e32 v1, 0x50, v0
	v_lshlrev_b32_e32 v2, 6, v0
	v_lshlrev_b32_e32 v3, 4, v0
	v_sub_u32_e32 v32, v1, v2
	v_add_co_u32_e32 v2, vcc, s8, v3
	v_addc_co_u32_e32 v3, vcc, 0, v28, vcc
	v_add_co_u32_e32 v28, vcc, s6, v2
	v_addc_co_u32_e32 v29, vcc, 0, v3, vcc
	;; [unrolled: 2-line block ×3, first 2 shown]
	s_waitcnt vmcnt(16)
	ds_write_b128 v1, v[8:11]
	s_waitcnt vmcnt(12)
	ds_write_b128 v1, v[12:15] offset:16
	s_waitcnt vmcnt(8)
	ds_write_b128 v1, v[16:19] offset:32
	;; [unrolled: 2-line block ×4, first 2 shown]
	s_waitcnt lgkmcnt(0)
	s_barrier
	ds_read_b128 v[8:11], v32 offset:4096
	ds_read_b128 v[12:15], v32 offset:8192
	;; [unrolled: 1-line block ×4, first 2 shown]
	ds_read2_b32 v[26:27], v32 offset0:2 offset1:3
	ds_read2_b32 v[24:25], v32 offset1:1
	s_waitcnt lgkmcnt(5)
	buffer_store_dword v11, v7, s[0:3], 0 offen offset:12
	buffer_store_dword v10, v7, s[0:3], 0 offen offset:8
	buffer_store_dword v9, v7, s[0:3], 0 offen offset:4
	buffer_store_dword v8, v7, s[0:3], 0 offen
	s_waitcnt lgkmcnt(4)
	buffer_store_dword v15, v6, s[0:3], 0 offen offset:12
	buffer_store_dword v14, v6, s[0:3], 0 offen offset:8
	buffer_store_dword v13, v6, s[0:3], 0 offen offset:4
	buffer_store_dword v12, v6, s[0:3], 0 offen
	;; [unrolled: 5-line block ×4, first 2 shown]
	s_waitcnt lgkmcnt(0)
	flat_store_dwordx4 v[2:3], v[24:27]
	flat_store_dwordx4 v[28:29], v[8:11]
	;; [unrolled: 1-line block ×3, first 2 shown]
	buffer_load_dword v6, v5, s[0:3], 0 offen
	buffer_load_dword v7, v5, s[0:3], 0 offen offset:4
	s_nop 0
	buffer_load_dword v8, v5, s[0:3], 0 offen offset:8
	buffer_load_dword v9, v5, s[0:3], 0 offen offset:12
	v_add_co_u32_e32 v2, vcc, 0x3000, v2
	v_mov_b32_e32 v1, 0
	v_addc_co_u32_e32 v3, vcc, 0, v3, vcc
	s_waitcnt vmcnt(0)
	flat_store_dwordx4 v[2:3], v[6:9]
.LBB2087_567:
	s_and_saveexec_b64 s[6:7], s[4:5]
	s_cbranch_execnz .LBB2087_569
; %bb.568:
	s_endpgm
.LBB2087_569:
	buffer_load_dword v6, v4, s[0:3], 0 offen
	buffer_load_dword v7, v4, s[0:3], 0 offen offset:4
	buffer_load_dword v8, v4, s[0:3], 0 offen offset:8
	;; [unrolled: 1-line block ×3, first 2 shown]
	v_lshlrev_b64 v[0:1], 4, v[0:1]
	v_mov_b32_e32 v2, s9
	v_add_co_u32_e32 v0, vcc, s8, v0
	v_addc_co_u32_e32 v1, vcc, v2, v1, vcc
	v_add_co_u32_e32 v0, vcc, 0x4000, v0
	v_addc_co_u32_e32 v1, vcc, 0, v1, vcc
	s_waitcnt vmcnt(0)
	flat_store_dwordx4 v[0:1], v[6:9]
	s_endpgm
	.section	.rodata,"a",@progbits
	.p2align	6, 0x0
	.amdhsa_kernel _ZN7rocprim17ROCPRIM_400000_NS6detail17trampoline_kernelINS0_14default_configENS1_27scan_by_key_config_selectorIj11FixedVectorIiLj4EEEEZZNS1_16scan_by_key_implILNS1_25lookback_scan_determinismE0ELb1ES3_N6thrust23THRUST_200600_302600_NS6detail15normal_iteratorINSB_10device_ptrIjEEEENSD_INSE_IS6_EEEESI_S6_NSB_4plusIvEENSB_8equal_toIvEES6_EE10hipError_tPvRmT2_T3_T4_T5_mT6_T7_P12ihipStream_tbENKUlT_T0_E_clISt17integral_constantIbLb1EES13_EEDaSY_SZ_EUlSY_E_NS1_11comp_targetILNS1_3genE4ELNS1_11target_archE910ELNS1_3gpuE8ELNS1_3repE0EEENS1_30default_config_static_selectorELNS0_4arch9wavefront6targetE1EEEvT1_
		.amdhsa_group_segment_fixed_size 20480
		.amdhsa_private_segment_fixed_size 320
		.amdhsa_kernarg_size 144
		.amdhsa_user_sgpr_count 8
		.amdhsa_user_sgpr_private_segment_buffer 1
		.amdhsa_user_sgpr_dispatch_ptr 0
		.amdhsa_user_sgpr_queue_ptr 0
		.amdhsa_user_sgpr_kernarg_segment_ptr 1
		.amdhsa_user_sgpr_dispatch_id 0
		.amdhsa_user_sgpr_flat_scratch_init 1
		.amdhsa_user_sgpr_kernarg_preload_length 0
		.amdhsa_user_sgpr_kernarg_preload_offset 0
		.amdhsa_user_sgpr_private_segment_size 0
		.amdhsa_uses_dynamic_stack 0
		.amdhsa_system_sgpr_private_segment_wavefront_offset 1
		.amdhsa_system_sgpr_workgroup_id_x 1
		.amdhsa_system_sgpr_workgroup_id_y 0
		.amdhsa_system_sgpr_workgroup_id_z 0
		.amdhsa_system_sgpr_workgroup_info 0
		.amdhsa_system_vgpr_workitem_id 0
		.amdhsa_next_free_vgpr 43
		.amdhsa_next_free_sgpr 53
		.amdhsa_accum_offset 44
		.amdhsa_reserve_vcc 1
		.amdhsa_reserve_flat_scratch 1
		.amdhsa_float_round_mode_32 0
		.amdhsa_float_round_mode_16_64 0
		.amdhsa_float_denorm_mode_32 3
		.amdhsa_float_denorm_mode_16_64 3
		.amdhsa_dx10_clamp 1
		.amdhsa_ieee_mode 1
		.amdhsa_fp16_overflow 0
		.amdhsa_tg_split 0
		.amdhsa_exception_fp_ieee_invalid_op 0
		.amdhsa_exception_fp_denorm_src 0
		.amdhsa_exception_fp_ieee_div_zero 0
		.amdhsa_exception_fp_ieee_overflow 0
		.amdhsa_exception_fp_ieee_underflow 0
		.amdhsa_exception_fp_ieee_inexact 0
		.amdhsa_exception_int_div_zero 0
	.end_amdhsa_kernel
	.section	.text._ZN7rocprim17ROCPRIM_400000_NS6detail17trampoline_kernelINS0_14default_configENS1_27scan_by_key_config_selectorIj11FixedVectorIiLj4EEEEZZNS1_16scan_by_key_implILNS1_25lookback_scan_determinismE0ELb1ES3_N6thrust23THRUST_200600_302600_NS6detail15normal_iteratorINSB_10device_ptrIjEEEENSD_INSE_IS6_EEEESI_S6_NSB_4plusIvEENSB_8equal_toIvEES6_EE10hipError_tPvRmT2_T3_T4_T5_mT6_T7_P12ihipStream_tbENKUlT_T0_E_clISt17integral_constantIbLb1EES13_EEDaSY_SZ_EUlSY_E_NS1_11comp_targetILNS1_3genE4ELNS1_11target_archE910ELNS1_3gpuE8ELNS1_3repE0EEENS1_30default_config_static_selectorELNS0_4arch9wavefront6targetE1EEEvT1_,"axG",@progbits,_ZN7rocprim17ROCPRIM_400000_NS6detail17trampoline_kernelINS0_14default_configENS1_27scan_by_key_config_selectorIj11FixedVectorIiLj4EEEEZZNS1_16scan_by_key_implILNS1_25lookback_scan_determinismE0ELb1ES3_N6thrust23THRUST_200600_302600_NS6detail15normal_iteratorINSB_10device_ptrIjEEEENSD_INSE_IS6_EEEESI_S6_NSB_4plusIvEENSB_8equal_toIvEES6_EE10hipError_tPvRmT2_T3_T4_T5_mT6_T7_P12ihipStream_tbENKUlT_T0_E_clISt17integral_constantIbLb1EES13_EEDaSY_SZ_EUlSY_E_NS1_11comp_targetILNS1_3genE4ELNS1_11target_archE910ELNS1_3gpuE8ELNS1_3repE0EEENS1_30default_config_static_selectorELNS0_4arch9wavefront6targetE1EEEvT1_,comdat
.Lfunc_end2087:
	.size	_ZN7rocprim17ROCPRIM_400000_NS6detail17trampoline_kernelINS0_14default_configENS1_27scan_by_key_config_selectorIj11FixedVectorIiLj4EEEEZZNS1_16scan_by_key_implILNS1_25lookback_scan_determinismE0ELb1ES3_N6thrust23THRUST_200600_302600_NS6detail15normal_iteratorINSB_10device_ptrIjEEEENSD_INSE_IS6_EEEESI_S6_NSB_4plusIvEENSB_8equal_toIvEES6_EE10hipError_tPvRmT2_T3_T4_T5_mT6_T7_P12ihipStream_tbENKUlT_T0_E_clISt17integral_constantIbLb1EES13_EEDaSY_SZ_EUlSY_E_NS1_11comp_targetILNS1_3genE4ELNS1_11target_archE910ELNS1_3gpuE8ELNS1_3repE0EEENS1_30default_config_static_selectorELNS0_4arch9wavefront6targetE1EEEvT1_, .Lfunc_end2087-_ZN7rocprim17ROCPRIM_400000_NS6detail17trampoline_kernelINS0_14default_configENS1_27scan_by_key_config_selectorIj11FixedVectorIiLj4EEEEZZNS1_16scan_by_key_implILNS1_25lookback_scan_determinismE0ELb1ES3_N6thrust23THRUST_200600_302600_NS6detail15normal_iteratorINSB_10device_ptrIjEEEENSD_INSE_IS6_EEEESI_S6_NSB_4plusIvEENSB_8equal_toIvEES6_EE10hipError_tPvRmT2_T3_T4_T5_mT6_T7_P12ihipStream_tbENKUlT_T0_E_clISt17integral_constantIbLb1EES13_EEDaSY_SZ_EUlSY_E_NS1_11comp_targetILNS1_3genE4ELNS1_11target_archE910ELNS1_3gpuE8ELNS1_3repE0EEENS1_30default_config_static_selectorELNS0_4arch9wavefront6targetE1EEEvT1_
                                        ; -- End function
	.section	.AMDGPU.csdata,"",@progbits
; Kernel info:
; codeLenInByte = 30584
; NumSgprs: 59
; NumVgprs: 43
; NumAgprs: 0
; TotalNumVgprs: 43
; ScratchSize: 320
; MemoryBound: 1
; FloatMode: 240
; IeeeMode: 1
; LDSByteSize: 20480 bytes/workgroup (compile time only)
; SGPRBlocks: 7
; VGPRBlocks: 5
; NumSGPRsForWavesPerEU: 59
; NumVGPRsForWavesPerEU: 43
; AccumOffset: 44
; Occupancy: 3
; WaveLimiterHint : 1
; COMPUTE_PGM_RSRC2:SCRATCH_EN: 1
; COMPUTE_PGM_RSRC2:USER_SGPR: 8
; COMPUTE_PGM_RSRC2:TRAP_HANDLER: 0
; COMPUTE_PGM_RSRC2:TGID_X_EN: 1
; COMPUTE_PGM_RSRC2:TGID_Y_EN: 0
; COMPUTE_PGM_RSRC2:TGID_Z_EN: 0
; COMPUTE_PGM_RSRC2:TIDIG_COMP_CNT: 0
; COMPUTE_PGM_RSRC3_GFX90A:ACCUM_OFFSET: 10
; COMPUTE_PGM_RSRC3_GFX90A:TG_SPLIT: 0
	.section	.text._ZN7rocprim17ROCPRIM_400000_NS6detail17trampoline_kernelINS0_14default_configENS1_27scan_by_key_config_selectorIj11FixedVectorIiLj4EEEEZZNS1_16scan_by_key_implILNS1_25lookback_scan_determinismE0ELb1ES3_N6thrust23THRUST_200600_302600_NS6detail15normal_iteratorINSB_10device_ptrIjEEEENSD_INSE_IS6_EEEESI_S6_NSB_4plusIvEENSB_8equal_toIvEES6_EE10hipError_tPvRmT2_T3_T4_T5_mT6_T7_P12ihipStream_tbENKUlT_T0_E_clISt17integral_constantIbLb1EES13_EEDaSY_SZ_EUlSY_E_NS1_11comp_targetILNS1_3genE3ELNS1_11target_archE908ELNS1_3gpuE7ELNS1_3repE0EEENS1_30default_config_static_selectorELNS0_4arch9wavefront6targetE1EEEvT1_,"axG",@progbits,_ZN7rocprim17ROCPRIM_400000_NS6detail17trampoline_kernelINS0_14default_configENS1_27scan_by_key_config_selectorIj11FixedVectorIiLj4EEEEZZNS1_16scan_by_key_implILNS1_25lookback_scan_determinismE0ELb1ES3_N6thrust23THRUST_200600_302600_NS6detail15normal_iteratorINSB_10device_ptrIjEEEENSD_INSE_IS6_EEEESI_S6_NSB_4plusIvEENSB_8equal_toIvEES6_EE10hipError_tPvRmT2_T3_T4_T5_mT6_T7_P12ihipStream_tbENKUlT_T0_E_clISt17integral_constantIbLb1EES13_EEDaSY_SZ_EUlSY_E_NS1_11comp_targetILNS1_3genE3ELNS1_11target_archE908ELNS1_3gpuE7ELNS1_3repE0EEENS1_30default_config_static_selectorELNS0_4arch9wavefront6targetE1EEEvT1_,comdat
	.protected	_ZN7rocprim17ROCPRIM_400000_NS6detail17trampoline_kernelINS0_14default_configENS1_27scan_by_key_config_selectorIj11FixedVectorIiLj4EEEEZZNS1_16scan_by_key_implILNS1_25lookback_scan_determinismE0ELb1ES3_N6thrust23THRUST_200600_302600_NS6detail15normal_iteratorINSB_10device_ptrIjEEEENSD_INSE_IS6_EEEESI_S6_NSB_4plusIvEENSB_8equal_toIvEES6_EE10hipError_tPvRmT2_T3_T4_T5_mT6_T7_P12ihipStream_tbENKUlT_T0_E_clISt17integral_constantIbLb1EES13_EEDaSY_SZ_EUlSY_E_NS1_11comp_targetILNS1_3genE3ELNS1_11target_archE908ELNS1_3gpuE7ELNS1_3repE0EEENS1_30default_config_static_selectorELNS0_4arch9wavefront6targetE1EEEvT1_ ; -- Begin function _ZN7rocprim17ROCPRIM_400000_NS6detail17trampoline_kernelINS0_14default_configENS1_27scan_by_key_config_selectorIj11FixedVectorIiLj4EEEEZZNS1_16scan_by_key_implILNS1_25lookback_scan_determinismE0ELb1ES3_N6thrust23THRUST_200600_302600_NS6detail15normal_iteratorINSB_10device_ptrIjEEEENSD_INSE_IS6_EEEESI_S6_NSB_4plusIvEENSB_8equal_toIvEES6_EE10hipError_tPvRmT2_T3_T4_T5_mT6_T7_P12ihipStream_tbENKUlT_T0_E_clISt17integral_constantIbLb1EES13_EEDaSY_SZ_EUlSY_E_NS1_11comp_targetILNS1_3genE3ELNS1_11target_archE908ELNS1_3gpuE7ELNS1_3repE0EEENS1_30default_config_static_selectorELNS0_4arch9wavefront6targetE1EEEvT1_
	.globl	_ZN7rocprim17ROCPRIM_400000_NS6detail17trampoline_kernelINS0_14default_configENS1_27scan_by_key_config_selectorIj11FixedVectorIiLj4EEEEZZNS1_16scan_by_key_implILNS1_25lookback_scan_determinismE0ELb1ES3_N6thrust23THRUST_200600_302600_NS6detail15normal_iteratorINSB_10device_ptrIjEEEENSD_INSE_IS6_EEEESI_S6_NSB_4plusIvEENSB_8equal_toIvEES6_EE10hipError_tPvRmT2_T3_T4_T5_mT6_T7_P12ihipStream_tbENKUlT_T0_E_clISt17integral_constantIbLb1EES13_EEDaSY_SZ_EUlSY_E_NS1_11comp_targetILNS1_3genE3ELNS1_11target_archE908ELNS1_3gpuE7ELNS1_3repE0EEENS1_30default_config_static_selectorELNS0_4arch9wavefront6targetE1EEEvT1_
	.p2align	8
	.type	_ZN7rocprim17ROCPRIM_400000_NS6detail17trampoline_kernelINS0_14default_configENS1_27scan_by_key_config_selectorIj11FixedVectorIiLj4EEEEZZNS1_16scan_by_key_implILNS1_25lookback_scan_determinismE0ELb1ES3_N6thrust23THRUST_200600_302600_NS6detail15normal_iteratorINSB_10device_ptrIjEEEENSD_INSE_IS6_EEEESI_S6_NSB_4plusIvEENSB_8equal_toIvEES6_EE10hipError_tPvRmT2_T3_T4_T5_mT6_T7_P12ihipStream_tbENKUlT_T0_E_clISt17integral_constantIbLb1EES13_EEDaSY_SZ_EUlSY_E_NS1_11comp_targetILNS1_3genE3ELNS1_11target_archE908ELNS1_3gpuE7ELNS1_3repE0EEENS1_30default_config_static_selectorELNS0_4arch9wavefront6targetE1EEEvT1_,@function
_ZN7rocprim17ROCPRIM_400000_NS6detail17trampoline_kernelINS0_14default_configENS1_27scan_by_key_config_selectorIj11FixedVectorIiLj4EEEEZZNS1_16scan_by_key_implILNS1_25lookback_scan_determinismE0ELb1ES3_N6thrust23THRUST_200600_302600_NS6detail15normal_iteratorINSB_10device_ptrIjEEEENSD_INSE_IS6_EEEESI_S6_NSB_4plusIvEENSB_8equal_toIvEES6_EE10hipError_tPvRmT2_T3_T4_T5_mT6_T7_P12ihipStream_tbENKUlT_T0_E_clISt17integral_constantIbLb1EES13_EEDaSY_SZ_EUlSY_E_NS1_11comp_targetILNS1_3genE3ELNS1_11target_archE908ELNS1_3gpuE7ELNS1_3repE0EEENS1_30default_config_static_selectorELNS0_4arch9wavefront6targetE1EEEvT1_: ; @_ZN7rocprim17ROCPRIM_400000_NS6detail17trampoline_kernelINS0_14default_configENS1_27scan_by_key_config_selectorIj11FixedVectorIiLj4EEEEZZNS1_16scan_by_key_implILNS1_25lookback_scan_determinismE0ELb1ES3_N6thrust23THRUST_200600_302600_NS6detail15normal_iteratorINSB_10device_ptrIjEEEENSD_INSE_IS6_EEEESI_S6_NSB_4plusIvEENSB_8equal_toIvEES6_EE10hipError_tPvRmT2_T3_T4_T5_mT6_T7_P12ihipStream_tbENKUlT_T0_E_clISt17integral_constantIbLb1EES13_EEDaSY_SZ_EUlSY_E_NS1_11comp_targetILNS1_3genE3ELNS1_11target_archE908ELNS1_3gpuE7ELNS1_3repE0EEENS1_30default_config_static_selectorELNS0_4arch9wavefront6targetE1EEEvT1_
; %bb.0:
	.section	.rodata,"a",@progbits
	.p2align	6, 0x0
	.amdhsa_kernel _ZN7rocprim17ROCPRIM_400000_NS6detail17trampoline_kernelINS0_14default_configENS1_27scan_by_key_config_selectorIj11FixedVectorIiLj4EEEEZZNS1_16scan_by_key_implILNS1_25lookback_scan_determinismE0ELb1ES3_N6thrust23THRUST_200600_302600_NS6detail15normal_iteratorINSB_10device_ptrIjEEEENSD_INSE_IS6_EEEESI_S6_NSB_4plusIvEENSB_8equal_toIvEES6_EE10hipError_tPvRmT2_T3_T4_T5_mT6_T7_P12ihipStream_tbENKUlT_T0_E_clISt17integral_constantIbLb1EES13_EEDaSY_SZ_EUlSY_E_NS1_11comp_targetILNS1_3genE3ELNS1_11target_archE908ELNS1_3gpuE7ELNS1_3repE0EEENS1_30default_config_static_selectorELNS0_4arch9wavefront6targetE1EEEvT1_
		.amdhsa_group_segment_fixed_size 0
		.amdhsa_private_segment_fixed_size 0
		.amdhsa_kernarg_size 144
		.amdhsa_user_sgpr_count 6
		.amdhsa_user_sgpr_private_segment_buffer 1
		.amdhsa_user_sgpr_dispatch_ptr 0
		.amdhsa_user_sgpr_queue_ptr 0
		.amdhsa_user_sgpr_kernarg_segment_ptr 1
		.amdhsa_user_sgpr_dispatch_id 0
		.amdhsa_user_sgpr_flat_scratch_init 0
		.amdhsa_user_sgpr_kernarg_preload_length 0
		.amdhsa_user_sgpr_kernarg_preload_offset 0
		.amdhsa_user_sgpr_private_segment_size 0
		.amdhsa_uses_dynamic_stack 0
		.amdhsa_system_sgpr_private_segment_wavefront_offset 0
		.amdhsa_system_sgpr_workgroup_id_x 1
		.amdhsa_system_sgpr_workgroup_id_y 0
		.amdhsa_system_sgpr_workgroup_id_z 0
		.amdhsa_system_sgpr_workgroup_info 0
		.amdhsa_system_vgpr_workitem_id 0
		.amdhsa_next_free_vgpr 1
		.amdhsa_next_free_sgpr 0
		.amdhsa_accum_offset 4
		.amdhsa_reserve_vcc 0
		.amdhsa_reserve_flat_scratch 0
		.amdhsa_float_round_mode_32 0
		.amdhsa_float_round_mode_16_64 0
		.amdhsa_float_denorm_mode_32 3
		.amdhsa_float_denorm_mode_16_64 3
		.amdhsa_dx10_clamp 1
		.amdhsa_ieee_mode 1
		.amdhsa_fp16_overflow 0
		.amdhsa_tg_split 0
		.amdhsa_exception_fp_ieee_invalid_op 0
		.amdhsa_exception_fp_denorm_src 0
		.amdhsa_exception_fp_ieee_div_zero 0
		.amdhsa_exception_fp_ieee_overflow 0
		.amdhsa_exception_fp_ieee_underflow 0
		.amdhsa_exception_fp_ieee_inexact 0
		.amdhsa_exception_int_div_zero 0
	.end_amdhsa_kernel
	.section	.text._ZN7rocprim17ROCPRIM_400000_NS6detail17trampoline_kernelINS0_14default_configENS1_27scan_by_key_config_selectorIj11FixedVectorIiLj4EEEEZZNS1_16scan_by_key_implILNS1_25lookback_scan_determinismE0ELb1ES3_N6thrust23THRUST_200600_302600_NS6detail15normal_iteratorINSB_10device_ptrIjEEEENSD_INSE_IS6_EEEESI_S6_NSB_4plusIvEENSB_8equal_toIvEES6_EE10hipError_tPvRmT2_T3_T4_T5_mT6_T7_P12ihipStream_tbENKUlT_T0_E_clISt17integral_constantIbLb1EES13_EEDaSY_SZ_EUlSY_E_NS1_11comp_targetILNS1_3genE3ELNS1_11target_archE908ELNS1_3gpuE7ELNS1_3repE0EEENS1_30default_config_static_selectorELNS0_4arch9wavefront6targetE1EEEvT1_,"axG",@progbits,_ZN7rocprim17ROCPRIM_400000_NS6detail17trampoline_kernelINS0_14default_configENS1_27scan_by_key_config_selectorIj11FixedVectorIiLj4EEEEZZNS1_16scan_by_key_implILNS1_25lookback_scan_determinismE0ELb1ES3_N6thrust23THRUST_200600_302600_NS6detail15normal_iteratorINSB_10device_ptrIjEEEENSD_INSE_IS6_EEEESI_S6_NSB_4plusIvEENSB_8equal_toIvEES6_EE10hipError_tPvRmT2_T3_T4_T5_mT6_T7_P12ihipStream_tbENKUlT_T0_E_clISt17integral_constantIbLb1EES13_EEDaSY_SZ_EUlSY_E_NS1_11comp_targetILNS1_3genE3ELNS1_11target_archE908ELNS1_3gpuE7ELNS1_3repE0EEENS1_30default_config_static_selectorELNS0_4arch9wavefront6targetE1EEEvT1_,comdat
.Lfunc_end2088:
	.size	_ZN7rocprim17ROCPRIM_400000_NS6detail17trampoline_kernelINS0_14default_configENS1_27scan_by_key_config_selectorIj11FixedVectorIiLj4EEEEZZNS1_16scan_by_key_implILNS1_25lookback_scan_determinismE0ELb1ES3_N6thrust23THRUST_200600_302600_NS6detail15normal_iteratorINSB_10device_ptrIjEEEENSD_INSE_IS6_EEEESI_S6_NSB_4plusIvEENSB_8equal_toIvEES6_EE10hipError_tPvRmT2_T3_T4_T5_mT6_T7_P12ihipStream_tbENKUlT_T0_E_clISt17integral_constantIbLb1EES13_EEDaSY_SZ_EUlSY_E_NS1_11comp_targetILNS1_3genE3ELNS1_11target_archE908ELNS1_3gpuE7ELNS1_3repE0EEENS1_30default_config_static_selectorELNS0_4arch9wavefront6targetE1EEEvT1_, .Lfunc_end2088-_ZN7rocprim17ROCPRIM_400000_NS6detail17trampoline_kernelINS0_14default_configENS1_27scan_by_key_config_selectorIj11FixedVectorIiLj4EEEEZZNS1_16scan_by_key_implILNS1_25lookback_scan_determinismE0ELb1ES3_N6thrust23THRUST_200600_302600_NS6detail15normal_iteratorINSB_10device_ptrIjEEEENSD_INSE_IS6_EEEESI_S6_NSB_4plusIvEENSB_8equal_toIvEES6_EE10hipError_tPvRmT2_T3_T4_T5_mT6_T7_P12ihipStream_tbENKUlT_T0_E_clISt17integral_constantIbLb1EES13_EEDaSY_SZ_EUlSY_E_NS1_11comp_targetILNS1_3genE3ELNS1_11target_archE908ELNS1_3gpuE7ELNS1_3repE0EEENS1_30default_config_static_selectorELNS0_4arch9wavefront6targetE1EEEvT1_
                                        ; -- End function
	.section	.AMDGPU.csdata,"",@progbits
; Kernel info:
; codeLenInByte = 0
; NumSgprs: 4
; NumVgprs: 0
; NumAgprs: 0
; TotalNumVgprs: 0
; ScratchSize: 0
; MemoryBound: 0
; FloatMode: 240
; IeeeMode: 1
; LDSByteSize: 0 bytes/workgroup (compile time only)
; SGPRBlocks: 0
; VGPRBlocks: 0
; NumSGPRsForWavesPerEU: 4
; NumVGPRsForWavesPerEU: 1
; AccumOffset: 4
; Occupancy: 8
; WaveLimiterHint : 0
; COMPUTE_PGM_RSRC2:SCRATCH_EN: 0
; COMPUTE_PGM_RSRC2:USER_SGPR: 6
; COMPUTE_PGM_RSRC2:TRAP_HANDLER: 0
; COMPUTE_PGM_RSRC2:TGID_X_EN: 1
; COMPUTE_PGM_RSRC2:TGID_Y_EN: 0
; COMPUTE_PGM_RSRC2:TGID_Z_EN: 0
; COMPUTE_PGM_RSRC2:TIDIG_COMP_CNT: 0
; COMPUTE_PGM_RSRC3_GFX90A:ACCUM_OFFSET: 0
; COMPUTE_PGM_RSRC3_GFX90A:TG_SPLIT: 0
	.section	.text._ZN7rocprim17ROCPRIM_400000_NS6detail17trampoline_kernelINS0_14default_configENS1_27scan_by_key_config_selectorIj11FixedVectorIiLj4EEEEZZNS1_16scan_by_key_implILNS1_25lookback_scan_determinismE0ELb1ES3_N6thrust23THRUST_200600_302600_NS6detail15normal_iteratorINSB_10device_ptrIjEEEENSD_INSE_IS6_EEEESI_S6_NSB_4plusIvEENSB_8equal_toIvEES6_EE10hipError_tPvRmT2_T3_T4_T5_mT6_T7_P12ihipStream_tbENKUlT_T0_E_clISt17integral_constantIbLb1EES13_EEDaSY_SZ_EUlSY_E_NS1_11comp_targetILNS1_3genE2ELNS1_11target_archE906ELNS1_3gpuE6ELNS1_3repE0EEENS1_30default_config_static_selectorELNS0_4arch9wavefront6targetE1EEEvT1_,"axG",@progbits,_ZN7rocprim17ROCPRIM_400000_NS6detail17trampoline_kernelINS0_14default_configENS1_27scan_by_key_config_selectorIj11FixedVectorIiLj4EEEEZZNS1_16scan_by_key_implILNS1_25lookback_scan_determinismE0ELb1ES3_N6thrust23THRUST_200600_302600_NS6detail15normal_iteratorINSB_10device_ptrIjEEEENSD_INSE_IS6_EEEESI_S6_NSB_4plusIvEENSB_8equal_toIvEES6_EE10hipError_tPvRmT2_T3_T4_T5_mT6_T7_P12ihipStream_tbENKUlT_T0_E_clISt17integral_constantIbLb1EES13_EEDaSY_SZ_EUlSY_E_NS1_11comp_targetILNS1_3genE2ELNS1_11target_archE906ELNS1_3gpuE6ELNS1_3repE0EEENS1_30default_config_static_selectorELNS0_4arch9wavefront6targetE1EEEvT1_,comdat
	.protected	_ZN7rocprim17ROCPRIM_400000_NS6detail17trampoline_kernelINS0_14default_configENS1_27scan_by_key_config_selectorIj11FixedVectorIiLj4EEEEZZNS1_16scan_by_key_implILNS1_25lookback_scan_determinismE0ELb1ES3_N6thrust23THRUST_200600_302600_NS6detail15normal_iteratorINSB_10device_ptrIjEEEENSD_INSE_IS6_EEEESI_S6_NSB_4plusIvEENSB_8equal_toIvEES6_EE10hipError_tPvRmT2_T3_T4_T5_mT6_T7_P12ihipStream_tbENKUlT_T0_E_clISt17integral_constantIbLb1EES13_EEDaSY_SZ_EUlSY_E_NS1_11comp_targetILNS1_3genE2ELNS1_11target_archE906ELNS1_3gpuE6ELNS1_3repE0EEENS1_30default_config_static_selectorELNS0_4arch9wavefront6targetE1EEEvT1_ ; -- Begin function _ZN7rocprim17ROCPRIM_400000_NS6detail17trampoline_kernelINS0_14default_configENS1_27scan_by_key_config_selectorIj11FixedVectorIiLj4EEEEZZNS1_16scan_by_key_implILNS1_25lookback_scan_determinismE0ELb1ES3_N6thrust23THRUST_200600_302600_NS6detail15normal_iteratorINSB_10device_ptrIjEEEENSD_INSE_IS6_EEEESI_S6_NSB_4plusIvEENSB_8equal_toIvEES6_EE10hipError_tPvRmT2_T3_T4_T5_mT6_T7_P12ihipStream_tbENKUlT_T0_E_clISt17integral_constantIbLb1EES13_EEDaSY_SZ_EUlSY_E_NS1_11comp_targetILNS1_3genE2ELNS1_11target_archE906ELNS1_3gpuE6ELNS1_3repE0EEENS1_30default_config_static_selectorELNS0_4arch9wavefront6targetE1EEEvT1_
	.globl	_ZN7rocprim17ROCPRIM_400000_NS6detail17trampoline_kernelINS0_14default_configENS1_27scan_by_key_config_selectorIj11FixedVectorIiLj4EEEEZZNS1_16scan_by_key_implILNS1_25lookback_scan_determinismE0ELb1ES3_N6thrust23THRUST_200600_302600_NS6detail15normal_iteratorINSB_10device_ptrIjEEEENSD_INSE_IS6_EEEESI_S6_NSB_4plusIvEENSB_8equal_toIvEES6_EE10hipError_tPvRmT2_T3_T4_T5_mT6_T7_P12ihipStream_tbENKUlT_T0_E_clISt17integral_constantIbLb1EES13_EEDaSY_SZ_EUlSY_E_NS1_11comp_targetILNS1_3genE2ELNS1_11target_archE906ELNS1_3gpuE6ELNS1_3repE0EEENS1_30default_config_static_selectorELNS0_4arch9wavefront6targetE1EEEvT1_
	.p2align	8
	.type	_ZN7rocprim17ROCPRIM_400000_NS6detail17trampoline_kernelINS0_14default_configENS1_27scan_by_key_config_selectorIj11FixedVectorIiLj4EEEEZZNS1_16scan_by_key_implILNS1_25lookback_scan_determinismE0ELb1ES3_N6thrust23THRUST_200600_302600_NS6detail15normal_iteratorINSB_10device_ptrIjEEEENSD_INSE_IS6_EEEESI_S6_NSB_4plusIvEENSB_8equal_toIvEES6_EE10hipError_tPvRmT2_T3_T4_T5_mT6_T7_P12ihipStream_tbENKUlT_T0_E_clISt17integral_constantIbLb1EES13_EEDaSY_SZ_EUlSY_E_NS1_11comp_targetILNS1_3genE2ELNS1_11target_archE906ELNS1_3gpuE6ELNS1_3repE0EEENS1_30default_config_static_selectorELNS0_4arch9wavefront6targetE1EEEvT1_,@function
_ZN7rocprim17ROCPRIM_400000_NS6detail17trampoline_kernelINS0_14default_configENS1_27scan_by_key_config_selectorIj11FixedVectorIiLj4EEEEZZNS1_16scan_by_key_implILNS1_25lookback_scan_determinismE0ELb1ES3_N6thrust23THRUST_200600_302600_NS6detail15normal_iteratorINSB_10device_ptrIjEEEENSD_INSE_IS6_EEEESI_S6_NSB_4plusIvEENSB_8equal_toIvEES6_EE10hipError_tPvRmT2_T3_T4_T5_mT6_T7_P12ihipStream_tbENKUlT_T0_E_clISt17integral_constantIbLb1EES13_EEDaSY_SZ_EUlSY_E_NS1_11comp_targetILNS1_3genE2ELNS1_11target_archE906ELNS1_3gpuE6ELNS1_3repE0EEENS1_30default_config_static_selectorELNS0_4arch9wavefront6targetE1EEEvT1_: ; @_ZN7rocprim17ROCPRIM_400000_NS6detail17trampoline_kernelINS0_14default_configENS1_27scan_by_key_config_selectorIj11FixedVectorIiLj4EEEEZZNS1_16scan_by_key_implILNS1_25lookback_scan_determinismE0ELb1ES3_N6thrust23THRUST_200600_302600_NS6detail15normal_iteratorINSB_10device_ptrIjEEEENSD_INSE_IS6_EEEESI_S6_NSB_4plusIvEENSB_8equal_toIvEES6_EE10hipError_tPvRmT2_T3_T4_T5_mT6_T7_P12ihipStream_tbENKUlT_T0_E_clISt17integral_constantIbLb1EES13_EEDaSY_SZ_EUlSY_E_NS1_11comp_targetILNS1_3genE2ELNS1_11target_archE906ELNS1_3gpuE6ELNS1_3repE0EEENS1_30default_config_static_selectorELNS0_4arch9wavefront6targetE1EEEvT1_
; %bb.0:
	.section	.rodata,"a",@progbits
	.p2align	6, 0x0
	.amdhsa_kernel _ZN7rocprim17ROCPRIM_400000_NS6detail17trampoline_kernelINS0_14default_configENS1_27scan_by_key_config_selectorIj11FixedVectorIiLj4EEEEZZNS1_16scan_by_key_implILNS1_25lookback_scan_determinismE0ELb1ES3_N6thrust23THRUST_200600_302600_NS6detail15normal_iteratorINSB_10device_ptrIjEEEENSD_INSE_IS6_EEEESI_S6_NSB_4plusIvEENSB_8equal_toIvEES6_EE10hipError_tPvRmT2_T3_T4_T5_mT6_T7_P12ihipStream_tbENKUlT_T0_E_clISt17integral_constantIbLb1EES13_EEDaSY_SZ_EUlSY_E_NS1_11comp_targetILNS1_3genE2ELNS1_11target_archE906ELNS1_3gpuE6ELNS1_3repE0EEENS1_30default_config_static_selectorELNS0_4arch9wavefront6targetE1EEEvT1_
		.amdhsa_group_segment_fixed_size 0
		.amdhsa_private_segment_fixed_size 0
		.amdhsa_kernarg_size 144
		.amdhsa_user_sgpr_count 6
		.amdhsa_user_sgpr_private_segment_buffer 1
		.amdhsa_user_sgpr_dispatch_ptr 0
		.amdhsa_user_sgpr_queue_ptr 0
		.amdhsa_user_sgpr_kernarg_segment_ptr 1
		.amdhsa_user_sgpr_dispatch_id 0
		.amdhsa_user_sgpr_flat_scratch_init 0
		.amdhsa_user_sgpr_kernarg_preload_length 0
		.amdhsa_user_sgpr_kernarg_preload_offset 0
		.amdhsa_user_sgpr_private_segment_size 0
		.amdhsa_uses_dynamic_stack 0
		.amdhsa_system_sgpr_private_segment_wavefront_offset 0
		.amdhsa_system_sgpr_workgroup_id_x 1
		.amdhsa_system_sgpr_workgroup_id_y 0
		.amdhsa_system_sgpr_workgroup_id_z 0
		.amdhsa_system_sgpr_workgroup_info 0
		.amdhsa_system_vgpr_workitem_id 0
		.amdhsa_next_free_vgpr 1
		.amdhsa_next_free_sgpr 0
		.amdhsa_accum_offset 4
		.amdhsa_reserve_vcc 0
		.amdhsa_reserve_flat_scratch 0
		.amdhsa_float_round_mode_32 0
		.amdhsa_float_round_mode_16_64 0
		.amdhsa_float_denorm_mode_32 3
		.amdhsa_float_denorm_mode_16_64 3
		.amdhsa_dx10_clamp 1
		.amdhsa_ieee_mode 1
		.amdhsa_fp16_overflow 0
		.amdhsa_tg_split 0
		.amdhsa_exception_fp_ieee_invalid_op 0
		.amdhsa_exception_fp_denorm_src 0
		.amdhsa_exception_fp_ieee_div_zero 0
		.amdhsa_exception_fp_ieee_overflow 0
		.amdhsa_exception_fp_ieee_underflow 0
		.amdhsa_exception_fp_ieee_inexact 0
		.amdhsa_exception_int_div_zero 0
	.end_amdhsa_kernel
	.section	.text._ZN7rocprim17ROCPRIM_400000_NS6detail17trampoline_kernelINS0_14default_configENS1_27scan_by_key_config_selectorIj11FixedVectorIiLj4EEEEZZNS1_16scan_by_key_implILNS1_25lookback_scan_determinismE0ELb1ES3_N6thrust23THRUST_200600_302600_NS6detail15normal_iteratorINSB_10device_ptrIjEEEENSD_INSE_IS6_EEEESI_S6_NSB_4plusIvEENSB_8equal_toIvEES6_EE10hipError_tPvRmT2_T3_T4_T5_mT6_T7_P12ihipStream_tbENKUlT_T0_E_clISt17integral_constantIbLb1EES13_EEDaSY_SZ_EUlSY_E_NS1_11comp_targetILNS1_3genE2ELNS1_11target_archE906ELNS1_3gpuE6ELNS1_3repE0EEENS1_30default_config_static_selectorELNS0_4arch9wavefront6targetE1EEEvT1_,"axG",@progbits,_ZN7rocprim17ROCPRIM_400000_NS6detail17trampoline_kernelINS0_14default_configENS1_27scan_by_key_config_selectorIj11FixedVectorIiLj4EEEEZZNS1_16scan_by_key_implILNS1_25lookback_scan_determinismE0ELb1ES3_N6thrust23THRUST_200600_302600_NS6detail15normal_iteratorINSB_10device_ptrIjEEEENSD_INSE_IS6_EEEESI_S6_NSB_4plusIvEENSB_8equal_toIvEES6_EE10hipError_tPvRmT2_T3_T4_T5_mT6_T7_P12ihipStream_tbENKUlT_T0_E_clISt17integral_constantIbLb1EES13_EEDaSY_SZ_EUlSY_E_NS1_11comp_targetILNS1_3genE2ELNS1_11target_archE906ELNS1_3gpuE6ELNS1_3repE0EEENS1_30default_config_static_selectorELNS0_4arch9wavefront6targetE1EEEvT1_,comdat
.Lfunc_end2089:
	.size	_ZN7rocprim17ROCPRIM_400000_NS6detail17trampoline_kernelINS0_14default_configENS1_27scan_by_key_config_selectorIj11FixedVectorIiLj4EEEEZZNS1_16scan_by_key_implILNS1_25lookback_scan_determinismE0ELb1ES3_N6thrust23THRUST_200600_302600_NS6detail15normal_iteratorINSB_10device_ptrIjEEEENSD_INSE_IS6_EEEESI_S6_NSB_4plusIvEENSB_8equal_toIvEES6_EE10hipError_tPvRmT2_T3_T4_T5_mT6_T7_P12ihipStream_tbENKUlT_T0_E_clISt17integral_constantIbLb1EES13_EEDaSY_SZ_EUlSY_E_NS1_11comp_targetILNS1_3genE2ELNS1_11target_archE906ELNS1_3gpuE6ELNS1_3repE0EEENS1_30default_config_static_selectorELNS0_4arch9wavefront6targetE1EEEvT1_, .Lfunc_end2089-_ZN7rocprim17ROCPRIM_400000_NS6detail17trampoline_kernelINS0_14default_configENS1_27scan_by_key_config_selectorIj11FixedVectorIiLj4EEEEZZNS1_16scan_by_key_implILNS1_25lookback_scan_determinismE0ELb1ES3_N6thrust23THRUST_200600_302600_NS6detail15normal_iteratorINSB_10device_ptrIjEEEENSD_INSE_IS6_EEEESI_S6_NSB_4plusIvEENSB_8equal_toIvEES6_EE10hipError_tPvRmT2_T3_T4_T5_mT6_T7_P12ihipStream_tbENKUlT_T0_E_clISt17integral_constantIbLb1EES13_EEDaSY_SZ_EUlSY_E_NS1_11comp_targetILNS1_3genE2ELNS1_11target_archE906ELNS1_3gpuE6ELNS1_3repE0EEENS1_30default_config_static_selectorELNS0_4arch9wavefront6targetE1EEEvT1_
                                        ; -- End function
	.section	.AMDGPU.csdata,"",@progbits
; Kernel info:
; codeLenInByte = 0
; NumSgprs: 4
; NumVgprs: 0
; NumAgprs: 0
; TotalNumVgprs: 0
; ScratchSize: 0
; MemoryBound: 0
; FloatMode: 240
; IeeeMode: 1
; LDSByteSize: 0 bytes/workgroup (compile time only)
; SGPRBlocks: 0
; VGPRBlocks: 0
; NumSGPRsForWavesPerEU: 4
; NumVGPRsForWavesPerEU: 1
; AccumOffset: 4
; Occupancy: 8
; WaveLimiterHint : 0
; COMPUTE_PGM_RSRC2:SCRATCH_EN: 0
; COMPUTE_PGM_RSRC2:USER_SGPR: 6
; COMPUTE_PGM_RSRC2:TRAP_HANDLER: 0
; COMPUTE_PGM_RSRC2:TGID_X_EN: 1
; COMPUTE_PGM_RSRC2:TGID_Y_EN: 0
; COMPUTE_PGM_RSRC2:TGID_Z_EN: 0
; COMPUTE_PGM_RSRC2:TIDIG_COMP_CNT: 0
; COMPUTE_PGM_RSRC3_GFX90A:ACCUM_OFFSET: 0
; COMPUTE_PGM_RSRC3_GFX90A:TG_SPLIT: 0
	.section	.text._ZN7rocprim17ROCPRIM_400000_NS6detail17trampoline_kernelINS0_14default_configENS1_27scan_by_key_config_selectorIj11FixedVectorIiLj4EEEEZZNS1_16scan_by_key_implILNS1_25lookback_scan_determinismE0ELb1ES3_N6thrust23THRUST_200600_302600_NS6detail15normal_iteratorINSB_10device_ptrIjEEEENSD_INSE_IS6_EEEESI_S6_NSB_4plusIvEENSB_8equal_toIvEES6_EE10hipError_tPvRmT2_T3_T4_T5_mT6_T7_P12ihipStream_tbENKUlT_T0_E_clISt17integral_constantIbLb1EES13_EEDaSY_SZ_EUlSY_E_NS1_11comp_targetILNS1_3genE10ELNS1_11target_archE1200ELNS1_3gpuE4ELNS1_3repE0EEENS1_30default_config_static_selectorELNS0_4arch9wavefront6targetE1EEEvT1_,"axG",@progbits,_ZN7rocprim17ROCPRIM_400000_NS6detail17trampoline_kernelINS0_14default_configENS1_27scan_by_key_config_selectorIj11FixedVectorIiLj4EEEEZZNS1_16scan_by_key_implILNS1_25lookback_scan_determinismE0ELb1ES3_N6thrust23THRUST_200600_302600_NS6detail15normal_iteratorINSB_10device_ptrIjEEEENSD_INSE_IS6_EEEESI_S6_NSB_4plusIvEENSB_8equal_toIvEES6_EE10hipError_tPvRmT2_T3_T4_T5_mT6_T7_P12ihipStream_tbENKUlT_T0_E_clISt17integral_constantIbLb1EES13_EEDaSY_SZ_EUlSY_E_NS1_11comp_targetILNS1_3genE10ELNS1_11target_archE1200ELNS1_3gpuE4ELNS1_3repE0EEENS1_30default_config_static_selectorELNS0_4arch9wavefront6targetE1EEEvT1_,comdat
	.protected	_ZN7rocprim17ROCPRIM_400000_NS6detail17trampoline_kernelINS0_14default_configENS1_27scan_by_key_config_selectorIj11FixedVectorIiLj4EEEEZZNS1_16scan_by_key_implILNS1_25lookback_scan_determinismE0ELb1ES3_N6thrust23THRUST_200600_302600_NS6detail15normal_iteratorINSB_10device_ptrIjEEEENSD_INSE_IS6_EEEESI_S6_NSB_4plusIvEENSB_8equal_toIvEES6_EE10hipError_tPvRmT2_T3_T4_T5_mT6_T7_P12ihipStream_tbENKUlT_T0_E_clISt17integral_constantIbLb1EES13_EEDaSY_SZ_EUlSY_E_NS1_11comp_targetILNS1_3genE10ELNS1_11target_archE1200ELNS1_3gpuE4ELNS1_3repE0EEENS1_30default_config_static_selectorELNS0_4arch9wavefront6targetE1EEEvT1_ ; -- Begin function _ZN7rocprim17ROCPRIM_400000_NS6detail17trampoline_kernelINS0_14default_configENS1_27scan_by_key_config_selectorIj11FixedVectorIiLj4EEEEZZNS1_16scan_by_key_implILNS1_25lookback_scan_determinismE0ELb1ES3_N6thrust23THRUST_200600_302600_NS6detail15normal_iteratorINSB_10device_ptrIjEEEENSD_INSE_IS6_EEEESI_S6_NSB_4plusIvEENSB_8equal_toIvEES6_EE10hipError_tPvRmT2_T3_T4_T5_mT6_T7_P12ihipStream_tbENKUlT_T0_E_clISt17integral_constantIbLb1EES13_EEDaSY_SZ_EUlSY_E_NS1_11comp_targetILNS1_3genE10ELNS1_11target_archE1200ELNS1_3gpuE4ELNS1_3repE0EEENS1_30default_config_static_selectorELNS0_4arch9wavefront6targetE1EEEvT1_
	.globl	_ZN7rocprim17ROCPRIM_400000_NS6detail17trampoline_kernelINS0_14default_configENS1_27scan_by_key_config_selectorIj11FixedVectorIiLj4EEEEZZNS1_16scan_by_key_implILNS1_25lookback_scan_determinismE0ELb1ES3_N6thrust23THRUST_200600_302600_NS6detail15normal_iteratorINSB_10device_ptrIjEEEENSD_INSE_IS6_EEEESI_S6_NSB_4plusIvEENSB_8equal_toIvEES6_EE10hipError_tPvRmT2_T3_T4_T5_mT6_T7_P12ihipStream_tbENKUlT_T0_E_clISt17integral_constantIbLb1EES13_EEDaSY_SZ_EUlSY_E_NS1_11comp_targetILNS1_3genE10ELNS1_11target_archE1200ELNS1_3gpuE4ELNS1_3repE0EEENS1_30default_config_static_selectorELNS0_4arch9wavefront6targetE1EEEvT1_
	.p2align	8
	.type	_ZN7rocprim17ROCPRIM_400000_NS6detail17trampoline_kernelINS0_14default_configENS1_27scan_by_key_config_selectorIj11FixedVectorIiLj4EEEEZZNS1_16scan_by_key_implILNS1_25lookback_scan_determinismE0ELb1ES3_N6thrust23THRUST_200600_302600_NS6detail15normal_iteratorINSB_10device_ptrIjEEEENSD_INSE_IS6_EEEESI_S6_NSB_4plusIvEENSB_8equal_toIvEES6_EE10hipError_tPvRmT2_T3_T4_T5_mT6_T7_P12ihipStream_tbENKUlT_T0_E_clISt17integral_constantIbLb1EES13_EEDaSY_SZ_EUlSY_E_NS1_11comp_targetILNS1_3genE10ELNS1_11target_archE1200ELNS1_3gpuE4ELNS1_3repE0EEENS1_30default_config_static_selectorELNS0_4arch9wavefront6targetE1EEEvT1_,@function
_ZN7rocprim17ROCPRIM_400000_NS6detail17trampoline_kernelINS0_14default_configENS1_27scan_by_key_config_selectorIj11FixedVectorIiLj4EEEEZZNS1_16scan_by_key_implILNS1_25lookback_scan_determinismE0ELb1ES3_N6thrust23THRUST_200600_302600_NS6detail15normal_iteratorINSB_10device_ptrIjEEEENSD_INSE_IS6_EEEESI_S6_NSB_4plusIvEENSB_8equal_toIvEES6_EE10hipError_tPvRmT2_T3_T4_T5_mT6_T7_P12ihipStream_tbENKUlT_T0_E_clISt17integral_constantIbLb1EES13_EEDaSY_SZ_EUlSY_E_NS1_11comp_targetILNS1_3genE10ELNS1_11target_archE1200ELNS1_3gpuE4ELNS1_3repE0EEENS1_30default_config_static_selectorELNS0_4arch9wavefront6targetE1EEEvT1_: ; @_ZN7rocprim17ROCPRIM_400000_NS6detail17trampoline_kernelINS0_14default_configENS1_27scan_by_key_config_selectorIj11FixedVectorIiLj4EEEEZZNS1_16scan_by_key_implILNS1_25lookback_scan_determinismE0ELb1ES3_N6thrust23THRUST_200600_302600_NS6detail15normal_iteratorINSB_10device_ptrIjEEEENSD_INSE_IS6_EEEESI_S6_NSB_4plusIvEENSB_8equal_toIvEES6_EE10hipError_tPvRmT2_T3_T4_T5_mT6_T7_P12ihipStream_tbENKUlT_T0_E_clISt17integral_constantIbLb1EES13_EEDaSY_SZ_EUlSY_E_NS1_11comp_targetILNS1_3genE10ELNS1_11target_archE1200ELNS1_3gpuE4ELNS1_3repE0EEENS1_30default_config_static_selectorELNS0_4arch9wavefront6targetE1EEEvT1_
; %bb.0:
	.section	.rodata,"a",@progbits
	.p2align	6, 0x0
	.amdhsa_kernel _ZN7rocprim17ROCPRIM_400000_NS6detail17trampoline_kernelINS0_14default_configENS1_27scan_by_key_config_selectorIj11FixedVectorIiLj4EEEEZZNS1_16scan_by_key_implILNS1_25lookback_scan_determinismE0ELb1ES3_N6thrust23THRUST_200600_302600_NS6detail15normal_iteratorINSB_10device_ptrIjEEEENSD_INSE_IS6_EEEESI_S6_NSB_4plusIvEENSB_8equal_toIvEES6_EE10hipError_tPvRmT2_T3_T4_T5_mT6_T7_P12ihipStream_tbENKUlT_T0_E_clISt17integral_constantIbLb1EES13_EEDaSY_SZ_EUlSY_E_NS1_11comp_targetILNS1_3genE10ELNS1_11target_archE1200ELNS1_3gpuE4ELNS1_3repE0EEENS1_30default_config_static_selectorELNS0_4arch9wavefront6targetE1EEEvT1_
		.amdhsa_group_segment_fixed_size 0
		.amdhsa_private_segment_fixed_size 0
		.amdhsa_kernarg_size 144
		.amdhsa_user_sgpr_count 6
		.amdhsa_user_sgpr_private_segment_buffer 1
		.amdhsa_user_sgpr_dispatch_ptr 0
		.amdhsa_user_sgpr_queue_ptr 0
		.amdhsa_user_sgpr_kernarg_segment_ptr 1
		.amdhsa_user_sgpr_dispatch_id 0
		.amdhsa_user_sgpr_flat_scratch_init 0
		.amdhsa_user_sgpr_kernarg_preload_length 0
		.amdhsa_user_sgpr_kernarg_preload_offset 0
		.amdhsa_user_sgpr_private_segment_size 0
		.amdhsa_uses_dynamic_stack 0
		.amdhsa_system_sgpr_private_segment_wavefront_offset 0
		.amdhsa_system_sgpr_workgroup_id_x 1
		.amdhsa_system_sgpr_workgroup_id_y 0
		.amdhsa_system_sgpr_workgroup_id_z 0
		.amdhsa_system_sgpr_workgroup_info 0
		.amdhsa_system_vgpr_workitem_id 0
		.amdhsa_next_free_vgpr 1
		.amdhsa_next_free_sgpr 0
		.amdhsa_accum_offset 4
		.amdhsa_reserve_vcc 0
		.amdhsa_reserve_flat_scratch 0
		.amdhsa_float_round_mode_32 0
		.amdhsa_float_round_mode_16_64 0
		.amdhsa_float_denorm_mode_32 3
		.amdhsa_float_denorm_mode_16_64 3
		.amdhsa_dx10_clamp 1
		.amdhsa_ieee_mode 1
		.amdhsa_fp16_overflow 0
		.amdhsa_tg_split 0
		.amdhsa_exception_fp_ieee_invalid_op 0
		.amdhsa_exception_fp_denorm_src 0
		.amdhsa_exception_fp_ieee_div_zero 0
		.amdhsa_exception_fp_ieee_overflow 0
		.amdhsa_exception_fp_ieee_underflow 0
		.amdhsa_exception_fp_ieee_inexact 0
		.amdhsa_exception_int_div_zero 0
	.end_amdhsa_kernel
	.section	.text._ZN7rocprim17ROCPRIM_400000_NS6detail17trampoline_kernelINS0_14default_configENS1_27scan_by_key_config_selectorIj11FixedVectorIiLj4EEEEZZNS1_16scan_by_key_implILNS1_25lookback_scan_determinismE0ELb1ES3_N6thrust23THRUST_200600_302600_NS6detail15normal_iteratorINSB_10device_ptrIjEEEENSD_INSE_IS6_EEEESI_S6_NSB_4plusIvEENSB_8equal_toIvEES6_EE10hipError_tPvRmT2_T3_T4_T5_mT6_T7_P12ihipStream_tbENKUlT_T0_E_clISt17integral_constantIbLb1EES13_EEDaSY_SZ_EUlSY_E_NS1_11comp_targetILNS1_3genE10ELNS1_11target_archE1200ELNS1_3gpuE4ELNS1_3repE0EEENS1_30default_config_static_selectorELNS0_4arch9wavefront6targetE1EEEvT1_,"axG",@progbits,_ZN7rocprim17ROCPRIM_400000_NS6detail17trampoline_kernelINS0_14default_configENS1_27scan_by_key_config_selectorIj11FixedVectorIiLj4EEEEZZNS1_16scan_by_key_implILNS1_25lookback_scan_determinismE0ELb1ES3_N6thrust23THRUST_200600_302600_NS6detail15normal_iteratorINSB_10device_ptrIjEEEENSD_INSE_IS6_EEEESI_S6_NSB_4plusIvEENSB_8equal_toIvEES6_EE10hipError_tPvRmT2_T3_T4_T5_mT6_T7_P12ihipStream_tbENKUlT_T0_E_clISt17integral_constantIbLb1EES13_EEDaSY_SZ_EUlSY_E_NS1_11comp_targetILNS1_3genE10ELNS1_11target_archE1200ELNS1_3gpuE4ELNS1_3repE0EEENS1_30default_config_static_selectorELNS0_4arch9wavefront6targetE1EEEvT1_,comdat
.Lfunc_end2090:
	.size	_ZN7rocprim17ROCPRIM_400000_NS6detail17trampoline_kernelINS0_14default_configENS1_27scan_by_key_config_selectorIj11FixedVectorIiLj4EEEEZZNS1_16scan_by_key_implILNS1_25lookback_scan_determinismE0ELb1ES3_N6thrust23THRUST_200600_302600_NS6detail15normal_iteratorINSB_10device_ptrIjEEEENSD_INSE_IS6_EEEESI_S6_NSB_4plusIvEENSB_8equal_toIvEES6_EE10hipError_tPvRmT2_T3_T4_T5_mT6_T7_P12ihipStream_tbENKUlT_T0_E_clISt17integral_constantIbLb1EES13_EEDaSY_SZ_EUlSY_E_NS1_11comp_targetILNS1_3genE10ELNS1_11target_archE1200ELNS1_3gpuE4ELNS1_3repE0EEENS1_30default_config_static_selectorELNS0_4arch9wavefront6targetE1EEEvT1_, .Lfunc_end2090-_ZN7rocprim17ROCPRIM_400000_NS6detail17trampoline_kernelINS0_14default_configENS1_27scan_by_key_config_selectorIj11FixedVectorIiLj4EEEEZZNS1_16scan_by_key_implILNS1_25lookback_scan_determinismE0ELb1ES3_N6thrust23THRUST_200600_302600_NS6detail15normal_iteratorINSB_10device_ptrIjEEEENSD_INSE_IS6_EEEESI_S6_NSB_4plusIvEENSB_8equal_toIvEES6_EE10hipError_tPvRmT2_T3_T4_T5_mT6_T7_P12ihipStream_tbENKUlT_T0_E_clISt17integral_constantIbLb1EES13_EEDaSY_SZ_EUlSY_E_NS1_11comp_targetILNS1_3genE10ELNS1_11target_archE1200ELNS1_3gpuE4ELNS1_3repE0EEENS1_30default_config_static_selectorELNS0_4arch9wavefront6targetE1EEEvT1_
                                        ; -- End function
	.section	.AMDGPU.csdata,"",@progbits
; Kernel info:
; codeLenInByte = 0
; NumSgprs: 4
; NumVgprs: 0
; NumAgprs: 0
; TotalNumVgprs: 0
; ScratchSize: 0
; MemoryBound: 0
; FloatMode: 240
; IeeeMode: 1
; LDSByteSize: 0 bytes/workgroup (compile time only)
; SGPRBlocks: 0
; VGPRBlocks: 0
; NumSGPRsForWavesPerEU: 4
; NumVGPRsForWavesPerEU: 1
; AccumOffset: 4
; Occupancy: 8
; WaveLimiterHint : 0
; COMPUTE_PGM_RSRC2:SCRATCH_EN: 0
; COMPUTE_PGM_RSRC2:USER_SGPR: 6
; COMPUTE_PGM_RSRC2:TRAP_HANDLER: 0
; COMPUTE_PGM_RSRC2:TGID_X_EN: 1
; COMPUTE_PGM_RSRC2:TGID_Y_EN: 0
; COMPUTE_PGM_RSRC2:TGID_Z_EN: 0
; COMPUTE_PGM_RSRC2:TIDIG_COMP_CNT: 0
; COMPUTE_PGM_RSRC3_GFX90A:ACCUM_OFFSET: 0
; COMPUTE_PGM_RSRC3_GFX90A:TG_SPLIT: 0
	.section	.text._ZN7rocprim17ROCPRIM_400000_NS6detail17trampoline_kernelINS0_14default_configENS1_27scan_by_key_config_selectorIj11FixedVectorIiLj4EEEEZZNS1_16scan_by_key_implILNS1_25lookback_scan_determinismE0ELb1ES3_N6thrust23THRUST_200600_302600_NS6detail15normal_iteratorINSB_10device_ptrIjEEEENSD_INSE_IS6_EEEESI_S6_NSB_4plusIvEENSB_8equal_toIvEES6_EE10hipError_tPvRmT2_T3_T4_T5_mT6_T7_P12ihipStream_tbENKUlT_T0_E_clISt17integral_constantIbLb1EES13_EEDaSY_SZ_EUlSY_E_NS1_11comp_targetILNS1_3genE9ELNS1_11target_archE1100ELNS1_3gpuE3ELNS1_3repE0EEENS1_30default_config_static_selectorELNS0_4arch9wavefront6targetE1EEEvT1_,"axG",@progbits,_ZN7rocprim17ROCPRIM_400000_NS6detail17trampoline_kernelINS0_14default_configENS1_27scan_by_key_config_selectorIj11FixedVectorIiLj4EEEEZZNS1_16scan_by_key_implILNS1_25lookback_scan_determinismE0ELb1ES3_N6thrust23THRUST_200600_302600_NS6detail15normal_iteratorINSB_10device_ptrIjEEEENSD_INSE_IS6_EEEESI_S6_NSB_4plusIvEENSB_8equal_toIvEES6_EE10hipError_tPvRmT2_T3_T4_T5_mT6_T7_P12ihipStream_tbENKUlT_T0_E_clISt17integral_constantIbLb1EES13_EEDaSY_SZ_EUlSY_E_NS1_11comp_targetILNS1_3genE9ELNS1_11target_archE1100ELNS1_3gpuE3ELNS1_3repE0EEENS1_30default_config_static_selectorELNS0_4arch9wavefront6targetE1EEEvT1_,comdat
	.protected	_ZN7rocprim17ROCPRIM_400000_NS6detail17trampoline_kernelINS0_14default_configENS1_27scan_by_key_config_selectorIj11FixedVectorIiLj4EEEEZZNS1_16scan_by_key_implILNS1_25lookback_scan_determinismE0ELb1ES3_N6thrust23THRUST_200600_302600_NS6detail15normal_iteratorINSB_10device_ptrIjEEEENSD_INSE_IS6_EEEESI_S6_NSB_4plusIvEENSB_8equal_toIvEES6_EE10hipError_tPvRmT2_T3_T4_T5_mT6_T7_P12ihipStream_tbENKUlT_T0_E_clISt17integral_constantIbLb1EES13_EEDaSY_SZ_EUlSY_E_NS1_11comp_targetILNS1_3genE9ELNS1_11target_archE1100ELNS1_3gpuE3ELNS1_3repE0EEENS1_30default_config_static_selectorELNS0_4arch9wavefront6targetE1EEEvT1_ ; -- Begin function _ZN7rocprim17ROCPRIM_400000_NS6detail17trampoline_kernelINS0_14default_configENS1_27scan_by_key_config_selectorIj11FixedVectorIiLj4EEEEZZNS1_16scan_by_key_implILNS1_25lookback_scan_determinismE0ELb1ES3_N6thrust23THRUST_200600_302600_NS6detail15normal_iteratorINSB_10device_ptrIjEEEENSD_INSE_IS6_EEEESI_S6_NSB_4plusIvEENSB_8equal_toIvEES6_EE10hipError_tPvRmT2_T3_T4_T5_mT6_T7_P12ihipStream_tbENKUlT_T0_E_clISt17integral_constantIbLb1EES13_EEDaSY_SZ_EUlSY_E_NS1_11comp_targetILNS1_3genE9ELNS1_11target_archE1100ELNS1_3gpuE3ELNS1_3repE0EEENS1_30default_config_static_selectorELNS0_4arch9wavefront6targetE1EEEvT1_
	.globl	_ZN7rocprim17ROCPRIM_400000_NS6detail17trampoline_kernelINS0_14default_configENS1_27scan_by_key_config_selectorIj11FixedVectorIiLj4EEEEZZNS1_16scan_by_key_implILNS1_25lookback_scan_determinismE0ELb1ES3_N6thrust23THRUST_200600_302600_NS6detail15normal_iteratorINSB_10device_ptrIjEEEENSD_INSE_IS6_EEEESI_S6_NSB_4plusIvEENSB_8equal_toIvEES6_EE10hipError_tPvRmT2_T3_T4_T5_mT6_T7_P12ihipStream_tbENKUlT_T0_E_clISt17integral_constantIbLb1EES13_EEDaSY_SZ_EUlSY_E_NS1_11comp_targetILNS1_3genE9ELNS1_11target_archE1100ELNS1_3gpuE3ELNS1_3repE0EEENS1_30default_config_static_selectorELNS0_4arch9wavefront6targetE1EEEvT1_
	.p2align	8
	.type	_ZN7rocprim17ROCPRIM_400000_NS6detail17trampoline_kernelINS0_14default_configENS1_27scan_by_key_config_selectorIj11FixedVectorIiLj4EEEEZZNS1_16scan_by_key_implILNS1_25lookback_scan_determinismE0ELb1ES3_N6thrust23THRUST_200600_302600_NS6detail15normal_iteratorINSB_10device_ptrIjEEEENSD_INSE_IS6_EEEESI_S6_NSB_4plusIvEENSB_8equal_toIvEES6_EE10hipError_tPvRmT2_T3_T4_T5_mT6_T7_P12ihipStream_tbENKUlT_T0_E_clISt17integral_constantIbLb1EES13_EEDaSY_SZ_EUlSY_E_NS1_11comp_targetILNS1_3genE9ELNS1_11target_archE1100ELNS1_3gpuE3ELNS1_3repE0EEENS1_30default_config_static_selectorELNS0_4arch9wavefront6targetE1EEEvT1_,@function
_ZN7rocprim17ROCPRIM_400000_NS6detail17trampoline_kernelINS0_14default_configENS1_27scan_by_key_config_selectorIj11FixedVectorIiLj4EEEEZZNS1_16scan_by_key_implILNS1_25lookback_scan_determinismE0ELb1ES3_N6thrust23THRUST_200600_302600_NS6detail15normal_iteratorINSB_10device_ptrIjEEEENSD_INSE_IS6_EEEESI_S6_NSB_4plusIvEENSB_8equal_toIvEES6_EE10hipError_tPvRmT2_T3_T4_T5_mT6_T7_P12ihipStream_tbENKUlT_T0_E_clISt17integral_constantIbLb1EES13_EEDaSY_SZ_EUlSY_E_NS1_11comp_targetILNS1_3genE9ELNS1_11target_archE1100ELNS1_3gpuE3ELNS1_3repE0EEENS1_30default_config_static_selectorELNS0_4arch9wavefront6targetE1EEEvT1_: ; @_ZN7rocprim17ROCPRIM_400000_NS6detail17trampoline_kernelINS0_14default_configENS1_27scan_by_key_config_selectorIj11FixedVectorIiLj4EEEEZZNS1_16scan_by_key_implILNS1_25lookback_scan_determinismE0ELb1ES3_N6thrust23THRUST_200600_302600_NS6detail15normal_iteratorINSB_10device_ptrIjEEEENSD_INSE_IS6_EEEESI_S6_NSB_4plusIvEENSB_8equal_toIvEES6_EE10hipError_tPvRmT2_T3_T4_T5_mT6_T7_P12ihipStream_tbENKUlT_T0_E_clISt17integral_constantIbLb1EES13_EEDaSY_SZ_EUlSY_E_NS1_11comp_targetILNS1_3genE9ELNS1_11target_archE1100ELNS1_3gpuE3ELNS1_3repE0EEENS1_30default_config_static_selectorELNS0_4arch9wavefront6targetE1EEEvT1_
; %bb.0:
	.section	.rodata,"a",@progbits
	.p2align	6, 0x0
	.amdhsa_kernel _ZN7rocprim17ROCPRIM_400000_NS6detail17trampoline_kernelINS0_14default_configENS1_27scan_by_key_config_selectorIj11FixedVectorIiLj4EEEEZZNS1_16scan_by_key_implILNS1_25lookback_scan_determinismE0ELb1ES3_N6thrust23THRUST_200600_302600_NS6detail15normal_iteratorINSB_10device_ptrIjEEEENSD_INSE_IS6_EEEESI_S6_NSB_4plusIvEENSB_8equal_toIvEES6_EE10hipError_tPvRmT2_T3_T4_T5_mT6_T7_P12ihipStream_tbENKUlT_T0_E_clISt17integral_constantIbLb1EES13_EEDaSY_SZ_EUlSY_E_NS1_11comp_targetILNS1_3genE9ELNS1_11target_archE1100ELNS1_3gpuE3ELNS1_3repE0EEENS1_30default_config_static_selectorELNS0_4arch9wavefront6targetE1EEEvT1_
		.amdhsa_group_segment_fixed_size 0
		.amdhsa_private_segment_fixed_size 0
		.amdhsa_kernarg_size 144
		.amdhsa_user_sgpr_count 6
		.amdhsa_user_sgpr_private_segment_buffer 1
		.amdhsa_user_sgpr_dispatch_ptr 0
		.amdhsa_user_sgpr_queue_ptr 0
		.amdhsa_user_sgpr_kernarg_segment_ptr 1
		.amdhsa_user_sgpr_dispatch_id 0
		.amdhsa_user_sgpr_flat_scratch_init 0
		.amdhsa_user_sgpr_kernarg_preload_length 0
		.amdhsa_user_sgpr_kernarg_preload_offset 0
		.amdhsa_user_sgpr_private_segment_size 0
		.amdhsa_uses_dynamic_stack 0
		.amdhsa_system_sgpr_private_segment_wavefront_offset 0
		.amdhsa_system_sgpr_workgroup_id_x 1
		.amdhsa_system_sgpr_workgroup_id_y 0
		.amdhsa_system_sgpr_workgroup_id_z 0
		.amdhsa_system_sgpr_workgroup_info 0
		.amdhsa_system_vgpr_workitem_id 0
		.amdhsa_next_free_vgpr 1
		.amdhsa_next_free_sgpr 0
		.amdhsa_accum_offset 4
		.amdhsa_reserve_vcc 0
		.amdhsa_reserve_flat_scratch 0
		.amdhsa_float_round_mode_32 0
		.amdhsa_float_round_mode_16_64 0
		.amdhsa_float_denorm_mode_32 3
		.amdhsa_float_denorm_mode_16_64 3
		.amdhsa_dx10_clamp 1
		.amdhsa_ieee_mode 1
		.amdhsa_fp16_overflow 0
		.amdhsa_tg_split 0
		.amdhsa_exception_fp_ieee_invalid_op 0
		.amdhsa_exception_fp_denorm_src 0
		.amdhsa_exception_fp_ieee_div_zero 0
		.amdhsa_exception_fp_ieee_overflow 0
		.amdhsa_exception_fp_ieee_underflow 0
		.amdhsa_exception_fp_ieee_inexact 0
		.amdhsa_exception_int_div_zero 0
	.end_amdhsa_kernel
	.section	.text._ZN7rocprim17ROCPRIM_400000_NS6detail17trampoline_kernelINS0_14default_configENS1_27scan_by_key_config_selectorIj11FixedVectorIiLj4EEEEZZNS1_16scan_by_key_implILNS1_25lookback_scan_determinismE0ELb1ES3_N6thrust23THRUST_200600_302600_NS6detail15normal_iteratorINSB_10device_ptrIjEEEENSD_INSE_IS6_EEEESI_S6_NSB_4plusIvEENSB_8equal_toIvEES6_EE10hipError_tPvRmT2_T3_T4_T5_mT6_T7_P12ihipStream_tbENKUlT_T0_E_clISt17integral_constantIbLb1EES13_EEDaSY_SZ_EUlSY_E_NS1_11comp_targetILNS1_3genE9ELNS1_11target_archE1100ELNS1_3gpuE3ELNS1_3repE0EEENS1_30default_config_static_selectorELNS0_4arch9wavefront6targetE1EEEvT1_,"axG",@progbits,_ZN7rocprim17ROCPRIM_400000_NS6detail17trampoline_kernelINS0_14default_configENS1_27scan_by_key_config_selectorIj11FixedVectorIiLj4EEEEZZNS1_16scan_by_key_implILNS1_25lookback_scan_determinismE0ELb1ES3_N6thrust23THRUST_200600_302600_NS6detail15normal_iteratorINSB_10device_ptrIjEEEENSD_INSE_IS6_EEEESI_S6_NSB_4plusIvEENSB_8equal_toIvEES6_EE10hipError_tPvRmT2_T3_T4_T5_mT6_T7_P12ihipStream_tbENKUlT_T0_E_clISt17integral_constantIbLb1EES13_EEDaSY_SZ_EUlSY_E_NS1_11comp_targetILNS1_3genE9ELNS1_11target_archE1100ELNS1_3gpuE3ELNS1_3repE0EEENS1_30default_config_static_selectorELNS0_4arch9wavefront6targetE1EEEvT1_,comdat
.Lfunc_end2091:
	.size	_ZN7rocprim17ROCPRIM_400000_NS6detail17trampoline_kernelINS0_14default_configENS1_27scan_by_key_config_selectorIj11FixedVectorIiLj4EEEEZZNS1_16scan_by_key_implILNS1_25lookback_scan_determinismE0ELb1ES3_N6thrust23THRUST_200600_302600_NS6detail15normal_iteratorINSB_10device_ptrIjEEEENSD_INSE_IS6_EEEESI_S6_NSB_4plusIvEENSB_8equal_toIvEES6_EE10hipError_tPvRmT2_T3_T4_T5_mT6_T7_P12ihipStream_tbENKUlT_T0_E_clISt17integral_constantIbLb1EES13_EEDaSY_SZ_EUlSY_E_NS1_11comp_targetILNS1_3genE9ELNS1_11target_archE1100ELNS1_3gpuE3ELNS1_3repE0EEENS1_30default_config_static_selectorELNS0_4arch9wavefront6targetE1EEEvT1_, .Lfunc_end2091-_ZN7rocprim17ROCPRIM_400000_NS6detail17trampoline_kernelINS0_14default_configENS1_27scan_by_key_config_selectorIj11FixedVectorIiLj4EEEEZZNS1_16scan_by_key_implILNS1_25lookback_scan_determinismE0ELb1ES3_N6thrust23THRUST_200600_302600_NS6detail15normal_iteratorINSB_10device_ptrIjEEEENSD_INSE_IS6_EEEESI_S6_NSB_4plusIvEENSB_8equal_toIvEES6_EE10hipError_tPvRmT2_T3_T4_T5_mT6_T7_P12ihipStream_tbENKUlT_T0_E_clISt17integral_constantIbLb1EES13_EEDaSY_SZ_EUlSY_E_NS1_11comp_targetILNS1_3genE9ELNS1_11target_archE1100ELNS1_3gpuE3ELNS1_3repE0EEENS1_30default_config_static_selectorELNS0_4arch9wavefront6targetE1EEEvT1_
                                        ; -- End function
	.section	.AMDGPU.csdata,"",@progbits
; Kernel info:
; codeLenInByte = 0
; NumSgprs: 4
; NumVgprs: 0
; NumAgprs: 0
; TotalNumVgprs: 0
; ScratchSize: 0
; MemoryBound: 0
; FloatMode: 240
; IeeeMode: 1
; LDSByteSize: 0 bytes/workgroup (compile time only)
; SGPRBlocks: 0
; VGPRBlocks: 0
; NumSGPRsForWavesPerEU: 4
; NumVGPRsForWavesPerEU: 1
; AccumOffset: 4
; Occupancy: 8
; WaveLimiterHint : 0
; COMPUTE_PGM_RSRC2:SCRATCH_EN: 0
; COMPUTE_PGM_RSRC2:USER_SGPR: 6
; COMPUTE_PGM_RSRC2:TRAP_HANDLER: 0
; COMPUTE_PGM_RSRC2:TGID_X_EN: 1
; COMPUTE_PGM_RSRC2:TGID_Y_EN: 0
; COMPUTE_PGM_RSRC2:TGID_Z_EN: 0
; COMPUTE_PGM_RSRC2:TIDIG_COMP_CNT: 0
; COMPUTE_PGM_RSRC3_GFX90A:ACCUM_OFFSET: 0
; COMPUTE_PGM_RSRC3_GFX90A:TG_SPLIT: 0
	.section	.text._ZN7rocprim17ROCPRIM_400000_NS6detail17trampoline_kernelINS0_14default_configENS1_27scan_by_key_config_selectorIj11FixedVectorIiLj4EEEEZZNS1_16scan_by_key_implILNS1_25lookback_scan_determinismE0ELb1ES3_N6thrust23THRUST_200600_302600_NS6detail15normal_iteratorINSB_10device_ptrIjEEEENSD_INSE_IS6_EEEESI_S6_NSB_4plusIvEENSB_8equal_toIvEES6_EE10hipError_tPvRmT2_T3_T4_T5_mT6_T7_P12ihipStream_tbENKUlT_T0_E_clISt17integral_constantIbLb1EES13_EEDaSY_SZ_EUlSY_E_NS1_11comp_targetILNS1_3genE8ELNS1_11target_archE1030ELNS1_3gpuE2ELNS1_3repE0EEENS1_30default_config_static_selectorELNS0_4arch9wavefront6targetE1EEEvT1_,"axG",@progbits,_ZN7rocprim17ROCPRIM_400000_NS6detail17trampoline_kernelINS0_14default_configENS1_27scan_by_key_config_selectorIj11FixedVectorIiLj4EEEEZZNS1_16scan_by_key_implILNS1_25lookback_scan_determinismE0ELb1ES3_N6thrust23THRUST_200600_302600_NS6detail15normal_iteratorINSB_10device_ptrIjEEEENSD_INSE_IS6_EEEESI_S6_NSB_4plusIvEENSB_8equal_toIvEES6_EE10hipError_tPvRmT2_T3_T4_T5_mT6_T7_P12ihipStream_tbENKUlT_T0_E_clISt17integral_constantIbLb1EES13_EEDaSY_SZ_EUlSY_E_NS1_11comp_targetILNS1_3genE8ELNS1_11target_archE1030ELNS1_3gpuE2ELNS1_3repE0EEENS1_30default_config_static_selectorELNS0_4arch9wavefront6targetE1EEEvT1_,comdat
	.protected	_ZN7rocprim17ROCPRIM_400000_NS6detail17trampoline_kernelINS0_14default_configENS1_27scan_by_key_config_selectorIj11FixedVectorIiLj4EEEEZZNS1_16scan_by_key_implILNS1_25lookback_scan_determinismE0ELb1ES3_N6thrust23THRUST_200600_302600_NS6detail15normal_iteratorINSB_10device_ptrIjEEEENSD_INSE_IS6_EEEESI_S6_NSB_4plusIvEENSB_8equal_toIvEES6_EE10hipError_tPvRmT2_T3_T4_T5_mT6_T7_P12ihipStream_tbENKUlT_T0_E_clISt17integral_constantIbLb1EES13_EEDaSY_SZ_EUlSY_E_NS1_11comp_targetILNS1_3genE8ELNS1_11target_archE1030ELNS1_3gpuE2ELNS1_3repE0EEENS1_30default_config_static_selectorELNS0_4arch9wavefront6targetE1EEEvT1_ ; -- Begin function _ZN7rocprim17ROCPRIM_400000_NS6detail17trampoline_kernelINS0_14default_configENS1_27scan_by_key_config_selectorIj11FixedVectorIiLj4EEEEZZNS1_16scan_by_key_implILNS1_25lookback_scan_determinismE0ELb1ES3_N6thrust23THRUST_200600_302600_NS6detail15normal_iteratorINSB_10device_ptrIjEEEENSD_INSE_IS6_EEEESI_S6_NSB_4plusIvEENSB_8equal_toIvEES6_EE10hipError_tPvRmT2_T3_T4_T5_mT6_T7_P12ihipStream_tbENKUlT_T0_E_clISt17integral_constantIbLb1EES13_EEDaSY_SZ_EUlSY_E_NS1_11comp_targetILNS1_3genE8ELNS1_11target_archE1030ELNS1_3gpuE2ELNS1_3repE0EEENS1_30default_config_static_selectorELNS0_4arch9wavefront6targetE1EEEvT1_
	.globl	_ZN7rocprim17ROCPRIM_400000_NS6detail17trampoline_kernelINS0_14default_configENS1_27scan_by_key_config_selectorIj11FixedVectorIiLj4EEEEZZNS1_16scan_by_key_implILNS1_25lookback_scan_determinismE0ELb1ES3_N6thrust23THRUST_200600_302600_NS6detail15normal_iteratorINSB_10device_ptrIjEEEENSD_INSE_IS6_EEEESI_S6_NSB_4plusIvEENSB_8equal_toIvEES6_EE10hipError_tPvRmT2_T3_T4_T5_mT6_T7_P12ihipStream_tbENKUlT_T0_E_clISt17integral_constantIbLb1EES13_EEDaSY_SZ_EUlSY_E_NS1_11comp_targetILNS1_3genE8ELNS1_11target_archE1030ELNS1_3gpuE2ELNS1_3repE0EEENS1_30default_config_static_selectorELNS0_4arch9wavefront6targetE1EEEvT1_
	.p2align	8
	.type	_ZN7rocprim17ROCPRIM_400000_NS6detail17trampoline_kernelINS0_14default_configENS1_27scan_by_key_config_selectorIj11FixedVectorIiLj4EEEEZZNS1_16scan_by_key_implILNS1_25lookback_scan_determinismE0ELb1ES3_N6thrust23THRUST_200600_302600_NS6detail15normal_iteratorINSB_10device_ptrIjEEEENSD_INSE_IS6_EEEESI_S6_NSB_4plusIvEENSB_8equal_toIvEES6_EE10hipError_tPvRmT2_T3_T4_T5_mT6_T7_P12ihipStream_tbENKUlT_T0_E_clISt17integral_constantIbLb1EES13_EEDaSY_SZ_EUlSY_E_NS1_11comp_targetILNS1_3genE8ELNS1_11target_archE1030ELNS1_3gpuE2ELNS1_3repE0EEENS1_30default_config_static_selectorELNS0_4arch9wavefront6targetE1EEEvT1_,@function
_ZN7rocprim17ROCPRIM_400000_NS6detail17trampoline_kernelINS0_14default_configENS1_27scan_by_key_config_selectorIj11FixedVectorIiLj4EEEEZZNS1_16scan_by_key_implILNS1_25lookback_scan_determinismE0ELb1ES3_N6thrust23THRUST_200600_302600_NS6detail15normal_iteratorINSB_10device_ptrIjEEEENSD_INSE_IS6_EEEESI_S6_NSB_4plusIvEENSB_8equal_toIvEES6_EE10hipError_tPvRmT2_T3_T4_T5_mT6_T7_P12ihipStream_tbENKUlT_T0_E_clISt17integral_constantIbLb1EES13_EEDaSY_SZ_EUlSY_E_NS1_11comp_targetILNS1_3genE8ELNS1_11target_archE1030ELNS1_3gpuE2ELNS1_3repE0EEENS1_30default_config_static_selectorELNS0_4arch9wavefront6targetE1EEEvT1_: ; @_ZN7rocprim17ROCPRIM_400000_NS6detail17trampoline_kernelINS0_14default_configENS1_27scan_by_key_config_selectorIj11FixedVectorIiLj4EEEEZZNS1_16scan_by_key_implILNS1_25lookback_scan_determinismE0ELb1ES3_N6thrust23THRUST_200600_302600_NS6detail15normal_iteratorINSB_10device_ptrIjEEEENSD_INSE_IS6_EEEESI_S6_NSB_4plusIvEENSB_8equal_toIvEES6_EE10hipError_tPvRmT2_T3_T4_T5_mT6_T7_P12ihipStream_tbENKUlT_T0_E_clISt17integral_constantIbLb1EES13_EEDaSY_SZ_EUlSY_E_NS1_11comp_targetILNS1_3genE8ELNS1_11target_archE1030ELNS1_3gpuE2ELNS1_3repE0EEENS1_30default_config_static_selectorELNS0_4arch9wavefront6targetE1EEEvT1_
; %bb.0:
	.section	.rodata,"a",@progbits
	.p2align	6, 0x0
	.amdhsa_kernel _ZN7rocprim17ROCPRIM_400000_NS6detail17trampoline_kernelINS0_14default_configENS1_27scan_by_key_config_selectorIj11FixedVectorIiLj4EEEEZZNS1_16scan_by_key_implILNS1_25lookback_scan_determinismE0ELb1ES3_N6thrust23THRUST_200600_302600_NS6detail15normal_iteratorINSB_10device_ptrIjEEEENSD_INSE_IS6_EEEESI_S6_NSB_4plusIvEENSB_8equal_toIvEES6_EE10hipError_tPvRmT2_T3_T4_T5_mT6_T7_P12ihipStream_tbENKUlT_T0_E_clISt17integral_constantIbLb1EES13_EEDaSY_SZ_EUlSY_E_NS1_11comp_targetILNS1_3genE8ELNS1_11target_archE1030ELNS1_3gpuE2ELNS1_3repE0EEENS1_30default_config_static_selectorELNS0_4arch9wavefront6targetE1EEEvT1_
		.amdhsa_group_segment_fixed_size 0
		.amdhsa_private_segment_fixed_size 0
		.amdhsa_kernarg_size 144
		.amdhsa_user_sgpr_count 6
		.amdhsa_user_sgpr_private_segment_buffer 1
		.amdhsa_user_sgpr_dispatch_ptr 0
		.amdhsa_user_sgpr_queue_ptr 0
		.amdhsa_user_sgpr_kernarg_segment_ptr 1
		.amdhsa_user_sgpr_dispatch_id 0
		.amdhsa_user_sgpr_flat_scratch_init 0
		.amdhsa_user_sgpr_kernarg_preload_length 0
		.amdhsa_user_sgpr_kernarg_preload_offset 0
		.amdhsa_user_sgpr_private_segment_size 0
		.amdhsa_uses_dynamic_stack 0
		.amdhsa_system_sgpr_private_segment_wavefront_offset 0
		.amdhsa_system_sgpr_workgroup_id_x 1
		.amdhsa_system_sgpr_workgroup_id_y 0
		.amdhsa_system_sgpr_workgroup_id_z 0
		.amdhsa_system_sgpr_workgroup_info 0
		.amdhsa_system_vgpr_workitem_id 0
		.amdhsa_next_free_vgpr 1
		.amdhsa_next_free_sgpr 0
		.amdhsa_accum_offset 4
		.amdhsa_reserve_vcc 0
		.amdhsa_reserve_flat_scratch 0
		.amdhsa_float_round_mode_32 0
		.amdhsa_float_round_mode_16_64 0
		.amdhsa_float_denorm_mode_32 3
		.amdhsa_float_denorm_mode_16_64 3
		.amdhsa_dx10_clamp 1
		.amdhsa_ieee_mode 1
		.amdhsa_fp16_overflow 0
		.amdhsa_tg_split 0
		.amdhsa_exception_fp_ieee_invalid_op 0
		.amdhsa_exception_fp_denorm_src 0
		.amdhsa_exception_fp_ieee_div_zero 0
		.amdhsa_exception_fp_ieee_overflow 0
		.amdhsa_exception_fp_ieee_underflow 0
		.amdhsa_exception_fp_ieee_inexact 0
		.amdhsa_exception_int_div_zero 0
	.end_amdhsa_kernel
	.section	.text._ZN7rocprim17ROCPRIM_400000_NS6detail17trampoline_kernelINS0_14default_configENS1_27scan_by_key_config_selectorIj11FixedVectorIiLj4EEEEZZNS1_16scan_by_key_implILNS1_25lookback_scan_determinismE0ELb1ES3_N6thrust23THRUST_200600_302600_NS6detail15normal_iteratorINSB_10device_ptrIjEEEENSD_INSE_IS6_EEEESI_S6_NSB_4plusIvEENSB_8equal_toIvEES6_EE10hipError_tPvRmT2_T3_T4_T5_mT6_T7_P12ihipStream_tbENKUlT_T0_E_clISt17integral_constantIbLb1EES13_EEDaSY_SZ_EUlSY_E_NS1_11comp_targetILNS1_3genE8ELNS1_11target_archE1030ELNS1_3gpuE2ELNS1_3repE0EEENS1_30default_config_static_selectorELNS0_4arch9wavefront6targetE1EEEvT1_,"axG",@progbits,_ZN7rocprim17ROCPRIM_400000_NS6detail17trampoline_kernelINS0_14default_configENS1_27scan_by_key_config_selectorIj11FixedVectorIiLj4EEEEZZNS1_16scan_by_key_implILNS1_25lookback_scan_determinismE0ELb1ES3_N6thrust23THRUST_200600_302600_NS6detail15normal_iteratorINSB_10device_ptrIjEEEENSD_INSE_IS6_EEEESI_S6_NSB_4plusIvEENSB_8equal_toIvEES6_EE10hipError_tPvRmT2_T3_T4_T5_mT6_T7_P12ihipStream_tbENKUlT_T0_E_clISt17integral_constantIbLb1EES13_EEDaSY_SZ_EUlSY_E_NS1_11comp_targetILNS1_3genE8ELNS1_11target_archE1030ELNS1_3gpuE2ELNS1_3repE0EEENS1_30default_config_static_selectorELNS0_4arch9wavefront6targetE1EEEvT1_,comdat
.Lfunc_end2092:
	.size	_ZN7rocprim17ROCPRIM_400000_NS6detail17trampoline_kernelINS0_14default_configENS1_27scan_by_key_config_selectorIj11FixedVectorIiLj4EEEEZZNS1_16scan_by_key_implILNS1_25lookback_scan_determinismE0ELb1ES3_N6thrust23THRUST_200600_302600_NS6detail15normal_iteratorINSB_10device_ptrIjEEEENSD_INSE_IS6_EEEESI_S6_NSB_4plusIvEENSB_8equal_toIvEES6_EE10hipError_tPvRmT2_T3_T4_T5_mT6_T7_P12ihipStream_tbENKUlT_T0_E_clISt17integral_constantIbLb1EES13_EEDaSY_SZ_EUlSY_E_NS1_11comp_targetILNS1_3genE8ELNS1_11target_archE1030ELNS1_3gpuE2ELNS1_3repE0EEENS1_30default_config_static_selectorELNS0_4arch9wavefront6targetE1EEEvT1_, .Lfunc_end2092-_ZN7rocprim17ROCPRIM_400000_NS6detail17trampoline_kernelINS0_14default_configENS1_27scan_by_key_config_selectorIj11FixedVectorIiLj4EEEEZZNS1_16scan_by_key_implILNS1_25lookback_scan_determinismE0ELb1ES3_N6thrust23THRUST_200600_302600_NS6detail15normal_iteratorINSB_10device_ptrIjEEEENSD_INSE_IS6_EEEESI_S6_NSB_4plusIvEENSB_8equal_toIvEES6_EE10hipError_tPvRmT2_T3_T4_T5_mT6_T7_P12ihipStream_tbENKUlT_T0_E_clISt17integral_constantIbLb1EES13_EEDaSY_SZ_EUlSY_E_NS1_11comp_targetILNS1_3genE8ELNS1_11target_archE1030ELNS1_3gpuE2ELNS1_3repE0EEENS1_30default_config_static_selectorELNS0_4arch9wavefront6targetE1EEEvT1_
                                        ; -- End function
	.section	.AMDGPU.csdata,"",@progbits
; Kernel info:
; codeLenInByte = 0
; NumSgprs: 4
; NumVgprs: 0
; NumAgprs: 0
; TotalNumVgprs: 0
; ScratchSize: 0
; MemoryBound: 0
; FloatMode: 240
; IeeeMode: 1
; LDSByteSize: 0 bytes/workgroup (compile time only)
; SGPRBlocks: 0
; VGPRBlocks: 0
; NumSGPRsForWavesPerEU: 4
; NumVGPRsForWavesPerEU: 1
; AccumOffset: 4
; Occupancy: 8
; WaveLimiterHint : 0
; COMPUTE_PGM_RSRC2:SCRATCH_EN: 0
; COMPUTE_PGM_RSRC2:USER_SGPR: 6
; COMPUTE_PGM_RSRC2:TRAP_HANDLER: 0
; COMPUTE_PGM_RSRC2:TGID_X_EN: 1
; COMPUTE_PGM_RSRC2:TGID_Y_EN: 0
; COMPUTE_PGM_RSRC2:TGID_Z_EN: 0
; COMPUTE_PGM_RSRC2:TIDIG_COMP_CNT: 0
; COMPUTE_PGM_RSRC3_GFX90A:ACCUM_OFFSET: 0
; COMPUTE_PGM_RSRC3_GFX90A:TG_SPLIT: 0
	.section	.text._ZN7rocprim17ROCPRIM_400000_NS6detail17trampoline_kernelINS0_14default_configENS1_27scan_by_key_config_selectorIj11FixedVectorIiLj4EEEEZZNS1_16scan_by_key_implILNS1_25lookback_scan_determinismE0ELb1ES3_N6thrust23THRUST_200600_302600_NS6detail15normal_iteratorINSB_10device_ptrIjEEEENSD_INSE_IS6_EEEESI_S6_NSB_4plusIvEENSB_8equal_toIvEES6_EE10hipError_tPvRmT2_T3_T4_T5_mT6_T7_P12ihipStream_tbENKUlT_T0_E_clISt17integral_constantIbLb1EES12_IbLb0EEEEDaSY_SZ_EUlSY_E_NS1_11comp_targetILNS1_3genE0ELNS1_11target_archE4294967295ELNS1_3gpuE0ELNS1_3repE0EEENS1_30default_config_static_selectorELNS0_4arch9wavefront6targetE1EEEvT1_,"axG",@progbits,_ZN7rocprim17ROCPRIM_400000_NS6detail17trampoline_kernelINS0_14default_configENS1_27scan_by_key_config_selectorIj11FixedVectorIiLj4EEEEZZNS1_16scan_by_key_implILNS1_25lookback_scan_determinismE0ELb1ES3_N6thrust23THRUST_200600_302600_NS6detail15normal_iteratorINSB_10device_ptrIjEEEENSD_INSE_IS6_EEEESI_S6_NSB_4plusIvEENSB_8equal_toIvEES6_EE10hipError_tPvRmT2_T3_T4_T5_mT6_T7_P12ihipStream_tbENKUlT_T0_E_clISt17integral_constantIbLb1EES12_IbLb0EEEEDaSY_SZ_EUlSY_E_NS1_11comp_targetILNS1_3genE0ELNS1_11target_archE4294967295ELNS1_3gpuE0ELNS1_3repE0EEENS1_30default_config_static_selectorELNS0_4arch9wavefront6targetE1EEEvT1_,comdat
	.protected	_ZN7rocprim17ROCPRIM_400000_NS6detail17trampoline_kernelINS0_14default_configENS1_27scan_by_key_config_selectorIj11FixedVectorIiLj4EEEEZZNS1_16scan_by_key_implILNS1_25lookback_scan_determinismE0ELb1ES3_N6thrust23THRUST_200600_302600_NS6detail15normal_iteratorINSB_10device_ptrIjEEEENSD_INSE_IS6_EEEESI_S6_NSB_4plusIvEENSB_8equal_toIvEES6_EE10hipError_tPvRmT2_T3_T4_T5_mT6_T7_P12ihipStream_tbENKUlT_T0_E_clISt17integral_constantIbLb1EES12_IbLb0EEEEDaSY_SZ_EUlSY_E_NS1_11comp_targetILNS1_3genE0ELNS1_11target_archE4294967295ELNS1_3gpuE0ELNS1_3repE0EEENS1_30default_config_static_selectorELNS0_4arch9wavefront6targetE1EEEvT1_ ; -- Begin function _ZN7rocprim17ROCPRIM_400000_NS6detail17trampoline_kernelINS0_14default_configENS1_27scan_by_key_config_selectorIj11FixedVectorIiLj4EEEEZZNS1_16scan_by_key_implILNS1_25lookback_scan_determinismE0ELb1ES3_N6thrust23THRUST_200600_302600_NS6detail15normal_iteratorINSB_10device_ptrIjEEEENSD_INSE_IS6_EEEESI_S6_NSB_4plusIvEENSB_8equal_toIvEES6_EE10hipError_tPvRmT2_T3_T4_T5_mT6_T7_P12ihipStream_tbENKUlT_T0_E_clISt17integral_constantIbLb1EES12_IbLb0EEEEDaSY_SZ_EUlSY_E_NS1_11comp_targetILNS1_3genE0ELNS1_11target_archE4294967295ELNS1_3gpuE0ELNS1_3repE0EEENS1_30default_config_static_selectorELNS0_4arch9wavefront6targetE1EEEvT1_
	.globl	_ZN7rocprim17ROCPRIM_400000_NS6detail17trampoline_kernelINS0_14default_configENS1_27scan_by_key_config_selectorIj11FixedVectorIiLj4EEEEZZNS1_16scan_by_key_implILNS1_25lookback_scan_determinismE0ELb1ES3_N6thrust23THRUST_200600_302600_NS6detail15normal_iteratorINSB_10device_ptrIjEEEENSD_INSE_IS6_EEEESI_S6_NSB_4plusIvEENSB_8equal_toIvEES6_EE10hipError_tPvRmT2_T3_T4_T5_mT6_T7_P12ihipStream_tbENKUlT_T0_E_clISt17integral_constantIbLb1EES12_IbLb0EEEEDaSY_SZ_EUlSY_E_NS1_11comp_targetILNS1_3genE0ELNS1_11target_archE4294967295ELNS1_3gpuE0ELNS1_3repE0EEENS1_30default_config_static_selectorELNS0_4arch9wavefront6targetE1EEEvT1_
	.p2align	8
	.type	_ZN7rocprim17ROCPRIM_400000_NS6detail17trampoline_kernelINS0_14default_configENS1_27scan_by_key_config_selectorIj11FixedVectorIiLj4EEEEZZNS1_16scan_by_key_implILNS1_25lookback_scan_determinismE0ELb1ES3_N6thrust23THRUST_200600_302600_NS6detail15normal_iteratorINSB_10device_ptrIjEEEENSD_INSE_IS6_EEEESI_S6_NSB_4plusIvEENSB_8equal_toIvEES6_EE10hipError_tPvRmT2_T3_T4_T5_mT6_T7_P12ihipStream_tbENKUlT_T0_E_clISt17integral_constantIbLb1EES12_IbLb0EEEEDaSY_SZ_EUlSY_E_NS1_11comp_targetILNS1_3genE0ELNS1_11target_archE4294967295ELNS1_3gpuE0ELNS1_3repE0EEENS1_30default_config_static_selectorELNS0_4arch9wavefront6targetE1EEEvT1_,@function
_ZN7rocprim17ROCPRIM_400000_NS6detail17trampoline_kernelINS0_14default_configENS1_27scan_by_key_config_selectorIj11FixedVectorIiLj4EEEEZZNS1_16scan_by_key_implILNS1_25lookback_scan_determinismE0ELb1ES3_N6thrust23THRUST_200600_302600_NS6detail15normal_iteratorINSB_10device_ptrIjEEEENSD_INSE_IS6_EEEESI_S6_NSB_4plusIvEENSB_8equal_toIvEES6_EE10hipError_tPvRmT2_T3_T4_T5_mT6_T7_P12ihipStream_tbENKUlT_T0_E_clISt17integral_constantIbLb1EES12_IbLb0EEEEDaSY_SZ_EUlSY_E_NS1_11comp_targetILNS1_3genE0ELNS1_11target_archE4294967295ELNS1_3gpuE0ELNS1_3repE0EEENS1_30default_config_static_selectorELNS0_4arch9wavefront6targetE1EEEvT1_: ; @_ZN7rocprim17ROCPRIM_400000_NS6detail17trampoline_kernelINS0_14default_configENS1_27scan_by_key_config_selectorIj11FixedVectorIiLj4EEEEZZNS1_16scan_by_key_implILNS1_25lookback_scan_determinismE0ELb1ES3_N6thrust23THRUST_200600_302600_NS6detail15normal_iteratorINSB_10device_ptrIjEEEENSD_INSE_IS6_EEEESI_S6_NSB_4plusIvEENSB_8equal_toIvEES6_EE10hipError_tPvRmT2_T3_T4_T5_mT6_T7_P12ihipStream_tbENKUlT_T0_E_clISt17integral_constantIbLb1EES12_IbLb0EEEEDaSY_SZ_EUlSY_E_NS1_11comp_targetILNS1_3genE0ELNS1_11target_archE4294967295ELNS1_3gpuE0ELNS1_3repE0EEENS1_30default_config_static_selectorELNS0_4arch9wavefront6targetE1EEEvT1_
; %bb.0:
	.section	.rodata,"a",@progbits
	.p2align	6, 0x0
	.amdhsa_kernel _ZN7rocprim17ROCPRIM_400000_NS6detail17trampoline_kernelINS0_14default_configENS1_27scan_by_key_config_selectorIj11FixedVectorIiLj4EEEEZZNS1_16scan_by_key_implILNS1_25lookback_scan_determinismE0ELb1ES3_N6thrust23THRUST_200600_302600_NS6detail15normal_iteratorINSB_10device_ptrIjEEEENSD_INSE_IS6_EEEESI_S6_NSB_4plusIvEENSB_8equal_toIvEES6_EE10hipError_tPvRmT2_T3_T4_T5_mT6_T7_P12ihipStream_tbENKUlT_T0_E_clISt17integral_constantIbLb1EES12_IbLb0EEEEDaSY_SZ_EUlSY_E_NS1_11comp_targetILNS1_3genE0ELNS1_11target_archE4294967295ELNS1_3gpuE0ELNS1_3repE0EEENS1_30default_config_static_selectorELNS0_4arch9wavefront6targetE1EEEvT1_
		.amdhsa_group_segment_fixed_size 0
		.amdhsa_private_segment_fixed_size 0
		.amdhsa_kernarg_size 144
		.amdhsa_user_sgpr_count 6
		.amdhsa_user_sgpr_private_segment_buffer 1
		.amdhsa_user_sgpr_dispatch_ptr 0
		.amdhsa_user_sgpr_queue_ptr 0
		.amdhsa_user_sgpr_kernarg_segment_ptr 1
		.amdhsa_user_sgpr_dispatch_id 0
		.amdhsa_user_sgpr_flat_scratch_init 0
		.amdhsa_user_sgpr_kernarg_preload_length 0
		.amdhsa_user_sgpr_kernarg_preload_offset 0
		.amdhsa_user_sgpr_private_segment_size 0
		.amdhsa_uses_dynamic_stack 0
		.amdhsa_system_sgpr_private_segment_wavefront_offset 0
		.amdhsa_system_sgpr_workgroup_id_x 1
		.amdhsa_system_sgpr_workgroup_id_y 0
		.amdhsa_system_sgpr_workgroup_id_z 0
		.amdhsa_system_sgpr_workgroup_info 0
		.amdhsa_system_vgpr_workitem_id 0
		.amdhsa_next_free_vgpr 1
		.amdhsa_next_free_sgpr 0
		.amdhsa_accum_offset 4
		.amdhsa_reserve_vcc 0
		.amdhsa_reserve_flat_scratch 0
		.amdhsa_float_round_mode_32 0
		.amdhsa_float_round_mode_16_64 0
		.amdhsa_float_denorm_mode_32 3
		.amdhsa_float_denorm_mode_16_64 3
		.amdhsa_dx10_clamp 1
		.amdhsa_ieee_mode 1
		.amdhsa_fp16_overflow 0
		.amdhsa_tg_split 0
		.amdhsa_exception_fp_ieee_invalid_op 0
		.amdhsa_exception_fp_denorm_src 0
		.amdhsa_exception_fp_ieee_div_zero 0
		.amdhsa_exception_fp_ieee_overflow 0
		.amdhsa_exception_fp_ieee_underflow 0
		.amdhsa_exception_fp_ieee_inexact 0
		.amdhsa_exception_int_div_zero 0
	.end_amdhsa_kernel
	.section	.text._ZN7rocprim17ROCPRIM_400000_NS6detail17trampoline_kernelINS0_14default_configENS1_27scan_by_key_config_selectorIj11FixedVectorIiLj4EEEEZZNS1_16scan_by_key_implILNS1_25lookback_scan_determinismE0ELb1ES3_N6thrust23THRUST_200600_302600_NS6detail15normal_iteratorINSB_10device_ptrIjEEEENSD_INSE_IS6_EEEESI_S6_NSB_4plusIvEENSB_8equal_toIvEES6_EE10hipError_tPvRmT2_T3_T4_T5_mT6_T7_P12ihipStream_tbENKUlT_T0_E_clISt17integral_constantIbLb1EES12_IbLb0EEEEDaSY_SZ_EUlSY_E_NS1_11comp_targetILNS1_3genE0ELNS1_11target_archE4294967295ELNS1_3gpuE0ELNS1_3repE0EEENS1_30default_config_static_selectorELNS0_4arch9wavefront6targetE1EEEvT1_,"axG",@progbits,_ZN7rocprim17ROCPRIM_400000_NS6detail17trampoline_kernelINS0_14default_configENS1_27scan_by_key_config_selectorIj11FixedVectorIiLj4EEEEZZNS1_16scan_by_key_implILNS1_25lookback_scan_determinismE0ELb1ES3_N6thrust23THRUST_200600_302600_NS6detail15normal_iteratorINSB_10device_ptrIjEEEENSD_INSE_IS6_EEEESI_S6_NSB_4plusIvEENSB_8equal_toIvEES6_EE10hipError_tPvRmT2_T3_T4_T5_mT6_T7_P12ihipStream_tbENKUlT_T0_E_clISt17integral_constantIbLb1EES12_IbLb0EEEEDaSY_SZ_EUlSY_E_NS1_11comp_targetILNS1_3genE0ELNS1_11target_archE4294967295ELNS1_3gpuE0ELNS1_3repE0EEENS1_30default_config_static_selectorELNS0_4arch9wavefront6targetE1EEEvT1_,comdat
.Lfunc_end2093:
	.size	_ZN7rocprim17ROCPRIM_400000_NS6detail17trampoline_kernelINS0_14default_configENS1_27scan_by_key_config_selectorIj11FixedVectorIiLj4EEEEZZNS1_16scan_by_key_implILNS1_25lookback_scan_determinismE0ELb1ES3_N6thrust23THRUST_200600_302600_NS6detail15normal_iteratorINSB_10device_ptrIjEEEENSD_INSE_IS6_EEEESI_S6_NSB_4plusIvEENSB_8equal_toIvEES6_EE10hipError_tPvRmT2_T3_T4_T5_mT6_T7_P12ihipStream_tbENKUlT_T0_E_clISt17integral_constantIbLb1EES12_IbLb0EEEEDaSY_SZ_EUlSY_E_NS1_11comp_targetILNS1_3genE0ELNS1_11target_archE4294967295ELNS1_3gpuE0ELNS1_3repE0EEENS1_30default_config_static_selectorELNS0_4arch9wavefront6targetE1EEEvT1_, .Lfunc_end2093-_ZN7rocprim17ROCPRIM_400000_NS6detail17trampoline_kernelINS0_14default_configENS1_27scan_by_key_config_selectorIj11FixedVectorIiLj4EEEEZZNS1_16scan_by_key_implILNS1_25lookback_scan_determinismE0ELb1ES3_N6thrust23THRUST_200600_302600_NS6detail15normal_iteratorINSB_10device_ptrIjEEEENSD_INSE_IS6_EEEESI_S6_NSB_4plusIvEENSB_8equal_toIvEES6_EE10hipError_tPvRmT2_T3_T4_T5_mT6_T7_P12ihipStream_tbENKUlT_T0_E_clISt17integral_constantIbLb1EES12_IbLb0EEEEDaSY_SZ_EUlSY_E_NS1_11comp_targetILNS1_3genE0ELNS1_11target_archE4294967295ELNS1_3gpuE0ELNS1_3repE0EEENS1_30default_config_static_selectorELNS0_4arch9wavefront6targetE1EEEvT1_
                                        ; -- End function
	.section	.AMDGPU.csdata,"",@progbits
; Kernel info:
; codeLenInByte = 0
; NumSgprs: 4
; NumVgprs: 0
; NumAgprs: 0
; TotalNumVgprs: 0
; ScratchSize: 0
; MemoryBound: 0
; FloatMode: 240
; IeeeMode: 1
; LDSByteSize: 0 bytes/workgroup (compile time only)
; SGPRBlocks: 0
; VGPRBlocks: 0
; NumSGPRsForWavesPerEU: 4
; NumVGPRsForWavesPerEU: 1
; AccumOffset: 4
; Occupancy: 8
; WaveLimiterHint : 0
; COMPUTE_PGM_RSRC2:SCRATCH_EN: 0
; COMPUTE_PGM_RSRC2:USER_SGPR: 6
; COMPUTE_PGM_RSRC2:TRAP_HANDLER: 0
; COMPUTE_PGM_RSRC2:TGID_X_EN: 1
; COMPUTE_PGM_RSRC2:TGID_Y_EN: 0
; COMPUTE_PGM_RSRC2:TGID_Z_EN: 0
; COMPUTE_PGM_RSRC2:TIDIG_COMP_CNT: 0
; COMPUTE_PGM_RSRC3_GFX90A:ACCUM_OFFSET: 0
; COMPUTE_PGM_RSRC3_GFX90A:TG_SPLIT: 0
	.section	.text._ZN7rocprim17ROCPRIM_400000_NS6detail17trampoline_kernelINS0_14default_configENS1_27scan_by_key_config_selectorIj11FixedVectorIiLj4EEEEZZNS1_16scan_by_key_implILNS1_25lookback_scan_determinismE0ELb1ES3_N6thrust23THRUST_200600_302600_NS6detail15normal_iteratorINSB_10device_ptrIjEEEENSD_INSE_IS6_EEEESI_S6_NSB_4plusIvEENSB_8equal_toIvEES6_EE10hipError_tPvRmT2_T3_T4_T5_mT6_T7_P12ihipStream_tbENKUlT_T0_E_clISt17integral_constantIbLb1EES12_IbLb0EEEEDaSY_SZ_EUlSY_E_NS1_11comp_targetILNS1_3genE10ELNS1_11target_archE1201ELNS1_3gpuE5ELNS1_3repE0EEENS1_30default_config_static_selectorELNS0_4arch9wavefront6targetE1EEEvT1_,"axG",@progbits,_ZN7rocprim17ROCPRIM_400000_NS6detail17trampoline_kernelINS0_14default_configENS1_27scan_by_key_config_selectorIj11FixedVectorIiLj4EEEEZZNS1_16scan_by_key_implILNS1_25lookback_scan_determinismE0ELb1ES3_N6thrust23THRUST_200600_302600_NS6detail15normal_iteratorINSB_10device_ptrIjEEEENSD_INSE_IS6_EEEESI_S6_NSB_4plusIvEENSB_8equal_toIvEES6_EE10hipError_tPvRmT2_T3_T4_T5_mT6_T7_P12ihipStream_tbENKUlT_T0_E_clISt17integral_constantIbLb1EES12_IbLb0EEEEDaSY_SZ_EUlSY_E_NS1_11comp_targetILNS1_3genE10ELNS1_11target_archE1201ELNS1_3gpuE5ELNS1_3repE0EEENS1_30default_config_static_selectorELNS0_4arch9wavefront6targetE1EEEvT1_,comdat
	.protected	_ZN7rocprim17ROCPRIM_400000_NS6detail17trampoline_kernelINS0_14default_configENS1_27scan_by_key_config_selectorIj11FixedVectorIiLj4EEEEZZNS1_16scan_by_key_implILNS1_25lookback_scan_determinismE0ELb1ES3_N6thrust23THRUST_200600_302600_NS6detail15normal_iteratorINSB_10device_ptrIjEEEENSD_INSE_IS6_EEEESI_S6_NSB_4plusIvEENSB_8equal_toIvEES6_EE10hipError_tPvRmT2_T3_T4_T5_mT6_T7_P12ihipStream_tbENKUlT_T0_E_clISt17integral_constantIbLb1EES12_IbLb0EEEEDaSY_SZ_EUlSY_E_NS1_11comp_targetILNS1_3genE10ELNS1_11target_archE1201ELNS1_3gpuE5ELNS1_3repE0EEENS1_30default_config_static_selectorELNS0_4arch9wavefront6targetE1EEEvT1_ ; -- Begin function _ZN7rocprim17ROCPRIM_400000_NS6detail17trampoline_kernelINS0_14default_configENS1_27scan_by_key_config_selectorIj11FixedVectorIiLj4EEEEZZNS1_16scan_by_key_implILNS1_25lookback_scan_determinismE0ELb1ES3_N6thrust23THRUST_200600_302600_NS6detail15normal_iteratorINSB_10device_ptrIjEEEENSD_INSE_IS6_EEEESI_S6_NSB_4plusIvEENSB_8equal_toIvEES6_EE10hipError_tPvRmT2_T3_T4_T5_mT6_T7_P12ihipStream_tbENKUlT_T0_E_clISt17integral_constantIbLb1EES12_IbLb0EEEEDaSY_SZ_EUlSY_E_NS1_11comp_targetILNS1_3genE10ELNS1_11target_archE1201ELNS1_3gpuE5ELNS1_3repE0EEENS1_30default_config_static_selectorELNS0_4arch9wavefront6targetE1EEEvT1_
	.globl	_ZN7rocprim17ROCPRIM_400000_NS6detail17trampoline_kernelINS0_14default_configENS1_27scan_by_key_config_selectorIj11FixedVectorIiLj4EEEEZZNS1_16scan_by_key_implILNS1_25lookback_scan_determinismE0ELb1ES3_N6thrust23THRUST_200600_302600_NS6detail15normal_iteratorINSB_10device_ptrIjEEEENSD_INSE_IS6_EEEESI_S6_NSB_4plusIvEENSB_8equal_toIvEES6_EE10hipError_tPvRmT2_T3_T4_T5_mT6_T7_P12ihipStream_tbENKUlT_T0_E_clISt17integral_constantIbLb1EES12_IbLb0EEEEDaSY_SZ_EUlSY_E_NS1_11comp_targetILNS1_3genE10ELNS1_11target_archE1201ELNS1_3gpuE5ELNS1_3repE0EEENS1_30default_config_static_selectorELNS0_4arch9wavefront6targetE1EEEvT1_
	.p2align	8
	.type	_ZN7rocprim17ROCPRIM_400000_NS6detail17trampoline_kernelINS0_14default_configENS1_27scan_by_key_config_selectorIj11FixedVectorIiLj4EEEEZZNS1_16scan_by_key_implILNS1_25lookback_scan_determinismE0ELb1ES3_N6thrust23THRUST_200600_302600_NS6detail15normal_iteratorINSB_10device_ptrIjEEEENSD_INSE_IS6_EEEESI_S6_NSB_4plusIvEENSB_8equal_toIvEES6_EE10hipError_tPvRmT2_T3_T4_T5_mT6_T7_P12ihipStream_tbENKUlT_T0_E_clISt17integral_constantIbLb1EES12_IbLb0EEEEDaSY_SZ_EUlSY_E_NS1_11comp_targetILNS1_3genE10ELNS1_11target_archE1201ELNS1_3gpuE5ELNS1_3repE0EEENS1_30default_config_static_selectorELNS0_4arch9wavefront6targetE1EEEvT1_,@function
_ZN7rocprim17ROCPRIM_400000_NS6detail17trampoline_kernelINS0_14default_configENS1_27scan_by_key_config_selectorIj11FixedVectorIiLj4EEEEZZNS1_16scan_by_key_implILNS1_25lookback_scan_determinismE0ELb1ES3_N6thrust23THRUST_200600_302600_NS6detail15normal_iteratorINSB_10device_ptrIjEEEENSD_INSE_IS6_EEEESI_S6_NSB_4plusIvEENSB_8equal_toIvEES6_EE10hipError_tPvRmT2_T3_T4_T5_mT6_T7_P12ihipStream_tbENKUlT_T0_E_clISt17integral_constantIbLb1EES12_IbLb0EEEEDaSY_SZ_EUlSY_E_NS1_11comp_targetILNS1_3genE10ELNS1_11target_archE1201ELNS1_3gpuE5ELNS1_3repE0EEENS1_30default_config_static_selectorELNS0_4arch9wavefront6targetE1EEEvT1_: ; @_ZN7rocprim17ROCPRIM_400000_NS6detail17trampoline_kernelINS0_14default_configENS1_27scan_by_key_config_selectorIj11FixedVectorIiLj4EEEEZZNS1_16scan_by_key_implILNS1_25lookback_scan_determinismE0ELb1ES3_N6thrust23THRUST_200600_302600_NS6detail15normal_iteratorINSB_10device_ptrIjEEEENSD_INSE_IS6_EEEESI_S6_NSB_4plusIvEENSB_8equal_toIvEES6_EE10hipError_tPvRmT2_T3_T4_T5_mT6_T7_P12ihipStream_tbENKUlT_T0_E_clISt17integral_constantIbLb1EES12_IbLb0EEEEDaSY_SZ_EUlSY_E_NS1_11comp_targetILNS1_3genE10ELNS1_11target_archE1201ELNS1_3gpuE5ELNS1_3repE0EEENS1_30default_config_static_selectorELNS0_4arch9wavefront6targetE1EEEvT1_
; %bb.0:
	.section	.rodata,"a",@progbits
	.p2align	6, 0x0
	.amdhsa_kernel _ZN7rocprim17ROCPRIM_400000_NS6detail17trampoline_kernelINS0_14default_configENS1_27scan_by_key_config_selectorIj11FixedVectorIiLj4EEEEZZNS1_16scan_by_key_implILNS1_25lookback_scan_determinismE0ELb1ES3_N6thrust23THRUST_200600_302600_NS6detail15normal_iteratorINSB_10device_ptrIjEEEENSD_INSE_IS6_EEEESI_S6_NSB_4plusIvEENSB_8equal_toIvEES6_EE10hipError_tPvRmT2_T3_T4_T5_mT6_T7_P12ihipStream_tbENKUlT_T0_E_clISt17integral_constantIbLb1EES12_IbLb0EEEEDaSY_SZ_EUlSY_E_NS1_11comp_targetILNS1_3genE10ELNS1_11target_archE1201ELNS1_3gpuE5ELNS1_3repE0EEENS1_30default_config_static_selectorELNS0_4arch9wavefront6targetE1EEEvT1_
		.amdhsa_group_segment_fixed_size 0
		.amdhsa_private_segment_fixed_size 0
		.amdhsa_kernarg_size 144
		.amdhsa_user_sgpr_count 6
		.amdhsa_user_sgpr_private_segment_buffer 1
		.amdhsa_user_sgpr_dispatch_ptr 0
		.amdhsa_user_sgpr_queue_ptr 0
		.amdhsa_user_sgpr_kernarg_segment_ptr 1
		.amdhsa_user_sgpr_dispatch_id 0
		.amdhsa_user_sgpr_flat_scratch_init 0
		.amdhsa_user_sgpr_kernarg_preload_length 0
		.amdhsa_user_sgpr_kernarg_preload_offset 0
		.amdhsa_user_sgpr_private_segment_size 0
		.amdhsa_uses_dynamic_stack 0
		.amdhsa_system_sgpr_private_segment_wavefront_offset 0
		.amdhsa_system_sgpr_workgroup_id_x 1
		.amdhsa_system_sgpr_workgroup_id_y 0
		.amdhsa_system_sgpr_workgroup_id_z 0
		.amdhsa_system_sgpr_workgroup_info 0
		.amdhsa_system_vgpr_workitem_id 0
		.amdhsa_next_free_vgpr 1
		.amdhsa_next_free_sgpr 0
		.amdhsa_accum_offset 4
		.amdhsa_reserve_vcc 0
		.amdhsa_reserve_flat_scratch 0
		.amdhsa_float_round_mode_32 0
		.amdhsa_float_round_mode_16_64 0
		.amdhsa_float_denorm_mode_32 3
		.amdhsa_float_denorm_mode_16_64 3
		.amdhsa_dx10_clamp 1
		.amdhsa_ieee_mode 1
		.amdhsa_fp16_overflow 0
		.amdhsa_tg_split 0
		.amdhsa_exception_fp_ieee_invalid_op 0
		.amdhsa_exception_fp_denorm_src 0
		.amdhsa_exception_fp_ieee_div_zero 0
		.amdhsa_exception_fp_ieee_overflow 0
		.amdhsa_exception_fp_ieee_underflow 0
		.amdhsa_exception_fp_ieee_inexact 0
		.amdhsa_exception_int_div_zero 0
	.end_amdhsa_kernel
	.section	.text._ZN7rocprim17ROCPRIM_400000_NS6detail17trampoline_kernelINS0_14default_configENS1_27scan_by_key_config_selectorIj11FixedVectorIiLj4EEEEZZNS1_16scan_by_key_implILNS1_25lookback_scan_determinismE0ELb1ES3_N6thrust23THRUST_200600_302600_NS6detail15normal_iteratorINSB_10device_ptrIjEEEENSD_INSE_IS6_EEEESI_S6_NSB_4plusIvEENSB_8equal_toIvEES6_EE10hipError_tPvRmT2_T3_T4_T5_mT6_T7_P12ihipStream_tbENKUlT_T0_E_clISt17integral_constantIbLb1EES12_IbLb0EEEEDaSY_SZ_EUlSY_E_NS1_11comp_targetILNS1_3genE10ELNS1_11target_archE1201ELNS1_3gpuE5ELNS1_3repE0EEENS1_30default_config_static_selectorELNS0_4arch9wavefront6targetE1EEEvT1_,"axG",@progbits,_ZN7rocprim17ROCPRIM_400000_NS6detail17trampoline_kernelINS0_14default_configENS1_27scan_by_key_config_selectorIj11FixedVectorIiLj4EEEEZZNS1_16scan_by_key_implILNS1_25lookback_scan_determinismE0ELb1ES3_N6thrust23THRUST_200600_302600_NS6detail15normal_iteratorINSB_10device_ptrIjEEEENSD_INSE_IS6_EEEESI_S6_NSB_4plusIvEENSB_8equal_toIvEES6_EE10hipError_tPvRmT2_T3_T4_T5_mT6_T7_P12ihipStream_tbENKUlT_T0_E_clISt17integral_constantIbLb1EES12_IbLb0EEEEDaSY_SZ_EUlSY_E_NS1_11comp_targetILNS1_3genE10ELNS1_11target_archE1201ELNS1_3gpuE5ELNS1_3repE0EEENS1_30default_config_static_selectorELNS0_4arch9wavefront6targetE1EEEvT1_,comdat
.Lfunc_end2094:
	.size	_ZN7rocprim17ROCPRIM_400000_NS6detail17trampoline_kernelINS0_14default_configENS1_27scan_by_key_config_selectorIj11FixedVectorIiLj4EEEEZZNS1_16scan_by_key_implILNS1_25lookback_scan_determinismE0ELb1ES3_N6thrust23THRUST_200600_302600_NS6detail15normal_iteratorINSB_10device_ptrIjEEEENSD_INSE_IS6_EEEESI_S6_NSB_4plusIvEENSB_8equal_toIvEES6_EE10hipError_tPvRmT2_T3_T4_T5_mT6_T7_P12ihipStream_tbENKUlT_T0_E_clISt17integral_constantIbLb1EES12_IbLb0EEEEDaSY_SZ_EUlSY_E_NS1_11comp_targetILNS1_3genE10ELNS1_11target_archE1201ELNS1_3gpuE5ELNS1_3repE0EEENS1_30default_config_static_selectorELNS0_4arch9wavefront6targetE1EEEvT1_, .Lfunc_end2094-_ZN7rocprim17ROCPRIM_400000_NS6detail17trampoline_kernelINS0_14default_configENS1_27scan_by_key_config_selectorIj11FixedVectorIiLj4EEEEZZNS1_16scan_by_key_implILNS1_25lookback_scan_determinismE0ELb1ES3_N6thrust23THRUST_200600_302600_NS6detail15normal_iteratorINSB_10device_ptrIjEEEENSD_INSE_IS6_EEEESI_S6_NSB_4plusIvEENSB_8equal_toIvEES6_EE10hipError_tPvRmT2_T3_T4_T5_mT6_T7_P12ihipStream_tbENKUlT_T0_E_clISt17integral_constantIbLb1EES12_IbLb0EEEEDaSY_SZ_EUlSY_E_NS1_11comp_targetILNS1_3genE10ELNS1_11target_archE1201ELNS1_3gpuE5ELNS1_3repE0EEENS1_30default_config_static_selectorELNS0_4arch9wavefront6targetE1EEEvT1_
                                        ; -- End function
	.section	.AMDGPU.csdata,"",@progbits
; Kernel info:
; codeLenInByte = 0
; NumSgprs: 4
; NumVgprs: 0
; NumAgprs: 0
; TotalNumVgprs: 0
; ScratchSize: 0
; MemoryBound: 0
; FloatMode: 240
; IeeeMode: 1
; LDSByteSize: 0 bytes/workgroup (compile time only)
; SGPRBlocks: 0
; VGPRBlocks: 0
; NumSGPRsForWavesPerEU: 4
; NumVGPRsForWavesPerEU: 1
; AccumOffset: 4
; Occupancy: 8
; WaveLimiterHint : 0
; COMPUTE_PGM_RSRC2:SCRATCH_EN: 0
; COMPUTE_PGM_RSRC2:USER_SGPR: 6
; COMPUTE_PGM_RSRC2:TRAP_HANDLER: 0
; COMPUTE_PGM_RSRC2:TGID_X_EN: 1
; COMPUTE_PGM_RSRC2:TGID_Y_EN: 0
; COMPUTE_PGM_RSRC2:TGID_Z_EN: 0
; COMPUTE_PGM_RSRC2:TIDIG_COMP_CNT: 0
; COMPUTE_PGM_RSRC3_GFX90A:ACCUM_OFFSET: 0
; COMPUTE_PGM_RSRC3_GFX90A:TG_SPLIT: 0
	.section	.text._ZN7rocprim17ROCPRIM_400000_NS6detail17trampoline_kernelINS0_14default_configENS1_27scan_by_key_config_selectorIj11FixedVectorIiLj4EEEEZZNS1_16scan_by_key_implILNS1_25lookback_scan_determinismE0ELb1ES3_N6thrust23THRUST_200600_302600_NS6detail15normal_iteratorINSB_10device_ptrIjEEEENSD_INSE_IS6_EEEESI_S6_NSB_4plusIvEENSB_8equal_toIvEES6_EE10hipError_tPvRmT2_T3_T4_T5_mT6_T7_P12ihipStream_tbENKUlT_T0_E_clISt17integral_constantIbLb1EES12_IbLb0EEEEDaSY_SZ_EUlSY_E_NS1_11comp_targetILNS1_3genE5ELNS1_11target_archE942ELNS1_3gpuE9ELNS1_3repE0EEENS1_30default_config_static_selectorELNS0_4arch9wavefront6targetE1EEEvT1_,"axG",@progbits,_ZN7rocprim17ROCPRIM_400000_NS6detail17trampoline_kernelINS0_14default_configENS1_27scan_by_key_config_selectorIj11FixedVectorIiLj4EEEEZZNS1_16scan_by_key_implILNS1_25lookback_scan_determinismE0ELb1ES3_N6thrust23THRUST_200600_302600_NS6detail15normal_iteratorINSB_10device_ptrIjEEEENSD_INSE_IS6_EEEESI_S6_NSB_4plusIvEENSB_8equal_toIvEES6_EE10hipError_tPvRmT2_T3_T4_T5_mT6_T7_P12ihipStream_tbENKUlT_T0_E_clISt17integral_constantIbLb1EES12_IbLb0EEEEDaSY_SZ_EUlSY_E_NS1_11comp_targetILNS1_3genE5ELNS1_11target_archE942ELNS1_3gpuE9ELNS1_3repE0EEENS1_30default_config_static_selectorELNS0_4arch9wavefront6targetE1EEEvT1_,comdat
	.protected	_ZN7rocprim17ROCPRIM_400000_NS6detail17trampoline_kernelINS0_14default_configENS1_27scan_by_key_config_selectorIj11FixedVectorIiLj4EEEEZZNS1_16scan_by_key_implILNS1_25lookback_scan_determinismE0ELb1ES3_N6thrust23THRUST_200600_302600_NS6detail15normal_iteratorINSB_10device_ptrIjEEEENSD_INSE_IS6_EEEESI_S6_NSB_4plusIvEENSB_8equal_toIvEES6_EE10hipError_tPvRmT2_T3_T4_T5_mT6_T7_P12ihipStream_tbENKUlT_T0_E_clISt17integral_constantIbLb1EES12_IbLb0EEEEDaSY_SZ_EUlSY_E_NS1_11comp_targetILNS1_3genE5ELNS1_11target_archE942ELNS1_3gpuE9ELNS1_3repE0EEENS1_30default_config_static_selectorELNS0_4arch9wavefront6targetE1EEEvT1_ ; -- Begin function _ZN7rocprim17ROCPRIM_400000_NS6detail17trampoline_kernelINS0_14default_configENS1_27scan_by_key_config_selectorIj11FixedVectorIiLj4EEEEZZNS1_16scan_by_key_implILNS1_25lookback_scan_determinismE0ELb1ES3_N6thrust23THRUST_200600_302600_NS6detail15normal_iteratorINSB_10device_ptrIjEEEENSD_INSE_IS6_EEEESI_S6_NSB_4plusIvEENSB_8equal_toIvEES6_EE10hipError_tPvRmT2_T3_T4_T5_mT6_T7_P12ihipStream_tbENKUlT_T0_E_clISt17integral_constantIbLb1EES12_IbLb0EEEEDaSY_SZ_EUlSY_E_NS1_11comp_targetILNS1_3genE5ELNS1_11target_archE942ELNS1_3gpuE9ELNS1_3repE0EEENS1_30default_config_static_selectorELNS0_4arch9wavefront6targetE1EEEvT1_
	.globl	_ZN7rocprim17ROCPRIM_400000_NS6detail17trampoline_kernelINS0_14default_configENS1_27scan_by_key_config_selectorIj11FixedVectorIiLj4EEEEZZNS1_16scan_by_key_implILNS1_25lookback_scan_determinismE0ELb1ES3_N6thrust23THRUST_200600_302600_NS6detail15normal_iteratorINSB_10device_ptrIjEEEENSD_INSE_IS6_EEEESI_S6_NSB_4plusIvEENSB_8equal_toIvEES6_EE10hipError_tPvRmT2_T3_T4_T5_mT6_T7_P12ihipStream_tbENKUlT_T0_E_clISt17integral_constantIbLb1EES12_IbLb0EEEEDaSY_SZ_EUlSY_E_NS1_11comp_targetILNS1_3genE5ELNS1_11target_archE942ELNS1_3gpuE9ELNS1_3repE0EEENS1_30default_config_static_selectorELNS0_4arch9wavefront6targetE1EEEvT1_
	.p2align	8
	.type	_ZN7rocprim17ROCPRIM_400000_NS6detail17trampoline_kernelINS0_14default_configENS1_27scan_by_key_config_selectorIj11FixedVectorIiLj4EEEEZZNS1_16scan_by_key_implILNS1_25lookback_scan_determinismE0ELb1ES3_N6thrust23THRUST_200600_302600_NS6detail15normal_iteratorINSB_10device_ptrIjEEEENSD_INSE_IS6_EEEESI_S6_NSB_4plusIvEENSB_8equal_toIvEES6_EE10hipError_tPvRmT2_T3_T4_T5_mT6_T7_P12ihipStream_tbENKUlT_T0_E_clISt17integral_constantIbLb1EES12_IbLb0EEEEDaSY_SZ_EUlSY_E_NS1_11comp_targetILNS1_3genE5ELNS1_11target_archE942ELNS1_3gpuE9ELNS1_3repE0EEENS1_30default_config_static_selectorELNS0_4arch9wavefront6targetE1EEEvT1_,@function
_ZN7rocprim17ROCPRIM_400000_NS6detail17trampoline_kernelINS0_14default_configENS1_27scan_by_key_config_selectorIj11FixedVectorIiLj4EEEEZZNS1_16scan_by_key_implILNS1_25lookback_scan_determinismE0ELb1ES3_N6thrust23THRUST_200600_302600_NS6detail15normal_iteratorINSB_10device_ptrIjEEEENSD_INSE_IS6_EEEESI_S6_NSB_4plusIvEENSB_8equal_toIvEES6_EE10hipError_tPvRmT2_T3_T4_T5_mT6_T7_P12ihipStream_tbENKUlT_T0_E_clISt17integral_constantIbLb1EES12_IbLb0EEEEDaSY_SZ_EUlSY_E_NS1_11comp_targetILNS1_3genE5ELNS1_11target_archE942ELNS1_3gpuE9ELNS1_3repE0EEENS1_30default_config_static_selectorELNS0_4arch9wavefront6targetE1EEEvT1_: ; @_ZN7rocprim17ROCPRIM_400000_NS6detail17trampoline_kernelINS0_14default_configENS1_27scan_by_key_config_selectorIj11FixedVectorIiLj4EEEEZZNS1_16scan_by_key_implILNS1_25lookback_scan_determinismE0ELb1ES3_N6thrust23THRUST_200600_302600_NS6detail15normal_iteratorINSB_10device_ptrIjEEEENSD_INSE_IS6_EEEESI_S6_NSB_4plusIvEENSB_8equal_toIvEES6_EE10hipError_tPvRmT2_T3_T4_T5_mT6_T7_P12ihipStream_tbENKUlT_T0_E_clISt17integral_constantIbLb1EES12_IbLb0EEEEDaSY_SZ_EUlSY_E_NS1_11comp_targetILNS1_3genE5ELNS1_11target_archE942ELNS1_3gpuE9ELNS1_3repE0EEENS1_30default_config_static_selectorELNS0_4arch9wavefront6targetE1EEEvT1_
; %bb.0:
	.section	.rodata,"a",@progbits
	.p2align	6, 0x0
	.amdhsa_kernel _ZN7rocprim17ROCPRIM_400000_NS6detail17trampoline_kernelINS0_14default_configENS1_27scan_by_key_config_selectorIj11FixedVectorIiLj4EEEEZZNS1_16scan_by_key_implILNS1_25lookback_scan_determinismE0ELb1ES3_N6thrust23THRUST_200600_302600_NS6detail15normal_iteratorINSB_10device_ptrIjEEEENSD_INSE_IS6_EEEESI_S6_NSB_4plusIvEENSB_8equal_toIvEES6_EE10hipError_tPvRmT2_T3_T4_T5_mT6_T7_P12ihipStream_tbENKUlT_T0_E_clISt17integral_constantIbLb1EES12_IbLb0EEEEDaSY_SZ_EUlSY_E_NS1_11comp_targetILNS1_3genE5ELNS1_11target_archE942ELNS1_3gpuE9ELNS1_3repE0EEENS1_30default_config_static_selectorELNS0_4arch9wavefront6targetE1EEEvT1_
		.amdhsa_group_segment_fixed_size 0
		.amdhsa_private_segment_fixed_size 0
		.amdhsa_kernarg_size 144
		.amdhsa_user_sgpr_count 6
		.amdhsa_user_sgpr_private_segment_buffer 1
		.amdhsa_user_sgpr_dispatch_ptr 0
		.amdhsa_user_sgpr_queue_ptr 0
		.amdhsa_user_sgpr_kernarg_segment_ptr 1
		.amdhsa_user_sgpr_dispatch_id 0
		.amdhsa_user_sgpr_flat_scratch_init 0
		.amdhsa_user_sgpr_kernarg_preload_length 0
		.amdhsa_user_sgpr_kernarg_preload_offset 0
		.amdhsa_user_sgpr_private_segment_size 0
		.amdhsa_uses_dynamic_stack 0
		.amdhsa_system_sgpr_private_segment_wavefront_offset 0
		.amdhsa_system_sgpr_workgroup_id_x 1
		.amdhsa_system_sgpr_workgroup_id_y 0
		.amdhsa_system_sgpr_workgroup_id_z 0
		.amdhsa_system_sgpr_workgroup_info 0
		.amdhsa_system_vgpr_workitem_id 0
		.amdhsa_next_free_vgpr 1
		.amdhsa_next_free_sgpr 0
		.amdhsa_accum_offset 4
		.amdhsa_reserve_vcc 0
		.amdhsa_reserve_flat_scratch 0
		.amdhsa_float_round_mode_32 0
		.amdhsa_float_round_mode_16_64 0
		.amdhsa_float_denorm_mode_32 3
		.amdhsa_float_denorm_mode_16_64 3
		.amdhsa_dx10_clamp 1
		.amdhsa_ieee_mode 1
		.amdhsa_fp16_overflow 0
		.amdhsa_tg_split 0
		.amdhsa_exception_fp_ieee_invalid_op 0
		.amdhsa_exception_fp_denorm_src 0
		.amdhsa_exception_fp_ieee_div_zero 0
		.amdhsa_exception_fp_ieee_overflow 0
		.amdhsa_exception_fp_ieee_underflow 0
		.amdhsa_exception_fp_ieee_inexact 0
		.amdhsa_exception_int_div_zero 0
	.end_amdhsa_kernel
	.section	.text._ZN7rocprim17ROCPRIM_400000_NS6detail17trampoline_kernelINS0_14default_configENS1_27scan_by_key_config_selectorIj11FixedVectorIiLj4EEEEZZNS1_16scan_by_key_implILNS1_25lookback_scan_determinismE0ELb1ES3_N6thrust23THRUST_200600_302600_NS6detail15normal_iteratorINSB_10device_ptrIjEEEENSD_INSE_IS6_EEEESI_S6_NSB_4plusIvEENSB_8equal_toIvEES6_EE10hipError_tPvRmT2_T3_T4_T5_mT6_T7_P12ihipStream_tbENKUlT_T0_E_clISt17integral_constantIbLb1EES12_IbLb0EEEEDaSY_SZ_EUlSY_E_NS1_11comp_targetILNS1_3genE5ELNS1_11target_archE942ELNS1_3gpuE9ELNS1_3repE0EEENS1_30default_config_static_selectorELNS0_4arch9wavefront6targetE1EEEvT1_,"axG",@progbits,_ZN7rocprim17ROCPRIM_400000_NS6detail17trampoline_kernelINS0_14default_configENS1_27scan_by_key_config_selectorIj11FixedVectorIiLj4EEEEZZNS1_16scan_by_key_implILNS1_25lookback_scan_determinismE0ELb1ES3_N6thrust23THRUST_200600_302600_NS6detail15normal_iteratorINSB_10device_ptrIjEEEENSD_INSE_IS6_EEEESI_S6_NSB_4plusIvEENSB_8equal_toIvEES6_EE10hipError_tPvRmT2_T3_T4_T5_mT6_T7_P12ihipStream_tbENKUlT_T0_E_clISt17integral_constantIbLb1EES12_IbLb0EEEEDaSY_SZ_EUlSY_E_NS1_11comp_targetILNS1_3genE5ELNS1_11target_archE942ELNS1_3gpuE9ELNS1_3repE0EEENS1_30default_config_static_selectorELNS0_4arch9wavefront6targetE1EEEvT1_,comdat
.Lfunc_end2095:
	.size	_ZN7rocprim17ROCPRIM_400000_NS6detail17trampoline_kernelINS0_14default_configENS1_27scan_by_key_config_selectorIj11FixedVectorIiLj4EEEEZZNS1_16scan_by_key_implILNS1_25lookback_scan_determinismE0ELb1ES3_N6thrust23THRUST_200600_302600_NS6detail15normal_iteratorINSB_10device_ptrIjEEEENSD_INSE_IS6_EEEESI_S6_NSB_4plusIvEENSB_8equal_toIvEES6_EE10hipError_tPvRmT2_T3_T4_T5_mT6_T7_P12ihipStream_tbENKUlT_T0_E_clISt17integral_constantIbLb1EES12_IbLb0EEEEDaSY_SZ_EUlSY_E_NS1_11comp_targetILNS1_3genE5ELNS1_11target_archE942ELNS1_3gpuE9ELNS1_3repE0EEENS1_30default_config_static_selectorELNS0_4arch9wavefront6targetE1EEEvT1_, .Lfunc_end2095-_ZN7rocprim17ROCPRIM_400000_NS6detail17trampoline_kernelINS0_14default_configENS1_27scan_by_key_config_selectorIj11FixedVectorIiLj4EEEEZZNS1_16scan_by_key_implILNS1_25lookback_scan_determinismE0ELb1ES3_N6thrust23THRUST_200600_302600_NS6detail15normal_iteratorINSB_10device_ptrIjEEEENSD_INSE_IS6_EEEESI_S6_NSB_4plusIvEENSB_8equal_toIvEES6_EE10hipError_tPvRmT2_T3_T4_T5_mT6_T7_P12ihipStream_tbENKUlT_T0_E_clISt17integral_constantIbLb1EES12_IbLb0EEEEDaSY_SZ_EUlSY_E_NS1_11comp_targetILNS1_3genE5ELNS1_11target_archE942ELNS1_3gpuE9ELNS1_3repE0EEENS1_30default_config_static_selectorELNS0_4arch9wavefront6targetE1EEEvT1_
                                        ; -- End function
	.section	.AMDGPU.csdata,"",@progbits
; Kernel info:
; codeLenInByte = 0
; NumSgprs: 4
; NumVgprs: 0
; NumAgprs: 0
; TotalNumVgprs: 0
; ScratchSize: 0
; MemoryBound: 0
; FloatMode: 240
; IeeeMode: 1
; LDSByteSize: 0 bytes/workgroup (compile time only)
; SGPRBlocks: 0
; VGPRBlocks: 0
; NumSGPRsForWavesPerEU: 4
; NumVGPRsForWavesPerEU: 1
; AccumOffset: 4
; Occupancy: 8
; WaveLimiterHint : 0
; COMPUTE_PGM_RSRC2:SCRATCH_EN: 0
; COMPUTE_PGM_RSRC2:USER_SGPR: 6
; COMPUTE_PGM_RSRC2:TRAP_HANDLER: 0
; COMPUTE_PGM_RSRC2:TGID_X_EN: 1
; COMPUTE_PGM_RSRC2:TGID_Y_EN: 0
; COMPUTE_PGM_RSRC2:TGID_Z_EN: 0
; COMPUTE_PGM_RSRC2:TIDIG_COMP_CNT: 0
; COMPUTE_PGM_RSRC3_GFX90A:ACCUM_OFFSET: 0
; COMPUTE_PGM_RSRC3_GFX90A:TG_SPLIT: 0
	.section	.text._ZN7rocprim17ROCPRIM_400000_NS6detail17trampoline_kernelINS0_14default_configENS1_27scan_by_key_config_selectorIj11FixedVectorIiLj4EEEEZZNS1_16scan_by_key_implILNS1_25lookback_scan_determinismE0ELb1ES3_N6thrust23THRUST_200600_302600_NS6detail15normal_iteratorINSB_10device_ptrIjEEEENSD_INSE_IS6_EEEESI_S6_NSB_4plusIvEENSB_8equal_toIvEES6_EE10hipError_tPvRmT2_T3_T4_T5_mT6_T7_P12ihipStream_tbENKUlT_T0_E_clISt17integral_constantIbLb1EES12_IbLb0EEEEDaSY_SZ_EUlSY_E_NS1_11comp_targetILNS1_3genE4ELNS1_11target_archE910ELNS1_3gpuE8ELNS1_3repE0EEENS1_30default_config_static_selectorELNS0_4arch9wavefront6targetE1EEEvT1_,"axG",@progbits,_ZN7rocprim17ROCPRIM_400000_NS6detail17trampoline_kernelINS0_14default_configENS1_27scan_by_key_config_selectorIj11FixedVectorIiLj4EEEEZZNS1_16scan_by_key_implILNS1_25lookback_scan_determinismE0ELb1ES3_N6thrust23THRUST_200600_302600_NS6detail15normal_iteratorINSB_10device_ptrIjEEEENSD_INSE_IS6_EEEESI_S6_NSB_4plusIvEENSB_8equal_toIvEES6_EE10hipError_tPvRmT2_T3_T4_T5_mT6_T7_P12ihipStream_tbENKUlT_T0_E_clISt17integral_constantIbLb1EES12_IbLb0EEEEDaSY_SZ_EUlSY_E_NS1_11comp_targetILNS1_3genE4ELNS1_11target_archE910ELNS1_3gpuE8ELNS1_3repE0EEENS1_30default_config_static_selectorELNS0_4arch9wavefront6targetE1EEEvT1_,comdat
	.protected	_ZN7rocprim17ROCPRIM_400000_NS6detail17trampoline_kernelINS0_14default_configENS1_27scan_by_key_config_selectorIj11FixedVectorIiLj4EEEEZZNS1_16scan_by_key_implILNS1_25lookback_scan_determinismE0ELb1ES3_N6thrust23THRUST_200600_302600_NS6detail15normal_iteratorINSB_10device_ptrIjEEEENSD_INSE_IS6_EEEESI_S6_NSB_4plusIvEENSB_8equal_toIvEES6_EE10hipError_tPvRmT2_T3_T4_T5_mT6_T7_P12ihipStream_tbENKUlT_T0_E_clISt17integral_constantIbLb1EES12_IbLb0EEEEDaSY_SZ_EUlSY_E_NS1_11comp_targetILNS1_3genE4ELNS1_11target_archE910ELNS1_3gpuE8ELNS1_3repE0EEENS1_30default_config_static_selectorELNS0_4arch9wavefront6targetE1EEEvT1_ ; -- Begin function _ZN7rocprim17ROCPRIM_400000_NS6detail17trampoline_kernelINS0_14default_configENS1_27scan_by_key_config_selectorIj11FixedVectorIiLj4EEEEZZNS1_16scan_by_key_implILNS1_25lookback_scan_determinismE0ELb1ES3_N6thrust23THRUST_200600_302600_NS6detail15normal_iteratorINSB_10device_ptrIjEEEENSD_INSE_IS6_EEEESI_S6_NSB_4plusIvEENSB_8equal_toIvEES6_EE10hipError_tPvRmT2_T3_T4_T5_mT6_T7_P12ihipStream_tbENKUlT_T0_E_clISt17integral_constantIbLb1EES12_IbLb0EEEEDaSY_SZ_EUlSY_E_NS1_11comp_targetILNS1_3genE4ELNS1_11target_archE910ELNS1_3gpuE8ELNS1_3repE0EEENS1_30default_config_static_selectorELNS0_4arch9wavefront6targetE1EEEvT1_
	.globl	_ZN7rocprim17ROCPRIM_400000_NS6detail17trampoline_kernelINS0_14default_configENS1_27scan_by_key_config_selectorIj11FixedVectorIiLj4EEEEZZNS1_16scan_by_key_implILNS1_25lookback_scan_determinismE0ELb1ES3_N6thrust23THRUST_200600_302600_NS6detail15normal_iteratorINSB_10device_ptrIjEEEENSD_INSE_IS6_EEEESI_S6_NSB_4plusIvEENSB_8equal_toIvEES6_EE10hipError_tPvRmT2_T3_T4_T5_mT6_T7_P12ihipStream_tbENKUlT_T0_E_clISt17integral_constantIbLb1EES12_IbLb0EEEEDaSY_SZ_EUlSY_E_NS1_11comp_targetILNS1_3genE4ELNS1_11target_archE910ELNS1_3gpuE8ELNS1_3repE0EEENS1_30default_config_static_selectorELNS0_4arch9wavefront6targetE1EEEvT1_
	.p2align	8
	.type	_ZN7rocprim17ROCPRIM_400000_NS6detail17trampoline_kernelINS0_14default_configENS1_27scan_by_key_config_selectorIj11FixedVectorIiLj4EEEEZZNS1_16scan_by_key_implILNS1_25lookback_scan_determinismE0ELb1ES3_N6thrust23THRUST_200600_302600_NS6detail15normal_iteratorINSB_10device_ptrIjEEEENSD_INSE_IS6_EEEESI_S6_NSB_4plusIvEENSB_8equal_toIvEES6_EE10hipError_tPvRmT2_T3_T4_T5_mT6_T7_P12ihipStream_tbENKUlT_T0_E_clISt17integral_constantIbLb1EES12_IbLb0EEEEDaSY_SZ_EUlSY_E_NS1_11comp_targetILNS1_3genE4ELNS1_11target_archE910ELNS1_3gpuE8ELNS1_3repE0EEENS1_30default_config_static_selectorELNS0_4arch9wavefront6targetE1EEEvT1_,@function
_ZN7rocprim17ROCPRIM_400000_NS6detail17trampoline_kernelINS0_14default_configENS1_27scan_by_key_config_selectorIj11FixedVectorIiLj4EEEEZZNS1_16scan_by_key_implILNS1_25lookback_scan_determinismE0ELb1ES3_N6thrust23THRUST_200600_302600_NS6detail15normal_iteratorINSB_10device_ptrIjEEEENSD_INSE_IS6_EEEESI_S6_NSB_4plusIvEENSB_8equal_toIvEES6_EE10hipError_tPvRmT2_T3_T4_T5_mT6_T7_P12ihipStream_tbENKUlT_T0_E_clISt17integral_constantIbLb1EES12_IbLb0EEEEDaSY_SZ_EUlSY_E_NS1_11comp_targetILNS1_3genE4ELNS1_11target_archE910ELNS1_3gpuE8ELNS1_3repE0EEENS1_30default_config_static_selectorELNS0_4arch9wavefront6targetE1EEEvT1_: ; @_ZN7rocprim17ROCPRIM_400000_NS6detail17trampoline_kernelINS0_14default_configENS1_27scan_by_key_config_selectorIj11FixedVectorIiLj4EEEEZZNS1_16scan_by_key_implILNS1_25lookback_scan_determinismE0ELb1ES3_N6thrust23THRUST_200600_302600_NS6detail15normal_iteratorINSB_10device_ptrIjEEEENSD_INSE_IS6_EEEESI_S6_NSB_4plusIvEENSB_8equal_toIvEES6_EE10hipError_tPvRmT2_T3_T4_T5_mT6_T7_P12ihipStream_tbENKUlT_T0_E_clISt17integral_constantIbLb1EES12_IbLb0EEEEDaSY_SZ_EUlSY_E_NS1_11comp_targetILNS1_3genE4ELNS1_11target_archE910ELNS1_3gpuE8ELNS1_3repE0EEENS1_30default_config_static_selectorELNS0_4arch9wavefront6targetE1EEEvT1_
; %bb.0:
	s_add_u32 flat_scratch_lo, s6, s9
	s_load_dwordx8 s[12:19], s[4:5], 0x0
	s_load_dwordx4 s[28:31], s[4:5], 0x20
	s_load_dwordx8 s[20:27], s[4:5], 0x38
	s_load_dwordx2 s[42:43], s[4:5], 0x58
	s_load_dword s6, s[4:5], 0x60
	s_load_dwordx4 s[36:39], s[4:5], 0x68
	s_addc_u32 flat_scratch_hi, s7, 0
	s_add_u32 s0, s0, s9
	s_addc_u32 s1, s1, 0
	v_mov_b32_e32 v1, 0
	s_mov_b32 s4, 0
	v_mov_b32_e32 v2, 0xd0
	s_waitcnt lgkmcnt(0)
	s_barrier
	buffer_store_dword v1, off, s[0:3], 0 offset:220
	buffer_store_dword v1, off, s[0:3], 0 offset:216
	buffer_store_dword v1, off, s[0:3], 0 offset:212
	buffer_store_dword v1, off, s[0:3], 0 offset:208
	buffer_store_dword v1, off, s[0:3], 0 offset:224
.LBB2096_1:                             ; =>This Inner Loop Header: Depth=1
	v_add_u32_e32 v3, s4, v2
	s_add_i32 s4, s4, 8
	s_cmp_lg_u32 s4, 16
	buffer_store_dword v1, v3, s[0:3], 0 offen offset:4
	buffer_store_dword v1, v3, s[0:3], 0 offen
	s_cbranch_scc1 .LBB2096_1
; %bb.2:
	v_mov_b32_e32 v2, 0xd0
	v_mov_b32_e32 v1, 0
	s_mov_b32 s4, 20
	v_add_u32_e32 v10, 20, v2
	buffer_store_byte v1, off, s[0:3], 0 offset:224
	buffer_store_dword v1, off, s[0:3], 0 offset:240
	buffer_store_dword v1, off, s[0:3], 0 offset:236
	buffer_store_dword v1, off, s[0:3], 0 offset:232
	buffer_store_dword v1, off, s[0:3], 0 offset:228
	buffer_store_dword v1, off, s[0:3], 0 offset:244
.LBB2096_3:                             ; =>This Inner Loop Header: Depth=1
	v_add_u32_e32 v3, s4, v2
	s_add_i32 s4, s4, 8
	s_cmp_lg_u32 s4, 36
	buffer_store_dword v1, v3, s[0:3], 0 offen offset:4
	buffer_store_dword v1, v3, s[0:3], 0 offen
	s_cbranch_scc1 .LBB2096_3
; %bb.4:
	v_mov_b32_e32 v2, 0xd0
	v_mov_b32_e32 v1, 0
	s_mov_b32 s4, 40
	v_add_u32_e32 v11, 40, v2
	buffer_store_byte v1, off, s[0:3], 0 offset:244
	;; [unrolled: 18-line block ×3, first 2 shown]
	buffer_store_dword v1, off, s[0:3], 0 offset:280
	buffer_store_dword v1, off, s[0:3], 0 offset:276
	;; [unrolled: 1-line block ×5, first 2 shown]
.LBB2096_7:                             ; =>This Inner Loop Header: Depth=1
	v_add_u32_e32 v3, s4, v2
	s_add_i32 s4, s4, 8
	s_cmpk_lg_i32 s4, 0x4c
	buffer_store_dword v1, v3, s[0:3], 0 offen offset:4
	buffer_store_dword v1, v3, s[0:3], 0 offen
	s_cbranch_scc1 .LBB2096_7
; %bb.8:
	v_mov_b32_e32 v2, 0xd0
	v_mov_b32_e32 v1, 0
	s_movk_i32 s4, 0x50
	v_add_u32_e32 v13, 0x50, v2
	buffer_store_byte v1, off, s[0:3], 0 offset:284
	buffer_store_dword v1, off, s[0:3], 0 offset:300
	buffer_store_dword v1, off, s[0:3], 0 offset:296
	;; [unrolled: 1-line block ×5, first 2 shown]
.LBB2096_9:                             ; =>This Inner Loop Header: Depth=1
	v_add_u32_e32 v3, s4, v2
	s_add_i32 s4, s4, 8
	s_cmpk_lg_i32 s4, 0x60
	buffer_store_dword v1, v3, s[0:3], 0 offen offset:4
	buffer_store_dword v1, v3, s[0:3], 0 offen
	s_cbranch_scc1 .LBB2096_9
; %bb.10:
	v_mov_b32_e32 v2, s29
	buffer_store_dword v2, off, s[0:3], 0 offset:100
	v_mov_b32_e32 v2, s28
	buffer_store_dword v2, off, s[0:3], 0 offset:96
	;; [unrolled: 2-line block ×3, first 2 shown]
	v_mov_b32_e32 v2, s30
	s_mov_b32 s4, 0
	v_mov_b32_e32 v1, 0
	buffer_store_dword v2, off, s[0:3], 0 offset:104
	v_mov_b32_e32 v2, 0
	buffer_store_byte v1, off, s[0:3], 0 offset:304
.LBB2096_11:                            ; =>This Inner Loop Header: Depth=1
	v_add_u32_e32 v3, s4, v2
	s_add_i32 s4, s4, 8
	s_cmp_lg_u32 s4, 16
	buffer_store_dword v1, v3, s[0:3], 0 offen offset:4
	buffer_store_dword v1, v3, s[0:3], 0 offen
	s_cbranch_scc1 .LBB2096_11
; %bb.12:
	s_mov_b32 s4, 16
	v_mov_b32_e32 v1, 0
	v_mov_b32_e32 v2, 0
.LBB2096_13:                            ; =>This Inner Loop Header: Depth=1
	v_add_u32_e32 v3, s4, v1
	s_add_i32 s4, s4, 8
	s_cmp_lg_u32 s4, 32
	buffer_store_dword v2, v3, s[0:3], 0 offen offset:4
	buffer_store_dword v2, v3, s[0:3], 0 offen
	s_cbranch_scc1 .LBB2096_13
; %bb.14:
	s_mov_b32 s4, 32
	v_mov_b32_e32 v1, 0
	v_mov_b32_e32 v2, 0
	;; [unrolled: 11-line block ×4, first 2 shown]
.LBB2096_19:                            ; =>This Inner Loop Header: Depth=1
	v_add_u32_e32 v3, s4, v1
	s_add_i32 s4, s4, 8
	s_cmpk_lg_i32 s4, 0x50
	buffer_store_dword v2, v3, s[0:3], 0 offen offset:4
	buffer_store_dword v2, v3, s[0:3], 0 offen
	s_cbranch_scc1 .LBB2096_19
; %bb.20:
	s_lshl_b64 s[4:5], s[14:15], 2
	s_add_u32 s9, s12, s4
	s_addc_u32 s10, s13, s5
	s_lshl_b64 s[34:35], s[14:15], 4
	s_add_u32 s11, s16, s34
	s_mul_i32 s5, s43, s6
	s_mul_hi_u32 s7, s42, s6
	s_mul_i32 s4, s8, 0x500
	s_addc_u32 s12, s17, s35
	s_add_i32 s13, s7, s5
	s_mov_b32 s5, 0
	s_mul_i32 s14, s42, s6
	s_lshl_b64 s[6:7], s[4:5], 2
	s_add_u32 s44, s9, s6
	s_addc_u32 s45, s10, s7
	s_lshl_b64 s[40:41], s[4:5], 4
	s_add_u32 s9, s11, s40
	s_addc_u32 s33, s12, s41
	s_add_u32 s4, s14, s8
	s_addc_u32 s5, s13, 0
	s_add_u32 s6, s36, -1
	v_mov_b32_e32 v2, 0
	s_addc_u32 s7, s37, -1
	v_add_u32_e32 v1, 64, v2
	v_add_u32_e32 v6, 48, v2
	;; [unrolled: 1-line block ×4, first 2 shown]
	v_pk_mov_b32 v[2:3], s[6:7], s[6:7] op_sel:[0,1]
	v_cmp_ge_u64_e64 s[4:5], s[4:5], v[2:3]
	s_mov_b64 s[10:11], -1
	s_and_b64 vcc, exec, s[4:5]
	s_mul_i32 s27, s6, 0xfffffb00
	s_cbranch_vccz .LBB2096_48
; %bb.21:
	v_pk_mov_b32 v[2:3], s[44:45], s[44:45] op_sel:[0,1]
	flat_load_dword v2, v[2:3]
	s_add_i32 s48, s27, s26
	v_cmp_gt_u32_e32 vcc, s48, v0
	s_waitcnt vmcnt(0) lgkmcnt(0)
	v_mov_b32_e32 v3, v2
	s_and_saveexec_b64 s[10:11], vcc
	s_cbranch_execz .LBB2096_23
; %bb.22:
	v_lshlrev_b32_e32 v3, 2, v0
	v_mov_b32_e32 v5, s45
	v_add_co_u32_e64 v4, s[6:7], s44, v3
	v_addc_co_u32_e64 v5, s[6:7], 0, v5, s[6:7]
	flat_load_dword v3, v[4:5]
.LBB2096_23:
	s_or_b64 exec, exec, s[10:11]
	v_or_b32_e32 v14, 0x100, v0
	v_cmp_gt_u32_e64 s[6:7], s48, v14
	v_mov_b32_e32 v4, v2
	s_and_saveexec_b64 s[12:13], s[6:7]
	s_cbranch_execz .LBB2096_25
; %bb.24:
	v_lshlrev_b32_e32 v4, 2, v0
	v_mov_b32_e32 v5, s45
	v_add_co_u32_e64 v4, s[10:11], s44, v4
	v_addc_co_u32_e64 v5, s[10:11], 0, v5, s[10:11]
	flat_load_dword v4, v[4:5] offset:1024
.LBB2096_25:
	s_or_b64 exec, exec, s[12:13]
	v_or_b32_e32 v17, 0x200, v0
	v_cmp_gt_u32_e64 s[14:15], s48, v17
	v_mov_b32_e32 v5, v2
	s_and_saveexec_b64 s[12:13], s[14:15]
	s_cbranch_execz .LBB2096_27
; %bb.26:
	v_lshlrev_b32_e32 v5, 2, v0
	v_mov_b32_e32 v9, s45
	v_add_co_u32_e64 v18, s[10:11], s44, v5
	v_addc_co_u32_e64 v19, s[10:11], 0, v9, s[10:11]
	flat_load_dword v5, v[18:19] offset:2048
.LBB2096_27:
	;; [unrolled: 13-line block ×3, first 2 shown]
	s_or_b64 exec, exec, s[16:17]
	v_or_b32_e32 v19, 0x400, v0
	v_cmp_gt_u32_e64 s[12:13], s48, v19
	s_and_saveexec_b64 s[36:37], s[12:13]
	s_cbranch_execz .LBB2096_31
; %bb.30:
	v_lshlrev_b32_e32 v2, 2, v19
	v_mov_b32_e32 v15, s45
	v_add_co_u32_e64 v20, s[16:17], s44, v2
	v_addc_co_u32_e64 v21, s[16:17], 0, v15, s[16:17]
	flat_load_dword v2, v[20:21]
.LBB2096_31:
	s_or_b64 exec, exec, s[36:37]
	v_lshlrev_b32_e32 v16, 2, v0
	s_waitcnt vmcnt(0) lgkmcnt(0)
	ds_write2st64_b32 v16, v3, v4 offset1:4
	ds_write2st64_b32 v16, v5, v9 offset0:8 offset1:12
	ds_write_b32 v16, v2 offset:4096
	v_pk_mov_b32 v[2:3], s[44:45], s[44:45] op_sel:[0,1]
	s_waitcnt lgkmcnt(0)
	s_barrier
	flat_load_dword v9, v[2:3]
	v_lshl_add_u32 v2, v0, 4, v16
	ds_read_b32 v15, v2
	ds_read2_b32 v[4:5], v2 offset0:1 offset1:2
	ds_read2_b32 v[2:3], v2 offset0:3 offset1:4
	s_movk_i32 s16, 0xff
	v_cmp_ne_u32_e64 s[16:17], s16, v0
	s_waitcnt lgkmcnt(0)
	ds_write_b32 v16, v15 offset:6144
	s_waitcnt lgkmcnt(0)
	s_barrier
	s_and_saveexec_b64 s[36:37], s[16:17]
	s_cbranch_execz .LBB2096_33
; %bb.32:
	s_waitcnt vmcnt(0)
	ds_read_b32 v9, v16 offset:6148
.LBB2096_33:
	s_or_b64 exec, exec, s[36:37]
	s_waitcnt lgkmcnt(0)
	s_barrier
	s_and_saveexec_b64 s[16:17], vcc
	s_cbranch_execnz .LBB2096_522
; %bb.34:
	s_or_b64 exec, exec, s[16:17]
	s_and_saveexec_b64 s[16:17], s[6:7]
	s_cbranch_execnz .LBB2096_523
.LBB2096_35:
	s_or_b64 exec, exec, s[16:17]
	s_and_saveexec_b64 s[6:7], s[14:15]
	s_cbranch_execnz .LBB2096_524
.LBB2096_36:
	s_or_b64 exec, exec, s[6:7]
	s_and_saveexec_b64 s[6:7], s[10:11]
	s_cbranch_execnz .LBB2096_525
.LBB2096_37:
	s_or_b64 exec, exec, s[6:7]
	v_mul_u32_u24_e32 v14, 5, v0
	s_and_saveexec_b64 s[6:7], s[12:13]
	s_cbranch_execz .LBB2096_39
.LBB2096_38:
	v_lshlrev_b32_e32 v17, 4, v19
	v_mov_b32_e32 v19, s33
	v_add_co_u32_e32 v18, vcc, s9, v17
	v_addc_co_u32_e32 v19, vcc, 0, v19, vcc
	flat_load_dwordx4 v[18:21], v[18:19]
	s_waitcnt vmcnt(0) lgkmcnt(0)
	buffer_store_dword v19, off, s[0:3], 0 offset:68
	buffer_store_dword v18, off, s[0:3], 0 offset:64
	;; [unrolled: 1-line block ×4, first 2 shown]
.LBB2096_39:
	s_or_b64 exec, exec, s[6:7]
	buffer_load_dword v18, off, s[0:3], 0
	buffer_load_dword v19, off, s[0:3], 0 offset:4
	buffer_load_dword v20, off, s[0:3], 0 offset:8
	;; [unrolled: 1-line block ×3, first 2 shown]
	buffer_load_dword v22, v8, s[0:3], 0 offen
	buffer_load_dword v23, v8, s[0:3], 0 offen offset:4
	buffer_load_dword v24, v8, s[0:3], 0 offen offset:8
	buffer_load_dword v25, v8, s[0:3], 0 offen offset:12
	buffer_load_dword v26, v7, s[0:3], 0 offen
	buffer_load_dword v27, v7, s[0:3], 0 offen offset:4
	buffer_load_dword v28, v7, s[0:3], 0 offen offset:8
	buffer_load_dword v29, v7, s[0:3], 0 offen offset:12
	;; [unrolled: 4-line block ×4, first 2 shown]
	v_mad_u32_u24 v16, v0, 12, v16
	v_lshl_add_u32 v38, v0, 6, v16
	v_cmp_gt_u32_e32 vcc, s48, v14
	s_mov_b64 s[10:11], 0
	s_mov_b64 s[14:15], 0
                                        ; implicit-def: $sgpr6_sgpr7
	s_waitcnt vmcnt(0)
	ds_write_b128 v16, v[18:21]
	ds_write_b128 v16, v[22:25] offset:4096
	ds_write_b128 v16, v[26:29] offset:8192
	ds_write_b128 v16, v[30:33] offset:12288
	ds_write_b128 v16, v[34:37] offset:16384
	s_waitcnt lgkmcnt(0)
	s_barrier
	ds_read_b128 v[16:19], v38
	ds_read_b128 v[20:23], v38 offset:16
	ds_read_b128 v[24:27], v38 offset:32
	;; [unrolled: 1-line block ×4, first 2 shown]
	s_waitcnt lgkmcnt(4)
	buffer_store_dword v19, off, s[0:3], 0 offset:12
	buffer_store_dword v18, off, s[0:3], 0 offset:8
	;; [unrolled: 1-line block ×3, first 2 shown]
	buffer_store_dword v16, off, s[0:3], 0
	s_waitcnt lgkmcnt(3)
	buffer_store_dword v23, v8, s[0:3], 0 offen offset:12
	buffer_store_dword v22, v8, s[0:3], 0 offen offset:8
	buffer_store_dword v21, v8, s[0:3], 0 offen offset:4
	buffer_store_dword v20, v8, s[0:3], 0 offen
	s_waitcnt lgkmcnt(2)
	buffer_store_dword v27, v7, s[0:3], 0 offen offset:12
	buffer_store_dword v26, v7, s[0:3], 0 offen offset:8
	buffer_store_dword v25, v7, s[0:3], 0 offen offset:4
	buffer_store_dword v24, v7, s[0:3], 0 offen
	;; [unrolled: 5-line block ×4, first 2 shown]
	s_and_saveexec_b64 s[12:13], vcc
	s_cbranch_execz .LBB2096_47
; %bb.40:
	v_cmp_ne_u32_e32 vcc, v15, v4
	v_mov_b32_e32 v15, 0x60
	v_mov_b32_e32 v17, 0
	v_cndmask_b32_e32 v17, v17, v15, vcc
	buffer_load_dword v18, v17, s[0:3], 0 offen offset:12
	buffer_load_dword v19, v17, s[0:3], 0 offen offset:8
	;; [unrolled: 1-line block ×3, first 2 shown]
	buffer_load_dword v21, v17, s[0:3], 0 offen
                                        ; kill: killed $vgpr17
	v_add_u32_e32 v17, 1, v14
	v_cndmask_b32_e64 v16, 0, 1, vcc
	v_cmp_gt_u32_e32 vcc, s48, v17
	s_mov_b64 s[16:17], 0
	buffer_store_byte v16, off, s[0:3], 0 offset:224
                                        ; implicit-def: $sgpr36_sgpr37
	s_waitcnt vmcnt(4)
	buffer_store_dword v18, off, s[0:3], 0 offset:220
	s_waitcnt vmcnt(4)
	buffer_store_dword v19, off, s[0:3], 0 offset:216
	;; [unrolled: 2-line block ×4, first 2 shown]
	s_and_saveexec_b64 s[14:15], vcc
	s_cbranch_execz .LBB2096_46
; %bb.41:
	v_cmp_ne_u32_e32 vcc, v4, v5
	v_cndmask_b32_e32 v15, v8, v15, vcc
	buffer_load_dword v16, v15, s[0:3], 0 offen offset:12
	buffer_load_dword v17, v15, s[0:3], 0 offen offset:8
	;; [unrolled: 1-line block ×3, first 2 shown]
	buffer_load_dword v19, v15, s[0:3], 0 offen
                                        ; kill: killed $vgpr15
	v_add_u32_e32 v15, 2, v14
	v_cndmask_b32_e64 v4, 0, 1, vcc
	v_cmp_gt_u32_e32 vcc, s48, v15
	s_mov_b64 s[6:7], 0
	buffer_store_byte v4, off, s[0:3], 0 offset:244
                                        ; implicit-def: $sgpr36_sgpr37
	s_waitcnt vmcnt(4)
	buffer_store_dword v16, v10, s[0:3], 0 offen offset:12
	s_waitcnt vmcnt(4)
	buffer_store_dword v17, v10, s[0:3], 0 offen offset:8
	s_waitcnt vmcnt(4)
	buffer_store_dword v18, v10, s[0:3], 0 offen offset:4
	s_waitcnt vmcnt(4)
	buffer_store_dword v19, v10, s[0:3], 0 offen
	s_and_saveexec_b64 s[16:17], vcc
	s_cbranch_execz .LBB2096_45
; %bb.42:
	v_cmp_ne_u32_e32 vcc, v5, v2
	v_mov_b32_e32 v4, 0x60
	v_cndmask_b32_e32 v15, v7, v4, vcc
	buffer_load_dword v16, v15, s[0:3], 0 offen offset:12
	buffer_load_dword v17, v15, s[0:3], 0 offen offset:8
	buffer_load_dword v18, v15, s[0:3], 0 offen offset:4
	buffer_load_dword v19, v15, s[0:3], 0 offen
                                        ; kill: killed $vgpr15
	v_add_u32_e32 v15, 3, v14
	v_cndmask_b32_e64 v5, 0, 1, vcc
	v_cmp_gt_u32_e32 vcc, s48, v15
	buffer_store_byte v5, off, s[0:3], 0 offset:264
                                        ; implicit-def: $sgpr46_sgpr47
	s_waitcnt vmcnt(4)
	buffer_store_dword v16, v11, s[0:3], 0 offen offset:12
	s_waitcnt vmcnt(4)
	buffer_store_dword v17, v11, s[0:3], 0 offen offset:8
	s_waitcnt vmcnt(4)
	buffer_store_dword v18, v11, s[0:3], 0 offen offset:4
	s_waitcnt vmcnt(4)
	buffer_store_dword v19, v11, s[0:3], 0 offen
	s_and_saveexec_b64 s[36:37], vcc
	s_xor_b64 s[36:37], exec, s[36:37]
	s_cbranch_execz .LBB2096_44
; %bb.43:
	v_cmp_ne_u32_e32 vcc, v2, v3
	v_cndmask_b32_e32 v4, v6, v4, vcc
	buffer_load_dword v5, v4, s[0:3], 0 offen offset:12
	buffer_load_dword v15, v4, s[0:3], 0 offen offset:8
	;; [unrolled: 1-line block ×3, first 2 shown]
	buffer_load_dword v17, v4, s[0:3], 0 offen
	v_cndmask_b32_e64 v2, 0, 1, vcc
	v_cmp_ne_u32_e32 vcc, v3, v9
	v_add_u32_e32 v3, 4, v14
	v_cmp_gt_u32_e64 s[6:7], s48, v3
	s_and_b64 s[46:47], vcc, exec
	s_and_b64 s[6:7], s[6:7], exec
                                        ; kill: killed $vgpr4
	buffer_store_byte v2, off, s[0:3], 0 offset:284
	s_waitcnt vmcnt(4)
	buffer_store_dword v5, v12, s[0:3], 0 offen offset:12
	s_waitcnt vmcnt(4)
	buffer_store_dword v15, v12, s[0:3], 0 offen offset:8
	;; [unrolled: 2-line block ×3, first 2 shown]
	s_waitcnt vmcnt(4)
	buffer_store_dword v17, v12, s[0:3], 0 offen
.LBB2096_44:
	s_or_b64 exec, exec, s[36:37]
	s_and_b64 s[36:37], s[46:47], exec
	s_and_b64 s[6:7], s[6:7], exec
.LBB2096_45:
	s_or_b64 exec, exec, s[16:17]
	s_and_b64 s[36:37], s[36:37], exec
	s_and_b64 s[16:17], s[6:7], exec
.LBB2096_46:
	s_or_b64 exec, exec, s[14:15]
	s_and_b64 s[6:7], s[36:37], exec
	s_and_b64 s[14:15], s[16:17], exec
.LBB2096_47:
	s_or_b64 exec, exec, s[12:13]
	s_and_b64 vcc, exec, s[10:11]
	s_cbranch_vccnz .LBB2096_49
	s_branch .LBB2096_52
.LBB2096_48:
	s_mov_b64 s[14:15], 0
                                        ; implicit-def: $sgpr6_sgpr7
	s_and_b64 vcc, exec, s[10:11]
	s_cbranch_vccz .LBB2096_52
.LBB2096_49:
	v_lshlrev_b32_e32 v14, 2, v0
	v_mov_b32_e32 v3, s45
	v_add_co_u32_e32 v2, vcc, s44, v14
	v_addc_co_u32_e32 v3, vcc, 0, v3, vcc
	v_add_co_u32_e32 v4, vcc, 0x1000, v2
	v_addc_co_u32_e32 v5, vcc, 0, v3, vcc
	flat_load_dword v9, v[2:3]
	flat_load_dword v15, v[2:3] offset:1024
	flat_load_dword v16, v[2:3] offset:2048
	;; [unrolled: 1-line block ×3, first 2 shown]
	flat_load_dword v18, v[4:5]
	v_mov_b32_e32 v2, s44
	v_mov_b32_e32 v3, s45
	v_add_co_u32_e32 v2, vcc, 0x1000, v2
	v_addc_co_u32_e32 v3, vcc, 0, v3, vcc
	s_movk_i32 s6, 0xff
	s_movk_i32 s10, 0x1000
	v_cmp_ne_u32_e32 vcc, s6, v0
	s_waitcnt vmcnt(0) lgkmcnt(0)
	ds_write2st64_b32 v14, v9, v15 offset1:4
	ds_write2st64_b32 v14, v16, v17 offset0:8 offset1:12
	ds_write_b32 v14, v18 offset:4096
	s_waitcnt lgkmcnt(0)
	s_barrier
	flat_load_dword v9, v[2:3] offset:1024
	v_lshl_add_u32 v2, v0, 4, v14
	ds_read_b32 v15, v2
	ds_read2_b32 v[4:5], v2 offset0:1 offset1:2
	ds_read2_b32 v[2:3], v2 offset0:3 offset1:4
	s_waitcnt lgkmcnt(0)
	ds_write_b32 v14, v15 offset:6144
	s_waitcnt lgkmcnt(0)
	s_barrier
	s_and_saveexec_b64 s[6:7], vcc
	s_cbranch_execz .LBB2096_51
; %bb.50:
	s_waitcnt vmcnt(0)
	ds_read_b32 v9, v14 offset:6148
.LBB2096_51:
	s_or_b64 exec, exec, s[6:7]
	v_lshlrev_b32_e32 v16, 4, v0
	v_mov_b32_e32 v17, s33
	v_add_co_u32_e32 v24, vcc, s9, v16
	v_addc_co_u32_e32 v25, vcc, 0, v17, vcc
	s_waitcnt lgkmcnt(0)
	s_barrier
	flat_load_dwordx4 v[16:19], v[24:25]
	v_add_co_u32_e32 v20, vcc, s10, v24
	v_addc_co_u32_e32 v21, vcc, 0, v25, vcc
	s_movk_i32 s6, 0x2000
	v_add_co_u32_e32 v26, vcc, s6, v24
	v_addc_co_u32_e32 v27, vcc, 0, v25, vcc
	s_movk_i32 s6, 0x3000
	v_cmp_ne_u32_e64 s[10:11], v5, v2
	v_cmp_ne_u32_e64 s[12:13], v2, v3
	v_mad_u32_u24 v2, v0, 12, v14
	v_lshl_add_u32 v40, v0, 6, v2
	s_mov_b64 s[14:15], -1
	v_cndmask_b32_e64 v38, 0, 1, s[10:11]
	v_cndmask_b32_e64 v39, 0, 1, s[12:13]
	s_waitcnt vmcnt(0) lgkmcnt(0)
	buffer_store_dword v16, off, s[0:3], 0
	buffer_store_dword v17, off, s[0:3], 0 offset:4
	buffer_store_dword v19, off, s[0:3], 0 offset:12
	;; [unrolled: 1-line block ×3, first 2 shown]
	flat_load_dwordx4 v[20:23], v[20:21]
	s_waitcnt vmcnt(0) lgkmcnt(0)
	buffer_store_dword v21, off, s[0:3], 0 offset:20
	buffer_store_dword v20, off, s[0:3], 0 offset:16
	;; [unrolled: 1-line block ×4, first 2 shown]
	flat_load_dwordx4 v[20:23], v[26:27]
	v_add_co_u32_e32 v26, vcc, s6, v24
	v_addc_co_u32_e32 v27, vcc, 0, v25, vcc
	s_movk_i32 s6, 0x4000
	v_add_co_u32_e32 v32, vcc, s6, v24
	v_addc_co_u32_e32 v33, vcc, 0, v25, vcc
                                        ; kill: killed $vgpr32 killed $vgpr33
	v_cmp_ne_u32_e32 vcc, v15, v4
	v_cmp_ne_u32_e64 s[6:7], v4, v5
	v_mov_b32_e32 v4, 0x60
	v_mov_b32_e32 v5, 0
	v_cndmask_b32_e32 v5, v5, v4, vcc
	v_cndmask_b32_e64 v41, v8, v4, s[6:7]
	v_cndmask_b32_e64 v42, v7, v4, s[10:11]
	v_cndmask_b32_e64 v36, 0, 1, vcc
	v_cndmask_b32_e64 v37, 0, 1, s[6:7]
                                        ; kill: killed $vgpr5
	v_cmp_ne_u32_e64 s[6:7], v3, v9
                                        ; kill: killed $vgpr41
                                        ; kill: killed $vgpr42
	s_waitcnt vmcnt(0) lgkmcnt(0)
	buffer_store_dword v21, off, s[0:3], 0 offset:36
	buffer_store_dword v20, off, s[0:3], 0 offset:32
	buffer_store_dword v23, off, s[0:3], 0 offset:44
	buffer_store_dword v22, off, s[0:3], 0 offset:40
	flat_load_dwordx4 v[20:23], v[26:27]
	s_waitcnt vmcnt(0) lgkmcnt(0)
	buffer_store_dword v21, off, s[0:3], 0 offset:52
	buffer_store_dword v20, off, s[0:3], 0 offset:48
	;; [unrolled: 1-line block ×4, first 2 shown]
	flat_load_dwordx4 v[20:23], v[32:33]
	s_nop 0
	buffer_load_dword v27, v7, s[0:3], 0 offen offset:12
	buffer_load_dword v26, v7, s[0:3], 0 offen offset:8
	buffer_load_dword v25, v7, s[0:3], 0 offen offset:4
	buffer_load_dword v24, v7, s[0:3], 0 offen
	buffer_load_dword v31, v8, s[0:3], 0 offen offset:12
	buffer_load_dword v30, v8, s[0:3], 0 offen offset:8
	;; [unrolled: 1-line block ×3, first 2 shown]
	buffer_load_dword v28, v8, s[0:3], 0 offen
	s_waitcnt vmcnt(0) lgkmcnt(0)
	buffer_store_dword v21, off, s[0:3], 0 offset:68
	buffer_store_dword v20, off, s[0:3], 0 offset:64
	;; [unrolled: 1-line block ×4, first 2 shown]
	buffer_load_dword v20, v1, s[0:3], 0 offen
	s_nop 0
	buffer_load_dword v35, v6, s[0:3], 0 offen offset:12
	buffer_load_dword v34, v6, s[0:3], 0 offen offset:8
	buffer_load_dword v33, v6, s[0:3], 0 offen offset:4
	buffer_load_dword v32, v6, s[0:3], 0 offen
	buffer_load_dword v23, v1, s[0:3], 0 offen offset:12
	buffer_load_dword v22, v1, s[0:3], 0 offen offset:8
	;; [unrolled: 1-line block ×3, first 2 shown]
	ds_write_b128 v2, v[16:19]
	ds_write_b128 v2, v[28:31] offset:4096
	ds_write_b128 v2, v[24:27] offset:8192
	s_waitcnt vmcnt(3)
	ds_write_b128 v2, v[32:35] offset:12288
	s_waitcnt vmcnt(0)
	ds_write_b128 v2, v[20:23] offset:16384
	s_waitcnt lgkmcnt(0)
	s_barrier
	ds_read_b128 v[14:17], v40
	ds_read_b128 v[18:21], v40 offset:16
	ds_read_b128 v[22:25], v40 offset:32
	;; [unrolled: 1-line block ×3, first 2 shown]
	s_waitcnt lgkmcnt(3)
	buffer_store_dword v17, off, s[0:3], 0 offset:12
	buffer_store_dword v16, off, s[0:3], 0 offset:8
	;; [unrolled: 1-line block ×3, first 2 shown]
	buffer_store_dword v14, off, s[0:3], 0
	s_waitcnt lgkmcnt(2)
	buffer_store_dword v21, v8, s[0:3], 0 offen offset:12
	buffer_store_dword v20, v8, s[0:3], 0 offen offset:8
	;; [unrolled: 1-line block ×3, first 2 shown]
	buffer_store_dword v18, v8, s[0:3], 0 offen
	s_waitcnt lgkmcnt(1)
	buffer_store_dword v25, v7, s[0:3], 0 offen offset:12
	buffer_store_dword v24, v7, s[0:3], 0 offen offset:8
	;; [unrolled: 1-line block ×3, first 2 shown]
	buffer_store_dword v22, v7, s[0:3], 0 offen
	s_waitcnt lgkmcnt(0)
	buffer_store_dword v29, v6, s[0:3], 0 offen offset:12
	v_cndmask_b32_e64 v2, v6, v4, s[12:13]
	buffer_load_dword v7, v5, s[0:3], 0 offen
	buffer_load_dword v8, v5, s[0:3], 0 offen offset:4
	buffer_load_dword v14, v5, s[0:3], 0 offen offset:8
	buffer_load_dword v15, v5, s[0:3], 0 offen offset:12
	buffer_load_dword v16, v41, s[0:3], 0 offen
	buffer_load_dword v17, v41, s[0:3], 0 offen offset:4
	buffer_load_dword v18, v41, s[0:3], 0 offen offset:8
	buffer_load_dword v19, v41, s[0:3], 0 offen offset:12
	;; [unrolled: 4-line block ×3, first 2 shown]
	s_nop 0
	buffer_store_dword v28, v6, s[0:3], 0 offen offset:8
	buffer_store_dword v27, v6, s[0:3], 0 offen offset:4
	buffer_store_dword v26, v6, s[0:3], 0 offen
	buffer_load_dword v6, v2, s[0:3], 0 offen offset:12
	s_nop 0
	buffer_load_dword v24, v2, s[0:3], 0 offen offset:8
	buffer_load_dword v25, v2, s[0:3], 0 offen offset:4
	buffer_load_dword v26, v2, s[0:3], 0 offen
                                        ; kill: killed $vgpr2
	ds_read_b128 v[2:5], v40 offset:64
	buffer_store_byte v36, off, s[0:3], 0 offset:224
	buffer_store_byte v37, off, s[0:3], 0 offset:244
	;; [unrolled: 1-line block ×4, first 2 shown]
	s_waitcnt lgkmcnt(0)
	buffer_store_dword v5, v1, s[0:3], 0 offen offset:12
	buffer_store_dword v4, v1, s[0:3], 0 offen offset:8
	;; [unrolled: 1-line block ×3, first 2 shown]
	buffer_store_dword v2, v1, s[0:3], 0 offen
	s_waitcnt vmcnt(23)
	buffer_store_dword v15, off, s[0:3], 0 offset:220
	buffer_store_dword v14, off, s[0:3], 0 offset:216
	buffer_store_dword v8, off, s[0:3], 0 offset:212
	buffer_store_dword v7, off, s[0:3], 0 offset:208
	s_waitcnt vmcnt(23)
	buffer_store_dword v19, v10, s[0:3], 0 offen offset:12
	buffer_store_dword v18, v10, s[0:3], 0 offen offset:8
	;; [unrolled: 1-line block ×3, first 2 shown]
	buffer_store_dword v16, v10, s[0:3], 0 offen
	s_waitcnt vmcnt(23)
	buffer_store_dword v23, v11, s[0:3], 0 offen offset:12
	buffer_store_dword v22, v11, s[0:3], 0 offen offset:8
	;; [unrolled: 1-line block ×3, first 2 shown]
	buffer_store_dword v20, v11, s[0:3], 0 offen
	s_waitcnt vmcnt(23)
	buffer_store_dword v6, v12, s[0:3], 0 offen offset:12
	s_waitcnt vmcnt(23)
	buffer_store_dword v24, v12, s[0:3], 0 offen offset:8
	;; [unrolled: 2-line block ×3, first 2 shown]
	s_waitcnt vmcnt(23)
	buffer_store_dword v26, v12, s[0:3], 0 offen
.LBB2096_52:
	s_and_saveexec_b64 s[10:11], s[14:15]
	s_cbranch_execz .LBB2096_54
; %bb.53:
	v_mov_b32_e32 v2, 0x60
	v_cndmask_b32_e64 v1, v1, v2, s[6:7]
	buffer_load_dword v2, v1, s[0:3], 0 offen offset:12
	buffer_load_dword v3, v1, s[0:3], 0 offen offset:8
	;; [unrolled: 1-line block ×3, first 2 shown]
	buffer_load_dword v5, v1, s[0:3], 0 offen
                                        ; kill: killed $vgpr1
	v_cndmask_b32_e64 v1, 0, 1, s[6:7]
	s_waitcnt vmcnt(3)
	buffer_store_dword v2, v13, s[0:3], 0 offen offset:12
	s_waitcnt vmcnt(3)
	buffer_store_dword v3, v13, s[0:3], 0 offen offset:8
	;; [unrolled: 2-line block ×3, first 2 shown]
	s_waitcnt vmcnt(3)
	buffer_store_dword v5, v13, s[0:3], 0 offen
	buffer_store_byte v1, off, s[0:3], 0 offset:304
.LBB2096_54:
	s_or_b64 exec, exec, s[10:11]
	s_cmp_lg_u32 s8, 0
	s_barrier
	s_cbranch_scc0 .LBB2096_361
; %bb.55:
	buffer_load_dword v2, off, s[0:3], 0 offset:220
	buffer_load_dword v3, off, s[0:3], 0 offset:216
	;; [unrolled: 1-line block ×5, first 2 shown]
	buffer_load_ubyte v6, off, s[0:3], 0 offset:244
	s_waitcnt vmcnt(5)
	buffer_store_dword v2, off, s[0:3], 0 offset:188
	s_waitcnt vmcnt(5)
	buffer_store_dword v3, off, s[0:3], 0 offset:184
	;; [unrolled: 2-line block ×5, first 2 shown]
	s_waitcnt vmcnt(5)
	v_cmp_ne_u16_e32 vcc, 0, v6
                                        ; implicit-def: $vgpr4_vgpr5
                                        ; implicit-def: $vgpr2_vgpr3
	s_and_saveexec_b64 s[6:7], vcc
	s_xor_b64 s[6:7], exec, s[6:7]
	s_cbranch_execz .LBB2096_57
; %bb.56:
	buffer_load_dword v2, off, s[0:3], 0 offset:228
	buffer_load_dword v3, off, s[0:3], 0 offset:232
	buffer_load_dword v4, off, s[0:3], 0 offset:236
	buffer_load_dword v5, off, s[0:3], 0 offset:240
.LBB2096_57:
	s_andn2_saveexec_b64 s[6:7], s[6:7]
	s_cbranch_execz .LBB2096_63
; %bb.58:
	s_mov_b32 s9, 0
	s_waitcnt vmcnt(3)
	v_mov_b32_e32 v2, 0
	s_waitcnt vmcnt(2)
	v_mov_b32_e32 v3, 0
	s_waitcnt vmcnt(0)
.LBB2096_59:                            ; =>This Inner Loop Header: Depth=1
	v_add_u32_e32 v4, s9, v2
	s_add_i32 s9, s9, 8
	s_cmp_lg_u32 s9, 16
	buffer_store_dword v3, v4, s[0:3], 0 offen offset:4
	buffer_store_dword v3, v4, s[0:3], 0 offen
	s_cbranch_scc1 .LBB2096_59
; %bb.60:
	s_mov_b32 s9, 0
	v_mov_b32_e32 v2, 0xb0
	v_mov_b32_e32 v3, 0xd0
	;; [unrolled: 1-line block ×3, first 2 shown]
.LBB2096_61:                            ; =>This Inner Loop Header: Depth=1
	v_add_u32_e32 v5, s9, v2
	v_add_u32_e32 v7, s9, v3
	buffer_load_dword v8, v5, s[0:3], 0 offen offset:4
	buffer_load_dword v9, v7, s[0:3], 0 offen offset:20
	buffer_load_dword v14, v5, s[0:3], 0 offen
	buffer_load_dword v15, v7, s[0:3], 0 offen offset:24
	v_add_u32_e32 v5, s9, v4
	s_add_i32 s9, s9, 8
	s_cmp_lg_u32 s9, 16
	s_waitcnt vmcnt(1)
	v_add_u32_e32 v7, v9, v14
	s_waitcnt vmcnt(0)
	v_add_u32_e32 v8, v15, v8
	buffer_store_dword v8, v5, s[0:3], 0 offen offset:4
	buffer_store_dword v7, v5, s[0:3], 0 offen
	s_cbranch_scc1 .LBB2096_61
; %bb.62:
	buffer_load_dword v2, off, s[0:3], 0
	buffer_load_dword v3, off, s[0:3], 0 offset:4
	buffer_load_dword v4, off, s[0:3], 0 offset:8
	;; [unrolled: 1-line block ×3, first 2 shown]
.LBB2096_63:
	s_or_b64 exec, exec, s[6:7]
	buffer_load_ubyte v7, off, s[0:3], 0 offset:264
	s_waitcnt vmcnt(3)
	buffer_store_dword v3, off, s[0:3], 0 offset:180
	buffer_store_dword v2, off, s[0:3], 0 offset:176
	s_waitcnt vmcnt(3)
	buffer_store_dword v5, off, s[0:3], 0 offset:188
	buffer_store_dword v4, off, s[0:3], 0 offset:184
                                        ; implicit-def: $vgpr4_vgpr5
                                        ; implicit-def: $vgpr2_vgpr3
	s_waitcnt vmcnt(4)
	v_cmp_ne_u16_e32 vcc, 0, v7
	s_and_saveexec_b64 s[6:7], vcc
	s_xor_b64 s[6:7], exec, s[6:7]
	s_cbranch_execz .LBB2096_65
; %bb.64:
	buffer_load_dword v2, off, s[0:3], 0 offset:248
	buffer_load_dword v3, off, s[0:3], 0 offset:252
	;; [unrolled: 1-line block ×4, first 2 shown]
.LBB2096_65:
	s_andn2_saveexec_b64 s[6:7], s[6:7]
	s_cbranch_execz .LBB2096_71
; %bb.66:
	s_mov_b32 s9, 0
	s_waitcnt vmcnt(3)
	v_mov_b32_e32 v2, 0
	s_waitcnt vmcnt(2)
	v_mov_b32_e32 v3, 0
	s_waitcnt vmcnt(0)
.LBB2096_67:                            ; =>This Inner Loop Header: Depth=1
	v_add_u32_e32 v4, s9, v2
	s_add_i32 s9, s9, 8
	s_cmp_lg_u32 s9, 16
	buffer_store_dword v3, v4, s[0:3], 0 offen offset:4
	buffer_store_dword v3, v4, s[0:3], 0 offen
	s_cbranch_scc1 .LBB2096_67
; %bb.68:
	s_mov_b32 s9, 0
	v_mov_b32_e32 v2, 0xb0
	v_mov_b32_e32 v3, 0xd0
	v_mov_b32_e32 v4, 0
.LBB2096_69:                            ; =>This Inner Loop Header: Depth=1
	v_add_u32_e32 v5, s9, v2
	v_add_u32_e32 v8, s9, v3
	buffer_load_dword v9, v5, s[0:3], 0 offen offset:4
	buffer_load_dword v14, v8, s[0:3], 0 offen offset:40
	buffer_load_dword v15, v5, s[0:3], 0 offen
	buffer_load_dword v16, v8, s[0:3], 0 offen offset:44
	v_add_u32_e32 v5, s9, v4
	s_add_i32 s9, s9, 8
	s_cmp_lg_u32 s9, 16
	s_waitcnt vmcnt(1)
	v_add_u32_e32 v8, v14, v15
	s_waitcnt vmcnt(0)
	v_add_u32_e32 v9, v16, v9
	buffer_store_dword v9, v5, s[0:3], 0 offen offset:4
	buffer_store_dword v8, v5, s[0:3], 0 offen
	s_cbranch_scc1 .LBB2096_69
; %bb.70:
	buffer_load_dword v2, off, s[0:3], 0
	buffer_load_dword v3, off, s[0:3], 0 offset:4
	buffer_load_dword v4, off, s[0:3], 0 offset:8
	;; [unrolled: 1-line block ×3, first 2 shown]
.LBB2096_71:
	s_or_b64 exec, exec, s[6:7]
	buffer_load_ubyte v8, off, s[0:3], 0 offset:284
	s_waitcnt vmcnt(3)
	buffer_store_dword v3, off, s[0:3], 0 offset:180
	buffer_store_dword v2, off, s[0:3], 0 offset:176
	s_waitcnt vmcnt(3)
	buffer_store_dword v5, off, s[0:3], 0 offset:188
	buffer_store_dword v4, off, s[0:3], 0 offset:184
                                        ; implicit-def: $vgpr4_vgpr5
                                        ; implicit-def: $vgpr2_vgpr3
	s_waitcnt vmcnt(4)
	v_cmp_ne_u16_e32 vcc, 0, v8
	s_and_saveexec_b64 s[6:7], vcc
	s_xor_b64 s[6:7], exec, s[6:7]
	s_cbranch_execz .LBB2096_73
; %bb.72:
	buffer_load_dword v2, off, s[0:3], 0 offset:268
	buffer_load_dword v3, off, s[0:3], 0 offset:272
	;; [unrolled: 1-line block ×4, first 2 shown]
.LBB2096_73:
	s_andn2_saveexec_b64 s[6:7], s[6:7]
	s_cbranch_execz .LBB2096_79
; %bb.74:
	s_mov_b32 s9, 0
	s_waitcnt vmcnt(3)
	v_mov_b32_e32 v2, 0
	s_waitcnt vmcnt(2)
	v_mov_b32_e32 v3, 0
	s_waitcnt vmcnt(0)
.LBB2096_75:                            ; =>This Inner Loop Header: Depth=1
	v_add_u32_e32 v4, s9, v2
	s_add_i32 s9, s9, 8
	s_cmp_lg_u32 s9, 16
	buffer_store_dword v3, v4, s[0:3], 0 offen offset:4
	buffer_store_dword v3, v4, s[0:3], 0 offen
	s_cbranch_scc1 .LBB2096_75
; %bb.76:
	s_mov_b32 s9, 0
	v_mov_b32_e32 v2, 0xb0
	v_mov_b32_e32 v3, 0xd0
	;; [unrolled: 1-line block ×3, first 2 shown]
.LBB2096_77:                            ; =>This Inner Loop Header: Depth=1
	v_add_u32_e32 v5, s9, v2
	v_add_u32_e32 v9, s9, v3
	buffer_load_dword v14, v5, s[0:3], 0 offen offset:4
	buffer_load_dword v15, v9, s[0:3], 0 offen offset:60
	buffer_load_dword v16, v5, s[0:3], 0 offen
	buffer_load_dword v17, v9, s[0:3], 0 offen offset:64
	v_add_u32_e32 v5, s9, v4
	s_add_i32 s9, s9, 8
	s_cmp_lg_u32 s9, 16
	s_waitcnt vmcnt(1)
	v_add_u32_e32 v9, v15, v16
	s_waitcnt vmcnt(0)
	v_add_u32_e32 v14, v17, v14
	buffer_store_dword v14, v5, s[0:3], 0 offen offset:4
	buffer_store_dword v9, v5, s[0:3], 0 offen
	s_cbranch_scc1 .LBB2096_77
; %bb.78:
	buffer_load_dword v2, off, s[0:3], 0
	buffer_load_dword v3, off, s[0:3], 0 offset:4
	buffer_load_dword v4, off, s[0:3], 0 offset:8
	;; [unrolled: 1-line block ×3, first 2 shown]
.LBB2096_79:
	s_or_b64 exec, exec, s[6:7]
	buffer_load_ubyte v9, off, s[0:3], 0 offset:304
	s_waitcnt vmcnt(3)
	buffer_store_dword v3, off, s[0:3], 0 offset:180
	buffer_store_dword v2, off, s[0:3], 0 offset:176
	s_waitcnt vmcnt(3)
	buffer_store_dword v5, off, s[0:3], 0 offset:188
	buffer_store_dword v4, off, s[0:3], 0 offset:184
                                        ; implicit-def: $vgpr4_vgpr5
                                        ; implicit-def: $vgpr2_vgpr3
	s_waitcnt vmcnt(4)
	v_cmp_ne_u16_e32 vcc, 0, v9
	s_and_saveexec_b64 s[6:7], vcc
	s_xor_b64 s[6:7], exec, s[6:7]
	s_cbranch_execz .LBB2096_81
; %bb.80:
	buffer_load_dword v2, off, s[0:3], 0 offset:288
	buffer_load_dword v3, off, s[0:3], 0 offset:292
	;; [unrolled: 1-line block ×4, first 2 shown]
.LBB2096_81:
	s_andn2_saveexec_b64 s[6:7], s[6:7]
	s_cbranch_execz .LBB2096_87
; %bb.82:
	s_mov_b32 s9, 0
	s_waitcnt vmcnt(3)
	v_mov_b32_e32 v2, 0
	s_waitcnt vmcnt(2)
	v_mov_b32_e32 v3, 0
	s_waitcnt vmcnt(0)
.LBB2096_83:                            ; =>This Inner Loop Header: Depth=1
	v_add_u32_e32 v4, s9, v2
	s_add_i32 s9, s9, 8
	s_cmp_lg_u32 s9, 16
	buffer_store_dword v3, v4, s[0:3], 0 offen offset:4
	buffer_store_dword v3, v4, s[0:3], 0 offen
	s_cbranch_scc1 .LBB2096_83
; %bb.84:
	s_mov_b32 s9, 0
	v_mov_b32_e32 v2, 0xb0
	v_mov_b32_e32 v3, 0xd0
	;; [unrolled: 1-line block ×3, first 2 shown]
.LBB2096_85:                            ; =>This Inner Loop Header: Depth=1
	v_add_u32_e32 v5, s9, v2
	v_add_u32_e32 v14, s9, v3
	buffer_load_dword v15, v5, s[0:3], 0 offen offset:4
	buffer_load_dword v16, v14, s[0:3], 0 offen offset:80
	buffer_load_dword v17, v5, s[0:3], 0 offen
	buffer_load_dword v18, v14, s[0:3], 0 offen offset:84
	v_add_u32_e32 v5, s9, v4
	s_add_i32 s9, s9, 8
	s_cmp_lg_u32 s9, 16
	s_waitcnt vmcnt(1)
	v_add_u32_e32 v14, v16, v17
	s_waitcnt vmcnt(0)
	v_add_u32_e32 v15, v18, v15
	buffer_store_dword v15, v5, s[0:3], 0 offen offset:4
	buffer_store_dword v14, v5, s[0:3], 0 offen
	s_cbranch_scc1 .LBB2096_85
; %bb.86:
	buffer_load_dword v2, off, s[0:3], 0
	buffer_load_dword v3, off, s[0:3], 0 offset:4
	buffer_load_dword v4, off, s[0:3], 0 offset:8
	;; [unrolled: 1-line block ×3, first 2 shown]
.LBB2096_87:
	s_or_b64 exec, exec, s[6:7]
	v_or_b32_e32 v8, v9, v8
	v_or_b32_e32 v7, v8, v7
	;; [unrolled: 1-line block ×4, first 2 shown]
	v_and_b32_e32 v1, 1, v1
	buffer_store_byte v1, off, s[0:3], 0 offset:192
	buffer_load_dword v6, off, s[0:3], 0 offset:192
	v_mbcnt_lo_u32_b32 v1, -1, 0
	s_waitcnt vmcnt(5)
	v_mov_b32_dpp v7, v2 row_shr:1 row_mask:0xf bank_mask:0xf
	v_mbcnt_hi_u32_b32 v1, -1, v1
	s_waitcnt vmcnt(4)
	buffer_store_dword v3, off, s[0:3], 0 offset:180
	buffer_store_dword v2, off, s[0:3], 0 offset:176
	s_waitcnt vmcnt(4)
	buffer_store_dword v5, off, s[0:3], 0 offset:188
	buffer_store_dword v4, off, s[0:3], 0 offset:184
	v_mov_b32_dpp v8, v3 row_shr:1 row_mask:0xf bank_mask:0xf
	v_mov_b32_dpp v9, v4 row_shr:1 row_mask:0xf bank_mask:0xf
	;; [unrolled: 1-line block ×3, first 2 shown]
	buffer_store_dword v7, off, s[0:3], 0
	buffer_store_dword v8, off, s[0:3], 0 offset:4
	buffer_store_dword v9, off, s[0:3], 0 offset:8
	;; [unrolled: 1-line block ×3, first 2 shown]
	v_and_b32_e32 v7, 15, v1
	v_cmp_ne_u32_e32 vcc, 0, v7
	s_waitcnt vmcnt(8)
	v_mov_b32_dpp v8, v6 row_shr:1 row_mask:0xf bank_mask:0xf
	buffer_store_dword v8, off, s[0:3], 0 offset:16
	s_and_saveexec_b64 s[6:7], vcc
	s_xor_b64 s[6:7], exec, s[6:7]
	s_cbranch_execz .LBB2096_95
; %bb.88:
	v_mov_b32_e32 v9, 0
	v_cmp_eq_u16_sdwa s[12:13], v6, v9 src0_sel:BYTE_0 src1_sel:DWORD
	s_and_saveexec_b64 s[10:11], s[12:13]
	s_cbranch_execz .LBB2096_94
; %bb.89:
	s_mov_b32 s9, 0
	v_mov_b32_e32 v2, 0x60
.LBB2096_90:                            ; =>This Inner Loop Header: Depth=1
	v_add_u32_e32 v3, s9, v2
	s_add_i32 s9, s9, 8
	s_cmp_lg_u32 s9, 16
	buffer_store_dword v9, v3, s[0:3], 0 offen offset:4
	buffer_store_dword v9, v3, s[0:3], 0 offen
	s_cbranch_scc1 .LBB2096_90
; %bb.91:
	s_mov_b32 s9, 0
	v_mov_b32_e32 v2, 0
	v_mov_b32_e32 v3, 0xb0
	;; [unrolled: 1-line block ×3, first 2 shown]
.LBB2096_92:                            ; =>This Inner Loop Header: Depth=1
	v_add_u32_e32 v5, s9, v2
	v_add_u32_e32 v9, s9, v3
	buffer_load_dword v14, v5, s[0:3], 0 offen offset:4
	buffer_load_dword v15, v9, s[0:3], 0 offen
	buffer_load_dword v16, v5, s[0:3], 0 offen
	buffer_load_dword v17, v9, s[0:3], 0 offen offset:4
                                        ; kill: killed $vgpr5
	v_add_u32_e32 v5, s9, v4
	s_add_i32 s9, s9, 8
	s_cmp_lg_u32 s9, 16
                                        ; kill: killed $vgpr9
	s_waitcnt vmcnt(1)
	v_add_u32_e32 v9, v15, v16
	s_waitcnt vmcnt(0)
	v_add_u32_e32 v14, v17, v14
	buffer_store_dword v14, v5, s[0:3], 0 offen offset:4
	buffer_store_dword v9, v5, s[0:3], 0 offen
	s_cbranch_scc1 .LBB2096_92
; %bb.93:
	buffer_load_dword v2, off, s[0:3], 0 offset:96
	buffer_load_dword v3, off, s[0:3], 0 offset:100
	;; [unrolled: 1-line block ×4, first 2 shown]
.LBB2096_94:
	s_or_b64 exec, exec, s[10:11]
	v_or_b32_e32 v6, v8, v6
	v_and_b32_e32 v6, 1, v6
	buffer_store_byte v6, off, s[0:3], 0 offset:192
	buffer_load_dword v6, off, s[0:3], 0 offset:192
	s_waitcnt vmcnt(4)
	buffer_store_dword v3, off, s[0:3], 0 offset:180
	buffer_store_dword v2, off, s[0:3], 0 offset:176
	s_waitcnt vmcnt(4)
	buffer_store_dword v5, off, s[0:3], 0 offset:188
	buffer_store_dword v4, off, s[0:3], 0 offset:184
.LBB2096_95:
	s_or_b64 exec, exec, s[6:7]
	v_mov_b32_dpp v9, v2 row_shr:2 row_mask:0xf bank_mask:0xf
	s_waitcnt vmcnt(4)
	v_mov_b32_dpp v8, v6 row_shr:2 row_mask:0xf bank_mask:0xf
	v_cmp_lt_u32_e32 vcc, 1, v7
	v_mov_b32_dpp v14, v3 row_shr:2 row_mask:0xf bank_mask:0xf
	v_mov_b32_dpp v15, v4 row_shr:2 row_mask:0xf bank_mask:0xf
	;; [unrolled: 1-line block ×3, first 2 shown]
	buffer_store_dword v9, off, s[0:3], 0
	buffer_store_dword v14, off, s[0:3], 0 offset:4
	buffer_store_dword v15, off, s[0:3], 0 offset:8
	;; [unrolled: 1-line block ×4, first 2 shown]
	s_and_saveexec_b64 s[10:11], vcc
	s_cbranch_execz .LBB2096_103
; %bb.96:
	v_mov_b32_e32 v9, 0
	s_mov_b32 s9, 0
	v_cmp_eq_u16_sdwa s[12:13], v6, v9 src0_sel:BYTE_0 src1_sel:DWORD
	s_and_saveexec_b64 s[6:7], s[12:13]
	s_cbranch_execz .LBB2096_102
; %bb.97:
	v_mov_b32_e32 v2, 0x60
.LBB2096_98:                            ; =>This Inner Loop Header: Depth=1
	v_add_u32_e32 v3, s9, v2
	s_add_i32 s9, s9, 8
	s_cmp_lg_u32 s9, 16
	buffer_store_dword v9, v3, s[0:3], 0 offen offset:4
	buffer_store_dword v9, v3, s[0:3], 0 offen
	s_cbranch_scc1 .LBB2096_98
; %bb.99:
	s_mov_b32 s9, 0
	v_mov_b32_e32 v2, 0
	v_mov_b32_e32 v3, 0xb0
	;; [unrolled: 1-line block ×3, first 2 shown]
.LBB2096_100:                           ; =>This Inner Loop Header: Depth=1
	v_add_u32_e32 v5, s9, v2
	v_add_u32_e32 v9, s9, v3
	buffer_load_dword v14, v5, s[0:3], 0 offen offset:4
	buffer_load_dword v15, v9, s[0:3], 0 offen
	buffer_load_dword v16, v5, s[0:3], 0 offen
	buffer_load_dword v17, v9, s[0:3], 0 offen offset:4
                                        ; kill: killed $vgpr5
	v_add_u32_e32 v5, s9, v4
	s_add_i32 s9, s9, 8
	s_cmp_lg_u32 s9, 16
                                        ; kill: killed $vgpr9
	s_waitcnt vmcnt(1)
	v_add_u32_e32 v9, v15, v16
	s_waitcnt vmcnt(0)
	v_add_u32_e32 v14, v17, v14
	buffer_store_dword v14, v5, s[0:3], 0 offen offset:4
	buffer_store_dword v9, v5, s[0:3], 0 offen
	s_cbranch_scc1 .LBB2096_100
; %bb.101:
	buffer_load_dword v2, off, s[0:3], 0 offset:96
	buffer_load_dword v3, off, s[0:3], 0 offset:100
	;; [unrolled: 1-line block ×4, first 2 shown]
.LBB2096_102:
	s_or_b64 exec, exec, s[6:7]
	v_and_b32_e32 v6, 1, v6
	v_cmp_eq_u32_e32 vcc, 1, v6
	v_and_b32_e32 v6, 1, v8
	v_cmp_eq_u32_e64 s[6:7], 1, v6
	s_or_b64 s[6:7], vcc, s[6:7]
	v_cndmask_b32_e64 v6, 0, 1, s[6:7]
	buffer_store_byte v6, off, s[0:3], 0 offset:192
	buffer_load_dword v6, off, s[0:3], 0 offset:192
	s_waitcnt vmcnt(4)
	buffer_store_dword v3, off, s[0:3], 0 offset:180
	buffer_store_dword v2, off, s[0:3], 0 offset:176
	s_waitcnt vmcnt(4)
	buffer_store_dword v5, off, s[0:3], 0 offset:188
	buffer_store_dword v4, off, s[0:3], 0 offset:184
.LBB2096_103:
	s_or_b64 exec, exec, s[10:11]
	v_mov_b32_dpp v9, v2 row_shr:4 row_mask:0xf bank_mask:0xf
	s_waitcnt vmcnt(4)
	v_mov_b32_dpp v8, v6 row_shr:4 row_mask:0xf bank_mask:0xf
	v_cmp_lt_u32_e32 vcc, 3, v7
	v_mov_b32_dpp v14, v3 row_shr:4 row_mask:0xf bank_mask:0xf
	v_mov_b32_dpp v15, v4 row_shr:4 row_mask:0xf bank_mask:0xf
	;; [unrolled: 1-line block ×3, first 2 shown]
	buffer_store_dword v9, off, s[0:3], 0
	buffer_store_dword v14, off, s[0:3], 0 offset:4
	buffer_store_dword v15, off, s[0:3], 0 offset:8
	;; [unrolled: 1-line block ×4, first 2 shown]
	s_and_saveexec_b64 s[10:11], vcc
	s_cbranch_execz .LBB2096_111
; %bb.104:
	v_mov_b32_e32 v9, 0
	s_mov_b32 s9, 0
	v_cmp_eq_u16_sdwa s[12:13], v6, v9 src0_sel:BYTE_0 src1_sel:DWORD
	s_and_saveexec_b64 s[6:7], s[12:13]
	s_cbranch_execz .LBB2096_110
; %bb.105:
	v_mov_b32_e32 v2, 0x60
.LBB2096_106:                           ; =>This Inner Loop Header: Depth=1
	v_add_u32_e32 v3, s9, v2
	s_add_i32 s9, s9, 8
	s_cmp_lg_u32 s9, 16
	buffer_store_dword v9, v3, s[0:3], 0 offen offset:4
	buffer_store_dword v9, v3, s[0:3], 0 offen
	s_cbranch_scc1 .LBB2096_106
; %bb.107:
	s_mov_b32 s9, 0
	v_mov_b32_e32 v2, 0
	v_mov_b32_e32 v3, 0xb0
	;; [unrolled: 1-line block ×3, first 2 shown]
.LBB2096_108:                           ; =>This Inner Loop Header: Depth=1
	v_add_u32_e32 v5, s9, v2
	v_add_u32_e32 v9, s9, v3
	buffer_load_dword v14, v5, s[0:3], 0 offen offset:4
	buffer_load_dword v15, v9, s[0:3], 0 offen
	buffer_load_dword v16, v5, s[0:3], 0 offen
	buffer_load_dword v17, v9, s[0:3], 0 offen offset:4
                                        ; kill: killed $vgpr5
	v_add_u32_e32 v5, s9, v4
	s_add_i32 s9, s9, 8
	s_cmp_lg_u32 s9, 16
                                        ; kill: killed $vgpr9
	s_waitcnt vmcnt(1)
	v_add_u32_e32 v9, v15, v16
	s_waitcnt vmcnt(0)
	v_add_u32_e32 v14, v17, v14
	buffer_store_dword v14, v5, s[0:3], 0 offen offset:4
	buffer_store_dword v9, v5, s[0:3], 0 offen
	s_cbranch_scc1 .LBB2096_108
; %bb.109:
	buffer_load_dword v2, off, s[0:3], 0 offset:96
	buffer_load_dword v3, off, s[0:3], 0 offset:100
	;; [unrolled: 1-line block ×4, first 2 shown]
.LBB2096_110:
	s_or_b64 exec, exec, s[6:7]
	v_and_b32_e32 v6, 1, v6
	v_cmp_eq_u32_e32 vcc, 1, v6
	v_and_b32_e32 v6, 1, v8
	v_cmp_eq_u32_e64 s[6:7], 1, v6
	s_or_b64 s[6:7], vcc, s[6:7]
	v_cndmask_b32_e64 v6, 0, 1, s[6:7]
	buffer_store_byte v6, off, s[0:3], 0 offset:192
	buffer_load_dword v6, off, s[0:3], 0 offset:192
	s_waitcnt vmcnt(4)
	buffer_store_dword v3, off, s[0:3], 0 offset:180
	buffer_store_dword v2, off, s[0:3], 0 offset:176
	s_waitcnt vmcnt(4)
	buffer_store_dword v5, off, s[0:3], 0 offset:188
	buffer_store_dword v4, off, s[0:3], 0 offset:184
.LBB2096_111:
	s_or_b64 exec, exec, s[10:11]
	v_mov_b32_dpp v9, v2 row_shr:8 row_mask:0xf bank_mask:0xf
	s_waitcnt vmcnt(4)
	v_mov_b32_dpp v8, v6 row_shr:8 row_mask:0xf bank_mask:0xf
	v_cmp_lt_u32_e32 vcc, 7, v7
	v_mov_b32_dpp v14, v3 row_shr:8 row_mask:0xf bank_mask:0xf
	v_mov_b32_dpp v15, v4 row_shr:8 row_mask:0xf bank_mask:0xf
	;; [unrolled: 1-line block ×3, first 2 shown]
	buffer_store_dword v9, off, s[0:3], 0
	buffer_store_dword v14, off, s[0:3], 0 offset:4
	buffer_store_dword v15, off, s[0:3], 0 offset:8
	;; [unrolled: 1-line block ×4, first 2 shown]
	s_and_saveexec_b64 s[10:11], vcc
	s_cbranch_execz .LBB2096_119
; %bb.112:
	v_mov_b32_e32 v7, 0
	s_mov_b32 s9, 0
	v_cmp_eq_u16_sdwa s[12:13], v6, v7 src0_sel:BYTE_0 src1_sel:DWORD
	s_and_saveexec_b64 s[6:7], s[12:13]
	s_cbranch_execz .LBB2096_118
; %bb.113:
	v_mov_b32_e32 v2, 0x60
.LBB2096_114:                           ; =>This Inner Loop Header: Depth=1
	v_add_u32_e32 v3, s9, v2
	s_add_i32 s9, s9, 8
	s_cmp_lg_u32 s9, 16
	buffer_store_dword v7, v3, s[0:3], 0 offen offset:4
	buffer_store_dword v7, v3, s[0:3], 0 offen
	s_cbranch_scc1 .LBB2096_114
; %bb.115:
	s_mov_b32 s9, 0
	v_mov_b32_e32 v2, 0
	v_mov_b32_e32 v3, 0xb0
	;; [unrolled: 1-line block ×3, first 2 shown]
.LBB2096_116:                           ; =>This Inner Loop Header: Depth=1
	v_add_u32_e32 v5, s9, v2
	v_add_u32_e32 v7, s9, v3
	buffer_load_dword v9, v5, s[0:3], 0 offen offset:4
	buffer_load_dword v14, v7, s[0:3], 0 offen
	buffer_load_dword v15, v5, s[0:3], 0 offen
	buffer_load_dword v16, v7, s[0:3], 0 offen offset:4
                                        ; kill: killed $vgpr5
	v_add_u32_e32 v5, s9, v4
	s_add_i32 s9, s9, 8
	s_cmp_lg_u32 s9, 16
                                        ; kill: killed $vgpr7
	s_waitcnt vmcnt(1)
	v_add_u32_e32 v7, v14, v15
	s_waitcnt vmcnt(0)
	v_add_u32_e32 v9, v16, v9
	buffer_store_dword v9, v5, s[0:3], 0 offen offset:4
	buffer_store_dword v7, v5, s[0:3], 0 offen
	s_cbranch_scc1 .LBB2096_116
; %bb.117:
	buffer_load_dword v2, off, s[0:3], 0 offset:96
	buffer_load_dword v3, off, s[0:3], 0 offset:100
	;; [unrolled: 1-line block ×4, first 2 shown]
.LBB2096_118:
	s_or_b64 exec, exec, s[6:7]
	v_and_b32_e32 v6, 1, v6
	v_cmp_eq_u32_e32 vcc, 1, v6
	v_and_b32_e32 v6, 1, v8
	v_cmp_eq_u32_e64 s[6:7], 1, v6
	s_or_b64 s[6:7], vcc, s[6:7]
	v_cndmask_b32_e64 v6, 0, 1, s[6:7]
	buffer_store_byte v6, off, s[0:3], 0 offset:192
	buffer_load_dword v6, off, s[0:3], 0 offset:192
	s_waitcnt vmcnt(4)
	buffer_store_dword v3, off, s[0:3], 0 offset:180
	buffer_store_dword v2, off, s[0:3], 0 offset:176
	s_waitcnt vmcnt(4)
	buffer_store_dword v5, off, s[0:3], 0 offset:188
	buffer_store_dword v4, off, s[0:3], 0 offset:184
.LBB2096_119:
	s_or_b64 exec, exec, s[10:11]
	v_mov_b32_dpp v8, v2 row_bcast:15 row_mask:0xf bank_mask:0xf
	v_mov_b32_dpp v9, v3 row_bcast:15 row_mask:0xf bank_mask:0xf
	;; [unrolled: 1-line block ×4, first 2 shown]
	s_waitcnt vmcnt(4)
	v_mov_b32_dpp v7, v6 row_bcast:15 row_mask:0xf bank_mask:0xf
	buffer_store_dword v8, off, s[0:3], 0
	buffer_store_dword v9, off, s[0:3], 0 offset:4
	buffer_store_dword v14, off, s[0:3], 0 offset:8
	;; [unrolled: 1-line block ×4, first 2 shown]
	v_and_b32_e32 v8, 16, v1
	v_cmp_ne_u32_e32 vcc, 0, v8
	s_and_saveexec_b64 s[10:11], vcc
	s_cbranch_execz .LBB2096_127
; %bb.120:
	v_mov_b32_e32 v8, 0
	s_mov_b32 s9, 0
	v_cmp_eq_u16_sdwa s[12:13], v6, v8 src0_sel:BYTE_0 src1_sel:DWORD
	s_and_saveexec_b64 s[6:7], s[12:13]
	s_cbranch_execz .LBB2096_126
; %bb.121:
	v_mov_b32_e32 v2, 0x60
.LBB2096_122:                           ; =>This Inner Loop Header: Depth=1
	v_add_u32_e32 v3, s9, v2
	s_add_i32 s9, s9, 8
	s_cmp_lg_u32 s9, 16
	buffer_store_dword v8, v3, s[0:3], 0 offen offset:4
	buffer_store_dword v8, v3, s[0:3], 0 offen
	s_cbranch_scc1 .LBB2096_122
; %bb.123:
	s_mov_b32 s9, 0
	v_mov_b32_e32 v2, 0
	v_mov_b32_e32 v3, 0xb0
	;; [unrolled: 1-line block ×3, first 2 shown]
.LBB2096_124:                           ; =>This Inner Loop Header: Depth=1
	v_add_u32_e32 v5, s9, v2
	v_add_u32_e32 v8, s9, v3
	buffer_load_dword v9, v5, s[0:3], 0 offen offset:4
	buffer_load_dword v14, v8, s[0:3], 0 offen
	buffer_load_dword v15, v5, s[0:3], 0 offen
	buffer_load_dword v16, v8, s[0:3], 0 offen offset:4
                                        ; kill: killed $vgpr5
	v_add_u32_e32 v5, s9, v4
	s_add_i32 s9, s9, 8
	s_cmp_lg_u32 s9, 16
                                        ; kill: killed $vgpr8
	s_waitcnt vmcnt(1)
	v_add_u32_e32 v8, v14, v15
	s_waitcnt vmcnt(0)
	v_add_u32_e32 v9, v16, v9
	buffer_store_dword v9, v5, s[0:3], 0 offen offset:4
	buffer_store_dword v8, v5, s[0:3], 0 offen
	s_cbranch_scc1 .LBB2096_124
; %bb.125:
	buffer_load_dword v2, off, s[0:3], 0 offset:96
	buffer_load_dword v3, off, s[0:3], 0 offset:100
	;; [unrolled: 1-line block ×4, first 2 shown]
.LBB2096_126:
	s_or_b64 exec, exec, s[6:7]
	v_and_b32_e32 v6, 1, v6
	v_cmp_eq_u32_e32 vcc, 1, v6
	v_and_b32_e32 v6, 1, v7
	v_cmp_eq_u32_e64 s[6:7], 1, v6
	s_or_b64 s[6:7], vcc, s[6:7]
	v_cndmask_b32_e64 v6, 0, 1, s[6:7]
	buffer_store_byte v6, off, s[0:3], 0 offset:192
	buffer_load_dword v6, off, s[0:3], 0 offset:192
	s_waitcnt vmcnt(4)
	buffer_store_dword v3, off, s[0:3], 0 offset:180
	buffer_store_dword v2, off, s[0:3], 0 offset:176
	s_waitcnt vmcnt(4)
	buffer_store_dword v5, off, s[0:3], 0 offset:188
	buffer_store_dword v4, off, s[0:3], 0 offset:184
.LBB2096_127:
	s_or_b64 exec, exec, s[10:11]
	v_mov_b32_dpp v8, v2 row_bcast:31 row_mask:0xf bank_mask:0xf
	s_waitcnt vmcnt(4)
	v_mov_b32_dpp v7, v6 row_bcast:31 row_mask:0xf bank_mask:0xf
	v_cmp_lt_u32_e32 vcc, 31, v1
	v_mov_b32_dpp v9, v3 row_bcast:31 row_mask:0xf bank_mask:0xf
	v_mov_b32_dpp v14, v4 row_bcast:31 row_mask:0xf bank_mask:0xf
	;; [unrolled: 1-line block ×3, first 2 shown]
	buffer_store_dword v8, off, s[0:3], 0
	buffer_store_dword v9, off, s[0:3], 0 offset:4
	buffer_store_dword v14, off, s[0:3], 0 offset:8
	;; [unrolled: 1-line block ×4, first 2 shown]
	s_and_saveexec_b64 s[10:11], vcc
	s_cbranch_execz .LBB2096_135
; %bb.128:
	v_mov_b32_e32 v8, 0
	s_mov_b32 s9, 0
	v_cmp_eq_u16_sdwa s[12:13], v6, v8 src0_sel:BYTE_0 src1_sel:DWORD
	s_and_saveexec_b64 s[6:7], s[12:13]
	s_cbranch_execz .LBB2096_134
; %bb.129:
	v_mov_b32_e32 v2, 0x60
.LBB2096_130:                           ; =>This Inner Loop Header: Depth=1
	v_add_u32_e32 v3, s9, v2
	s_add_i32 s9, s9, 8
	s_cmp_lg_u32 s9, 16
	buffer_store_dword v8, v3, s[0:3], 0 offen offset:4
	buffer_store_dword v8, v3, s[0:3], 0 offen
	s_cbranch_scc1 .LBB2096_130
; %bb.131:
	s_mov_b32 s9, 0
	v_mov_b32_e32 v2, 0
	v_mov_b32_e32 v3, 0xb0
	;; [unrolled: 1-line block ×3, first 2 shown]
.LBB2096_132:                           ; =>This Inner Loop Header: Depth=1
	v_add_u32_e32 v5, s9, v2
	v_add_u32_e32 v8, s9, v3
	buffer_load_dword v9, v5, s[0:3], 0 offen offset:4
	buffer_load_dword v14, v8, s[0:3], 0 offen
	buffer_load_dword v15, v5, s[0:3], 0 offen
	buffer_load_dword v16, v8, s[0:3], 0 offen offset:4
                                        ; kill: killed $vgpr5
	v_add_u32_e32 v5, s9, v4
	s_add_i32 s9, s9, 8
	s_cmp_lg_u32 s9, 16
                                        ; kill: killed $vgpr8
	s_waitcnt vmcnt(1)
	v_add_u32_e32 v8, v14, v15
	s_waitcnt vmcnt(0)
	v_add_u32_e32 v9, v16, v9
	buffer_store_dword v9, v5, s[0:3], 0 offen offset:4
	buffer_store_dword v8, v5, s[0:3], 0 offen
	s_cbranch_scc1 .LBB2096_132
; %bb.133:
	buffer_load_dword v2, off, s[0:3], 0 offset:96
	buffer_load_dword v3, off, s[0:3], 0 offset:100
	;; [unrolled: 1-line block ×4, first 2 shown]
.LBB2096_134:
	s_or_b64 exec, exec, s[6:7]
	v_and_b32_e32 v6, 1, v6
	v_cmp_eq_u32_e32 vcc, 1, v6
	v_and_b32_e32 v6, 1, v7
	v_cmp_eq_u32_e64 s[6:7], 1, v6
	s_or_b64 s[6:7], vcc, s[6:7]
	v_cndmask_b32_e64 v6, 0, 1, s[6:7]
	s_waitcnt vmcnt(2)
	buffer_store_dword v3, off, s[0:3], 0 offset:180
	buffer_store_dword v2, off, s[0:3], 0 offset:176
	s_waitcnt vmcnt(2)
	buffer_store_dword v5, off, s[0:3], 0 offset:188
	buffer_store_dword v4, off, s[0:3], 0 offset:184
	buffer_store_byte v6, off, s[0:3], 0 offset:192
.LBB2096_135:
	s_or_b64 exec, exec, s[10:11]
	v_or_b32_e32 v8, 63, v0
	v_lshrrev_b32_e32 v7, 6, v0
	v_cmp_eq_u32_e32 vcc, v8, v0
	s_and_saveexec_b64 s[6:7], vcc
	s_cbranch_execz .LBB2096_137
; %bb.136:
	v_mul_u32_u24_e32 v8, 20, v7
	ds_write2_b32 v8, v2, v3 offset1:1
	ds_write2_b32 v8, v4, v5 offset0:2 offset1:3
	ds_write_b8 v8, v6 offset:16
.LBB2096_137:
	s_or_b64 exec, exec, s[6:7]
	v_cmp_gt_u32_e32 vcc, 4, v0
	s_waitcnt lgkmcnt(0)
	s_barrier
	s_and_saveexec_b64 s[10:11], vcc
	s_cbranch_execz .LBB2096_155
; %bb.138:
	v_mul_u32_u24_e32 v6, 20, v0
	ds_read_b32 v8, v6 offset:16
	ds_read2_b32 v[2:3], v6 offset0:2 offset1:3
	ds_read2_b32 v[4:5], v6 offset1:1
	v_and_b32_e32 v9, 3, v1
	v_cmp_ne_u32_e32 vcc, 0, v9
	s_waitcnt lgkmcnt(2)
	v_mov_b32_dpp v14, v8 row_shr:1 row_mask:0xf bank_mask:0xf
	s_waitcnt lgkmcnt(1)
	v_mov_b32_dpp v17, v2 row_shr:1 row_mask:0xf bank_mask:0xf
	;; [unrolled: 2-line block ×3, first 2 shown]
	buffer_store_dword v8, off, s[0:3], 0 offset:112
	buffer_store_dword v3, off, s[0:3], 0 offset:108
	;; [unrolled: 1-line block ×5, first 2 shown]
	v_mov_b32_dpp v16, v5 row_shr:1 row_mask:0xf bank_mask:0xf
	v_mov_b32_dpp v18, v3 row_shr:1 row_mask:0xf bank_mask:0xf
	buffer_store_dword v15, off, s[0:3], 0
	buffer_store_dword v16, off, s[0:3], 0 offset:4
	buffer_store_dword v17, off, s[0:3], 0 offset:8
	;; [unrolled: 1-line block ×4, first 2 shown]
	s_and_saveexec_b64 s[6:7], vcc
	s_cbranch_execz .LBB2096_146
; %bb.139:
	v_mov_b32_e32 v15, 0
	v_cmp_eq_u16_sdwa s[14:15], v8, v15 src0_sel:BYTE_0 src1_sel:DWORD
	s_and_saveexec_b64 s[12:13], s[14:15]
	s_cbranch_execz .LBB2096_145
; %bb.140:
	s_mov_b32 s9, 0
	v_mov_b32_e32 v2, 0x74
.LBB2096_141:                           ; =>This Inner Loop Header: Depth=1
	v_add_u32_e32 v3, s9, v2
	s_add_i32 s9, s9, 8
	s_cmp_lg_u32 s9, 16
	buffer_store_dword v15, v3, s[0:3], 0 offen offset:4
	buffer_store_dword v15, v3, s[0:3], 0 offen
	s_cbranch_scc1 .LBB2096_141
; %bb.142:
	s_mov_b32 s9, 0
	v_mov_b32_e32 v2, 0
	v_mov_b32_e32 v3, 0x60
	;; [unrolled: 1-line block ×3, first 2 shown]
.LBB2096_143:                           ; =>This Inner Loop Header: Depth=1
	v_add_u32_e32 v5, s9, v2
	v_add_u32_e32 v15, s9, v3
	buffer_load_dword v16, v5, s[0:3], 0 offen offset:4
	buffer_load_dword v17, v15, s[0:3], 0 offen
	buffer_load_dword v18, v5, s[0:3], 0 offen
	buffer_load_dword v19, v15, s[0:3], 0 offen offset:4
                                        ; kill: killed $vgpr5
	v_add_u32_e32 v5, s9, v4
	s_add_i32 s9, s9, 8
	s_cmp_lg_u32 s9, 16
                                        ; kill: killed $vgpr15
	s_waitcnt vmcnt(1)
	v_add_u32_e32 v15, v17, v18
	s_waitcnt vmcnt(0)
	v_add_u32_e32 v16, v19, v16
	buffer_store_dword v16, v5, s[0:3], 0 offen offset:4
	buffer_store_dword v15, v5, s[0:3], 0 offen
	s_cbranch_scc1 .LBB2096_143
; %bb.144:
	buffer_load_dword v4, off, s[0:3], 0 offset:116
	buffer_load_dword v5, off, s[0:3], 0 offset:120
	;; [unrolled: 1-line block ×4, first 2 shown]
.LBB2096_145:
	s_or_b64 exec, exec, s[12:13]
	v_or_b32_e32 v8, v14, v8
	v_and_b32_e32 v8, 1, v8
	buffer_store_byte v8, off, s[0:3], 0 offset:112
	buffer_load_dword v8, off, s[0:3], 0 offset:112
	s_waitcnt vmcnt(4)
	buffer_store_dword v5, off, s[0:3], 0 offset:100
	buffer_store_dword v4, off, s[0:3], 0 offset:96
	s_waitcnt vmcnt(4)
	buffer_store_dword v3, off, s[0:3], 0 offset:108
	buffer_store_dword v2, off, s[0:3], 0 offset:104
.LBB2096_146:
	s_or_b64 exec, exec, s[6:7]
	v_mov_b32_dpp v15, v4 row_shr:2 row_mask:0xf bank_mask:0xf
	s_waitcnt vmcnt(4)
	v_mov_b32_dpp v14, v8 row_shr:2 row_mask:0xf bank_mask:0xf
	v_cmp_lt_u32_e32 vcc, 1, v9
	v_mov_b32_dpp v16, v5 row_shr:2 row_mask:0xf bank_mask:0xf
	v_mov_b32_dpp v17, v2 row_shr:2 row_mask:0xf bank_mask:0xf
	;; [unrolled: 1-line block ×3, first 2 shown]
	buffer_store_dword v15, off, s[0:3], 0
	buffer_store_dword v16, off, s[0:3], 0 offset:4
	buffer_store_dword v17, off, s[0:3], 0 offset:8
	;; [unrolled: 1-line block ×4, first 2 shown]
	s_and_saveexec_b64 s[12:13], vcc
	s_cbranch_execz .LBB2096_154
; %bb.147:
	v_mov_b32_e32 v9, 0
	s_mov_b32 s9, 0
	v_cmp_eq_u16_sdwa s[14:15], v8, v9 src0_sel:BYTE_0 src1_sel:DWORD
	s_and_saveexec_b64 s[6:7], s[14:15]
	s_cbranch_execz .LBB2096_153
; %bb.148:
	v_mov_b32_e32 v2, 0x74
.LBB2096_149:                           ; =>This Inner Loop Header: Depth=1
	v_add_u32_e32 v3, s9, v2
	s_add_i32 s9, s9, 8
	s_cmp_lg_u32 s9, 16
	buffer_store_dword v9, v3, s[0:3], 0 offen offset:4
	buffer_store_dword v9, v3, s[0:3], 0 offen
	s_cbranch_scc1 .LBB2096_149
; %bb.150:
	s_mov_b32 s9, 0
	v_mov_b32_e32 v2, 0
	v_mov_b32_e32 v3, 0x60
	;; [unrolled: 1-line block ×3, first 2 shown]
.LBB2096_151:                           ; =>This Inner Loop Header: Depth=1
	v_add_u32_e32 v5, s9, v2
	v_add_u32_e32 v9, s9, v3
	buffer_load_dword v15, v5, s[0:3], 0 offen offset:4
	buffer_load_dword v16, v9, s[0:3], 0 offen
	buffer_load_dword v17, v5, s[0:3], 0 offen
	buffer_load_dword v18, v9, s[0:3], 0 offen offset:4
                                        ; kill: killed $vgpr5
	v_add_u32_e32 v5, s9, v4
	s_add_i32 s9, s9, 8
	s_cmp_lg_u32 s9, 16
                                        ; kill: killed $vgpr9
	s_waitcnt vmcnt(1)
	v_add_u32_e32 v9, v16, v17
	s_waitcnt vmcnt(0)
	v_add_u32_e32 v15, v18, v15
	buffer_store_dword v15, v5, s[0:3], 0 offen offset:4
	buffer_store_dword v9, v5, s[0:3], 0 offen
	s_cbranch_scc1 .LBB2096_151
; %bb.152:
	buffer_load_dword v4, off, s[0:3], 0 offset:116
	buffer_load_dword v5, off, s[0:3], 0 offset:120
	;; [unrolled: 1-line block ×4, first 2 shown]
.LBB2096_153:
	s_or_b64 exec, exec, s[6:7]
	v_and_b32_e32 v8, 1, v8
	v_cmp_eq_u32_e32 vcc, 1, v8
	v_and_b32_e32 v8, 1, v14
	v_cmp_eq_u32_e64 s[6:7], 1, v8
	s_or_b64 s[6:7], vcc, s[6:7]
	v_cndmask_b32_e64 v8, 0, 1, s[6:7]
	s_waitcnt vmcnt(2)
	buffer_store_dword v5, off, s[0:3], 0 offset:100
	buffer_store_dword v4, off, s[0:3], 0 offset:96
	s_waitcnt vmcnt(2)
	buffer_store_dword v3, off, s[0:3], 0 offset:108
	buffer_store_dword v2, off, s[0:3], 0 offset:104
.LBB2096_154:
	s_or_b64 exec, exec, s[12:13]
	buffer_load_dword v2, off, s[0:3], 0 offset:104
	buffer_load_dword v3, off, s[0:3], 0 offset:108
	;; [unrolled: 1-line block ×4, first 2 shown]
	s_waitcnt vmcnt(2)
	ds_write2_b32 v6, v2, v3 offset0:2 offset1:3
	s_waitcnt vmcnt(0)
	ds_write2_b32 v6, v4, v5 offset1:1
	ds_write_b8 v6, v8 offset:16
.LBB2096_155:
	s_or_b64 exec, exec, s[10:11]
	v_mov_b32_e32 v2, 0
	s_mov_b32 s6, 0
	v_mov_b32_e32 v3, 0
	s_waitcnt lgkmcnt(0)
	s_barrier
	buffer_store_dword v2, off, s[0:3], 0 offset:12
	buffer_store_dword v2, off, s[0:3], 0 offset:8
	buffer_store_dword v2, off, s[0:3], 0 offset:4
	buffer_store_dword v2, off, s[0:3], 0
	buffer_store_dword v2, off, s[0:3], 0 offset:16
.LBB2096_156:                           ; =>This Inner Loop Header: Depth=1
	v_add_u32_e32 v4, s6, v3
	s_add_i32 s6, s6, 8
	s_cmp_lg_u32 s6, 16
	buffer_store_dword v2, v4, s[0:3], 0 offen offset:4
	buffer_store_dword v2, v4, s[0:3], 0 offen
	s_cbranch_scc1 .LBB2096_156
; %bb.157:
	v_cmp_gt_u32_e32 vcc, 64, v0
	v_cmp_lt_u32_e64 s[6:7], 63, v0
                                        ; implicit-def: $vgpr2_vgpr3
                                        ; implicit-def: $vgpr4_vgpr5
                                        ; implicit-def: $vgpr6
	s_and_saveexec_b64 s[10:11], s[6:7]
	s_xor_b64 s[10:11], exec, s[10:11]
	s_cbranch_execz .LBB2096_167
; %bb.158:
	buffer_load_ubyte v8, off, s[0:3], 0 offset:192
	v_not_b32_e32 v2, 19
	v_mad_u32_u24 v4, v7, 20, v2
	ds_read2_b32 v[2:3], v4 offset0:2 offset1:3
	ds_read_u8 v6, v4 offset:16
	ds_read2_b32 v[4:5], v4 offset1:1
	s_waitcnt lgkmcnt(2)
	buffer_store_dword v3, off, s[0:3], 0 offset:12
	buffer_store_dword v2, off, s[0:3], 0 offset:8
	s_waitcnt lgkmcnt(0)
	buffer_store_dword v5, off, s[0:3], 0 offset:4
	buffer_store_dword v4, off, s[0:3], 0
                                        ; implicit-def: $vgpr2_vgpr3
                                        ; implicit-def: $vgpr4_vgpr5
	s_waitcnt vmcnt(4)
	v_cmp_ne_u16_e64 s[6:7], 0, v8
	s_and_saveexec_b64 s[12:13], s[6:7]
	s_xor_b64 s[6:7], exec, s[12:13]
	s_cbranch_execz .LBB2096_160
; %bb.159:
	buffer_load_dword v2, off, s[0:3], 0 offset:176
	buffer_load_dword v3, off, s[0:3], 0 offset:180
	;; [unrolled: 1-line block ×4, first 2 shown]
.LBB2096_160:
	s_andn2_saveexec_b64 s[6:7], s[6:7]
	s_cbranch_execz .LBB2096_166
; %bb.161:
	s_mov_b32 s9, 0
	s_waitcnt vmcnt(3)
	v_mov_b32_e32 v2, 0x60
	s_waitcnt vmcnt(2)
	v_mov_b32_e32 v3, 0
	s_waitcnt vmcnt(0)
.LBB2096_162:                           ; =>This Inner Loop Header: Depth=1
	v_add_u32_e32 v4, s9, v2
	s_add_i32 s9, s9, 8
	s_cmp_lg_u32 s9, 16
	buffer_store_dword v3, v4, s[0:3], 0 offen offset:4
	buffer_store_dword v3, v4, s[0:3], 0 offen
	s_cbranch_scc1 .LBB2096_162
; %bb.163:
	s_mov_b32 s9, 0
	v_mov_b32_e32 v2, 0
	v_mov_b32_e32 v3, 0xb0
	;; [unrolled: 1-line block ×3, first 2 shown]
.LBB2096_164:                           ; =>This Inner Loop Header: Depth=1
	v_add_u32_e32 v5, s9, v2
	v_add_u32_e32 v7, s9, v3
	buffer_load_dword v9, v5, s[0:3], 0 offen offset:4
	buffer_load_dword v14, v7, s[0:3], 0 offen
	buffer_load_dword v15, v5, s[0:3], 0 offen
	buffer_load_dword v16, v7, s[0:3], 0 offen offset:4
                                        ; kill: killed $vgpr5
	v_add_u32_e32 v5, s9, v4
	s_add_i32 s9, s9, 8
	s_cmp_lg_u32 s9, 16
                                        ; kill: killed $vgpr7
	s_waitcnt vmcnt(1)
	v_add_u32_e32 v7, v14, v15
	s_waitcnt vmcnt(0)
	v_add_u32_e32 v9, v16, v9
	buffer_store_dword v9, v5, s[0:3], 0 offen offset:4
	buffer_store_dword v7, v5, s[0:3], 0 offen
	s_cbranch_scc1 .LBB2096_164
; %bb.165:
	buffer_load_dword v2, off, s[0:3], 0 offset:96
	buffer_load_dword v3, off, s[0:3], 0 offset:100
	buffer_load_dword v4, off, s[0:3], 0 offset:104
	buffer_load_dword v5, off, s[0:3], 0 offset:108
.LBB2096_166:
	s_or_b64 exec, exec, s[6:7]
	v_or_b32_e32 v7, v8, v6
	v_and_b32_e32 v7, 1, v7
	buffer_store_byte v7, off, s[0:3], 0 offset:192
.LBB2096_167:
	s_andn2_saveexec_b64 s[6:7], s[10:11]
	s_cbranch_execz .LBB2096_169
; %bb.168:
	buffer_load_dword v2, off, s[0:3], 0 offset:176
	buffer_load_dword v3, off, s[0:3], 0 offset:180
	;; [unrolled: 1-line block ×4, first 2 shown]
	v_mov_b32_e32 v6, 0
.LBB2096_169:
	s_or_b64 exec, exec, s[6:7]
	buffer_load_dword v7, off, s[0:3], 0 offset:192
	v_add_u32_e32 v8, -1, v1
	v_and_b32_e32 v9, 64, v1
	v_cmp_lt_i32_e64 s[6:7], v8, v9
	v_cndmask_b32_e64 v8, v8, v1, s[6:7]
	v_lshlrev_b32_e32 v8, 2, v8
	s_waitcnt vmcnt(4)
	ds_bpermute_b32 v2, v8, v2
	s_waitcnt vmcnt(3)
	ds_bpermute_b32 v3, v8, v3
	;; [unrolled: 2-line block ×4, first 2 shown]
	v_cmp_eq_u32_e64 s[6:7], 0, v1
	s_waitcnt vmcnt(0)
	ds_bpermute_b32 v7, v8, v7
	s_waitcnt lgkmcnt(4)
	buffer_store_dword v2, off, s[0:3], 0 offset:176
	s_waitcnt lgkmcnt(3)
	buffer_store_dword v3, off, s[0:3], 0 offset:180
	;; [unrolled: 2-line block ×4, first 2 shown]
	s_waitcnt lgkmcnt(0)
	buffer_store_byte v7, off, s[0:3], 0 offset:192
	s_and_saveexec_b64 s[10:11], s[6:7]
	s_cbranch_execz .LBB2096_171
; %bb.170:
	buffer_load_dword v2, off, s[0:3], 0 offset:12
	buffer_load_dword v3, off, s[0:3], 0 offset:8
	;; [unrolled: 1-line block ×3, first 2 shown]
	buffer_load_dword v5, off, s[0:3], 0
	s_waitcnt vmcnt(3)
	buffer_store_dword v2, off, s[0:3], 0 offset:188
	s_waitcnt vmcnt(3)
	buffer_store_dword v3, off, s[0:3], 0 offset:184
	;; [unrolled: 2-line block ×4, first 2 shown]
	buffer_store_byte v6, off, s[0:3], 0 offset:192
.LBB2096_171:
	s_or_b64 exec, exec, s[10:11]
	s_and_saveexec_b64 s[12:13], vcc
	s_cbranch_execz .LBB2096_316
; %bb.172:
	v_mov_b32_e32 v6, 0
	ds_read2_b32 v[2:3], v6 offset0:15 offset1:16
	ds_read2_b32 v[4:5], v6 offset0:17 offset1:18
	ds_read_b32 v7, v6 offset:76
	s_waitcnt lgkmcnt(2)
	buffer_store_dword v3, off, s[0:3], 0 offset:160
	buffer_store_dword v2, off, s[0:3], 0 offset:156
	s_waitcnt lgkmcnt(1)
	buffer_store_dword v5, off, s[0:3], 0 offset:168
	buffer_store_dword v4, off, s[0:3], 0 offset:164
	s_waitcnt lgkmcnt(0)
	buffer_store_dword v7, off, s[0:3], 0 offset:172
	s_and_saveexec_b64 s[10:11], s[6:7]
	s_cbranch_execz .LBB2096_174
; %bb.173:
	s_add_i32 s9, s8, 64
	s_mul_i32 s14, s9, 20
	s_mul_hi_u32 s15, s9, 20
	s_add_u32 s14, s20, s14
	s_addc_u32 s15, s21, s15
	global_store_dwordx4 v6, v[2:5], s[14:15]
	global_store_byte v6, v7, s[14:15] offset:16
	v_mov_b32_e32 v2, s9
	v_mov_b32_e32 v3, 1
	s_waitcnt vmcnt(0)
	buffer_wbinvl1_vol
	global_store_byte v2, v3, s[24:25]
.LBB2096_174:
	s_or_b64 exec, exec, s[10:11]
	s_mov_b32 s9, 0
	v_mov_b32_e32 v2, 0x88
	buffer_store_dword v6, off, s[0:3], 0 offset:148
	buffer_store_dword v6, off, s[0:3], 0 offset:144
	;; [unrolled: 1-line block ×5, first 2 shown]
.LBB2096_175:                           ; =>This Inner Loop Header: Depth=1
	v_add_u32_e32 v3, s9, v2
	s_add_i32 s9, s9, 8
	s_cmp_lg_u32 s9, 16
	buffer_store_dword v6, v3, s[0:3], 0 offen offset:4
	buffer_store_dword v6, v3, s[0:3], 0 offen
	s_cbranch_scc1 .LBB2096_175
; %bb.176:
	s_mov_b32 s9, 0
	v_mov_b32_e32 v2, 0
	v_mov_b32_e32 v3, 0x60
	buffer_store_byte v2, off, s[0:3], 0 offset:152
	buffer_store_dword v2, off, s[0:3], 0 offset:108
	buffer_store_dword v2, off, s[0:3], 0 offset:104
	;; [unrolled: 1-line block ×5, first 2 shown]
.LBB2096_177:                           ; =>This Inner Loop Header: Depth=1
	v_add_u32_e32 v4, s9, v3
	s_add_i32 s9, s9, 8
	s_cmp_lg_u32 s9, 16
	buffer_store_dword v2, v4, s[0:3], 0 offen offset:4
	buffer_store_dword v2, v4, s[0:3], 0 offen
	s_cbranch_scc1 .LBB2096_177
; %bb.178:
	v_xad_u32 v6, v1, -1, s8
	v_mov_b32_e32 v2, 0
	buffer_store_byte v2, off, s[0:3], 0 offset:112
	v_add_u32_e32 v2, 64, v6
	global_load_ubyte v7, v2, s[24:25] glc
	s_waitcnt vmcnt(0)
	v_cmp_eq_u16_e32 vcc, 0, v7
	s_and_saveexec_b64 s[10:11], vcc
	s_cbranch_execz .LBB2096_184
; %bb.179:
	v_mov_b32_e32 v3, s25
	v_add_co_u32_e32 v4, vcc, s24, v2
	v_addc_co_u32_e32 v5, vcc, 0, v3, vcc
	s_mov_b32 s9, 1
	s_mov_b64 s[14:15], 0
.LBB2096_180:                           ; =>This Loop Header: Depth=1
                                        ;     Child Loop BB2096_181 Depth 2
	s_max_u32 s16, s9, 1
.LBB2096_181:                           ;   Parent Loop BB2096_180 Depth=1
                                        ; =>  This Inner Loop Header: Depth=2
	s_add_i32 s16, s16, -1
	s_cmp_eq_u32 s16, 0
	s_sleep 1
	s_cbranch_scc0 .LBB2096_181
; %bb.182:                              ;   in Loop: Header=BB2096_180 Depth=1
	global_load_ubyte v7, v[4:5], off glc
	s_cmp_lt_u32 s9, 32
	s_cselect_b64 s[16:17], -1, 0
	s_cmp_lg_u64 s[16:17], 0
	s_addc_u32 s9, s9, 0
	s_waitcnt vmcnt(0)
	v_cmp_ne_u16_e32 vcc, 0, v7
	s_or_b64 s[14:15], vcc, s[14:15]
	s_andn2_b64 exec, exec, s[14:15]
	s_cbranch_execnz .LBB2096_180
; %bb.183:
	s_or_b64 exec, exec, s[14:15]
.LBB2096_184:
	s_or_b64 exec, exec, s[10:11]
	v_mov_b32_e32 v3, s23
	v_mov_b32_e32 v4, s21
	v_cmp_eq_u16_e32 vcc, 1, v7
	v_cndmask_b32_e32 v5, v3, v4, vcc
	v_mov_b32_e32 v3, s22
	v_mov_b32_e32 v4, s20
	v_cndmask_b32_e32 v4, v3, v4, vcc
	v_mad_u64_u32 v[8:9], s[10:11], v2, 20, v[4:5]
	buffer_wbinvl1_vol
	global_load_dwordx4 v[2:5], v[8:9], off
	global_load_ubyte v14, v[8:9], off offset:16
                                        ; kill: killed $vgpr8_vgpr9
	v_mov_b32_e32 v8, 0
	s_mov_b32 s9, 0
	v_mov_b32_e32 v9, 0
	buffer_store_dword v8, off, s[0:3], 0 offset:16
	s_waitcnt vmcnt(2)
	buffer_store_dword v5, off, s[0:3], 0 offset:108
	buffer_store_dword v4, off, s[0:3], 0 offset:104
	;; [unrolled: 1-line block ×4, first 2 shown]
	s_waitcnt vmcnt(5)
	buffer_store_byte v14, off, s[0:3], 0 offset:112
	buffer_store_dword v3, off, s[0:3], 0 offset:140
	buffer_store_dword v2, off, s[0:3], 0 offset:136
	;; [unrolled: 1-line block ×4, first 2 shown]
	buffer_store_byte v14, off, s[0:3], 0 offset:152
.LBB2096_185:                           ; =>This Inner Loop Header: Depth=1
	v_add_u32_e32 v14, s9, v9
	s_add_i32 s9, s9, 8
	s_cmp_lg_u32 s9, 16
	buffer_store_dword v8, v14, s[0:3], 0 offen offset:4
	buffer_store_dword v8, v14, s[0:3], 0 offen
	s_cbranch_scc1 .LBB2096_185
; %bb.186:
	buffer_load_dword v25, off, s[0:3], 0 offset:152
	v_lshlrev_b64 v[8:9], v1, -1
	v_cmp_eq_u16_e32 vcc, 2, v7
	v_and_b32_e32 v14, 63, v1
	v_and_b32_e32 v15, vcc_hi, v9
	v_and_b32_e32 v16, vcc_lo, v8
	v_cmp_ne_u32_e32 vcc, 63, v14
	v_addc_co_u32_e32 v17, vcc, 0, v1, vcc
	v_or_b32_e32 v18, 0x80000000, v15
	v_lshlrev_b32_e32 v15, 2, v17
	v_ffbl_b32_e32 v17, v18
	v_ffbl_b32_e32 v16, v16
	v_add_u32_e32 v17, 32, v17
	ds_bpermute_b32 v18, v15, v2
	v_min_u32_e32 v26, v16, v17
	ds_bpermute_b32 v19, v15, v3
	ds_bpermute_b32 v20, v15, v4
	;; [unrolled: 1-line block ×3, first 2 shown]
	v_cmp_lt_u32_e32 vcc, v14, v26
	s_waitcnt lgkmcnt(3)
	buffer_store_dword v18, off, s[0:3], 0
	s_waitcnt lgkmcnt(2)
	buffer_store_dword v19, off, s[0:3], 0 offset:4
	s_waitcnt lgkmcnt(1)
	buffer_store_dword v20, off, s[0:3], 0 offset:8
	;; [unrolled: 2-line block ×3, first 2 shown]
	s_waitcnt vmcnt(4)
	ds_bpermute_b32 v16, v15, v25
	s_and_saveexec_b64 s[10:11], vcc
	s_cbranch_execz .LBB2096_194
; %bb.187:
	v_mov_b32_e32 v17, 0
	v_cmp_eq_u16_sdwa s[16:17], v25, v17 src0_sel:BYTE_0 src1_sel:DWORD
	s_and_saveexec_b64 s[14:15], s[16:17]
	s_cbranch_execz .LBB2096_193
; %bb.188:
	s_mov_b32 s9, 0
	v_mov_b32_e32 v2, 0x74
.LBB2096_189:                           ; =>This Inner Loop Header: Depth=1
	v_add_u32_e32 v3, s9, v2
	s_add_i32 s9, s9, 8
	s_cmp_lg_u32 s9, 16
	buffer_store_dword v17, v3, s[0:3], 0 offen offset:4
	buffer_store_dword v17, v3, s[0:3], 0 offen
	s_cbranch_scc1 .LBB2096_189
; %bb.190:
	s_mov_b32 s9, 0
	v_mov_b32_e32 v2, 0
	v_mov_b32_e32 v3, 0x88
	;; [unrolled: 1-line block ×3, first 2 shown]
.LBB2096_191:                           ; =>This Inner Loop Header: Depth=1
	v_add_u32_e32 v5, s9, v2
	v_add_u32_e32 v17, s9, v3
	buffer_load_dword v18, v5, s[0:3], 0 offen offset:4
	buffer_load_dword v19, v17, s[0:3], 0 offen
	buffer_load_dword v20, v5, s[0:3], 0 offen
	buffer_load_dword v21, v17, s[0:3], 0 offen offset:4
                                        ; kill: killed $vgpr5
	v_add_u32_e32 v5, s9, v4
	s_add_i32 s9, s9, 8
	s_cmp_lg_u32 s9, 16
                                        ; kill: killed $vgpr17
	s_waitcnt vmcnt(1)
	v_add_u32_e32 v17, v19, v20
	s_waitcnt vmcnt(0)
	v_add_u32_e32 v18, v21, v18
	buffer_store_dword v18, v5, s[0:3], 0 offen offset:4
	buffer_store_dword v17, v5, s[0:3], 0 offen
	s_cbranch_scc1 .LBB2096_191
; %bb.192:
	buffer_load_dword v2, off, s[0:3], 0 offset:116
	buffer_load_dword v3, off, s[0:3], 0 offset:120
	;; [unrolled: 1-line block ×4, first 2 shown]
.LBB2096_193:
	s_or_b64 exec, exec, s[14:15]
	s_waitcnt lgkmcnt(0)
	v_or_b32_e32 v16, v16, v25
	v_and_b32_e32 v16, 1, v16
	buffer_store_byte v16, off, s[0:3], 0 offset:152
	buffer_load_dword v25, off, s[0:3], 0 offset:152
	s_waitcnt vmcnt(4)
	buffer_store_dword v3, off, s[0:3], 0 offset:140
	buffer_store_dword v2, off, s[0:3], 0 offset:136
	s_waitcnt vmcnt(4)
	buffer_store_dword v5, off, s[0:3], 0 offset:148
	buffer_store_dword v4, off, s[0:3], 0 offset:144
.LBB2096_194:
	s_or_b64 exec, exec, s[10:11]
	v_cmp_gt_u32_e32 vcc, 62, v14
	v_cndmask_b32_e64 v17, 0, 1, vcc
	v_lshlrev_b32_e32 v17, 1, v17
	v_add_lshl_u32 v17, v17, v1, 2
	ds_bpermute_b32 v19, v17, v2
	s_waitcnt vmcnt(4)
	ds_bpermute_b32 v18, v17, v25
	ds_bpermute_b32 v20, v17, v3
	;; [unrolled: 1-line block ×3, first 2 shown]
	s_waitcnt lgkmcnt(4)
	v_add_u32_e32 v16, 2, v14
	ds_bpermute_b32 v22, v17, v5
	v_cmp_le_u32_e32 vcc, v16, v26
	s_waitcnt lgkmcnt(4)
	buffer_store_dword v19, off, s[0:3], 0
	s_waitcnt lgkmcnt(2)
	buffer_store_dword v20, off, s[0:3], 0 offset:4
	s_waitcnt lgkmcnt(1)
	buffer_store_dword v21, off, s[0:3], 0 offset:8
	;; [unrolled: 2-line block ×3, first 2 shown]
	s_and_saveexec_b64 s[14:15], vcc
	s_cbranch_execz .LBB2096_202
; %bb.195:
	v_mov_b32_e32 v19, 0
	s_mov_b32 s9, 0
	v_cmp_eq_u16_sdwa s[16:17], v25, v19 src0_sel:BYTE_0 src1_sel:DWORD
	s_and_saveexec_b64 s[10:11], s[16:17]
	s_cbranch_execz .LBB2096_201
; %bb.196:
	v_mov_b32_e32 v2, 0x74
.LBB2096_197:                           ; =>This Inner Loop Header: Depth=1
	v_add_u32_e32 v3, s9, v2
	s_add_i32 s9, s9, 8
	s_cmp_lg_u32 s9, 16
	buffer_store_dword v19, v3, s[0:3], 0 offen offset:4
	buffer_store_dword v19, v3, s[0:3], 0 offen
	s_cbranch_scc1 .LBB2096_197
; %bb.198:
	s_mov_b32 s9, 0
	v_mov_b32_e32 v2, 0
	v_mov_b32_e32 v3, 0x88
	;; [unrolled: 1-line block ×3, first 2 shown]
.LBB2096_199:                           ; =>This Inner Loop Header: Depth=1
	v_add_u32_e32 v5, s9, v2
	v_add_u32_e32 v19, s9, v3
	buffer_load_dword v20, v5, s[0:3], 0 offen offset:4
	buffer_load_dword v21, v19, s[0:3], 0 offen
	buffer_load_dword v22, v5, s[0:3], 0 offen
	buffer_load_dword v23, v19, s[0:3], 0 offen offset:4
                                        ; kill: killed $vgpr5
	v_add_u32_e32 v5, s9, v4
	s_add_i32 s9, s9, 8
	s_cmp_lg_u32 s9, 16
                                        ; kill: killed $vgpr19
	s_waitcnt vmcnt(1)
	v_add_u32_e32 v19, v21, v22
	s_waitcnt vmcnt(0)
	v_add_u32_e32 v20, v23, v20
	buffer_store_dword v20, v5, s[0:3], 0 offen offset:4
	buffer_store_dword v19, v5, s[0:3], 0 offen
	s_cbranch_scc1 .LBB2096_199
; %bb.200:
	buffer_load_dword v2, off, s[0:3], 0 offset:116
	buffer_load_dword v3, off, s[0:3], 0 offset:120
	;; [unrolled: 1-line block ×4, first 2 shown]
.LBB2096_201:
	s_or_b64 exec, exec, s[10:11]
	v_and_b32_e32 v19, 1, v25
	v_and_b32_e32 v18, 1, v18
	v_cmp_eq_u32_e32 vcc, 1, v19
	v_cmp_eq_u32_e64 s[10:11], 1, v18
	s_or_b64 s[10:11], vcc, s[10:11]
	v_cndmask_b32_e64 v18, 0, 1, s[10:11]
	buffer_store_byte v18, off, s[0:3], 0 offset:152
	buffer_load_dword v25, off, s[0:3], 0 offset:152
	s_waitcnt vmcnt(4)
	buffer_store_dword v3, off, s[0:3], 0 offset:140
	buffer_store_dword v2, off, s[0:3], 0 offset:136
	s_waitcnt vmcnt(4)
	buffer_store_dword v5, off, s[0:3], 0 offset:148
	buffer_store_dword v4, off, s[0:3], 0 offset:144
.LBB2096_202:
	s_or_b64 exec, exec, s[14:15]
	v_cmp_gt_u32_e32 vcc, 60, v14
	v_cndmask_b32_e64 v19, 0, 1, vcc
	v_lshlrev_b32_e32 v19, 2, v19
	v_add_lshl_u32 v19, v19, v1, 2
	ds_bpermute_b32 v21, v19, v2
	s_waitcnt vmcnt(4)
	ds_bpermute_b32 v20, v19, v25
	ds_bpermute_b32 v22, v19, v3
	;; [unrolled: 1-line block ×3, first 2 shown]
	v_add_u32_e32 v18, 4, v14
	ds_bpermute_b32 v24, v19, v5
	v_cmp_le_u32_e32 vcc, v18, v26
	s_waitcnt lgkmcnt(4)
	buffer_store_dword v21, off, s[0:3], 0
	s_waitcnt lgkmcnt(2)
	buffer_store_dword v22, off, s[0:3], 0 offset:4
	s_waitcnt lgkmcnt(1)
	buffer_store_dword v23, off, s[0:3], 0 offset:8
	;; [unrolled: 2-line block ×3, first 2 shown]
	s_and_saveexec_b64 s[14:15], vcc
	s_cbranch_execz .LBB2096_210
; %bb.203:
	v_mov_b32_e32 v21, 0
	s_mov_b32 s9, 0
	v_cmp_eq_u16_sdwa s[16:17], v25, v21 src0_sel:BYTE_0 src1_sel:DWORD
	s_and_saveexec_b64 s[10:11], s[16:17]
	s_cbranch_execz .LBB2096_209
; %bb.204:
	v_mov_b32_e32 v2, 0x74
.LBB2096_205:                           ; =>This Inner Loop Header: Depth=1
	v_add_u32_e32 v3, s9, v2
	s_add_i32 s9, s9, 8
	s_cmp_lg_u32 s9, 16
	buffer_store_dword v21, v3, s[0:3], 0 offen offset:4
	buffer_store_dword v21, v3, s[0:3], 0 offen
	s_cbranch_scc1 .LBB2096_205
; %bb.206:
	s_mov_b32 s9, 0
	v_mov_b32_e32 v2, 0
	v_mov_b32_e32 v3, 0x88
	;; [unrolled: 1-line block ×3, first 2 shown]
.LBB2096_207:                           ; =>This Inner Loop Header: Depth=1
	v_add_u32_e32 v5, s9, v2
	v_add_u32_e32 v21, s9, v3
	buffer_load_dword v22, v5, s[0:3], 0 offen offset:4
	buffer_load_dword v23, v21, s[0:3], 0 offen
	buffer_load_dword v24, v5, s[0:3], 0 offen
	buffer_load_dword v27, v21, s[0:3], 0 offen offset:4
                                        ; kill: killed $vgpr5
	v_add_u32_e32 v5, s9, v4
	s_add_i32 s9, s9, 8
	s_cmp_lg_u32 s9, 16
                                        ; kill: killed $vgpr21
	s_waitcnt vmcnt(1)
	v_add_u32_e32 v21, v23, v24
	s_waitcnt vmcnt(0)
	v_add_u32_e32 v22, v27, v22
	buffer_store_dword v22, v5, s[0:3], 0 offen offset:4
	buffer_store_dword v21, v5, s[0:3], 0 offen
	s_cbranch_scc1 .LBB2096_207
; %bb.208:
	buffer_load_dword v2, off, s[0:3], 0 offset:116
	buffer_load_dword v3, off, s[0:3], 0 offset:120
	;; [unrolled: 1-line block ×4, first 2 shown]
.LBB2096_209:
	s_or_b64 exec, exec, s[10:11]
	v_and_b32_e32 v21, 1, v25
	v_and_b32_e32 v20, 1, v20
	v_cmp_eq_u32_e32 vcc, 1, v21
	v_cmp_eq_u32_e64 s[10:11], 1, v20
	s_or_b64 s[10:11], vcc, s[10:11]
	v_cndmask_b32_e64 v20, 0, 1, s[10:11]
	buffer_store_byte v20, off, s[0:3], 0 offset:152
	buffer_load_dword v25, off, s[0:3], 0 offset:152
	s_waitcnt vmcnt(4)
	buffer_store_dword v3, off, s[0:3], 0 offset:140
	buffer_store_dword v2, off, s[0:3], 0 offset:136
	s_waitcnt vmcnt(4)
	buffer_store_dword v5, off, s[0:3], 0 offset:148
	buffer_store_dword v4, off, s[0:3], 0 offset:144
.LBB2096_210:
	s_or_b64 exec, exec, s[14:15]
	v_cmp_gt_u32_e32 vcc, 56, v14
	v_cndmask_b32_e64 v21, 0, 1, vcc
	v_lshlrev_b32_e32 v21, 3, v21
	v_add_lshl_u32 v21, v21, v1, 2
	ds_bpermute_b32 v23, v21, v2
	s_waitcnt vmcnt(4)
	ds_bpermute_b32 v22, v21, v25
	ds_bpermute_b32 v24, v21, v3
	;; [unrolled: 1-line block ×3, first 2 shown]
	v_add_u32_e32 v20, 8, v14
	ds_bpermute_b32 v28, v21, v5
	v_cmp_le_u32_e32 vcc, v20, v26
	s_waitcnt lgkmcnt(4)
	buffer_store_dword v23, off, s[0:3], 0
	s_waitcnt lgkmcnt(2)
	buffer_store_dword v24, off, s[0:3], 0 offset:4
	s_waitcnt lgkmcnt(1)
	buffer_store_dword v27, off, s[0:3], 0 offset:8
	;; [unrolled: 2-line block ×3, first 2 shown]
	s_and_saveexec_b64 s[14:15], vcc
	s_cbranch_execz .LBB2096_218
; %bb.211:
	v_mov_b32_e32 v23, 0
	s_mov_b32 s9, 0
	v_cmp_eq_u16_sdwa s[16:17], v25, v23 src0_sel:BYTE_0 src1_sel:DWORD
	s_and_saveexec_b64 s[10:11], s[16:17]
	s_cbranch_execz .LBB2096_217
; %bb.212:
	v_mov_b32_e32 v2, 0x74
.LBB2096_213:                           ; =>This Inner Loop Header: Depth=1
	v_add_u32_e32 v3, s9, v2
	s_add_i32 s9, s9, 8
	s_cmp_lg_u32 s9, 16
	buffer_store_dword v23, v3, s[0:3], 0 offen offset:4
	buffer_store_dword v23, v3, s[0:3], 0 offen
	s_cbranch_scc1 .LBB2096_213
; %bb.214:
	s_mov_b32 s9, 0
	v_mov_b32_e32 v2, 0
	v_mov_b32_e32 v3, 0x88
	;; [unrolled: 1-line block ×3, first 2 shown]
.LBB2096_215:                           ; =>This Inner Loop Header: Depth=1
	v_add_u32_e32 v5, s9, v2
	v_add_u32_e32 v23, s9, v3
	buffer_load_dword v24, v5, s[0:3], 0 offen offset:4
	buffer_load_dword v27, v23, s[0:3], 0 offen
	buffer_load_dword v28, v5, s[0:3], 0 offen
	buffer_load_dword v29, v23, s[0:3], 0 offen offset:4
                                        ; kill: killed $vgpr5
	v_add_u32_e32 v5, s9, v4
	s_add_i32 s9, s9, 8
	s_cmp_lg_u32 s9, 16
                                        ; kill: killed $vgpr23
	s_waitcnt vmcnt(1)
	v_add_u32_e32 v23, v27, v28
	s_waitcnt vmcnt(0)
	v_add_u32_e32 v24, v29, v24
	buffer_store_dword v24, v5, s[0:3], 0 offen offset:4
	buffer_store_dword v23, v5, s[0:3], 0 offen
	s_cbranch_scc1 .LBB2096_215
; %bb.216:
	buffer_load_dword v2, off, s[0:3], 0 offset:116
	buffer_load_dword v3, off, s[0:3], 0 offset:120
	;; [unrolled: 1-line block ×4, first 2 shown]
.LBB2096_217:
	s_or_b64 exec, exec, s[10:11]
	v_and_b32_e32 v23, 1, v25
	v_and_b32_e32 v22, 1, v22
	v_cmp_eq_u32_e32 vcc, 1, v23
	v_cmp_eq_u32_e64 s[10:11], 1, v22
	s_or_b64 s[10:11], vcc, s[10:11]
	v_cndmask_b32_e64 v22, 0, 1, s[10:11]
	buffer_store_byte v22, off, s[0:3], 0 offset:152
	buffer_load_dword v25, off, s[0:3], 0 offset:152
	s_waitcnt vmcnt(4)
	buffer_store_dword v3, off, s[0:3], 0 offset:140
	buffer_store_dword v2, off, s[0:3], 0 offset:136
	s_waitcnt vmcnt(4)
	buffer_store_dword v5, off, s[0:3], 0 offset:148
	buffer_store_dword v4, off, s[0:3], 0 offset:144
.LBB2096_218:
	s_or_b64 exec, exec, s[14:15]
	v_cmp_gt_u32_e32 vcc, 48, v14
	v_cndmask_b32_e64 v23, 0, 1, vcc
	v_lshlrev_b32_e32 v23, 4, v23
	v_add_lshl_u32 v23, v23, v1, 2
	ds_bpermute_b32 v27, v23, v2
	s_waitcnt vmcnt(4)
	ds_bpermute_b32 v24, v23, v25
	ds_bpermute_b32 v28, v23, v3
	;; [unrolled: 1-line block ×3, first 2 shown]
	v_add_u32_e32 v22, 16, v14
	ds_bpermute_b32 v30, v23, v5
	v_cmp_le_u32_e32 vcc, v22, v26
	s_waitcnt lgkmcnt(4)
	buffer_store_dword v27, off, s[0:3], 0
	s_waitcnt lgkmcnt(2)
	buffer_store_dword v28, off, s[0:3], 0 offset:4
	s_waitcnt lgkmcnt(1)
	buffer_store_dword v29, off, s[0:3], 0 offset:8
	;; [unrolled: 2-line block ×3, first 2 shown]
	s_and_saveexec_b64 s[14:15], vcc
	s_cbranch_execz .LBB2096_226
; %bb.219:
	v_mov_b32_e32 v27, 0
	s_mov_b32 s9, 0
	v_cmp_eq_u16_sdwa s[16:17], v25, v27 src0_sel:BYTE_0 src1_sel:DWORD
	s_and_saveexec_b64 s[10:11], s[16:17]
	s_cbranch_execz .LBB2096_225
; %bb.220:
	v_mov_b32_e32 v2, 0x74
.LBB2096_221:                           ; =>This Inner Loop Header: Depth=1
	v_add_u32_e32 v3, s9, v2
	s_add_i32 s9, s9, 8
	s_cmp_lg_u32 s9, 16
	buffer_store_dword v27, v3, s[0:3], 0 offen offset:4
	buffer_store_dword v27, v3, s[0:3], 0 offen
	s_cbranch_scc1 .LBB2096_221
; %bb.222:
	s_mov_b32 s9, 0
	v_mov_b32_e32 v2, 0
	v_mov_b32_e32 v3, 0x88
	;; [unrolled: 1-line block ×3, first 2 shown]
.LBB2096_223:                           ; =>This Inner Loop Header: Depth=1
	v_add_u32_e32 v5, s9, v2
	v_add_u32_e32 v27, s9, v3
	buffer_load_dword v28, v5, s[0:3], 0 offen offset:4
	buffer_load_dword v29, v27, s[0:3], 0 offen
	buffer_load_dword v30, v5, s[0:3], 0 offen
	buffer_load_dword v31, v27, s[0:3], 0 offen offset:4
                                        ; kill: killed $vgpr5
	v_add_u32_e32 v5, s9, v4
	s_add_i32 s9, s9, 8
	s_cmp_lg_u32 s9, 16
                                        ; kill: killed $vgpr27
	s_waitcnt vmcnt(1)
	v_add_u32_e32 v27, v29, v30
	s_waitcnt vmcnt(0)
	v_add_u32_e32 v28, v31, v28
	buffer_store_dword v28, v5, s[0:3], 0 offen offset:4
	buffer_store_dword v27, v5, s[0:3], 0 offen
	s_cbranch_scc1 .LBB2096_223
; %bb.224:
	buffer_load_dword v2, off, s[0:3], 0 offset:116
	buffer_load_dword v3, off, s[0:3], 0 offset:120
	;; [unrolled: 1-line block ×4, first 2 shown]
.LBB2096_225:
	s_or_b64 exec, exec, s[10:11]
	v_and_b32_e32 v25, 1, v25
	v_and_b32_e32 v24, 1, v24
	v_cmp_eq_u32_e32 vcc, 1, v25
	v_cmp_eq_u32_e64 s[10:11], 1, v24
	s_or_b64 s[10:11], vcc, s[10:11]
	v_cndmask_b32_e64 v24, 0, 1, s[10:11]
	buffer_store_byte v24, off, s[0:3], 0 offset:152
	buffer_load_dword v25, off, s[0:3], 0 offset:152
	s_waitcnt vmcnt(4)
	buffer_store_dword v3, off, s[0:3], 0 offset:140
	buffer_store_dword v2, off, s[0:3], 0 offset:136
	s_waitcnt vmcnt(4)
	buffer_store_dword v5, off, s[0:3], 0 offset:148
	buffer_store_dword v4, off, s[0:3], 0 offset:144
.LBB2096_226:
	s_or_b64 exec, exec, s[14:15]
	v_cmp_gt_u32_e32 vcc, 32, v14
	v_cndmask_b32_e64 v27, 0, 1, vcc
	v_lshlrev_b32_e32 v27, 5, v27
	v_add_lshl_u32 v1, v27, v1, 2
	ds_bpermute_b32 v28, v1, v2
	s_waitcnt vmcnt(4)
	ds_bpermute_b32 v27, v1, v25
	ds_bpermute_b32 v29, v1, v3
	;; [unrolled: 1-line block ×3, first 2 shown]
	v_add_u32_e32 v24, 32, v14
	ds_bpermute_b32 v31, v1, v5
	v_cmp_le_u32_e32 vcc, v24, v26
	s_waitcnt lgkmcnt(4)
	buffer_store_dword v28, off, s[0:3], 0
	s_waitcnt lgkmcnt(2)
	buffer_store_dword v29, off, s[0:3], 0 offset:4
	s_waitcnt lgkmcnt(1)
	buffer_store_dword v30, off, s[0:3], 0 offset:8
	;; [unrolled: 2-line block ×3, first 2 shown]
	s_and_saveexec_b64 s[14:15], vcc
	s_cbranch_execz .LBB2096_234
; %bb.227:
	v_mov_b32_e32 v26, 0
	s_mov_b32 s9, 0
	v_cmp_eq_u16_sdwa s[16:17], v25, v26 src0_sel:BYTE_0 src1_sel:DWORD
	s_and_saveexec_b64 s[10:11], s[16:17]
	s_cbranch_execz .LBB2096_233
; %bb.228:
	v_mov_b32_e32 v2, 0x74
.LBB2096_229:                           ; =>This Inner Loop Header: Depth=1
	v_add_u32_e32 v3, s9, v2
	s_add_i32 s9, s9, 8
	s_cmp_lg_u32 s9, 16
	buffer_store_dword v26, v3, s[0:3], 0 offen offset:4
	buffer_store_dword v26, v3, s[0:3], 0 offen
	s_cbranch_scc1 .LBB2096_229
; %bb.230:
	s_mov_b32 s9, 0
	v_mov_b32_e32 v2, 0
	v_mov_b32_e32 v3, 0x88
	;; [unrolled: 1-line block ×3, first 2 shown]
.LBB2096_231:                           ; =>This Inner Loop Header: Depth=1
	v_add_u32_e32 v5, s9, v2
	v_add_u32_e32 v26, s9, v3
	buffer_load_dword v28, v5, s[0:3], 0 offen offset:4
	buffer_load_dword v29, v26, s[0:3], 0 offen
	buffer_load_dword v30, v5, s[0:3], 0 offen
	buffer_load_dword v31, v26, s[0:3], 0 offen offset:4
                                        ; kill: killed $vgpr5
	v_add_u32_e32 v5, s9, v4
	s_add_i32 s9, s9, 8
	s_cmp_lg_u32 s9, 16
                                        ; kill: killed $vgpr26
	s_waitcnt vmcnt(1)
	v_add_u32_e32 v26, v29, v30
	s_waitcnt vmcnt(0)
	v_add_u32_e32 v28, v31, v28
	buffer_store_dword v28, v5, s[0:3], 0 offen offset:4
	buffer_store_dword v26, v5, s[0:3], 0 offen
	s_cbranch_scc1 .LBB2096_231
; %bb.232:
	buffer_load_dword v2, off, s[0:3], 0 offset:116
	buffer_load_dword v3, off, s[0:3], 0 offset:120
	buffer_load_dword v4, off, s[0:3], 0 offset:124
	buffer_load_dword v5, off, s[0:3], 0 offset:128
.LBB2096_233:
	s_or_b64 exec, exec, s[10:11]
	v_and_b32_e32 v25, 1, v25
	v_cmp_eq_u32_e32 vcc, 1, v25
	v_and_b32_e32 v25, 1, v27
	v_cmp_eq_u32_e64 s[10:11], 1, v25
	s_or_b64 s[10:11], vcc, s[10:11]
	v_cndmask_b32_e64 v25, 0, 1, s[10:11]
	s_waitcnt vmcnt(2)
	buffer_store_dword v3, off, s[0:3], 0 offset:140
	buffer_store_dword v2, off, s[0:3], 0 offset:136
	s_waitcnt vmcnt(2)
	buffer_store_dword v5, off, s[0:3], 0 offset:148
	buffer_store_dword v4, off, s[0:3], 0 offset:144
	buffer_store_byte v25, off, s[0:3], 0 offset:152
.LBB2096_234:
	s_or_b64 exec, exec, s[14:15]
	buffer_load_dword v2, off, s[0:3], 0 offset:148
	buffer_load_dword v3, off, s[0:3], 0 offset:144
	;; [unrolled: 1-line block ×5, first 2 shown]
	v_mov_b32_e32 v25, 0
	v_mov_b32_e32 v26, 0x60
	v_mov_b32_e32 v27, 0
	v_mov_b32_e32 v28, 0x50
	v_mov_b32_e32 v29, 0x88
	v_mov_b32_e32 v30, 0x74
	s_waitcnt vmcnt(4)
	buffer_store_dword v2, off, s[0:3], 0 offset:128
	s_waitcnt vmcnt(4)
	buffer_store_dword v3, off, s[0:3], 0 offset:124
	;; [unrolled: 2-line block ×5, first 2 shown]
	v_mov_b32_e32 v31, 2
	s_branch .LBB2096_236
.LBB2096_235:                           ;   in Loop: Header=BB2096_236 Depth=1
                                        ; implicit-def: $vgpr6
                                        ; implicit-def: $vgpr7
	s_cbranch_execnz .LBB2096_304
.LBB2096_236:                           ; =>This Loop Header: Depth=1
                                        ;     Child Loop BB2096_238 Depth 2
                                        ;     Child Loop BB2096_241 Depth 2
                                        ;       Child Loop BB2096_242 Depth 3
                                        ;     Child Loop BB2096_246 Depth 2
                                        ;     Child Loop BB2096_250 Depth 2
	;; [unrolled: 1-line block ×15, first 2 shown]
	v_cmp_ne_u16_sdwa s[10:11], v7, v31 src0_sel:BYTE_0 src1_sel:DWORD
	v_cndmask_b32_e64 v2, 0, 1, s[10:11]
	;;#ASMSTART
	;;#ASMEND
	v_cmp_ne_u32_e32 vcc, 0, v2
	s_cmp_lg_u64 vcc, exec
	s_cbranch_scc1 .LBB2096_235
; %bb.237:                              ;   in Loop: Header=BB2096_236 Depth=1
	s_mov_b32 s9, 0
	buffer_store_dword v25, off, s[0:3], 0 offset:108
	buffer_store_dword v25, off, s[0:3], 0 offset:104
	;; [unrolled: 1-line block ×5, first 2 shown]
.LBB2096_238:                           ;   Parent Loop BB2096_236 Depth=1
                                        ; =>  This Inner Loop Header: Depth=2
	v_add_u32_e32 v2, s9, v26
	s_add_i32 s9, s9, 8
	s_cmp_lg_u32 s9, 16
	buffer_store_dword v25, v2, s[0:3], 0 offen offset:4
	buffer_store_dword v25, v2, s[0:3], 0 offen
	s_cbranch_scc1 .LBB2096_238
; %bb.239:                              ;   in Loop: Header=BB2096_236 Depth=1
	buffer_store_byte v25, off, s[0:3], 0 offset:112
	global_load_ubyte v7, v6, s[24:25] glc
	s_waitcnt vmcnt(0)
	v_cmp_eq_u16_e32 vcc, 0, v7
	s_and_saveexec_b64 s[10:11], vcc
	s_cbranch_execz .LBB2096_245
; %bb.240:                              ;   in Loop: Header=BB2096_236 Depth=1
	v_mov_b32_e32 v3, s25
	v_add_co_u32_e32 v2, vcc, s24, v6
	v_addc_co_u32_e32 v3, vcc, 0, v3, vcc
	s_mov_b32 s9, 1
	s_mov_b64 s[14:15], 0
.LBB2096_241:                           ;   Parent Loop BB2096_236 Depth=1
                                        ; =>  This Loop Header: Depth=2
                                        ;       Child Loop BB2096_242 Depth 3
	s_max_u32 s16, s9, 1
.LBB2096_242:                           ;   Parent Loop BB2096_236 Depth=1
                                        ;     Parent Loop BB2096_241 Depth=2
                                        ; =>    This Inner Loop Header: Depth=3
	s_add_i32 s16, s16, -1
	s_cmp_eq_u32 s16, 0
	s_sleep 1
	s_cbranch_scc0 .LBB2096_242
; %bb.243:                              ;   in Loop: Header=BB2096_241 Depth=2
	global_load_ubyte v7, v[2:3], off glc
	s_cmp_lt_u32 s9, 32
	s_cselect_b64 s[16:17], -1, 0
	s_cmp_lg_u64 s[16:17], 0
	s_addc_u32 s9, s9, 0
	s_waitcnt vmcnt(0)
	v_cmp_ne_u16_e32 vcc, 0, v7
	s_or_b64 s[14:15], vcc, s[14:15]
	s_andn2_b64 exec, exec, s[14:15]
	s_cbranch_execnz .LBB2096_241
; %bb.244:                              ;   in Loop: Header=BB2096_236 Depth=1
	s_or_b64 exec, exec, s[14:15]
.LBB2096_245:                           ;   in Loop: Header=BB2096_236 Depth=1
	s_or_b64 exec, exec, s[10:11]
	v_mov_b32_e32 v2, s23
	v_mov_b32_e32 v3, s21
	v_cmp_eq_u16_e32 vcc, 1, v7
	v_cndmask_b32_e32 v3, v2, v3, vcc
	v_mov_b32_e32 v2, s22
	v_mov_b32_e32 v4, s20
	v_cndmask_b32_e32 v2, v2, v4, vcc
	v_mad_u64_u32 v[32:33], s[10:11], v6, 20, v[2:3]
	buffer_wbinvl1_vol
	global_load_dwordx4 v[2:5], v[32:33], off
	global_load_ubyte v34, v[32:33], off offset:16
	s_mov_b32 s9, 0
	buffer_store_dword v25, off, s[0:3], 0 offset:16
	s_waitcnt vmcnt(2)
	buffer_store_dword v5, off, s[0:3], 0 offset:108
	buffer_store_dword v4, off, s[0:3], 0 offset:104
	;; [unrolled: 1-line block ×4, first 2 shown]
	s_waitcnt vmcnt(5)
	buffer_store_byte v34, off, s[0:3], 0 offset:112
	buffer_store_dword v3, off, s[0:3], 0 offset:140
	buffer_store_dword v2, off, s[0:3], 0 offset:136
	;; [unrolled: 1-line block ×4, first 2 shown]
	buffer_store_byte v34, off, s[0:3], 0 offset:152
.LBB2096_246:                           ;   Parent Loop BB2096_236 Depth=1
                                        ; =>  This Inner Loop Header: Depth=2
	v_add_u32_e32 v32, s9, v27
	s_add_i32 s9, s9, 8
	s_cmp_lg_u32 s9, 16
	buffer_store_dword v25, v32, s[0:3], 0 offen offset:4
	buffer_store_dword v25, v32, s[0:3], 0 offen
	s_cbranch_scc1 .LBB2096_246
; %bb.247:                              ;   in Loop: Header=BB2096_236 Depth=1
	buffer_load_dword v33, off, s[0:3], 0 offset:152
	v_cmp_eq_u16_e32 vcc, 2, v7
	v_and_b32_e32 v32, vcc_hi, v9
	v_or_b32_e32 v32, 0x80000000, v32
	v_and_b32_e32 v34, vcc_lo, v8
	v_ffbl_b32_e32 v32, v32
	v_ffbl_b32_e32 v34, v34
	v_add_u32_e32 v32, 32, v32
	ds_bpermute_b32 v35, v15, v2
	v_min_u32_e32 v32, v34, v32
	ds_bpermute_b32 v36, v15, v3
	ds_bpermute_b32 v37, v15, v4
	;; [unrolled: 1-line block ×3, first 2 shown]
	v_cmp_lt_u32_e32 vcc, v14, v32
	s_waitcnt lgkmcnt(3)
	buffer_store_dword v35, off, s[0:3], 0
	s_waitcnt lgkmcnt(2)
	buffer_store_dword v36, off, s[0:3], 0 offset:4
	s_waitcnt lgkmcnt(1)
	buffer_store_dword v37, off, s[0:3], 0 offset:8
	s_waitcnt lgkmcnt(0)
	buffer_store_dword v38, off, s[0:3], 0 offset:12
	s_waitcnt vmcnt(4)
	ds_bpermute_b32 v34, v15, v33
	s_and_saveexec_b64 s[10:11], vcc
	s_cbranch_execz .LBB2096_255
; %bb.248:                              ;   in Loop: Header=BB2096_236 Depth=1
	v_cmp_eq_u16_sdwa s[16:17], v33, v25 src0_sel:BYTE_0 src1_sel:DWORD
	s_and_saveexec_b64 s[14:15], s[16:17]
	s_cbranch_execz .LBB2096_254
; %bb.249:                              ;   in Loop: Header=BB2096_236 Depth=1
	s_mov_b32 s9, 0
.LBB2096_250:                           ;   Parent Loop BB2096_236 Depth=1
                                        ; =>  This Inner Loop Header: Depth=2
	v_add_u32_e32 v2, s9, v28
	s_add_i32 s9, s9, 8
	s_cmp_lg_u32 s9, 16
	buffer_store_dword v25, v2, s[0:3], 0 offen offset:4
	buffer_store_dword v25, v2, s[0:3], 0 offen
	s_cbranch_scc1 .LBB2096_250
; %bb.251:                              ;   in Loop: Header=BB2096_236 Depth=1
	s_mov_b32 s9, 0
.LBB2096_252:                           ;   Parent Loop BB2096_236 Depth=1
                                        ; =>  This Inner Loop Header: Depth=2
	v_add_u32_e32 v2, s9, v27
	v_add_u32_e32 v3, s9, v29
	buffer_load_dword v4, v2, s[0:3], 0 offen offset:4
	buffer_load_dword v5, v3, s[0:3], 0 offen
	buffer_load_dword v35, v2, s[0:3], 0 offen
	buffer_load_dword v36, v3, s[0:3], 0 offen offset:4
	v_add_u32_e32 v2, s9, v28
	s_add_i32 s9, s9, 8
	s_cmp_lg_u32 s9, 16
	s_waitcnt vmcnt(1)
	v_add_u32_e32 v3, v5, v35
	s_waitcnt vmcnt(0)
	v_add_u32_e32 v4, v36, v4
	buffer_store_dword v4, v2, s[0:3], 0 offen offset:4
	buffer_store_dword v3, v2, s[0:3], 0 offen
	s_cbranch_scc1 .LBB2096_252
; %bb.253:                              ;   in Loop: Header=BB2096_236 Depth=1
	buffer_load_dword v2, off, s[0:3], 0 offset:80
	buffer_load_dword v3, off, s[0:3], 0 offset:84
	;; [unrolled: 1-line block ×4, first 2 shown]
.LBB2096_254:                           ;   in Loop: Header=BB2096_236 Depth=1
	s_or_b64 exec, exec, s[14:15]
	s_waitcnt lgkmcnt(0)
	v_or_b32_e32 v33, v34, v33
	v_and_b32_e32 v33, 1, v33
	buffer_store_byte v33, off, s[0:3], 0 offset:152
	buffer_load_dword v33, off, s[0:3], 0 offset:152
	s_waitcnt vmcnt(4)
	buffer_store_dword v3, off, s[0:3], 0 offset:140
	buffer_store_dword v2, off, s[0:3], 0 offset:136
	s_waitcnt vmcnt(4)
	buffer_store_dword v5, off, s[0:3], 0 offset:148
	buffer_store_dword v4, off, s[0:3], 0 offset:144
.LBB2096_255:                           ;   in Loop: Header=BB2096_236 Depth=1
	s_or_b64 exec, exec, s[10:11]
	ds_bpermute_b32 v35, v17, v2
	s_waitcnt vmcnt(4) lgkmcnt(1)
	ds_bpermute_b32 v34, v17, v33
	ds_bpermute_b32 v36, v17, v3
	;; [unrolled: 1-line block ×4, first 2 shown]
	v_cmp_le_u32_e32 vcc, v16, v32
	s_waitcnt lgkmcnt(4)
	buffer_store_dword v35, off, s[0:3], 0
	s_waitcnt lgkmcnt(2)
	buffer_store_dword v36, off, s[0:3], 0 offset:4
	s_waitcnt lgkmcnt(1)
	buffer_store_dword v37, off, s[0:3], 0 offset:8
	;; [unrolled: 2-line block ×3, first 2 shown]
	s_and_saveexec_b64 s[14:15], vcc
	s_cbranch_execz .LBB2096_263
; %bb.256:                              ;   in Loop: Header=BB2096_236 Depth=1
	v_cmp_eq_u16_sdwa s[16:17], v33, v25 src0_sel:BYTE_0 src1_sel:DWORD
	s_and_saveexec_b64 s[10:11], s[16:17]
	s_cbranch_execz .LBB2096_262
; %bb.257:                              ;   in Loop: Header=BB2096_236 Depth=1
	s_mov_b32 s9, 0
.LBB2096_258:                           ;   Parent Loop BB2096_236 Depth=1
                                        ; =>  This Inner Loop Header: Depth=2
	v_add_u32_e32 v2, s9, v28
	s_add_i32 s9, s9, 8
	s_cmp_lg_u32 s9, 16
	buffer_store_dword v25, v2, s[0:3], 0 offen offset:4
	buffer_store_dword v25, v2, s[0:3], 0 offen
	s_cbranch_scc1 .LBB2096_258
; %bb.259:                              ;   in Loop: Header=BB2096_236 Depth=1
	s_mov_b32 s9, 0
.LBB2096_260:                           ;   Parent Loop BB2096_236 Depth=1
                                        ; =>  This Inner Loop Header: Depth=2
	v_add_u32_e32 v2, s9, v27
	v_add_u32_e32 v3, s9, v29
	buffer_load_dword v4, v2, s[0:3], 0 offen offset:4
	buffer_load_dword v5, v3, s[0:3], 0 offen
	buffer_load_dword v35, v2, s[0:3], 0 offen
	buffer_load_dword v36, v3, s[0:3], 0 offen offset:4
	v_add_u32_e32 v2, s9, v28
	s_add_i32 s9, s9, 8
	s_cmp_lg_u32 s9, 16
	s_waitcnt vmcnt(1)
	v_add_u32_e32 v3, v5, v35
	s_waitcnt vmcnt(0)
	v_add_u32_e32 v4, v36, v4
	buffer_store_dword v4, v2, s[0:3], 0 offen offset:4
	buffer_store_dword v3, v2, s[0:3], 0 offen
	s_cbranch_scc1 .LBB2096_260
; %bb.261:                              ;   in Loop: Header=BB2096_236 Depth=1
	buffer_load_dword v2, off, s[0:3], 0 offset:80
	buffer_load_dword v3, off, s[0:3], 0 offset:84
	;; [unrolled: 1-line block ×4, first 2 shown]
.LBB2096_262:                           ;   in Loop: Header=BB2096_236 Depth=1
	s_or_b64 exec, exec, s[10:11]
	v_and_b32_e32 v33, 1, v33
	v_cmp_eq_u32_e32 vcc, 1, v33
	v_and_b32_e32 v33, 1, v34
	v_cmp_eq_u32_e64 s[10:11], 1, v33
	s_or_b64 s[10:11], vcc, s[10:11]
	v_cndmask_b32_e64 v33, 0, 1, s[10:11]
	buffer_store_byte v33, off, s[0:3], 0 offset:152
	buffer_load_dword v33, off, s[0:3], 0 offset:152
	s_waitcnt vmcnt(4)
	buffer_store_dword v3, off, s[0:3], 0 offset:140
	buffer_store_dword v2, off, s[0:3], 0 offset:136
	s_waitcnt vmcnt(4)
	buffer_store_dword v5, off, s[0:3], 0 offset:148
	buffer_store_dword v4, off, s[0:3], 0 offset:144
.LBB2096_263:                           ;   in Loop: Header=BB2096_236 Depth=1
	s_or_b64 exec, exec, s[14:15]
	ds_bpermute_b32 v35, v19, v2
	s_waitcnt vmcnt(4)
	ds_bpermute_b32 v34, v19, v33
	ds_bpermute_b32 v36, v19, v3
	;; [unrolled: 1-line block ×4, first 2 shown]
	v_cmp_le_u32_e32 vcc, v18, v32
	s_waitcnt lgkmcnt(4)
	buffer_store_dword v35, off, s[0:3], 0
	s_waitcnt lgkmcnt(2)
	buffer_store_dword v36, off, s[0:3], 0 offset:4
	s_waitcnt lgkmcnt(1)
	buffer_store_dword v37, off, s[0:3], 0 offset:8
	s_waitcnt lgkmcnt(0)
	buffer_store_dword v38, off, s[0:3], 0 offset:12
	s_and_saveexec_b64 s[14:15], vcc
	s_cbranch_execz .LBB2096_271
; %bb.264:                              ;   in Loop: Header=BB2096_236 Depth=1
	v_cmp_eq_u16_sdwa s[16:17], v33, v25 src0_sel:BYTE_0 src1_sel:DWORD
	s_and_saveexec_b64 s[10:11], s[16:17]
	s_cbranch_execz .LBB2096_270
; %bb.265:                              ;   in Loop: Header=BB2096_236 Depth=1
	s_mov_b32 s9, 0
.LBB2096_266:                           ;   Parent Loop BB2096_236 Depth=1
                                        ; =>  This Inner Loop Header: Depth=2
	v_add_u32_e32 v2, s9, v28
	s_add_i32 s9, s9, 8
	s_cmp_lg_u32 s9, 16
	buffer_store_dword v25, v2, s[0:3], 0 offen offset:4
	buffer_store_dword v25, v2, s[0:3], 0 offen
	s_cbranch_scc1 .LBB2096_266
; %bb.267:                              ;   in Loop: Header=BB2096_236 Depth=1
	s_mov_b32 s9, 0
.LBB2096_268:                           ;   Parent Loop BB2096_236 Depth=1
                                        ; =>  This Inner Loop Header: Depth=2
	v_add_u32_e32 v2, s9, v27
	v_add_u32_e32 v3, s9, v29
	buffer_load_dword v4, v2, s[0:3], 0 offen offset:4
	buffer_load_dword v5, v3, s[0:3], 0 offen
	buffer_load_dword v35, v2, s[0:3], 0 offen
	buffer_load_dword v36, v3, s[0:3], 0 offen offset:4
	v_add_u32_e32 v2, s9, v28
	s_add_i32 s9, s9, 8
	s_cmp_lg_u32 s9, 16
	s_waitcnt vmcnt(1)
	v_add_u32_e32 v3, v5, v35
	s_waitcnt vmcnt(0)
	v_add_u32_e32 v4, v36, v4
	buffer_store_dword v4, v2, s[0:3], 0 offen offset:4
	buffer_store_dword v3, v2, s[0:3], 0 offen
	s_cbranch_scc1 .LBB2096_268
; %bb.269:                              ;   in Loop: Header=BB2096_236 Depth=1
	buffer_load_dword v2, off, s[0:3], 0 offset:80
	buffer_load_dword v3, off, s[0:3], 0 offset:84
	;; [unrolled: 1-line block ×4, first 2 shown]
.LBB2096_270:                           ;   in Loop: Header=BB2096_236 Depth=1
	s_or_b64 exec, exec, s[10:11]
	v_and_b32_e32 v33, 1, v33
	v_cmp_eq_u32_e32 vcc, 1, v33
	v_and_b32_e32 v33, 1, v34
	v_cmp_eq_u32_e64 s[10:11], 1, v33
	s_or_b64 s[10:11], vcc, s[10:11]
	v_cndmask_b32_e64 v33, 0, 1, s[10:11]
	buffer_store_byte v33, off, s[0:3], 0 offset:152
	buffer_load_dword v33, off, s[0:3], 0 offset:152
	s_waitcnt vmcnt(4)
	buffer_store_dword v3, off, s[0:3], 0 offset:140
	buffer_store_dword v2, off, s[0:3], 0 offset:136
	s_waitcnt vmcnt(4)
	buffer_store_dword v5, off, s[0:3], 0 offset:148
	buffer_store_dword v4, off, s[0:3], 0 offset:144
.LBB2096_271:                           ;   in Loop: Header=BB2096_236 Depth=1
	s_or_b64 exec, exec, s[14:15]
	ds_bpermute_b32 v35, v21, v2
	s_waitcnt vmcnt(4)
	ds_bpermute_b32 v34, v21, v33
	ds_bpermute_b32 v36, v21, v3
	ds_bpermute_b32 v37, v21, v4
	ds_bpermute_b32 v38, v21, v5
	v_cmp_le_u32_e32 vcc, v20, v32
	s_waitcnt lgkmcnt(4)
	buffer_store_dword v35, off, s[0:3], 0
	s_waitcnt lgkmcnt(2)
	buffer_store_dword v36, off, s[0:3], 0 offset:4
	s_waitcnt lgkmcnt(1)
	buffer_store_dword v37, off, s[0:3], 0 offset:8
	;; [unrolled: 2-line block ×3, first 2 shown]
	s_and_saveexec_b64 s[14:15], vcc
	s_cbranch_execz .LBB2096_279
; %bb.272:                              ;   in Loop: Header=BB2096_236 Depth=1
	v_cmp_eq_u16_sdwa s[16:17], v33, v25 src0_sel:BYTE_0 src1_sel:DWORD
	s_and_saveexec_b64 s[10:11], s[16:17]
	s_cbranch_execz .LBB2096_278
; %bb.273:                              ;   in Loop: Header=BB2096_236 Depth=1
	s_mov_b32 s9, 0
.LBB2096_274:                           ;   Parent Loop BB2096_236 Depth=1
                                        ; =>  This Inner Loop Header: Depth=2
	v_add_u32_e32 v2, s9, v28
	s_add_i32 s9, s9, 8
	s_cmp_lg_u32 s9, 16
	buffer_store_dword v25, v2, s[0:3], 0 offen offset:4
	buffer_store_dword v25, v2, s[0:3], 0 offen
	s_cbranch_scc1 .LBB2096_274
; %bb.275:                              ;   in Loop: Header=BB2096_236 Depth=1
	s_mov_b32 s9, 0
.LBB2096_276:                           ;   Parent Loop BB2096_236 Depth=1
                                        ; =>  This Inner Loop Header: Depth=2
	v_add_u32_e32 v2, s9, v27
	v_add_u32_e32 v3, s9, v29
	buffer_load_dword v4, v2, s[0:3], 0 offen offset:4
	buffer_load_dword v5, v3, s[0:3], 0 offen
	buffer_load_dword v35, v2, s[0:3], 0 offen
	buffer_load_dword v36, v3, s[0:3], 0 offen offset:4
	v_add_u32_e32 v2, s9, v28
	s_add_i32 s9, s9, 8
	s_cmp_lg_u32 s9, 16
	s_waitcnt vmcnt(1)
	v_add_u32_e32 v3, v5, v35
	s_waitcnt vmcnt(0)
	v_add_u32_e32 v4, v36, v4
	buffer_store_dword v4, v2, s[0:3], 0 offen offset:4
	buffer_store_dword v3, v2, s[0:3], 0 offen
	s_cbranch_scc1 .LBB2096_276
; %bb.277:                              ;   in Loop: Header=BB2096_236 Depth=1
	buffer_load_dword v2, off, s[0:3], 0 offset:80
	buffer_load_dword v3, off, s[0:3], 0 offset:84
	;; [unrolled: 1-line block ×4, first 2 shown]
.LBB2096_278:                           ;   in Loop: Header=BB2096_236 Depth=1
	s_or_b64 exec, exec, s[10:11]
	v_and_b32_e32 v33, 1, v33
	v_cmp_eq_u32_e32 vcc, 1, v33
	v_and_b32_e32 v33, 1, v34
	v_cmp_eq_u32_e64 s[10:11], 1, v33
	s_or_b64 s[10:11], vcc, s[10:11]
	v_cndmask_b32_e64 v33, 0, 1, s[10:11]
	buffer_store_byte v33, off, s[0:3], 0 offset:152
	buffer_load_dword v33, off, s[0:3], 0 offset:152
	s_waitcnt vmcnt(4)
	buffer_store_dword v3, off, s[0:3], 0 offset:140
	buffer_store_dword v2, off, s[0:3], 0 offset:136
	s_waitcnt vmcnt(4)
	buffer_store_dword v5, off, s[0:3], 0 offset:148
	buffer_store_dword v4, off, s[0:3], 0 offset:144
.LBB2096_279:                           ;   in Loop: Header=BB2096_236 Depth=1
	s_or_b64 exec, exec, s[14:15]
	ds_bpermute_b32 v35, v23, v2
	s_waitcnt vmcnt(4)
	ds_bpermute_b32 v34, v23, v33
	ds_bpermute_b32 v36, v23, v3
	;; [unrolled: 1-line block ×4, first 2 shown]
	v_cmp_le_u32_e32 vcc, v22, v32
	s_waitcnt lgkmcnt(4)
	buffer_store_dword v35, off, s[0:3], 0
	s_waitcnt lgkmcnt(2)
	buffer_store_dword v36, off, s[0:3], 0 offset:4
	s_waitcnt lgkmcnt(1)
	buffer_store_dword v37, off, s[0:3], 0 offset:8
	;; [unrolled: 2-line block ×3, first 2 shown]
	s_and_saveexec_b64 s[14:15], vcc
	s_cbranch_execz .LBB2096_287
; %bb.280:                              ;   in Loop: Header=BB2096_236 Depth=1
	v_cmp_eq_u16_sdwa s[16:17], v33, v25 src0_sel:BYTE_0 src1_sel:DWORD
	s_and_saveexec_b64 s[10:11], s[16:17]
	s_cbranch_execz .LBB2096_286
; %bb.281:                              ;   in Loop: Header=BB2096_236 Depth=1
	s_mov_b32 s9, 0
.LBB2096_282:                           ;   Parent Loop BB2096_236 Depth=1
                                        ; =>  This Inner Loop Header: Depth=2
	v_add_u32_e32 v2, s9, v28
	s_add_i32 s9, s9, 8
	s_cmp_lg_u32 s9, 16
	buffer_store_dword v25, v2, s[0:3], 0 offen offset:4
	buffer_store_dword v25, v2, s[0:3], 0 offen
	s_cbranch_scc1 .LBB2096_282
; %bb.283:                              ;   in Loop: Header=BB2096_236 Depth=1
	s_mov_b32 s9, 0
.LBB2096_284:                           ;   Parent Loop BB2096_236 Depth=1
                                        ; =>  This Inner Loop Header: Depth=2
	v_add_u32_e32 v2, s9, v27
	v_add_u32_e32 v3, s9, v29
	buffer_load_dword v4, v2, s[0:3], 0 offen offset:4
	buffer_load_dword v5, v3, s[0:3], 0 offen
	buffer_load_dword v35, v2, s[0:3], 0 offen
	buffer_load_dword v36, v3, s[0:3], 0 offen offset:4
	v_add_u32_e32 v2, s9, v28
	s_add_i32 s9, s9, 8
	s_cmp_lg_u32 s9, 16
	s_waitcnt vmcnt(1)
	v_add_u32_e32 v3, v5, v35
	s_waitcnt vmcnt(0)
	v_add_u32_e32 v4, v36, v4
	buffer_store_dword v4, v2, s[0:3], 0 offen offset:4
	buffer_store_dword v3, v2, s[0:3], 0 offen
	s_cbranch_scc1 .LBB2096_284
; %bb.285:                              ;   in Loop: Header=BB2096_236 Depth=1
	buffer_load_dword v2, off, s[0:3], 0 offset:80
	buffer_load_dword v3, off, s[0:3], 0 offset:84
	;; [unrolled: 1-line block ×4, first 2 shown]
.LBB2096_286:                           ;   in Loop: Header=BB2096_236 Depth=1
	s_or_b64 exec, exec, s[10:11]
	v_and_b32_e32 v33, 1, v33
	v_cmp_eq_u32_e32 vcc, 1, v33
	v_and_b32_e32 v33, 1, v34
	v_cmp_eq_u32_e64 s[10:11], 1, v33
	s_or_b64 s[10:11], vcc, s[10:11]
	v_cndmask_b32_e64 v33, 0, 1, s[10:11]
	buffer_store_byte v33, off, s[0:3], 0 offset:152
	buffer_load_dword v33, off, s[0:3], 0 offset:152
	s_waitcnt vmcnt(4)
	buffer_store_dword v3, off, s[0:3], 0 offset:140
	buffer_store_dword v2, off, s[0:3], 0 offset:136
	s_waitcnt vmcnt(4)
	buffer_store_dword v5, off, s[0:3], 0 offset:148
	buffer_store_dword v4, off, s[0:3], 0 offset:144
.LBB2096_287:                           ;   in Loop: Header=BB2096_236 Depth=1
	s_or_b64 exec, exec, s[14:15]
	ds_bpermute_b32 v35, v1, v2
	s_waitcnt vmcnt(4)
	ds_bpermute_b32 v34, v1, v33
	ds_bpermute_b32 v36, v1, v3
	;; [unrolled: 1-line block ×4, first 2 shown]
	v_cmp_le_u32_e32 vcc, v24, v32
	v_and_b32_e32 v32, 1, v33
	v_cmp_eq_u32_e64 s[10:11], 1, v32
	s_waitcnt lgkmcnt(4)
	buffer_store_dword v35, off, s[0:3], 0
	s_waitcnt lgkmcnt(2)
	buffer_store_dword v36, off, s[0:3], 0 offset:4
	s_waitcnt lgkmcnt(1)
	buffer_store_dword v37, off, s[0:3], 0 offset:8
	;; [unrolled: 2-line block ×3, first 2 shown]
	s_and_saveexec_b64 s[14:15], vcc
	s_cbranch_execz .LBB2096_295
; %bb.288:                              ;   in Loop: Header=BB2096_236 Depth=1
	v_cmp_eq_u16_sdwa s[36:37], v33, v25 src0_sel:BYTE_0 src1_sel:DWORD
	s_and_saveexec_b64 s[16:17], s[36:37]
	s_cbranch_execz .LBB2096_294
; %bb.289:                              ;   in Loop: Header=BB2096_236 Depth=1
	s_mov_b32 s9, 0
.LBB2096_290:                           ;   Parent Loop BB2096_236 Depth=1
                                        ; =>  This Inner Loop Header: Depth=2
	v_add_u32_e32 v2, s9, v28
	s_add_i32 s9, s9, 8
	s_cmp_lg_u32 s9, 16
	buffer_store_dword v25, v2, s[0:3], 0 offen offset:4
	buffer_store_dword v25, v2, s[0:3], 0 offen
	s_cbranch_scc1 .LBB2096_290
; %bb.291:                              ;   in Loop: Header=BB2096_236 Depth=1
	s_mov_b32 s9, 0
.LBB2096_292:                           ;   Parent Loop BB2096_236 Depth=1
                                        ; =>  This Inner Loop Header: Depth=2
	v_add_u32_e32 v2, s9, v27
	v_add_u32_e32 v3, s9, v29
	buffer_load_dword v4, v2, s[0:3], 0 offen offset:4
	buffer_load_dword v5, v3, s[0:3], 0 offen
	buffer_load_dword v32, v2, s[0:3], 0 offen
	buffer_load_dword v33, v3, s[0:3], 0 offen offset:4
	v_add_u32_e32 v2, s9, v28
	s_add_i32 s9, s9, 8
	s_cmp_lg_u32 s9, 16
	s_waitcnt vmcnt(1)
	v_add_u32_e32 v3, v5, v32
	s_waitcnt vmcnt(0)
	v_add_u32_e32 v4, v33, v4
	buffer_store_dword v4, v2, s[0:3], 0 offen offset:4
	buffer_store_dword v3, v2, s[0:3], 0 offen
	s_cbranch_scc1 .LBB2096_292
; %bb.293:                              ;   in Loop: Header=BB2096_236 Depth=1
	buffer_load_dword v2, off, s[0:3], 0 offset:80
	buffer_load_dword v3, off, s[0:3], 0 offset:84
	;; [unrolled: 1-line block ×4, first 2 shown]
.LBB2096_294:                           ;   in Loop: Header=BB2096_236 Depth=1
	s_or_b64 exec, exec, s[16:17]
	v_and_b32_e32 v32, 1, v34
	v_cmp_eq_u32_e32 vcc, 1, v32
	s_or_b64 s[16:17], s[10:11], vcc
	v_cndmask_b32_e64 v32, 0, 1, s[16:17]
	s_andn2_b64 s[10:11], s[10:11], exec
	s_and_b64 s[16:17], s[16:17], exec
	s_or_b64 s[10:11], s[10:11], s[16:17]
	s_waitcnt vmcnt(2)
	buffer_store_dword v3, off, s[0:3], 0 offset:140
	buffer_store_dword v2, off, s[0:3], 0 offset:136
	s_waitcnt vmcnt(2)
	buffer_store_dword v5, off, s[0:3], 0 offset:148
	buffer_store_dword v4, off, s[0:3], 0 offset:144
	buffer_store_byte v32, off, s[0:3], 0 offset:152
.LBB2096_295:                           ;   in Loop: Header=BB2096_236 Depth=1
	s_or_b64 exec, exec, s[14:15]
	buffer_load_ubyte v32, off, s[0:3], 0 offset:132
                                        ; implicit-def: $vgpr4_vgpr5
                                        ; implicit-def: $vgpr2_vgpr3
	s_waitcnt vmcnt(0)
	v_cmp_ne_u16_e32 vcc, 0, v32
	s_and_saveexec_b64 s[14:15], vcc
	s_xor_b64 s[14:15], exec, s[14:15]
	s_cbranch_execz .LBB2096_297
; %bb.296:                              ;   in Loop: Header=BB2096_236 Depth=1
	buffer_load_dword v2, off, s[0:3], 0 offset:116
	buffer_load_dword v3, off, s[0:3], 0 offset:120
	;; [unrolled: 1-line block ×4, first 2 shown]
.LBB2096_297:                           ;   in Loop: Header=BB2096_236 Depth=1
	s_andn2_saveexec_b64 s[14:15], s[14:15]
	s_cbranch_execz .LBB2096_303
; %bb.298:                              ;   in Loop: Header=BB2096_236 Depth=1
	s_mov_b32 s9, 0
	s_waitcnt vmcnt(0)
.LBB2096_299:                           ;   Parent Loop BB2096_236 Depth=1
                                        ; =>  This Inner Loop Header: Depth=2
	v_add_u32_e32 v2, s9, v27
	s_add_i32 s9, s9, 8
	s_cmp_lg_u32 s9, 16
	buffer_store_dword v25, v2, s[0:3], 0 offen offset:4
	buffer_store_dword v25, v2, s[0:3], 0 offen
	s_cbranch_scc1 .LBB2096_299
; %bb.300:                              ;   in Loop: Header=BB2096_236 Depth=1
	s_mov_b32 s9, 0
.LBB2096_301:                           ;   Parent Loop BB2096_236 Depth=1
                                        ; =>  This Inner Loop Header: Depth=2
	v_add_u32_e32 v2, s9, v29
	v_add_u32_e32 v3, s9, v30
	buffer_load_dword v4, v2, s[0:3], 0 offen offset:4
	buffer_load_dword v5, v3, s[0:3], 0 offen
	buffer_load_dword v33, v2, s[0:3], 0 offen
	buffer_load_dword v34, v3, s[0:3], 0 offen offset:4
	v_add_u32_e32 v2, s9, v27
	s_add_i32 s9, s9, 8
	s_cmp_lg_u32 s9, 16
	s_waitcnt vmcnt(1)
	v_add_u32_e32 v3, v5, v33
	s_waitcnt vmcnt(0)
	v_add_u32_e32 v4, v34, v4
	buffer_store_dword v4, v2, s[0:3], 0 offen offset:4
	buffer_store_dword v3, v2, s[0:3], 0 offen
	s_cbranch_scc1 .LBB2096_301
; %bb.302:                              ;   in Loop: Header=BB2096_236 Depth=1
	buffer_load_dword v2, off, s[0:3], 0
	buffer_load_dword v3, off, s[0:3], 0 offset:4
	buffer_load_dword v4, off, s[0:3], 0 offset:8
	;; [unrolled: 1-line block ×3, first 2 shown]
.LBB2096_303:                           ;   in Loop: Header=BB2096_236 Depth=1
	s_or_b64 exec, exec, s[14:15]
	v_and_b32_e32 v32, 1, v32
	v_cmp_eq_u32_e32 vcc, 1, v32
	s_or_b64 s[10:11], vcc, s[10:11]
	v_subrev_u32_e32 v6, 64, v6
	v_cndmask_b32_e64 v32, 0, 1, s[10:11]
	s_waitcnt vmcnt(2)
	buffer_store_dword v3, off, s[0:3], 0 offset:120
	buffer_store_dword v2, off, s[0:3], 0 offset:116
	s_waitcnt vmcnt(2)
	buffer_store_dword v5, off, s[0:3], 0 offset:128
	buffer_store_dword v4, off, s[0:3], 0 offset:124
	buffer_store_byte v32, off, s[0:3], 0 offset:132
	s_branch .LBB2096_236
.LBB2096_304:
	buffer_load_dword v1, off, s[0:3], 0 offset:120
	buffer_load_dword v2, off, s[0:3], 0 offset:116
	;; [unrolled: 1-line block ×5, first 2 shown]
	s_waitcnt vmcnt(4)
	buffer_store_dword v1, off, s[0:3], 0 offset:4
	s_waitcnt vmcnt(4)
	buffer_store_dword v2, off, s[0:3], 0
	s_waitcnt vmcnt(4)
	buffer_store_dword v3, off, s[0:3], 0 offset:12
	s_waitcnt vmcnt(4)
	buffer_store_dword v4, off, s[0:3], 0 offset:8
	;; [unrolled: 2-line block ×3, first 2 shown]
	s_and_saveexec_b64 s[10:11], s[6:7]
	s_cbranch_execz .LBB2096_314
; %bb.305:
	buffer_load_ubyte v1, off, s[0:3], 0 offset:172
                                        ; implicit-def: $vgpr4_vgpr5
	s_waitcnt vmcnt(0)
	v_cmp_ne_u16_e32 vcc, 0, v1
	s_and_saveexec_b64 s[6:7], vcc
	s_xor_b64 s[6:7], exec, s[6:7]
	s_cbranch_execz .LBB2096_307
; %bb.306:
	buffer_load_dword v2, off, s[0:3], 0 offset:156
	buffer_load_dword v3, off, s[0:3], 0 offset:160
	buffer_load_dword v4, off, s[0:3], 0 offset:164
	buffer_load_dword v5, off, s[0:3], 0 offset:168
.LBB2096_307:
	s_andn2_saveexec_b64 s[6:7], s[6:7]
	s_cbranch_execz .LBB2096_313
; %bb.308:
	s_mov_b32 s9, 0
	s_waitcnt vmcnt(3)
	v_mov_b32_e32 v2, 0x60
	s_waitcnt vmcnt(2)
	v_mov_b32_e32 v3, 0
	s_waitcnt vmcnt(0)
.LBB2096_309:                           ; =>This Inner Loop Header: Depth=1
	v_add_u32_e32 v4, s9, v2
	s_add_i32 s9, s9, 8
	s_cmp_lg_u32 s9, 16
	buffer_store_dword v3, v4, s[0:3], 0 offen offset:4
	buffer_store_dword v3, v4, s[0:3], 0 offen
	s_cbranch_scc1 .LBB2096_309
; %bb.310:
	s_mov_b32 s9, 0
	v_mov_b32_e32 v2, 0
	v_mov_b32_e32 v3, 0x9c
	;; [unrolled: 1-line block ×3, first 2 shown]
.LBB2096_311:                           ; =>This Inner Loop Header: Depth=1
	v_add_u32_e32 v5, s9, v2
	v_add_u32_e32 v7, s9, v3
	buffer_load_dword v8, v5, s[0:3], 0 offen offset:4
	buffer_load_dword v9, v7, s[0:3], 0 offen
	buffer_load_dword v14, v5, s[0:3], 0 offen
	buffer_load_dword v15, v7, s[0:3], 0 offen offset:4
                                        ; kill: killed $vgpr5
	v_add_u32_e32 v5, s9, v4
	s_add_i32 s9, s9, 8
	s_cmp_lg_u32 s9, 16
                                        ; kill: killed $vgpr7
	s_waitcnt vmcnt(1)
	v_add_u32_e32 v7, v9, v14
	s_waitcnt vmcnt(0)
	v_add_u32_e32 v8, v15, v8
	buffer_store_dword v8, v5, s[0:3], 0 offen offset:4
	buffer_store_dword v7, v5, s[0:3], 0 offen
	s_cbranch_scc1 .LBB2096_311
; %bb.312:
	buffer_load_dword v2, off, s[0:3], 0 offset:96
	buffer_load_dword v3, off, s[0:3], 0 offset:100
	;; [unrolled: 1-line block ×4, first 2 shown]
.LBB2096_313:
	s_or_b64 exec, exec, s[6:7]
	s_add_i32 s8, s8, 64
	s_mul_i32 s6, s8, 20
	v_or_b32_e32 v1, v1, v6
	s_mul_hi_u32 s7, s8, 20
	s_add_u32 s6, s22, s6
	v_and_b32_e32 v1, 1, v1
	s_addc_u32 s7, s23, s7
	v_mov_b32_e32 v6, 0
	s_waitcnt vmcnt(0)
	global_store_dwordx4 v6, v[2:5], s[6:7]
	global_store_byte v6, v1, s[6:7] offset:16
	v_mov_b32_e32 v1, s8
	v_mov_b32_e32 v2, 2
	s_waitcnt vmcnt(0)
	buffer_wbinvl1_vol
	global_store_byte v1, v2, s[24:25]
	buffer_load_dword v2, off, s[0:3], 0
	s_nop 0
	buffer_load_dword v1, off, s[0:3], 0 offset:4
	buffer_load_dword v4, off, s[0:3], 0 offset:8
	;; [unrolled: 1-line block ×3, first 2 shown]
	buffer_load_ubyte v6, off, s[0:3], 0 offset:16
.LBB2096_314:
	s_or_b64 exec, exec, s[10:11]
	v_cmp_eq_u32_e32 vcc, 0, v0
	s_and_b64 exec, exec, vcc
	s_cbranch_execz .LBB2096_316
; %bb.315:
	v_mov_b32_e32 v5, 0
	s_waitcnt vmcnt(3)
	ds_write2_b32 v5, v2, v1 offset0:15 offset1:16
	s_waitcnt vmcnt(1)
	ds_write2_b32 v5, v4, v3 offset0:17 offset1:18
	s_waitcnt vmcnt(0)
	ds_write_b8 v5, v6 offset:76
.LBB2096_316:
	s_or_b64 exec, exec, s[12:13]
	s_waitcnt lgkmcnt(0)
	s_barrier
	buffer_load_dword v1, off, s[0:3], 0 offset:220
	buffer_load_dword v7, off, s[0:3], 0 offset:216
	buffer_load_dword v8, off, s[0:3], 0 offset:212
	buffer_load_dword v9, off, s[0:3], 0 offset:208
	buffer_load_dword v14, off, s[0:3], 0 offset:224
	s_waitcnt vmcnt(5)
	v_mov_b32_e32 v6, 0
	ds_read2_b32 v[2:3], v6 offset0:15 offset1:16
	ds_read2_b32 v[4:5], v6 offset0:17 offset1:18
	ds_read_b32 v6, v6 offset:76
	v_cmp_ne_u32_e32 vcc, 0, v0
	s_waitcnt lgkmcnt(2)
	buffer_store_dword v3, off, s[0:3], 0 offset:4
	buffer_store_dword v2, off, s[0:3], 0
	s_waitcnt lgkmcnt(1)
	buffer_store_dword v5, off, s[0:3], 0 offset:12
	buffer_store_dword v4, off, s[0:3], 0 offset:8
	s_waitcnt lgkmcnt(0)
	buffer_store_dword v6, off, s[0:3], 0 offset:16
	buffer_store_dword v5, off, s[0:3], 0 offset:128
	;; [unrolled: 1-line block ×6, first 2 shown]
	s_waitcnt vmcnt(14)
	buffer_store_dword v1, off, s[0:3], 0 offset:108
	s_waitcnt vmcnt(14)
	buffer_store_dword v7, off, s[0:3], 0 offset:104
	;; [unrolled: 2-line block ×5, first 2 shown]
                                        ; implicit-def: $vgpr1
	s_and_saveexec_b64 s[6:7], vcc
	s_xor_b64 s[6:7], exec, s[6:7]
	s_cbranch_execz .LBB2096_326
; %bb.317:
	buffer_load_ubyte v1, off, s[0:3], 0 offset:192
                                        ; implicit-def: $vgpr4_vgpr5
                                        ; implicit-def: $vgpr2_vgpr3
	s_waitcnt vmcnt(0)
	v_cmp_ne_u16_e32 vcc, 0, v1
	s_and_saveexec_b64 s[8:9], vcc
	s_xor_b64 s[8:9], exec, s[8:9]
	s_cbranch_execz .LBB2096_319
; %bb.318:
	buffer_load_dword v2, off, s[0:3], 0 offset:176
	buffer_load_dword v3, off, s[0:3], 0 offset:180
	;; [unrolled: 1-line block ×4, first 2 shown]
.LBB2096_319:
	s_andn2_saveexec_b64 s[8:9], s[8:9]
	s_cbranch_execz .LBB2096_325
; %bb.320:
	s_mov_b32 s10, 0
	s_waitcnt vmcnt(3)
	v_mov_b32_e32 v2, 0x88
	s_waitcnt vmcnt(2)
	v_mov_b32_e32 v3, 0
	s_waitcnt vmcnt(0)
.LBB2096_321:                           ; =>This Inner Loop Header: Depth=1
	v_add_u32_e32 v4, s10, v2
	s_add_i32 s10, s10, 8
	s_cmp_lg_u32 s10, 16
	buffer_store_dword v3, v4, s[0:3], 0 offen offset:4
	buffer_store_dword v3, v4, s[0:3], 0 offen
	s_cbranch_scc1 .LBB2096_321
; %bb.322:
	s_mov_b32 s10, 0
	v_mov_b32_e32 v2, 0
	v_mov_b32_e32 v3, 0xb0
	;; [unrolled: 1-line block ×3, first 2 shown]
.LBB2096_323:                           ; =>This Inner Loop Header: Depth=1
	v_add_u32_e32 v5, s10, v2
	v_add_u32_e32 v7, s10, v3
	buffer_load_dword v8, v5, s[0:3], 0 offen offset:4
	buffer_load_dword v9, v7, s[0:3], 0 offen
	buffer_load_dword v14, v5, s[0:3], 0 offen
	buffer_load_dword v15, v7, s[0:3], 0 offen offset:4
                                        ; kill: killed $vgpr5
	v_add_u32_e32 v5, s10, v4
	s_add_i32 s10, s10, 8
	s_cmp_lg_u32 s10, 16
                                        ; kill: killed $vgpr7
	s_waitcnt vmcnt(1)
	v_add_u32_e32 v7, v9, v14
	s_waitcnt vmcnt(0)
	v_add_u32_e32 v8, v15, v8
	buffer_store_dword v8, v5, s[0:3], 0 offen offset:4
	buffer_store_dword v7, v5, s[0:3], 0 offen
	s_cbranch_scc1 .LBB2096_323
; %bb.324:
	buffer_load_dword v2, off, s[0:3], 0 offset:136
	buffer_load_dword v3, off, s[0:3], 0 offset:140
	;; [unrolled: 1-line block ×4, first 2 shown]
.LBB2096_325:
	s_or_b64 exec, exec, s[8:9]
	v_or_b32_e32 v1, v1, v6
	v_and_b32_e32 v1, 1, v1
	s_waitcnt vmcnt(2)
	buffer_store_dword v3, off, s[0:3], 0 offset:120
	buffer_store_dword v2, off, s[0:3], 0 offset:116
	s_waitcnt vmcnt(2)
	buffer_store_dword v5, off, s[0:3], 0 offset:128
	buffer_store_dword v4, off, s[0:3], 0 offset:124
.LBB2096_326:
	s_andn2_saveexec_b64 s[6:7], s[6:7]
	s_cbranch_execz .LBB2096_328
; %bb.327:
	buffer_load_ubyte v1, off, s[0:3], 0 offset:132
.LBB2096_328:
	s_or_b64 exec, exec, s[6:7]
	buffer_load_dword v2, off, s[0:3], 0 offset:128
	buffer_load_dword v3, off, s[0:3], 0 offset:124
	;; [unrolled: 1-line block ×4, first 2 shown]
	buffer_load_ubyte v7, off, s[0:3], 0 offset:112
	s_waitcnt vmcnt(5)
	buffer_store_byte v1, off, s[0:3], 0 offset:224
	s_waitcnt vmcnt(5)
	buffer_store_dword v2, off, s[0:3], 0 offset:220
	s_waitcnt vmcnt(5)
	buffer_store_dword v3, off, s[0:3], 0 offset:216
	;; [unrolled: 2-line block ×4, first 2 shown]
	s_waitcnt vmcnt(5)
	v_cmp_ne_u16_e32 vcc, 0, v7
                                        ; implicit-def: $vgpr4_vgpr5
                                        ; implicit-def: $vgpr2_vgpr3
	s_and_saveexec_b64 s[6:7], vcc
	s_xor_b64 s[6:7], exec, s[6:7]
	s_cbranch_execz .LBB2096_330
; %bb.329:
	buffer_load_dword v2, off, s[0:3], 0 offset:96
	buffer_load_dword v3, off, s[0:3], 0 offset:100
	;; [unrolled: 1-line block ×4, first 2 shown]
.LBB2096_330:
	s_andn2_saveexec_b64 s[6:7], s[6:7]
	s_cbranch_execz .LBB2096_336
; %bb.331:
	s_mov_b32 s8, 0
	s_waitcnt vmcnt(3)
	v_mov_b32_e32 v2, 0x88
	s_waitcnt vmcnt(2)
	v_mov_b32_e32 v3, 0
	s_waitcnt vmcnt(0)
.LBB2096_332:                           ; =>This Inner Loop Header: Depth=1
	v_add_u32_e32 v4, s8, v2
	s_add_i32 s8, s8, 8
	s_cmp_lg_u32 s8, 16
	buffer_store_dword v3, v4, s[0:3], 0 offen offset:4
	buffer_store_dword v3, v4, s[0:3], 0 offen
	s_cbranch_scc1 .LBB2096_332
; %bb.333:
	s_mov_b32 s8, 0
	v_mov_b32_e32 v2, 0x74
	v_mov_b32_e32 v3, 0x60
	;; [unrolled: 1-line block ×3, first 2 shown]
.LBB2096_334:                           ; =>This Inner Loop Header: Depth=1
	v_add_u32_e32 v5, s8, v2
	v_add_u32_e32 v6, s8, v3
	buffer_load_dword v8, v5, s[0:3], 0 offen offset:4
	buffer_load_dword v9, v6, s[0:3], 0 offen
	buffer_load_dword v14, v5, s[0:3], 0 offen
	buffer_load_dword v15, v6, s[0:3], 0 offen offset:4
                                        ; kill: killed $vgpr5
	v_add_u32_e32 v5, s8, v4
	s_add_i32 s8, s8, 8
	s_cmp_lg_u32 s8, 16
                                        ; kill: killed $vgpr6
	s_waitcnt vmcnt(1)
	v_add_u32_e32 v6, v9, v14
	s_waitcnt vmcnt(0)
	v_add_u32_e32 v8, v15, v8
	buffer_store_dword v8, v5, s[0:3], 0 offen offset:4
	buffer_store_dword v6, v5, s[0:3], 0 offen
	s_cbranch_scc1 .LBB2096_334
; %bb.335:
	buffer_load_dword v2, off, s[0:3], 0 offset:136
	buffer_load_dword v3, off, s[0:3], 0 offset:140
	;; [unrolled: 1-line block ×4, first 2 shown]
.LBB2096_336:
	s_or_b64 exec, exec, s[6:7]
	buffer_load_dword v8, v10, s[0:3], 0 offen offset:12
	buffer_load_dword v9, v10, s[0:3], 0 offen offset:8
	;; [unrolled: 1-line block ×3, first 2 shown]
	buffer_load_dword v15, v10, s[0:3], 0 offen
	buffer_load_ubyte v6, off, s[0:3], 0 offset:244
	v_or_b32_e32 v1, v7, v1
	v_and_b32_e32 v1, 1, v1
	v_cmp_eq_u32_e32 vcc, 1, v1
	s_waitcnt vmcnt(7)
	buffer_store_dword v3, off, s[0:3], 0 offset:120
	buffer_store_dword v2, off, s[0:3], 0 offset:116
	s_waitcnt vmcnt(7)
	buffer_store_dword v5, off, s[0:3], 0 offset:128
	buffer_store_dword v4, off, s[0:3], 0 offset:124
	buffer_store_dword v2, v10, s[0:3], 0 offen
	buffer_store_dword v3, v10, s[0:3], 0 offen offset:4
	buffer_store_dword v4, v10, s[0:3], 0 offen offset:8
	;; [unrolled: 1-line block ×3, first 2 shown]
                                        ; implicit-def: $vgpr4_vgpr5
                                        ; implicit-def: $vgpr2_vgpr3
	buffer_store_byte v1, off, s[0:3], 0 offset:244
	s_waitcnt vmcnt(13)
	buffer_store_dword v8, off, s[0:3], 0 offset:108
	s_waitcnt vmcnt(13)
	buffer_store_dword v9, off, s[0:3], 0 offset:104
	;; [unrolled: 2-line block ×4, first 2 shown]
	s_waitcnt vmcnt(13)
	v_cmp_ne_u16_e64 s[6:7], 0, v6
	s_and_saveexec_b64 s[8:9], s[6:7]
	s_xor_b64 s[6:7], exec, s[8:9]
	s_cbranch_execz .LBB2096_338
; %bb.337:
	buffer_load_dword v2, off, s[0:3], 0 offset:96
	buffer_load_dword v3, off, s[0:3], 0 offset:100
	;; [unrolled: 1-line block ×4, first 2 shown]
.LBB2096_338:
	s_andn2_saveexec_b64 s[6:7], s[6:7]
	s_cbranch_execz .LBB2096_344
; %bb.339:
	s_mov_b32 s8, 0
	v_mov_b32_e32 v1, 0x88
	s_waitcnt vmcnt(3)
	v_mov_b32_e32 v2, 0
	s_waitcnt vmcnt(0)
.LBB2096_340:                           ; =>This Inner Loop Header: Depth=1
	v_add_u32_e32 v3, s8, v1
	s_add_i32 s8, s8, 8
	s_cmp_lg_u32 s8, 16
	buffer_store_dword v2, v3, s[0:3], 0 offen offset:4
	buffer_store_dword v2, v3, s[0:3], 0 offen
	s_cbranch_scc1 .LBB2096_340
; %bb.341:
	s_mov_b32 s8, 0
	v_mov_b32_e32 v1, 0x74
	v_mov_b32_e32 v2, 0x60
	;; [unrolled: 1-line block ×3, first 2 shown]
.LBB2096_342:                           ; =>This Inner Loop Header: Depth=1
	v_add_u32_e32 v4, s8, v1
	v_add_u32_e32 v5, s8, v2
	buffer_load_dword v7, v4, s[0:3], 0 offen offset:4
	buffer_load_dword v8, v5, s[0:3], 0 offen
	buffer_load_dword v9, v4, s[0:3], 0 offen
	buffer_load_dword v14, v5, s[0:3], 0 offen offset:4
                                        ; kill: killed $vgpr4
	v_add_u32_e32 v4, s8, v3
	s_add_i32 s8, s8, 8
	s_cmp_lg_u32 s8, 16
                                        ; kill: killed $vgpr5
	s_waitcnt vmcnt(1)
	v_add_u32_e32 v5, v8, v9
	s_waitcnt vmcnt(0)
	v_add_u32_e32 v7, v14, v7
	buffer_store_dword v7, v4, s[0:3], 0 offen offset:4
	buffer_store_dword v5, v4, s[0:3], 0 offen
	s_cbranch_scc1 .LBB2096_342
; %bb.343:
	buffer_load_dword v2, off, s[0:3], 0 offset:136
	buffer_load_dword v3, off, s[0:3], 0 offset:140
	;; [unrolled: 1-line block ×4, first 2 shown]
.LBB2096_344:
	s_or_b64 exec, exec, s[6:7]
	buffer_load_dword v7, v11, s[0:3], 0 offen offset:12
	buffer_load_dword v8, v11, s[0:3], 0 offen offset:8
	;; [unrolled: 1-line block ×3, first 2 shown]
	buffer_load_dword v14, v11, s[0:3], 0 offen
	buffer_load_ubyte v1, off, s[0:3], 0 offset:264
	v_and_b32_e32 v6, 1, v6
	v_cmp_eq_u32_e64 s[6:7], 1, v6
	s_or_b64 s[6:7], s[6:7], vcc
	s_waitcnt vmcnt(7)
	buffer_store_dword v3, off, s[0:3], 0 offset:120
	buffer_store_dword v2, off, s[0:3], 0 offset:116
	s_waitcnt vmcnt(7)
	buffer_store_dword v5, off, s[0:3], 0 offset:128
	buffer_store_dword v4, off, s[0:3], 0 offset:124
	buffer_store_dword v2, v11, s[0:3], 0 offen
	buffer_store_dword v3, v11, s[0:3], 0 offen offset:4
	buffer_store_dword v4, v11, s[0:3], 0 offen offset:8
	;; [unrolled: 1-line block ×3, first 2 shown]
	v_cndmask_b32_e64 v2, 0, 1, s[6:7]
                                        ; implicit-def: $vgpr4_vgpr5
	buffer_store_byte v2, off, s[0:3], 0 offset:264
	s_waitcnt vmcnt(13)
	buffer_store_dword v7, off, s[0:3], 0 offset:108
	s_waitcnt vmcnt(13)
	buffer_store_dword v8, off, s[0:3], 0 offset:104
	;; [unrolled: 2-line block ×4, first 2 shown]
	s_waitcnt vmcnt(13)
	v_cmp_ne_u16_e32 vcc, 0, v1
                                        ; implicit-def: $vgpr2_vgpr3
	s_and_saveexec_b64 s[8:9], vcc
	s_xor_b64 s[8:9], exec, s[8:9]
	s_cbranch_execz .LBB2096_346
; %bb.345:
	buffer_load_dword v2, off, s[0:3], 0 offset:96
	buffer_load_dword v3, off, s[0:3], 0 offset:100
	;; [unrolled: 1-line block ×4, first 2 shown]
.LBB2096_346:
	s_andn2_saveexec_b64 s[8:9], s[8:9]
	s_cbranch_execz .LBB2096_352
; %bb.347:
	s_mov_b32 s10, 0
	s_waitcnt vmcnt(3)
	v_mov_b32_e32 v2, 0x88
	s_waitcnt vmcnt(2)
	v_mov_b32_e32 v3, 0
	s_waitcnt vmcnt(0)
.LBB2096_348:                           ; =>This Inner Loop Header: Depth=1
	v_add_u32_e32 v4, s10, v2
	s_add_i32 s10, s10, 8
	s_cmp_lg_u32 s10, 16
	buffer_store_dword v3, v4, s[0:3], 0 offen offset:4
	buffer_store_dword v3, v4, s[0:3], 0 offen
	s_cbranch_scc1 .LBB2096_348
; %bb.349:
	s_mov_b32 s10, 0
	v_mov_b32_e32 v2, 0x74
	v_mov_b32_e32 v3, 0x60
	;; [unrolled: 1-line block ×3, first 2 shown]
.LBB2096_350:                           ; =>This Inner Loop Header: Depth=1
	v_add_u32_e32 v5, s10, v2
	v_add_u32_e32 v6, s10, v3
	buffer_load_dword v7, v5, s[0:3], 0 offen offset:4
	buffer_load_dword v8, v6, s[0:3], 0 offen
	buffer_load_dword v9, v5, s[0:3], 0 offen
	buffer_load_dword v14, v6, s[0:3], 0 offen offset:4
                                        ; kill: killed $vgpr5
	v_add_u32_e32 v5, s10, v4
	s_add_i32 s10, s10, 8
	s_cmp_lg_u32 s10, 16
                                        ; kill: killed $vgpr6
	s_waitcnt vmcnt(1)
	v_add_u32_e32 v6, v8, v9
	s_waitcnt vmcnt(0)
	v_add_u32_e32 v7, v14, v7
	buffer_store_dword v7, v5, s[0:3], 0 offen offset:4
	buffer_store_dword v6, v5, s[0:3], 0 offen
	s_cbranch_scc1 .LBB2096_350
; %bb.351:
	buffer_load_dword v2, off, s[0:3], 0 offset:136
	buffer_load_dword v3, off, s[0:3], 0 offset:140
	;; [unrolled: 1-line block ×4, first 2 shown]
.LBB2096_352:
	s_or_b64 exec, exec, s[8:9]
	buffer_load_dword v7, v12, s[0:3], 0 offen offset:12
	buffer_load_dword v8, v12, s[0:3], 0 offen offset:8
	;; [unrolled: 1-line block ×3, first 2 shown]
	buffer_load_dword v14, v12, s[0:3], 0 offen
	buffer_load_ubyte v6, off, s[0:3], 0 offset:284
	v_and_b32_e32 v1, 1, v1
	v_cmp_eq_u32_e32 vcc, 1, v1
	s_or_b64 s[6:7], vcc, s[6:7]
	v_cndmask_b32_e64 v1, 0, 1, s[6:7]
	s_waitcnt vmcnt(7)
	buffer_store_dword v3, off, s[0:3], 0 offset:120
	buffer_store_dword v2, off, s[0:3], 0 offset:116
	s_waitcnt vmcnt(7)
	buffer_store_dword v5, off, s[0:3], 0 offset:128
	buffer_store_dword v4, off, s[0:3], 0 offset:124
	buffer_store_dword v2, v12, s[0:3], 0 offen
	buffer_store_dword v3, v12, s[0:3], 0 offen offset:4
	buffer_store_dword v4, v12, s[0:3], 0 offen offset:8
	;; [unrolled: 1-line block ×3, first 2 shown]
                                        ; implicit-def: $vgpr4_vgpr5
                                        ; implicit-def: $vgpr2_vgpr3
	buffer_store_byte v1, off, s[0:3], 0 offset:284
	s_waitcnt vmcnt(13)
	buffer_store_dword v7, off, s[0:3], 0 offset:108
	s_waitcnt vmcnt(13)
	buffer_store_dword v8, off, s[0:3], 0 offset:104
	;; [unrolled: 2-line block ×4, first 2 shown]
	s_waitcnt vmcnt(13)
	v_cmp_ne_u16_e32 vcc, 0, v6
	s_and_saveexec_b64 s[8:9], vcc
	s_xor_b64 s[8:9], exec, s[8:9]
	s_cbranch_execz .LBB2096_354
; %bb.353:
	buffer_load_dword v2, off, s[0:3], 0 offset:96
	buffer_load_dword v3, off, s[0:3], 0 offset:100
	;; [unrolled: 1-line block ×4, first 2 shown]
.LBB2096_354:
	s_andn2_saveexec_b64 s[8:9], s[8:9]
	s_cbranch_execz .LBB2096_360
; %bb.355:
	s_mov_b32 s10, 0
	v_mov_b32_e32 v1, 0x88
	s_waitcnt vmcnt(3)
	v_mov_b32_e32 v2, 0
	s_waitcnt vmcnt(0)
.LBB2096_356:                           ; =>This Inner Loop Header: Depth=1
	v_add_u32_e32 v3, s10, v1
	s_add_i32 s10, s10, 8
	s_cmp_lg_u32 s10, 16
	buffer_store_dword v2, v3, s[0:3], 0 offen offset:4
	buffer_store_dword v2, v3, s[0:3], 0 offen
	s_cbranch_scc1 .LBB2096_356
; %bb.357:
	s_mov_b32 s10, 0
	v_mov_b32_e32 v1, 0x74
	v_mov_b32_e32 v2, 0x60
	;; [unrolled: 1-line block ×3, first 2 shown]
.LBB2096_358:                           ; =>This Inner Loop Header: Depth=1
	v_add_u32_e32 v4, s10, v1
	v_add_u32_e32 v5, s10, v2
	buffer_load_dword v7, v4, s[0:3], 0 offen offset:4
	buffer_load_dword v8, v5, s[0:3], 0 offen
	buffer_load_dword v9, v4, s[0:3], 0 offen
	buffer_load_dword v14, v5, s[0:3], 0 offen offset:4
                                        ; kill: killed $vgpr4
	v_add_u32_e32 v4, s10, v3
	s_add_i32 s10, s10, 8
	s_cmp_lg_u32 s10, 16
                                        ; kill: killed $vgpr5
	s_waitcnt vmcnt(1)
	v_add_u32_e32 v5, v8, v9
	s_waitcnt vmcnt(0)
	v_add_u32_e32 v7, v14, v7
	buffer_store_dword v7, v4, s[0:3], 0 offen offset:4
	buffer_store_dword v5, v4, s[0:3], 0 offen
	s_cbranch_scc1 .LBB2096_358
; %bb.359:
	buffer_load_dword v2, off, s[0:3], 0 offset:136
	buffer_load_dword v3, off, s[0:3], 0 offset:140
	;; [unrolled: 1-line block ×4, first 2 shown]
.LBB2096_360:
	s_or_b64 exec, exec, s[8:9]
	v_and_b32_e32 v1, 1, v6
	v_cmp_eq_u32_e32 vcc, 1, v1
	s_or_b64 s[6:7], vcc, s[6:7]
	v_cndmask_b32_e64 v1, 0, 1, s[6:7]
	s_waitcnt vmcnt(0)
	buffer_store_dword v5, v13, s[0:3], 0 offen offset:12
	buffer_store_dword v4, v13, s[0:3], 0 offen offset:8
	;; [unrolled: 1-line block ×3, first 2 shown]
	buffer_store_dword v2, v13, s[0:3], 0 offen
	buffer_store_byte v1, off, s[0:3], 0 offset:304
	s_branch .LBB2096_535
.LBB2096_361:
	s_cbranch_execz .LBB2096_535
; %bb.362:
	s_cmp_lg_u64 s[42:43], 0
	s_cselect_b32 s7, s39, 0
	s_cselect_b32 s6, s38, 0
	s_mov_b32 s8, 0
	s_cmp_eq_u64 s[6:7], 0
	v_pk_mov_b32 v[2:3], s[28:29], s[28:29] op_sel:[0,1]
	v_pk_mov_b32 v[4:5], s[30:31], s[30:31] op_sel:[0,1]
	s_cbranch_scc1 .LBB2096_364
; %bb.363:
	v_mov_b32_e32 v1, 0
	global_load_dwordx4 v[2:5], v1, s[6:7]
.LBB2096_364:
	v_mov_b32_e32 v1, 0
	v_mov_b32_e32 v6, 0xb0
	buffer_store_dword v1, off, s[0:3], 0 offset:188
	buffer_store_dword v1, off, s[0:3], 0 offset:184
	;; [unrolled: 1-line block ×5, first 2 shown]
.LBB2096_365:                           ; =>This Inner Loop Header: Depth=1
	v_add_u32_e32 v7, s8, v6
	s_add_i32 s8, s8, 8
	s_cmp_lg_u32 s8, 16
	buffer_store_dword v1, v7, s[0:3], 0 offen offset:4
	buffer_store_dword v1, v7, s[0:3], 0 offen
	s_cbranch_scc1 .LBB2096_365
; %bb.366:
	buffer_load_dword v6, off, s[0:3], 0 offset:220
	buffer_load_dword v7, off, s[0:3], 0 offset:216
	;; [unrolled: 1-line block ×5, first 2 shown]
	buffer_load_ubyte v14, off, s[0:3], 0 offset:244
	v_mov_b32_e32 v15, 0
	s_waitcnt vmcnt(13)
	buffer_store_dword v3, off, s[0:3], 0 offset:160
	buffer_store_dword v2, off, s[0:3], 0 offset:156
	;; [unrolled: 1-line block ×4, first 2 shown]
	buffer_store_byte v15, off, s[0:3], 0 offset:192
	buffer_store_byte v15, off, s[0:3], 0 offset:172
	s_waitcnt vmcnt(11)
	buffer_store_dword v6, off, s[0:3], 0 offset:148
	s_waitcnt vmcnt(11)
	buffer_store_dword v7, off, s[0:3], 0 offset:144
	;; [unrolled: 2-line block ×5, first 2 shown]
	s_waitcnt vmcnt(11)
	v_cmp_ne_u16_e32 vcc, 0, v14
                                        ; implicit-def: $vgpr8_vgpr9
                                        ; implicit-def: $vgpr6_vgpr7
	s_and_saveexec_b64 s[6:7], vcc
	s_xor_b64 s[6:7], exec, s[6:7]
	s_cbranch_execz .LBB2096_368
; %bb.367:
	buffer_load_dword v6, off, s[0:3], 0 offset:228
	buffer_load_dword v7, off, s[0:3], 0 offset:232
	;; [unrolled: 1-line block ×4, first 2 shown]
.LBB2096_368:
	s_andn2_saveexec_b64 s[6:7], s[6:7]
	s_cbranch_execz .LBB2096_374
; %bb.369:
	s_mov_b32 s8, 0
	s_waitcnt vmcnt(3)
	v_mov_b32_e32 v6, 0
	s_waitcnt vmcnt(2)
	v_mov_b32_e32 v7, 0
	s_waitcnt vmcnt(0)
.LBB2096_370:                           ; =>This Inner Loop Header: Depth=1
	v_add_u32_e32 v8, s8, v6
	s_add_i32 s8, s8, 8
	s_cmp_lg_u32 s8, 16
	buffer_store_dword v7, v8, s[0:3], 0 offen offset:4
	buffer_store_dword v7, v8, s[0:3], 0 offen
	s_cbranch_scc1 .LBB2096_370
; %bb.371:
	s_mov_b32 s8, 0
	v_mov_b32_e32 v6, 0x88
	v_mov_b32_e32 v7, 0xd0
	;; [unrolled: 1-line block ×3, first 2 shown]
.LBB2096_372:                           ; =>This Inner Loop Header: Depth=1
	v_add_u32_e32 v9, s8, v6
	v_add_u32_e32 v15, s8, v7
	buffer_load_dword v16, v9, s[0:3], 0 offen offset:4
	buffer_load_dword v17, v15, s[0:3], 0 offen offset:20
	buffer_load_dword v18, v9, s[0:3], 0 offen
	buffer_load_dword v19, v15, s[0:3], 0 offen offset:24
                                        ; kill: killed $vgpr9
	v_add_u32_e32 v9, s8, v8
	s_add_i32 s8, s8, 8
	s_cmp_lg_u32 s8, 16
                                        ; kill: killed $vgpr15
	s_waitcnt vmcnt(1)
	v_add_u32_e32 v15, v17, v18
	s_waitcnt vmcnt(0)
	v_add_u32_e32 v16, v19, v16
	buffer_store_dword v16, v9, s[0:3], 0 offen offset:4
	buffer_store_dword v15, v9, s[0:3], 0 offen
	s_cbranch_scc1 .LBB2096_372
; %bb.373:
	buffer_load_dword v6, off, s[0:3], 0
	buffer_load_dword v7, off, s[0:3], 0 offset:4
	buffer_load_dword v8, off, s[0:3], 0 offset:8
	;; [unrolled: 1-line block ×3, first 2 shown]
.LBB2096_374:
	s_or_b64 exec, exec, s[6:7]
	buffer_load_ubyte v15, off, s[0:3], 0 offset:264
	s_waitcnt vmcnt(3)
	buffer_store_dword v7, off, s[0:3], 0 offset:140
	buffer_store_dword v6, off, s[0:3], 0 offset:136
	s_waitcnt vmcnt(3)
	buffer_store_dword v9, off, s[0:3], 0 offset:148
	buffer_store_dword v8, off, s[0:3], 0 offset:144
                                        ; implicit-def: $vgpr8_vgpr9
                                        ; implicit-def: $vgpr6_vgpr7
	s_waitcnt vmcnt(4)
	v_cmp_ne_u16_e32 vcc, 0, v15
	s_and_saveexec_b64 s[6:7], vcc
	s_xor_b64 s[6:7], exec, s[6:7]
	s_cbranch_execz .LBB2096_376
; %bb.375:
	buffer_load_dword v6, off, s[0:3], 0 offset:248
	buffer_load_dword v7, off, s[0:3], 0 offset:252
	;; [unrolled: 1-line block ×4, first 2 shown]
.LBB2096_376:
	s_andn2_saveexec_b64 s[6:7], s[6:7]
	s_cbranch_execz .LBB2096_382
; %bb.377:
	s_mov_b32 s8, 0
	s_waitcnt vmcnt(3)
	v_mov_b32_e32 v6, 0
	s_waitcnt vmcnt(2)
	v_mov_b32_e32 v7, 0
	s_waitcnt vmcnt(0)
.LBB2096_378:                           ; =>This Inner Loop Header: Depth=1
	v_add_u32_e32 v8, s8, v6
	s_add_i32 s8, s8, 8
	s_cmp_lg_u32 s8, 16
	buffer_store_dword v7, v8, s[0:3], 0 offen offset:4
	buffer_store_dword v7, v8, s[0:3], 0 offen
	s_cbranch_scc1 .LBB2096_378
; %bb.379:
	s_mov_b32 s8, 0
	v_mov_b32_e32 v6, 0x88
	v_mov_b32_e32 v7, 0xd0
	;; [unrolled: 1-line block ×3, first 2 shown]
.LBB2096_380:                           ; =>This Inner Loop Header: Depth=1
	v_add_u32_e32 v9, s8, v6
	v_add_u32_e32 v16, s8, v7
	buffer_load_dword v17, v9, s[0:3], 0 offen offset:4
	buffer_load_dword v18, v16, s[0:3], 0 offen offset:40
	buffer_load_dword v19, v9, s[0:3], 0 offen
	buffer_load_dword v20, v16, s[0:3], 0 offen offset:44
                                        ; kill: killed $vgpr9
	v_add_u32_e32 v9, s8, v8
	s_add_i32 s8, s8, 8
	s_cmp_lg_u32 s8, 16
                                        ; kill: killed $vgpr16
	s_waitcnt vmcnt(1)
	v_add_u32_e32 v16, v18, v19
	s_waitcnt vmcnt(0)
	v_add_u32_e32 v17, v20, v17
	buffer_store_dword v17, v9, s[0:3], 0 offen offset:4
	buffer_store_dword v16, v9, s[0:3], 0 offen
	s_cbranch_scc1 .LBB2096_380
; %bb.381:
	buffer_load_dword v6, off, s[0:3], 0
	buffer_load_dword v7, off, s[0:3], 0 offset:4
	buffer_load_dword v8, off, s[0:3], 0 offset:8
	;; [unrolled: 1-line block ×3, first 2 shown]
.LBB2096_382:
	s_or_b64 exec, exec, s[6:7]
	buffer_load_ubyte v16, off, s[0:3], 0 offset:284
	s_waitcnt vmcnt(3)
	buffer_store_dword v7, off, s[0:3], 0 offset:140
	buffer_store_dword v6, off, s[0:3], 0 offset:136
	s_waitcnt vmcnt(3)
	buffer_store_dword v9, off, s[0:3], 0 offset:148
	buffer_store_dword v8, off, s[0:3], 0 offset:144
                                        ; implicit-def: $vgpr8_vgpr9
                                        ; implicit-def: $vgpr6_vgpr7
	s_waitcnt vmcnt(4)
	v_cmp_ne_u16_e32 vcc, 0, v16
	s_and_saveexec_b64 s[6:7], vcc
	s_xor_b64 s[6:7], exec, s[6:7]
	s_cbranch_execz .LBB2096_384
; %bb.383:
	buffer_load_dword v6, off, s[0:3], 0 offset:268
	buffer_load_dword v7, off, s[0:3], 0 offset:272
	;; [unrolled: 1-line block ×4, first 2 shown]
.LBB2096_384:
	s_andn2_saveexec_b64 s[6:7], s[6:7]
	s_cbranch_execz .LBB2096_390
; %bb.385:
	s_mov_b32 s8, 0
	s_waitcnt vmcnt(3)
	v_mov_b32_e32 v6, 0
	s_waitcnt vmcnt(2)
	v_mov_b32_e32 v7, 0
	s_waitcnt vmcnt(0)
.LBB2096_386:                           ; =>This Inner Loop Header: Depth=1
	v_add_u32_e32 v8, s8, v6
	s_add_i32 s8, s8, 8
	s_cmp_lg_u32 s8, 16
	buffer_store_dword v7, v8, s[0:3], 0 offen offset:4
	buffer_store_dword v7, v8, s[0:3], 0 offen
	s_cbranch_scc1 .LBB2096_386
; %bb.387:
	s_mov_b32 s8, 0
	v_mov_b32_e32 v6, 0x88
	v_mov_b32_e32 v7, 0xd0
	;; [unrolled: 1-line block ×3, first 2 shown]
.LBB2096_388:                           ; =>This Inner Loop Header: Depth=1
	v_add_u32_e32 v9, s8, v6
	v_add_u32_e32 v17, s8, v7
	buffer_load_dword v18, v9, s[0:3], 0 offen offset:4
	buffer_load_dword v19, v17, s[0:3], 0 offen offset:60
	buffer_load_dword v20, v9, s[0:3], 0 offen
	buffer_load_dword v21, v17, s[0:3], 0 offen offset:64
                                        ; kill: killed $vgpr9
	v_add_u32_e32 v9, s8, v8
	s_add_i32 s8, s8, 8
	s_cmp_lg_u32 s8, 16
                                        ; kill: killed $vgpr17
	s_waitcnt vmcnt(1)
	v_add_u32_e32 v17, v19, v20
	s_waitcnt vmcnt(0)
	v_add_u32_e32 v18, v21, v18
	buffer_store_dword v18, v9, s[0:3], 0 offen offset:4
	buffer_store_dword v17, v9, s[0:3], 0 offen
	s_cbranch_scc1 .LBB2096_388
; %bb.389:
	buffer_load_dword v6, off, s[0:3], 0
	buffer_load_dword v7, off, s[0:3], 0 offset:4
	buffer_load_dword v8, off, s[0:3], 0 offset:8
	;; [unrolled: 1-line block ×3, first 2 shown]
.LBB2096_390:
	s_or_b64 exec, exec, s[6:7]
	buffer_load_ubyte v17, off, s[0:3], 0 offset:304
	s_waitcnt vmcnt(3)
	buffer_store_dword v7, off, s[0:3], 0 offset:140
	buffer_store_dword v6, off, s[0:3], 0 offset:136
	s_waitcnt vmcnt(3)
	buffer_store_dword v9, off, s[0:3], 0 offset:148
	buffer_store_dword v8, off, s[0:3], 0 offset:144
                                        ; implicit-def: $vgpr8_vgpr9
                                        ; implicit-def: $vgpr6_vgpr7
	s_waitcnt vmcnt(4)
	v_cmp_ne_u16_e32 vcc, 0, v17
	s_and_saveexec_b64 s[6:7], vcc
	s_xor_b64 s[6:7], exec, s[6:7]
	s_cbranch_execz .LBB2096_392
; %bb.391:
	buffer_load_dword v6, off, s[0:3], 0 offset:288
	buffer_load_dword v7, off, s[0:3], 0 offset:292
	;; [unrolled: 1-line block ×4, first 2 shown]
.LBB2096_392:
	s_andn2_saveexec_b64 s[6:7], s[6:7]
	s_cbranch_execz .LBB2096_398
; %bb.393:
	s_mov_b32 s8, 0
	s_waitcnt vmcnt(3)
	v_mov_b32_e32 v6, 0
	s_waitcnt vmcnt(2)
	v_mov_b32_e32 v7, 0
	s_waitcnt vmcnt(0)
.LBB2096_394:                           ; =>This Inner Loop Header: Depth=1
	v_add_u32_e32 v8, s8, v6
	s_add_i32 s8, s8, 8
	s_cmp_lg_u32 s8, 16
	buffer_store_dword v7, v8, s[0:3], 0 offen offset:4
	buffer_store_dword v7, v8, s[0:3], 0 offen
	s_cbranch_scc1 .LBB2096_394
; %bb.395:
	s_mov_b32 s8, 0
	v_mov_b32_e32 v6, 0x88
	v_mov_b32_e32 v7, 0xd0
	;; [unrolled: 1-line block ×3, first 2 shown]
.LBB2096_396:                           ; =>This Inner Loop Header: Depth=1
	v_add_u32_e32 v9, s8, v6
	v_add_u32_e32 v18, s8, v7
	buffer_load_dword v19, v9, s[0:3], 0 offen offset:4
	buffer_load_dword v20, v18, s[0:3], 0 offen offset:80
	buffer_load_dword v21, v9, s[0:3], 0 offen
	buffer_load_dword v22, v18, s[0:3], 0 offen offset:84
                                        ; kill: killed $vgpr9
	v_add_u32_e32 v9, s8, v8
	s_add_i32 s8, s8, 8
	s_cmp_lg_u32 s8, 16
                                        ; kill: killed $vgpr18
	s_waitcnt vmcnt(1)
	v_add_u32_e32 v18, v20, v21
	s_waitcnt vmcnt(0)
	v_add_u32_e32 v19, v22, v19
	buffer_store_dword v19, v9, s[0:3], 0 offen offset:4
	buffer_store_dword v18, v9, s[0:3], 0 offen
	s_cbranch_scc1 .LBB2096_396
; %bb.397:
	buffer_load_dword v6, off, s[0:3], 0
	buffer_load_dword v7, off, s[0:3], 0 offset:4
	buffer_load_dword v8, off, s[0:3], 0 offset:8
	;; [unrolled: 1-line block ×3, first 2 shown]
.LBB2096_398:
	s_or_b64 exec, exec, s[6:7]
	v_or_b32_e32 v16, v17, v16
	v_or_b32_e32 v15, v16, v15
	;; [unrolled: 1-line block ×4, first 2 shown]
	v_and_b32_e32 v1, 1, v1
	buffer_store_byte v1, off, s[0:3], 0 offset:152
	buffer_load_dword v14, off, s[0:3], 0 offset:152
	v_mbcnt_lo_u32_b32 v1, -1, 0
	v_mov_b32_e32 v17, 0
	s_waitcnt vmcnt(5)
	v_mov_b32_dpp v15, v6 row_shr:1 row_mask:0xf bank_mask:0xf
	v_mbcnt_hi_u32_b32 v1, -1, v1
	buffer_store_dword v3, off, s[0:3], 0 offset:120
	buffer_store_dword v2, off, s[0:3], 0 offset:116
	;; [unrolled: 1-line block ×4, first 2 shown]
	s_waitcnt vmcnt(8)
	buffer_store_dword v7, off, s[0:3], 0 offset:140
	buffer_store_dword v6, off, s[0:3], 0 offset:136
	s_waitcnt vmcnt(8)
	buffer_store_dword v9, off, s[0:3], 0 offset:148
	buffer_store_dword v8, off, s[0:3], 0 offset:144
	v_mov_b32_dpp v16, v7 row_shr:1 row_mask:0xf bank_mask:0xf
	v_mov_b32_dpp v18, v8 row_shr:1 row_mask:0xf bank_mask:0xf
	;; [unrolled: 1-line block ×3, first 2 shown]
	buffer_store_byte v17, off, s[0:3], 0 offset:132
	buffer_store_dword v15, off, s[0:3], 0
	buffer_store_dword v16, off, s[0:3], 0 offset:4
	buffer_store_dword v18, off, s[0:3], 0 offset:8
	;; [unrolled: 1-line block ×3, first 2 shown]
	v_and_b32_e32 v15, 15, v1
	v_cmp_ne_u32_e32 vcc, 0, v15
	s_waitcnt vmcnt(13)
	v_mov_b32_dpp v16, v14 row_shr:1 row_mask:0xf bank_mask:0xf
	buffer_store_dword v16, off, s[0:3], 0 offset:16
	s_and_saveexec_b64 s[6:7], vcc
	s_xor_b64 s[6:7], exec, s[6:7]
	s_cbranch_execz .LBB2096_406
; %bb.399:
	v_cmp_eq_u16_sdwa s[10:11], v14, v17 src0_sel:BYTE_0 src1_sel:DWORD
	s_and_saveexec_b64 s[8:9], s[10:11]
	s_cbranch_execz .LBB2096_405
; %bb.400:
	s_mov_b32 s10, 0
	v_mov_b32_e32 v6, 0x60
	v_mov_b32_e32 v7, 0
.LBB2096_401:                           ; =>This Inner Loop Header: Depth=1
	v_add_u32_e32 v8, s10, v6
	s_add_i32 s10, s10, 8
	s_cmp_lg_u32 s10, 16
	buffer_store_dword v7, v8, s[0:3], 0 offen offset:4
	buffer_store_dword v7, v8, s[0:3], 0 offen
	s_cbranch_scc1 .LBB2096_401
; %bb.402:
	s_mov_b32 s10, 0
	v_mov_b32_e32 v6, 0
	v_mov_b32_e32 v7, 0x88
	;; [unrolled: 1-line block ×3, first 2 shown]
.LBB2096_403:                           ; =>This Inner Loop Header: Depth=1
	v_add_u32_e32 v9, s10, v6
	v_add_u32_e32 v17, s10, v7
	buffer_load_dword v18, v9, s[0:3], 0 offen offset:4
	buffer_load_dword v19, v17, s[0:3], 0 offen
	buffer_load_dword v20, v9, s[0:3], 0 offen
	buffer_load_dword v21, v17, s[0:3], 0 offen offset:4
                                        ; kill: killed $vgpr9
	v_add_u32_e32 v9, s10, v8
	s_add_i32 s10, s10, 8
	s_cmp_lg_u32 s10, 16
                                        ; kill: killed $vgpr17
	s_waitcnt vmcnt(1)
	v_add_u32_e32 v17, v19, v20
	s_waitcnt vmcnt(0)
	v_add_u32_e32 v18, v21, v18
	buffer_store_dword v18, v9, s[0:3], 0 offen offset:4
	buffer_store_dword v17, v9, s[0:3], 0 offen
	s_cbranch_scc1 .LBB2096_403
; %bb.404:
	buffer_load_dword v6, off, s[0:3], 0 offset:96
	buffer_load_dword v7, off, s[0:3], 0 offset:100
	;; [unrolled: 1-line block ×4, first 2 shown]
.LBB2096_405:
	s_or_b64 exec, exec, s[8:9]
	v_or_b32_e32 v14, v16, v14
	v_and_b32_e32 v14, 1, v14
	buffer_store_byte v14, off, s[0:3], 0 offset:152
	buffer_load_dword v14, off, s[0:3], 0 offset:152
	s_waitcnt vmcnt(4)
	buffer_store_dword v7, off, s[0:3], 0 offset:140
	buffer_store_dword v6, off, s[0:3], 0 offset:136
	s_waitcnt vmcnt(4)
	buffer_store_dword v9, off, s[0:3], 0 offset:148
	buffer_store_dword v8, off, s[0:3], 0 offset:144
.LBB2096_406:
	s_or_b64 exec, exec, s[6:7]
	v_mov_b32_dpp v17, v6 row_shr:2 row_mask:0xf bank_mask:0xf
	s_waitcnt vmcnt(4)
	v_mov_b32_dpp v16, v14 row_shr:2 row_mask:0xf bank_mask:0xf
	v_cmp_lt_u32_e32 vcc, 1, v15
	v_mov_b32_dpp v18, v7 row_shr:2 row_mask:0xf bank_mask:0xf
	v_mov_b32_dpp v19, v8 row_shr:2 row_mask:0xf bank_mask:0xf
	v_mov_b32_dpp v20, v9 row_shr:2 row_mask:0xf bank_mask:0xf
	buffer_store_dword v17, off, s[0:3], 0
	buffer_store_dword v18, off, s[0:3], 0 offset:4
	buffer_store_dword v19, off, s[0:3], 0 offset:8
	;; [unrolled: 1-line block ×4, first 2 shown]
	s_and_saveexec_b64 s[8:9], vcc
	s_cbranch_execz .LBB2096_414
; %bb.407:
	v_mov_b32_e32 v17, 0
	s_mov_b32 s10, 0
	v_cmp_eq_u16_sdwa s[12:13], v14, v17 src0_sel:BYTE_0 src1_sel:DWORD
	s_and_saveexec_b64 s[6:7], s[12:13]
	s_cbranch_execz .LBB2096_413
; %bb.408:
	v_mov_b32_e32 v6, 0x60
.LBB2096_409:                           ; =>This Inner Loop Header: Depth=1
	v_add_u32_e32 v7, s10, v6
	s_add_i32 s10, s10, 8
	s_cmp_lg_u32 s10, 16
	buffer_store_dword v17, v7, s[0:3], 0 offen offset:4
	buffer_store_dword v17, v7, s[0:3], 0 offen
	s_cbranch_scc1 .LBB2096_409
; %bb.410:
	s_mov_b32 s10, 0
	v_mov_b32_e32 v6, 0
	v_mov_b32_e32 v7, 0x88
	;; [unrolled: 1-line block ×3, first 2 shown]
.LBB2096_411:                           ; =>This Inner Loop Header: Depth=1
	v_add_u32_e32 v9, s10, v6
	v_add_u32_e32 v17, s10, v7
	buffer_load_dword v18, v9, s[0:3], 0 offen offset:4
	buffer_load_dword v19, v17, s[0:3], 0 offen
	buffer_load_dword v20, v9, s[0:3], 0 offen
	buffer_load_dword v21, v17, s[0:3], 0 offen offset:4
                                        ; kill: killed $vgpr9
	v_add_u32_e32 v9, s10, v8
	s_add_i32 s10, s10, 8
	s_cmp_lg_u32 s10, 16
                                        ; kill: killed $vgpr17
	s_waitcnt vmcnt(1)
	v_add_u32_e32 v17, v19, v20
	s_waitcnt vmcnt(0)
	v_add_u32_e32 v18, v21, v18
	buffer_store_dword v18, v9, s[0:3], 0 offen offset:4
	buffer_store_dword v17, v9, s[0:3], 0 offen
	s_cbranch_scc1 .LBB2096_411
; %bb.412:
	buffer_load_dword v6, off, s[0:3], 0 offset:96
	buffer_load_dword v7, off, s[0:3], 0 offset:100
	;; [unrolled: 1-line block ×4, first 2 shown]
.LBB2096_413:
	s_or_b64 exec, exec, s[6:7]
	v_and_b32_e32 v14, 1, v14
	v_cmp_eq_u32_e32 vcc, 1, v14
	v_and_b32_e32 v14, 1, v16
	v_cmp_eq_u32_e64 s[6:7], 1, v14
	s_or_b64 s[6:7], vcc, s[6:7]
	v_cndmask_b32_e64 v14, 0, 1, s[6:7]
	buffer_store_byte v14, off, s[0:3], 0 offset:152
	buffer_load_dword v14, off, s[0:3], 0 offset:152
	s_waitcnt vmcnt(4)
	buffer_store_dword v7, off, s[0:3], 0 offset:140
	buffer_store_dword v6, off, s[0:3], 0 offset:136
	s_waitcnt vmcnt(4)
	buffer_store_dword v9, off, s[0:3], 0 offset:148
	buffer_store_dword v8, off, s[0:3], 0 offset:144
.LBB2096_414:
	s_or_b64 exec, exec, s[8:9]
	v_mov_b32_dpp v17, v6 row_shr:4 row_mask:0xf bank_mask:0xf
	s_waitcnt vmcnt(4)
	v_mov_b32_dpp v16, v14 row_shr:4 row_mask:0xf bank_mask:0xf
	v_cmp_lt_u32_e32 vcc, 3, v15
	v_mov_b32_dpp v18, v7 row_shr:4 row_mask:0xf bank_mask:0xf
	v_mov_b32_dpp v19, v8 row_shr:4 row_mask:0xf bank_mask:0xf
	;; [unrolled: 1-line block ×3, first 2 shown]
	buffer_store_dword v17, off, s[0:3], 0
	buffer_store_dword v18, off, s[0:3], 0 offset:4
	buffer_store_dword v19, off, s[0:3], 0 offset:8
	;; [unrolled: 1-line block ×4, first 2 shown]
	s_and_saveexec_b64 s[8:9], vcc
	s_cbranch_execz .LBB2096_422
; %bb.415:
	v_mov_b32_e32 v17, 0
	s_mov_b32 s10, 0
	v_cmp_eq_u16_sdwa s[12:13], v14, v17 src0_sel:BYTE_0 src1_sel:DWORD
	s_and_saveexec_b64 s[6:7], s[12:13]
	s_cbranch_execz .LBB2096_421
; %bb.416:
	v_mov_b32_e32 v6, 0x60
.LBB2096_417:                           ; =>This Inner Loop Header: Depth=1
	v_add_u32_e32 v7, s10, v6
	s_add_i32 s10, s10, 8
	s_cmp_lg_u32 s10, 16
	buffer_store_dword v17, v7, s[0:3], 0 offen offset:4
	buffer_store_dword v17, v7, s[0:3], 0 offen
	s_cbranch_scc1 .LBB2096_417
; %bb.418:
	s_mov_b32 s10, 0
	v_mov_b32_e32 v6, 0
	v_mov_b32_e32 v7, 0x88
	;; [unrolled: 1-line block ×3, first 2 shown]
.LBB2096_419:                           ; =>This Inner Loop Header: Depth=1
	v_add_u32_e32 v9, s10, v6
	v_add_u32_e32 v17, s10, v7
	buffer_load_dword v18, v9, s[0:3], 0 offen offset:4
	buffer_load_dword v19, v17, s[0:3], 0 offen
	buffer_load_dword v20, v9, s[0:3], 0 offen
	buffer_load_dword v21, v17, s[0:3], 0 offen offset:4
                                        ; kill: killed $vgpr9
	v_add_u32_e32 v9, s10, v8
	s_add_i32 s10, s10, 8
	s_cmp_lg_u32 s10, 16
                                        ; kill: killed $vgpr17
	s_waitcnt vmcnt(1)
	v_add_u32_e32 v17, v19, v20
	s_waitcnt vmcnt(0)
	v_add_u32_e32 v18, v21, v18
	buffer_store_dword v18, v9, s[0:3], 0 offen offset:4
	buffer_store_dword v17, v9, s[0:3], 0 offen
	s_cbranch_scc1 .LBB2096_419
; %bb.420:
	buffer_load_dword v6, off, s[0:3], 0 offset:96
	buffer_load_dword v7, off, s[0:3], 0 offset:100
	;; [unrolled: 1-line block ×4, first 2 shown]
.LBB2096_421:
	s_or_b64 exec, exec, s[6:7]
	v_and_b32_e32 v14, 1, v14
	v_cmp_eq_u32_e32 vcc, 1, v14
	v_and_b32_e32 v14, 1, v16
	v_cmp_eq_u32_e64 s[6:7], 1, v14
	s_or_b64 s[6:7], vcc, s[6:7]
	v_cndmask_b32_e64 v14, 0, 1, s[6:7]
	buffer_store_byte v14, off, s[0:3], 0 offset:152
	buffer_load_dword v14, off, s[0:3], 0 offset:152
	s_waitcnt vmcnt(4)
	buffer_store_dword v7, off, s[0:3], 0 offset:140
	buffer_store_dword v6, off, s[0:3], 0 offset:136
	s_waitcnt vmcnt(4)
	buffer_store_dword v9, off, s[0:3], 0 offset:148
	buffer_store_dword v8, off, s[0:3], 0 offset:144
.LBB2096_422:
	s_or_b64 exec, exec, s[8:9]
	v_mov_b32_dpp v17, v6 row_shr:8 row_mask:0xf bank_mask:0xf
	s_waitcnt vmcnt(4)
	v_mov_b32_dpp v16, v14 row_shr:8 row_mask:0xf bank_mask:0xf
	v_cmp_lt_u32_e32 vcc, 7, v15
	v_mov_b32_dpp v18, v7 row_shr:8 row_mask:0xf bank_mask:0xf
	v_mov_b32_dpp v19, v8 row_shr:8 row_mask:0xf bank_mask:0xf
	;; [unrolled: 1-line block ×3, first 2 shown]
	buffer_store_dword v17, off, s[0:3], 0
	buffer_store_dword v18, off, s[0:3], 0 offset:4
	buffer_store_dword v19, off, s[0:3], 0 offset:8
	;; [unrolled: 1-line block ×4, first 2 shown]
	s_and_saveexec_b64 s[8:9], vcc
	s_cbranch_execz .LBB2096_430
; %bb.423:
	v_mov_b32_e32 v15, 0
	s_mov_b32 s10, 0
	v_cmp_eq_u16_sdwa s[12:13], v14, v15 src0_sel:BYTE_0 src1_sel:DWORD
	s_and_saveexec_b64 s[6:7], s[12:13]
	s_cbranch_execz .LBB2096_429
; %bb.424:
	v_mov_b32_e32 v6, 0x60
.LBB2096_425:                           ; =>This Inner Loop Header: Depth=1
	v_add_u32_e32 v7, s10, v6
	s_add_i32 s10, s10, 8
	s_cmp_lg_u32 s10, 16
	buffer_store_dword v15, v7, s[0:3], 0 offen offset:4
	buffer_store_dword v15, v7, s[0:3], 0 offen
	s_cbranch_scc1 .LBB2096_425
; %bb.426:
	s_mov_b32 s10, 0
	v_mov_b32_e32 v6, 0
	v_mov_b32_e32 v7, 0x88
	;; [unrolled: 1-line block ×3, first 2 shown]
.LBB2096_427:                           ; =>This Inner Loop Header: Depth=1
	v_add_u32_e32 v9, s10, v6
	v_add_u32_e32 v15, s10, v7
	buffer_load_dword v17, v9, s[0:3], 0 offen offset:4
	buffer_load_dword v18, v15, s[0:3], 0 offen
	buffer_load_dword v19, v9, s[0:3], 0 offen
	buffer_load_dword v20, v15, s[0:3], 0 offen offset:4
                                        ; kill: killed $vgpr9
	v_add_u32_e32 v9, s10, v8
	s_add_i32 s10, s10, 8
	s_cmp_lg_u32 s10, 16
                                        ; kill: killed $vgpr15
	s_waitcnt vmcnt(1)
	v_add_u32_e32 v15, v18, v19
	s_waitcnt vmcnt(0)
	v_add_u32_e32 v17, v20, v17
	buffer_store_dword v17, v9, s[0:3], 0 offen offset:4
	buffer_store_dword v15, v9, s[0:3], 0 offen
	s_cbranch_scc1 .LBB2096_427
; %bb.428:
	buffer_load_dword v6, off, s[0:3], 0 offset:96
	buffer_load_dword v7, off, s[0:3], 0 offset:100
	;; [unrolled: 1-line block ×4, first 2 shown]
.LBB2096_429:
	s_or_b64 exec, exec, s[6:7]
	v_and_b32_e32 v14, 1, v14
	v_cmp_eq_u32_e32 vcc, 1, v14
	v_and_b32_e32 v14, 1, v16
	v_cmp_eq_u32_e64 s[6:7], 1, v14
	s_or_b64 s[6:7], vcc, s[6:7]
	v_cndmask_b32_e64 v14, 0, 1, s[6:7]
	buffer_store_byte v14, off, s[0:3], 0 offset:152
	buffer_load_dword v14, off, s[0:3], 0 offset:152
	s_waitcnt vmcnt(4)
	buffer_store_dword v7, off, s[0:3], 0 offset:140
	buffer_store_dword v6, off, s[0:3], 0 offset:136
	s_waitcnt vmcnt(4)
	buffer_store_dword v9, off, s[0:3], 0 offset:148
	buffer_store_dword v8, off, s[0:3], 0 offset:144
.LBB2096_430:
	s_or_b64 exec, exec, s[8:9]
	v_mov_b32_dpp v16, v6 row_bcast:15 row_mask:0xf bank_mask:0xf
	v_mov_b32_dpp v17, v7 row_bcast:15 row_mask:0xf bank_mask:0xf
	;; [unrolled: 1-line block ×4, first 2 shown]
	s_waitcnt vmcnt(4)
	v_mov_b32_dpp v15, v14 row_bcast:15 row_mask:0xf bank_mask:0xf
	buffer_store_dword v16, off, s[0:3], 0
	buffer_store_dword v17, off, s[0:3], 0 offset:4
	buffer_store_dword v18, off, s[0:3], 0 offset:8
	buffer_store_dword v19, off, s[0:3], 0 offset:12
	buffer_store_dword v15, off, s[0:3], 0 offset:16
	v_and_b32_e32 v16, 16, v1
	v_cmp_ne_u32_e32 vcc, 0, v16
	s_and_saveexec_b64 s[8:9], vcc
	s_cbranch_execz .LBB2096_438
; %bb.431:
	v_mov_b32_e32 v16, 0
	s_mov_b32 s10, 0
	v_cmp_eq_u16_sdwa s[12:13], v14, v16 src0_sel:BYTE_0 src1_sel:DWORD
	s_and_saveexec_b64 s[6:7], s[12:13]
	s_cbranch_execz .LBB2096_437
; %bb.432:
	v_mov_b32_e32 v6, 0x60
.LBB2096_433:                           ; =>This Inner Loop Header: Depth=1
	v_add_u32_e32 v7, s10, v6
	s_add_i32 s10, s10, 8
	s_cmp_lg_u32 s10, 16
	buffer_store_dword v16, v7, s[0:3], 0 offen offset:4
	buffer_store_dword v16, v7, s[0:3], 0 offen
	s_cbranch_scc1 .LBB2096_433
; %bb.434:
	s_mov_b32 s10, 0
	v_mov_b32_e32 v6, 0
	v_mov_b32_e32 v7, 0x88
	;; [unrolled: 1-line block ×3, first 2 shown]
.LBB2096_435:                           ; =>This Inner Loop Header: Depth=1
	v_add_u32_e32 v9, s10, v6
	v_add_u32_e32 v16, s10, v7
	buffer_load_dword v17, v9, s[0:3], 0 offen offset:4
	buffer_load_dword v18, v16, s[0:3], 0 offen
	buffer_load_dword v19, v9, s[0:3], 0 offen
	buffer_load_dword v20, v16, s[0:3], 0 offen offset:4
                                        ; kill: killed $vgpr9
	v_add_u32_e32 v9, s10, v8
	s_add_i32 s10, s10, 8
	s_cmp_lg_u32 s10, 16
                                        ; kill: killed $vgpr16
	s_waitcnt vmcnt(1)
	v_add_u32_e32 v16, v18, v19
	s_waitcnt vmcnt(0)
	v_add_u32_e32 v17, v20, v17
	buffer_store_dword v17, v9, s[0:3], 0 offen offset:4
	buffer_store_dword v16, v9, s[0:3], 0 offen
	s_cbranch_scc1 .LBB2096_435
; %bb.436:
	buffer_load_dword v6, off, s[0:3], 0 offset:96
	buffer_load_dword v7, off, s[0:3], 0 offset:100
	;; [unrolled: 1-line block ×4, first 2 shown]
.LBB2096_437:
	s_or_b64 exec, exec, s[6:7]
	v_and_b32_e32 v14, 1, v14
	v_cmp_eq_u32_e32 vcc, 1, v14
	v_and_b32_e32 v14, 1, v15
	v_cmp_eq_u32_e64 s[6:7], 1, v14
	s_or_b64 s[6:7], vcc, s[6:7]
	v_cndmask_b32_e64 v14, 0, 1, s[6:7]
	buffer_store_byte v14, off, s[0:3], 0 offset:152
	buffer_load_dword v14, off, s[0:3], 0 offset:152
	s_waitcnt vmcnt(4)
	buffer_store_dword v7, off, s[0:3], 0 offset:140
	buffer_store_dword v6, off, s[0:3], 0 offset:136
	s_waitcnt vmcnt(4)
	buffer_store_dword v9, off, s[0:3], 0 offset:148
	buffer_store_dword v8, off, s[0:3], 0 offset:144
.LBB2096_438:
	s_or_b64 exec, exec, s[8:9]
	v_mov_b32_dpp v16, v6 row_bcast:31 row_mask:0xf bank_mask:0xf
	s_waitcnt vmcnt(4)
	v_mov_b32_dpp v15, v14 row_bcast:31 row_mask:0xf bank_mask:0xf
	v_cmp_lt_u32_e32 vcc, 31, v1
	v_mov_b32_dpp v17, v7 row_bcast:31 row_mask:0xf bank_mask:0xf
	v_mov_b32_dpp v18, v8 row_bcast:31 row_mask:0xf bank_mask:0xf
	;; [unrolled: 1-line block ×3, first 2 shown]
	buffer_store_dword v16, off, s[0:3], 0
	buffer_store_dword v17, off, s[0:3], 0 offset:4
	buffer_store_dword v18, off, s[0:3], 0 offset:8
	;; [unrolled: 1-line block ×4, first 2 shown]
	s_and_saveexec_b64 s[8:9], vcc
	s_cbranch_execz .LBB2096_446
; %bb.439:
	v_mov_b32_e32 v16, 0
	s_mov_b32 s10, 0
	v_cmp_eq_u16_sdwa s[12:13], v14, v16 src0_sel:BYTE_0 src1_sel:DWORD
	s_and_saveexec_b64 s[6:7], s[12:13]
	s_cbranch_execz .LBB2096_445
; %bb.440:
	v_mov_b32_e32 v6, 0x60
.LBB2096_441:                           ; =>This Inner Loop Header: Depth=1
	v_add_u32_e32 v7, s10, v6
	s_add_i32 s10, s10, 8
	s_cmp_lg_u32 s10, 16
	buffer_store_dword v16, v7, s[0:3], 0 offen offset:4
	buffer_store_dword v16, v7, s[0:3], 0 offen
	s_cbranch_scc1 .LBB2096_441
; %bb.442:
	s_mov_b32 s10, 0
	v_mov_b32_e32 v6, 0
	v_mov_b32_e32 v7, 0x88
	;; [unrolled: 1-line block ×3, first 2 shown]
.LBB2096_443:                           ; =>This Inner Loop Header: Depth=1
	v_add_u32_e32 v9, s10, v6
	v_add_u32_e32 v16, s10, v7
	buffer_load_dword v17, v9, s[0:3], 0 offen offset:4
	buffer_load_dword v18, v16, s[0:3], 0 offen
	buffer_load_dword v19, v9, s[0:3], 0 offen
	buffer_load_dword v20, v16, s[0:3], 0 offen offset:4
                                        ; kill: killed $vgpr9
	v_add_u32_e32 v9, s10, v8
	s_add_i32 s10, s10, 8
	s_cmp_lg_u32 s10, 16
                                        ; kill: killed $vgpr16
	s_waitcnt vmcnt(1)
	v_add_u32_e32 v16, v18, v19
	s_waitcnt vmcnt(0)
	v_add_u32_e32 v17, v20, v17
	buffer_store_dword v17, v9, s[0:3], 0 offen offset:4
	buffer_store_dword v16, v9, s[0:3], 0 offen
	s_cbranch_scc1 .LBB2096_443
; %bb.444:
	buffer_load_dword v6, off, s[0:3], 0 offset:96
	buffer_load_dword v7, off, s[0:3], 0 offset:100
	buffer_load_dword v8, off, s[0:3], 0 offset:104
	buffer_load_dword v9, off, s[0:3], 0 offset:108
.LBB2096_445:
	s_or_b64 exec, exec, s[6:7]
	v_and_b32_e32 v14, 1, v14
	v_cmp_eq_u32_e32 vcc, 1, v14
	v_and_b32_e32 v14, 1, v15
	v_cmp_eq_u32_e64 s[6:7], 1, v14
	s_or_b64 s[6:7], vcc, s[6:7]
	v_cndmask_b32_e64 v14, 0, 1, s[6:7]
	s_waitcnt vmcnt(2)
	buffer_store_dword v7, off, s[0:3], 0 offset:140
	buffer_store_dword v6, off, s[0:3], 0 offset:136
	s_waitcnt vmcnt(2)
	buffer_store_dword v9, off, s[0:3], 0 offset:148
	buffer_store_dword v8, off, s[0:3], 0 offset:144
	buffer_store_byte v14, off, s[0:3], 0 offset:152
.LBB2096_446:
	s_or_b64 exec, exec, s[8:9]
	v_or_b32_e32 v16, 63, v0
	v_lshrrev_b32_e32 v15, 6, v0
	v_cmp_eq_u32_e32 vcc, v16, v0
	s_and_saveexec_b64 s[6:7], vcc
	s_cbranch_execz .LBB2096_448
; %bb.447:
	v_mul_u32_u24_e32 v16, 20, v15
	ds_write2_b32 v16, v6, v7 offset1:1
	ds_write2_b32 v16, v8, v9 offset0:2 offset1:3
	ds_write_b8 v16, v14 offset:16
.LBB2096_448:
	s_or_b64 exec, exec, s[6:7]
	v_cmp_gt_u32_e32 vcc, 4, v0
	s_waitcnt lgkmcnt(0)
	s_barrier
	s_and_saveexec_b64 s[8:9], vcc
	s_cbranch_execz .LBB2096_466
; %bb.449:
	v_mul_u32_u24_e32 v14, 20, v0
	ds_read_b32 v16, v14 offset:16
	ds_read2_b32 v[6:7], v14 offset0:2 offset1:3
	ds_read2_b32 v[8:9], v14 offset1:1
	v_and_b32_e32 v17, 3, v1
	v_cmp_ne_u32_e32 vcc, 0, v17
	s_waitcnt lgkmcnt(2)
	v_mov_b32_dpp v18, v16 row_shr:1 row_mask:0xf bank_mask:0xf
	s_waitcnt lgkmcnt(1)
	v_mov_b32_dpp v21, v6 row_shr:1 row_mask:0xf bank_mask:0xf
	;; [unrolled: 2-line block ×3, first 2 shown]
	buffer_store_dword v16, off, s[0:3], 0 offset:112
	buffer_store_dword v7, off, s[0:3], 0 offset:108
	;; [unrolled: 1-line block ×5, first 2 shown]
	v_mov_b32_dpp v20, v9 row_shr:1 row_mask:0xf bank_mask:0xf
	v_mov_b32_dpp v22, v7 row_shr:1 row_mask:0xf bank_mask:0xf
	buffer_store_dword v19, off, s[0:3], 0
	buffer_store_dword v20, off, s[0:3], 0 offset:4
	buffer_store_dword v21, off, s[0:3], 0 offset:8
	;; [unrolled: 1-line block ×4, first 2 shown]
	s_and_saveexec_b64 s[6:7], vcc
	s_cbranch_execz .LBB2096_457
; %bb.450:
	v_mov_b32_e32 v19, 0
	v_cmp_eq_u16_sdwa s[12:13], v16, v19 src0_sel:BYTE_0 src1_sel:DWORD
	s_and_saveexec_b64 s[10:11], s[12:13]
	s_cbranch_execz .LBB2096_456
; %bb.451:
	s_mov_b32 s12, 0
	v_mov_b32_e32 v6, 0x50
.LBB2096_452:                           ; =>This Inner Loop Header: Depth=1
	v_add_u32_e32 v7, s12, v6
	s_add_i32 s12, s12, 8
	s_cmp_lg_u32 s12, 16
	buffer_store_dword v19, v7, s[0:3], 0 offen offset:4
	buffer_store_dword v19, v7, s[0:3], 0 offen
	s_cbranch_scc1 .LBB2096_452
; %bb.453:
	s_mov_b32 s12, 0
	v_mov_b32_e32 v6, 0
	v_mov_b32_e32 v7, 0x60
	;; [unrolled: 1-line block ×3, first 2 shown]
.LBB2096_454:                           ; =>This Inner Loop Header: Depth=1
	v_add_u32_e32 v9, s12, v6
	v_add_u32_e32 v19, s12, v7
	buffer_load_dword v20, v9, s[0:3], 0 offen offset:4
	buffer_load_dword v21, v19, s[0:3], 0 offen
	buffer_load_dword v22, v9, s[0:3], 0 offen
	buffer_load_dword v23, v19, s[0:3], 0 offen offset:4
                                        ; kill: killed $vgpr9
	v_add_u32_e32 v9, s12, v8
	s_add_i32 s12, s12, 8
	s_cmp_lg_u32 s12, 16
                                        ; kill: killed $vgpr19
	s_waitcnt vmcnt(1)
	v_add_u32_e32 v19, v21, v22
	s_waitcnt vmcnt(0)
	v_add_u32_e32 v20, v23, v20
	buffer_store_dword v20, v9, s[0:3], 0 offen offset:4
	buffer_store_dword v19, v9, s[0:3], 0 offen
	s_cbranch_scc1 .LBB2096_454
; %bb.455:
	buffer_load_dword v8, off, s[0:3], 0 offset:80
	buffer_load_dword v9, off, s[0:3], 0 offset:84
	;; [unrolled: 1-line block ×4, first 2 shown]
.LBB2096_456:
	s_or_b64 exec, exec, s[10:11]
	v_or_b32_e32 v16, v18, v16
	v_and_b32_e32 v16, 1, v16
	buffer_store_byte v16, off, s[0:3], 0 offset:112
	buffer_load_dword v16, off, s[0:3], 0 offset:112
	s_waitcnt vmcnt(4)
	buffer_store_dword v9, off, s[0:3], 0 offset:100
	buffer_store_dword v8, off, s[0:3], 0 offset:96
	s_waitcnt vmcnt(4)
	buffer_store_dword v7, off, s[0:3], 0 offset:108
	buffer_store_dword v6, off, s[0:3], 0 offset:104
.LBB2096_457:
	s_or_b64 exec, exec, s[6:7]
	v_mov_b32_dpp v19, v8 row_shr:2 row_mask:0xf bank_mask:0xf
	s_waitcnt vmcnt(4)
	v_mov_b32_dpp v18, v16 row_shr:2 row_mask:0xf bank_mask:0xf
	v_cmp_lt_u32_e32 vcc, 1, v17
	v_mov_b32_dpp v20, v9 row_shr:2 row_mask:0xf bank_mask:0xf
	v_mov_b32_dpp v21, v6 row_shr:2 row_mask:0xf bank_mask:0xf
	;; [unrolled: 1-line block ×3, first 2 shown]
	buffer_store_dword v19, off, s[0:3], 0
	buffer_store_dword v20, off, s[0:3], 0 offset:4
	buffer_store_dword v21, off, s[0:3], 0 offset:8
	;; [unrolled: 1-line block ×4, first 2 shown]
	s_and_saveexec_b64 s[10:11], vcc
	s_cbranch_execz .LBB2096_465
; %bb.458:
	v_mov_b32_e32 v17, 0
	s_mov_b32 s12, 0
	v_cmp_eq_u16_sdwa s[14:15], v16, v17 src0_sel:BYTE_0 src1_sel:DWORD
	s_and_saveexec_b64 s[6:7], s[14:15]
	s_cbranch_execz .LBB2096_464
; %bb.459:
	v_mov_b32_e32 v6, 0x50
.LBB2096_460:                           ; =>This Inner Loop Header: Depth=1
	v_add_u32_e32 v7, s12, v6
	s_add_i32 s12, s12, 8
	s_cmp_lg_u32 s12, 16
	buffer_store_dword v17, v7, s[0:3], 0 offen offset:4
	buffer_store_dword v17, v7, s[0:3], 0 offen
	s_cbranch_scc1 .LBB2096_460
; %bb.461:
	s_mov_b32 s12, 0
	v_mov_b32_e32 v6, 0
	v_mov_b32_e32 v7, 0x60
	;; [unrolled: 1-line block ×3, first 2 shown]
.LBB2096_462:                           ; =>This Inner Loop Header: Depth=1
	v_add_u32_e32 v9, s12, v6
	v_add_u32_e32 v17, s12, v7
	buffer_load_dword v19, v9, s[0:3], 0 offen offset:4
	buffer_load_dword v20, v17, s[0:3], 0 offen
	buffer_load_dword v21, v9, s[0:3], 0 offen
	buffer_load_dword v22, v17, s[0:3], 0 offen offset:4
                                        ; kill: killed $vgpr9
	v_add_u32_e32 v9, s12, v8
	s_add_i32 s12, s12, 8
	s_cmp_lg_u32 s12, 16
                                        ; kill: killed $vgpr17
	s_waitcnt vmcnt(1)
	v_add_u32_e32 v17, v20, v21
	s_waitcnt vmcnt(0)
	v_add_u32_e32 v19, v22, v19
	buffer_store_dword v19, v9, s[0:3], 0 offen offset:4
	buffer_store_dword v17, v9, s[0:3], 0 offen
	s_cbranch_scc1 .LBB2096_462
; %bb.463:
	buffer_load_dword v8, off, s[0:3], 0 offset:80
	buffer_load_dword v9, off, s[0:3], 0 offset:84
	buffer_load_dword v6, off, s[0:3], 0 offset:88
	buffer_load_dword v7, off, s[0:3], 0 offset:92
.LBB2096_464:
	s_or_b64 exec, exec, s[6:7]
	v_and_b32_e32 v16, 1, v16
	v_cmp_eq_u32_e32 vcc, 1, v16
	v_and_b32_e32 v16, 1, v18
	v_cmp_eq_u32_e64 s[6:7], 1, v16
	s_or_b64 s[6:7], vcc, s[6:7]
	v_cndmask_b32_e64 v16, 0, 1, s[6:7]
	s_waitcnt vmcnt(2)
	buffer_store_dword v9, off, s[0:3], 0 offset:100
	buffer_store_dword v8, off, s[0:3], 0 offset:96
	s_waitcnt vmcnt(2)
	buffer_store_dword v7, off, s[0:3], 0 offset:108
	buffer_store_dword v6, off, s[0:3], 0 offset:104
.LBB2096_465:
	s_or_b64 exec, exec, s[10:11]
	buffer_load_dword v6, off, s[0:3], 0 offset:104
	buffer_load_dword v7, off, s[0:3], 0 offset:108
	;; [unrolled: 1-line block ×4, first 2 shown]
	s_waitcnt vmcnt(2)
	ds_write2_b32 v14, v6, v7 offset0:2 offset1:3
	s_waitcnt vmcnt(0)
	ds_write2_b32 v14, v8, v9 offset1:1
	ds_write_b8 v14, v16 offset:16
.LBB2096_466:
	s_or_b64 exec, exec, s[8:9]
	s_waitcnt lgkmcnt(0)
	s_barrier
	buffer_load_dword v6, off, s[0:3], 0 offset:128
	buffer_load_dword v7, off, s[0:3], 0 offset:124
	;; [unrolled: 1-line block ×5, first 2 shown]
	v_cmp_lt_u32_e32 vcc, 63, v0
	s_waitcnt vmcnt(4)
	buffer_store_dword v6, off, s[0:3], 0 offset:12
	s_waitcnt vmcnt(4)
	buffer_store_dword v7, off, s[0:3], 0 offset:8
	;; [unrolled: 2-line block ×3, first 2 shown]
	s_waitcnt vmcnt(4)
	buffer_store_dword v9, off, s[0:3], 0
	s_waitcnt vmcnt(4)
	buffer_store_dword v14, off, s[0:3], 0 offset:16
	s_and_saveexec_b64 s[6:7], vcc
	s_cbranch_execz .LBB2096_476
; %bb.467:
	v_not_b32_e32 v6, 19
	v_mad_u32_u24 v15, v15, 20, v6
	ds_read_u8 v14, v15 offset:16
                                        ; implicit-def: $vgpr6_vgpr7
                                        ; implicit-def: $vgpr8_vgpr9
	s_waitcnt lgkmcnt(0)
	v_cmp_ne_u16_e32 vcc, 0, v14
	s_and_saveexec_b64 s[8:9], vcc
	s_xor_b64 s[8:9], exec, s[8:9]
	s_cbranch_execz .LBB2096_469
; %bb.468:
	ds_read2_b32 v[8:9], v15 offset1:1
	ds_read2_b32 v[6:7], v15 offset0:2 offset1:3
                                        ; implicit-def: $vgpr15
.LBB2096_469:
	s_andn2_saveexec_b64 s[8:9], s[8:9]
	s_cbranch_execz .LBB2096_475
; %bb.470:
	s_mov_b32 s10, 0
	s_waitcnt lgkmcnt(0)
	v_mov_b32_e32 v6, 0x60
	v_mov_b32_e32 v7, 0
.LBB2096_471:                           ; =>This Inner Loop Header: Depth=1
	v_add_u32_e32 v8, s10, v6
	s_add_i32 s10, s10, 8
	s_cmp_lg_u32 s10, 16
	buffer_store_dword v7, v8, s[0:3], 0 offen offset:4
	buffer_store_dword v7, v8, s[0:3], 0 offen
	s_cbranch_scc1 .LBB2096_471
; %bb.472:
	s_mov_b32 s10, 0
	v_mov_b32_e32 v6, 0x74
	v_mov_b32_e32 v7, 0x60
.LBB2096_473:                           ; =>This Inner Loop Header: Depth=1
	v_add_u32_e32 v8, s10, v6
	buffer_load_dword v16, v8, s[0:3], 0 offen
	buffer_load_dword v17, v8, s[0:3], 0 offen offset:4
                                        ; kill: killed $vgpr8
	v_add_u32_e32 v8, s10, v15
	ds_read2_b32 v[8:9], v8 offset1:1
	v_add_u32_e32 v18, s10, v7
	s_add_i32 s10, s10, 8
	s_cmp_lg_u32 s10, 16
	s_waitcnt vmcnt(1) lgkmcnt(0)
	v_add_u32_e32 v8, v8, v16
	s_waitcnt vmcnt(0)
	v_add_u32_e32 v9, v9, v17
	buffer_store_dword v9, v18, s[0:3], 0 offen offset:4
	buffer_store_dword v8, v18, s[0:3], 0 offen
	s_cbranch_scc1 .LBB2096_473
; %bb.474:
	buffer_load_dword v8, off, s[0:3], 0 offset:96
	buffer_load_dword v9, off, s[0:3], 0 offset:100
	;; [unrolled: 1-line block ×4, first 2 shown]
.LBB2096_475:
	s_or_b64 exec, exec, s[8:9]
	buffer_load_ubyte v15, off, s[0:3], 0 offset:132
	s_waitcnt vmcnt(3) lgkmcnt(1)
	buffer_store_dword v9, off, s[0:3], 0 offset:4
	buffer_store_dword v8, off, s[0:3], 0
	s_waitcnt vmcnt(3) lgkmcnt(0)
	buffer_store_dword v7, off, s[0:3], 0 offset:12
	s_waitcnt vmcnt(3)
	v_or_b32_e32 v7, v14, v15
	v_and_b32_e32 v7, 1, v7
	buffer_store_dword v6, off, s[0:3], 0 offset:8
	buffer_store_byte v7, off, s[0:3], 0 offset:16
.LBB2096_476:
	s_or_b64 exec, exec, s[6:7]
	buffer_load_ubyte v8, off, s[0:3], 0 offset:152
                                        ; implicit-def: $vgpr6_vgpr7
                                        ; implicit-def: $vgpr14
                                        ; implicit-def: $vgpr9
	s_waitcnt vmcnt(0)
	v_cmp_ne_u16_e32 vcc, 0, v8
	s_and_saveexec_b64 s[6:7], vcc
	s_xor_b64 s[6:7], exec, s[6:7]
	s_cbranch_execz .LBB2096_478
; %bb.477:
	buffer_load_dword v9, off, s[0:3], 0 offset:136
	buffer_load_dword v6, off, s[0:3], 0 offset:140
	;; [unrolled: 1-line block ×4, first 2 shown]
.LBB2096_478:
	s_andn2_saveexec_b64 s[6:7], s[6:7]
	s_cbranch_execz .LBB2096_484
; %bb.479:
	s_mov_b32 s8, 0
	s_waitcnt vmcnt(2)
	v_mov_b32_e32 v6, 0x60
	s_waitcnt vmcnt(1)
	v_mov_b32_e32 v7, 0
.LBB2096_480:                           ; =>This Inner Loop Header: Depth=1
	v_add_u32_e32 v9, s8, v6
	s_add_i32 s8, s8, 8
	s_cmp_lg_u32 s8, 16
	buffer_store_dword v7, v9, s[0:3], 0 offen offset:4
	buffer_store_dword v7, v9, s[0:3], 0 offen
	s_cbranch_scc1 .LBB2096_480
; %bb.481:
	s_mov_b32 s8, 0
	v_mov_b32_e32 v6, 0
	v_mov_b32_e32 v7, 0x88
	v_mov_b32_e32 v9, 0x60
.LBB2096_482:                           ; =>This Inner Loop Header: Depth=1
	s_waitcnt vmcnt(2)
	v_add_u32_e32 v14, s8, v6
	v_add_u32_e32 v15, s8, v7
	buffer_load_dword v16, v14, s[0:3], 0 offen offset:4
	buffer_load_dword v17, v15, s[0:3], 0 offen
	buffer_load_dword v18, v14, s[0:3], 0 offen
	buffer_load_dword v19, v15, s[0:3], 0 offen offset:4
                                        ; kill: killed $vgpr14
	v_add_u32_e32 v14, s8, v9
	s_add_i32 s8, s8, 8
	s_cmp_lg_u32 s8, 16
                                        ; kill: killed $vgpr15
	s_waitcnt vmcnt(1)
	v_add_u32_e32 v15, v17, v18
	s_waitcnt vmcnt(0)
	v_add_u32_e32 v16, v19, v16
	buffer_store_dword v16, v14, s[0:3], 0 offen offset:4
	buffer_store_dword v15, v14, s[0:3], 0 offen
	s_cbranch_scc1 .LBB2096_482
; %bb.483:
	buffer_load_dword v9, off, s[0:3], 0 offset:96
	buffer_load_dword v6, off, s[0:3], 0 offset:100
	;; [unrolled: 1-line block ×4, first 2 shown]
.LBB2096_484:
	s_or_b64 exec, exec, s[6:7]
	buffer_load_ubyte v15, off, s[0:3], 0 offset:16
	v_add_u32_e32 v16, -1, v1
	v_and_b32_e32 v17, 64, v1
	v_cmp_lt_i32_e32 vcc, v16, v17
	v_cndmask_b32_e32 v16, v16, v1, vcc
	v_lshlrev_b32_e32 v16, 2, v16
	s_waitcnt vmcnt(4)
	ds_bpermute_b32 v9, v16, v9
	s_waitcnt vmcnt(3)
	ds_bpermute_b32 v17, v16, v6
	;; [unrolled: 2-line block ×4, first 2 shown]
	v_cmp_eq_u32_e32 vcc, 0, v1
	s_waitcnt vmcnt(0)
	v_or_b32_e32 v8, v8, v15
	v_and_b32_e32 v8, 1, v8
	buffer_store_byte v8, off, s[0:3], 0 offset:152
	buffer_load_dword v8, off, s[0:3], 0 offset:152
	s_waitcnt lgkmcnt(3)
	buffer_store_dword v9, off, s[0:3], 0 offset:136
	s_waitcnt lgkmcnt(2)
	buffer_store_dword v17, off, s[0:3], 0 offset:140
	;; [unrolled: 2-line block ×4, first 2 shown]
	s_waitcnt vmcnt(4)
	ds_bpermute_b32 v6, v16, v8
	s_and_saveexec_b64 s[6:7], vcc
	s_cbranch_execz .LBB2096_486
; %bb.485:
	buffer_load_dword v1, off, s[0:3], 0 offset:12
	s_waitcnt lgkmcnt(0)
	buffer_load_dword v6, off, s[0:3], 0 offset:8
	buffer_load_dword v7, off, s[0:3], 0 offset:4
	buffer_load_dword v8, off, s[0:3], 0
	s_waitcnt vmcnt(3)
	buffer_store_dword v1, off, s[0:3], 0 offset:148
	s_waitcnt vmcnt(3)
	buffer_store_dword v6, off, s[0:3], 0 offset:144
	;; [unrolled: 2-line block ×4, first 2 shown]
	v_mov_b32_e32 v6, v15
.LBB2096_486:
	s_or_b64 exec, exec, s[6:7]
	buffer_load_dword v7, off, s[0:3], 0 offset:220
	buffer_load_dword v8, off, s[0:3], 0 offset:216
	;; [unrolled: 1-line block ×5, first 2 shown]
	v_mov_b32_e32 v1, 0
	v_cmp_eq_u32_e64 s[6:7], 0, v0
	v_cmp_ne_u32_e32 vcc, 0, v0
	buffer_store_dword v3, off, s[0:3], 0 offset:100
	buffer_store_dword v2, off, s[0:3], 0 offset:96
	;; [unrolled: 1-line block ×4, first 2 shown]
	buffer_store_byte v1, off, s[0:3], 0 offset:112
	s_waitcnt vmcnt(9)
	buffer_store_dword v7, off, s[0:3], 0 offset:12
	s_waitcnt vmcnt(9)
	buffer_store_dword v8, off, s[0:3], 0 offset:8
	;; [unrolled: 2-line block ×3, first 2 shown]
	s_waitcnt vmcnt(9)
	buffer_store_dword v14, off, s[0:3], 0
	s_waitcnt vmcnt(9)
	buffer_store_dword v15, off, s[0:3], 0 offset:16
	s_and_saveexec_b64 s[8:9], vcc
	s_cbranch_execz .LBB2096_488
; %bb.487:
	buffer_load_dword v1, off, s[0:3], 0 offset:148
	buffer_load_dword v2, off, s[0:3], 0 offset:144
	;; [unrolled: 1-line block ×4, first 2 shown]
	s_waitcnt vmcnt(3)
	buffer_store_dword v1, off, s[0:3], 0 offset:108
	s_waitcnt vmcnt(3)
	buffer_store_dword v2, off, s[0:3], 0 offset:104
	;; [unrolled: 2-line block ×4, first 2 shown]
	s_waitcnt lgkmcnt(0)
	v_mov_b32_e32 v1, v6
.LBB2096_488:
	s_or_b64 exec, exec, s[8:9]
	buffer_load_dword v2, off, s[0:3], 0 offset:108
	buffer_load_dword v3, off, s[0:3], 0 offset:104
	;; [unrolled: 1-line block ×4, first 2 shown]
	buffer_load_ubyte v7, off, s[0:3], 0 offset:16
	s_nop 0
	buffer_store_byte v1, off, s[0:3], 0 offset:224
	s_waitcnt vmcnt(5)
	buffer_store_dword v2, off, s[0:3], 0 offset:220
	s_waitcnt vmcnt(5)
	buffer_store_dword v3, off, s[0:3], 0 offset:216
	;; [unrolled: 2-line block ×4, first 2 shown]
	s_waitcnt vmcnt(5)
	v_cmp_ne_u16_e32 vcc, 0, v7
                                        ; implicit-def: $vgpr4_vgpr5
                                        ; implicit-def: $vgpr2_vgpr3
	s_and_saveexec_b64 s[8:9], vcc
	s_xor_b64 s[8:9], exec, s[8:9]
	s_cbranch_execz .LBB2096_490
; %bb.489:
	buffer_load_dword v2, off, s[0:3], 0
	buffer_load_dword v3, off, s[0:3], 0 offset:4
	buffer_load_dword v4, off, s[0:3], 0 offset:8
	buffer_load_dword v5, off, s[0:3], 0 offset:12
.LBB2096_490:
	s_andn2_saveexec_b64 s[8:9], s[8:9]
	s_cbranch_execz .LBB2096_496
; %bb.491:
	s_mov_b32 s10, 0
	s_waitcnt vmcnt(3)
	v_mov_b32_e32 v2, 0x74
	s_waitcnt vmcnt(2)
	v_mov_b32_e32 v3, 0
	s_waitcnt vmcnt(0)
.LBB2096_492:                           ; =>This Inner Loop Header: Depth=1
	v_add_u32_e32 v4, s10, v2
	s_add_i32 s10, s10, 8
	s_cmp_lg_u32 s10, 16
	buffer_store_dword v3, v4, s[0:3], 0 offen offset:4
	buffer_store_dword v3, v4, s[0:3], 0 offen
	s_cbranch_scc1 .LBB2096_492
; %bb.493:
	s_mov_b32 s10, 0
	v_mov_b32_e32 v2, 0x60
	v_mov_b32_e32 v3, 0
	;; [unrolled: 1-line block ×3, first 2 shown]
.LBB2096_494:                           ; =>This Inner Loop Header: Depth=1
	v_add_u32_e32 v5, s10, v2
	s_waitcnt lgkmcnt(0)
	v_add_u32_e32 v6, s10, v3
	buffer_load_dword v8, v5, s[0:3], 0 offen offset:4
	buffer_load_dword v9, v6, s[0:3], 0 offen
	buffer_load_dword v14, v5, s[0:3], 0 offen
	buffer_load_dword v15, v6, s[0:3], 0 offen offset:4
                                        ; kill: killed $vgpr5
	v_add_u32_e32 v5, s10, v4
	s_add_i32 s10, s10, 8
	s_cmp_lg_u32 s10, 16
                                        ; kill: killed $vgpr6
	s_waitcnt vmcnt(1)
	v_add_u32_e32 v6, v9, v14
	s_waitcnt vmcnt(0)
	v_add_u32_e32 v8, v15, v8
	buffer_store_dword v8, v5, s[0:3], 0 offen offset:4
	buffer_store_dword v6, v5, s[0:3], 0 offen
	s_cbranch_scc1 .LBB2096_494
; %bb.495:
	buffer_load_dword v2, off, s[0:3], 0 offset:116
	buffer_load_dword v3, off, s[0:3], 0 offset:120
	;; [unrolled: 1-line block ×4, first 2 shown]
.LBB2096_496:
	s_or_b64 exec, exec, s[8:9]
	buffer_load_dword v8, v10, s[0:3], 0 offen offset:12
	buffer_load_dword v9, v10, s[0:3], 0 offen offset:8
	;; [unrolled: 1-line block ×3, first 2 shown]
	buffer_load_dword v15, v10, s[0:3], 0 offen
	s_waitcnt lgkmcnt(0)
	buffer_load_ubyte v6, off, s[0:3], 0 offset:244
	v_or_b32_e32 v1, v7, v1
	v_and_b32_e32 v1, 1, v1
	v_cmp_eq_u32_e32 vcc, 1, v1
	s_waitcnt vmcnt(7)
	buffer_store_dword v3, off, s[0:3], 0 offset:100
	buffer_store_dword v2, off, s[0:3], 0 offset:96
	s_waitcnt vmcnt(7)
	buffer_store_dword v5, off, s[0:3], 0 offset:108
	buffer_store_dword v4, off, s[0:3], 0 offset:104
	buffer_store_dword v2, v10, s[0:3], 0 offen
	buffer_store_dword v3, v10, s[0:3], 0 offen offset:4
	buffer_store_dword v4, v10, s[0:3], 0 offen offset:8
	;; [unrolled: 1-line block ×3, first 2 shown]
                                        ; implicit-def: $vgpr4_vgpr5
                                        ; implicit-def: $vgpr2_vgpr3
	buffer_store_byte v1, off, s[0:3], 0 offset:244
	s_waitcnt vmcnt(13)
	buffer_store_dword v8, off, s[0:3], 0 offset:12
	s_waitcnt vmcnt(13)
	buffer_store_dword v9, off, s[0:3], 0 offset:8
	;; [unrolled: 2-line block ×3, first 2 shown]
	s_waitcnt vmcnt(13)
	buffer_store_dword v15, off, s[0:3], 0
	s_waitcnt vmcnt(13)
	v_cmp_ne_u16_e64 s[8:9], 0, v6
	s_and_saveexec_b64 s[10:11], s[8:9]
	s_xor_b64 s[8:9], exec, s[10:11]
	s_cbranch_execz .LBB2096_498
; %bb.497:
	buffer_load_dword v2, off, s[0:3], 0
	buffer_load_dword v3, off, s[0:3], 0 offset:4
	buffer_load_dword v4, off, s[0:3], 0 offset:8
	;; [unrolled: 1-line block ×3, first 2 shown]
.LBB2096_498:
	s_andn2_saveexec_b64 s[8:9], s[8:9]
	s_cbranch_execz .LBB2096_504
; %bb.499:
	s_mov_b32 s10, 0
	v_mov_b32_e32 v1, 0x74
	s_waitcnt vmcnt(3)
	v_mov_b32_e32 v2, 0
	s_waitcnt vmcnt(0)
.LBB2096_500:                           ; =>This Inner Loop Header: Depth=1
	v_add_u32_e32 v3, s10, v1
	s_add_i32 s10, s10, 8
	s_cmp_lg_u32 s10, 16
	buffer_store_dword v2, v3, s[0:3], 0 offen offset:4
	buffer_store_dword v2, v3, s[0:3], 0 offen
	s_cbranch_scc1 .LBB2096_500
; %bb.501:
	s_mov_b32 s10, 0
	v_mov_b32_e32 v1, 0x60
	v_mov_b32_e32 v2, 0
	;; [unrolled: 1-line block ×3, first 2 shown]
.LBB2096_502:                           ; =>This Inner Loop Header: Depth=1
	v_add_u32_e32 v4, s10, v1
	v_add_u32_e32 v5, s10, v2
	buffer_load_dword v7, v4, s[0:3], 0 offen offset:4
	buffer_load_dword v8, v5, s[0:3], 0 offen
	buffer_load_dword v9, v4, s[0:3], 0 offen
	buffer_load_dword v14, v5, s[0:3], 0 offen offset:4
                                        ; kill: killed $vgpr4
	v_add_u32_e32 v4, s10, v3
	s_add_i32 s10, s10, 8
	s_cmp_lg_u32 s10, 16
                                        ; kill: killed $vgpr5
	s_waitcnt vmcnt(1)
	v_add_u32_e32 v5, v8, v9
	s_waitcnt vmcnt(0)
	v_add_u32_e32 v7, v14, v7
	buffer_store_dword v7, v4, s[0:3], 0 offen offset:4
	buffer_store_dword v5, v4, s[0:3], 0 offen
	s_cbranch_scc1 .LBB2096_502
; %bb.503:
	buffer_load_dword v2, off, s[0:3], 0 offset:116
	buffer_load_dword v3, off, s[0:3], 0 offset:120
	;; [unrolled: 1-line block ×4, first 2 shown]
.LBB2096_504:
	s_or_b64 exec, exec, s[8:9]
	buffer_load_dword v7, v11, s[0:3], 0 offen offset:12
	buffer_load_dword v8, v11, s[0:3], 0 offen offset:8
	;; [unrolled: 1-line block ×3, first 2 shown]
	buffer_load_dword v14, v11, s[0:3], 0 offen
	buffer_load_ubyte v1, off, s[0:3], 0 offset:264
	v_and_b32_e32 v6, 1, v6
	v_cmp_eq_u32_e64 s[8:9], 1, v6
	s_or_b64 s[8:9], s[8:9], vcc
	s_waitcnt vmcnt(7)
	buffer_store_dword v3, off, s[0:3], 0 offset:100
	buffer_store_dword v2, off, s[0:3], 0 offset:96
	s_waitcnt vmcnt(7)
	buffer_store_dword v5, off, s[0:3], 0 offset:108
	buffer_store_dword v4, off, s[0:3], 0 offset:104
	buffer_store_dword v2, v11, s[0:3], 0 offen
	buffer_store_dword v3, v11, s[0:3], 0 offen offset:4
	buffer_store_dword v4, v11, s[0:3], 0 offen offset:8
	;; [unrolled: 1-line block ×3, first 2 shown]
	v_cndmask_b32_e64 v2, 0, 1, s[8:9]
                                        ; implicit-def: $vgpr4_vgpr5
	buffer_store_byte v2, off, s[0:3], 0 offset:264
	s_waitcnt vmcnt(13)
	buffer_store_dword v7, off, s[0:3], 0 offset:12
	s_waitcnt vmcnt(13)
	buffer_store_dword v8, off, s[0:3], 0 offset:8
	;; [unrolled: 2-line block ×3, first 2 shown]
	s_waitcnt vmcnt(13)
	buffer_store_dword v14, off, s[0:3], 0
	s_waitcnt vmcnt(13)
	v_cmp_ne_u16_e32 vcc, 0, v1
                                        ; implicit-def: $vgpr2_vgpr3
	s_and_saveexec_b64 s[10:11], vcc
	s_xor_b64 s[10:11], exec, s[10:11]
	s_cbranch_execz .LBB2096_506
; %bb.505:
	buffer_load_dword v2, off, s[0:3], 0
	buffer_load_dword v3, off, s[0:3], 0 offset:4
	buffer_load_dword v4, off, s[0:3], 0 offset:8
	;; [unrolled: 1-line block ×3, first 2 shown]
.LBB2096_506:
	s_andn2_saveexec_b64 s[10:11], s[10:11]
	s_cbranch_execz .LBB2096_512
; %bb.507:
	s_mov_b32 s12, 0
	s_waitcnt vmcnt(3)
	v_mov_b32_e32 v2, 0x74
	s_waitcnt vmcnt(2)
	v_mov_b32_e32 v3, 0
	s_waitcnt vmcnt(0)
.LBB2096_508:                           ; =>This Inner Loop Header: Depth=1
	v_add_u32_e32 v4, s12, v2
	s_add_i32 s12, s12, 8
	s_cmp_lg_u32 s12, 16
	buffer_store_dword v3, v4, s[0:3], 0 offen offset:4
	buffer_store_dword v3, v4, s[0:3], 0 offen
	s_cbranch_scc1 .LBB2096_508
; %bb.509:
	s_mov_b32 s12, 0
	v_mov_b32_e32 v2, 0x60
	v_mov_b32_e32 v3, 0
	;; [unrolled: 1-line block ×3, first 2 shown]
.LBB2096_510:                           ; =>This Inner Loop Header: Depth=1
	v_add_u32_e32 v5, s12, v2
	v_add_u32_e32 v6, s12, v3
	buffer_load_dword v7, v5, s[0:3], 0 offen offset:4
	buffer_load_dword v8, v6, s[0:3], 0 offen
	buffer_load_dword v9, v5, s[0:3], 0 offen
	buffer_load_dword v14, v6, s[0:3], 0 offen offset:4
                                        ; kill: killed $vgpr5
	v_add_u32_e32 v5, s12, v4
	s_add_i32 s12, s12, 8
	s_cmp_lg_u32 s12, 16
                                        ; kill: killed $vgpr6
	s_waitcnt vmcnt(1)
	v_add_u32_e32 v6, v8, v9
	s_waitcnt vmcnt(0)
	v_add_u32_e32 v7, v14, v7
	buffer_store_dword v7, v5, s[0:3], 0 offen offset:4
	buffer_store_dword v6, v5, s[0:3], 0 offen
	s_cbranch_scc1 .LBB2096_510
; %bb.511:
	buffer_load_dword v2, off, s[0:3], 0 offset:116
	buffer_load_dword v3, off, s[0:3], 0 offset:120
	;; [unrolled: 1-line block ×4, first 2 shown]
.LBB2096_512:
	s_or_b64 exec, exec, s[10:11]
	buffer_load_dword v7, v12, s[0:3], 0 offen offset:12
	buffer_load_dword v8, v12, s[0:3], 0 offen offset:8
	;; [unrolled: 1-line block ×3, first 2 shown]
	buffer_load_dword v14, v12, s[0:3], 0 offen
	buffer_load_ubyte v6, off, s[0:3], 0 offset:284
	v_and_b32_e32 v1, 1, v1
	v_cmp_eq_u32_e32 vcc, 1, v1
	s_or_b64 s[8:9], vcc, s[8:9]
	v_cndmask_b32_e64 v1, 0, 1, s[8:9]
	s_waitcnt vmcnt(7)
	buffer_store_dword v3, off, s[0:3], 0 offset:100
	buffer_store_dword v2, off, s[0:3], 0 offset:96
	s_waitcnt vmcnt(7)
	buffer_store_dword v5, off, s[0:3], 0 offset:108
	buffer_store_dword v4, off, s[0:3], 0 offset:104
	buffer_store_dword v2, v12, s[0:3], 0 offen
	buffer_store_dword v3, v12, s[0:3], 0 offen offset:4
	buffer_store_dword v4, v12, s[0:3], 0 offen offset:8
	;; [unrolled: 1-line block ×3, first 2 shown]
                                        ; implicit-def: $vgpr4_vgpr5
                                        ; implicit-def: $vgpr2_vgpr3
	buffer_store_byte v1, off, s[0:3], 0 offset:284
	s_waitcnt vmcnt(13)
	buffer_store_dword v7, off, s[0:3], 0 offset:12
	s_waitcnt vmcnt(13)
	buffer_store_dword v8, off, s[0:3], 0 offset:8
	;; [unrolled: 2-line block ×3, first 2 shown]
	s_waitcnt vmcnt(13)
	buffer_store_dword v14, off, s[0:3], 0
	s_waitcnt vmcnt(13)
	v_cmp_ne_u16_e32 vcc, 0, v6
	s_and_saveexec_b64 s[10:11], vcc
	s_xor_b64 s[10:11], exec, s[10:11]
	s_cbranch_execz .LBB2096_514
; %bb.513:
	buffer_load_dword v2, off, s[0:3], 0
	buffer_load_dword v3, off, s[0:3], 0 offset:4
	buffer_load_dword v4, off, s[0:3], 0 offset:8
	;; [unrolled: 1-line block ×3, first 2 shown]
.LBB2096_514:
	s_andn2_saveexec_b64 s[10:11], s[10:11]
	s_cbranch_execz .LBB2096_520
; %bb.515:
	s_mov_b32 s12, 0
	v_mov_b32_e32 v1, 0x74
	s_waitcnt vmcnt(3)
	v_mov_b32_e32 v2, 0
	s_waitcnt vmcnt(0)
.LBB2096_516:                           ; =>This Inner Loop Header: Depth=1
	v_add_u32_e32 v3, s12, v1
	s_add_i32 s12, s12, 8
	s_cmp_lg_u32 s12, 16
	buffer_store_dword v2, v3, s[0:3], 0 offen offset:4
	buffer_store_dword v2, v3, s[0:3], 0 offen
	s_cbranch_scc1 .LBB2096_516
; %bb.517:
	s_mov_b32 s12, 0
	v_mov_b32_e32 v1, 0x60
	v_mov_b32_e32 v2, 0
	;; [unrolled: 1-line block ×3, first 2 shown]
.LBB2096_518:                           ; =>This Inner Loop Header: Depth=1
	v_add_u32_e32 v4, s12, v1
	v_add_u32_e32 v5, s12, v2
	buffer_load_dword v7, v4, s[0:3], 0 offen offset:4
	buffer_load_dword v8, v5, s[0:3], 0 offen
	buffer_load_dword v9, v4, s[0:3], 0 offen
	buffer_load_dword v14, v5, s[0:3], 0 offen offset:4
                                        ; kill: killed $vgpr4
	v_add_u32_e32 v4, s12, v3
	s_add_i32 s12, s12, 8
	s_cmp_lg_u32 s12, 16
                                        ; kill: killed $vgpr5
	s_waitcnt vmcnt(1)
	v_add_u32_e32 v5, v8, v9
	s_waitcnt vmcnt(0)
	v_add_u32_e32 v7, v14, v7
	buffer_store_dword v7, v4, s[0:3], 0 offen offset:4
	buffer_store_dword v5, v4, s[0:3], 0 offen
	s_cbranch_scc1 .LBB2096_518
; %bb.519:
	buffer_load_dword v2, off, s[0:3], 0 offset:116
	buffer_load_dword v3, off, s[0:3], 0 offset:120
	;; [unrolled: 1-line block ×4, first 2 shown]
.LBB2096_520:
	s_or_b64 exec, exec, s[10:11]
	v_and_b32_e32 v1, 1, v6
	s_waitcnt vmcnt(0)
	buffer_store_dword v5, v13, s[0:3], 0 offen offset:12
	buffer_store_dword v4, v13, s[0:3], 0 offen offset:8
	;; [unrolled: 1-line block ×3, first 2 shown]
	v_mov_b32_e32 v3, 0
	v_cmp_eq_u32_e32 vcc, 1, v1
	ds_read2_b32 v[4:5], v3 offset0:17 offset1:18
	ds_read_u8 v1, v3 offset:76
	ds_read2_b32 v[6:7], v3 offset0:15 offset1:16
	s_or_b64 s[8:9], vcc, s[8:9]
	v_cndmask_b32_e64 v8, 0, 1, s[8:9]
	buffer_store_dword v2, v13, s[0:3], 0 offen
	buffer_store_byte v8, off, s[0:3], 0 offset:304
	s_waitcnt lgkmcnt(2)
	buffer_store_dword v5, off, s[0:3], 0 offset:188
	buffer_store_dword v4, off, s[0:3], 0 offset:184
	s_waitcnt lgkmcnt(0)
	buffer_store_dword v7, off, s[0:3], 0 offset:180
	buffer_store_dword v6, off, s[0:3], 0 offset:176
	v_cmp_ne_u16_e32 vcc, 0, v1
	s_cbranch_vccz .LBB2096_526
; %bb.521:
	buffer_load_dword v2, off, s[0:3], 0 offset:176
	buffer_load_dword v3, off, s[0:3], 0 offset:180
	;; [unrolled: 1-line block ×4, first 2 shown]
	s_cbranch_execz .LBB2096_527
	s_branch .LBB2096_532
.LBB2096_522:
	v_lshlrev_b32_e32 v20, 4, v0
	v_mov_b32_e32 v21, s33
	v_add_co_u32_e32 v20, vcc, s9, v20
	v_addc_co_u32_e32 v21, vcc, 0, v21, vcc
	flat_load_dwordx4 v[20:23], v[20:21]
	s_waitcnt vmcnt(0) lgkmcnt(0)
	buffer_store_dword v21, off, s[0:3], 0 offset:4
	buffer_store_dword v20, off, s[0:3], 0
	buffer_store_dword v23, off, s[0:3], 0 offset:12
	buffer_store_dword v22, off, s[0:3], 0 offset:8
	s_or_b64 exec, exec, s[16:17]
	s_and_saveexec_b64 s[16:17], s[6:7]
	s_cbranch_execz .LBB2096_35
.LBB2096_523:
	v_lshlrev_b32_e32 v14, 4, v14
	v_mov_b32_e32 v21, s33
	v_add_co_u32_e32 v20, vcc, s9, v14
	v_addc_co_u32_e32 v21, vcc, 0, v21, vcc
	flat_load_dwordx4 v[20:23], v[20:21]
	s_waitcnt vmcnt(0) lgkmcnt(0)
	buffer_store_dword v21, off, s[0:3], 0 offset:20
	buffer_store_dword v20, off, s[0:3], 0 offset:16
	;; [unrolled: 1-line block ×4, first 2 shown]
	s_or_b64 exec, exec, s[16:17]
	s_and_saveexec_b64 s[6:7], s[14:15]
	s_cbranch_execz .LBB2096_36
.LBB2096_524:
	v_lshlrev_b32_e32 v14, 4, v17
	v_mov_b32_e32 v17, s33
	v_add_co_u32_e32 v20, vcc, s9, v14
	v_addc_co_u32_e32 v21, vcc, 0, v17, vcc
	flat_load_dwordx4 v[20:23], v[20:21]
	s_waitcnt vmcnt(0) lgkmcnt(0)
	buffer_store_dword v21, off, s[0:3], 0 offset:36
	buffer_store_dword v20, off, s[0:3], 0 offset:32
	;; [unrolled: 1-line block ×4, first 2 shown]
	s_or_b64 exec, exec, s[6:7]
	s_and_saveexec_b64 s[6:7], s[10:11]
	s_cbranch_execz .LBB2096_37
.LBB2096_525:
	v_lshlrev_b32_e32 v14, 4, v18
	v_mov_b32_e32 v17, s33
	v_add_co_u32_e32 v20, vcc, s9, v14
	v_addc_co_u32_e32 v21, vcc, 0, v17, vcc
	flat_load_dwordx4 v[20:23], v[20:21]
	s_waitcnt vmcnt(0) lgkmcnt(0)
	buffer_store_dword v21, off, s[0:3], 0 offset:52
	buffer_store_dword v20, off, s[0:3], 0 offset:48
	;; [unrolled: 1-line block ×4, first 2 shown]
	s_or_b64 exec, exec, s[6:7]
	v_mul_u32_u24_e32 v14, 5, v0
	s_and_saveexec_b64 s[6:7], s[12:13]
	s_cbranch_execnz .LBB2096_38
	s_branch .LBB2096_39
.LBB2096_526:
                                        ; implicit-def: $vgpr4_vgpr5
.LBB2096_527:
	s_mov_b32 s8, 0
	s_waitcnt vmcnt(3)
	v_mov_b32_e32 v2, 0
	s_waitcnt vmcnt(2)
	v_mov_b32_e32 v3, 0
	s_waitcnt vmcnt(0)
.LBB2096_528:                           ; =>This Inner Loop Header: Depth=1
	v_add_u32_e32 v4, s8, v2
	s_add_i32 s8, s8, 8
	s_cmp_lg_u32 s8, 16
	buffer_store_dword v3, v4, s[0:3], 0 offen offset:4
	buffer_store_dword v3, v4, s[0:3], 0 offen
	s_cbranch_scc1 .LBB2096_528
; %bb.529:
	s_mov_b32 s8, 0
	v_mov_b32_e32 v2, 0x9c
	v_mov_b32_e32 v3, 0xb0
	;; [unrolled: 1-line block ×3, first 2 shown]
.LBB2096_530:                           ; =>This Inner Loop Header: Depth=1
	v_add_u32_e32 v5, s8, v2
	v_add_u32_e32 v6, s8, v3
	buffer_load_dword v7, v5, s[0:3], 0 offen offset:4
	buffer_load_dword v8, v6, s[0:3], 0 offen
	buffer_load_dword v9, v5, s[0:3], 0 offen
	buffer_load_dword v14, v6, s[0:3], 0 offen offset:4
                                        ; kill: killed $vgpr5
	v_add_u32_e32 v5, s8, v4
	s_add_i32 s8, s8, 8
	s_cmp_lg_u32 s8, 16
                                        ; kill: killed $vgpr6
	s_waitcnt vmcnt(1)
	v_add_u32_e32 v6, v8, v9
	s_waitcnt vmcnt(0)
	v_add_u32_e32 v7, v14, v7
	buffer_store_dword v7, v5, s[0:3], 0 offen offset:4
	buffer_store_dword v6, v5, s[0:3], 0 offen
	s_cbranch_scc1 .LBB2096_530
; %bb.531:
	buffer_load_dword v2, off, s[0:3], 0
	buffer_load_dword v3, off, s[0:3], 0 offset:4
	buffer_load_dword v4, off, s[0:3], 0 offset:8
	buffer_load_dword v5, off, s[0:3], 0 offset:12
.LBB2096_532:
	buffer_load_ubyte v6, off, s[0:3], 0 offset:172
	s_waitcnt vmcnt(3)
	buffer_store_dword v3, off, s[0:3], 0 offset:180
	buffer_store_dword v2, off, s[0:3], 0 offset:176
	s_waitcnt vmcnt(3)
	buffer_store_dword v5, off, s[0:3], 0 offset:188
	s_waitcnt vmcnt(3)
	v_or_b32_e32 v1, v1, v6
	v_and_b32_e32 v1, 1, v1
	buffer_store_dword v4, off, s[0:3], 0 offset:184
	buffer_store_byte v1, off, s[0:3], 0 offset:192
	s_and_saveexec_b64 s[8:9], s[6:7]
	s_cbranch_execz .LBB2096_534
; %bb.533:
	v_mov_b32_e32 v6, 0
	global_store_dwordx4 v6, v[2:5], s[22:23] offset:1280
	global_store_byte v6, v1, s[22:23] offset:1296
	v_mov_b32_e32 v1, 2
	s_waitcnt vmcnt(0)
	buffer_wbinvl1_vol
	global_store_byte v6, v1, s[24:25] offset:64
.LBB2096_534:
	s_or_b64 exec, exec, s[8:9]
.LBB2096_535:
	s_mov_b32 s6, 0
	v_mov_b32_e32 v1, 0
	v_mov_b32_e32 v2, 0
.LBB2096_536:                           ; =>This Inner Loop Header: Depth=1
	v_add_u32_e32 v3, s6, v1
	s_add_i32 s6, s6, 8
	s_cmp_lg_u32 s6, 16
	buffer_store_dword v2, v3, s[0:3], 0 offen offset:4
	buffer_store_dword v2, v3, s[0:3], 0 offen
	s_cbranch_scc1 .LBB2096_536
; %bb.537:
	s_mov_b32 s6, 16
	v_mov_b32_e32 v1, 0
	v_mov_b32_e32 v2, 0
.LBB2096_538:                           ; =>This Inner Loop Header: Depth=1
	v_add_u32_e32 v3, s6, v1
	s_add_i32 s6, s6, 8
	s_cmp_lg_u32 s6, 32
	buffer_store_dword v2, v3, s[0:3], 0 offen offset:4
	buffer_store_dword v2, v3, s[0:3], 0 offen
	s_cbranch_scc1 .LBB2096_538
; %bb.539:
	s_mov_b32 s6, 32
	v_mov_b32_e32 v1, 0
	v_mov_b32_e32 v2, 0
.LBB2096_540:                           ; =>This Inner Loop Header: Depth=1
	v_add_u32_e32 v3, s6, v1
	s_add_i32 s6, s6, 8
	s_cmp_lg_u32 s6, 48
	buffer_store_dword v2, v3, s[0:3], 0 offen offset:4
	buffer_store_dword v2, v3, s[0:3], 0 offen
	s_cbranch_scc1 .LBB2096_540
; %bb.541:
	s_mov_b32 s6, 48
	v_mov_b32_e32 v1, 0
	v_mov_b32_e32 v2, 0
.LBB2096_542:                           ; =>This Inner Loop Header: Depth=1
	v_add_u32_e32 v3, s6, v1
	s_add_i32 s6, s6, 8
	s_cmp_lg_u32 s6, 64
	buffer_store_dword v2, v3, s[0:3], 0 offen offset:4
	buffer_store_dword v2, v3, s[0:3], 0 offen
	s_cbranch_scc1 .LBB2096_542
; %bb.543:
	s_mov_b32 s6, 64
	v_mov_b32_e32 v1, 0
	v_mov_b32_e32 v2, 0
.LBB2096_544:                           ; =>This Inner Loop Header: Depth=1
	v_add_u32_e32 v3, s6, v1
	s_add_i32 s6, s6, 8
	s_cmpk_lg_i32 s6, 0x50
	buffer_store_dword v2, v3, s[0:3], 0 offen offset:4
	buffer_store_dword v2, v3, s[0:3], 0 offen
	s_cbranch_scc1 .LBB2096_544
; %bb.545:
	s_add_u32 s6, s18, s34
	s_addc_u32 s7, s19, s35
	v_mov_b32_e32 v1, 0
	s_add_u32 s8, s6, s40
	v_add_u32_e32 v4, 64, v1
	v_add_u32_e32 v5, 48, v1
	;; [unrolled: 1-line block ×4, first 2 shown]
	s_addc_u32 s9, s7, s41
	s_and_b64 vcc, exec, s[4:5]
	s_cbranch_vccz .LBB2096_561
; %bb.546:
	s_add_i32 s27, s27, s26
	v_mul_u32_u24_e32 v1, 5, v0
	v_cmp_gt_u32_e32 vcc, s27, v1
	s_and_saveexec_b64 s[4:5], vcc
	s_cbranch_execz .LBB2096_552
; %bb.547:
	buffer_load_dword v2, off, s[0:3], 0 offset:220
	buffer_load_dword v3, off, s[0:3], 0 offset:216
	;; [unrolled: 1-line block ×4, first 2 shown]
	v_add_u32_e32 v14, 1, v1
	v_cmp_gt_u32_e32 vcc, s27, v14
	s_waitcnt vmcnt(3)
	buffer_store_dword v2, off, s[0:3], 0 offset:12
	s_waitcnt vmcnt(3)
	buffer_store_dword v3, off, s[0:3], 0 offset:8
	;; [unrolled: 2-line block ×3, first 2 shown]
	s_waitcnt vmcnt(3)
	buffer_store_dword v9, off, s[0:3], 0
	s_and_b64 exec, exec, vcc
	s_cbranch_execz .LBB2096_552
; %bb.548:
	buffer_load_dword v2, v10, s[0:3], 0 offen offset:12
	buffer_load_dword v3, v10, s[0:3], 0 offen offset:8
	buffer_load_dword v8, v10, s[0:3], 0 offen offset:4
	buffer_load_dword v9, v10, s[0:3], 0 offen
	v_add_u32_e32 v14, 2, v1
	v_cmp_gt_u32_e32 vcc, s27, v14
	s_waitcnt vmcnt(3)
	buffer_store_dword v2, v7, s[0:3], 0 offen offset:12
	s_waitcnt vmcnt(3)
	buffer_store_dword v3, v7, s[0:3], 0 offen offset:8
	s_waitcnt vmcnt(3)
	buffer_store_dword v8, v7, s[0:3], 0 offen offset:4
	s_waitcnt vmcnt(3)
	buffer_store_dword v9, v7, s[0:3], 0 offen
	s_and_b64 exec, exec, vcc
	s_cbranch_execz .LBB2096_552
; %bb.549:
	buffer_load_dword v2, v11, s[0:3], 0 offen offset:12
	buffer_load_dword v3, v11, s[0:3], 0 offen offset:8
	buffer_load_dword v8, v11, s[0:3], 0 offen offset:4
	buffer_load_dword v9, v11, s[0:3], 0 offen
	v_add_u32_e32 v14, 3, v1
	v_cmp_gt_u32_e32 vcc, s27, v14
	s_waitcnt vmcnt(3)
	buffer_store_dword v2, v6, s[0:3], 0 offen offset:12
	s_waitcnt vmcnt(3)
	buffer_store_dword v3, v6, s[0:3], 0 offen offset:8
	s_waitcnt vmcnt(3)
	buffer_store_dword v8, v6, s[0:3], 0 offen offset:4
	s_waitcnt vmcnt(3)
	buffer_store_dword v9, v6, s[0:3], 0 offen
	s_and_b64 exec, exec, vcc
	s_cbranch_execz .LBB2096_552
; %bb.550:
	buffer_load_dword v2, v12, s[0:3], 0 offen offset:12
	buffer_load_dword v3, v12, s[0:3], 0 offen offset:8
	buffer_load_dword v8, v12, s[0:3], 0 offen offset:4
	buffer_load_dword v9, v12, s[0:3], 0 offen
	v_add_u32_e32 v14, 4, v1
	v_cmp_gt_u32_e32 vcc, s27, v14
	s_waitcnt vmcnt(3)
	buffer_store_dword v2, v5, s[0:3], 0 offen offset:12
	s_waitcnt vmcnt(3)
	buffer_store_dword v3, v5, s[0:3], 0 offen offset:8
	s_waitcnt vmcnt(3)
	buffer_store_dword v8, v5, s[0:3], 0 offen offset:4
	s_waitcnt vmcnt(3)
	buffer_store_dword v9, v5, s[0:3], 0 offen
	s_and_b64 exec, exec, vcc
	s_cbranch_execz .LBB2096_552
; %bb.551:
	buffer_load_dword v2, v13, s[0:3], 0 offen offset:12
	buffer_load_dword v3, v13, s[0:3], 0 offen offset:8
	;; [unrolled: 1-line block ×3, first 2 shown]
	buffer_load_dword v9, v13, s[0:3], 0 offen
	s_waitcnt vmcnt(3)
	buffer_store_dword v2, v4, s[0:3], 0 offen offset:12
	s_waitcnt vmcnt(3)
	buffer_store_dword v3, v4, s[0:3], 0 offen offset:8
	;; [unrolled: 2-line block ×3, first 2 shown]
	s_waitcnt vmcnt(3)
	buffer_store_dword v9, v4, s[0:3], 0 offen
.LBB2096_552:
	s_or_b64 exec, exec, s[4:5]
	s_waitcnt vmcnt(63) expcnt(7) lgkmcnt(15)
	s_barrier
	buffer_load_dword v14, off, s[0:3], 0
	buffer_load_dword v15, off, s[0:3], 0 offset:4
	buffer_load_dword v16, off, s[0:3], 0 offset:8
	;; [unrolled: 1-line block ×3, first 2 shown]
	buffer_load_dword v18, v7, s[0:3], 0 offen
	buffer_load_dword v19, v7, s[0:3], 0 offen offset:4
	buffer_load_dword v20, v7, s[0:3], 0 offen offset:8
	buffer_load_dword v21, v7, s[0:3], 0 offen offset:12
	buffer_load_dword v22, v6, s[0:3], 0 offen
	buffer_load_dword v23, v6, s[0:3], 0 offen offset:4
	buffer_load_dword v24, v6, s[0:3], 0 offen offset:8
	buffer_load_dword v25, v6, s[0:3], 0 offen offset:12
	;; [unrolled: 4-line block ×4, first 2 shown]
	v_lshlrev_b32_e32 v2, 4, v1
	v_lshlrev_b32_e32 v3, 6, v0
	v_sub_u32_e32 v8, v2, v3
	v_lshlrev_b32_e32 v9, 4, v0
	v_mov_b32_e32 v34, s9
	v_mov_b32_e32 v1, 0
	s_waitcnt vmcnt(16)
	ds_write_b128 v2, v[14:17]
	s_waitcnt vmcnt(12)
	ds_write_b128 v2, v[18:21] offset:16
	s_waitcnt vmcnt(8)
	ds_write_b128 v2, v[22:25] offset:32
	;; [unrolled: 2-line block ×4, first 2 shown]
	s_waitcnt lgkmcnt(0)
	s_barrier
	ds_read_b128 v[14:17], v8 offset:4096
	ds_read_b128 v[18:21], v8 offset:8192
	;; [unrolled: 1-line block ×4, first 2 shown]
	v_add_co_u32_e32 v2, vcc, s8, v9
	v_addc_co_u32_e32 v3, vcc, 0, v34, vcc
	v_cmp_gt_u32_e32 vcc, s27, v0
	s_waitcnt lgkmcnt(3)
	buffer_store_dword v17, v7, s[0:3], 0 offen offset:12
	buffer_store_dword v16, v7, s[0:3], 0 offen offset:8
	buffer_store_dword v15, v7, s[0:3], 0 offen offset:4
	buffer_store_dword v14, v7, s[0:3], 0 offen
	s_waitcnt lgkmcnt(2)
	buffer_store_dword v21, v6, s[0:3], 0 offen offset:12
	buffer_store_dword v20, v6, s[0:3], 0 offen offset:8
	buffer_store_dword v19, v6, s[0:3], 0 offen offset:4
	buffer_store_dword v18, v6, s[0:3], 0 offen
	;; [unrolled: 5-line block ×4, first 2 shown]
	s_and_saveexec_b64 s[4:5], vcc
	s_cbranch_execz .LBB2096_554
; %bb.553:
	ds_read2_b32 v[16:17], v8 offset0:2 offset1:3
	ds_read2_b32 v[14:15], v8 offset1:1
	s_waitcnt lgkmcnt(0)
	flat_store_dwordx4 v[2:3], v[14:17]
.LBB2096_554:
	s_or_b64 exec, exec, s[4:5]
	v_or_b32_e32 v8, 0x100, v0
	v_cmp_gt_u32_e32 vcc, s27, v8
	s_and_saveexec_b64 s[4:5], vcc
	s_cbranch_execz .LBB2096_556
; %bb.555:
	buffer_load_dword v14, v7, s[0:3], 0 offen
	buffer_load_dword v15, v7, s[0:3], 0 offen offset:4
	buffer_load_dword v16, v7, s[0:3], 0 offen offset:8
	buffer_load_dword v17, v7, s[0:3], 0 offen offset:12
	v_add_co_u32_e32 v8, vcc, 0x1000, v2
	v_addc_co_u32_e32 v9, vcc, 0, v3, vcc
	s_waitcnt vmcnt(0)
	flat_store_dwordx4 v[8:9], v[14:17]
.LBB2096_556:
	s_or_b64 exec, exec, s[4:5]
	v_or_b32_e32 v8, 0x200, v0
	v_cmp_gt_u32_e32 vcc, s27, v8
	s_and_saveexec_b64 s[4:5], vcc
	s_cbranch_execz .LBB2096_558
; %bb.557:
	buffer_load_dword v14, v6, s[0:3], 0 offen
	buffer_load_dword v15, v6, s[0:3], 0 offen offset:4
	buffer_load_dword v16, v6, s[0:3], 0 offen offset:8
	buffer_load_dword v17, v6, s[0:3], 0 offen offset:12
	v_add_co_u32_e32 v8, vcc, 0x2000, v2
	v_addc_co_u32_e32 v9, vcc, 0, v3, vcc
	s_waitcnt vmcnt(0)
	flat_store_dwordx4 v[8:9], v[14:17]
.LBB2096_558:
	;; [unrolled: 15-line block ×3, first 2 shown]
	s_or_b64 exec, exec, s[4:5]
	v_or_b32_e32 v2, 0x400, v0
	v_cmp_gt_u32_e64 s[4:5], s27, v2
	s_branch .LBB2096_563
.LBB2096_561:
	s_mov_b64 s[4:5], 0
	s_cbranch_execz .LBB2096_563
; %bb.562:
	buffer_load_dword v1, off, s[0:3], 0 offset:220
	buffer_load_dword v2, off, s[0:3], 0 offset:216
	;; [unrolled: 1-line block ×4, first 2 shown]
	buffer_load_dword v9, v10, s[0:3], 0 offen offset:12
	buffer_load_dword v14, v10, s[0:3], 0 offen offset:8
	buffer_load_dword v15, v10, s[0:3], 0 offen offset:4
	buffer_load_dword v16, v10, s[0:3], 0 offen
	buffer_load_dword v17, v11, s[0:3], 0 offen offset:12
	buffer_load_dword v18, v11, s[0:3], 0 offen offset:8
	buffer_load_dword v19, v11, s[0:3], 0 offen offset:4
	buffer_load_dword v20, v11, s[0:3], 0 offen
	;; [unrolled: 4-line block ×3, first 2 shown]
	buffer_load_dword v25, v13, s[0:3], 0 offen offset:12
	buffer_load_dword v26, v13, s[0:3], 0 offen offset:8
	;; [unrolled: 1-line block ×3, first 2 shown]
                                        ; kill: killed $vgpr10
                                        ; kill: killed $vgpr11
                                        ; kill: killed $vgpr12
	buffer_load_dword v10, v13, s[0:3], 0 offen
	v_mov_b32_e32 v28, s9
	s_movk_i32 s6, 0x1000
	s_movk_i32 s7, 0x2000
	s_or_b64 s[4:5], s[4:5], exec
	s_waitcnt vmcnt(0)
	buffer_store_dword v1, off, s[0:3], 0 offset:12
	buffer_store_dword v2, off, s[0:3], 0 offset:8
	;; [unrolled: 1-line block ×3, first 2 shown]
	buffer_store_dword v8, off, s[0:3], 0
	buffer_store_dword v9, v7, s[0:3], 0 offen offset:12
	buffer_store_dword v14, v7, s[0:3], 0 offen offset:8
	buffer_store_dword v15, v7, s[0:3], 0 offen offset:4
	buffer_store_dword v16, v7, s[0:3], 0 offen
	buffer_store_dword v17, v6, s[0:3], 0 offen offset:12
	buffer_store_dword v18, v6, s[0:3], 0 offen offset:8
	buffer_store_dword v19, v6, s[0:3], 0 offen offset:4
	buffer_store_dword v20, v6, s[0:3], 0 offen
	;; [unrolled: 4-line block ×4, first 2 shown]
	s_waitcnt lgkmcnt(0)
	s_barrier
	buffer_load_dword v8, off, s[0:3], 0
	buffer_load_dword v9, off, s[0:3], 0 offset:4
	buffer_load_dword v10, off, s[0:3], 0 offset:8
	;; [unrolled: 1-line block ×3, first 2 shown]
	buffer_load_dword v12, v7, s[0:3], 0 offen
	buffer_load_dword v13, v7, s[0:3], 0 offen offset:4
	buffer_load_dword v14, v7, s[0:3], 0 offen offset:8
	buffer_load_dword v15, v7, s[0:3], 0 offen offset:12
	buffer_load_dword v16, v6, s[0:3], 0 offen
	buffer_load_dword v17, v6, s[0:3], 0 offen offset:4
	buffer_load_dword v18, v6, s[0:3], 0 offen offset:8
	buffer_load_dword v19, v6, s[0:3], 0 offen offset:12
	;; [unrolled: 4-line block ×4, first 2 shown]
	v_mul_u32_u24_e32 v1, 0x50, v0
	v_lshlrev_b32_e32 v2, 6, v0
	v_lshlrev_b32_e32 v3, 4, v0
	v_sub_u32_e32 v32, v1, v2
	v_add_co_u32_e32 v2, vcc, s8, v3
	v_addc_co_u32_e32 v3, vcc, 0, v28, vcc
	v_add_co_u32_e32 v28, vcc, s6, v2
	v_addc_co_u32_e32 v29, vcc, 0, v3, vcc
	;; [unrolled: 2-line block ×3, first 2 shown]
	s_waitcnt vmcnt(16)
	ds_write_b128 v1, v[8:11]
	s_waitcnt vmcnt(12)
	ds_write_b128 v1, v[12:15] offset:16
	s_waitcnt vmcnt(8)
	ds_write_b128 v1, v[16:19] offset:32
	;; [unrolled: 2-line block ×4, first 2 shown]
	s_waitcnt lgkmcnt(0)
	s_barrier
	ds_read_b128 v[8:11], v32 offset:4096
	ds_read_b128 v[12:15], v32 offset:8192
	;; [unrolled: 1-line block ×4, first 2 shown]
	ds_read2_b32 v[26:27], v32 offset0:2 offset1:3
	ds_read2_b32 v[24:25], v32 offset1:1
	s_waitcnt lgkmcnt(5)
	buffer_store_dword v11, v7, s[0:3], 0 offen offset:12
	buffer_store_dword v10, v7, s[0:3], 0 offen offset:8
	buffer_store_dword v9, v7, s[0:3], 0 offen offset:4
	buffer_store_dword v8, v7, s[0:3], 0 offen
	s_waitcnt lgkmcnt(4)
	buffer_store_dword v15, v6, s[0:3], 0 offen offset:12
	buffer_store_dword v14, v6, s[0:3], 0 offen offset:8
	buffer_store_dword v13, v6, s[0:3], 0 offen offset:4
	buffer_store_dword v12, v6, s[0:3], 0 offen
	;; [unrolled: 5-line block ×4, first 2 shown]
	s_waitcnt lgkmcnt(0)
	flat_store_dwordx4 v[2:3], v[24:27]
	flat_store_dwordx4 v[28:29], v[8:11]
	;; [unrolled: 1-line block ×3, first 2 shown]
	buffer_load_dword v6, v5, s[0:3], 0 offen
	buffer_load_dword v7, v5, s[0:3], 0 offen offset:4
	s_nop 0
	buffer_load_dword v8, v5, s[0:3], 0 offen offset:8
	buffer_load_dword v9, v5, s[0:3], 0 offen offset:12
	v_add_co_u32_e32 v2, vcc, 0x3000, v2
	v_mov_b32_e32 v1, 0
	v_addc_co_u32_e32 v3, vcc, 0, v3, vcc
	s_waitcnt vmcnt(0)
	flat_store_dwordx4 v[2:3], v[6:9]
.LBB2096_563:
	s_and_saveexec_b64 s[6:7], s[4:5]
	s_cbranch_execnz .LBB2096_565
; %bb.564:
	s_endpgm
.LBB2096_565:
	buffer_load_dword v6, v4, s[0:3], 0 offen
	buffer_load_dword v7, v4, s[0:3], 0 offen offset:4
	buffer_load_dword v8, v4, s[0:3], 0 offen offset:8
	;; [unrolled: 1-line block ×3, first 2 shown]
	v_lshlrev_b64 v[0:1], 4, v[0:1]
	v_mov_b32_e32 v2, s9
	v_add_co_u32_e32 v0, vcc, s8, v0
	v_addc_co_u32_e32 v1, vcc, v2, v1, vcc
	v_add_co_u32_e32 v0, vcc, 0x4000, v0
	v_addc_co_u32_e32 v1, vcc, 0, v1, vcc
	s_waitcnt vmcnt(0)
	flat_store_dwordx4 v[0:1], v[6:9]
	s_endpgm
	.section	.rodata,"a",@progbits
	.p2align	6, 0x0
	.amdhsa_kernel _ZN7rocprim17ROCPRIM_400000_NS6detail17trampoline_kernelINS0_14default_configENS1_27scan_by_key_config_selectorIj11FixedVectorIiLj4EEEEZZNS1_16scan_by_key_implILNS1_25lookback_scan_determinismE0ELb1ES3_N6thrust23THRUST_200600_302600_NS6detail15normal_iteratorINSB_10device_ptrIjEEEENSD_INSE_IS6_EEEESI_S6_NSB_4plusIvEENSB_8equal_toIvEES6_EE10hipError_tPvRmT2_T3_T4_T5_mT6_T7_P12ihipStream_tbENKUlT_T0_E_clISt17integral_constantIbLb1EES12_IbLb0EEEEDaSY_SZ_EUlSY_E_NS1_11comp_targetILNS1_3genE4ELNS1_11target_archE910ELNS1_3gpuE8ELNS1_3repE0EEENS1_30default_config_static_selectorELNS0_4arch9wavefront6targetE1EEEvT1_
		.amdhsa_group_segment_fixed_size 20480
		.amdhsa_private_segment_fixed_size 320
		.amdhsa_kernarg_size 144
		.amdhsa_user_sgpr_count 8
		.amdhsa_user_sgpr_private_segment_buffer 1
		.amdhsa_user_sgpr_dispatch_ptr 0
		.amdhsa_user_sgpr_queue_ptr 0
		.amdhsa_user_sgpr_kernarg_segment_ptr 1
		.amdhsa_user_sgpr_dispatch_id 0
		.amdhsa_user_sgpr_flat_scratch_init 1
		.amdhsa_user_sgpr_kernarg_preload_length 0
		.amdhsa_user_sgpr_kernarg_preload_offset 0
		.amdhsa_user_sgpr_private_segment_size 0
		.amdhsa_uses_dynamic_stack 0
		.amdhsa_system_sgpr_private_segment_wavefront_offset 1
		.amdhsa_system_sgpr_workgroup_id_x 1
		.amdhsa_system_sgpr_workgroup_id_y 0
		.amdhsa_system_sgpr_workgroup_id_z 0
		.amdhsa_system_sgpr_workgroup_info 0
		.amdhsa_system_vgpr_workitem_id 0
		.amdhsa_next_free_vgpr 43
		.amdhsa_next_free_sgpr 49
		.amdhsa_accum_offset 44
		.amdhsa_reserve_vcc 1
		.amdhsa_reserve_flat_scratch 1
		.amdhsa_float_round_mode_32 0
		.amdhsa_float_round_mode_16_64 0
		.amdhsa_float_denorm_mode_32 3
		.amdhsa_float_denorm_mode_16_64 3
		.amdhsa_dx10_clamp 1
		.amdhsa_ieee_mode 1
		.amdhsa_fp16_overflow 0
		.amdhsa_tg_split 0
		.amdhsa_exception_fp_ieee_invalid_op 0
		.amdhsa_exception_fp_denorm_src 0
		.amdhsa_exception_fp_ieee_div_zero 0
		.amdhsa_exception_fp_ieee_overflow 0
		.amdhsa_exception_fp_ieee_underflow 0
		.amdhsa_exception_fp_ieee_inexact 0
		.amdhsa_exception_int_div_zero 0
	.end_amdhsa_kernel
	.section	.text._ZN7rocprim17ROCPRIM_400000_NS6detail17trampoline_kernelINS0_14default_configENS1_27scan_by_key_config_selectorIj11FixedVectorIiLj4EEEEZZNS1_16scan_by_key_implILNS1_25lookback_scan_determinismE0ELb1ES3_N6thrust23THRUST_200600_302600_NS6detail15normal_iteratorINSB_10device_ptrIjEEEENSD_INSE_IS6_EEEESI_S6_NSB_4plusIvEENSB_8equal_toIvEES6_EE10hipError_tPvRmT2_T3_T4_T5_mT6_T7_P12ihipStream_tbENKUlT_T0_E_clISt17integral_constantIbLb1EES12_IbLb0EEEEDaSY_SZ_EUlSY_E_NS1_11comp_targetILNS1_3genE4ELNS1_11target_archE910ELNS1_3gpuE8ELNS1_3repE0EEENS1_30default_config_static_selectorELNS0_4arch9wavefront6targetE1EEEvT1_,"axG",@progbits,_ZN7rocprim17ROCPRIM_400000_NS6detail17trampoline_kernelINS0_14default_configENS1_27scan_by_key_config_selectorIj11FixedVectorIiLj4EEEEZZNS1_16scan_by_key_implILNS1_25lookback_scan_determinismE0ELb1ES3_N6thrust23THRUST_200600_302600_NS6detail15normal_iteratorINSB_10device_ptrIjEEEENSD_INSE_IS6_EEEESI_S6_NSB_4plusIvEENSB_8equal_toIvEES6_EE10hipError_tPvRmT2_T3_T4_T5_mT6_T7_P12ihipStream_tbENKUlT_T0_E_clISt17integral_constantIbLb1EES12_IbLb0EEEEDaSY_SZ_EUlSY_E_NS1_11comp_targetILNS1_3genE4ELNS1_11target_archE910ELNS1_3gpuE8ELNS1_3repE0EEENS1_30default_config_static_selectorELNS0_4arch9wavefront6targetE1EEEvT1_,comdat
.Lfunc_end2096:
	.size	_ZN7rocprim17ROCPRIM_400000_NS6detail17trampoline_kernelINS0_14default_configENS1_27scan_by_key_config_selectorIj11FixedVectorIiLj4EEEEZZNS1_16scan_by_key_implILNS1_25lookback_scan_determinismE0ELb1ES3_N6thrust23THRUST_200600_302600_NS6detail15normal_iteratorINSB_10device_ptrIjEEEENSD_INSE_IS6_EEEESI_S6_NSB_4plusIvEENSB_8equal_toIvEES6_EE10hipError_tPvRmT2_T3_T4_T5_mT6_T7_P12ihipStream_tbENKUlT_T0_E_clISt17integral_constantIbLb1EES12_IbLb0EEEEDaSY_SZ_EUlSY_E_NS1_11comp_targetILNS1_3genE4ELNS1_11target_archE910ELNS1_3gpuE8ELNS1_3repE0EEENS1_30default_config_static_selectorELNS0_4arch9wavefront6targetE1EEEvT1_, .Lfunc_end2096-_ZN7rocprim17ROCPRIM_400000_NS6detail17trampoline_kernelINS0_14default_configENS1_27scan_by_key_config_selectorIj11FixedVectorIiLj4EEEEZZNS1_16scan_by_key_implILNS1_25lookback_scan_determinismE0ELb1ES3_N6thrust23THRUST_200600_302600_NS6detail15normal_iteratorINSB_10device_ptrIjEEEENSD_INSE_IS6_EEEESI_S6_NSB_4plusIvEENSB_8equal_toIvEES6_EE10hipError_tPvRmT2_T3_T4_T5_mT6_T7_P12ihipStream_tbENKUlT_T0_E_clISt17integral_constantIbLb1EES12_IbLb0EEEEDaSY_SZ_EUlSY_E_NS1_11comp_targetILNS1_3genE4ELNS1_11target_archE910ELNS1_3gpuE8ELNS1_3repE0EEENS1_30default_config_static_selectorELNS0_4arch9wavefront6targetE1EEEvT1_
                                        ; -- End function
	.section	.AMDGPU.csdata,"",@progbits
; Kernel info:
; codeLenInByte = 30460
; NumSgprs: 55
; NumVgprs: 43
; NumAgprs: 0
; TotalNumVgprs: 43
; ScratchSize: 320
; MemoryBound: 1
; FloatMode: 240
; IeeeMode: 1
; LDSByteSize: 20480 bytes/workgroup (compile time only)
; SGPRBlocks: 6
; VGPRBlocks: 5
; NumSGPRsForWavesPerEU: 55
; NumVGPRsForWavesPerEU: 43
; AccumOffset: 44
; Occupancy: 3
; WaveLimiterHint : 1
; COMPUTE_PGM_RSRC2:SCRATCH_EN: 1
; COMPUTE_PGM_RSRC2:USER_SGPR: 8
; COMPUTE_PGM_RSRC2:TRAP_HANDLER: 0
; COMPUTE_PGM_RSRC2:TGID_X_EN: 1
; COMPUTE_PGM_RSRC2:TGID_Y_EN: 0
; COMPUTE_PGM_RSRC2:TGID_Z_EN: 0
; COMPUTE_PGM_RSRC2:TIDIG_COMP_CNT: 0
; COMPUTE_PGM_RSRC3_GFX90A:ACCUM_OFFSET: 10
; COMPUTE_PGM_RSRC3_GFX90A:TG_SPLIT: 0
	.section	.text._ZN7rocprim17ROCPRIM_400000_NS6detail17trampoline_kernelINS0_14default_configENS1_27scan_by_key_config_selectorIj11FixedVectorIiLj4EEEEZZNS1_16scan_by_key_implILNS1_25lookback_scan_determinismE0ELb1ES3_N6thrust23THRUST_200600_302600_NS6detail15normal_iteratorINSB_10device_ptrIjEEEENSD_INSE_IS6_EEEESI_S6_NSB_4plusIvEENSB_8equal_toIvEES6_EE10hipError_tPvRmT2_T3_T4_T5_mT6_T7_P12ihipStream_tbENKUlT_T0_E_clISt17integral_constantIbLb1EES12_IbLb0EEEEDaSY_SZ_EUlSY_E_NS1_11comp_targetILNS1_3genE3ELNS1_11target_archE908ELNS1_3gpuE7ELNS1_3repE0EEENS1_30default_config_static_selectorELNS0_4arch9wavefront6targetE1EEEvT1_,"axG",@progbits,_ZN7rocprim17ROCPRIM_400000_NS6detail17trampoline_kernelINS0_14default_configENS1_27scan_by_key_config_selectorIj11FixedVectorIiLj4EEEEZZNS1_16scan_by_key_implILNS1_25lookback_scan_determinismE0ELb1ES3_N6thrust23THRUST_200600_302600_NS6detail15normal_iteratorINSB_10device_ptrIjEEEENSD_INSE_IS6_EEEESI_S6_NSB_4plusIvEENSB_8equal_toIvEES6_EE10hipError_tPvRmT2_T3_T4_T5_mT6_T7_P12ihipStream_tbENKUlT_T0_E_clISt17integral_constantIbLb1EES12_IbLb0EEEEDaSY_SZ_EUlSY_E_NS1_11comp_targetILNS1_3genE3ELNS1_11target_archE908ELNS1_3gpuE7ELNS1_3repE0EEENS1_30default_config_static_selectorELNS0_4arch9wavefront6targetE1EEEvT1_,comdat
	.protected	_ZN7rocprim17ROCPRIM_400000_NS6detail17trampoline_kernelINS0_14default_configENS1_27scan_by_key_config_selectorIj11FixedVectorIiLj4EEEEZZNS1_16scan_by_key_implILNS1_25lookback_scan_determinismE0ELb1ES3_N6thrust23THRUST_200600_302600_NS6detail15normal_iteratorINSB_10device_ptrIjEEEENSD_INSE_IS6_EEEESI_S6_NSB_4plusIvEENSB_8equal_toIvEES6_EE10hipError_tPvRmT2_T3_T4_T5_mT6_T7_P12ihipStream_tbENKUlT_T0_E_clISt17integral_constantIbLb1EES12_IbLb0EEEEDaSY_SZ_EUlSY_E_NS1_11comp_targetILNS1_3genE3ELNS1_11target_archE908ELNS1_3gpuE7ELNS1_3repE0EEENS1_30default_config_static_selectorELNS0_4arch9wavefront6targetE1EEEvT1_ ; -- Begin function _ZN7rocprim17ROCPRIM_400000_NS6detail17trampoline_kernelINS0_14default_configENS1_27scan_by_key_config_selectorIj11FixedVectorIiLj4EEEEZZNS1_16scan_by_key_implILNS1_25lookback_scan_determinismE0ELb1ES3_N6thrust23THRUST_200600_302600_NS6detail15normal_iteratorINSB_10device_ptrIjEEEENSD_INSE_IS6_EEEESI_S6_NSB_4plusIvEENSB_8equal_toIvEES6_EE10hipError_tPvRmT2_T3_T4_T5_mT6_T7_P12ihipStream_tbENKUlT_T0_E_clISt17integral_constantIbLb1EES12_IbLb0EEEEDaSY_SZ_EUlSY_E_NS1_11comp_targetILNS1_3genE3ELNS1_11target_archE908ELNS1_3gpuE7ELNS1_3repE0EEENS1_30default_config_static_selectorELNS0_4arch9wavefront6targetE1EEEvT1_
	.globl	_ZN7rocprim17ROCPRIM_400000_NS6detail17trampoline_kernelINS0_14default_configENS1_27scan_by_key_config_selectorIj11FixedVectorIiLj4EEEEZZNS1_16scan_by_key_implILNS1_25lookback_scan_determinismE0ELb1ES3_N6thrust23THRUST_200600_302600_NS6detail15normal_iteratorINSB_10device_ptrIjEEEENSD_INSE_IS6_EEEESI_S6_NSB_4plusIvEENSB_8equal_toIvEES6_EE10hipError_tPvRmT2_T3_T4_T5_mT6_T7_P12ihipStream_tbENKUlT_T0_E_clISt17integral_constantIbLb1EES12_IbLb0EEEEDaSY_SZ_EUlSY_E_NS1_11comp_targetILNS1_3genE3ELNS1_11target_archE908ELNS1_3gpuE7ELNS1_3repE0EEENS1_30default_config_static_selectorELNS0_4arch9wavefront6targetE1EEEvT1_
	.p2align	8
	.type	_ZN7rocprim17ROCPRIM_400000_NS6detail17trampoline_kernelINS0_14default_configENS1_27scan_by_key_config_selectorIj11FixedVectorIiLj4EEEEZZNS1_16scan_by_key_implILNS1_25lookback_scan_determinismE0ELb1ES3_N6thrust23THRUST_200600_302600_NS6detail15normal_iteratorINSB_10device_ptrIjEEEENSD_INSE_IS6_EEEESI_S6_NSB_4plusIvEENSB_8equal_toIvEES6_EE10hipError_tPvRmT2_T3_T4_T5_mT6_T7_P12ihipStream_tbENKUlT_T0_E_clISt17integral_constantIbLb1EES12_IbLb0EEEEDaSY_SZ_EUlSY_E_NS1_11comp_targetILNS1_3genE3ELNS1_11target_archE908ELNS1_3gpuE7ELNS1_3repE0EEENS1_30default_config_static_selectorELNS0_4arch9wavefront6targetE1EEEvT1_,@function
_ZN7rocprim17ROCPRIM_400000_NS6detail17trampoline_kernelINS0_14default_configENS1_27scan_by_key_config_selectorIj11FixedVectorIiLj4EEEEZZNS1_16scan_by_key_implILNS1_25lookback_scan_determinismE0ELb1ES3_N6thrust23THRUST_200600_302600_NS6detail15normal_iteratorINSB_10device_ptrIjEEEENSD_INSE_IS6_EEEESI_S6_NSB_4plusIvEENSB_8equal_toIvEES6_EE10hipError_tPvRmT2_T3_T4_T5_mT6_T7_P12ihipStream_tbENKUlT_T0_E_clISt17integral_constantIbLb1EES12_IbLb0EEEEDaSY_SZ_EUlSY_E_NS1_11comp_targetILNS1_3genE3ELNS1_11target_archE908ELNS1_3gpuE7ELNS1_3repE0EEENS1_30default_config_static_selectorELNS0_4arch9wavefront6targetE1EEEvT1_: ; @_ZN7rocprim17ROCPRIM_400000_NS6detail17trampoline_kernelINS0_14default_configENS1_27scan_by_key_config_selectorIj11FixedVectorIiLj4EEEEZZNS1_16scan_by_key_implILNS1_25lookback_scan_determinismE0ELb1ES3_N6thrust23THRUST_200600_302600_NS6detail15normal_iteratorINSB_10device_ptrIjEEEENSD_INSE_IS6_EEEESI_S6_NSB_4plusIvEENSB_8equal_toIvEES6_EE10hipError_tPvRmT2_T3_T4_T5_mT6_T7_P12ihipStream_tbENKUlT_T0_E_clISt17integral_constantIbLb1EES12_IbLb0EEEEDaSY_SZ_EUlSY_E_NS1_11comp_targetILNS1_3genE3ELNS1_11target_archE908ELNS1_3gpuE7ELNS1_3repE0EEENS1_30default_config_static_selectorELNS0_4arch9wavefront6targetE1EEEvT1_
; %bb.0:
	.section	.rodata,"a",@progbits
	.p2align	6, 0x0
	.amdhsa_kernel _ZN7rocprim17ROCPRIM_400000_NS6detail17trampoline_kernelINS0_14default_configENS1_27scan_by_key_config_selectorIj11FixedVectorIiLj4EEEEZZNS1_16scan_by_key_implILNS1_25lookback_scan_determinismE0ELb1ES3_N6thrust23THRUST_200600_302600_NS6detail15normal_iteratorINSB_10device_ptrIjEEEENSD_INSE_IS6_EEEESI_S6_NSB_4plusIvEENSB_8equal_toIvEES6_EE10hipError_tPvRmT2_T3_T4_T5_mT6_T7_P12ihipStream_tbENKUlT_T0_E_clISt17integral_constantIbLb1EES12_IbLb0EEEEDaSY_SZ_EUlSY_E_NS1_11comp_targetILNS1_3genE3ELNS1_11target_archE908ELNS1_3gpuE7ELNS1_3repE0EEENS1_30default_config_static_selectorELNS0_4arch9wavefront6targetE1EEEvT1_
		.amdhsa_group_segment_fixed_size 0
		.amdhsa_private_segment_fixed_size 0
		.amdhsa_kernarg_size 144
		.amdhsa_user_sgpr_count 6
		.amdhsa_user_sgpr_private_segment_buffer 1
		.amdhsa_user_sgpr_dispatch_ptr 0
		.amdhsa_user_sgpr_queue_ptr 0
		.amdhsa_user_sgpr_kernarg_segment_ptr 1
		.amdhsa_user_sgpr_dispatch_id 0
		.amdhsa_user_sgpr_flat_scratch_init 0
		.amdhsa_user_sgpr_kernarg_preload_length 0
		.amdhsa_user_sgpr_kernarg_preload_offset 0
		.amdhsa_user_sgpr_private_segment_size 0
		.amdhsa_uses_dynamic_stack 0
		.amdhsa_system_sgpr_private_segment_wavefront_offset 0
		.amdhsa_system_sgpr_workgroup_id_x 1
		.amdhsa_system_sgpr_workgroup_id_y 0
		.amdhsa_system_sgpr_workgroup_id_z 0
		.amdhsa_system_sgpr_workgroup_info 0
		.amdhsa_system_vgpr_workitem_id 0
		.amdhsa_next_free_vgpr 1
		.amdhsa_next_free_sgpr 0
		.amdhsa_accum_offset 4
		.amdhsa_reserve_vcc 0
		.amdhsa_reserve_flat_scratch 0
		.amdhsa_float_round_mode_32 0
		.amdhsa_float_round_mode_16_64 0
		.amdhsa_float_denorm_mode_32 3
		.amdhsa_float_denorm_mode_16_64 3
		.amdhsa_dx10_clamp 1
		.amdhsa_ieee_mode 1
		.amdhsa_fp16_overflow 0
		.amdhsa_tg_split 0
		.amdhsa_exception_fp_ieee_invalid_op 0
		.amdhsa_exception_fp_denorm_src 0
		.amdhsa_exception_fp_ieee_div_zero 0
		.amdhsa_exception_fp_ieee_overflow 0
		.amdhsa_exception_fp_ieee_underflow 0
		.amdhsa_exception_fp_ieee_inexact 0
		.amdhsa_exception_int_div_zero 0
	.end_amdhsa_kernel
	.section	.text._ZN7rocprim17ROCPRIM_400000_NS6detail17trampoline_kernelINS0_14default_configENS1_27scan_by_key_config_selectorIj11FixedVectorIiLj4EEEEZZNS1_16scan_by_key_implILNS1_25lookback_scan_determinismE0ELb1ES3_N6thrust23THRUST_200600_302600_NS6detail15normal_iteratorINSB_10device_ptrIjEEEENSD_INSE_IS6_EEEESI_S6_NSB_4plusIvEENSB_8equal_toIvEES6_EE10hipError_tPvRmT2_T3_T4_T5_mT6_T7_P12ihipStream_tbENKUlT_T0_E_clISt17integral_constantIbLb1EES12_IbLb0EEEEDaSY_SZ_EUlSY_E_NS1_11comp_targetILNS1_3genE3ELNS1_11target_archE908ELNS1_3gpuE7ELNS1_3repE0EEENS1_30default_config_static_selectorELNS0_4arch9wavefront6targetE1EEEvT1_,"axG",@progbits,_ZN7rocprim17ROCPRIM_400000_NS6detail17trampoline_kernelINS0_14default_configENS1_27scan_by_key_config_selectorIj11FixedVectorIiLj4EEEEZZNS1_16scan_by_key_implILNS1_25lookback_scan_determinismE0ELb1ES3_N6thrust23THRUST_200600_302600_NS6detail15normal_iteratorINSB_10device_ptrIjEEEENSD_INSE_IS6_EEEESI_S6_NSB_4plusIvEENSB_8equal_toIvEES6_EE10hipError_tPvRmT2_T3_T4_T5_mT6_T7_P12ihipStream_tbENKUlT_T0_E_clISt17integral_constantIbLb1EES12_IbLb0EEEEDaSY_SZ_EUlSY_E_NS1_11comp_targetILNS1_3genE3ELNS1_11target_archE908ELNS1_3gpuE7ELNS1_3repE0EEENS1_30default_config_static_selectorELNS0_4arch9wavefront6targetE1EEEvT1_,comdat
.Lfunc_end2097:
	.size	_ZN7rocprim17ROCPRIM_400000_NS6detail17trampoline_kernelINS0_14default_configENS1_27scan_by_key_config_selectorIj11FixedVectorIiLj4EEEEZZNS1_16scan_by_key_implILNS1_25lookback_scan_determinismE0ELb1ES3_N6thrust23THRUST_200600_302600_NS6detail15normal_iteratorINSB_10device_ptrIjEEEENSD_INSE_IS6_EEEESI_S6_NSB_4plusIvEENSB_8equal_toIvEES6_EE10hipError_tPvRmT2_T3_T4_T5_mT6_T7_P12ihipStream_tbENKUlT_T0_E_clISt17integral_constantIbLb1EES12_IbLb0EEEEDaSY_SZ_EUlSY_E_NS1_11comp_targetILNS1_3genE3ELNS1_11target_archE908ELNS1_3gpuE7ELNS1_3repE0EEENS1_30default_config_static_selectorELNS0_4arch9wavefront6targetE1EEEvT1_, .Lfunc_end2097-_ZN7rocprim17ROCPRIM_400000_NS6detail17trampoline_kernelINS0_14default_configENS1_27scan_by_key_config_selectorIj11FixedVectorIiLj4EEEEZZNS1_16scan_by_key_implILNS1_25lookback_scan_determinismE0ELb1ES3_N6thrust23THRUST_200600_302600_NS6detail15normal_iteratorINSB_10device_ptrIjEEEENSD_INSE_IS6_EEEESI_S6_NSB_4plusIvEENSB_8equal_toIvEES6_EE10hipError_tPvRmT2_T3_T4_T5_mT6_T7_P12ihipStream_tbENKUlT_T0_E_clISt17integral_constantIbLb1EES12_IbLb0EEEEDaSY_SZ_EUlSY_E_NS1_11comp_targetILNS1_3genE3ELNS1_11target_archE908ELNS1_3gpuE7ELNS1_3repE0EEENS1_30default_config_static_selectorELNS0_4arch9wavefront6targetE1EEEvT1_
                                        ; -- End function
	.section	.AMDGPU.csdata,"",@progbits
; Kernel info:
; codeLenInByte = 0
; NumSgprs: 4
; NumVgprs: 0
; NumAgprs: 0
; TotalNumVgprs: 0
; ScratchSize: 0
; MemoryBound: 0
; FloatMode: 240
; IeeeMode: 1
; LDSByteSize: 0 bytes/workgroup (compile time only)
; SGPRBlocks: 0
; VGPRBlocks: 0
; NumSGPRsForWavesPerEU: 4
; NumVGPRsForWavesPerEU: 1
; AccumOffset: 4
; Occupancy: 8
; WaveLimiterHint : 0
; COMPUTE_PGM_RSRC2:SCRATCH_EN: 0
; COMPUTE_PGM_RSRC2:USER_SGPR: 6
; COMPUTE_PGM_RSRC2:TRAP_HANDLER: 0
; COMPUTE_PGM_RSRC2:TGID_X_EN: 1
; COMPUTE_PGM_RSRC2:TGID_Y_EN: 0
; COMPUTE_PGM_RSRC2:TGID_Z_EN: 0
; COMPUTE_PGM_RSRC2:TIDIG_COMP_CNT: 0
; COMPUTE_PGM_RSRC3_GFX90A:ACCUM_OFFSET: 0
; COMPUTE_PGM_RSRC3_GFX90A:TG_SPLIT: 0
	.section	.text._ZN7rocprim17ROCPRIM_400000_NS6detail17trampoline_kernelINS0_14default_configENS1_27scan_by_key_config_selectorIj11FixedVectorIiLj4EEEEZZNS1_16scan_by_key_implILNS1_25lookback_scan_determinismE0ELb1ES3_N6thrust23THRUST_200600_302600_NS6detail15normal_iteratorINSB_10device_ptrIjEEEENSD_INSE_IS6_EEEESI_S6_NSB_4plusIvEENSB_8equal_toIvEES6_EE10hipError_tPvRmT2_T3_T4_T5_mT6_T7_P12ihipStream_tbENKUlT_T0_E_clISt17integral_constantIbLb1EES12_IbLb0EEEEDaSY_SZ_EUlSY_E_NS1_11comp_targetILNS1_3genE2ELNS1_11target_archE906ELNS1_3gpuE6ELNS1_3repE0EEENS1_30default_config_static_selectorELNS0_4arch9wavefront6targetE1EEEvT1_,"axG",@progbits,_ZN7rocprim17ROCPRIM_400000_NS6detail17trampoline_kernelINS0_14default_configENS1_27scan_by_key_config_selectorIj11FixedVectorIiLj4EEEEZZNS1_16scan_by_key_implILNS1_25lookback_scan_determinismE0ELb1ES3_N6thrust23THRUST_200600_302600_NS6detail15normal_iteratorINSB_10device_ptrIjEEEENSD_INSE_IS6_EEEESI_S6_NSB_4plusIvEENSB_8equal_toIvEES6_EE10hipError_tPvRmT2_T3_T4_T5_mT6_T7_P12ihipStream_tbENKUlT_T0_E_clISt17integral_constantIbLb1EES12_IbLb0EEEEDaSY_SZ_EUlSY_E_NS1_11comp_targetILNS1_3genE2ELNS1_11target_archE906ELNS1_3gpuE6ELNS1_3repE0EEENS1_30default_config_static_selectorELNS0_4arch9wavefront6targetE1EEEvT1_,comdat
	.protected	_ZN7rocprim17ROCPRIM_400000_NS6detail17trampoline_kernelINS0_14default_configENS1_27scan_by_key_config_selectorIj11FixedVectorIiLj4EEEEZZNS1_16scan_by_key_implILNS1_25lookback_scan_determinismE0ELb1ES3_N6thrust23THRUST_200600_302600_NS6detail15normal_iteratorINSB_10device_ptrIjEEEENSD_INSE_IS6_EEEESI_S6_NSB_4plusIvEENSB_8equal_toIvEES6_EE10hipError_tPvRmT2_T3_T4_T5_mT6_T7_P12ihipStream_tbENKUlT_T0_E_clISt17integral_constantIbLb1EES12_IbLb0EEEEDaSY_SZ_EUlSY_E_NS1_11comp_targetILNS1_3genE2ELNS1_11target_archE906ELNS1_3gpuE6ELNS1_3repE0EEENS1_30default_config_static_selectorELNS0_4arch9wavefront6targetE1EEEvT1_ ; -- Begin function _ZN7rocprim17ROCPRIM_400000_NS6detail17trampoline_kernelINS0_14default_configENS1_27scan_by_key_config_selectorIj11FixedVectorIiLj4EEEEZZNS1_16scan_by_key_implILNS1_25lookback_scan_determinismE0ELb1ES3_N6thrust23THRUST_200600_302600_NS6detail15normal_iteratorINSB_10device_ptrIjEEEENSD_INSE_IS6_EEEESI_S6_NSB_4plusIvEENSB_8equal_toIvEES6_EE10hipError_tPvRmT2_T3_T4_T5_mT6_T7_P12ihipStream_tbENKUlT_T0_E_clISt17integral_constantIbLb1EES12_IbLb0EEEEDaSY_SZ_EUlSY_E_NS1_11comp_targetILNS1_3genE2ELNS1_11target_archE906ELNS1_3gpuE6ELNS1_3repE0EEENS1_30default_config_static_selectorELNS0_4arch9wavefront6targetE1EEEvT1_
	.globl	_ZN7rocprim17ROCPRIM_400000_NS6detail17trampoline_kernelINS0_14default_configENS1_27scan_by_key_config_selectorIj11FixedVectorIiLj4EEEEZZNS1_16scan_by_key_implILNS1_25lookback_scan_determinismE0ELb1ES3_N6thrust23THRUST_200600_302600_NS6detail15normal_iteratorINSB_10device_ptrIjEEEENSD_INSE_IS6_EEEESI_S6_NSB_4plusIvEENSB_8equal_toIvEES6_EE10hipError_tPvRmT2_T3_T4_T5_mT6_T7_P12ihipStream_tbENKUlT_T0_E_clISt17integral_constantIbLb1EES12_IbLb0EEEEDaSY_SZ_EUlSY_E_NS1_11comp_targetILNS1_3genE2ELNS1_11target_archE906ELNS1_3gpuE6ELNS1_3repE0EEENS1_30default_config_static_selectorELNS0_4arch9wavefront6targetE1EEEvT1_
	.p2align	8
	.type	_ZN7rocprim17ROCPRIM_400000_NS6detail17trampoline_kernelINS0_14default_configENS1_27scan_by_key_config_selectorIj11FixedVectorIiLj4EEEEZZNS1_16scan_by_key_implILNS1_25lookback_scan_determinismE0ELb1ES3_N6thrust23THRUST_200600_302600_NS6detail15normal_iteratorINSB_10device_ptrIjEEEENSD_INSE_IS6_EEEESI_S6_NSB_4plusIvEENSB_8equal_toIvEES6_EE10hipError_tPvRmT2_T3_T4_T5_mT6_T7_P12ihipStream_tbENKUlT_T0_E_clISt17integral_constantIbLb1EES12_IbLb0EEEEDaSY_SZ_EUlSY_E_NS1_11comp_targetILNS1_3genE2ELNS1_11target_archE906ELNS1_3gpuE6ELNS1_3repE0EEENS1_30default_config_static_selectorELNS0_4arch9wavefront6targetE1EEEvT1_,@function
_ZN7rocprim17ROCPRIM_400000_NS6detail17trampoline_kernelINS0_14default_configENS1_27scan_by_key_config_selectorIj11FixedVectorIiLj4EEEEZZNS1_16scan_by_key_implILNS1_25lookback_scan_determinismE0ELb1ES3_N6thrust23THRUST_200600_302600_NS6detail15normal_iteratorINSB_10device_ptrIjEEEENSD_INSE_IS6_EEEESI_S6_NSB_4plusIvEENSB_8equal_toIvEES6_EE10hipError_tPvRmT2_T3_T4_T5_mT6_T7_P12ihipStream_tbENKUlT_T0_E_clISt17integral_constantIbLb1EES12_IbLb0EEEEDaSY_SZ_EUlSY_E_NS1_11comp_targetILNS1_3genE2ELNS1_11target_archE906ELNS1_3gpuE6ELNS1_3repE0EEENS1_30default_config_static_selectorELNS0_4arch9wavefront6targetE1EEEvT1_: ; @_ZN7rocprim17ROCPRIM_400000_NS6detail17trampoline_kernelINS0_14default_configENS1_27scan_by_key_config_selectorIj11FixedVectorIiLj4EEEEZZNS1_16scan_by_key_implILNS1_25lookback_scan_determinismE0ELb1ES3_N6thrust23THRUST_200600_302600_NS6detail15normal_iteratorINSB_10device_ptrIjEEEENSD_INSE_IS6_EEEESI_S6_NSB_4plusIvEENSB_8equal_toIvEES6_EE10hipError_tPvRmT2_T3_T4_T5_mT6_T7_P12ihipStream_tbENKUlT_T0_E_clISt17integral_constantIbLb1EES12_IbLb0EEEEDaSY_SZ_EUlSY_E_NS1_11comp_targetILNS1_3genE2ELNS1_11target_archE906ELNS1_3gpuE6ELNS1_3repE0EEENS1_30default_config_static_selectorELNS0_4arch9wavefront6targetE1EEEvT1_
; %bb.0:
	.section	.rodata,"a",@progbits
	.p2align	6, 0x0
	.amdhsa_kernel _ZN7rocprim17ROCPRIM_400000_NS6detail17trampoline_kernelINS0_14default_configENS1_27scan_by_key_config_selectorIj11FixedVectorIiLj4EEEEZZNS1_16scan_by_key_implILNS1_25lookback_scan_determinismE0ELb1ES3_N6thrust23THRUST_200600_302600_NS6detail15normal_iteratorINSB_10device_ptrIjEEEENSD_INSE_IS6_EEEESI_S6_NSB_4plusIvEENSB_8equal_toIvEES6_EE10hipError_tPvRmT2_T3_T4_T5_mT6_T7_P12ihipStream_tbENKUlT_T0_E_clISt17integral_constantIbLb1EES12_IbLb0EEEEDaSY_SZ_EUlSY_E_NS1_11comp_targetILNS1_3genE2ELNS1_11target_archE906ELNS1_3gpuE6ELNS1_3repE0EEENS1_30default_config_static_selectorELNS0_4arch9wavefront6targetE1EEEvT1_
		.amdhsa_group_segment_fixed_size 0
		.amdhsa_private_segment_fixed_size 0
		.amdhsa_kernarg_size 144
		.amdhsa_user_sgpr_count 6
		.amdhsa_user_sgpr_private_segment_buffer 1
		.amdhsa_user_sgpr_dispatch_ptr 0
		.amdhsa_user_sgpr_queue_ptr 0
		.amdhsa_user_sgpr_kernarg_segment_ptr 1
		.amdhsa_user_sgpr_dispatch_id 0
		.amdhsa_user_sgpr_flat_scratch_init 0
		.amdhsa_user_sgpr_kernarg_preload_length 0
		.amdhsa_user_sgpr_kernarg_preload_offset 0
		.amdhsa_user_sgpr_private_segment_size 0
		.amdhsa_uses_dynamic_stack 0
		.amdhsa_system_sgpr_private_segment_wavefront_offset 0
		.amdhsa_system_sgpr_workgroup_id_x 1
		.amdhsa_system_sgpr_workgroup_id_y 0
		.amdhsa_system_sgpr_workgroup_id_z 0
		.amdhsa_system_sgpr_workgroup_info 0
		.amdhsa_system_vgpr_workitem_id 0
		.amdhsa_next_free_vgpr 1
		.amdhsa_next_free_sgpr 0
		.amdhsa_accum_offset 4
		.amdhsa_reserve_vcc 0
		.amdhsa_reserve_flat_scratch 0
		.amdhsa_float_round_mode_32 0
		.amdhsa_float_round_mode_16_64 0
		.amdhsa_float_denorm_mode_32 3
		.amdhsa_float_denorm_mode_16_64 3
		.amdhsa_dx10_clamp 1
		.amdhsa_ieee_mode 1
		.amdhsa_fp16_overflow 0
		.amdhsa_tg_split 0
		.amdhsa_exception_fp_ieee_invalid_op 0
		.amdhsa_exception_fp_denorm_src 0
		.amdhsa_exception_fp_ieee_div_zero 0
		.amdhsa_exception_fp_ieee_overflow 0
		.amdhsa_exception_fp_ieee_underflow 0
		.amdhsa_exception_fp_ieee_inexact 0
		.amdhsa_exception_int_div_zero 0
	.end_amdhsa_kernel
	.section	.text._ZN7rocprim17ROCPRIM_400000_NS6detail17trampoline_kernelINS0_14default_configENS1_27scan_by_key_config_selectorIj11FixedVectorIiLj4EEEEZZNS1_16scan_by_key_implILNS1_25lookback_scan_determinismE0ELb1ES3_N6thrust23THRUST_200600_302600_NS6detail15normal_iteratorINSB_10device_ptrIjEEEENSD_INSE_IS6_EEEESI_S6_NSB_4plusIvEENSB_8equal_toIvEES6_EE10hipError_tPvRmT2_T3_T4_T5_mT6_T7_P12ihipStream_tbENKUlT_T0_E_clISt17integral_constantIbLb1EES12_IbLb0EEEEDaSY_SZ_EUlSY_E_NS1_11comp_targetILNS1_3genE2ELNS1_11target_archE906ELNS1_3gpuE6ELNS1_3repE0EEENS1_30default_config_static_selectorELNS0_4arch9wavefront6targetE1EEEvT1_,"axG",@progbits,_ZN7rocprim17ROCPRIM_400000_NS6detail17trampoline_kernelINS0_14default_configENS1_27scan_by_key_config_selectorIj11FixedVectorIiLj4EEEEZZNS1_16scan_by_key_implILNS1_25lookback_scan_determinismE0ELb1ES3_N6thrust23THRUST_200600_302600_NS6detail15normal_iteratorINSB_10device_ptrIjEEEENSD_INSE_IS6_EEEESI_S6_NSB_4plusIvEENSB_8equal_toIvEES6_EE10hipError_tPvRmT2_T3_T4_T5_mT6_T7_P12ihipStream_tbENKUlT_T0_E_clISt17integral_constantIbLb1EES12_IbLb0EEEEDaSY_SZ_EUlSY_E_NS1_11comp_targetILNS1_3genE2ELNS1_11target_archE906ELNS1_3gpuE6ELNS1_3repE0EEENS1_30default_config_static_selectorELNS0_4arch9wavefront6targetE1EEEvT1_,comdat
.Lfunc_end2098:
	.size	_ZN7rocprim17ROCPRIM_400000_NS6detail17trampoline_kernelINS0_14default_configENS1_27scan_by_key_config_selectorIj11FixedVectorIiLj4EEEEZZNS1_16scan_by_key_implILNS1_25lookback_scan_determinismE0ELb1ES3_N6thrust23THRUST_200600_302600_NS6detail15normal_iteratorINSB_10device_ptrIjEEEENSD_INSE_IS6_EEEESI_S6_NSB_4plusIvEENSB_8equal_toIvEES6_EE10hipError_tPvRmT2_T3_T4_T5_mT6_T7_P12ihipStream_tbENKUlT_T0_E_clISt17integral_constantIbLb1EES12_IbLb0EEEEDaSY_SZ_EUlSY_E_NS1_11comp_targetILNS1_3genE2ELNS1_11target_archE906ELNS1_3gpuE6ELNS1_3repE0EEENS1_30default_config_static_selectorELNS0_4arch9wavefront6targetE1EEEvT1_, .Lfunc_end2098-_ZN7rocprim17ROCPRIM_400000_NS6detail17trampoline_kernelINS0_14default_configENS1_27scan_by_key_config_selectorIj11FixedVectorIiLj4EEEEZZNS1_16scan_by_key_implILNS1_25lookback_scan_determinismE0ELb1ES3_N6thrust23THRUST_200600_302600_NS6detail15normal_iteratorINSB_10device_ptrIjEEEENSD_INSE_IS6_EEEESI_S6_NSB_4plusIvEENSB_8equal_toIvEES6_EE10hipError_tPvRmT2_T3_T4_T5_mT6_T7_P12ihipStream_tbENKUlT_T0_E_clISt17integral_constantIbLb1EES12_IbLb0EEEEDaSY_SZ_EUlSY_E_NS1_11comp_targetILNS1_3genE2ELNS1_11target_archE906ELNS1_3gpuE6ELNS1_3repE0EEENS1_30default_config_static_selectorELNS0_4arch9wavefront6targetE1EEEvT1_
                                        ; -- End function
	.section	.AMDGPU.csdata,"",@progbits
; Kernel info:
; codeLenInByte = 0
; NumSgprs: 4
; NumVgprs: 0
; NumAgprs: 0
; TotalNumVgprs: 0
; ScratchSize: 0
; MemoryBound: 0
; FloatMode: 240
; IeeeMode: 1
; LDSByteSize: 0 bytes/workgroup (compile time only)
; SGPRBlocks: 0
; VGPRBlocks: 0
; NumSGPRsForWavesPerEU: 4
; NumVGPRsForWavesPerEU: 1
; AccumOffset: 4
; Occupancy: 8
; WaveLimiterHint : 0
; COMPUTE_PGM_RSRC2:SCRATCH_EN: 0
; COMPUTE_PGM_RSRC2:USER_SGPR: 6
; COMPUTE_PGM_RSRC2:TRAP_HANDLER: 0
; COMPUTE_PGM_RSRC2:TGID_X_EN: 1
; COMPUTE_PGM_RSRC2:TGID_Y_EN: 0
; COMPUTE_PGM_RSRC2:TGID_Z_EN: 0
; COMPUTE_PGM_RSRC2:TIDIG_COMP_CNT: 0
; COMPUTE_PGM_RSRC3_GFX90A:ACCUM_OFFSET: 0
; COMPUTE_PGM_RSRC3_GFX90A:TG_SPLIT: 0
	.section	.text._ZN7rocprim17ROCPRIM_400000_NS6detail17trampoline_kernelINS0_14default_configENS1_27scan_by_key_config_selectorIj11FixedVectorIiLj4EEEEZZNS1_16scan_by_key_implILNS1_25lookback_scan_determinismE0ELb1ES3_N6thrust23THRUST_200600_302600_NS6detail15normal_iteratorINSB_10device_ptrIjEEEENSD_INSE_IS6_EEEESI_S6_NSB_4plusIvEENSB_8equal_toIvEES6_EE10hipError_tPvRmT2_T3_T4_T5_mT6_T7_P12ihipStream_tbENKUlT_T0_E_clISt17integral_constantIbLb1EES12_IbLb0EEEEDaSY_SZ_EUlSY_E_NS1_11comp_targetILNS1_3genE10ELNS1_11target_archE1200ELNS1_3gpuE4ELNS1_3repE0EEENS1_30default_config_static_selectorELNS0_4arch9wavefront6targetE1EEEvT1_,"axG",@progbits,_ZN7rocprim17ROCPRIM_400000_NS6detail17trampoline_kernelINS0_14default_configENS1_27scan_by_key_config_selectorIj11FixedVectorIiLj4EEEEZZNS1_16scan_by_key_implILNS1_25lookback_scan_determinismE0ELb1ES3_N6thrust23THRUST_200600_302600_NS6detail15normal_iteratorINSB_10device_ptrIjEEEENSD_INSE_IS6_EEEESI_S6_NSB_4plusIvEENSB_8equal_toIvEES6_EE10hipError_tPvRmT2_T3_T4_T5_mT6_T7_P12ihipStream_tbENKUlT_T0_E_clISt17integral_constantIbLb1EES12_IbLb0EEEEDaSY_SZ_EUlSY_E_NS1_11comp_targetILNS1_3genE10ELNS1_11target_archE1200ELNS1_3gpuE4ELNS1_3repE0EEENS1_30default_config_static_selectorELNS0_4arch9wavefront6targetE1EEEvT1_,comdat
	.protected	_ZN7rocprim17ROCPRIM_400000_NS6detail17trampoline_kernelINS0_14default_configENS1_27scan_by_key_config_selectorIj11FixedVectorIiLj4EEEEZZNS1_16scan_by_key_implILNS1_25lookback_scan_determinismE0ELb1ES3_N6thrust23THRUST_200600_302600_NS6detail15normal_iteratorINSB_10device_ptrIjEEEENSD_INSE_IS6_EEEESI_S6_NSB_4plusIvEENSB_8equal_toIvEES6_EE10hipError_tPvRmT2_T3_T4_T5_mT6_T7_P12ihipStream_tbENKUlT_T0_E_clISt17integral_constantIbLb1EES12_IbLb0EEEEDaSY_SZ_EUlSY_E_NS1_11comp_targetILNS1_3genE10ELNS1_11target_archE1200ELNS1_3gpuE4ELNS1_3repE0EEENS1_30default_config_static_selectorELNS0_4arch9wavefront6targetE1EEEvT1_ ; -- Begin function _ZN7rocprim17ROCPRIM_400000_NS6detail17trampoline_kernelINS0_14default_configENS1_27scan_by_key_config_selectorIj11FixedVectorIiLj4EEEEZZNS1_16scan_by_key_implILNS1_25lookback_scan_determinismE0ELb1ES3_N6thrust23THRUST_200600_302600_NS6detail15normal_iteratorINSB_10device_ptrIjEEEENSD_INSE_IS6_EEEESI_S6_NSB_4plusIvEENSB_8equal_toIvEES6_EE10hipError_tPvRmT2_T3_T4_T5_mT6_T7_P12ihipStream_tbENKUlT_T0_E_clISt17integral_constantIbLb1EES12_IbLb0EEEEDaSY_SZ_EUlSY_E_NS1_11comp_targetILNS1_3genE10ELNS1_11target_archE1200ELNS1_3gpuE4ELNS1_3repE0EEENS1_30default_config_static_selectorELNS0_4arch9wavefront6targetE1EEEvT1_
	.globl	_ZN7rocprim17ROCPRIM_400000_NS6detail17trampoline_kernelINS0_14default_configENS1_27scan_by_key_config_selectorIj11FixedVectorIiLj4EEEEZZNS1_16scan_by_key_implILNS1_25lookback_scan_determinismE0ELb1ES3_N6thrust23THRUST_200600_302600_NS6detail15normal_iteratorINSB_10device_ptrIjEEEENSD_INSE_IS6_EEEESI_S6_NSB_4plusIvEENSB_8equal_toIvEES6_EE10hipError_tPvRmT2_T3_T4_T5_mT6_T7_P12ihipStream_tbENKUlT_T0_E_clISt17integral_constantIbLb1EES12_IbLb0EEEEDaSY_SZ_EUlSY_E_NS1_11comp_targetILNS1_3genE10ELNS1_11target_archE1200ELNS1_3gpuE4ELNS1_3repE0EEENS1_30default_config_static_selectorELNS0_4arch9wavefront6targetE1EEEvT1_
	.p2align	8
	.type	_ZN7rocprim17ROCPRIM_400000_NS6detail17trampoline_kernelINS0_14default_configENS1_27scan_by_key_config_selectorIj11FixedVectorIiLj4EEEEZZNS1_16scan_by_key_implILNS1_25lookback_scan_determinismE0ELb1ES3_N6thrust23THRUST_200600_302600_NS6detail15normal_iteratorINSB_10device_ptrIjEEEENSD_INSE_IS6_EEEESI_S6_NSB_4plusIvEENSB_8equal_toIvEES6_EE10hipError_tPvRmT2_T3_T4_T5_mT6_T7_P12ihipStream_tbENKUlT_T0_E_clISt17integral_constantIbLb1EES12_IbLb0EEEEDaSY_SZ_EUlSY_E_NS1_11comp_targetILNS1_3genE10ELNS1_11target_archE1200ELNS1_3gpuE4ELNS1_3repE0EEENS1_30default_config_static_selectorELNS0_4arch9wavefront6targetE1EEEvT1_,@function
_ZN7rocprim17ROCPRIM_400000_NS6detail17trampoline_kernelINS0_14default_configENS1_27scan_by_key_config_selectorIj11FixedVectorIiLj4EEEEZZNS1_16scan_by_key_implILNS1_25lookback_scan_determinismE0ELb1ES3_N6thrust23THRUST_200600_302600_NS6detail15normal_iteratorINSB_10device_ptrIjEEEENSD_INSE_IS6_EEEESI_S6_NSB_4plusIvEENSB_8equal_toIvEES6_EE10hipError_tPvRmT2_T3_T4_T5_mT6_T7_P12ihipStream_tbENKUlT_T0_E_clISt17integral_constantIbLb1EES12_IbLb0EEEEDaSY_SZ_EUlSY_E_NS1_11comp_targetILNS1_3genE10ELNS1_11target_archE1200ELNS1_3gpuE4ELNS1_3repE0EEENS1_30default_config_static_selectorELNS0_4arch9wavefront6targetE1EEEvT1_: ; @_ZN7rocprim17ROCPRIM_400000_NS6detail17trampoline_kernelINS0_14default_configENS1_27scan_by_key_config_selectorIj11FixedVectorIiLj4EEEEZZNS1_16scan_by_key_implILNS1_25lookback_scan_determinismE0ELb1ES3_N6thrust23THRUST_200600_302600_NS6detail15normal_iteratorINSB_10device_ptrIjEEEENSD_INSE_IS6_EEEESI_S6_NSB_4plusIvEENSB_8equal_toIvEES6_EE10hipError_tPvRmT2_T3_T4_T5_mT6_T7_P12ihipStream_tbENKUlT_T0_E_clISt17integral_constantIbLb1EES12_IbLb0EEEEDaSY_SZ_EUlSY_E_NS1_11comp_targetILNS1_3genE10ELNS1_11target_archE1200ELNS1_3gpuE4ELNS1_3repE0EEENS1_30default_config_static_selectorELNS0_4arch9wavefront6targetE1EEEvT1_
; %bb.0:
	.section	.rodata,"a",@progbits
	.p2align	6, 0x0
	.amdhsa_kernel _ZN7rocprim17ROCPRIM_400000_NS6detail17trampoline_kernelINS0_14default_configENS1_27scan_by_key_config_selectorIj11FixedVectorIiLj4EEEEZZNS1_16scan_by_key_implILNS1_25lookback_scan_determinismE0ELb1ES3_N6thrust23THRUST_200600_302600_NS6detail15normal_iteratorINSB_10device_ptrIjEEEENSD_INSE_IS6_EEEESI_S6_NSB_4plusIvEENSB_8equal_toIvEES6_EE10hipError_tPvRmT2_T3_T4_T5_mT6_T7_P12ihipStream_tbENKUlT_T0_E_clISt17integral_constantIbLb1EES12_IbLb0EEEEDaSY_SZ_EUlSY_E_NS1_11comp_targetILNS1_3genE10ELNS1_11target_archE1200ELNS1_3gpuE4ELNS1_3repE0EEENS1_30default_config_static_selectorELNS0_4arch9wavefront6targetE1EEEvT1_
		.amdhsa_group_segment_fixed_size 0
		.amdhsa_private_segment_fixed_size 0
		.amdhsa_kernarg_size 144
		.amdhsa_user_sgpr_count 6
		.amdhsa_user_sgpr_private_segment_buffer 1
		.amdhsa_user_sgpr_dispatch_ptr 0
		.amdhsa_user_sgpr_queue_ptr 0
		.amdhsa_user_sgpr_kernarg_segment_ptr 1
		.amdhsa_user_sgpr_dispatch_id 0
		.amdhsa_user_sgpr_flat_scratch_init 0
		.amdhsa_user_sgpr_kernarg_preload_length 0
		.amdhsa_user_sgpr_kernarg_preload_offset 0
		.amdhsa_user_sgpr_private_segment_size 0
		.amdhsa_uses_dynamic_stack 0
		.amdhsa_system_sgpr_private_segment_wavefront_offset 0
		.amdhsa_system_sgpr_workgroup_id_x 1
		.amdhsa_system_sgpr_workgroup_id_y 0
		.amdhsa_system_sgpr_workgroup_id_z 0
		.amdhsa_system_sgpr_workgroup_info 0
		.amdhsa_system_vgpr_workitem_id 0
		.amdhsa_next_free_vgpr 1
		.amdhsa_next_free_sgpr 0
		.amdhsa_accum_offset 4
		.amdhsa_reserve_vcc 0
		.amdhsa_reserve_flat_scratch 0
		.amdhsa_float_round_mode_32 0
		.amdhsa_float_round_mode_16_64 0
		.amdhsa_float_denorm_mode_32 3
		.amdhsa_float_denorm_mode_16_64 3
		.amdhsa_dx10_clamp 1
		.amdhsa_ieee_mode 1
		.amdhsa_fp16_overflow 0
		.amdhsa_tg_split 0
		.amdhsa_exception_fp_ieee_invalid_op 0
		.amdhsa_exception_fp_denorm_src 0
		.amdhsa_exception_fp_ieee_div_zero 0
		.amdhsa_exception_fp_ieee_overflow 0
		.amdhsa_exception_fp_ieee_underflow 0
		.amdhsa_exception_fp_ieee_inexact 0
		.amdhsa_exception_int_div_zero 0
	.end_amdhsa_kernel
	.section	.text._ZN7rocprim17ROCPRIM_400000_NS6detail17trampoline_kernelINS0_14default_configENS1_27scan_by_key_config_selectorIj11FixedVectorIiLj4EEEEZZNS1_16scan_by_key_implILNS1_25lookback_scan_determinismE0ELb1ES3_N6thrust23THRUST_200600_302600_NS6detail15normal_iteratorINSB_10device_ptrIjEEEENSD_INSE_IS6_EEEESI_S6_NSB_4plusIvEENSB_8equal_toIvEES6_EE10hipError_tPvRmT2_T3_T4_T5_mT6_T7_P12ihipStream_tbENKUlT_T0_E_clISt17integral_constantIbLb1EES12_IbLb0EEEEDaSY_SZ_EUlSY_E_NS1_11comp_targetILNS1_3genE10ELNS1_11target_archE1200ELNS1_3gpuE4ELNS1_3repE0EEENS1_30default_config_static_selectorELNS0_4arch9wavefront6targetE1EEEvT1_,"axG",@progbits,_ZN7rocprim17ROCPRIM_400000_NS6detail17trampoline_kernelINS0_14default_configENS1_27scan_by_key_config_selectorIj11FixedVectorIiLj4EEEEZZNS1_16scan_by_key_implILNS1_25lookback_scan_determinismE0ELb1ES3_N6thrust23THRUST_200600_302600_NS6detail15normal_iteratorINSB_10device_ptrIjEEEENSD_INSE_IS6_EEEESI_S6_NSB_4plusIvEENSB_8equal_toIvEES6_EE10hipError_tPvRmT2_T3_T4_T5_mT6_T7_P12ihipStream_tbENKUlT_T0_E_clISt17integral_constantIbLb1EES12_IbLb0EEEEDaSY_SZ_EUlSY_E_NS1_11comp_targetILNS1_3genE10ELNS1_11target_archE1200ELNS1_3gpuE4ELNS1_3repE0EEENS1_30default_config_static_selectorELNS0_4arch9wavefront6targetE1EEEvT1_,comdat
.Lfunc_end2099:
	.size	_ZN7rocprim17ROCPRIM_400000_NS6detail17trampoline_kernelINS0_14default_configENS1_27scan_by_key_config_selectorIj11FixedVectorIiLj4EEEEZZNS1_16scan_by_key_implILNS1_25lookback_scan_determinismE0ELb1ES3_N6thrust23THRUST_200600_302600_NS6detail15normal_iteratorINSB_10device_ptrIjEEEENSD_INSE_IS6_EEEESI_S6_NSB_4plusIvEENSB_8equal_toIvEES6_EE10hipError_tPvRmT2_T3_T4_T5_mT6_T7_P12ihipStream_tbENKUlT_T0_E_clISt17integral_constantIbLb1EES12_IbLb0EEEEDaSY_SZ_EUlSY_E_NS1_11comp_targetILNS1_3genE10ELNS1_11target_archE1200ELNS1_3gpuE4ELNS1_3repE0EEENS1_30default_config_static_selectorELNS0_4arch9wavefront6targetE1EEEvT1_, .Lfunc_end2099-_ZN7rocprim17ROCPRIM_400000_NS6detail17trampoline_kernelINS0_14default_configENS1_27scan_by_key_config_selectorIj11FixedVectorIiLj4EEEEZZNS1_16scan_by_key_implILNS1_25lookback_scan_determinismE0ELb1ES3_N6thrust23THRUST_200600_302600_NS6detail15normal_iteratorINSB_10device_ptrIjEEEENSD_INSE_IS6_EEEESI_S6_NSB_4plusIvEENSB_8equal_toIvEES6_EE10hipError_tPvRmT2_T3_T4_T5_mT6_T7_P12ihipStream_tbENKUlT_T0_E_clISt17integral_constantIbLb1EES12_IbLb0EEEEDaSY_SZ_EUlSY_E_NS1_11comp_targetILNS1_3genE10ELNS1_11target_archE1200ELNS1_3gpuE4ELNS1_3repE0EEENS1_30default_config_static_selectorELNS0_4arch9wavefront6targetE1EEEvT1_
                                        ; -- End function
	.section	.AMDGPU.csdata,"",@progbits
; Kernel info:
; codeLenInByte = 0
; NumSgprs: 4
; NumVgprs: 0
; NumAgprs: 0
; TotalNumVgprs: 0
; ScratchSize: 0
; MemoryBound: 0
; FloatMode: 240
; IeeeMode: 1
; LDSByteSize: 0 bytes/workgroup (compile time only)
; SGPRBlocks: 0
; VGPRBlocks: 0
; NumSGPRsForWavesPerEU: 4
; NumVGPRsForWavesPerEU: 1
; AccumOffset: 4
; Occupancy: 8
; WaveLimiterHint : 0
; COMPUTE_PGM_RSRC2:SCRATCH_EN: 0
; COMPUTE_PGM_RSRC2:USER_SGPR: 6
; COMPUTE_PGM_RSRC2:TRAP_HANDLER: 0
; COMPUTE_PGM_RSRC2:TGID_X_EN: 1
; COMPUTE_PGM_RSRC2:TGID_Y_EN: 0
; COMPUTE_PGM_RSRC2:TGID_Z_EN: 0
; COMPUTE_PGM_RSRC2:TIDIG_COMP_CNT: 0
; COMPUTE_PGM_RSRC3_GFX90A:ACCUM_OFFSET: 0
; COMPUTE_PGM_RSRC3_GFX90A:TG_SPLIT: 0
	.section	.text._ZN7rocprim17ROCPRIM_400000_NS6detail17trampoline_kernelINS0_14default_configENS1_27scan_by_key_config_selectorIj11FixedVectorIiLj4EEEEZZNS1_16scan_by_key_implILNS1_25lookback_scan_determinismE0ELb1ES3_N6thrust23THRUST_200600_302600_NS6detail15normal_iteratorINSB_10device_ptrIjEEEENSD_INSE_IS6_EEEESI_S6_NSB_4plusIvEENSB_8equal_toIvEES6_EE10hipError_tPvRmT2_T3_T4_T5_mT6_T7_P12ihipStream_tbENKUlT_T0_E_clISt17integral_constantIbLb1EES12_IbLb0EEEEDaSY_SZ_EUlSY_E_NS1_11comp_targetILNS1_3genE9ELNS1_11target_archE1100ELNS1_3gpuE3ELNS1_3repE0EEENS1_30default_config_static_selectorELNS0_4arch9wavefront6targetE1EEEvT1_,"axG",@progbits,_ZN7rocprim17ROCPRIM_400000_NS6detail17trampoline_kernelINS0_14default_configENS1_27scan_by_key_config_selectorIj11FixedVectorIiLj4EEEEZZNS1_16scan_by_key_implILNS1_25lookback_scan_determinismE0ELb1ES3_N6thrust23THRUST_200600_302600_NS6detail15normal_iteratorINSB_10device_ptrIjEEEENSD_INSE_IS6_EEEESI_S6_NSB_4plusIvEENSB_8equal_toIvEES6_EE10hipError_tPvRmT2_T3_T4_T5_mT6_T7_P12ihipStream_tbENKUlT_T0_E_clISt17integral_constantIbLb1EES12_IbLb0EEEEDaSY_SZ_EUlSY_E_NS1_11comp_targetILNS1_3genE9ELNS1_11target_archE1100ELNS1_3gpuE3ELNS1_3repE0EEENS1_30default_config_static_selectorELNS0_4arch9wavefront6targetE1EEEvT1_,comdat
	.protected	_ZN7rocprim17ROCPRIM_400000_NS6detail17trampoline_kernelINS0_14default_configENS1_27scan_by_key_config_selectorIj11FixedVectorIiLj4EEEEZZNS1_16scan_by_key_implILNS1_25lookback_scan_determinismE0ELb1ES3_N6thrust23THRUST_200600_302600_NS6detail15normal_iteratorINSB_10device_ptrIjEEEENSD_INSE_IS6_EEEESI_S6_NSB_4plusIvEENSB_8equal_toIvEES6_EE10hipError_tPvRmT2_T3_T4_T5_mT6_T7_P12ihipStream_tbENKUlT_T0_E_clISt17integral_constantIbLb1EES12_IbLb0EEEEDaSY_SZ_EUlSY_E_NS1_11comp_targetILNS1_3genE9ELNS1_11target_archE1100ELNS1_3gpuE3ELNS1_3repE0EEENS1_30default_config_static_selectorELNS0_4arch9wavefront6targetE1EEEvT1_ ; -- Begin function _ZN7rocprim17ROCPRIM_400000_NS6detail17trampoline_kernelINS0_14default_configENS1_27scan_by_key_config_selectorIj11FixedVectorIiLj4EEEEZZNS1_16scan_by_key_implILNS1_25lookback_scan_determinismE0ELb1ES3_N6thrust23THRUST_200600_302600_NS6detail15normal_iteratorINSB_10device_ptrIjEEEENSD_INSE_IS6_EEEESI_S6_NSB_4plusIvEENSB_8equal_toIvEES6_EE10hipError_tPvRmT2_T3_T4_T5_mT6_T7_P12ihipStream_tbENKUlT_T0_E_clISt17integral_constantIbLb1EES12_IbLb0EEEEDaSY_SZ_EUlSY_E_NS1_11comp_targetILNS1_3genE9ELNS1_11target_archE1100ELNS1_3gpuE3ELNS1_3repE0EEENS1_30default_config_static_selectorELNS0_4arch9wavefront6targetE1EEEvT1_
	.globl	_ZN7rocprim17ROCPRIM_400000_NS6detail17trampoline_kernelINS0_14default_configENS1_27scan_by_key_config_selectorIj11FixedVectorIiLj4EEEEZZNS1_16scan_by_key_implILNS1_25lookback_scan_determinismE0ELb1ES3_N6thrust23THRUST_200600_302600_NS6detail15normal_iteratorINSB_10device_ptrIjEEEENSD_INSE_IS6_EEEESI_S6_NSB_4plusIvEENSB_8equal_toIvEES6_EE10hipError_tPvRmT2_T3_T4_T5_mT6_T7_P12ihipStream_tbENKUlT_T0_E_clISt17integral_constantIbLb1EES12_IbLb0EEEEDaSY_SZ_EUlSY_E_NS1_11comp_targetILNS1_3genE9ELNS1_11target_archE1100ELNS1_3gpuE3ELNS1_3repE0EEENS1_30default_config_static_selectorELNS0_4arch9wavefront6targetE1EEEvT1_
	.p2align	8
	.type	_ZN7rocprim17ROCPRIM_400000_NS6detail17trampoline_kernelINS0_14default_configENS1_27scan_by_key_config_selectorIj11FixedVectorIiLj4EEEEZZNS1_16scan_by_key_implILNS1_25lookback_scan_determinismE0ELb1ES3_N6thrust23THRUST_200600_302600_NS6detail15normal_iteratorINSB_10device_ptrIjEEEENSD_INSE_IS6_EEEESI_S6_NSB_4plusIvEENSB_8equal_toIvEES6_EE10hipError_tPvRmT2_T3_T4_T5_mT6_T7_P12ihipStream_tbENKUlT_T0_E_clISt17integral_constantIbLb1EES12_IbLb0EEEEDaSY_SZ_EUlSY_E_NS1_11comp_targetILNS1_3genE9ELNS1_11target_archE1100ELNS1_3gpuE3ELNS1_3repE0EEENS1_30default_config_static_selectorELNS0_4arch9wavefront6targetE1EEEvT1_,@function
_ZN7rocprim17ROCPRIM_400000_NS6detail17trampoline_kernelINS0_14default_configENS1_27scan_by_key_config_selectorIj11FixedVectorIiLj4EEEEZZNS1_16scan_by_key_implILNS1_25lookback_scan_determinismE0ELb1ES3_N6thrust23THRUST_200600_302600_NS6detail15normal_iteratorINSB_10device_ptrIjEEEENSD_INSE_IS6_EEEESI_S6_NSB_4plusIvEENSB_8equal_toIvEES6_EE10hipError_tPvRmT2_T3_T4_T5_mT6_T7_P12ihipStream_tbENKUlT_T0_E_clISt17integral_constantIbLb1EES12_IbLb0EEEEDaSY_SZ_EUlSY_E_NS1_11comp_targetILNS1_3genE9ELNS1_11target_archE1100ELNS1_3gpuE3ELNS1_3repE0EEENS1_30default_config_static_selectorELNS0_4arch9wavefront6targetE1EEEvT1_: ; @_ZN7rocprim17ROCPRIM_400000_NS6detail17trampoline_kernelINS0_14default_configENS1_27scan_by_key_config_selectorIj11FixedVectorIiLj4EEEEZZNS1_16scan_by_key_implILNS1_25lookback_scan_determinismE0ELb1ES3_N6thrust23THRUST_200600_302600_NS6detail15normal_iteratorINSB_10device_ptrIjEEEENSD_INSE_IS6_EEEESI_S6_NSB_4plusIvEENSB_8equal_toIvEES6_EE10hipError_tPvRmT2_T3_T4_T5_mT6_T7_P12ihipStream_tbENKUlT_T0_E_clISt17integral_constantIbLb1EES12_IbLb0EEEEDaSY_SZ_EUlSY_E_NS1_11comp_targetILNS1_3genE9ELNS1_11target_archE1100ELNS1_3gpuE3ELNS1_3repE0EEENS1_30default_config_static_selectorELNS0_4arch9wavefront6targetE1EEEvT1_
; %bb.0:
	.section	.rodata,"a",@progbits
	.p2align	6, 0x0
	.amdhsa_kernel _ZN7rocprim17ROCPRIM_400000_NS6detail17trampoline_kernelINS0_14default_configENS1_27scan_by_key_config_selectorIj11FixedVectorIiLj4EEEEZZNS1_16scan_by_key_implILNS1_25lookback_scan_determinismE0ELb1ES3_N6thrust23THRUST_200600_302600_NS6detail15normal_iteratorINSB_10device_ptrIjEEEENSD_INSE_IS6_EEEESI_S6_NSB_4plusIvEENSB_8equal_toIvEES6_EE10hipError_tPvRmT2_T3_T4_T5_mT6_T7_P12ihipStream_tbENKUlT_T0_E_clISt17integral_constantIbLb1EES12_IbLb0EEEEDaSY_SZ_EUlSY_E_NS1_11comp_targetILNS1_3genE9ELNS1_11target_archE1100ELNS1_3gpuE3ELNS1_3repE0EEENS1_30default_config_static_selectorELNS0_4arch9wavefront6targetE1EEEvT1_
		.amdhsa_group_segment_fixed_size 0
		.amdhsa_private_segment_fixed_size 0
		.amdhsa_kernarg_size 144
		.amdhsa_user_sgpr_count 6
		.amdhsa_user_sgpr_private_segment_buffer 1
		.amdhsa_user_sgpr_dispatch_ptr 0
		.amdhsa_user_sgpr_queue_ptr 0
		.amdhsa_user_sgpr_kernarg_segment_ptr 1
		.amdhsa_user_sgpr_dispatch_id 0
		.amdhsa_user_sgpr_flat_scratch_init 0
		.amdhsa_user_sgpr_kernarg_preload_length 0
		.amdhsa_user_sgpr_kernarg_preload_offset 0
		.amdhsa_user_sgpr_private_segment_size 0
		.amdhsa_uses_dynamic_stack 0
		.amdhsa_system_sgpr_private_segment_wavefront_offset 0
		.amdhsa_system_sgpr_workgroup_id_x 1
		.amdhsa_system_sgpr_workgroup_id_y 0
		.amdhsa_system_sgpr_workgroup_id_z 0
		.amdhsa_system_sgpr_workgroup_info 0
		.amdhsa_system_vgpr_workitem_id 0
		.amdhsa_next_free_vgpr 1
		.amdhsa_next_free_sgpr 0
		.amdhsa_accum_offset 4
		.amdhsa_reserve_vcc 0
		.amdhsa_reserve_flat_scratch 0
		.amdhsa_float_round_mode_32 0
		.amdhsa_float_round_mode_16_64 0
		.amdhsa_float_denorm_mode_32 3
		.amdhsa_float_denorm_mode_16_64 3
		.amdhsa_dx10_clamp 1
		.amdhsa_ieee_mode 1
		.amdhsa_fp16_overflow 0
		.amdhsa_tg_split 0
		.amdhsa_exception_fp_ieee_invalid_op 0
		.amdhsa_exception_fp_denorm_src 0
		.amdhsa_exception_fp_ieee_div_zero 0
		.amdhsa_exception_fp_ieee_overflow 0
		.amdhsa_exception_fp_ieee_underflow 0
		.amdhsa_exception_fp_ieee_inexact 0
		.amdhsa_exception_int_div_zero 0
	.end_amdhsa_kernel
	.section	.text._ZN7rocprim17ROCPRIM_400000_NS6detail17trampoline_kernelINS0_14default_configENS1_27scan_by_key_config_selectorIj11FixedVectorIiLj4EEEEZZNS1_16scan_by_key_implILNS1_25lookback_scan_determinismE0ELb1ES3_N6thrust23THRUST_200600_302600_NS6detail15normal_iteratorINSB_10device_ptrIjEEEENSD_INSE_IS6_EEEESI_S6_NSB_4plusIvEENSB_8equal_toIvEES6_EE10hipError_tPvRmT2_T3_T4_T5_mT6_T7_P12ihipStream_tbENKUlT_T0_E_clISt17integral_constantIbLb1EES12_IbLb0EEEEDaSY_SZ_EUlSY_E_NS1_11comp_targetILNS1_3genE9ELNS1_11target_archE1100ELNS1_3gpuE3ELNS1_3repE0EEENS1_30default_config_static_selectorELNS0_4arch9wavefront6targetE1EEEvT1_,"axG",@progbits,_ZN7rocprim17ROCPRIM_400000_NS6detail17trampoline_kernelINS0_14default_configENS1_27scan_by_key_config_selectorIj11FixedVectorIiLj4EEEEZZNS1_16scan_by_key_implILNS1_25lookback_scan_determinismE0ELb1ES3_N6thrust23THRUST_200600_302600_NS6detail15normal_iteratorINSB_10device_ptrIjEEEENSD_INSE_IS6_EEEESI_S6_NSB_4plusIvEENSB_8equal_toIvEES6_EE10hipError_tPvRmT2_T3_T4_T5_mT6_T7_P12ihipStream_tbENKUlT_T0_E_clISt17integral_constantIbLb1EES12_IbLb0EEEEDaSY_SZ_EUlSY_E_NS1_11comp_targetILNS1_3genE9ELNS1_11target_archE1100ELNS1_3gpuE3ELNS1_3repE0EEENS1_30default_config_static_selectorELNS0_4arch9wavefront6targetE1EEEvT1_,comdat
.Lfunc_end2100:
	.size	_ZN7rocprim17ROCPRIM_400000_NS6detail17trampoline_kernelINS0_14default_configENS1_27scan_by_key_config_selectorIj11FixedVectorIiLj4EEEEZZNS1_16scan_by_key_implILNS1_25lookback_scan_determinismE0ELb1ES3_N6thrust23THRUST_200600_302600_NS6detail15normal_iteratorINSB_10device_ptrIjEEEENSD_INSE_IS6_EEEESI_S6_NSB_4plusIvEENSB_8equal_toIvEES6_EE10hipError_tPvRmT2_T3_T4_T5_mT6_T7_P12ihipStream_tbENKUlT_T0_E_clISt17integral_constantIbLb1EES12_IbLb0EEEEDaSY_SZ_EUlSY_E_NS1_11comp_targetILNS1_3genE9ELNS1_11target_archE1100ELNS1_3gpuE3ELNS1_3repE0EEENS1_30default_config_static_selectorELNS0_4arch9wavefront6targetE1EEEvT1_, .Lfunc_end2100-_ZN7rocprim17ROCPRIM_400000_NS6detail17trampoline_kernelINS0_14default_configENS1_27scan_by_key_config_selectorIj11FixedVectorIiLj4EEEEZZNS1_16scan_by_key_implILNS1_25lookback_scan_determinismE0ELb1ES3_N6thrust23THRUST_200600_302600_NS6detail15normal_iteratorINSB_10device_ptrIjEEEENSD_INSE_IS6_EEEESI_S6_NSB_4plusIvEENSB_8equal_toIvEES6_EE10hipError_tPvRmT2_T3_T4_T5_mT6_T7_P12ihipStream_tbENKUlT_T0_E_clISt17integral_constantIbLb1EES12_IbLb0EEEEDaSY_SZ_EUlSY_E_NS1_11comp_targetILNS1_3genE9ELNS1_11target_archE1100ELNS1_3gpuE3ELNS1_3repE0EEENS1_30default_config_static_selectorELNS0_4arch9wavefront6targetE1EEEvT1_
                                        ; -- End function
	.section	.AMDGPU.csdata,"",@progbits
; Kernel info:
; codeLenInByte = 0
; NumSgprs: 4
; NumVgprs: 0
; NumAgprs: 0
; TotalNumVgprs: 0
; ScratchSize: 0
; MemoryBound: 0
; FloatMode: 240
; IeeeMode: 1
; LDSByteSize: 0 bytes/workgroup (compile time only)
; SGPRBlocks: 0
; VGPRBlocks: 0
; NumSGPRsForWavesPerEU: 4
; NumVGPRsForWavesPerEU: 1
; AccumOffset: 4
; Occupancy: 8
; WaveLimiterHint : 0
; COMPUTE_PGM_RSRC2:SCRATCH_EN: 0
; COMPUTE_PGM_RSRC2:USER_SGPR: 6
; COMPUTE_PGM_RSRC2:TRAP_HANDLER: 0
; COMPUTE_PGM_RSRC2:TGID_X_EN: 1
; COMPUTE_PGM_RSRC2:TGID_Y_EN: 0
; COMPUTE_PGM_RSRC2:TGID_Z_EN: 0
; COMPUTE_PGM_RSRC2:TIDIG_COMP_CNT: 0
; COMPUTE_PGM_RSRC3_GFX90A:ACCUM_OFFSET: 0
; COMPUTE_PGM_RSRC3_GFX90A:TG_SPLIT: 0
	.section	.text._ZN7rocprim17ROCPRIM_400000_NS6detail17trampoline_kernelINS0_14default_configENS1_27scan_by_key_config_selectorIj11FixedVectorIiLj4EEEEZZNS1_16scan_by_key_implILNS1_25lookback_scan_determinismE0ELb1ES3_N6thrust23THRUST_200600_302600_NS6detail15normal_iteratorINSB_10device_ptrIjEEEENSD_INSE_IS6_EEEESI_S6_NSB_4plusIvEENSB_8equal_toIvEES6_EE10hipError_tPvRmT2_T3_T4_T5_mT6_T7_P12ihipStream_tbENKUlT_T0_E_clISt17integral_constantIbLb1EES12_IbLb0EEEEDaSY_SZ_EUlSY_E_NS1_11comp_targetILNS1_3genE8ELNS1_11target_archE1030ELNS1_3gpuE2ELNS1_3repE0EEENS1_30default_config_static_selectorELNS0_4arch9wavefront6targetE1EEEvT1_,"axG",@progbits,_ZN7rocprim17ROCPRIM_400000_NS6detail17trampoline_kernelINS0_14default_configENS1_27scan_by_key_config_selectorIj11FixedVectorIiLj4EEEEZZNS1_16scan_by_key_implILNS1_25lookback_scan_determinismE0ELb1ES3_N6thrust23THRUST_200600_302600_NS6detail15normal_iteratorINSB_10device_ptrIjEEEENSD_INSE_IS6_EEEESI_S6_NSB_4plusIvEENSB_8equal_toIvEES6_EE10hipError_tPvRmT2_T3_T4_T5_mT6_T7_P12ihipStream_tbENKUlT_T0_E_clISt17integral_constantIbLb1EES12_IbLb0EEEEDaSY_SZ_EUlSY_E_NS1_11comp_targetILNS1_3genE8ELNS1_11target_archE1030ELNS1_3gpuE2ELNS1_3repE0EEENS1_30default_config_static_selectorELNS0_4arch9wavefront6targetE1EEEvT1_,comdat
	.protected	_ZN7rocprim17ROCPRIM_400000_NS6detail17trampoline_kernelINS0_14default_configENS1_27scan_by_key_config_selectorIj11FixedVectorIiLj4EEEEZZNS1_16scan_by_key_implILNS1_25lookback_scan_determinismE0ELb1ES3_N6thrust23THRUST_200600_302600_NS6detail15normal_iteratorINSB_10device_ptrIjEEEENSD_INSE_IS6_EEEESI_S6_NSB_4plusIvEENSB_8equal_toIvEES6_EE10hipError_tPvRmT2_T3_T4_T5_mT6_T7_P12ihipStream_tbENKUlT_T0_E_clISt17integral_constantIbLb1EES12_IbLb0EEEEDaSY_SZ_EUlSY_E_NS1_11comp_targetILNS1_3genE8ELNS1_11target_archE1030ELNS1_3gpuE2ELNS1_3repE0EEENS1_30default_config_static_selectorELNS0_4arch9wavefront6targetE1EEEvT1_ ; -- Begin function _ZN7rocprim17ROCPRIM_400000_NS6detail17trampoline_kernelINS0_14default_configENS1_27scan_by_key_config_selectorIj11FixedVectorIiLj4EEEEZZNS1_16scan_by_key_implILNS1_25lookback_scan_determinismE0ELb1ES3_N6thrust23THRUST_200600_302600_NS6detail15normal_iteratorINSB_10device_ptrIjEEEENSD_INSE_IS6_EEEESI_S6_NSB_4plusIvEENSB_8equal_toIvEES6_EE10hipError_tPvRmT2_T3_T4_T5_mT6_T7_P12ihipStream_tbENKUlT_T0_E_clISt17integral_constantIbLb1EES12_IbLb0EEEEDaSY_SZ_EUlSY_E_NS1_11comp_targetILNS1_3genE8ELNS1_11target_archE1030ELNS1_3gpuE2ELNS1_3repE0EEENS1_30default_config_static_selectorELNS0_4arch9wavefront6targetE1EEEvT1_
	.globl	_ZN7rocprim17ROCPRIM_400000_NS6detail17trampoline_kernelINS0_14default_configENS1_27scan_by_key_config_selectorIj11FixedVectorIiLj4EEEEZZNS1_16scan_by_key_implILNS1_25lookback_scan_determinismE0ELb1ES3_N6thrust23THRUST_200600_302600_NS6detail15normal_iteratorINSB_10device_ptrIjEEEENSD_INSE_IS6_EEEESI_S6_NSB_4plusIvEENSB_8equal_toIvEES6_EE10hipError_tPvRmT2_T3_T4_T5_mT6_T7_P12ihipStream_tbENKUlT_T0_E_clISt17integral_constantIbLb1EES12_IbLb0EEEEDaSY_SZ_EUlSY_E_NS1_11comp_targetILNS1_3genE8ELNS1_11target_archE1030ELNS1_3gpuE2ELNS1_3repE0EEENS1_30default_config_static_selectorELNS0_4arch9wavefront6targetE1EEEvT1_
	.p2align	8
	.type	_ZN7rocprim17ROCPRIM_400000_NS6detail17trampoline_kernelINS0_14default_configENS1_27scan_by_key_config_selectorIj11FixedVectorIiLj4EEEEZZNS1_16scan_by_key_implILNS1_25lookback_scan_determinismE0ELb1ES3_N6thrust23THRUST_200600_302600_NS6detail15normal_iteratorINSB_10device_ptrIjEEEENSD_INSE_IS6_EEEESI_S6_NSB_4plusIvEENSB_8equal_toIvEES6_EE10hipError_tPvRmT2_T3_T4_T5_mT6_T7_P12ihipStream_tbENKUlT_T0_E_clISt17integral_constantIbLb1EES12_IbLb0EEEEDaSY_SZ_EUlSY_E_NS1_11comp_targetILNS1_3genE8ELNS1_11target_archE1030ELNS1_3gpuE2ELNS1_3repE0EEENS1_30default_config_static_selectorELNS0_4arch9wavefront6targetE1EEEvT1_,@function
_ZN7rocprim17ROCPRIM_400000_NS6detail17trampoline_kernelINS0_14default_configENS1_27scan_by_key_config_selectorIj11FixedVectorIiLj4EEEEZZNS1_16scan_by_key_implILNS1_25lookback_scan_determinismE0ELb1ES3_N6thrust23THRUST_200600_302600_NS6detail15normal_iteratorINSB_10device_ptrIjEEEENSD_INSE_IS6_EEEESI_S6_NSB_4plusIvEENSB_8equal_toIvEES6_EE10hipError_tPvRmT2_T3_T4_T5_mT6_T7_P12ihipStream_tbENKUlT_T0_E_clISt17integral_constantIbLb1EES12_IbLb0EEEEDaSY_SZ_EUlSY_E_NS1_11comp_targetILNS1_3genE8ELNS1_11target_archE1030ELNS1_3gpuE2ELNS1_3repE0EEENS1_30default_config_static_selectorELNS0_4arch9wavefront6targetE1EEEvT1_: ; @_ZN7rocprim17ROCPRIM_400000_NS6detail17trampoline_kernelINS0_14default_configENS1_27scan_by_key_config_selectorIj11FixedVectorIiLj4EEEEZZNS1_16scan_by_key_implILNS1_25lookback_scan_determinismE0ELb1ES3_N6thrust23THRUST_200600_302600_NS6detail15normal_iteratorINSB_10device_ptrIjEEEENSD_INSE_IS6_EEEESI_S6_NSB_4plusIvEENSB_8equal_toIvEES6_EE10hipError_tPvRmT2_T3_T4_T5_mT6_T7_P12ihipStream_tbENKUlT_T0_E_clISt17integral_constantIbLb1EES12_IbLb0EEEEDaSY_SZ_EUlSY_E_NS1_11comp_targetILNS1_3genE8ELNS1_11target_archE1030ELNS1_3gpuE2ELNS1_3repE0EEENS1_30default_config_static_selectorELNS0_4arch9wavefront6targetE1EEEvT1_
; %bb.0:
	.section	.rodata,"a",@progbits
	.p2align	6, 0x0
	.amdhsa_kernel _ZN7rocprim17ROCPRIM_400000_NS6detail17trampoline_kernelINS0_14default_configENS1_27scan_by_key_config_selectorIj11FixedVectorIiLj4EEEEZZNS1_16scan_by_key_implILNS1_25lookback_scan_determinismE0ELb1ES3_N6thrust23THRUST_200600_302600_NS6detail15normal_iteratorINSB_10device_ptrIjEEEENSD_INSE_IS6_EEEESI_S6_NSB_4plusIvEENSB_8equal_toIvEES6_EE10hipError_tPvRmT2_T3_T4_T5_mT6_T7_P12ihipStream_tbENKUlT_T0_E_clISt17integral_constantIbLb1EES12_IbLb0EEEEDaSY_SZ_EUlSY_E_NS1_11comp_targetILNS1_3genE8ELNS1_11target_archE1030ELNS1_3gpuE2ELNS1_3repE0EEENS1_30default_config_static_selectorELNS0_4arch9wavefront6targetE1EEEvT1_
		.amdhsa_group_segment_fixed_size 0
		.amdhsa_private_segment_fixed_size 0
		.amdhsa_kernarg_size 144
		.amdhsa_user_sgpr_count 6
		.amdhsa_user_sgpr_private_segment_buffer 1
		.amdhsa_user_sgpr_dispatch_ptr 0
		.amdhsa_user_sgpr_queue_ptr 0
		.amdhsa_user_sgpr_kernarg_segment_ptr 1
		.amdhsa_user_sgpr_dispatch_id 0
		.amdhsa_user_sgpr_flat_scratch_init 0
		.amdhsa_user_sgpr_kernarg_preload_length 0
		.amdhsa_user_sgpr_kernarg_preload_offset 0
		.amdhsa_user_sgpr_private_segment_size 0
		.amdhsa_uses_dynamic_stack 0
		.amdhsa_system_sgpr_private_segment_wavefront_offset 0
		.amdhsa_system_sgpr_workgroup_id_x 1
		.amdhsa_system_sgpr_workgroup_id_y 0
		.amdhsa_system_sgpr_workgroup_id_z 0
		.amdhsa_system_sgpr_workgroup_info 0
		.amdhsa_system_vgpr_workitem_id 0
		.amdhsa_next_free_vgpr 1
		.amdhsa_next_free_sgpr 0
		.amdhsa_accum_offset 4
		.amdhsa_reserve_vcc 0
		.amdhsa_reserve_flat_scratch 0
		.amdhsa_float_round_mode_32 0
		.amdhsa_float_round_mode_16_64 0
		.amdhsa_float_denorm_mode_32 3
		.amdhsa_float_denorm_mode_16_64 3
		.amdhsa_dx10_clamp 1
		.amdhsa_ieee_mode 1
		.amdhsa_fp16_overflow 0
		.amdhsa_tg_split 0
		.amdhsa_exception_fp_ieee_invalid_op 0
		.amdhsa_exception_fp_denorm_src 0
		.amdhsa_exception_fp_ieee_div_zero 0
		.amdhsa_exception_fp_ieee_overflow 0
		.amdhsa_exception_fp_ieee_underflow 0
		.amdhsa_exception_fp_ieee_inexact 0
		.amdhsa_exception_int_div_zero 0
	.end_amdhsa_kernel
	.section	.text._ZN7rocprim17ROCPRIM_400000_NS6detail17trampoline_kernelINS0_14default_configENS1_27scan_by_key_config_selectorIj11FixedVectorIiLj4EEEEZZNS1_16scan_by_key_implILNS1_25lookback_scan_determinismE0ELb1ES3_N6thrust23THRUST_200600_302600_NS6detail15normal_iteratorINSB_10device_ptrIjEEEENSD_INSE_IS6_EEEESI_S6_NSB_4plusIvEENSB_8equal_toIvEES6_EE10hipError_tPvRmT2_T3_T4_T5_mT6_T7_P12ihipStream_tbENKUlT_T0_E_clISt17integral_constantIbLb1EES12_IbLb0EEEEDaSY_SZ_EUlSY_E_NS1_11comp_targetILNS1_3genE8ELNS1_11target_archE1030ELNS1_3gpuE2ELNS1_3repE0EEENS1_30default_config_static_selectorELNS0_4arch9wavefront6targetE1EEEvT1_,"axG",@progbits,_ZN7rocprim17ROCPRIM_400000_NS6detail17trampoline_kernelINS0_14default_configENS1_27scan_by_key_config_selectorIj11FixedVectorIiLj4EEEEZZNS1_16scan_by_key_implILNS1_25lookback_scan_determinismE0ELb1ES3_N6thrust23THRUST_200600_302600_NS6detail15normal_iteratorINSB_10device_ptrIjEEEENSD_INSE_IS6_EEEESI_S6_NSB_4plusIvEENSB_8equal_toIvEES6_EE10hipError_tPvRmT2_T3_T4_T5_mT6_T7_P12ihipStream_tbENKUlT_T0_E_clISt17integral_constantIbLb1EES12_IbLb0EEEEDaSY_SZ_EUlSY_E_NS1_11comp_targetILNS1_3genE8ELNS1_11target_archE1030ELNS1_3gpuE2ELNS1_3repE0EEENS1_30default_config_static_selectorELNS0_4arch9wavefront6targetE1EEEvT1_,comdat
.Lfunc_end2101:
	.size	_ZN7rocprim17ROCPRIM_400000_NS6detail17trampoline_kernelINS0_14default_configENS1_27scan_by_key_config_selectorIj11FixedVectorIiLj4EEEEZZNS1_16scan_by_key_implILNS1_25lookback_scan_determinismE0ELb1ES3_N6thrust23THRUST_200600_302600_NS6detail15normal_iteratorINSB_10device_ptrIjEEEENSD_INSE_IS6_EEEESI_S6_NSB_4plusIvEENSB_8equal_toIvEES6_EE10hipError_tPvRmT2_T3_T4_T5_mT6_T7_P12ihipStream_tbENKUlT_T0_E_clISt17integral_constantIbLb1EES12_IbLb0EEEEDaSY_SZ_EUlSY_E_NS1_11comp_targetILNS1_3genE8ELNS1_11target_archE1030ELNS1_3gpuE2ELNS1_3repE0EEENS1_30default_config_static_selectorELNS0_4arch9wavefront6targetE1EEEvT1_, .Lfunc_end2101-_ZN7rocprim17ROCPRIM_400000_NS6detail17trampoline_kernelINS0_14default_configENS1_27scan_by_key_config_selectorIj11FixedVectorIiLj4EEEEZZNS1_16scan_by_key_implILNS1_25lookback_scan_determinismE0ELb1ES3_N6thrust23THRUST_200600_302600_NS6detail15normal_iteratorINSB_10device_ptrIjEEEENSD_INSE_IS6_EEEESI_S6_NSB_4plusIvEENSB_8equal_toIvEES6_EE10hipError_tPvRmT2_T3_T4_T5_mT6_T7_P12ihipStream_tbENKUlT_T0_E_clISt17integral_constantIbLb1EES12_IbLb0EEEEDaSY_SZ_EUlSY_E_NS1_11comp_targetILNS1_3genE8ELNS1_11target_archE1030ELNS1_3gpuE2ELNS1_3repE0EEENS1_30default_config_static_selectorELNS0_4arch9wavefront6targetE1EEEvT1_
                                        ; -- End function
	.section	.AMDGPU.csdata,"",@progbits
; Kernel info:
; codeLenInByte = 0
; NumSgprs: 4
; NumVgprs: 0
; NumAgprs: 0
; TotalNumVgprs: 0
; ScratchSize: 0
; MemoryBound: 0
; FloatMode: 240
; IeeeMode: 1
; LDSByteSize: 0 bytes/workgroup (compile time only)
; SGPRBlocks: 0
; VGPRBlocks: 0
; NumSGPRsForWavesPerEU: 4
; NumVGPRsForWavesPerEU: 1
; AccumOffset: 4
; Occupancy: 8
; WaveLimiterHint : 0
; COMPUTE_PGM_RSRC2:SCRATCH_EN: 0
; COMPUTE_PGM_RSRC2:USER_SGPR: 6
; COMPUTE_PGM_RSRC2:TRAP_HANDLER: 0
; COMPUTE_PGM_RSRC2:TGID_X_EN: 1
; COMPUTE_PGM_RSRC2:TGID_Y_EN: 0
; COMPUTE_PGM_RSRC2:TGID_Z_EN: 0
; COMPUTE_PGM_RSRC2:TIDIG_COMP_CNT: 0
; COMPUTE_PGM_RSRC3_GFX90A:ACCUM_OFFSET: 0
; COMPUTE_PGM_RSRC3_GFX90A:TG_SPLIT: 0
	.section	.text._ZN7rocprim17ROCPRIM_400000_NS6detail17trampoline_kernelINS0_14default_configENS1_27scan_by_key_config_selectorIj11FixedVectorIiLj4EEEEZZNS1_16scan_by_key_implILNS1_25lookback_scan_determinismE0ELb1ES3_N6thrust23THRUST_200600_302600_NS6detail15normal_iteratorINSB_10device_ptrIjEEEENSD_INSE_IS6_EEEESI_S6_NSB_4plusIvEENSB_8equal_toIvEES6_EE10hipError_tPvRmT2_T3_T4_T5_mT6_T7_P12ihipStream_tbENKUlT_T0_E_clISt17integral_constantIbLb0EES12_IbLb1EEEEDaSY_SZ_EUlSY_E_NS1_11comp_targetILNS1_3genE0ELNS1_11target_archE4294967295ELNS1_3gpuE0ELNS1_3repE0EEENS1_30default_config_static_selectorELNS0_4arch9wavefront6targetE1EEEvT1_,"axG",@progbits,_ZN7rocprim17ROCPRIM_400000_NS6detail17trampoline_kernelINS0_14default_configENS1_27scan_by_key_config_selectorIj11FixedVectorIiLj4EEEEZZNS1_16scan_by_key_implILNS1_25lookback_scan_determinismE0ELb1ES3_N6thrust23THRUST_200600_302600_NS6detail15normal_iteratorINSB_10device_ptrIjEEEENSD_INSE_IS6_EEEESI_S6_NSB_4plusIvEENSB_8equal_toIvEES6_EE10hipError_tPvRmT2_T3_T4_T5_mT6_T7_P12ihipStream_tbENKUlT_T0_E_clISt17integral_constantIbLb0EES12_IbLb1EEEEDaSY_SZ_EUlSY_E_NS1_11comp_targetILNS1_3genE0ELNS1_11target_archE4294967295ELNS1_3gpuE0ELNS1_3repE0EEENS1_30default_config_static_selectorELNS0_4arch9wavefront6targetE1EEEvT1_,comdat
	.protected	_ZN7rocprim17ROCPRIM_400000_NS6detail17trampoline_kernelINS0_14default_configENS1_27scan_by_key_config_selectorIj11FixedVectorIiLj4EEEEZZNS1_16scan_by_key_implILNS1_25lookback_scan_determinismE0ELb1ES3_N6thrust23THRUST_200600_302600_NS6detail15normal_iteratorINSB_10device_ptrIjEEEENSD_INSE_IS6_EEEESI_S6_NSB_4plusIvEENSB_8equal_toIvEES6_EE10hipError_tPvRmT2_T3_T4_T5_mT6_T7_P12ihipStream_tbENKUlT_T0_E_clISt17integral_constantIbLb0EES12_IbLb1EEEEDaSY_SZ_EUlSY_E_NS1_11comp_targetILNS1_3genE0ELNS1_11target_archE4294967295ELNS1_3gpuE0ELNS1_3repE0EEENS1_30default_config_static_selectorELNS0_4arch9wavefront6targetE1EEEvT1_ ; -- Begin function _ZN7rocprim17ROCPRIM_400000_NS6detail17trampoline_kernelINS0_14default_configENS1_27scan_by_key_config_selectorIj11FixedVectorIiLj4EEEEZZNS1_16scan_by_key_implILNS1_25lookback_scan_determinismE0ELb1ES3_N6thrust23THRUST_200600_302600_NS6detail15normal_iteratorINSB_10device_ptrIjEEEENSD_INSE_IS6_EEEESI_S6_NSB_4plusIvEENSB_8equal_toIvEES6_EE10hipError_tPvRmT2_T3_T4_T5_mT6_T7_P12ihipStream_tbENKUlT_T0_E_clISt17integral_constantIbLb0EES12_IbLb1EEEEDaSY_SZ_EUlSY_E_NS1_11comp_targetILNS1_3genE0ELNS1_11target_archE4294967295ELNS1_3gpuE0ELNS1_3repE0EEENS1_30default_config_static_selectorELNS0_4arch9wavefront6targetE1EEEvT1_
	.globl	_ZN7rocprim17ROCPRIM_400000_NS6detail17trampoline_kernelINS0_14default_configENS1_27scan_by_key_config_selectorIj11FixedVectorIiLj4EEEEZZNS1_16scan_by_key_implILNS1_25lookback_scan_determinismE0ELb1ES3_N6thrust23THRUST_200600_302600_NS6detail15normal_iteratorINSB_10device_ptrIjEEEENSD_INSE_IS6_EEEESI_S6_NSB_4plusIvEENSB_8equal_toIvEES6_EE10hipError_tPvRmT2_T3_T4_T5_mT6_T7_P12ihipStream_tbENKUlT_T0_E_clISt17integral_constantIbLb0EES12_IbLb1EEEEDaSY_SZ_EUlSY_E_NS1_11comp_targetILNS1_3genE0ELNS1_11target_archE4294967295ELNS1_3gpuE0ELNS1_3repE0EEENS1_30default_config_static_selectorELNS0_4arch9wavefront6targetE1EEEvT1_
	.p2align	8
	.type	_ZN7rocprim17ROCPRIM_400000_NS6detail17trampoline_kernelINS0_14default_configENS1_27scan_by_key_config_selectorIj11FixedVectorIiLj4EEEEZZNS1_16scan_by_key_implILNS1_25lookback_scan_determinismE0ELb1ES3_N6thrust23THRUST_200600_302600_NS6detail15normal_iteratorINSB_10device_ptrIjEEEENSD_INSE_IS6_EEEESI_S6_NSB_4plusIvEENSB_8equal_toIvEES6_EE10hipError_tPvRmT2_T3_T4_T5_mT6_T7_P12ihipStream_tbENKUlT_T0_E_clISt17integral_constantIbLb0EES12_IbLb1EEEEDaSY_SZ_EUlSY_E_NS1_11comp_targetILNS1_3genE0ELNS1_11target_archE4294967295ELNS1_3gpuE0ELNS1_3repE0EEENS1_30default_config_static_selectorELNS0_4arch9wavefront6targetE1EEEvT1_,@function
_ZN7rocprim17ROCPRIM_400000_NS6detail17trampoline_kernelINS0_14default_configENS1_27scan_by_key_config_selectorIj11FixedVectorIiLj4EEEEZZNS1_16scan_by_key_implILNS1_25lookback_scan_determinismE0ELb1ES3_N6thrust23THRUST_200600_302600_NS6detail15normal_iteratorINSB_10device_ptrIjEEEENSD_INSE_IS6_EEEESI_S6_NSB_4plusIvEENSB_8equal_toIvEES6_EE10hipError_tPvRmT2_T3_T4_T5_mT6_T7_P12ihipStream_tbENKUlT_T0_E_clISt17integral_constantIbLb0EES12_IbLb1EEEEDaSY_SZ_EUlSY_E_NS1_11comp_targetILNS1_3genE0ELNS1_11target_archE4294967295ELNS1_3gpuE0ELNS1_3repE0EEENS1_30default_config_static_selectorELNS0_4arch9wavefront6targetE1EEEvT1_: ; @_ZN7rocprim17ROCPRIM_400000_NS6detail17trampoline_kernelINS0_14default_configENS1_27scan_by_key_config_selectorIj11FixedVectorIiLj4EEEEZZNS1_16scan_by_key_implILNS1_25lookback_scan_determinismE0ELb1ES3_N6thrust23THRUST_200600_302600_NS6detail15normal_iteratorINSB_10device_ptrIjEEEENSD_INSE_IS6_EEEESI_S6_NSB_4plusIvEENSB_8equal_toIvEES6_EE10hipError_tPvRmT2_T3_T4_T5_mT6_T7_P12ihipStream_tbENKUlT_T0_E_clISt17integral_constantIbLb0EES12_IbLb1EEEEDaSY_SZ_EUlSY_E_NS1_11comp_targetILNS1_3genE0ELNS1_11target_archE4294967295ELNS1_3gpuE0ELNS1_3repE0EEENS1_30default_config_static_selectorELNS0_4arch9wavefront6targetE1EEEvT1_
; %bb.0:
	.section	.rodata,"a",@progbits
	.p2align	6, 0x0
	.amdhsa_kernel _ZN7rocprim17ROCPRIM_400000_NS6detail17trampoline_kernelINS0_14default_configENS1_27scan_by_key_config_selectorIj11FixedVectorIiLj4EEEEZZNS1_16scan_by_key_implILNS1_25lookback_scan_determinismE0ELb1ES3_N6thrust23THRUST_200600_302600_NS6detail15normal_iteratorINSB_10device_ptrIjEEEENSD_INSE_IS6_EEEESI_S6_NSB_4plusIvEENSB_8equal_toIvEES6_EE10hipError_tPvRmT2_T3_T4_T5_mT6_T7_P12ihipStream_tbENKUlT_T0_E_clISt17integral_constantIbLb0EES12_IbLb1EEEEDaSY_SZ_EUlSY_E_NS1_11comp_targetILNS1_3genE0ELNS1_11target_archE4294967295ELNS1_3gpuE0ELNS1_3repE0EEENS1_30default_config_static_selectorELNS0_4arch9wavefront6targetE1EEEvT1_
		.amdhsa_group_segment_fixed_size 0
		.amdhsa_private_segment_fixed_size 0
		.amdhsa_kernarg_size 144
		.amdhsa_user_sgpr_count 6
		.amdhsa_user_sgpr_private_segment_buffer 1
		.amdhsa_user_sgpr_dispatch_ptr 0
		.amdhsa_user_sgpr_queue_ptr 0
		.amdhsa_user_sgpr_kernarg_segment_ptr 1
		.amdhsa_user_sgpr_dispatch_id 0
		.amdhsa_user_sgpr_flat_scratch_init 0
		.amdhsa_user_sgpr_kernarg_preload_length 0
		.amdhsa_user_sgpr_kernarg_preload_offset 0
		.amdhsa_user_sgpr_private_segment_size 0
		.amdhsa_uses_dynamic_stack 0
		.amdhsa_system_sgpr_private_segment_wavefront_offset 0
		.amdhsa_system_sgpr_workgroup_id_x 1
		.amdhsa_system_sgpr_workgroup_id_y 0
		.amdhsa_system_sgpr_workgroup_id_z 0
		.amdhsa_system_sgpr_workgroup_info 0
		.amdhsa_system_vgpr_workitem_id 0
		.amdhsa_next_free_vgpr 1
		.amdhsa_next_free_sgpr 0
		.amdhsa_accum_offset 4
		.amdhsa_reserve_vcc 0
		.amdhsa_reserve_flat_scratch 0
		.amdhsa_float_round_mode_32 0
		.amdhsa_float_round_mode_16_64 0
		.amdhsa_float_denorm_mode_32 3
		.amdhsa_float_denorm_mode_16_64 3
		.amdhsa_dx10_clamp 1
		.amdhsa_ieee_mode 1
		.amdhsa_fp16_overflow 0
		.amdhsa_tg_split 0
		.amdhsa_exception_fp_ieee_invalid_op 0
		.amdhsa_exception_fp_denorm_src 0
		.amdhsa_exception_fp_ieee_div_zero 0
		.amdhsa_exception_fp_ieee_overflow 0
		.amdhsa_exception_fp_ieee_underflow 0
		.amdhsa_exception_fp_ieee_inexact 0
		.amdhsa_exception_int_div_zero 0
	.end_amdhsa_kernel
	.section	.text._ZN7rocprim17ROCPRIM_400000_NS6detail17trampoline_kernelINS0_14default_configENS1_27scan_by_key_config_selectorIj11FixedVectorIiLj4EEEEZZNS1_16scan_by_key_implILNS1_25lookback_scan_determinismE0ELb1ES3_N6thrust23THRUST_200600_302600_NS6detail15normal_iteratorINSB_10device_ptrIjEEEENSD_INSE_IS6_EEEESI_S6_NSB_4plusIvEENSB_8equal_toIvEES6_EE10hipError_tPvRmT2_T3_T4_T5_mT6_T7_P12ihipStream_tbENKUlT_T0_E_clISt17integral_constantIbLb0EES12_IbLb1EEEEDaSY_SZ_EUlSY_E_NS1_11comp_targetILNS1_3genE0ELNS1_11target_archE4294967295ELNS1_3gpuE0ELNS1_3repE0EEENS1_30default_config_static_selectorELNS0_4arch9wavefront6targetE1EEEvT1_,"axG",@progbits,_ZN7rocprim17ROCPRIM_400000_NS6detail17trampoline_kernelINS0_14default_configENS1_27scan_by_key_config_selectorIj11FixedVectorIiLj4EEEEZZNS1_16scan_by_key_implILNS1_25lookback_scan_determinismE0ELb1ES3_N6thrust23THRUST_200600_302600_NS6detail15normal_iteratorINSB_10device_ptrIjEEEENSD_INSE_IS6_EEEESI_S6_NSB_4plusIvEENSB_8equal_toIvEES6_EE10hipError_tPvRmT2_T3_T4_T5_mT6_T7_P12ihipStream_tbENKUlT_T0_E_clISt17integral_constantIbLb0EES12_IbLb1EEEEDaSY_SZ_EUlSY_E_NS1_11comp_targetILNS1_3genE0ELNS1_11target_archE4294967295ELNS1_3gpuE0ELNS1_3repE0EEENS1_30default_config_static_selectorELNS0_4arch9wavefront6targetE1EEEvT1_,comdat
.Lfunc_end2102:
	.size	_ZN7rocprim17ROCPRIM_400000_NS6detail17trampoline_kernelINS0_14default_configENS1_27scan_by_key_config_selectorIj11FixedVectorIiLj4EEEEZZNS1_16scan_by_key_implILNS1_25lookback_scan_determinismE0ELb1ES3_N6thrust23THRUST_200600_302600_NS6detail15normal_iteratorINSB_10device_ptrIjEEEENSD_INSE_IS6_EEEESI_S6_NSB_4plusIvEENSB_8equal_toIvEES6_EE10hipError_tPvRmT2_T3_T4_T5_mT6_T7_P12ihipStream_tbENKUlT_T0_E_clISt17integral_constantIbLb0EES12_IbLb1EEEEDaSY_SZ_EUlSY_E_NS1_11comp_targetILNS1_3genE0ELNS1_11target_archE4294967295ELNS1_3gpuE0ELNS1_3repE0EEENS1_30default_config_static_selectorELNS0_4arch9wavefront6targetE1EEEvT1_, .Lfunc_end2102-_ZN7rocprim17ROCPRIM_400000_NS6detail17trampoline_kernelINS0_14default_configENS1_27scan_by_key_config_selectorIj11FixedVectorIiLj4EEEEZZNS1_16scan_by_key_implILNS1_25lookback_scan_determinismE0ELb1ES3_N6thrust23THRUST_200600_302600_NS6detail15normal_iteratorINSB_10device_ptrIjEEEENSD_INSE_IS6_EEEESI_S6_NSB_4plusIvEENSB_8equal_toIvEES6_EE10hipError_tPvRmT2_T3_T4_T5_mT6_T7_P12ihipStream_tbENKUlT_T0_E_clISt17integral_constantIbLb0EES12_IbLb1EEEEDaSY_SZ_EUlSY_E_NS1_11comp_targetILNS1_3genE0ELNS1_11target_archE4294967295ELNS1_3gpuE0ELNS1_3repE0EEENS1_30default_config_static_selectorELNS0_4arch9wavefront6targetE1EEEvT1_
                                        ; -- End function
	.section	.AMDGPU.csdata,"",@progbits
; Kernel info:
; codeLenInByte = 0
; NumSgprs: 4
; NumVgprs: 0
; NumAgprs: 0
; TotalNumVgprs: 0
; ScratchSize: 0
; MemoryBound: 0
; FloatMode: 240
; IeeeMode: 1
; LDSByteSize: 0 bytes/workgroup (compile time only)
; SGPRBlocks: 0
; VGPRBlocks: 0
; NumSGPRsForWavesPerEU: 4
; NumVGPRsForWavesPerEU: 1
; AccumOffset: 4
; Occupancy: 8
; WaveLimiterHint : 0
; COMPUTE_PGM_RSRC2:SCRATCH_EN: 0
; COMPUTE_PGM_RSRC2:USER_SGPR: 6
; COMPUTE_PGM_RSRC2:TRAP_HANDLER: 0
; COMPUTE_PGM_RSRC2:TGID_X_EN: 1
; COMPUTE_PGM_RSRC2:TGID_Y_EN: 0
; COMPUTE_PGM_RSRC2:TGID_Z_EN: 0
; COMPUTE_PGM_RSRC2:TIDIG_COMP_CNT: 0
; COMPUTE_PGM_RSRC3_GFX90A:ACCUM_OFFSET: 0
; COMPUTE_PGM_RSRC3_GFX90A:TG_SPLIT: 0
	.section	.text._ZN7rocprim17ROCPRIM_400000_NS6detail17trampoline_kernelINS0_14default_configENS1_27scan_by_key_config_selectorIj11FixedVectorIiLj4EEEEZZNS1_16scan_by_key_implILNS1_25lookback_scan_determinismE0ELb1ES3_N6thrust23THRUST_200600_302600_NS6detail15normal_iteratorINSB_10device_ptrIjEEEENSD_INSE_IS6_EEEESI_S6_NSB_4plusIvEENSB_8equal_toIvEES6_EE10hipError_tPvRmT2_T3_T4_T5_mT6_T7_P12ihipStream_tbENKUlT_T0_E_clISt17integral_constantIbLb0EES12_IbLb1EEEEDaSY_SZ_EUlSY_E_NS1_11comp_targetILNS1_3genE10ELNS1_11target_archE1201ELNS1_3gpuE5ELNS1_3repE0EEENS1_30default_config_static_selectorELNS0_4arch9wavefront6targetE1EEEvT1_,"axG",@progbits,_ZN7rocprim17ROCPRIM_400000_NS6detail17trampoline_kernelINS0_14default_configENS1_27scan_by_key_config_selectorIj11FixedVectorIiLj4EEEEZZNS1_16scan_by_key_implILNS1_25lookback_scan_determinismE0ELb1ES3_N6thrust23THRUST_200600_302600_NS6detail15normal_iteratorINSB_10device_ptrIjEEEENSD_INSE_IS6_EEEESI_S6_NSB_4plusIvEENSB_8equal_toIvEES6_EE10hipError_tPvRmT2_T3_T4_T5_mT6_T7_P12ihipStream_tbENKUlT_T0_E_clISt17integral_constantIbLb0EES12_IbLb1EEEEDaSY_SZ_EUlSY_E_NS1_11comp_targetILNS1_3genE10ELNS1_11target_archE1201ELNS1_3gpuE5ELNS1_3repE0EEENS1_30default_config_static_selectorELNS0_4arch9wavefront6targetE1EEEvT1_,comdat
	.protected	_ZN7rocprim17ROCPRIM_400000_NS6detail17trampoline_kernelINS0_14default_configENS1_27scan_by_key_config_selectorIj11FixedVectorIiLj4EEEEZZNS1_16scan_by_key_implILNS1_25lookback_scan_determinismE0ELb1ES3_N6thrust23THRUST_200600_302600_NS6detail15normal_iteratorINSB_10device_ptrIjEEEENSD_INSE_IS6_EEEESI_S6_NSB_4plusIvEENSB_8equal_toIvEES6_EE10hipError_tPvRmT2_T3_T4_T5_mT6_T7_P12ihipStream_tbENKUlT_T0_E_clISt17integral_constantIbLb0EES12_IbLb1EEEEDaSY_SZ_EUlSY_E_NS1_11comp_targetILNS1_3genE10ELNS1_11target_archE1201ELNS1_3gpuE5ELNS1_3repE0EEENS1_30default_config_static_selectorELNS0_4arch9wavefront6targetE1EEEvT1_ ; -- Begin function _ZN7rocprim17ROCPRIM_400000_NS6detail17trampoline_kernelINS0_14default_configENS1_27scan_by_key_config_selectorIj11FixedVectorIiLj4EEEEZZNS1_16scan_by_key_implILNS1_25lookback_scan_determinismE0ELb1ES3_N6thrust23THRUST_200600_302600_NS6detail15normal_iteratorINSB_10device_ptrIjEEEENSD_INSE_IS6_EEEESI_S6_NSB_4plusIvEENSB_8equal_toIvEES6_EE10hipError_tPvRmT2_T3_T4_T5_mT6_T7_P12ihipStream_tbENKUlT_T0_E_clISt17integral_constantIbLb0EES12_IbLb1EEEEDaSY_SZ_EUlSY_E_NS1_11comp_targetILNS1_3genE10ELNS1_11target_archE1201ELNS1_3gpuE5ELNS1_3repE0EEENS1_30default_config_static_selectorELNS0_4arch9wavefront6targetE1EEEvT1_
	.globl	_ZN7rocprim17ROCPRIM_400000_NS6detail17trampoline_kernelINS0_14default_configENS1_27scan_by_key_config_selectorIj11FixedVectorIiLj4EEEEZZNS1_16scan_by_key_implILNS1_25lookback_scan_determinismE0ELb1ES3_N6thrust23THRUST_200600_302600_NS6detail15normal_iteratorINSB_10device_ptrIjEEEENSD_INSE_IS6_EEEESI_S6_NSB_4plusIvEENSB_8equal_toIvEES6_EE10hipError_tPvRmT2_T3_T4_T5_mT6_T7_P12ihipStream_tbENKUlT_T0_E_clISt17integral_constantIbLb0EES12_IbLb1EEEEDaSY_SZ_EUlSY_E_NS1_11comp_targetILNS1_3genE10ELNS1_11target_archE1201ELNS1_3gpuE5ELNS1_3repE0EEENS1_30default_config_static_selectorELNS0_4arch9wavefront6targetE1EEEvT1_
	.p2align	8
	.type	_ZN7rocprim17ROCPRIM_400000_NS6detail17trampoline_kernelINS0_14default_configENS1_27scan_by_key_config_selectorIj11FixedVectorIiLj4EEEEZZNS1_16scan_by_key_implILNS1_25lookback_scan_determinismE0ELb1ES3_N6thrust23THRUST_200600_302600_NS6detail15normal_iteratorINSB_10device_ptrIjEEEENSD_INSE_IS6_EEEESI_S6_NSB_4plusIvEENSB_8equal_toIvEES6_EE10hipError_tPvRmT2_T3_T4_T5_mT6_T7_P12ihipStream_tbENKUlT_T0_E_clISt17integral_constantIbLb0EES12_IbLb1EEEEDaSY_SZ_EUlSY_E_NS1_11comp_targetILNS1_3genE10ELNS1_11target_archE1201ELNS1_3gpuE5ELNS1_3repE0EEENS1_30default_config_static_selectorELNS0_4arch9wavefront6targetE1EEEvT1_,@function
_ZN7rocprim17ROCPRIM_400000_NS6detail17trampoline_kernelINS0_14default_configENS1_27scan_by_key_config_selectorIj11FixedVectorIiLj4EEEEZZNS1_16scan_by_key_implILNS1_25lookback_scan_determinismE0ELb1ES3_N6thrust23THRUST_200600_302600_NS6detail15normal_iteratorINSB_10device_ptrIjEEEENSD_INSE_IS6_EEEESI_S6_NSB_4plusIvEENSB_8equal_toIvEES6_EE10hipError_tPvRmT2_T3_T4_T5_mT6_T7_P12ihipStream_tbENKUlT_T0_E_clISt17integral_constantIbLb0EES12_IbLb1EEEEDaSY_SZ_EUlSY_E_NS1_11comp_targetILNS1_3genE10ELNS1_11target_archE1201ELNS1_3gpuE5ELNS1_3repE0EEENS1_30default_config_static_selectorELNS0_4arch9wavefront6targetE1EEEvT1_: ; @_ZN7rocprim17ROCPRIM_400000_NS6detail17trampoline_kernelINS0_14default_configENS1_27scan_by_key_config_selectorIj11FixedVectorIiLj4EEEEZZNS1_16scan_by_key_implILNS1_25lookback_scan_determinismE0ELb1ES3_N6thrust23THRUST_200600_302600_NS6detail15normal_iteratorINSB_10device_ptrIjEEEENSD_INSE_IS6_EEEESI_S6_NSB_4plusIvEENSB_8equal_toIvEES6_EE10hipError_tPvRmT2_T3_T4_T5_mT6_T7_P12ihipStream_tbENKUlT_T0_E_clISt17integral_constantIbLb0EES12_IbLb1EEEEDaSY_SZ_EUlSY_E_NS1_11comp_targetILNS1_3genE10ELNS1_11target_archE1201ELNS1_3gpuE5ELNS1_3repE0EEENS1_30default_config_static_selectorELNS0_4arch9wavefront6targetE1EEEvT1_
; %bb.0:
	.section	.rodata,"a",@progbits
	.p2align	6, 0x0
	.amdhsa_kernel _ZN7rocprim17ROCPRIM_400000_NS6detail17trampoline_kernelINS0_14default_configENS1_27scan_by_key_config_selectorIj11FixedVectorIiLj4EEEEZZNS1_16scan_by_key_implILNS1_25lookback_scan_determinismE0ELb1ES3_N6thrust23THRUST_200600_302600_NS6detail15normal_iteratorINSB_10device_ptrIjEEEENSD_INSE_IS6_EEEESI_S6_NSB_4plusIvEENSB_8equal_toIvEES6_EE10hipError_tPvRmT2_T3_T4_T5_mT6_T7_P12ihipStream_tbENKUlT_T0_E_clISt17integral_constantIbLb0EES12_IbLb1EEEEDaSY_SZ_EUlSY_E_NS1_11comp_targetILNS1_3genE10ELNS1_11target_archE1201ELNS1_3gpuE5ELNS1_3repE0EEENS1_30default_config_static_selectorELNS0_4arch9wavefront6targetE1EEEvT1_
		.amdhsa_group_segment_fixed_size 0
		.amdhsa_private_segment_fixed_size 0
		.amdhsa_kernarg_size 144
		.amdhsa_user_sgpr_count 6
		.amdhsa_user_sgpr_private_segment_buffer 1
		.amdhsa_user_sgpr_dispatch_ptr 0
		.amdhsa_user_sgpr_queue_ptr 0
		.amdhsa_user_sgpr_kernarg_segment_ptr 1
		.amdhsa_user_sgpr_dispatch_id 0
		.amdhsa_user_sgpr_flat_scratch_init 0
		.amdhsa_user_sgpr_kernarg_preload_length 0
		.amdhsa_user_sgpr_kernarg_preload_offset 0
		.amdhsa_user_sgpr_private_segment_size 0
		.amdhsa_uses_dynamic_stack 0
		.amdhsa_system_sgpr_private_segment_wavefront_offset 0
		.amdhsa_system_sgpr_workgroup_id_x 1
		.amdhsa_system_sgpr_workgroup_id_y 0
		.amdhsa_system_sgpr_workgroup_id_z 0
		.amdhsa_system_sgpr_workgroup_info 0
		.amdhsa_system_vgpr_workitem_id 0
		.amdhsa_next_free_vgpr 1
		.amdhsa_next_free_sgpr 0
		.amdhsa_accum_offset 4
		.amdhsa_reserve_vcc 0
		.amdhsa_reserve_flat_scratch 0
		.amdhsa_float_round_mode_32 0
		.amdhsa_float_round_mode_16_64 0
		.amdhsa_float_denorm_mode_32 3
		.amdhsa_float_denorm_mode_16_64 3
		.amdhsa_dx10_clamp 1
		.amdhsa_ieee_mode 1
		.amdhsa_fp16_overflow 0
		.amdhsa_tg_split 0
		.amdhsa_exception_fp_ieee_invalid_op 0
		.amdhsa_exception_fp_denorm_src 0
		.amdhsa_exception_fp_ieee_div_zero 0
		.amdhsa_exception_fp_ieee_overflow 0
		.amdhsa_exception_fp_ieee_underflow 0
		.amdhsa_exception_fp_ieee_inexact 0
		.amdhsa_exception_int_div_zero 0
	.end_amdhsa_kernel
	.section	.text._ZN7rocprim17ROCPRIM_400000_NS6detail17trampoline_kernelINS0_14default_configENS1_27scan_by_key_config_selectorIj11FixedVectorIiLj4EEEEZZNS1_16scan_by_key_implILNS1_25lookback_scan_determinismE0ELb1ES3_N6thrust23THRUST_200600_302600_NS6detail15normal_iteratorINSB_10device_ptrIjEEEENSD_INSE_IS6_EEEESI_S6_NSB_4plusIvEENSB_8equal_toIvEES6_EE10hipError_tPvRmT2_T3_T4_T5_mT6_T7_P12ihipStream_tbENKUlT_T0_E_clISt17integral_constantIbLb0EES12_IbLb1EEEEDaSY_SZ_EUlSY_E_NS1_11comp_targetILNS1_3genE10ELNS1_11target_archE1201ELNS1_3gpuE5ELNS1_3repE0EEENS1_30default_config_static_selectorELNS0_4arch9wavefront6targetE1EEEvT1_,"axG",@progbits,_ZN7rocprim17ROCPRIM_400000_NS6detail17trampoline_kernelINS0_14default_configENS1_27scan_by_key_config_selectorIj11FixedVectorIiLj4EEEEZZNS1_16scan_by_key_implILNS1_25lookback_scan_determinismE0ELb1ES3_N6thrust23THRUST_200600_302600_NS6detail15normal_iteratorINSB_10device_ptrIjEEEENSD_INSE_IS6_EEEESI_S6_NSB_4plusIvEENSB_8equal_toIvEES6_EE10hipError_tPvRmT2_T3_T4_T5_mT6_T7_P12ihipStream_tbENKUlT_T0_E_clISt17integral_constantIbLb0EES12_IbLb1EEEEDaSY_SZ_EUlSY_E_NS1_11comp_targetILNS1_3genE10ELNS1_11target_archE1201ELNS1_3gpuE5ELNS1_3repE0EEENS1_30default_config_static_selectorELNS0_4arch9wavefront6targetE1EEEvT1_,comdat
.Lfunc_end2103:
	.size	_ZN7rocprim17ROCPRIM_400000_NS6detail17trampoline_kernelINS0_14default_configENS1_27scan_by_key_config_selectorIj11FixedVectorIiLj4EEEEZZNS1_16scan_by_key_implILNS1_25lookback_scan_determinismE0ELb1ES3_N6thrust23THRUST_200600_302600_NS6detail15normal_iteratorINSB_10device_ptrIjEEEENSD_INSE_IS6_EEEESI_S6_NSB_4plusIvEENSB_8equal_toIvEES6_EE10hipError_tPvRmT2_T3_T4_T5_mT6_T7_P12ihipStream_tbENKUlT_T0_E_clISt17integral_constantIbLb0EES12_IbLb1EEEEDaSY_SZ_EUlSY_E_NS1_11comp_targetILNS1_3genE10ELNS1_11target_archE1201ELNS1_3gpuE5ELNS1_3repE0EEENS1_30default_config_static_selectorELNS0_4arch9wavefront6targetE1EEEvT1_, .Lfunc_end2103-_ZN7rocprim17ROCPRIM_400000_NS6detail17trampoline_kernelINS0_14default_configENS1_27scan_by_key_config_selectorIj11FixedVectorIiLj4EEEEZZNS1_16scan_by_key_implILNS1_25lookback_scan_determinismE0ELb1ES3_N6thrust23THRUST_200600_302600_NS6detail15normal_iteratorINSB_10device_ptrIjEEEENSD_INSE_IS6_EEEESI_S6_NSB_4plusIvEENSB_8equal_toIvEES6_EE10hipError_tPvRmT2_T3_T4_T5_mT6_T7_P12ihipStream_tbENKUlT_T0_E_clISt17integral_constantIbLb0EES12_IbLb1EEEEDaSY_SZ_EUlSY_E_NS1_11comp_targetILNS1_3genE10ELNS1_11target_archE1201ELNS1_3gpuE5ELNS1_3repE0EEENS1_30default_config_static_selectorELNS0_4arch9wavefront6targetE1EEEvT1_
                                        ; -- End function
	.section	.AMDGPU.csdata,"",@progbits
; Kernel info:
; codeLenInByte = 0
; NumSgprs: 4
; NumVgprs: 0
; NumAgprs: 0
; TotalNumVgprs: 0
; ScratchSize: 0
; MemoryBound: 0
; FloatMode: 240
; IeeeMode: 1
; LDSByteSize: 0 bytes/workgroup (compile time only)
; SGPRBlocks: 0
; VGPRBlocks: 0
; NumSGPRsForWavesPerEU: 4
; NumVGPRsForWavesPerEU: 1
; AccumOffset: 4
; Occupancy: 8
; WaveLimiterHint : 0
; COMPUTE_PGM_RSRC2:SCRATCH_EN: 0
; COMPUTE_PGM_RSRC2:USER_SGPR: 6
; COMPUTE_PGM_RSRC2:TRAP_HANDLER: 0
; COMPUTE_PGM_RSRC2:TGID_X_EN: 1
; COMPUTE_PGM_RSRC2:TGID_Y_EN: 0
; COMPUTE_PGM_RSRC2:TGID_Z_EN: 0
; COMPUTE_PGM_RSRC2:TIDIG_COMP_CNT: 0
; COMPUTE_PGM_RSRC3_GFX90A:ACCUM_OFFSET: 0
; COMPUTE_PGM_RSRC3_GFX90A:TG_SPLIT: 0
	.section	.text._ZN7rocprim17ROCPRIM_400000_NS6detail17trampoline_kernelINS0_14default_configENS1_27scan_by_key_config_selectorIj11FixedVectorIiLj4EEEEZZNS1_16scan_by_key_implILNS1_25lookback_scan_determinismE0ELb1ES3_N6thrust23THRUST_200600_302600_NS6detail15normal_iteratorINSB_10device_ptrIjEEEENSD_INSE_IS6_EEEESI_S6_NSB_4plusIvEENSB_8equal_toIvEES6_EE10hipError_tPvRmT2_T3_T4_T5_mT6_T7_P12ihipStream_tbENKUlT_T0_E_clISt17integral_constantIbLb0EES12_IbLb1EEEEDaSY_SZ_EUlSY_E_NS1_11comp_targetILNS1_3genE5ELNS1_11target_archE942ELNS1_3gpuE9ELNS1_3repE0EEENS1_30default_config_static_selectorELNS0_4arch9wavefront6targetE1EEEvT1_,"axG",@progbits,_ZN7rocprim17ROCPRIM_400000_NS6detail17trampoline_kernelINS0_14default_configENS1_27scan_by_key_config_selectorIj11FixedVectorIiLj4EEEEZZNS1_16scan_by_key_implILNS1_25lookback_scan_determinismE0ELb1ES3_N6thrust23THRUST_200600_302600_NS6detail15normal_iteratorINSB_10device_ptrIjEEEENSD_INSE_IS6_EEEESI_S6_NSB_4plusIvEENSB_8equal_toIvEES6_EE10hipError_tPvRmT2_T3_T4_T5_mT6_T7_P12ihipStream_tbENKUlT_T0_E_clISt17integral_constantIbLb0EES12_IbLb1EEEEDaSY_SZ_EUlSY_E_NS1_11comp_targetILNS1_3genE5ELNS1_11target_archE942ELNS1_3gpuE9ELNS1_3repE0EEENS1_30default_config_static_selectorELNS0_4arch9wavefront6targetE1EEEvT1_,comdat
	.protected	_ZN7rocprim17ROCPRIM_400000_NS6detail17trampoline_kernelINS0_14default_configENS1_27scan_by_key_config_selectorIj11FixedVectorIiLj4EEEEZZNS1_16scan_by_key_implILNS1_25lookback_scan_determinismE0ELb1ES3_N6thrust23THRUST_200600_302600_NS6detail15normal_iteratorINSB_10device_ptrIjEEEENSD_INSE_IS6_EEEESI_S6_NSB_4plusIvEENSB_8equal_toIvEES6_EE10hipError_tPvRmT2_T3_T4_T5_mT6_T7_P12ihipStream_tbENKUlT_T0_E_clISt17integral_constantIbLb0EES12_IbLb1EEEEDaSY_SZ_EUlSY_E_NS1_11comp_targetILNS1_3genE5ELNS1_11target_archE942ELNS1_3gpuE9ELNS1_3repE0EEENS1_30default_config_static_selectorELNS0_4arch9wavefront6targetE1EEEvT1_ ; -- Begin function _ZN7rocprim17ROCPRIM_400000_NS6detail17trampoline_kernelINS0_14default_configENS1_27scan_by_key_config_selectorIj11FixedVectorIiLj4EEEEZZNS1_16scan_by_key_implILNS1_25lookback_scan_determinismE0ELb1ES3_N6thrust23THRUST_200600_302600_NS6detail15normal_iteratorINSB_10device_ptrIjEEEENSD_INSE_IS6_EEEESI_S6_NSB_4plusIvEENSB_8equal_toIvEES6_EE10hipError_tPvRmT2_T3_T4_T5_mT6_T7_P12ihipStream_tbENKUlT_T0_E_clISt17integral_constantIbLb0EES12_IbLb1EEEEDaSY_SZ_EUlSY_E_NS1_11comp_targetILNS1_3genE5ELNS1_11target_archE942ELNS1_3gpuE9ELNS1_3repE0EEENS1_30default_config_static_selectorELNS0_4arch9wavefront6targetE1EEEvT1_
	.globl	_ZN7rocprim17ROCPRIM_400000_NS6detail17trampoline_kernelINS0_14default_configENS1_27scan_by_key_config_selectorIj11FixedVectorIiLj4EEEEZZNS1_16scan_by_key_implILNS1_25lookback_scan_determinismE0ELb1ES3_N6thrust23THRUST_200600_302600_NS6detail15normal_iteratorINSB_10device_ptrIjEEEENSD_INSE_IS6_EEEESI_S6_NSB_4plusIvEENSB_8equal_toIvEES6_EE10hipError_tPvRmT2_T3_T4_T5_mT6_T7_P12ihipStream_tbENKUlT_T0_E_clISt17integral_constantIbLb0EES12_IbLb1EEEEDaSY_SZ_EUlSY_E_NS1_11comp_targetILNS1_3genE5ELNS1_11target_archE942ELNS1_3gpuE9ELNS1_3repE0EEENS1_30default_config_static_selectorELNS0_4arch9wavefront6targetE1EEEvT1_
	.p2align	8
	.type	_ZN7rocprim17ROCPRIM_400000_NS6detail17trampoline_kernelINS0_14default_configENS1_27scan_by_key_config_selectorIj11FixedVectorIiLj4EEEEZZNS1_16scan_by_key_implILNS1_25lookback_scan_determinismE0ELb1ES3_N6thrust23THRUST_200600_302600_NS6detail15normal_iteratorINSB_10device_ptrIjEEEENSD_INSE_IS6_EEEESI_S6_NSB_4plusIvEENSB_8equal_toIvEES6_EE10hipError_tPvRmT2_T3_T4_T5_mT6_T7_P12ihipStream_tbENKUlT_T0_E_clISt17integral_constantIbLb0EES12_IbLb1EEEEDaSY_SZ_EUlSY_E_NS1_11comp_targetILNS1_3genE5ELNS1_11target_archE942ELNS1_3gpuE9ELNS1_3repE0EEENS1_30default_config_static_selectorELNS0_4arch9wavefront6targetE1EEEvT1_,@function
_ZN7rocprim17ROCPRIM_400000_NS6detail17trampoline_kernelINS0_14default_configENS1_27scan_by_key_config_selectorIj11FixedVectorIiLj4EEEEZZNS1_16scan_by_key_implILNS1_25lookback_scan_determinismE0ELb1ES3_N6thrust23THRUST_200600_302600_NS6detail15normal_iteratorINSB_10device_ptrIjEEEENSD_INSE_IS6_EEEESI_S6_NSB_4plusIvEENSB_8equal_toIvEES6_EE10hipError_tPvRmT2_T3_T4_T5_mT6_T7_P12ihipStream_tbENKUlT_T0_E_clISt17integral_constantIbLb0EES12_IbLb1EEEEDaSY_SZ_EUlSY_E_NS1_11comp_targetILNS1_3genE5ELNS1_11target_archE942ELNS1_3gpuE9ELNS1_3repE0EEENS1_30default_config_static_selectorELNS0_4arch9wavefront6targetE1EEEvT1_: ; @_ZN7rocprim17ROCPRIM_400000_NS6detail17trampoline_kernelINS0_14default_configENS1_27scan_by_key_config_selectorIj11FixedVectorIiLj4EEEEZZNS1_16scan_by_key_implILNS1_25lookback_scan_determinismE0ELb1ES3_N6thrust23THRUST_200600_302600_NS6detail15normal_iteratorINSB_10device_ptrIjEEEENSD_INSE_IS6_EEEESI_S6_NSB_4plusIvEENSB_8equal_toIvEES6_EE10hipError_tPvRmT2_T3_T4_T5_mT6_T7_P12ihipStream_tbENKUlT_T0_E_clISt17integral_constantIbLb0EES12_IbLb1EEEEDaSY_SZ_EUlSY_E_NS1_11comp_targetILNS1_3genE5ELNS1_11target_archE942ELNS1_3gpuE9ELNS1_3repE0EEENS1_30default_config_static_selectorELNS0_4arch9wavefront6targetE1EEEvT1_
; %bb.0:
	.section	.rodata,"a",@progbits
	.p2align	6, 0x0
	.amdhsa_kernel _ZN7rocprim17ROCPRIM_400000_NS6detail17trampoline_kernelINS0_14default_configENS1_27scan_by_key_config_selectorIj11FixedVectorIiLj4EEEEZZNS1_16scan_by_key_implILNS1_25lookback_scan_determinismE0ELb1ES3_N6thrust23THRUST_200600_302600_NS6detail15normal_iteratorINSB_10device_ptrIjEEEENSD_INSE_IS6_EEEESI_S6_NSB_4plusIvEENSB_8equal_toIvEES6_EE10hipError_tPvRmT2_T3_T4_T5_mT6_T7_P12ihipStream_tbENKUlT_T0_E_clISt17integral_constantIbLb0EES12_IbLb1EEEEDaSY_SZ_EUlSY_E_NS1_11comp_targetILNS1_3genE5ELNS1_11target_archE942ELNS1_3gpuE9ELNS1_3repE0EEENS1_30default_config_static_selectorELNS0_4arch9wavefront6targetE1EEEvT1_
		.amdhsa_group_segment_fixed_size 0
		.amdhsa_private_segment_fixed_size 0
		.amdhsa_kernarg_size 144
		.amdhsa_user_sgpr_count 6
		.amdhsa_user_sgpr_private_segment_buffer 1
		.amdhsa_user_sgpr_dispatch_ptr 0
		.amdhsa_user_sgpr_queue_ptr 0
		.amdhsa_user_sgpr_kernarg_segment_ptr 1
		.amdhsa_user_sgpr_dispatch_id 0
		.amdhsa_user_sgpr_flat_scratch_init 0
		.amdhsa_user_sgpr_kernarg_preload_length 0
		.amdhsa_user_sgpr_kernarg_preload_offset 0
		.amdhsa_user_sgpr_private_segment_size 0
		.amdhsa_uses_dynamic_stack 0
		.amdhsa_system_sgpr_private_segment_wavefront_offset 0
		.amdhsa_system_sgpr_workgroup_id_x 1
		.amdhsa_system_sgpr_workgroup_id_y 0
		.amdhsa_system_sgpr_workgroup_id_z 0
		.amdhsa_system_sgpr_workgroup_info 0
		.amdhsa_system_vgpr_workitem_id 0
		.amdhsa_next_free_vgpr 1
		.amdhsa_next_free_sgpr 0
		.amdhsa_accum_offset 4
		.amdhsa_reserve_vcc 0
		.amdhsa_reserve_flat_scratch 0
		.amdhsa_float_round_mode_32 0
		.amdhsa_float_round_mode_16_64 0
		.amdhsa_float_denorm_mode_32 3
		.amdhsa_float_denorm_mode_16_64 3
		.amdhsa_dx10_clamp 1
		.amdhsa_ieee_mode 1
		.amdhsa_fp16_overflow 0
		.amdhsa_tg_split 0
		.amdhsa_exception_fp_ieee_invalid_op 0
		.amdhsa_exception_fp_denorm_src 0
		.amdhsa_exception_fp_ieee_div_zero 0
		.amdhsa_exception_fp_ieee_overflow 0
		.amdhsa_exception_fp_ieee_underflow 0
		.amdhsa_exception_fp_ieee_inexact 0
		.amdhsa_exception_int_div_zero 0
	.end_amdhsa_kernel
	.section	.text._ZN7rocprim17ROCPRIM_400000_NS6detail17trampoline_kernelINS0_14default_configENS1_27scan_by_key_config_selectorIj11FixedVectorIiLj4EEEEZZNS1_16scan_by_key_implILNS1_25lookback_scan_determinismE0ELb1ES3_N6thrust23THRUST_200600_302600_NS6detail15normal_iteratorINSB_10device_ptrIjEEEENSD_INSE_IS6_EEEESI_S6_NSB_4plusIvEENSB_8equal_toIvEES6_EE10hipError_tPvRmT2_T3_T4_T5_mT6_T7_P12ihipStream_tbENKUlT_T0_E_clISt17integral_constantIbLb0EES12_IbLb1EEEEDaSY_SZ_EUlSY_E_NS1_11comp_targetILNS1_3genE5ELNS1_11target_archE942ELNS1_3gpuE9ELNS1_3repE0EEENS1_30default_config_static_selectorELNS0_4arch9wavefront6targetE1EEEvT1_,"axG",@progbits,_ZN7rocprim17ROCPRIM_400000_NS6detail17trampoline_kernelINS0_14default_configENS1_27scan_by_key_config_selectorIj11FixedVectorIiLj4EEEEZZNS1_16scan_by_key_implILNS1_25lookback_scan_determinismE0ELb1ES3_N6thrust23THRUST_200600_302600_NS6detail15normal_iteratorINSB_10device_ptrIjEEEENSD_INSE_IS6_EEEESI_S6_NSB_4plusIvEENSB_8equal_toIvEES6_EE10hipError_tPvRmT2_T3_T4_T5_mT6_T7_P12ihipStream_tbENKUlT_T0_E_clISt17integral_constantIbLb0EES12_IbLb1EEEEDaSY_SZ_EUlSY_E_NS1_11comp_targetILNS1_3genE5ELNS1_11target_archE942ELNS1_3gpuE9ELNS1_3repE0EEENS1_30default_config_static_selectorELNS0_4arch9wavefront6targetE1EEEvT1_,comdat
.Lfunc_end2104:
	.size	_ZN7rocprim17ROCPRIM_400000_NS6detail17trampoline_kernelINS0_14default_configENS1_27scan_by_key_config_selectorIj11FixedVectorIiLj4EEEEZZNS1_16scan_by_key_implILNS1_25lookback_scan_determinismE0ELb1ES3_N6thrust23THRUST_200600_302600_NS6detail15normal_iteratorINSB_10device_ptrIjEEEENSD_INSE_IS6_EEEESI_S6_NSB_4plusIvEENSB_8equal_toIvEES6_EE10hipError_tPvRmT2_T3_T4_T5_mT6_T7_P12ihipStream_tbENKUlT_T0_E_clISt17integral_constantIbLb0EES12_IbLb1EEEEDaSY_SZ_EUlSY_E_NS1_11comp_targetILNS1_3genE5ELNS1_11target_archE942ELNS1_3gpuE9ELNS1_3repE0EEENS1_30default_config_static_selectorELNS0_4arch9wavefront6targetE1EEEvT1_, .Lfunc_end2104-_ZN7rocprim17ROCPRIM_400000_NS6detail17trampoline_kernelINS0_14default_configENS1_27scan_by_key_config_selectorIj11FixedVectorIiLj4EEEEZZNS1_16scan_by_key_implILNS1_25lookback_scan_determinismE0ELb1ES3_N6thrust23THRUST_200600_302600_NS6detail15normal_iteratorINSB_10device_ptrIjEEEENSD_INSE_IS6_EEEESI_S6_NSB_4plusIvEENSB_8equal_toIvEES6_EE10hipError_tPvRmT2_T3_T4_T5_mT6_T7_P12ihipStream_tbENKUlT_T0_E_clISt17integral_constantIbLb0EES12_IbLb1EEEEDaSY_SZ_EUlSY_E_NS1_11comp_targetILNS1_3genE5ELNS1_11target_archE942ELNS1_3gpuE9ELNS1_3repE0EEENS1_30default_config_static_selectorELNS0_4arch9wavefront6targetE1EEEvT1_
                                        ; -- End function
	.section	.AMDGPU.csdata,"",@progbits
; Kernel info:
; codeLenInByte = 0
; NumSgprs: 4
; NumVgprs: 0
; NumAgprs: 0
; TotalNumVgprs: 0
; ScratchSize: 0
; MemoryBound: 0
; FloatMode: 240
; IeeeMode: 1
; LDSByteSize: 0 bytes/workgroup (compile time only)
; SGPRBlocks: 0
; VGPRBlocks: 0
; NumSGPRsForWavesPerEU: 4
; NumVGPRsForWavesPerEU: 1
; AccumOffset: 4
; Occupancy: 8
; WaveLimiterHint : 0
; COMPUTE_PGM_RSRC2:SCRATCH_EN: 0
; COMPUTE_PGM_RSRC2:USER_SGPR: 6
; COMPUTE_PGM_RSRC2:TRAP_HANDLER: 0
; COMPUTE_PGM_RSRC2:TGID_X_EN: 1
; COMPUTE_PGM_RSRC2:TGID_Y_EN: 0
; COMPUTE_PGM_RSRC2:TGID_Z_EN: 0
; COMPUTE_PGM_RSRC2:TIDIG_COMP_CNT: 0
; COMPUTE_PGM_RSRC3_GFX90A:ACCUM_OFFSET: 0
; COMPUTE_PGM_RSRC3_GFX90A:TG_SPLIT: 0
	.section	.text._ZN7rocprim17ROCPRIM_400000_NS6detail17trampoline_kernelINS0_14default_configENS1_27scan_by_key_config_selectorIj11FixedVectorIiLj4EEEEZZNS1_16scan_by_key_implILNS1_25lookback_scan_determinismE0ELb1ES3_N6thrust23THRUST_200600_302600_NS6detail15normal_iteratorINSB_10device_ptrIjEEEENSD_INSE_IS6_EEEESI_S6_NSB_4plusIvEENSB_8equal_toIvEES6_EE10hipError_tPvRmT2_T3_T4_T5_mT6_T7_P12ihipStream_tbENKUlT_T0_E_clISt17integral_constantIbLb0EES12_IbLb1EEEEDaSY_SZ_EUlSY_E_NS1_11comp_targetILNS1_3genE4ELNS1_11target_archE910ELNS1_3gpuE8ELNS1_3repE0EEENS1_30default_config_static_selectorELNS0_4arch9wavefront6targetE1EEEvT1_,"axG",@progbits,_ZN7rocprim17ROCPRIM_400000_NS6detail17trampoline_kernelINS0_14default_configENS1_27scan_by_key_config_selectorIj11FixedVectorIiLj4EEEEZZNS1_16scan_by_key_implILNS1_25lookback_scan_determinismE0ELb1ES3_N6thrust23THRUST_200600_302600_NS6detail15normal_iteratorINSB_10device_ptrIjEEEENSD_INSE_IS6_EEEESI_S6_NSB_4plusIvEENSB_8equal_toIvEES6_EE10hipError_tPvRmT2_T3_T4_T5_mT6_T7_P12ihipStream_tbENKUlT_T0_E_clISt17integral_constantIbLb0EES12_IbLb1EEEEDaSY_SZ_EUlSY_E_NS1_11comp_targetILNS1_3genE4ELNS1_11target_archE910ELNS1_3gpuE8ELNS1_3repE0EEENS1_30default_config_static_selectorELNS0_4arch9wavefront6targetE1EEEvT1_,comdat
	.protected	_ZN7rocprim17ROCPRIM_400000_NS6detail17trampoline_kernelINS0_14default_configENS1_27scan_by_key_config_selectorIj11FixedVectorIiLj4EEEEZZNS1_16scan_by_key_implILNS1_25lookback_scan_determinismE0ELb1ES3_N6thrust23THRUST_200600_302600_NS6detail15normal_iteratorINSB_10device_ptrIjEEEENSD_INSE_IS6_EEEESI_S6_NSB_4plusIvEENSB_8equal_toIvEES6_EE10hipError_tPvRmT2_T3_T4_T5_mT6_T7_P12ihipStream_tbENKUlT_T0_E_clISt17integral_constantIbLb0EES12_IbLb1EEEEDaSY_SZ_EUlSY_E_NS1_11comp_targetILNS1_3genE4ELNS1_11target_archE910ELNS1_3gpuE8ELNS1_3repE0EEENS1_30default_config_static_selectorELNS0_4arch9wavefront6targetE1EEEvT1_ ; -- Begin function _ZN7rocprim17ROCPRIM_400000_NS6detail17trampoline_kernelINS0_14default_configENS1_27scan_by_key_config_selectorIj11FixedVectorIiLj4EEEEZZNS1_16scan_by_key_implILNS1_25lookback_scan_determinismE0ELb1ES3_N6thrust23THRUST_200600_302600_NS6detail15normal_iteratorINSB_10device_ptrIjEEEENSD_INSE_IS6_EEEESI_S6_NSB_4plusIvEENSB_8equal_toIvEES6_EE10hipError_tPvRmT2_T3_T4_T5_mT6_T7_P12ihipStream_tbENKUlT_T0_E_clISt17integral_constantIbLb0EES12_IbLb1EEEEDaSY_SZ_EUlSY_E_NS1_11comp_targetILNS1_3genE4ELNS1_11target_archE910ELNS1_3gpuE8ELNS1_3repE0EEENS1_30default_config_static_selectorELNS0_4arch9wavefront6targetE1EEEvT1_
	.globl	_ZN7rocprim17ROCPRIM_400000_NS6detail17trampoline_kernelINS0_14default_configENS1_27scan_by_key_config_selectorIj11FixedVectorIiLj4EEEEZZNS1_16scan_by_key_implILNS1_25lookback_scan_determinismE0ELb1ES3_N6thrust23THRUST_200600_302600_NS6detail15normal_iteratorINSB_10device_ptrIjEEEENSD_INSE_IS6_EEEESI_S6_NSB_4plusIvEENSB_8equal_toIvEES6_EE10hipError_tPvRmT2_T3_T4_T5_mT6_T7_P12ihipStream_tbENKUlT_T0_E_clISt17integral_constantIbLb0EES12_IbLb1EEEEDaSY_SZ_EUlSY_E_NS1_11comp_targetILNS1_3genE4ELNS1_11target_archE910ELNS1_3gpuE8ELNS1_3repE0EEENS1_30default_config_static_selectorELNS0_4arch9wavefront6targetE1EEEvT1_
	.p2align	8
	.type	_ZN7rocprim17ROCPRIM_400000_NS6detail17trampoline_kernelINS0_14default_configENS1_27scan_by_key_config_selectorIj11FixedVectorIiLj4EEEEZZNS1_16scan_by_key_implILNS1_25lookback_scan_determinismE0ELb1ES3_N6thrust23THRUST_200600_302600_NS6detail15normal_iteratorINSB_10device_ptrIjEEEENSD_INSE_IS6_EEEESI_S6_NSB_4plusIvEENSB_8equal_toIvEES6_EE10hipError_tPvRmT2_T3_T4_T5_mT6_T7_P12ihipStream_tbENKUlT_T0_E_clISt17integral_constantIbLb0EES12_IbLb1EEEEDaSY_SZ_EUlSY_E_NS1_11comp_targetILNS1_3genE4ELNS1_11target_archE910ELNS1_3gpuE8ELNS1_3repE0EEENS1_30default_config_static_selectorELNS0_4arch9wavefront6targetE1EEEvT1_,@function
_ZN7rocprim17ROCPRIM_400000_NS6detail17trampoline_kernelINS0_14default_configENS1_27scan_by_key_config_selectorIj11FixedVectorIiLj4EEEEZZNS1_16scan_by_key_implILNS1_25lookback_scan_determinismE0ELb1ES3_N6thrust23THRUST_200600_302600_NS6detail15normal_iteratorINSB_10device_ptrIjEEEENSD_INSE_IS6_EEEESI_S6_NSB_4plusIvEENSB_8equal_toIvEES6_EE10hipError_tPvRmT2_T3_T4_T5_mT6_T7_P12ihipStream_tbENKUlT_T0_E_clISt17integral_constantIbLb0EES12_IbLb1EEEEDaSY_SZ_EUlSY_E_NS1_11comp_targetILNS1_3genE4ELNS1_11target_archE910ELNS1_3gpuE8ELNS1_3repE0EEENS1_30default_config_static_selectorELNS0_4arch9wavefront6targetE1EEEvT1_: ; @_ZN7rocprim17ROCPRIM_400000_NS6detail17trampoline_kernelINS0_14default_configENS1_27scan_by_key_config_selectorIj11FixedVectorIiLj4EEEEZZNS1_16scan_by_key_implILNS1_25lookback_scan_determinismE0ELb1ES3_N6thrust23THRUST_200600_302600_NS6detail15normal_iteratorINSB_10device_ptrIjEEEENSD_INSE_IS6_EEEESI_S6_NSB_4plusIvEENSB_8equal_toIvEES6_EE10hipError_tPvRmT2_T3_T4_T5_mT6_T7_P12ihipStream_tbENKUlT_T0_E_clISt17integral_constantIbLb0EES12_IbLb1EEEEDaSY_SZ_EUlSY_E_NS1_11comp_targetILNS1_3genE4ELNS1_11target_archE910ELNS1_3gpuE8ELNS1_3repE0EEENS1_30default_config_static_selectorELNS0_4arch9wavefront6targetE1EEEvT1_
; %bb.0:
	s_load_dwordx8 s[20:27], s[4:5], 0x38
	s_load_dwordx2 s[48:49], s[4:5], 0x58
	s_add_u32 flat_scratch_lo, s6, s9
	s_addc_u32 flat_scratch_hi, s7, 0
	s_add_u32 s0, s0, s9
	s_addc_u32 s1, s1, 0
	v_cmp_ne_u32_e64 s[8:9], 0, v0
	v_cmp_eq_u32_e64 s[18:19], 0, v0
	s_and_saveexec_b64 s[6:7], s[18:19]
	s_cbranch_execz .LBB2105_4
; %bb.1:
	s_mov_b64 s[12:13], exec
	v_mbcnt_lo_u32_b32 v1, s12, 0
	v_mbcnt_hi_u32_b32 v1, s13, v1
	v_cmp_eq_u32_e32 vcc, 0, v1
                                        ; implicit-def: $vgpr2
	s_and_saveexec_b64 s[10:11], vcc
	s_cbranch_execz .LBB2105_3
; %bb.2:
	s_load_dwordx2 s[14:15], s[4:5], 0x88
	s_bcnt1_i32_b64 s12, s[12:13]
	v_mov_b32_e32 v2, 0
	v_mov_b32_e32 v3, s12
	s_waitcnt lgkmcnt(0)
	global_atomic_add v2, v2, v3, s[14:15] glc
.LBB2105_3:
	s_or_b64 exec, exec, s[10:11]
	s_waitcnt vmcnt(0)
	v_readfirstlane_b32 s10, v2
	v_add_u32_e32 v1, s10, v1
	v_mov_b32_e32 v2, 0
	ds_write_b32 v2, v1
.LBB2105_4:
	s_or_b64 exec, exec, s[6:7]
	s_load_dwordx8 s[36:43], s[4:5], 0x0
	s_load_dwordx4 s[28:31], s[4:5], 0x20
	s_load_dword s6, s[4:5], 0x60
	s_load_dwordx4 s[44:47], s[4:5], 0x68
	v_mov_b32_e32 v1, 0
	s_waitcnt lgkmcnt(0)
	s_barrier
	ds_read_b32 v2, v1
	s_mov_b32 s4, 0
	s_waitcnt lgkmcnt(0)
	s_barrier
	v_readfirstlane_b32 s33, v2
	v_mov_b32_e32 v2, 0xd0
	s_barrier
	buffer_store_dword v1, off, s[0:3], 0 offset:220
	buffer_store_dword v1, off, s[0:3], 0 offset:216
	buffer_store_dword v1, off, s[0:3], 0 offset:212
	buffer_store_dword v1, off, s[0:3], 0 offset:208
	buffer_store_dword v1, off, s[0:3], 0 offset:224
.LBB2105_5:                             ; =>This Inner Loop Header: Depth=1
	v_add_u32_e32 v3, s4, v2
	s_add_i32 s4, s4, 8
	s_cmp_lg_u32 s4, 16
	buffer_store_dword v1, v3, s[0:3], 0 offen offset:4
	buffer_store_dword v1, v3, s[0:3], 0 offen
	s_cbranch_scc1 .LBB2105_5
; %bb.6:
	v_mov_b32_e32 v2, 0xd0
	v_mov_b32_e32 v1, 0
	s_mov_b32 s4, 20
	v_add_u32_e32 v10, 20, v2
	buffer_store_byte v1, off, s[0:3], 0 offset:224
	buffer_store_dword v1, off, s[0:3], 0 offset:240
	buffer_store_dword v1, off, s[0:3], 0 offset:236
	buffer_store_dword v1, off, s[0:3], 0 offset:232
	buffer_store_dword v1, off, s[0:3], 0 offset:228
	buffer_store_dword v1, off, s[0:3], 0 offset:244
.LBB2105_7:                             ; =>This Inner Loop Header: Depth=1
	v_add_u32_e32 v3, s4, v2
	s_add_i32 s4, s4, 8
	s_cmp_lg_u32 s4, 36
	buffer_store_dword v1, v3, s[0:3], 0 offen offset:4
	buffer_store_dword v1, v3, s[0:3], 0 offen
	s_cbranch_scc1 .LBB2105_7
; %bb.8:
	v_mov_b32_e32 v2, 0xd0
	v_mov_b32_e32 v1, 0
	s_mov_b32 s4, 40
	v_add_u32_e32 v11, 40, v2
	buffer_store_byte v1, off, s[0:3], 0 offset:244
	;; [unrolled: 18-line block ×3, first 2 shown]
	buffer_store_dword v1, off, s[0:3], 0 offset:280
	buffer_store_dword v1, off, s[0:3], 0 offset:276
	;; [unrolled: 1-line block ×5, first 2 shown]
.LBB2105_11:                            ; =>This Inner Loop Header: Depth=1
	v_add_u32_e32 v3, s4, v2
	s_add_i32 s4, s4, 8
	s_cmpk_lg_i32 s4, 0x4c
	buffer_store_dword v1, v3, s[0:3], 0 offen offset:4
	buffer_store_dword v1, v3, s[0:3], 0 offen
	s_cbranch_scc1 .LBB2105_11
; %bb.12:
	v_mov_b32_e32 v2, 0xd0
	v_mov_b32_e32 v1, 0
	s_movk_i32 s4, 0x50
	v_add_u32_e32 v13, 0x50, v2
	buffer_store_byte v1, off, s[0:3], 0 offset:284
	buffer_store_dword v1, off, s[0:3], 0 offset:300
	buffer_store_dword v1, off, s[0:3], 0 offset:296
	;; [unrolled: 1-line block ×5, first 2 shown]
.LBB2105_13:                            ; =>This Inner Loop Header: Depth=1
	v_add_u32_e32 v3, s4, v2
	s_add_i32 s4, s4, 8
	s_cmpk_lg_i32 s4, 0x60
	buffer_store_dword v1, v3, s[0:3], 0 offen offset:4
	buffer_store_dword v1, v3, s[0:3], 0 offen
	s_cbranch_scc1 .LBB2105_13
; %bb.14:
	v_mov_b32_e32 v2, s29
	buffer_store_dword v2, off, s[0:3], 0 offset:100
	v_mov_b32_e32 v2, s28
	buffer_store_dword v2, off, s[0:3], 0 offset:96
	v_mov_b32_e32 v2, s31
	buffer_store_dword v2, off, s[0:3], 0 offset:108
	v_mov_b32_e32 v2, s30
	s_mov_b32 s4, 0
	v_mov_b32_e32 v1, 0
	buffer_store_dword v2, off, s[0:3], 0 offset:104
	v_mov_b32_e32 v2, 0
	buffer_store_byte v1, off, s[0:3], 0 offset:304
.LBB2105_15:                            ; =>This Inner Loop Header: Depth=1
	v_add_u32_e32 v3, s4, v2
	s_add_i32 s4, s4, 8
	s_cmp_lg_u32 s4, 16
	buffer_store_dword v1, v3, s[0:3], 0 offen offset:4
	buffer_store_dword v1, v3, s[0:3], 0 offen
	s_cbranch_scc1 .LBB2105_15
; %bb.16:
	s_mov_b32 s4, 16
	v_mov_b32_e32 v1, 0
	v_mov_b32_e32 v2, 0
.LBB2105_17:                            ; =>This Inner Loop Header: Depth=1
	v_add_u32_e32 v3, s4, v1
	s_add_i32 s4, s4, 8
	s_cmp_lg_u32 s4, 32
	buffer_store_dword v2, v3, s[0:3], 0 offen offset:4
	buffer_store_dword v2, v3, s[0:3], 0 offen
	s_cbranch_scc1 .LBB2105_17
; %bb.18:
	s_mov_b32 s4, 32
	v_mov_b32_e32 v1, 0
	v_mov_b32_e32 v2, 0
	;; [unrolled: 11-line block ×4, first 2 shown]
.LBB2105_23:                            ; =>This Inner Loop Header: Depth=1
	v_add_u32_e32 v3, s4, v1
	s_add_i32 s4, s4, 8
	s_cmpk_lg_i32 s4, 0x50
	buffer_store_dword v2, v3, s[0:3], 0 offen offset:4
	buffer_store_dword v2, v3, s[0:3], 0 offen
	s_cbranch_scc1 .LBB2105_23
; %bb.24:
	s_lshl_b64 s[4:5], s[38:39], 2
	s_add_u32 s10, s36, s4
	s_addc_u32 s11, s37, s5
	s_lshl_b64 s[34:35], s[38:39], 4
	s_add_u32 s12, s40, s34
	s_mul_i32 s4, s49, s6
	s_mul_hi_u32 s5, s48, s6
	s_addc_u32 s13, s41, s35
	s_add_i32 s14, s5, s4
	s_mul_i32 s4, s33, 0x500
	s_mov_b32 s5, 0
	s_mul_i32 s15, s48, s6
	s_lshl_b64 s[6:7], s[4:5], 2
	s_add_u32 s38, s10, s6
	s_addc_u32 s39, s11, s7
	s_lshl_b64 s[36:37], s[4:5], 4
	s_add_u32 s50, s12, s36
	s_addc_u32 s51, s13, s37
	s_add_u32 s4, s15, s33
	s_addc_u32 s5, s14, 0
	s_add_u32 s12, s44, -1
	v_mov_b32_e32 v2, 0
	s_addc_u32 s13, s45, -1
	v_add_u32_e32 v1, 64, v2
	v_add_u32_e32 v6, 48, v2
	;; [unrolled: 1-line block ×4, first 2 shown]
	v_pk_mov_b32 v[2:3], s[12:13], s[12:13] op_sel:[0,1]
	v_cmp_ge_u64_e64 s[6:7], s[4:5], v[2:3]
	s_mov_b64 s[10:11], -1
	s_and_b64 vcc, exec, s[6:7]
	s_mul_i32 s27, s12, 0xfffffb00
	s_cbranch_vccz .LBB2105_52
; %bb.25:
	v_pk_mov_b32 v[2:3], s[38:39], s[38:39] op_sel:[0,1]
	flat_load_dword v2, v[2:3]
	s_add_i32 s52, s27, s26
	v_cmp_gt_u32_e32 vcc, s52, v0
	s_waitcnt vmcnt(0) lgkmcnt(0)
	v_mov_b32_e32 v3, v2
	s_and_saveexec_b64 s[10:11], vcc
	s_cbranch_execz .LBB2105_27
; %bb.26:
	v_lshlrev_b32_e32 v3, 2, v0
	v_mov_b32_e32 v5, s39
	v_add_co_u32_e64 v4, s[4:5], s38, v3
	v_addc_co_u32_e64 v5, s[4:5], 0, v5, s[4:5]
	flat_load_dword v3, v[4:5]
.LBB2105_27:
	s_or_b64 exec, exec, s[10:11]
	v_or_b32_e32 v14, 0x100, v0
	v_cmp_gt_u32_e64 s[10:11], s52, v14
	v_mov_b32_e32 v4, v2
	s_and_saveexec_b64 s[12:13], s[10:11]
	s_cbranch_execz .LBB2105_29
; %bb.28:
	v_lshlrev_b32_e32 v4, 2, v0
	v_mov_b32_e32 v5, s39
	v_add_co_u32_e64 v4, s[4:5], s38, v4
	v_addc_co_u32_e64 v5, s[4:5], 0, v5, s[4:5]
	flat_load_dword v4, v[4:5] offset:1024
.LBB2105_29:
	s_or_b64 exec, exec, s[12:13]
	v_or_b32_e32 v17, 0x200, v0
	v_cmp_gt_u32_e64 s[12:13], s52, v17
	v_mov_b32_e32 v5, v2
	s_and_saveexec_b64 s[14:15], s[12:13]
	s_cbranch_execz .LBB2105_31
; %bb.30:
	v_lshlrev_b32_e32 v5, 2, v0
	v_mov_b32_e32 v9, s39
	v_add_co_u32_e64 v18, s[4:5], s38, v5
	v_addc_co_u32_e64 v19, s[4:5], 0, v9, s[4:5]
	flat_load_dword v5, v[18:19] offset:2048
.LBB2105_31:
	;; [unrolled: 13-line block ×3, first 2 shown]
	s_or_b64 exec, exec, s[16:17]
	v_or_b32_e32 v19, 0x400, v0
	v_cmp_gt_u32_e64 s[16:17], s52, v19
	s_and_saveexec_b64 s[40:41], s[16:17]
	s_cbranch_execz .LBB2105_35
; %bb.34:
	v_lshlrev_b32_e32 v2, 2, v19
	v_mov_b32_e32 v15, s39
	v_add_co_u32_e64 v20, s[4:5], s38, v2
	v_addc_co_u32_e64 v21, s[4:5], 0, v15, s[4:5]
	flat_load_dword v2, v[20:21]
.LBB2105_35:
	s_or_b64 exec, exec, s[40:41]
	v_lshlrev_b32_e32 v16, 2, v0
	s_waitcnt vmcnt(0) lgkmcnt(0)
	ds_write2st64_b32 v16, v3, v4 offset1:4
	ds_write2st64_b32 v16, v5, v9 offset0:8 offset1:12
	ds_write_b32 v16, v2 offset:4096
	v_pk_mov_b32 v[2:3], s[38:39], s[38:39] op_sel:[0,1]
	s_waitcnt lgkmcnt(0)
	s_barrier
	flat_load_dword v9, v[2:3]
	v_lshl_add_u32 v2, v0, 4, v16
	ds_read_b32 v15, v2
	ds_read2_b32 v[4:5], v2 offset0:1 offset1:2
	ds_read2_b32 v[2:3], v2 offset0:3 offset1:4
	s_movk_i32 s4, 0xff
	v_cmp_ne_u32_e64 s[4:5], s4, v0
	s_waitcnt lgkmcnt(0)
	ds_write_b32 v16, v15 offset:6144
	s_waitcnt lgkmcnt(0)
	s_barrier
	s_and_saveexec_b64 s[40:41], s[4:5]
	s_cbranch_execz .LBB2105_37
; %bb.36:
	s_waitcnt vmcnt(0)
	ds_read_b32 v9, v16 offset:6148
.LBB2105_37:
	s_or_b64 exec, exec, s[40:41]
	s_waitcnt lgkmcnt(0)
	s_barrier
	s_and_saveexec_b64 s[4:5], vcc
	s_cbranch_execnz .LBB2105_522
; %bb.38:
	s_or_b64 exec, exec, s[4:5]
	s_and_saveexec_b64 s[4:5], s[10:11]
	s_cbranch_execnz .LBB2105_523
.LBB2105_39:
	s_or_b64 exec, exec, s[4:5]
	s_and_saveexec_b64 s[4:5], s[12:13]
	s_cbranch_execnz .LBB2105_524
.LBB2105_40:
	s_or_b64 exec, exec, s[4:5]
	s_and_saveexec_b64 s[4:5], s[14:15]
	s_cbranch_execnz .LBB2105_525
.LBB2105_41:
	s_or_b64 exec, exec, s[4:5]
	v_mul_u32_u24_e32 v14, 5, v0
	s_and_saveexec_b64 s[4:5], s[16:17]
	s_cbranch_execz .LBB2105_43
.LBB2105_42:
	v_lshlrev_b32_e32 v17, 4, v19
	v_mov_b32_e32 v19, s51
	v_add_co_u32_e32 v18, vcc, s50, v17
	v_addc_co_u32_e32 v19, vcc, 0, v19, vcc
	flat_load_dwordx4 v[18:21], v[18:19]
	s_waitcnt vmcnt(0) lgkmcnt(0)
	buffer_store_dword v19, off, s[0:3], 0 offset:68
	buffer_store_dword v18, off, s[0:3], 0 offset:64
	;; [unrolled: 1-line block ×4, first 2 shown]
.LBB2105_43:
	s_or_b64 exec, exec, s[4:5]
	buffer_load_dword v18, off, s[0:3], 0
	buffer_load_dword v19, off, s[0:3], 0 offset:4
	buffer_load_dword v20, off, s[0:3], 0 offset:8
	;; [unrolled: 1-line block ×3, first 2 shown]
	buffer_load_dword v22, v8, s[0:3], 0 offen
	buffer_load_dword v23, v8, s[0:3], 0 offen offset:4
	buffer_load_dword v24, v8, s[0:3], 0 offen offset:8
	buffer_load_dword v25, v8, s[0:3], 0 offen offset:12
	buffer_load_dword v26, v7, s[0:3], 0 offen
	buffer_load_dword v27, v7, s[0:3], 0 offen offset:4
	buffer_load_dword v28, v7, s[0:3], 0 offen offset:8
	buffer_load_dword v29, v7, s[0:3], 0 offen offset:12
	;; [unrolled: 4-line block ×4, first 2 shown]
	v_mad_u32_u24 v16, v0, 12, v16
	v_lshl_add_u32 v38, v0, 6, v16
	v_cmp_gt_u32_e32 vcc, s52, v14
	s_mov_b64 s[10:11], 0
	s_mov_b64 s[14:15], 0
                                        ; implicit-def: $sgpr4_sgpr5
	s_waitcnt vmcnt(0)
	ds_write_b128 v16, v[18:21]
	ds_write_b128 v16, v[22:25] offset:4096
	ds_write_b128 v16, v[26:29] offset:8192
	;; [unrolled: 1-line block ×4, first 2 shown]
	s_waitcnt lgkmcnt(0)
	s_barrier
	ds_read_b128 v[16:19], v38
	ds_read_b128 v[20:23], v38 offset:16
	ds_read_b128 v[24:27], v38 offset:32
	;; [unrolled: 1-line block ×4, first 2 shown]
	s_waitcnt lgkmcnt(4)
	buffer_store_dword v19, off, s[0:3], 0 offset:12
	buffer_store_dword v18, off, s[0:3], 0 offset:8
	;; [unrolled: 1-line block ×3, first 2 shown]
	buffer_store_dword v16, off, s[0:3], 0
	s_waitcnt lgkmcnt(3)
	buffer_store_dword v23, v8, s[0:3], 0 offen offset:12
	buffer_store_dword v22, v8, s[0:3], 0 offen offset:8
	buffer_store_dword v21, v8, s[0:3], 0 offen offset:4
	buffer_store_dword v20, v8, s[0:3], 0 offen
	s_waitcnt lgkmcnt(2)
	buffer_store_dword v27, v7, s[0:3], 0 offen offset:12
	buffer_store_dword v26, v7, s[0:3], 0 offen offset:8
	buffer_store_dword v25, v7, s[0:3], 0 offen offset:4
	buffer_store_dword v24, v7, s[0:3], 0 offen
	;; [unrolled: 5-line block ×4, first 2 shown]
	s_and_saveexec_b64 s[12:13], vcc
	s_cbranch_execz .LBB2105_51
; %bb.44:
	v_cmp_ne_u32_e32 vcc, v15, v4
	v_mov_b32_e32 v15, 0x60
	v_mov_b32_e32 v17, 0
	v_cndmask_b32_e32 v17, v17, v15, vcc
	buffer_load_dword v18, v17, s[0:3], 0 offen offset:12
	buffer_load_dword v19, v17, s[0:3], 0 offen offset:8
	;; [unrolled: 1-line block ×3, first 2 shown]
	buffer_load_dword v21, v17, s[0:3], 0 offen
                                        ; kill: killed $vgpr17
	v_add_u32_e32 v17, 1, v14
	v_cndmask_b32_e64 v16, 0, 1, vcc
	v_cmp_gt_u32_e32 vcc, s52, v17
	s_mov_b64 s[16:17], 0
	buffer_store_byte v16, off, s[0:3], 0 offset:224
                                        ; implicit-def: $sgpr40_sgpr41
	s_waitcnt vmcnt(4)
	buffer_store_dword v18, off, s[0:3], 0 offset:220
	s_waitcnt vmcnt(4)
	buffer_store_dword v19, off, s[0:3], 0 offset:216
	s_waitcnt vmcnt(4)
	buffer_store_dword v20, off, s[0:3], 0 offset:212
	s_waitcnt vmcnt(4)
	buffer_store_dword v21, off, s[0:3], 0 offset:208
	s_and_saveexec_b64 s[14:15], vcc
	s_cbranch_execz .LBB2105_50
; %bb.45:
	v_cmp_ne_u32_e32 vcc, v4, v5
	v_cndmask_b32_e32 v15, v8, v15, vcc
	buffer_load_dword v16, v15, s[0:3], 0 offen offset:12
	buffer_load_dword v17, v15, s[0:3], 0 offen offset:8
	;; [unrolled: 1-line block ×3, first 2 shown]
	buffer_load_dword v19, v15, s[0:3], 0 offen
                                        ; kill: killed $vgpr15
	v_add_u32_e32 v15, 2, v14
	v_cndmask_b32_e64 v4, 0, 1, vcc
	v_cmp_gt_u32_e32 vcc, s52, v15
	s_mov_b64 s[4:5], 0
	buffer_store_byte v4, off, s[0:3], 0 offset:244
                                        ; implicit-def: $sgpr40_sgpr41
	s_waitcnt vmcnt(4)
	buffer_store_dword v16, v10, s[0:3], 0 offen offset:12
	s_waitcnt vmcnt(4)
	buffer_store_dword v17, v10, s[0:3], 0 offen offset:8
	s_waitcnt vmcnt(4)
	buffer_store_dword v18, v10, s[0:3], 0 offen offset:4
	s_waitcnt vmcnt(4)
	buffer_store_dword v19, v10, s[0:3], 0 offen
	s_and_saveexec_b64 s[16:17], vcc
	s_cbranch_execz .LBB2105_49
; %bb.46:
	v_cmp_ne_u32_e32 vcc, v5, v2
	v_mov_b32_e32 v4, 0x60
	v_cndmask_b32_e32 v15, v7, v4, vcc
	buffer_load_dword v16, v15, s[0:3], 0 offen offset:12
	buffer_load_dword v17, v15, s[0:3], 0 offen offset:8
	;; [unrolled: 1-line block ×3, first 2 shown]
	buffer_load_dword v19, v15, s[0:3], 0 offen
                                        ; kill: killed $vgpr15
	v_add_u32_e32 v15, 3, v14
	v_cndmask_b32_e64 v5, 0, 1, vcc
	v_cmp_gt_u32_e32 vcc, s52, v15
	buffer_store_byte v5, off, s[0:3], 0 offset:264
                                        ; implicit-def: $sgpr44_sgpr45
	s_waitcnt vmcnt(4)
	buffer_store_dword v16, v11, s[0:3], 0 offen offset:12
	s_waitcnt vmcnt(4)
	buffer_store_dword v17, v11, s[0:3], 0 offen offset:8
	;; [unrolled: 2-line block ×3, first 2 shown]
	s_waitcnt vmcnt(4)
	buffer_store_dword v19, v11, s[0:3], 0 offen
	s_and_saveexec_b64 s[40:41], vcc
	s_xor_b64 s[40:41], exec, s[40:41]
	s_cbranch_execz .LBB2105_48
; %bb.47:
	v_cmp_ne_u32_e32 vcc, v2, v3
	v_cndmask_b32_e32 v4, v6, v4, vcc
	buffer_load_dword v5, v4, s[0:3], 0 offen offset:12
	buffer_load_dword v15, v4, s[0:3], 0 offen offset:8
	;; [unrolled: 1-line block ×3, first 2 shown]
	buffer_load_dword v17, v4, s[0:3], 0 offen
	v_cndmask_b32_e64 v2, 0, 1, vcc
	v_cmp_ne_u32_e32 vcc, v3, v9
	v_add_u32_e32 v3, 4, v14
	v_cmp_gt_u32_e64 s[4:5], s52, v3
	s_and_b64 s[44:45], vcc, exec
	s_and_b64 s[4:5], s[4:5], exec
                                        ; kill: killed $vgpr4
	buffer_store_byte v2, off, s[0:3], 0 offset:284
	s_waitcnt vmcnt(4)
	buffer_store_dword v5, v12, s[0:3], 0 offen offset:12
	s_waitcnt vmcnt(4)
	buffer_store_dword v15, v12, s[0:3], 0 offen offset:8
	;; [unrolled: 2-line block ×3, first 2 shown]
	s_waitcnt vmcnt(4)
	buffer_store_dword v17, v12, s[0:3], 0 offen
.LBB2105_48:
	s_or_b64 exec, exec, s[40:41]
	s_and_b64 s[40:41], s[44:45], exec
	s_and_b64 s[4:5], s[4:5], exec
.LBB2105_49:
	s_or_b64 exec, exec, s[16:17]
	s_and_b64 s[40:41], s[40:41], exec
	s_and_b64 s[16:17], s[4:5], exec
.LBB2105_50:
	s_or_b64 exec, exec, s[14:15]
	s_and_b64 s[4:5], s[40:41], exec
	s_and_b64 s[14:15], s[16:17], exec
.LBB2105_51:
	s_or_b64 exec, exec, s[12:13]
	s_and_b64 vcc, exec, s[10:11]
	s_cbranch_vccnz .LBB2105_53
	s_branch .LBB2105_56
.LBB2105_52:
	s_mov_b64 s[14:15], 0
                                        ; implicit-def: $sgpr4_sgpr5
	s_and_b64 vcc, exec, s[10:11]
	s_cbranch_vccz .LBB2105_56
.LBB2105_53:
	v_lshlrev_b32_e32 v14, 2, v0
	v_mov_b32_e32 v3, s39
	v_add_co_u32_e32 v2, vcc, s38, v14
	v_addc_co_u32_e32 v3, vcc, 0, v3, vcc
	v_add_co_u32_e32 v4, vcc, 0x1000, v2
	v_addc_co_u32_e32 v5, vcc, 0, v3, vcc
	flat_load_dword v9, v[2:3]
	flat_load_dword v15, v[2:3] offset:1024
	flat_load_dword v16, v[2:3] offset:2048
	;; [unrolled: 1-line block ×3, first 2 shown]
	flat_load_dword v18, v[4:5]
	v_mov_b32_e32 v2, s38
	v_mov_b32_e32 v3, s39
	v_add_co_u32_e32 v2, vcc, 0x1000, v2
	v_addc_co_u32_e32 v3, vcc, 0, v3, vcc
	s_movk_i32 s4, 0xff
	s_movk_i32 s10, 0x1000
	v_cmp_ne_u32_e32 vcc, s4, v0
	s_waitcnt vmcnt(0) lgkmcnt(0)
	ds_write2st64_b32 v14, v9, v15 offset1:4
	ds_write2st64_b32 v14, v16, v17 offset0:8 offset1:12
	ds_write_b32 v14, v18 offset:4096
	s_waitcnt lgkmcnt(0)
	s_barrier
	flat_load_dword v9, v[2:3] offset:1024
	v_lshl_add_u32 v2, v0, 4, v14
	ds_read_b32 v15, v2
	ds_read2_b32 v[4:5], v2 offset0:1 offset1:2
	ds_read2_b32 v[2:3], v2 offset0:3 offset1:4
	s_waitcnt lgkmcnt(0)
	ds_write_b32 v14, v15 offset:6144
	s_waitcnt lgkmcnt(0)
	s_barrier
	s_and_saveexec_b64 s[4:5], vcc
	s_cbranch_execz .LBB2105_55
; %bb.54:
	s_waitcnt vmcnt(0)
	ds_read_b32 v9, v14 offset:6148
.LBB2105_55:
	s_or_b64 exec, exec, s[4:5]
	v_lshlrev_b32_e32 v16, 4, v0
	v_mov_b32_e32 v17, s51
	v_add_co_u32_e32 v24, vcc, s50, v16
	v_addc_co_u32_e32 v25, vcc, 0, v17, vcc
	s_waitcnt lgkmcnt(0)
	s_barrier
	flat_load_dwordx4 v[16:19], v[24:25]
	v_add_co_u32_e32 v20, vcc, s10, v24
	v_addc_co_u32_e32 v21, vcc, 0, v25, vcc
	s_movk_i32 s4, 0x2000
	v_add_co_u32_e32 v26, vcc, s4, v24
	v_addc_co_u32_e32 v27, vcc, 0, v25, vcc
	s_movk_i32 s4, 0x3000
	v_cmp_ne_u32_e64 s[10:11], v5, v2
	v_cmp_ne_u32_e64 s[12:13], v2, v3
	v_mad_u32_u24 v2, v0, 12, v14
	v_lshl_add_u32 v40, v0, 6, v2
	s_mov_b64 s[14:15], -1
	v_cndmask_b32_e64 v38, 0, 1, s[10:11]
	v_cndmask_b32_e64 v39, 0, 1, s[12:13]
	s_waitcnt vmcnt(0) lgkmcnt(0)
	buffer_store_dword v16, off, s[0:3], 0
	buffer_store_dword v17, off, s[0:3], 0 offset:4
	buffer_store_dword v19, off, s[0:3], 0 offset:12
	;; [unrolled: 1-line block ×3, first 2 shown]
	flat_load_dwordx4 v[20:23], v[20:21]
	s_waitcnt vmcnt(0) lgkmcnt(0)
	buffer_store_dword v21, off, s[0:3], 0 offset:20
	buffer_store_dword v20, off, s[0:3], 0 offset:16
	;; [unrolled: 1-line block ×4, first 2 shown]
	flat_load_dwordx4 v[20:23], v[26:27]
	v_add_co_u32_e32 v26, vcc, s4, v24
	v_addc_co_u32_e32 v27, vcc, 0, v25, vcc
	s_movk_i32 s4, 0x4000
	v_add_co_u32_e32 v32, vcc, s4, v24
	v_addc_co_u32_e32 v33, vcc, 0, v25, vcc
                                        ; kill: killed $vgpr32 killed $vgpr33
	v_cmp_ne_u32_e32 vcc, v15, v4
	v_cmp_ne_u32_e64 s[4:5], v4, v5
	v_mov_b32_e32 v4, 0x60
	v_mov_b32_e32 v5, 0
	v_cndmask_b32_e32 v5, v5, v4, vcc
	v_cndmask_b32_e64 v41, v8, v4, s[4:5]
	v_cndmask_b32_e64 v42, v7, v4, s[10:11]
	v_cndmask_b32_e64 v36, 0, 1, vcc
	v_cndmask_b32_e64 v37, 0, 1, s[4:5]
                                        ; kill: killed $vgpr5
	v_cmp_ne_u32_e64 s[4:5], v3, v9
                                        ; kill: killed $vgpr41
                                        ; kill: killed $vgpr42
	s_waitcnt vmcnt(0) lgkmcnt(0)
	buffer_store_dword v21, off, s[0:3], 0 offset:36
	buffer_store_dword v20, off, s[0:3], 0 offset:32
	;; [unrolled: 1-line block ×4, first 2 shown]
	flat_load_dwordx4 v[20:23], v[26:27]
	s_waitcnt vmcnt(0) lgkmcnt(0)
	buffer_store_dword v21, off, s[0:3], 0 offset:52
	buffer_store_dword v20, off, s[0:3], 0 offset:48
	;; [unrolled: 1-line block ×4, first 2 shown]
	flat_load_dwordx4 v[20:23], v[32:33]
	s_nop 0
	buffer_load_dword v27, v7, s[0:3], 0 offen offset:12
	buffer_load_dword v26, v7, s[0:3], 0 offen offset:8
	;; [unrolled: 1-line block ×3, first 2 shown]
	buffer_load_dword v24, v7, s[0:3], 0 offen
	buffer_load_dword v31, v8, s[0:3], 0 offen offset:12
	buffer_load_dword v30, v8, s[0:3], 0 offen offset:8
	;; [unrolled: 1-line block ×3, first 2 shown]
	buffer_load_dword v28, v8, s[0:3], 0 offen
	s_waitcnt vmcnt(0) lgkmcnt(0)
	buffer_store_dword v21, off, s[0:3], 0 offset:68
	buffer_store_dword v20, off, s[0:3], 0 offset:64
	;; [unrolled: 1-line block ×4, first 2 shown]
	buffer_load_dword v20, v1, s[0:3], 0 offen
	s_nop 0
	buffer_load_dword v35, v6, s[0:3], 0 offen offset:12
	buffer_load_dword v34, v6, s[0:3], 0 offen offset:8
	;; [unrolled: 1-line block ×3, first 2 shown]
	buffer_load_dword v32, v6, s[0:3], 0 offen
	buffer_load_dword v23, v1, s[0:3], 0 offen offset:12
	buffer_load_dword v22, v1, s[0:3], 0 offen offset:8
	;; [unrolled: 1-line block ×3, first 2 shown]
	ds_write_b128 v2, v[16:19]
	ds_write_b128 v2, v[28:31] offset:4096
	ds_write_b128 v2, v[24:27] offset:8192
	s_waitcnt vmcnt(3)
	ds_write_b128 v2, v[32:35] offset:12288
	s_waitcnt vmcnt(0)
	ds_write_b128 v2, v[20:23] offset:16384
	s_waitcnt lgkmcnt(0)
	s_barrier
	ds_read_b128 v[14:17], v40
	ds_read_b128 v[18:21], v40 offset:16
	ds_read_b128 v[22:25], v40 offset:32
	;; [unrolled: 1-line block ×3, first 2 shown]
	s_waitcnt lgkmcnt(3)
	buffer_store_dword v17, off, s[0:3], 0 offset:12
	buffer_store_dword v16, off, s[0:3], 0 offset:8
	;; [unrolled: 1-line block ×3, first 2 shown]
	buffer_store_dword v14, off, s[0:3], 0
	s_waitcnt lgkmcnt(2)
	buffer_store_dword v21, v8, s[0:3], 0 offen offset:12
	buffer_store_dword v20, v8, s[0:3], 0 offen offset:8
	;; [unrolled: 1-line block ×3, first 2 shown]
	buffer_store_dword v18, v8, s[0:3], 0 offen
	s_waitcnt lgkmcnt(1)
	buffer_store_dword v25, v7, s[0:3], 0 offen offset:12
	buffer_store_dword v24, v7, s[0:3], 0 offen offset:8
	;; [unrolled: 1-line block ×3, first 2 shown]
	buffer_store_dword v22, v7, s[0:3], 0 offen
	s_waitcnt lgkmcnt(0)
	buffer_store_dword v29, v6, s[0:3], 0 offen offset:12
	v_cndmask_b32_e64 v2, v6, v4, s[12:13]
	buffer_load_dword v7, v5, s[0:3], 0 offen
	buffer_load_dword v8, v5, s[0:3], 0 offen offset:4
	buffer_load_dword v14, v5, s[0:3], 0 offen offset:8
	buffer_load_dword v15, v5, s[0:3], 0 offen offset:12
	buffer_load_dword v16, v41, s[0:3], 0 offen
	buffer_load_dword v17, v41, s[0:3], 0 offen offset:4
	buffer_load_dword v18, v41, s[0:3], 0 offen offset:8
	buffer_load_dword v19, v41, s[0:3], 0 offen offset:12
	;; [unrolled: 4-line block ×3, first 2 shown]
	s_nop 0
	buffer_store_dword v28, v6, s[0:3], 0 offen offset:8
	buffer_store_dword v27, v6, s[0:3], 0 offen offset:4
	buffer_store_dword v26, v6, s[0:3], 0 offen
	buffer_load_dword v6, v2, s[0:3], 0 offen offset:12
	s_nop 0
	buffer_load_dword v24, v2, s[0:3], 0 offen offset:8
	buffer_load_dword v25, v2, s[0:3], 0 offen offset:4
	buffer_load_dword v26, v2, s[0:3], 0 offen
                                        ; kill: killed $vgpr2
	ds_read_b128 v[2:5], v40 offset:64
	buffer_store_byte v36, off, s[0:3], 0 offset:224
	buffer_store_byte v37, off, s[0:3], 0 offset:244
	buffer_store_byte v38, off, s[0:3], 0 offset:264
	buffer_store_byte v39, off, s[0:3], 0 offset:284
	s_waitcnt lgkmcnt(0)
	buffer_store_dword v5, v1, s[0:3], 0 offen offset:12
	buffer_store_dword v4, v1, s[0:3], 0 offen offset:8
	;; [unrolled: 1-line block ×3, first 2 shown]
	buffer_store_dword v2, v1, s[0:3], 0 offen
	s_waitcnt vmcnt(23)
	buffer_store_dword v15, off, s[0:3], 0 offset:220
	buffer_store_dword v14, off, s[0:3], 0 offset:216
	;; [unrolled: 1-line block ×4, first 2 shown]
	s_waitcnt vmcnt(23)
	buffer_store_dword v19, v10, s[0:3], 0 offen offset:12
	buffer_store_dword v18, v10, s[0:3], 0 offen offset:8
	;; [unrolled: 1-line block ×3, first 2 shown]
	buffer_store_dword v16, v10, s[0:3], 0 offen
	s_waitcnt vmcnt(23)
	buffer_store_dword v23, v11, s[0:3], 0 offen offset:12
	buffer_store_dword v22, v11, s[0:3], 0 offen offset:8
	buffer_store_dword v21, v11, s[0:3], 0 offen offset:4
	buffer_store_dword v20, v11, s[0:3], 0 offen
	s_waitcnt vmcnt(23)
	buffer_store_dword v6, v12, s[0:3], 0 offen offset:12
	s_waitcnt vmcnt(23)
	buffer_store_dword v24, v12, s[0:3], 0 offen offset:8
	;; [unrolled: 2-line block ×3, first 2 shown]
	s_waitcnt vmcnt(23)
	buffer_store_dword v26, v12, s[0:3], 0 offen
.LBB2105_56:
	s_and_saveexec_b64 s[10:11], s[14:15]
	s_cbranch_execz .LBB2105_58
; %bb.57:
	v_mov_b32_e32 v2, 0x60
	v_cndmask_b32_e64 v1, v1, v2, s[4:5]
	buffer_load_dword v2, v1, s[0:3], 0 offen offset:12
	buffer_load_dword v3, v1, s[0:3], 0 offen offset:8
	;; [unrolled: 1-line block ×3, first 2 shown]
	buffer_load_dword v5, v1, s[0:3], 0 offen
                                        ; kill: killed $vgpr1
	v_cndmask_b32_e64 v1, 0, 1, s[4:5]
	s_waitcnt vmcnt(3)
	buffer_store_dword v2, v13, s[0:3], 0 offen offset:12
	s_waitcnt vmcnt(3)
	buffer_store_dword v3, v13, s[0:3], 0 offen offset:8
	;; [unrolled: 2-line block ×3, first 2 shown]
	s_waitcnt vmcnt(3)
	buffer_store_dword v5, v13, s[0:3], 0 offen
	buffer_store_byte v1, off, s[0:3], 0 offset:304
.LBB2105_58:
	s_or_b64 exec, exec, s[10:11]
	s_cmp_lg_u32 s33, 0
	s_barrier
	s_cbranch_scc0 .LBB2105_361
; %bb.59:
	buffer_load_dword v2, off, s[0:3], 0 offset:220
	buffer_load_dword v3, off, s[0:3], 0 offset:216
	;; [unrolled: 1-line block ×5, first 2 shown]
	buffer_load_ubyte v6, off, s[0:3], 0 offset:244
	s_waitcnt vmcnt(5)
	buffer_store_dword v2, off, s[0:3], 0 offset:188
	s_waitcnt vmcnt(5)
	buffer_store_dword v3, off, s[0:3], 0 offset:184
	;; [unrolled: 2-line block ×5, first 2 shown]
	s_waitcnt vmcnt(5)
	v_cmp_ne_u16_e32 vcc, 0, v6
                                        ; implicit-def: $vgpr4_vgpr5
                                        ; implicit-def: $vgpr2_vgpr3
	s_and_saveexec_b64 s[4:5], vcc
	s_xor_b64 s[4:5], exec, s[4:5]
	s_cbranch_execz .LBB2105_61
; %bb.60:
	buffer_load_dword v2, off, s[0:3], 0 offset:228
	buffer_load_dword v3, off, s[0:3], 0 offset:232
	;; [unrolled: 1-line block ×4, first 2 shown]
.LBB2105_61:
	s_andn2_saveexec_b64 s[4:5], s[4:5]
	s_cbranch_execz .LBB2105_67
; %bb.62:
	s_mov_b32 s10, 0
	s_waitcnt vmcnt(3)
	v_mov_b32_e32 v2, 0
	s_waitcnt vmcnt(2)
	v_mov_b32_e32 v3, 0
	s_waitcnt vmcnt(0)
.LBB2105_63:                            ; =>This Inner Loop Header: Depth=1
	v_add_u32_e32 v4, s10, v2
	s_add_i32 s10, s10, 8
	s_cmp_lg_u32 s10, 16
	buffer_store_dword v3, v4, s[0:3], 0 offen offset:4
	buffer_store_dword v3, v4, s[0:3], 0 offen
	s_cbranch_scc1 .LBB2105_63
; %bb.64:
	s_mov_b32 s10, 0
	v_mov_b32_e32 v2, 0xb0
	v_mov_b32_e32 v3, 0xd0
	;; [unrolled: 1-line block ×3, first 2 shown]
.LBB2105_65:                            ; =>This Inner Loop Header: Depth=1
	v_add_u32_e32 v5, s10, v2
	v_add_u32_e32 v7, s10, v3
	buffer_load_dword v8, v5, s[0:3], 0 offen offset:4
	buffer_load_dword v9, v7, s[0:3], 0 offen offset:20
	buffer_load_dword v14, v5, s[0:3], 0 offen
	buffer_load_dword v15, v7, s[0:3], 0 offen offset:24
	v_add_u32_e32 v5, s10, v4
	s_add_i32 s10, s10, 8
	s_cmp_lg_u32 s10, 16
	s_waitcnt vmcnt(1)
	v_add_u32_e32 v7, v9, v14
	s_waitcnt vmcnt(0)
	v_add_u32_e32 v8, v15, v8
	buffer_store_dword v8, v5, s[0:3], 0 offen offset:4
	buffer_store_dword v7, v5, s[0:3], 0 offen
	s_cbranch_scc1 .LBB2105_65
; %bb.66:
	buffer_load_dword v2, off, s[0:3], 0
	buffer_load_dword v3, off, s[0:3], 0 offset:4
	buffer_load_dword v4, off, s[0:3], 0 offset:8
	;; [unrolled: 1-line block ×3, first 2 shown]
.LBB2105_67:
	s_or_b64 exec, exec, s[4:5]
	buffer_load_ubyte v7, off, s[0:3], 0 offset:264
	s_waitcnt vmcnt(3)
	buffer_store_dword v3, off, s[0:3], 0 offset:180
	buffer_store_dword v2, off, s[0:3], 0 offset:176
	s_waitcnt vmcnt(3)
	buffer_store_dword v5, off, s[0:3], 0 offset:188
	buffer_store_dword v4, off, s[0:3], 0 offset:184
                                        ; implicit-def: $vgpr4_vgpr5
                                        ; implicit-def: $vgpr2_vgpr3
	s_waitcnt vmcnt(4)
	v_cmp_ne_u16_e32 vcc, 0, v7
	s_and_saveexec_b64 s[4:5], vcc
	s_xor_b64 s[4:5], exec, s[4:5]
	s_cbranch_execz .LBB2105_69
; %bb.68:
	buffer_load_dword v2, off, s[0:3], 0 offset:248
	buffer_load_dword v3, off, s[0:3], 0 offset:252
	;; [unrolled: 1-line block ×4, first 2 shown]
.LBB2105_69:
	s_andn2_saveexec_b64 s[4:5], s[4:5]
	s_cbranch_execz .LBB2105_75
; %bb.70:
	s_mov_b32 s10, 0
	s_waitcnt vmcnt(3)
	v_mov_b32_e32 v2, 0
	s_waitcnt vmcnt(2)
	v_mov_b32_e32 v3, 0
	s_waitcnt vmcnt(0)
.LBB2105_71:                            ; =>This Inner Loop Header: Depth=1
	v_add_u32_e32 v4, s10, v2
	s_add_i32 s10, s10, 8
	s_cmp_lg_u32 s10, 16
	buffer_store_dword v3, v4, s[0:3], 0 offen offset:4
	buffer_store_dword v3, v4, s[0:3], 0 offen
	s_cbranch_scc1 .LBB2105_71
; %bb.72:
	s_mov_b32 s10, 0
	v_mov_b32_e32 v2, 0xb0
	v_mov_b32_e32 v3, 0xd0
	;; [unrolled: 1-line block ×3, first 2 shown]
.LBB2105_73:                            ; =>This Inner Loop Header: Depth=1
	v_add_u32_e32 v5, s10, v2
	v_add_u32_e32 v8, s10, v3
	buffer_load_dword v9, v5, s[0:3], 0 offen offset:4
	buffer_load_dword v14, v8, s[0:3], 0 offen offset:40
	buffer_load_dword v15, v5, s[0:3], 0 offen
	buffer_load_dword v16, v8, s[0:3], 0 offen offset:44
	v_add_u32_e32 v5, s10, v4
	s_add_i32 s10, s10, 8
	s_cmp_lg_u32 s10, 16
	s_waitcnt vmcnt(1)
	v_add_u32_e32 v8, v14, v15
	s_waitcnt vmcnt(0)
	v_add_u32_e32 v9, v16, v9
	buffer_store_dword v9, v5, s[0:3], 0 offen offset:4
	buffer_store_dword v8, v5, s[0:3], 0 offen
	s_cbranch_scc1 .LBB2105_73
; %bb.74:
	buffer_load_dword v2, off, s[0:3], 0
	buffer_load_dword v3, off, s[0:3], 0 offset:4
	buffer_load_dword v4, off, s[0:3], 0 offset:8
	buffer_load_dword v5, off, s[0:3], 0 offset:12
.LBB2105_75:
	s_or_b64 exec, exec, s[4:5]
	buffer_load_ubyte v8, off, s[0:3], 0 offset:284
	s_waitcnt vmcnt(3)
	buffer_store_dword v3, off, s[0:3], 0 offset:180
	buffer_store_dword v2, off, s[0:3], 0 offset:176
	s_waitcnt vmcnt(3)
	buffer_store_dword v5, off, s[0:3], 0 offset:188
	buffer_store_dword v4, off, s[0:3], 0 offset:184
                                        ; implicit-def: $vgpr4_vgpr5
                                        ; implicit-def: $vgpr2_vgpr3
	s_waitcnt vmcnt(4)
	v_cmp_ne_u16_e32 vcc, 0, v8
	s_and_saveexec_b64 s[4:5], vcc
	s_xor_b64 s[4:5], exec, s[4:5]
	s_cbranch_execz .LBB2105_77
; %bb.76:
	buffer_load_dword v2, off, s[0:3], 0 offset:268
	buffer_load_dword v3, off, s[0:3], 0 offset:272
	;; [unrolled: 1-line block ×4, first 2 shown]
.LBB2105_77:
	s_andn2_saveexec_b64 s[4:5], s[4:5]
	s_cbranch_execz .LBB2105_83
; %bb.78:
	s_mov_b32 s10, 0
	s_waitcnt vmcnt(3)
	v_mov_b32_e32 v2, 0
	s_waitcnt vmcnt(2)
	v_mov_b32_e32 v3, 0
	s_waitcnt vmcnt(0)
.LBB2105_79:                            ; =>This Inner Loop Header: Depth=1
	v_add_u32_e32 v4, s10, v2
	s_add_i32 s10, s10, 8
	s_cmp_lg_u32 s10, 16
	buffer_store_dword v3, v4, s[0:3], 0 offen offset:4
	buffer_store_dword v3, v4, s[0:3], 0 offen
	s_cbranch_scc1 .LBB2105_79
; %bb.80:
	s_mov_b32 s10, 0
	v_mov_b32_e32 v2, 0xb0
	v_mov_b32_e32 v3, 0xd0
	v_mov_b32_e32 v4, 0
.LBB2105_81:                            ; =>This Inner Loop Header: Depth=1
	v_add_u32_e32 v5, s10, v2
	v_add_u32_e32 v9, s10, v3
	buffer_load_dword v14, v5, s[0:3], 0 offen offset:4
	buffer_load_dword v15, v9, s[0:3], 0 offen offset:60
	buffer_load_dword v16, v5, s[0:3], 0 offen
	buffer_load_dword v17, v9, s[0:3], 0 offen offset:64
	v_add_u32_e32 v5, s10, v4
	s_add_i32 s10, s10, 8
	s_cmp_lg_u32 s10, 16
	s_waitcnt vmcnt(1)
	v_add_u32_e32 v9, v15, v16
	s_waitcnt vmcnt(0)
	v_add_u32_e32 v14, v17, v14
	buffer_store_dword v14, v5, s[0:3], 0 offen offset:4
	buffer_store_dword v9, v5, s[0:3], 0 offen
	s_cbranch_scc1 .LBB2105_81
; %bb.82:
	buffer_load_dword v2, off, s[0:3], 0
	buffer_load_dword v3, off, s[0:3], 0 offset:4
	buffer_load_dword v4, off, s[0:3], 0 offset:8
	;; [unrolled: 1-line block ×3, first 2 shown]
.LBB2105_83:
	s_or_b64 exec, exec, s[4:5]
	buffer_load_ubyte v9, off, s[0:3], 0 offset:304
	s_waitcnt vmcnt(3)
	buffer_store_dword v3, off, s[0:3], 0 offset:180
	buffer_store_dword v2, off, s[0:3], 0 offset:176
	s_waitcnt vmcnt(3)
	buffer_store_dword v5, off, s[0:3], 0 offset:188
	buffer_store_dword v4, off, s[0:3], 0 offset:184
                                        ; implicit-def: $vgpr4_vgpr5
                                        ; implicit-def: $vgpr2_vgpr3
	s_waitcnt vmcnt(4)
	v_cmp_ne_u16_e32 vcc, 0, v9
	s_and_saveexec_b64 s[4:5], vcc
	s_xor_b64 s[4:5], exec, s[4:5]
	s_cbranch_execz .LBB2105_85
; %bb.84:
	buffer_load_dword v2, off, s[0:3], 0 offset:288
	buffer_load_dword v3, off, s[0:3], 0 offset:292
	;; [unrolled: 1-line block ×4, first 2 shown]
.LBB2105_85:
	s_andn2_saveexec_b64 s[4:5], s[4:5]
	s_cbranch_execz .LBB2105_91
; %bb.86:
	s_mov_b32 s10, 0
	s_waitcnt vmcnt(3)
	v_mov_b32_e32 v2, 0
	s_waitcnt vmcnt(2)
	v_mov_b32_e32 v3, 0
	s_waitcnt vmcnt(0)
.LBB2105_87:                            ; =>This Inner Loop Header: Depth=1
	v_add_u32_e32 v4, s10, v2
	s_add_i32 s10, s10, 8
	s_cmp_lg_u32 s10, 16
	buffer_store_dword v3, v4, s[0:3], 0 offen offset:4
	buffer_store_dword v3, v4, s[0:3], 0 offen
	s_cbranch_scc1 .LBB2105_87
; %bb.88:
	s_mov_b32 s10, 0
	v_mov_b32_e32 v2, 0xb0
	v_mov_b32_e32 v3, 0xd0
	;; [unrolled: 1-line block ×3, first 2 shown]
.LBB2105_89:                            ; =>This Inner Loop Header: Depth=1
	v_add_u32_e32 v5, s10, v2
	v_add_u32_e32 v14, s10, v3
	buffer_load_dword v15, v5, s[0:3], 0 offen offset:4
	buffer_load_dword v16, v14, s[0:3], 0 offen offset:80
	buffer_load_dword v17, v5, s[0:3], 0 offen
	buffer_load_dword v18, v14, s[0:3], 0 offen offset:84
	v_add_u32_e32 v5, s10, v4
	s_add_i32 s10, s10, 8
	s_cmp_lg_u32 s10, 16
	s_waitcnt vmcnt(1)
	v_add_u32_e32 v14, v16, v17
	s_waitcnt vmcnt(0)
	v_add_u32_e32 v15, v18, v15
	buffer_store_dword v15, v5, s[0:3], 0 offen offset:4
	buffer_store_dword v14, v5, s[0:3], 0 offen
	s_cbranch_scc1 .LBB2105_89
; %bb.90:
	buffer_load_dword v2, off, s[0:3], 0
	buffer_load_dword v3, off, s[0:3], 0 offset:4
	buffer_load_dword v4, off, s[0:3], 0 offset:8
	;; [unrolled: 1-line block ×3, first 2 shown]
.LBB2105_91:
	s_or_b64 exec, exec, s[4:5]
	v_or_b32_e32 v8, v9, v8
	v_or_b32_e32 v7, v8, v7
	;; [unrolled: 1-line block ×4, first 2 shown]
	v_and_b32_e32 v1, 1, v1
	buffer_store_byte v1, off, s[0:3], 0 offset:192
	buffer_load_dword v6, off, s[0:3], 0 offset:192
	v_mbcnt_lo_u32_b32 v1, -1, 0
	s_waitcnt vmcnt(5)
	v_mov_b32_dpp v7, v2 row_shr:1 row_mask:0xf bank_mask:0xf
	v_mbcnt_hi_u32_b32 v1, -1, v1
	s_waitcnt vmcnt(4)
	buffer_store_dword v3, off, s[0:3], 0 offset:180
	buffer_store_dword v2, off, s[0:3], 0 offset:176
	s_waitcnt vmcnt(4)
	buffer_store_dword v5, off, s[0:3], 0 offset:188
	buffer_store_dword v4, off, s[0:3], 0 offset:184
	v_mov_b32_dpp v8, v3 row_shr:1 row_mask:0xf bank_mask:0xf
	v_mov_b32_dpp v9, v4 row_shr:1 row_mask:0xf bank_mask:0xf
	;; [unrolled: 1-line block ×3, first 2 shown]
	buffer_store_dword v7, off, s[0:3], 0
	buffer_store_dword v8, off, s[0:3], 0 offset:4
	buffer_store_dword v9, off, s[0:3], 0 offset:8
	;; [unrolled: 1-line block ×3, first 2 shown]
	v_and_b32_e32 v7, 15, v1
	v_cmp_ne_u32_e32 vcc, 0, v7
	s_waitcnt vmcnt(8)
	v_mov_b32_dpp v8, v6 row_shr:1 row_mask:0xf bank_mask:0xf
	buffer_store_dword v8, off, s[0:3], 0 offset:16
	s_and_saveexec_b64 s[4:5], vcc
	s_xor_b64 s[4:5], exec, s[4:5]
	s_cbranch_execz .LBB2105_99
; %bb.92:
	v_mov_b32_e32 v9, 0
	v_cmp_eq_u16_sdwa s[12:13], v6, v9 src0_sel:BYTE_0 src1_sel:DWORD
	s_and_saveexec_b64 s[10:11], s[12:13]
	s_cbranch_execz .LBB2105_98
; %bb.93:
	s_mov_b32 s12, 0
	v_mov_b32_e32 v2, 0x60
.LBB2105_94:                            ; =>This Inner Loop Header: Depth=1
	v_add_u32_e32 v3, s12, v2
	s_add_i32 s12, s12, 8
	s_cmp_lg_u32 s12, 16
	buffer_store_dword v9, v3, s[0:3], 0 offen offset:4
	buffer_store_dword v9, v3, s[0:3], 0 offen
	s_cbranch_scc1 .LBB2105_94
; %bb.95:
	s_mov_b32 s12, 0
	v_mov_b32_e32 v2, 0
	v_mov_b32_e32 v3, 0xb0
	;; [unrolled: 1-line block ×3, first 2 shown]
.LBB2105_96:                            ; =>This Inner Loop Header: Depth=1
	v_add_u32_e32 v5, s12, v2
	v_add_u32_e32 v9, s12, v3
	buffer_load_dword v14, v5, s[0:3], 0 offen offset:4
	buffer_load_dword v15, v9, s[0:3], 0 offen
	buffer_load_dword v16, v5, s[0:3], 0 offen
	buffer_load_dword v17, v9, s[0:3], 0 offen offset:4
                                        ; kill: killed $vgpr5
	v_add_u32_e32 v5, s12, v4
	s_add_i32 s12, s12, 8
	s_cmp_lg_u32 s12, 16
                                        ; kill: killed $vgpr9
	s_waitcnt vmcnt(1)
	v_add_u32_e32 v9, v15, v16
	s_waitcnt vmcnt(0)
	v_add_u32_e32 v14, v17, v14
	buffer_store_dword v14, v5, s[0:3], 0 offen offset:4
	buffer_store_dword v9, v5, s[0:3], 0 offen
	s_cbranch_scc1 .LBB2105_96
; %bb.97:
	buffer_load_dword v2, off, s[0:3], 0 offset:96
	buffer_load_dword v3, off, s[0:3], 0 offset:100
	;; [unrolled: 1-line block ×4, first 2 shown]
.LBB2105_98:
	s_or_b64 exec, exec, s[10:11]
	v_or_b32_e32 v6, v8, v6
	v_and_b32_e32 v6, 1, v6
	buffer_store_byte v6, off, s[0:3], 0 offset:192
	buffer_load_dword v6, off, s[0:3], 0 offset:192
	s_waitcnt vmcnt(4)
	buffer_store_dword v3, off, s[0:3], 0 offset:180
	buffer_store_dword v2, off, s[0:3], 0 offset:176
	s_waitcnt vmcnt(4)
	buffer_store_dword v5, off, s[0:3], 0 offset:188
	buffer_store_dword v4, off, s[0:3], 0 offset:184
.LBB2105_99:
	s_or_b64 exec, exec, s[4:5]
	v_mov_b32_dpp v9, v2 row_shr:2 row_mask:0xf bank_mask:0xf
	s_waitcnt vmcnt(4)
	v_mov_b32_dpp v8, v6 row_shr:2 row_mask:0xf bank_mask:0xf
	v_cmp_lt_u32_e32 vcc, 1, v7
	v_mov_b32_dpp v14, v3 row_shr:2 row_mask:0xf bank_mask:0xf
	v_mov_b32_dpp v15, v4 row_shr:2 row_mask:0xf bank_mask:0xf
	;; [unrolled: 1-line block ×3, first 2 shown]
	buffer_store_dword v9, off, s[0:3], 0
	buffer_store_dword v14, off, s[0:3], 0 offset:4
	buffer_store_dword v15, off, s[0:3], 0 offset:8
	;; [unrolled: 1-line block ×4, first 2 shown]
	s_and_saveexec_b64 s[10:11], vcc
	s_cbranch_execz .LBB2105_107
; %bb.100:
	v_mov_b32_e32 v9, 0
	s_mov_b32 s12, 0
	v_cmp_eq_u16_sdwa s[14:15], v6, v9 src0_sel:BYTE_0 src1_sel:DWORD
	s_and_saveexec_b64 s[4:5], s[14:15]
	s_cbranch_execz .LBB2105_106
; %bb.101:
	v_mov_b32_e32 v2, 0x60
.LBB2105_102:                           ; =>This Inner Loop Header: Depth=1
	v_add_u32_e32 v3, s12, v2
	s_add_i32 s12, s12, 8
	s_cmp_lg_u32 s12, 16
	buffer_store_dword v9, v3, s[0:3], 0 offen offset:4
	buffer_store_dword v9, v3, s[0:3], 0 offen
	s_cbranch_scc1 .LBB2105_102
; %bb.103:
	s_mov_b32 s12, 0
	v_mov_b32_e32 v2, 0
	v_mov_b32_e32 v3, 0xb0
	v_mov_b32_e32 v4, 0x60
.LBB2105_104:                           ; =>This Inner Loop Header: Depth=1
	v_add_u32_e32 v5, s12, v2
	v_add_u32_e32 v9, s12, v3
	buffer_load_dword v14, v5, s[0:3], 0 offen offset:4
	buffer_load_dword v15, v9, s[0:3], 0 offen
	buffer_load_dword v16, v5, s[0:3], 0 offen
	buffer_load_dword v17, v9, s[0:3], 0 offen offset:4
                                        ; kill: killed $vgpr5
	v_add_u32_e32 v5, s12, v4
	s_add_i32 s12, s12, 8
	s_cmp_lg_u32 s12, 16
                                        ; kill: killed $vgpr9
	s_waitcnt vmcnt(1)
	v_add_u32_e32 v9, v15, v16
	s_waitcnt vmcnt(0)
	v_add_u32_e32 v14, v17, v14
	buffer_store_dword v14, v5, s[0:3], 0 offen offset:4
	buffer_store_dword v9, v5, s[0:3], 0 offen
	s_cbranch_scc1 .LBB2105_104
; %bb.105:
	buffer_load_dword v2, off, s[0:3], 0 offset:96
	buffer_load_dword v3, off, s[0:3], 0 offset:100
	;; [unrolled: 1-line block ×4, first 2 shown]
.LBB2105_106:
	s_or_b64 exec, exec, s[4:5]
	v_and_b32_e32 v6, 1, v6
	v_cmp_eq_u32_e32 vcc, 1, v6
	v_and_b32_e32 v6, 1, v8
	v_cmp_eq_u32_e64 s[4:5], 1, v6
	s_or_b64 s[4:5], vcc, s[4:5]
	v_cndmask_b32_e64 v6, 0, 1, s[4:5]
	buffer_store_byte v6, off, s[0:3], 0 offset:192
	buffer_load_dword v6, off, s[0:3], 0 offset:192
	s_waitcnt vmcnt(4)
	buffer_store_dword v3, off, s[0:3], 0 offset:180
	buffer_store_dword v2, off, s[0:3], 0 offset:176
	s_waitcnt vmcnt(4)
	buffer_store_dword v5, off, s[0:3], 0 offset:188
	buffer_store_dword v4, off, s[0:3], 0 offset:184
.LBB2105_107:
	s_or_b64 exec, exec, s[10:11]
	v_mov_b32_dpp v9, v2 row_shr:4 row_mask:0xf bank_mask:0xf
	s_waitcnt vmcnt(4)
	v_mov_b32_dpp v8, v6 row_shr:4 row_mask:0xf bank_mask:0xf
	v_cmp_lt_u32_e32 vcc, 3, v7
	v_mov_b32_dpp v14, v3 row_shr:4 row_mask:0xf bank_mask:0xf
	v_mov_b32_dpp v15, v4 row_shr:4 row_mask:0xf bank_mask:0xf
	;; [unrolled: 1-line block ×3, first 2 shown]
	buffer_store_dword v9, off, s[0:3], 0
	buffer_store_dword v14, off, s[0:3], 0 offset:4
	buffer_store_dword v15, off, s[0:3], 0 offset:8
	;; [unrolled: 1-line block ×4, first 2 shown]
	s_and_saveexec_b64 s[10:11], vcc
	s_cbranch_execz .LBB2105_115
; %bb.108:
	v_mov_b32_e32 v9, 0
	s_mov_b32 s12, 0
	v_cmp_eq_u16_sdwa s[14:15], v6, v9 src0_sel:BYTE_0 src1_sel:DWORD
	s_and_saveexec_b64 s[4:5], s[14:15]
	s_cbranch_execz .LBB2105_114
; %bb.109:
	v_mov_b32_e32 v2, 0x60
.LBB2105_110:                           ; =>This Inner Loop Header: Depth=1
	v_add_u32_e32 v3, s12, v2
	s_add_i32 s12, s12, 8
	s_cmp_lg_u32 s12, 16
	buffer_store_dword v9, v3, s[0:3], 0 offen offset:4
	buffer_store_dword v9, v3, s[0:3], 0 offen
	s_cbranch_scc1 .LBB2105_110
; %bb.111:
	s_mov_b32 s12, 0
	v_mov_b32_e32 v2, 0
	v_mov_b32_e32 v3, 0xb0
	;; [unrolled: 1-line block ×3, first 2 shown]
.LBB2105_112:                           ; =>This Inner Loop Header: Depth=1
	v_add_u32_e32 v5, s12, v2
	v_add_u32_e32 v9, s12, v3
	buffer_load_dword v14, v5, s[0:3], 0 offen offset:4
	buffer_load_dword v15, v9, s[0:3], 0 offen
	buffer_load_dword v16, v5, s[0:3], 0 offen
	buffer_load_dword v17, v9, s[0:3], 0 offen offset:4
                                        ; kill: killed $vgpr5
	v_add_u32_e32 v5, s12, v4
	s_add_i32 s12, s12, 8
	s_cmp_lg_u32 s12, 16
                                        ; kill: killed $vgpr9
	s_waitcnt vmcnt(1)
	v_add_u32_e32 v9, v15, v16
	s_waitcnt vmcnt(0)
	v_add_u32_e32 v14, v17, v14
	buffer_store_dword v14, v5, s[0:3], 0 offen offset:4
	buffer_store_dword v9, v5, s[0:3], 0 offen
	s_cbranch_scc1 .LBB2105_112
; %bb.113:
	buffer_load_dword v2, off, s[0:3], 0 offset:96
	buffer_load_dword v3, off, s[0:3], 0 offset:100
	;; [unrolled: 1-line block ×4, first 2 shown]
.LBB2105_114:
	s_or_b64 exec, exec, s[4:5]
	v_and_b32_e32 v6, 1, v6
	v_cmp_eq_u32_e32 vcc, 1, v6
	v_and_b32_e32 v6, 1, v8
	v_cmp_eq_u32_e64 s[4:5], 1, v6
	s_or_b64 s[4:5], vcc, s[4:5]
	v_cndmask_b32_e64 v6, 0, 1, s[4:5]
	buffer_store_byte v6, off, s[0:3], 0 offset:192
	buffer_load_dword v6, off, s[0:3], 0 offset:192
	s_waitcnt vmcnt(4)
	buffer_store_dword v3, off, s[0:3], 0 offset:180
	buffer_store_dword v2, off, s[0:3], 0 offset:176
	s_waitcnt vmcnt(4)
	buffer_store_dword v5, off, s[0:3], 0 offset:188
	buffer_store_dword v4, off, s[0:3], 0 offset:184
.LBB2105_115:
	s_or_b64 exec, exec, s[10:11]
	v_mov_b32_dpp v9, v2 row_shr:8 row_mask:0xf bank_mask:0xf
	s_waitcnt vmcnt(4)
	v_mov_b32_dpp v8, v6 row_shr:8 row_mask:0xf bank_mask:0xf
	v_cmp_lt_u32_e32 vcc, 7, v7
	v_mov_b32_dpp v14, v3 row_shr:8 row_mask:0xf bank_mask:0xf
	v_mov_b32_dpp v15, v4 row_shr:8 row_mask:0xf bank_mask:0xf
	;; [unrolled: 1-line block ×3, first 2 shown]
	buffer_store_dword v9, off, s[0:3], 0
	buffer_store_dword v14, off, s[0:3], 0 offset:4
	buffer_store_dword v15, off, s[0:3], 0 offset:8
	;; [unrolled: 1-line block ×4, first 2 shown]
	s_and_saveexec_b64 s[10:11], vcc
	s_cbranch_execz .LBB2105_123
; %bb.116:
	v_mov_b32_e32 v7, 0
	s_mov_b32 s12, 0
	v_cmp_eq_u16_sdwa s[14:15], v6, v7 src0_sel:BYTE_0 src1_sel:DWORD
	s_and_saveexec_b64 s[4:5], s[14:15]
	s_cbranch_execz .LBB2105_122
; %bb.117:
	v_mov_b32_e32 v2, 0x60
.LBB2105_118:                           ; =>This Inner Loop Header: Depth=1
	v_add_u32_e32 v3, s12, v2
	s_add_i32 s12, s12, 8
	s_cmp_lg_u32 s12, 16
	buffer_store_dword v7, v3, s[0:3], 0 offen offset:4
	buffer_store_dword v7, v3, s[0:3], 0 offen
	s_cbranch_scc1 .LBB2105_118
; %bb.119:
	s_mov_b32 s12, 0
	v_mov_b32_e32 v2, 0
	v_mov_b32_e32 v3, 0xb0
	;; [unrolled: 1-line block ×3, first 2 shown]
.LBB2105_120:                           ; =>This Inner Loop Header: Depth=1
	v_add_u32_e32 v5, s12, v2
	v_add_u32_e32 v7, s12, v3
	buffer_load_dword v9, v5, s[0:3], 0 offen offset:4
	buffer_load_dword v14, v7, s[0:3], 0 offen
	buffer_load_dword v15, v5, s[0:3], 0 offen
	buffer_load_dword v16, v7, s[0:3], 0 offen offset:4
                                        ; kill: killed $vgpr5
	v_add_u32_e32 v5, s12, v4
	s_add_i32 s12, s12, 8
	s_cmp_lg_u32 s12, 16
                                        ; kill: killed $vgpr7
	s_waitcnt vmcnt(1)
	v_add_u32_e32 v7, v14, v15
	s_waitcnt vmcnt(0)
	v_add_u32_e32 v9, v16, v9
	buffer_store_dword v9, v5, s[0:3], 0 offen offset:4
	buffer_store_dword v7, v5, s[0:3], 0 offen
	s_cbranch_scc1 .LBB2105_120
; %bb.121:
	buffer_load_dword v2, off, s[0:3], 0 offset:96
	buffer_load_dword v3, off, s[0:3], 0 offset:100
	buffer_load_dword v4, off, s[0:3], 0 offset:104
	buffer_load_dword v5, off, s[0:3], 0 offset:108
.LBB2105_122:
	s_or_b64 exec, exec, s[4:5]
	v_and_b32_e32 v6, 1, v6
	v_cmp_eq_u32_e32 vcc, 1, v6
	v_and_b32_e32 v6, 1, v8
	v_cmp_eq_u32_e64 s[4:5], 1, v6
	s_or_b64 s[4:5], vcc, s[4:5]
	v_cndmask_b32_e64 v6, 0, 1, s[4:5]
	buffer_store_byte v6, off, s[0:3], 0 offset:192
	buffer_load_dword v6, off, s[0:3], 0 offset:192
	s_waitcnt vmcnt(4)
	buffer_store_dword v3, off, s[0:3], 0 offset:180
	buffer_store_dword v2, off, s[0:3], 0 offset:176
	s_waitcnt vmcnt(4)
	buffer_store_dword v5, off, s[0:3], 0 offset:188
	buffer_store_dword v4, off, s[0:3], 0 offset:184
.LBB2105_123:
	s_or_b64 exec, exec, s[10:11]
	v_mov_b32_dpp v8, v2 row_bcast:15 row_mask:0xf bank_mask:0xf
	v_mov_b32_dpp v9, v3 row_bcast:15 row_mask:0xf bank_mask:0xf
	;; [unrolled: 1-line block ×4, first 2 shown]
	s_waitcnt vmcnt(4)
	v_mov_b32_dpp v7, v6 row_bcast:15 row_mask:0xf bank_mask:0xf
	buffer_store_dword v8, off, s[0:3], 0
	buffer_store_dword v9, off, s[0:3], 0 offset:4
	buffer_store_dword v14, off, s[0:3], 0 offset:8
	;; [unrolled: 1-line block ×4, first 2 shown]
	v_and_b32_e32 v8, 16, v1
	v_cmp_ne_u32_e32 vcc, 0, v8
	s_and_saveexec_b64 s[10:11], vcc
	s_cbranch_execz .LBB2105_131
; %bb.124:
	v_mov_b32_e32 v8, 0
	s_mov_b32 s12, 0
	v_cmp_eq_u16_sdwa s[14:15], v6, v8 src0_sel:BYTE_0 src1_sel:DWORD
	s_and_saveexec_b64 s[4:5], s[14:15]
	s_cbranch_execz .LBB2105_130
; %bb.125:
	v_mov_b32_e32 v2, 0x60
.LBB2105_126:                           ; =>This Inner Loop Header: Depth=1
	v_add_u32_e32 v3, s12, v2
	s_add_i32 s12, s12, 8
	s_cmp_lg_u32 s12, 16
	buffer_store_dword v8, v3, s[0:3], 0 offen offset:4
	buffer_store_dword v8, v3, s[0:3], 0 offen
	s_cbranch_scc1 .LBB2105_126
; %bb.127:
	s_mov_b32 s12, 0
	v_mov_b32_e32 v2, 0
	v_mov_b32_e32 v3, 0xb0
	;; [unrolled: 1-line block ×3, first 2 shown]
.LBB2105_128:                           ; =>This Inner Loop Header: Depth=1
	v_add_u32_e32 v5, s12, v2
	v_add_u32_e32 v8, s12, v3
	buffer_load_dword v9, v5, s[0:3], 0 offen offset:4
	buffer_load_dword v14, v8, s[0:3], 0 offen
	buffer_load_dword v15, v5, s[0:3], 0 offen
	buffer_load_dword v16, v8, s[0:3], 0 offen offset:4
                                        ; kill: killed $vgpr5
	v_add_u32_e32 v5, s12, v4
	s_add_i32 s12, s12, 8
	s_cmp_lg_u32 s12, 16
                                        ; kill: killed $vgpr8
	s_waitcnt vmcnt(1)
	v_add_u32_e32 v8, v14, v15
	s_waitcnt vmcnt(0)
	v_add_u32_e32 v9, v16, v9
	buffer_store_dword v9, v5, s[0:3], 0 offen offset:4
	buffer_store_dword v8, v5, s[0:3], 0 offen
	s_cbranch_scc1 .LBB2105_128
; %bb.129:
	buffer_load_dword v2, off, s[0:3], 0 offset:96
	buffer_load_dword v3, off, s[0:3], 0 offset:100
	;; [unrolled: 1-line block ×4, first 2 shown]
.LBB2105_130:
	s_or_b64 exec, exec, s[4:5]
	v_and_b32_e32 v6, 1, v6
	v_cmp_eq_u32_e32 vcc, 1, v6
	v_and_b32_e32 v6, 1, v7
	v_cmp_eq_u32_e64 s[4:5], 1, v6
	s_or_b64 s[4:5], vcc, s[4:5]
	v_cndmask_b32_e64 v6, 0, 1, s[4:5]
	buffer_store_byte v6, off, s[0:3], 0 offset:192
	buffer_load_dword v6, off, s[0:3], 0 offset:192
	s_waitcnt vmcnt(4)
	buffer_store_dword v3, off, s[0:3], 0 offset:180
	buffer_store_dword v2, off, s[0:3], 0 offset:176
	s_waitcnt vmcnt(4)
	buffer_store_dword v5, off, s[0:3], 0 offset:188
	buffer_store_dword v4, off, s[0:3], 0 offset:184
.LBB2105_131:
	s_or_b64 exec, exec, s[10:11]
	v_mov_b32_dpp v8, v2 row_bcast:31 row_mask:0xf bank_mask:0xf
	s_waitcnt vmcnt(4)
	v_mov_b32_dpp v7, v6 row_bcast:31 row_mask:0xf bank_mask:0xf
	v_cmp_lt_u32_e32 vcc, 31, v1
	v_mov_b32_dpp v9, v3 row_bcast:31 row_mask:0xf bank_mask:0xf
	v_mov_b32_dpp v14, v4 row_bcast:31 row_mask:0xf bank_mask:0xf
	;; [unrolled: 1-line block ×3, first 2 shown]
	buffer_store_dword v8, off, s[0:3], 0
	buffer_store_dword v9, off, s[0:3], 0 offset:4
	buffer_store_dword v14, off, s[0:3], 0 offset:8
	;; [unrolled: 1-line block ×4, first 2 shown]
	s_and_saveexec_b64 s[10:11], vcc
	s_cbranch_execz .LBB2105_139
; %bb.132:
	v_mov_b32_e32 v8, 0
	s_mov_b32 s12, 0
	v_cmp_eq_u16_sdwa s[14:15], v6, v8 src0_sel:BYTE_0 src1_sel:DWORD
	s_and_saveexec_b64 s[4:5], s[14:15]
	s_cbranch_execz .LBB2105_138
; %bb.133:
	v_mov_b32_e32 v2, 0x60
.LBB2105_134:                           ; =>This Inner Loop Header: Depth=1
	v_add_u32_e32 v3, s12, v2
	s_add_i32 s12, s12, 8
	s_cmp_lg_u32 s12, 16
	buffer_store_dword v8, v3, s[0:3], 0 offen offset:4
	buffer_store_dword v8, v3, s[0:3], 0 offen
	s_cbranch_scc1 .LBB2105_134
; %bb.135:
	s_mov_b32 s12, 0
	v_mov_b32_e32 v2, 0
	v_mov_b32_e32 v3, 0xb0
	;; [unrolled: 1-line block ×3, first 2 shown]
.LBB2105_136:                           ; =>This Inner Loop Header: Depth=1
	v_add_u32_e32 v5, s12, v2
	v_add_u32_e32 v8, s12, v3
	buffer_load_dword v9, v5, s[0:3], 0 offen offset:4
	buffer_load_dword v14, v8, s[0:3], 0 offen
	buffer_load_dword v15, v5, s[0:3], 0 offen
	buffer_load_dword v16, v8, s[0:3], 0 offen offset:4
                                        ; kill: killed $vgpr5
	v_add_u32_e32 v5, s12, v4
	s_add_i32 s12, s12, 8
	s_cmp_lg_u32 s12, 16
                                        ; kill: killed $vgpr8
	s_waitcnt vmcnt(1)
	v_add_u32_e32 v8, v14, v15
	s_waitcnt vmcnt(0)
	v_add_u32_e32 v9, v16, v9
	buffer_store_dword v9, v5, s[0:3], 0 offen offset:4
	buffer_store_dword v8, v5, s[0:3], 0 offen
	s_cbranch_scc1 .LBB2105_136
; %bb.137:
	buffer_load_dword v2, off, s[0:3], 0 offset:96
	buffer_load_dword v3, off, s[0:3], 0 offset:100
	;; [unrolled: 1-line block ×4, first 2 shown]
.LBB2105_138:
	s_or_b64 exec, exec, s[4:5]
	v_and_b32_e32 v6, 1, v6
	v_cmp_eq_u32_e32 vcc, 1, v6
	v_and_b32_e32 v6, 1, v7
	v_cmp_eq_u32_e64 s[4:5], 1, v6
	s_or_b64 s[4:5], vcc, s[4:5]
	v_cndmask_b32_e64 v6, 0, 1, s[4:5]
	s_waitcnt vmcnt(2)
	buffer_store_dword v3, off, s[0:3], 0 offset:180
	buffer_store_dword v2, off, s[0:3], 0 offset:176
	s_waitcnt vmcnt(2)
	buffer_store_dword v5, off, s[0:3], 0 offset:188
	buffer_store_dword v4, off, s[0:3], 0 offset:184
	buffer_store_byte v6, off, s[0:3], 0 offset:192
.LBB2105_139:
	s_or_b64 exec, exec, s[10:11]
	v_or_b32_e32 v8, 63, v0
	v_lshrrev_b32_e32 v7, 6, v0
	v_cmp_eq_u32_e32 vcc, v8, v0
	s_and_saveexec_b64 s[4:5], vcc
	s_cbranch_execz .LBB2105_141
; %bb.140:
	v_mul_u32_u24_e32 v8, 20, v7
	ds_write2_b32 v8, v2, v3 offset1:1
	ds_write2_b32 v8, v4, v5 offset0:2 offset1:3
	ds_write_b8 v8, v6 offset:16
.LBB2105_141:
	s_or_b64 exec, exec, s[4:5]
	v_cmp_gt_u32_e32 vcc, 4, v0
	s_waitcnt lgkmcnt(0)
	s_barrier
	s_and_saveexec_b64 s[10:11], vcc
	s_cbranch_execz .LBB2105_159
; %bb.142:
	v_mul_u32_u24_e32 v6, 20, v0
	ds_read_b32 v8, v6 offset:16
	ds_read2_b32 v[2:3], v6 offset0:2 offset1:3
	ds_read2_b32 v[4:5], v6 offset1:1
	v_and_b32_e32 v9, 3, v1
	v_cmp_ne_u32_e32 vcc, 0, v9
	s_waitcnt lgkmcnt(2)
	v_mov_b32_dpp v14, v8 row_shr:1 row_mask:0xf bank_mask:0xf
	s_waitcnt lgkmcnt(1)
	v_mov_b32_dpp v17, v2 row_shr:1 row_mask:0xf bank_mask:0xf
	s_waitcnt lgkmcnt(0)
	v_mov_b32_dpp v15, v4 row_shr:1 row_mask:0xf bank_mask:0xf
	buffer_store_dword v8, off, s[0:3], 0 offset:112
	buffer_store_dword v3, off, s[0:3], 0 offset:108
	;; [unrolled: 1-line block ×5, first 2 shown]
	v_mov_b32_dpp v16, v5 row_shr:1 row_mask:0xf bank_mask:0xf
	v_mov_b32_dpp v18, v3 row_shr:1 row_mask:0xf bank_mask:0xf
	buffer_store_dword v15, off, s[0:3], 0
	buffer_store_dword v16, off, s[0:3], 0 offset:4
	buffer_store_dword v17, off, s[0:3], 0 offset:8
	;; [unrolled: 1-line block ×4, first 2 shown]
	s_and_saveexec_b64 s[4:5], vcc
	s_cbranch_execz .LBB2105_150
; %bb.143:
	v_mov_b32_e32 v15, 0
	v_cmp_eq_u16_sdwa s[14:15], v8, v15 src0_sel:BYTE_0 src1_sel:DWORD
	s_and_saveexec_b64 s[12:13], s[14:15]
	s_cbranch_execz .LBB2105_149
; %bb.144:
	s_mov_b32 s14, 0
	v_mov_b32_e32 v2, 0x74
.LBB2105_145:                           ; =>This Inner Loop Header: Depth=1
	v_add_u32_e32 v3, s14, v2
	s_add_i32 s14, s14, 8
	s_cmp_lg_u32 s14, 16
	buffer_store_dword v15, v3, s[0:3], 0 offen offset:4
	buffer_store_dword v15, v3, s[0:3], 0 offen
	s_cbranch_scc1 .LBB2105_145
; %bb.146:
	s_mov_b32 s14, 0
	v_mov_b32_e32 v2, 0
	v_mov_b32_e32 v3, 0x60
	;; [unrolled: 1-line block ×3, first 2 shown]
.LBB2105_147:                           ; =>This Inner Loop Header: Depth=1
	v_add_u32_e32 v5, s14, v2
	v_add_u32_e32 v15, s14, v3
	buffer_load_dword v16, v5, s[0:3], 0 offen offset:4
	buffer_load_dword v17, v15, s[0:3], 0 offen
	buffer_load_dword v18, v5, s[0:3], 0 offen
	buffer_load_dword v19, v15, s[0:3], 0 offen offset:4
                                        ; kill: killed $vgpr5
	v_add_u32_e32 v5, s14, v4
	s_add_i32 s14, s14, 8
	s_cmp_lg_u32 s14, 16
                                        ; kill: killed $vgpr15
	s_waitcnt vmcnt(1)
	v_add_u32_e32 v15, v17, v18
	s_waitcnt vmcnt(0)
	v_add_u32_e32 v16, v19, v16
	buffer_store_dword v16, v5, s[0:3], 0 offen offset:4
	buffer_store_dword v15, v5, s[0:3], 0 offen
	s_cbranch_scc1 .LBB2105_147
; %bb.148:
	buffer_load_dword v4, off, s[0:3], 0 offset:116
	buffer_load_dword v5, off, s[0:3], 0 offset:120
	;; [unrolled: 1-line block ×4, first 2 shown]
.LBB2105_149:
	s_or_b64 exec, exec, s[12:13]
	v_or_b32_e32 v8, v14, v8
	v_and_b32_e32 v8, 1, v8
	buffer_store_byte v8, off, s[0:3], 0 offset:112
	buffer_load_dword v8, off, s[0:3], 0 offset:112
	s_waitcnt vmcnt(4)
	buffer_store_dword v5, off, s[0:3], 0 offset:100
	buffer_store_dword v4, off, s[0:3], 0 offset:96
	s_waitcnt vmcnt(4)
	buffer_store_dword v3, off, s[0:3], 0 offset:108
	buffer_store_dword v2, off, s[0:3], 0 offset:104
.LBB2105_150:
	s_or_b64 exec, exec, s[4:5]
	v_mov_b32_dpp v15, v4 row_shr:2 row_mask:0xf bank_mask:0xf
	s_waitcnt vmcnt(4)
	v_mov_b32_dpp v14, v8 row_shr:2 row_mask:0xf bank_mask:0xf
	v_cmp_lt_u32_e32 vcc, 1, v9
	v_mov_b32_dpp v16, v5 row_shr:2 row_mask:0xf bank_mask:0xf
	v_mov_b32_dpp v17, v2 row_shr:2 row_mask:0xf bank_mask:0xf
	;; [unrolled: 1-line block ×3, first 2 shown]
	buffer_store_dword v15, off, s[0:3], 0
	buffer_store_dword v16, off, s[0:3], 0 offset:4
	buffer_store_dword v17, off, s[0:3], 0 offset:8
	;; [unrolled: 1-line block ×4, first 2 shown]
	s_and_saveexec_b64 s[12:13], vcc
	s_cbranch_execz .LBB2105_158
; %bb.151:
	v_mov_b32_e32 v9, 0
	s_mov_b32 s14, 0
	v_cmp_eq_u16_sdwa s[16:17], v8, v9 src0_sel:BYTE_0 src1_sel:DWORD
	s_and_saveexec_b64 s[4:5], s[16:17]
	s_cbranch_execz .LBB2105_157
; %bb.152:
	v_mov_b32_e32 v2, 0x74
.LBB2105_153:                           ; =>This Inner Loop Header: Depth=1
	v_add_u32_e32 v3, s14, v2
	s_add_i32 s14, s14, 8
	s_cmp_lg_u32 s14, 16
	buffer_store_dword v9, v3, s[0:3], 0 offen offset:4
	buffer_store_dword v9, v3, s[0:3], 0 offen
	s_cbranch_scc1 .LBB2105_153
; %bb.154:
	s_mov_b32 s14, 0
	v_mov_b32_e32 v2, 0
	v_mov_b32_e32 v3, 0x60
	;; [unrolled: 1-line block ×3, first 2 shown]
.LBB2105_155:                           ; =>This Inner Loop Header: Depth=1
	v_add_u32_e32 v5, s14, v2
	v_add_u32_e32 v9, s14, v3
	buffer_load_dword v15, v5, s[0:3], 0 offen offset:4
	buffer_load_dword v16, v9, s[0:3], 0 offen
	buffer_load_dword v17, v5, s[0:3], 0 offen
	buffer_load_dword v18, v9, s[0:3], 0 offen offset:4
                                        ; kill: killed $vgpr5
	v_add_u32_e32 v5, s14, v4
	s_add_i32 s14, s14, 8
	s_cmp_lg_u32 s14, 16
                                        ; kill: killed $vgpr9
	s_waitcnt vmcnt(1)
	v_add_u32_e32 v9, v16, v17
	s_waitcnt vmcnt(0)
	v_add_u32_e32 v15, v18, v15
	buffer_store_dword v15, v5, s[0:3], 0 offen offset:4
	buffer_store_dword v9, v5, s[0:3], 0 offen
	s_cbranch_scc1 .LBB2105_155
; %bb.156:
	buffer_load_dword v4, off, s[0:3], 0 offset:116
	buffer_load_dword v5, off, s[0:3], 0 offset:120
	;; [unrolled: 1-line block ×4, first 2 shown]
.LBB2105_157:
	s_or_b64 exec, exec, s[4:5]
	v_and_b32_e32 v8, 1, v8
	v_cmp_eq_u32_e32 vcc, 1, v8
	v_and_b32_e32 v8, 1, v14
	v_cmp_eq_u32_e64 s[4:5], 1, v8
	s_or_b64 s[4:5], vcc, s[4:5]
	v_cndmask_b32_e64 v8, 0, 1, s[4:5]
	s_waitcnt vmcnt(2)
	buffer_store_dword v5, off, s[0:3], 0 offset:100
	buffer_store_dword v4, off, s[0:3], 0 offset:96
	s_waitcnt vmcnt(2)
	buffer_store_dword v3, off, s[0:3], 0 offset:108
	buffer_store_dword v2, off, s[0:3], 0 offset:104
.LBB2105_158:
	s_or_b64 exec, exec, s[12:13]
	buffer_load_dword v2, off, s[0:3], 0 offset:104
	buffer_load_dword v3, off, s[0:3], 0 offset:108
	;; [unrolled: 1-line block ×4, first 2 shown]
	s_waitcnt vmcnt(2)
	ds_write2_b32 v6, v2, v3 offset0:2 offset1:3
	s_waitcnt vmcnt(0)
	ds_write2_b32 v6, v4, v5 offset1:1
	ds_write_b8 v6, v8 offset:16
.LBB2105_159:
	s_or_b64 exec, exec, s[10:11]
	v_mov_b32_e32 v2, 0
	s_mov_b32 s4, 0
	v_mov_b32_e32 v3, 0
	s_waitcnt lgkmcnt(0)
	s_barrier
	buffer_store_dword v2, off, s[0:3], 0 offset:12
	buffer_store_dword v2, off, s[0:3], 0 offset:8
	;; [unrolled: 1-line block ×3, first 2 shown]
	buffer_store_dword v2, off, s[0:3], 0
	buffer_store_dword v2, off, s[0:3], 0 offset:16
.LBB2105_160:                           ; =>This Inner Loop Header: Depth=1
	v_add_u32_e32 v4, s4, v3
	s_add_i32 s4, s4, 8
	s_cmp_lg_u32 s4, 16
	buffer_store_dword v2, v4, s[0:3], 0 offen offset:4
	buffer_store_dword v2, v4, s[0:3], 0 offen
	s_cbranch_scc1 .LBB2105_160
; %bb.161:
	v_cmp_gt_u32_e32 vcc, 64, v0
	v_cmp_lt_u32_e64 s[4:5], 63, v0
                                        ; implicit-def: $vgpr2_vgpr3
                                        ; implicit-def: $vgpr4_vgpr5
                                        ; implicit-def: $vgpr6
	s_and_saveexec_b64 s[10:11], s[4:5]
	s_xor_b64 s[10:11], exec, s[10:11]
	s_cbranch_execz .LBB2105_171
; %bb.162:
	buffer_load_ubyte v8, off, s[0:3], 0 offset:192
	v_not_b32_e32 v2, 19
	v_mad_u32_u24 v4, v7, 20, v2
	ds_read2_b32 v[2:3], v4 offset0:2 offset1:3
	ds_read_u8 v6, v4 offset:16
	ds_read2_b32 v[4:5], v4 offset1:1
	s_waitcnt lgkmcnt(2)
	buffer_store_dword v3, off, s[0:3], 0 offset:12
	buffer_store_dword v2, off, s[0:3], 0 offset:8
	s_waitcnt lgkmcnt(0)
	buffer_store_dword v5, off, s[0:3], 0 offset:4
	buffer_store_dword v4, off, s[0:3], 0
                                        ; implicit-def: $vgpr2_vgpr3
                                        ; implicit-def: $vgpr4_vgpr5
	s_waitcnt vmcnt(4)
	v_cmp_ne_u16_e64 s[4:5], 0, v8
	s_and_saveexec_b64 s[12:13], s[4:5]
	s_xor_b64 s[4:5], exec, s[12:13]
	s_cbranch_execz .LBB2105_164
; %bb.163:
	buffer_load_dword v2, off, s[0:3], 0 offset:176
	buffer_load_dword v3, off, s[0:3], 0 offset:180
	;; [unrolled: 1-line block ×4, first 2 shown]
.LBB2105_164:
	s_andn2_saveexec_b64 s[4:5], s[4:5]
	s_cbranch_execz .LBB2105_170
; %bb.165:
	s_mov_b32 s12, 0
	s_waitcnt vmcnt(3)
	v_mov_b32_e32 v2, 0x60
	s_waitcnt vmcnt(2)
	v_mov_b32_e32 v3, 0
	s_waitcnt vmcnt(0)
.LBB2105_166:                           ; =>This Inner Loop Header: Depth=1
	v_add_u32_e32 v4, s12, v2
	s_add_i32 s12, s12, 8
	s_cmp_lg_u32 s12, 16
	buffer_store_dword v3, v4, s[0:3], 0 offen offset:4
	buffer_store_dword v3, v4, s[0:3], 0 offen
	s_cbranch_scc1 .LBB2105_166
; %bb.167:
	s_mov_b32 s12, 0
	v_mov_b32_e32 v2, 0
	v_mov_b32_e32 v3, 0xb0
	;; [unrolled: 1-line block ×3, first 2 shown]
.LBB2105_168:                           ; =>This Inner Loop Header: Depth=1
	v_add_u32_e32 v5, s12, v2
	v_add_u32_e32 v7, s12, v3
	buffer_load_dword v9, v5, s[0:3], 0 offen offset:4
	buffer_load_dword v14, v7, s[0:3], 0 offen
	buffer_load_dword v15, v5, s[0:3], 0 offen
	buffer_load_dword v16, v7, s[0:3], 0 offen offset:4
                                        ; kill: killed $vgpr5
	v_add_u32_e32 v5, s12, v4
	s_add_i32 s12, s12, 8
	s_cmp_lg_u32 s12, 16
                                        ; kill: killed $vgpr7
	s_waitcnt vmcnt(1)
	v_add_u32_e32 v7, v14, v15
	s_waitcnt vmcnt(0)
	v_add_u32_e32 v9, v16, v9
	buffer_store_dword v9, v5, s[0:3], 0 offen offset:4
	buffer_store_dword v7, v5, s[0:3], 0 offen
	s_cbranch_scc1 .LBB2105_168
; %bb.169:
	buffer_load_dword v2, off, s[0:3], 0 offset:96
	buffer_load_dword v3, off, s[0:3], 0 offset:100
	;; [unrolled: 1-line block ×4, first 2 shown]
.LBB2105_170:
	s_or_b64 exec, exec, s[4:5]
	v_or_b32_e32 v7, v8, v6
	v_and_b32_e32 v7, 1, v7
	buffer_store_byte v7, off, s[0:3], 0 offset:192
.LBB2105_171:
	s_andn2_saveexec_b64 s[4:5], s[10:11]
	s_cbranch_execz .LBB2105_173
; %bb.172:
	buffer_load_dword v2, off, s[0:3], 0 offset:176
	buffer_load_dword v3, off, s[0:3], 0 offset:180
	buffer_load_dword v4, off, s[0:3], 0 offset:184
	buffer_load_dword v5, off, s[0:3], 0 offset:188
	v_mov_b32_e32 v6, 0
.LBB2105_173:
	s_or_b64 exec, exec, s[4:5]
	buffer_load_dword v7, off, s[0:3], 0 offset:192
	v_add_u32_e32 v8, -1, v1
	v_and_b32_e32 v9, 64, v1
	v_cmp_lt_i32_e64 s[4:5], v8, v9
	v_cndmask_b32_e64 v8, v8, v1, s[4:5]
	v_lshlrev_b32_e32 v8, 2, v8
	s_waitcnt vmcnt(4)
	ds_bpermute_b32 v2, v8, v2
	s_waitcnt vmcnt(3)
	ds_bpermute_b32 v3, v8, v3
	;; [unrolled: 2-line block ×4, first 2 shown]
	v_cmp_eq_u32_e64 s[10:11], 0, v1
	s_waitcnt vmcnt(0)
	ds_bpermute_b32 v7, v8, v7
	s_waitcnt lgkmcnt(4)
	buffer_store_dword v2, off, s[0:3], 0 offset:176
	s_waitcnt lgkmcnt(3)
	buffer_store_dword v3, off, s[0:3], 0 offset:180
	;; [unrolled: 2-line block ×4, first 2 shown]
	s_waitcnt lgkmcnt(0)
	buffer_store_byte v7, off, s[0:3], 0 offset:192
	s_and_saveexec_b64 s[4:5], s[10:11]
	s_cbranch_execz .LBB2105_175
; %bb.174:
	buffer_load_dword v2, off, s[0:3], 0 offset:12
	buffer_load_dword v3, off, s[0:3], 0 offset:8
	;; [unrolled: 1-line block ×3, first 2 shown]
	buffer_load_dword v5, off, s[0:3], 0
	s_waitcnt vmcnt(3)
	buffer_store_dword v2, off, s[0:3], 0 offset:188
	s_waitcnt vmcnt(3)
	buffer_store_dword v3, off, s[0:3], 0 offset:184
	;; [unrolled: 2-line block ×4, first 2 shown]
	buffer_store_byte v6, off, s[0:3], 0 offset:192
.LBB2105_175:
	s_or_b64 exec, exec, s[4:5]
	s_and_saveexec_b64 s[12:13], vcc
	s_cbranch_execz .LBB2105_316
; %bb.176:
	v_mov_b32_e32 v6, 0
	ds_read2_b32 v[2:3], v6 offset0:15 offset1:16
	ds_read2_b32 v[4:5], v6 offset0:17 offset1:18
	ds_read_b32 v7, v6 offset:76
	s_waitcnt lgkmcnt(2)
	buffer_store_dword v3, off, s[0:3], 0 offset:160
	buffer_store_dword v2, off, s[0:3], 0 offset:156
	s_waitcnt lgkmcnt(1)
	buffer_store_dword v5, off, s[0:3], 0 offset:168
	buffer_store_dword v4, off, s[0:3], 0 offset:164
	s_waitcnt lgkmcnt(0)
	buffer_store_dword v7, off, s[0:3], 0 offset:172
	s_and_saveexec_b64 s[4:5], s[10:11]
	s_cbranch_execz .LBB2105_178
; %bb.177:
	s_add_i32 s16, s33, 64
	s_mul_i32 s14, s16, 20
	s_mul_hi_u32 s15, s16, 20
	s_add_u32 s14, s20, s14
	s_addc_u32 s15, s21, s15
	global_store_dwordx4 v6, v[2:5], s[14:15]
	global_store_byte v6, v7, s[14:15] offset:16
	v_mov_b32_e32 v2, s16
	v_mov_b32_e32 v3, 1
	s_waitcnt vmcnt(0)
	buffer_wbinvl1_vol
	global_store_byte v2, v3, s[24:25]
.LBB2105_178:
	s_or_b64 exec, exec, s[4:5]
	s_mov_b32 s4, 0
	v_mov_b32_e32 v2, 0x88
	buffer_store_dword v6, off, s[0:3], 0 offset:148
	buffer_store_dword v6, off, s[0:3], 0 offset:144
	;; [unrolled: 1-line block ×5, first 2 shown]
.LBB2105_179:                           ; =>This Inner Loop Header: Depth=1
	v_add_u32_e32 v3, s4, v2
	s_add_i32 s4, s4, 8
	s_cmp_lg_u32 s4, 16
	buffer_store_dword v6, v3, s[0:3], 0 offen offset:4
	buffer_store_dword v6, v3, s[0:3], 0 offen
	s_cbranch_scc1 .LBB2105_179
; %bb.180:
	s_mov_b32 s4, 0
	v_mov_b32_e32 v2, 0
	v_mov_b32_e32 v3, 0x60
	buffer_store_byte v2, off, s[0:3], 0 offset:152
	buffer_store_dword v2, off, s[0:3], 0 offset:108
	buffer_store_dword v2, off, s[0:3], 0 offset:104
	;; [unrolled: 1-line block ×5, first 2 shown]
.LBB2105_181:                           ; =>This Inner Loop Header: Depth=1
	v_add_u32_e32 v4, s4, v3
	s_add_i32 s4, s4, 8
	s_cmp_lg_u32 s4, 16
	buffer_store_dword v2, v4, s[0:3], 0 offen offset:4
	buffer_store_dword v2, v4, s[0:3], 0 offen
	s_cbranch_scc1 .LBB2105_181
; %bb.182:
	v_xad_u32 v6, v1, -1, s33
	v_mov_b32_e32 v2, 0
	buffer_store_byte v2, off, s[0:3], 0 offset:112
	v_add_u32_e32 v2, 64, v6
	global_load_ubyte v7, v2, s[24:25] glc
	s_waitcnt vmcnt(0)
	v_cmp_eq_u16_e32 vcc, 0, v7
	s_and_saveexec_b64 s[4:5], vcc
	s_cbranch_execz .LBB2105_186
; %bb.183:
	v_mov_b32_e32 v3, s25
	v_add_co_u32_e32 v4, vcc, s24, v2
	v_addc_co_u32_e32 v5, vcc, 0, v3, vcc
	s_mov_b64 s[14:15], 0
.LBB2105_184:                           ; =>This Inner Loop Header: Depth=1
	global_load_ubyte v7, v[4:5], off glc
	s_waitcnt vmcnt(0)
	v_cmp_ne_u16_e32 vcc, 0, v7
	s_or_b64 s[14:15], vcc, s[14:15]
	s_andn2_b64 exec, exec, s[14:15]
	s_cbranch_execnz .LBB2105_184
; %bb.185:
	s_or_b64 exec, exec, s[14:15]
.LBB2105_186:
	s_or_b64 exec, exec, s[4:5]
	v_mov_b32_e32 v3, s23
	v_mov_b32_e32 v4, s21
	v_cmp_eq_u16_e32 vcc, 1, v7
	v_cndmask_b32_e32 v5, v3, v4, vcc
	v_mov_b32_e32 v3, s22
	v_mov_b32_e32 v4, s20
	v_cndmask_b32_e32 v4, v3, v4, vcc
	v_mad_u64_u32 v[8:9], s[4:5], v2, 20, v[4:5]
	buffer_wbinvl1_vol
	global_load_dwordx4 v[2:5], v[8:9], off
	global_load_ubyte v14, v[8:9], off offset:16
                                        ; kill: killed $vgpr8_vgpr9
	v_mov_b32_e32 v8, 0
	s_mov_b32 s4, 0
	v_mov_b32_e32 v9, 0
	buffer_store_dword v8, off, s[0:3], 0 offset:16
	s_waitcnt vmcnt(2)
	buffer_store_dword v5, off, s[0:3], 0 offset:108
	buffer_store_dword v4, off, s[0:3], 0 offset:104
	;; [unrolled: 1-line block ×4, first 2 shown]
	s_waitcnt vmcnt(5)
	buffer_store_byte v14, off, s[0:3], 0 offset:112
	buffer_store_dword v3, off, s[0:3], 0 offset:140
	buffer_store_dword v2, off, s[0:3], 0 offset:136
	;; [unrolled: 1-line block ×4, first 2 shown]
	buffer_store_byte v14, off, s[0:3], 0 offset:152
.LBB2105_187:                           ; =>This Inner Loop Header: Depth=1
	v_add_u32_e32 v14, s4, v9
	s_add_i32 s4, s4, 8
	s_cmp_lg_u32 s4, 16
	buffer_store_dword v8, v14, s[0:3], 0 offen offset:4
	buffer_store_dword v8, v14, s[0:3], 0 offen
	s_cbranch_scc1 .LBB2105_187
; %bb.188:
	buffer_load_dword v25, off, s[0:3], 0 offset:152
	v_lshlrev_b64 v[8:9], v1, -1
	v_cmp_eq_u16_e32 vcc, 2, v7
	v_and_b32_e32 v14, 63, v1
	v_and_b32_e32 v15, vcc_hi, v9
	v_and_b32_e32 v16, vcc_lo, v8
	v_cmp_ne_u32_e32 vcc, 63, v14
	v_addc_co_u32_e32 v17, vcc, 0, v1, vcc
	v_or_b32_e32 v18, 0x80000000, v15
	v_lshlrev_b32_e32 v15, 2, v17
	v_ffbl_b32_e32 v17, v18
	v_ffbl_b32_e32 v16, v16
	v_add_u32_e32 v17, 32, v17
	ds_bpermute_b32 v18, v15, v2
	v_min_u32_e32 v26, v16, v17
	ds_bpermute_b32 v19, v15, v3
	ds_bpermute_b32 v20, v15, v4
	;; [unrolled: 1-line block ×3, first 2 shown]
	v_cmp_lt_u32_e32 vcc, v14, v26
	s_waitcnt lgkmcnt(3)
	buffer_store_dword v18, off, s[0:3], 0
	s_waitcnt lgkmcnt(2)
	buffer_store_dword v19, off, s[0:3], 0 offset:4
	s_waitcnt lgkmcnt(1)
	buffer_store_dword v20, off, s[0:3], 0 offset:8
	;; [unrolled: 2-line block ×3, first 2 shown]
	s_waitcnt vmcnt(4)
	ds_bpermute_b32 v16, v15, v25
	s_and_saveexec_b64 s[4:5], vcc
	s_cbranch_execz .LBB2105_196
; %bb.189:
	v_mov_b32_e32 v17, 0
	v_cmp_eq_u16_sdwa s[16:17], v25, v17 src0_sel:BYTE_0 src1_sel:DWORD
	s_and_saveexec_b64 s[14:15], s[16:17]
	s_cbranch_execz .LBB2105_195
; %bb.190:
	s_mov_b32 s16, 0
	v_mov_b32_e32 v2, 0x74
.LBB2105_191:                           ; =>This Inner Loop Header: Depth=1
	v_add_u32_e32 v3, s16, v2
	s_add_i32 s16, s16, 8
	s_cmp_lg_u32 s16, 16
	buffer_store_dword v17, v3, s[0:3], 0 offen offset:4
	buffer_store_dword v17, v3, s[0:3], 0 offen
	s_cbranch_scc1 .LBB2105_191
; %bb.192:
	s_mov_b32 s16, 0
	v_mov_b32_e32 v2, 0
	v_mov_b32_e32 v3, 0x88
	;; [unrolled: 1-line block ×3, first 2 shown]
.LBB2105_193:                           ; =>This Inner Loop Header: Depth=1
	v_add_u32_e32 v5, s16, v2
	v_add_u32_e32 v17, s16, v3
	buffer_load_dword v18, v5, s[0:3], 0 offen offset:4
	buffer_load_dword v19, v17, s[0:3], 0 offen
	buffer_load_dword v20, v5, s[0:3], 0 offen
	buffer_load_dword v21, v17, s[0:3], 0 offen offset:4
                                        ; kill: killed $vgpr5
	v_add_u32_e32 v5, s16, v4
	s_add_i32 s16, s16, 8
	s_cmp_lg_u32 s16, 16
                                        ; kill: killed $vgpr17
	s_waitcnt vmcnt(1)
	v_add_u32_e32 v17, v19, v20
	s_waitcnt vmcnt(0)
	v_add_u32_e32 v18, v21, v18
	buffer_store_dword v18, v5, s[0:3], 0 offen offset:4
	buffer_store_dword v17, v5, s[0:3], 0 offen
	s_cbranch_scc1 .LBB2105_193
; %bb.194:
	buffer_load_dword v2, off, s[0:3], 0 offset:116
	buffer_load_dword v3, off, s[0:3], 0 offset:120
	;; [unrolled: 1-line block ×4, first 2 shown]
.LBB2105_195:
	s_or_b64 exec, exec, s[14:15]
	s_waitcnt lgkmcnt(0)
	v_or_b32_e32 v16, v16, v25
	v_and_b32_e32 v16, 1, v16
	buffer_store_byte v16, off, s[0:3], 0 offset:152
	buffer_load_dword v25, off, s[0:3], 0 offset:152
	s_waitcnt vmcnt(4)
	buffer_store_dword v3, off, s[0:3], 0 offset:140
	buffer_store_dword v2, off, s[0:3], 0 offset:136
	s_waitcnt vmcnt(4)
	buffer_store_dword v5, off, s[0:3], 0 offset:148
	buffer_store_dword v4, off, s[0:3], 0 offset:144
.LBB2105_196:
	s_or_b64 exec, exec, s[4:5]
	v_cmp_gt_u32_e32 vcc, 62, v14
	v_cndmask_b32_e64 v17, 0, 1, vcc
	v_lshlrev_b32_e32 v17, 1, v17
	v_add_lshl_u32 v17, v17, v1, 2
	ds_bpermute_b32 v19, v17, v2
	s_waitcnt vmcnt(4)
	ds_bpermute_b32 v18, v17, v25
	ds_bpermute_b32 v20, v17, v3
	;; [unrolled: 1-line block ×3, first 2 shown]
	s_waitcnt lgkmcnt(4)
	v_add_u32_e32 v16, 2, v14
	ds_bpermute_b32 v22, v17, v5
	v_cmp_le_u32_e32 vcc, v16, v26
	s_waitcnt lgkmcnt(4)
	buffer_store_dword v19, off, s[0:3], 0
	s_waitcnt lgkmcnt(2)
	buffer_store_dword v20, off, s[0:3], 0 offset:4
	s_waitcnt lgkmcnt(1)
	buffer_store_dword v21, off, s[0:3], 0 offset:8
	;; [unrolled: 2-line block ×3, first 2 shown]
	s_and_saveexec_b64 s[14:15], vcc
	s_cbranch_execz .LBB2105_204
; %bb.197:
	v_mov_b32_e32 v19, 0
	s_mov_b32 s16, 0
	v_cmp_eq_u16_sdwa s[38:39], v25, v19 src0_sel:BYTE_0 src1_sel:DWORD
	s_and_saveexec_b64 s[4:5], s[38:39]
	s_cbranch_execz .LBB2105_203
; %bb.198:
	v_mov_b32_e32 v2, 0x74
.LBB2105_199:                           ; =>This Inner Loop Header: Depth=1
	v_add_u32_e32 v3, s16, v2
	s_add_i32 s16, s16, 8
	s_cmp_lg_u32 s16, 16
	buffer_store_dword v19, v3, s[0:3], 0 offen offset:4
	buffer_store_dword v19, v3, s[0:3], 0 offen
	s_cbranch_scc1 .LBB2105_199
; %bb.200:
	s_mov_b32 s16, 0
	v_mov_b32_e32 v2, 0
	v_mov_b32_e32 v3, 0x88
	;; [unrolled: 1-line block ×3, first 2 shown]
.LBB2105_201:                           ; =>This Inner Loop Header: Depth=1
	v_add_u32_e32 v5, s16, v2
	v_add_u32_e32 v19, s16, v3
	buffer_load_dword v20, v5, s[0:3], 0 offen offset:4
	buffer_load_dword v21, v19, s[0:3], 0 offen
	buffer_load_dword v22, v5, s[0:3], 0 offen
	buffer_load_dword v23, v19, s[0:3], 0 offen offset:4
                                        ; kill: killed $vgpr5
	v_add_u32_e32 v5, s16, v4
	s_add_i32 s16, s16, 8
	s_cmp_lg_u32 s16, 16
                                        ; kill: killed $vgpr19
	s_waitcnt vmcnt(1)
	v_add_u32_e32 v19, v21, v22
	s_waitcnt vmcnt(0)
	v_add_u32_e32 v20, v23, v20
	buffer_store_dword v20, v5, s[0:3], 0 offen offset:4
	buffer_store_dword v19, v5, s[0:3], 0 offen
	s_cbranch_scc1 .LBB2105_201
; %bb.202:
	buffer_load_dword v2, off, s[0:3], 0 offset:116
	buffer_load_dword v3, off, s[0:3], 0 offset:120
	buffer_load_dword v4, off, s[0:3], 0 offset:124
	buffer_load_dword v5, off, s[0:3], 0 offset:128
.LBB2105_203:
	s_or_b64 exec, exec, s[4:5]
	v_and_b32_e32 v19, 1, v25
	v_and_b32_e32 v18, 1, v18
	v_cmp_eq_u32_e32 vcc, 1, v19
	v_cmp_eq_u32_e64 s[4:5], 1, v18
	s_or_b64 s[4:5], vcc, s[4:5]
	v_cndmask_b32_e64 v18, 0, 1, s[4:5]
	buffer_store_byte v18, off, s[0:3], 0 offset:152
	buffer_load_dword v25, off, s[0:3], 0 offset:152
	s_waitcnt vmcnt(4)
	buffer_store_dword v3, off, s[0:3], 0 offset:140
	buffer_store_dword v2, off, s[0:3], 0 offset:136
	s_waitcnt vmcnt(4)
	buffer_store_dword v5, off, s[0:3], 0 offset:148
	buffer_store_dword v4, off, s[0:3], 0 offset:144
.LBB2105_204:
	s_or_b64 exec, exec, s[14:15]
	v_cmp_gt_u32_e32 vcc, 60, v14
	v_cndmask_b32_e64 v19, 0, 1, vcc
	v_lshlrev_b32_e32 v19, 2, v19
	v_add_lshl_u32 v19, v19, v1, 2
	ds_bpermute_b32 v21, v19, v2
	s_waitcnt vmcnt(4)
	ds_bpermute_b32 v20, v19, v25
	ds_bpermute_b32 v22, v19, v3
	ds_bpermute_b32 v23, v19, v4
	v_add_u32_e32 v18, 4, v14
	ds_bpermute_b32 v24, v19, v5
	v_cmp_le_u32_e32 vcc, v18, v26
	s_waitcnt lgkmcnt(4)
	buffer_store_dword v21, off, s[0:3], 0
	s_waitcnt lgkmcnt(2)
	buffer_store_dword v22, off, s[0:3], 0 offset:4
	s_waitcnt lgkmcnt(1)
	buffer_store_dword v23, off, s[0:3], 0 offset:8
	;; [unrolled: 2-line block ×3, first 2 shown]
	s_and_saveexec_b64 s[14:15], vcc
	s_cbranch_execz .LBB2105_212
; %bb.205:
	v_mov_b32_e32 v21, 0
	s_mov_b32 s16, 0
	v_cmp_eq_u16_sdwa s[38:39], v25, v21 src0_sel:BYTE_0 src1_sel:DWORD
	s_and_saveexec_b64 s[4:5], s[38:39]
	s_cbranch_execz .LBB2105_211
; %bb.206:
	v_mov_b32_e32 v2, 0x74
.LBB2105_207:                           ; =>This Inner Loop Header: Depth=1
	v_add_u32_e32 v3, s16, v2
	s_add_i32 s16, s16, 8
	s_cmp_lg_u32 s16, 16
	buffer_store_dword v21, v3, s[0:3], 0 offen offset:4
	buffer_store_dword v21, v3, s[0:3], 0 offen
	s_cbranch_scc1 .LBB2105_207
; %bb.208:
	s_mov_b32 s16, 0
	v_mov_b32_e32 v2, 0
	v_mov_b32_e32 v3, 0x88
	;; [unrolled: 1-line block ×3, first 2 shown]
.LBB2105_209:                           ; =>This Inner Loop Header: Depth=1
	v_add_u32_e32 v5, s16, v2
	v_add_u32_e32 v21, s16, v3
	buffer_load_dword v22, v5, s[0:3], 0 offen offset:4
	buffer_load_dword v23, v21, s[0:3], 0 offen
	buffer_load_dword v24, v5, s[0:3], 0 offen
	buffer_load_dword v27, v21, s[0:3], 0 offen offset:4
                                        ; kill: killed $vgpr5
	v_add_u32_e32 v5, s16, v4
	s_add_i32 s16, s16, 8
	s_cmp_lg_u32 s16, 16
                                        ; kill: killed $vgpr21
	s_waitcnt vmcnt(1)
	v_add_u32_e32 v21, v23, v24
	s_waitcnt vmcnt(0)
	v_add_u32_e32 v22, v27, v22
	buffer_store_dword v22, v5, s[0:3], 0 offen offset:4
	buffer_store_dword v21, v5, s[0:3], 0 offen
	s_cbranch_scc1 .LBB2105_209
; %bb.210:
	buffer_load_dword v2, off, s[0:3], 0 offset:116
	buffer_load_dword v3, off, s[0:3], 0 offset:120
	;; [unrolled: 1-line block ×4, first 2 shown]
.LBB2105_211:
	s_or_b64 exec, exec, s[4:5]
	v_and_b32_e32 v21, 1, v25
	v_and_b32_e32 v20, 1, v20
	v_cmp_eq_u32_e32 vcc, 1, v21
	v_cmp_eq_u32_e64 s[4:5], 1, v20
	s_or_b64 s[4:5], vcc, s[4:5]
	v_cndmask_b32_e64 v20, 0, 1, s[4:5]
	buffer_store_byte v20, off, s[0:3], 0 offset:152
	buffer_load_dword v25, off, s[0:3], 0 offset:152
	s_waitcnt vmcnt(4)
	buffer_store_dword v3, off, s[0:3], 0 offset:140
	buffer_store_dword v2, off, s[0:3], 0 offset:136
	s_waitcnt vmcnt(4)
	buffer_store_dword v5, off, s[0:3], 0 offset:148
	buffer_store_dword v4, off, s[0:3], 0 offset:144
.LBB2105_212:
	s_or_b64 exec, exec, s[14:15]
	v_cmp_gt_u32_e32 vcc, 56, v14
	v_cndmask_b32_e64 v21, 0, 1, vcc
	v_lshlrev_b32_e32 v21, 3, v21
	v_add_lshl_u32 v21, v21, v1, 2
	ds_bpermute_b32 v23, v21, v2
	s_waitcnt vmcnt(4)
	ds_bpermute_b32 v22, v21, v25
	ds_bpermute_b32 v24, v21, v3
	;; [unrolled: 1-line block ×3, first 2 shown]
	v_add_u32_e32 v20, 8, v14
	ds_bpermute_b32 v28, v21, v5
	v_cmp_le_u32_e32 vcc, v20, v26
	s_waitcnt lgkmcnt(4)
	buffer_store_dword v23, off, s[0:3], 0
	s_waitcnt lgkmcnt(2)
	buffer_store_dword v24, off, s[0:3], 0 offset:4
	s_waitcnt lgkmcnt(1)
	buffer_store_dword v27, off, s[0:3], 0 offset:8
	;; [unrolled: 2-line block ×3, first 2 shown]
	s_and_saveexec_b64 s[14:15], vcc
	s_cbranch_execz .LBB2105_220
; %bb.213:
	v_mov_b32_e32 v23, 0
	s_mov_b32 s16, 0
	v_cmp_eq_u16_sdwa s[38:39], v25, v23 src0_sel:BYTE_0 src1_sel:DWORD
	s_and_saveexec_b64 s[4:5], s[38:39]
	s_cbranch_execz .LBB2105_219
; %bb.214:
	v_mov_b32_e32 v2, 0x74
.LBB2105_215:                           ; =>This Inner Loop Header: Depth=1
	v_add_u32_e32 v3, s16, v2
	s_add_i32 s16, s16, 8
	s_cmp_lg_u32 s16, 16
	buffer_store_dword v23, v3, s[0:3], 0 offen offset:4
	buffer_store_dword v23, v3, s[0:3], 0 offen
	s_cbranch_scc1 .LBB2105_215
; %bb.216:
	s_mov_b32 s16, 0
	v_mov_b32_e32 v2, 0
	v_mov_b32_e32 v3, 0x88
	;; [unrolled: 1-line block ×3, first 2 shown]
.LBB2105_217:                           ; =>This Inner Loop Header: Depth=1
	v_add_u32_e32 v5, s16, v2
	v_add_u32_e32 v23, s16, v3
	buffer_load_dword v24, v5, s[0:3], 0 offen offset:4
	buffer_load_dword v27, v23, s[0:3], 0 offen
	buffer_load_dword v28, v5, s[0:3], 0 offen
	buffer_load_dword v29, v23, s[0:3], 0 offen offset:4
                                        ; kill: killed $vgpr5
	v_add_u32_e32 v5, s16, v4
	s_add_i32 s16, s16, 8
	s_cmp_lg_u32 s16, 16
                                        ; kill: killed $vgpr23
	s_waitcnt vmcnt(1)
	v_add_u32_e32 v23, v27, v28
	s_waitcnt vmcnt(0)
	v_add_u32_e32 v24, v29, v24
	buffer_store_dword v24, v5, s[0:3], 0 offen offset:4
	buffer_store_dword v23, v5, s[0:3], 0 offen
	s_cbranch_scc1 .LBB2105_217
; %bb.218:
	buffer_load_dword v2, off, s[0:3], 0 offset:116
	buffer_load_dword v3, off, s[0:3], 0 offset:120
	buffer_load_dword v4, off, s[0:3], 0 offset:124
	buffer_load_dword v5, off, s[0:3], 0 offset:128
.LBB2105_219:
	s_or_b64 exec, exec, s[4:5]
	v_and_b32_e32 v23, 1, v25
	v_and_b32_e32 v22, 1, v22
	v_cmp_eq_u32_e32 vcc, 1, v23
	v_cmp_eq_u32_e64 s[4:5], 1, v22
	s_or_b64 s[4:5], vcc, s[4:5]
	v_cndmask_b32_e64 v22, 0, 1, s[4:5]
	buffer_store_byte v22, off, s[0:3], 0 offset:152
	buffer_load_dword v25, off, s[0:3], 0 offset:152
	s_waitcnt vmcnt(4)
	buffer_store_dword v3, off, s[0:3], 0 offset:140
	buffer_store_dword v2, off, s[0:3], 0 offset:136
	s_waitcnt vmcnt(4)
	buffer_store_dword v5, off, s[0:3], 0 offset:148
	buffer_store_dword v4, off, s[0:3], 0 offset:144
.LBB2105_220:
	s_or_b64 exec, exec, s[14:15]
	v_cmp_gt_u32_e32 vcc, 48, v14
	v_cndmask_b32_e64 v23, 0, 1, vcc
	v_lshlrev_b32_e32 v23, 4, v23
	v_add_lshl_u32 v23, v23, v1, 2
	ds_bpermute_b32 v27, v23, v2
	s_waitcnt vmcnt(4)
	ds_bpermute_b32 v24, v23, v25
	ds_bpermute_b32 v28, v23, v3
	;; [unrolled: 1-line block ×3, first 2 shown]
	v_add_u32_e32 v22, 16, v14
	ds_bpermute_b32 v30, v23, v5
	v_cmp_le_u32_e32 vcc, v22, v26
	s_waitcnt lgkmcnt(4)
	buffer_store_dword v27, off, s[0:3], 0
	s_waitcnt lgkmcnt(2)
	buffer_store_dword v28, off, s[0:3], 0 offset:4
	s_waitcnt lgkmcnt(1)
	buffer_store_dword v29, off, s[0:3], 0 offset:8
	;; [unrolled: 2-line block ×3, first 2 shown]
	s_and_saveexec_b64 s[14:15], vcc
	s_cbranch_execz .LBB2105_228
; %bb.221:
	v_mov_b32_e32 v27, 0
	s_mov_b32 s16, 0
	v_cmp_eq_u16_sdwa s[38:39], v25, v27 src0_sel:BYTE_0 src1_sel:DWORD
	s_and_saveexec_b64 s[4:5], s[38:39]
	s_cbranch_execz .LBB2105_227
; %bb.222:
	v_mov_b32_e32 v2, 0x74
.LBB2105_223:                           ; =>This Inner Loop Header: Depth=1
	v_add_u32_e32 v3, s16, v2
	s_add_i32 s16, s16, 8
	s_cmp_lg_u32 s16, 16
	buffer_store_dword v27, v3, s[0:3], 0 offen offset:4
	buffer_store_dword v27, v3, s[0:3], 0 offen
	s_cbranch_scc1 .LBB2105_223
; %bb.224:
	s_mov_b32 s16, 0
	v_mov_b32_e32 v2, 0
	v_mov_b32_e32 v3, 0x88
	v_mov_b32_e32 v4, 0x74
.LBB2105_225:                           ; =>This Inner Loop Header: Depth=1
	v_add_u32_e32 v5, s16, v2
	v_add_u32_e32 v27, s16, v3
	buffer_load_dword v28, v5, s[0:3], 0 offen offset:4
	buffer_load_dword v29, v27, s[0:3], 0 offen
	buffer_load_dword v30, v5, s[0:3], 0 offen
	buffer_load_dword v31, v27, s[0:3], 0 offen offset:4
                                        ; kill: killed $vgpr5
	v_add_u32_e32 v5, s16, v4
	s_add_i32 s16, s16, 8
	s_cmp_lg_u32 s16, 16
                                        ; kill: killed $vgpr27
	s_waitcnt vmcnt(1)
	v_add_u32_e32 v27, v29, v30
	s_waitcnt vmcnt(0)
	v_add_u32_e32 v28, v31, v28
	buffer_store_dword v28, v5, s[0:3], 0 offen offset:4
	buffer_store_dword v27, v5, s[0:3], 0 offen
	s_cbranch_scc1 .LBB2105_225
; %bb.226:
	buffer_load_dword v2, off, s[0:3], 0 offset:116
	buffer_load_dword v3, off, s[0:3], 0 offset:120
	;; [unrolled: 1-line block ×4, first 2 shown]
.LBB2105_227:
	s_or_b64 exec, exec, s[4:5]
	v_and_b32_e32 v25, 1, v25
	v_and_b32_e32 v24, 1, v24
	v_cmp_eq_u32_e32 vcc, 1, v25
	v_cmp_eq_u32_e64 s[4:5], 1, v24
	s_or_b64 s[4:5], vcc, s[4:5]
	v_cndmask_b32_e64 v24, 0, 1, s[4:5]
	buffer_store_byte v24, off, s[0:3], 0 offset:152
	buffer_load_dword v25, off, s[0:3], 0 offset:152
	s_waitcnt vmcnt(4)
	buffer_store_dword v3, off, s[0:3], 0 offset:140
	buffer_store_dword v2, off, s[0:3], 0 offset:136
	s_waitcnt vmcnt(4)
	buffer_store_dword v5, off, s[0:3], 0 offset:148
	buffer_store_dword v4, off, s[0:3], 0 offset:144
.LBB2105_228:
	s_or_b64 exec, exec, s[14:15]
	v_cmp_gt_u32_e32 vcc, 32, v14
	v_cndmask_b32_e64 v27, 0, 1, vcc
	v_lshlrev_b32_e32 v27, 5, v27
	v_add_lshl_u32 v1, v27, v1, 2
	ds_bpermute_b32 v28, v1, v2
	s_waitcnt vmcnt(4)
	ds_bpermute_b32 v27, v1, v25
	ds_bpermute_b32 v29, v1, v3
	;; [unrolled: 1-line block ×3, first 2 shown]
	v_add_u32_e32 v24, 32, v14
	ds_bpermute_b32 v31, v1, v5
	v_cmp_le_u32_e32 vcc, v24, v26
	s_waitcnt lgkmcnt(4)
	buffer_store_dword v28, off, s[0:3], 0
	s_waitcnt lgkmcnt(2)
	buffer_store_dword v29, off, s[0:3], 0 offset:4
	s_waitcnt lgkmcnt(1)
	buffer_store_dword v30, off, s[0:3], 0 offset:8
	;; [unrolled: 2-line block ×3, first 2 shown]
	s_and_saveexec_b64 s[14:15], vcc
	s_cbranch_execz .LBB2105_236
; %bb.229:
	v_mov_b32_e32 v26, 0
	s_mov_b32 s16, 0
	v_cmp_eq_u16_sdwa s[38:39], v25, v26 src0_sel:BYTE_0 src1_sel:DWORD
	s_and_saveexec_b64 s[4:5], s[38:39]
	s_cbranch_execz .LBB2105_235
; %bb.230:
	v_mov_b32_e32 v2, 0x74
.LBB2105_231:                           ; =>This Inner Loop Header: Depth=1
	v_add_u32_e32 v3, s16, v2
	s_add_i32 s16, s16, 8
	s_cmp_lg_u32 s16, 16
	buffer_store_dword v26, v3, s[0:3], 0 offen offset:4
	buffer_store_dword v26, v3, s[0:3], 0 offen
	s_cbranch_scc1 .LBB2105_231
; %bb.232:
	s_mov_b32 s16, 0
	v_mov_b32_e32 v2, 0
	v_mov_b32_e32 v3, 0x88
	;; [unrolled: 1-line block ×3, first 2 shown]
.LBB2105_233:                           ; =>This Inner Loop Header: Depth=1
	v_add_u32_e32 v5, s16, v2
	v_add_u32_e32 v26, s16, v3
	buffer_load_dword v28, v5, s[0:3], 0 offen offset:4
	buffer_load_dword v29, v26, s[0:3], 0 offen
	buffer_load_dword v30, v5, s[0:3], 0 offen
	buffer_load_dword v31, v26, s[0:3], 0 offen offset:4
                                        ; kill: killed $vgpr5
	v_add_u32_e32 v5, s16, v4
	s_add_i32 s16, s16, 8
	s_cmp_lg_u32 s16, 16
                                        ; kill: killed $vgpr26
	s_waitcnt vmcnt(1)
	v_add_u32_e32 v26, v29, v30
	s_waitcnt vmcnt(0)
	v_add_u32_e32 v28, v31, v28
	buffer_store_dword v28, v5, s[0:3], 0 offen offset:4
	buffer_store_dword v26, v5, s[0:3], 0 offen
	s_cbranch_scc1 .LBB2105_233
; %bb.234:
	buffer_load_dword v2, off, s[0:3], 0 offset:116
	buffer_load_dword v3, off, s[0:3], 0 offset:120
	;; [unrolled: 1-line block ×4, first 2 shown]
.LBB2105_235:
	s_or_b64 exec, exec, s[4:5]
	v_and_b32_e32 v25, 1, v25
	v_cmp_eq_u32_e32 vcc, 1, v25
	v_and_b32_e32 v25, 1, v27
	v_cmp_eq_u32_e64 s[4:5], 1, v25
	s_or_b64 s[4:5], vcc, s[4:5]
	v_cndmask_b32_e64 v25, 0, 1, s[4:5]
	s_waitcnt vmcnt(2)
	buffer_store_dword v3, off, s[0:3], 0 offset:140
	buffer_store_dword v2, off, s[0:3], 0 offset:136
	s_waitcnt vmcnt(2)
	buffer_store_dword v5, off, s[0:3], 0 offset:148
	buffer_store_dword v4, off, s[0:3], 0 offset:144
	buffer_store_byte v25, off, s[0:3], 0 offset:152
.LBB2105_236:
	s_or_b64 exec, exec, s[14:15]
	buffer_load_dword v2, off, s[0:3], 0 offset:148
	buffer_load_dword v3, off, s[0:3], 0 offset:144
	;; [unrolled: 1-line block ×5, first 2 shown]
	v_mov_b32_e32 v25, 0
	v_mov_b32_e32 v26, 0x60
	;; [unrolled: 1-line block ×6, first 2 shown]
	s_waitcnt vmcnt(4)
	buffer_store_dword v2, off, s[0:3], 0 offset:128
	s_waitcnt vmcnt(4)
	buffer_store_dword v3, off, s[0:3], 0 offset:124
	;; [unrolled: 2-line block ×5, first 2 shown]
	v_mov_b32_e32 v31, 2
	s_branch .LBB2105_238
.LBB2105_237:                           ;   in Loop: Header=BB2105_238 Depth=1
                                        ; implicit-def: $vgpr6
                                        ; implicit-def: $vgpr7
	s_cbranch_execnz .LBB2105_304
.LBB2105_238:                           ; =>This Loop Header: Depth=1
                                        ;     Child Loop BB2105_240 Depth 2
                                        ;     Child Loop BB2105_243 Depth 2
	;; [unrolled: 1-line block ×17, first 2 shown]
	v_cmp_ne_u16_sdwa s[4:5], v7, v31 src0_sel:BYTE_0 src1_sel:DWORD
	v_cndmask_b32_e64 v2, 0, 1, s[4:5]
	;;#ASMSTART
	;;#ASMEND
	v_cmp_ne_u32_e32 vcc, 0, v2
	s_cmp_lg_u64 vcc, exec
	s_cbranch_scc1 .LBB2105_237
; %bb.239:                              ;   in Loop: Header=BB2105_238 Depth=1
	s_mov_b32 s4, 0
	buffer_store_dword v25, off, s[0:3], 0 offset:108
	buffer_store_dword v25, off, s[0:3], 0 offset:104
	;; [unrolled: 1-line block ×5, first 2 shown]
.LBB2105_240:                           ;   Parent Loop BB2105_238 Depth=1
                                        ; =>  This Inner Loop Header: Depth=2
	v_add_u32_e32 v2, s4, v26
	s_add_i32 s4, s4, 8
	s_cmp_lg_u32 s4, 16
	buffer_store_dword v25, v2, s[0:3], 0 offen offset:4
	buffer_store_dword v25, v2, s[0:3], 0 offen
	s_cbranch_scc1 .LBB2105_240
; %bb.241:                              ;   in Loop: Header=BB2105_238 Depth=1
	buffer_store_byte v25, off, s[0:3], 0 offset:112
	global_load_ubyte v7, v6, s[24:25] glc
	s_waitcnt vmcnt(0)
	v_cmp_eq_u16_e32 vcc, 0, v7
	s_and_saveexec_b64 s[4:5], vcc
	s_cbranch_execz .LBB2105_245
; %bb.242:                              ;   in Loop: Header=BB2105_238 Depth=1
	v_mov_b32_e32 v3, s25
	v_add_co_u32_e32 v2, vcc, s24, v6
	v_addc_co_u32_e32 v3, vcc, 0, v3, vcc
	s_mov_b64 s[14:15], 0
.LBB2105_243:                           ;   Parent Loop BB2105_238 Depth=1
                                        ; =>  This Inner Loop Header: Depth=2
	global_load_ubyte v7, v[2:3], off glc
	s_waitcnt vmcnt(0)
	v_cmp_ne_u16_e32 vcc, 0, v7
	s_or_b64 s[14:15], vcc, s[14:15]
	s_andn2_b64 exec, exec, s[14:15]
	s_cbranch_execnz .LBB2105_243
; %bb.244:                              ;   in Loop: Header=BB2105_238 Depth=1
	s_or_b64 exec, exec, s[14:15]
.LBB2105_245:                           ;   in Loop: Header=BB2105_238 Depth=1
	s_or_b64 exec, exec, s[4:5]
	v_mov_b32_e32 v2, s23
	v_mov_b32_e32 v3, s21
	v_cmp_eq_u16_e32 vcc, 1, v7
	v_cndmask_b32_e32 v3, v2, v3, vcc
	v_mov_b32_e32 v2, s22
	v_mov_b32_e32 v4, s20
	v_cndmask_b32_e32 v2, v2, v4, vcc
	v_mad_u64_u32 v[32:33], s[4:5], v6, 20, v[2:3]
	buffer_wbinvl1_vol
	global_load_dwordx4 v[2:5], v[32:33], off
	global_load_ubyte v34, v[32:33], off offset:16
	s_mov_b32 s4, 0
	buffer_store_dword v25, off, s[0:3], 0 offset:16
	s_waitcnt vmcnt(2)
	buffer_store_dword v5, off, s[0:3], 0 offset:108
	buffer_store_dword v4, off, s[0:3], 0 offset:104
	;; [unrolled: 1-line block ×4, first 2 shown]
	s_waitcnt vmcnt(5)
	buffer_store_byte v34, off, s[0:3], 0 offset:112
	buffer_store_dword v3, off, s[0:3], 0 offset:140
	buffer_store_dword v2, off, s[0:3], 0 offset:136
	buffer_store_dword v5, off, s[0:3], 0 offset:148
	buffer_store_dword v4, off, s[0:3], 0 offset:144
	buffer_store_byte v34, off, s[0:3], 0 offset:152
.LBB2105_246:                           ;   Parent Loop BB2105_238 Depth=1
                                        ; =>  This Inner Loop Header: Depth=2
	v_add_u32_e32 v32, s4, v27
	s_add_i32 s4, s4, 8
	s_cmp_lg_u32 s4, 16
	buffer_store_dword v25, v32, s[0:3], 0 offen offset:4
	buffer_store_dword v25, v32, s[0:3], 0 offen
	s_cbranch_scc1 .LBB2105_246
; %bb.247:                              ;   in Loop: Header=BB2105_238 Depth=1
	buffer_load_dword v33, off, s[0:3], 0 offset:152
	v_cmp_eq_u16_e32 vcc, 2, v7
	v_and_b32_e32 v32, vcc_hi, v9
	v_or_b32_e32 v32, 0x80000000, v32
	v_and_b32_e32 v34, vcc_lo, v8
	v_ffbl_b32_e32 v32, v32
	v_ffbl_b32_e32 v34, v34
	v_add_u32_e32 v32, 32, v32
	ds_bpermute_b32 v35, v15, v2
	v_min_u32_e32 v32, v34, v32
	ds_bpermute_b32 v36, v15, v3
	ds_bpermute_b32 v37, v15, v4
	;; [unrolled: 1-line block ×3, first 2 shown]
	v_cmp_lt_u32_e32 vcc, v14, v32
	s_waitcnt lgkmcnt(3)
	buffer_store_dword v35, off, s[0:3], 0
	s_waitcnt lgkmcnt(2)
	buffer_store_dword v36, off, s[0:3], 0 offset:4
	s_waitcnt lgkmcnt(1)
	buffer_store_dword v37, off, s[0:3], 0 offset:8
	;; [unrolled: 2-line block ×3, first 2 shown]
	s_waitcnt vmcnt(4)
	ds_bpermute_b32 v34, v15, v33
	s_and_saveexec_b64 s[4:5], vcc
	s_cbranch_execz .LBB2105_255
; %bb.248:                              ;   in Loop: Header=BB2105_238 Depth=1
	v_cmp_eq_u16_sdwa s[16:17], v33, v25 src0_sel:BYTE_0 src1_sel:DWORD
	s_and_saveexec_b64 s[14:15], s[16:17]
	s_cbranch_execz .LBB2105_254
; %bb.249:                              ;   in Loop: Header=BB2105_238 Depth=1
	s_mov_b32 s16, 0
.LBB2105_250:                           ;   Parent Loop BB2105_238 Depth=1
                                        ; =>  This Inner Loop Header: Depth=2
	v_add_u32_e32 v2, s16, v28
	s_add_i32 s16, s16, 8
	s_cmp_lg_u32 s16, 16
	buffer_store_dword v25, v2, s[0:3], 0 offen offset:4
	buffer_store_dword v25, v2, s[0:3], 0 offen
	s_cbranch_scc1 .LBB2105_250
; %bb.251:                              ;   in Loop: Header=BB2105_238 Depth=1
	s_mov_b32 s16, 0
.LBB2105_252:                           ;   Parent Loop BB2105_238 Depth=1
                                        ; =>  This Inner Loop Header: Depth=2
	v_add_u32_e32 v2, s16, v27
	v_add_u32_e32 v3, s16, v29
	buffer_load_dword v4, v2, s[0:3], 0 offen offset:4
	buffer_load_dword v5, v3, s[0:3], 0 offen
	buffer_load_dword v35, v2, s[0:3], 0 offen
	buffer_load_dword v36, v3, s[0:3], 0 offen offset:4
	v_add_u32_e32 v2, s16, v28
	s_add_i32 s16, s16, 8
	s_cmp_lg_u32 s16, 16
	s_waitcnt vmcnt(1)
	v_add_u32_e32 v3, v5, v35
	s_waitcnt vmcnt(0)
	v_add_u32_e32 v4, v36, v4
	buffer_store_dword v4, v2, s[0:3], 0 offen offset:4
	buffer_store_dword v3, v2, s[0:3], 0 offen
	s_cbranch_scc1 .LBB2105_252
; %bb.253:                              ;   in Loop: Header=BB2105_238 Depth=1
	buffer_load_dword v2, off, s[0:3], 0 offset:80
	buffer_load_dword v3, off, s[0:3], 0 offset:84
	;; [unrolled: 1-line block ×4, first 2 shown]
.LBB2105_254:                           ;   in Loop: Header=BB2105_238 Depth=1
	s_or_b64 exec, exec, s[14:15]
	s_waitcnt lgkmcnt(0)
	v_or_b32_e32 v33, v34, v33
	v_and_b32_e32 v33, 1, v33
	buffer_store_byte v33, off, s[0:3], 0 offset:152
	buffer_load_dword v33, off, s[0:3], 0 offset:152
	s_waitcnt vmcnt(4)
	buffer_store_dword v3, off, s[0:3], 0 offset:140
	buffer_store_dword v2, off, s[0:3], 0 offset:136
	s_waitcnt vmcnt(4)
	buffer_store_dword v5, off, s[0:3], 0 offset:148
	buffer_store_dword v4, off, s[0:3], 0 offset:144
.LBB2105_255:                           ;   in Loop: Header=BB2105_238 Depth=1
	s_or_b64 exec, exec, s[4:5]
	ds_bpermute_b32 v35, v17, v2
	s_waitcnt vmcnt(4) lgkmcnt(1)
	ds_bpermute_b32 v34, v17, v33
	ds_bpermute_b32 v36, v17, v3
	ds_bpermute_b32 v37, v17, v4
	ds_bpermute_b32 v38, v17, v5
	v_cmp_le_u32_e32 vcc, v16, v32
	s_waitcnt lgkmcnt(4)
	buffer_store_dword v35, off, s[0:3], 0
	s_waitcnt lgkmcnt(2)
	buffer_store_dword v36, off, s[0:3], 0 offset:4
	s_waitcnt lgkmcnt(1)
	buffer_store_dword v37, off, s[0:3], 0 offset:8
	;; [unrolled: 2-line block ×3, first 2 shown]
	s_and_saveexec_b64 s[14:15], vcc
	s_cbranch_execz .LBB2105_263
; %bb.256:                              ;   in Loop: Header=BB2105_238 Depth=1
	v_cmp_eq_u16_sdwa s[16:17], v33, v25 src0_sel:BYTE_0 src1_sel:DWORD
	s_and_saveexec_b64 s[4:5], s[16:17]
	s_cbranch_execz .LBB2105_262
; %bb.257:                              ;   in Loop: Header=BB2105_238 Depth=1
	s_mov_b32 s16, 0
.LBB2105_258:                           ;   Parent Loop BB2105_238 Depth=1
                                        ; =>  This Inner Loop Header: Depth=2
	v_add_u32_e32 v2, s16, v28
	s_add_i32 s16, s16, 8
	s_cmp_lg_u32 s16, 16
	buffer_store_dword v25, v2, s[0:3], 0 offen offset:4
	buffer_store_dword v25, v2, s[0:3], 0 offen
	s_cbranch_scc1 .LBB2105_258
; %bb.259:                              ;   in Loop: Header=BB2105_238 Depth=1
	s_mov_b32 s16, 0
.LBB2105_260:                           ;   Parent Loop BB2105_238 Depth=1
                                        ; =>  This Inner Loop Header: Depth=2
	v_add_u32_e32 v2, s16, v27
	v_add_u32_e32 v3, s16, v29
	buffer_load_dword v4, v2, s[0:3], 0 offen offset:4
	buffer_load_dword v5, v3, s[0:3], 0 offen
	buffer_load_dword v35, v2, s[0:3], 0 offen
	buffer_load_dword v36, v3, s[0:3], 0 offen offset:4
	v_add_u32_e32 v2, s16, v28
	s_add_i32 s16, s16, 8
	s_cmp_lg_u32 s16, 16
	s_waitcnt vmcnt(1)
	v_add_u32_e32 v3, v5, v35
	s_waitcnt vmcnt(0)
	v_add_u32_e32 v4, v36, v4
	buffer_store_dword v4, v2, s[0:3], 0 offen offset:4
	buffer_store_dword v3, v2, s[0:3], 0 offen
	s_cbranch_scc1 .LBB2105_260
; %bb.261:                              ;   in Loop: Header=BB2105_238 Depth=1
	buffer_load_dword v2, off, s[0:3], 0 offset:80
	buffer_load_dword v3, off, s[0:3], 0 offset:84
	;; [unrolled: 1-line block ×4, first 2 shown]
.LBB2105_262:                           ;   in Loop: Header=BB2105_238 Depth=1
	s_or_b64 exec, exec, s[4:5]
	v_and_b32_e32 v33, 1, v33
	v_cmp_eq_u32_e32 vcc, 1, v33
	v_and_b32_e32 v33, 1, v34
	v_cmp_eq_u32_e64 s[4:5], 1, v33
	s_or_b64 s[4:5], vcc, s[4:5]
	v_cndmask_b32_e64 v33, 0, 1, s[4:5]
	buffer_store_byte v33, off, s[0:3], 0 offset:152
	buffer_load_dword v33, off, s[0:3], 0 offset:152
	s_waitcnt vmcnt(4)
	buffer_store_dword v3, off, s[0:3], 0 offset:140
	buffer_store_dword v2, off, s[0:3], 0 offset:136
	s_waitcnt vmcnt(4)
	buffer_store_dword v5, off, s[0:3], 0 offset:148
	buffer_store_dword v4, off, s[0:3], 0 offset:144
.LBB2105_263:                           ;   in Loop: Header=BB2105_238 Depth=1
	s_or_b64 exec, exec, s[14:15]
	ds_bpermute_b32 v35, v19, v2
	s_waitcnt vmcnt(4)
	ds_bpermute_b32 v34, v19, v33
	ds_bpermute_b32 v36, v19, v3
	;; [unrolled: 1-line block ×4, first 2 shown]
	v_cmp_le_u32_e32 vcc, v18, v32
	s_waitcnt lgkmcnt(4)
	buffer_store_dword v35, off, s[0:3], 0
	s_waitcnt lgkmcnt(2)
	buffer_store_dword v36, off, s[0:3], 0 offset:4
	s_waitcnt lgkmcnt(1)
	buffer_store_dword v37, off, s[0:3], 0 offset:8
	;; [unrolled: 2-line block ×3, first 2 shown]
	s_and_saveexec_b64 s[14:15], vcc
	s_cbranch_execz .LBB2105_271
; %bb.264:                              ;   in Loop: Header=BB2105_238 Depth=1
	v_cmp_eq_u16_sdwa s[16:17], v33, v25 src0_sel:BYTE_0 src1_sel:DWORD
	s_and_saveexec_b64 s[4:5], s[16:17]
	s_cbranch_execz .LBB2105_270
; %bb.265:                              ;   in Loop: Header=BB2105_238 Depth=1
	s_mov_b32 s16, 0
.LBB2105_266:                           ;   Parent Loop BB2105_238 Depth=1
                                        ; =>  This Inner Loop Header: Depth=2
	v_add_u32_e32 v2, s16, v28
	s_add_i32 s16, s16, 8
	s_cmp_lg_u32 s16, 16
	buffer_store_dword v25, v2, s[0:3], 0 offen offset:4
	buffer_store_dword v25, v2, s[0:3], 0 offen
	s_cbranch_scc1 .LBB2105_266
; %bb.267:                              ;   in Loop: Header=BB2105_238 Depth=1
	s_mov_b32 s16, 0
.LBB2105_268:                           ;   Parent Loop BB2105_238 Depth=1
                                        ; =>  This Inner Loop Header: Depth=2
	v_add_u32_e32 v2, s16, v27
	v_add_u32_e32 v3, s16, v29
	buffer_load_dword v4, v2, s[0:3], 0 offen offset:4
	buffer_load_dword v5, v3, s[0:3], 0 offen
	buffer_load_dword v35, v2, s[0:3], 0 offen
	buffer_load_dword v36, v3, s[0:3], 0 offen offset:4
	v_add_u32_e32 v2, s16, v28
	s_add_i32 s16, s16, 8
	s_cmp_lg_u32 s16, 16
	s_waitcnt vmcnt(1)
	v_add_u32_e32 v3, v5, v35
	s_waitcnt vmcnt(0)
	v_add_u32_e32 v4, v36, v4
	buffer_store_dword v4, v2, s[0:3], 0 offen offset:4
	buffer_store_dword v3, v2, s[0:3], 0 offen
	s_cbranch_scc1 .LBB2105_268
; %bb.269:                              ;   in Loop: Header=BB2105_238 Depth=1
	buffer_load_dword v2, off, s[0:3], 0 offset:80
	buffer_load_dword v3, off, s[0:3], 0 offset:84
	;; [unrolled: 1-line block ×4, first 2 shown]
.LBB2105_270:                           ;   in Loop: Header=BB2105_238 Depth=1
	s_or_b64 exec, exec, s[4:5]
	v_and_b32_e32 v33, 1, v33
	v_cmp_eq_u32_e32 vcc, 1, v33
	v_and_b32_e32 v33, 1, v34
	v_cmp_eq_u32_e64 s[4:5], 1, v33
	s_or_b64 s[4:5], vcc, s[4:5]
	v_cndmask_b32_e64 v33, 0, 1, s[4:5]
	buffer_store_byte v33, off, s[0:3], 0 offset:152
	buffer_load_dword v33, off, s[0:3], 0 offset:152
	s_waitcnt vmcnt(4)
	buffer_store_dword v3, off, s[0:3], 0 offset:140
	buffer_store_dword v2, off, s[0:3], 0 offset:136
	s_waitcnt vmcnt(4)
	buffer_store_dword v5, off, s[0:3], 0 offset:148
	buffer_store_dword v4, off, s[0:3], 0 offset:144
.LBB2105_271:                           ;   in Loop: Header=BB2105_238 Depth=1
	s_or_b64 exec, exec, s[14:15]
	ds_bpermute_b32 v35, v21, v2
	s_waitcnt vmcnt(4)
	ds_bpermute_b32 v34, v21, v33
	ds_bpermute_b32 v36, v21, v3
	;; [unrolled: 1-line block ×4, first 2 shown]
	v_cmp_le_u32_e32 vcc, v20, v32
	s_waitcnt lgkmcnt(4)
	buffer_store_dword v35, off, s[0:3], 0
	s_waitcnt lgkmcnt(2)
	buffer_store_dword v36, off, s[0:3], 0 offset:4
	s_waitcnt lgkmcnt(1)
	buffer_store_dword v37, off, s[0:3], 0 offset:8
	;; [unrolled: 2-line block ×3, first 2 shown]
	s_and_saveexec_b64 s[14:15], vcc
	s_cbranch_execz .LBB2105_279
; %bb.272:                              ;   in Loop: Header=BB2105_238 Depth=1
	v_cmp_eq_u16_sdwa s[16:17], v33, v25 src0_sel:BYTE_0 src1_sel:DWORD
	s_and_saveexec_b64 s[4:5], s[16:17]
	s_cbranch_execz .LBB2105_278
; %bb.273:                              ;   in Loop: Header=BB2105_238 Depth=1
	s_mov_b32 s16, 0
.LBB2105_274:                           ;   Parent Loop BB2105_238 Depth=1
                                        ; =>  This Inner Loop Header: Depth=2
	v_add_u32_e32 v2, s16, v28
	s_add_i32 s16, s16, 8
	s_cmp_lg_u32 s16, 16
	buffer_store_dword v25, v2, s[0:3], 0 offen offset:4
	buffer_store_dword v25, v2, s[0:3], 0 offen
	s_cbranch_scc1 .LBB2105_274
; %bb.275:                              ;   in Loop: Header=BB2105_238 Depth=1
	s_mov_b32 s16, 0
.LBB2105_276:                           ;   Parent Loop BB2105_238 Depth=1
                                        ; =>  This Inner Loop Header: Depth=2
	v_add_u32_e32 v2, s16, v27
	v_add_u32_e32 v3, s16, v29
	buffer_load_dword v4, v2, s[0:3], 0 offen offset:4
	buffer_load_dword v5, v3, s[0:3], 0 offen
	buffer_load_dword v35, v2, s[0:3], 0 offen
	buffer_load_dword v36, v3, s[0:3], 0 offen offset:4
	v_add_u32_e32 v2, s16, v28
	s_add_i32 s16, s16, 8
	s_cmp_lg_u32 s16, 16
	s_waitcnt vmcnt(1)
	v_add_u32_e32 v3, v5, v35
	s_waitcnt vmcnt(0)
	v_add_u32_e32 v4, v36, v4
	buffer_store_dword v4, v2, s[0:3], 0 offen offset:4
	buffer_store_dword v3, v2, s[0:3], 0 offen
	s_cbranch_scc1 .LBB2105_276
; %bb.277:                              ;   in Loop: Header=BB2105_238 Depth=1
	buffer_load_dword v2, off, s[0:3], 0 offset:80
	buffer_load_dword v3, off, s[0:3], 0 offset:84
	buffer_load_dword v4, off, s[0:3], 0 offset:88
	buffer_load_dword v5, off, s[0:3], 0 offset:92
.LBB2105_278:                           ;   in Loop: Header=BB2105_238 Depth=1
	s_or_b64 exec, exec, s[4:5]
	v_and_b32_e32 v33, 1, v33
	v_cmp_eq_u32_e32 vcc, 1, v33
	v_and_b32_e32 v33, 1, v34
	v_cmp_eq_u32_e64 s[4:5], 1, v33
	s_or_b64 s[4:5], vcc, s[4:5]
	v_cndmask_b32_e64 v33, 0, 1, s[4:5]
	buffer_store_byte v33, off, s[0:3], 0 offset:152
	buffer_load_dword v33, off, s[0:3], 0 offset:152
	s_waitcnt vmcnt(4)
	buffer_store_dword v3, off, s[0:3], 0 offset:140
	buffer_store_dword v2, off, s[0:3], 0 offset:136
	s_waitcnt vmcnt(4)
	buffer_store_dword v5, off, s[0:3], 0 offset:148
	buffer_store_dword v4, off, s[0:3], 0 offset:144
.LBB2105_279:                           ;   in Loop: Header=BB2105_238 Depth=1
	s_or_b64 exec, exec, s[14:15]
	ds_bpermute_b32 v35, v23, v2
	s_waitcnt vmcnt(4)
	ds_bpermute_b32 v34, v23, v33
	ds_bpermute_b32 v36, v23, v3
	;; [unrolled: 1-line block ×4, first 2 shown]
	v_cmp_le_u32_e32 vcc, v22, v32
	s_waitcnt lgkmcnt(4)
	buffer_store_dword v35, off, s[0:3], 0
	s_waitcnt lgkmcnt(2)
	buffer_store_dword v36, off, s[0:3], 0 offset:4
	s_waitcnt lgkmcnt(1)
	buffer_store_dword v37, off, s[0:3], 0 offset:8
	;; [unrolled: 2-line block ×3, first 2 shown]
	s_and_saveexec_b64 s[14:15], vcc
	s_cbranch_execz .LBB2105_287
; %bb.280:                              ;   in Loop: Header=BB2105_238 Depth=1
	v_cmp_eq_u16_sdwa s[16:17], v33, v25 src0_sel:BYTE_0 src1_sel:DWORD
	s_and_saveexec_b64 s[4:5], s[16:17]
	s_cbranch_execz .LBB2105_286
; %bb.281:                              ;   in Loop: Header=BB2105_238 Depth=1
	s_mov_b32 s16, 0
.LBB2105_282:                           ;   Parent Loop BB2105_238 Depth=1
                                        ; =>  This Inner Loop Header: Depth=2
	v_add_u32_e32 v2, s16, v28
	s_add_i32 s16, s16, 8
	s_cmp_lg_u32 s16, 16
	buffer_store_dword v25, v2, s[0:3], 0 offen offset:4
	buffer_store_dword v25, v2, s[0:3], 0 offen
	s_cbranch_scc1 .LBB2105_282
; %bb.283:                              ;   in Loop: Header=BB2105_238 Depth=1
	s_mov_b32 s16, 0
.LBB2105_284:                           ;   Parent Loop BB2105_238 Depth=1
                                        ; =>  This Inner Loop Header: Depth=2
	v_add_u32_e32 v2, s16, v27
	v_add_u32_e32 v3, s16, v29
	buffer_load_dword v4, v2, s[0:3], 0 offen offset:4
	buffer_load_dword v5, v3, s[0:3], 0 offen
	buffer_load_dword v35, v2, s[0:3], 0 offen
	buffer_load_dword v36, v3, s[0:3], 0 offen offset:4
	v_add_u32_e32 v2, s16, v28
	s_add_i32 s16, s16, 8
	s_cmp_lg_u32 s16, 16
	s_waitcnt vmcnt(1)
	v_add_u32_e32 v3, v5, v35
	s_waitcnt vmcnt(0)
	v_add_u32_e32 v4, v36, v4
	buffer_store_dword v4, v2, s[0:3], 0 offen offset:4
	buffer_store_dword v3, v2, s[0:3], 0 offen
	s_cbranch_scc1 .LBB2105_284
; %bb.285:                              ;   in Loop: Header=BB2105_238 Depth=1
	buffer_load_dword v2, off, s[0:3], 0 offset:80
	buffer_load_dword v3, off, s[0:3], 0 offset:84
	;; [unrolled: 1-line block ×4, first 2 shown]
.LBB2105_286:                           ;   in Loop: Header=BB2105_238 Depth=1
	s_or_b64 exec, exec, s[4:5]
	v_and_b32_e32 v33, 1, v33
	v_cmp_eq_u32_e32 vcc, 1, v33
	v_and_b32_e32 v33, 1, v34
	v_cmp_eq_u32_e64 s[4:5], 1, v33
	s_or_b64 s[4:5], vcc, s[4:5]
	v_cndmask_b32_e64 v33, 0, 1, s[4:5]
	buffer_store_byte v33, off, s[0:3], 0 offset:152
	buffer_load_dword v33, off, s[0:3], 0 offset:152
	s_waitcnt vmcnt(4)
	buffer_store_dword v3, off, s[0:3], 0 offset:140
	buffer_store_dword v2, off, s[0:3], 0 offset:136
	s_waitcnt vmcnt(4)
	buffer_store_dword v5, off, s[0:3], 0 offset:148
	buffer_store_dword v4, off, s[0:3], 0 offset:144
.LBB2105_287:                           ;   in Loop: Header=BB2105_238 Depth=1
	s_or_b64 exec, exec, s[14:15]
	ds_bpermute_b32 v35, v1, v2
	s_waitcnt vmcnt(4)
	ds_bpermute_b32 v34, v1, v33
	ds_bpermute_b32 v36, v1, v3
	;; [unrolled: 1-line block ×4, first 2 shown]
	v_cmp_le_u32_e32 vcc, v24, v32
	v_and_b32_e32 v32, 1, v33
	v_cmp_eq_u32_e64 s[4:5], 1, v32
	s_waitcnt lgkmcnt(4)
	buffer_store_dword v35, off, s[0:3], 0
	s_waitcnt lgkmcnt(2)
	buffer_store_dword v36, off, s[0:3], 0 offset:4
	s_waitcnt lgkmcnt(1)
	buffer_store_dword v37, off, s[0:3], 0 offset:8
	;; [unrolled: 2-line block ×3, first 2 shown]
	s_and_saveexec_b64 s[14:15], vcc
	s_cbranch_execz .LBB2105_295
; %bb.288:                              ;   in Loop: Header=BB2105_238 Depth=1
	v_cmp_eq_u16_sdwa s[38:39], v33, v25 src0_sel:BYTE_0 src1_sel:DWORD
	s_and_saveexec_b64 s[16:17], s[38:39]
	s_cbranch_execz .LBB2105_294
; %bb.289:                              ;   in Loop: Header=BB2105_238 Depth=1
	s_mov_b32 s38, 0
.LBB2105_290:                           ;   Parent Loop BB2105_238 Depth=1
                                        ; =>  This Inner Loop Header: Depth=2
	v_add_u32_e32 v2, s38, v28
	s_add_i32 s38, s38, 8
	s_cmp_lg_u32 s38, 16
	buffer_store_dword v25, v2, s[0:3], 0 offen offset:4
	buffer_store_dword v25, v2, s[0:3], 0 offen
	s_cbranch_scc1 .LBB2105_290
; %bb.291:                              ;   in Loop: Header=BB2105_238 Depth=1
	s_mov_b32 s38, 0
.LBB2105_292:                           ;   Parent Loop BB2105_238 Depth=1
                                        ; =>  This Inner Loop Header: Depth=2
	v_add_u32_e32 v2, s38, v27
	v_add_u32_e32 v3, s38, v29
	buffer_load_dword v4, v2, s[0:3], 0 offen offset:4
	buffer_load_dword v5, v3, s[0:3], 0 offen
	buffer_load_dword v32, v2, s[0:3], 0 offen
	buffer_load_dword v33, v3, s[0:3], 0 offen offset:4
	v_add_u32_e32 v2, s38, v28
	s_add_i32 s38, s38, 8
	s_cmp_lg_u32 s38, 16
	s_waitcnt vmcnt(1)
	v_add_u32_e32 v3, v5, v32
	s_waitcnt vmcnt(0)
	v_add_u32_e32 v4, v33, v4
	buffer_store_dword v4, v2, s[0:3], 0 offen offset:4
	buffer_store_dword v3, v2, s[0:3], 0 offen
	s_cbranch_scc1 .LBB2105_292
; %bb.293:                              ;   in Loop: Header=BB2105_238 Depth=1
	buffer_load_dword v2, off, s[0:3], 0 offset:80
	buffer_load_dword v3, off, s[0:3], 0 offset:84
	;; [unrolled: 1-line block ×4, first 2 shown]
.LBB2105_294:                           ;   in Loop: Header=BB2105_238 Depth=1
	s_or_b64 exec, exec, s[16:17]
	v_and_b32_e32 v32, 1, v34
	v_cmp_eq_u32_e32 vcc, 1, v32
	s_or_b64 s[16:17], s[4:5], vcc
	v_cndmask_b32_e64 v32, 0, 1, s[16:17]
	s_andn2_b64 s[4:5], s[4:5], exec
	s_and_b64 s[16:17], s[16:17], exec
	s_or_b64 s[4:5], s[4:5], s[16:17]
	s_waitcnt vmcnt(2)
	buffer_store_dword v3, off, s[0:3], 0 offset:140
	buffer_store_dword v2, off, s[0:3], 0 offset:136
	s_waitcnt vmcnt(2)
	buffer_store_dword v5, off, s[0:3], 0 offset:148
	buffer_store_dword v4, off, s[0:3], 0 offset:144
	buffer_store_byte v32, off, s[0:3], 0 offset:152
.LBB2105_295:                           ;   in Loop: Header=BB2105_238 Depth=1
	s_or_b64 exec, exec, s[14:15]
	buffer_load_ubyte v32, off, s[0:3], 0 offset:132
                                        ; implicit-def: $vgpr4_vgpr5
                                        ; implicit-def: $vgpr2_vgpr3
	s_waitcnt vmcnt(0)
	v_cmp_ne_u16_e32 vcc, 0, v32
	s_and_saveexec_b64 s[14:15], vcc
	s_xor_b64 s[14:15], exec, s[14:15]
	s_cbranch_execz .LBB2105_297
; %bb.296:                              ;   in Loop: Header=BB2105_238 Depth=1
	buffer_load_dword v2, off, s[0:3], 0 offset:116
	buffer_load_dword v3, off, s[0:3], 0 offset:120
	;; [unrolled: 1-line block ×4, first 2 shown]
.LBB2105_297:                           ;   in Loop: Header=BB2105_238 Depth=1
	s_andn2_saveexec_b64 s[14:15], s[14:15]
	s_cbranch_execz .LBB2105_303
; %bb.298:                              ;   in Loop: Header=BB2105_238 Depth=1
	s_mov_b32 s16, 0
	s_waitcnt vmcnt(0)
.LBB2105_299:                           ;   Parent Loop BB2105_238 Depth=1
                                        ; =>  This Inner Loop Header: Depth=2
	v_add_u32_e32 v2, s16, v27
	s_add_i32 s16, s16, 8
	s_cmp_lg_u32 s16, 16
	buffer_store_dword v25, v2, s[0:3], 0 offen offset:4
	buffer_store_dword v25, v2, s[0:3], 0 offen
	s_cbranch_scc1 .LBB2105_299
; %bb.300:                              ;   in Loop: Header=BB2105_238 Depth=1
	s_mov_b32 s16, 0
.LBB2105_301:                           ;   Parent Loop BB2105_238 Depth=1
                                        ; =>  This Inner Loop Header: Depth=2
	v_add_u32_e32 v2, s16, v29
	v_add_u32_e32 v3, s16, v30
	buffer_load_dword v4, v2, s[0:3], 0 offen offset:4
	buffer_load_dword v5, v3, s[0:3], 0 offen
	buffer_load_dword v33, v2, s[0:3], 0 offen
	buffer_load_dword v34, v3, s[0:3], 0 offen offset:4
	v_add_u32_e32 v2, s16, v27
	s_add_i32 s16, s16, 8
	s_cmp_lg_u32 s16, 16
	s_waitcnt vmcnt(1)
	v_add_u32_e32 v3, v5, v33
	s_waitcnt vmcnt(0)
	v_add_u32_e32 v4, v34, v4
	buffer_store_dword v4, v2, s[0:3], 0 offen offset:4
	buffer_store_dword v3, v2, s[0:3], 0 offen
	s_cbranch_scc1 .LBB2105_301
; %bb.302:                              ;   in Loop: Header=BB2105_238 Depth=1
	buffer_load_dword v2, off, s[0:3], 0
	buffer_load_dword v3, off, s[0:3], 0 offset:4
	buffer_load_dword v4, off, s[0:3], 0 offset:8
	buffer_load_dword v5, off, s[0:3], 0 offset:12
.LBB2105_303:                           ;   in Loop: Header=BB2105_238 Depth=1
	s_or_b64 exec, exec, s[14:15]
	v_and_b32_e32 v32, 1, v32
	v_cmp_eq_u32_e32 vcc, 1, v32
	s_or_b64 s[4:5], vcc, s[4:5]
	v_subrev_u32_e32 v6, 64, v6
	v_cndmask_b32_e64 v32, 0, 1, s[4:5]
	s_waitcnt vmcnt(2)
	buffer_store_dword v3, off, s[0:3], 0 offset:120
	buffer_store_dword v2, off, s[0:3], 0 offset:116
	s_waitcnt vmcnt(2)
	buffer_store_dword v5, off, s[0:3], 0 offset:128
	buffer_store_dword v4, off, s[0:3], 0 offset:124
	buffer_store_byte v32, off, s[0:3], 0 offset:132
	s_branch .LBB2105_238
.LBB2105_304:
	buffer_load_dword v1, off, s[0:3], 0 offset:120
	buffer_load_dword v2, off, s[0:3], 0 offset:116
	;; [unrolled: 1-line block ×5, first 2 shown]
	s_waitcnt vmcnt(4)
	buffer_store_dword v1, off, s[0:3], 0 offset:4
	s_waitcnt vmcnt(4)
	buffer_store_dword v2, off, s[0:3], 0
	s_waitcnt vmcnt(4)
	buffer_store_dword v3, off, s[0:3], 0 offset:12
	s_waitcnt vmcnt(4)
	buffer_store_dword v4, off, s[0:3], 0 offset:8
	;; [unrolled: 2-line block ×3, first 2 shown]
	s_and_saveexec_b64 s[4:5], s[10:11]
	s_cbranch_execz .LBB2105_314
; %bb.305:
	buffer_load_ubyte v1, off, s[0:3], 0 offset:172
                                        ; implicit-def: $vgpr4_vgpr5
	s_waitcnt vmcnt(0)
	v_cmp_ne_u16_e32 vcc, 0, v1
	s_and_saveexec_b64 s[10:11], vcc
	s_xor_b64 s[10:11], exec, s[10:11]
	s_cbranch_execz .LBB2105_307
; %bb.306:
	buffer_load_dword v2, off, s[0:3], 0 offset:156
	buffer_load_dword v3, off, s[0:3], 0 offset:160
	;; [unrolled: 1-line block ×4, first 2 shown]
.LBB2105_307:
	s_andn2_saveexec_b64 s[10:11], s[10:11]
	s_cbranch_execz .LBB2105_313
; %bb.308:
	s_mov_b32 s14, 0
	s_waitcnt vmcnt(3)
	v_mov_b32_e32 v2, 0x60
	s_waitcnt vmcnt(2)
	v_mov_b32_e32 v3, 0
	s_waitcnt vmcnt(0)
.LBB2105_309:                           ; =>This Inner Loop Header: Depth=1
	v_add_u32_e32 v4, s14, v2
	s_add_i32 s14, s14, 8
	s_cmp_lg_u32 s14, 16
	buffer_store_dword v3, v4, s[0:3], 0 offen offset:4
	buffer_store_dword v3, v4, s[0:3], 0 offen
	s_cbranch_scc1 .LBB2105_309
; %bb.310:
	s_mov_b32 s14, 0
	v_mov_b32_e32 v2, 0
	v_mov_b32_e32 v3, 0x9c
	;; [unrolled: 1-line block ×3, first 2 shown]
.LBB2105_311:                           ; =>This Inner Loop Header: Depth=1
	v_add_u32_e32 v5, s14, v2
	v_add_u32_e32 v7, s14, v3
	buffer_load_dword v8, v5, s[0:3], 0 offen offset:4
	buffer_load_dword v9, v7, s[0:3], 0 offen
	buffer_load_dword v14, v5, s[0:3], 0 offen
	buffer_load_dword v15, v7, s[0:3], 0 offen offset:4
                                        ; kill: killed $vgpr5
	v_add_u32_e32 v5, s14, v4
	s_add_i32 s14, s14, 8
	s_cmp_lg_u32 s14, 16
                                        ; kill: killed $vgpr7
	s_waitcnt vmcnt(1)
	v_add_u32_e32 v7, v9, v14
	s_waitcnt vmcnt(0)
	v_add_u32_e32 v8, v15, v8
	buffer_store_dword v8, v5, s[0:3], 0 offen offset:4
	buffer_store_dword v7, v5, s[0:3], 0 offen
	s_cbranch_scc1 .LBB2105_311
; %bb.312:
	buffer_load_dword v2, off, s[0:3], 0 offset:96
	buffer_load_dword v3, off, s[0:3], 0 offset:100
	;; [unrolled: 1-line block ×4, first 2 shown]
.LBB2105_313:
	s_or_b64 exec, exec, s[10:11]
	s_add_i32 s14, s33, 64
	s_mul_i32 s10, s14, 20
	v_or_b32_e32 v1, v1, v6
	s_mul_hi_u32 s11, s14, 20
	s_add_u32 s10, s22, s10
	v_and_b32_e32 v1, 1, v1
	s_addc_u32 s11, s23, s11
	v_mov_b32_e32 v6, 0
	s_waitcnt vmcnt(0)
	global_store_dwordx4 v6, v[2:5], s[10:11]
	global_store_byte v6, v1, s[10:11] offset:16
	v_mov_b32_e32 v1, s14
	v_mov_b32_e32 v2, 2
	s_waitcnt vmcnt(0)
	buffer_wbinvl1_vol
	global_store_byte v1, v2, s[24:25]
	buffer_load_dword v2, off, s[0:3], 0
	s_nop 0
	buffer_load_dword v1, off, s[0:3], 0 offset:4
	buffer_load_dword v4, off, s[0:3], 0 offset:8
	;; [unrolled: 1-line block ×3, first 2 shown]
	buffer_load_ubyte v6, off, s[0:3], 0 offset:16
.LBB2105_314:
	s_or_b64 exec, exec, s[4:5]
	s_and_b64 exec, exec, s[18:19]
	s_cbranch_execz .LBB2105_316
; %bb.315:
	v_mov_b32_e32 v5, 0
	s_waitcnt vmcnt(3)
	ds_write2_b32 v5, v2, v1 offset0:15 offset1:16
	s_waitcnt vmcnt(1)
	ds_write2_b32 v5, v4, v3 offset0:17 offset1:18
	s_waitcnt vmcnt(0)
	ds_write_b8 v5, v6 offset:76
.LBB2105_316:
	s_or_b64 exec, exec, s[12:13]
	s_waitcnt lgkmcnt(0)
	s_barrier
	buffer_load_dword v1, off, s[0:3], 0 offset:220
	buffer_load_dword v7, off, s[0:3], 0 offset:216
	;; [unrolled: 1-line block ×5, first 2 shown]
	s_waitcnt vmcnt(5)
	v_mov_b32_e32 v6, 0
	ds_read2_b32 v[2:3], v6 offset0:15 offset1:16
	ds_read2_b32 v[4:5], v6 offset0:17 offset1:18
	ds_read_b32 v6, v6 offset:76
	s_waitcnt lgkmcnt(2)
	buffer_store_dword v3, off, s[0:3], 0 offset:4
	buffer_store_dword v2, off, s[0:3], 0
	s_waitcnt lgkmcnt(1)
	buffer_store_dword v5, off, s[0:3], 0 offset:12
	buffer_store_dword v4, off, s[0:3], 0 offset:8
	s_waitcnt lgkmcnt(0)
	buffer_store_dword v6, off, s[0:3], 0 offset:16
	buffer_store_dword v5, off, s[0:3], 0 offset:128
	;; [unrolled: 1-line block ×5, first 2 shown]
	s_waitcnt vmcnt(13)
	buffer_store_dword v1, off, s[0:3], 0 offset:108
	s_waitcnt vmcnt(13)
	buffer_store_dword v7, off, s[0:3], 0 offset:104
	;; [unrolled: 2-line block ×5, first 2 shown]
	buffer_store_dword v6, off, s[0:3], 0 offset:132
                                        ; implicit-def: $vgpr1
	s_and_saveexec_b64 s[4:5], s[8:9]
	s_xor_b64 s[4:5], exec, s[4:5]
	s_cbranch_execz .LBB2105_326
; %bb.317:
	buffer_load_ubyte v1, off, s[0:3], 0 offset:192
                                        ; implicit-def: $vgpr4_vgpr5
                                        ; implicit-def: $vgpr2_vgpr3
	s_waitcnt vmcnt(0)
	v_cmp_ne_u16_e32 vcc, 0, v1
	s_and_saveexec_b64 s[10:11], vcc
	s_xor_b64 s[10:11], exec, s[10:11]
	s_cbranch_execz .LBB2105_319
; %bb.318:
	buffer_load_dword v2, off, s[0:3], 0 offset:176
	buffer_load_dword v3, off, s[0:3], 0 offset:180
	;; [unrolled: 1-line block ×4, first 2 shown]
.LBB2105_319:
	s_andn2_saveexec_b64 s[10:11], s[10:11]
	s_cbranch_execz .LBB2105_325
; %bb.320:
	s_mov_b32 s12, 0
	s_waitcnt vmcnt(3)
	v_mov_b32_e32 v2, 0x88
	s_waitcnt vmcnt(2)
	v_mov_b32_e32 v3, 0
	s_waitcnt vmcnt(0)
.LBB2105_321:                           ; =>This Inner Loop Header: Depth=1
	v_add_u32_e32 v4, s12, v2
	s_add_i32 s12, s12, 8
	s_cmp_lg_u32 s12, 16
	buffer_store_dword v3, v4, s[0:3], 0 offen offset:4
	buffer_store_dword v3, v4, s[0:3], 0 offen
	s_cbranch_scc1 .LBB2105_321
; %bb.322:
	s_mov_b32 s12, 0
	v_mov_b32_e32 v2, 0
	v_mov_b32_e32 v3, 0xb0
	;; [unrolled: 1-line block ×3, first 2 shown]
.LBB2105_323:                           ; =>This Inner Loop Header: Depth=1
	v_add_u32_e32 v5, s12, v2
	v_add_u32_e32 v7, s12, v3
	buffer_load_dword v8, v5, s[0:3], 0 offen offset:4
	buffer_load_dword v9, v7, s[0:3], 0 offen
	buffer_load_dword v14, v5, s[0:3], 0 offen
	buffer_load_dword v15, v7, s[0:3], 0 offen offset:4
                                        ; kill: killed $vgpr5
	v_add_u32_e32 v5, s12, v4
	s_add_i32 s12, s12, 8
	s_cmp_lg_u32 s12, 16
                                        ; kill: killed $vgpr7
	s_waitcnt vmcnt(1)
	v_add_u32_e32 v7, v9, v14
	s_waitcnt vmcnt(0)
	v_add_u32_e32 v8, v15, v8
	buffer_store_dword v8, v5, s[0:3], 0 offen offset:4
	buffer_store_dword v7, v5, s[0:3], 0 offen
	s_cbranch_scc1 .LBB2105_323
; %bb.324:
	buffer_load_dword v2, off, s[0:3], 0 offset:136
	buffer_load_dword v3, off, s[0:3], 0 offset:140
	;; [unrolled: 1-line block ×4, first 2 shown]
.LBB2105_325:
	s_or_b64 exec, exec, s[10:11]
	v_or_b32_e32 v1, v1, v6
	v_and_b32_e32 v1, 1, v1
	s_waitcnt vmcnt(2)
	buffer_store_dword v3, off, s[0:3], 0 offset:120
	buffer_store_dword v2, off, s[0:3], 0 offset:116
	s_waitcnt vmcnt(2)
	buffer_store_dword v5, off, s[0:3], 0 offset:128
	buffer_store_dword v4, off, s[0:3], 0 offset:124
.LBB2105_326:
	s_andn2_saveexec_b64 s[4:5], s[4:5]
	s_cbranch_execz .LBB2105_328
; %bb.327:
	buffer_load_ubyte v1, off, s[0:3], 0 offset:132
.LBB2105_328:
	s_or_b64 exec, exec, s[4:5]
	buffer_load_dword v2, off, s[0:3], 0 offset:128
	buffer_load_dword v3, off, s[0:3], 0 offset:124
	;; [unrolled: 1-line block ×4, first 2 shown]
	buffer_load_ubyte v7, off, s[0:3], 0 offset:112
	s_waitcnt vmcnt(5)
	buffer_store_byte v1, off, s[0:3], 0 offset:224
	s_waitcnt vmcnt(5)
	buffer_store_dword v2, off, s[0:3], 0 offset:220
	s_waitcnt vmcnt(5)
	buffer_store_dword v3, off, s[0:3], 0 offset:216
	;; [unrolled: 2-line block ×4, first 2 shown]
	s_waitcnt vmcnt(5)
	v_cmp_ne_u16_e32 vcc, 0, v7
                                        ; implicit-def: $vgpr4_vgpr5
                                        ; implicit-def: $vgpr2_vgpr3
	s_and_saveexec_b64 s[4:5], vcc
	s_xor_b64 s[4:5], exec, s[4:5]
	s_cbranch_execz .LBB2105_330
; %bb.329:
	buffer_load_dword v2, off, s[0:3], 0 offset:96
	buffer_load_dword v3, off, s[0:3], 0 offset:100
	;; [unrolled: 1-line block ×4, first 2 shown]
.LBB2105_330:
	s_andn2_saveexec_b64 s[4:5], s[4:5]
	s_cbranch_execz .LBB2105_336
; %bb.331:
	s_mov_b32 s10, 0
	s_waitcnt vmcnt(3)
	v_mov_b32_e32 v2, 0x88
	s_waitcnt vmcnt(2)
	v_mov_b32_e32 v3, 0
	s_waitcnt vmcnt(0)
.LBB2105_332:                           ; =>This Inner Loop Header: Depth=1
	v_add_u32_e32 v4, s10, v2
	s_add_i32 s10, s10, 8
	s_cmp_lg_u32 s10, 16
	buffer_store_dword v3, v4, s[0:3], 0 offen offset:4
	buffer_store_dword v3, v4, s[0:3], 0 offen
	s_cbranch_scc1 .LBB2105_332
; %bb.333:
	s_mov_b32 s10, 0
	v_mov_b32_e32 v2, 0x74
	v_mov_b32_e32 v3, 0x60
	v_mov_b32_e32 v4, 0x88
.LBB2105_334:                           ; =>This Inner Loop Header: Depth=1
	v_add_u32_e32 v5, s10, v2
	v_add_u32_e32 v6, s10, v3
	buffer_load_dword v8, v5, s[0:3], 0 offen offset:4
	buffer_load_dword v9, v6, s[0:3], 0 offen
	buffer_load_dword v14, v5, s[0:3], 0 offen
	buffer_load_dword v15, v6, s[0:3], 0 offen offset:4
                                        ; kill: killed $vgpr5
	v_add_u32_e32 v5, s10, v4
	s_add_i32 s10, s10, 8
	s_cmp_lg_u32 s10, 16
                                        ; kill: killed $vgpr6
	s_waitcnt vmcnt(1)
	v_add_u32_e32 v6, v9, v14
	s_waitcnt vmcnt(0)
	v_add_u32_e32 v8, v15, v8
	buffer_store_dword v8, v5, s[0:3], 0 offen offset:4
	buffer_store_dword v6, v5, s[0:3], 0 offen
	s_cbranch_scc1 .LBB2105_334
; %bb.335:
	buffer_load_dword v2, off, s[0:3], 0 offset:136
	buffer_load_dword v3, off, s[0:3], 0 offset:140
	;; [unrolled: 1-line block ×4, first 2 shown]
.LBB2105_336:
	s_or_b64 exec, exec, s[4:5]
	buffer_load_dword v8, v10, s[0:3], 0 offen offset:12
	buffer_load_dword v9, v10, s[0:3], 0 offen offset:8
	;; [unrolled: 1-line block ×3, first 2 shown]
	buffer_load_dword v15, v10, s[0:3], 0 offen
	buffer_load_ubyte v6, off, s[0:3], 0 offset:244
	v_or_b32_e32 v1, v7, v1
	v_and_b32_e32 v1, 1, v1
	v_cmp_eq_u32_e32 vcc, 1, v1
	s_waitcnt vmcnt(7)
	buffer_store_dword v3, off, s[0:3], 0 offset:120
	buffer_store_dword v2, off, s[0:3], 0 offset:116
	s_waitcnt vmcnt(7)
	buffer_store_dword v5, off, s[0:3], 0 offset:128
	buffer_store_dword v4, off, s[0:3], 0 offset:124
	buffer_store_dword v2, v10, s[0:3], 0 offen
	buffer_store_dword v3, v10, s[0:3], 0 offen offset:4
	buffer_store_dword v4, v10, s[0:3], 0 offen offset:8
	;; [unrolled: 1-line block ×3, first 2 shown]
                                        ; implicit-def: $vgpr4_vgpr5
                                        ; implicit-def: $vgpr2_vgpr3
	buffer_store_byte v1, off, s[0:3], 0 offset:244
	s_waitcnt vmcnt(13)
	buffer_store_dword v8, off, s[0:3], 0 offset:108
	s_waitcnt vmcnt(13)
	buffer_store_dword v9, off, s[0:3], 0 offset:104
	;; [unrolled: 2-line block ×4, first 2 shown]
	s_waitcnt vmcnt(13)
	v_cmp_ne_u16_e64 s[4:5], 0, v6
	s_and_saveexec_b64 s[10:11], s[4:5]
	s_xor_b64 s[4:5], exec, s[10:11]
	s_cbranch_execz .LBB2105_338
; %bb.337:
	buffer_load_dword v2, off, s[0:3], 0 offset:96
	buffer_load_dword v3, off, s[0:3], 0 offset:100
	buffer_load_dword v4, off, s[0:3], 0 offset:104
	buffer_load_dword v5, off, s[0:3], 0 offset:108
.LBB2105_338:
	s_andn2_saveexec_b64 s[4:5], s[4:5]
	s_cbranch_execz .LBB2105_344
; %bb.339:
	s_mov_b32 s10, 0
	v_mov_b32_e32 v1, 0x88
	s_waitcnt vmcnt(3)
	v_mov_b32_e32 v2, 0
	s_waitcnt vmcnt(0)
.LBB2105_340:                           ; =>This Inner Loop Header: Depth=1
	v_add_u32_e32 v3, s10, v1
	s_add_i32 s10, s10, 8
	s_cmp_lg_u32 s10, 16
	buffer_store_dword v2, v3, s[0:3], 0 offen offset:4
	buffer_store_dword v2, v3, s[0:3], 0 offen
	s_cbranch_scc1 .LBB2105_340
; %bb.341:
	s_mov_b32 s10, 0
	v_mov_b32_e32 v1, 0x74
	v_mov_b32_e32 v2, 0x60
	;; [unrolled: 1-line block ×3, first 2 shown]
.LBB2105_342:                           ; =>This Inner Loop Header: Depth=1
	v_add_u32_e32 v4, s10, v1
	v_add_u32_e32 v5, s10, v2
	buffer_load_dword v7, v4, s[0:3], 0 offen offset:4
	buffer_load_dword v8, v5, s[0:3], 0 offen
	buffer_load_dword v9, v4, s[0:3], 0 offen
	buffer_load_dword v14, v5, s[0:3], 0 offen offset:4
                                        ; kill: killed $vgpr4
	v_add_u32_e32 v4, s10, v3
	s_add_i32 s10, s10, 8
	s_cmp_lg_u32 s10, 16
                                        ; kill: killed $vgpr5
	s_waitcnt vmcnt(1)
	v_add_u32_e32 v5, v8, v9
	s_waitcnt vmcnt(0)
	v_add_u32_e32 v7, v14, v7
	buffer_store_dword v7, v4, s[0:3], 0 offen offset:4
	buffer_store_dword v5, v4, s[0:3], 0 offen
	s_cbranch_scc1 .LBB2105_342
; %bb.343:
	buffer_load_dword v2, off, s[0:3], 0 offset:136
	buffer_load_dword v3, off, s[0:3], 0 offset:140
	;; [unrolled: 1-line block ×4, first 2 shown]
.LBB2105_344:
	s_or_b64 exec, exec, s[4:5]
	buffer_load_dword v7, v11, s[0:3], 0 offen offset:12
	buffer_load_dword v8, v11, s[0:3], 0 offen offset:8
	;; [unrolled: 1-line block ×3, first 2 shown]
	buffer_load_dword v14, v11, s[0:3], 0 offen
	buffer_load_ubyte v1, off, s[0:3], 0 offset:264
	v_and_b32_e32 v6, 1, v6
	v_cmp_eq_u32_e64 s[4:5], 1, v6
	s_or_b64 s[4:5], s[4:5], vcc
	s_waitcnt vmcnt(7)
	buffer_store_dword v3, off, s[0:3], 0 offset:120
	buffer_store_dword v2, off, s[0:3], 0 offset:116
	s_waitcnt vmcnt(7)
	buffer_store_dword v5, off, s[0:3], 0 offset:128
	buffer_store_dword v4, off, s[0:3], 0 offset:124
	buffer_store_dword v2, v11, s[0:3], 0 offen
	buffer_store_dword v3, v11, s[0:3], 0 offen offset:4
	buffer_store_dword v4, v11, s[0:3], 0 offen offset:8
	;; [unrolled: 1-line block ×3, first 2 shown]
	v_cndmask_b32_e64 v2, 0, 1, s[4:5]
                                        ; implicit-def: $vgpr4_vgpr5
	buffer_store_byte v2, off, s[0:3], 0 offset:264
	s_waitcnt vmcnt(13)
	buffer_store_dword v7, off, s[0:3], 0 offset:108
	s_waitcnt vmcnt(13)
	buffer_store_dword v8, off, s[0:3], 0 offset:104
	s_waitcnt vmcnt(13)
	buffer_store_dword v9, off, s[0:3], 0 offset:100
	s_waitcnt vmcnt(13)
	buffer_store_dword v14, off, s[0:3], 0 offset:96
	s_waitcnt vmcnt(13)
	v_cmp_ne_u16_e32 vcc, 0, v1
                                        ; implicit-def: $vgpr2_vgpr3
	s_and_saveexec_b64 s[10:11], vcc
	s_xor_b64 s[10:11], exec, s[10:11]
	s_cbranch_execz .LBB2105_346
; %bb.345:
	buffer_load_dword v2, off, s[0:3], 0 offset:96
	buffer_load_dword v3, off, s[0:3], 0 offset:100
	;; [unrolled: 1-line block ×4, first 2 shown]
.LBB2105_346:
	s_andn2_saveexec_b64 s[10:11], s[10:11]
	s_cbranch_execz .LBB2105_352
; %bb.347:
	s_mov_b32 s12, 0
	s_waitcnt vmcnt(3)
	v_mov_b32_e32 v2, 0x88
	s_waitcnt vmcnt(2)
	v_mov_b32_e32 v3, 0
	s_waitcnt vmcnt(0)
.LBB2105_348:                           ; =>This Inner Loop Header: Depth=1
	v_add_u32_e32 v4, s12, v2
	s_add_i32 s12, s12, 8
	s_cmp_lg_u32 s12, 16
	buffer_store_dword v3, v4, s[0:3], 0 offen offset:4
	buffer_store_dword v3, v4, s[0:3], 0 offen
	s_cbranch_scc1 .LBB2105_348
; %bb.349:
	s_mov_b32 s12, 0
	v_mov_b32_e32 v2, 0x74
	v_mov_b32_e32 v3, 0x60
	v_mov_b32_e32 v4, 0x88
.LBB2105_350:                           ; =>This Inner Loop Header: Depth=1
	v_add_u32_e32 v5, s12, v2
	v_add_u32_e32 v6, s12, v3
	buffer_load_dword v7, v5, s[0:3], 0 offen offset:4
	buffer_load_dword v8, v6, s[0:3], 0 offen
	buffer_load_dword v9, v5, s[0:3], 0 offen
	buffer_load_dword v14, v6, s[0:3], 0 offen offset:4
                                        ; kill: killed $vgpr5
	v_add_u32_e32 v5, s12, v4
	s_add_i32 s12, s12, 8
	s_cmp_lg_u32 s12, 16
                                        ; kill: killed $vgpr6
	s_waitcnt vmcnt(1)
	v_add_u32_e32 v6, v8, v9
	s_waitcnt vmcnt(0)
	v_add_u32_e32 v7, v14, v7
	buffer_store_dword v7, v5, s[0:3], 0 offen offset:4
	buffer_store_dword v6, v5, s[0:3], 0 offen
	s_cbranch_scc1 .LBB2105_350
; %bb.351:
	buffer_load_dword v2, off, s[0:3], 0 offset:136
	buffer_load_dword v3, off, s[0:3], 0 offset:140
	buffer_load_dword v4, off, s[0:3], 0 offset:144
	buffer_load_dword v5, off, s[0:3], 0 offset:148
.LBB2105_352:
	s_or_b64 exec, exec, s[10:11]
	buffer_load_dword v7, v12, s[0:3], 0 offen offset:12
	buffer_load_dword v8, v12, s[0:3], 0 offen offset:8
	;; [unrolled: 1-line block ×3, first 2 shown]
	buffer_load_dword v14, v12, s[0:3], 0 offen
	buffer_load_ubyte v6, off, s[0:3], 0 offset:284
	v_and_b32_e32 v1, 1, v1
	v_cmp_eq_u32_e32 vcc, 1, v1
	s_or_b64 s[4:5], vcc, s[4:5]
	v_cndmask_b32_e64 v1, 0, 1, s[4:5]
	s_waitcnt vmcnt(7)
	buffer_store_dword v3, off, s[0:3], 0 offset:120
	buffer_store_dword v2, off, s[0:3], 0 offset:116
	s_waitcnt vmcnt(7)
	buffer_store_dword v5, off, s[0:3], 0 offset:128
	buffer_store_dword v4, off, s[0:3], 0 offset:124
	buffer_store_dword v2, v12, s[0:3], 0 offen
	buffer_store_dword v3, v12, s[0:3], 0 offen offset:4
	buffer_store_dword v4, v12, s[0:3], 0 offen offset:8
	;; [unrolled: 1-line block ×3, first 2 shown]
                                        ; implicit-def: $vgpr4_vgpr5
                                        ; implicit-def: $vgpr2_vgpr3
	buffer_store_byte v1, off, s[0:3], 0 offset:284
	s_waitcnt vmcnt(13)
	buffer_store_dword v7, off, s[0:3], 0 offset:108
	s_waitcnt vmcnt(13)
	buffer_store_dword v8, off, s[0:3], 0 offset:104
	;; [unrolled: 2-line block ×4, first 2 shown]
	s_waitcnt vmcnt(13)
	v_cmp_ne_u16_e32 vcc, 0, v6
	s_and_saveexec_b64 s[10:11], vcc
	s_xor_b64 s[10:11], exec, s[10:11]
	s_cbranch_execz .LBB2105_354
; %bb.353:
	buffer_load_dword v2, off, s[0:3], 0 offset:96
	buffer_load_dword v3, off, s[0:3], 0 offset:100
	;; [unrolled: 1-line block ×4, first 2 shown]
.LBB2105_354:
	s_andn2_saveexec_b64 s[10:11], s[10:11]
	s_cbranch_execz .LBB2105_360
; %bb.355:
	s_mov_b32 s12, 0
	v_mov_b32_e32 v1, 0x88
	s_waitcnt vmcnt(3)
	v_mov_b32_e32 v2, 0
	s_waitcnt vmcnt(0)
.LBB2105_356:                           ; =>This Inner Loop Header: Depth=1
	v_add_u32_e32 v3, s12, v1
	s_add_i32 s12, s12, 8
	s_cmp_lg_u32 s12, 16
	buffer_store_dword v2, v3, s[0:3], 0 offen offset:4
	buffer_store_dword v2, v3, s[0:3], 0 offen
	s_cbranch_scc1 .LBB2105_356
; %bb.357:
	s_mov_b32 s12, 0
	v_mov_b32_e32 v1, 0x74
	v_mov_b32_e32 v2, 0x60
	;; [unrolled: 1-line block ×3, first 2 shown]
.LBB2105_358:                           ; =>This Inner Loop Header: Depth=1
	v_add_u32_e32 v4, s12, v1
	v_add_u32_e32 v5, s12, v2
	buffer_load_dword v7, v4, s[0:3], 0 offen offset:4
	buffer_load_dword v8, v5, s[0:3], 0 offen
	buffer_load_dword v9, v4, s[0:3], 0 offen
	buffer_load_dword v14, v5, s[0:3], 0 offen offset:4
                                        ; kill: killed $vgpr4
	v_add_u32_e32 v4, s12, v3
	s_add_i32 s12, s12, 8
	s_cmp_lg_u32 s12, 16
                                        ; kill: killed $vgpr5
	s_waitcnt vmcnt(1)
	v_add_u32_e32 v5, v8, v9
	s_waitcnt vmcnt(0)
	v_add_u32_e32 v7, v14, v7
	buffer_store_dword v7, v4, s[0:3], 0 offen offset:4
	buffer_store_dword v5, v4, s[0:3], 0 offen
	s_cbranch_scc1 .LBB2105_358
; %bb.359:
	buffer_load_dword v2, off, s[0:3], 0 offset:136
	buffer_load_dword v3, off, s[0:3], 0 offset:140
	;; [unrolled: 1-line block ×4, first 2 shown]
.LBB2105_360:
	s_or_b64 exec, exec, s[10:11]
	v_and_b32_e32 v1, 1, v6
	v_cmp_eq_u32_e32 vcc, 1, v1
	s_or_b64 s[4:5], vcc, s[4:5]
	v_cndmask_b32_e64 v1, 0, 1, s[4:5]
	s_waitcnt vmcnt(0)
	buffer_store_dword v5, v13, s[0:3], 0 offen offset:12
	buffer_store_dword v4, v13, s[0:3], 0 offen offset:8
	;; [unrolled: 1-line block ×3, first 2 shown]
	buffer_store_dword v2, v13, s[0:3], 0 offen
	buffer_store_byte v1, off, s[0:3], 0 offset:304
	s_branch .LBB2105_535
.LBB2105_361:
	s_cbranch_execz .LBB2105_535
; %bb.362:
	s_cmp_lg_u64 s[48:49], 0
	s_cselect_b32 s5, s47, 0
	s_cselect_b32 s4, s46, 0
	s_mov_b32 s10, 0
	s_cmp_eq_u64 s[4:5], 0
	v_pk_mov_b32 v[2:3], s[28:29], s[28:29] op_sel:[0,1]
	v_pk_mov_b32 v[4:5], s[30:31], s[30:31] op_sel:[0,1]
	s_cbranch_scc1 .LBB2105_364
; %bb.363:
	v_mov_b32_e32 v1, 0
	global_load_dwordx4 v[2:5], v1, s[4:5]
.LBB2105_364:
	v_mov_b32_e32 v1, 0
	v_mov_b32_e32 v6, 0xb0
	buffer_store_dword v1, off, s[0:3], 0 offset:188
	buffer_store_dword v1, off, s[0:3], 0 offset:184
	;; [unrolled: 1-line block ×5, first 2 shown]
.LBB2105_365:                           ; =>This Inner Loop Header: Depth=1
	v_add_u32_e32 v7, s10, v6
	s_add_i32 s10, s10, 8
	s_cmp_lg_u32 s10, 16
	buffer_store_dword v1, v7, s[0:3], 0 offen offset:4
	buffer_store_dword v1, v7, s[0:3], 0 offen
	s_cbranch_scc1 .LBB2105_365
; %bb.366:
	buffer_load_dword v6, off, s[0:3], 0 offset:220
	buffer_load_dword v7, off, s[0:3], 0 offset:216
	;; [unrolled: 1-line block ×5, first 2 shown]
	buffer_load_ubyte v14, off, s[0:3], 0 offset:244
	v_mov_b32_e32 v15, 0
	s_waitcnt vmcnt(13)
	buffer_store_dword v3, off, s[0:3], 0 offset:160
	buffer_store_dword v2, off, s[0:3], 0 offset:156
	;; [unrolled: 1-line block ×4, first 2 shown]
	buffer_store_byte v15, off, s[0:3], 0 offset:192
	buffer_store_byte v15, off, s[0:3], 0 offset:172
	s_waitcnt vmcnt(11)
	buffer_store_dword v6, off, s[0:3], 0 offset:148
	s_waitcnt vmcnt(11)
	buffer_store_dword v7, off, s[0:3], 0 offset:144
	s_waitcnt vmcnt(11)
	buffer_store_dword v8, off, s[0:3], 0 offset:140
	s_waitcnt vmcnt(11)
	buffer_store_dword v9, off, s[0:3], 0 offset:136
	s_waitcnt vmcnt(11)
	buffer_store_dword v1, off, s[0:3], 0 offset:152
	s_waitcnt vmcnt(11)
	v_cmp_ne_u16_e32 vcc, 0, v14
                                        ; implicit-def: $vgpr8_vgpr9
                                        ; implicit-def: $vgpr6_vgpr7
	s_and_saveexec_b64 s[4:5], vcc
	s_xor_b64 s[4:5], exec, s[4:5]
	s_cbranch_execz .LBB2105_368
; %bb.367:
	buffer_load_dword v6, off, s[0:3], 0 offset:228
	buffer_load_dword v7, off, s[0:3], 0 offset:232
	;; [unrolled: 1-line block ×4, first 2 shown]
.LBB2105_368:
	s_andn2_saveexec_b64 s[4:5], s[4:5]
	s_cbranch_execz .LBB2105_374
; %bb.369:
	s_mov_b32 s10, 0
	s_waitcnt vmcnt(3)
	v_mov_b32_e32 v6, 0
	s_waitcnt vmcnt(2)
	v_mov_b32_e32 v7, 0
	s_waitcnt vmcnt(0)
.LBB2105_370:                           ; =>This Inner Loop Header: Depth=1
	v_add_u32_e32 v8, s10, v6
	s_add_i32 s10, s10, 8
	s_cmp_lg_u32 s10, 16
	buffer_store_dword v7, v8, s[0:3], 0 offen offset:4
	buffer_store_dword v7, v8, s[0:3], 0 offen
	s_cbranch_scc1 .LBB2105_370
; %bb.371:
	s_mov_b32 s10, 0
	v_mov_b32_e32 v6, 0x88
	v_mov_b32_e32 v7, 0xd0
	v_mov_b32_e32 v8, 0
.LBB2105_372:                           ; =>This Inner Loop Header: Depth=1
	v_add_u32_e32 v9, s10, v6
	v_add_u32_e32 v15, s10, v7
	buffer_load_dword v16, v9, s[0:3], 0 offen offset:4
	buffer_load_dword v17, v15, s[0:3], 0 offen offset:20
	buffer_load_dword v18, v9, s[0:3], 0 offen
	buffer_load_dword v19, v15, s[0:3], 0 offen offset:24
                                        ; kill: killed $vgpr9
	v_add_u32_e32 v9, s10, v8
	s_add_i32 s10, s10, 8
	s_cmp_lg_u32 s10, 16
                                        ; kill: killed $vgpr15
	s_waitcnt vmcnt(1)
	v_add_u32_e32 v15, v17, v18
	s_waitcnt vmcnt(0)
	v_add_u32_e32 v16, v19, v16
	buffer_store_dword v16, v9, s[0:3], 0 offen offset:4
	buffer_store_dword v15, v9, s[0:3], 0 offen
	s_cbranch_scc1 .LBB2105_372
; %bb.373:
	buffer_load_dword v6, off, s[0:3], 0
	buffer_load_dword v7, off, s[0:3], 0 offset:4
	buffer_load_dword v8, off, s[0:3], 0 offset:8
	;; [unrolled: 1-line block ×3, first 2 shown]
.LBB2105_374:
	s_or_b64 exec, exec, s[4:5]
	buffer_load_ubyte v15, off, s[0:3], 0 offset:264
	s_waitcnt vmcnt(3)
	buffer_store_dword v7, off, s[0:3], 0 offset:140
	buffer_store_dword v6, off, s[0:3], 0 offset:136
	s_waitcnt vmcnt(3)
	buffer_store_dword v9, off, s[0:3], 0 offset:148
	buffer_store_dword v8, off, s[0:3], 0 offset:144
                                        ; implicit-def: $vgpr8_vgpr9
                                        ; implicit-def: $vgpr6_vgpr7
	s_waitcnt vmcnt(4)
	v_cmp_ne_u16_e32 vcc, 0, v15
	s_and_saveexec_b64 s[4:5], vcc
	s_xor_b64 s[4:5], exec, s[4:5]
	s_cbranch_execz .LBB2105_376
; %bb.375:
	buffer_load_dword v6, off, s[0:3], 0 offset:248
	buffer_load_dword v7, off, s[0:3], 0 offset:252
	;; [unrolled: 1-line block ×4, first 2 shown]
.LBB2105_376:
	s_andn2_saveexec_b64 s[4:5], s[4:5]
	s_cbranch_execz .LBB2105_382
; %bb.377:
	s_mov_b32 s10, 0
	s_waitcnt vmcnt(3)
	v_mov_b32_e32 v6, 0
	s_waitcnt vmcnt(2)
	v_mov_b32_e32 v7, 0
	s_waitcnt vmcnt(0)
.LBB2105_378:                           ; =>This Inner Loop Header: Depth=1
	v_add_u32_e32 v8, s10, v6
	s_add_i32 s10, s10, 8
	s_cmp_lg_u32 s10, 16
	buffer_store_dword v7, v8, s[0:3], 0 offen offset:4
	buffer_store_dword v7, v8, s[0:3], 0 offen
	s_cbranch_scc1 .LBB2105_378
; %bb.379:
	s_mov_b32 s10, 0
	v_mov_b32_e32 v6, 0x88
	v_mov_b32_e32 v7, 0xd0
	;; [unrolled: 1-line block ×3, first 2 shown]
.LBB2105_380:                           ; =>This Inner Loop Header: Depth=1
	v_add_u32_e32 v9, s10, v6
	v_add_u32_e32 v16, s10, v7
	buffer_load_dword v17, v9, s[0:3], 0 offen offset:4
	buffer_load_dword v18, v16, s[0:3], 0 offen offset:40
	buffer_load_dword v19, v9, s[0:3], 0 offen
	buffer_load_dword v20, v16, s[0:3], 0 offen offset:44
                                        ; kill: killed $vgpr9
	v_add_u32_e32 v9, s10, v8
	s_add_i32 s10, s10, 8
	s_cmp_lg_u32 s10, 16
                                        ; kill: killed $vgpr16
	s_waitcnt vmcnt(1)
	v_add_u32_e32 v16, v18, v19
	s_waitcnt vmcnt(0)
	v_add_u32_e32 v17, v20, v17
	buffer_store_dword v17, v9, s[0:3], 0 offen offset:4
	buffer_store_dword v16, v9, s[0:3], 0 offen
	s_cbranch_scc1 .LBB2105_380
; %bb.381:
	buffer_load_dword v6, off, s[0:3], 0
	buffer_load_dword v7, off, s[0:3], 0 offset:4
	buffer_load_dword v8, off, s[0:3], 0 offset:8
	;; [unrolled: 1-line block ×3, first 2 shown]
.LBB2105_382:
	s_or_b64 exec, exec, s[4:5]
	buffer_load_ubyte v16, off, s[0:3], 0 offset:284
	s_waitcnt vmcnt(3)
	buffer_store_dword v7, off, s[0:3], 0 offset:140
	buffer_store_dword v6, off, s[0:3], 0 offset:136
	s_waitcnt vmcnt(3)
	buffer_store_dword v9, off, s[0:3], 0 offset:148
	buffer_store_dword v8, off, s[0:3], 0 offset:144
                                        ; implicit-def: $vgpr8_vgpr9
                                        ; implicit-def: $vgpr6_vgpr7
	s_waitcnt vmcnt(4)
	v_cmp_ne_u16_e32 vcc, 0, v16
	s_and_saveexec_b64 s[4:5], vcc
	s_xor_b64 s[4:5], exec, s[4:5]
	s_cbranch_execz .LBB2105_384
; %bb.383:
	buffer_load_dword v6, off, s[0:3], 0 offset:268
	buffer_load_dword v7, off, s[0:3], 0 offset:272
	;; [unrolled: 1-line block ×4, first 2 shown]
.LBB2105_384:
	s_andn2_saveexec_b64 s[4:5], s[4:5]
	s_cbranch_execz .LBB2105_390
; %bb.385:
	s_mov_b32 s10, 0
	s_waitcnt vmcnt(3)
	v_mov_b32_e32 v6, 0
	s_waitcnt vmcnt(2)
	v_mov_b32_e32 v7, 0
	s_waitcnt vmcnt(0)
.LBB2105_386:                           ; =>This Inner Loop Header: Depth=1
	v_add_u32_e32 v8, s10, v6
	s_add_i32 s10, s10, 8
	s_cmp_lg_u32 s10, 16
	buffer_store_dword v7, v8, s[0:3], 0 offen offset:4
	buffer_store_dword v7, v8, s[0:3], 0 offen
	s_cbranch_scc1 .LBB2105_386
; %bb.387:
	s_mov_b32 s10, 0
	v_mov_b32_e32 v6, 0x88
	v_mov_b32_e32 v7, 0xd0
	;; [unrolled: 1-line block ×3, first 2 shown]
.LBB2105_388:                           ; =>This Inner Loop Header: Depth=1
	v_add_u32_e32 v9, s10, v6
	v_add_u32_e32 v17, s10, v7
	buffer_load_dword v18, v9, s[0:3], 0 offen offset:4
	buffer_load_dword v19, v17, s[0:3], 0 offen offset:60
	buffer_load_dword v20, v9, s[0:3], 0 offen
	buffer_load_dword v21, v17, s[0:3], 0 offen offset:64
                                        ; kill: killed $vgpr9
	v_add_u32_e32 v9, s10, v8
	s_add_i32 s10, s10, 8
	s_cmp_lg_u32 s10, 16
                                        ; kill: killed $vgpr17
	s_waitcnt vmcnt(1)
	v_add_u32_e32 v17, v19, v20
	s_waitcnt vmcnt(0)
	v_add_u32_e32 v18, v21, v18
	buffer_store_dword v18, v9, s[0:3], 0 offen offset:4
	buffer_store_dword v17, v9, s[0:3], 0 offen
	s_cbranch_scc1 .LBB2105_388
; %bb.389:
	buffer_load_dword v6, off, s[0:3], 0
	buffer_load_dword v7, off, s[0:3], 0 offset:4
	buffer_load_dword v8, off, s[0:3], 0 offset:8
	;; [unrolled: 1-line block ×3, first 2 shown]
.LBB2105_390:
	s_or_b64 exec, exec, s[4:5]
	buffer_load_ubyte v17, off, s[0:3], 0 offset:304
	s_waitcnt vmcnt(3)
	buffer_store_dword v7, off, s[0:3], 0 offset:140
	buffer_store_dword v6, off, s[0:3], 0 offset:136
	s_waitcnt vmcnt(3)
	buffer_store_dword v9, off, s[0:3], 0 offset:148
	buffer_store_dword v8, off, s[0:3], 0 offset:144
                                        ; implicit-def: $vgpr8_vgpr9
                                        ; implicit-def: $vgpr6_vgpr7
	s_waitcnt vmcnt(4)
	v_cmp_ne_u16_e32 vcc, 0, v17
	s_and_saveexec_b64 s[4:5], vcc
	s_xor_b64 s[4:5], exec, s[4:5]
	s_cbranch_execz .LBB2105_392
; %bb.391:
	buffer_load_dword v6, off, s[0:3], 0 offset:288
	buffer_load_dword v7, off, s[0:3], 0 offset:292
	;; [unrolled: 1-line block ×4, first 2 shown]
.LBB2105_392:
	s_andn2_saveexec_b64 s[4:5], s[4:5]
	s_cbranch_execz .LBB2105_398
; %bb.393:
	s_mov_b32 s10, 0
	s_waitcnt vmcnt(3)
	v_mov_b32_e32 v6, 0
	s_waitcnt vmcnt(2)
	v_mov_b32_e32 v7, 0
	s_waitcnt vmcnt(0)
.LBB2105_394:                           ; =>This Inner Loop Header: Depth=1
	v_add_u32_e32 v8, s10, v6
	s_add_i32 s10, s10, 8
	s_cmp_lg_u32 s10, 16
	buffer_store_dword v7, v8, s[0:3], 0 offen offset:4
	buffer_store_dword v7, v8, s[0:3], 0 offen
	s_cbranch_scc1 .LBB2105_394
; %bb.395:
	s_mov_b32 s10, 0
	v_mov_b32_e32 v6, 0x88
	v_mov_b32_e32 v7, 0xd0
	v_mov_b32_e32 v8, 0
.LBB2105_396:                           ; =>This Inner Loop Header: Depth=1
	v_add_u32_e32 v9, s10, v6
	v_add_u32_e32 v18, s10, v7
	buffer_load_dword v19, v9, s[0:3], 0 offen offset:4
	buffer_load_dword v20, v18, s[0:3], 0 offen offset:80
	buffer_load_dword v21, v9, s[0:3], 0 offen
	buffer_load_dword v22, v18, s[0:3], 0 offen offset:84
                                        ; kill: killed $vgpr9
	v_add_u32_e32 v9, s10, v8
	s_add_i32 s10, s10, 8
	s_cmp_lg_u32 s10, 16
                                        ; kill: killed $vgpr18
	s_waitcnt vmcnt(1)
	v_add_u32_e32 v18, v20, v21
	s_waitcnt vmcnt(0)
	v_add_u32_e32 v19, v22, v19
	buffer_store_dword v19, v9, s[0:3], 0 offen offset:4
	buffer_store_dword v18, v9, s[0:3], 0 offen
	s_cbranch_scc1 .LBB2105_396
; %bb.397:
	buffer_load_dword v6, off, s[0:3], 0
	buffer_load_dword v7, off, s[0:3], 0 offset:4
	buffer_load_dword v8, off, s[0:3], 0 offset:8
	;; [unrolled: 1-line block ×3, first 2 shown]
.LBB2105_398:
	s_or_b64 exec, exec, s[4:5]
	v_or_b32_e32 v16, v17, v16
	v_or_b32_e32 v15, v16, v15
	;; [unrolled: 1-line block ×4, first 2 shown]
	v_and_b32_e32 v1, 1, v1
	buffer_store_byte v1, off, s[0:3], 0 offset:152
	buffer_load_dword v14, off, s[0:3], 0 offset:152
	v_mbcnt_lo_u32_b32 v1, -1, 0
	v_mov_b32_e32 v17, 0
	s_waitcnt vmcnt(5)
	v_mov_b32_dpp v15, v6 row_shr:1 row_mask:0xf bank_mask:0xf
	v_mbcnt_hi_u32_b32 v1, -1, v1
	buffer_store_dword v3, off, s[0:3], 0 offset:120
	buffer_store_dword v2, off, s[0:3], 0 offset:116
	;; [unrolled: 1-line block ×4, first 2 shown]
	s_waitcnt vmcnt(8)
	buffer_store_dword v7, off, s[0:3], 0 offset:140
	buffer_store_dword v6, off, s[0:3], 0 offset:136
	s_waitcnt vmcnt(8)
	buffer_store_dword v9, off, s[0:3], 0 offset:148
	buffer_store_dword v8, off, s[0:3], 0 offset:144
	v_mov_b32_dpp v16, v7 row_shr:1 row_mask:0xf bank_mask:0xf
	v_mov_b32_dpp v18, v8 row_shr:1 row_mask:0xf bank_mask:0xf
	;; [unrolled: 1-line block ×3, first 2 shown]
	buffer_store_byte v17, off, s[0:3], 0 offset:132
	buffer_store_dword v15, off, s[0:3], 0
	buffer_store_dword v16, off, s[0:3], 0 offset:4
	buffer_store_dword v18, off, s[0:3], 0 offset:8
	;; [unrolled: 1-line block ×3, first 2 shown]
	v_and_b32_e32 v15, 15, v1
	v_cmp_ne_u32_e32 vcc, 0, v15
	s_waitcnt vmcnt(13)
	v_mov_b32_dpp v16, v14 row_shr:1 row_mask:0xf bank_mask:0xf
	buffer_store_dword v16, off, s[0:3], 0 offset:16
	s_and_saveexec_b64 s[4:5], vcc
	s_xor_b64 s[4:5], exec, s[4:5]
	s_cbranch_execz .LBB2105_406
; %bb.399:
	v_cmp_eq_u16_sdwa s[12:13], v14, v17 src0_sel:BYTE_0 src1_sel:DWORD
	s_and_saveexec_b64 s[10:11], s[12:13]
	s_cbranch_execz .LBB2105_405
; %bb.400:
	s_mov_b32 s12, 0
	v_mov_b32_e32 v6, 0x60
	v_mov_b32_e32 v7, 0
.LBB2105_401:                           ; =>This Inner Loop Header: Depth=1
	v_add_u32_e32 v8, s12, v6
	s_add_i32 s12, s12, 8
	s_cmp_lg_u32 s12, 16
	buffer_store_dword v7, v8, s[0:3], 0 offen offset:4
	buffer_store_dword v7, v8, s[0:3], 0 offen
	s_cbranch_scc1 .LBB2105_401
; %bb.402:
	s_mov_b32 s12, 0
	v_mov_b32_e32 v6, 0
	v_mov_b32_e32 v7, 0x88
	;; [unrolled: 1-line block ×3, first 2 shown]
.LBB2105_403:                           ; =>This Inner Loop Header: Depth=1
	v_add_u32_e32 v9, s12, v6
	v_add_u32_e32 v17, s12, v7
	buffer_load_dword v18, v9, s[0:3], 0 offen offset:4
	buffer_load_dword v19, v17, s[0:3], 0 offen
	buffer_load_dword v20, v9, s[0:3], 0 offen
	buffer_load_dword v21, v17, s[0:3], 0 offen offset:4
                                        ; kill: killed $vgpr9
	v_add_u32_e32 v9, s12, v8
	s_add_i32 s12, s12, 8
	s_cmp_lg_u32 s12, 16
                                        ; kill: killed $vgpr17
	s_waitcnt vmcnt(1)
	v_add_u32_e32 v17, v19, v20
	s_waitcnt vmcnt(0)
	v_add_u32_e32 v18, v21, v18
	buffer_store_dword v18, v9, s[0:3], 0 offen offset:4
	buffer_store_dword v17, v9, s[0:3], 0 offen
	s_cbranch_scc1 .LBB2105_403
; %bb.404:
	buffer_load_dword v6, off, s[0:3], 0 offset:96
	buffer_load_dword v7, off, s[0:3], 0 offset:100
	;; [unrolled: 1-line block ×4, first 2 shown]
.LBB2105_405:
	s_or_b64 exec, exec, s[10:11]
	v_or_b32_e32 v14, v16, v14
	v_and_b32_e32 v14, 1, v14
	buffer_store_byte v14, off, s[0:3], 0 offset:152
	buffer_load_dword v14, off, s[0:3], 0 offset:152
	s_waitcnt vmcnt(4)
	buffer_store_dword v7, off, s[0:3], 0 offset:140
	buffer_store_dword v6, off, s[0:3], 0 offset:136
	s_waitcnt vmcnt(4)
	buffer_store_dword v9, off, s[0:3], 0 offset:148
	buffer_store_dword v8, off, s[0:3], 0 offset:144
.LBB2105_406:
	s_or_b64 exec, exec, s[4:5]
	v_mov_b32_dpp v17, v6 row_shr:2 row_mask:0xf bank_mask:0xf
	s_waitcnt vmcnt(4)
	v_mov_b32_dpp v16, v14 row_shr:2 row_mask:0xf bank_mask:0xf
	v_cmp_lt_u32_e32 vcc, 1, v15
	v_mov_b32_dpp v18, v7 row_shr:2 row_mask:0xf bank_mask:0xf
	v_mov_b32_dpp v19, v8 row_shr:2 row_mask:0xf bank_mask:0xf
	;; [unrolled: 1-line block ×3, first 2 shown]
	buffer_store_dword v17, off, s[0:3], 0
	buffer_store_dword v18, off, s[0:3], 0 offset:4
	buffer_store_dword v19, off, s[0:3], 0 offset:8
	;; [unrolled: 1-line block ×4, first 2 shown]
	s_and_saveexec_b64 s[10:11], vcc
	s_cbranch_execz .LBB2105_414
; %bb.407:
	v_mov_b32_e32 v17, 0
	s_mov_b32 s12, 0
	v_cmp_eq_u16_sdwa s[14:15], v14, v17 src0_sel:BYTE_0 src1_sel:DWORD
	s_and_saveexec_b64 s[4:5], s[14:15]
	s_cbranch_execz .LBB2105_413
; %bb.408:
	v_mov_b32_e32 v6, 0x60
.LBB2105_409:                           ; =>This Inner Loop Header: Depth=1
	v_add_u32_e32 v7, s12, v6
	s_add_i32 s12, s12, 8
	s_cmp_lg_u32 s12, 16
	buffer_store_dword v17, v7, s[0:3], 0 offen offset:4
	buffer_store_dword v17, v7, s[0:3], 0 offen
	s_cbranch_scc1 .LBB2105_409
; %bb.410:
	s_mov_b32 s12, 0
	v_mov_b32_e32 v6, 0
	v_mov_b32_e32 v7, 0x88
	;; [unrolled: 1-line block ×3, first 2 shown]
.LBB2105_411:                           ; =>This Inner Loop Header: Depth=1
	v_add_u32_e32 v9, s12, v6
	v_add_u32_e32 v17, s12, v7
	buffer_load_dword v18, v9, s[0:3], 0 offen offset:4
	buffer_load_dword v19, v17, s[0:3], 0 offen
	buffer_load_dword v20, v9, s[0:3], 0 offen
	buffer_load_dword v21, v17, s[0:3], 0 offen offset:4
                                        ; kill: killed $vgpr9
	v_add_u32_e32 v9, s12, v8
	s_add_i32 s12, s12, 8
	s_cmp_lg_u32 s12, 16
                                        ; kill: killed $vgpr17
	s_waitcnt vmcnt(1)
	v_add_u32_e32 v17, v19, v20
	s_waitcnt vmcnt(0)
	v_add_u32_e32 v18, v21, v18
	buffer_store_dword v18, v9, s[0:3], 0 offen offset:4
	buffer_store_dword v17, v9, s[0:3], 0 offen
	s_cbranch_scc1 .LBB2105_411
; %bb.412:
	buffer_load_dword v6, off, s[0:3], 0 offset:96
	buffer_load_dword v7, off, s[0:3], 0 offset:100
	;; [unrolled: 1-line block ×4, first 2 shown]
.LBB2105_413:
	s_or_b64 exec, exec, s[4:5]
	v_and_b32_e32 v14, 1, v14
	v_cmp_eq_u32_e32 vcc, 1, v14
	v_and_b32_e32 v14, 1, v16
	v_cmp_eq_u32_e64 s[4:5], 1, v14
	s_or_b64 s[4:5], vcc, s[4:5]
	v_cndmask_b32_e64 v14, 0, 1, s[4:5]
	buffer_store_byte v14, off, s[0:3], 0 offset:152
	buffer_load_dword v14, off, s[0:3], 0 offset:152
	s_waitcnt vmcnt(4)
	buffer_store_dword v7, off, s[0:3], 0 offset:140
	buffer_store_dword v6, off, s[0:3], 0 offset:136
	s_waitcnt vmcnt(4)
	buffer_store_dword v9, off, s[0:3], 0 offset:148
	buffer_store_dword v8, off, s[0:3], 0 offset:144
.LBB2105_414:
	s_or_b64 exec, exec, s[10:11]
	v_mov_b32_dpp v17, v6 row_shr:4 row_mask:0xf bank_mask:0xf
	s_waitcnt vmcnt(4)
	v_mov_b32_dpp v16, v14 row_shr:4 row_mask:0xf bank_mask:0xf
	v_cmp_lt_u32_e32 vcc, 3, v15
	v_mov_b32_dpp v18, v7 row_shr:4 row_mask:0xf bank_mask:0xf
	v_mov_b32_dpp v19, v8 row_shr:4 row_mask:0xf bank_mask:0xf
	;; [unrolled: 1-line block ×3, first 2 shown]
	buffer_store_dword v17, off, s[0:3], 0
	buffer_store_dword v18, off, s[0:3], 0 offset:4
	buffer_store_dword v19, off, s[0:3], 0 offset:8
	;; [unrolled: 1-line block ×4, first 2 shown]
	s_and_saveexec_b64 s[10:11], vcc
	s_cbranch_execz .LBB2105_422
; %bb.415:
	v_mov_b32_e32 v17, 0
	s_mov_b32 s12, 0
	v_cmp_eq_u16_sdwa s[14:15], v14, v17 src0_sel:BYTE_0 src1_sel:DWORD
	s_and_saveexec_b64 s[4:5], s[14:15]
	s_cbranch_execz .LBB2105_421
; %bb.416:
	v_mov_b32_e32 v6, 0x60
.LBB2105_417:                           ; =>This Inner Loop Header: Depth=1
	v_add_u32_e32 v7, s12, v6
	s_add_i32 s12, s12, 8
	s_cmp_lg_u32 s12, 16
	buffer_store_dword v17, v7, s[0:3], 0 offen offset:4
	buffer_store_dword v17, v7, s[0:3], 0 offen
	s_cbranch_scc1 .LBB2105_417
; %bb.418:
	s_mov_b32 s12, 0
	v_mov_b32_e32 v6, 0
	v_mov_b32_e32 v7, 0x88
	v_mov_b32_e32 v8, 0x60
.LBB2105_419:                           ; =>This Inner Loop Header: Depth=1
	v_add_u32_e32 v9, s12, v6
	v_add_u32_e32 v17, s12, v7
	buffer_load_dword v18, v9, s[0:3], 0 offen offset:4
	buffer_load_dword v19, v17, s[0:3], 0 offen
	buffer_load_dword v20, v9, s[0:3], 0 offen
	buffer_load_dword v21, v17, s[0:3], 0 offen offset:4
                                        ; kill: killed $vgpr9
	v_add_u32_e32 v9, s12, v8
	s_add_i32 s12, s12, 8
	s_cmp_lg_u32 s12, 16
                                        ; kill: killed $vgpr17
	s_waitcnt vmcnt(1)
	v_add_u32_e32 v17, v19, v20
	s_waitcnt vmcnt(0)
	v_add_u32_e32 v18, v21, v18
	buffer_store_dword v18, v9, s[0:3], 0 offen offset:4
	buffer_store_dword v17, v9, s[0:3], 0 offen
	s_cbranch_scc1 .LBB2105_419
; %bb.420:
	buffer_load_dword v6, off, s[0:3], 0 offset:96
	buffer_load_dword v7, off, s[0:3], 0 offset:100
	;; [unrolled: 1-line block ×4, first 2 shown]
.LBB2105_421:
	s_or_b64 exec, exec, s[4:5]
	v_and_b32_e32 v14, 1, v14
	v_cmp_eq_u32_e32 vcc, 1, v14
	v_and_b32_e32 v14, 1, v16
	v_cmp_eq_u32_e64 s[4:5], 1, v14
	s_or_b64 s[4:5], vcc, s[4:5]
	v_cndmask_b32_e64 v14, 0, 1, s[4:5]
	buffer_store_byte v14, off, s[0:3], 0 offset:152
	buffer_load_dword v14, off, s[0:3], 0 offset:152
	s_waitcnt vmcnt(4)
	buffer_store_dword v7, off, s[0:3], 0 offset:140
	buffer_store_dword v6, off, s[0:3], 0 offset:136
	s_waitcnt vmcnt(4)
	buffer_store_dword v9, off, s[0:3], 0 offset:148
	buffer_store_dword v8, off, s[0:3], 0 offset:144
.LBB2105_422:
	s_or_b64 exec, exec, s[10:11]
	v_mov_b32_dpp v17, v6 row_shr:8 row_mask:0xf bank_mask:0xf
	s_waitcnt vmcnt(4)
	v_mov_b32_dpp v16, v14 row_shr:8 row_mask:0xf bank_mask:0xf
	v_cmp_lt_u32_e32 vcc, 7, v15
	v_mov_b32_dpp v18, v7 row_shr:8 row_mask:0xf bank_mask:0xf
	v_mov_b32_dpp v19, v8 row_shr:8 row_mask:0xf bank_mask:0xf
	v_mov_b32_dpp v20, v9 row_shr:8 row_mask:0xf bank_mask:0xf
	buffer_store_dword v17, off, s[0:3], 0
	buffer_store_dword v18, off, s[0:3], 0 offset:4
	buffer_store_dword v19, off, s[0:3], 0 offset:8
	;; [unrolled: 1-line block ×4, first 2 shown]
	s_and_saveexec_b64 s[10:11], vcc
	s_cbranch_execz .LBB2105_430
; %bb.423:
	v_mov_b32_e32 v15, 0
	s_mov_b32 s12, 0
	v_cmp_eq_u16_sdwa s[14:15], v14, v15 src0_sel:BYTE_0 src1_sel:DWORD
	s_and_saveexec_b64 s[4:5], s[14:15]
	s_cbranch_execz .LBB2105_429
; %bb.424:
	v_mov_b32_e32 v6, 0x60
.LBB2105_425:                           ; =>This Inner Loop Header: Depth=1
	v_add_u32_e32 v7, s12, v6
	s_add_i32 s12, s12, 8
	s_cmp_lg_u32 s12, 16
	buffer_store_dword v15, v7, s[0:3], 0 offen offset:4
	buffer_store_dword v15, v7, s[0:3], 0 offen
	s_cbranch_scc1 .LBB2105_425
; %bb.426:
	s_mov_b32 s12, 0
	v_mov_b32_e32 v6, 0
	v_mov_b32_e32 v7, 0x88
	;; [unrolled: 1-line block ×3, first 2 shown]
.LBB2105_427:                           ; =>This Inner Loop Header: Depth=1
	v_add_u32_e32 v9, s12, v6
	v_add_u32_e32 v15, s12, v7
	buffer_load_dword v17, v9, s[0:3], 0 offen offset:4
	buffer_load_dword v18, v15, s[0:3], 0 offen
	buffer_load_dword v19, v9, s[0:3], 0 offen
	buffer_load_dword v20, v15, s[0:3], 0 offen offset:4
                                        ; kill: killed $vgpr9
	v_add_u32_e32 v9, s12, v8
	s_add_i32 s12, s12, 8
	s_cmp_lg_u32 s12, 16
                                        ; kill: killed $vgpr15
	s_waitcnt vmcnt(1)
	v_add_u32_e32 v15, v18, v19
	s_waitcnt vmcnt(0)
	v_add_u32_e32 v17, v20, v17
	buffer_store_dword v17, v9, s[0:3], 0 offen offset:4
	buffer_store_dword v15, v9, s[0:3], 0 offen
	s_cbranch_scc1 .LBB2105_427
; %bb.428:
	buffer_load_dword v6, off, s[0:3], 0 offset:96
	buffer_load_dword v7, off, s[0:3], 0 offset:100
	;; [unrolled: 1-line block ×4, first 2 shown]
.LBB2105_429:
	s_or_b64 exec, exec, s[4:5]
	v_and_b32_e32 v14, 1, v14
	v_cmp_eq_u32_e32 vcc, 1, v14
	v_and_b32_e32 v14, 1, v16
	v_cmp_eq_u32_e64 s[4:5], 1, v14
	s_or_b64 s[4:5], vcc, s[4:5]
	v_cndmask_b32_e64 v14, 0, 1, s[4:5]
	buffer_store_byte v14, off, s[0:3], 0 offset:152
	buffer_load_dword v14, off, s[0:3], 0 offset:152
	s_waitcnt vmcnt(4)
	buffer_store_dword v7, off, s[0:3], 0 offset:140
	buffer_store_dword v6, off, s[0:3], 0 offset:136
	s_waitcnt vmcnt(4)
	buffer_store_dword v9, off, s[0:3], 0 offset:148
	buffer_store_dword v8, off, s[0:3], 0 offset:144
.LBB2105_430:
	s_or_b64 exec, exec, s[10:11]
	v_mov_b32_dpp v16, v6 row_bcast:15 row_mask:0xf bank_mask:0xf
	v_mov_b32_dpp v17, v7 row_bcast:15 row_mask:0xf bank_mask:0xf
	v_mov_b32_dpp v18, v8 row_bcast:15 row_mask:0xf bank_mask:0xf
	v_mov_b32_dpp v19, v9 row_bcast:15 row_mask:0xf bank_mask:0xf
	s_waitcnt vmcnt(4)
	v_mov_b32_dpp v15, v14 row_bcast:15 row_mask:0xf bank_mask:0xf
	buffer_store_dword v16, off, s[0:3], 0
	buffer_store_dword v17, off, s[0:3], 0 offset:4
	buffer_store_dword v18, off, s[0:3], 0 offset:8
	;; [unrolled: 1-line block ×4, first 2 shown]
	v_and_b32_e32 v16, 16, v1
	v_cmp_ne_u32_e32 vcc, 0, v16
	s_and_saveexec_b64 s[10:11], vcc
	s_cbranch_execz .LBB2105_438
; %bb.431:
	v_mov_b32_e32 v16, 0
	s_mov_b32 s12, 0
	v_cmp_eq_u16_sdwa s[14:15], v14, v16 src0_sel:BYTE_0 src1_sel:DWORD
	s_and_saveexec_b64 s[4:5], s[14:15]
	s_cbranch_execz .LBB2105_437
; %bb.432:
	v_mov_b32_e32 v6, 0x60
.LBB2105_433:                           ; =>This Inner Loop Header: Depth=1
	v_add_u32_e32 v7, s12, v6
	s_add_i32 s12, s12, 8
	s_cmp_lg_u32 s12, 16
	buffer_store_dword v16, v7, s[0:3], 0 offen offset:4
	buffer_store_dword v16, v7, s[0:3], 0 offen
	s_cbranch_scc1 .LBB2105_433
; %bb.434:
	s_mov_b32 s12, 0
	v_mov_b32_e32 v6, 0
	v_mov_b32_e32 v7, 0x88
	v_mov_b32_e32 v8, 0x60
.LBB2105_435:                           ; =>This Inner Loop Header: Depth=1
	v_add_u32_e32 v9, s12, v6
	v_add_u32_e32 v16, s12, v7
	buffer_load_dword v17, v9, s[0:3], 0 offen offset:4
	buffer_load_dword v18, v16, s[0:3], 0 offen
	buffer_load_dword v19, v9, s[0:3], 0 offen
	buffer_load_dword v20, v16, s[0:3], 0 offen offset:4
                                        ; kill: killed $vgpr9
	v_add_u32_e32 v9, s12, v8
	s_add_i32 s12, s12, 8
	s_cmp_lg_u32 s12, 16
                                        ; kill: killed $vgpr16
	s_waitcnt vmcnt(1)
	v_add_u32_e32 v16, v18, v19
	s_waitcnt vmcnt(0)
	v_add_u32_e32 v17, v20, v17
	buffer_store_dword v17, v9, s[0:3], 0 offen offset:4
	buffer_store_dword v16, v9, s[0:3], 0 offen
	s_cbranch_scc1 .LBB2105_435
; %bb.436:
	buffer_load_dword v6, off, s[0:3], 0 offset:96
	buffer_load_dword v7, off, s[0:3], 0 offset:100
	;; [unrolled: 1-line block ×4, first 2 shown]
.LBB2105_437:
	s_or_b64 exec, exec, s[4:5]
	v_and_b32_e32 v14, 1, v14
	v_cmp_eq_u32_e32 vcc, 1, v14
	v_and_b32_e32 v14, 1, v15
	v_cmp_eq_u32_e64 s[4:5], 1, v14
	s_or_b64 s[4:5], vcc, s[4:5]
	v_cndmask_b32_e64 v14, 0, 1, s[4:5]
	buffer_store_byte v14, off, s[0:3], 0 offset:152
	buffer_load_dword v14, off, s[0:3], 0 offset:152
	s_waitcnt vmcnt(4)
	buffer_store_dword v7, off, s[0:3], 0 offset:140
	buffer_store_dword v6, off, s[0:3], 0 offset:136
	s_waitcnt vmcnt(4)
	buffer_store_dword v9, off, s[0:3], 0 offset:148
	buffer_store_dword v8, off, s[0:3], 0 offset:144
.LBB2105_438:
	s_or_b64 exec, exec, s[10:11]
	v_mov_b32_dpp v16, v6 row_bcast:31 row_mask:0xf bank_mask:0xf
	s_waitcnt vmcnt(4)
	v_mov_b32_dpp v15, v14 row_bcast:31 row_mask:0xf bank_mask:0xf
	v_cmp_lt_u32_e32 vcc, 31, v1
	v_mov_b32_dpp v17, v7 row_bcast:31 row_mask:0xf bank_mask:0xf
	v_mov_b32_dpp v18, v8 row_bcast:31 row_mask:0xf bank_mask:0xf
	v_mov_b32_dpp v19, v9 row_bcast:31 row_mask:0xf bank_mask:0xf
	buffer_store_dword v16, off, s[0:3], 0
	buffer_store_dword v17, off, s[0:3], 0 offset:4
	buffer_store_dword v18, off, s[0:3], 0 offset:8
	;; [unrolled: 1-line block ×4, first 2 shown]
	s_and_saveexec_b64 s[10:11], vcc
	s_cbranch_execz .LBB2105_446
; %bb.439:
	v_mov_b32_e32 v16, 0
	s_mov_b32 s12, 0
	v_cmp_eq_u16_sdwa s[14:15], v14, v16 src0_sel:BYTE_0 src1_sel:DWORD
	s_and_saveexec_b64 s[4:5], s[14:15]
	s_cbranch_execz .LBB2105_445
; %bb.440:
	v_mov_b32_e32 v6, 0x60
.LBB2105_441:                           ; =>This Inner Loop Header: Depth=1
	v_add_u32_e32 v7, s12, v6
	s_add_i32 s12, s12, 8
	s_cmp_lg_u32 s12, 16
	buffer_store_dword v16, v7, s[0:3], 0 offen offset:4
	buffer_store_dword v16, v7, s[0:3], 0 offen
	s_cbranch_scc1 .LBB2105_441
; %bb.442:
	s_mov_b32 s12, 0
	v_mov_b32_e32 v6, 0
	v_mov_b32_e32 v7, 0x88
	v_mov_b32_e32 v8, 0x60
.LBB2105_443:                           ; =>This Inner Loop Header: Depth=1
	v_add_u32_e32 v9, s12, v6
	v_add_u32_e32 v16, s12, v7
	buffer_load_dword v17, v9, s[0:3], 0 offen offset:4
	buffer_load_dword v18, v16, s[0:3], 0 offen
	buffer_load_dword v19, v9, s[0:3], 0 offen
	buffer_load_dword v20, v16, s[0:3], 0 offen offset:4
                                        ; kill: killed $vgpr9
	v_add_u32_e32 v9, s12, v8
	s_add_i32 s12, s12, 8
	s_cmp_lg_u32 s12, 16
                                        ; kill: killed $vgpr16
	s_waitcnt vmcnt(1)
	v_add_u32_e32 v16, v18, v19
	s_waitcnt vmcnt(0)
	v_add_u32_e32 v17, v20, v17
	buffer_store_dword v17, v9, s[0:3], 0 offen offset:4
	buffer_store_dword v16, v9, s[0:3], 0 offen
	s_cbranch_scc1 .LBB2105_443
; %bb.444:
	buffer_load_dword v6, off, s[0:3], 0 offset:96
	buffer_load_dword v7, off, s[0:3], 0 offset:100
	;; [unrolled: 1-line block ×4, first 2 shown]
.LBB2105_445:
	s_or_b64 exec, exec, s[4:5]
	v_and_b32_e32 v14, 1, v14
	v_cmp_eq_u32_e32 vcc, 1, v14
	v_and_b32_e32 v14, 1, v15
	v_cmp_eq_u32_e64 s[4:5], 1, v14
	s_or_b64 s[4:5], vcc, s[4:5]
	v_cndmask_b32_e64 v14, 0, 1, s[4:5]
	s_waitcnt vmcnt(2)
	buffer_store_dword v7, off, s[0:3], 0 offset:140
	buffer_store_dword v6, off, s[0:3], 0 offset:136
	s_waitcnt vmcnt(2)
	buffer_store_dword v9, off, s[0:3], 0 offset:148
	buffer_store_dword v8, off, s[0:3], 0 offset:144
	buffer_store_byte v14, off, s[0:3], 0 offset:152
.LBB2105_446:
	s_or_b64 exec, exec, s[10:11]
	v_or_b32_e32 v16, 63, v0
	v_lshrrev_b32_e32 v15, 6, v0
	v_cmp_eq_u32_e32 vcc, v16, v0
	s_and_saveexec_b64 s[4:5], vcc
	s_cbranch_execz .LBB2105_448
; %bb.447:
	v_mul_u32_u24_e32 v16, 20, v15
	ds_write2_b32 v16, v6, v7 offset1:1
	ds_write2_b32 v16, v8, v9 offset0:2 offset1:3
	ds_write_b8 v16, v14 offset:16
.LBB2105_448:
	s_or_b64 exec, exec, s[4:5]
	v_cmp_gt_u32_e32 vcc, 4, v0
	s_waitcnt lgkmcnt(0)
	s_barrier
	s_and_saveexec_b64 s[10:11], vcc
	s_cbranch_execz .LBB2105_466
; %bb.449:
	v_mul_u32_u24_e32 v14, 20, v0
	ds_read_b32 v16, v14 offset:16
	ds_read2_b32 v[6:7], v14 offset0:2 offset1:3
	ds_read2_b32 v[8:9], v14 offset1:1
	v_and_b32_e32 v17, 3, v1
	v_cmp_ne_u32_e32 vcc, 0, v17
	s_waitcnt lgkmcnt(2)
	v_mov_b32_dpp v18, v16 row_shr:1 row_mask:0xf bank_mask:0xf
	s_waitcnt lgkmcnt(1)
	v_mov_b32_dpp v21, v6 row_shr:1 row_mask:0xf bank_mask:0xf
	;; [unrolled: 2-line block ×3, first 2 shown]
	buffer_store_dword v16, off, s[0:3], 0 offset:112
	buffer_store_dword v7, off, s[0:3], 0 offset:108
	;; [unrolled: 1-line block ×5, first 2 shown]
	v_mov_b32_dpp v20, v9 row_shr:1 row_mask:0xf bank_mask:0xf
	v_mov_b32_dpp v22, v7 row_shr:1 row_mask:0xf bank_mask:0xf
	buffer_store_dword v19, off, s[0:3], 0
	buffer_store_dword v20, off, s[0:3], 0 offset:4
	buffer_store_dword v21, off, s[0:3], 0 offset:8
	;; [unrolled: 1-line block ×4, first 2 shown]
	s_and_saveexec_b64 s[4:5], vcc
	s_cbranch_execz .LBB2105_457
; %bb.450:
	v_mov_b32_e32 v19, 0
	v_cmp_eq_u16_sdwa s[14:15], v16, v19 src0_sel:BYTE_0 src1_sel:DWORD
	s_and_saveexec_b64 s[12:13], s[14:15]
	s_cbranch_execz .LBB2105_456
; %bb.451:
	s_mov_b32 s14, 0
	v_mov_b32_e32 v6, 0x50
.LBB2105_452:                           ; =>This Inner Loop Header: Depth=1
	v_add_u32_e32 v7, s14, v6
	s_add_i32 s14, s14, 8
	s_cmp_lg_u32 s14, 16
	buffer_store_dword v19, v7, s[0:3], 0 offen offset:4
	buffer_store_dword v19, v7, s[0:3], 0 offen
	s_cbranch_scc1 .LBB2105_452
; %bb.453:
	s_mov_b32 s14, 0
	v_mov_b32_e32 v6, 0
	v_mov_b32_e32 v7, 0x60
	;; [unrolled: 1-line block ×3, first 2 shown]
.LBB2105_454:                           ; =>This Inner Loop Header: Depth=1
	v_add_u32_e32 v9, s14, v6
	v_add_u32_e32 v19, s14, v7
	buffer_load_dword v20, v9, s[0:3], 0 offen offset:4
	buffer_load_dword v21, v19, s[0:3], 0 offen
	buffer_load_dword v22, v9, s[0:3], 0 offen
	buffer_load_dword v23, v19, s[0:3], 0 offen offset:4
                                        ; kill: killed $vgpr9
	v_add_u32_e32 v9, s14, v8
	s_add_i32 s14, s14, 8
	s_cmp_lg_u32 s14, 16
                                        ; kill: killed $vgpr19
	s_waitcnt vmcnt(1)
	v_add_u32_e32 v19, v21, v22
	s_waitcnt vmcnt(0)
	v_add_u32_e32 v20, v23, v20
	buffer_store_dword v20, v9, s[0:3], 0 offen offset:4
	buffer_store_dword v19, v9, s[0:3], 0 offen
	s_cbranch_scc1 .LBB2105_454
; %bb.455:
	buffer_load_dword v8, off, s[0:3], 0 offset:80
	buffer_load_dword v9, off, s[0:3], 0 offset:84
	;; [unrolled: 1-line block ×4, first 2 shown]
.LBB2105_456:
	s_or_b64 exec, exec, s[12:13]
	v_or_b32_e32 v16, v18, v16
	v_and_b32_e32 v16, 1, v16
	buffer_store_byte v16, off, s[0:3], 0 offset:112
	buffer_load_dword v16, off, s[0:3], 0 offset:112
	s_waitcnt vmcnt(4)
	buffer_store_dword v9, off, s[0:3], 0 offset:100
	buffer_store_dword v8, off, s[0:3], 0 offset:96
	s_waitcnt vmcnt(4)
	buffer_store_dword v7, off, s[0:3], 0 offset:108
	buffer_store_dword v6, off, s[0:3], 0 offset:104
.LBB2105_457:
	s_or_b64 exec, exec, s[4:5]
	v_mov_b32_dpp v19, v8 row_shr:2 row_mask:0xf bank_mask:0xf
	s_waitcnt vmcnt(4)
	v_mov_b32_dpp v18, v16 row_shr:2 row_mask:0xf bank_mask:0xf
	v_cmp_lt_u32_e32 vcc, 1, v17
	v_mov_b32_dpp v20, v9 row_shr:2 row_mask:0xf bank_mask:0xf
	v_mov_b32_dpp v21, v6 row_shr:2 row_mask:0xf bank_mask:0xf
	;; [unrolled: 1-line block ×3, first 2 shown]
	buffer_store_dword v19, off, s[0:3], 0
	buffer_store_dword v20, off, s[0:3], 0 offset:4
	buffer_store_dword v21, off, s[0:3], 0 offset:8
	;; [unrolled: 1-line block ×4, first 2 shown]
	s_and_saveexec_b64 s[12:13], vcc
	s_cbranch_execz .LBB2105_465
; %bb.458:
	v_mov_b32_e32 v17, 0
	s_mov_b32 s14, 0
	v_cmp_eq_u16_sdwa s[16:17], v16, v17 src0_sel:BYTE_0 src1_sel:DWORD
	s_and_saveexec_b64 s[4:5], s[16:17]
	s_cbranch_execz .LBB2105_464
; %bb.459:
	v_mov_b32_e32 v6, 0x50
.LBB2105_460:                           ; =>This Inner Loop Header: Depth=1
	v_add_u32_e32 v7, s14, v6
	s_add_i32 s14, s14, 8
	s_cmp_lg_u32 s14, 16
	buffer_store_dword v17, v7, s[0:3], 0 offen offset:4
	buffer_store_dword v17, v7, s[0:3], 0 offen
	s_cbranch_scc1 .LBB2105_460
; %bb.461:
	s_mov_b32 s14, 0
	v_mov_b32_e32 v6, 0
	v_mov_b32_e32 v7, 0x60
	;; [unrolled: 1-line block ×3, first 2 shown]
.LBB2105_462:                           ; =>This Inner Loop Header: Depth=1
	v_add_u32_e32 v9, s14, v6
	v_add_u32_e32 v17, s14, v7
	buffer_load_dword v19, v9, s[0:3], 0 offen offset:4
	buffer_load_dword v20, v17, s[0:3], 0 offen
	buffer_load_dword v21, v9, s[0:3], 0 offen
	buffer_load_dword v22, v17, s[0:3], 0 offen offset:4
                                        ; kill: killed $vgpr9
	v_add_u32_e32 v9, s14, v8
	s_add_i32 s14, s14, 8
	s_cmp_lg_u32 s14, 16
                                        ; kill: killed $vgpr17
	s_waitcnt vmcnt(1)
	v_add_u32_e32 v17, v20, v21
	s_waitcnt vmcnt(0)
	v_add_u32_e32 v19, v22, v19
	buffer_store_dword v19, v9, s[0:3], 0 offen offset:4
	buffer_store_dword v17, v9, s[0:3], 0 offen
	s_cbranch_scc1 .LBB2105_462
; %bb.463:
	buffer_load_dword v8, off, s[0:3], 0 offset:80
	buffer_load_dword v9, off, s[0:3], 0 offset:84
	;; [unrolled: 1-line block ×4, first 2 shown]
.LBB2105_464:
	s_or_b64 exec, exec, s[4:5]
	v_and_b32_e32 v16, 1, v16
	v_cmp_eq_u32_e32 vcc, 1, v16
	v_and_b32_e32 v16, 1, v18
	v_cmp_eq_u32_e64 s[4:5], 1, v16
	s_or_b64 s[4:5], vcc, s[4:5]
	v_cndmask_b32_e64 v16, 0, 1, s[4:5]
	s_waitcnt vmcnt(2)
	buffer_store_dword v9, off, s[0:3], 0 offset:100
	buffer_store_dword v8, off, s[0:3], 0 offset:96
	s_waitcnt vmcnt(2)
	buffer_store_dword v7, off, s[0:3], 0 offset:108
	buffer_store_dword v6, off, s[0:3], 0 offset:104
.LBB2105_465:
	s_or_b64 exec, exec, s[12:13]
	buffer_load_dword v6, off, s[0:3], 0 offset:104
	buffer_load_dword v7, off, s[0:3], 0 offset:108
	;; [unrolled: 1-line block ×4, first 2 shown]
	s_waitcnt vmcnt(2)
	ds_write2_b32 v14, v6, v7 offset0:2 offset1:3
	s_waitcnt vmcnt(0)
	ds_write2_b32 v14, v8, v9 offset1:1
	ds_write_b8 v14, v16 offset:16
.LBB2105_466:
	s_or_b64 exec, exec, s[10:11]
	s_waitcnt lgkmcnt(0)
	s_barrier
	buffer_load_dword v6, off, s[0:3], 0 offset:128
	buffer_load_dword v7, off, s[0:3], 0 offset:124
	buffer_load_dword v8, off, s[0:3], 0 offset:120
	buffer_load_dword v9, off, s[0:3], 0 offset:116
	buffer_load_dword v14, off, s[0:3], 0 offset:132
	v_cmp_lt_u32_e32 vcc, 63, v0
	s_waitcnt vmcnt(4)
	buffer_store_dword v6, off, s[0:3], 0 offset:12
	s_waitcnt vmcnt(4)
	buffer_store_dword v7, off, s[0:3], 0 offset:8
	;; [unrolled: 2-line block ×3, first 2 shown]
	s_waitcnt vmcnt(4)
	buffer_store_dword v9, off, s[0:3], 0
	s_waitcnt vmcnt(4)
	buffer_store_dword v14, off, s[0:3], 0 offset:16
	s_and_saveexec_b64 s[4:5], vcc
	s_cbranch_execz .LBB2105_476
; %bb.467:
	v_not_b32_e32 v6, 19
	v_mad_u32_u24 v15, v15, 20, v6
	ds_read_u8 v14, v15 offset:16
                                        ; implicit-def: $vgpr6_vgpr7
                                        ; implicit-def: $vgpr8_vgpr9
	s_waitcnt lgkmcnt(0)
	v_cmp_ne_u16_e32 vcc, 0, v14
	s_and_saveexec_b64 s[10:11], vcc
	s_xor_b64 s[10:11], exec, s[10:11]
	s_cbranch_execz .LBB2105_469
; %bb.468:
	ds_read2_b32 v[8:9], v15 offset1:1
	ds_read2_b32 v[6:7], v15 offset0:2 offset1:3
                                        ; implicit-def: $vgpr15
.LBB2105_469:
	s_andn2_saveexec_b64 s[10:11], s[10:11]
	s_cbranch_execz .LBB2105_475
; %bb.470:
	s_mov_b32 s12, 0
	s_waitcnt lgkmcnt(0)
	v_mov_b32_e32 v6, 0x60
	v_mov_b32_e32 v7, 0
.LBB2105_471:                           ; =>This Inner Loop Header: Depth=1
	v_add_u32_e32 v8, s12, v6
	s_add_i32 s12, s12, 8
	s_cmp_lg_u32 s12, 16
	buffer_store_dword v7, v8, s[0:3], 0 offen offset:4
	buffer_store_dword v7, v8, s[0:3], 0 offen
	s_cbranch_scc1 .LBB2105_471
; %bb.472:
	s_mov_b32 s12, 0
	v_mov_b32_e32 v6, 0x74
	v_mov_b32_e32 v7, 0x60
.LBB2105_473:                           ; =>This Inner Loop Header: Depth=1
	v_add_u32_e32 v8, s12, v6
	buffer_load_dword v16, v8, s[0:3], 0 offen
	buffer_load_dword v17, v8, s[0:3], 0 offen offset:4
                                        ; kill: killed $vgpr8
	v_add_u32_e32 v8, s12, v15
	ds_read2_b32 v[8:9], v8 offset1:1
	v_add_u32_e32 v18, s12, v7
	s_add_i32 s12, s12, 8
	s_cmp_lg_u32 s12, 16
	s_waitcnt vmcnt(1) lgkmcnt(0)
	v_add_u32_e32 v8, v8, v16
	s_waitcnt vmcnt(0)
	v_add_u32_e32 v9, v9, v17
	buffer_store_dword v9, v18, s[0:3], 0 offen offset:4
	buffer_store_dword v8, v18, s[0:3], 0 offen
	s_cbranch_scc1 .LBB2105_473
; %bb.474:
	buffer_load_dword v8, off, s[0:3], 0 offset:96
	buffer_load_dword v9, off, s[0:3], 0 offset:100
	;; [unrolled: 1-line block ×4, first 2 shown]
.LBB2105_475:
	s_or_b64 exec, exec, s[10:11]
	buffer_load_ubyte v15, off, s[0:3], 0 offset:132
	s_waitcnt vmcnt(3) lgkmcnt(1)
	buffer_store_dword v9, off, s[0:3], 0 offset:4
	buffer_store_dword v8, off, s[0:3], 0
	s_waitcnt vmcnt(3) lgkmcnt(0)
	buffer_store_dword v7, off, s[0:3], 0 offset:12
	s_waitcnt vmcnt(3)
	v_or_b32_e32 v7, v14, v15
	v_and_b32_e32 v7, 1, v7
	buffer_store_dword v6, off, s[0:3], 0 offset:8
	buffer_store_byte v7, off, s[0:3], 0 offset:16
.LBB2105_476:
	s_or_b64 exec, exec, s[4:5]
	buffer_load_ubyte v8, off, s[0:3], 0 offset:152
                                        ; implicit-def: $vgpr6_vgpr7
                                        ; implicit-def: $vgpr14
                                        ; implicit-def: $vgpr9
	s_waitcnt vmcnt(0)
	v_cmp_ne_u16_e32 vcc, 0, v8
	s_and_saveexec_b64 s[4:5], vcc
	s_xor_b64 s[4:5], exec, s[4:5]
	s_cbranch_execz .LBB2105_478
; %bb.477:
	buffer_load_dword v9, off, s[0:3], 0 offset:136
	buffer_load_dword v6, off, s[0:3], 0 offset:140
	;; [unrolled: 1-line block ×4, first 2 shown]
.LBB2105_478:
	s_andn2_saveexec_b64 s[4:5], s[4:5]
	s_cbranch_execz .LBB2105_484
; %bb.479:
	s_mov_b32 s10, 0
	s_waitcnt vmcnt(2)
	v_mov_b32_e32 v6, 0x60
	s_waitcnt vmcnt(1)
	v_mov_b32_e32 v7, 0
.LBB2105_480:                           ; =>This Inner Loop Header: Depth=1
	v_add_u32_e32 v9, s10, v6
	s_add_i32 s10, s10, 8
	s_cmp_lg_u32 s10, 16
	buffer_store_dword v7, v9, s[0:3], 0 offen offset:4
	buffer_store_dword v7, v9, s[0:3], 0 offen
	s_cbranch_scc1 .LBB2105_480
; %bb.481:
	s_mov_b32 s10, 0
	v_mov_b32_e32 v6, 0
	v_mov_b32_e32 v7, 0x88
	;; [unrolled: 1-line block ×3, first 2 shown]
.LBB2105_482:                           ; =>This Inner Loop Header: Depth=1
	s_waitcnt vmcnt(2)
	v_add_u32_e32 v14, s10, v6
	v_add_u32_e32 v15, s10, v7
	buffer_load_dword v16, v14, s[0:3], 0 offen offset:4
	buffer_load_dword v17, v15, s[0:3], 0 offen
	buffer_load_dword v18, v14, s[0:3], 0 offen
	buffer_load_dword v19, v15, s[0:3], 0 offen offset:4
                                        ; kill: killed $vgpr14
	v_add_u32_e32 v14, s10, v9
	s_add_i32 s10, s10, 8
	s_cmp_lg_u32 s10, 16
                                        ; kill: killed $vgpr15
	s_waitcnt vmcnt(1)
	v_add_u32_e32 v15, v17, v18
	s_waitcnt vmcnt(0)
	v_add_u32_e32 v16, v19, v16
	buffer_store_dword v16, v14, s[0:3], 0 offen offset:4
	buffer_store_dword v15, v14, s[0:3], 0 offen
	s_cbranch_scc1 .LBB2105_482
; %bb.483:
	buffer_load_dword v9, off, s[0:3], 0 offset:96
	buffer_load_dword v6, off, s[0:3], 0 offset:100
	buffer_load_dword v7, off, s[0:3], 0 offset:104
	buffer_load_dword v14, off, s[0:3], 0 offset:108
.LBB2105_484:
	s_or_b64 exec, exec, s[4:5]
	buffer_load_ubyte v15, off, s[0:3], 0 offset:16
	v_add_u32_e32 v16, -1, v1
	v_and_b32_e32 v17, 64, v1
	v_cmp_lt_i32_e32 vcc, v16, v17
	v_cndmask_b32_e32 v16, v16, v1, vcc
	v_lshlrev_b32_e32 v16, 2, v16
	s_waitcnt vmcnt(4)
	ds_bpermute_b32 v9, v16, v9
	s_waitcnt vmcnt(3)
	ds_bpermute_b32 v17, v16, v6
	;; [unrolled: 2-line block ×4, first 2 shown]
	v_cmp_eq_u32_e32 vcc, 0, v1
	s_waitcnt vmcnt(0)
	v_or_b32_e32 v8, v8, v15
	v_and_b32_e32 v8, 1, v8
	buffer_store_byte v8, off, s[0:3], 0 offset:152
	buffer_load_dword v8, off, s[0:3], 0 offset:152
	s_waitcnt lgkmcnt(3)
	buffer_store_dword v9, off, s[0:3], 0 offset:136
	s_waitcnt lgkmcnt(2)
	buffer_store_dword v17, off, s[0:3], 0 offset:140
	;; [unrolled: 2-line block ×4, first 2 shown]
	s_waitcnt vmcnt(4)
	ds_bpermute_b32 v6, v16, v8
	s_and_saveexec_b64 s[4:5], vcc
	s_cbranch_execz .LBB2105_486
; %bb.485:
	buffer_load_dword v1, off, s[0:3], 0 offset:12
	s_waitcnt lgkmcnt(0)
	buffer_load_dword v6, off, s[0:3], 0 offset:8
	buffer_load_dword v7, off, s[0:3], 0 offset:4
	buffer_load_dword v8, off, s[0:3], 0
	s_waitcnt vmcnt(3)
	buffer_store_dword v1, off, s[0:3], 0 offset:148
	s_waitcnt vmcnt(3)
	buffer_store_dword v6, off, s[0:3], 0 offset:144
	;; [unrolled: 2-line block ×4, first 2 shown]
	v_mov_b32_e32 v6, v15
.LBB2105_486:
	s_or_b64 exec, exec, s[4:5]
	buffer_load_dword v7, off, s[0:3], 0 offset:220
	buffer_load_dword v8, off, s[0:3], 0 offset:216
	;; [unrolled: 1-line block ×5, first 2 shown]
	v_mov_b32_e32 v1, 0
	buffer_store_dword v3, off, s[0:3], 0 offset:100
	buffer_store_dword v2, off, s[0:3], 0 offset:96
	;; [unrolled: 1-line block ×4, first 2 shown]
	s_waitcnt vmcnt(8)
	buffer_store_dword v7, off, s[0:3], 0 offset:12
	s_waitcnt vmcnt(8)
	buffer_store_dword v8, off, s[0:3], 0 offset:8
	;; [unrolled: 2-line block ×3, first 2 shown]
	s_waitcnt vmcnt(8)
	buffer_store_dword v14, off, s[0:3], 0
	s_waitcnt vmcnt(8)
	buffer_store_dword v15, off, s[0:3], 0 offset:16
	buffer_store_byte v1, off, s[0:3], 0 offset:112
	s_and_saveexec_b64 s[4:5], s[8:9]
	s_cbranch_execz .LBB2105_488
; %bb.487:
	buffer_load_dword v1, off, s[0:3], 0 offset:148
	buffer_load_dword v2, off, s[0:3], 0 offset:144
	;; [unrolled: 1-line block ×4, first 2 shown]
	s_waitcnt vmcnt(3)
	buffer_store_dword v1, off, s[0:3], 0 offset:108
	s_waitcnt vmcnt(3)
	buffer_store_dword v2, off, s[0:3], 0 offset:104
	;; [unrolled: 2-line block ×4, first 2 shown]
	s_waitcnt lgkmcnt(0)
	v_mov_b32_e32 v1, v6
.LBB2105_488:
	s_or_b64 exec, exec, s[4:5]
	buffer_load_dword v2, off, s[0:3], 0 offset:108
	buffer_load_dword v3, off, s[0:3], 0 offset:104
	;; [unrolled: 1-line block ×4, first 2 shown]
	buffer_load_ubyte v7, off, s[0:3], 0 offset:16
	s_nop 0
	buffer_store_byte v1, off, s[0:3], 0 offset:224
	s_waitcnt vmcnt(5)
	buffer_store_dword v2, off, s[0:3], 0 offset:220
	s_waitcnt vmcnt(5)
	buffer_store_dword v3, off, s[0:3], 0 offset:216
	;; [unrolled: 2-line block ×4, first 2 shown]
	s_waitcnt vmcnt(5)
	v_cmp_ne_u16_e32 vcc, 0, v7
                                        ; implicit-def: $vgpr4_vgpr5
                                        ; implicit-def: $vgpr2_vgpr3
	s_and_saveexec_b64 s[4:5], vcc
	s_xor_b64 s[4:5], exec, s[4:5]
	s_cbranch_execz .LBB2105_490
; %bb.489:
	buffer_load_dword v2, off, s[0:3], 0
	buffer_load_dword v3, off, s[0:3], 0 offset:4
	buffer_load_dword v4, off, s[0:3], 0 offset:8
	buffer_load_dword v5, off, s[0:3], 0 offset:12
.LBB2105_490:
	s_andn2_saveexec_b64 s[4:5], s[4:5]
	s_cbranch_execz .LBB2105_496
; %bb.491:
	s_mov_b32 s8, 0
	s_waitcnt vmcnt(3)
	v_mov_b32_e32 v2, 0x74
	s_waitcnt vmcnt(2)
	v_mov_b32_e32 v3, 0
	s_waitcnt vmcnt(0)
.LBB2105_492:                           ; =>This Inner Loop Header: Depth=1
	v_add_u32_e32 v4, s8, v2
	s_add_i32 s8, s8, 8
	s_cmp_lg_u32 s8, 16
	buffer_store_dword v3, v4, s[0:3], 0 offen offset:4
	buffer_store_dword v3, v4, s[0:3], 0 offen
	s_cbranch_scc1 .LBB2105_492
; %bb.493:
	s_mov_b32 s8, 0
	v_mov_b32_e32 v2, 0x60
	v_mov_b32_e32 v3, 0
	;; [unrolled: 1-line block ×3, first 2 shown]
.LBB2105_494:                           ; =>This Inner Loop Header: Depth=1
	v_add_u32_e32 v5, s8, v2
	s_waitcnt lgkmcnt(0)
	v_add_u32_e32 v6, s8, v3
	buffer_load_dword v8, v5, s[0:3], 0 offen offset:4
	buffer_load_dword v9, v6, s[0:3], 0 offen
	buffer_load_dword v14, v5, s[0:3], 0 offen
	buffer_load_dword v15, v6, s[0:3], 0 offen offset:4
                                        ; kill: killed $vgpr5
	v_add_u32_e32 v5, s8, v4
	s_add_i32 s8, s8, 8
	s_cmp_lg_u32 s8, 16
                                        ; kill: killed $vgpr6
	s_waitcnt vmcnt(1)
	v_add_u32_e32 v6, v9, v14
	s_waitcnt vmcnt(0)
	v_add_u32_e32 v8, v15, v8
	buffer_store_dword v8, v5, s[0:3], 0 offen offset:4
	buffer_store_dword v6, v5, s[0:3], 0 offen
	s_cbranch_scc1 .LBB2105_494
; %bb.495:
	buffer_load_dword v2, off, s[0:3], 0 offset:116
	buffer_load_dword v3, off, s[0:3], 0 offset:120
	;; [unrolled: 1-line block ×4, first 2 shown]
.LBB2105_496:
	s_or_b64 exec, exec, s[4:5]
	buffer_load_dword v8, v10, s[0:3], 0 offen offset:12
	buffer_load_dword v9, v10, s[0:3], 0 offen offset:8
	;; [unrolled: 1-line block ×3, first 2 shown]
	buffer_load_dword v15, v10, s[0:3], 0 offen
	s_waitcnt lgkmcnt(0)
	buffer_load_ubyte v6, off, s[0:3], 0 offset:244
	v_or_b32_e32 v1, v7, v1
	v_and_b32_e32 v1, 1, v1
	v_cmp_eq_u32_e32 vcc, 1, v1
	s_waitcnt vmcnt(7)
	buffer_store_dword v3, off, s[0:3], 0 offset:100
	buffer_store_dword v2, off, s[0:3], 0 offset:96
	s_waitcnt vmcnt(7)
	buffer_store_dword v5, off, s[0:3], 0 offset:108
	buffer_store_dword v4, off, s[0:3], 0 offset:104
	buffer_store_dword v2, v10, s[0:3], 0 offen
	buffer_store_dword v3, v10, s[0:3], 0 offen offset:4
	buffer_store_dword v4, v10, s[0:3], 0 offen offset:8
	;; [unrolled: 1-line block ×3, first 2 shown]
                                        ; implicit-def: $vgpr4_vgpr5
                                        ; implicit-def: $vgpr2_vgpr3
	buffer_store_byte v1, off, s[0:3], 0 offset:244
	s_waitcnt vmcnt(13)
	buffer_store_dword v8, off, s[0:3], 0 offset:12
	s_waitcnt vmcnt(13)
	buffer_store_dword v9, off, s[0:3], 0 offset:8
	;; [unrolled: 2-line block ×3, first 2 shown]
	s_waitcnt vmcnt(13)
	buffer_store_dword v15, off, s[0:3], 0
	s_waitcnt vmcnt(13)
	v_cmp_ne_u16_e64 s[4:5], 0, v6
	s_and_saveexec_b64 s[8:9], s[4:5]
	s_xor_b64 s[4:5], exec, s[8:9]
	s_cbranch_execz .LBB2105_498
; %bb.497:
	buffer_load_dword v2, off, s[0:3], 0
	buffer_load_dword v3, off, s[0:3], 0 offset:4
	buffer_load_dword v4, off, s[0:3], 0 offset:8
	;; [unrolled: 1-line block ×3, first 2 shown]
.LBB2105_498:
	s_andn2_saveexec_b64 s[4:5], s[4:5]
	s_cbranch_execz .LBB2105_504
; %bb.499:
	s_mov_b32 s8, 0
	v_mov_b32_e32 v1, 0x74
	s_waitcnt vmcnt(3)
	v_mov_b32_e32 v2, 0
	s_waitcnt vmcnt(0)
.LBB2105_500:                           ; =>This Inner Loop Header: Depth=1
	v_add_u32_e32 v3, s8, v1
	s_add_i32 s8, s8, 8
	s_cmp_lg_u32 s8, 16
	buffer_store_dword v2, v3, s[0:3], 0 offen offset:4
	buffer_store_dword v2, v3, s[0:3], 0 offen
	s_cbranch_scc1 .LBB2105_500
; %bb.501:
	s_mov_b32 s8, 0
	v_mov_b32_e32 v1, 0x60
	v_mov_b32_e32 v2, 0
	;; [unrolled: 1-line block ×3, first 2 shown]
.LBB2105_502:                           ; =>This Inner Loop Header: Depth=1
	v_add_u32_e32 v4, s8, v1
	v_add_u32_e32 v5, s8, v2
	buffer_load_dword v7, v4, s[0:3], 0 offen offset:4
	buffer_load_dword v8, v5, s[0:3], 0 offen
	buffer_load_dword v9, v4, s[0:3], 0 offen
	buffer_load_dword v14, v5, s[0:3], 0 offen offset:4
                                        ; kill: killed $vgpr4
	v_add_u32_e32 v4, s8, v3
	s_add_i32 s8, s8, 8
	s_cmp_lg_u32 s8, 16
                                        ; kill: killed $vgpr5
	s_waitcnt vmcnt(1)
	v_add_u32_e32 v5, v8, v9
	s_waitcnt vmcnt(0)
	v_add_u32_e32 v7, v14, v7
	buffer_store_dword v7, v4, s[0:3], 0 offen offset:4
	buffer_store_dword v5, v4, s[0:3], 0 offen
	s_cbranch_scc1 .LBB2105_502
; %bb.503:
	buffer_load_dword v2, off, s[0:3], 0 offset:116
	buffer_load_dword v3, off, s[0:3], 0 offset:120
	buffer_load_dword v4, off, s[0:3], 0 offset:124
	buffer_load_dword v5, off, s[0:3], 0 offset:128
.LBB2105_504:
	s_or_b64 exec, exec, s[4:5]
	buffer_load_dword v7, v11, s[0:3], 0 offen offset:12
	buffer_load_dword v8, v11, s[0:3], 0 offen offset:8
	;; [unrolled: 1-line block ×3, first 2 shown]
	buffer_load_dword v14, v11, s[0:3], 0 offen
	buffer_load_ubyte v1, off, s[0:3], 0 offset:264
	v_and_b32_e32 v6, 1, v6
	v_cmp_eq_u32_e64 s[4:5], 1, v6
	s_or_b64 s[4:5], s[4:5], vcc
	s_waitcnt vmcnt(7)
	buffer_store_dword v3, off, s[0:3], 0 offset:100
	buffer_store_dword v2, off, s[0:3], 0 offset:96
	s_waitcnt vmcnt(7)
	buffer_store_dword v5, off, s[0:3], 0 offset:108
	buffer_store_dword v4, off, s[0:3], 0 offset:104
	buffer_store_dword v2, v11, s[0:3], 0 offen
	buffer_store_dword v3, v11, s[0:3], 0 offen offset:4
	buffer_store_dword v4, v11, s[0:3], 0 offen offset:8
	;; [unrolled: 1-line block ×3, first 2 shown]
	v_cndmask_b32_e64 v2, 0, 1, s[4:5]
                                        ; implicit-def: $vgpr4_vgpr5
	buffer_store_byte v2, off, s[0:3], 0 offset:264
	s_waitcnt vmcnt(13)
	buffer_store_dword v7, off, s[0:3], 0 offset:12
	s_waitcnt vmcnt(13)
	buffer_store_dword v8, off, s[0:3], 0 offset:8
	;; [unrolled: 2-line block ×3, first 2 shown]
	s_waitcnt vmcnt(13)
	buffer_store_dword v14, off, s[0:3], 0
	s_waitcnt vmcnt(13)
	v_cmp_ne_u16_e32 vcc, 0, v1
                                        ; implicit-def: $vgpr2_vgpr3
	s_and_saveexec_b64 s[8:9], vcc
	s_xor_b64 s[8:9], exec, s[8:9]
	s_cbranch_execz .LBB2105_506
; %bb.505:
	buffer_load_dword v2, off, s[0:3], 0
	buffer_load_dword v3, off, s[0:3], 0 offset:4
	buffer_load_dword v4, off, s[0:3], 0 offset:8
	;; [unrolled: 1-line block ×3, first 2 shown]
.LBB2105_506:
	s_andn2_saveexec_b64 s[8:9], s[8:9]
	s_cbranch_execz .LBB2105_512
; %bb.507:
	s_mov_b32 s10, 0
	s_waitcnt vmcnt(3)
	v_mov_b32_e32 v2, 0x74
	s_waitcnt vmcnt(2)
	v_mov_b32_e32 v3, 0
	s_waitcnt vmcnt(0)
.LBB2105_508:                           ; =>This Inner Loop Header: Depth=1
	v_add_u32_e32 v4, s10, v2
	s_add_i32 s10, s10, 8
	s_cmp_lg_u32 s10, 16
	buffer_store_dword v3, v4, s[0:3], 0 offen offset:4
	buffer_store_dword v3, v4, s[0:3], 0 offen
	s_cbranch_scc1 .LBB2105_508
; %bb.509:
	s_mov_b32 s10, 0
	v_mov_b32_e32 v2, 0x60
	v_mov_b32_e32 v3, 0
	;; [unrolled: 1-line block ×3, first 2 shown]
.LBB2105_510:                           ; =>This Inner Loop Header: Depth=1
	v_add_u32_e32 v5, s10, v2
	v_add_u32_e32 v6, s10, v3
	buffer_load_dword v7, v5, s[0:3], 0 offen offset:4
	buffer_load_dword v8, v6, s[0:3], 0 offen
	buffer_load_dword v9, v5, s[0:3], 0 offen
	buffer_load_dword v14, v6, s[0:3], 0 offen offset:4
                                        ; kill: killed $vgpr5
	v_add_u32_e32 v5, s10, v4
	s_add_i32 s10, s10, 8
	s_cmp_lg_u32 s10, 16
                                        ; kill: killed $vgpr6
	s_waitcnt vmcnt(1)
	v_add_u32_e32 v6, v8, v9
	s_waitcnt vmcnt(0)
	v_add_u32_e32 v7, v14, v7
	buffer_store_dword v7, v5, s[0:3], 0 offen offset:4
	buffer_store_dword v6, v5, s[0:3], 0 offen
	s_cbranch_scc1 .LBB2105_510
; %bb.511:
	buffer_load_dword v2, off, s[0:3], 0 offset:116
	buffer_load_dword v3, off, s[0:3], 0 offset:120
	;; [unrolled: 1-line block ×4, first 2 shown]
.LBB2105_512:
	s_or_b64 exec, exec, s[8:9]
	buffer_load_dword v7, v12, s[0:3], 0 offen offset:12
	buffer_load_dword v8, v12, s[0:3], 0 offen offset:8
	buffer_load_dword v9, v12, s[0:3], 0 offen offset:4
	buffer_load_dword v14, v12, s[0:3], 0 offen
	buffer_load_ubyte v6, off, s[0:3], 0 offset:284
	v_and_b32_e32 v1, 1, v1
	v_cmp_eq_u32_e32 vcc, 1, v1
	s_or_b64 s[4:5], vcc, s[4:5]
	v_cndmask_b32_e64 v1, 0, 1, s[4:5]
	s_waitcnt vmcnt(7)
	buffer_store_dword v3, off, s[0:3], 0 offset:100
	buffer_store_dword v2, off, s[0:3], 0 offset:96
	s_waitcnt vmcnt(7)
	buffer_store_dword v5, off, s[0:3], 0 offset:108
	buffer_store_dword v4, off, s[0:3], 0 offset:104
	buffer_store_dword v2, v12, s[0:3], 0 offen
	buffer_store_dword v3, v12, s[0:3], 0 offen offset:4
	buffer_store_dword v4, v12, s[0:3], 0 offen offset:8
	;; [unrolled: 1-line block ×3, first 2 shown]
                                        ; implicit-def: $vgpr4_vgpr5
                                        ; implicit-def: $vgpr2_vgpr3
	buffer_store_byte v1, off, s[0:3], 0 offset:284
	s_waitcnt vmcnt(13)
	buffer_store_dword v7, off, s[0:3], 0 offset:12
	s_waitcnt vmcnt(13)
	buffer_store_dword v8, off, s[0:3], 0 offset:8
	s_waitcnt vmcnt(13)
	buffer_store_dword v9, off, s[0:3], 0 offset:4
	s_waitcnt vmcnt(13)
	buffer_store_dword v14, off, s[0:3], 0
	s_waitcnt vmcnt(13)
	v_cmp_ne_u16_e32 vcc, 0, v6
	s_and_saveexec_b64 s[8:9], vcc
	s_xor_b64 s[8:9], exec, s[8:9]
	s_cbranch_execz .LBB2105_514
; %bb.513:
	buffer_load_dword v2, off, s[0:3], 0
	buffer_load_dword v3, off, s[0:3], 0 offset:4
	buffer_load_dword v4, off, s[0:3], 0 offset:8
	;; [unrolled: 1-line block ×3, first 2 shown]
.LBB2105_514:
	s_andn2_saveexec_b64 s[8:9], s[8:9]
	s_cbranch_execz .LBB2105_520
; %bb.515:
	s_mov_b32 s10, 0
	v_mov_b32_e32 v1, 0x74
	s_waitcnt vmcnt(3)
	v_mov_b32_e32 v2, 0
	s_waitcnt vmcnt(0)
.LBB2105_516:                           ; =>This Inner Loop Header: Depth=1
	v_add_u32_e32 v3, s10, v1
	s_add_i32 s10, s10, 8
	s_cmp_lg_u32 s10, 16
	buffer_store_dword v2, v3, s[0:3], 0 offen offset:4
	buffer_store_dword v2, v3, s[0:3], 0 offen
	s_cbranch_scc1 .LBB2105_516
; %bb.517:
	s_mov_b32 s10, 0
	v_mov_b32_e32 v1, 0x60
	v_mov_b32_e32 v2, 0
	;; [unrolled: 1-line block ×3, first 2 shown]
.LBB2105_518:                           ; =>This Inner Loop Header: Depth=1
	v_add_u32_e32 v4, s10, v1
	v_add_u32_e32 v5, s10, v2
	buffer_load_dword v7, v4, s[0:3], 0 offen offset:4
	buffer_load_dword v8, v5, s[0:3], 0 offen
	buffer_load_dword v9, v4, s[0:3], 0 offen
	buffer_load_dword v14, v5, s[0:3], 0 offen offset:4
                                        ; kill: killed $vgpr4
	v_add_u32_e32 v4, s10, v3
	s_add_i32 s10, s10, 8
	s_cmp_lg_u32 s10, 16
                                        ; kill: killed $vgpr5
	s_waitcnt vmcnt(1)
	v_add_u32_e32 v5, v8, v9
	s_waitcnt vmcnt(0)
	v_add_u32_e32 v7, v14, v7
	buffer_store_dword v7, v4, s[0:3], 0 offen offset:4
	buffer_store_dword v5, v4, s[0:3], 0 offen
	s_cbranch_scc1 .LBB2105_518
; %bb.519:
	buffer_load_dword v2, off, s[0:3], 0 offset:116
	buffer_load_dword v3, off, s[0:3], 0 offset:120
	;; [unrolled: 1-line block ×4, first 2 shown]
.LBB2105_520:
	s_or_b64 exec, exec, s[8:9]
	v_and_b32_e32 v1, 1, v6
	s_waitcnt vmcnt(0)
	buffer_store_dword v5, v13, s[0:3], 0 offen offset:12
	buffer_store_dword v4, v13, s[0:3], 0 offen offset:8
	;; [unrolled: 1-line block ×3, first 2 shown]
	v_mov_b32_e32 v3, 0
	v_cmp_eq_u32_e32 vcc, 1, v1
	ds_read2_b32 v[4:5], v3 offset0:17 offset1:18
	ds_read_u8 v1, v3 offset:76
	ds_read2_b32 v[6:7], v3 offset0:15 offset1:16
	s_or_b64 s[4:5], vcc, s[4:5]
	v_cndmask_b32_e64 v8, 0, 1, s[4:5]
	buffer_store_dword v2, v13, s[0:3], 0 offen
	buffer_store_byte v8, off, s[0:3], 0 offset:304
	s_waitcnt lgkmcnt(2)
	buffer_store_dword v5, off, s[0:3], 0 offset:188
	buffer_store_dword v4, off, s[0:3], 0 offset:184
	s_waitcnt lgkmcnt(0)
	buffer_store_dword v7, off, s[0:3], 0 offset:180
	buffer_store_dword v6, off, s[0:3], 0 offset:176
	v_cmp_ne_u16_e32 vcc, 0, v1
	s_cbranch_vccz .LBB2105_526
; %bb.521:
	buffer_load_dword v2, off, s[0:3], 0 offset:176
	buffer_load_dword v3, off, s[0:3], 0 offset:180
	;; [unrolled: 1-line block ×4, first 2 shown]
	s_cbranch_execz .LBB2105_527
	s_branch .LBB2105_532
.LBB2105_522:
	v_lshlrev_b32_e32 v20, 4, v0
	v_mov_b32_e32 v21, s51
	v_add_co_u32_e32 v20, vcc, s50, v20
	v_addc_co_u32_e32 v21, vcc, 0, v21, vcc
	flat_load_dwordx4 v[20:23], v[20:21]
	s_waitcnt vmcnt(0) lgkmcnt(0)
	buffer_store_dword v21, off, s[0:3], 0 offset:4
	buffer_store_dword v20, off, s[0:3], 0
	buffer_store_dword v23, off, s[0:3], 0 offset:12
	buffer_store_dword v22, off, s[0:3], 0 offset:8
	s_or_b64 exec, exec, s[4:5]
	s_and_saveexec_b64 s[4:5], s[10:11]
	s_cbranch_execz .LBB2105_39
.LBB2105_523:
	v_lshlrev_b32_e32 v14, 4, v14
	v_mov_b32_e32 v21, s51
	v_add_co_u32_e32 v20, vcc, s50, v14
	v_addc_co_u32_e32 v21, vcc, 0, v21, vcc
	flat_load_dwordx4 v[20:23], v[20:21]
	s_waitcnt vmcnt(0) lgkmcnt(0)
	buffer_store_dword v21, off, s[0:3], 0 offset:20
	buffer_store_dword v20, off, s[0:3], 0 offset:16
	buffer_store_dword v23, off, s[0:3], 0 offset:28
	buffer_store_dword v22, off, s[0:3], 0 offset:24
	s_or_b64 exec, exec, s[4:5]
	s_and_saveexec_b64 s[4:5], s[12:13]
	s_cbranch_execz .LBB2105_40
.LBB2105_524:
	v_lshlrev_b32_e32 v14, 4, v17
	v_mov_b32_e32 v17, s51
	v_add_co_u32_e32 v20, vcc, s50, v14
	v_addc_co_u32_e32 v21, vcc, 0, v17, vcc
	flat_load_dwordx4 v[20:23], v[20:21]
	s_waitcnt vmcnt(0) lgkmcnt(0)
	buffer_store_dword v21, off, s[0:3], 0 offset:36
	buffer_store_dword v20, off, s[0:3], 0 offset:32
	;; [unrolled: 1-line block ×4, first 2 shown]
	s_or_b64 exec, exec, s[4:5]
	s_and_saveexec_b64 s[4:5], s[14:15]
	s_cbranch_execz .LBB2105_41
.LBB2105_525:
	v_lshlrev_b32_e32 v14, 4, v18
	v_mov_b32_e32 v17, s51
	v_add_co_u32_e32 v20, vcc, s50, v14
	v_addc_co_u32_e32 v21, vcc, 0, v17, vcc
	flat_load_dwordx4 v[20:23], v[20:21]
	s_waitcnt vmcnt(0) lgkmcnt(0)
	buffer_store_dword v21, off, s[0:3], 0 offset:52
	buffer_store_dword v20, off, s[0:3], 0 offset:48
	;; [unrolled: 1-line block ×4, first 2 shown]
	s_or_b64 exec, exec, s[4:5]
	v_mul_u32_u24_e32 v14, 5, v0
	s_and_saveexec_b64 s[4:5], s[16:17]
	s_cbranch_execnz .LBB2105_42
	s_branch .LBB2105_43
.LBB2105_526:
                                        ; implicit-def: $vgpr4_vgpr5
.LBB2105_527:
	s_mov_b32 s4, 0
	s_waitcnt vmcnt(3)
	v_mov_b32_e32 v2, 0
	s_waitcnt vmcnt(2)
	v_mov_b32_e32 v3, 0
	s_waitcnt vmcnt(0)
.LBB2105_528:                           ; =>This Inner Loop Header: Depth=1
	v_add_u32_e32 v4, s4, v2
	s_add_i32 s4, s4, 8
	s_cmp_lg_u32 s4, 16
	buffer_store_dword v3, v4, s[0:3], 0 offen offset:4
	buffer_store_dword v3, v4, s[0:3], 0 offen
	s_cbranch_scc1 .LBB2105_528
; %bb.529:
	s_mov_b32 s4, 0
	v_mov_b32_e32 v2, 0x9c
	v_mov_b32_e32 v3, 0xb0
	;; [unrolled: 1-line block ×3, first 2 shown]
.LBB2105_530:                           ; =>This Inner Loop Header: Depth=1
	v_add_u32_e32 v5, s4, v2
	v_add_u32_e32 v6, s4, v3
	buffer_load_dword v7, v5, s[0:3], 0 offen offset:4
	buffer_load_dword v8, v6, s[0:3], 0 offen
	buffer_load_dword v9, v5, s[0:3], 0 offen
	buffer_load_dword v14, v6, s[0:3], 0 offen offset:4
                                        ; kill: killed $vgpr5
	v_add_u32_e32 v5, s4, v4
	s_add_i32 s4, s4, 8
	s_cmp_lg_u32 s4, 16
                                        ; kill: killed $vgpr6
	s_waitcnt vmcnt(1)
	v_add_u32_e32 v6, v8, v9
	s_waitcnt vmcnt(0)
	v_add_u32_e32 v7, v14, v7
	buffer_store_dword v7, v5, s[0:3], 0 offen offset:4
	buffer_store_dword v6, v5, s[0:3], 0 offen
	s_cbranch_scc1 .LBB2105_530
; %bb.531:
	buffer_load_dword v2, off, s[0:3], 0
	buffer_load_dword v3, off, s[0:3], 0 offset:4
	buffer_load_dword v4, off, s[0:3], 0 offset:8
	;; [unrolled: 1-line block ×3, first 2 shown]
.LBB2105_532:
	buffer_load_ubyte v6, off, s[0:3], 0 offset:172
	s_waitcnt vmcnt(3)
	buffer_store_dword v3, off, s[0:3], 0 offset:180
	buffer_store_dword v2, off, s[0:3], 0 offset:176
	s_waitcnt vmcnt(3)
	buffer_store_dword v5, off, s[0:3], 0 offset:188
	s_waitcnt vmcnt(3)
	v_or_b32_e32 v1, v1, v6
	v_and_b32_e32 v1, 1, v1
	buffer_store_dword v4, off, s[0:3], 0 offset:184
	buffer_store_byte v1, off, s[0:3], 0 offset:192
	s_and_saveexec_b64 s[4:5], s[18:19]
	s_cbranch_execz .LBB2105_534
; %bb.533:
	v_mov_b32_e32 v6, 0
	global_store_dwordx4 v6, v[2:5], s[22:23] offset:1280
	global_store_byte v6, v1, s[22:23] offset:1296
	v_mov_b32_e32 v1, 2
	s_waitcnt vmcnt(0)
	buffer_wbinvl1_vol
	global_store_byte v6, v1, s[24:25] offset:64
.LBB2105_534:
	s_or_b64 exec, exec, s[4:5]
.LBB2105_535:
	s_mov_b32 s4, 0
	v_mov_b32_e32 v1, 0
	v_mov_b32_e32 v2, 0
.LBB2105_536:                           ; =>This Inner Loop Header: Depth=1
	v_add_u32_e32 v3, s4, v1
	s_add_i32 s4, s4, 8
	s_cmp_lg_u32 s4, 16
	buffer_store_dword v2, v3, s[0:3], 0 offen offset:4
	buffer_store_dword v2, v3, s[0:3], 0 offen
	s_cbranch_scc1 .LBB2105_536
; %bb.537:
	s_mov_b32 s4, 16
	v_mov_b32_e32 v1, 0
	v_mov_b32_e32 v2, 0
.LBB2105_538:                           ; =>This Inner Loop Header: Depth=1
	v_add_u32_e32 v3, s4, v1
	s_add_i32 s4, s4, 8
	s_cmp_lg_u32 s4, 32
	buffer_store_dword v2, v3, s[0:3], 0 offen offset:4
	buffer_store_dword v2, v3, s[0:3], 0 offen
	s_cbranch_scc1 .LBB2105_538
; %bb.539:
	;; [unrolled: 11-line block ×4, first 2 shown]
	s_mov_b32 s4, 64
	v_mov_b32_e32 v1, 0
	v_mov_b32_e32 v2, 0
.LBB2105_544:                           ; =>This Inner Loop Header: Depth=1
	v_add_u32_e32 v3, s4, v1
	s_add_i32 s4, s4, 8
	s_cmpk_lg_i32 s4, 0x50
	buffer_store_dword v2, v3, s[0:3], 0 offen offset:4
	buffer_store_dword v2, v3, s[0:3], 0 offen
	s_cbranch_scc1 .LBB2105_544
; %bb.545:
	s_add_u32 s4, s42, s34
	s_addc_u32 s5, s43, s35
	v_mov_b32_e32 v1, 0
	s_add_u32 s8, s4, s36
	v_add_u32_e32 v4, 64, v1
	v_add_u32_e32 v5, 48, v1
	;; [unrolled: 1-line block ×4, first 2 shown]
	s_addc_u32 s9, s5, s37
	s_and_b64 vcc, exec, s[6:7]
	s_cbranch_vccz .LBB2105_561
; %bb.546:
	s_add_i32 s27, s27, s26
	v_mul_u32_u24_e32 v1, 5, v0
	v_cmp_gt_u32_e32 vcc, s27, v1
	s_and_saveexec_b64 s[4:5], vcc
	s_cbranch_execz .LBB2105_552
; %bb.547:
	buffer_load_dword v2, off, s[0:3], 0 offset:220
	buffer_load_dword v3, off, s[0:3], 0 offset:216
	;; [unrolled: 1-line block ×4, first 2 shown]
	v_add_u32_e32 v14, 1, v1
	v_cmp_gt_u32_e32 vcc, s27, v14
	s_waitcnt vmcnt(3)
	buffer_store_dword v2, off, s[0:3], 0 offset:12
	s_waitcnt vmcnt(3)
	buffer_store_dword v3, off, s[0:3], 0 offset:8
	s_waitcnt vmcnt(3)
	buffer_store_dword v8, off, s[0:3], 0 offset:4
	s_waitcnt vmcnt(3)
	buffer_store_dword v9, off, s[0:3], 0
	s_and_b64 exec, exec, vcc
	s_cbranch_execz .LBB2105_552
; %bb.548:
	buffer_load_dword v2, v10, s[0:3], 0 offen offset:12
	buffer_load_dword v3, v10, s[0:3], 0 offen offset:8
	buffer_load_dword v8, v10, s[0:3], 0 offen offset:4
	buffer_load_dword v9, v10, s[0:3], 0 offen
	v_add_u32_e32 v14, 2, v1
	v_cmp_gt_u32_e32 vcc, s27, v14
	s_waitcnt vmcnt(3)
	buffer_store_dword v2, v7, s[0:3], 0 offen offset:12
	s_waitcnt vmcnt(3)
	buffer_store_dword v3, v7, s[0:3], 0 offen offset:8
	s_waitcnt vmcnt(3)
	buffer_store_dword v8, v7, s[0:3], 0 offen offset:4
	s_waitcnt vmcnt(3)
	buffer_store_dword v9, v7, s[0:3], 0 offen
	s_and_b64 exec, exec, vcc
	s_cbranch_execz .LBB2105_552
; %bb.549:
	buffer_load_dword v2, v11, s[0:3], 0 offen offset:12
	buffer_load_dword v3, v11, s[0:3], 0 offen offset:8
	buffer_load_dword v8, v11, s[0:3], 0 offen offset:4
	buffer_load_dword v9, v11, s[0:3], 0 offen
	v_add_u32_e32 v14, 3, v1
	v_cmp_gt_u32_e32 vcc, s27, v14
	s_waitcnt vmcnt(3)
	buffer_store_dword v2, v6, s[0:3], 0 offen offset:12
	s_waitcnt vmcnt(3)
	buffer_store_dword v3, v6, s[0:3], 0 offen offset:8
	s_waitcnt vmcnt(3)
	buffer_store_dword v8, v6, s[0:3], 0 offen offset:4
	s_waitcnt vmcnt(3)
	buffer_store_dword v9, v6, s[0:3], 0 offen
	;; [unrolled: 17-line block ×3, first 2 shown]
	s_and_b64 exec, exec, vcc
	s_cbranch_execz .LBB2105_552
; %bb.551:
	buffer_load_dword v2, v13, s[0:3], 0 offen offset:12
	buffer_load_dword v3, v13, s[0:3], 0 offen offset:8
	;; [unrolled: 1-line block ×3, first 2 shown]
	buffer_load_dword v9, v13, s[0:3], 0 offen
	s_waitcnt vmcnt(3)
	buffer_store_dword v2, v4, s[0:3], 0 offen offset:12
	s_waitcnt vmcnt(3)
	buffer_store_dword v3, v4, s[0:3], 0 offen offset:8
	;; [unrolled: 2-line block ×3, first 2 shown]
	s_waitcnt vmcnt(3)
	buffer_store_dword v9, v4, s[0:3], 0 offen
.LBB2105_552:
	s_or_b64 exec, exec, s[4:5]
	s_waitcnt vmcnt(63) expcnt(7) lgkmcnt(15)
	s_barrier
	buffer_load_dword v14, off, s[0:3], 0
	buffer_load_dword v15, off, s[0:3], 0 offset:4
	buffer_load_dword v16, off, s[0:3], 0 offset:8
	;; [unrolled: 1-line block ×3, first 2 shown]
	buffer_load_dword v18, v7, s[0:3], 0 offen
	buffer_load_dword v19, v7, s[0:3], 0 offen offset:4
	buffer_load_dword v20, v7, s[0:3], 0 offen offset:8
	buffer_load_dword v21, v7, s[0:3], 0 offen offset:12
	buffer_load_dword v22, v6, s[0:3], 0 offen
	buffer_load_dword v23, v6, s[0:3], 0 offen offset:4
	buffer_load_dword v24, v6, s[0:3], 0 offen offset:8
	buffer_load_dword v25, v6, s[0:3], 0 offen offset:12
	;; [unrolled: 4-line block ×4, first 2 shown]
	v_lshlrev_b32_e32 v2, 4, v1
	v_lshlrev_b32_e32 v3, 6, v0
	v_sub_u32_e32 v8, v2, v3
	v_lshlrev_b32_e32 v9, 4, v0
	v_mov_b32_e32 v34, s9
	v_mov_b32_e32 v1, 0
	s_waitcnt vmcnt(16)
	ds_write_b128 v2, v[14:17]
	s_waitcnt vmcnt(12)
	ds_write_b128 v2, v[18:21] offset:16
	s_waitcnt vmcnt(8)
	ds_write_b128 v2, v[22:25] offset:32
	;; [unrolled: 2-line block ×4, first 2 shown]
	s_waitcnt lgkmcnt(0)
	s_barrier
	ds_read_b128 v[14:17], v8 offset:4096
	ds_read_b128 v[18:21], v8 offset:8192
	;; [unrolled: 1-line block ×4, first 2 shown]
	v_add_co_u32_e32 v2, vcc, s8, v9
	v_addc_co_u32_e32 v3, vcc, 0, v34, vcc
	v_cmp_gt_u32_e32 vcc, s27, v0
	s_waitcnt lgkmcnt(3)
	buffer_store_dword v17, v7, s[0:3], 0 offen offset:12
	buffer_store_dword v16, v7, s[0:3], 0 offen offset:8
	buffer_store_dword v15, v7, s[0:3], 0 offen offset:4
	buffer_store_dword v14, v7, s[0:3], 0 offen
	s_waitcnt lgkmcnt(2)
	buffer_store_dword v21, v6, s[0:3], 0 offen offset:12
	buffer_store_dword v20, v6, s[0:3], 0 offen offset:8
	buffer_store_dword v19, v6, s[0:3], 0 offen offset:4
	buffer_store_dword v18, v6, s[0:3], 0 offen
	;; [unrolled: 5-line block ×4, first 2 shown]
	s_and_saveexec_b64 s[4:5], vcc
	s_cbranch_execz .LBB2105_554
; %bb.553:
	ds_read2_b32 v[16:17], v8 offset0:2 offset1:3
	ds_read2_b32 v[14:15], v8 offset1:1
	s_waitcnt lgkmcnt(0)
	flat_store_dwordx4 v[2:3], v[14:17]
.LBB2105_554:
	s_or_b64 exec, exec, s[4:5]
	v_or_b32_e32 v8, 0x100, v0
	v_cmp_gt_u32_e32 vcc, s27, v8
	s_and_saveexec_b64 s[4:5], vcc
	s_cbranch_execz .LBB2105_556
; %bb.555:
	buffer_load_dword v14, v7, s[0:3], 0 offen
	buffer_load_dword v15, v7, s[0:3], 0 offen offset:4
	buffer_load_dword v16, v7, s[0:3], 0 offen offset:8
	buffer_load_dword v17, v7, s[0:3], 0 offen offset:12
	v_add_co_u32_e32 v8, vcc, 0x1000, v2
	v_addc_co_u32_e32 v9, vcc, 0, v3, vcc
	s_waitcnt vmcnt(0)
	flat_store_dwordx4 v[8:9], v[14:17]
.LBB2105_556:
	s_or_b64 exec, exec, s[4:5]
	v_or_b32_e32 v8, 0x200, v0
	v_cmp_gt_u32_e32 vcc, s27, v8
	s_and_saveexec_b64 s[4:5], vcc
	s_cbranch_execz .LBB2105_558
; %bb.557:
	buffer_load_dword v14, v6, s[0:3], 0 offen
	buffer_load_dword v15, v6, s[0:3], 0 offen offset:4
	buffer_load_dword v16, v6, s[0:3], 0 offen offset:8
	buffer_load_dword v17, v6, s[0:3], 0 offen offset:12
	v_add_co_u32_e32 v8, vcc, 0x2000, v2
	v_addc_co_u32_e32 v9, vcc, 0, v3, vcc
	s_waitcnt vmcnt(0)
	flat_store_dwordx4 v[8:9], v[14:17]
.LBB2105_558:
	;; [unrolled: 15-line block ×3, first 2 shown]
	s_or_b64 exec, exec, s[4:5]
	v_or_b32_e32 v2, 0x400, v0
	v_cmp_gt_u32_e64 s[4:5], s27, v2
	s_branch .LBB2105_563
.LBB2105_561:
	s_mov_b64 s[4:5], 0
	s_cbranch_execz .LBB2105_563
; %bb.562:
	buffer_load_dword v1, off, s[0:3], 0 offset:220
	buffer_load_dword v2, off, s[0:3], 0 offset:216
	;; [unrolled: 1-line block ×4, first 2 shown]
	buffer_load_dword v9, v10, s[0:3], 0 offen offset:12
	buffer_load_dword v14, v10, s[0:3], 0 offen offset:8
	buffer_load_dword v15, v10, s[0:3], 0 offen offset:4
	buffer_load_dword v16, v10, s[0:3], 0 offen
	buffer_load_dword v17, v11, s[0:3], 0 offen offset:12
	buffer_load_dword v18, v11, s[0:3], 0 offen offset:8
	buffer_load_dword v19, v11, s[0:3], 0 offen offset:4
	buffer_load_dword v20, v11, s[0:3], 0 offen
	;; [unrolled: 4-line block ×3, first 2 shown]
	buffer_load_dword v25, v13, s[0:3], 0 offen offset:12
	buffer_load_dword v26, v13, s[0:3], 0 offen offset:8
	;; [unrolled: 1-line block ×3, first 2 shown]
                                        ; kill: killed $vgpr10
                                        ; kill: killed $vgpr11
                                        ; kill: killed $vgpr12
	buffer_load_dword v10, v13, s[0:3], 0 offen
	v_mov_b32_e32 v28, s9
	s_movk_i32 s6, 0x1000
	s_movk_i32 s7, 0x2000
	s_or_b64 s[4:5], s[4:5], exec
	s_waitcnt vmcnt(0)
	buffer_store_dword v1, off, s[0:3], 0 offset:12
	buffer_store_dword v2, off, s[0:3], 0 offset:8
	buffer_store_dword v3, off, s[0:3], 0 offset:4
	buffer_store_dword v8, off, s[0:3], 0
	buffer_store_dword v9, v7, s[0:3], 0 offen offset:12
	buffer_store_dword v14, v7, s[0:3], 0 offen offset:8
	buffer_store_dword v15, v7, s[0:3], 0 offen offset:4
	buffer_store_dword v16, v7, s[0:3], 0 offen
	buffer_store_dword v17, v6, s[0:3], 0 offen offset:12
	buffer_store_dword v18, v6, s[0:3], 0 offen offset:8
	buffer_store_dword v19, v6, s[0:3], 0 offen offset:4
	buffer_store_dword v20, v6, s[0:3], 0 offen
	;; [unrolled: 4-line block ×4, first 2 shown]
	s_waitcnt lgkmcnt(0)
	s_barrier
	buffer_load_dword v8, off, s[0:3], 0
	buffer_load_dword v9, off, s[0:3], 0 offset:4
	buffer_load_dword v10, off, s[0:3], 0 offset:8
	;; [unrolled: 1-line block ×3, first 2 shown]
	buffer_load_dword v12, v7, s[0:3], 0 offen
	buffer_load_dword v13, v7, s[0:3], 0 offen offset:4
	buffer_load_dword v14, v7, s[0:3], 0 offen offset:8
	buffer_load_dword v15, v7, s[0:3], 0 offen offset:12
	buffer_load_dword v16, v6, s[0:3], 0 offen
	buffer_load_dword v17, v6, s[0:3], 0 offen offset:4
	buffer_load_dword v18, v6, s[0:3], 0 offen offset:8
	buffer_load_dword v19, v6, s[0:3], 0 offen offset:12
	;; [unrolled: 4-line block ×4, first 2 shown]
	v_mul_u32_u24_e32 v1, 0x50, v0
	v_lshlrev_b32_e32 v2, 6, v0
	v_lshlrev_b32_e32 v3, 4, v0
	v_sub_u32_e32 v32, v1, v2
	v_add_co_u32_e32 v2, vcc, s8, v3
	v_addc_co_u32_e32 v3, vcc, 0, v28, vcc
	v_add_co_u32_e32 v28, vcc, s6, v2
	v_addc_co_u32_e32 v29, vcc, 0, v3, vcc
	v_add_co_u32_e32 v30, vcc, s7, v2
	v_addc_co_u32_e32 v31, vcc, 0, v3, vcc
	s_waitcnt vmcnt(16)
	ds_write_b128 v1, v[8:11]
	s_waitcnt vmcnt(12)
	ds_write_b128 v1, v[12:15] offset:16
	s_waitcnt vmcnt(8)
	ds_write_b128 v1, v[16:19] offset:32
	;; [unrolled: 2-line block ×4, first 2 shown]
	s_waitcnt lgkmcnt(0)
	s_barrier
	ds_read_b128 v[8:11], v32 offset:4096
	ds_read_b128 v[12:15], v32 offset:8192
	;; [unrolled: 1-line block ×4, first 2 shown]
	ds_read2_b32 v[26:27], v32 offset0:2 offset1:3
	ds_read2_b32 v[24:25], v32 offset1:1
	s_waitcnt lgkmcnt(5)
	buffer_store_dword v11, v7, s[0:3], 0 offen offset:12
	buffer_store_dword v10, v7, s[0:3], 0 offen offset:8
	buffer_store_dword v9, v7, s[0:3], 0 offen offset:4
	buffer_store_dword v8, v7, s[0:3], 0 offen
	s_waitcnt lgkmcnt(4)
	buffer_store_dword v15, v6, s[0:3], 0 offen offset:12
	buffer_store_dword v14, v6, s[0:3], 0 offen offset:8
	buffer_store_dword v13, v6, s[0:3], 0 offen offset:4
	buffer_store_dword v12, v6, s[0:3], 0 offen
	;; [unrolled: 5-line block ×4, first 2 shown]
	s_waitcnt lgkmcnt(0)
	flat_store_dwordx4 v[2:3], v[24:27]
	flat_store_dwordx4 v[28:29], v[8:11]
	;; [unrolled: 1-line block ×3, first 2 shown]
	buffer_load_dword v6, v5, s[0:3], 0 offen
	buffer_load_dword v7, v5, s[0:3], 0 offen offset:4
	s_nop 0
	buffer_load_dword v8, v5, s[0:3], 0 offen offset:8
	buffer_load_dword v9, v5, s[0:3], 0 offen offset:12
	v_add_co_u32_e32 v2, vcc, 0x3000, v2
	v_mov_b32_e32 v1, 0
	v_addc_co_u32_e32 v3, vcc, 0, v3, vcc
	s_waitcnt vmcnt(0)
	flat_store_dwordx4 v[2:3], v[6:9]
.LBB2105_563:
	s_and_saveexec_b64 s[6:7], s[4:5]
	s_cbranch_execnz .LBB2105_565
; %bb.564:
	s_endpgm
.LBB2105_565:
	buffer_load_dword v6, v4, s[0:3], 0 offen
	buffer_load_dword v7, v4, s[0:3], 0 offen offset:4
	buffer_load_dword v8, v4, s[0:3], 0 offen offset:8
	;; [unrolled: 1-line block ×3, first 2 shown]
	v_lshlrev_b64 v[0:1], 4, v[0:1]
	v_mov_b32_e32 v2, s9
	v_add_co_u32_e32 v0, vcc, s8, v0
	v_addc_co_u32_e32 v1, vcc, v2, v1, vcc
	v_add_co_u32_e32 v0, vcc, 0x4000, v0
	v_addc_co_u32_e32 v1, vcc, 0, v1, vcc
	s_waitcnt vmcnt(0)
	flat_store_dwordx4 v[0:1], v[6:9]
	s_endpgm
	.section	.rodata,"a",@progbits
	.p2align	6, 0x0
	.amdhsa_kernel _ZN7rocprim17ROCPRIM_400000_NS6detail17trampoline_kernelINS0_14default_configENS1_27scan_by_key_config_selectorIj11FixedVectorIiLj4EEEEZZNS1_16scan_by_key_implILNS1_25lookback_scan_determinismE0ELb1ES3_N6thrust23THRUST_200600_302600_NS6detail15normal_iteratorINSB_10device_ptrIjEEEENSD_INSE_IS6_EEEESI_S6_NSB_4plusIvEENSB_8equal_toIvEES6_EE10hipError_tPvRmT2_T3_T4_T5_mT6_T7_P12ihipStream_tbENKUlT_T0_E_clISt17integral_constantIbLb0EES12_IbLb1EEEEDaSY_SZ_EUlSY_E_NS1_11comp_targetILNS1_3genE4ELNS1_11target_archE910ELNS1_3gpuE8ELNS1_3repE0EEENS1_30default_config_static_selectorELNS0_4arch9wavefront6targetE1EEEvT1_
		.amdhsa_group_segment_fixed_size 20480
		.amdhsa_private_segment_fixed_size 320
		.amdhsa_kernarg_size 144
		.amdhsa_user_sgpr_count 8
		.amdhsa_user_sgpr_private_segment_buffer 1
		.amdhsa_user_sgpr_dispatch_ptr 0
		.amdhsa_user_sgpr_queue_ptr 0
		.amdhsa_user_sgpr_kernarg_segment_ptr 1
		.amdhsa_user_sgpr_dispatch_id 0
		.amdhsa_user_sgpr_flat_scratch_init 1
		.amdhsa_user_sgpr_kernarg_preload_length 0
		.amdhsa_user_sgpr_kernarg_preload_offset 0
		.amdhsa_user_sgpr_private_segment_size 0
		.amdhsa_uses_dynamic_stack 0
		.amdhsa_system_sgpr_private_segment_wavefront_offset 1
		.amdhsa_system_sgpr_workgroup_id_x 1
		.amdhsa_system_sgpr_workgroup_id_y 0
		.amdhsa_system_sgpr_workgroup_id_z 0
		.amdhsa_system_sgpr_workgroup_info 0
		.amdhsa_system_vgpr_workitem_id 0
		.amdhsa_next_free_vgpr 43
		.amdhsa_next_free_sgpr 53
		.amdhsa_accum_offset 44
		.amdhsa_reserve_vcc 1
		.amdhsa_reserve_flat_scratch 1
		.amdhsa_float_round_mode_32 0
		.amdhsa_float_round_mode_16_64 0
		.amdhsa_float_denorm_mode_32 3
		.amdhsa_float_denorm_mode_16_64 3
		.amdhsa_dx10_clamp 1
		.amdhsa_ieee_mode 1
		.amdhsa_fp16_overflow 0
		.amdhsa_tg_split 0
		.amdhsa_exception_fp_ieee_invalid_op 0
		.amdhsa_exception_fp_denorm_src 0
		.amdhsa_exception_fp_ieee_div_zero 0
		.amdhsa_exception_fp_ieee_overflow 0
		.amdhsa_exception_fp_ieee_underflow 0
		.amdhsa_exception_fp_ieee_inexact 0
		.amdhsa_exception_int_div_zero 0
	.end_amdhsa_kernel
	.section	.text._ZN7rocprim17ROCPRIM_400000_NS6detail17trampoline_kernelINS0_14default_configENS1_27scan_by_key_config_selectorIj11FixedVectorIiLj4EEEEZZNS1_16scan_by_key_implILNS1_25lookback_scan_determinismE0ELb1ES3_N6thrust23THRUST_200600_302600_NS6detail15normal_iteratorINSB_10device_ptrIjEEEENSD_INSE_IS6_EEEESI_S6_NSB_4plusIvEENSB_8equal_toIvEES6_EE10hipError_tPvRmT2_T3_T4_T5_mT6_T7_P12ihipStream_tbENKUlT_T0_E_clISt17integral_constantIbLb0EES12_IbLb1EEEEDaSY_SZ_EUlSY_E_NS1_11comp_targetILNS1_3genE4ELNS1_11target_archE910ELNS1_3gpuE8ELNS1_3repE0EEENS1_30default_config_static_selectorELNS0_4arch9wavefront6targetE1EEEvT1_,"axG",@progbits,_ZN7rocprim17ROCPRIM_400000_NS6detail17trampoline_kernelINS0_14default_configENS1_27scan_by_key_config_selectorIj11FixedVectorIiLj4EEEEZZNS1_16scan_by_key_implILNS1_25lookback_scan_determinismE0ELb1ES3_N6thrust23THRUST_200600_302600_NS6detail15normal_iteratorINSB_10device_ptrIjEEEENSD_INSE_IS6_EEEESI_S6_NSB_4plusIvEENSB_8equal_toIvEES6_EE10hipError_tPvRmT2_T3_T4_T5_mT6_T7_P12ihipStream_tbENKUlT_T0_E_clISt17integral_constantIbLb0EES12_IbLb1EEEEDaSY_SZ_EUlSY_E_NS1_11comp_targetILNS1_3genE4ELNS1_11target_archE910ELNS1_3gpuE8ELNS1_3repE0EEENS1_30default_config_static_selectorELNS0_4arch9wavefront6targetE1EEEvT1_,comdat
.Lfunc_end2105:
	.size	_ZN7rocprim17ROCPRIM_400000_NS6detail17trampoline_kernelINS0_14default_configENS1_27scan_by_key_config_selectorIj11FixedVectorIiLj4EEEEZZNS1_16scan_by_key_implILNS1_25lookback_scan_determinismE0ELb1ES3_N6thrust23THRUST_200600_302600_NS6detail15normal_iteratorINSB_10device_ptrIjEEEENSD_INSE_IS6_EEEESI_S6_NSB_4plusIvEENSB_8equal_toIvEES6_EE10hipError_tPvRmT2_T3_T4_T5_mT6_T7_P12ihipStream_tbENKUlT_T0_E_clISt17integral_constantIbLb0EES12_IbLb1EEEEDaSY_SZ_EUlSY_E_NS1_11comp_targetILNS1_3genE4ELNS1_11target_archE910ELNS1_3gpuE8ELNS1_3repE0EEENS1_30default_config_static_selectorELNS0_4arch9wavefront6targetE1EEEvT1_, .Lfunc_end2105-_ZN7rocprim17ROCPRIM_400000_NS6detail17trampoline_kernelINS0_14default_configENS1_27scan_by_key_config_selectorIj11FixedVectorIiLj4EEEEZZNS1_16scan_by_key_implILNS1_25lookback_scan_determinismE0ELb1ES3_N6thrust23THRUST_200600_302600_NS6detail15normal_iteratorINSB_10device_ptrIjEEEENSD_INSE_IS6_EEEESI_S6_NSB_4plusIvEENSB_8equal_toIvEES6_EE10hipError_tPvRmT2_T3_T4_T5_mT6_T7_P12ihipStream_tbENKUlT_T0_E_clISt17integral_constantIbLb0EES12_IbLb1EEEEDaSY_SZ_EUlSY_E_NS1_11comp_targetILNS1_3genE4ELNS1_11target_archE910ELNS1_3gpuE8ELNS1_3repE0EEENS1_30default_config_static_selectorELNS0_4arch9wavefront6targetE1EEEvT1_
                                        ; -- End function
	.section	.AMDGPU.csdata,"",@progbits
; Kernel info:
; codeLenInByte = 30504
; NumSgprs: 59
; NumVgprs: 43
; NumAgprs: 0
; TotalNumVgprs: 43
; ScratchSize: 320
; MemoryBound: 1
; FloatMode: 240
; IeeeMode: 1
; LDSByteSize: 20480 bytes/workgroup (compile time only)
; SGPRBlocks: 7
; VGPRBlocks: 5
; NumSGPRsForWavesPerEU: 59
; NumVGPRsForWavesPerEU: 43
; AccumOffset: 44
; Occupancy: 3
; WaveLimiterHint : 1
; COMPUTE_PGM_RSRC2:SCRATCH_EN: 1
; COMPUTE_PGM_RSRC2:USER_SGPR: 8
; COMPUTE_PGM_RSRC2:TRAP_HANDLER: 0
; COMPUTE_PGM_RSRC2:TGID_X_EN: 1
; COMPUTE_PGM_RSRC2:TGID_Y_EN: 0
; COMPUTE_PGM_RSRC2:TGID_Z_EN: 0
; COMPUTE_PGM_RSRC2:TIDIG_COMP_CNT: 0
; COMPUTE_PGM_RSRC3_GFX90A:ACCUM_OFFSET: 10
; COMPUTE_PGM_RSRC3_GFX90A:TG_SPLIT: 0
	.section	.text._ZN7rocprim17ROCPRIM_400000_NS6detail17trampoline_kernelINS0_14default_configENS1_27scan_by_key_config_selectorIj11FixedVectorIiLj4EEEEZZNS1_16scan_by_key_implILNS1_25lookback_scan_determinismE0ELb1ES3_N6thrust23THRUST_200600_302600_NS6detail15normal_iteratorINSB_10device_ptrIjEEEENSD_INSE_IS6_EEEESI_S6_NSB_4plusIvEENSB_8equal_toIvEES6_EE10hipError_tPvRmT2_T3_T4_T5_mT6_T7_P12ihipStream_tbENKUlT_T0_E_clISt17integral_constantIbLb0EES12_IbLb1EEEEDaSY_SZ_EUlSY_E_NS1_11comp_targetILNS1_3genE3ELNS1_11target_archE908ELNS1_3gpuE7ELNS1_3repE0EEENS1_30default_config_static_selectorELNS0_4arch9wavefront6targetE1EEEvT1_,"axG",@progbits,_ZN7rocprim17ROCPRIM_400000_NS6detail17trampoline_kernelINS0_14default_configENS1_27scan_by_key_config_selectorIj11FixedVectorIiLj4EEEEZZNS1_16scan_by_key_implILNS1_25lookback_scan_determinismE0ELb1ES3_N6thrust23THRUST_200600_302600_NS6detail15normal_iteratorINSB_10device_ptrIjEEEENSD_INSE_IS6_EEEESI_S6_NSB_4plusIvEENSB_8equal_toIvEES6_EE10hipError_tPvRmT2_T3_T4_T5_mT6_T7_P12ihipStream_tbENKUlT_T0_E_clISt17integral_constantIbLb0EES12_IbLb1EEEEDaSY_SZ_EUlSY_E_NS1_11comp_targetILNS1_3genE3ELNS1_11target_archE908ELNS1_3gpuE7ELNS1_3repE0EEENS1_30default_config_static_selectorELNS0_4arch9wavefront6targetE1EEEvT1_,comdat
	.protected	_ZN7rocprim17ROCPRIM_400000_NS6detail17trampoline_kernelINS0_14default_configENS1_27scan_by_key_config_selectorIj11FixedVectorIiLj4EEEEZZNS1_16scan_by_key_implILNS1_25lookback_scan_determinismE0ELb1ES3_N6thrust23THRUST_200600_302600_NS6detail15normal_iteratorINSB_10device_ptrIjEEEENSD_INSE_IS6_EEEESI_S6_NSB_4plusIvEENSB_8equal_toIvEES6_EE10hipError_tPvRmT2_T3_T4_T5_mT6_T7_P12ihipStream_tbENKUlT_T0_E_clISt17integral_constantIbLb0EES12_IbLb1EEEEDaSY_SZ_EUlSY_E_NS1_11comp_targetILNS1_3genE3ELNS1_11target_archE908ELNS1_3gpuE7ELNS1_3repE0EEENS1_30default_config_static_selectorELNS0_4arch9wavefront6targetE1EEEvT1_ ; -- Begin function _ZN7rocprim17ROCPRIM_400000_NS6detail17trampoline_kernelINS0_14default_configENS1_27scan_by_key_config_selectorIj11FixedVectorIiLj4EEEEZZNS1_16scan_by_key_implILNS1_25lookback_scan_determinismE0ELb1ES3_N6thrust23THRUST_200600_302600_NS6detail15normal_iteratorINSB_10device_ptrIjEEEENSD_INSE_IS6_EEEESI_S6_NSB_4plusIvEENSB_8equal_toIvEES6_EE10hipError_tPvRmT2_T3_T4_T5_mT6_T7_P12ihipStream_tbENKUlT_T0_E_clISt17integral_constantIbLb0EES12_IbLb1EEEEDaSY_SZ_EUlSY_E_NS1_11comp_targetILNS1_3genE3ELNS1_11target_archE908ELNS1_3gpuE7ELNS1_3repE0EEENS1_30default_config_static_selectorELNS0_4arch9wavefront6targetE1EEEvT1_
	.globl	_ZN7rocprim17ROCPRIM_400000_NS6detail17trampoline_kernelINS0_14default_configENS1_27scan_by_key_config_selectorIj11FixedVectorIiLj4EEEEZZNS1_16scan_by_key_implILNS1_25lookback_scan_determinismE0ELb1ES3_N6thrust23THRUST_200600_302600_NS6detail15normal_iteratorINSB_10device_ptrIjEEEENSD_INSE_IS6_EEEESI_S6_NSB_4plusIvEENSB_8equal_toIvEES6_EE10hipError_tPvRmT2_T3_T4_T5_mT6_T7_P12ihipStream_tbENKUlT_T0_E_clISt17integral_constantIbLb0EES12_IbLb1EEEEDaSY_SZ_EUlSY_E_NS1_11comp_targetILNS1_3genE3ELNS1_11target_archE908ELNS1_3gpuE7ELNS1_3repE0EEENS1_30default_config_static_selectorELNS0_4arch9wavefront6targetE1EEEvT1_
	.p2align	8
	.type	_ZN7rocprim17ROCPRIM_400000_NS6detail17trampoline_kernelINS0_14default_configENS1_27scan_by_key_config_selectorIj11FixedVectorIiLj4EEEEZZNS1_16scan_by_key_implILNS1_25lookback_scan_determinismE0ELb1ES3_N6thrust23THRUST_200600_302600_NS6detail15normal_iteratorINSB_10device_ptrIjEEEENSD_INSE_IS6_EEEESI_S6_NSB_4plusIvEENSB_8equal_toIvEES6_EE10hipError_tPvRmT2_T3_T4_T5_mT6_T7_P12ihipStream_tbENKUlT_T0_E_clISt17integral_constantIbLb0EES12_IbLb1EEEEDaSY_SZ_EUlSY_E_NS1_11comp_targetILNS1_3genE3ELNS1_11target_archE908ELNS1_3gpuE7ELNS1_3repE0EEENS1_30default_config_static_selectorELNS0_4arch9wavefront6targetE1EEEvT1_,@function
_ZN7rocprim17ROCPRIM_400000_NS6detail17trampoline_kernelINS0_14default_configENS1_27scan_by_key_config_selectorIj11FixedVectorIiLj4EEEEZZNS1_16scan_by_key_implILNS1_25lookback_scan_determinismE0ELb1ES3_N6thrust23THRUST_200600_302600_NS6detail15normal_iteratorINSB_10device_ptrIjEEEENSD_INSE_IS6_EEEESI_S6_NSB_4plusIvEENSB_8equal_toIvEES6_EE10hipError_tPvRmT2_T3_T4_T5_mT6_T7_P12ihipStream_tbENKUlT_T0_E_clISt17integral_constantIbLb0EES12_IbLb1EEEEDaSY_SZ_EUlSY_E_NS1_11comp_targetILNS1_3genE3ELNS1_11target_archE908ELNS1_3gpuE7ELNS1_3repE0EEENS1_30default_config_static_selectorELNS0_4arch9wavefront6targetE1EEEvT1_: ; @_ZN7rocprim17ROCPRIM_400000_NS6detail17trampoline_kernelINS0_14default_configENS1_27scan_by_key_config_selectorIj11FixedVectorIiLj4EEEEZZNS1_16scan_by_key_implILNS1_25lookback_scan_determinismE0ELb1ES3_N6thrust23THRUST_200600_302600_NS6detail15normal_iteratorINSB_10device_ptrIjEEEENSD_INSE_IS6_EEEESI_S6_NSB_4plusIvEENSB_8equal_toIvEES6_EE10hipError_tPvRmT2_T3_T4_T5_mT6_T7_P12ihipStream_tbENKUlT_T0_E_clISt17integral_constantIbLb0EES12_IbLb1EEEEDaSY_SZ_EUlSY_E_NS1_11comp_targetILNS1_3genE3ELNS1_11target_archE908ELNS1_3gpuE7ELNS1_3repE0EEENS1_30default_config_static_selectorELNS0_4arch9wavefront6targetE1EEEvT1_
; %bb.0:
	.section	.rodata,"a",@progbits
	.p2align	6, 0x0
	.amdhsa_kernel _ZN7rocprim17ROCPRIM_400000_NS6detail17trampoline_kernelINS0_14default_configENS1_27scan_by_key_config_selectorIj11FixedVectorIiLj4EEEEZZNS1_16scan_by_key_implILNS1_25lookback_scan_determinismE0ELb1ES3_N6thrust23THRUST_200600_302600_NS6detail15normal_iteratorINSB_10device_ptrIjEEEENSD_INSE_IS6_EEEESI_S6_NSB_4plusIvEENSB_8equal_toIvEES6_EE10hipError_tPvRmT2_T3_T4_T5_mT6_T7_P12ihipStream_tbENKUlT_T0_E_clISt17integral_constantIbLb0EES12_IbLb1EEEEDaSY_SZ_EUlSY_E_NS1_11comp_targetILNS1_3genE3ELNS1_11target_archE908ELNS1_3gpuE7ELNS1_3repE0EEENS1_30default_config_static_selectorELNS0_4arch9wavefront6targetE1EEEvT1_
		.amdhsa_group_segment_fixed_size 0
		.amdhsa_private_segment_fixed_size 0
		.amdhsa_kernarg_size 144
		.amdhsa_user_sgpr_count 6
		.amdhsa_user_sgpr_private_segment_buffer 1
		.amdhsa_user_sgpr_dispatch_ptr 0
		.amdhsa_user_sgpr_queue_ptr 0
		.amdhsa_user_sgpr_kernarg_segment_ptr 1
		.amdhsa_user_sgpr_dispatch_id 0
		.amdhsa_user_sgpr_flat_scratch_init 0
		.amdhsa_user_sgpr_kernarg_preload_length 0
		.amdhsa_user_sgpr_kernarg_preload_offset 0
		.amdhsa_user_sgpr_private_segment_size 0
		.amdhsa_uses_dynamic_stack 0
		.amdhsa_system_sgpr_private_segment_wavefront_offset 0
		.amdhsa_system_sgpr_workgroup_id_x 1
		.amdhsa_system_sgpr_workgroup_id_y 0
		.amdhsa_system_sgpr_workgroup_id_z 0
		.amdhsa_system_sgpr_workgroup_info 0
		.amdhsa_system_vgpr_workitem_id 0
		.amdhsa_next_free_vgpr 1
		.amdhsa_next_free_sgpr 0
		.amdhsa_accum_offset 4
		.amdhsa_reserve_vcc 0
		.amdhsa_reserve_flat_scratch 0
		.amdhsa_float_round_mode_32 0
		.amdhsa_float_round_mode_16_64 0
		.amdhsa_float_denorm_mode_32 3
		.amdhsa_float_denorm_mode_16_64 3
		.amdhsa_dx10_clamp 1
		.amdhsa_ieee_mode 1
		.amdhsa_fp16_overflow 0
		.amdhsa_tg_split 0
		.amdhsa_exception_fp_ieee_invalid_op 0
		.amdhsa_exception_fp_denorm_src 0
		.amdhsa_exception_fp_ieee_div_zero 0
		.amdhsa_exception_fp_ieee_overflow 0
		.amdhsa_exception_fp_ieee_underflow 0
		.amdhsa_exception_fp_ieee_inexact 0
		.amdhsa_exception_int_div_zero 0
	.end_amdhsa_kernel
	.section	.text._ZN7rocprim17ROCPRIM_400000_NS6detail17trampoline_kernelINS0_14default_configENS1_27scan_by_key_config_selectorIj11FixedVectorIiLj4EEEEZZNS1_16scan_by_key_implILNS1_25lookback_scan_determinismE0ELb1ES3_N6thrust23THRUST_200600_302600_NS6detail15normal_iteratorINSB_10device_ptrIjEEEENSD_INSE_IS6_EEEESI_S6_NSB_4plusIvEENSB_8equal_toIvEES6_EE10hipError_tPvRmT2_T3_T4_T5_mT6_T7_P12ihipStream_tbENKUlT_T0_E_clISt17integral_constantIbLb0EES12_IbLb1EEEEDaSY_SZ_EUlSY_E_NS1_11comp_targetILNS1_3genE3ELNS1_11target_archE908ELNS1_3gpuE7ELNS1_3repE0EEENS1_30default_config_static_selectorELNS0_4arch9wavefront6targetE1EEEvT1_,"axG",@progbits,_ZN7rocprim17ROCPRIM_400000_NS6detail17trampoline_kernelINS0_14default_configENS1_27scan_by_key_config_selectorIj11FixedVectorIiLj4EEEEZZNS1_16scan_by_key_implILNS1_25lookback_scan_determinismE0ELb1ES3_N6thrust23THRUST_200600_302600_NS6detail15normal_iteratorINSB_10device_ptrIjEEEENSD_INSE_IS6_EEEESI_S6_NSB_4plusIvEENSB_8equal_toIvEES6_EE10hipError_tPvRmT2_T3_T4_T5_mT6_T7_P12ihipStream_tbENKUlT_T0_E_clISt17integral_constantIbLb0EES12_IbLb1EEEEDaSY_SZ_EUlSY_E_NS1_11comp_targetILNS1_3genE3ELNS1_11target_archE908ELNS1_3gpuE7ELNS1_3repE0EEENS1_30default_config_static_selectorELNS0_4arch9wavefront6targetE1EEEvT1_,comdat
.Lfunc_end2106:
	.size	_ZN7rocprim17ROCPRIM_400000_NS6detail17trampoline_kernelINS0_14default_configENS1_27scan_by_key_config_selectorIj11FixedVectorIiLj4EEEEZZNS1_16scan_by_key_implILNS1_25lookback_scan_determinismE0ELb1ES3_N6thrust23THRUST_200600_302600_NS6detail15normal_iteratorINSB_10device_ptrIjEEEENSD_INSE_IS6_EEEESI_S6_NSB_4plusIvEENSB_8equal_toIvEES6_EE10hipError_tPvRmT2_T3_T4_T5_mT6_T7_P12ihipStream_tbENKUlT_T0_E_clISt17integral_constantIbLb0EES12_IbLb1EEEEDaSY_SZ_EUlSY_E_NS1_11comp_targetILNS1_3genE3ELNS1_11target_archE908ELNS1_3gpuE7ELNS1_3repE0EEENS1_30default_config_static_selectorELNS0_4arch9wavefront6targetE1EEEvT1_, .Lfunc_end2106-_ZN7rocprim17ROCPRIM_400000_NS6detail17trampoline_kernelINS0_14default_configENS1_27scan_by_key_config_selectorIj11FixedVectorIiLj4EEEEZZNS1_16scan_by_key_implILNS1_25lookback_scan_determinismE0ELb1ES3_N6thrust23THRUST_200600_302600_NS6detail15normal_iteratorINSB_10device_ptrIjEEEENSD_INSE_IS6_EEEESI_S6_NSB_4plusIvEENSB_8equal_toIvEES6_EE10hipError_tPvRmT2_T3_T4_T5_mT6_T7_P12ihipStream_tbENKUlT_T0_E_clISt17integral_constantIbLb0EES12_IbLb1EEEEDaSY_SZ_EUlSY_E_NS1_11comp_targetILNS1_3genE3ELNS1_11target_archE908ELNS1_3gpuE7ELNS1_3repE0EEENS1_30default_config_static_selectorELNS0_4arch9wavefront6targetE1EEEvT1_
                                        ; -- End function
	.section	.AMDGPU.csdata,"",@progbits
; Kernel info:
; codeLenInByte = 0
; NumSgprs: 4
; NumVgprs: 0
; NumAgprs: 0
; TotalNumVgprs: 0
; ScratchSize: 0
; MemoryBound: 0
; FloatMode: 240
; IeeeMode: 1
; LDSByteSize: 0 bytes/workgroup (compile time only)
; SGPRBlocks: 0
; VGPRBlocks: 0
; NumSGPRsForWavesPerEU: 4
; NumVGPRsForWavesPerEU: 1
; AccumOffset: 4
; Occupancy: 8
; WaveLimiterHint : 0
; COMPUTE_PGM_RSRC2:SCRATCH_EN: 0
; COMPUTE_PGM_RSRC2:USER_SGPR: 6
; COMPUTE_PGM_RSRC2:TRAP_HANDLER: 0
; COMPUTE_PGM_RSRC2:TGID_X_EN: 1
; COMPUTE_PGM_RSRC2:TGID_Y_EN: 0
; COMPUTE_PGM_RSRC2:TGID_Z_EN: 0
; COMPUTE_PGM_RSRC2:TIDIG_COMP_CNT: 0
; COMPUTE_PGM_RSRC3_GFX90A:ACCUM_OFFSET: 0
; COMPUTE_PGM_RSRC3_GFX90A:TG_SPLIT: 0
	.section	.text._ZN7rocprim17ROCPRIM_400000_NS6detail17trampoline_kernelINS0_14default_configENS1_27scan_by_key_config_selectorIj11FixedVectorIiLj4EEEEZZNS1_16scan_by_key_implILNS1_25lookback_scan_determinismE0ELb1ES3_N6thrust23THRUST_200600_302600_NS6detail15normal_iteratorINSB_10device_ptrIjEEEENSD_INSE_IS6_EEEESI_S6_NSB_4plusIvEENSB_8equal_toIvEES6_EE10hipError_tPvRmT2_T3_T4_T5_mT6_T7_P12ihipStream_tbENKUlT_T0_E_clISt17integral_constantIbLb0EES12_IbLb1EEEEDaSY_SZ_EUlSY_E_NS1_11comp_targetILNS1_3genE2ELNS1_11target_archE906ELNS1_3gpuE6ELNS1_3repE0EEENS1_30default_config_static_selectorELNS0_4arch9wavefront6targetE1EEEvT1_,"axG",@progbits,_ZN7rocprim17ROCPRIM_400000_NS6detail17trampoline_kernelINS0_14default_configENS1_27scan_by_key_config_selectorIj11FixedVectorIiLj4EEEEZZNS1_16scan_by_key_implILNS1_25lookback_scan_determinismE0ELb1ES3_N6thrust23THRUST_200600_302600_NS6detail15normal_iteratorINSB_10device_ptrIjEEEENSD_INSE_IS6_EEEESI_S6_NSB_4plusIvEENSB_8equal_toIvEES6_EE10hipError_tPvRmT2_T3_T4_T5_mT6_T7_P12ihipStream_tbENKUlT_T0_E_clISt17integral_constantIbLb0EES12_IbLb1EEEEDaSY_SZ_EUlSY_E_NS1_11comp_targetILNS1_3genE2ELNS1_11target_archE906ELNS1_3gpuE6ELNS1_3repE0EEENS1_30default_config_static_selectorELNS0_4arch9wavefront6targetE1EEEvT1_,comdat
	.protected	_ZN7rocprim17ROCPRIM_400000_NS6detail17trampoline_kernelINS0_14default_configENS1_27scan_by_key_config_selectorIj11FixedVectorIiLj4EEEEZZNS1_16scan_by_key_implILNS1_25lookback_scan_determinismE0ELb1ES3_N6thrust23THRUST_200600_302600_NS6detail15normal_iteratorINSB_10device_ptrIjEEEENSD_INSE_IS6_EEEESI_S6_NSB_4plusIvEENSB_8equal_toIvEES6_EE10hipError_tPvRmT2_T3_T4_T5_mT6_T7_P12ihipStream_tbENKUlT_T0_E_clISt17integral_constantIbLb0EES12_IbLb1EEEEDaSY_SZ_EUlSY_E_NS1_11comp_targetILNS1_3genE2ELNS1_11target_archE906ELNS1_3gpuE6ELNS1_3repE0EEENS1_30default_config_static_selectorELNS0_4arch9wavefront6targetE1EEEvT1_ ; -- Begin function _ZN7rocprim17ROCPRIM_400000_NS6detail17trampoline_kernelINS0_14default_configENS1_27scan_by_key_config_selectorIj11FixedVectorIiLj4EEEEZZNS1_16scan_by_key_implILNS1_25lookback_scan_determinismE0ELb1ES3_N6thrust23THRUST_200600_302600_NS6detail15normal_iteratorINSB_10device_ptrIjEEEENSD_INSE_IS6_EEEESI_S6_NSB_4plusIvEENSB_8equal_toIvEES6_EE10hipError_tPvRmT2_T3_T4_T5_mT6_T7_P12ihipStream_tbENKUlT_T0_E_clISt17integral_constantIbLb0EES12_IbLb1EEEEDaSY_SZ_EUlSY_E_NS1_11comp_targetILNS1_3genE2ELNS1_11target_archE906ELNS1_3gpuE6ELNS1_3repE0EEENS1_30default_config_static_selectorELNS0_4arch9wavefront6targetE1EEEvT1_
	.globl	_ZN7rocprim17ROCPRIM_400000_NS6detail17trampoline_kernelINS0_14default_configENS1_27scan_by_key_config_selectorIj11FixedVectorIiLj4EEEEZZNS1_16scan_by_key_implILNS1_25lookback_scan_determinismE0ELb1ES3_N6thrust23THRUST_200600_302600_NS6detail15normal_iteratorINSB_10device_ptrIjEEEENSD_INSE_IS6_EEEESI_S6_NSB_4plusIvEENSB_8equal_toIvEES6_EE10hipError_tPvRmT2_T3_T4_T5_mT6_T7_P12ihipStream_tbENKUlT_T0_E_clISt17integral_constantIbLb0EES12_IbLb1EEEEDaSY_SZ_EUlSY_E_NS1_11comp_targetILNS1_3genE2ELNS1_11target_archE906ELNS1_3gpuE6ELNS1_3repE0EEENS1_30default_config_static_selectorELNS0_4arch9wavefront6targetE1EEEvT1_
	.p2align	8
	.type	_ZN7rocprim17ROCPRIM_400000_NS6detail17trampoline_kernelINS0_14default_configENS1_27scan_by_key_config_selectorIj11FixedVectorIiLj4EEEEZZNS1_16scan_by_key_implILNS1_25lookback_scan_determinismE0ELb1ES3_N6thrust23THRUST_200600_302600_NS6detail15normal_iteratorINSB_10device_ptrIjEEEENSD_INSE_IS6_EEEESI_S6_NSB_4plusIvEENSB_8equal_toIvEES6_EE10hipError_tPvRmT2_T3_T4_T5_mT6_T7_P12ihipStream_tbENKUlT_T0_E_clISt17integral_constantIbLb0EES12_IbLb1EEEEDaSY_SZ_EUlSY_E_NS1_11comp_targetILNS1_3genE2ELNS1_11target_archE906ELNS1_3gpuE6ELNS1_3repE0EEENS1_30default_config_static_selectorELNS0_4arch9wavefront6targetE1EEEvT1_,@function
_ZN7rocprim17ROCPRIM_400000_NS6detail17trampoline_kernelINS0_14default_configENS1_27scan_by_key_config_selectorIj11FixedVectorIiLj4EEEEZZNS1_16scan_by_key_implILNS1_25lookback_scan_determinismE0ELb1ES3_N6thrust23THRUST_200600_302600_NS6detail15normal_iteratorINSB_10device_ptrIjEEEENSD_INSE_IS6_EEEESI_S6_NSB_4plusIvEENSB_8equal_toIvEES6_EE10hipError_tPvRmT2_T3_T4_T5_mT6_T7_P12ihipStream_tbENKUlT_T0_E_clISt17integral_constantIbLb0EES12_IbLb1EEEEDaSY_SZ_EUlSY_E_NS1_11comp_targetILNS1_3genE2ELNS1_11target_archE906ELNS1_3gpuE6ELNS1_3repE0EEENS1_30default_config_static_selectorELNS0_4arch9wavefront6targetE1EEEvT1_: ; @_ZN7rocprim17ROCPRIM_400000_NS6detail17trampoline_kernelINS0_14default_configENS1_27scan_by_key_config_selectorIj11FixedVectorIiLj4EEEEZZNS1_16scan_by_key_implILNS1_25lookback_scan_determinismE0ELb1ES3_N6thrust23THRUST_200600_302600_NS6detail15normal_iteratorINSB_10device_ptrIjEEEENSD_INSE_IS6_EEEESI_S6_NSB_4plusIvEENSB_8equal_toIvEES6_EE10hipError_tPvRmT2_T3_T4_T5_mT6_T7_P12ihipStream_tbENKUlT_T0_E_clISt17integral_constantIbLb0EES12_IbLb1EEEEDaSY_SZ_EUlSY_E_NS1_11comp_targetILNS1_3genE2ELNS1_11target_archE906ELNS1_3gpuE6ELNS1_3repE0EEENS1_30default_config_static_selectorELNS0_4arch9wavefront6targetE1EEEvT1_
; %bb.0:
	.section	.rodata,"a",@progbits
	.p2align	6, 0x0
	.amdhsa_kernel _ZN7rocprim17ROCPRIM_400000_NS6detail17trampoline_kernelINS0_14default_configENS1_27scan_by_key_config_selectorIj11FixedVectorIiLj4EEEEZZNS1_16scan_by_key_implILNS1_25lookback_scan_determinismE0ELb1ES3_N6thrust23THRUST_200600_302600_NS6detail15normal_iteratorINSB_10device_ptrIjEEEENSD_INSE_IS6_EEEESI_S6_NSB_4plusIvEENSB_8equal_toIvEES6_EE10hipError_tPvRmT2_T3_T4_T5_mT6_T7_P12ihipStream_tbENKUlT_T0_E_clISt17integral_constantIbLb0EES12_IbLb1EEEEDaSY_SZ_EUlSY_E_NS1_11comp_targetILNS1_3genE2ELNS1_11target_archE906ELNS1_3gpuE6ELNS1_3repE0EEENS1_30default_config_static_selectorELNS0_4arch9wavefront6targetE1EEEvT1_
		.amdhsa_group_segment_fixed_size 0
		.amdhsa_private_segment_fixed_size 0
		.amdhsa_kernarg_size 144
		.amdhsa_user_sgpr_count 6
		.amdhsa_user_sgpr_private_segment_buffer 1
		.amdhsa_user_sgpr_dispatch_ptr 0
		.amdhsa_user_sgpr_queue_ptr 0
		.amdhsa_user_sgpr_kernarg_segment_ptr 1
		.amdhsa_user_sgpr_dispatch_id 0
		.amdhsa_user_sgpr_flat_scratch_init 0
		.amdhsa_user_sgpr_kernarg_preload_length 0
		.amdhsa_user_sgpr_kernarg_preload_offset 0
		.amdhsa_user_sgpr_private_segment_size 0
		.amdhsa_uses_dynamic_stack 0
		.amdhsa_system_sgpr_private_segment_wavefront_offset 0
		.amdhsa_system_sgpr_workgroup_id_x 1
		.amdhsa_system_sgpr_workgroup_id_y 0
		.amdhsa_system_sgpr_workgroup_id_z 0
		.amdhsa_system_sgpr_workgroup_info 0
		.amdhsa_system_vgpr_workitem_id 0
		.amdhsa_next_free_vgpr 1
		.amdhsa_next_free_sgpr 0
		.amdhsa_accum_offset 4
		.amdhsa_reserve_vcc 0
		.amdhsa_reserve_flat_scratch 0
		.amdhsa_float_round_mode_32 0
		.amdhsa_float_round_mode_16_64 0
		.amdhsa_float_denorm_mode_32 3
		.amdhsa_float_denorm_mode_16_64 3
		.amdhsa_dx10_clamp 1
		.amdhsa_ieee_mode 1
		.amdhsa_fp16_overflow 0
		.amdhsa_tg_split 0
		.amdhsa_exception_fp_ieee_invalid_op 0
		.amdhsa_exception_fp_denorm_src 0
		.amdhsa_exception_fp_ieee_div_zero 0
		.amdhsa_exception_fp_ieee_overflow 0
		.amdhsa_exception_fp_ieee_underflow 0
		.amdhsa_exception_fp_ieee_inexact 0
		.amdhsa_exception_int_div_zero 0
	.end_amdhsa_kernel
	.section	.text._ZN7rocprim17ROCPRIM_400000_NS6detail17trampoline_kernelINS0_14default_configENS1_27scan_by_key_config_selectorIj11FixedVectorIiLj4EEEEZZNS1_16scan_by_key_implILNS1_25lookback_scan_determinismE0ELb1ES3_N6thrust23THRUST_200600_302600_NS6detail15normal_iteratorINSB_10device_ptrIjEEEENSD_INSE_IS6_EEEESI_S6_NSB_4plusIvEENSB_8equal_toIvEES6_EE10hipError_tPvRmT2_T3_T4_T5_mT6_T7_P12ihipStream_tbENKUlT_T0_E_clISt17integral_constantIbLb0EES12_IbLb1EEEEDaSY_SZ_EUlSY_E_NS1_11comp_targetILNS1_3genE2ELNS1_11target_archE906ELNS1_3gpuE6ELNS1_3repE0EEENS1_30default_config_static_selectorELNS0_4arch9wavefront6targetE1EEEvT1_,"axG",@progbits,_ZN7rocprim17ROCPRIM_400000_NS6detail17trampoline_kernelINS0_14default_configENS1_27scan_by_key_config_selectorIj11FixedVectorIiLj4EEEEZZNS1_16scan_by_key_implILNS1_25lookback_scan_determinismE0ELb1ES3_N6thrust23THRUST_200600_302600_NS6detail15normal_iteratorINSB_10device_ptrIjEEEENSD_INSE_IS6_EEEESI_S6_NSB_4plusIvEENSB_8equal_toIvEES6_EE10hipError_tPvRmT2_T3_T4_T5_mT6_T7_P12ihipStream_tbENKUlT_T0_E_clISt17integral_constantIbLb0EES12_IbLb1EEEEDaSY_SZ_EUlSY_E_NS1_11comp_targetILNS1_3genE2ELNS1_11target_archE906ELNS1_3gpuE6ELNS1_3repE0EEENS1_30default_config_static_selectorELNS0_4arch9wavefront6targetE1EEEvT1_,comdat
.Lfunc_end2107:
	.size	_ZN7rocprim17ROCPRIM_400000_NS6detail17trampoline_kernelINS0_14default_configENS1_27scan_by_key_config_selectorIj11FixedVectorIiLj4EEEEZZNS1_16scan_by_key_implILNS1_25lookback_scan_determinismE0ELb1ES3_N6thrust23THRUST_200600_302600_NS6detail15normal_iteratorINSB_10device_ptrIjEEEENSD_INSE_IS6_EEEESI_S6_NSB_4plusIvEENSB_8equal_toIvEES6_EE10hipError_tPvRmT2_T3_T4_T5_mT6_T7_P12ihipStream_tbENKUlT_T0_E_clISt17integral_constantIbLb0EES12_IbLb1EEEEDaSY_SZ_EUlSY_E_NS1_11comp_targetILNS1_3genE2ELNS1_11target_archE906ELNS1_3gpuE6ELNS1_3repE0EEENS1_30default_config_static_selectorELNS0_4arch9wavefront6targetE1EEEvT1_, .Lfunc_end2107-_ZN7rocprim17ROCPRIM_400000_NS6detail17trampoline_kernelINS0_14default_configENS1_27scan_by_key_config_selectorIj11FixedVectorIiLj4EEEEZZNS1_16scan_by_key_implILNS1_25lookback_scan_determinismE0ELb1ES3_N6thrust23THRUST_200600_302600_NS6detail15normal_iteratorINSB_10device_ptrIjEEEENSD_INSE_IS6_EEEESI_S6_NSB_4plusIvEENSB_8equal_toIvEES6_EE10hipError_tPvRmT2_T3_T4_T5_mT6_T7_P12ihipStream_tbENKUlT_T0_E_clISt17integral_constantIbLb0EES12_IbLb1EEEEDaSY_SZ_EUlSY_E_NS1_11comp_targetILNS1_3genE2ELNS1_11target_archE906ELNS1_3gpuE6ELNS1_3repE0EEENS1_30default_config_static_selectorELNS0_4arch9wavefront6targetE1EEEvT1_
                                        ; -- End function
	.section	.AMDGPU.csdata,"",@progbits
; Kernel info:
; codeLenInByte = 0
; NumSgprs: 4
; NumVgprs: 0
; NumAgprs: 0
; TotalNumVgprs: 0
; ScratchSize: 0
; MemoryBound: 0
; FloatMode: 240
; IeeeMode: 1
; LDSByteSize: 0 bytes/workgroup (compile time only)
; SGPRBlocks: 0
; VGPRBlocks: 0
; NumSGPRsForWavesPerEU: 4
; NumVGPRsForWavesPerEU: 1
; AccumOffset: 4
; Occupancy: 8
; WaveLimiterHint : 0
; COMPUTE_PGM_RSRC2:SCRATCH_EN: 0
; COMPUTE_PGM_RSRC2:USER_SGPR: 6
; COMPUTE_PGM_RSRC2:TRAP_HANDLER: 0
; COMPUTE_PGM_RSRC2:TGID_X_EN: 1
; COMPUTE_PGM_RSRC2:TGID_Y_EN: 0
; COMPUTE_PGM_RSRC2:TGID_Z_EN: 0
; COMPUTE_PGM_RSRC2:TIDIG_COMP_CNT: 0
; COMPUTE_PGM_RSRC3_GFX90A:ACCUM_OFFSET: 0
; COMPUTE_PGM_RSRC3_GFX90A:TG_SPLIT: 0
	.section	.text._ZN7rocprim17ROCPRIM_400000_NS6detail17trampoline_kernelINS0_14default_configENS1_27scan_by_key_config_selectorIj11FixedVectorIiLj4EEEEZZNS1_16scan_by_key_implILNS1_25lookback_scan_determinismE0ELb1ES3_N6thrust23THRUST_200600_302600_NS6detail15normal_iteratorINSB_10device_ptrIjEEEENSD_INSE_IS6_EEEESI_S6_NSB_4plusIvEENSB_8equal_toIvEES6_EE10hipError_tPvRmT2_T3_T4_T5_mT6_T7_P12ihipStream_tbENKUlT_T0_E_clISt17integral_constantIbLb0EES12_IbLb1EEEEDaSY_SZ_EUlSY_E_NS1_11comp_targetILNS1_3genE10ELNS1_11target_archE1200ELNS1_3gpuE4ELNS1_3repE0EEENS1_30default_config_static_selectorELNS0_4arch9wavefront6targetE1EEEvT1_,"axG",@progbits,_ZN7rocprim17ROCPRIM_400000_NS6detail17trampoline_kernelINS0_14default_configENS1_27scan_by_key_config_selectorIj11FixedVectorIiLj4EEEEZZNS1_16scan_by_key_implILNS1_25lookback_scan_determinismE0ELb1ES3_N6thrust23THRUST_200600_302600_NS6detail15normal_iteratorINSB_10device_ptrIjEEEENSD_INSE_IS6_EEEESI_S6_NSB_4plusIvEENSB_8equal_toIvEES6_EE10hipError_tPvRmT2_T3_T4_T5_mT6_T7_P12ihipStream_tbENKUlT_T0_E_clISt17integral_constantIbLb0EES12_IbLb1EEEEDaSY_SZ_EUlSY_E_NS1_11comp_targetILNS1_3genE10ELNS1_11target_archE1200ELNS1_3gpuE4ELNS1_3repE0EEENS1_30default_config_static_selectorELNS0_4arch9wavefront6targetE1EEEvT1_,comdat
	.protected	_ZN7rocprim17ROCPRIM_400000_NS6detail17trampoline_kernelINS0_14default_configENS1_27scan_by_key_config_selectorIj11FixedVectorIiLj4EEEEZZNS1_16scan_by_key_implILNS1_25lookback_scan_determinismE0ELb1ES3_N6thrust23THRUST_200600_302600_NS6detail15normal_iteratorINSB_10device_ptrIjEEEENSD_INSE_IS6_EEEESI_S6_NSB_4plusIvEENSB_8equal_toIvEES6_EE10hipError_tPvRmT2_T3_T4_T5_mT6_T7_P12ihipStream_tbENKUlT_T0_E_clISt17integral_constantIbLb0EES12_IbLb1EEEEDaSY_SZ_EUlSY_E_NS1_11comp_targetILNS1_3genE10ELNS1_11target_archE1200ELNS1_3gpuE4ELNS1_3repE0EEENS1_30default_config_static_selectorELNS0_4arch9wavefront6targetE1EEEvT1_ ; -- Begin function _ZN7rocprim17ROCPRIM_400000_NS6detail17trampoline_kernelINS0_14default_configENS1_27scan_by_key_config_selectorIj11FixedVectorIiLj4EEEEZZNS1_16scan_by_key_implILNS1_25lookback_scan_determinismE0ELb1ES3_N6thrust23THRUST_200600_302600_NS6detail15normal_iteratorINSB_10device_ptrIjEEEENSD_INSE_IS6_EEEESI_S6_NSB_4plusIvEENSB_8equal_toIvEES6_EE10hipError_tPvRmT2_T3_T4_T5_mT6_T7_P12ihipStream_tbENKUlT_T0_E_clISt17integral_constantIbLb0EES12_IbLb1EEEEDaSY_SZ_EUlSY_E_NS1_11comp_targetILNS1_3genE10ELNS1_11target_archE1200ELNS1_3gpuE4ELNS1_3repE0EEENS1_30default_config_static_selectorELNS0_4arch9wavefront6targetE1EEEvT1_
	.globl	_ZN7rocprim17ROCPRIM_400000_NS6detail17trampoline_kernelINS0_14default_configENS1_27scan_by_key_config_selectorIj11FixedVectorIiLj4EEEEZZNS1_16scan_by_key_implILNS1_25lookback_scan_determinismE0ELb1ES3_N6thrust23THRUST_200600_302600_NS6detail15normal_iteratorINSB_10device_ptrIjEEEENSD_INSE_IS6_EEEESI_S6_NSB_4plusIvEENSB_8equal_toIvEES6_EE10hipError_tPvRmT2_T3_T4_T5_mT6_T7_P12ihipStream_tbENKUlT_T0_E_clISt17integral_constantIbLb0EES12_IbLb1EEEEDaSY_SZ_EUlSY_E_NS1_11comp_targetILNS1_3genE10ELNS1_11target_archE1200ELNS1_3gpuE4ELNS1_3repE0EEENS1_30default_config_static_selectorELNS0_4arch9wavefront6targetE1EEEvT1_
	.p2align	8
	.type	_ZN7rocprim17ROCPRIM_400000_NS6detail17trampoline_kernelINS0_14default_configENS1_27scan_by_key_config_selectorIj11FixedVectorIiLj4EEEEZZNS1_16scan_by_key_implILNS1_25lookback_scan_determinismE0ELb1ES3_N6thrust23THRUST_200600_302600_NS6detail15normal_iteratorINSB_10device_ptrIjEEEENSD_INSE_IS6_EEEESI_S6_NSB_4plusIvEENSB_8equal_toIvEES6_EE10hipError_tPvRmT2_T3_T4_T5_mT6_T7_P12ihipStream_tbENKUlT_T0_E_clISt17integral_constantIbLb0EES12_IbLb1EEEEDaSY_SZ_EUlSY_E_NS1_11comp_targetILNS1_3genE10ELNS1_11target_archE1200ELNS1_3gpuE4ELNS1_3repE0EEENS1_30default_config_static_selectorELNS0_4arch9wavefront6targetE1EEEvT1_,@function
_ZN7rocprim17ROCPRIM_400000_NS6detail17trampoline_kernelINS0_14default_configENS1_27scan_by_key_config_selectorIj11FixedVectorIiLj4EEEEZZNS1_16scan_by_key_implILNS1_25lookback_scan_determinismE0ELb1ES3_N6thrust23THRUST_200600_302600_NS6detail15normal_iteratorINSB_10device_ptrIjEEEENSD_INSE_IS6_EEEESI_S6_NSB_4plusIvEENSB_8equal_toIvEES6_EE10hipError_tPvRmT2_T3_T4_T5_mT6_T7_P12ihipStream_tbENKUlT_T0_E_clISt17integral_constantIbLb0EES12_IbLb1EEEEDaSY_SZ_EUlSY_E_NS1_11comp_targetILNS1_3genE10ELNS1_11target_archE1200ELNS1_3gpuE4ELNS1_3repE0EEENS1_30default_config_static_selectorELNS0_4arch9wavefront6targetE1EEEvT1_: ; @_ZN7rocprim17ROCPRIM_400000_NS6detail17trampoline_kernelINS0_14default_configENS1_27scan_by_key_config_selectorIj11FixedVectorIiLj4EEEEZZNS1_16scan_by_key_implILNS1_25lookback_scan_determinismE0ELb1ES3_N6thrust23THRUST_200600_302600_NS6detail15normal_iteratorINSB_10device_ptrIjEEEENSD_INSE_IS6_EEEESI_S6_NSB_4plusIvEENSB_8equal_toIvEES6_EE10hipError_tPvRmT2_T3_T4_T5_mT6_T7_P12ihipStream_tbENKUlT_T0_E_clISt17integral_constantIbLb0EES12_IbLb1EEEEDaSY_SZ_EUlSY_E_NS1_11comp_targetILNS1_3genE10ELNS1_11target_archE1200ELNS1_3gpuE4ELNS1_3repE0EEENS1_30default_config_static_selectorELNS0_4arch9wavefront6targetE1EEEvT1_
; %bb.0:
	.section	.rodata,"a",@progbits
	.p2align	6, 0x0
	.amdhsa_kernel _ZN7rocprim17ROCPRIM_400000_NS6detail17trampoline_kernelINS0_14default_configENS1_27scan_by_key_config_selectorIj11FixedVectorIiLj4EEEEZZNS1_16scan_by_key_implILNS1_25lookback_scan_determinismE0ELb1ES3_N6thrust23THRUST_200600_302600_NS6detail15normal_iteratorINSB_10device_ptrIjEEEENSD_INSE_IS6_EEEESI_S6_NSB_4plusIvEENSB_8equal_toIvEES6_EE10hipError_tPvRmT2_T3_T4_T5_mT6_T7_P12ihipStream_tbENKUlT_T0_E_clISt17integral_constantIbLb0EES12_IbLb1EEEEDaSY_SZ_EUlSY_E_NS1_11comp_targetILNS1_3genE10ELNS1_11target_archE1200ELNS1_3gpuE4ELNS1_3repE0EEENS1_30default_config_static_selectorELNS0_4arch9wavefront6targetE1EEEvT1_
		.amdhsa_group_segment_fixed_size 0
		.amdhsa_private_segment_fixed_size 0
		.amdhsa_kernarg_size 144
		.amdhsa_user_sgpr_count 6
		.amdhsa_user_sgpr_private_segment_buffer 1
		.amdhsa_user_sgpr_dispatch_ptr 0
		.amdhsa_user_sgpr_queue_ptr 0
		.amdhsa_user_sgpr_kernarg_segment_ptr 1
		.amdhsa_user_sgpr_dispatch_id 0
		.amdhsa_user_sgpr_flat_scratch_init 0
		.amdhsa_user_sgpr_kernarg_preload_length 0
		.amdhsa_user_sgpr_kernarg_preload_offset 0
		.amdhsa_user_sgpr_private_segment_size 0
		.amdhsa_uses_dynamic_stack 0
		.amdhsa_system_sgpr_private_segment_wavefront_offset 0
		.amdhsa_system_sgpr_workgroup_id_x 1
		.amdhsa_system_sgpr_workgroup_id_y 0
		.amdhsa_system_sgpr_workgroup_id_z 0
		.amdhsa_system_sgpr_workgroup_info 0
		.amdhsa_system_vgpr_workitem_id 0
		.amdhsa_next_free_vgpr 1
		.amdhsa_next_free_sgpr 0
		.amdhsa_accum_offset 4
		.amdhsa_reserve_vcc 0
		.amdhsa_reserve_flat_scratch 0
		.amdhsa_float_round_mode_32 0
		.amdhsa_float_round_mode_16_64 0
		.amdhsa_float_denorm_mode_32 3
		.amdhsa_float_denorm_mode_16_64 3
		.amdhsa_dx10_clamp 1
		.amdhsa_ieee_mode 1
		.amdhsa_fp16_overflow 0
		.amdhsa_tg_split 0
		.amdhsa_exception_fp_ieee_invalid_op 0
		.amdhsa_exception_fp_denorm_src 0
		.amdhsa_exception_fp_ieee_div_zero 0
		.amdhsa_exception_fp_ieee_overflow 0
		.amdhsa_exception_fp_ieee_underflow 0
		.amdhsa_exception_fp_ieee_inexact 0
		.amdhsa_exception_int_div_zero 0
	.end_amdhsa_kernel
	.section	.text._ZN7rocprim17ROCPRIM_400000_NS6detail17trampoline_kernelINS0_14default_configENS1_27scan_by_key_config_selectorIj11FixedVectorIiLj4EEEEZZNS1_16scan_by_key_implILNS1_25lookback_scan_determinismE0ELb1ES3_N6thrust23THRUST_200600_302600_NS6detail15normal_iteratorINSB_10device_ptrIjEEEENSD_INSE_IS6_EEEESI_S6_NSB_4plusIvEENSB_8equal_toIvEES6_EE10hipError_tPvRmT2_T3_T4_T5_mT6_T7_P12ihipStream_tbENKUlT_T0_E_clISt17integral_constantIbLb0EES12_IbLb1EEEEDaSY_SZ_EUlSY_E_NS1_11comp_targetILNS1_3genE10ELNS1_11target_archE1200ELNS1_3gpuE4ELNS1_3repE0EEENS1_30default_config_static_selectorELNS0_4arch9wavefront6targetE1EEEvT1_,"axG",@progbits,_ZN7rocprim17ROCPRIM_400000_NS6detail17trampoline_kernelINS0_14default_configENS1_27scan_by_key_config_selectorIj11FixedVectorIiLj4EEEEZZNS1_16scan_by_key_implILNS1_25lookback_scan_determinismE0ELb1ES3_N6thrust23THRUST_200600_302600_NS6detail15normal_iteratorINSB_10device_ptrIjEEEENSD_INSE_IS6_EEEESI_S6_NSB_4plusIvEENSB_8equal_toIvEES6_EE10hipError_tPvRmT2_T3_T4_T5_mT6_T7_P12ihipStream_tbENKUlT_T0_E_clISt17integral_constantIbLb0EES12_IbLb1EEEEDaSY_SZ_EUlSY_E_NS1_11comp_targetILNS1_3genE10ELNS1_11target_archE1200ELNS1_3gpuE4ELNS1_3repE0EEENS1_30default_config_static_selectorELNS0_4arch9wavefront6targetE1EEEvT1_,comdat
.Lfunc_end2108:
	.size	_ZN7rocprim17ROCPRIM_400000_NS6detail17trampoline_kernelINS0_14default_configENS1_27scan_by_key_config_selectorIj11FixedVectorIiLj4EEEEZZNS1_16scan_by_key_implILNS1_25lookback_scan_determinismE0ELb1ES3_N6thrust23THRUST_200600_302600_NS6detail15normal_iteratorINSB_10device_ptrIjEEEENSD_INSE_IS6_EEEESI_S6_NSB_4plusIvEENSB_8equal_toIvEES6_EE10hipError_tPvRmT2_T3_T4_T5_mT6_T7_P12ihipStream_tbENKUlT_T0_E_clISt17integral_constantIbLb0EES12_IbLb1EEEEDaSY_SZ_EUlSY_E_NS1_11comp_targetILNS1_3genE10ELNS1_11target_archE1200ELNS1_3gpuE4ELNS1_3repE0EEENS1_30default_config_static_selectorELNS0_4arch9wavefront6targetE1EEEvT1_, .Lfunc_end2108-_ZN7rocprim17ROCPRIM_400000_NS6detail17trampoline_kernelINS0_14default_configENS1_27scan_by_key_config_selectorIj11FixedVectorIiLj4EEEEZZNS1_16scan_by_key_implILNS1_25lookback_scan_determinismE0ELb1ES3_N6thrust23THRUST_200600_302600_NS6detail15normal_iteratorINSB_10device_ptrIjEEEENSD_INSE_IS6_EEEESI_S6_NSB_4plusIvEENSB_8equal_toIvEES6_EE10hipError_tPvRmT2_T3_T4_T5_mT6_T7_P12ihipStream_tbENKUlT_T0_E_clISt17integral_constantIbLb0EES12_IbLb1EEEEDaSY_SZ_EUlSY_E_NS1_11comp_targetILNS1_3genE10ELNS1_11target_archE1200ELNS1_3gpuE4ELNS1_3repE0EEENS1_30default_config_static_selectorELNS0_4arch9wavefront6targetE1EEEvT1_
                                        ; -- End function
	.section	.AMDGPU.csdata,"",@progbits
; Kernel info:
; codeLenInByte = 0
; NumSgprs: 4
; NumVgprs: 0
; NumAgprs: 0
; TotalNumVgprs: 0
; ScratchSize: 0
; MemoryBound: 0
; FloatMode: 240
; IeeeMode: 1
; LDSByteSize: 0 bytes/workgroup (compile time only)
; SGPRBlocks: 0
; VGPRBlocks: 0
; NumSGPRsForWavesPerEU: 4
; NumVGPRsForWavesPerEU: 1
; AccumOffset: 4
; Occupancy: 8
; WaveLimiterHint : 0
; COMPUTE_PGM_RSRC2:SCRATCH_EN: 0
; COMPUTE_PGM_RSRC2:USER_SGPR: 6
; COMPUTE_PGM_RSRC2:TRAP_HANDLER: 0
; COMPUTE_PGM_RSRC2:TGID_X_EN: 1
; COMPUTE_PGM_RSRC2:TGID_Y_EN: 0
; COMPUTE_PGM_RSRC2:TGID_Z_EN: 0
; COMPUTE_PGM_RSRC2:TIDIG_COMP_CNT: 0
; COMPUTE_PGM_RSRC3_GFX90A:ACCUM_OFFSET: 0
; COMPUTE_PGM_RSRC3_GFX90A:TG_SPLIT: 0
	.section	.text._ZN7rocprim17ROCPRIM_400000_NS6detail17trampoline_kernelINS0_14default_configENS1_27scan_by_key_config_selectorIj11FixedVectorIiLj4EEEEZZNS1_16scan_by_key_implILNS1_25lookback_scan_determinismE0ELb1ES3_N6thrust23THRUST_200600_302600_NS6detail15normal_iteratorINSB_10device_ptrIjEEEENSD_INSE_IS6_EEEESI_S6_NSB_4plusIvEENSB_8equal_toIvEES6_EE10hipError_tPvRmT2_T3_T4_T5_mT6_T7_P12ihipStream_tbENKUlT_T0_E_clISt17integral_constantIbLb0EES12_IbLb1EEEEDaSY_SZ_EUlSY_E_NS1_11comp_targetILNS1_3genE9ELNS1_11target_archE1100ELNS1_3gpuE3ELNS1_3repE0EEENS1_30default_config_static_selectorELNS0_4arch9wavefront6targetE1EEEvT1_,"axG",@progbits,_ZN7rocprim17ROCPRIM_400000_NS6detail17trampoline_kernelINS0_14default_configENS1_27scan_by_key_config_selectorIj11FixedVectorIiLj4EEEEZZNS1_16scan_by_key_implILNS1_25lookback_scan_determinismE0ELb1ES3_N6thrust23THRUST_200600_302600_NS6detail15normal_iteratorINSB_10device_ptrIjEEEENSD_INSE_IS6_EEEESI_S6_NSB_4plusIvEENSB_8equal_toIvEES6_EE10hipError_tPvRmT2_T3_T4_T5_mT6_T7_P12ihipStream_tbENKUlT_T0_E_clISt17integral_constantIbLb0EES12_IbLb1EEEEDaSY_SZ_EUlSY_E_NS1_11comp_targetILNS1_3genE9ELNS1_11target_archE1100ELNS1_3gpuE3ELNS1_3repE0EEENS1_30default_config_static_selectorELNS0_4arch9wavefront6targetE1EEEvT1_,comdat
	.protected	_ZN7rocprim17ROCPRIM_400000_NS6detail17trampoline_kernelINS0_14default_configENS1_27scan_by_key_config_selectorIj11FixedVectorIiLj4EEEEZZNS1_16scan_by_key_implILNS1_25lookback_scan_determinismE0ELb1ES3_N6thrust23THRUST_200600_302600_NS6detail15normal_iteratorINSB_10device_ptrIjEEEENSD_INSE_IS6_EEEESI_S6_NSB_4plusIvEENSB_8equal_toIvEES6_EE10hipError_tPvRmT2_T3_T4_T5_mT6_T7_P12ihipStream_tbENKUlT_T0_E_clISt17integral_constantIbLb0EES12_IbLb1EEEEDaSY_SZ_EUlSY_E_NS1_11comp_targetILNS1_3genE9ELNS1_11target_archE1100ELNS1_3gpuE3ELNS1_3repE0EEENS1_30default_config_static_selectorELNS0_4arch9wavefront6targetE1EEEvT1_ ; -- Begin function _ZN7rocprim17ROCPRIM_400000_NS6detail17trampoline_kernelINS0_14default_configENS1_27scan_by_key_config_selectorIj11FixedVectorIiLj4EEEEZZNS1_16scan_by_key_implILNS1_25lookback_scan_determinismE0ELb1ES3_N6thrust23THRUST_200600_302600_NS6detail15normal_iteratorINSB_10device_ptrIjEEEENSD_INSE_IS6_EEEESI_S6_NSB_4plusIvEENSB_8equal_toIvEES6_EE10hipError_tPvRmT2_T3_T4_T5_mT6_T7_P12ihipStream_tbENKUlT_T0_E_clISt17integral_constantIbLb0EES12_IbLb1EEEEDaSY_SZ_EUlSY_E_NS1_11comp_targetILNS1_3genE9ELNS1_11target_archE1100ELNS1_3gpuE3ELNS1_3repE0EEENS1_30default_config_static_selectorELNS0_4arch9wavefront6targetE1EEEvT1_
	.globl	_ZN7rocprim17ROCPRIM_400000_NS6detail17trampoline_kernelINS0_14default_configENS1_27scan_by_key_config_selectorIj11FixedVectorIiLj4EEEEZZNS1_16scan_by_key_implILNS1_25lookback_scan_determinismE0ELb1ES3_N6thrust23THRUST_200600_302600_NS6detail15normal_iteratorINSB_10device_ptrIjEEEENSD_INSE_IS6_EEEESI_S6_NSB_4plusIvEENSB_8equal_toIvEES6_EE10hipError_tPvRmT2_T3_T4_T5_mT6_T7_P12ihipStream_tbENKUlT_T0_E_clISt17integral_constantIbLb0EES12_IbLb1EEEEDaSY_SZ_EUlSY_E_NS1_11comp_targetILNS1_3genE9ELNS1_11target_archE1100ELNS1_3gpuE3ELNS1_3repE0EEENS1_30default_config_static_selectorELNS0_4arch9wavefront6targetE1EEEvT1_
	.p2align	8
	.type	_ZN7rocprim17ROCPRIM_400000_NS6detail17trampoline_kernelINS0_14default_configENS1_27scan_by_key_config_selectorIj11FixedVectorIiLj4EEEEZZNS1_16scan_by_key_implILNS1_25lookback_scan_determinismE0ELb1ES3_N6thrust23THRUST_200600_302600_NS6detail15normal_iteratorINSB_10device_ptrIjEEEENSD_INSE_IS6_EEEESI_S6_NSB_4plusIvEENSB_8equal_toIvEES6_EE10hipError_tPvRmT2_T3_T4_T5_mT6_T7_P12ihipStream_tbENKUlT_T0_E_clISt17integral_constantIbLb0EES12_IbLb1EEEEDaSY_SZ_EUlSY_E_NS1_11comp_targetILNS1_3genE9ELNS1_11target_archE1100ELNS1_3gpuE3ELNS1_3repE0EEENS1_30default_config_static_selectorELNS0_4arch9wavefront6targetE1EEEvT1_,@function
_ZN7rocprim17ROCPRIM_400000_NS6detail17trampoline_kernelINS0_14default_configENS1_27scan_by_key_config_selectorIj11FixedVectorIiLj4EEEEZZNS1_16scan_by_key_implILNS1_25lookback_scan_determinismE0ELb1ES3_N6thrust23THRUST_200600_302600_NS6detail15normal_iteratorINSB_10device_ptrIjEEEENSD_INSE_IS6_EEEESI_S6_NSB_4plusIvEENSB_8equal_toIvEES6_EE10hipError_tPvRmT2_T3_T4_T5_mT6_T7_P12ihipStream_tbENKUlT_T0_E_clISt17integral_constantIbLb0EES12_IbLb1EEEEDaSY_SZ_EUlSY_E_NS1_11comp_targetILNS1_3genE9ELNS1_11target_archE1100ELNS1_3gpuE3ELNS1_3repE0EEENS1_30default_config_static_selectorELNS0_4arch9wavefront6targetE1EEEvT1_: ; @_ZN7rocprim17ROCPRIM_400000_NS6detail17trampoline_kernelINS0_14default_configENS1_27scan_by_key_config_selectorIj11FixedVectorIiLj4EEEEZZNS1_16scan_by_key_implILNS1_25lookback_scan_determinismE0ELb1ES3_N6thrust23THRUST_200600_302600_NS6detail15normal_iteratorINSB_10device_ptrIjEEEENSD_INSE_IS6_EEEESI_S6_NSB_4plusIvEENSB_8equal_toIvEES6_EE10hipError_tPvRmT2_T3_T4_T5_mT6_T7_P12ihipStream_tbENKUlT_T0_E_clISt17integral_constantIbLb0EES12_IbLb1EEEEDaSY_SZ_EUlSY_E_NS1_11comp_targetILNS1_3genE9ELNS1_11target_archE1100ELNS1_3gpuE3ELNS1_3repE0EEENS1_30default_config_static_selectorELNS0_4arch9wavefront6targetE1EEEvT1_
; %bb.0:
	.section	.rodata,"a",@progbits
	.p2align	6, 0x0
	.amdhsa_kernel _ZN7rocprim17ROCPRIM_400000_NS6detail17trampoline_kernelINS0_14default_configENS1_27scan_by_key_config_selectorIj11FixedVectorIiLj4EEEEZZNS1_16scan_by_key_implILNS1_25lookback_scan_determinismE0ELb1ES3_N6thrust23THRUST_200600_302600_NS6detail15normal_iteratorINSB_10device_ptrIjEEEENSD_INSE_IS6_EEEESI_S6_NSB_4plusIvEENSB_8equal_toIvEES6_EE10hipError_tPvRmT2_T3_T4_T5_mT6_T7_P12ihipStream_tbENKUlT_T0_E_clISt17integral_constantIbLb0EES12_IbLb1EEEEDaSY_SZ_EUlSY_E_NS1_11comp_targetILNS1_3genE9ELNS1_11target_archE1100ELNS1_3gpuE3ELNS1_3repE0EEENS1_30default_config_static_selectorELNS0_4arch9wavefront6targetE1EEEvT1_
		.amdhsa_group_segment_fixed_size 0
		.amdhsa_private_segment_fixed_size 0
		.amdhsa_kernarg_size 144
		.amdhsa_user_sgpr_count 6
		.amdhsa_user_sgpr_private_segment_buffer 1
		.amdhsa_user_sgpr_dispatch_ptr 0
		.amdhsa_user_sgpr_queue_ptr 0
		.amdhsa_user_sgpr_kernarg_segment_ptr 1
		.amdhsa_user_sgpr_dispatch_id 0
		.amdhsa_user_sgpr_flat_scratch_init 0
		.amdhsa_user_sgpr_kernarg_preload_length 0
		.amdhsa_user_sgpr_kernarg_preload_offset 0
		.amdhsa_user_sgpr_private_segment_size 0
		.amdhsa_uses_dynamic_stack 0
		.amdhsa_system_sgpr_private_segment_wavefront_offset 0
		.amdhsa_system_sgpr_workgroup_id_x 1
		.amdhsa_system_sgpr_workgroup_id_y 0
		.amdhsa_system_sgpr_workgroup_id_z 0
		.amdhsa_system_sgpr_workgroup_info 0
		.amdhsa_system_vgpr_workitem_id 0
		.amdhsa_next_free_vgpr 1
		.amdhsa_next_free_sgpr 0
		.amdhsa_accum_offset 4
		.amdhsa_reserve_vcc 0
		.amdhsa_reserve_flat_scratch 0
		.amdhsa_float_round_mode_32 0
		.amdhsa_float_round_mode_16_64 0
		.amdhsa_float_denorm_mode_32 3
		.amdhsa_float_denorm_mode_16_64 3
		.amdhsa_dx10_clamp 1
		.amdhsa_ieee_mode 1
		.amdhsa_fp16_overflow 0
		.amdhsa_tg_split 0
		.amdhsa_exception_fp_ieee_invalid_op 0
		.amdhsa_exception_fp_denorm_src 0
		.amdhsa_exception_fp_ieee_div_zero 0
		.amdhsa_exception_fp_ieee_overflow 0
		.amdhsa_exception_fp_ieee_underflow 0
		.amdhsa_exception_fp_ieee_inexact 0
		.amdhsa_exception_int_div_zero 0
	.end_amdhsa_kernel
	.section	.text._ZN7rocprim17ROCPRIM_400000_NS6detail17trampoline_kernelINS0_14default_configENS1_27scan_by_key_config_selectorIj11FixedVectorIiLj4EEEEZZNS1_16scan_by_key_implILNS1_25lookback_scan_determinismE0ELb1ES3_N6thrust23THRUST_200600_302600_NS6detail15normal_iteratorINSB_10device_ptrIjEEEENSD_INSE_IS6_EEEESI_S6_NSB_4plusIvEENSB_8equal_toIvEES6_EE10hipError_tPvRmT2_T3_T4_T5_mT6_T7_P12ihipStream_tbENKUlT_T0_E_clISt17integral_constantIbLb0EES12_IbLb1EEEEDaSY_SZ_EUlSY_E_NS1_11comp_targetILNS1_3genE9ELNS1_11target_archE1100ELNS1_3gpuE3ELNS1_3repE0EEENS1_30default_config_static_selectorELNS0_4arch9wavefront6targetE1EEEvT1_,"axG",@progbits,_ZN7rocprim17ROCPRIM_400000_NS6detail17trampoline_kernelINS0_14default_configENS1_27scan_by_key_config_selectorIj11FixedVectorIiLj4EEEEZZNS1_16scan_by_key_implILNS1_25lookback_scan_determinismE0ELb1ES3_N6thrust23THRUST_200600_302600_NS6detail15normal_iteratorINSB_10device_ptrIjEEEENSD_INSE_IS6_EEEESI_S6_NSB_4plusIvEENSB_8equal_toIvEES6_EE10hipError_tPvRmT2_T3_T4_T5_mT6_T7_P12ihipStream_tbENKUlT_T0_E_clISt17integral_constantIbLb0EES12_IbLb1EEEEDaSY_SZ_EUlSY_E_NS1_11comp_targetILNS1_3genE9ELNS1_11target_archE1100ELNS1_3gpuE3ELNS1_3repE0EEENS1_30default_config_static_selectorELNS0_4arch9wavefront6targetE1EEEvT1_,comdat
.Lfunc_end2109:
	.size	_ZN7rocprim17ROCPRIM_400000_NS6detail17trampoline_kernelINS0_14default_configENS1_27scan_by_key_config_selectorIj11FixedVectorIiLj4EEEEZZNS1_16scan_by_key_implILNS1_25lookback_scan_determinismE0ELb1ES3_N6thrust23THRUST_200600_302600_NS6detail15normal_iteratorINSB_10device_ptrIjEEEENSD_INSE_IS6_EEEESI_S6_NSB_4plusIvEENSB_8equal_toIvEES6_EE10hipError_tPvRmT2_T3_T4_T5_mT6_T7_P12ihipStream_tbENKUlT_T0_E_clISt17integral_constantIbLb0EES12_IbLb1EEEEDaSY_SZ_EUlSY_E_NS1_11comp_targetILNS1_3genE9ELNS1_11target_archE1100ELNS1_3gpuE3ELNS1_3repE0EEENS1_30default_config_static_selectorELNS0_4arch9wavefront6targetE1EEEvT1_, .Lfunc_end2109-_ZN7rocprim17ROCPRIM_400000_NS6detail17trampoline_kernelINS0_14default_configENS1_27scan_by_key_config_selectorIj11FixedVectorIiLj4EEEEZZNS1_16scan_by_key_implILNS1_25lookback_scan_determinismE0ELb1ES3_N6thrust23THRUST_200600_302600_NS6detail15normal_iteratorINSB_10device_ptrIjEEEENSD_INSE_IS6_EEEESI_S6_NSB_4plusIvEENSB_8equal_toIvEES6_EE10hipError_tPvRmT2_T3_T4_T5_mT6_T7_P12ihipStream_tbENKUlT_T0_E_clISt17integral_constantIbLb0EES12_IbLb1EEEEDaSY_SZ_EUlSY_E_NS1_11comp_targetILNS1_3genE9ELNS1_11target_archE1100ELNS1_3gpuE3ELNS1_3repE0EEENS1_30default_config_static_selectorELNS0_4arch9wavefront6targetE1EEEvT1_
                                        ; -- End function
	.section	.AMDGPU.csdata,"",@progbits
; Kernel info:
; codeLenInByte = 0
; NumSgprs: 4
; NumVgprs: 0
; NumAgprs: 0
; TotalNumVgprs: 0
; ScratchSize: 0
; MemoryBound: 0
; FloatMode: 240
; IeeeMode: 1
; LDSByteSize: 0 bytes/workgroup (compile time only)
; SGPRBlocks: 0
; VGPRBlocks: 0
; NumSGPRsForWavesPerEU: 4
; NumVGPRsForWavesPerEU: 1
; AccumOffset: 4
; Occupancy: 8
; WaveLimiterHint : 0
; COMPUTE_PGM_RSRC2:SCRATCH_EN: 0
; COMPUTE_PGM_RSRC2:USER_SGPR: 6
; COMPUTE_PGM_RSRC2:TRAP_HANDLER: 0
; COMPUTE_PGM_RSRC2:TGID_X_EN: 1
; COMPUTE_PGM_RSRC2:TGID_Y_EN: 0
; COMPUTE_PGM_RSRC2:TGID_Z_EN: 0
; COMPUTE_PGM_RSRC2:TIDIG_COMP_CNT: 0
; COMPUTE_PGM_RSRC3_GFX90A:ACCUM_OFFSET: 0
; COMPUTE_PGM_RSRC3_GFX90A:TG_SPLIT: 0
	.section	.text._ZN7rocprim17ROCPRIM_400000_NS6detail17trampoline_kernelINS0_14default_configENS1_27scan_by_key_config_selectorIj11FixedVectorIiLj4EEEEZZNS1_16scan_by_key_implILNS1_25lookback_scan_determinismE0ELb1ES3_N6thrust23THRUST_200600_302600_NS6detail15normal_iteratorINSB_10device_ptrIjEEEENSD_INSE_IS6_EEEESI_S6_NSB_4plusIvEENSB_8equal_toIvEES6_EE10hipError_tPvRmT2_T3_T4_T5_mT6_T7_P12ihipStream_tbENKUlT_T0_E_clISt17integral_constantIbLb0EES12_IbLb1EEEEDaSY_SZ_EUlSY_E_NS1_11comp_targetILNS1_3genE8ELNS1_11target_archE1030ELNS1_3gpuE2ELNS1_3repE0EEENS1_30default_config_static_selectorELNS0_4arch9wavefront6targetE1EEEvT1_,"axG",@progbits,_ZN7rocprim17ROCPRIM_400000_NS6detail17trampoline_kernelINS0_14default_configENS1_27scan_by_key_config_selectorIj11FixedVectorIiLj4EEEEZZNS1_16scan_by_key_implILNS1_25lookback_scan_determinismE0ELb1ES3_N6thrust23THRUST_200600_302600_NS6detail15normal_iteratorINSB_10device_ptrIjEEEENSD_INSE_IS6_EEEESI_S6_NSB_4plusIvEENSB_8equal_toIvEES6_EE10hipError_tPvRmT2_T3_T4_T5_mT6_T7_P12ihipStream_tbENKUlT_T0_E_clISt17integral_constantIbLb0EES12_IbLb1EEEEDaSY_SZ_EUlSY_E_NS1_11comp_targetILNS1_3genE8ELNS1_11target_archE1030ELNS1_3gpuE2ELNS1_3repE0EEENS1_30default_config_static_selectorELNS0_4arch9wavefront6targetE1EEEvT1_,comdat
	.protected	_ZN7rocprim17ROCPRIM_400000_NS6detail17trampoline_kernelINS0_14default_configENS1_27scan_by_key_config_selectorIj11FixedVectorIiLj4EEEEZZNS1_16scan_by_key_implILNS1_25lookback_scan_determinismE0ELb1ES3_N6thrust23THRUST_200600_302600_NS6detail15normal_iteratorINSB_10device_ptrIjEEEENSD_INSE_IS6_EEEESI_S6_NSB_4plusIvEENSB_8equal_toIvEES6_EE10hipError_tPvRmT2_T3_T4_T5_mT6_T7_P12ihipStream_tbENKUlT_T0_E_clISt17integral_constantIbLb0EES12_IbLb1EEEEDaSY_SZ_EUlSY_E_NS1_11comp_targetILNS1_3genE8ELNS1_11target_archE1030ELNS1_3gpuE2ELNS1_3repE0EEENS1_30default_config_static_selectorELNS0_4arch9wavefront6targetE1EEEvT1_ ; -- Begin function _ZN7rocprim17ROCPRIM_400000_NS6detail17trampoline_kernelINS0_14default_configENS1_27scan_by_key_config_selectorIj11FixedVectorIiLj4EEEEZZNS1_16scan_by_key_implILNS1_25lookback_scan_determinismE0ELb1ES3_N6thrust23THRUST_200600_302600_NS6detail15normal_iteratorINSB_10device_ptrIjEEEENSD_INSE_IS6_EEEESI_S6_NSB_4plusIvEENSB_8equal_toIvEES6_EE10hipError_tPvRmT2_T3_T4_T5_mT6_T7_P12ihipStream_tbENKUlT_T0_E_clISt17integral_constantIbLb0EES12_IbLb1EEEEDaSY_SZ_EUlSY_E_NS1_11comp_targetILNS1_3genE8ELNS1_11target_archE1030ELNS1_3gpuE2ELNS1_3repE0EEENS1_30default_config_static_selectorELNS0_4arch9wavefront6targetE1EEEvT1_
	.globl	_ZN7rocprim17ROCPRIM_400000_NS6detail17trampoline_kernelINS0_14default_configENS1_27scan_by_key_config_selectorIj11FixedVectorIiLj4EEEEZZNS1_16scan_by_key_implILNS1_25lookback_scan_determinismE0ELb1ES3_N6thrust23THRUST_200600_302600_NS6detail15normal_iteratorINSB_10device_ptrIjEEEENSD_INSE_IS6_EEEESI_S6_NSB_4plusIvEENSB_8equal_toIvEES6_EE10hipError_tPvRmT2_T3_T4_T5_mT6_T7_P12ihipStream_tbENKUlT_T0_E_clISt17integral_constantIbLb0EES12_IbLb1EEEEDaSY_SZ_EUlSY_E_NS1_11comp_targetILNS1_3genE8ELNS1_11target_archE1030ELNS1_3gpuE2ELNS1_3repE0EEENS1_30default_config_static_selectorELNS0_4arch9wavefront6targetE1EEEvT1_
	.p2align	8
	.type	_ZN7rocprim17ROCPRIM_400000_NS6detail17trampoline_kernelINS0_14default_configENS1_27scan_by_key_config_selectorIj11FixedVectorIiLj4EEEEZZNS1_16scan_by_key_implILNS1_25lookback_scan_determinismE0ELb1ES3_N6thrust23THRUST_200600_302600_NS6detail15normal_iteratorINSB_10device_ptrIjEEEENSD_INSE_IS6_EEEESI_S6_NSB_4plusIvEENSB_8equal_toIvEES6_EE10hipError_tPvRmT2_T3_T4_T5_mT6_T7_P12ihipStream_tbENKUlT_T0_E_clISt17integral_constantIbLb0EES12_IbLb1EEEEDaSY_SZ_EUlSY_E_NS1_11comp_targetILNS1_3genE8ELNS1_11target_archE1030ELNS1_3gpuE2ELNS1_3repE0EEENS1_30default_config_static_selectorELNS0_4arch9wavefront6targetE1EEEvT1_,@function
_ZN7rocprim17ROCPRIM_400000_NS6detail17trampoline_kernelINS0_14default_configENS1_27scan_by_key_config_selectorIj11FixedVectorIiLj4EEEEZZNS1_16scan_by_key_implILNS1_25lookback_scan_determinismE0ELb1ES3_N6thrust23THRUST_200600_302600_NS6detail15normal_iteratorINSB_10device_ptrIjEEEENSD_INSE_IS6_EEEESI_S6_NSB_4plusIvEENSB_8equal_toIvEES6_EE10hipError_tPvRmT2_T3_T4_T5_mT6_T7_P12ihipStream_tbENKUlT_T0_E_clISt17integral_constantIbLb0EES12_IbLb1EEEEDaSY_SZ_EUlSY_E_NS1_11comp_targetILNS1_3genE8ELNS1_11target_archE1030ELNS1_3gpuE2ELNS1_3repE0EEENS1_30default_config_static_selectorELNS0_4arch9wavefront6targetE1EEEvT1_: ; @_ZN7rocprim17ROCPRIM_400000_NS6detail17trampoline_kernelINS0_14default_configENS1_27scan_by_key_config_selectorIj11FixedVectorIiLj4EEEEZZNS1_16scan_by_key_implILNS1_25lookback_scan_determinismE0ELb1ES3_N6thrust23THRUST_200600_302600_NS6detail15normal_iteratorINSB_10device_ptrIjEEEENSD_INSE_IS6_EEEESI_S6_NSB_4plusIvEENSB_8equal_toIvEES6_EE10hipError_tPvRmT2_T3_T4_T5_mT6_T7_P12ihipStream_tbENKUlT_T0_E_clISt17integral_constantIbLb0EES12_IbLb1EEEEDaSY_SZ_EUlSY_E_NS1_11comp_targetILNS1_3genE8ELNS1_11target_archE1030ELNS1_3gpuE2ELNS1_3repE0EEENS1_30default_config_static_selectorELNS0_4arch9wavefront6targetE1EEEvT1_
; %bb.0:
	.section	.rodata,"a",@progbits
	.p2align	6, 0x0
	.amdhsa_kernel _ZN7rocprim17ROCPRIM_400000_NS6detail17trampoline_kernelINS0_14default_configENS1_27scan_by_key_config_selectorIj11FixedVectorIiLj4EEEEZZNS1_16scan_by_key_implILNS1_25lookback_scan_determinismE0ELb1ES3_N6thrust23THRUST_200600_302600_NS6detail15normal_iteratorINSB_10device_ptrIjEEEENSD_INSE_IS6_EEEESI_S6_NSB_4plusIvEENSB_8equal_toIvEES6_EE10hipError_tPvRmT2_T3_T4_T5_mT6_T7_P12ihipStream_tbENKUlT_T0_E_clISt17integral_constantIbLb0EES12_IbLb1EEEEDaSY_SZ_EUlSY_E_NS1_11comp_targetILNS1_3genE8ELNS1_11target_archE1030ELNS1_3gpuE2ELNS1_3repE0EEENS1_30default_config_static_selectorELNS0_4arch9wavefront6targetE1EEEvT1_
		.amdhsa_group_segment_fixed_size 0
		.amdhsa_private_segment_fixed_size 0
		.amdhsa_kernarg_size 144
		.amdhsa_user_sgpr_count 6
		.amdhsa_user_sgpr_private_segment_buffer 1
		.amdhsa_user_sgpr_dispatch_ptr 0
		.amdhsa_user_sgpr_queue_ptr 0
		.amdhsa_user_sgpr_kernarg_segment_ptr 1
		.amdhsa_user_sgpr_dispatch_id 0
		.amdhsa_user_sgpr_flat_scratch_init 0
		.amdhsa_user_sgpr_kernarg_preload_length 0
		.amdhsa_user_sgpr_kernarg_preload_offset 0
		.amdhsa_user_sgpr_private_segment_size 0
		.amdhsa_uses_dynamic_stack 0
		.amdhsa_system_sgpr_private_segment_wavefront_offset 0
		.amdhsa_system_sgpr_workgroup_id_x 1
		.amdhsa_system_sgpr_workgroup_id_y 0
		.amdhsa_system_sgpr_workgroup_id_z 0
		.amdhsa_system_sgpr_workgroup_info 0
		.amdhsa_system_vgpr_workitem_id 0
		.amdhsa_next_free_vgpr 1
		.amdhsa_next_free_sgpr 0
		.amdhsa_accum_offset 4
		.amdhsa_reserve_vcc 0
		.amdhsa_reserve_flat_scratch 0
		.amdhsa_float_round_mode_32 0
		.amdhsa_float_round_mode_16_64 0
		.amdhsa_float_denorm_mode_32 3
		.amdhsa_float_denorm_mode_16_64 3
		.amdhsa_dx10_clamp 1
		.amdhsa_ieee_mode 1
		.amdhsa_fp16_overflow 0
		.amdhsa_tg_split 0
		.amdhsa_exception_fp_ieee_invalid_op 0
		.amdhsa_exception_fp_denorm_src 0
		.amdhsa_exception_fp_ieee_div_zero 0
		.amdhsa_exception_fp_ieee_overflow 0
		.amdhsa_exception_fp_ieee_underflow 0
		.amdhsa_exception_fp_ieee_inexact 0
		.amdhsa_exception_int_div_zero 0
	.end_amdhsa_kernel
	.section	.text._ZN7rocprim17ROCPRIM_400000_NS6detail17trampoline_kernelINS0_14default_configENS1_27scan_by_key_config_selectorIj11FixedVectorIiLj4EEEEZZNS1_16scan_by_key_implILNS1_25lookback_scan_determinismE0ELb1ES3_N6thrust23THRUST_200600_302600_NS6detail15normal_iteratorINSB_10device_ptrIjEEEENSD_INSE_IS6_EEEESI_S6_NSB_4plusIvEENSB_8equal_toIvEES6_EE10hipError_tPvRmT2_T3_T4_T5_mT6_T7_P12ihipStream_tbENKUlT_T0_E_clISt17integral_constantIbLb0EES12_IbLb1EEEEDaSY_SZ_EUlSY_E_NS1_11comp_targetILNS1_3genE8ELNS1_11target_archE1030ELNS1_3gpuE2ELNS1_3repE0EEENS1_30default_config_static_selectorELNS0_4arch9wavefront6targetE1EEEvT1_,"axG",@progbits,_ZN7rocprim17ROCPRIM_400000_NS6detail17trampoline_kernelINS0_14default_configENS1_27scan_by_key_config_selectorIj11FixedVectorIiLj4EEEEZZNS1_16scan_by_key_implILNS1_25lookback_scan_determinismE0ELb1ES3_N6thrust23THRUST_200600_302600_NS6detail15normal_iteratorINSB_10device_ptrIjEEEENSD_INSE_IS6_EEEESI_S6_NSB_4plusIvEENSB_8equal_toIvEES6_EE10hipError_tPvRmT2_T3_T4_T5_mT6_T7_P12ihipStream_tbENKUlT_T0_E_clISt17integral_constantIbLb0EES12_IbLb1EEEEDaSY_SZ_EUlSY_E_NS1_11comp_targetILNS1_3genE8ELNS1_11target_archE1030ELNS1_3gpuE2ELNS1_3repE0EEENS1_30default_config_static_selectorELNS0_4arch9wavefront6targetE1EEEvT1_,comdat
.Lfunc_end2110:
	.size	_ZN7rocprim17ROCPRIM_400000_NS6detail17trampoline_kernelINS0_14default_configENS1_27scan_by_key_config_selectorIj11FixedVectorIiLj4EEEEZZNS1_16scan_by_key_implILNS1_25lookback_scan_determinismE0ELb1ES3_N6thrust23THRUST_200600_302600_NS6detail15normal_iteratorINSB_10device_ptrIjEEEENSD_INSE_IS6_EEEESI_S6_NSB_4plusIvEENSB_8equal_toIvEES6_EE10hipError_tPvRmT2_T3_T4_T5_mT6_T7_P12ihipStream_tbENKUlT_T0_E_clISt17integral_constantIbLb0EES12_IbLb1EEEEDaSY_SZ_EUlSY_E_NS1_11comp_targetILNS1_3genE8ELNS1_11target_archE1030ELNS1_3gpuE2ELNS1_3repE0EEENS1_30default_config_static_selectorELNS0_4arch9wavefront6targetE1EEEvT1_, .Lfunc_end2110-_ZN7rocprim17ROCPRIM_400000_NS6detail17trampoline_kernelINS0_14default_configENS1_27scan_by_key_config_selectorIj11FixedVectorIiLj4EEEEZZNS1_16scan_by_key_implILNS1_25lookback_scan_determinismE0ELb1ES3_N6thrust23THRUST_200600_302600_NS6detail15normal_iteratorINSB_10device_ptrIjEEEENSD_INSE_IS6_EEEESI_S6_NSB_4plusIvEENSB_8equal_toIvEES6_EE10hipError_tPvRmT2_T3_T4_T5_mT6_T7_P12ihipStream_tbENKUlT_T0_E_clISt17integral_constantIbLb0EES12_IbLb1EEEEDaSY_SZ_EUlSY_E_NS1_11comp_targetILNS1_3genE8ELNS1_11target_archE1030ELNS1_3gpuE2ELNS1_3repE0EEENS1_30default_config_static_selectorELNS0_4arch9wavefront6targetE1EEEvT1_
                                        ; -- End function
	.section	.AMDGPU.csdata,"",@progbits
; Kernel info:
; codeLenInByte = 0
; NumSgprs: 4
; NumVgprs: 0
; NumAgprs: 0
; TotalNumVgprs: 0
; ScratchSize: 0
; MemoryBound: 0
; FloatMode: 240
; IeeeMode: 1
; LDSByteSize: 0 bytes/workgroup (compile time only)
; SGPRBlocks: 0
; VGPRBlocks: 0
; NumSGPRsForWavesPerEU: 4
; NumVGPRsForWavesPerEU: 1
; AccumOffset: 4
; Occupancy: 8
; WaveLimiterHint : 0
; COMPUTE_PGM_RSRC2:SCRATCH_EN: 0
; COMPUTE_PGM_RSRC2:USER_SGPR: 6
; COMPUTE_PGM_RSRC2:TRAP_HANDLER: 0
; COMPUTE_PGM_RSRC2:TGID_X_EN: 1
; COMPUTE_PGM_RSRC2:TGID_Y_EN: 0
; COMPUTE_PGM_RSRC2:TGID_Z_EN: 0
; COMPUTE_PGM_RSRC2:TIDIG_COMP_CNT: 0
; COMPUTE_PGM_RSRC3_GFX90A:ACCUM_OFFSET: 0
; COMPUTE_PGM_RSRC3_GFX90A:TG_SPLIT: 0
	.section	.text._ZN6thrust23THRUST_200600_302600_NS11hip_rocprim14__parallel_for6kernelILj256ENS1_10for_each_fINS0_10device_ptrI11FixedVectorIiLj8EEEENS0_6detail16wrapped_functionINS9_23allocator_traits_detail5gozerEvEEEElLj1EEEvT0_T1_SG_,"axG",@progbits,_ZN6thrust23THRUST_200600_302600_NS11hip_rocprim14__parallel_for6kernelILj256ENS1_10for_each_fINS0_10device_ptrI11FixedVectorIiLj8EEEENS0_6detail16wrapped_functionINS9_23allocator_traits_detail5gozerEvEEEElLj1EEEvT0_T1_SG_,comdat
	.protected	_ZN6thrust23THRUST_200600_302600_NS11hip_rocprim14__parallel_for6kernelILj256ENS1_10for_each_fINS0_10device_ptrI11FixedVectorIiLj8EEEENS0_6detail16wrapped_functionINS9_23allocator_traits_detail5gozerEvEEEElLj1EEEvT0_T1_SG_ ; -- Begin function _ZN6thrust23THRUST_200600_302600_NS11hip_rocprim14__parallel_for6kernelILj256ENS1_10for_each_fINS0_10device_ptrI11FixedVectorIiLj8EEEENS0_6detail16wrapped_functionINS9_23allocator_traits_detail5gozerEvEEEElLj1EEEvT0_T1_SG_
	.globl	_ZN6thrust23THRUST_200600_302600_NS11hip_rocprim14__parallel_for6kernelILj256ENS1_10for_each_fINS0_10device_ptrI11FixedVectorIiLj8EEEENS0_6detail16wrapped_functionINS9_23allocator_traits_detail5gozerEvEEEElLj1EEEvT0_T1_SG_
	.p2align	8
	.type	_ZN6thrust23THRUST_200600_302600_NS11hip_rocprim14__parallel_for6kernelILj256ENS1_10for_each_fINS0_10device_ptrI11FixedVectorIiLj8EEEENS0_6detail16wrapped_functionINS9_23allocator_traits_detail5gozerEvEEEElLj1EEEvT0_T1_SG_,@function
_ZN6thrust23THRUST_200600_302600_NS11hip_rocprim14__parallel_for6kernelILj256ENS1_10for_each_fINS0_10device_ptrI11FixedVectorIiLj8EEEENS0_6detail16wrapped_functionINS9_23allocator_traits_detail5gozerEvEEEElLj1EEEvT0_T1_SG_: ; @_ZN6thrust23THRUST_200600_302600_NS11hip_rocprim14__parallel_for6kernelILj256ENS1_10for_each_fINS0_10device_ptrI11FixedVectorIiLj8EEEENS0_6detail16wrapped_functionINS9_23allocator_traits_detail5gozerEvEEEElLj1EEEvT0_T1_SG_
; %bb.0:
	s_endpgm
	.section	.rodata,"a",@progbits
	.p2align	6, 0x0
	.amdhsa_kernel _ZN6thrust23THRUST_200600_302600_NS11hip_rocprim14__parallel_for6kernelILj256ENS1_10for_each_fINS0_10device_ptrI11FixedVectorIiLj8EEEENS0_6detail16wrapped_functionINS9_23allocator_traits_detail5gozerEvEEEElLj1EEEvT0_T1_SG_
		.amdhsa_group_segment_fixed_size 0
		.amdhsa_private_segment_fixed_size 0
		.amdhsa_kernarg_size 32
		.amdhsa_user_sgpr_count 6
		.amdhsa_user_sgpr_private_segment_buffer 1
		.amdhsa_user_sgpr_dispatch_ptr 0
		.amdhsa_user_sgpr_queue_ptr 0
		.amdhsa_user_sgpr_kernarg_segment_ptr 1
		.amdhsa_user_sgpr_dispatch_id 0
		.amdhsa_user_sgpr_flat_scratch_init 0
		.amdhsa_user_sgpr_kernarg_preload_length 0
		.amdhsa_user_sgpr_kernarg_preload_offset 0
		.amdhsa_user_sgpr_private_segment_size 0
		.amdhsa_uses_dynamic_stack 0
		.amdhsa_system_sgpr_private_segment_wavefront_offset 0
		.amdhsa_system_sgpr_workgroup_id_x 1
		.amdhsa_system_sgpr_workgroup_id_y 0
		.amdhsa_system_sgpr_workgroup_id_z 0
		.amdhsa_system_sgpr_workgroup_info 0
		.amdhsa_system_vgpr_workitem_id 0
		.amdhsa_next_free_vgpr 1
		.amdhsa_next_free_sgpr 0
		.amdhsa_accum_offset 4
		.amdhsa_reserve_vcc 0
		.amdhsa_reserve_flat_scratch 0
		.amdhsa_float_round_mode_32 0
		.amdhsa_float_round_mode_16_64 0
		.amdhsa_float_denorm_mode_32 3
		.amdhsa_float_denorm_mode_16_64 3
		.amdhsa_dx10_clamp 1
		.amdhsa_ieee_mode 1
		.amdhsa_fp16_overflow 0
		.amdhsa_tg_split 0
		.amdhsa_exception_fp_ieee_invalid_op 0
		.amdhsa_exception_fp_denorm_src 0
		.amdhsa_exception_fp_ieee_div_zero 0
		.amdhsa_exception_fp_ieee_overflow 0
		.amdhsa_exception_fp_ieee_underflow 0
		.amdhsa_exception_fp_ieee_inexact 0
		.amdhsa_exception_int_div_zero 0
	.end_amdhsa_kernel
	.section	.text._ZN6thrust23THRUST_200600_302600_NS11hip_rocprim14__parallel_for6kernelILj256ENS1_10for_each_fINS0_10device_ptrI11FixedVectorIiLj8EEEENS0_6detail16wrapped_functionINS9_23allocator_traits_detail5gozerEvEEEElLj1EEEvT0_T1_SG_,"axG",@progbits,_ZN6thrust23THRUST_200600_302600_NS11hip_rocprim14__parallel_for6kernelILj256ENS1_10for_each_fINS0_10device_ptrI11FixedVectorIiLj8EEEENS0_6detail16wrapped_functionINS9_23allocator_traits_detail5gozerEvEEEElLj1EEEvT0_T1_SG_,comdat
.Lfunc_end2111:
	.size	_ZN6thrust23THRUST_200600_302600_NS11hip_rocprim14__parallel_for6kernelILj256ENS1_10for_each_fINS0_10device_ptrI11FixedVectorIiLj8EEEENS0_6detail16wrapped_functionINS9_23allocator_traits_detail5gozerEvEEEElLj1EEEvT0_T1_SG_, .Lfunc_end2111-_ZN6thrust23THRUST_200600_302600_NS11hip_rocprim14__parallel_for6kernelILj256ENS1_10for_each_fINS0_10device_ptrI11FixedVectorIiLj8EEEENS0_6detail16wrapped_functionINS9_23allocator_traits_detail5gozerEvEEEElLj1EEEvT0_T1_SG_
                                        ; -- End function
	.section	.AMDGPU.csdata,"",@progbits
; Kernel info:
; codeLenInByte = 4
; NumSgprs: 4
; NumVgprs: 0
; NumAgprs: 0
; TotalNumVgprs: 0
; ScratchSize: 0
; MemoryBound: 0
; FloatMode: 240
; IeeeMode: 1
; LDSByteSize: 0 bytes/workgroup (compile time only)
; SGPRBlocks: 0
; VGPRBlocks: 0
; NumSGPRsForWavesPerEU: 4
; NumVGPRsForWavesPerEU: 1
; AccumOffset: 4
; Occupancy: 8
; WaveLimiterHint : 0
; COMPUTE_PGM_RSRC2:SCRATCH_EN: 0
; COMPUTE_PGM_RSRC2:USER_SGPR: 6
; COMPUTE_PGM_RSRC2:TRAP_HANDLER: 0
; COMPUTE_PGM_RSRC2:TGID_X_EN: 1
; COMPUTE_PGM_RSRC2:TGID_Y_EN: 0
; COMPUTE_PGM_RSRC2:TGID_Z_EN: 0
; COMPUTE_PGM_RSRC2:TIDIG_COMP_CNT: 0
; COMPUTE_PGM_RSRC3_GFX90A:ACCUM_OFFSET: 0
; COMPUTE_PGM_RSRC3_GFX90A:TG_SPLIT: 0
	.section	.text._ZN6thrust23THRUST_200600_302600_NS11hip_rocprim14__parallel_for6kernelILj256ENS1_10for_each_fINS0_10device_ptrI11FixedVectorIiLj8EEEENS0_6detail16wrapped_functionINS9_23allocator_traits_detail24construct1_via_allocatorINS0_16device_allocatorIS7_EEEEvEEEEmLj1EEEvT0_T1_SJ_,"axG",@progbits,_ZN6thrust23THRUST_200600_302600_NS11hip_rocprim14__parallel_for6kernelILj256ENS1_10for_each_fINS0_10device_ptrI11FixedVectorIiLj8EEEENS0_6detail16wrapped_functionINS9_23allocator_traits_detail24construct1_via_allocatorINS0_16device_allocatorIS7_EEEEvEEEEmLj1EEEvT0_T1_SJ_,comdat
	.protected	_ZN6thrust23THRUST_200600_302600_NS11hip_rocprim14__parallel_for6kernelILj256ENS1_10for_each_fINS0_10device_ptrI11FixedVectorIiLj8EEEENS0_6detail16wrapped_functionINS9_23allocator_traits_detail24construct1_via_allocatorINS0_16device_allocatorIS7_EEEEvEEEEmLj1EEEvT0_T1_SJ_ ; -- Begin function _ZN6thrust23THRUST_200600_302600_NS11hip_rocprim14__parallel_for6kernelILj256ENS1_10for_each_fINS0_10device_ptrI11FixedVectorIiLj8EEEENS0_6detail16wrapped_functionINS9_23allocator_traits_detail24construct1_via_allocatorINS0_16device_allocatorIS7_EEEEvEEEEmLj1EEEvT0_T1_SJ_
	.globl	_ZN6thrust23THRUST_200600_302600_NS11hip_rocprim14__parallel_for6kernelILj256ENS1_10for_each_fINS0_10device_ptrI11FixedVectorIiLj8EEEENS0_6detail16wrapped_functionINS9_23allocator_traits_detail24construct1_via_allocatorINS0_16device_allocatorIS7_EEEEvEEEEmLj1EEEvT0_T1_SJ_
	.p2align	8
	.type	_ZN6thrust23THRUST_200600_302600_NS11hip_rocprim14__parallel_for6kernelILj256ENS1_10for_each_fINS0_10device_ptrI11FixedVectorIiLj8EEEENS0_6detail16wrapped_functionINS9_23allocator_traits_detail24construct1_via_allocatorINS0_16device_allocatorIS7_EEEEvEEEEmLj1EEEvT0_T1_SJ_,@function
_ZN6thrust23THRUST_200600_302600_NS11hip_rocprim14__parallel_for6kernelILj256ENS1_10for_each_fINS0_10device_ptrI11FixedVectorIiLj8EEEENS0_6detail16wrapped_functionINS9_23allocator_traits_detail24construct1_via_allocatorINS0_16device_allocatorIS7_EEEEvEEEEmLj1EEEvT0_T1_SJ_: ; @_ZN6thrust23THRUST_200600_302600_NS11hip_rocprim14__parallel_for6kernelILj256ENS1_10for_each_fINS0_10device_ptrI11FixedVectorIiLj8EEEENS0_6detail16wrapped_functionINS9_23allocator_traits_detail24construct1_via_allocatorINS0_16device_allocatorIS7_EEEEvEEEEmLj1EEEvT0_T1_SJ_
; %bb.0:
	s_load_dwordx4 s[8:11], s[4:5], 0x10
	s_load_dwordx2 s[0:1], s[4:5], 0x0
	s_lshl_b32 s2, s6, 8
	v_mov_b32_e32 v2, 0x100
	v_mov_b32_e32 v3, 0
	s_waitcnt lgkmcnt(0)
	s_add_u32 s2, s2, s10
	s_addc_u32 s3, 0, s11
	s_sub_u32 s4, s8, s2
	s_subb_u32 s5, s9, s3
	v_cmp_lt_u64_e32 vcc, s[4:5], v[2:3]
	s_mov_b64 s[6:7], -1
	s_cbranch_vccz .LBB2112_5
; %bb.1:
	v_cmp_gt_u32_e32 vcc, s4, v0
	s_and_saveexec_b64 s[4:5], vcc
	s_cbranch_execz .LBB2112_4
; %bb.2:
	s_lshl_b64 s[6:7], s[2:3], 5
	s_add_u32 s6, s0, s6
	s_addc_u32 s7, s1, s7
	v_lshlrev_b32_e32 v1, 5, v0
	v_mov_b32_e32 v2, s7
	v_add_co_u32_e32 v1, vcc, s6, v1
	v_addc_co_u32_e32 v4, vcc, 0, v2, vcc
	v_mov_b32_e32 v2, 0
	s_mov_b64 s[6:7], 0
	v_mov_b32_e32 v3, v2
.LBB2112_3:                             ; =>This Inner Loop Header: Depth=1
	v_add_co_u32_e32 v6, vcc, s6, v1
	s_add_u32 s6, s6, 8
	v_mov_b32_e32 v5, s7
	s_addc_u32 s7, s7, 0
	v_addc_co_u32_e32 v7, vcc, v4, v5, vcc
	s_cmp_lg_u32 s6, 32
	flat_store_dwordx2 v[6:7], v[2:3]
	s_cbranch_scc1 .LBB2112_3
.LBB2112_4:
	s_or_b64 exec, exec, s[4:5]
	s_mov_b64 s[6:7], 0
.LBB2112_5:
	s_andn2_b64 vcc, exec, s[6:7]
	s_cbranch_vccnz .LBB2112_8
; %bb.6:
	s_lshl_b64 s[2:3], s[2:3], 5
	s_add_u32 s0, s0, s2
	s_addc_u32 s1, s1, s3
	v_lshlrev_b32_e32 v0, 5, v0
	v_mov_b32_e32 v1, s1
	v_add_co_u32_e32 v2, vcc, s0, v0
	v_mov_b32_e32 v0, 0
	v_addc_co_u32_e32 v3, vcc, 0, v1, vcc
	s_mov_b64 s[0:1], 0
	v_mov_b32_e32 v1, v0
.LBB2112_7:                             ; =>This Inner Loop Header: Depth=1
	v_add_co_u32_e32 v4, vcc, s0, v2
	s_add_u32 s0, s0, 8
	v_mov_b32_e32 v5, s1
	s_addc_u32 s1, s1, 0
	v_addc_co_u32_e32 v5, vcc, v3, v5, vcc
	s_cmp_eq_u32 s0, 32
	flat_store_dwordx2 v[4:5], v[0:1]
	s_cbranch_scc0 .LBB2112_7
.LBB2112_8:
	s_endpgm
	.section	.rodata,"a",@progbits
	.p2align	6, 0x0
	.amdhsa_kernel _ZN6thrust23THRUST_200600_302600_NS11hip_rocprim14__parallel_for6kernelILj256ENS1_10for_each_fINS0_10device_ptrI11FixedVectorIiLj8EEEENS0_6detail16wrapped_functionINS9_23allocator_traits_detail24construct1_via_allocatorINS0_16device_allocatorIS7_EEEEvEEEEmLj1EEEvT0_T1_SJ_
		.amdhsa_group_segment_fixed_size 0
		.amdhsa_private_segment_fixed_size 0
		.amdhsa_kernarg_size 32
		.amdhsa_user_sgpr_count 6
		.amdhsa_user_sgpr_private_segment_buffer 1
		.amdhsa_user_sgpr_dispatch_ptr 0
		.amdhsa_user_sgpr_queue_ptr 0
		.amdhsa_user_sgpr_kernarg_segment_ptr 1
		.amdhsa_user_sgpr_dispatch_id 0
		.amdhsa_user_sgpr_flat_scratch_init 0
		.amdhsa_user_sgpr_kernarg_preload_length 0
		.amdhsa_user_sgpr_kernarg_preload_offset 0
		.amdhsa_user_sgpr_private_segment_size 0
		.amdhsa_uses_dynamic_stack 0
		.amdhsa_system_sgpr_private_segment_wavefront_offset 0
		.amdhsa_system_sgpr_workgroup_id_x 1
		.amdhsa_system_sgpr_workgroup_id_y 0
		.amdhsa_system_sgpr_workgroup_id_z 0
		.amdhsa_system_sgpr_workgroup_info 0
		.amdhsa_system_vgpr_workitem_id 0
		.amdhsa_next_free_vgpr 8
		.amdhsa_next_free_sgpr 12
		.amdhsa_accum_offset 8
		.amdhsa_reserve_vcc 1
		.amdhsa_reserve_flat_scratch 0
		.amdhsa_float_round_mode_32 0
		.amdhsa_float_round_mode_16_64 0
		.amdhsa_float_denorm_mode_32 3
		.amdhsa_float_denorm_mode_16_64 3
		.amdhsa_dx10_clamp 1
		.amdhsa_ieee_mode 1
		.amdhsa_fp16_overflow 0
		.amdhsa_tg_split 0
		.amdhsa_exception_fp_ieee_invalid_op 0
		.amdhsa_exception_fp_denorm_src 0
		.amdhsa_exception_fp_ieee_div_zero 0
		.amdhsa_exception_fp_ieee_overflow 0
		.amdhsa_exception_fp_ieee_underflow 0
		.amdhsa_exception_fp_ieee_inexact 0
		.amdhsa_exception_int_div_zero 0
	.end_amdhsa_kernel
	.section	.text._ZN6thrust23THRUST_200600_302600_NS11hip_rocprim14__parallel_for6kernelILj256ENS1_10for_each_fINS0_10device_ptrI11FixedVectorIiLj8EEEENS0_6detail16wrapped_functionINS9_23allocator_traits_detail24construct1_via_allocatorINS0_16device_allocatorIS7_EEEEvEEEEmLj1EEEvT0_T1_SJ_,"axG",@progbits,_ZN6thrust23THRUST_200600_302600_NS11hip_rocprim14__parallel_for6kernelILj256ENS1_10for_each_fINS0_10device_ptrI11FixedVectorIiLj8EEEENS0_6detail16wrapped_functionINS9_23allocator_traits_detail24construct1_via_allocatorINS0_16device_allocatorIS7_EEEEvEEEEmLj1EEEvT0_T1_SJ_,comdat
.Lfunc_end2112:
	.size	_ZN6thrust23THRUST_200600_302600_NS11hip_rocprim14__parallel_for6kernelILj256ENS1_10for_each_fINS0_10device_ptrI11FixedVectorIiLj8EEEENS0_6detail16wrapped_functionINS9_23allocator_traits_detail24construct1_via_allocatorINS0_16device_allocatorIS7_EEEEvEEEEmLj1EEEvT0_T1_SJ_, .Lfunc_end2112-_ZN6thrust23THRUST_200600_302600_NS11hip_rocprim14__parallel_for6kernelILj256ENS1_10for_each_fINS0_10device_ptrI11FixedVectorIiLj8EEEENS0_6detail16wrapped_functionINS9_23allocator_traits_detail24construct1_via_allocatorINS0_16device_allocatorIS7_EEEEvEEEEmLj1EEEvT0_T1_SJ_
                                        ; -- End function
	.section	.AMDGPU.csdata,"",@progbits
; Kernel info:
; codeLenInByte = 248
; NumSgprs: 16
; NumVgprs: 8
; NumAgprs: 0
; TotalNumVgprs: 8
; ScratchSize: 0
; MemoryBound: 0
; FloatMode: 240
; IeeeMode: 1
; LDSByteSize: 0 bytes/workgroup (compile time only)
; SGPRBlocks: 1
; VGPRBlocks: 0
; NumSGPRsForWavesPerEU: 16
; NumVGPRsForWavesPerEU: 8
; AccumOffset: 8
; Occupancy: 8
; WaveLimiterHint : 0
; COMPUTE_PGM_RSRC2:SCRATCH_EN: 0
; COMPUTE_PGM_RSRC2:USER_SGPR: 6
; COMPUTE_PGM_RSRC2:TRAP_HANDLER: 0
; COMPUTE_PGM_RSRC2:TGID_X_EN: 1
; COMPUTE_PGM_RSRC2:TGID_Y_EN: 0
; COMPUTE_PGM_RSRC2:TGID_Z_EN: 0
; COMPUTE_PGM_RSRC2:TIDIG_COMP_CNT: 0
; COMPUTE_PGM_RSRC3_GFX90A:ACCUM_OFFSET: 1
; COMPUTE_PGM_RSRC3_GFX90A:TG_SPLIT: 0
	.section	.text._ZN7rocprim17ROCPRIM_400000_NS6detail30init_device_scan_by_key_kernelINS1_19lookback_scan_stateINS0_5tupleIJ11FixedVectorIiLj8EEbEEELb0ELb0EEEN6thrust23THRUST_200600_302600_NS6detail15normal_iteratorINSA_10device_ptrIjEEEEjNS1_16block_id_wrapperIjLb0EEEEEvT_jjPNSI_10value_typeET0_PNSt15iterator_traitsISL_E10value_typeEmT1_T2_,"axG",@progbits,_ZN7rocprim17ROCPRIM_400000_NS6detail30init_device_scan_by_key_kernelINS1_19lookback_scan_stateINS0_5tupleIJ11FixedVectorIiLj8EEbEEELb0ELb0EEEN6thrust23THRUST_200600_302600_NS6detail15normal_iteratorINSA_10device_ptrIjEEEEjNS1_16block_id_wrapperIjLb0EEEEEvT_jjPNSI_10value_typeET0_PNSt15iterator_traitsISL_E10value_typeEmT1_T2_,comdat
	.protected	_ZN7rocprim17ROCPRIM_400000_NS6detail30init_device_scan_by_key_kernelINS1_19lookback_scan_stateINS0_5tupleIJ11FixedVectorIiLj8EEbEEELb0ELb0EEEN6thrust23THRUST_200600_302600_NS6detail15normal_iteratorINSA_10device_ptrIjEEEEjNS1_16block_id_wrapperIjLb0EEEEEvT_jjPNSI_10value_typeET0_PNSt15iterator_traitsISL_E10value_typeEmT1_T2_ ; -- Begin function _ZN7rocprim17ROCPRIM_400000_NS6detail30init_device_scan_by_key_kernelINS1_19lookback_scan_stateINS0_5tupleIJ11FixedVectorIiLj8EEbEEELb0ELb0EEEN6thrust23THRUST_200600_302600_NS6detail15normal_iteratorINSA_10device_ptrIjEEEEjNS1_16block_id_wrapperIjLb0EEEEEvT_jjPNSI_10value_typeET0_PNSt15iterator_traitsISL_E10value_typeEmT1_T2_
	.globl	_ZN7rocprim17ROCPRIM_400000_NS6detail30init_device_scan_by_key_kernelINS1_19lookback_scan_stateINS0_5tupleIJ11FixedVectorIiLj8EEbEEELb0ELb0EEEN6thrust23THRUST_200600_302600_NS6detail15normal_iteratorINSA_10device_ptrIjEEEEjNS1_16block_id_wrapperIjLb0EEEEEvT_jjPNSI_10value_typeET0_PNSt15iterator_traitsISL_E10value_typeEmT1_T2_
	.p2align	8
	.type	_ZN7rocprim17ROCPRIM_400000_NS6detail30init_device_scan_by_key_kernelINS1_19lookback_scan_stateINS0_5tupleIJ11FixedVectorIiLj8EEbEEELb0ELb0EEEN6thrust23THRUST_200600_302600_NS6detail15normal_iteratorINSA_10device_ptrIjEEEEjNS1_16block_id_wrapperIjLb0EEEEEvT_jjPNSI_10value_typeET0_PNSt15iterator_traitsISL_E10value_typeEmT1_T2_,@function
_ZN7rocprim17ROCPRIM_400000_NS6detail30init_device_scan_by_key_kernelINS1_19lookback_scan_stateINS0_5tupleIJ11FixedVectorIiLj8EEbEEELb0ELb0EEEN6thrust23THRUST_200600_302600_NS6detail15normal_iteratorINSA_10device_ptrIjEEEEjNS1_16block_id_wrapperIjLb0EEEEEvT_jjPNSI_10value_typeET0_PNSt15iterator_traitsISL_E10value_typeEmT1_T2_: ; @_ZN7rocprim17ROCPRIM_400000_NS6detail30init_device_scan_by_key_kernelINS1_19lookback_scan_stateINS0_5tupleIJ11FixedVectorIiLj8EEbEEELb0ELb0EEEN6thrust23THRUST_200600_302600_NS6detail15normal_iteratorINSA_10device_ptrIjEEEEjNS1_16block_id_wrapperIjLb0EEEEEvT_jjPNSI_10value_typeET0_PNSt15iterator_traitsISL_E10value_typeEmT1_T2_
; %bb.0:
	s_load_dword s6, s[4:5], 0x54
	s_load_dwordx8 s[12:19], s[4:5], 0x10
	s_load_dword s22, s[4:5], 0x48
	s_add_u32 s0, s0, s9
	s_addc_u32 s1, s1, 0
	s_waitcnt lgkmcnt(0)
	s_and_b32 s23, s6, 0xffff
	s_mul_i32 s8, s8, s23
	s_cmp_eq_u64 s[16:17], 0
	v_add_u32_e32 v0, s8, v0
	s_cbranch_scc1 .LBB2113_8
; %bb.1:
	s_cmp_lt_u32 s15, s14
	s_cselect_b32 s6, s15, 0
	s_mov_b32 s20, 0
	v_cmp_eq_u32_e32 vcc, s6, v0
	s_and_saveexec_b64 s[6:7], vcc
	s_cbranch_execz .LBB2113_7
; %bb.2:
	s_load_dwordx4 s[8:11], s[4:5], 0x0
	v_mov_b32_e32 v1, 0
	v_mov_b32_e32 v2, 0
	buffer_store_dword v1, off, s[0:3], 0 offset:28
	buffer_store_dword v1, off, s[0:3], 0 offset:24
	;; [unrolled: 1-line block ×7, first 2 shown]
	buffer_store_dword v1, off, s[0:3], 0
	buffer_store_dword v1, off, s[0:3], 0 offset:32
.LBB2113_3:                             ; =>This Inner Loop Header: Depth=1
	v_add_u32_e32 v3, s20, v2
	s_add_i32 s20, s20, 8
	s_cmp_lg_u32 s20, 32
	buffer_store_dword v1, v3, s[0:3], 0 offen offset:4
	buffer_store_dword v1, v3, s[0:3], 0 offen
	s_cbranch_scc1 .LBB2113_3
; %bb.4:
	v_mov_b32_e32 v1, 0
	s_add_i32 s15, s15, 64
	buffer_store_byte v1, off, s[0:3], 0 offset:32
	v_mov_b32_e32 v2, s15
	global_load_ubyte v2, v2, s[12:13] glc
	s_add_u32 s20, s12, s15
	s_addc_u32 s21, s13, 0
	s_waitcnt vmcnt(0)
	v_cmp_ne_u16_e32 vcc, 0, v2
	v_readfirstlane_b32 s24, v2
	s_cbranch_vccnz .LBB2113_6
.LBB2113_5:                             ; =>This Inner Loop Header: Depth=1
	global_load_ubyte v2, v1, s[20:21] glc
	s_waitcnt vmcnt(0)
	v_cmp_eq_u16_e32 vcc, 0, v2
	v_readfirstlane_b32 s24, v2
	s_cbranch_vccnz .LBB2113_5
.LBB2113_6:
	s_and_b32 s20, 0xffff, s24
	s_cmp_eq_u32 s20, 1
	s_waitcnt lgkmcnt(0)
	s_cselect_b32 s9, s9, s11
	s_cselect_b32 s8, s8, s10
	s_mul_i32 s11, s15, 36
	s_mul_hi_u32 s10, s15, 36
	s_add_u32 s8, s8, s11
	s_addc_u32 s9, s9, s10
	v_mov_b32_e32 v1, 0
	buffer_wbinvl1_vol
	global_load_dwordx4 v[2:5], v1, s[8:9]
	global_load_dwordx4 v[6:9], v1, s[8:9] offset:16
	global_load_ubyte v10, v1, s[8:9] offset:32
	s_waitcnt vmcnt(2)
	global_store_dwordx4 v1, v[2:5], s[16:17]
	s_waitcnt vmcnt(2)
	global_store_dwordx4 v1, v[6:9], s[16:17] offset:16
	s_waitcnt vmcnt(2)
	global_store_byte v1, v10, s[16:17] offset:32
.LBB2113_7:
	s_or_b64 exec, exec, s[6:7]
.LBB2113_8:
	v_cmp_gt_u32_e32 vcc, s14, v0
	s_and_saveexec_b64 s[6:7], vcc
	s_cbranch_execz .LBB2113_10
; %bb.9:
	v_add_u32_e32 v1, 64, v0
	v_mov_b32_e32 v2, 0
	global_store_byte v1, v2, s[12:13]
.LBB2113_10:
	s_or_b64 exec, exec, s[6:7]
	v_cmp_gt_u32_e32 vcc, 64, v0
	v_mov_b32_e32 v1, 0
	s_and_saveexec_b64 s[6:7], vcc
	s_cbranch_execz .LBB2113_12
; %bb.11:
	v_mov_b32_e32 v3, s13
	v_add_co_u32_e32 v2, vcc, s12, v0
	v_addc_co_u32_e32 v3, vcc, 0, v3, vcc
	v_mov_b32_e32 v4, 0xff
	global_store_byte v[2:3], v4, off
.LBB2113_12:
	s_or_b64 exec, exec, s[6:7]
	s_load_dwordx2 s[6:7], s[4:5], 0x38
	s_waitcnt lgkmcnt(0)
	v_cmp_gt_u64_e32 vcc, s[6:7], v[0:1]
	s_and_saveexec_b64 s[8:9], vcc
	s_cbranch_execz .LBB2113_15
; %bb.13:
	s_load_dword s14, s[4:5], 0x40
	s_load_dwordx2 s[10:11], s[4:5], 0x30
	s_mov_b32 s9, 0
	s_mov_b32 s5, s9
	s_mul_i32 s4, s22, s23
	s_waitcnt lgkmcnt(0)
	s_add_i32 s8, s14, -1
	s_lshl_b64 s[8:9], s[8:9], 2
	v_mad_u64_u32 v[2:3], s[12:13], s14, v0, 0
	s_add_u32 s8, s18, s8
	v_lshlrev_b64 v[2:3], 2, v[2:3]
	s_addc_u32 s9, s19, s9
	v_mov_b32_e32 v4, s9
	v_add_co_u32_e32 v2, vcc, s8, v2
	v_addc_co_u32_e32 v3, vcc, v4, v3, vcc
	s_mul_hi_u32 s9, s14, s4
	s_mul_i32 s8, s14, s4
	v_lshlrev_b64 v[4:5], 2, v[0:1]
	s_lshl_b64 s[8:9], s[8:9], 2
	v_mov_b32_e32 v6, s11
	v_add_co_u32_e32 v4, vcc, s10, v4
	s_lshl_b64 s[10:11], s[4:5], 2
	v_addc_co_u32_e32 v5, vcc, v6, v5, vcc
	s_mov_b64 s[12:13], 0
	v_mov_b32_e32 v6, s5
	v_mov_b32_e32 v7, s9
	;; [unrolled: 1-line block ×3, first 2 shown]
.LBB2113_14:                            ; =>This Inner Loop Header: Depth=1
	global_load_dword v9, v[2:3], off
	v_add_co_u32_e32 v0, vcc, s4, v0
	v_addc_co_u32_e32 v1, vcc, v1, v6, vcc
	v_add_co_u32_e32 v2, vcc, s8, v2
	v_addc_co_u32_e32 v3, vcc, v3, v7, vcc
	v_cmp_le_u64_e32 vcc, s[6:7], v[0:1]
	s_or_b64 s[12:13], vcc, s[12:13]
	s_waitcnt vmcnt(0)
	global_store_dword v[4:5], v9, off
	v_add_co_u32_e32 v4, vcc, s10, v4
	v_addc_co_u32_e32 v5, vcc, v5, v8, vcc
	s_andn2_b64 exec, exec, s[12:13]
	s_cbranch_execnz .LBB2113_14
.LBB2113_15:
	s_endpgm
	.section	.rodata,"a",@progbits
	.p2align	6, 0x0
	.amdhsa_kernel _ZN7rocprim17ROCPRIM_400000_NS6detail30init_device_scan_by_key_kernelINS1_19lookback_scan_stateINS0_5tupleIJ11FixedVectorIiLj8EEbEEELb0ELb0EEEN6thrust23THRUST_200600_302600_NS6detail15normal_iteratorINSA_10device_ptrIjEEEEjNS1_16block_id_wrapperIjLb0EEEEEvT_jjPNSI_10value_typeET0_PNSt15iterator_traitsISL_E10value_typeEmT1_T2_
		.amdhsa_group_segment_fixed_size 0
		.amdhsa_private_segment_fixed_size 40
		.amdhsa_kernarg_size 328
		.amdhsa_user_sgpr_count 8
		.amdhsa_user_sgpr_private_segment_buffer 1
		.amdhsa_user_sgpr_dispatch_ptr 0
		.amdhsa_user_sgpr_queue_ptr 0
		.amdhsa_user_sgpr_kernarg_segment_ptr 1
		.amdhsa_user_sgpr_dispatch_id 0
		.amdhsa_user_sgpr_flat_scratch_init 1
		.amdhsa_user_sgpr_kernarg_preload_length 0
		.amdhsa_user_sgpr_kernarg_preload_offset 0
		.amdhsa_user_sgpr_private_segment_size 0
		.amdhsa_uses_dynamic_stack 0
		.amdhsa_system_sgpr_private_segment_wavefront_offset 1
		.amdhsa_system_sgpr_workgroup_id_x 1
		.amdhsa_system_sgpr_workgroup_id_y 0
		.amdhsa_system_sgpr_workgroup_id_z 0
		.amdhsa_system_sgpr_workgroup_info 0
		.amdhsa_system_vgpr_workitem_id 0
		.amdhsa_next_free_vgpr 11
		.amdhsa_next_free_sgpr 25
		.amdhsa_accum_offset 12
		.amdhsa_reserve_vcc 1
		.amdhsa_reserve_flat_scratch 0
		.amdhsa_float_round_mode_32 0
		.amdhsa_float_round_mode_16_64 0
		.amdhsa_float_denorm_mode_32 3
		.amdhsa_float_denorm_mode_16_64 3
		.amdhsa_dx10_clamp 1
		.amdhsa_ieee_mode 1
		.amdhsa_fp16_overflow 0
		.amdhsa_tg_split 0
		.amdhsa_exception_fp_ieee_invalid_op 0
		.amdhsa_exception_fp_denorm_src 0
		.amdhsa_exception_fp_ieee_div_zero 0
		.amdhsa_exception_fp_ieee_overflow 0
		.amdhsa_exception_fp_ieee_underflow 0
		.amdhsa_exception_fp_ieee_inexact 0
		.amdhsa_exception_int_div_zero 0
	.end_amdhsa_kernel
	.section	.text._ZN7rocprim17ROCPRIM_400000_NS6detail30init_device_scan_by_key_kernelINS1_19lookback_scan_stateINS0_5tupleIJ11FixedVectorIiLj8EEbEEELb0ELb0EEEN6thrust23THRUST_200600_302600_NS6detail15normal_iteratorINSA_10device_ptrIjEEEEjNS1_16block_id_wrapperIjLb0EEEEEvT_jjPNSI_10value_typeET0_PNSt15iterator_traitsISL_E10value_typeEmT1_T2_,"axG",@progbits,_ZN7rocprim17ROCPRIM_400000_NS6detail30init_device_scan_by_key_kernelINS1_19lookback_scan_stateINS0_5tupleIJ11FixedVectorIiLj8EEbEEELb0ELb0EEEN6thrust23THRUST_200600_302600_NS6detail15normal_iteratorINSA_10device_ptrIjEEEEjNS1_16block_id_wrapperIjLb0EEEEEvT_jjPNSI_10value_typeET0_PNSt15iterator_traitsISL_E10value_typeEmT1_T2_,comdat
.Lfunc_end2113:
	.size	_ZN7rocprim17ROCPRIM_400000_NS6detail30init_device_scan_by_key_kernelINS1_19lookback_scan_stateINS0_5tupleIJ11FixedVectorIiLj8EEbEEELb0ELb0EEEN6thrust23THRUST_200600_302600_NS6detail15normal_iteratorINSA_10device_ptrIjEEEEjNS1_16block_id_wrapperIjLb0EEEEEvT_jjPNSI_10value_typeET0_PNSt15iterator_traitsISL_E10value_typeEmT1_T2_, .Lfunc_end2113-_ZN7rocprim17ROCPRIM_400000_NS6detail30init_device_scan_by_key_kernelINS1_19lookback_scan_stateINS0_5tupleIJ11FixedVectorIiLj8EEbEEELb0ELb0EEEN6thrust23THRUST_200600_302600_NS6detail15normal_iteratorINSA_10device_ptrIjEEEEjNS1_16block_id_wrapperIjLb0EEEEEvT_jjPNSI_10value_typeET0_PNSt15iterator_traitsISL_E10value_typeEmT1_T2_
                                        ; -- End function
	.section	.AMDGPU.csdata,"",@progbits
; Kernel info:
; codeLenInByte = 692
; NumSgprs: 29
; NumVgprs: 11
; NumAgprs: 0
; TotalNumVgprs: 11
; ScratchSize: 40
; MemoryBound: 0
; FloatMode: 240
; IeeeMode: 1
; LDSByteSize: 0 bytes/workgroup (compile time only)
; SGPRBlocks: 3
; VGPRBlocks: 1
; NumSGPRsForWavesPerEU: 29
; NumVGPRsForWavesPerEU: 11
; AccumOffset: 12
; Occupancy: 8
; WaveLimiterHint : 0
; COMPUTE_PGM_RSRC2:SCRATCH_EN: 1
; COMPUTE_PGM_RSRC2:USER_SGPR: 8
; COMPUTE_PGM_RSRC2:TRAP_HANDLER: 0
; COMPUTE_PGM_RSRC2:TGID_X_EN: 1
; COMPUTE_PGM_RSRC2:TGID_Y_EN: 0
; COMPUTE_PGM_RSRC2:TGID_Z_EN: 0
; COMPUTE_PGM_RSRC2:TIDIG_COMP_CNT: 0
; COMPUTE_PGM_RSRC3_GFX90A:ACCUM_OFFSET: 2
; COMPUTE_PGM_RSRC3_GFX90A:TG_SPLIT: 0
	.section	.text._ZN7rocprim17ROCPRIM_400000_NS6detail30init_device_scan_by_key_kernelINS1_19lookback_scan_stateINS0_5tupleIJ11FixedVectorIiLj8EEbEEELb0ELb0EEENS1_16block_id_wrapperIjLb0EEEEEvT_jjPNSB_10value_typeET0_,"axG",@progbits,_ZN7rocprim17ROCPRIM_400000_NS6detail30init_device_scan_by_key_kernelINS1_19lookback_scan_stateINS0_5tupleIJ11FixedVectorIiLj8EEbEEELb0ELb0EEENS1_16block_id_wrapperIjLb0EEEEEvT_jjPNSB_10value_typeET0_,comdat
	.protected	_ZN7rocprim17ROCPRIM_400000_NS6detail30init_device_scan_by_key_kernelINS1_19lookback_scan_stateINS0_5tupleIJ11FixedVectorIiLj8EEbEEELb0ELb0EEENS1_16block_id_wrapperIjLb0EEEEEvT_jjPNSB_10value_typeET0_ ; -- Begin function _ZN7rocprim17ROCPRIM_400000_NS6detail30init_device_scan_by_key_kernelINS1_19lookback_scan_stateINS0_5tupleIJ11FixedVectorIiLj8EEbEEELb0ELb0EEENS1_16block_id_wrapperIjLb0EEEEEvT_jjPNSB_10value_typeET0_
	.globl	_ZN7rocprim17ROCPRIM_400000_NS6detail30init_device_scan_by_key_kernelINS1_19lookback_scan_stateINS0_5tupleIJ11FixedVectorIiLj8EEbEEELb0ELb0EEENS1_16block_id_wrapperIjLb0EEEEEvT_jjPNSB_10value_typeET0_
	.p2align	8
	.type	_ZN7rocprim17ROCPRIM_400000_NS6detail30init_device_scan_by_key_kernelINS1_19lookback_scan_stateINS0_5tupleIJ11FixedVectorIiLj8EEbEEELb0ELb0EEENS1_16block_id_wrapperIjLb0EEEEEvT_jjPNSB_10value_typeET0_,@function
_ZN7rocprim17ROCPRIM_400000_NS6detail30init_device_scan_by_key_kernelINS1_19lookback_scan_stateINS0_5tupleIJ11FixedVectorIiLj8EEbEEELb0ELb0EEENS1_16block_id_wrapperIjLb0EEEEEvT_jjPNSB_10value_typeET0_: ; @_ZN7rocprim17ROCPRIM_400000_NS6detail30init_device_scan_by_key_kernelINS1_19lookback_scan_stateINS0_5tupleIJ11FixedVectorIiLj8EEbEEELb0ELb0EEENS1_16block_id_wrapperIjLb0EEEEEvT_jjPNSB_10value_typeET0_
; %bb.0:
	s_load_dword s6, s[4:5], 0x3c
	s_load_dwordx2 s[10:11], s[4:5], 0x20
	s_load_dwordx4 s[12:15], s[4:5], 0x10
	s_add_u32 s0, s0, s9
	s_addc_u32 s1, s1, 0
	s_waitcnt lgkmcnt(0)
	s_and_b32 s6, s6, 0xffff
	s_mul_i32 s8, s8, s6
	s_cmp_eq_u64 s[10:11], 0
	v_add_u32_e32 v0, s8, v0
	s_cbranch_scc1 .LBB2114_8
; %bb.1:
	s_cmp_lt_u32 s15, s14
	s_cselect_b32 s6, s15, 0
	s_mov_b32 s16, 0
	v_cmp_eq_u32_e32 vcc, s6, v0
	s_and_saveexec_b64 s[8:9], vcc
	s_cbranch_execz .LBB2114_7
; %bb.2:
	s_load_dwordx4 s[4:7], s[4:5], 0x0
	v_mov_b32_e32 v1, 0
	v_mov_b32_e32 v2, 0
	buffer_store_dword v1, off, s[0:3], 0 offset:28
	buffer_store_dword v1, off, s[0:3], 0 offset:24
	;; [unrolled: 1-line block ×7, first 2 shown]
	buffer_store_dword v1, off, s[0:3], 0
	buffer_store_dword v1, off, s[0:3], 0 offset:32
.LBB2114_3:                             ; =>This Inner Loop Header: Depth=1
	v_add_u32_e32 v3, s16, v2
	s_add_i32 s16, s16, 8
	s_cmp_lg_u32 s16, 32
	buffer_store_dword v1, v3, s[0:3], 0 offen offset:4
	buffer_store_dword v1, v3, s[0:3], 0 offen
	s_cbranch_scc1 .LBB2114_3
; %bb.4:
	v_mov_b32_e32 v1, 0
	s_add_i32 s15, s15, 64
	buffer_store_byte v1, off, s[0:3], 0 offset:32
	v_mov_b32_e32 v2, s15
	global_load_ubyte v2, v2, s[12:13] glc
	s_add_u32 s16, s12, s15
	s_addc_u32 s17, s13, 0
	s_waitcnt vmcnt(0)
	v_cmp_ne_u16_e32 vcc, 0, v2
	v_readfirstlane_b32 s18, v2
	s_cbranch_vccnz .LBB2114_6
.LBB2114_5:                             ; =>This Inner Loop Header: Depth=1
	global_load_ubyte v2, v1, s[16:17] glc
	s_waitcnt vmcnt(0)
	v_cmp_eq_u16_e32 vcc, 0, v2
	v_readfirstlane_b32 s18, v2
	s_cbranch_vccnz .LBB2114_5
.LBB2114_6:
	s_and_b32 s16, 0xffff, s18
	s_cmp_eq_u32 s16, 1
	s_waitcnt lgkmcnt(0)
	s_cselect_b32 s5, s5, s7
	s_cselect_b32 s4, s4, s6
	s_mul_i32 s7, s15, 36
	s_mul_hi_u32 s6, s15, 36
	s_add_u32 s4, s4, s7
	s_addc_u32 s5, s5, s6
	v_mov_b32_e32 v1, 0
	buffer_wbinvl1_vol
	global_load_dwordx4 v[2:5], v1, s[4:5]
	global_load_dwordx4 v[6:9], v1, s[4:5] offset:16
	global_load_ubyte v10, v1, s[4:5] offset:32
	s_waitcnt vmcnt(2)
	global_store_dwordx4 v1, v[2:5], s[10:11]
	s_waitcnt vmcnt(2)
	global_store_dwordx4 v1, v[6:9], s[10:11] offset:16
	s_waitcnt vmcnt(2)
	global_store_byte v1, v10, s[10:11] offset:32
.LBB2114_7:
	s_or_b64 exec, exec, s[8:9]
.LBB2114_8:
	v_cmp_gt_u32_e32 vcc, s14, v0
	s_and_saveexec_b64 s[4:5], vcc
	s_cbranch_execnz .LBB2114_11
; %bb.9:
	s_or_b64 exec, exec, s[4:5]
	v_cmp_gt_u32_e32 vcc, 64, v0
	s_and_saveexec_b64 s[4:5], vcc
	s_cbranch_execnz .LBB2114_12
.LBB2114_10:
	s_endpgm
.LBB2114_11:
	v_add_u32_e32 v1, 64, v0
	v_mov_b32_e32 v2, 0
	global_store_byte v1, v2, s[12:13]
	s_or_b64 exec, exec, s[4:5]
	v_cmp_gt_u32_e32 vcc, 64, v0
	s_and_saveexec_b64 s[4:5], vcc
	s_cbranch_execz .LBB2114_10
.LBB2114_12:
	v_mov_b32_e32 v1, 0xff
	global_store_byte v0, v1, s[12:13]
	s_endpgm
	.section	.rodata,"a",@progbits
	.p2align	6, 0x0
	.amdhsa_kernel _ZN7rocprim17ROCPRIM_400000_NS6detail30init_device_scan_by_key_kernelINS1_19lookback_scan_stateINS0_5tupleIJ11FixedVectorIiLj8EEbEEELb0ELb0EEENS1_16block_id_wrapperIjLb0EEEEEvT_jjPNSB_10value_typeET0_
		.amdhsa_group_segment_fixed_size 0
		.amdhsa_private_segment_fixed_size 40
		.amdhsa_kernarg_size 304
		.amdhsa_user_sgpr_count 8
		.amdhsa_user_sgpr_private_segment_buffer 1
		.amdhsa_user_sgpr_dispatch_ptr 0
		.amdhsa_user_sgpr_queue_ptr 0
		.amdhsa_user_sgpr_kernarg_segment_ptr 1
		.amdhsa_user_sgpr_dispatch_id 0
		.amdhsa_user_sgpr_flat_scratch_init 1
		.amdhsa_user_sgpr_kernarg_preload_length 0
		.amdhsa_user_sgpr_kernarg_preload_offset 0
		.amdhsa_user_sgpr_private_segment_size 0
		.amdhsa_uses_dynamic_stack 0
		.amdhsa_system_sgpr_private_segment_wavefront_offset 1
		.amdhsa_system_sgpr_workgroup_id_x 1
		.amdhsa_system_sgpr_workgroup_id_y 0
		.amdhsa_system_sgpr_workgroup_id_z 0
		.amdhsa_system_sgpr_workgroup_info 0
		.amdhsa_system_vgpr_workitem_id 0
		.amdhsa_next_free_vgpr 11
		.amdhsa_next_free_sgpr 19
		.amdhsa_accum_offset 12
		.amdhsa_reserve_vcc 1
		.amdhsa_reserve_flat_scratch 0
		.amdhsa_float_round_mode_32 0
		.amdhsa_float_round_mode_16_64 0
		.amdhsa_float_denorm_mode_32 3
		.amdhsa_float_denorm_mode_16_64 3
		.amdhsa_dx10_clamp 1
		.amdhsa_ieee_mode 1
		.amdhsa_fp16_overflow 0
		.amdhsa_tg_split 0
		.amdhsa_exception_fp_ieee_invalid_op 0
		.amdhsa_exception_fp_denorm_src 0
		.amdhsa_exception_fp_ieee_div_zero 0
		.amdhsa_exception_fp_ieee_overflow 0
		.amdhsa_exception_fp_ieee_underflow 0
		.amdhsa_exception_fp_ieee_inexact 0
		.amdhsa_exception_int_div_zero 0
	.end_amdhsa_kernel
	.section	.text._ZN7rocprim17ROCPRIM_400000_NS6detail30init_device_scan_by_key_kernelINS1_19lookback_scan_stateINS0_5tupleIJ11FixedVectorIiLj8EEbEEELb0ELb0EEENS1_16block_id_wrapperIjLb0EEEEEvT_jjPNSB_10value_typeET0_,"axG",@progbits,_ZN7rocprim17ROCPRIM_400000_NS6detail30init_device_scan_by_key_kernelINS1_19lookback_scan_stateINS0_5tupleIJ11FixedVectorIiLj8EEbEEELb0ELb0EEENS1_16block_id_wrapperIjLb0EEEEEvT_jjPNSB_10value_typeET0_,comdat
.Lfunc_end2114:
	.size	_ZN7rocprim17ROCPRIM_400000_NS6detail30init_device_scan_by_key_kernelINS1_19lookback_scan_stateINS0_5tupleIJ11FixedVectorIiLj8EEbEEELb0ELb0EEENS1_16block_id_wrapperIjLb0EEEEEvT_jjPNSB_10value_typeET0_, .Lfunc_end2114-_ZN7rocprim17ROCPRIM_400000_NS6detail30init_device_scan_by_key_kernelINS1_19lookback_scan_stateINS0_5tupleIJ11FixedVectorIiLj8EEbEEELb0ELb0EEENS1_16block_id_wrapperIjLb0EEEEEvT_jjPNSB_10value_typeET0_
                                        ; -- End function
	.section	.AMDGPU.csdata,"",@progbits
; Kernel info:
; codeLenInByte = 480
; NumSgprs: 23
; NumVgprs: 11
; NumAgprs: 0
; TotalNumVgprs: 11
; ScratchSize: 40
; MemoryBound: 0
; FloatMode: 240
; IeeeMode: 1
; LDSByteSize: 0 bytes/workgroup (compile time only)
; SGPRBlocks: 2
; VGPRBlocks: 1
; NumSGPRsForWavesPerEU: 23
; NumVGPRsForWavesPerEU: 11
; AccumOffset: 12
; Occupancy: 8
; WaveLimiterHint : 0
; COMPUTE_PGM_RSRC2:SCRATCH_EN: 1
; COMPUTE_PGM_RSRC2:USER_SGPR: 8
; COMPUTE_PGM_RSRC2:TRAP_HANDLER: 0
; COMPUTE_PGM_RSRC2:TGID_X_EN: 1
; COMPUTE_PGM_RSRC2:TGID_Y_EN: 0
; COMPUTE_PGM_RSRC2:TGID_Z_EN: 0
; COMPUTE_PGM_RSRC2:TIDIG_COMP_CNT: 0
; COMPUTE_PGM_RSRC3_GFX90A:ACCUM_OFFSET: 2
; COMPUTE_PGM_RSRC3_GFX90A:TG_SPLIT: 0
	.section	.text._ZN7rocprim17ROCPRIM_400000_NS6detail17trampoline_kernelINS0_14default_configENS1_27scan_by_key_config_selectorIj11FixedVectorIiLj8EEEEZZNS1_16scan_by_key_implILNS1_25lookback_scan_determinismE0ELb0ES3_N6thrust23THRUST_200600_302600_NS6detail15normal_iteratorINSB_10device_ptrIjEEEENSD_INSE_IS6_EEEESI_S6_NSB_4plusIvEENSB_8equal_toIvEES6_EE10hipError_tPvRmT2_T3_T4_T5_mT6_T7_P12ihipStream_tbENKUlT_T0_E_clISt17integral_constantIbLb0EES13_EEDaSY_SZ_EUlSY_E_NS1_11comp_targetILNS1_3genE0ELNS1_11target_archE4294967295ELNS1_3gpuE0ELNS1_3repE0EEENS1_30default_config_static_selectorELNS0_4arch9wavefront6targetE1EEEvT1_,"axG",@progbits,_ZN7rocprim17ROCPRIM_400000_NS6detail17trampoline_kernelINS0_14default_configENS1_27scan_by_key_config_selectorIj11FixedVectorIiLj8EEEEZZNS1_16scan_by_key_implILNS1_25lookback_scan_determinismE0ELb0ES3_N6thrust23THRUST_200600_302600_NS6detail15normal_iteratorINSB_10device_ptrIjEEEENSD_INSE_IS6_EEEESI_S6_NSB_4plusIvEENSB_8equal_toIvEES6_EE10hipError_tPvRmT2_T3_T4_T5_mT6_T7_P12ihipStream_tbENKUlT_T0_E_clISt17integral_constantIbLb0EES13_EEDaSY_SZ_EUlSY_E_NS1_11comp_targetILNS1_3genE0ELNS1_11target_archE4294967295ELNS1_3gpuE0ELNS1_3repE0EEENS1_30default_config_static_selectorELNS0_4arch9wavefront6targetE1EEEvT1_,comdat
	.protected	_ZN7rocprim17ROCPRIM_400000_NS6detail17trampoline_kernelINS0_14default_configENS1_27scan_by_key_config_selectorIj11FixedVectorIiLj8EEEEZZNS1_16scan_by_key_implILNS1_25lookback_scan_determinismE0ELb0ES3_N6thrust23THRUST_200600_302600_NS6detail15normal_iteratorINSB_10device_ptrIjEEEENSD_INSE_IS6_EEEESI_S6_NSB_4plusIvEENSB_8equal_toIvEES6_EE10hipError_tPvRmT2_T3_T4_T5_mT6_T7_P12ihipStream_tbENKUlT_T0_E_clISt17integral_constantIbLb0EES13_EEDaSY_SZ_EUlSY_E_NS1_11comp_targetILNS1_3genE0ELNS1_11target_archE4294967295ELNS1_3gpuE0ELNS1_3repE0EEENS1_30default_config_static_selectorELNS0_4arch9wavefront6targetE1EEEvT1_ ; -- Begin function _ZN7rocprim17ROCPRIM_400000_NS6detail17trampoline_kernelINS0_14default_configENS1_27scan_by_key_config_selectorIj11FixedVectorIiLj8EEEEZZNS1_16scan_by_key_implILNS1_25lookback_scan_determinismE0ELb0ES3_N6thrust23THRUST_200600_302600_NS6detail15normal_iteratorINSB_10device_ptrIjEEEENSD_INSE_IS6_EEEESI_S6_NSB_4plusIvEENSB_8equal_toIvEES6_EE10hipError_tPvRmT2_T3_T4_T5_mT6_T7_P12ihipStream_tbENKUlT_T0_E_clISt17integral_constantIbLb0EES13_EEDaSY_SZ_EUlSY_E_NS1_11comp_targetILNS1_3genE0ELNS1_11target_archE4294967295ELNS1_3gpuE0ELNS1_3repE0EEENS1_30default_config_static_selectorELNS0_4arch9wavefront6targetE1EEEvT1_
	.globl	_ZN7rocprim17ROCPRIM_400000_NS6detail17trampoline_kernelINS0_14default_configENS1_27scan_by_key_config_selectorIj11FixedVectorIiLj8EEEEZZNS1_16scan_by_key_implILNS1_25lookback_scan_determinismE0ELb0ES3_N6thrust23THRUST_200600_302600_NS6detail15normal_iteratorINSB_10device_ptrIjEEEENSD_INSE_IS6_EEEESI_S6_NSB_4plusIvEENSB_8equal_toIvEES6_EE10hipError_tPvRmT2_T3_T4_T5_mT6_T7_P12ihipStream_tbENKUlT_T0_E_clISt17integral_constantIbLb0EES13_EEDaSY_SZ_EUlSY_E_NS1_11comp_targetILNS1_3genE0ELNS1_11target_archE4294967295ELNS1_3gpuE0ELNS1_3repE0EEENS1_30default_config_static_selectorELNS0_4arch9wavefront6targetE1EEEvT1_
	.p2align	8
	.type	_ZN7rocprim17ROCPRIM_400000_NS6detail17trampoline_kernelINS0_14default_configENS1_27scan_by_key_config_selectorIj11FixedVectorIiLj8EEEEZZNS1_16scan_by_key_implILNS1_25lookback_scan_determinismE0ELb0ES3_N6thrust23THRUST_200600_302600_NS6detail15normal_iteratorINSB_10device_ptrIjEEEENSD_INSE_IS6_EEEESI_S6_NSB_4plusIvEENSB_8equal_toIvEES6_EE10hipError_tPvRmT2_T3_T4_T5_mT6_T7_P12ihipStream_tbENKUlT_T0_E_clISt17integral_constantIbLb0EES13_EEDaSY_SZ_EUlSY_E_NS1_11comp_targetILNS1_3genE0ELNS1_11target_archE4294967295ELNS1_3gpuE0ELNS1_3repE0EEENS1_30default_config_static_selectorELNS0_4arch9wavefront6targetE1EEEvT1_,@function
_ZN7rocprim17ROCPRIM_400000_NS6detail17trampoline_kernelINS0_14default_configENS1_27scan_by_key_config_selectorIj11FixedVectorIiLj8EEEEZZNS1_16scan_by_key_implILNS1_25lookback_scan_determinismE0ELb0ES3_N6thrust23THRUST_200600_302600_NS6detail15normal_iteratorINSB_10device_ptrIjEEEENSD_INSE_IS6_EEEESI_S6_NSB_4plusIvEENSB_8equal_toIvEES6_EE10hipError_tPvRmT2_T3_T4_T5_mT6_T7_P12ihipStream_tbENKUlT_T0_E_clISt17integral_constantIbLb0EES13_EEDaSY_SZ_EUlSY_E_NS1_11comp_targetILNS1_3genE0ELNS1_11target_archE4294967295ELNS1_3gpuE0ELNS1_3repE0EEENS1_30default_config_static_selectorELNS0_4arch9wavefront6targetE1EEEvT1_: ; @_ZN7rocprim17ROCPRIM_400000_NS6detail17trampoline_kernelINS0_14default_configENS1_27scan_by_key_config_selectorIj11FixedVectorIiLj8EEEEZZNS1_16scan_by_key_implILNS1_25lookback_scan_determinismE0ELb0ES3_N6thrust23THRUST_200600_302600_NS6detail15normal_iteratorINSB_10device_ptrIjEEEENSD_INSE_IS6_EEEESI_S6_NSB_4plusIvEENSB_8equal_toIvEES6_EE10hipError_tPvRmT2_T3_T4_T5_mT6_T7_P12ihipStream_tbENKUlT_T0_E_clISt17integral_constantIbLb0EES13_EEDaSY_SZ_EUlSY_E_NS1_11comp_targetILNS1_3genE0ELNS1_11target_archE4294967295ELNS1_3gpuE0ELNS1_3repE0EEENS1_30default_config_static_selectorELNS0_4arch9wavefront6targetE1EEEvT1_
; %bb.0:
	.section	.rodata,"a",@progbits
	.p2align	6, 0x0
	.amdhsa_kernel _ZN7rocprim17ROCPRIM_400000_NS6detail17trampoline_kernelINS0_14default_configENS1_27scan_by_key_config_selectorIj11FixedVectorIiLj8EEEEZZNS1_16scan_by_key_implILNS1_25lookback_scan_determinismE0ELb0ES3_N6thrust23THRUST_200600_302600_NS6detail15normal_iteratorINSB_10device_ptrIjEEEENSD_INSE_IS6_EEEESI_S6_NSB_4plusIvEENSB_8equal_toIvEES6_EE10hipError_tPvRmT2_T3_T4_T5_mT6_T7_P12ihipStream_tbENKUlT_T0_E_clISt17integral_constantIbLb0EES13_EEDaSY_SZ_EUlSY_E_NS1_11comp_targetILNS1_3genE0ELNS1_11target_archE4294967295ELNS1_3gpuE0ELNS1_3repE0EEENS1_30default_config_static_selectorELNS0_4arch9wavefront6targetE1EEEvT1_
		.amdhsa_group_segment_fixed_size 0
		.amdhsa_private_segment_fixed_size 0
		.amdhsa_kernarg_size 160
		.amdhsa_user_sgpr_count 6
		.amdhsa_user_sgpr_private_segment_buffer 1
		.amdhsa_user_sgpr_dispatch_ptr 0
		.amdhsa_user_sgpr_queue_ptr 0
		.amdhsa_user_sgpr_kernarg_segment_ptr 1
		.amdhsa_user_sgpr_dispatch_id 0
		.amdhsa_user_sgpr_flat_scratch_init 0
		.amdhsa_user_sgpr_kernarg_preload_length 0
		.amdhsa_user_sgpr_kernarg_preload_offset 0
		.amdhsa_user_sgpr_private_segment_size 0
		.amdhsa_uses_dynamic_stack 0
		.amdhsa_system_sgpr_private_segment_wavefront_offset 0
		.amdhsa_system_sgpr_workgroup_id_x 1
		.amdhsa_system_sgpr_workgroup_id_y 0
		.amdhsa_system_sgpr_workgroup_id_z 0
		.amdhsa_system_sgpr_workgroup_info 0
		.amdhsa_system_vgpr_workitem_id 0
		.amdhsa_next_free_vgpr 1
		.amdhsa_next_free_sgpr 0
		.amdhsa_accum_offset 4
		.amdhsa_reserve_vcc 0
		.amdhsa_reserve_flat_scratch 0
		.amdhsa_float_round_mode_32 0
		.amdhsa_float_round_mode_16_64 0
		.amdhsa_float_denorm_mode_32 3
		.amdhsa_float_denorm_mode_16_64 3
		.amdhsa_dx10_clamp 1
		.amdhsa_ieee_mode 1
		.amdhsa_fp16_overflow 0
		.amdhsa_tg_split 0
		.amdhsa_exception_fp_ieee_invalid_op 0
		.amdhsa_exception_fp_denorm_src 0
		.amdhsa_exception_fp_ieee_div_zero 0
		.amdhsa_exception_fp_ieee_overflow 0
		.amdhsa_exception_fp_ieee_underflow 0
		.amdhsa_exception_fp_ieee_inexact 0
		.amdhsa_exception_int_div_zero 0
	.end_amdhsa_kernel
	.section	.text._ZN7rocprim17ROCPRIM_400000_NS6detail17trampoline_kernelINS0_14default_configENS1_27scan_by_key_config_selectorIj11FixedVectorIiLj8EEEEZZNS1_16scan_by_key_implILNS1_25lookback_scan_determinismE0ELb0ES3_N6thrust23THRUST_200600_302600_NS6detail15normal_iteratorINSB_10device_ptrIjEEEENSD_INSE_IS6_EEEESI_S6_NSB_4plusIvEENSB_8equal_toIvEES6_EE10hipError_tPvRmT2_T3_T4_T5_mT6_T7_P12ihipStream_tbENKUlT_T0_E_clISt17integral_constantIbLb0EES13_EEDaSY_SZ_EUlSY_E_NS1_11comp_targetILNS1_3genE0ELNS1_11target_archE4294967295ELNS1_3gpuE0ELNS1_3repE0EEENS1_30default_config_static_selectorELNS0_4arch9wavefront6targetE1EEEvT1_,"axG",@progbits,_ZN7rocprim17ROCPRIM_400000_NS6detail17trampoline_kernelINS0_14default_configENS1_27scan_by_key_config_selectorIj11FixedVectorIiLj8EEEEZZNS1_16scan_by_key_implILNS1_25lookback_scan_determinismE0ELb0ES3_N6thrust23THRUST_200600_302600_NS6detail15normal_iteratorINSB_10device_ptrIjEEEENSD_INSE_IS6_EEEESI_S6_NSB_4plusIvEENSB_8equal_toIvEES6_EE10hipError_tPvRmT2_T3_T4_T5_mT6_T7_P12ihipStream_tbENKUlT_T0_E_clISt17integral_constantIbLb0EES13_EEDaSY_SZ_EUlSY_E_NS1_11comp_targetILNS1_3genE0ELNS1_11target_archE4294967295ELNS1_3gpuE0ELNS1_3repE0EEENS1_30default_config_static_selectorELNS0_4arch9wavefront6targetE1EEEvT1_,comdat
.Lfunc_end2115:
	.size	_ZN7rocprim17ROCPRIM_400000_NS6detail17trampoline_kernelINS0_14default_configENS1_27scan_by_key_config_selectorIj11FixedVectorIiLj8EEEEZZNS1_16scan_by_key_implILNS1_25lookback_scan_determinismE0ELb0ES3_N6thrust23THRUST_200600_302600_NS6detail15normal_iteratorINSB_10device_ptrIjEEEENSD_INSE_IS6_EEEESI_S6_NSB_4plusIvEENSB_8equal_toIvEES6_EE10hipError_tPvRmT2_T3_T4_T5_mT6_T7_P12ihipStream_tbENKUlT_T0_E_clISt17integral_constantIbLb0EES13_EEDaSY_SZ_EUlSY_E_NS1_11comp_targetILNS1_3genE0ELNS1_11target_archE4294967295ELNS1_3gpuE0ELNS1_3repE0EEENS1_30default_config_static_selectorELNS0_4arch9wavefront6targetE1EEEvT1_, .Lfunc_end2115-_ZN7rocprim17ROCPRIM_400000_NS6detail17trampoline_kernelINS0_14default_configENS1_27scan_by_key_config_selectorIj11FixedVectorIiLj8EEEEZZNS1_16scan_by_key_implILNS1_25lookback_scan_determinismE0ELb0ES3_N6thrust23THRUST_200600_302600_NS6detail15normal_iteratorINSB_10device_ptrIjEEEENSD_INSE_IS6_EEEESI_S6_NSB_4plusIvEENSB_8equal_toIvEES6_EE10hipError_tPvRmT2_T3_T4_T5_mT6_T7_P12ihipStream_tbENKUlT_T0_E_clISt17integral_constantIbLb0EES13_EEDaSY_SZ_EUlSY_E_NS1_11comp_targetILNS1_3genE0ELNS1_11target_archE4294967295ELNS1_3gpuE0ELNS1_3repE0EEENS1_30default_config_static_selectorELNS0_4arch9wavefront6targetE1EEEvT1_
                                        ; -- End function
	.section	.AMDGPU.csdata,"",@progbits
; Kernel info:
; codeLenInByte = 0
; NumSgprs: 4
; NumVgprs: 0
; NumAgprs: 0
; TotalNumVgprs: 0
; ScratchSize: 0
; MemoryBound: 0
; FloatMode: 240
; IeeeMode: 1
; LDSByteSize: 0 bytes/workgroup (compile time only)
; SGPRBlocks: 0
; VGPRBlocks: 0
; NumSGPRsForWavesPerEU: 4
; NumVGPRsForWavesPerEU: 1
; AccumOffset: 4
; Occupancy: 8
; WaveLimiterHint : 0
; COMPUTE_PGM_RSRC2:SCRATCH_EN: 0
; COMPUTE_PGM_RSRC2:USER_SGPR: 6
; COMPUTE_PGM_RSRC2:TRAP_HANDLER: 0
; COMPUTE_PGM_RSRC2:TGID_X_EN: 1
; COMPUTE_PGM_RSRC2:TGID_Y_EN: 0
; COMPUTE_PGM_RSRC2:TGID_Z_EN: 0
; COMPUTE_PGM_RSRC2:TIDIG_COMP_CNT: 0
; COMPUTE_PGM_RSRC3_GFX90A:ACCUM_OFFSET: 0
; COMPUTE_PGM_RSRC3_GFX90A:TG_SPLIT: 0
	.section	.text._ZN7rocprim17ROCPRIM_400000_NS6detail17trampoline_kernelINS0_14default_configENS1_27scan_by_key_config_selectorIj11FixedVectorIiLj8EEEEZZNS1_16scan_by_key_implILNS1_25lookback_scan_determinismE0ELb0ES3_N6thrust23THRUST_200600_302600_NS6detail15normal_iteratorINSB_10device_ptrIjEEEENSD_INSE_IS6_EEEESI_S6_NSB_4plusIvEENSB_8equal_toIvEES6_EE10hipError_tPvRmT2_T3_T4_T5_mT6_T7_P12ihipStream_tbENKUlT_T0_E_clISt17integral_constantIbLb0EES13_EEDaSY_SZ_EUlSY_E_NS1_11comp_targetILNS1_3genE10ELNS1_11target_archE1201ELNS1_3gpuE5ELNS1_3repE0EEENS1_30default_config_static_selectorELNS0_4arch9wavefront6targetE1EEEvT1_,"axG",@progbits,_ZN7rocprim17ROCPRIM_400000_NS6detail17trampoline_kernelINS0_14default_configENS1_27scan_by_key_config_selectorIj11FixedVectorIiLj8EEEEZZNS1_16scan_by_key_implILNS1_25lookback_scan_determinismE0ELb0ES3_N6thrust23THRUST_200600_302600_NS6detail15normal_iteratorINSB_10device_ptrIjEEEENSD_INSE_IS6_EEEESI_S6_NSB_4plusIvEENSB_8equal_toIvEES6_EE10hipError_tPvRmT2_T3_T4_T5_mT6_T7_P12ihipStream_tbENKUlT_T0_E_clISt17integral_constantIbLb0EES13_EEDaSY_SZ_EUlSY_E_NS1_11comp_targetILNS1_3genE10ELNS1_11target_archE1201ELNS1_3gpuE5ELNS1_3repE0EEENS1_30default_config_static_selectorELNS0_4arch9wavefront6targetE1EEEvT1_,comdat
	.protected	_ZN7rocprim17ROCPRIM_400000_NS6detail17trampoline_kernelINS0_14default_configENS1_27scan_by_key_config_selectorIj11FixedVectorIiLj8EEEEZZNS1_16scan_by_key_implILNS1_25lookback_scan_determinismE0ELb0ES3_N6thrust23THRUST_200600_302600_NS6detail15normal_iteratorINSB_10device_ptrIjEEEENSD_INSE_IS6_EEEESI_S6_NSB_4plusIvEENSB_8equal_toIvEES6_EE10hipError_tPvRmT2_T3_T4_T5_mT6_T7_P12ihipStream_tbENKUlT_T0_E_clISt17integral_constantIbLb0EES13_EEDaSY_SZ_EUlSY_E_NS1_11comp_targetILNS1_3genE10ELNS1_11target_archE1201ELNS1_3gpuE5ELNS1_3repE0EEENS1_30default_config_static_selectorELNS0_4arch9wavefront6targetE1EEEvT1_ ; -- Begin function _ZN7rocprim17ROCPRIM_400000_NS6detail17trampoline_kernelINS0_14default_configENS1_27scan_by_key_config_selectorIj11FixedVectorIiLj8EEEEZZNS1_16scan_by_key_implILNS1_25lookback_scan_determinismE0ELb0ES3_N6thrust23THRUST_200600_302600_NS6detail15normal_iteratorINSB_10device_ptrIjEEEENSD_INSE_IS6_EEEESI_S6_NSB_4plusIvEENSB_8equal_toIvEES6_EE10hipError_tPvRmT2_T3_T4_T5_mT6_T7_P12ihipStream_tbENKUlT_T0_E_clISt17integral_constantIbLb0EES13_EEDaSY_SZ_EUlSY_E_NS1_11comp_targetILNS1_3genE10ELNS1_11target_archE1201ELNS1_3gpuE5ELNS1_3repE0EEENS1_30default_config_static_selectorELNS0_4arch9wavefront6targetE1EEEvT1_
	.globl	_ZN7rocprim17ROCPRIM_400000_NS6detail17trampoline_kernelINS0_14default_configENS1_27scan_by_key_config_selectorIj11FixedVectorIiLj8EEEEZZNS1_16scan_by_key_implILNS1_25lookback_scan_determinismE0ELb0ES3_N6thrust23THRUST_200600_302600_NS6detail15normal_iteratorINSB_10device_ptrIjEEEENSD_INSE_IS6_EEEESI_S6_NSB_4plusIvEENSB_8equal_toIvEES6_EE10hipError_tPvRmT2_T3_T4_T5_mT6_T7_P12ihipStream_tbENKUlT_T0_E_clISt17integral_constantIbLb0EES13_EEDaSY_SZ_EUlSY_E_NS1_11comp_targetILNS1_3genE10ELNS1_11target_archE1201ELNS1_3gpuE5ELNS1_3repE0EEENS1_30default_config_static_selectorELNS0_4arch9wavefront6targetE1EEEvT1_
	.p2align	8
	.type	_ZN7rocprim17ROCPRIM_400000_NS6detail17trampoline_kernelINS0_14default_configENS1_27scan_by_key_config_selectorIj11FixedVectorIiLj8EEEEZZNS1_16scan_by_key_implILNS1_25lookback_scan_determinismE0ELb0ES3_N6thrust23THRUST_200600_302600_NS6detail15normal_iteratorINSB_10device_ptrIjEEEENSD_INSE_IS6_EEEESI_S6_NSB_4plusIvEENSB_8equal_toIvEES6_EE10hipError_tPvRmT2_T3_T4_T5_mT6_T7_P12ihipStream_tbENKUlT_T0_E_clISt17integral_constantIbLb0EES13_EEDaSY_SZ_EUlSY_E_NS1_11comp_targetILNS1_3genE10ELNS1_11target_archE1201ELNS1_3gpuE5ELNS1_3repE0EEENS1_30default_config_static_selectorELNS0_4arch9wavefront6targetE1EEEvT1_,@function
_ZN7rocprim17ROCPRIM_400000_NS6detail17trampoline_kernelINS0_14default_configENS1_27scan_by_key_config_selectorIj11FixedVectorIiLj8EEEEZZNS1_16scan_by_key_implILNS1_25lookback_scan_determinismE0ELb0ES3_N6thrust23THRUST_200600_302600_NS6detail15normal_iteratorINSB_10device_ptrIjEEEENSD_INSE_IS6_EEEESI_S6_NSB_4plusIvEENSB_8equal_toIvEES6_EE10hipError_tPvRmT2_T3_T4_T5_mT6_T7_P12ihipStream_tbENKUlT_T0_E_clISt17integral_constantIbLb0EES13_EEDaSY_SZ_EUlSY_E_NS1_11comp_targetILNS1_3genE10ELNS1_11target_archE1201ELNS1_3gpuE5ELNS1_3repE0EEENS1_30default_config_static_selectorELNS0_4arch9wavefront6targetE1EEEvT1_: ; @_ZN7rocprim17ROCPRIM_400000_NS6detail17trampoline_kernelINS0_14default_configENS1_27scan_by_key_config_selectorIj11FixedVectorIiLj8EEEEZZNS1_16scan_by_key_implILNS1_25lookback_scan_determinismE0ELb0ES3_N6thrust23THRUST_200600_302600_NS6detail15normal_iteratorINSB_10device_ptrIjEEEENSD_INSE_IS6_EEEESI_S6_NSB_4plusIvEENSB_8equal_toIvEES6_EE10hipError_tPvRmT2_T3_T4_T5_mT6_T7_P12ihipStream_tbENKUlT_T0_E_clISt17integral_constantIbLb0EES13_EEDaSY_SZ_EUlSY_E_NS1_11comp_targetILNS1_3genE10ELNS1_11target_archE1201ELNS1_3gpuE5ELNS1_3repE0EEENS1_30default_config_static_selectorELNS0_4arch9wavefront6targetE1EEEvT1_
; %bb.0:
	.section	.rodata,"a",@progbits
	.p2align	6, 0x0
	.amdhsa_kernel _ZN7rocprim17ROCPRIM_400000_NS6detail17trampoline_kernelINS0_14default_configENS1_27scan_by_key_config_selectorIj11FixedVectorIiLj8EEEEZZNS1_16scan_by_key_implILNS1_25lookback_scan_determinismE0ELb0ES3_N6thrust23THRUST_200600_302600_NS6detail15normal_iteratorINSB_10device_ptrIjEEEENSD_INSE_IS6_EEEESI_S6_NSB_4plusIvEENSB_8equal_toIvEES6_EE10hipError_tPvRmT2_T3_T4_T5_mT6_T7_P12ihipStream_tbENKUlT_T0_E_clISt17integral_constantIbLb0EES13_EEDaSY_SZ_EUlSY_E_NS1_11comp_targetILNS1_3genE10ELNS1_11target_archE1201ELNS1_3gpuE5ELNS1_3repE0EEENS1_30default_config_static_selectorELNS0_4arch9wavefront6targetE1EEEvT1_
		.amdhsa_group_segment_fixed_size 0
		.amdhsa_private_segment_fixed_size 0
		.amdhsa_kernarg_size 160
		.amdhsa_user_sgpr_count 6
		.amdhsa_user_sgpr_private_segment_buffer 1
		.amdhsa_user_sgpr_dispatch_ptr 0
		.amdhsa_user_sgpr_queue_ptr 0
		.amdhsa_user_sgpr_kernarg_segment_ptr 1
		.amdhsa_user_sgpr_dispatch_id 0
		.amdhsa_user_sgpr_flat_scratch_init 0
		.amdhsa_user_sgpr_kernarg_preload_length 0
		.amdhsa_user_sgpr_kernarg_preload_offset 0
		.amdhsa_user_sgpr_private_segment_size 0
		.amdhsa_uses_dynamic_stack 0
		.amdhsa_system_sgpr_private_segment_wavefront_offset 0
		.amdhsa_system_sgpr_workgroup_id_x 1
		.amdhsa_system_sgpr_workgroup_id_y 0
		.amdhsa_system_sgpr_workgroup_id_z 0
		.amdhsa_system_sgpr_workgroup_info 0
		.amdhsa_system_vgpr_workitem_id 0
		.amdhsa_next_free_vgpr 1
		.amdhsa_next_free_sgpr 0
		.amdhsa_accum_offset 4
		.amdhsa_reserve_vcc 0
		.amdhsa_reserve_flat_scratch 0
		.amdhsa_float_round_mode_32 0
		.amdhsa_float_round_mode_16_64 0
		.amdhsa_float_denorm_mode_32 3
		.amdhsa_float_denorm_mode_16_64 3
		.amdhsa_dx10_clamp 1
		.amdhsa_ieee_mode 1
		.amdhsa_fp16_overflow 0
		.amdhsa_tg_split 0
		.amdhsa_exception_fp_ieee_invalid_op 0
		.amdhsa_exception_fp_denorm_src 0
		.amdhsa_exception_fp_ieee_div_zero 0
		.amdhsa_exception_fp_ieee_overflow 0
		.amdhsa_exception_fp_ieee_underflow 0
		.amdhsa_exception_fp_ieee_inexact 0
		.amdhsa_exception_int_div_zero 0
	.end_amdhsa_kernel
	.section	.text._ZN7rocprim17ROCPRIM_400000_NS6detail17trampoline_kernelINS0_14default_configENS1_27scan_by_key_config_selectorIj11FixedVectorIiLj8EEEEZZNS1_16scan_by_key_implILNS1_25lookback_scan_determinismE0ELb0ES3_N6thrust23THRUST_200600_302600_NS6detail15normal_iteratorINSB_10device_ptrIjEEEENSD_INSE_IS6_EEEESI_S6_NSB_4plusIvEENSB_8equal_toIvEES6_EE10hipError_tPvRmT2_T3_T4_T5_mT6_T7_P12ihipStream_tbENKUlT_T0_E_clISt17integral_constantIbLb0EES13_EEDaSY_SZ_EUlSY_E_NS1_11comp_targetILNS1_3genE10ELNS1_11target_archE1201ELNS1_3gpuE5ELNS1_3repE0EEENS1_30default_config_static_selectorELNS0_4arch9wavefront6targetE1EEEvT1_,"axG",@progbits,_ZN7rocprim17ROCPRIM_400000_NS6detail17trampoline_kernelINS0_14default_configENS1_27scan_by_key_config_selectorIj11FixedVectorIiLj8EEEEZZNS1_16scan_by_key_implILNS1_25lookback_scan_determinismE0ELb0ES3_N6thrust23THRUST_200600_302600_NS6detail15normal_iteratorINSB_10device_ptrIjEEEENSD_INSE_IS6_EEEESI_S6_NSB_4plusIvEENSB_8equal_toIvEES6_EE10hipError_tPvRmT2_T3_T4_T5_mT6_T7_P12ihipStream_tbENKUlT_T0_E_clISt17integral_constantIbLb0EES13_EEDaSY_SZ_EUlSY_E_NS1_11comp_targetILNS1_3genE10ELNS1_11target_archE1201ELNS1_3gpuE5ELNS1_3repE0EEENS1_30default_config_static_selectorELNS0_4arch9wavefront6targetE1EEEvT1_,comdat
.Lfunc_end2116:
	.size	_ZN7rocprim17ROCPRIM_400000_NS6detail17trampoline_kernelINS0_14default_configENS1_27scan_by_key_config_selectorIj11FixedVectorIiLj8EEEEZZNS1_16scan_by_key_implILNS1_25lookback_scan_determinismE0ELb0ES3_N6thrust23THRUST_200600_302600_NS6detail15normal_iteratorINSB_10device_ptrIjEEEENSD_INSE_IS6_EEEESI_S6_NSB_4plusIvEENSB_8equal_toIvEES6_EE10hipError_tPvRmT2_T3_T4_T5_mT6_T7_P12ihipStream_tbENKUlT_T0_E_clISt17integral_constantIbLb0EES13_EEDaSY_SZ_EUlSY_E_NS1_11comp_targetILNS1_3genE10ELNS1_11target_archE1201ELNS1_3gpuE5ELNS1_3repE0EEENS1_30default_config_static_selectorELNS0_4arch9wavefront6targetE1EEEvT1_, .Lfunc_end2116-_ZN7rocprim17ROCPRIM_400000_NS6detail17trampoline_kernelINS0_14default_configENS1_27scan_by_key_config_selectorIj11FixedVectorIiLj8EEEEZZNS1_16scan_by_key_implILNS1_25lookback_scan_determinismE0ELb0ES3_N6thrust23THRUST_200600_302600_NS6detail15normal_iteratorINSB_10device_ptrIjEEEENSD_INSE_IS6_EEEESI_S6_NSB_4plusIvEENSB_8equal_toIvEES6_EE10hipError_tPvRmT2_T3_T4_T5_mT6_T7_P12ihipStream_tbENKUlT_T0_E_clISt17integral_constantIbLb0EES13_EEDaSY_SZ_EUlSY_E_NS1_11comp_targetILNS1_3genE10ELNS1_11target_archE1201ELNS1_3gpuE5ELNS1_3repE0EEENS1_30default_config_static_selectorELNS0_4arch9wavefront6targetE1EEEvT1_
                                        ; -- End function
	.section	.AMDGPU.csdata,"",@progbits
; Kernel info:
; codeLenInByte = 0
; NumSgprs: 4
; NumVgprs: 0
; NumAgprs: 0
; TotalNumVgprs: 0
; ScratchSize: 0
; MemoryBound: 0
; FloatMode: 240
; IeeeMode: 1
; LDSByteSize: 0 bytes/workgroup (compile time only)
; SGPRBlocks: 0
; VGPRBlocks: 0
; NumSGPRsForWavesPerEU: 4
; NumVGPRsForWavesPerEU: 1
; AccumOffset: 4
; Occupancy: 8
; WaveLimiterHint : 0
; COMPUTE_PGM_RSRC2:SCRATCH_EN: 0
; COMPUTE_PGM_RSRC2:USER_SGPR: 6
; COMPUTE_PGM_RSRC2:TRAP_HANDLER: 0
; COMPUTE_PGM_RSRC2:TGID_X_EN: 1
; COMPUTE_PGM_RSRC2:TGID_Y_EN: 0
; COMPUTE_PGM_RSRC2:TGID_Z_EN: 0
; COMPUTE_PGM_RSRC2:TIDIG_COMP_CNT: 0
; COMPUTE_PGM_RSRC3_GFX90A:ACCUM_OFFSET: 0
; COMPUTE_PGM_RSRC3_GFX90A:TG_SPLIT: 0
	.section	.text._ZN7rocprim17ROCPRIM_400000_NS6detail17trampoline_kernelINS0_14default_configENS1_27scan_by_key_config_selectorIj11FixedVectorIiLj8EEEEZZNS1_16scan_by_key_implILNS1_25lookback_scan_determinismE0ELb0ES3_N6thrust23THRUST_200600_302600_NS6detail15normal_iteratorINSB_10device_ptrIjEEEENSD_INSE_IS6_EEEESI_S6_NSB_4plusIvEENSB_8equal_toIvEES6_EE10hipError_tPvRmT2_T3_T4_T5_mT6_T7_P12ihipStream_tbENKUlT_T0_E_clISt17integral_constantIbLb0EES13_EEDaSY_SZ_EUlSY_E_NS1_11comp_targetILNS1_3genE5ELNS1_11target_archE942ELNS1_3gpuE9ELNS1_3repE0EEENS1_30default_config_static_selectorELNS0_4arch9wavefront6targetE1EEEvT1_,"axG",@progbits,_ZN7rocprim17ROCPRIM_400000_NS6detail17trampoline_kernelINS0_14default_configENS1_27scan_by_key_config_selectorIj11FixedVectorIiLj8EEEEZZNS1_16scan_by_key_implILNS1_25lookback_scan_determinismE0ELb0ES3_N6thrust23THRUST_200600_302600_NS6detail15normal_iteratorINSB_10device_ptrIjEEEENSD_INSE_IS6_EEEESI_S6_NSB_4plusIvEENSB_8equal_toIvEES6_EE10hipError_tPvRmT2_T3_T4_T5_mT6_T7_P12ihipStream_tbENKUlT_T0_E_clISt17integral_constantIbLb0EES13_EEDaSY_SZ_EUlSY_E_NS1_11comp_targetILNS1_3genE5ELNS1_11target_archE942ELNS1_3gpuE9ELNS1_3repE0EEENS1_30default_config_static_selectorELNS0_4arch9wavefront6targetE1EEEvT1_,comdat
	.protected	_ZN7rocprim17ROCPRIM_400000_NS6detail17trampoline_kernelINS0_14default_configENS1_27scan_by_key_config_selectorIj11FixedVectorIiLj8EEEEZZNS1_16scan_by_key_implILNS1_25lookback_scan_determinismE0ELb0ES3_N6thrust23THRUST_200600_302600_NS6detail15normal_iteratorINSB_10device_ptrIjEEEENSD_INSE_IS6_EEEESI_S6_NSB_4plusIvEENSB_8equal_toIvEES6_EE10hipError_tPvRmT2_T3_T4_T5_mT6_T7_P12ihipStream_tbENKUlT_T0_E_clISt17integral_constantIbLb0EES13_EEDaSY_SZ_EUlSY_E_NS1_11comp_targetILNS1_3genE5ELNS1_11target_archE942ELNS1_3gpuE9ELNS1_3repE0EEENS1_30default_config_static_selectorELNS0_4arch9wavefront6targetE1EEEvT1_ ; -- Begin function _ZN7rocprim17ROCPRIM_400000_NS6detail17trampoline_kernelINS0_14default_configENS1_27scan_by_key_config_selectorIj11FixedVectorIiLj8EEEEZZNS1_16scan_by_key_implILNS1_25lookback_scan_determinismE0ELb0ES3_N6thrust23THRUST_200600_302600_NS6detail15normal_iteratorINSB_10device_ptrIjEEEENSD_INSE_IS6_EEEESI_S6_NSB_4plusIvEENSB_8equal_toIvEES6_EE10hipError_tPvRmT2_T3_T4_T5_mT6_T7_P12ihipStream_tbENKUlT_T0_E_clISt17integral_constantIbLb0EES13_EEDaSY_SZ_EUlSY_E_NS1_11comp_targetILNS1_3genE5ELNS1_11target_archE942ELNS1_3gpuE9ELNS1_3repE0EEENS1_30default_config_static_selectorELNS0_4arch9wavefront6targetE1EEEvT1_
	.globl	_ZN7rocprim17ROCPRIM_400000_NS6detail17trampoline_kernelINS0_14default_configENS1_27scan_by_key_config_selectorIj11FixedVectorIiLj8EEEEZZNS1_16scan_by_key_implILNS1_25lookback_scan_determinismE0ELb0ES3_N6thrust23THRUST_200600_302600_NS6detail15normal_iteratorINSB_10device_ptrIjEEEENSD_INSE_IS6_EEEESI_S6_NSB_4plusIvEENSB_8equal_toIvEES6_EE10hipError_tPvRmT2_T3_T4_T5_mT6_T7_P12ihipStream_tbENKUlT_T0_E_clISt17integral_constantIbLb0EES13_EEDaSY_SZ_EUlSY_E_NS1_11comp_targetILNS1_3genE5ELNS1_11target_archE942ELNS1_3gpuE9ELNS1_3repE0EEENS1_30default_config_static_selectorELNS0_4arch9wavefront6targetE1EEEvT1_
	.p2align	8
	.type	_ZN7rocprim17ROCPRIM_400000_NS6detail17trampoline_kernelINS0_14default_configENS1_27scan_by_key_config_selectorIj11FixedVectorIiLj8EEEEZZNS1_16scan_by_key_implILNS1_25lookback_scan_determinismE0ELb0ES3_N6thrust23THRUST_200600_302600_NS6detail15normal_iteratorINSB_10device_ptrIjEEEENSD_INSE_IS6_EEEESI_S6_NSB_4plusIvEENSB_8equal_toIvEES6_EE10hipError_tPvRmT2_T3_T4_T5_mT6_T7_P12ihipStream_tbENKUlT_T0_E_clISt17integral_constantIbLb0EES13_EEDaSY_SZ_EUlSY_E_NS1_11comp_targetILNS1_3genE5ELNS1_11target_archE942ELNS1_3gpuE9ELNS1_3repE0EEENS1_30default_config_static_selectorELNS0_4arch9wavefront6targetE1EEEvT1_,@function
_ZN7rocprim17ROCPRIM_400000_NS6detail17trampoline_kernelINS0_14default_configENS1_27scan_by_key_config_selectorIj11FixedVectorIiLj8EEEEZZNS1_16scan_by_key_implILNS1_25lookback_scan_determinismE0ELb0ES3_N6thrust23THRUST_200600_302600_NS6detail15normal_iteratorINSB_10device_ptrIjEEEENSD_INSE_IS6_EEEESI_S6_NSB_4plusIvEENSB_8equal_toIvEES6_EE10hipError_tPvRmT2_T3_T4_T5_mT6_T7_P12ihipStream_tbENKUlT_T0_E_clISt17integral_constantIbLb0EES13_EEDaSY_SZ_EUlSY_E_NS1_11comp_targetILNS1_3genE5ELNS1_11target_archE942ELNS1_3gpuE9ELNS1_3repE0EEENS1_30default_config_static_selectorELNS0_4arch9wavefront6targetE1EEEvT1_: ; @_ZN7rocprim17ROCPRIM_400000_NS6detail17trampoline_kernelINS0_14default_configENS1_27scan_by_key_config_selectorIj11FixedVectorIiLj8EEEEZZNS1_16scan_by_key_implILNS1_25lookback_scan_determinismE0ELb0ES3_N6thrust23THRUST_200600_302600_NS6detail15normal_iteratorINSB_10device_ptrIjEEEENSD_INSE_IS6_EEEESI_S6_NSB_4plusIvEENSB_8equal_toIvEES6_EE10hipError_tPvRmT2_T3_T4_T5_mT6_T7_P12ihipStream_tbENKUlT_T0_E_clISt17integral_constantIbLb0EES13_EEDaSY_SZ_EUlSY_E_NS1_11comp_targetILNS1_3genE5ELNS1_11target_archE942ELNS1_3gpuE9ELNS1_3repE0EEENS1_30default_config_static_selectorELNS0_4arch9wavefront6targetE1EEEvT1_
; %bb.0:
	.section	.rodata,"a",@progbits
	.p2align	6, 0x0
	.amdhsa_kernel _ZN7rocprim17ROCPRIM_400000_NS6detail17trampoline_kernelINS0_14default_configENS1_27scan_by_key_config_selectorIj11FixedVectorIiLj8EEEEZZNS1_16scan_by_key_implILNS1_25lookback_scan_determinismE0ELb0ES3_N6thrust23THRUST_200600_302600_NS6detail15normal_iteratorINSB_10device_ptrIjEEEENSD_INSE_IS6_EEEESI_S6_NSB_4plusIvEENSB_8equal_toIvEES6_EE10hipError_tPvRmT2_T3_T4_T5_mT6_T7_P12ihipStream_tbENKUlT_T0_E_clISt17integral_constantIbLb0EES13_EEDaSY_SZ_EUlSY_E_NS1_11comp_targetILNS1_3genE5ELNS1_11target_archE942ELNS1_3gpuE9ELNS1_3repE0EEENS1_30default_config_static_selectorELNS0_4arch9wavefront6targetE1EEEvT1_
		.amdhsa_group_segment_fixed_size 0
		.amdhsa_private_segment_fixed_size 0
		.amdhsa_kernarg_size 160
		.amdhsa_user_sgpr_count 6
		.amdhsa_user_sgpr_private_segment_buffer 1
		.amdhsa_user_sgpr_dispatch_ptr 0
		.amdhsa_user_sgpr_queue_ptr 0
		.amdhsa_user_sgpr_kernarg_segment_ptr 1
		.amdhsa_user_sgpr_dispatch_id 0
		.amdhsa_user_sgpr_flat_scratch_init 0
		.amdhsa_user_sgpr_kernarg_preload_length 0
		.amdhsa_user_sgpr_kernarg_preload_offset 0
		.amdhsa_user_sgpr_private_segment_size 0
		.amdhsa_uses_dynamic_stack 0
		.amdhsa_system_sgpr_private_segment_wavefront_offset 0
		.amdhsa_system_sgpr_workgroup_id_x 1
		.amdhsa_system_sgpr_workgroup_id_y 0
		.amdhsa_system_sgpr_workgroup_id_z 0
		.amdhsa_system_sgpr_workgroup_info 0
		.amdhsa_system_vgpr_workitem_id 0
		.amdhsa_next_free_vgpr 1
		.amdhsa_next_free_sgpr 0
		.amdhsa_accum_offset 4
		.amdhsa_reserve_vcc 0
		.amdhsa_reserve_flat_scratch 0
		.amdhsa_float_round_mode_32 0
		.amdhsa_float_round_mode_16_64 0
		.amdhsa_float_denorm_mode_32 3
		.amdhsa_float_denorm_mode_16_64 3
		.amdhsa_dx10_clamp 1
		.amdhsa_ieee_mode 1
		.amdhsa_fp16_overflow 0
		.amdhsa_tg_split 0
		.amdhsa_exception_fp_ieee_invalid_op 0
		.amdhsa_exception_fp_denorm_src 0
		.amdhsa_exception_fp_ieee_div_zero 0
		.amdhsa_exception_fp_ieee_overflow 0
		.amdhsa_exception_fp_ieee_underflow 0
		.amdhsa_exception_fp_ieee_inexact 0
		.amdhsa_exception_int_div_zero 0
	.end_amdhsa_kernel
	.section	.text._ZN7rocprim17ROCPRIM_400000_NS6detail17trampoline_kernelINS0_14default_configENS1_27scan_by_key_config_selectorIj11FixedVectorIiLj8EEEEZZNS1_16scan_by_key_implILNS1_25lookback_scan_determinismE0ELb0ES3_N6thrust23THRUST_200600_302600_NS6detail15normal_iteratorINSB_10device_ptrIjEEEENSD_INSE_IS6_EEEESI_S6_NSB_4plusIvEENSB_8equal_toIvEES6_EE10hipError_tPvRmT2_T3_T4_T5_mT6_T7_P12ihipStream_tbENKUlT_T0_E_clISt17integral_constantIbLb0EES13_EEDaSY_SZ_EUlSY_E_NS1_11comp_targetILNS1_3genE5ELNS1_11target_archE942ELNS1_3gpuE9ELNS1_3repE0EEENS1_30default_config_static_selectorELNS0_4arch9wavefront6targetE1EEEvT1_,"axG",@progbits,_ZN7rocprim17ROCPRIM_400000_NS6detail17trampoline_kernelINS0_14default_configENS1_27scan_by_key_config_selectorIj11FixedVectorIiLj8EEEEZZNS1_16scan_by_key_implILNS1_25lookback_scan_determinismE0ELb0ES3_N6thrust23THRUST_200600_302600_NS6detail15normal_iteratorINSB_10device_ptrIjEEEENSD_INSE_IS6_EEEESI_S6_NSB_4plusIvEENSB_8equal_toIvEES6_EE10hipError_tPvRmT2_T3_T4_T5_mT6_T7_P12ihipStream_tbENKUlT_T0_E_clISt17integral_constantIbLb0EES13_EEDaSY_SZ_EUlSY_E_NS1_11comp_targetILNS1_3genE5ELNS1_11target_archE942ELNS1_3gpuE9ELNS1_3repE0EEENS1_30default_config_static_selectorELNS0_4arch9wavefront6targetE1EEEvT1_,comdat
.Lfunc_end2117:
	.size	_ZN7rocprim17ROCPRIM_400000_NS6detail17trampoline_kernelINS0_14default_configENS1_27scan_by_key_config_selectorIj11FixedVectorIiLj8EEEEZZNS1_16scan_by_key_implILNS1_25lookback_scan_determinismE0ELb0ES3_N6thrust23THRUST_200600_302600_NS6detail15normal_iteratorINSB_10device_ptrIjEEEENSD_INSE_IS6_EEEESI_S6_NSB_4plusIvEENSB_8equal_toIvEES6_EE10hipError_tPvRmT2_T3_T4_T5_mT6_T7_P12ihipStream_tbENKUlT_T0_E_clISt17integral_constantIbLb0EES13_EEDaSY_SZ_EUlSY_E_NS1_11comp_targetILNS1_3genE5ELNS1_11target_archE942ELNS1_3gpuE9ELNS1_3repE0EEENS1_30default_config_static_selectorELNS0_4arch9wavefront6targetE1EEEvT1_, .Lfunc_end2117-_ZN7rocprim17ROCPRIM_400000_NS6detail17trampoline_kernelINS0_14default_configENS1_27scan_by_key_config_selectorIj11FixedVectorIiLj8EEEEZZNS1_16scan_by_key_implILNS1_25lookback_scan_determinismE0ELb0ES3_N6thrust23THRUST_200600_302600_NS6detail15normal_iteratorINSB_10device_ptrIjEEEENSD_INSE_IS6_EEEESI_S6_NSB_4plusIvEENSB_8equal_toIvEES6_EE10hipError_tPvRmT2_T3_T4_T5_mT6_T7_P12ihipStream_tbENKUlT_T0_E_clISt17integral_constantIbLb0EES13_EEDaSY_SZ_EUlSY_E_NS1_11comp_targetILNS1_3genE5ELNS1_11target_archE942ELNS1_3gpuE9ELNS1_3repE0EEENS1_30default_config_static_selectorELNS0_4arch9wavefront6targetE1EEEvT1_
                                        ; -- End function
	.section	.AMDGPU.csdata,"",@progbits
; Kernel info:
; codeLenInByte = 0
; NumSgprs: 4
; NumVgprs: 0
; NumAgprs: 0
; TotalNumVgprs: 0
; ScratchSize: 0
; MemoryBound: 0
; FloatMode: 240
; IeeeMode: 1
; LDSByteSize: 0 bytes/workgroup (compile time only)
; SGPRBlocks: 0
; VGPRBlocks: 0
; NumSGPRsForWavesPerEU: 4
; NumVGPRsForWavesPerEU: 1
; AccumOffset: 4
; Occupancy: 8
; WaveLimiterHint : 0
; COMPUTE_PGM_RSRC2:SCRATCH_EN: 0
; COMPUTE_PGM_RSRC2:USER_SGPR: 6
; COMPUTE_PGM_RSRC2:TRAP_HANDLER: 0
; COMPUTE_PGM_RSRC2:TGID_X_EN: 1
; COMPUTE_PGM_RSRC2:TGID_Y_EN: 0
; COMPUTE_PGM_RSRC2:TGID_Z_EN: 0
; COMPUTE_PGM_RSRC2:TIDIG_COMP_CNT: 0
; COMPUTE_PGM_RSRC3_GFX90A:ACCUM_OFFSET: 0
; COMPUTE_PGM_RSRC3_GFX90A:TG_SPLIT: 0
	.section	.text._ZN7rocprim17ROCPRIM_400000_NS6detail17trampoline_kernelINS0_14default_configENS1_27scan_by_key_config_selectorIj11FixedVectorIiLj8EEEEZZNS1_16scan_by_key_implILNS1_25lookback_scan_determinismE0ELb0ES3_N6thrust23THRUST_200600_302600_NS6detail15normal_iteratorINSB_10device_ptrIjEEEENSD_INSE_IS6_EEEESI_S6_NSB_4plusIvEENSB_8equal_toIvEES6_EE10hipError_tPvRmT2_T3_T4_T5_mT6_T7_P12ihipStream_tbENKUlT_T0_E_clISt17integral_constantIbLb0EES13_EEDaSY_SZ_EUlSY_E_NS1_11comp_targetILNS1_3genE4ELNS1_11target_archE910ELNS1_3gpuE8ELNS1_3repE0EEENS1_30default_config_static_selectorELNS0_4arch9wavefront6targetE1EEEvT1_,"axG",@progbits,_ZN7rocprim17ROCPRIM_400000_NS6detail17trampoline_kernelINS0_14default_configENS1_27scan_by_key_config_selectorIj11FixedVectorIiLj8EEEEZZNS1_16scan_by_key_implILNS1_25lookback_scan_determinismE0ELb0ES3_N6thrust23THRUST_200600_302600_NS6detail15normal_iteratorINSB_10device_ptrIjEEEENSD_INSE_IS6_EEEESI_S6_NSB_4plusIvEENSB_8equal_toIvEES6_EE10hipError_tPvRmT2_T3_T4_T5_mT6_T7_P12ihipStream_tbENKUlT_T0_E_clISt17integral_constantIbLb0EES13_EEDaSY_SZ_EUlSY_E_NS1_11comp_targetILNS1_3genE4ELNS1_11target_archE910ELNS1_3gpuE8ELNS1_3repE0EEENS1_30default_config_static_selectorELNS0_4arch9wavefront6targetE1EEEvT1_,comdat
	.protected	_ZN7rocprim17ROCPRIM_400000_NS6detail17trampoline_kernelINS0_14default_configENS1_27scan_by_key_config_selectorIj11FixedVectorIiLj8EEEEZZNS1_16scan_by_key_implILNS1_25lookback_scan_determinismE0ELb0ES3_N6thrust23THRUST_200600_302600_NS6detail15normal_iteratorINSB_10device_ptrIjEEEENSD_INSE_IS6_EEEESI_S6_NSB_4plusIvEENSB_8equal_toIvEES6_EE10hipError_tPvRmT2_T3_T4_T5_mT6_T7_P12ihipStream_tbENKUlT_T0_E_clISt17integral_constantIbLb0EES13_EEDaSY_SZ_EUlSY_E_NS1_11comp_targetILNS1_3genE4ELNS1_11target_archE910ELNS1_3gpuE8ELNS1_3repE0EEENS1_30default_config_static_selectorELNS0_4arch9wavefront6targetE1EEEvT1_ ; -- Begin function _ZN7rocprim17ROCPRIM_400000_NS6detail17trampoline_kernelINS0_14default_configENS1_27scan_by_key_config_selectorIj11FixedVectorIiLj8EEEEZZNS1_16scan_by_key_implILNS1_25lookback_scan_determinismE0ELb0ES3_N6thrust23THRUST_200600_302600_NS6detail15normal_iteratorINSB_10device_ptrIjEEEENSD_INSE_IS6_EEEESI_S6_NSB_4plusIvEENSB_8equal_toIvEES6_EE10hipError_tPvRmT2_T3_T4_T5_mT6_T7_P12ihipStream_tbENKUlT_T0_E_clISt17integral_constantIbLb0EES13_EEDaSY_SZ_EUlSY_E_NS1_11comp_targetILNS1_3genE4ELNS1_11target_archE910ELNS1_3gpuE8ELNS1_3repE0EEENS1_30default_config_static_selectorELNS0_4arch9wavefront6targetE1EEEvT1_
	.globl	_ZN7rocprim17ROCPRIM_400000_NS6detail17trampoline_kernelINS0_14default_configENS1_27scan_by_key_config_selectorIj11FixedVectorIiLj8EEEEZZNS1_16scan_by_key_implILNS1_25lookback_scan_determinismE0ELb0ES3_N6thrust23THRUST_200600_302600_NS6detail15normal_iteratorINSB_10device_ptrIjEEEENSD_INSE_IS6_EEEESI_S6_NSB_4plusIvEENSB_8equal_toIvEES6_EE10hipError_tPvRmT2_T3_T4_T5_mT6_T7_P12ihipStream_tbENKUlT_T0_E_clISt17integral_constantIbLb0EES13_EEDaSY_SZ_EUlSY_E_NS1_11comp_targetILNS1_3genE4ELNS1_11target_archE910ELNS1_3gpuE8ELNS1_3repE0EEENS1_30default_config_static_selectorELNS0_4arch9wavefront6targetE1EEEvT1_
	.p2align	8
	.type	_ZN7rocprim17ROCPRIM_400000_NS6detail17trampoline_kernelINS0_14default_configENS1_27scan_by_key_config_selectorIj11FixedVectorIiLj8EEEEZZNS1_16scan_by_key_implILNS1_25lookback_scan_determinismE0ELb0ES3_N6thrust23THRUST_200600_302600_NS6detail15normal_iteratorINSB_10device_ptrIjEEEENSD_INSE_IS6_EEEESI_S6_NSB_4plusIvEENSB_8equal_toIvEES6_EE10hipError_tPvRmT2_T3_T4_T5_mT6_T7_P12ihipStream_tbENKUlT_T0_E_clISt17integral_constantIbLb0EES13_EEDaSY_SZ_EUlSY_E_NS1_11comp_targetILNS1_3genE4ELNS1_11target_archE910ELNS1_3gpuE8ELNS1_3repE0EEENS1_30default_config_static_selectorELNS0_4arch9wavefront6targetE1EEEvT1_,@function
_ZN7rocprim17ROCPRIM_400000_NS6detail17trampoline_kernelINS0_14default_configENS1_27scan_by_key_config_selectorIj11FixedVectorIiLj8EEEEZZNS1_16scan_by_key_implILNS1_25lookback_scan_determinismE0ELb0ES3_N6thrust23THRUST_200600_302600_NS6detail15normal_iteratorINSB_10device_ptrIjEEEENSD_INSE_IS6_EEEESI_S6_NSB_4plusIvEENSB_8equal_toIvEES6_EE10hipError_tPvRmT2_T3_T4_T5_mT6_T7_P12ihipStream_tbENKUlT_T0_E_clISt17integral_constantIbLb0EES13_EEDaSY_SZ_EUlSY_E_NS1_11comp_targetILNS1_3genE4ELNS1_11target_archE910ELNS1_3gpuE8ELNS1_3repE0EEENS1_30default_config_static_selectorELNS0_4arch9wavefront6targetE1EEEvT1_: ; @_ZN7rocprim17ROCPRIM_400000_NS6detail17trampoline_kernelINS0_14default_configENS1_27scan_by_key_config_selectorIj11FixedVectorIiLj8EEEEZZNS1_16scan_by_key_implILNS1_25lookback_scan_determinismE0ELb0ES3_N6thrust23THRUST_200600_302600_NS6detail15normal_iteratorINSB_10device_ptrIjEEEENSD_INSE_IS6_EEEESI_S6_NSB_4plusIvEENSB_8equal_toIvEES6_EE10hipError_tPvRmT2_T3_T4_T5_mT6_T7_P12ihipStream_tbENKUlT_T0_E_clISt17integral_constantIbLb0EES13_EEDaSY_SZ_EUlSY_E_NS1_11comp_targetILNS1_3genE4ELNS1_11target_archE910ELNS1_3gpuE8ELNS1_3repE0EEENS1_30default_config_static_selectorELNS0_4arch9wavefront6targetE1EEEvT1_
; %bb.0:
	s_load_dwordx2 s[44:45], s[4:5], 0x4
	s_load_dwordx8 s[24:31], s[6:7], 0x0
	s_load_dwordx8 s[16:23], s[6:7], 0x48
	s_load_dwordx2 s[34:35], s[6:7], 0x68
	s_nop 0
	s_load_dword s4, s[6:7], 0x70
	s_load_dwordx8 s[36:43], s[6:7], 0x78
	s_add_u32 flat_scratch_lo, s8, s11
	s_addc_u32 flat_scratch_hi, s9, 0
	s_add_u32 s0, s0, s11
	v_and_b32_e32 v8, 0x3ff, v0
	v_bfe_u32 v15, v0, 20, 10
	v_bfe_u32 v0, v0, 10, 10
	s_addc_u32 s1, s1, 0
	s_waitcnt lgkmcnt(0)
	v_mul_u32_u24_e32 v16, s45, v0
	v_mov_b32_e32 v0, 0
	s_mov_b32 s5, 0
	v_mov_b32_e32 v1, 0x120
	s_barrier
	buffer_store_dword v0, off, s[0:3], 0 offset:316
	buffer_store_dword v0, off, s[0:3], 0 offset:312
	;; [unrolled: 1-line block ×9, first 2 shown]
.LBB2118_1:                             ; =>This Inner Loop Header: Depth=1
	v_add_u32_e32 v2, s5, v1
	s_add_i32 s5, s5, 8
	s_cmp_lg_u32 s5, 32
	buffer_store_dword v0, v2, s[0:3], 0 offen offset:4
	buffer_store_dword v0, v2, s[0:3], 0 offen
	s_cbranch_scc1 .LBB2118_1
; %bb.2:
	v_mov_b32_e32 v1, 0x120
	v_mov_b32_e32 v0, 0
	s_mov_b32 s5, 36
	v_add_u32_e32 v11, 36, v1
	buffer_store_byte v0, off, s[0:3], 0 offset:320
	buffer_store_dword v0, off, s[0:3], 0 offset:336
	buffer_store_dword v0, off, s[0:3], 0 offset:332
	;; [unrolled: 1-line block ×9, first 2 shown]
.LBB2118_3:                             ; =>This Inner Loop Header: Depth=1
	v_add_u32_e32 v2, s5, v1
	s_add_i32 s5, s5, 8
	s_cmpk_lg_i32 s5, 0x44
	buffer_store_dword v0, v2, s[0:3], 0 offen offset:4
	buffer_store_dword v0, v2, s[0:3], 0 offen
	s_cbranch_scc1 .LBB2118_3
; %bb.4:
	v_mov_b32_e32 v1, 0x120
	v_mov_b32_e32 v0, 0
	s_movk_i32 s5, 0x48
	v_add_u32_e32 v14, 0x48, v1
	buffer_store_byte v0, off, s[0:3], 0 offset:356
	buffer_store_dword v0, off, s[0:3], 0 offset:372
	buffer_store_dword v0, off, s[0:3], 0 offset:368
	;; [unrolled: 1-line block ×9, first 2 shown]
.LBB2118_5:                             ; =>This Inner Loop Header: Depth=1
	v_add_u32_e32 v2, s5, v1
	s_add_i32 s5, s5, 8
	s_cmpk_lg_i32 s5, 0x68
	buffer_store_dword v0, v2, s[0:3], 0 offen offset:4
	buffer_store_dword v0, v2, s[0:3], 0 offen
	s_cbranch_scc1 .LBB2118_5
; %bb.6:
	s_mov_b32 s5, 0
	v_mov_b32_e32 v0, 0
	v_mov_b32_e32 v1, 0x90
	buffer_store_byte v0, off, s[0:3], 0 offset:392
.LBB2118_7:                             ; =>This Inner Loop Header: Depth=1
	v_add_u32_e32 v2, s5, v1
	s_add_i32 s5, s5, 8
	s_cmp_lg_u32 s5, 32
	buffer_store_dword v0, v2, s[0:3], 0 offen offset:4
	buffer_store_dword v0, v2, s[0:3], 0 offen
	s_cbranch_scc1 .LBB2118_7
; %bb.8:
	s_mov_b32 s5, 32
	v_mov_b32_e32 v0, 0x90
	v_mov_b32_e32 v1, 0
.LBB2118_9:                             ; =>This Inner Loop Header: Depth=1
	v_add_u32_e32 v2, s5, v0
	s_add_i32 s5, s5, 8
	s_cmp_lg_u32 s5, 64
	buffer_store_dword v1, v2, s[0:3], 0 offen offset:4
	buffer_store_dword v1, v2, s[0:3], 0 offen
	s_cbranch_scc1 .LBB2118_9
; %bb.10:
	s_mov_b32 s5, 64
	v_mov_b32_e32 v0, 0x90
	v_mov_b32_e32 v1, 0
.LBB2118_11:                            ; =>This Inner Loop Header: Depth=1
	v_add_u32_e32 v2, s5, v0
	s_add_i32 s5, s5, 8
	s_cmpk_lg_i32 s5, 0x60
	buffer_store_dword v1, v2, s[0:3], 0 offen offset:4
	buffer_store_dword v1, v2, s[0:3], 0 offen
	s_cbranch_scc1 .LBB2118_11
; %bb.12:
	s_cmp_lg_u64 s[40:41], 0
	s_mul_i32 s5, s35, s4
	s_mul_hi_u32 s7, s34, s4
	s_cselect_b64 s[40:41], -1, 0
	s_add_i32 s8, s7, s5
	s_lshl_b64 s[14:15], s[26:27], 5
	s_add_u32 s11, s28, s14
	s_mul_i32 s9, s34, s4
	s_addc_u32 s23, s29, s15
	s_lshl_b64 s[4:5], s[26:27], 2
	s_mul_i32 s6, s10, 0x300
	s_add_u32 s24, s24, s4
	s_mov_b32 s7, 0
	s_addc_u32 s25, s25, s5
	s_lshl_b64 s[4:5], s[6:7], 2
	s_add_u32 s26, s24, s4
	s_addc_u32 s27, s25, s5
	s_lshl_b64 s[24:25], s[6:7], 5
	s_add_u32 s11, s11, s24
	s_addc_u32 s33, s23, s25
	s_add_u32 s28, s9, s10
	s_addc_u32 s29, s8, 0
	s_add_u32 s6, s36, -1
	v_mov_b32_e32 v0, 0x90
	s_addc_u32 s7, s37, -1
	v_add_u32_e32 v2, 64, v0
	v_add_u32_e32 v3, 32, v0
	v_pk_mov_b32 v[0:1], s[6:7], s[6:7] op_sel:[0,1]
	v_cmp_ge_u64_e64 s[4:5], s[28:29], v[0:1]
	s_mov_b64 s[12:13], 0
	s_mov_b64 s[8:9], -1
	s_and_b64 vcc, exec, s[4:5]
	s_mul_i32 s23, s6, 0xfffffd00
                                        ; implicit-def: $sgpr6_sgpr7
	s_cbranch_vccnz .LBB2118_295
; %bb.13:
	s_and_b64 vcc, exec, s[8:9]
	s_cbranch_vccnz .LBB2118_318
.LBB2118_14:
	s_and_saveexec_b64 s[8:9], s[12:13]
	s_cbranch_execz .LBB2118_16
.LBB2118_15:
	buffer_load_dword v0, v2, s[0:3], 0 offen offset:12
	buffer_load_dword v1, v2, s[0:3], 0 offen offset:8
	buffer_load_dword v3, v2, s[0:3], 0 offen offset:4
	buffer_load_dword v4, v2, s[0:3], 0 offen
	buffer_load_dword v5, v2, s[0:3], 0 offen offset:28
	buffer_load_dword v6, v2, s[0:3], 0 offen offset:24
	;; [unrolled: 1-line block ×4, first 2 shown]
                                        ; kill: killed $vgpr2
	v_cndmask_b32_e64 v2, 0, 1, s[6:7]
	s_waitcnt vmcnt(7)
	buffer_store_dword v0, v14, s[0:3], 0 offen offset:12
	s_waitcnt vmcnt(7)
	buffer_store_dword v1, v14, s[0:3], 0 offen offset:8
	;; [unrolled: 2-line block ×3, first 2 shown]
	s_waitcnt vmcnt(7)
	buffer_store_dword v4, v14, s[0:3], 0 offen
	s_waitcnt vmcnt(7)
	buffer_store_dword v5, v14, s[0:3], 0 offen offset:28
	s_waitcnt vmcnt(7)
	buffer_store_dword v6, v14, s[0:3], 0 offen offset:24
	s_waitcnt vmcnt(7)
	buffer_store_dword v7, v14, s[0:3], 0 offen offset:20
	s_waitcnt vmcnt(7)
	buffer_store_dword v9, v14, s[0:3], 0 offen offset:16
	buffer_store_byte v2, off, s[0:3], 0 offset:392
.LBB2118_16:
	s_or_b64 exec, exec, s[8:9]
	s_cmp_lg_u32 s10, 0
	s_mov_b32 s6, 0
	s_barrier
	s_cbranch_scc0 .LBB2118_326
; %bb.17:
	v_mov_b32_e32 v0, 0
	v_mov_b32_e32 v1, 0x90
	buffer_store_dword v0, off, s[0:3], 0 offset:176
.LBB2118_18:                            ; =>This Inner Loop Header: Depth=1
	v_add_u32_e32 v2, s6, v1
	s_add_i32 s6, s6, 8
	s_cmp_lg_u32 s6, 32
	buffer_store_dword v0, v2, s[0:3], 0 offen offset:4
	buffer_store_dword v0, v2, s[0:3], 0 offen
	s_cbranch_scc1 .LBB2118_18
; %bb.19:
	buffer_load_dword v0, off, s[0:3], 0 offset:300
	buffer_load_dword v1, off, s[0:3], 0 offset:296
	;; [unrolled: 1-line block ×8, first 2 shown]
	buffer_load_ubyte v10, off, s[0:3], 0 offset:356
	buffer_load_ubyte v9, off, s[0:3], 0 offset:320
	s_waitcnt vmcnt(9)
	buffer_store_dword v0, off, s[0:3], 0 offset:156
	s_waitcnt vmcnt(9)
	buffer_store_dword v1, off, s[0:3], 0 offset:152
	;; [unrolled: 2-line block ×8, first 2 shown]
	s_waitcnt vmcnt(9)
	v_cmp_ne_u16_e32 vcc, 0, v10
                                        ; implicit-def: $vgpr6_vgpr7
                                        ; implicit-def: $vgpr4_vgpr5
                                        ; implicit-def: $vgpr2_vgpr3
                                        ; implicit-def: $vgpr0_vgpr1
	s_and_saveexec_b64 s[6:7], vcc
	s_xor_b64 s[6:7], exec, s[6:7]
	s_cbranch_execz .LBB2118_21
; %bb.20:
	buffer_load_dword v0, off, s[0:3], 0 offset:324
	buffer_load_dword v1, off, s[0:3], 0 offset:328
	;; [unrolled: 1-line block ×8, first 2 shown]
.LBB2118_21:
	s_andn2_saveexec_b64 s[6:7], s[6:7]
	s_cbranch_execz .LBB2118_27
; %bb.22:
	s_mov_b32 s8, 0
	s_waitcnt vmcnt(7)
	v_mov_b32_e32 v0, 0
	s_waitcnt vmcnt(6)
	v_mov_b32_e32 v1, 0
	s_waitcnt vmcnt(0)
.LBB2118_23:                            ; =>This Inner Loop Header: Depth=1
	v_add_u32_e32 v2, s8, v0
	s_add_i32 s8, s8, 8
	s_cmp_lg_u32 s8, 32
	buffer_store_dword v1, v2, s[0:3], 0 offen offset:4
	buffer_store_dword v1, v2, s[0:3], 0 offen
	s_cbranch_scc1 .LBB2118_23
; %bb.24:
	s_mov_b32 s8, 0
	v_mov_b32_e32 v0, 0x90
	v_mov_b32_e32 v1, 0x120
	;; [unrolled: 1-line block ×3, first 2 shown]
.LBB2118_25:                            ; =>This Inner Loop Header: Depth=1
	v_add_u32_e32 v3, s8, v0
	v_add_u32_e32 v4, s8, v1
	buffer_load_dword v5, v3, s[0:3], 0 offen offset:4
	buffer_load_dword v6, v4, s[0:3], 0 offen offset:36
	buffer_load_dword v7, v3, s[0:3], 0 offen
	buffer_load_dword v12, v4, s[0:3], 0 offen offset:40
	v_add_u32_e32 v3, s8, v2
	s_add_i32 s8, s8, 8
	s_cmp_lg_u32 s8, 32
	s_waitcnt vmcnt(1)
	v_add_u32_e32 v4, v6, v7
	s_waitcnt vmcnt(0)
	v_add_u32_e32 v5, v12, v5
	buffer_store_dword v5, v3, s[0:3], 0 offen offset:4
	buffer_store_dword v4, v3, s[0:3], 0 offen
	s_cbranch_scc1 .LBB2118_25
; %bb.26:
	buffer_load_dword v0, off, s[0:3], 0
	buffer_load_dword v1, off, s[0:3], 0 offset:4
	buffer_load_dword v2, off, s[0:3], 0 offset:8
	;; [unrolled: 1-line block ×7, first 2 shown]
.LBB2118_27:
	s_or_b64 exec, exec, s[6:7]
	buffer_load_ubyte v12, off, s[0:3], 0 offset:392
	s_waitcnt vmcnt(7)
	buffer_store_dword v1, off, s[0:3], 0 offset:148
	buffer_store_dword v0, off, s[0:3], 0 offset:144
	s_waitcnt vmcnt(7)
	buffer_store_dword v3, off, s[0:3], 0 offset:156
	buffer_store_dword v2, off, s[0:3], 0 offset:152
	;; [unrolled: 3-line block ×4, first 2 shown]
                                        ; implicit-def: $vgpr6_vgpr7
                                        ; implicit-def: $vgpr4_vgpr5
                                        ; implicit-def: $vgpr2_vgpr3
                                        ; implicit-def: $vgpr0_vgpr1
	s_waitcnt vmcnt(8)
	v_cmp_ne_u16_e32 vcc, 0, v12
	s_and_saveexec_b64 s[6:7], vcc
	s_xor_b64 s[6:7], exec, s[6:7]
	s_cbranch_execz .LBB2118_29
; %bb.28:
	buffer_load_dword v0, off, s[0:3], 0 offset:360
	buffer_load_dword v1, off, s[0:3], 0 offset:364
	;; [unrolled: 1-line block ×8, first 2 shown]
.LBB2118_29:
	s_andn2_saveexec_b64 s[6:7], s[6:7]
	s_cbranch_execz .LBB2118_35
; %bb.30:
	s_mov_b32 s8, 0
	s_waitcnt vmcnt(7)
	v_mov_b32_e32 v0, 0
	s_waitcnt vmcnt(6)
	v_mov_b32_e32 v1, 0
	s_waitcnt vmcnt(0)
.LBB2118_31:                            ; =>This Inner Loop Header: Depth=1
	v_add_u32_e32 v2, s8, v0
	s_add_i32 s8, s8, 8
	s_cmp_lg_u32 s8, 32
	buffer_store_dword v1, v2, s[0:3], 0 offen offset:4
	buffer_store_dword v1, v2, s[0:3], 0 offen
	s_cbranch_scc1 .LBB2118_31
; %bb.32:
	s_mov_b32 s8, 0
	v_mov_b32_e32 v0, 0x90
	v_mov_b32_e32 v1, 0x120
	;; [unrolled: 1-line block ×3, first 2 shown]
.LBB2118_33:                            ; =>This Inner Loop Header: Depth=1
	v_add_u32_e32 v3, s8, v0
	v_add_u32_e32 v4, s8, v1
	buffer_load_dword v5, v3, s[0:3], 0 offen offset:4
	buffer_load_dword v6, v4, s[0:3], 0 offen offset:72
	buffer_load_dword v7, v3, s[0:3], 0 offen
	buffer_load_dword v13, v4, s[0:3], 0 offen offset:76
	v_add_u32_e32 v3, s8, v2
	s_add_i32 s8, s8, 8
	s_cmp_lg_u32 s8, 32
	s_waitcnt vmcnt(1)
	v_add_u32_e32 v4, v6, v7
	s_waitcnt vmcnt(0)
	v_add_u32_e32 v5, v13, v5
	buffer_store_dword v5, v3, s[0:3], 0 offen offset:4
	buffer_store_dword v4, v3, s[0:3], 0 offen
	s_cbranch_scc1 .LBB2118_33
; %bb.34:
	buffer_load_dword v0, off, s[0:3], 0
	buffer_load_dword v1, off, s[0:3], 0 offset:4
	buffer_load_dword v2, off, s[0:3], 0 offset:8
	;; [unrolled: 1-line block ×7, first 2 shown]
.LBB2118_35:
	s_or_b64 exec, exec, s[6:7]
	buffer_load_ushort v13, off, s[0:3], 0 offset:177
	buffer_load_sbyte v17, off, s[0:3], 0 offset:179
	v_or_b32_e32 v10, v12, v10
	s_waitcnt vmcnt(9)
	v_mov_b32_dpp v18, v0 row_shr:1 row_mask:0xf bank_mask:0xf
	v_or_b32_e32 v10, v10, v9
	v_mbcnt_lo_u32_b32 v12, -1, 0
	s_waitcnt vmcnt(8)
	buffer_store_dword v1, off, s[0:3], 0 offset:244
	buffer_store_dword v0, off, s[0:3], 0 offset:240
	s_waitcnt vmcnt(8)
	buffer_store_dword v3, off, s[0:3], 0 offset:252
	buffer_store_dword v2, off, s[0:3], 0 offset:248
	;; [unrolled: 3-line block ×4, first 2 shown]
	v_mov_b32_dpp v19, v1 row_shr:1 row_mask:0xf bank_mask:0xf
	v_mov_b32_dpp v20, v2 row_shr:1 row_mask:0xf bank_mask:0xf
	;; [unrolled: 1-line block ×7, first 2 shown]
	buffer_store_dword v18, off, s[0:3], 0 offset:144
	buffer_store_dword v19, off, s[0:3], 0 offset:148
	;; [unrolled: 1-line block ×8, first 2 shown]
	v_and_b32_e32 v10, 1, v10
	v_mbcnt_hi_u32_b32 v9, -1, v12
	v_and_b32_e32 v12, 15, v9
	v_cmp_ne_u32_e32 vcc, 0, v12
	s_waitcnt vmcnt(17)
	v_lshrrev_b32_e32 v18, 8, v13
	v_lshlrev_b16_e32 v13, 8, v13
	s_waitcnt vmcnt(16)
	v_lshlrev_b16_e32 v17, 8, v17
	v_or_b32_e32 v10, v10, v13
	v_or_b32_sdwa v13, v18, v17 dst_sel:WORD_1 dst_unused:UNUSED_PAD src0_sel:BYTE_0 src1_sel:DWORD
	v_or_b32_sdwa v13, v10, v13 dst_sel:DWORD dst_unused:UNUSED_PAD src0_sel:WORD_0 src1_sel:DWORD
	buffer_store_dword v13, off, s[0:3], 0 offset:272
	s_nop 0
	v_mov_b32_dpp v17, v13 row_shr:1 row_mask:0xf bank_mask:0xf
	buffer_store_dword v17, off, s[0:3], 0 offset:176
	s_and_saveexec_b64 s[6:7], vcc
	s_cbranch_execz .LBB2118_43
; %bb.36:
	v_mov_b32_e32 v18, 0
	v_cmp_eq_u16_sdwa s[12:13], v10, v18 src0_sel:BYTE_0 src1_sel:DWORD
	s_and_saveexec_b64 s[8:9], s[12:13]
	s_cbranch_execz .LBB2118_42
; %bb.37:
	s_mov_b32 s11, 0
	v_mov_b32_e32 v0, 0
.LBB2118_38:                            ; =>This Inner Loop Header: Depth=1
	v_add_u32_e32 v1, s11, v0
	s_add_i32 s11, s11, 8
	s_cmp_lg_u32 s11, 32
	buffer_store_dword v18, v1, s[0:3], 0 offen offset:4
	buffer_store_dword v18, v1, s[0:3], 0 offen
	s_cbranch_scc1 .LBB2118_38
; %bb.39:
	s_mov_b32 s11, 0
	v_mov_b32_e32 v0, 0x90
	v_mov_b32_e32 v1, 0xf0
	;; [unrolled: 1-line block ×3, first 2 shown]
.LBB2118_40:                            ; =>This Inner Loop Header: Depth=1
	v_add_u32_e32 v3, s11, v0
	v_add_u32_e32 v4, s11, v1
	buffer_load_dword v5, v3, s[0:3], 0 offen offset:4
	buffer_load_dword v6, v4, s[0:3], 0 offen
	buffer_load_dword v7, v3, s[0:3], 0 offen
	buffer_load_dword v10, v4, s[0:3], 0 offen offset:4
	v_add_u32_e32 v3, s11, v2
	s_add_i32 s11, s11, 8
	s_cmp_lg_u32 s11, 32
	s_waitcnt vmcnt(1)
	v_add_u32_e32 v4, v6, v7
	s_waitcnt vmcnt(0)
	v_add_u32_e32 v5, v10, v5
	buffer_store_dword v5, v3, s[0:3], 0 offen offset:4
	buffer_store_dword v4, v3, s[0:3], 0 offen
	s_cbranch_scc1 .LBB2118_40
; %bb.41:
	buffer_load_dword v0, off, s[0:3], 0
	buffer_load_dword v1, off, s[0:3], 0 offset:4
	buffer_load_dword v2, off, s[0:3], 0 offset:8
	;; [unrolled: 1-line block ×7, first 2 shown]
.LBB2118_42:
	s_or_b64 exec, exec, s[8:9]
	v_or_b32_e32 v10, v17, v13
	v_and_b32_e32 v10, 1, v10
	buffer_store_byte v10, off, s[0:3], 0 offset:272
	buffer_load_dword v13, off, s[0:3], 0 offset:272
	s_waitcnt vmcnt(8)
	buffer_store_dword v1, off, s[0:3], 0 offset:244
	buffer_store_dword v0, off, s[0:3], 0 offset:240
	s_waitcnt vmcnt(8)
	buffer_store_dword v3, off, s[0:3], 0 offset:252
	buffer_store_dword v2, off, s[0:3], 0 offset:248
	;; [unrolled: 3-line block ×4, first 2 shown]
	s_waitcnt vmcnt(8)
	v_mov_b32_e32 v10, v13
.LBB2118_43:
	s_or_b64 exec, exec, s[6:7]
	v_mov_b32_dpp v18, v0 row_shr:2 row_mask:0xf bank_mask:0xf
	v_mov_b32_dpp v17, v13 row_shr:2 row_mask:0xf bank_mask:0xf
	v_cmp_lt_u32_e32 vcc, 1, v12
	v_mov_b32_dpp v19, v1 row_shr:2 row_mask:0xf bank_mask:0xf
	v_mov_b32_dpp v20, v2 row_shr:2 row_mask:0xf bank_mask:0xf
	;; [unrolled: 1-line block ×7, first 2 shown]
	buffer_store_dword v18, off, s[0:3], 0 offset:144
	buffer_store_dword v19, off, s[0:3], 0 offset:148
	;; [unrolled: 1-line block ×9, first 2 shown]
	s_and_saveexec_b64 s[8:9], vcc
	s_cbranch_execz .LBB2118_51
; %bb.44:
	v_mov_b32_e32 v13, 0
	s_mov_b32 s11, 0
	v_cmp_eq_u16_sdwa s[12:13], v10, v13 src0_sel:BYTE_0 src1_sel:DWORD
	s_and_saveexec_b64 s[6:7], s[12:13]
	s_cbranch_execz .LBB2118_50
; %bb.45:
	v_mov_b32_e32 v0, 0
.LBB2118_46:                            ; =>This Inner Loop Header: Depth=1
	v_add_u32_e32 v1, s11, v0
	s_add_i32 s11, s11, 8
	s_cmp_lg_u32 s11, 32
	buffer_store_dword v13, v1, s[0:3], 0 offen offset:4
	buffer_store_dword v13, v1, s[0:3], 0 offen
	s_cbranch_scc1 .LBB2118_46
; %bb.47:
	s_mov_b32 s11, 0
	v_mov_b32_e32 v0, 0x90
	v_mov_b32_e32 v1, 0xf0
	;; [unrolled: 1-line block ×3, first 2 shown]
.LBB2118_48:                            ; =>This Inner Loop Header: Depth=1
	v_add_u32_e32 v3, s11, v0
	v_add_u32_e32 v4, s11, v1
	buffer_load_dword v5, v3, s[0:3], 0 offen offset:4
	buffer_load_dword v6, v4, s[0:3], 0 offen
	buffer_load_dword v7, v3, s[0:3], 0 offen
	buffer_load_dword v13, v4, s[0:3], 0 offen offset:4
	v_add_u32_e32 v3, s11, v2
	s_add_i32 s11, s11, 8
	s_cmp_lg_u32 s11, 32
	s_waitcnt vmcnt(1)
	v_add_u32_e32 v4, v6, v7
	s_waitcnt vmcnt(0)
	v_add_u32_e32 v5, v13, v5
	buffer_store_dword v5, v3, s[0:3], 0 offen offset:4
	buffer_store_dword v4, v3, s[0:3], 0 offen
	s_cbranch_scc1 .LBB2118_48
; %bb.49:
	buffer_load_dword v0, off, s[0:3], 0
	buffer_load_dword v1, off, s[0:3], 0 offset:4
	buffer_load_dword v2, off, s[0:3], 0 offset:8
	;; [unrolled: 1-line block ×7, first 2 shown]
.LBB2118_50:
	s_or_b64 exec, exec, s[6:7]
	v_and_b32_e32 v10, 1, v10
	v_cmp_eq_u32_e32 vcc, 1, v10
	v_and_b32_e32 v10, 1, v17
	v_cmp_eq_u32_e64 s[6:7], 1, v10
	s_or_b64 s[6:7], vcc, s[6:7]
	v_cndmask_b32_e64 v10, 0, 1, s[6:7]
	buffer_store_byte v10, off, s[0:3], 0 offset:272
	buffer_load_dword v13, off, s[0:3], 0 offset:272
	s_waitcnt vmcnt(8)
	buffer_store_dword v1, off, s[0:3], 0 offset:244
	buffer_store_dword v0, off, s[0:3], 0 offset:240
	s_waitcnt vmcnt(8)
	buffer_store_dword v3, off, s[0:3], 0 offset:252
	buffer_store_dword v2, off, s[0:3], 0 offset:248
	;; [unrolled: 3-line block ×4, first 2 shown]
	s_waitcnt vmcnt(8)
	v_mov_b32_e32 v10, v13
.LBB2118_51:
	s_or_b64 exec, exec, s[8:9]
	v_mov_b32_dpp v18, v0 row_shr:4 row_mask:0xf bank_mask:0xf
	v_mov_b32_dpp v17, v13 row_shr:4 row_mask:0xf bank_mask:0xf
	v_cmp_lt_u32_e32 vcc, 3, v12
	v_mov_b32_dpp v19, v1 row_shr:4 row_mask:0xf bank_mask:0xf
	v_mov_b32_dpp v20, v2 row_shr:4 row_mask:0xf bank_mask:0xf
	v_mov_b32_dpp v21, v3 row_shr:4 row_mask:0xf bank_mask:0xf
	v_mov_b32_dpp v22, v4 row_shr:4 row_mask:0xf bank_mask:0xf
	v_mov_b32_dpp v23, v5 row_shr:4 row_mask:0xf bank_mask:0xf
	v_mov_b32_dpp v24, v6 row_shr:4 row_mask:0xf bank_mask:0xf
	v_mov_b32_dpp v25, v7 row_shr:4 row_mask:0xf bank_mask:0xf
	buffer_store_dword v18, off, s[0:3], 0 offset:144
	buffer_store_dword v19, off, s[0:3], 0 offset:148
	;; [unrolled: 1-line block ×9, first 2 shown]
	s_and_saveexec_b64 s[8:9], vcc
	s_cbranch_execz .LBB2118_59
; %bb.52:
	v_mov_b32_e32 v13, 0
	s_mov_b32 s11, 0
	v_cmp_eq_u16_sdwa s[12:13], v10, v13 src0_sel:BYTE_0 src1_sel:DWORD
	s_and_saveexec_b64 s[6:7], s[12:13]
	s_cbranch_execz .LBB2118_58
; %bb.53:
	v_mov_b32_e32 v0, 0
.LBB2118_54:                            ; =>This Inner Loop Header: Depth=1
	v_add_u32_e32 v1, s11, v0
	s_add_i32 s11, s11, 8
	s_cmp_lg_u32 s11, 32
	buffer_store_dword v13, v1, s[0:3], 0 offen offset:4
	buffer_store_dword v13, v1, s[0:3], 0 offen
	s_cbranch_scc1 .LBB2118_54
; %bb.55:
	s_mov_b32 s11, 0
	v_mov_b32_e32 v0, 0x90
	v_mov_b32_e32 v1, 0xf0
	;; [unrolled: 1-line block ×3, first 2 shown]
.LBB2118_56:                            ; =>This Inner Loop Header: Depth=1
	v_add_u32_e32 v3, s11, v0
	v_add_u32_e32 v4, s11, v1
	buffer_load_dword v5, v3, s[0:3], 0 offen offset:4
	buffer_load_dword v6, v4, s[0:3], 0 offen
	buffer_load_dword v7, v3, s[0:3], 0 offen
	buffer_load_dword v13, v4, s[0:3], 0 offen offset:4
	v_add_u32_e32 v3, s11, v2
	s_add_i32 s11, s11, 8
	s_cmp_lg_u32 s11, 32
	s_waitcnt vmcnt(1)
	v_add_u32_e32 v4, v6, v7
	s_waitcnt vmcnt(0)
	v_add_u32_e32 v5, v13, v5
	buffer_store_dword v5, v3, s[0:3], 0 offen offset:4
	buffer_store_dword v4, v3, s[0:3], 0 offen
	s_cbranch_scc1 .LBB2118_56
; %bb.57:
	buffer_load_dword v0, off, s[0:3], 0
	buffer_load_dword v1, off, s[0:3], 0 offset:4
	buffer_load_dword v2, off, s[0:3], 0 offset:8
	;; [unrolled: 1-line block ×7, first 2 shown]
.LBB2118_58:
	s_or_b64 exec, exec, s[6:7]
	v_and_b32_e32 v10, 1, v10
	v_cmp_eq_u32_e32 vcc, 1, v10
	v_and_b32_e32 v10, 1, v17
	v_cmp_eq_u32_e64 s[6:7], 1, v10
	s_or_b64 s[6:7], vcc, s[6:7]
	v_cndmask_b32_e64 v10, 0, 1, s[6:7]
	buffer_store_byte v10, off, s[0:3], 0 offset:272
	buffer_load_dword v13, off, s[0:3], 0 offset:272
	s_waitcnt vmcnt(8)
	buffer_store_dword v1, off, s[0:3], 0 offset:244
	buffer_store_dword v0, off, s[0:3], 0 offset:240
	s_waitcnt vmcnt(8)
	buffer_store_dword v3, off, s[0:3], 0 offset:252
	buffer_store_dword v2, off, s[0:3], 0 offset:248
	;; [unrolled: 3-line block ×4, first 2 shown]
	s_waitcnt vmcnt(8)
	v_mov_b32_e32 v10, v13
.LBB2118_59:
	s_or_b64 exec, exec, s[8:9]
	v_mov_b32_dpp v18, v0 row_shr:8 row_mask:0xf bank_mask:0xf
	v_mov_b32_dpp v17, v13 row_shr:8 row_mask:0xf bank_mask:0xf
	v_cmp_lt_u32_e32 vcc, 7, v12
	v_mov_b32_dpp v19, v1 row_shr:8 row_mask:0xf bank_mask:0xf
	v_mov_b32_dpp v20, v2 row_shr:8 row_mask:0xf bank_mask:0xf
	;; [unrolled: 1-line block ×7, first 2 shown]
	buffer_store_dword v18, off, s[0:3], 0 offset:144
	buffer_store_dword v19, off, s[0:3], 0 offset:148
	;; [unrolled: 1-line block ×9, first 2 shown]
	s_and_saveexec_b64 s[8:9], vcc
	s_cbranch_execz .LBB2118_67
; %bb.60:
	v_mov_b32_e32 v12, 0
	s_mov_b32 s11, 0
	v_cmp_eq_u16_sdwa s[12:13], v10, v12 src0_sel:BYTE_0 src1_sel:DWORD
	s_and_saveexec_b64 s[6:7], s[12:13]
	s_cbranch_execz .LBB2118_66
; %bb.61:
	v_mov_b32_e32 v0, 0
.LBB2118_62:                            ; =>This Inner Loop Header: Depth=1
	v_add_u32_e32 v1, s11, v0
	s_add_i32 s11, s11, 8
	s_cmp_lg_u32 s11, 32
	buffer_store_dword v12, v1, s[0:3], 0 offen offset:4
	buffer_store_dword v12, v1, s[0:3], 0 offen
	s_cbranch_scc1 .LBB2118_62
; %bb.63:
	s_mov_b32 s11, 0
	v_mov_b32_e32 v0, 0x90
	v_mov_b32_e32 v1, 0xf0
	;; [unrolled: 1-line block ×3, first 2 shown]
.LBB2118_64:                            ; =>This Inner Loop Header: Depth=1
	v_add_u32_e32 v3, s11, v0
	v_add_u32_e32 v4, s11, v1
	buffer_load_dword v5, v3, s[0:3], 0 offen offset:4
	buffer_load_dword v6, v4, s[0:3], 0 offen
	buffer_load_dword v7, v3, s[0:3], 0 offen
	buffer_load_dword v12, v4, s[0:3], 0 offen offset:4
	v_add_u32_e32 v3, s11, v2
	s_add_i32 s11, s11, 8
	s_cmp_lg_u32 s11, 32
	s_waitcnt vmcnt(1)
	v_add_u32_e32 v4, v6, v7
	s_waitcnt vmcnt(0)
	v_add_u32_e32 v5, v12, v5
	buffer_store_dword v5, v3, s[0:3], 0 offen offset:4
	buffer_store_dword v4, v3, s[0:3], 0 offen
	s_cbranch_scc1 .LBB2118_64
; %bb.65:
	buffer_load_dword v0, off, s[0:3], 0
	buffer_load_dword v1, off, s[0:3], 0 offset:4
	buffer_load_dword v2, off, s[0:3], 0 offset:8
	;; [unrolled: 1-line block ×7, first 2 shown]
.LBB2118_66:
	s_or_b64 exec, exec, s[6:7]
	v_and_b32_e32 v10, 1, v10
	v_cmp_eq_u32_e32 vcc, 1, v10
	v_and_b32_e32 v10, 1, v17
	v_cmp_eq_u32_e64 s[6:7], 1, v10
	s_or_b64 s[6:7], vcc, s[6:7]
	v_cndmask_b32_e64 v10, 0, 1, s[6:7]
	buffer_store_byte v10, off, s[0:3], 0 offset:272
	buffer_load_dword v13, off, s[0:3], 0 offset:272
	s_waitcnt vmcnt(8)
	buffer_store_dword v1, off, s[0:3], 0 offset:244
	buffer_store_dword v0, off, s[0:3], 0 offset:240
	s_waitcnt vmcnt(8)
	buffer_store_dword v3, off, s[0:3], 0 offset:252
	buffer_store_dword v2, off, s[0:3], 0 offset:248
	;; [unrolled: 3-line block ×4, first 2 shown]
	s_waitcnt vmcnt(8)
	v_mov_b32_e32 v10, v13
.LBB2118_67:
	s_or_b64 exec, exec, s[8:9]
	v_mov_b32_dpp v17, v0 row_bcast:15 row_mask:0xf bank_mask:0xf
	v_mov_b32_dpp v18, v1 row_bcast:15 row_mask:0xf bank_mask:0xf
	;; [unrolled: 1-line block ×9, first 2 shown]
	buffer_store_dword v17, off, s[0:3], 0 offset:144
	buffer_store_dword v18, off, s[0:3], 0 offset:148
	;; [unrolled: 1-line block ×9, first 2 shown]
	v_and_b32_e32 v17, 16, v9
	v_cmp_ne_u32_e32 vcc, 0, v17
	s_and_saveexec_b64 s[8:9], vcc
	s_cbranch_execz .LBB2118_75
; %bb.68:
	v_mov_b32_e32 v13, 0
	s_mov_b32 s11, 0
	v_cmp_eq_u16_sdwa s[12:13], v10, v13 src0_sel:BYTE_0 src1_sel:DWORD
	s_and_saveexec_b64 s[6:7], s[12:13]
	s_cbranch_execz .LBB2118_74
; %bb.69:
	v_mov_b32_e32 v0, 0
.LBB2118_70:                            ; =>This Inner Loop Header: Depth=1
	v_add_u32_e32 v1, s11, v0
	s_add_i32 s11, s11, 8
	s_cmp_lg_u32 s11, 32
	buffer_store_dword v13, v1, s[0:3], 0 offen offset:4
	buffer_store_dword v13, v1, s[0:3], 0 offen
	s_cbranch_scc1 .LBB2118_70
; %bb.71:
	s_mov_b32 s11, 0
	v_mov_b32_e32 v0, 0x90
	v_mov_b32_e32 v1, 0xf0
	;; [unrolled: 1-line block ×3, first 2 shown]
.LBB2118_72:                            ; =>This Inner Loop Header: Depth=1
	v_add_u32_e32 v3, s11, v0
	v_add_u32_e32 v4, s11, v1
	buffer_load_dword v5, v3, s[0:3], 0 offen offset:4
	buffer_load_dword v6, v4, s[0:3], 0 offen
	buffer_load_dword v7, v3, s[0:3], 0 offen
	buffer_load_dword v13, v4, s[0:3], 0 offen offset:4
	v_add_u32_e32 v3, s11, v2
	s_add_i32 s11, s11, 8
	s_cmp_lg_u32 s11, 32
	s_waitcnt vmcnt(1)
	v_add_u32_e32 v4, v6, v7
	s_waitcnt vmcnt(0)
	v_add_u32_e32 v5, v13, v5
	buffer_store_dword v5, v3, s[0:3], 0 offen offset:4
	buffer_store_dword v4, v3, s[0:3], 0 offen
	s_cbranch_scc1 .LBB2118_72
; %bb.73:
	buffer_load_dword v0, off, s[0:3], 0
	buffer_load_dword v1, off, s[0:3], 0 offset:4
	buffer_load_dword v2, off, s[0:3], 0 offset:8
	;; [unrolled: 1-line block ×7, first 2 shown]
.LBB2118_74:
	s_or_b64 exec, exec, s[6:7]
	v_and_b32_e32 v10, 1, v10
	v_cmp_eq_u32_e32 vcc, 1, v10
	v_and_b32_e32 v10, 1, v12
	v_cmp_eq_u32_e64 s[6:7], 1, v10
	s_or_b64 s[6:7], vcc, s[6:7]
	v_cndmask_b32_e64 v10, 0, 1, s[6:7]
	buffer_store_byte v10, off, s[0:3], 0 offset:272
	buffer_load_dword v13, off, s[0:3], 0 offset:272
	s_waitcnt vmcnt(8)
	buffer_store_dword v1, off, s[0:3], 0 offset:244
	buffer_store_dword v0, off, s[0:3], 0 offset:240
	s_waitcnt vmcnt(8)
	buffer_store_dword v3, off, s[0:3], 0 offset:252
	buffer_store_dword v2, off, s[0:3], 0 offset:248
	;; [unrolled: 3-line block ×4, first 2 shown]
	s_waitcnt vmcnt(8)
	v_mov_b32_e32 v10, v13
.LBB2118_75:
	s_or_b64 exec, exec, s[8:9]
	v_mov_b32_dpp v17, v0 row_bcast:31 row_mask:0xf bank_mask:0xf
	v_mov_b32_dpp v12, v13 row_bcast:31 row_mask:0xf bank_mask:0xf
	v_cmp_lt_u32_e32 vcc, 31, v9
	v_mov_b32_dpp v18, v1 row_bcast:31 row_mask:0xf bank_mask:0xf
	v_mov_b32_dpp v19, v2 row_bcast:31 row_mask:0xf bank_mask:0xf
	v_mov_b32_dpp v20, v3 row_bcast:31 row_mask:0xf bank_mask:0xf
	v_mov_b32_dpp v21, v4 row_bcast:31 row_mask:0xf bank_mask:0xf
	v_mov_b32_dpp v22, v5 row_bcast:31 row_mask:0xf bank_mask:0xf
	v_mov_b32_dpp v23, v6 row_bcast:31 row_mask:0xf bank_mask:0xf
	v_mov_b32_dpp v24, v7 row_bcast:31 row_mask:0xf bank_mask:0xf
	buffer_store_dword v17, off, s[0:3], 0 offset:144
	buffer_store_dword v18, off, s[0:3], 0 offset:148
	;; [unrolled: 1-line block ×9, first 2 shown]
	s_and_saveexec_b64 s[8:9], vcc
	s_cbranch_execz .LBB2118_83
; %bb.76:
	v_mov_b32_e32 v13, 0
	s_mov_b32 s11, 0
	v_cmp_eq_u16_sdwa s[12:13], v10, v13 src0_sel:BYTE_0 src1_sel:DWORD
	s_and_saveexec_b64 s[6:7], s[12:13]
	s_cbranch_execz .LBB2118_82
; %bb.77:
	v_mov_b32_e32 v0, 0
.LBB2118_78:                            ; =>This Inner Loop Header: Depth=1
	v_add_u32_e32 v1, s11, v0
	s_add_i32 s11, s11, 8
	s_cmp_lg_u32 s11, 32
	buffer_store_dword v13, v1, s[0:3], 0 offen offset:4
	buffer_store_dword v13, v1, s[0:3], 0 offen
	s_cbranch_scc1 .LBB2118_78
; %bb.79:
	s_mov_b32 s11, 0
	v_mov_b32_e32 v0, 0x90
	v_mov_b32_e32 v1, 0xf0
	v_mov_b32_e32 v2, 0
.LBB2118_80:                            ; =>This Inner Loop Header: Depth=1
	v_add_u32_e32 v3, s11, v0
	v_add_u32_e32 v4, s11, v1
	buffer_load_dword v5, v3, s[0:3], 0 offen offset:4
	buffer_load_dword v6, v4, s[0:3], 0 offen
	buffer_load_dword v7, v3, s[0:3], 0 offen
	buffer_load_dword v13, v4, s[0:3], 0 offen offset:4
	v_add_u32_e32 v3, s11, v2
	s_add_i32 s11, s11, 8
	s_cmp_lg_u32 s11, 32
	s_waitcnt vmcnt(1)
	v_add_u32_e32 v4, v6, v7
	s_waitcnt vmcnt(0)
	v_add_u32_e32 v5, v13, v5
	buffer_store_dword v5, v3, s[0:3], 0 offen offset:4
	buffer_store_dword v4, v3, s[0:3], 0 offen
	s_cbranch_scc1 .LBB2118_80
; %bb.81:
	buffer_load_dword v0, off, s[0:3], 0
	buffer_load_dword v1, off, s[0:3], 0 offset:4
	buffer_load_dword v2, off, s[0:3], 0 offset:8
	;; [unrolled: 1-line block ×7, first 2 shown]
.LBB2118_82:
	s_or_b64 exec, exec, s[6:7]
	v_and_b32_e32 v10, 1, v10
	v_cmp_eq_u32_e32 vcc, 1, v10
	v_and_b32_e32 v10, 1, v12
	v_cmp_eq_u32_e64 s[6:7], 1, v10
	s_or_b64 s[6:7], vcc, s[6:7]
	v_cndmask_b32_e64 v10, 0, 1, s[6:7]
	s_waitcnt vmcnt(6)
	buffer_store_dword v1, off, s[0:3], 0 offset:244
	buffer_store_dword v0, off, s[0:3], 0 offset:240
	s_waitcnt vmcnt(6)
	buffer_store_dword v3, off, s[0:3], 0 offset:252
	buffer_store_dword v2, off, s[0:3], 0 offset:248
	;; [unrolled: 3-line block ×4, first 2 shown]
	buffer_store_byte v10, off, s[0:3], 0 offset:272
.LBB2118_83:
	s_or_b64 exec, exec, s[8:9]
	v_or_b32_e32 v13, 63, v8
	v_lshrrev_b32_e32 v12, 6, v8
	v_cmp_eq_u32_e32 vcc, v13, v8
	s_and_saveexec_b64 s[6:7], vcc
	s_cbranch_execz .LBB2118_85
; %bb.84:
	v_mul_u32_u24_e32 v13, 36, v12
	ds_write2_b32 v13, v0, v1 offset1:1
	ds_write2_b32 v13, v2, v3 offset0:2 offset1:3
	ds_write2_b32 v13, v4, v5 offset0:4 offset1:5
	;; [unrolled: 1-line block ×3, first 2 shown]
	ds_write_b8 v13, v10 offset:32
.LBB2118_85:
	s_or_b64 exec, exec, s[6:7]
	v_cmp_gt_u32_e32 vcc, 4, v8
	s_waitcnt lgkmcnt(0)
	s_barrier
	s_and_saveexec_b64 s[8:9], vcc
	s_cbranch_execz .LBB2118_103
; %bb.86:
	v_mul_u32_u24_e32 v10, 36, v8
	ds_read_b32 v13, v10 offset:32
	ds_read2_b32 v[0:1], v10 offset0:6 offset1:7
	ds_read2_b32 v[2:3], v10 offset0:4 offset1:5
	;; [unrolled: 1-line block ×3, first 2 shown]
	ds_read2_b32 v[6:7], v10 offset1:1
	v_and_b32_e32 v17, 3, v9
	s_waitcnt lgkmcnt(4)
	v_mov_b32_dpp v18, v13 row_shr:1 row_mask:0xf bank_mask:0xf
	v_cmp_ne_u32_e32 vcc, 0, v17
	buffer_store_dword v13, off, s[0:3], 0 offset:32
	s_waitcnt lgkmcnt(0)
	v_mov_b32_dpp v19, v6 row_shr:1 row_mask:0xf bank_mask:0xf
	buffer_store_dword v1, off, s[0:3], 0 offset:28
	buffer_store_dword v0, off, s[0:3], 0 offset:24
	;; [unrolled: 1-line block ×7, first 2 shown]
	buffer_store_dword v6, off, s[0:3], 0
	v_mov_b32_dpp v20, v7 row_shr:1 row_mask:0xf bank_mask:0xf
	v_mov_b32_dpp v21, v4 row_shr:1 row_mask:0xf bank_mask:0xf
	;; [unrolled: 1-line block ×7, first 2 shown]
	buffer_store_dword v19, off, s[0:3], 0 offset:144
	buffer_store_dword v20, off, s[0:3], 0 offset:148
	;; [unrolled: 1-line block ×9, first 2 shown]
	s_and_saveexec_b64 s[6:7], vcc
	s_cbranch_execz .LBB2118_94
; %bb.87:
	v_mov_b32_e32 v19, 0
	v_cmp_eq_u16_sdwa s[26:27], v13, v19 src0_sel:BYTE_0 src1_sel:DWORD
	s_and_saveexec_b64 s[12:13], s[26:27]
	s_cbranch_execz .LBB2118_93
; %bb.88:
	s_mov_b32 s11, 0
	v_mov_b32_e32 v0, 36
.LBB2118_89:                            ; =>This Inner Loop Header: Depth=1
	v_add_u32_e32 v1, s11, v0
	s_add_i32 s11, s11, 8
	s_cmp_lg_u32 s11, 32
	buffer_store_dword v19, v1, s[0:3], 0 offen offset:4
	buffer_store_dword v19, v1, s[0:3], 0 offen
	s_cbranch_scc1 .LBB2118_89
; %bb.90:
	s_mov_b32 s11, 0
	v_mov_b32_e32 v0, 0x90
	v_mov_b32_e32 v1, 0
	;; [unrolled: 1-line block ×3, first 2 shown]
.LBB2118_91:                            ; =>This Inner Loop Header: Depth=1
	v_add_u32_e32 v3, s11, v0
	v_add_u32_e32 v4, s11, v1
	buffer_load_dword v5, v3, s[0:3], 0 offen offset:4
	buffer_load_dword v6, v4, s[0:3], 0 offen
	buffer_load_dword v7, v3, s[0:3], 0 offen
	buffer_load_dword v19, v4, s[0:3], 0 offen offset:4
	v_add_u32_e32 v3, s11, v2
	s_add_i32 s11, s11, 8
	s_cmp_lg_u32 s11, 32
	s_waitcnt vmcnt(1)
	v_add_u32_e32 v4, v6, v7
	s_waitcnt vmcnt(0)
	v_add_u32_e32 v5, v19, v5
	buffer_store_dword v5, v3, s[0:3], 0 offen offset:4
	buffer_store_dword v4, v3, s[0:3], 0 offen
	s_cbranch_scc1 .LBB2118_91
; %bb.92:
	buffer_load_dword v6, off, s[0:3], 0 offset:36
	buffer_load_dword v7, off, s[0:3], 0 offset:40
	;; [unrolled: 1-line block ×8, first 2 shown]
.LBB2118_93:
	s_or_b64 exec, exec, s[12:13]
	v_or_b32_e32 v13, v18, v13
	v_and_b32_e32 v13, 1, v13
	buffer_store_byte v13, off, s[0:3], 0 offset:32
	buffer_load_dword v13, off, s[0:3], 0 offset:32
	s_waitcnt vmcnt(8)
	buffer_store_dword v7, off, s[0:3], 0 offset:4
	buffer_store_dword v6, off, s[0:3], 0
	s_waitcnt vmcnt(8)
	buffer_store_dword v5, off, s[0:3], 0 offset:12
	buffer_store_dword v4, off, s[0:3], 0 offset:8
	s_waitcnt vmcnt(8)
	buffer_store_dword v3, off, s[0:3], 0 offset:20
	buffer_store_dword v2, off, s[0:3], 0 offset:16
	;; [unrolled: 3-line block ×3, first 2 shown]
.LBB2118_94:
	s_or_b64 exec, exec, s[6:7]
	v_mov_b32_dpp v19, v6 row_shr:2 row_mask:0xf bank_mask:0xf
	s_waitcnt vmcnt(8)
	v_mov_b32_dpp v18, v13 row_shr:2 row_mask:0xf bank_mask:0xf
	v_cmp_lt_u32_e32 vcc, 1, v17
	v_mov_b32_dpp v20, v7 row_shr:2 row_mask:0xf bank_mask:0xf
	v_mov_b32_dpp v21, v4 row_shr:2 row_mask:0xf bank_mask:0xf
	;; [unrolled: 1-line block ×7, first 2 shown]
	buffer_store_dword v19, off, s[0:3], 0 offset:144
	buffer_store_dword v20, off, s[0:3], 0 offset:148
	;; [unrolled: 1-line block ×9, first 2 shown]
	s_and_saveexec_b64 s[12:13], vcc
	s_cbranch_execz .LBB2118_102
; %bb.95:
	v_mov_b32_e32 v17, 0
	s_mov_b32 s11, 0
	v_cmp_eq_u16_sdwa s[26:27], v13, v17 src0_sel:BYTE_0 src1_sel:DWORD
	s_and_saveexec_b64 s[6:7], s[26:27]
	s_cbranch_execz .LBB2118_101
; %bb.96:
	v_mov_b32_e32 v0, 36
.LBB2118_97:                            ; =>This Inner Loop Header: Depth=1
	v_add_u32_e32 v1, s11, v0
	s_add_i32 s11, s11, 8
	s_cmp_lg_u32 s11, 32
	buffer_store_dword v17, v1, s[0:3], 0 offen offset:4
	buffer_store_dword v17, v1, s[0:3], 0 offen
	s_cbranch_scc1 .LBB2118_97
; %bb.98:
	s_mov_b32 s11, 0
	v_mov_b32_e32 v0, 0x90
	v_mov_b32_e32 v1, 0
	;; [unrolled: 1-line block ×3, first 2 shown]
.LBB2118_99:                            ; =>This Inner Loop Header: Depth=1
	v_add_u32_e32 v3, s11, v0
	v_add_u32_e32 v4, s11, v1
	buffer_load_dword v5, v3, s[0:3], 0 offen offset:4
	buffer_load_dword v6, v4, s[0:3], 0 offen
	buffer_load_dword v7, v3, s[0:3], 0 offen
	buffer_load_dword v17, v4, s[0:3], 0 offen offset:4
	v_add_u32_e32 v3, s11, v2
	s_add_i32 s11, s11, 8
	s_cmp_lg_u32 s11, 32
	s_waitcnt vmcnt(1)
	v_add_u32_e32 v4, v6, v7
	s_waitcnt vmcnt(0)
	v_add_u32_e32 v5, v17, v5
	buffer_store_dword v5, v3, s[0:3], 0 offen offset:4
	buffer_store_dword v4, v3, s[0:3], 0 offen
	s_cbranch_scc1 .LBB2118_99
; %bb.100:
	buffer_load_dword v6, off, s[0:3], 0 offset:36
	buffer_load_dword v7, off, s[0:3], 0 offset:40
	;; [unrolled: 1-line block ×8, first 2 shown]
.LBB2118_101:
	s_or_b64 exec, exec, s[6:7]
	v_and_b32_e32 v13, 1, v13
	v_cmp_eq_u32_e32 vcc, 1, v13
	v_and_b32_e32 v13, 1, v18
	v_cmp_eq_u32_e64 s[6:7], 1, v13
	s_or_b64 s[6:7], vcc, s[6:7]
	v_cndmask_b32_e64 v13, 0, 1, s[6:7]
	s_waitcnt vmcnt(6)
	buffer_store_dword v7, off, s[0:3], 0 offset:4
	buffer_store_dword v6, off, s[0:3], 0
	s_waitcnt vmcnt(6)
	buffer_store_dword v5, off, s[0:3], 0 offset:12
	buffer_store_dword v4, off, s[0:3], 0 offset:8
	s_waitcnt vmcnt(6)
	buffer_store_dword v3, off, s[0:3], 0 offset:20
	buffer_store_dword v2, off, s[0:3], 0 offset:16
	s_waitcnt vmcnt(6)
	buffer_store_dword v1, off, s[0:3], 0 offset:28
	buffer_store_dword v0, off, s[0:3], 0 offset:24
.LBB2118_102:
	s_or_b64 exec, exec, s[12:13]
	buffer_load_dword v0, off, s[0:3], 0
	buffer_load_dword v1, off, s[0:3], 0 offset:4
	buffer_load_dword v2, off, s[0:3], 0 offset:8
	buffer_load_dword v3, off, s[0:3], 0 offset:12
	buffer_load_dword v4, off, s[0:3], 0 offset:24
	buffer_load_dword v5, off, s[0:3], 0 offset:28
	buffer_load_dword v6, off, s[0:3], 0 offset:16
	buffer_load_dword v7, off, s[0:3], 0 offset:20
	s_waitcnt vmcnt(4)
	ds_write2_b32 v10, v2, v3 offset0:2 offset1:3
	ds_write2_b32 v10, v0, v1 offset1:1
	s_waitcnt vmcnt(2)
	ds_write2_b32 v10, v4, v5 offset0:6 offset1:7
	s_waitcnt vmcnt(0)
	ds_write2_b32 v10, v6, v7 offset0:4 offset1:5
	ds_write_b8 v10, v13 offset:32
.LBB2118_103:
	s_or_b64 exec, exec, s[8:9]
	v_mov_b32_e32 v0, 0
	s_mov_b32 s6, 0
	v_mov_b32_e32 v1, 0x90
	s_waitcnt lgkmcnt(0)
	s_barrier
	buffer_store_dword v0, off, s[0:3], 0 offset:172
	buffer_store_dword v0, off, s[0:3], 0 offset:168
	;; [unrolled: 1-line block ×9, first 2 shown]
.LBB2118_104:                           ; =>This Inner Loop Header: Depth=1
	v_add_u32_e32 v2, s6, v1
	s_add_i32 s6, s6, 8
	s_cmp_lg_u32 s6, 32
	buffer_store_dword v0, v2, s[0:3], 0 offen offset:4
	buffer_store_dword v0, v2, s[0:3], 0 offen
	s_cbranch_scc1 .LBB2118_104
; %bb.105:
	v_cmp_gt_u32_e32 vcc, 64, v8
	v_cmp_lt_u32_e64 s[6:7], 63, v8
                                        ; implicit-def: $vgpr0_vgpr1
                                        ; implicit-def: $vgpr2_vgpr3
                                        ; implicit-def: $vgpr4_vgpr5
                                        ; implicit-def: $vgpr6_vgpr7
                                        ; implicit-def: $vgpr10
	s_and_saveexec_b64 s[8:9], s[6:7]
	s_xor_b64 s[8:9], exec, s[8:9]
	s_cbranch_execz .LBB2118_115
; %bb.106:
	buffer_load_ubyte v13, off, s[0:3], 0 offset:272
	v_not_b32_e32 v0, 35
	v_mad_u32_u24 v10, v12, 36, v0
	ds_read2_b32 v[0:1], v10 offset0:2 offset1:3
	ds_read2_b32 v[2:3], v10 offset0:4 offset1:5
	ds_read2_b32 v[4:5], v10 offset1:1
	ds_read2_b32 v[6:7], v10 offset0:6 offset1:7
	s_waitcnt lgkmcnt(3)
	buffer_store_dword v1, off, s[0:3], 0 offset:156
	buffer_store_dword v0, off, s[0:3], 0 offset:152
	s_waitcnt lgkmcnt(1)
	buffer_store_dword v5, off, s[0:3], 0 offset:148
	buffer_store_dword v4, off, s[0:3], 0 offset:144
	s_waitcnt lgkmcnt(0)
	buffer_store_dword v7, off, s[0:3], 0 offset:172
	ds_read_u8 v10, v10 offset:32
	buffer_store_dword v6, off, s[0:3], 0 offset:168
	buffer_store_dword v3, off, s[0:3], 0 offset:164
	;; [unrolled: 1-line block ×3, first 2 shown]
                                        ; implicit-def: $vgpr0_vgpr1
                                        ; implicit-def: $vgpr2_vgpr3
                                        ; implicit-def: $vgpr4_vgpr5
                                        ; implicit-def: $vgpr6_vgpr7
	s_waitcnt vmcnt(8)
	v_cmp_ne_u16_e64 s[6:7], 0, v13
	s_and_saveexec_b64 s[12:13], s[6:7]
	s_xor_b64 s[6:7], exec, s[12:13]
	s_cbranch_execz .LBB2118_108
; %bb.107:
	buffer_load_dword v0, off, s[0:3], 0 offset:240
	buffer_load_dword v1, off, s[0:3], 0 offset:244
	buffer_load_dword v2, off, s[0:3], 0 offset:248
	buffer_load_dword v3, off, s[0:3], 0 offset:252
	buffer_load_dword v4, off, s[0:3], 0 offset:256
	buffer_load_dword v5, off, s[0:3], 0 offset:260
	buffer_load_dword v6, off, s[0:3], 0 offset:264
	buffer_load_dword v7, off, s[0:3], 0 offset:268
.LBB2118_108:
	s_andn2_saveexec_b64 s[6:7], s[6:7]
	s_cbranch_execz .LBB2118_114
; %bb.109:
	s_mov_b32 s11, 0
	s_waitcnt vmcnt(7)
	v_mov_b32_e32 v0, 0
	s_waitcnt vmcnt(6)
	v_mov_b32_e32 v1, 0
	s_waitcnt vmcnt(0)
.LBB2118_110:                           ; =>This Inner Loop Header: Depth=1
	v_add_u32_e32 v2, s11, v0
	s_add_i32 s11, s11, 8
	s_cmp_lg_u32 s11, 32
	buffer_store_dword v1, v2, s[0:3], 0 offen offset:4
	buffer_store_dword v1, v2, s[0:3], 0 offen
	s_cbranch_scc1 .LBB2118_110
; %bb.111:
	s_mov_b32 s11, 0
	v_mov_b32_e32 v0, 0x90
	v_mov_b32_e32 v1, 0xf0
	;; [unrolled: 1-line block ×3, first 2 shown]
.LBB2118_112:                           ; =>This Inner Loop Header: Depth=1
	v_add_u32_e32 v3, s11, v0
	v_add_u32_e32 v4, s11, v1
	buffer_load_dword v5, v3, s[0:3], 0 offen offset:4
	buffer_load_dword v6, v4, s[0:3], 0 offen
	buffer_load_dword v7, v3, s[0:3], 0 offen
	buffer_load_dword v12, v4, s[0:3], 0 offen offset:4
	v_add_u32_e32 v3, s11, v2
	s_add_i32 s11, s11, 8
	s_cmp_lg_u32 s11, 32
	s_waitcnt vmcnt(1)
	v_add_u32_e32 v4, v6, v7
	s_waitcnt vmcnt(0)
	v_add_u32_e32 v5, v12, v5
	buffer_store_dword v5, v3, s[0:3], 0 offen offset:4
	buffer_store_dword v4, v3, s[0:3], 0 offen
	s_cbranch_scc1 .LBB2118_112
; %bb.113:
	buffer_load_dword v0, off, s[0:3], 0
	buffer_load_dword v1, off, s[0:3], 0 offset:4
	buffer_load_dword v2, off, s[0:3], 0 offset:8
	;; [unrolled: 1-line block ×7, first 2 shown]
.LBB2118_114:
	s_or_b64 exec, exec, s[6:7]
	s_waitcnt lgkmcnt(0)
	v_or_b32_e32 v12, v13, v10
	v_and_b32_e32 v12, 1, v12
	buffer_store_byte v12, off, s[0:3], 0 offset:272
.LBB2118_115:
	s_andn2_saveexec_b64 s[6:7], s[8:9]
	s_cbranch_execz .LBB2118_117
; %bb.116:
	buffer_load_dword v0, off, s[0:3], 0 offset:240
	buffer_load_dword v1, off, s[0:3], 0 offset:244
	;; [unrolled: 1-line block ×8, first 2 shown]
	v_mov_b32_e32 v10, 0
.LBB2118_117:
	s_or_b64 exec, exec, s[6:7]
	buffer_load_dword v12, off, s[0:3], 0 offset:272
	v_add_u32_e32 v13, -1, v9
	v_and_b32_e32 v17, 64, v9
	v_cmp_lt_i32_e64 s[8:9], v13, v17
	v_cndmask_b32_e64 v13, v13, v9, s[8:9]
	v_lshlrev_b32_e32 v13, 2, v13
	s_waitcnt vmcnt(8)
	ds_bpermute_b32 v0, v13, v0
	s_waitcnt vmcnt(7)
	ds_bpermute_b32 v1, v13, v1
	;; [unrolled: 2-line block ×5, first 2 shown]
	s_waitcnt lgkmcnt(4)
	buffer_store_dword v0, off, s[0:3], 0 offset:240
	s_waitcnt lgkmcnt(3)
	buffer_store_dword v1, off, s[0:3], 0 offset:244
	;; [unrolled: 2-line block ×4, first 2 shown]
	s_waitcnt vmcnt(7)
	ds_bpermute_b32 v5, v13, v5
	s_waitcnt vmcnt(6)
	ds_bpermute_b32 v6, v13, v6
	;; [unrolled: 2-line block ×3, first 2 shown]
	v_cmp_eq_u32_e64 s[6:7], 0, v9
	s_waitcnt vmcnt(4)
	ds_bpermute_b32 v0, v13, v12
	s_waitcnt lgkmcnt(4)
	buffer_store_dword v4, off, s[0:3], 0 offset:256
	s_waitcnt lgkmcnt(3)
	buffer_store_dword v5, off, s[0:3], 0 offset:260
	;; [unrolled: 2-line block ×4, first 2 shown]
	s_waitcnt lgkmcnt(0)
	buffer_store_byte v0, off, s[0:3], 0 offset:272
	v_and_b32_e32 v0, 1, v0
	v_cmp_eq_u32_e64 s[12:13], 1, v0
	s_and_saveexec_b64 s[26:27], s[6:7]
	s_cbranch_execz .LBB2118_119
; %bb.118:
	buffer_load_dword v0, off, s[0:3], 0 offset:156
	buffer_load_dword v1, off, s[0:3], 0 offset:152
	;; [unrolled: 1-line block ×8, first 2 shown]
	v_and_b32_e32 v12, 1, v10
	v_cmp_eq_u32_e64 s[8:9], 1, v12
	s_andn2_b64 s[12:13], s[12:13], exec
	s_and_b64 s[8:9], s[8:9], exec
	s_or_b64 s[12:13], s[12:13], s[8:9]
	buffer_store_byte v10, off, s[0:3], 0 offset:272
	s_waitcnt vmcnt(8)
	buffer_store_dword v0, off, s[0:3], 0 offset:252
	s_waitcnt vmcnt(8)
	buffer_store_dword v1, off, s[0:3], 0 offset:248
	;; [unrolled: 2-line block ×8, first 2 shown]
.LBB2118_119:
	s_or_b64 exec, exec, s[26:27]
	s_and_saveexec_b64 s[26:27], vcc
	s_cbranch_execz .LBB2118_260
; %bb.120:
	v_mov_b32_e32 v10, 0
	ds_read2_b32 v[4:5], v10 offset0:27 offset1:28
	ds_read2_b32 v[6:7], v10 offset0:29 offset1:30
	;; [unrolled: 1-line block ×4, first 2 shown]
	ds_read_b32 v12, v10 offset:140
	s_waitcnt lgkmcnt(4)
	buffer_store_dword v5, off, s[0:3], 0 offset:112
	buffer_store_dword v4, off, s[0:3], 0 offset:108
	s_waitcnt lgkmcnt(3)
	buffer_store_dword v7, off, s[0:3], 0 offset:120
	buffer_store_dword v6, off, s[0:3], 0 offset:116
	;; [unrolled: 3-line block ×4, first 2 shown]
	s_waitcnt lgkmcnt(0)
	buffer_store_dword v12, off, s[0:3], 0 offset:140
	s_and_saveexec_b64 s[8:9], s[6:7]
	s_cbranch_execz .LBB2118_122
; %bb.121:
	s_add_i32 s11, s10, 64
	s_mul_i32 s28, s11, 36
	s_mul_hi_u32 s29, s11, 36
	s_add_u32 s28, s16, s28
	s_addc_u32 s29, s17, s29
	global_store_dwordx4 v10, v[4:7], s[28:29]
	global_store_dwordx4 v10, v[0:3], s[28:29] offset:16
	global_store_byte v10, v12, s[28:29] offset:32
	v_mov_b32_e32 v0, s11
	v_mov_b32_e32 v1, 1
	s_waitcnt vmcnt(0)
	buffer_wbinvl1_vol
	global_store_byte v0, v1, s[20:21]
.LBB2118_122:
	s_or_b64 exec, exec, s[8:9]
	s_mov_b32 s8, 0
	v_mov_b32_e32 v0, 0x48
	buffer_store_dword v10, off, s[0:3], 0 offset:100
	buffer_store_dword v10, off, s[0:3], 0 offset:96
	;; [unrolled: 1-line block ×9, first 2 shown]
.LBB2118_123:                           ; =>This Inner Loop Header: Depth=1
	v_add_u32_e32 v1, s8, v0
	s_add_i32 s8, s8, 8
	s_cmp_lg_u32 s8, 32
	buffer_store_dword v10, v1, s[0:3], 0 offen offset:4
	buffer_store_dword v10, v1, s[0:3], 0 offen
	s_cbranch_scc1 .LBB2118_123
; %bb.124:
	s_mov_b32 s8, 0
	v_mov_b32_e32 v0, 0
	v_mov_b32_e32 v1, 0
	buffer_store_byte v0, off, s[0:3], 0 offset:104
	buffer_store_dword v0, off, s[0:3], 0 offset:28
	buffer_store_dword v0, off, s[0:3], 0 offset:24
	;; [unrolled: 1-line block ×7, first 2 shown]
	buffer_store_dword v0, off, s[0:3], 0
	buffer_store_dword v0, off, s[0:3], 0 offset:32
.LBB2118_125:                           ; =>This Inner Loop Header: Depth=1
	v_add_u32_e32 v2, s8, v1
	s_add_i32 s8, s8, 8
	s_cmp_lg_u32 s8, 32
	buffer_store_dword v0, v2, s[0:3], 0 offen offset:4
	buffer_store_dword v0, v2, s[0:3], 0 offen
	s_cbranch_scc1 .LBB2118_125
; %bb.126:
	v_xad_u32 v10, v9, -1, s10
	v_mov_b32_e32 v0, 0
	buffer_store_byte v0, off, s[0:3], 0 offset:32
	v_add_u32_e32 v0, 64, v10
	global_load_ubyte v17, v0, s[20:21] glc
	s_waitcnt vmcnt(0)
	v_cmp_eq_u16_e32 vcc, 0, v17
	s_and_saveexec_b64 s[8:9], vcc
	s_cbranch_execz .LBB2118_130
; %bb.127:
	v_mov_b32_e32 v1, s21
	v_add_co_u32_e32 v2, vcc, s20, v0
	v_addc_co_u32_e32 v3, vcc, 0, v1, vcc
	s_mov_b64 s[28:29], 0
.LBB2118_128:                           ; =>This Inner Loop Header: Depth=1
	global_load_ubyte v17, v[2:3], off glc
	s_waitcnt vmcnt(0)
	v_cmp_ne_u16_e32 vcc, 0, v17
	s_or_b64 s[28:29], vcc, s[28:29]
	s_andn2_b64 exec, exec, s[28:29]
	s_cbranch_execnz .LBB2118_128
; %bb.129:
	s_or_b64 exec, exec, s[28:29]
.LBB2118_130:
	s_or_b64 exec, exec, s[8:9]
	v_mov_b32_e32 v1, s19
	v_mov_b32_e32 v2, s17
	v_cmp_eq_u16_e32 vcc, 1, v17
	v_cndmask_b32_e32 v3, v1, v2, vcc
	v_mov_b32_e32 v1, s18
	v_mov_b32_e32 v2, s16
	v_cndmask_b32_e32 v2, v1, v2, vcc
	v_mad_u64_u32 v[12:13], s[8:9], v0, 36, v[2:3]
	buffer_wbinvl1_vol
	global_load_dwordx4 v[0:3], v[12:13], off
	global_load_dwordx4 v[4:7], v[12:13], off offset:16
	global_load_ubyte v18, v[12:13], off offset:32
	v_mov_b32_e32 v12, 0
	s_mov_b32 s8, 0
	v_mov_b32_e32 v13, 0x90
	buffer_store_dword v12, off, s[0:3], 0 offset:176
	s_waitcnt vmcnt(3)
	buffer_store_dword v3, off, s[0:3], 0 offset:12
	buffer_store_dword v2, off, s[0:3], 0 offset:8
	;; [unrolled: 1-line block ×3, first 2 shown]
	buffer_store_dword v0, off, s[0:3], 0
	s_waitcnt vmcnt(6)
	buffer_store_dword v7, off, s[0:3], 0 offset:28
	buffer_store_dword v6, off, s[0:3], 0 offset:24
	;; [unrolled: 1-line block ×4, first 2 shown]
	s_waitcnt vmcnt(9)
	buffer_store_byte v18, off, s[0:3], 0 offset:32
	buffer_store_dword v1, off, s[0:3], 0 offset:76
	buffer_store_dword v0, off, s[0:3], 0 offset:72
	;; [unrolled: 1-line block ×8, first 2 shown]
	buffer_store_byte v18, off, s[0:3], 0 offset:104
.LBB2118_131:                           ; =>This Inner Loop Header: Depth=1
	v_add_u32_e32 v18, s8, v13
	s_add_i32 s8, s8, 8
	s_cmp_lg_u32 s8, 32
	buffer_store_dword v12, v18, s[0:3], 0 offen offset:4
	buffer_store_dword v12, v18, s[0:3], 0 offen
	s_cbranch_scc1 .LBB2118_131
; %bb.132:
	buffer_load_dword v29, off, s[0:3], 0 offset:104
	v_lshlrev_b64 v[12:13], v9, -1
	v_cmp_eq_u16_e32 vcc, 2, v17
	v_and_b32_e32 v18, 63, v9
	v_and_b32_e32 v19, vcc_hi, v13
	v_and_b32_e32 v20, vcc_lo, v12
	v_cmp_ne_u32_e32 vcc, 63, v18
	v_addc_co_u32_e32 v21, vcc, 0, v9, vcc
	v_or_b32_e32 v22, 0x80000000, v19
	v_lshlrev_b32_e32 v19, 2, v21
	v_ffbl_b32_e32 v21, v22
	v_ffbl_b32_e32 v20, v20
	v_add_u32_e32 v21, 32, v21
	ds_bpermute_b32 v22, v19, v0
	ds_bpermute_b32 v26, v19, v4
	v_min_u32_e32 v30, v20, v21
	ds_bpermute_b32 v23, v19, v1
	ds_bpermute_b32 v27, v19, v5
	ds_bpermute_b32 v24, v19, v2
	ds_bpermute_b32 v28, v19, v6
	ds_bpermute_b32 v25, v19, v3
	ds_bpermute_b32 v31, v19, v7
	v_cmp_lt_u32_e32 vcc, v18, v30
	s_waitcnt lgkmcnt(7)
	buffer_store_dword v22, off, s[0:3], 0 offset:144
	s_waitcnt lgkmcnt(5)
	buffer_store_dword v23, off, s[0:3], 0 offset:148
	;; [unrolled: 2-line block ×4, first 2 shown]
	buffer_store_dword v26, off, s[0:3], 0 offset:160
	buffer_store_dword v27, off, s[0:3], 0 offset:164
	;; [unrolled: 1-line block ×3, first 2 shown]
	s_waitcnt lgkmcnt(0)
	buffer_store_dword v31, off, s[0:3], 0 offset:172
	s_waitcnt vmcnt(8)
	ds_bpermute_b32 v20, v19, v29
	s_and_saveexec_b64 s[8:9], vcc
	s_cbranch_execz .LBB2118_140
; %bb.133:
	v_mov_b32_e32 v21, 0
	v_cmp_eq_u16_sdwa s[36:37], v29, v21 src0_sel:BYTE_0 src1_sel:DWORD
	s_and_saveexec_b64 s[28:29], s[36:37]
	s_cbranch_execz .LBB2118_139
; %bb.134:
	s_mov_b32 s11, 0
	v_mov_b32_e32 v0, 36
.LBB2118_135:                           ; =>This Inner Loop Header: Depth=1
	v_add_u32_e32 v1, s11, v0
	s_add_i32 s11, s11, 8
	s_cmp_lg_u32 s11, 32
	buffer_store_dword v21, v1, s[0:3], 0 offen offset:4
	buffer_store_dword v21, v1, s[0:3], 0 offen
	s_cbranch_scc1 .LBB2118_135
; %bb.136:
	s_mov_b32 s11, 0
	v_mov_b32_e32 v0, 0x90
	v_mov_b32_e32 v1, 0x48
	v_mov_b32_e32 v2, 36
.LBB2118_137:                           ; =>This Inner Loop Header: Depth=1
	v_add_u32_e32 v3, s11, v0
	v_add_u32_e32 v4, s11, v1
	buffer_load_dword v5, v3, s[0:3], 0 offen offset:4
	buffer_load_dword v6, v4, s[0:3], 0 offen
	buffer_load_dword v7, v3, s[0:3], 0 offen
	buffer_load_dword v21, v4, s[0:3], 0 offen offset:4
	v_add_u32_e32 v3, s11, v2
	s_add_i32 s11, s11, 8
	s_cmp_lg_u32 s11, 32
	s_waitcnt vmcnt(1)
	v_add_u32_e32 v4, v6, v7
	s_waitcnt vmcnt(0)
	v_add_u32_e32 v5, v21, v5
	buffer_store_dword v5, v3, s[0:3], 0 offen offset:4
	buffer_store_dword v4, v3, s[0:3], 0 offen
	s_cbranch_scc1 .LBB2118_137
; %bb.138:
	buffer_load_dword v0, off, s[0:3], 0 offset:36
	buffer_load_dword v1, off, s[0:3], 0 offset:40
	;; [unrolled: 1-line block ×8, first 2 shown]
.LBB2118_139:
	s_or_b64 exec, exec, s[28:29]
	s_waitcnt lgkmcnt(0)
	v_or_b32_e32 v20, v20, v29
	v_and_b32_e32 v20, 1, v20
	buffer_store_byte v20, off, s[0:3], 0 offset:104
	buffer_load_dword v29, off, s[0:3], 0 offset:104
	s_waitcnt vmcnt(8)
	buffer_store_dword v1, off, s[0:3], 0 offset:76
	buffer_store_dword v0, off, s[0:3], 0 offset:72
	s_waitcnt vmcnt(8)
	buffer_store_dword v3, off, s[0:3], 0 offset:84
	buffer_store_dword v2, off, s[0:3], 0 offset:80
	;; [unrolled: 3-line block ×4, first 2 shown]
.LBB2118_140:
	s_or_b64 exec, exec, s[8:9]
	v_cmp_gt_u32_e32 vcc, 62, v18
	v_cndmask_b32_e64 v21, 0, 1, vcc
	v_lshlrev_b32_e32 v21, 1, v21
	v_add_lshl_u32 v21, v21, v9, 2
	ds_bpermute_b32 v23, v21, v0
	s_waitcnt vmcnt(8)
	ds_bpermute_b32 v22, v21, v29
	ds_bpermute_b32 v24, v21, v1
	;; [unrolled: 1-line block ×3, first 2 shown]
	s_waitcnt lgkmcnt(4)
	v_add_u32_e32 v20, 2, v18
	ds_bpermute_b32 v26, v21, v3
	ds_bpermute_b32 v27, v21, v4
	v_cmp_le_u32_e32 vcc, v20, v30
	ds_bpermute_b32 v28, v21, v5
	ds_bpermute_b32 v31, v21, v6
	;; [unrolled: 1-line block ×3, first 2 shown]
	s_waitcnt lgkmcnt(8)
	buffer_store_dword v23, off, s[0:3], 0 offset:144
	s_waitcnt lgkmcnt(6)
	buffer_store_dword v24, off, s[0:3], 0 offset:148
	s_waitcnt lgkmcnt(5)
	buffer_store_dword v25, off, s[0:3], 0 offset:152
	s_waitcnt lgkmcnt(4)
	buffer_store_dword v26, off, s[0:3], 0 offset:156
	s_waitcnt lgkmcnt(3)
	buffer_store_dword v27, off, s[0:3], 0 offset:160
	s_waitcnt lgkmcnt(2)
	buffer_store_dword v28, off, s[0:3], 0 offset:164
	s_waitcnt lgkmcnt(1)
	buffer_store_dword v31, off, s[0:3], 0 offset:168
	s_waitcnt lgkmcnt(0)
	buffer_store_dword v32, off, s[0:3], 0 offset:172
	s_and_saveexec_b64 s[28:29], vcc
	s_cbranch_execz .LBB2118_148
; %bb.141:
	v_mov_b32_e32 v23, 0
	s_mov_b32 s11, 0
	v_cmp_eq_u16_sdwa s[36:37], v29, v23 src0_sel:BYTE_0 src1_sel:DWORD
	s_and_saveexec_b64 s[8:9], s[36:37]
	s_cbranch_execz .LBB2118_147
; %bb.142:
	v_mov_b32_e32 v0, 36
.LBB2118_143:                           ; =>This Inner Loop Header: Depth=1
	v_add_u32_e32 v1, s11, v0
	s_add_i32 s11, s11, 8
	s_cmp_lg_u32 s11, 32
	buffer_store_dword v23, v1, s[0:3], 0 offen offset:4
	buffer_store_dword v23, v1, s[0:3], 0 offen
	s_cbranch_scc1 .LBB2118_143
; %bb.144:
	s_mov_b32 s11, 0
	v_mov_b32_e32 v0, 0x90
	v_mov_b32_e32 v1, 0x48
	;; [unrolled: 1-line block ×3, first 2 shown]
.LBB2118_145:                           ; =>This Inner Loop Header: Depth=1
	v_add_u32_e32 v3, s11, v0
	v_add_u32_e32 v4, s11, v1
	buffer_load_dword v5, v3, s[0:3], 0 offen offset:4
	buffer_load_dword v6, v4, s[0:3], 0 offen
	buffer_load_dword v7, v3, s[0:3], 0 offen
	buffer_load_dword v23, v4, s[0:3], 0 offen offset:4
	v_add_u32_e32 v3, s11, v2
	s_add_i32 s11, s11, 8
	s_cmp_lg_u32 s11, 32
	s_waitcnt vmcnt(1)
	v_add_u32_e32 v4, v6, v7
	s_waitcnt vmcnt(0)
	v_add_u32_e32 v5, v23, v5
	buffer_store_dword v5, v3, s[0:3], 0 offen offset:4
	buffer_store_dword v4, v3, s[0:3], 0 offen
	s_cbranch_scc1 .LBB2118_145
; %bb.146:
	buffer_load_dword v0, off, s[0:3], 0 offset:36
	buffer_load_dword v1, off, s[0:3], 0 offset:40
	;; [unrolled: 1-line block ×8, first 2 shown]
.LBB2118_147:
	s_or_b64 exec, exec, s[8:9]
	v_and_b32_e32 v23, 1, v29
	v_and_b32_e32 v22, 1, v22
	v_cmp_eq_u32_e32 vcc, 1, v23
	v_cmp_eq_u32_e64 s[8:9], 1, v22
	s_or_b64 s[8:9], vcc, s[8:9]
	v_cndmask_b32_e64 v22, 0, 1, s[8:9]
	buffer_store_byte v22, off, s[0:3], 0 offset:104
	buffer_load_dword v29, off, s[0:3], 0 offset:104
	s_waitcnt vmcnt(8)
	buffer_store_dword v1, off, s[0:3], 0 offset:76
	buffer_store_dword v0, off, s[0:3], 0 offset:72
	s_waitcnt vmcnt(8)
	buffer_store_dword v3, off, s[0:3], 0 offset:84
	buffer_store_dword v2, off, s[0:3], 0 offset:80
	;; [unrolled: 3-line block ×4, first 2 shown]
.LBB2118_148:
	s_or_b64 exec, exec, s[28:29]
	v_cmp_gt_u32_e32 vcc, 60, v18
	v_cndmask_b32_e64 v23, 0, 1, vcc
	v_lshlrev_b32_e32 v23, 2, v23
	v_add_lshl_u32 v23, v23, v9, 2
	ds_bpermute_b32 v25, v23, v0
	s_waitcnt vmcnt(8)
	ds_bpermute_b32 v24, v23, v29
	ds_bpermute_b32 v26, v23, v1
	ds_bpermute_b32 v27, v23, v2
	v_add_u32_e32 v22, 4, v18
	ds_bpermute_b32 v28, v23, v3
	ds_bpermute_b32 v31, v23, v4
	v_cmp_le_u32_e32 vcc, v22, v30
	ds_bpermute_b32 v32, v23, v5
	ds_bpermute_b32 v33, v23, v6
	;; [unrolled: 1-line block ×3, first 2 shown]
	s_waitcnt lgkmcnt(8)
	buffer_store_dword v25, off, s[0:3], 0 offset:144
	s_waitcnt lgkmcnt(6)
	buffer_store_dword v26, off, s[0:3], 0 offset:148
	;; [unrolled: 2-line block ×8, first 2 shown]
	s_and_saveexec_b64 s[28:29], vcc
	s_cbranch_execz .LBB2118_156
; %bb.149:
	v_mov_b32_e32 v25, 0
	s_mov_b32 s11, 0
	v_cmp_eq_u16_sdwa s[36:37], v29, v25 src0_sel:BYTE_0 src1_sel:DWORD
	s_and_saveexec_b64 s[8:9], s[36:37]
	s_cbranch_execz .LBB2118_155
; %bb.150:
	v_mov_b32_e32 v0, 36
.LBB2118_151:                           ; =>This Inner Loop Header: Depth=1
	v_add_u32_e32 v1, s11, v0
	s_add_i32 s11, s11, 8
	s_cmp_lg_u32 s11, 32
	buffer_store_dword v25, v1, s[0:3], 0 offen offset:4
	buffer_store_dword v25, v1, s[0:3], 0 offen
	s_cbranch_scc1 .LBB2118_151
; %bb.152:
	s_mov_b32 s11, 0
	v_mov_b32_e32 v0, 0x90
	v_mov_b32_e32 v1, 0x48
	;; [unrolled: 1-line block ×3, first 2 shown]
.LBB2118_153:                           ; =>This Inner Loop Header: Depth=1
	v_add_u32_e32 v3, s11, v0
	v_add_u32_e32 v4, s11, v1
	buffer_load_dword v5, v3, s[0:3], 0 offen offset:4
	buffer_load_dword v6, v4, s[0:3], 0 offen
	buffer_load_dword v7, v3, s[0:3], 0 offen
	buffer_load_dword v25, v4, s[0:3], 0 offen offset:4
	v_add_u32_e32 v3, s11, v2
	s_add_i32 s11, s11, 8
	s_cmp_lg_u32 s11, 32
	s_waitcnt vmcnt(1)
	v_add_u32_e32 v4, v6, v7
	s_waitcnt vmcnt(0)
	v_add_u32_e32 v5, v25, v5
	buffer_store_dword v5, v3, s[0:3], 0 offen offset:4
	buffer_store_dword v4, v3, s[0:3], 0 offen
	s_cbranch_scc1 .LBB2118_153
; %bb.154:
	buffer_load_dword v0, off, s[0:3], 0 offset:36
	buffer_load_dword v1, off, s[0:3], 0 offset:40
	;; [unrolled: 1-line block ×8, first 2 shown]
.LBB2118_155:
	s_or_b64 exec, exec, s[8:9]
	v_and_b32_e32 v25, 1, v29
	v_and_b32_e32 v24, 1, v24
	v_cmp_eq_u32_e32 vcc, 1, v25
	v_cmp_eq_u32_e64 s[8:9], 1, v24
	s_or_b64 s[8:9], vcc, s[8:9]
	v_cndmask_b32_e64 v24, 0, 1, s[8:9]
	buffer_store_byte v24, off, s[0:3], 0 offset:104
	buffer_load_dword v29, off, s[0:3], 0 offset:104
	s_waitcnt vmcnt(8)
	buffer_store_dword v1, off, s[0:3], 0 offset:76
	buffer_store_dword v0, off, s[0:3], 0 offset:72
	s_waitcnt vmcnt(8)
	buffer_store_dword v3, off, s[0:3], 0 offset:84
	buffer_store_dword v2, off, s[0:3], 0 offset:80
	;; [unrolled: 3-line block ×4, first 2 shown]
.LBB2118_156:
	s_or_b64 exec, exec, s[28:29]
	v_cmp_gt_u32_e32 vcc, 56, v18
	v_cndmask_b32_e64 v25, 0, 1, vcc
	v_lshlrev_b32_e32 v25, 3, v25
	v_add_lshl_u32 v25, v25, v9, 2
	ds_bpermute_b32 v27, v25, v0
	s_waitcnt vmcnt(8)
	ds_bpermute_b32 v26, v25, v29
	ds_bpermute_b32 v28, v25, v1
	;; [unrolled: 1-line block ×3, first 2 shown]
	v_add_u32_e32 v24, 8, v18
	ds_bpermute_b32 v32, v25, v3
	ds_bpermute_b32 v33, v25, v4
	v_cmp_le_u32_e32 vcc, v24, v30
	ds_bpermute_b32 v34, v25, v5
	ds_bpermute_b32 v35, v25, v6
	;; [unrolled: 1-line block ×3, first 2 shown]
	s_waitcnt lgkmcnt(8)
	buffer_store_dword v27, off, s[0:3], 0 offset:144
	s_waitcnt lgkmcnt(6)
	buffer_store_dword v28, off, s[0:3], 0 offset:148
	;; [unrolled: 2-line block ×8, first 2 shown]
	s_and_saveexec_b64 s[28:29], vcc
	s_cbranch_execz .LBB2118_164
; %bb.157:
	v_mov_b32_e32 v27, 0
	s_mov_b32 s11, 0
	v_cmp_eq_u16_sdwa s[36:37], v29, v27 src0_sel:BYTE_0 src1_sel:DWORD
	s_and_saveexec_b64 s[8:9], s[36:37]
	s_cbranch_execz .LBB2118_163
; %bb.158:
	v_mov_b32_e32 v0, 36
.LBB2118_159:                           ; =>This Inner Loop Header: Depth=1
	v_add_u32_e32 v1, s11, v0
	s_add_i32 s11, s11, 8
	s_cmp_lg_u32 s11, 32
	buffer_store_dword v27, v1, s[0:3], 0 offen offset:4
	buffer_store_dword v27, v1, s[0:3], 0 offen
	s_cbranch_scc1 .LBB2118_159
; %bb.160:
	s_mov_b32 s11, 0
	v_mov_b32_e32 v0, 0x90
	v_mov_b32_e32 v1, 0x48
	;; [unrolled: 1-line block ×3, first 2 shown]
.LBB2118_161:                           ; =>This Inner Loop Header: Depth=1
	v_add_u32_e32 v3, s11, v0
	v_add_u32_e32 v4, s11, v1
	buffer_load_dword v5, v3, s[0:3], 0 offen offset:4
	buffer_load_dword v6, v4, s[0:3], 0 offen
	buffer_load_dword v7, v3, s[0:3], 0 offen
	buffer_load_dword v27, v4, s[0:3], 0 offen offset:4
	v_add_u32_e32 v3, s11, v2
	s_add_i32 s11, s11, 8
	s_cmp_lg_u32 s11, 32
	s_waitcnt vmcnt(1)
	v_add_u32_e32 v4, v6, v7
	s_waitcnt vmcnt(0)
	v_add_u32_e32 v5, v27, v5
	buffer_store_dword v5, v3, s[0:3], 0 offen offset:4
	buffer_store_dword v4, v3, s[0:3], 0 offen
	s_cbranch_scc1 .LBB2118_161
; %bb.162:
	buffer_load_dword v0, off, s[0:3], 0 offset:36
	buffer_load_dword v1, off, s[0:3], 0 offset:40
	;; [unrolled: 1-line block ×8, first 2 shown]
.LBB2118_163:
	s_or_b64 exec, exec, s[8:9]
	v_and_b32_e32 v27, 1, v29
	v_and_b32_e32 v26, 1, v26
	v_cmp_eq_u32_e32 vcc, 1, v27
	v_cmp_eq_u32_e64 s[8:9], 1, v26
	s_or_b64 s[8:9], vcc, s[8:9]
	v_cndmask_b32_e64 v26, 0, 1, s[8:9]
	buffer_store_byte v26, off, s[0:3], 0 offset:104
	buffer_load_dword v29, off, s[0:3], 0 offset:104
	s_waitcnt vmcnt(8)
	buffer_store_dword v1, off, s[0:3], 0 offset:76
	buffer_store_dword v0, off, s[0:3], 0 offset:72
	s_waitcnt vmcnt(8)
	buffer_store_dword v3, off, s[0:3], 0 offset:84
	buffer_store_dword v2, off, s[0:3], 0 offset:80
	;; [unrolled: 3-line block ×4, first 2 shown]
.LBB2118_164:
	s_or_b64 exec, exec, s[28:29]
	v_cmp_gt_u32_e32 vcc, 48, v18
	v_cndmask_b32_e64 v27, 0, 1, vcc
	v_lshlrev_b32_e32 v27, 4, v27
	v_add_lshl_u32 v27, v27, v9, 2
	ds_bpermute_b32 v31, v27, v0
	s_waitcnt vmcnt(8)
	ds_bpermute_b32 v28, v27, v29
	ds_bpermute_b32 v32, v27, v1
	ds_bpermute_b32 v33, v27, v2
	v_add_u32_e32 v26, 16, v18
	ds_bpermute_b32 v34, v27, v3
	ds_bpermute_b32 v35, v27, v4
	v_cmp_le_u32_e32 vcc, v26, v30
	ds_bpermute_b32 v36, v27, v5
	ds_bpermute_b32 v37, v27, v6
	;; [unrolled: 1-line block ×3, first 2 shown]
	s_waitcnt lgkmcnt(8)
	buffer_store_dword v31, off, s[0:3], 0 offset:144
	s_waitcnt lgkmcnt(6)
	buffer_store_dword v32, off, s[0:3], 0 offset:148
	;; [unrolled: 2-line block ×8, first 2 shown]
	s_and_saveexec_b64 s[28:29], vcc
	s_cbranch_execz .LBB2118_172
; %bb.165:
	v_mov_b32_e32 v31, 0
	s_mov_b32 s11, 0
	v_cmp_eq_u16_sdwa s[36:37], v29, v31 src0_sel:BYTE_0 src1_sel:DWORD
	s_and_saveexec_b64 s[8:9], s[36:37]
	s_cbranch_execz .LBB2118_171
; %bb.166:
	v_mov_b32_e32 v0, 36
.LBB2118_167:                           ; =>This Inner Loop Header: Depth=1
	v_add_u32_e32 v1, s11, v0
	s_add_i32 s11, s11, 8
	s_cmp_lg_u32 s11, 32
	buffer_store_dword v31, v1, s[0:3], 0 offen offset:4
	buffer_store_dword v31, v1, s[0:3], 0 offen
	s_cbranch_scc1 .LBB2118_167
; %bb.168:
	s_mov_b32 s11, 0
	v_mov_b32_e32 v0, 0x90
	v_mov_b32_e32 v1, 0x48
	v_mov_b32_e32 v2, 36
.LBB2118_169:                           ; =>This Inner Loop Header: Depth=1
	v_add_u32_e32 v3, s11, v0
	v_add_u32_e32 v4, s11, v1
	buffer_load_dword v5, v3, s[0:3], 0 offen offset:4
	buffer_load_dword v6, v4, s[0:3], 0 offen
	buffer_load_dword v7, v3, s[0:3], 0 offen
	buffer_load_dword v31, v4, s[0:3], 0 offen offset:4
	v_add_u32_e32 v3, s11, v2
	s_add_i32 s11, s11, 8
	s_cmp_lg_u32 s11, 32
	s_waitcnt vmcnt(1)
	v_add_u32_e32 v4, v6, v7
	s_waitcnt vmcnt(0)
	v_add_u32_e32 v5, v31, v5
	buffer_store_dword v5, v3, s[0:3], 0 offen offset:4
	buffer_store_dword v4, v3, s[0:3], 0 offen
	s_cbranch_scc1 .LBB2118_169
; %bb.170:
	buffer_load_dword v0, off, s[0:3], 0 offset:36
	buffer_load_dword v1, off, s[0:3], 0 offset:40
	;; [unrolled: 1-line block ×8, first 2 shown]
.LBB2118_171:
	s_or_b64 exec, exec, s[8:9]
	v_and_b32_e32 v29, 1, v29
	v_and_b32_e32 v28, 1, v28
	v_cmp_eq_u32_e32 vcc, 1, v29
	v_cmp_eq_u32_e64 s[8:9], 1, v28
	s_or_b64 s[8:9], vcc, s[8:9]
	v_cndmask_b32_e64 v28, 0, 1, s[8:9]
	buffer_store_byte v28, off, s[0:3], 0 offset:104
	buffer_load_dword v29, off, s[0:3], 0 offset:104
	s_waitcnt vmcnt(8)
	buffer_store_dword v1, off, s[0:3], 0 offset:76
	buffer_store_dword v0, off, s[0:3], 0 offset:72
	s_waitcnt vmcnt(8)
	buffer_store_dword v3, off, s[0:3], 0 offset:84
	buffer_store_dword v2, off, s[0:3], 0 offset:80
	;; [unrolled: 3-line block ×4, first 2 shown]
.LBB2118_172:
	s_or_b64 exec, exec, s[28:29]
	v_cmp_gt_u32_e32 vcc, 32, v18
	v_cndmask_b32_e64 v31, 0, 1, vcc
	v_lshlrev_b32_e32 v31, 5, v31
	v_add_lshl_u32 v9, v31, v9, 2
	ds_bpermute_b32 v32, v9, v0
	s_waitcnt vmcnt(8)
	ds_bpermute_b32 v31, v9, v29
	ds_bpermute_b32 v33, v9, v1
	;; [unrolled: 1-line block ×3, first 2 shown]
	v_add_u32_e32 v28, 32, v18
	ds_bpermute_b32 v35, v9, v3
	ds_bpermute_b32 v36, v9, v4
	v_cmp_le_u32_e32 vcc, v28, v30
	ds_bpermute_b32 v37, v9, v5
	ds_bpermute_b32 v38, v9, v6
	;; [unrolled: 1-line block ×3, first 2 shown]
	s_waitcnt lgkmcnt(8)
	buffer_store_dword v32, off, s[0:3], 0 offset:144
	s_waitcnt lgkmcnt(6)
	buffer_store_dword v33, off, s[0:3], 0 offset:148
	;; [unrolled: 2-line block ×8, first 2 shown]
	s_and_saveexec_b64 s[28:29], vcc
	s_cbranch_execz .LBB2118_180
; %bb.173:
	v_mov_b32_e32 v30, 0
	s_mov_b32 s11, 0
	v_cmp_eq_u16_sdwa s[36:37], v29, v30 src0_sel:BYTE_0 src1_sel:DWORD
	s_and_saveexec_b64 s[8:9], s[36:37]
	s_cbranch_execz .LBB2118_179
; %bb.174:
	v_mov_b32_e32 v0, 36
.LBB2118_175:                           ; =>This Inner Loop Header: Depth=1
	v_add_u32_e32 v1, s11, v0
	s_add_i32 s11, s11, 8
	s_cmp_lg_u32 s11, 32
	buffer_store_dword v30, v1, s[0:3], 0 offen offset:4
	buffer_store_dword v30, v1, s[0:3], 0 offen
	s_cbranch_scc1 .LBB2118_175
; %bb.176:
	s_mov_b32 s11, 0
	v_mov_b32_e32 v0, 0x90
	v_mov_b32_e32 v1, 0x48
	;; [unrolled: 1-line block ×3, first 2 shown]
.LBB2118_177:                           ; =>This Inner Loop Header: Depth=1
	v_add_u32_e32 v3, s11, v0
	v_add_u32_e32 v4, s11, v1
	buffer_load_dword v5, v3, s[0:3], 0 offen offset:4
	buffer_load_dword v6, v4, s[0:3], 0 offen
	buffer_load_dword v7, v3, s[0:3], 0 offen
	buffer_load_dword v30, v4, s[0:3], 0 offen offset:4
	v_add_u32_e32 v3, s11, v2
	s_add_i32 s11, s11, 8
	s_cmp_lg_u32 s11, 32
	s_waitcnt vmcnt(1)
	v_add_u32_e32 v4, v6, v7
	s_waitcnt vmcnt(0)
	v_add_u32_e32 v5, v30, v5
	buffer_store_dword v5, v3, s[0:3], 0 offen offset:4
	buffer_store_dword v4, v3, s[0:3], 0 offen
	s_cbranch_scc1 .LBB2118_177
; %bb.178:
	buffer_load_dword v0, off, s[0:3], 0 offset:36
	buffer_load_dword v1, off, s[0:3], 0 offset:40
	;; [unrolled: 1-line block ×8, first 2 shown]
.LBB2118_179:
	s_or_b64 exec, exec, s[8:9]
	v_and_b32_e32 v29, 1, v29
	v_cmp_eq_u32_e32 vcc, 1, v29
	v_and_b32_e32 v29, 1, v31
	v_cmp_eq_u32_e64 s[8:9], 1, v29
	s_or_b64 s[8:9], vcc, s[8:9]
	v_cndmask_b32_e64 v29, 0, 1, s[8:9]
	s_waitcnt vmcnt(6)
	buffer_store_dword v1, off, s[0:3], 0 offset:76
	buffer_store_dword v0, off, s[0:3], 0 offset:72
	s_waitcnt vmcnt(6)
	buffer_store_dword v3, off, s[0:3], 0 offset:84
	buffer_store_dword v2, off, s[0:3], 0 offset:80
	;; [unrolled: 3-line block ×4, first 2 shown]
	buffer_store_byte v29, off, s[0:3], 0 offset:104
.LBB2118_180:
	s_or_b64 exec, exec, s[28:29]
	buffer_load_dword v0, off, s[0:3], 0 offset:84
	buffer_load_dword v1, off, s[0:3], 0 offset:80
	;; [unrolled: 1-line block ×9, first 2 shown]
	s_lshr_b32 s8, s44, 16
	s_mul_i32 s8, s8, s45
	v_mul_lo_u32 v36, s8, v8
	v_mov_b32_e32 v35, 0x6000
	v_add3_u32 v15, v36, v16, v15
	v_mov_b32_e32 v29, 0
	v_mov_b32_e32 v30, 0
	;; [unrolled: 1-line block ×5, first 2 shown]
	v_lshl_add_u32 v15, v15, 5, v35
	v_mov_b32_e32 v16, 2
	s_waitcnt vmcnt(8)
	buffer_store_dword v0, off, s[0:3], 0 offset:48
	s_waitcnt vmcnt(8)
	buffer_store_dword v1, off, s[0:3], 0 offset:44
	;; [unrolled: 2-line block ×9, first 2 shown]
	s_branch .LBB2118_182
.LBB2118_181:                           ;   in Loop: Header=BB2118_182 Depth=1
                                        ; implicit-def: $vgpr10
                                        ; implicit-def: $vgpr17
	s_cbranch_execnz .LBB2118_248
.LBB2118_182:                           ; =>This Loop Header: Depth=1
                                        ;     Child Loop BB2118_184 Depth 2
                                        ;     Child Loop BB2118_187 Depth 2
	;; [unrolled: 1-line block ×17, first 2 shown]
	v_cmp_ne_u16_sdwa s[8:9], v17, v16 src0_sel:BYTE_0 src1_sel:DWORD
	v_cndmask_b32_e64 v0, 0, 1, s[8:9]
	;;#ASMSTART
	;;#ASMEND
	v_cmp_ne_u32_e32 vcc, 0, v0
	s_cmp_lg_u64 vcc, exec
	s_cbranch_scc1 .LBB2118_181
; %bb.183:                              ;   in Loop: Header=BB2118_182 Depth=1
	s_mov_b32 s8, 0
	buffer_store_dword v29, off, s[0:3], 0 offset:28
	buffer_store_dword v29, off, s[0:3], 0 offset:24
	;; [unrolled: 1-line block ×7, first 2 shown]
	buffer_store_dword v29, off, s[0:3], 0
	buffer_store_dword v29, off, s[0:3], 0 offset:32
.LBB2118_184:                           ;   Parent Loop BB2118_182 Depth=1
                                        ; =>  This Inner Loop Header: Depth=2
	v_add_u32_e32 v0, s8, v30
	s_add_i32 s8, s8, 8
	s_cmp_lg_u32 s8, 32
	buffer_store_dword v29, v0, s[0:3], 0 offen offset:4
	buffer_store_dword v29, v0, s[0:3], 0 offen
	s_cbranch_scc1 .LBB2118_184
; %bb.185:                              ;   in Loop: Header=BB2118_182 Depth=1
	buffer_store_byte v29, off, s[0:3], 0 offset:32
	global_load_ubyte v17, v10, s[20:21] glc
	s_waitcnt vmcnt(0)
	v_cmp_eq_u16_e32 vcc, 0, v17
	s_and_saveexec_b64 s[8:9], vcc
	s_cbranch_execz .LBB2118_189
; %bb.186:                              ;   in Loop: Header=BB2118_182 Depth=1
	v_mov_b32_e32 v1, s21
	v_add_co_u32_e32 v0, vcc, s20, v10
	v_addc_co_u32_e32 v1, vcc, 0, v1, vcc
	s_mov_b64 s[28:29], 0
.LBB2118_187:                           ;   Parent Loop BB2118_182 Depth=1
                                        ; =>  This Inner Loop Header: Depth=2
	global_load_ubyte v17, v[0:1], off glc
	s_waitcnt vmcnt(0)
	v_cmp_ne_u16_e32 vcc, 0, v17
	s_or_b64 s[28:29], vcc, s[28:29]
	s_andn2_b64 exec, exec, s[28:29]
	s_cbranch_execnz .LBB2118_187
; %bb.188:                              ;   in Loop: Header=BB2118_182 Depth=1
	s_or_b64 exec, exec, s[28:29]
.LBB2118_189:                           ;   in Loop: Header=BB2118_182 Depth=1
	s_or_b64 exec, exec, s[8:9]
	v_mov_b32_e32 v0, s19
	v_mov_b32_e32 v1, s17
	v_cmp_eq_u16_e32 vcc, 1, v17
	v_cndmask_b32_e32 v1, v0, v1, vcc
	v_mov_b32_e32 v0, s18
	v_mov_b32_e32 v2, s16
	v_cndmask_b32_e32 v0, v0, v2, vcc
	v_mad_u64_u32 v[34:35], s[8:9], v10, 36, v[0:1]
	buffer_wbinvl1_vol
	global_load_dwordx4 v[0:3], v[34:35], off
	global_load_dwordx4 v[4:7], v[34:35], off offset:16
	global_load_ubyte v36, v[34:35], off offset:32
	s_mov_b32 s8, 0
	buffer_store_dword v29, off, s[0:3], 0 offset:176
	s_waitcnt vmcnt(3)
	buffer_store_dword v3, off, s[0:3], 0 offset:12
	buffer_store_dword v2, off, s[0:3], 0 offset:8
	;; [unrolled: 1-line block ×3, first 2 shown]
	buffer_store_dword v0, off, s[0:3], 0
	s_waitcnt vmcnt(6)
	buffer_store_dword v7, off, s[0:3], 0 offset:28
	buffer_store_dword v6, off, s[0:3], 0 offset:24
	;; [unrolled: 1-line block ×4, first 2 shown]
	s_waitcnt vmcnt(9)
	buffer_store_byte v36, off, s[0:3], 0 offset:32
	buffer_store_dword v1, off, s[0:3], 0 offset:76
	buffer_store_dword v0, off, s[0:3], 0 offset:72
	;; [unrolled: 1-line block ×8, first 2 shown]
	buffer_store_byte v36, off, s[0:3], 0 offset:104
.LBB2118_190:                           ;   Parent Loop BB2118_182 Depth=1
                                        ; =>  This Inner Loop Header: Depth=2
	v_add_u32_e32 v34, s8, v31
	s_add_i32 s8, s8, 8
	s_cmp_lg_u32 s8, 32
	buffer_store_dword v29, v34, s[0:3], 0 offen offset:4
	buffer_store_dword v29, v34, s[0:3], 0 offen
	s_cbranch_scc1 .LBB2118_190
; %bb.191:                              ;   in Loop: Header=BB2118_182 Depth=1
	buffer_load_dword v35, off, s[0:3], 0 offset:104
	ds_bpermute_b32 v36, v19, v0
	ds_bpermute_b32 v37, v19, v1
	ds_bpermute_b32 v38, v19, v2
	v_cmp_eq_u16_e32 vcc, 2, v17
	ds_bpermute_b32 v39, v19, v3
	v_and_b32_e32 v34, vcc_hi, v13
	ds_bpermute_b32 v40, v19, v4
	v_or_b32_e32 v34, 0x80000000, v34
	s_waitcnt lgkmcnt(4)
	buffer_store_dword v36, off, s[0:3], 0 offset:144
	s_waitcnt lgkmcnt(3)
	buffer_store_dword v37, off, s[0:3], 0 offset:148
	;; [unrolled: 2-line block ×4, first 2 shown]
	ds_bpermute_b32 v41, v19, v5
	v_and_b32_e32 v44, vcc_lo, v12
	v_ffbl_b32_e32 v34, v34
	ds_bpermute_b32 v42, v19, v6
	v_ffbl_b32_e32 v44, v44
	v_add_u32_e32 v34, 32, v34
	ds_bpermute_b32 v43, v19, v7
	v_min_u32_e32 v34, v44, v34
	v_cmp_lt_u32_e32 vcc, v18, v34
	s_waitcnt lgkmcnt(3)
	buffer_store_dword v40, off, s[0:3], 0 offset:160
	s_waitcnt lgkmcnt(2)
	buffer_store_dword v41, off, s[0:3], 0 offset:164
	;; [unrolled: 2-line block ×4, first 2 shown]
	s_waitcnt vmcnt(8)
	ds_bpermute_b32 v36, v19, v35
	s_and_saveexec_b64 s[8:9], vcc
	s_cbranch_execz .LBB2118_199
; %bb.192:                              ;   in Loop: Header=BB2118_182 Depth=1
	v_cmp_eq_u16_sdwa s[36:37], v35, v29 src0_sel:BYTE_0 src1_sel:DWORD
	s_and_saveexec_b64 s[28:29], s[36:37]
	s_cbranch_execz .LBB2118_198
; %bb.193:                              ;   in Loop: Header=BB2118_182 Depth=1
	s_mov_b32 s11, 0
.LBB2118_194:                           ;   Parent Loop BB2118_182 Depth=1
                                        ; =>  This Inner Loop Header: Depth=2
	v_add_u32_e32 v0, s11, v15
	s_add_i32 s11, s11, 8
	s_cmp_lg_u32 s11, 32
	ds_write2_b32 v0, v29, v29 offset1:1
	s_cbranch_scc1 .LBB2118_194
; %bb.195:                              ;   in Loop: Header=BB2118_182 Depth=1
	s_mov_b32 s11, 0
.LBB2118_196:                           ;   Parent Loop BB2118_182 Depth=1
                                        ; =>  This Inner Loop Header: Depth=2
	v_add_u32_e32 v0, s11, v31
	v_add_u32_e32 v1, s11, v32
	buffer_load_dword v2, v0, s[0:3], 0 offen offset:4
	buffer_load_dword v3, v0, s[0:3], 0 offen
	buffer_load_dword v4, v1, s[0:3], 0 offen offset:4
	buffer_load_dword v5, v1, s[0:3], 0 offen
	v_add_u32_e32 v0, s11, v15
	s_add_i32 s11, s11, 8
	s_cmp_lg_u32 s11, 32
	s_waitcnt vmcnt(1)
	v_add_u32_e32 v1, v4, v2
	s_waitcnt vmcnt(0)
	v_add_u32_e32 v2, v5, v3
	ds_write2_b32 v0, v2, v1 offset1:1
	s_cbranch_scc1 .LBB2118_196
; %bb.197:                              ;   in Loop: Header=BB2118_182 Depth=1
	ds_read2_b32 v[0:1], v15 offset1:1
	ds_read2_b32 v[2:3], v15 offset0:2 offset1:3
	ds_read2_b32 v[4:5], v15 offset0:4 offset1:5
	;; [unrolled: 1-line block ×3, first 2 shown]
.LBB2118_198:                           ;   in Loop: Header=BB2118_182 Depth=1
	s_or_b64 exec, exec, s[28:29]
	s_waitcnt lgkmcnt(0)
	v_or_b32_e32 v35, v36, v35
	v_and_b32_e32 v35, 1, v35
	buffer_store_byte v35, off, s[0:3], 0 offset:104
	buffer_load_dword v35, off, s[0:3], 0 offset:104
	s_nop 0
	buffer_store_dword v1, off, s[0:3], 0 offset:76
	buffer_store_dword v0, off, s[0:3], 0 offset:72
	;; [unrolled: 1-line block ×8, first 2 shown]
.LBB2118_199:                           ;   in Loop: Header=BB2118_182 Depth=1
	s_or_b64 exec, exec, s[8:9]
	ds_bpermute_b32 v37, v21, v0
	s_waitcnt vmcnt(8) lgkmcnt(1)
	ds_bpermute_b32 v36, v21, v35
	ds_bpermute_b32 v38, v21, v1
	;; [unrolled: 1-line block ×5, first 2 shown]
	v_cmp_le_u32_e32 vcc, v20, v34
	ds_bpermute_b32 v42, v21, v5
	ds_bpermute_b32 v43, v21, v6
	;; [unrolled: 1-line block ×3, first 2 shown]
	s_waitcnt lgkmcnt(8)
	buffer_store_dword v37, off, s[0:3], 0 offset:144
	s_waitcnt lgkmcnt(6)
	buffer_store_dword v38, off, s[0:3], 0 offset:148
	;; [unrolled: 2-line block ×8, first 2 shown]
	s_and_saveexec_b64 s[28:29], vcc
	s_cbranch_execz .LBB2118_207
; %bb.200:                              ;   in Loop: Header=BB2118_182 Depth=1
	v_cmp_eq_u16_sdwa s[36:37], v35, v29 src0_sel:BYTE_0 src1_sel:DWORD
	s_and_saveexec_b64 s[8:9], s[36:37]
	s_cbranch_execz .LBB2118_206
; %bb.201:                              ;   in Loop: Header=BB2118_182 Depth=1
	s_mov_b32 s11, 0
.LBB2118_202:                           ;   Parent Loop BB2118_182 Depth=1
                                        ; =>  This Inner Loop Header: Depth=2
	v_add_u32_e32 v0, s11, v15
	s_add_i32 s11, s11, 8
	s_cmp_lg_u32 s11, 32
	ds_write2_b32 v0, v29, v29 offset1:1
	s_cbranch_scc1 .LBB2118_202
; %bb.203:                              ;   in Loop: Header=BB2118_182 Depth=1
	s_mov_b32 s11, 0
.LBB2118_204:                           ;   Parent Loop BB2118_182 Depth=1
                                        ; =>  This Inner Loop Header: Depth=2
	v_add_u32_e32 v0, s11, v31
	v_add_u32_e32 v1, s11, v32
	buffer_load_dword v2, v0, s[0:3], 0 offen offset:4
	buffer_load_dword v3, v0, s[0:3], 0 offen
	buffer_load_dword v4, v1, s[0:3], 0 offen offset:4
	buffer_load_dword v5, v1, s[0:3], 0 offen
	v_add_u32_e32 v0, s11, v15
	s_add_i32 s11, s11, 8
	s_cmp_lg_u32 s11, 32
	s_waitcnt vmcnt(1)
	v_add_u32_e32 v1, v4, v2
	s_waitcnt vmcnt(0)
	v_add_u32_e32 v2, v5, v3
	ds_write2_b32 v0, v2, v1 offset1:1
	s_cbranch_scc1 .LBB2118_204
; %bb.205:                              ;   in Loop: Header=BB2118_182 Depth=1
	ds_read2_b32 v[0:1], v15 offset1:1
	ds_read2_b32 v[2:3], v15 offset0:2 offset1:3
	ds_read2_b32 v[4:5], v15 offset0:4 offset1:5
	;; [unrolled: 1-line block ×3, first 2 shown]
.LBB2118_206:                           ;   in Loop: Header=BB2118_182 Depth=1
	s_or_b64 exec, exec, s[8:9]
	v_and_b32_e32 v35, 1, v35
	v_cmp_eq_u32_e32 vcc, 1, v35
	v_and_b32_e32 v35, 1, v36
	v_cmp_eq_u32_e64 s[8:9], 1, v35
	s_or_b64 s[8:9], vcc, s[8:9]
	v_cndmask_b32_e64 v35, 0, 1, s[8:9]
	buffer_store_byte v35, off, s[0:3], 0 offset:104
	buffer_load_dword v35, off, s[0:3], 0 offset:104
	s_waitcnt lgkmcnt(3)
	buffer_store_dword v1, off, s[0:3], 0 offset:76
	buffer_store_dword v0, off, s[0:3], 0 offset:72
	s_waitcnt lgkmcnt(2)
	buffer_store_dword v3, off, s[0:3], 0 offset:84
	buffer_store_dword v2, off, s[0:3], 0 offset:80
	;; [unrolled: 3-line block ×4, first 2 shown]
.LBB2118_207:                           ;   in Loop: Header=BB2118_182 Depth=1
	s_or_b64 exec, exec, s[28:29]
	ds_bpermute_b32 v37, v23, v0
	s_waitcnt vmcnt(8)
	ds_bpermute_b32 v36, v23, v35
	ds_bpermute_b32 v38, v23, v1
	;; [unrolled: 1-line block ×5, first 2 shown]
	v_cmp_le_u32_e32 vcc, v22, v34
	ds_bpermute_b32 v42, v23, v5
	ds_bpermute_b32 v43, v23, v6
	;; [unrolled: 1-line block ×3, first 2 shown]
	s_waitcnt lgkmcnt(8)
	buffer_store_dword v37, off, s[0:3], 0 offset:144
	s_waitcnt lgkmcnt(6)
	buffer_store_dword v38, off, s[0:3], 0 offset:148
	;; [unrolled: 2-line block ×8, first 2 shown]
	s_and_saveexec_b64 s[28:29], vcc
	s_cbranch_execz .LBB2118_215
; %bb.208:                              ;   in Loop: Header=BB2118_182 Depth=1
	v_cmp_eq_u16_sdwa s[36:37], v35, v29 src0_sel:BYTE_0 src1_sel:DWORD
	s_and_saveexec_b64 s[8:9], s[36:37]
	s_cbranch_execz .LBB2118_214
; %bb.209:                              ;   in Loop: Header=BB2118_182 Depth=1
	s_mov_b32 s11, 0
.LBB2118_210:                           ;   Parent Loop BB2118_182 Depth=1
                                        ; =>  This Inner Loop Header: Depth=2
	v_add_u32_e32 v0, s11, v15
	s_add_i32 s11, s11, 8
	s_cmp_lg_u32 s11, 32
	ds_write2_b32 v0, v29, v29 offset1:1
	s_cbranch_scc1 .LBB2118_210
; %bb.211:                              ;   in Loop: Header=BB2118_182 Depth=1
	s_mov_b32 s11, 0
.LBB2118_212:                           ;   Parent Loop BB2118_182 Depth=1
                                        ; =>  This Inner Loop Header: Depth=2
	v_add_u32_e32 v0, s11, v31
	v_add_u32_e32 v1, s11, v32
	buffer_load_dword v2, v0, s[0:3], 0 offen offset:4
	buffer_load_dword v3, v0, s[0:3], 0 offen
	buffer_load_dword v4, v1, s[0:3], 0 offen offset:4
	buffer_load_dword v5, v1, s[0:3], 0 offen
	v_add_u32_e32 v0, s11, v15
	s_add_i32 s11, s11, 8
	s_cmp_lg_u32 s11, 32
	s_waitcnt vmcnt(1)
	v_add_u32_e32 v1, v4, v2
	s_waitcnt vmcnt(0)
	v_add_u32_e32 v2, v5, v3
	ds_write2_b32 v0, v2, v1 offset1:1
	s_cbranch_scc1 .LBB2118_212
; %bb.213:                              ;   in Loop: Header=BB2118_182 Depth=1
	ds_read2_b32 v[0:1], v15 offset1:1
	ds_read2_b32 v[2:3], v15 offset0:2 offset1:3
	ds_read2_b32 v[4:5], v15 offset0:4 offset1:5
	;; [unrolled: 1-line block ×3, first 2 shown]
.LBB2118_214:                           ;   in Loop: Header=BB2118_182 Depth=1
	s_or_b64 exec, exec, s[8:9]
	v_and_b32_e32 v35, 1, v35
	v_cmp_eq_u32_e32 vcc, 1, v35
	v_and_b32_e32 v35, 1, v36
	v_cmp_eq_u32_e64 s[8:9], 1, v35
	s_or_b64 s[8:9], vcc, s[8:9]
	v_cndmask_b32_e64 v35, 0, 1, s[8:9]
	buffer_store_byte v35, off, s[0:3], 0 offset:104
	buffer_load_dword v35, off, s[0:3], 0 offset:104
	s_waitcnt lgkmcnt(3)
	buffer_store_dword v1, off, s[0:3], 0 offset:76
	buffer_store_dword v0, off, s[0:3], 0 offset:72
	s_waitcnt lgkmcnt(2)
	buffer_store_dword v3, off, s[0:3], 0 offset:84
	buffer_store_dword v2, off, s[0:3], 0 offset:80
	s_waitcnt lgkmcnt(1)
	buffer_store_dword v5, off, s[0:3], 0 offset:92
	buffer_store_dword v4, off, s[0:3], 0 offset:88
	s_waitcnt lgkmcnt(0)
	buffer_store_dword v7, off, s[0:3], 0 offset:100
	buffer_store_dword v6, off, s[0:3], 0 offset:96
.LBB2118_215:                           ;   in Loop: Header=BB2118_182 Depth=1
	s_or_b64 exec, exec, s[28:29]
	ds_bpermute_b32 v37, v25, v0
	s_waitcnt vmcnt(8)
	ds_bpermute_b32 v36, v25, v35
	ds_bpermute_b32 v38, v25, v1
	;; [unrolled: 1-line block ×5, first 2 shown]
	v_cmp_le_u32_e32 vcc, v24, v34
	ds_bpermute_b32 v42, v25, v5
	ds_bpermute_b32 v43, v25, v6
	;; [unrolled: 1-line block ×3, first 2 shown]
	s_waitcnt lgkmcnt(8)
	buffer_store_dword v37, off, s[0:3], 0 offset:144
	s_waitcnt lgkmcnt(6)
	buffer_store_dword v38, off, s[0:3], 0 offset:148
	;; [unrolled: 2-line block ×8, first 2 shown]
	s_and_saveexec_b64 s[28:29], vcc
	s_cbranch_execz .LBB2118_223
; %bb.216:                              ;   in Loop: Header=BB2118_182 Depth=1
	v_cmp_eq_u16_sdwa s[36:37], v35, v29 src0_sel:BYTE_0 src1_sel:DWORD
	s_and_saveexec_b64 s[8:9], s[36:37]
	s_cbranch_execz .LBB2118_222
; %bb.217:                              ;   in Loop: Header=BB2118_182 Depth=1
	s_mov_b32 s11, 0
.LBB2118_218:                           ;   Parent Loop BB2118_182 Depth=1
                                        ; =>  This Inner Loop Header: Depth=2
	v_add_u32_e32 v0, s11, v15
	s_add_i32 s11, s11, 8
	s_cmp_lg_u32 s11, 32
	ds_write2_b32 v0, v29, v29 offset1:1
	s_cbranch_scc1 .LBB2118_218
; %bb.219:                              ;   in Loop: Header=BB2118_182 Depth=1
	s_mov_b32 s11, 0
.LBB2118_220:                           ;   Parent Loop BB2118_182 Depth=1
                                        ; =>  This Inner Loop Header: Depth=2
	v_add_u32_e32 v0, s11, v31
	v_add_u32_e32 v1, s11, v32
	buffer_load_dword v2, v0, s[0:3], 0 offen offset:4
	buffer_load_dword v3, v0, s[0:3], 0 offen
	buffer_load_dword v4, v1, s[0:3], 0 offen offset:4
	buffer_load_dword v5, v1, s[0:3], 0 offen
	v_add_u32_e32 v0, s11, v15
	s_add_i32 s11, s11, 8
	s_cmp_lg_u32 s11, 32
	s_waitcnt vmcnt(1)
	v_add_u32_e32 v1, v4, v2
	s_waitcnt vmcnt(0)
	v_add_u32_e32 v2, v5, v3
	ds_write2_b32 v0, v2, v1 offset1:1
	s_cbranch_scc1 .LBB2118_220
; %bb.221:                              ;   in Loop: Header=BB2118_182 Depth=1
	ds_read2_b32 v[0:1], v15 offset1:1
	ds_read2_b32 v[2:3], v15 offset0:2 offset1:3
	ds_read2_b32 v[4:5], v15 offset0:4 offset1:5
	;; [unrolled: 1-line block ×3, first 2 shown]
.LBB2118_222:                           ;   in Loop: Header=BB2118_182 Depth=1
	s_or_b64 exec, exec, s[8:9]
	v_and_b32_e32 v35, 1, v35
	v_cmp_eq_u32_e32 vcc, 1, v35
	v_and_b32_e32 v35, 1, v36
	v_cmp_eq_u32_e64 s[8:9], 1, v35
	s_or_b64 s[8:9], vcc, s[8:9]
	v_cndmask_b32_e64 v35, 0, 1, s[8:9]
	buffer_store_byte v35, off, s[0:3], 0 offset:104
	buffer_load_dword v35, off, s[0:3], 0 offset:104
	s_waitcnt lgkmcnt(3)
	buffer_store_dword v1, off, s[0:3], 0 offset:76
	buffer_store_dword v0, off, s[0:3], 0 offset:72
	s_waitcnt lgkmcnt(2)
	buffer_store_dword v3, off, s[0:3], 0 offset:84
	buffer_store_dword v2, off, s[0:3], 0 offset:80
	;; [unrolled: 3-line block ×4, first 2 shown]
.LBB2118_223:                           ;   in Loop: Header=BB2118_182 Depth=1
	s_or_b64 exec, exec, s[28:29]
	ds_bpermute_b32 v37, v27, v0
	s_waitcnt vmcnt(8)
	ds_bpermute_b32 v36, v27, v35
	ds_bpermute_b32 v38, v27, v1
	;; [unrolled: 1-line block ×5, first 2 shown]
	v_cmp_le_u32_e32 vcc, v26, v34
	ds_bpermute_b32 v42, v27, v5
	ds_bpermute_b32 v43, v27, v6
	;; [unrolled: 1-line block ×3, first 2 shown]
	s_waitcnt lgkmcnt(8)
	buffer_store_dword v37, off, s[0:3], 0 offset:144
	s_waitcnt lgkmcnt(6)
	buffer_store_dword v38, off, s[0:3], 0 offset:148
	;; [unrolled: 2-line block ×8, first 2 shown]
	s_and_saveexec_b64 s[28:29], vcc
	s_cbranch_execz .LBB2118_231
; %bb.224:                              ;   in Loop: Header=BB2118_182 Depth=1
	v_cmp_eq_u16_sdwa s[36:37], v35, v29 src0_sel:BYTE_0 src1_sel:DWORD
	s_and_saveexec_b64 s[8:9], s[36:37]
	s_cbranch_execz .LBB2118_230
; %bb.225:                              ;   in Loop: Header=BB2118_182 Depth=1
	s_mov_b32 s11, 0
.LBB2118_226:                           ;   Parent Loop BB2118_182 Depth=1
                                        ; =>  This Inner Loop Header: Depth=2
	v_add_u32_e32 v0, s11, v15
	s_add_i32 s11, s11, 8
	s_cmp_lg_u32 s11, 32
	ds_write2_b32 v0, v29, v29 offset1:1
	s_cbranch_scc1 .LBB2118_226
; %bb.227:                              ;   in Loop: Header=BB2118_182 Depth=1
	s_mov_b32 s11, 0
.LBB2118_228:                           ;   Parent Loop BB2118_182 Depth=1
                                        ; =>  This Inner Loop Header: Depth=2
	v_add_u32_e32 v0, s11, v31
	v_add_u32_e32 v1, s11, v32
	buffer_load_dword v2, v0, s[0:3], 0 offen offset:4
	buffer_load_dword v3, v0, s[0:3], 0 offen
	buffer_load_dword v4, v1, s[0:3], 0 offen offset:4
	buffer_load_dword v5, v1, s[0:3], 0 offen
	v_add_u32_e32 v0, s11, v15
	s_add_i32 s11, s11, 8
	s_cmp_lg_u32 s11, 32
	s_waitcnt vmcnt(1)
	v_add_u32_e32 v1, v4, v2
	s_waitcnt vmcnt(0)
	v_add_u32_e32 v2, v5, v3
	ds_write2_b32 v0, v2, v1 offset1:1
	s_cbranch_scc1 .LBB2118_228
; %bb.229:                              ;   in Loop: Header=BB2118_182 Depth=1
	ds_read2_b32 v[0:1], v15 offset1:1
	ds_read2_b32 v[2:3], v15 offset0:2 offset1:3
	ds_read2_b32 v[4:5], v15 offset0:4 offset1:5
	ds_read2_b32 v[6:7], v15 offset0:6 offset1:7
.LBB2118_230:                           ;   in Loop: Header=BB2118_182 Depth=1
	s_or_b64 exec, exec, s[8:9]
	v_and_b32_e32 v35, 1, v35
	v_cmp_eq_u32_e32 vcc, 1, v35
	v_and_b32_e32 v35, 1, v36
	v_cmp_eq_u32_e64 s[8:9], 1, v35
	s_or_b64 s[8:9], vcc, s[8:9]
	v_cndmask_b32_e64 v35, 0, 1, s[8:9]
	buffer_store_byte v35, off, s[0:3], 0 offset:104
	buffer_load_dword v35, off, s[0:3], 0 offset:104
	s_waitcnt lgkmcnt(3)
	buffer_store_dword v1, off, s[0:3], 0 offset:76
	buffer_store_dword v0, off, s[0:3], 0 offset:72
	s_waitcnt lgkmcnt(2)
	buffer_store_dword v3, off, s[0:3], 0 offset:84
	buffer_store_dword v2, off, s[0:3], 0 offset:80
	;; [unrolled: 3-line block ×4, first 2 shown]
.LBB2118_231:                           ;   in Loop: Header=BB2118_182 Depth=1
	s_or_b64 exec, exec, s[28:29]
	ds_bpermute_b32 v37, v9, v0
	s_waitcnt vmcnt(8)
	ds_bpermute_b32 v36, v9, v35
	ds_bpermute_b32 v38, v9, v1
	;; [unrolled: 1-line block ×4, first 2 shown]
	v_cmp_le_u32_e32 vcc, v28, v34
	v_and_b32_e32 v34, 1, v35
	ds_bpermute_b32 v41, v9, v4
	v_cmp_eq_u32_e64 s[8:9], 1, v34
	ds_bpermute_b32 v42, v9, v5
	ds_bpermute_b32 v43, v9, v6
	;; [unrolled: 1-line block ×3, first 2 shown]
	s_waitcnt lgkmcnt(8)
	buffer_store_dword v37, off, s[0:3], 0 offset:144
	s_waitcnt lgkmcnt(6)
	buffer_store_dword v38, off, s[0:3], 0 offset:148
	;; [unrolled: 2-line block ×8, first 2 shown]
	s_and_saveexec_b64 s[28:29], vcc
	s_cbranch_execz .LBB2118_239
; %bb.232:                              ;   in Loop: Header=BB2118_182 Depth=1
	v_cmp_eq_u16_sdwa s[40:41], v35, v29 src0_sel:BYTE_0 src1_sel:DWORD
	s_and_saveexec_b64 s[36:37], s[40:41]
	s_cbranch_execz .LBB2118_238
; %bb.233:                              ;   in Loop: Header=BB2118_182 Depth=1
	s_mov_b32 s11, 0
.LBB2118_234:                           ;   Parent Loop BB2118_182 Depth=1
                                        ; =>  This Inner Loop Header: Depth=2
	v_add_u32_e32 v0, s11, v15
	s_add_i32 s11, s11, 8
	s_cmp_lg_u32 s11, 32
	ds_write2_b32 v0, v29, v29 offset1:1
	s_cbranch_scc1 .LBB2118_234
; %bb.235:                              ;   in Loop: Header=BB2118_182 Depth=1
	s_mov_b32 s11, 0
.LBB2118_236:                           ;   Parent Loop BB2118_182 Depth=1
                                        ; =>  This Inner Loop Header: Depth=2
	v_add_u32_e32 v0, s11, v31
	v_add_u32_e32 v1, s11, v32
	buffer_load_dword v2, v0, s[0:3], 0 offen offset:4
	buffer_load_dword v3, v0, s[0:3], 0 offen
	buffer_load_dword v4, v1, s[0:3], 0 offen offset:4
	buffer_load_dword v5, v1, s[0:3], 0 offen
	v_add_u32_e32 v0, s11, v15
	s_add_i32 s11, s11, 8
	s_cmp_lg_u32 s11, 32
	s_waitcnt vmcnt(1)
	v_add_u32_e32 v1, v4, v2
	s_waitcnt vmcnt(0)
	v_add_u32_e32 v2, v5, v3
	ds_write2_b32 v0, v2, v1 offset1:1
	s_cbranch_scc1 .LBB2118_236
; %bb.237:                              ;   in Loop: Header=BB2118_182 Depth=1
	ds_read2_b32 v[0:1], v15 offset1:1
	ds_read2_b32 v[2:3], v15 offset0:2 offset1:3
	ds_read2_b32 v[4:5], v15 offset0:4 offset1:5
	;; [unrolled: 1-line block ×3, first 2 shown]
.LBB2118_238:                           ;   in Loop: Header=BB2118_182 Depth=1
	s_or_b64 exec, exec, s[36:37]
	v_and_b32_e32 v34, 1, v36
	v_cmp_eq_u32_e32 vcc, 1, v34
	s_or_b64 s[36:37], s[8:9], vcc
	v_cndmask_b32_e64 v34, 0, 1, s[36:37]
	s_andn2_b64 s[8:9], s[8:9], exec
	s_and_b64 s[36:37], s[36:37], exec
	s_or_b64 s[8:9], s[8:9], s[36:37]
	s_waitcnt lgkmcnt(3)
	buffer_store_dword v1, off, s[0:3], 0 offset:76
	buffer_store_dword v0, off, s[0:3], 0 offset:72
	s_waitcnt lgkmcnt(2)
	buffer_store_dword v3, off, s[0:3], 0 offset:84
	buffer_store_dword v2, off, s[0:3], 0 offset:80
	;; [unrolled: 3-line block ×4, first 2 shown]
	buffer_store_byte v34, off, s[0:3], 0 offset:104
.LBB2118_239:                           ;   in Loop: Header=BB2118_182 Depth=1
	s_or_b64 exec, exec, s[28:29]
	buffer_load_ubyte v34, off, s[0:3], 0 offset:68
                                        ; implicit-def: $vgpr6_vgpr7
                                        ; implicit-def: $vgpr4_vgpr5
                                        ; implicit-def: $vgpr2_vgpr3
                                        ; implicit-def: $vgpr0_vgpr1
	s_waitcnt vmcnt(0)
	v_cmp_ne_u16_e32 vcc, 0, v34
	s_and_saveexec_b64 s[28:29], vcc
	s_xor_b64 s[28:29], exec, s[28:29]
	s_cbranch_execz .LBB2118_241
; %bb.240:                              ;   in Loop: Header=BB2118_182 Depth=1
	buffer_load_dword v0, off, s[0:3], 0 offset:36
	buffer_load_dword v1, off, s[0:3], 0 offset:40
	;; [unrolled: 1-line block ×8, first 2 shown]
.LBB2118_241:                           ;   in Loop: Header=BB2118_182 Depth=1
	s_andn2_saveexec_b64 s[28:29], s[28:29]
	s_cbranch_execz .LBB2118_247
; %bb.242:                              ;   in Loop: Header=BB2118_182 Depth=1
	s_mov_b32 s11, 0
	s_waitcnt vmcnt(0)
.LBB2118_243:                           ;   Parent Loop BB2118_182 Depth=1
                                        ; =>  This Inner Loop Header: Depth=2
	v_add_u32_e32 v0, s11, v31
	s_add_i32 s11, s11, 8
	s_cmp_lg_u32 s11, 32
	buffer_store_dword v29, v0, s[0:3], 0 offen offset:4
	buffer_store_dword v29, v0, s[0:3], 0 offen
	s_cbranch_scc1 .LBB2118_243
; %bb.244:                              ;   in Loop: Header=BB2118_182 Depth=1
	s_mov_b32 s11, 0
.LBB2118_245:                           ;   Parent Loop BB2118_182 Depth=1
                                        ; =>  This Inner Loop Header: Depth=2
	v_add_u32_e32 v0, s11, v32
	v_add_u32_e32 v1, s11, v33
	buffer_load_dword v2, v0, s[0:3], 0 offen offset:4
	buffer_load_dword v3, v1, s[0:3], 0 offen
	buffer_load_dword v4, v0, s[0:3], 0 offen
	buffer_load_dword v5, v1, s[0:3], 0 offen offset:4
	v_add_u32_e32 v0, s11, v31
	s_add_i32 s11, s11, 8
	s_cmp_lg_u32 s11, 32
	s_waitcnt vmcnt(1)
	v_add_u32_e32 v1, v3, v4
	s_waitcnt vmcnt(0)
	v_add_u32_e32 v2, v5, v2
	buffer_store_dword v2, v0, s[0:3], 0 offen offset:4
	buffer_store_dword v1, v0, s[0:3], 0 offen
	s_cbranch_scc1 .LBB2118_245
; %bb.246:                              ;   in Loop: Header=BB2118_182 Depth=1
	buffer_load_dword v0, off, s[0:3], 0 offset:144
	buffer_load_dword v1, off, s[0:3], 0 offset:148
	;; [unrolled: 1-line block ×8, first 2 shown]
.LBB2118_247:                           ;   in Loop: Header=BB2118_182 Depth=1
	s_or_b64 exec, exec, s[28:29]
	v_and_b32_e32 v34, 1, v34
	v_cmp_eq_u32_e32 vcc, 1, v34
	s_or_b64 s[8:9], vcc, s[8:9]
	v_subrev_u32_e32 v10, 64, v10
	v_cndmask_b32_e64 v34, 0, 1, s[8:9]
	s_waitcnt vmcnt(6)
	buffer_store_dword v1, off, s[0:3], 0 offset:40
	buffer_store_dword v0, off, s[0:3], 0 offset:36
	s_waitcnt vmcnt(6)
	buffer_store_dword v3, off, s[0:3], 0 offset:48
	buffer_store_dword v2, off, s[0:3], 0 offset:44
	;; [unrolled: 3-line block ×4, first 2 shown]
	buffer_store_byte v34, off, s[0:3], 0 offset:68
	s_branch .LBB2118_182
.LBB2118_248:
	buffer_load_dword v1, off, s[0:3], 0 offset:40
	buffer_load_dword v0, off, s[0:3], 0 offset:36
	;; [unrolled: 1-line block ×9, first 2 shown]
	s_waitcnt vmcnt(8)
	buffer_store_dword v1, off, s[0:3], 0 offset:148
	s_waitcnt vmcnt(8)
	buffer_store_dword v0, off, s[0:3], 0 offset:144
	;; [unrolled: 2-line block ×9, first 2 shown]
	s_and_saveexec_b64 s[8:9], s[6:7]
	s_cbranch_execz .LBB2118_258
; %bb.249:
	buffer_load_ubyte v10, off, s[0:3], 0 offset:140
                                        ; implicit-def: $vgpr2_vgpr3
                                        ; implicit-def: $vgpr6_vgpr7
	s_waitcnt vmcnt(0)
	v_cmp_ne_u16_e32 vcc, 0, v10
	s_and_saveexec_b64 s[6:7], vcc
	s_xor_b64 s[6:7], exec, s[6:7]
	s_cbranch_execz .LBB2118_251
; %bb.250:
	buffer_load_dword v4, off, s[0:3], 0 offset:108
	buffer_load_dword v5, off, s[0:3], 0 offset:112
	;; [unrolled: 1-line block ×8, first 2 shown]
.LBB2118_251:
	s_andn2_saveexec_b64 s[6:7], s[6:7]
	s_cbranch_execz .LBB2118_257
; %bb.252:
	s_mov_b32 s11, 0
	s_waitcnt vmcnt(3)
	v_mov_b32_e32 v0, 0
	s_waitcnt vmcnt(2)
	v_mov_b32_e32 v1, 0
	s_waitcnt vmcnt(0)
.LBB2118_253:                           ; =>This Inner Loop Header: Depth=1
	v_add_u32_e32 v2, s11, v0
	s_add_i32 s11, s11, 8
	s_cmp_lg_u32 s11, 32
	buffer_store_dword v1, v2, s[0:3], 0 offen offset:4
	buffer_store_dword v1, v2, s[0:3], 0 offen
	s_cbranch_scc1 .LBB2118_253
; %bb.254:
	s_mov_b32 s11, 0
	v_mov_b32_e32 v0, 0x90
	v_mov_b32_e32 v1, 0x6c
	;; [unrolled: 1-line block ×3, first 2 shown]
.LBB2118_255:                           ; =>This Inner Loop Header: Depth=1
	v_add_u32_e32 v3, s11, v0
	v_add_u32_e32 v4, s11, v1
	buffer_load_dword v5, v3, s[0:3], 0 offen offset:4
	buffer_load_dword v6, v4, s[0:3], 0 offen
	buffer_load_dword v7, v3, s[0:3], 0 offen
	buffer_load_dword v12, v4, s[0:3], 0 offen offset:4
	v_add_u32_e32 v3, s11, v2
	s_add_i32 s11, s11, 8
	s_cmp_lg_u32 s11, 32
	s_waitcnt vmcnt(1)
	v_add_u32_e32 v4, v6, v7
	s_waitcnt vmcnt(0)
	v_add_u32_e32 v5, v12, v5
	buffer_store_dword v5, v3, s[0:3], 0 offen offset:4
	buffer_store_dword v4, v3, s[0:3], 0 offen
	s_cbranch_scc1 .LBB2118_255
; %bb.256:
	buffer_load_dword v4, off, s[0:3], 0
	buffer_load_dword v5, off, s[0:3], 0 offset:4
	buffer_load_dword v6, off, s[0:3], 0 offset:8
	buffer_load_dword v7, off, s[0:3], 0 offset:12
	buffer_load_dword v0, off, s[0:3], 0 offset:16
	buffer_load_dword v1, off, s[0:3], 0 offset:20
	buffer_load_dword v2, off, s[0:3], 0 offset:24
	buffer_load_dword v3, off, s[0:3], 0 offset:28
.LBB2118_257:
	s_or_b64 exec, exec, s[6:7]
	s_add_i32 s10, s10, 64
	s_mul_i32 s6, s10, 36
	s_mul_hi_u32 s7, s10, 36
	s_add_u32 s6, s18, s6
	v_or_b32_e32 v9, v10, v9
	s_addc_u32 s7, s19, s7
	v_mov_b32_e32 v10, 0
	v_and_b32_e32 v9, 1, v9
	s_waitcnt vmcnt(4)
	global_store_dwordx4 v10, v[4:7], s[6:7]
	s_waitcnt vmcnt(1)
	global_store_dwordx4 v10, v[0:3], s[6:7] offset:16
	global_store_byte v10, v9, s[6:7] offset:32
	v_mov_b32_e32 v0, s10
	v_mov_b32_e32 v1, 2
	s_waitcnt vmcnt(0)
	buffer_wbinvl1_vol
	global_store_byte v0, v1, s[20:21]
	buffer_load_dword v0, off, s[0:3], 0 offset:144
	s_nop 0
	buffer_load_dword v1, off, s[0:3], 0 offset:148
	buffer_load_dword v2, off, s[0:3], 0 offset:152
	;; [unrolled: 1-line block ×7, first 2 shown]
	buffer_load_ubyte v9, off, s[0:3], 0 offset:176
.LBB2118_258:
	s_or_b64 exec, exec, s[8:9]
	v_cmp_eq_u32_e32 vcc, 0, v8
	s_and_b64 exec, exec, vcc
	s_cbranch_execz .LBB2118_260
; %bb.259:
	v_mov_b32_e32 v10, 0
	s_waitcnt vmcnt(7)
	ds_write2_b32 v10, v0, v1 offset0:27 offset1:28
	s_waitcnt vmcnt(5)
	ds_write2_b32 v10, v2, v3 offset0:29 offset1:30
	;; [unrolled: 2-line block ×4, first 2 shown]
	s_waitcnt vmcnt(0)
	ds_write_b8 v10, v9 offset:140
.LBB2118_260:
	s_or_b64 exec, exec, s[26:27]
	s_waitcnt lgkmcnt(0)
	s_barrier
	buffer_load_ubyte v10, off, s[0:3], 0 offset:320
	s_waitcnt vmcnt(9)
	v_mov_b32_e32 v0, 0
	s_waitcnt vmcnt(6)
	ds_read2_b32 v[2:3], v0 offset0:27 offset1:28
	s_waitcnt vmcnt(1)
	ds_read_b32 v9, v0 offset:140
	ds_read2_b32 v[4:5], v0 offset0:29 offset1:30
	ds_read2_b32 v[6:7], v0 offset0:31 offset1:32
	;; [unrolled: 1-line block ×3, first 2 shown]
	v_cmp_ne_u32_e32 vcc, 0, v8
	s_waitcnt lgkmcnt(4)
	buffer_store_dword v3, off, s[0:3], 0 offset:148
	buffer_store_dword v2, off, s[0:3], 0 offset:144
	s_waitcnt lgkmcnt(2)
	buffer_store_dword v5, off, s[0:3], 0 offset:156
	buffer_store_dword v4, off, s[0:3], 0 offset:152
	;; [unrolled: 3-line block ×4, first 2 shown]
	buffer_store_dword v9, off, s[0:3], 0 offset:176
	s_and_saveexec_b64 s[6:7], vcc
	s_cbranch_execz .LBB2118_270
; %bb.261:
	s_waitcnt vmcnt(9)
	v_cmp_ne_u16_sdwa s[8:9], v10, v0 src0_sel:BYTE_0 src1_sel:DWORD
                                        ; implicit-def: $vgpr6_vgpr7
                                        ; implicit-def: $vgpr4_vgpr5
                                        ; implicit-def: $vgpr2_vgpr3
                                        ; implicit-def: $vgpr0_vgpr1
	s_and_saveexec_b64 s[10:11], s[8:9]
	s_xor_b64 s[8:9], exec, s[10:11]
	s_cbranch_execz .LBB2118_263
; %bb.262:
	buffer_load_dword v0, off, s[0:3], 0 offset:288
	buffer_load_dword v1, off, s[0:3], 0 offset:292
	;; [unrolled: 1-line block ×8, first 2 shown]
.LBB2118_263:
	s_andn2_saveexec_b64 s[8:9], s[8:9]
	s_cbranch_execz .LBB2118_269
; %bb.264:
	s_mov_b32 s10, 0
	s_waitcnt vmcnt(7)
	v_mov_b32_e32 v0, 0
	s_waitcnt vmcnt(6)
	v_mov_b32_e32 v1, 0
	s_waitcnt vmcnt(0)
.LBB2118_265:                           ; =>This Inner Loop Header: Depth=1
	v_add_u32_e32 v2, s10, v0
	s_add_i32 s10, s10, 8
	s_cmp_lg_u32 s10, 32
	buffer_store_dword v1, v2, s[0:3], 0 offen offset:4
	buffer_store_dword v1, v2, s[0:3], 0 offen
	s_cbranch_scc1 .LBB2118_265
; %bb.266:
	s_mov_b32 s10, 0
	v_mov_b32_e32 v0, 0xf0
	v_mov_b32_e32 v1, 0x120
	;; [unrolled: 1-line block ×3, first 2 shown]
.LBB2118_267:                           ; =>This Inner Loop Header: Depth=1
	v_add_u32_e32 v3, s10, v0
	v_add_u32_e32 v4, s10, v1
	buffer_load_dword v5, v3, s[0:3], 0 offen offset:4
	buffer_load_dword v6, v4, s[0:3], 0 offen
	buffer_load_dword v7, v3, s[0:3], 0 offen
	buffer_load_dword v12, v4, s[0:3], 0 offen offset:4
	v_add_u32_e32 v3, s10, v2
	s_add_i32 s10, s10, 8
	s_cmp_lg_u32 s10, 32
	s_waitcnt vmcnt(1)
	v_add_u32_e32 v4, v6, v7
	s_waitcnt vmcnt(0)
	v_add_u32_e32 v5, v12, v5
	buffer_store_dword v5, v3, s[0:3], 0 offen offset:4
	buffer_store_dword v4, v3, s[0:3], 0 offen
	s_cbranch_scc1 .LBB2118_267
; %bb.268:
	buffer_load_dword v0, off, s[0:3], 0
	buffer_load_dword v1, off, s[0:3], 0 offset:4
	buffer_load_dword v2, off, s[0:3], 0 offset:8
	;; [unrolled: 1-line block ×7, first 2 shown]
.LBB2118_269:
	s_or_b64 exec, exec, s[8:9]
	v_and_b32_e32 v10, 1, v10
	v_cmp_eq_u32_e32 vcc, 1, v10
	s_or_b64 s[8:9], vcc, s[12:13]
	v_cndmask_b32_e64 v10, 0, 1, s[8:9]
	s_waitcnt vmcnt(6)
	buffer_store_dword v1, off, s[0:3], 0 offset:292
	buffer_store_dword v0, off, s[0:3], 0 offset:288
	s_waitcnt vmcnt(6)
	buffer_store_dword v3, off, s[0:3], 0 offset:300
	buffer_store_dword v2, off, s[0:3], 0 offset:296
	;; [unrolled: 3-line block ×4, first 2 shown]
.LBB2118_270:
	s_or_b64 exec, exec, s[6:7]
	v_mov_b32_e32 v0, 0
	s_waitcnt vmcnt(9)
	v_cmp_ne_u16_sdwa s[6:7], v10, v0 src0_sel:BYTE_0 src1_sel:DWORD
                                        ; implicit-def: $vgpr6_vgpr7
                                        ; implicit-def: $vgpr4_vgpr5
                                        ; implicit-def: $vgpr2_vgpr3
                                        ; implicit-def: $vgpr0_vgpr1
	s_and_saveexec_b64 s[8:9], s[6:7]
	s_xor_b64 s[6:7], exec, s[8:9]
	s_cbranch_execz .LBB2118_272
; %bb.271:
	buffer_load_dword v0, off, s[0:3], 0 offset:288
	buffer_load_dword v1, off, s[0:3], 0 offset:292
	;; [unrolled: 1-line block ×8, first 2 shown]
.LBB2118_272:
	s_andn2_saveexec_b64 s[6:7], s[6:7]
	s_cbranch_execz .LBB2118_278
; %bb.273:
	s_mov_b32 s8, 0
	s_waitcnt vmcnt(7)
	v_mov_b32_e32 v0, 0
	s_waitcnt vmcnt(6)
	v_mov_b32_e32 v1, 0
	s_waitcnt vmcnt(0)
.LBB2118_274:                           ; =>This Inner Loop Header: Depth=1
	v_add_u32_e32 v2, s8, v0
	s_add_i32 s8, s8, 8
	s_cmp_lg_u32 s8, 32
	buffer_store_dword v1, v2, s[0:3], 0 offen offset:4
	buffer_store_dword v1, v2, s[0:3], 0 offen
	s_cbranch_scc1 .LBB2118_274
; %bb.275:
	s_mov_b32 s8, 0
	v_mov_b32_e32 v0, 0x90
	v_mov_b32_e32 v1, 0x120
	;; [unrolled: 1-line block ×3, first 2 shown]
.LBB2118_276:                           ; =>This Inner Loop Header: Depth=1
	v_add_u32_e32 v3, s8, v0
	v_add_u32_e32 v4, s8, v1
	buffer_load_dword v5, v3, s[0:3], 0 offen offset:4
	buffer_load_dword v6, v4, s[0:3], 0 offen
	buffer_load_dword v7, v3, s[0:3], 0 offen
	buffer_load_dword v12, v4, s[0:3], 0 offen offset:4
	v_add_u32_e32 v3, s8, v2
	s_add_i32 s8, s8, 8
	s_cmp_lg_u32 s8, 32
	s_waitcnt vmcnt(1)
	v_add_u32_e32 v4, v6, v7
	s_waitcnt vmcnt(0)
	v_add_u32_e32 v5, v12, v5
	buffer_store_dword v5, v3, s[0:3], 0 offen offset:4
	buffer_store_dword v4, v3, s[0:3], 0 offen
	s_cbranch_scc1 .LBB2118_276
; %bb.277:
	buffer_load_dword v0, off, s[0:3], 0
	buffer_load_dword v1, off, s[0:3], 0 offset:4
	buffer_load_dword v2, off, s[0:3], 0 offset:8
	buffer_load_dword v3, off, s[0:3], 0 offset:12
	buffer_load_dword v4, off, s[0:3], 0 offset:16
	buffer_load_dword v5, off, s[0:3], 0 offset:20
	buffer_load_dword v6, off, s[0:3], 0 offset:24
	buffer_load_dword v7, off, s[0:3], 0 offset:28
.LBB2118_278:
	s_or_b64 exec, exec, s[6:7]
	buffer_load_ubyte v12, off, s[0:3], 0 offset:356
	v_or_b32_e32 v9, v10, v9
	v_and_b32_e32 v9, 1, v9
	v_cmp_eq_u32_e32 vcc, 1, v9
	s_waitcnt vmcnt(7)
	buffer_store_dword v1, off, s[0:3], 0 offset:292
	buffer_store_dword v0, off, s[0:3], 0 offset:288
	s_waitcnt vmcnt(7)
	buffer_store_dword v3, off, s[0:3], 0 offset:300
	buffer_store_dword v2, off, s[0:3], 0 offset:296
	;; [unrolled: 3-line block ×4, first 2 shown]
	buffer_store_byte v9, off, s[0:3], 0 offset:320
                                        ; implicit-def: $vgpr6_vgpr7
                                        ; implicit-def: $vgpr4_vgpr5
                                        ; implicit-def: $vgpr2_vgpr3
                                        ; implicit-def: $vgpr0_vgpr1
	s_waitcnt vmcnt(9)
	v_cmp_ne_u16_e64 s[6:7], 0, v12
	s_and_saveexec_b64 s[8:9], s[6:7]
	s_xor_b64 s[6:7], exec, s[8:9]
	s_cbranch_execz .LBB2118_280
; %bb.279:
	buffer_load_dword v0, off, s[0:3], 0 offset:324
	buffer_load_dword v1, off, s[0:3], 0 offset:328
	;; [unrolled: 1-line block ×8, first 2 shown]
.LBB2118_280:
	s_andn2_saveexec_b64 s[6:7], s[6:7]
	s_cbranch_execz .LBB2118_286
; %bb.281:
	s_mov_b32 s8, 0
	s_waitcnt vmcnt(7)
	v_mov_b32_e32 v0, 0
	s_waitcnt vmcnt(6)
	v_mov_b32_e32 v1, 0
	s_waitcnt vmcnt(0)
.LBB2118_282:                           ; =>This Inner Loop Header: Depth=1
	v_add_u32_e32 v2, s8, v0
	s_add_i32 s8, s8, 8
	s_cmp_lg_u32 s8, 32
	buffer_store_dword v1, v2, s[0:3], 0 offen offset:4
	buffer_store_dword v1, v2, s[0:3], 0 offen
	s_cbranch_scc1 .LBB2118_282
; %bb.283:
	s_mov_b32 s8, 0
	v_mov_b32_e32 v0, 0x120
	v_mov_b32_e32 v1, 0
.LBB2118_284:                           ; =>This Inner Loop Header: Depth=1
	v_add_u32_e32 v2, s8, v0
	buffer_load_dword v3, v2, s[0:3], 0 offen
	buffer_load_dword v4, v2, s[0:3], 0 offen offset:4
	buffer_load_dword v5, v2, s[0:3], 0 offen offset:36
	;; [unrolled: 1-line block ×3, first 2 shown]
	v_add_u32_e32 v2, s8, v1
	s_add_i32 s8, s8, 8
	s_cmp_lg_u32 s8, 32
	s_waitcnt vmcnt(1)
	v_add_u32_e32 v3, v5, v3
	s_waitcnt vmcnt(0)
	v_add_u32_e32 v4, v6, v4
	buffer_store_dword v4, v2, s[0:3], 0 offen offset:4
	buffer_store_dword v3, v2, s[0:3], 0 offen
	s_cbranch_scc1 .LBB2118_284
; %bb.285:
	buffer_load_dword v0, off, s[0:3], 0
	buffer_load_dword v1, off, s[0:3], 0 offset:4
	buffer_load_dword v2, off, s[0:3], 0 offset:8
	;; [unrolled: 1-line block ×7, first 2 shown]
.LBB2118_286:
	s_or_b64 exec, exec, s[6:7]
	buffer_load_ubyte v9, off, s[0:3], 0 offset:392
	v_and_b32_e32 v10, 1, v12
	v_cmp_eq_u32_e64 s[6:7], 1, v10
	s_or_b64 s[6:7], s[6:7], vcc
	v_cndmask_b32_e64 v10, 0, 1, s[6:7]
	s_waitcnt vmcnt(7)
	buffer_store_dword v1, off, s[0:3], 0 offset:328
	buffer_store_dword v0, off, s[0:3], 0 offset:324
	s_waitcnt vmcnt(7)
	buffer_store_dword v3, off, s[0:3], 0 offset:336
	buffer_store_dword v2, off, s[0:3], 0 offset:332
	s_waitcnt vmcnt(7)
	buffer_store_dword v5, off, s[0:3], 0 offset:344
	buffer_store_dword v4, off, s[0:3], 0 offset:340
	s_waitcnt vmcnt(7)
	buffer_store_dword v7, off, s[0:3], 0 offset:352
	buffer_store_dword v6, off, s[0:3], 0 offset:348
	buffer_store_byte v10, off, s[0:3], 0 offset:356
                                        ; implicit-def: $vgpr6_vgpr7
                                        ; implicit-def: $vgpr4_vgpr5
                                        ; implicit-def: $vgpr2_vgpr3
                                        ; implicit-def: $vgpr0_vgpr1
	s_waitcnt vmcnt(9)
	v_cmp_ne_u16_e32 vcc, 0, v9
	s_and_saveexec_b64 s[8:9], vcc
	s_xor_b64 s[8:9], exec, s[8:9]
	s_cbranch_execz .LBB2118_288
; %bb.287:
	buffer_load_dword v0, off, s[0:3], 0 offset:360
	buffer_load_dword v1, off, s[0:3], 0 offset:364
	buffer_load_dword v2, off, s[0:3], 0 offset:368
	buffer_load_dword v3, off, s[0:3], 0 offset:372
	buffer_load_dword v4, off, s[0:3], 0 offset:376
	buffer_load_dword v5, off, s[0:3], 0 offset:380
	buffer_load_dword v6, off, s[0:3], 0 offset:384
	buffer_load_dword v7, off, s[0:3], 0 offset:388
.LBB2118_288:
	s_andn2_saveexec_b64 s[8:9], s[8:9]
	s_cbranch_execz .LBB2118_294
; %bb.289:
	s_mov_b32 s10, 0
	s_waitcnt vmcnt(7)
	v_mov_b32_e32 v0, 0
	s_waitcnt vmcnt(6)
	v_mov_b32_e32 v1, 0
	s_waitcnt vmcnt(0)
.LBB2118_290:                           ; =>This Inner Loop Header: Depth=1
	v_add_u32_e32 v2, s10, v0
	s_add_i32 s10, s10, 8
	s_cmp_lg_u32 s10, 32
	buffer_store_dword v1, v2, s[0:3], 0 offen offset:4
	buffer_store_dword v1, v2, s[0:3], 0 offen
	s_cbranch_scc1 .LBB2118_290
; %bb.291:
	s_mov_b32 s10, 0
	v_mov_b32_e32 v0, 0x120
	v_mov_b32_e32 v1, 0
.LBB2118_292:                           ; =>This Inner Loop Header: Depth=1
	v_add_u32_e32 v2, s10, v0
	buffer_load_dword v3, v2, s[0:3], 0 offen offset:36
	buffer_load_dword v4, v2, s[0:3], 0 offen offset:40
	buffer_load_dword v5, v2, s[0:3], 0 offen offset:72
	buffer_load_dword v6, v2, s[0:3], 0 offen offset:76
	v_add_u32_e32 v2, s10, v1
	s_add_i32 s10, s10, 8
	s_cmp_lg_u32 s10, 32
	s_waitcnt vmcnt(1)
	v_add_u32_e32 v3, v5, v3
	s_waitcnt vmcnt(0)
	v_add_u32_e32 v4, v6, v4
	buffer_store_dword v4, v2, s[0:3], 0 offen offset:4
	buffer_store_dword v3, v2, s[0:3], 0 offen
	s_cbranch_scc1 .LBB2118_292
; %bb.293:
	buffer_load_dword v0, off, s[0:3], 0
	buffer_load_dword v1, off, s[0:3], 0 offset:4
	buffer_load_dword v2, off, s[0:3], 0 offset:8
	;; [unrolled: 1-line block ×7, first 2 shown]
.LBB2118_294:
	s_or_b64 exec, exec, s[8:9]
	v_and_b32_e32 v9, 1, v9
	v_cmp_eq_u32_e32 vcc, 1, v9
	s_or_b64 s[6:7], vcc, s[6:7]
	v_cndmask_b32_e64 v9, 0, 1, s[6:7]
	s_waitcnt vmcnt(6)
	buffer_store_dword v1, off, s[0:3], 0 offset:364
	buffer_store_dword v0, off, s[0:3], 0 offset:360
	s_waitcnt vmcnt(6)
	buffer_store_dword v3, off, s[0:3], 0 offset:372
	buffer_store_dword v2, off, s[0:3], 0 offset:368
	;; [unrolled: 3-line block ×4, first 2 shown]
	buffer_store_byte v9, off, s[0:3], 0 offset:392
	s_branch .LBB2118_472
.LBB2118_295:
	v_pk_mov_b32 v[0:1], s[26:27], s[26:27] op_sel:[0,1]
	flat_load_dword v1, v[0:1]
	s_add_i32 s50, s23, s22
	v_cmp_gt_u32_e64 s[12:13], s50, v8
	s_waitcnt vmcnt(0) lgkmcnt(0)
	v_mov_b32_e32 v0, v1
	s_and_saveexec_b64 s[6:7], s[12:13]
	s_cbranch_execz .LBB2118_297
; %bb.296:
	v_lshlrev_b32_e32 v0, 2, v8
	v_mov_b32_e32 v5, s27
	v_add_co_u32_e32 v4, vcc, s26, v0
	v_addc_co_u32_e32 v5, vcc, 0, v5, vcc
	flat_load_dword v0, v[4:5]
.LBB2118_297:
	s_or_b64 exec, exec, s[6:7]
	v_or_b32_e32 v7, 0x100, v8
	v_cmp_gt_u32_e64 s[8:9], s50, v7
	v_mov_b32_e32 v4, v1
	s_and_saveexec_b64 s[6:7], s[8:9]
	s_cbranch_execz .LBB2118_299
; %bb.298:
	v_lshlrev_b32_e32 v4, 2, v8
	v_mov_b32_e32 v5, s27
	v_add_co_u32_e32 v4, vcc, s26, v4
	v_addc_co_u32_e32 v5, vcc, 0, v5, vcc
	flat_load_dword v4, v[4:5] offset:1024
.LBB2118_299:
	s_or_b64 exec, exec, s[6:7]
	v_or_b32_e32 v6, 0x200, v8
	v_cmp_gt_u32_e64 s[6:7], s50, v6
	v_cmp_le_u32_e32 vcc, s50, v6
	s_and_saveexec_b64 s[36:37], vcc
	s_xor_b64 s[36:37], exec, s[36:37]
; %bb.300:
	v_mov_b32_e32 v9, 0
; %bb.301:
	s_andn2_saveexec_b64 s[36:37], s[36:37]
	s_cbranch_execz .LBB2118_303
; %bb.302:
	v_lshlrev_b32_e32 v1, 2, v8
	v_mov_b32_e32 v5, s27
	v_add_co_u32_e32 v12, vcc, s26, v1
	v_addc_co_u32_e32 v13, vcc, 0, v5, vcc
	flat_load_dword v1, v[12:13] offset:2048
	v_mov_b32_e32 v9, 0
.LBB2118_303:
	s_or_b64 exec, exec, s[36:37]
	v_lshlrev_b32_e32 v5, 2, v8
	v_lshlrev_b32_e32 v10, 3, v8
	v_add_u32_e32 v12, v5, v10
	s_waitcnt vmcnt(0) lgkmcnt(0)
	ds_write2st64_b32 v5, v0, v4 offset1:4
	ds_write_b32 v5, v1 offset:2048
	s_waitcnt lgkmcnt(0)
	s_barrier
	ds_read2_b32 v[0:1], v12 offset1:1
	ds_read_b32 v4, v12 offset:8
	s_cmp_eq_u64 s[28:29], 0
	s_mov_b64 s[36:37], s[26:27]
	s_cbranch_scc1 .LBB2118_307
; %bb.304:
	s_andn2_b64 vcc, exec, s[40:41]
	s_cbranch_vccnz .LBB2118_495
; %bb.305:
	s_lshl_b64 s[36:37], s[28:29], 2
	s_add_u32 s36, s42, s36
	s_addc_u32 s37, s43, s37
	s_add_u32 s36, s36, -4
	s_addc_u32 s37, s37, -1
	s_cbranch_execnz .LBB2118_307
.LBB2118_306:
	s_add_u32 s36, s26, -4
	s_addc_u32 s37, s27, -1
.LBB2118_307:
	v_pk_mov_b32 v[18:19], s[36:37], s[36:37] op_sel:[0,1]
	flat_load_dword v5, v[18:19]
	v_sub_u32_e32 v10, v12, v10
	v_cmp_ne_u32_e32 vcc, 0, v8
	s_waitcnt lgkmcnt(0)
	ds_write_b32 v10, v4 offset:3072
	s_waitcnt lgkmcnt(0)
	s_barrier
	s_and_saveexec_b64 s[36:37], vcc
	s_cbranch_execz .LBB2118_309
; %bb.308:
	s_waitcnt vmcnt(0)
	ds_read_b32 v5, v10 offset:3068
.LBB2118_309:
	s_or_b64 exec, exec, s[36:37]
	s_waitcnt lgkmcnt(0)
	s_barrier
	s_and_saveexec_b64 s[36:37], s[12:13]
	s_cbranch_execnz .LBB2118_493
; %bb.310:
	s_or_b64 exec, exec, s[36:37]
	s_and_saveexec_b64 s[12:13], s[8:9]
	s_cbranch_execnz .LBB2118_494
.LBB2118_311:
	s_or_b64 exec, exec, s[12:13]
	s_and_saveexec_b64 s[8:9], s[6:7]
	s_cbranch_execz .LBB2118_313
.LBB2118_312:
	v_lshlrev_b32_e32 v6, 5, v6
	v_mov_b32_e32 v7, s33
	v_add_co_u32_e32 v6, vcc, s11, v6
	v_addc_co_u32_e32 v7, vcc, 0, v7, vcc
	flat_load_dwordx4 v[18:21], v[6:7]
	flat_load_dwordx4 v[22:25], v[6:7] offset:16
	s_waitcnt vmcnt(0) lgkmcnt(0)
	buffer_store_dword v19, off, s[0:3], 0 offset:212
	buffer_store_dword v18, off, s[0:3], 0 offset:208
	;; [unrolled: 1-line block ×8, first 2 shown]
.LBB2118_313:
	s_or_b64 exec, exec, s[8:9]
	buffer_load_dword v18, off, s[0:3], 0 offset:144
	buffer_load_dword v19, off, s[0:3], 0 offset:148
	;; [unrolled: 1-line block ×8, first 2 shown]
	buffer_load_dword v26, v3, s[0:3], 0 offen
	buffer_load_dword v27, v3, s[0:3], 0 offen offset:4
	buffer_load_dword v28, v3, s[0:3], 0 offen offset:8
	;; [unrolled: 1-line block ×7, first 2 shown]
	buffer_load_dword v34, v2, s[0:3], 0 offen
	buffer_load_dword v35, v2, s[0:3], 0 offen offset:4
	buffer_load_dword v36, v2, s[0:3], 0 offen offset:8
	;; [unrolled: 1-line block ×7, first 2 shown]
	v_mad_u32_u24 v9, v8, 28, v10
	v_lshl_add_u32 v7, v8, 6, v9
	v_mul_u32_u24_e32 v6, 3, v8
	s_mov_b64 s[8:9], 0
	v_cmp_gt_u32_e32 vcc, s50, v6
	s_mov_b64 s[12:13], 0
                                        ; implicit-def: $sgpr6_sgpr7
	s_waitcnt vmcnt(0)
	ds_write_b128 v9, v[18:21]
	ds_write_b128 v9, v[22:25] offset:16
	ds_write_b128 v9, v[26:29] offset:8192
	;; [unrolled: 1-line block ×5, first 2 shown]
	s_waitcnt lgkmcnt(0)
	s_barrier
	ds_read_b128 v[18:21], v7 offset:32
	ds_read_b128 v[22:25], v7 offset:48
	;; [unrolled: 1-line block ×4, first 2 shown]
	s_waitcnt lgkmcnt(3)
	buffer_store_dword v21, v3, s[0:3], 0 offen offset:12
	buffer_store_dword v20, v3, s[0:3], 0 offen offset:8
	buffer_store_dword v19, v3, s[0:3], 0 offen offset:4
	buffer_store_dword v18, v3, s[0:3], 0 offen
	s_waitcnt lgkmcnt(2)
	buffer_store_dword v25, v3, s[0:3], 0 offen offset:28
	buffer_store_dword v24, v3, s[0:3], 0 offen offset:24
	;; [unrolled: 1-line block ×4, first 2 shown]
	s_waitcnt lgkmcnt(1)
	buffer_store_dword v29, v2, s[0:3], 0 offen offset:12
	buffer_store_dword v28, v2, s[0:3], 0 offen offset:8
	;; [unrolled: 1-line block ×3, first 2 shown]
	buffer_store_dword v26, v2, s[0:3], 0 offen
	s_waitcnt lgkmcnt(0)
	buffer_store_dword v33, v2, s[0:3], 0 offen offset:28
	buffer_store_dword v32, v2, s[0:3], 0 offen offset:24
	;; [unrolled: 1-line block ×4, first 2 shown]
	s_and_saveexec_b64 s[36:37], vcc
	s_cbranch_execz .LBB2118_317
; %bb.314:
	ds_read_b128 v[18:21], v7
	ds_read_b128 v[22:25], v7 offset:16
	v_cmp_ne_u32_e32 vcc, v5, v0
	v_add_u32_e32 v9, 1, v6
	v_cndmask_b32_e64 v5, 0, 1, vcc
	v_cmp_gt_u32_e32 vcc, s50, v9
	s_mov_b64 s[46:47], 0
	s_waitcnt lgkmcnt(1)
	buffer_store_dword v21, off, s[0:3], 0 offset:300
	buffer_store_dword v20, off, s[0:3], 0 offset:296
	;; [unrolled: 1-line block ×4, first 2 shown]
	s_waitcnt lgkmcnt(0)
	buffer_store_dword v25, off, s[0:3], 0 offset:316
	buffer_store_dword v24, off, s[0:3], 0 offset:312
	;; [unrolled: 1-line block ×4, first 2 shown]
	buffer_store_byte v5, off, s[0:3], 0 offset:320
                                        ; implicit-def: $sgpr48_sgpr49
	s_and_saveexec_b64 s[6:7], vcc
	s_xor_b64 s[12:13], exec, s[6:7]
	s_cbranch_execz .LBB2118_316
; %bb.315:
	v_add_u32_e32 v7, 32, v7
	v_cmp_ne_u32_e32 vcc, v1, v4
	ds_read2_b32 v[4:5], v7 offset0:6 offset1:7
	ds_read2_b32 v[12:13], v7 offset0:4 offset1:5
	;; [unrolled: 1-line block ×3, first 2 shown]
	ds_read2_b32 v[20:21], v7 offset1:1
	v_cmp_ne_u32_e64 s[6:7], v0, v1
	v_add_u32_e32 v1, 2, v6
	v_cndmask_b32_e64 v0, 0, 1, s[6:7]
	v_cmp_gt_u32_e64 s[6:7], s50, v1
	s_waitcnt lgkmcnt(1)
	buffer_store_dword v19, v11, s[0:3], 0 offen offset:12
	buffer_store_dword v18, v11, s[0:3], 0 offen offset:8
	s_waitcnt lgkmcnt(0)
	buffer_store_dword v21, v11, s[0:3], 0 offen offset:4
	buffer_store_dword v20, v11, s[0:3], 0 offen
	buffer_store_dword v5, v11, s[0:3], 0 offen offset:28
	buffer_store_dword v4, v11, s[0:3], 0 offen offset:24
	;; [unrolled: 1-line block ×4, first 2 shown]
	buffer_store_byte v0, off, s[0:3], 0 offset:356
	s_and_b64 s[48:49], vcc, exec
	s_and_b64 s[46:47], s[6:7], exec
.LBB2118_316:
	s_or_b64 exec, exec, s[12:13]
	s_and_b64 s[6:7], s[48:49], exec
	s_and_b64 s[12:13], s[46:47], exec
.LBB2118_317:
	s_or_b64 exec, exec, s[36:37]
	s_and_b64 vcc, exec, s[8:9]
	s_cbranch_vccz .LBB2118_14
.LBB2118_318:
	v_lshlrev_b32_e32 v4, 2, v8
	v_mov_b32_e32 v1, s27
	v_add_co_u32_e32 v0, vcc, s26, v4
	v_addc_co_u32_e32 v1, vcc, 0, v1, vcc
	flat_load_dword v6, v[0:1]
	flat_load_dword v9, v[0:1] offset:1024
	flat_load_dword v10, v[0:1] offset:2048
	v_lshlrev_b32_e32 v5, 3, v8
	v_add_u32_e32 v7, v4, v5
	s_cmp_eq_u64 s[28:29], 0
	s_waitcnt vmcnt(0) lgkmcnt(0)
	ds_write2st64_b32 v4, v6, v9 offset1:4
	ds_write_b32 v4, v10 offset:2048
	s_waitcnt lgkmcnt(0)
	s_barrier
	ds_read2_b32 v[0:1], v7 offset1:1
	ds_read_b32 v4, v7 offset:8
	s_cbranch_scc1 .LBB2118_323
; %bb.319:
	s_andn2_b64 vcc, exec, s[40:41]
	s_cbranch_vccnz .LBB2118_496
; %bb.320:
	s_lshl_b64 s[6:7], s[28:29], 2
	s_add_u32 s6, s42, s6
	s_addc_u32 s7, s43, s7
	s_add_u32 s6, s6, -4
	s_addc_u32 s7, s7, -1
	s_cbranch_execnz .LBB2118_322
.LBB2118_321:
	s_add_u32 s6, s26, -4
	s_addc_u32 s7, s27, -1
.LBB2118_322:
	s_mov_b64 s[26:27], s[6:7]
.LBB2118_323:
	v_pk_mov_b32 v[12:13], s[26:27], s[26:27] op_sel:[0,1]
	flat_load_dword v6, v[12:13]
	v_sub_u32_e32 v5, v7, v5
	v_cmp_ne_u32_e32 vcc, 0, v8
	s_waitcnt lgkmcnt(0)
	ds_write_b32 v5, v4 offset:3072
	s_waitcnt lgkmcnt(0)
	s_barrier
	s_and_saveexec_b64 s[6:7], vcc
	s_cbranch_execz .LBB2118_325
; %bb.324:
	s_waitcnt vmcnt(0)
	ds_read_b32 v6, v5 offset:3068
.LBB2118_325:
	s_or_b64 exec, exec, s[6:7]
	v_lshlrev_b32_e32 v7, 5, v8
	v_mov_b32_e32 v9, s33
	v_add_co_u32_e32 v12, vcc, s11, v7
	v_addc_co_u32_e32 v13, vcc, 0, v9, vcc
	s_waitcnt lgkmcnt(0)
	s_barrier
	flat_load_dwordx4 v[18:21], v[12:13]
	flat_load_dwordx4 v[22:25], v[12:13] offset:16
	s_movk_i32 s6, 0x2000
	v_add_co_u32_e32 v34, vcc, s6, v12
	v_addc_co_u32_e32 v35, vcc, 0, v13, vcc
	s_movk_i32 s6, 0x4000
	v_add_co_u32_e32 v12, vcc, s6, v12
	v_addc_co_u32_e32 v13, vcc, 0, v13, vcc
	v_cmp_ne_u32_e64 s[6:7], v1, v4
	v_mad_u32_u24 v4, v8, 28, v5
	v_cmp_ne_u32_e32 vcc, v0, v1
	v_lshl_add_u32 v9, v8, 6, v4
	v_cndmask_b32_e64 v1, 0, 1, vcc
	s_waitcnt vmcnt(0)
	v_cmp_ne_u32_e32 vcc, v6, v0
	v_cndmask_b32_e64 v0, 0, 1, vcc
                                        ; kill: killed $vgpr12 killed $vgpr13
	s_mov_b64 s[12:13], -1
	s_waitcnt lgkmcnt(0)
	buffer_store_dword v19, off, s[0:3], 0 offset:148
	buffer_store_dword v18, off, s[0:3], 0 offset:144
	;; [unrolled: 1-line block ×8, first 2 shown]
	flat_load_dwordx4 v[26:29], v[34:35]
	flat_load_dwordx4 v[30:33], v[34:35] offset:16
	s_waitcnt vmcnt(0) lgkmcnt(0)
	buffer_store_dword v27, off, s[0:3], 0 offset:180
	buffer_store_dword v26, off, s[0:3], 0 offset:176
	;; [unrolled: 1-line block ×8, first 2 shown]
	flat_load_dwordx4 v[26:29], v[12:13]
	s_nop 0
	flat_load_dwordx4 v[30:33], v[12:13] offset:16
	buffer_load_dword v37, v3, s[0:3], 0 offen offset:28
	buffer_load_dword v36, v3, s[0:3], 0 offen offset:24
	;; [unrolled: 1-line block ×7, first 2 shown]
	buffer_load_dword v38, v3, s[0:3], 0 offen
	s_waitcnt vmcnt(0) lgkmcnt(0)
	buffer_store_dword v27, off, s[0:3], 0 offset:212
	buffer_store_dword v26, off, s[0:3], 0 offset:208
	;; [unrolled: 1-line block ×8, first 2 shown]
	buffer_load_dword v26, v2, s[0:3], 0 offen offset:16
	buffer_load_dword v27, v2, s[0:3], 0 offen offset:20
	;; [unrolled: 1-line block ×4, first 2 shown]
	buffer_load_dword v30, v2, s[0:3], 0 offen
	buffer_load_dword v31, v2, s[0:3], 0 offen offset:4
	buffer_load_dword v32, v2, s[0:3], 0 offen offset:8
	;; [unrolled: 1-line block ×3, first 2 shown]
	ds_write_b128 v4, v[22:25] offset:16
	ds_write_b128 v4, v[18:21]
	ds_write_b128 v4, v[38:41] offset:8192
	ds_write_b128 v4, v[34:37] offset:8208
	s_waitcnt vmcnt(4)
	ds_write_b128 v4, v[26:29] offset:16400
	s_waitcnt vmcnt(0)
	ds_write_b128 v4, v[30:33] offset:16384
	s_waitcnt lgkmcnt(0)
	s_barrier
	ds_read_b128 v[4:7], v9
	ds_read_b128 v[18:21], v9 offset:16
	ds_read_b128 v[22:25], v9 offset:32
	;; [unrolled: 1-line block ×5, first 2 shown]
	buffer_store_byte v0, off, s[0:3], 0 offset:320
	buffer_store_byte v1, off, s[0:3], 0 offset:356
	s_waitcnt lgkmcnt(3)
	buffer_store_dword v25, v3, s[0:3], 0 offen offset:12
	buffer_store_dword v24, v3, s[0:3], 0 offen offset:8
	;; [unrolled: 1-line block ×3, first 2 shown]
	buffer_store_dword v22, v3, s[0:3], 0 offen
	s_waitcnt lgkmcnt(2)
	buffer_store_dword v29, v3, s[0:3], 0 offen offset:28
	buffer_store_dword v28, v3, s[0:3], 0 offen offset:24
	;; [unrolled: 1-line block ×4, first 2 shown]
	s_waitcnt lgkmcnt(1)
	buffer_store_dword v33, v2, s[0:3], 0 offen offset:12
	buffer_store_dword v32, v2, s[0:3], 0 offen offset:8
	;; [unrolled: 1-line block ×3, first 2 shown]
	buffer_store_dword v30, v2, s[0:3], 0 offen
	s_waitcnt lgkmcnt(0)
	buffer_store_dword v37, v2, s[0:3], 0 offen offset:28
	buffer_store_dword v36, v2, s[0:3], 0 offen offset:24
	;; [unrolled: 1-line block ×4, first 2 shown]
	buffer_store_dword v7, off, s[0:3], 0 offset:300
	buffer_store_dword v6, off, s[0:3], 0 offset:296
	;; [unrolled: 1-line block ×8, first 2 shown]
	buffer_store_dword v29, v11, s[0:3], 0 offen offset:28
	buffer_store_dword v28, v11, s[0:3], 0 offen offset:24
	;; [unrolled: 1-line block ×7, first 2 shown]
	buffer_store_dword v22, v11, s[0:3], 0 offen
	s_and_saveexec_b64 s[8:9], s[12:13]
	s_cbranch_execnz .LBB2118_15
	s_branch .LBB2118_16
.LBB2118_326:
	s_cbranch_execz .LBB2118_472
; %bb.327:
	s_cmp_lg_u64 s[34:35], 0
	s_cselect_b32 s13, s39, 0
	s_cselect_b32 s12, s38, 0
	s_cmp_lg_u64 s[12:13], 0
	s_cselect_b64 s[8:9], -1, 0
	v_cmp_eq_u32_e32 vcc, 0, v8
	v_cmp_ne_u32_e64 s[6:7], 0, v8
	s_and_b64 s[8:9], vcc, s[8:9]
	s_and_saveexec_b64 s[10:11], s[8:9]
	s_cbranch_execz .LBB2118_337
; %bb.328:
	buffer_load_ubyte v9, off, s[0:3], 0 offset:320
                                        ; implicit-def: $vgpr2_vgpr3
                                        ; implicit-def: $vgpr6_vgpr7
                                        ; implicit-def: $vgpr4_vgpr5
                                        ; implicit-def: $vgpr0_vgpr1
	s_waitcnt vmcnt(0)
	v_cmp_ne_u16_e64 s[8:9], 0, v9
	s_and_saveexec_b64 s[16:17], s[8:9]
	s_xor_b64 s[8:9], exec, s[16:17]
	s_cbranch_execz .LBB2118_330
; %bb.329:
	buffer_load_dword v0, off, s[0:3], 0 offset:288
	buffer_load_dword v1, off, s[0:3], 0 offset:292
	;; [unrolled: 1-line block ×8, first 2 shown]
.LBB2118_330:
	s_andn2_saveexec_b64 s[8:9], s[8:9]
	s_cbranch_execz .LBB2118_336
; %bb.331:
	s_mov_b32 s16, 0
	s_waitcnt vmcnt(7)
	v_mov_b32_e32 v0, 0x90
	s_waitcnt vmcnt(6)
	v_mov_b32_e32 v1, 0
	s_waitcnt vmcnt(0)
.LBB2118_332:                           ; =>This Inner Loop Header: Depth=1
	v_add_u32_e32 v2, s16, v0
	s_add_i32 s16, s16, 8
	s_cmp_lg_u32 s16, 32
	buffer_store_dword v1, v2, s[0:3], 0 offen offset:4
	buffer_store_dword v1, v2, s[0:3], 0 offen
	s_cbranch_scc1 .LBB2118_332
; %bb.333:
	s_mov_b32 s26, 0
	v_mov_b32_e32 v0, 0
	v_mov_b32_e32 v1, 0x120
	;; [unrolled: 1-line block ×3, first 2 shown]
	s_mov_b64 s[16:17], s[12:13]
.LBB2118_334:                           ; =>This Inner Loop Header: Depth=1
	v_add_u32_e32 v3, s26, v1
	global_load_dwordx2 v[4:5], v0, s[16:17]
	buffer_load_dword v6, v3, s[0:3], 0 offen
	buffer_load_dword v7, v3, s[0:3], 0 offen offset:4
	s_add_u32 s16, s16, 8
	v_add_u32_e32 v3, s26, v2
	s_addc_u32 s17, s17, 0
	s_add_i32 s26, s26, 8
	s_cmp_lg_u32 s26, 32
	s_waitcnt vmcnt(1)
	v_add_u32_e32 v4, v6, v4
	s_waitcnt vmcnt(0)
	v_add_u32_e32 v5, v7, v5
	buffer_store_dword v5, v3, s[0:3], 0 offen offset:4
	buffer_store_dword v4, v3, s[0:3], 0 offen
	s_cbranch_scc1 .LBB2118_334
; %bb.335:
	buffer_load_dword v0, off, s[0:3], 0 offset:144
	buffer_load_dword v1, off, s[0:3], 0 offset:148
	buffer_load_dword v4, off, s[0:3], 0 offset:152
	buffer_load_dword v5, off, s[0:3], 0 offset:156
	buffer_load_dword v6, off, s[0:3], 0 offset:160
	buffer_load_dword v7, off, s[0:3], 0 offset:164
	buffer_load_dword v2, off, s[0:3], 0 offset:168
	buffer_load_dword v3, off, s[0:3], 0 offset:172
.LBB2118_336:
	s_or_b64 exec, exec, s[8:9]
	v_mov_b32_e32 v10, 0
	global_load_ubyte v10, v10, s[12:13] offset:32
	s_waitcnt vmcnt(7)
	buffer_store_dword v1, off, s[0:3], 0 offset:292
	buffer_store_dword v0, off, s[0:3], 0 offset:288
	s_waitcnt vmcnt(7)
	buffer_store_dword v5, off, s[0:3], 0 offset:300
	buffer_store_dword v4, off, s[0:3], 0 offset:296
	;; [unrolled: 3-line block ×3, first 2 shown]
	s_waitcnt vmcnt(7)
	buffer_store_dword v3, off, s[0:3], 0 offset:316
	s_waitcnt vmcnt(7)
	v_or_b32_e32 v0, v9, v10
	v_and_b32_e32 v0, 1, v0
	buffer_store_dword v2, off, s[0:3], 0 offset:312
	buffer_store_byte v0, off, s[0:3], 0 offset:320
.LBB2118_337:
	s_or_b64 exec, exec, s[10:11]
	v_mov_b32_e32 v0, 0
	s_mov_b32 s8, 0
	v_mov_b32_e32 v1, 0x6c
	buffer_store_dword v0, off, s[0:3], 0 offset:136
	buffer_store_dword v0, off, s[0:3], 0 offset:132
	;; [unrolled: 1-line block ×9, first 2 shown]
.LBB2118_338:                           ; =>This Inner Loop Header: Depth=1
	v_add_u32_e32 v2, s8, v1
	s_add_i32 s8, s8, 8
	s_cmp_lg_u32 s8, 32
	buffer_store_dword v0, v2, s[0:3], 0 offen offset:4
	buffer_store_dword v0, v2, s[0:3], 0 offen
	s_cbranch_scc1 .LBB2118_338
; %bb.339:
	s_mov_b32 s8, 0
	v_mov_b32_e32 v0, 0
	v_mov_b32_e32 v1, 0x90
	buffer_store_byte v0, off, s[0:3], 0 offset:140
	buffer_store_dword v0, off, s[0:3], 0 offset:176
.LBB2118_340:                           ; =>This Inner Loop Header: Depth=1
	v_add_u32_e32 v2, s8, v1
	s_add_i32 s8, s8, 8
	s_cmp_lg_u32 s8, 32
	buffer_store_dword v0, v2, s[0:3], 0 offen offset:4
	buffer_store_dword v0, v2, s[0:3], 0 offen
	s_cbranch_scc1 .LBB2118_340
; %bb.341:
	buffer_load_dword v0, off, s[0:3], 0 offset:300
	buffer_load_dword v1, off, s[0:3], 0 offset:296
	buffer_load_dword v2, off, s[0:3], 0 offset:292
	buffer_load_dword v3, off, s[0:3], 0 offset:288
	buffer_load_dword v4, off, s[0:3], 0 offset:316
	buffer_load_dword v5, off, s[0:3], 0 offset:312
	buffer_load_dword v6, off, s[0:3], 0 offset:308
	buffer_load_dword v7, off, s[0:3], 0 offset:304
	buffer_load_ubyte v10, off, s[0:3], 0 offset:356
	buffer_load_ubyte v9, off, s[0:3], 0 offset:320
	s_waitcnt vmcnt(9)
	buffer_store_dword v0, off, s[0:3], 0 offset:156
	s_waitcnt vmcnt(9)
	buffer_store_dword v1, off, s[0:3], 0 offset:152
	;; [unrolled: 2-line block ×8, first 2 shown]
	s_waitcnt vmcnt(9)
	v_cmp_ne_u16_e64 s[8:9], 0, v10
                                        ; implicit-def: $vgpr6_vgpr7
                                        ; implicit-def: $vgpr4_vgpr5
                                        ; implicit-def: $vgpr2_vgpr3
                                        ; implicit-def: $vgpr0_vgpr1
	s_and_saveexec_b64 s[10:11], s[8:9]
	s_xor_b64 s[8:9], exec, s[10:11]
	s_cbranch_execz .LBB2118_343
; %bb.342:
	buffer_load_dword v0, off, s[0:3], 0 offset:324
	buffer_load_dword v1, off, s[0:3], 0 offset:328
	;; [unrolled: 1-line block ×8, first 2 shown]
.LBB2118_343:
	s_andn2_saveexec_b64 s[8:9], s[8:9]
	s_cbranch_execz .LBB2118_349
; %bb.344:
	s_mov_b32 s10, 0
	s_waitcnt vmcnt(7)
	v_mov_b32_e32 v0, 0
	s_waitcnt vmcnt(6)
	v_mov_b32_e32 v1, 0
	s_waitcnt vmcnt(0)
.LBB2118_345:                           ; =>This Inner Loop Header: Depth=1
	v_add_u32_e32 v2, s10, v0
	s_add_i32 s10, s10, 8
	s_cmp_lg_u32 s10, 32
	buffer_store_dword v1, v2, s[0:3], 0 offen offset:4
	buffer_store_dword v1, v2, s[0:3], 0 offen
	s_cbranch_scc1 .LBB2118_345
; %bb.346:
	s_mov_b32 s10, 0
	v_mov_b32_e32 v0, 0x90
	v_mov_b32_e32 v1, 0x120
	;; [unrolled: 1-line block ×3, first 2 shown]
.LBB2118_347:                           ; =>This Inner Loop Header: Depth=1
	v_add_u32_e32 v3, s10, v0
	v_add_u32_e32 v4, s10, v1
	buffer_load_dword v5, v3, s[0:3], 0 offen offset:4
	buffer_load_dword v6, v4, s[0:3], 0 offen offset:36
	buffer_load_dword v7, v3, s[0:3], 0 offen
	buffer_load_dword v12, v4, s[0:3], 0 offen offset:40
	v_add_u32_e32 v3, s10, v2
	s_add_i32 s10, s10, 8
	s_cmp_lg_u32 s10, 32
	s_waitcnt vmcnt(1)
	v_add_u32_e32 v4, v6, v7
	s_waitcnt vmcnt(0)
	v_add_u32_e32 v5, v12, v5
	buffer_store_dword v5, v3, s[0:3], 0 offen offset:4
	buffer_store_dword v4, v3, s[0:3], 0 offen
	s_cbranch_scc1 .LBB2118_347
; %bb.348:
	buffer_load_dword v0, off, s[0:3], 0
	buffer_load_dword v1, off, s[0:3], 0 offset:4
	buffer_load_dword v2, off, s[0:3], 0 offset:8
	;; [unrolled: 1-line block ×7, first 2 shown]
.LBB2118_349:
	s_or_b64 exec, exec, s[8:9]
	buffer_load_ubyte v12, off, s[0:3], 0 offset:392
	s_waitcnt vmcnt(7)
	buffer_store_dword v1, off, s[0:3], 0 offset:148
	buffer_store_dword v0, off, s[0:3], 0 offset:144
	s_waitcnt vmcnt(7)
	buffer_store_dword v3, off, s[0:3], 0 offset:156
	buffer_store_dword v2, off, s[0:3], 0 offset:152
	;; [unrolled: 3-line block ×4, first 2 shown]
                                        ; implicit-def: $vgpr6_vgpr7
                                        ; implicit-def: $vgpr4_vgpr5
                                        ; implicit-def: $vgpr2_vgpr3
                                        ; implicit-def: $vgpr0_vgpr1
	s_waitcnt vmcnt(8)
	v_cmp_ne_u16_e64 s[8:9], 0, v12
	s_and_saveexec_b64 s[10:11], s[8:9]
	s_xor_b64 s[8:9], exec, s[10:11]
	s_cbranch_execz .LBB2118_351
; %bb.350:
	buffer_load_dword v0, off, s[0:3], 0 offset:360
	buffer_load_dword v1, off, s[0:3], 0 offset:364
	;; [unrolled: 1-line block ×8, first 2 shown]
.LBB2118_351:
	s_andn2_saveexec_b64 s[8:9], s[8:9]
	s_cbranch_execz .LBB2118_357
; %bb.352:
	s_mov_b32 s10, 0
	s_waitcnt vmcnt(7)
	v_mov_b32_e32 v0, 0
	s_waitcnt vmcnt(6)
	v_mov_b32_e32 v1, 0
	s_waitcnt vmcnt(0)
.LBB2118_353:                           ; =>This Inner Loop Header: Depth=1
	v_add_u32_e32 v2, s10, v0
	s_add_i32 s10, s10, 8
	s_cmp_lg_u32 s10, 32
	buffer_store_dword v1, v2, s[0:3], 0 offen offset:4
	buffer_store_dword v1, v2, s[0:3], 0 offen
	s_cbranch_scc1 .LBB2118_353
; %bb.354:
	s_mov_b32 s10, 0
	v_mov_b32_e32 v0, 0x90
	v_mov_b32_e32 v1, 0x120
	;; [unrolled: 1-line block ×3, first 2 shown]
.LBB2118_355:                           ; =>This Inner Loop Header: Depth=1
	v_add_u32_e32 v3, s10, v0
	v_add_u32_e32 v4, s10, v1
	buffer_load_dword v5, v3, s[0:3], 0 offen offset:4
	buffer_load_dword v6, v4, s[0:3], 0 offen offset:72
	buffer_load_dword v7, v3, s[0:3], 0 offen
	buffer_load_dword v13, v4, s[0:3], 0 offen offset:76
	v_add_u32_e32 v3, s10, v2
	s_add_i32 s10, s10, 8
	s_cmp_lg_u32 s10, 32
	s_waitcnt vmcnt(1)
	v_add_u32_e32 v4, v6, v7
	s_waitcnt vmcnt(0)
	v_add_u32_e32 v5, v13, v5
	buffer_store_dword v5, v3, s[0:3], 0 offen offset:4
	buffer_store_dword v4, v3, s[0:3], 0 offen
	s_cbranch_scc1 .LBB2118_355
; %bb.356:
	buffer_load_dword v0, off, s[0:3], 0
	buffer_load_dword v1, off, s[0:3], 0 offset:4
	buffer_load_dword v2, off, s[0:3], 0 offset:8
	;; [unrolled: 1-line block ×7, first 2 shown]
.LBB2118_357:
	s_or_b64 exec, exec, s[8:9]
	buffer_load_ushort v13, off, s[0:3], 0 offset:177
	buffer_load_sbyte v15, off, s[0:3], 0 offset:179
	v_or_b32_e32 v10, v12, v10
	s_waitcnt vmcnt(9)
	v_mov_b32_dpp v16, v0 row_shr:1 row_mask:0xf bank_mask:0xf
	v_or_b32_e32 v9, v10, v9
	v_mbcnt_lo_u32_b32 v12, -1, 0
	s_waitcnt vmcnt(8)
	buffer_store_dword v1, off, s[0:3], 0 offset:76
	buffer_store_dword v0, off, s[0:3], 0 offset:72
	s_waitcnt vmcnt(8)
	buffer_store_dword v3, off, s[0:3], 0 offset:84
	buffer_store_dword v2, off, s[0:3], 0 offset:80
	;; [unrolled: 3-line block ×4, first 2 shown]
	v_mov_b32_dpp v17, v1 row_shr:1 row_mask:0xf bank_mask:0xf
	v_mov_b32_dpp v18, v2 row_shr:1 row_mask:0xf bank_mask:0xf
	;; [unrolled: 1-line block ×7, first 2 shown]
	buffer_store_dword v16, off, s[0:3], 0 offset:144
	buffer_store_dword v17, off, s[0:3], 0 offset:148
	;; [unrolled: 1-line block ×8, first 2 shown]
	v_and_b32_e32 v9, 1, v9
	v_mbcnt_hi_u32_b32 v12, -1, v12
	v_and_b32_e32 v10, 15, v12
	v_cmp_ne_u32_e64 s[8:9], 0, v10
	s_waitcnt vmcnt(17)
	v_lshrrev_b32_e32 v16, 8, v13
	v_lshlrev_b16_e32 v13, 8, v13
	s_waitcnt vmcnt(16)
	v_lshlrev_b16_e32 v15, 8, v15
	v_or_b32_e32 v9, v9, v13
	v_or_b32_sdwa v13, v16, v15 dst_sel:WORD_1 dst_unused:UNUSED_PAD src0_sel:BYTE_0 src1_sel:DWORD
	v_or_b32_sdwa v13, v9, v13 dst_sel:DWORD dst_unused:UNUSED_PAD src0_sel:WORD_0 src1_sel:DWORD
	buffer_store_dword v13, off, s[0:3], 0 offset:104
	s_nop 0
	v_mov_b32_dpp v15, v13 row_shr:1 row_mask:0xf bank_mask:0xf
	buffer_store_dword v15, off, s[0:3], 0 offset:176
	s_and_saveexec_b64 s[10:11], s[8:9]
	s_cbranch_execz .LBB2118_365
; %bb.358:
	v_mov_b32_e32 v16, 0
	v_cmp_eq_u16_sdwa s[12:13], v9, v16 src0_sel:BYTE_0 src1_sel:DWORD
	s_and_saveexec_b64 s[8:9], s[12:13]
	s_cbranch_execz .LBB2118_364
; %bb.359:
	s_mov_b32 s12, 0
	v_mov_b32_e32 v0, 0
.LBB2118_360:                           ; =>This Inner Loop Header: Depth=1
	v_add_u32_e32 v1, s12, v0
	s_add_i32 s12, s12, 8
	s_cmp_lg_u32 s12, 32
	buffer_store_dword v16, v1, s[0:3], 0 offen offset:4
	buffer_store_dword v16, v1, s[0:3], 0 offen
	s_cbranch_scc1 .LBB2118_360
; %bb.361:
	s_mov_b32 s12, 0
	v_mov_b32_e32 v0, 0x90
	v_mov_b32_e32 v1, 0x48
	v_mov_b32_e32 v2, 0
.LBB2118_362:                           ; =>This Inner Loop Header: Depth=1
	v_add_u32_e32 v3, s12, v0
	v_add_u32_e32 v4, s12, v1
	buffer_load_dword v5, v3, s[0:3], 0 offen offset:4
	buffer_load_dword v6, v4, s[0:3], 0 offen
	buffer_load_dword v7, v3, s[0:3], 0 offen
	buffer_load_dword v9, v4, s[0:3], 0 offen offset:4
	v_add_u32_e32 v3, s12, v2
	s_add_i32 s12, s12, 8
	s_cmp_lg_u32 s12, 32
	s_waitcnt vmcnt(1)
	v_add_u32_e32 v4, v6, v7
	s_waitcnt vmcnt(0)
	v_add_u32_e32 v5, v9, v5
	buffer_store_dword v5, v3, s[0:3], 0 offen offset:4
	buffer_store_dword v4, v3, s[0:3], 0 offen
	s_cbranch_scc1 .LBB2118_362
; %bb.363:
	buffer_load_dword v0, off, s[0:3], 0
	buffer_load_dword v1, off, s[0:3], 0 offset:4
	buffer_load_dword v2, off, s[0:3], 0 offset:8
	;; [unrolled: 1-line block ×7, first 2 shown]
.LBB2118_364:
	s_or_b64 exec, exec, s[8:9]
	v_or_b32_e32 v9, v15, v13
	v_and_b32_e32 v9, 1, v9
	buffer_store_byte v9, off, s[0:3], 0 offset:104
	buffer_load_dword v13, off, s[0:3], 0 offset:104
	s_waitcnt vmcnt(8)
	buffer_store_dword v1, off, s[0:3], 0 offset:76
	buffer_store_dword v0, off, s[0:3], 0 offset:72
	s_waitcnt vmcnt(8)
	buffer_store_dword v3, off, s[0:3], 0 offset:84
	buffer_store_dword v2, off, s[0:3], 0 offset:80
	;; [unrolled: 3-line block ×4, first 2 shown]
	s_waitcnt vmcnt(8)
	v_mov_b32_e32 v9, v13
.LBB2118_365:
	s_or_b64 exec, exec, s[10:11]
	v_mov_b32_dpp v16, v0 row_shr:2 row_mask:0xf bank_mask:0xf
	v_mov_b32_dpp v15, v13 row_shr:2 row_mask:0xf bank_mask:0xf
	v_cmp_lt_u32_e64 s[8:9], 1, v10
	v_mov_b32_dpp v17, v1 row_shr:2 row_mask:0xf bank_mask:0xf
	v_mov_b32_dpp v18, v2 row_shr:2 row_mask:0xf bank_mask:0xf
	;; [unrolled: 1-line block ×7, first 2 shown]
	buffer_store_dword v16, off, s[0:3], 0 offset:144
	buffer_store_dword v17, off, s[0:3], 0 offset:148
	;; [unrolled: 1-line block ×9, first 2 shown]
	s_and_saveexec_b64 s[12:13], s[8:9]
	s_cbranch_execz .LBB2118_373
; %bb.366:
	v_mov_b32_e32 v13, 0
	s_mov_b32 s10, 0
	v_cmp_eq_u16_sdwa s[16:17], v9, v13 src0_sel:BYTE_0 src1_sel:DWORD
	s_and_saveexec_b64 s[8:9], s[16:17]
	s_cbranch_execz .LBB2118_372
; %bb.367:
	v_mov_b32_e32 v0, 0
.LBB2118_368:                           ; =>This Inner Loop Header: Depth=1
	v_add_u32_e32 v1, s10, v0
	s_add_i32 s10, s10, 8
	s_cmp_lg_u32 s10, 32
	buffer_store_dword v13, v1, s[0:3], 0 offen offset:4
	buffer_store_dword v13, v1, s[0:3], 0 offen
	s_cbranch_scc1 .LBB2118_368
; %bb.369:
	s_mov_b32 s10, 0
	v_mov_b32_e32 v0, 0x90
	v_mov_b32_e32 v1, 0x48
	v_mov_b32_e32 v2, 0
.LBB2118_370:                           ; =>This Inner Loop Header: Depth=1
	v_add_u32_e32 v3, s10, v0
	v_add_u32_e32 v4, s10, v1
	buffer_load_dword v5, v3, s[0:3], 0 offen offset:4
	buffer_load_dword v6, v4, s[0:3], 0 offen
	buffer_load_dword v7, v3, s[0:3], 0 offen
	buffer_load_dword v13, v4, s[0:3], 0 offen offset:4
	v_add_u32_e32 v3, s10, v2
	s_add_i32 s10, s10, 8
	s_cmp_lg_u32 s10, 32
	s_waitcnt vmcnt(1)
	v_add_u32_e32 v4, v6, v7
	s_waitcnt vmcnt(0)
	v_add_u32_e32 v5, v13, v5
	buffer_store_dword v5, v3, s[0:3], 0 offen offset:4
	buffer_store_dword v4, v3, s[0:3], 0 offen
	s_cbranch_scc1 .LBB2118_370
; %bb.371:
	buffer_load_dword v0, off, s[0:3], 0
	buffer_load_dword v1, off, s[0:3], 0 offset:4
	buffer_load_dword v2, off, s[0:3], 0 offset:8
	;; [unrolled: 1-line block ×7, first 2 shown]
.LBB2118_372:
	s_or_b64 exec, exec, s[8:9]
	v_and_b32_e32 v9, 1, v9
	v_cmp_eq_u32_e64 s[8:9], 1, v9
	v_and_b32_e32 v9, 1, v15
	v_cmp_eq_u32_e64 s[10:11], 1, v9
	s_or_b64 s[8:9], s[8:9], s[10:11]
	v_cndmask_b32_e64 v9, 0, 1, s[8:9]
	buffer_store_byte v9, off, s[0:3], 0 offset:104
	buffer_load_dword v13, off, s[0:3], 0 offset:104
	s_waitcnt vmcnt(8)
	buffer_store_dword v1, off, s[0:3], 0 offset:76
	buffer_store_dword v0, off, s[0:3], 0 offset:72
	s_waitcnt vmcnt(8)
	buffer_store_dword v3, off, s[0:3], 0 offset:84
	buffer_store_dword v2, off, s[0:3], 0 offset:80
	;; [unrolled: 3-line block ×4, first 2 shown]
	s_waitcnt vmcnt(8)
	v_mov_b32_e32 v9, v13
.LBB2118_373:
	s_or_b64 exec, exec, s[12:13]
	v_mov_b32_dpp v16, v0 row_shr:4 row_mask:0xf bank_mask:0xf
	v_mov_b32_dpp v15, v13 row_shr:4 row_mask:0xf bank_mask:0xf
	v_cmp_lt_u32_e64 s[8:9], 3, v10
	v_mov_b32_dpp v17, v1 row_shr:4 row_mask:0xf bank_mask:0xf
	v_mov_b32_dpp v18, v2 row_shr:4 row_mask:0xf bank_mask:0xf
	;; [unrolled: 1-line block ×7, first 2 shown]
	buffer_store_dword v16, off, s[0:3], 0 offset:144
	buffer_store_dword v17, off, s[0:3], 0 offset:148
	buffer_store_dword v18, off, s[0:3], 0 offset:152
	buffer_store_dword v19, off, s[0:3], 0 offset:156
	buffer_store_dword v20, off, s[0:3], 0 offset:160
	buffer_store_dword v21, off, s[0:3], 0 offset:164
	buffer_store_dword v22, off, s[0:3], 0 offset:168
	buffer_store_dword v23, off, s[0:3], 0 offset:172
	buffer_store_dword v15, off, s[0:3], 0 offset:176
	s_and_saveexec_b64 s[12:13], s[8:9]
	s_cbranch_execz .LBB2118_381
; %bb.374:
	v_mov_b32_e32 v13, 0
	s_mov_b32 s10, 0
	v_cmp_eq_u16_sdwa s[16:17], v9, v13 src0_sel:BYTE_0 src1_sel:DWORD
	s_and_saveexec_b64 s[8:9], s[16:17]
	s_cbranch_execz .LBB2118_380
; %bb.375:
	v_mov_b32_e32 v0, 0
.LBB2118_376:                           ; =>This Inner Loop Header: Depth=1
	v_add_u32_e32 v1, s10, v0
	s_add_i32 s10, s10, 8
	s_cmp_lg_u32 s10, 32
	buffer_store_dword v13, v1, s[0:3], 0 offen offset:4
	buffer_store_dword v13, v1, s[0:3], 0 offen
	s_cbranch_scc1 .LBB2118_376
; %bb.377:
	s_mov_b32 s10, 0
	v_mov_b32_e32 v0, 0x90
	v_mov_b32_e32 v1, 0x48
	;; [unrolled: 1-line block ×3, first 2 shown]
.LBB2118_378:                           ; =>This Inner Loop Header: Depth=1
	v_add_u32_e32 v3, s10, v0
	v_add_u32_e32 v4, s10, v1
	buffer_load_dword v5, v3, s[0:3], 0 offen offset:4
	buffer_load_dword v6, v4, s[0:3], 0 offen
	buffer_load_dword v7, v3, s[0:3], 0 offen
	buffer_load_dword v13, v4, s[0:3], 0 offen offset:4
	v_add_u32_e32 v3, s10, v2
	s_add_i32 s10, s10, 8
	s_cmp_lg_u32 s10, 32
	s_waitcnt vmcnt(1)
	v_add_u32_e32 v4, v6, v7
	s_waitcnt vmcnt(0)
	v_add_u32_e32 v5, v13, v5
	buffer_store_dword v5, v3, s[0:3], 0 offen offset:4
	buffer_store_dword v4, v3, s[0:3], 0 offen
	s_cbranch_scc1 .LBB2118_378
; %bb.379:
	buffer_load_dword v0, off, s[0:3], 0
	buffer_load_dword v1, off, s[0:3], 0 offset:4
	buffer_load_dword v2, off, s[0:3], 0 offset:8
	buffer_load_dword v3, off, s[0:3], 0 offset:12
	buffer_load_dword v4, off, s[0:3], 0 offset:16
	buffer_load_dword v5, off, s[0:3], 0 offset:20
	buffer_load_dword v6, off, s[0:3], 0 offset:24
	buffer_load_dword v7, off, s[0:3], 0 offset:28
.LBB2118_380:
	s_or_b64 exec, exec, s[8:9]
	v_and_b32_e32 v9, 1, v9
	v_cmp_eq_u32_e64 s[8:9], 1, v9
	v_and_b32_e32 v9, 1, v15
	v_cmp_eq_u32_e64 s[10:11], 1, v9
	s_or_b64 s[8:9], s[8:9], s[10:11]
	v_cndmask_b32_e64 v9, 0, 1, s[8:9]
	buffer_store_byte v9, off, s[0:3], 0 offset:104
	buffer_load_dword v13, off, s[0:3], 0 offset:104
	s_waitcnt vmcnt(8)
	buffer_store_dword v1, off, s[0:3], 0 offset:76
	buffer_store_dword v0, off, s[0:3], 0 offset:72
	s_waitcnt vmcnt(8)
	buffer_store_dword v3, off, s[0:3], 0 offset:84
	buffer_store_dword v2, off, s[0:3], 0 offset:80
	;; [unrolled: 3-line block ×4, first 2 shown]
	s_waitcnt vmcnt(8)
	v_mov_b32_e32 v9, v13
.LBB2118_381:
	s_or_b64 exec, exec, s[12:13]
	v_mov_b32_dpp v16, v0 row_shr:8 row_mask:0xf bank_mask:0xf
	v_mov_b32_dpp v15, v13 row_shr:8 row_mask:0xf bank_mask:0xf
	v_cmp_lt_u32_e64 s[8:9], 7, v10
	v_mov_b32_dpp v17, v1 row_shr:8 row_mask:0xf bank_mask:0xf
	v_mov_b32_dpp v18, v2 row_shr:8 row_mask:0xf bank_mask:0xf
	;; [unrolled: 1-line block ×7, first 2 shown]
	buffer_store_dword v16, off, s[0:3], 0 offset:144
	buffer_store_dword v17, off, s[0:3], 0 offset:148
	;; [unrolled: 1-line block ×9, first 2 shown]
	s_and_saveexec_b64 s[12:13], s[8:9]
	s_cbranch_execz .LBB2118_389
; %bb.382:
	v_mov_b32_e32 v10, 0
	s_mov_b32 s10, 0
	v_cmp_eq_u16_sdwa s[16:17], v9, v10 src0_sel:BYTE_0 src1_sel:DWORD
	s_and_saveexec_b64 s[8:9], s[16:17]
	s_cbranch_execz .LBB2118_388
; %bb.383:
	v_mov_b32_e32 v0, 0
.LBB2118_384:                           ; =>This Inner Loop Header: Depth=1
	v_add_u32_e32 v1, s10, v0
	s_add_i32 s10, s10, 8
	s_cmp_lg_u32 s10, 32
	buffer_store_dword v10, v1, s[0:3], 0 offen offset:4
	buffer_store_dword v10, v1, s[0:3], 0 offen
	s_cbranch_scc1 .LBB2118_384
; %bb.385:
	s_mov_b32 s10, 0
	v_mov_b32_e32 v0, 0x90
	v_mov_b32_e32 v1, 0x48
	;; [unrolled: 1-line block ×3, first 2 shown]
.LBB2118_386:                           ; =>This Inner Loop Header: Depth=1
	v_add_u32_e32 v3, s10, v0
	v_add_u32_e32 v4, s10, v1
	buffer_load_dword v5, v3, s[0:3], 0 offen offset:4
	buffer_load_dword v6, v4, s[0:3], 0 offen
	buffer_load_dword v7, v3, s[0:3], 0 offen
	buffer_load_dword v10, v4, s[0:3], 0 offen offset:4
	v_add_u32_e32 v3, s10, v2
	s_add_i32 s10, s10, 8
	s_cmp_lg_u32 s10, 32
	s_waitcnt vmcnt(1)
	v_add_u32_e32 v4, v6, v7
	s_waitcnt vmcnt(0)
	v_add_u32_e32 v5, v10, v5
	buffer_store_dword v5, v3, s[0:3], 0 offen offset:4
	buffer_store_dword v4, v3, s[0:3], 0 offen
	s_cbranch_scc1 .LBB2118_386
; %bb.387:
	buffer_load_dword v0, off, s[0:3], 0
	buffer_load_dword v1, off, s[0:3], 0 offset:4
	buffer_load_dword v2, off, s[0:3], 0 offset:8
	buffer_load_dword v3, off, s[0:3], 0 offset:12
	buffer_load_dword v4, off, s[0:3], 0 offset:16
	buffer_load_dword v5, off, s[0:3], 0 offset:20
	buffer_load_dword v6, off, s[0:3], 0 offset:24
	buffer_load_dword v7, off, s[0:3], 0 offset:28
.LBB2118_388:
	s_or_b64 exec, exec, s[8:9]
	v_and_b32_e32 v9, 1, v9
	v_cmp_eq_u32_e64 s[8:9], 1, v9
	v_and_b32_e32 v9, 1, v15
	v_cmp_eq_u32_e64 s[10:11], 1, v9
	s_or_b64 s[8:9], s[8:9], s[10:11]
	v_cndmask_b32_e64 v9, 0, 1, s[8:9]
	buffer_store_byte v9, off, s[0:3], 0 offset:104
	buffer_load_dword v13, off, s[0:3], 0 offset:104
	s_waitcnt vmcnt(8)
	buffer_store_dword v1, off, s[0:3], 0 offset:76
	buffer_store_dword v0, off, s[0:3], 0 offset:72
	s_waitcnt vmcnt(8)
	buffer_store_dword v3, off, s[0:3], 0 offset:84
	buffer_store_dword v2, off, s[0:3], 0 offset:80
	;; [unrolled: 3-line block ×4, first 2 shown]
	s_waitcnt vmcnt(8)
	v_mov_b32_e32 v9, v13
.LBB2118_389:
	s_or_b64 exec, exec, s[12:13]
	v_mov_b32_dpp v15, v0 row_bcast:15 row_mask:0xf bank_mask:0xf
	v_mov_b32_dpp v16, v1 row_bcast:15 row_mask:0xf bank_mask:0xf
	;; [unrolled: 1-line block ×9, first 2 shown]
	buffer_store_dword v15, off, s[0:3], 0 offset:144
	buffer_store_dword v16, off, s[0:3], 0 offset:148
	;; [unrolled: 1-line block ×9, first 2 shown]
	v_and_b32_e32 v15, 16, v12
	v_cmp_ne_u32_e64 s[8:9], 0, v15
	s_and_saveexec_b64 s[12:13], s[8:9]
	s_cbranch_execz .LBB2118_397
; %bb.390:
	v_mov_b32_e32 v13, 0
	s_mov_b32 s10, 0
	v_cmp_eq_u16_sdwa s[16:17], v9, v13 src0_sel:BYTE_0 src1_sel:DWORD
	s_and_saveexec_b64 s[8:9], s[16:17]
	s_cbranch_execz .LBB2118_396
; %bb.391:
	v_mov_b32_e32 v0, 0
.LBB2118_392:                           ; =>This Inner Loop Header: Depth=1
	v_add_u32_e32 v1, s10, v0
	s_add_i32 s10, s10, 8
	s_cmp_lg_u32 s10, 32
	buffer_store_dword v13, v1, s[0:3], 0 offen offset:4
	buffer_store_dword v13, v1, s[0:3], 0 offen
	s_cbranch_scc1 .LBB2118_392
; %bb.393:
	s_mov_b32 s10, 0
	v_mov_b32_e32 v0, 0x90
	v_mov_b32_e32 v1, 0x48
	;; [unrolled: 1-line block ×3, first 2 shown]
.LBB2118_394:                           ; =>This Inner Loop Header: Depth=1
	v_add_u32_e32 v3, s10, v0
	v_add_u32_e32 v4, s10, v1
	buffer_load_dword v5, v3, s[0:3], 0 offen offset:4
	buffer_load_dword v6, v4, s[0:3], 0 offen
	buffer_load_dword v7, v3, s[0:3], 0 offen
	buffer_load_dword v13, v4, s[0:3], 0 offen offset:4
	v_add_u32_e32 v3, s10, v2
	s_add_i32 s10, s10, 8
	s_cmp_lg_u32 s10, 32
	s_waitcnt vmcnt(1)
	v_add_u32_e32 v4, v6, v7
	s_waitcnt vmcnt(0)
	v_add_u32_e32 v5, v13, v5
	buffer_store_dword v5, v3, s[0:3], 0 offen offset:4
	buffer_store_dword v4, v3, s[0:3], 0 offen
	s_cbranch_scc1 .LBB2118_394
; %bb.395:
	buffer_load_dword v0, off, s[0:3], 0
	buffer_load_dword v1, off, s[0:3], 0 offset:4
	buffer_load_dword v2, off, s[0:3], 0 offset:8
	;; [unrolled: 1-line block ×7, first 2 shown]
.LBB2118_396:
	s_or_b64 exec, exec, s[8:9]
	v_and_b32_e32 v9, 1, v9
	v_cmp_eq_u32_e64 s[8:9], 1, v9
	v_and_b32_e32 v9, 1, v10
	v_cmp_eq_u32_e64 s[10:11], 1, v9
	s_or_b64 s[8:9], s[8:9], s[10:11]
	v_cndmask_b32_e64 v9, 0, 1, s[8:9]
	buffer_store_byte v9, off, s[0:3], 0 offset:104
	buffer_load_dword v13, off, s[0:3], 0 offset:104
	s_waitcnt vmcnt(8)
	buffer_store_dword v1, off, s[0:3], 0 offset:76
	buffer_store_dword v0, off, s[0:3], 0 offset:72
	s_waitcnt vmcnt(8)
	buffer_store_dword v3, off, s[0:3], 0 offset:84
	buffer_store_dword v2, off, s[0:3], 0 offset:80
	;; [unrolled: 3-line block ×4, first 2 shown]
	s_waitcnt vmcnt(8)
	v_mov_b32_e32 v9, v13
.LBB2118_397:
	s_or_b64 exec, exec, s[12:13]
	v_mov_b32_dpp v15, v0 row_bcast:31 row_mask:0xf bank_mask:0xf
	v_mov_b32_dpp v10, v13 row_bcast:31 row_mask:0xf bank_mask:0xf
	v_cmp_lt_u32_e64 s[8:9], 31, v12
	v_mov_b32_dpp v16, v1 row_bcast:31 row_mask:0xf bank_mask:0xf
	v_mov_b32_dpp v17, v2 row_bcast:31 row_mask:0xf bank_mask:0xf
	;; [unrolled: 1-line block ×7, first 2 shown]
	buffer_store_dword v15, off, s[0:3], 0 offset:144
	buffer_store_dword v16, off, s[0:3], 0 offset:148
	;; [unrolled: 1-line block ×9, first 2 shown]
	s_and_saveexec_b64 s[12:13], s[8:9]
	s_cbranch_execz .LBB2118_405
; %bb.398:
	v_mov_b32_e32 v13, 0
	s_mov_b32 s10, 0
	v_cmp_eq_u16_sdwa s[16:17], v9, v13 src0_sel:BYTE_0 src1_sel:DWORD
	s_and_saveexec_b64 s[8:9], s[16:17]
	s_cbranch_execz .LBB2118_404
; %bb.399:
	v_mov_b32_e32 v0, 0
.LBB2118_400:                           ; =>This Inner Loop Header: Depth=1
	v_add_u32_e32 v1, s10, v0
	s_add_i32 s10, s10, 8
	s_cmp_lg_u32 s10, 32
	buffer_store_dword v13, v1, s[0:3], 0 offen offset:4
	buffer_store_dword v13, v1, s[0:3], 0 offen
	s_cbranch_scc1 .LBB2118_400
; %bb.401:
	s_mov_b32 s10, 0
	v_mov_b32_e32 v0, 0x90
	v_mov_b32_e32 v1, 0x48
	;; [unrolled: 1-line block ×3, first 2 shown]
.LBB2118_402:                           ; =>This Inner Loop Header: Depth=1
	v_add_u32_e32 v3, s10, v0
	v_add_u32_e32 v4, s10, v1
	buffer_load_dword v5, v3, s[0:3], 0 offen offset:4
	buffer_load_dword v6, v4, s[0:3], 0 offen
	buffer_load_dword v7, v3, s[0:3], 0 offen
	buffer_load_dword v13, v4, s[0:3], 0 offen offset:4
	v_add_u32_e32 v3, s10, v2
	s_add_i32 s10, s10, 8
	s_cmp_lg_u32 s10, 32
	s_waitcnt vmcnt(1)
	v_add_u32_e32 v4, v6, v7
	s_waitcnt vmcnt(0)
	v_add_u32_e32 v5, v13, v5
	buffer_store_dword v5, v3, s[0:3], 0 offen offset:4
	buffer_store_dword v4, v3, s[0:3], 0 offen
	s_cbranch_scc1 .LBB2118_402
; %bb.403:
	buffer_load_dword v0, off, s[0:3], 0
	buffer_load_dword v1, off, s[0:3], 0 offset:4
	buffer_load_dword v2, off, s[0:3], 0 offset:8
	;; [unrolled: 1-line block ×7, first 2 shown]
.LBB2118_404:
	s_or_b64 exec, exec, s[8:9]
	v_and_b32_e32 v9, 1, v9
	v_cmp_eq_u32_e64 s[8:9], 1, v9
	v_and_b32_e32 v9, 1, v10
	v_cmp_eq_u32_e64 s[10:11], 1, v9
	s_or_b64 s[8:9], s[8:9], s[10:11]
	v_cndmask_b32_e64 v9, 0, 1, s[8:9]
	s_waitcnt vmcnt(6)
	buffer_store_dword v1, off, s[0:3], 0 offset:76
	buffer_store_dword v0, off, s[0:3], 0 offset:72
	s_waitcnt vmcnt(6)
	buffer_store_dword v3, off, s[0:3], 0 offset:84
	buffer_store_dword v2, off, s[0:3], 0 offset:80
	;; [unrolled: 3-line block ×4, first 2 shown]
	buffer_store_byte v9, off, s[0:3], 0 offset:104
.LBB2118_405:
	s_or_b64 exec, exec, s[12:13]
	v_or_b32_e32 v13, 63, v8
	v_lshrrev_b32_e32 v10, 6, v8
	v_cmp_eq_u32_e64 s[8:9], v13, v8
	s_and_saveexec_b64 s[10:11], s[8:9]
	s_cbranch_execz .LBB2118_407
; %bb.406:
	v_mul_u32_u24_e32 v13, 36, v10
	ds_write2_b32 v13, v0, v1 offset1:1
	ds_write2_b32 v13, v2, v3 offset0:2 offset1:3
	ds_write2_b32 v13, v4, v5 offset0:4 offset1:5
	;; [unrolled: 1-line block ×3, first 2 shown]
	ds_write_b8 v13, v9 offset:32
.LBB2118_407:
	s_or_b64 exec, exec, s[10:11]
	v_cmp_gt_u32_e64 s[8:9], 4, v8
	s_waitcnt lgkmcnt(0)
	s_barrier
	s_and_saveexec_b64 s[12:13], s[8:9]
	s_cbranch_execz .LBB2118_425
; %bb.408:
	v_mul_u32_u24_e32 v9, 36, v8
	ds_read_b32 v13, v9 offset:32
	ds_read2_b32 v[0:1], v9 offset0:6 offset1:7
	ds_read2_b32 v[2:3], v9 offset0:4 offset1:5
	;; [unrolled: 1-line block ×3, first 2 shown]
	ds_read2_b32 v[6:7], v9 offset1:1
	v_and_b32_e32 v15, 3, v12
	s_waitcnt lgkmcnt(4)
	v_mov_b32_dpp v16, v13 row_shr:1 row_mask:0xf bank_mask:0xf
	v_cmp_ne_u32_e64 s[8:9], 0, v15
	buffer_store_dword v13, off, s[0:3], 0 offset:32
	s_waitcnt lgkmcnt(0)
	v_mov_b32_dpp v17, v6 row_shr:1 row_mask:0xf bank_mask:0xf
	buffer_store_dword v1, off, s[0:3], 0 offset:28
	buffer_store_dword v0, off, s[0:3], 0 offset:24
	;; [unrolled: 1-line block ×7, first 2 shown]
	buffer_store_dword v6, off, s[0:3], 0
	v_mov_b32_dpp v18, v7 row_shr:1 row_mask:0xf bank_mask:0xf
	v_mov_b32_dpp v19, v4 row_shr:1 row_mask:0xf bank_mask:0xf
	;; [unrolled: 1-line block ×7, first 2 shown]
	buffer_store_dword v17, off, s[0:3], 0 offset:144
	buffer_store_dword v18, off, s[0:3], 0 offset:148
	;; [unrolled: 1-line block ×9, first 2 shown]
	s_and_saveexec_b64 s[10:11], s[8:9]
	s_cbranch_execz .LBB2118_416
; %bb.409:
	v_mov_b32_e32 v17, 0
	v_cmp_eq_u16_sdwa s[16:17], v13, v17 src0_sel:BYTE_0 src1_sel:DWORD
	s_and_saveexec_b64 s[8:9], s[16:17]
	s_cbranch_execz .LBB2118_415
; %bb.410:
	s_mov_b32 s16, 0
	v_mov_b32_e32 v0, 36
.LBB2118_411:                           ; =>This Inner Loop Header: Depth=1
	v_add_u32_e32 v1, s16, v0
	s_add_i32 s16, s16, 8
	s_cmp_lg_u32 s16, 32
	buffer_store_dword v17, v1, s[0:3], 0 offen offset:4
	buffer_store_dword v17, v1, s[0:3], 0 offen
	s_cbranch_scc1 .LBB2118_411
; %bb.412:
	s_mov_b32 s16, 0
	v_mov_b32_e32 v0, 0x90
	v_mov_b32_e32 v1, 0
	;; [unrolled: 1-line block ×3, first 2 shown]
.LBB2118_413:                           ; =>This Inner Loop Header: Depth=1
	v_add_u32_e32 v3, s16, v0
	v_add_u32_e32 v4, s16, v1
	buffer_load_dword v5, v3, s[0:3], 0 offen offset:4
	buffer_load_dword v6, v4, s[0:3], 0 offen
	buffer_load_dword v7, v3, s[0:3], 0 offen
	buffer_load_dword v17, v4, s[0:3], 0 offen offset:4
	v_add_u32_e32 v3, s16, v2
	s_add_i32 s16, s16, 8
	s_cmp_lg_u32 s16, 32
	s_waitcnt vmcnt(1)
	v_add_u32_e32 v4, v6, v7
	s_waitcnt vmcnt(0)
	v_add_u32_e32 v5, v17, v5
	buffer_store_dword v5, v3, s[0:3], 0 offen offset:4
	buffer_store_dword v4, v3, s[0:3], 0 offen
	s_cbranch_scc1 .LBB2118_413
; %bb.414:
	buffer_load_dword v6, off, s[0:3], 0 offset:36
	buffer_load_dword v7, off, s[0:3], 0 offset:40
	;; [unrolled: 1-line block ×8, first 2 shown]
.LBB2118_415:
	s_or_b64 exec, exec, s[8:9]
	v_or_b32_e32 v13, v16, v13
	v_and_b32_e32 v13, 1, v13
	buffer_store_byte v13, off, s[0:3], 0 offset:32
	buffer_load_dword v13, off, s[0:3], 0 offset:32
	s_waitcnt vmcnt(8)
	buffer_store_dword v7, off, s[0:3], 0 offset:4
	buffer_store_dword v6, off, s[0:3], 0
	s_waitcnt vmcnt(8)
	buffer_store_dword v5, off, s[0:3], 0 offset:12
	buffer_store_dword v4, off, s[0:3], 0 offset:8
	s_waitcnt vmcnt(8)
	buffer_store_dword v3, off, s[0:3], 0 offset:20
	buffer_store_dword v2, off, s[0:3], 0 offset:16
	;; [unrolled: 3-line block ×3, first 2 shown]
.LBB2118_416:
	s_or_b64 exec, exec, s[10:11]
	v_mov_b32_dpp v17, v6 row_shr:2 row_mask:0xf bank_mask:0xf
	s_waitcnt vmcnt(8)
	v_mov_b32_dpp v16, v13 row_shr:2 row_mask:0xf bank_mask:0xf
	v_cmp_lt_u32_e64 s[8:9], 1, v15
	v_mov_b32_dpp v18, v7 row_shr:2 row_mask:0xf bank_mask:0xf
	v_mov_b32_dpp v19, v4 row_shr:2 row_mask:0xf bank_mask:0xf
	;; [unrolled: 1-line block ×7, first 2 shown]
	buffer_store_dword v17, off, s[0:3], 0 offset:144
	buffer_store_dword v18, off, s[0:3], 0 offset:148
	;; [unrolled: 1-line block ×9, first 2 shown]
	s_and_saveexec_b64 s[16:17], s[8:9]
	s_cbranch_execz .LBB2118_424
; %bb.417:
	v_mov_b32_e32 v15, 0
	s_mov_b32 s10, 0
	v_cmp_eq_u16_sdwa s[26:27], v13, v15 src0_sel:BYTE_0 src1_sel:DWORD
	s_and_saveexec_b64 s[8:9], s[26:27]
	s_cbranch_execz .LBB2118_423
; %bb.418:
	v_mov_b32_e32 v0, 36
.LBB2118_419:                           ; =>This Inner Loop Header: Depth=1
	v_add_u32_e32 v1, s10, v0
	s_add_i32 s10, s10, 8
	s_cmp_lg_u32 s10, 32
	buffer_store_dword v15, v1, s[0:3], 0 offen offset:4
	buffer_store_dword v15, v1, s[0:3], 0 offen
	s_cbranch_scc1 .LBB2118_419
; %bb.420:
	s_mov_b32 s10, 0
	v_mov_b32_e32 v0, 0x90
	v_mov_b32_e32 v1, 0
	;; [unrolled: 1-line block ×3, first 2 shown]
.LBB2118_421:                           ; =>This Inner Loop Header: Depth=1
	v_add_u32_e32 v3, s10, v0
	v_add_u32_e32 v4, s10, v1
	buffer_load_dword v5, v3, s[0:3], 0 offen offset:4
	buffer_load_dword v6, v4, s[0:3], 0 offen
	buffer_load_dword v7, v3, s[0:3], 0 offen
	buffer_load_dword v15, v4, s[0:3], 0 offen offset:4
	v_add_u32_e32 v3, s10, v2
	s_add_i32 s10, s10, 8
	s_cmp_lg_u32 s10, 32
	s_waitcnt vmcnt(1)
	v_add_u32_e32 v4, v6, v7
	s_waitcnt vmcnt(0)
	v_add_u32_e32 v5, v15, v5
	buffer_store_dword v5, v3, s[0:3], 0 offen offset:4
	buffer_store_dword v4, v3, s[0:3], 0 offen
	s_cbranch_scc1 .LBB2118_421
; %bb.422:
	buffer_load_dword v6, off, s[0:3], 0 offset:36
	buffer_load_dword v7, off, s[0:3], 0 offset:40
	;; [unrolled: 1-line block ×8, first 2 shown]
.LBB2118_423:
	s_or_b64 exec, exec, s[8:9]
	v_and_b32_e32 v13, 1, v13
	v_cmp_eq_u32_e64 s[8:9], 1, v13
	v_and_b32_e32 v13, 1, v16
	v_cmp_eq_u32_e64 s[10:11], 1, v13
	s_or_b64 s[8:9], s[8:9], s[10:11]
	v_cndmask_b32_e64 v13, 0, 1, s[8:9]
	s_waitcnt vmcnt(6)
	buffer_store_dword v7, off, s[0:3], 0 offset:4
	buffer_store_dword v6, off, s[0:3], 0
	s_waitcnt vmcnt(6)
	buffer_store_dword v5, off, s[0:3], 0 offset:12
	buffer_store_dword v4, off, s[0:3], 0 offset:8
	s_waitcnt vmcnt(6)
	buffer_store_dword v3, off, s[0:3], 0 offset:20
	buffer_store_dword v2, off, s[0:3], 0 offset:16
	;; [unrolled: 3-line block ×3, first 2 shown]
.LBB2118_424:
	s_or_b64 exec, exec, s[16:17]
	buffer_load_dword v0, off, s[0:3], 0
	buffer_load_dword v1, off, s[0:3], 0 offset:4
	buffer_load_dword v2, off, s[0:3], 0 offset:8
	;; [unrolled: 1-line block ×7, first 2 shown]
	s_waitcnt vmcnt(4)
	ds_write2_b32 v9, v2, v3 offset0:2 offset1:3
	ds_write2_b32 v9, v0, v1 offset1:1
	s_waitcnt vmcnt(2)
	ds_write2_b32 v9, v4, v5 offset0:6 offset1:7
	s_waitcnt vmcnt(0)
	ds_write2_b32 v9, v6, v7 offset0:4 offset1:5
	ds_write_b8 v9, v13 offset:32
.LBB2118_425:
	s_or_b64 exec, exec, s[12:13]
	v_mov_b32_e32 v0, 0
	s_mov_b32 s8, 0
	v_mov_b32_e32 v1, 0x90
	s_waitcnt lgkmcnt(0)
	s_barrier
	buffer_store_dword v0, off, s[0:3], 0 offset:172
	buffer_store_dword v0, off, s[0:3], 0 offset:168
	;; [unrolled: 1-line block ×9, first 2 shown]
.LBB2118_426:                           ; =>This Inner Loop Header: Depth=1
	v_add_u32_e32 v2, s8, v1
	s_add_i32 s8, s8, 8
	s_cmp_lg_u32 s8, 32
	buffer_store_dword v0, v2, s[0:3], 0 offen offset:4
	buffer_store_dword v0, v2, s[0:3], 0 offen
	s_cbranch_scc1 .LBB2118_426
; %bb.427:
	v_cmp_lt_u32_e64 s[8:9], 63, v8
                                        ; implicit-def: $vgpr0_vgpr1
                                        ; implicit-def: $vgpr2_vgpr3
                                        ; implicit-def: $vgpr4_vgpr5
                                        ; implicit-def: $vgpr6_vgpr7
                                        ; implicit-def: $vgpr13
	s_and_saveexec_b64 s[10:11], s[8:9]
	s_xor_b64 s[10:11], exec, s[10:11]
	s_cbranch_execz .LBB2118_437
; %bb.428:
	buffer_load_ubyte v9, off, s[0:3], 0 offset:104
	v_not_b32_e32 v0, 35
	v_mad_u32_u24 v10, v10, 36, v0
	ds_read2_b32 v[0:1], v10 offset0:2 offset1:3
	ds_read2_b32 v[2:3], v10 offset0:4 offset1:5
	ds_read2_b32 v[4:5], v10 offset1:1
	ds_read2_b32 v[6:7], v10 offset0:6 offset1:7
	s_waitcnt lgkmcnt(3)
	buffer_store_dword v1, off, s[0:3], 0 offset:156
	buffer_store_dword v0, off, s[0:3], 0 offset:152
	s_waitcnt lgkmcnt(1)
	buffer_store_dword v5, off, s[0:3], 0 offset:148
	buffer_store_dword v4, off, s[0:3], 0 offset:144
	s_waitcnt lgkmcnt(0)
	buffer_store_dword v7, off, s[0:3], 0 offset:172
	ds_read_u8 v13, v10 offset:32
	buffer_store_dword v6, off, s[0:3], 0 offset:168
	buffer_store_dword v3, off, s[0:3], 0 offset:164
	;; [unrolled: 1-line block ×3, first 2 shown]
                                        ; implicit-def: $vgpr0_vgpr1
                                        ; implicit-def: $vgpr2_vgpr3
                                        ; implicit-def: $vgpr4_vgpr5
                                        ; implicit-def: $vgpr6_vgpr7
	s_waitcnt vmcnt(8)
	v_cmp_ne_u16_e64 s[8:9], 0, v9
	s_and_saveexec_b64 s[12:13], s[8:9]
	s_xor_b64 s[8:9], exec, s[12:13]
	s_cbranch_execz .LBB2118_430
; %bb.429:
	buffer_load_dword v0, off, s[0:3], 0 offset:72
	buffer_load_dword v1, off, s[0:3], 0 offset:76
	;; [unrolled: 1-line block ×8, first 2 shown]
.LBB2118_430:
	s_andn2_saveexec_b64 s[8:9], s[8:9]
	s_cbranch_execz .LBB2118_436
; %bb.431:
	s_mov_b32 s12, 0
	s_waitcnt vmcnt(7)
	v_mov_b32_e32 v0, 0
	s_waitcnt vmcnt(6)
	v_mov_b32_e32 v1, 0
	s_waitcnt vmcnt(0)
.LBB2118_432:                           ; =>This Inner Loop Header: Depth=1
	v_add_u32_e32 v2, s12, v0
	s_add_i32 s12, s12, 8
	s_cmp_lg_u32 s12, 32
	buffer_store_dword v1, v2, s[0:3], 0 offen offset:4
	buffer_store_dword v1, v2, s[0:3], 0 offen
	s_cbranch_scc1 .LBB2118_432
; %bb.433:
	s_mov_b32 s12, 0
	v_mov_b32_e32 v0, 0x90
	v_mov_b32_e32 v1, 0x48
	v_mov_b32_e32 v2, 0
.LBB2118_434:                           ; =>This Inner Loop Header: Depth=1
	v_add_u32_e32 v3, s12, v0
	v_add_u32_e32 v4, s12, v1
	buffer_load_dword v5, v3, s[0:3], 0 offen offset:4
	buffer_load_dword v6, v4, s[0:3], 0 offen
	buffer_load_dword v7, v3, s[0:3], 0 offen
	buffer_load_dword v10, v4, s[0:3], 0 offen offset:4
	v_add_u32_e32 v3, s12, v2
	s_add_i32 s12, s12, 8
	s_cmp_lg_u32 s12, 32
	s_waitcnt vmcnt(1)
	v_add_u32_e32 v4, v6, v7
	s_waitcnt vmcnt(0)
	v_add_u32_e32 v5, v10, v5
	buffer_store_dword v5, v3, s[0:3], 0 offen offset:4
	buffer_store_dword v4, v3, s[0:3], 0 offen
	s_cbranch_scc1 .LBB2118_434
; %bb.435:
	buffer_load_dword v0, off, s[0:3], 0
	buffer_load_dword v1, off, s[0:3], 0 offset:4
	buffer_load_dword v2, off, s[0:3], 0 offset:8
	;; [unrolled: 1-line block ×7, first 2 shown]
.LBB2118_436:
	s_or_b64 exec, exec, s[8:9]
	s_waitcnt lgkmcnt(0)
	v_or_b32_e32 v9, v9, v13
	v_and_b32_e32 v9, 1, v9
	buffer_store_byte v9, off, s[0:3], 0 offset:104
.LBB2118_437:
	s_andn2_saveexec_b64 s[8:9], s[10:11]
	s_cbranch_execz .LBB2118_439
; %bb.438:
	buffer_load_dword v0, off, s[0:3], 0 offset:72
	buffer_load_dword v1, off, s[0:3], 0 offset:76
	;; [unrolled: 1-line block ×8, first 2 shown]
	v_mov_b32_e32 v13, 0
.LBB2118_439:
	s_or_b64 exec, exec, s[8:9]
	buffer_load_dword v16, off, s[0:3], 0 offset:104
	v_add_u32_e32 v9, -1, v12
	v_and_b32_e32 v10, 64, v12
	v_cmp_lt_i32_e64 s[8:9], v9, v10
	v_cndmask_b32_e64 v9, v9, v12, s[8:9]
	v_lshlrev_b32_e32 v15, 2, v9
	s_waitcnt vmcnt(8)
	ds_bpermute_b32 v10, v15, v0
	s_waitcnt vmcnt(7)
	ds_bpermute_b32 v9, v15, v1
	;; [unrolled: 2-line block ×8, first 2 shown]
	v_cmp_eq_u32_e64 s[8:9], 0, v12
	s_waitcnt lgkmcnt(7)
	buffer_store_dword v10, off, s[0:3], 0 offset:72
	s_waitcnt lgkmcnt(6)
	buffer_store_dword v9, off, s[0:3], 0 offset:76
	;; [unrolled: 2-line block ×4, first 2 shown]
	s_waitcnt vmcnt(4)
	ds_bpermute_b32 v15, v15, v16
	s_waitcnt lgkmcnt(4)
	buffer_store_dword v4, off, s[0:3], 0 offset:88
	s_waitcnt lgkmcnt(3)
	buffer_store_dword v5, off, s[0:3], 0 offset:92
	;; [unrolled: 2-line block ×4, first 2 shown]
	s_waitcnt lgkmcnt(0)
	buffer_store_byte v15, off, s[0:3], 0 offset:104
	s_and_saveexec_b64 s[10:11], s[8:9]
	s_cbranch_execz .LBB2118_441
; %bb.440:
	buffer_load_dword v1, off, s[0:3], 0 offset:156
	buffer_load_dword v0, off, s[0:3], 0 offset:152
	;; [unrolled: 1-line block ×8, first 2 shown]
	v_mov_b32_e32 v15, v13
	buffer_store_byte v13, off, s[0:3], 0 offset:104
	s_waitcnt vmcnt(8)
	buffer_store_dword v1, off, s[0:3], 0 offset:84
	s_waitcnt vmcnt(8)
	buffer_store_dword v0, off, s[0:3], 0 offset:80
	;; [unrolled: 2-line block ×8, first 2 shown]
.LBB2118_441:
	s_or_b64 exec, exec, s[10:11]
	buffer_load_dword v6, off, s[0:3], 0 offset:300
	buffer_load_dword v7, off, s[0:3], 0 offset:296
	;; [unrolled: 1-line block ×9, first 2 shown]
	s_mov_b32 s8, 0x3020104
	buffer_store_dword v9, off, s[0:3], 0 offset:4
	buffer_store_dword v10, off, s[0:3], 0
	buffer_store_dword v1, off, s[0:3], 0 offset:12
	buffer_store_dword v0, off, s[0:3], 0 offset:8
	;; [unrolled: 1-line block ×6, first 2 shown]
	v_perm_b32 v0, v15, v16, s8
                                        ; implicit-def: $vgpr4_vgpr5
                                        ; implicit-def: $vgpr2_vgpr3
	buffer_store_dword v0, off, s[0:3], 0 offset:32
	s_waitcnt vmcnt(17)
	buffer_store_dword v6, off, s[0:3], 0 offset:48
	s_waitcnt vmcnt(17)
	;; [unrolled: 2-line block ×9, first 2 shown]
	buffer_store_dword v12, off, s[0:3], 0 offset:68
                                        ; implicit-def: $vgpr6_vgpr7
                                        ; implicit-def: $vgpr0_vgpr1
	s_and_saveexec_b64 s[8:9], s[6:7]
	s_xor_b64 s[6:7], exec, s[8:9]
	s_cbranch_execz .LBB2118_451
; %bb.442:
	v_mov_b32_e32 v0, 0
	v_cmp_ne_u16_sdwa s[8:9], v12, v0 src0_sel:BYTE_0 src1_sel:DWORD
                                        ; implicit-def: $vgpr6_vgpr7
                                        ; implicit-def: $vgpr4_vgpr5
                                        ; implicit-def: $vgpr2_vgpr3
                                        ; implicit-def: $vgpr0_vgpr1
	s_and_saveexec_b64 s[10:11], s[8:9]
	s_xor_b64 s[8:9], exec, s[10:11]
	s_cbranch_execz .LBB2118_444
; %bb.443:
	buffer_load_dword v0, off, s[0:3], 0 offset:36
	buffer_load_dword v1, off, s[0:3], 0 offset:40
	;; [unrolled: 1-line block ×8, first 2 shown]
.LBB2118_444:
	s_andn2_saveexec_b64 s[8:9], s[8:9]
	s_cbranch_execz .LBB2118_450
; %bb.445:
	s_mov_b32 s10, 0
	s_waitcnt vmcnt(7)
	v_mov_b32_e32 v0, 0x90
	s_waitcnt vmcnt(6)
	v_mov_b32_e32 v1, 0
	s_waitcnt vmcnt(0)
.LBB2118_446:                           ; =>This Inner Loop Header: Depth=1
	v_add_u32_e32 v2, s10, v0
	s_add_i32 s10, s10, 8
	s_cmp_lg_u32 s10, 32
	buffer_store_dword v1, v2, s[0:3], 0 offen offset:4
	buffer_store_dword v1, v2, s[0:3], 0 offen
	s_cbranch_scc1 .LBB2118_446
; %bb.447:
	s_mov_b32 s10, 0
	v_mov_b32_e32 v0, 0
	v_mov_b32_e32 v1, 36
	;; [unrolled: 1-line block ×3, first 2 shown]
.LBB2118_448:                           ; =>This Inner Loop Header: Depth=1
	v_add_u32_e32 v3, s10, v0
	v_add_u32_e32 v4, s10, v1
	buffer_load_dword v5, v3, s[0:3], 0 offen offset:4
	buffer_load_dword v6, v4, s[0:3], 0 offen
	buffer_load_dword v7, v3, s[0:3], 0 offen
	buffer_load_dword v9, v4, s[0:3], 0 offen offset:4
	v_add_u32_e32 v3, s10, v2
	s_add_i32 s10, s10, 8
	s_cmp_lg_u32 s10, 32
	s_waitcnt vmcnt(1)
	v_add_u32_e32 v4, v6, v7
	s_waitcnt vmcnt(0)
	v_add_u32_e32 v5, v9, v5
	buffer_store_dword v5, v3, s[0:3], 0 offen offset:4
	buffer_store_dword v4, v3, s[0:3], 0 offen
	s_cbranch_scc1 .LBB2118_448
; %bb.449:
	buffer_load_dword v0, off, s[0:3], 0 offset:144
	buffer_load_dword v1, off, s[0:3], 0 offset:148
	;; [unrolled: 1-line block ×8, first 2 shown]
.LBB2118_450:
	s_or_b64 exec, exec, s[8:9]
	v_or_b32_e32 v9, v12, v15
	v_and_b32_e32 v12, 1, v9
	s_waitcnt vmcnt(6)
	buffer_store_dword v1, off, s[0:3], 0 offset:40
	buffer_store_dword v0, off, s[0:3], 0 offset:36
	s_waitcnt vmcnt(6)
	buffer_store_dword v3, off, s[0:3], 0 offset:48
	buffer_store_dword v2, off, s[0:3], 0 offset:44
	;; [unrolled: 3-line block ×4, first 2 shown]
	;;#ASMSTART
	;;#ASMEND
.LBB2118_451:
	s_andn2_saveexec_b64 s[6:7], s[6:7]
	s_cbranch_execz .LBB2118_453
; %bb.452:
	buffer_load_dword v0, off, s[0:3], 0 offset:36
	buffer_load_dword v1, off, s[0:3], 0 offset:40
	buffer_load_dword v2, off, s[0:3], 0 offset:44
	buffer_load_dword v3, off, s[0:3], 0 offset:48
	buffer_load_dword v4, off, s[0:3], 0 offset:52
	buffer_load_dword v5, off, s[0:3], 0 offset:56
	buffer_load_dword v6, off, s[0:3], 0 offset:60
	buffer_load_dword v7, off, s[0:3], 0 offset:64
.LBB2118_453:
	s_or_b64 exec, exec, s[6:7]
	buffer_load_dword v10, off, s[0:3], 0 offset:48
	buffer_load_dword v13, off, s[0:3], 0 offset:44
	;; [unrolled: 1-line block ×8, first 2 shown]
	buffer_load_ushort v21, off, s[0:3], 0 offset:69
	buffer_load_ubyte v22, off, s[0:3], 0 offset:71
	buffer_load_ubyte v9, off, s[0:3], 0 offset:356
	s_nop 0
	buffer_store_byte v12, off, s[0:3], 0 offset:320
	s_waitcnt vmcnt(18)
	buffer_store_dword v1, off, s[0:3], 0 offset:148
	buffer_store_dword v0, off, s[0:3], 0 offset:144
	s_waitcnt vmcnt(18)
	buffer_store_dword v3, off, s[0:3], 0 offset:156
	buffer_store_dword v2, off, s[0:3], 0 offset:152
	;; [unrolled: 3-line block ×4, first 2 shown]
	s_waitcnt vmcnt(19)
	buffer_store_dword v10, off, s[0:3], 0 offset:300
	s_waitcnt vmcnt(19)
	buffer_store_dword v13, off, s[0:3], 0 offset:296
	;; [unrolled: 2-line block ×8, first 2 shown]
	s_waitcnt vmcnt(19)
	v_lshrrev_b32_e32 v0, 8, v21
	v_lshlrev_b16_e32 v1, 8, v21
	s_waitcnt vmcnt(18)
	v_lshlrev_b16_e32 v2, 8, v22
	v_or_b32_sdwa v1, v12, v1 dst_sel:DWORD dst_unused:UNUSED_PAD src0_sel:BYTE_0 src1_sel:DWORD
	v_or_b32_sdwa v0, v0, v2 dst_sel:WORD_1 dst_unused:UNUSED_PAD src0_sel:BYTE_0 src1_sel:DWORD
	v_or_b32_sdwa v0, v1, v0 dst_sel:DWORD dst_unused:UNUSED_PAD src0_sel:WORD_0 src1_sel:DWORD
	s_waitcnt vmcnt(17)
	v_cmp_ne_u16_e64 s[6:7], 0, v9
	buffer_store_dword v0, off, s[0:3], 0 offset:176
                                        ; implicit-def: $vgpr6_vgpr7
                                        ; implicit-def: $vgpr2_vgpr3
                                        ; implicit-def: $vgpr4_vgpr5
                                        ; implicit-def: $vgpr0_vgpr1
	s_and_saveexec_b64 s[8:9], s[6:7]
	s_xor_b64 s[6:7], exec, s[8:9]
	s_cbranch_execz .LBB2118_455
; %bb.454:
	buffer_load_dword v0, off, s[0:3], 0 offset:324
	buffer_load_dword v1, off, s[0:3], 0 offset:328
	;; [unrolled: 1-line block ×8, first 2 shown]
.LBB2118_455:
	s_andn2_saveexec_b64 s[6:7], s[6:7]
	s_cbranch_execz .LBB2118_461
; %bb.456:
	s_mov_b32 s8, 0
	s_waitcnt vmcnt(7)
	v_mov_b32_e32 v0, 0xf0
	s_waitcnt vmcnt(6)
	v_mov_b32_e32 v1, 0
	s_waitcnt vmcnt(0)
.LBB2118_457:                           ; =>This Inner Loop Header: Depth=1
	v_add_u32_e32 v2, s8, v0
	s_add_i32 s8, s8, 8
	s_cmp_lg_u32 s8, 32
	buffer_store_dword v1, v2, s[0:3], 0 offen offset:4
	buffer_store_dword v1, v2, s[0:3], 0 offen
	s_cbranch_scc1 .LBB2118_457
; %bb.458:
	s_mov_b32 s8, 0
	v_mov_b32_e32 v0, 0x90
	v_mov_b32_e32 v1, 0x120
	;; [unrolled: 1-line block ×3, first 2 shown]
.LBB2118_459:                           ; =>This Inner Loop Header: Depth=1
	v_add_u32_e32 v3, s8, v0
	v_add_u32_e32 v4, s8, v1
	buffer_load_dword v5, v3, s[0:3], 0 offen offset:4
	buffer_load_dword v6, v4, s[0:3], 0 offen offset:36
	buffer_load_dword v7, v3, s[0:3], 0 offen
	buffer_load_dword v10, v4, s[0:3], 0 offen offset:40
	v_add_u32_e32 v3, s8, v2
	s_add_i32 s8, s8, 8
	s_cmp_lg_u32 s8, 32
	s_waitcnt vmcnt(1)
	v_add_u32_e32 v4, v6, v7
	s_waitcnt vmcnt(0)
	v_add_u32_e32 v5, v10, v5
	buffer_store_dword v5, v3, s[0:3], 0 offen offset:4
	buffer_store_dword v4, v3, s[0:3], 0 offen
	s_cbranch_scc1 .LBB2118_459
; %bb.460:
	buffer_load_dword v0, off, s[0:3], 0 offset:240
	buffer_load_dword v1, off, s[0:3], 0 offset:244
	;; [unrolled: 1-line block ×8, first 2 shown]
.LBB2118_461:
	s_or_b64 exec, exec, s[6:7]
	buffer_load_ubyte v10, off, s[0:3], 0 offset:392
	v_or_b32_e32 v9, v9, v12
	v_and_b32_e32 v9, 1, v9
	v_cmp_eq_u32_e64 s[6:7], 1, v9
	s_waitcnt vmcnt(7)
	buffer_store_dword v1, off, s[0:3], 0 offset:148
	buffer_store_dword v0, off, s[0:3], 0 offset:144
	s_waitcnt vmcnt(7)
	buffer_store_dword v5, off, s[0:3], 0 offset:156
	buffer_store_dword v4, off, s[0:3], 0 offset:152
	;; [unrolled: 3-line block ×4, first 2 shown]
	buffer_store_dword v5, v11, s[0:3], 0 offen offset:12
	buffer_store_dword v4, v11, s[0:3], 0 offen offset:8
	;; [unrolled: 1-line block ×3, first 2 shown]
	buffer_store_dword v0, v11, s[0:3], 0 offen
	buffer_store_dword v7, v11, s[0:3], 0 offen offset:28
	buffer_store_dword v6, v11, s[0:3], 0 offen offset:24
	;; [unrolled: 1-line block ×4, first 2 shown]
	buffer_store_byte v9, off, s[0:3], 0 offset:356
                                        ; implicit-def: $vgpr2_vgpr3
                                        ; implicit-def: $vgpr0_vgpr1
                                        ; implicit-def: $vgpr6_vgpr7
                                        ; implicit-def: $vgpr4_vgpr5
	s_waitcnt vmcnt(17)
	v_cmp_ne_u16_e64 s[8:9], 0, v10
	s_and_saveexec_b64 s[10:11], s[8:9]
	s_xor_b64 s[8:9], exec, s[10:11]
	s_cbranch_execz .LBB2118_463
; %bb.462:
	buffer_load_dword v4, off, s[0:3], 0 offset:360
	buffer_load_dword v5, off, s[0:3], 0 offset:364
	;; [unrolled: 1-line block ×8, first 2 shown]
.LBB2118_463:
	s_andn2_saveexec_b64 s[8:9], s[8:9]
	s_cbranch_execz .LBB2118_469
; %bb.464:
	s_mov_b32 s10, 0
	s_waitcnt vmcnt(3)
	v_mov_b32_e32 v0, 0xf0
	s_waitcnt vmcnt(2)
	v_mov_b32_e32 v1, 0
	s_waitcnt vmcnt(0)
.LBB2118_465:                           ; =>This Inner Loop Header: Depth=1
	v_add_u32_e32 v2, s10, v0
	s_add_i32 s10, s10, 8
	s_cmp_lg_u32 s10, 32
	buffer_store_dword v1, v2, s[0:3], 0 offen offset:4
	buffer_store_dword v1, v2, s[0:3], 0 offen
	s_cbranch_scc1 .LBB2118_465
; %bb.466:
	s_mov_b32 s10, 0
	v_mov_b32_e32 v0, 0x90
	v_mov_b32_e32 v1, 0x120
	;; [unrolled: 1-line block ×3, first 2 shown]
.LBB2118_467:                           ; =>This Inner Loop Header: Depth=1
	v_add_u32_e32 v3, s10, v0
	v_add_u32_e32 v4, s10, v1
	buffer_load_dword v5, v3, s[0:3], 0 offen offset:4
	buffer_load_dword v6, v4, s[0:3], 0 offen offset:72
	buffer_load_dword v7, v3, s[0:3], 0 offen
	buffer_load_dword v9, v4, s[0:3], 0 offen offset:76
	v_add_u32_e32 v3, s10, v2
	s_add_i32 s10, s10, 8
	s_cmp_lg_u32 s10, 32
	s_waitcnt vmcnt(1)
	v_add_u32_e32 v4, v6, v7
	s_waitcnt vmcnt(0)
	v_add_u32_e32 v5, v9, v5
	buffer_store_dword v5, v3, s[0:3], 0 offen offset:4
	buffer_store_dword v4, v3, s[0:3], 0 offen
	s_cbranch_scc1 .LBB2118_467
; %bb.468:
	buffer_load_dword v4, off, s[0:3], 0 offset:240
	buffer_load_dword v5, off, s[0:3], 0 offset:244
	;; [unrolled: 1-line block ×8, first 2 shown]
.LBB2118_469:
	s_or_b64 exec, exec, s[8:9]
	s_waitcnt vmcnt(4)
	buffer_store_dword v7, v14, s[0:3], 0 offen offset:12
	buffer_store_dword v6, v14, s[0:3], 0 offen offset:8
	;; [unrolled: 1-line block ×3, first 2 shown]
	buffer_store_dword v4, v14, s[0:3], 0 offen
	s_waitcnt vmcnt(4)
	buffer_store_dword v3, v14, s[0:3], 0 offen offset:28
	v_mov_b32_e32 v3, 0
	ds_read2_b32 v[4:5], v3 offset0:27 offset1:28
	ds_read2_b32 v[6:7], v3 offset0:29 offset1:30
	;; [unrolled: 1-line block ×4, first 2 shown]
	v_and_b32_e32 v9, 1, v10
	v_cmp_eq_u32_e64 s[8:9], 1, v9
	s_or_b64 s[6:7], s[8:9], s[6:7]
	v_cndmask_b32_e64 v9, 0, 1, s[6:7]
	buffer_store_dword v2, v14, s[0:3], 0 offen offset:24
	buffer_store_dword v1, v14, s[0:3], 0 offen offset:20
	;; [unrolled: 1-line block ×3, first 2 shown]
	buffer_store_byte v9, off, s[0:3], 0 offset:392
	s_waitcnt lgkmcnt(0)
	buffer_store_dword v17, off, s[0:3], 0 offset:136
	buffer_store_dword v16, off, s[0:3], 0 offset:132
	;; [unrolled: 1-line block ×4, first 2 shown]
	ds_read_u8 v0, v3 offset:140
	buffer_store_dword v7, off, s[0:3], 0 offset:120
	buffer_store_dword v6, off, s[0:3], 0 offset:116
	;; [unrolled: 1-line block ×4, first 2 shown]
	s_waitcnt lgkmcnt(0)
	buffer_store_byte v0, off, s[0:3], 0 offset:140
	s_and_saveexec_b64 s[6:7], vcc
	s_cbranch_execz .LBB2118_471
; %bb.470:
	buffer_load_dword v4, off, s[0:3], 0 offset:108
	buffer_load_dword v5, off, s[0:3], 0 offset:112
	;; [unrolled: 1-line block ×8, first 2 shown]
	s_nop 0
	global_store_byte v3, v0, s[18:19] offset:2336
	v_mov_b32_e32 v0, 2
	s_waitcnt vmcnt(5)
	global_store_dwordx4 v3, v[4:7], s[18:19] offset:2304
	s_waitcnt vmcnt(2)
	global_store_dwordx4 v3, v[16:19], s[18:19] offset:2320
	s_waitcnt vmcnt(0)
	buffer_wbinvl1_vol
	global_store_byte v3, v0, s[20:21] offset:64
.LBB2118_471:
	s_or_b64 exec, exec, s[6:7]
.LBB2118_472:
	s_mov_b32 s6, 0
	v_mov_b32_e32 v0, 0x90
	v_mov_b32_e32 v1, 0
.LBB2118_473:                           ; =>This Inner Loop Header: Depth=1
	v_add_u32_e32 v2, s6, v0
	s_add_i32 s6, s6, 8
	s_cmp_lg_u32 s6, 32
	buffer_store_dword v1, v2, s[0:3], 0 offen offset:4
	buffer_store_dword v1, v2, s[0:3], 0 offen
	s_cbranch_scc1 .LBB2118_473
; %bb.474:
	s_mov_b32 s6, 32
	v_mov_b32_e32 v0, 0x90
	v_mov_b32_e32 v1, 0
.LBB2118_475:                           ; =>This Inner Loop Header: Depth=1
	v_add_u32_e32 v2, s6, v0
	s_add_i32 s6, s6, 8
	s_cmp_lg_u32 s6, 64
	buffer_store_dword v1, v2, s[0:3], 0 offen offset:4
	buffer_store_dword v1, v2, s[0:3], 0 offen
	s_cbranch_scc1 .LBB2118_475
; %bb.476:
	s_mov_b32 s6, 64
	v_mov_b32_e32 v0, 0x90
	v_mov_b32_e32 v1, 0
.LBB2118_477:                           ; =>This Inner Loop Header: Depth=1
	v_add_u32_e32 v2, s6, v0
	s_add_i32 s6, s6, 8
	s_cmpk_lg_i32 s6, 0x60
	buffer_store_dword v1, v2, s[0:3], 0 offen offset:4
	buffer_store_dword v1, v2, s[0:3], 0 offen
	s_cbranch_scc1 .LBB2118_477
; %bb.478:
	s_add_u32 s6, s30, s14
	s_addc_u32 s7, s31, s15
	v_mov_b32_e32 v0, 0x90
	s_add_u32 s8, s6, s24
	v_add_u32_e32 v2, 64, v0
	v_add_u32_e32 v3, 32, v0
	s_addc_u32 s9, s7, s25
	s_and_b64 vcc, exec, s[4:5]
	s_cbranch_vccz .LBB2118_488
; %bb.479:
	s_add_i32 s23, s23, s22
	v_mul_u32_u24_e32 v0, 3, v8
	v_cmp_gt_u32_e32 vcc, s23, v0
	s_and_saveexec_b64 s[4:5], vcc
	s_cbranch_execz .LBB2118_483
; %bb.480:
	buffer_load_dword v1, off, s[0:3], 0 offset:300
	buffer_load_dword v4, off, s[0:3], 0 offset:296
	;; [unrolled: 1-line block ×8, first 2 shown]
	v_add_u32_e32 v13, 1, v0
	v_cmp_gt_u32_e32 vcc, s23, v13
	s_waitcnt vmcnt(7)
	buffer_store_dword v1, off, s[0:3], 0 offset:156
	s_waitcnt vmcnt(7)
	buffer_store_dword v4, off, s[0:3], 0 offset:152
	;; [unrolled: 2-line block ×8, first 2 shown]
	s_and_b64 exec, exec, vcc
	s_cbranch_execz .LBB2118_483
; %bb.481:
	buffer_load_dword v1, v11, s[0:3], 0 offen offset:12
	buffer_load_dword v4, v11, s[0:3], 0 offen offset:8
	;; [unrolled: 1-line block ×3, first 2 shown]
	buffer_load_dword v6, v11, s[0:3], 0 offen
	buffer_load_dword v7, v11, s[0:3], 0 offen offset:28
	buffer_load_dword v9, v11, s[0:3], 0 offen offset:24
	;; [unrolled: 1-line block ×4, first 2 shown]
	v_add_u32_e32 v13, 2, v0
	v_cmp_gt_u32_e32 vcc, s23, v13
	s_waitcnt vmcnt(7)
	buffer_store_dword v1, v3, s[0:3], 0 offen offset:12
	s_waitcnt vmcnt(7)
	buffer_store_dword v4, v3, s[0:3], 0 offen offset:8
	s_waitcnt vmcnt(7)
	buffer_store_dword v5, v3, s[0:3], 0 offen offset:4
	s_waitcnt vmcnt(7)
	buffer_store_dword v6, v3, s[0:3], 0 offen
	s_waitcnt vmcnt(7)
	buffer_store_dword v7, v3, s[0:3], 0 offen offset:28
	s_waitcnt vmcnt(7)
	buffer_store_dword v9, v3, s[0:3], 0 offen offset:24
	;; [unrolled: 2-line block ×4, first 2 shown]
	s_and_b64 exec, exec, vcc
	s_cbranch_execz .LBB2118_483
; %bb.482:
	buffer_load_dword v1, v14, s[0:3], 0 offen offset:12
	buffer_load_dword v4, v14, s[0:3], 0 offen offset:8
	;; [unrolled: 1-line block ×3, first 2 shown]
	buffer_load_dword v6, v14, s[0:3], 0 offen
	buffer_load_dword v7, v14, s[0:3], 0 offen offset:28
	buffer_load_dword v9, v14, s[0:3], 0 offen offset:24
	;; [unrolled: 1-line block ×4, first 2 shown]
	s_waitcnt vmcnt(7)
	buffer_store_dword v1, v2, s[0:3], 0 offen offset:12
	s_waitcnt vmcnt(7)
	buffer_store_dword v4, v2, s[0:3], 0 offen offset:8
	;; [unrolled: 2-line block ×3, first 2 shown]
	s_waitcnt vmcnt(7)
	buffer_store_dword v6, v2, s[0:3], 0 offen
	s_waitcnt vmcnt(7)
	buffer_store_dword v7, v2, s[0:3], 0 offen offset:28
	s_waitcnt vmcnt(7)
	buffer_store_dword v9, v2, s[0:3], 0 offen offset:24
	s_waitcnt vmcnt(7)
	buffer_store_dword v10, v2, s[0:3], 0 offen offset:20
	s_waitcnt vmcnt(7)
	buffer_store_dword v12, v2, s[0:3], 0 offen offset:16
.LBB2118_483:
	s_or_b64 exec, exec, s[4:5]
	s_barrier
	buffer_load_dword v16, off, s[0:3], 0 offset:144
	buffer_load_dword v17, off, s[0:3], 0 offset:148
	;; [unrolled: 1-line block ×8, first 2 shown]
	buffer_load_dword v24, v3, s[0:3], 0 offen
	buffer_load_dword v25, v3, s[0:3], 0 offen offset:4
	buffer_load_dword v26, v3, s[0:3], 0 offen offset:8
	;; [unrolled: 1-line block ×7, first 2 shown]
	buffer_load_dword v32, v2, s[0:3], 0 offen
	buffer_load_dword v33, v2, s[0:3], 0 offen offset:4
	buffer_load_dword v34, v2, s[0:3], 0 offen offset:8
	;; [unrolled: 1-line block ×7, first 2 shown]
	v_lshlrev_b32_e32 v0, 5, v0
	v_lshlrev_b32_e32 v1, 6, v8
	v_sub_u32_e32 v4, v0, v1
	v_lshlrev_b32_e32 v5, 5, v8
	v_mov_b32_e32 v6, s9
	v_mov_b32_e32 v9, 0
	s_waitcnt vmcnt(20)
	ds_write_b128 v0, v[16:19]
	s_waitcnt vmcnt(16)
	ds_write_b128 v0, v[20:23] offset:16
	s_waitcnt vmcnt(12)
	ds_write_b128 v0, v[24:27] offset:32
	;; [unrolled: 2-line block ×5, first 2 shown]
	s_waitcnt lgkmcnt(0)
	s_barrier
	ds_read_b128 v[16:19], v4 offset:8192
	ds_read_b128 v[20:23], v4 offset:8208
	ds_read_b128 v[24:27], v4 offset:16384
	ds_read_b128 v[28:31], v4 offset:16400
	v_add_co_u32_e32 v0, vcc, s8, v5
	v_addc_co_u32_e32 v1, vcc, 0, v6, vcc
	v_cmp_gt_u32_e32 vcc, s23, v8
	s_waitcnt lgkmcnt(3)
	buffer_store_dword v19, v3, s[0:3], 0 offen offset:12
	buffer_store_dword v18, v3, s[0:3], 0 offen offset:8
	;; [unrolled: 1-line block ×3, first 2 shown]
	buffer_store_dword v16, v3, s[0:3], 0 offen
	s_waitcnt lgkmcnt(2)
	buffer_store_dword v23, v3, s[0:3], 0 offen offset:28
	buffer_store_dword v22, v3, s[0:3], 0 offen offset:24
	;; [unrolled: 1-line block ×4, first 2 shown]
	s_waitcnt lgkmcnt(1)
	buffer_store_dword v27, v2, s[0:3], 0 offen offset:12
	buffer_store_dword v26, v2, s[0:3], 0 offen offset:8
	;; [unrolled: 1-line block ×3, first 2 shown]
	buffer_store_dword v24, v2, s[0:3], 0 offen
	s_waitcnt lgkmcnt(0)
	buffer_store_dword v31, v2, s[0:3], 0 offen offset:28
	buffer_store_dword v30, v2, s[0:3], 0 offen offset:24
	;; [unrolled: 1-line block ×4, first 2 shown]
	s_and_saveexec_b64 s[4:5], vcc
	s_cbranch_execz .LBB2118_485
; %bb.484:
	ds_read2_b32 v[16:17], v4 offset0:4 offset1:5
	ds_read2_b32 v[18:19], v4 offset0:6 offset1:7
	;; [unrolled: 1-line block ×3, first 2 shown]
	ds_read2_b32 v[4:5], v4 offset1:1
	s_waitcnt lgkmcnt(0)
	flat_store_dwordx4 v[0:1], v[4:7]
	flat_store_dwordx4 v[0:1], v[16:19] offset:16
.LBB2118_485:
	s_or_b64 exec, exec, s[4:5]
	v_or_b32_e32 v4, 0x100, v8
	v_cmp_gt_u32_e32 vcc, s23, v4
	s_and_saveexec_b64 s[6:7], vcc
	s_cbranch_execz .LBB2118_487
; %bb.486:
	buffer_load_dword v4, v3, s[0:3], 0 offen offset:16
	buffer_load_dword v5, v3, s[0:3], 0 offen offset:20
	;; [unrolled: 1-line block ×4, first 2 shown]
	buffer_load_dword v16, v3, s[0:3], 0 offen
	buffer_load_dword v17, v3, s[0:3], 0 offen offset:4
	buffer_load_dword v18, v3, s[0:3], 0 offen offset:8
	;; [unrolled: 1-line block ×3, first 2 shown]
	v_add_co_u32_e32 v12, vcc, 0x2000, v0
	s_mov_b64 s[4:5], vcc
	v_addc_co_u32_e64 v13, s[4:5], 0, v1, s[4:5]
	s_waitcnt vmcnt(0)
	flat_store_dwordx4 v[12:13], v[4:7] offset:16
	v_addc_co_u32_e32 v13, vcc, 0, v1, vcc
	flat_store_dwordx4 v[12:13], v[16:19]
.LBB2118_487:
	s_or_b64 exec, exec, s[6:7]
	v_or_b32_e32 v0, 0x200, v8
	v_cmp_gt_u32_e64 s[6:7], s23, v0
	s_branch .LBB2118_490
.LBB2118_488:
	s_mov_b64 s[6:7], 0
	s_cbranch_execz .LBB2118_490
; %bb.489:
	buffer_load_dword v0, off, s[0:3], 0 offset:300
	buffer_load_dword v1, off, s[0:3], 0 offset:296
	;; [unrolled: 1-line block ×8, first 2 shown]
	buffer_load_dword v12, v11, s[0:3], 0 offen offset:12
	buffer_load_dword v13, v11, s[0:3], 0 offen offset:8
	;; [unrolled: 1-line block ×3, first 2 shown]
	buffer_load_dword v16, v11, s[0:3], 0 offen
	buffer_load_dword v17, v11, s[0:3], 0 offen offset:28
	buffer_load_dword v18, v11, s[0:3], 0 offen offset:24
	;; [unrolled: 1-line block ×7, first 2 shown]
	buffer_load_dword v24, v14, s[0:3], 0 offen
	buffer_load_dword v25, v14, s[0:3], 0 offen offset:28
	buffer_load_dword v26, v14, s[0:3], 0 offen offset:24
	;; [unrolled: 1-line block ×3, first 2 shown]
                                        ; kill: killed $vgpr11
	buffer_load_dword v11, v14, s[0:3], 0 offen offset:16
	v_mul_u32_u24_e32 v34, 0x60, v8
	v_mov_b32_e32 v30, s9
	s_or_b64 s[6:7], s[6:7], exec
	s_waitcnt vmcnt(0)
	buffer_store_dword v0, off, s[0:3], 0 offset:156
	buffer_store_dword v1, off, s[0:3], 0 offset:152
	;; [unrolled: 1-line block ×8, first 2 shown]
	buffer_store_dword v12, v3, s[0:3], 0 offen offset:12
	buffer_store_dword v13, v3, s[0:3], 0 offen offset:8
	;; [unrolled: 1-line block ×3, first 2 shown]
	buffer_store_dword v16, v3, s[0:3], 0 offen
	buffer_store_dword v17, v3, s[0:3], 0 offen offset:28
	buffer_store_dword v18, v3, s[0:3], 0 offen offset:24
	;; [unrolled: 1-line block ×7, first 2 shown]
	buffer_store_dword v24, v2, s[0:3], 0 offen
	buffer_store_dword v25, v2, s[0:3], 0 offen offset:28
	buffer_store_dword v26, v2, s[0:3], 0 offen offset:24
	;; [unrolled: 1-line block ×4, first 2 shown]
	s_waitcnt lgkmcnt(0)
	s_barrier
	buffer_load_dword v4, off, s[0:3], 0 offset:144
	buffer_load_dword v5, off, s[0:3], 0 offset:148
	;; [unrolled: 1-line block ×8, first 2 shown]
	buffer_load_dword v14, v3, s[0:3], 0 offen
	buffer_load_dword v15, v3, s[0:3], 0 offen offset:4
	buffer_load_dword v16, v3, s[0:3], 0 offen offset:8
	;; [unrolled: 1-line block ×7, first 2 shown]
	buffer_load_dword v22, v2, s[0:3], 0 offen
	buffer_load_dword v23, v2, s[0:3], 0 offen offset:4
	buffer_load_dword v24, v2, s[0:3], 0 offen offset:8
	;; [unrolled: 1-line block ×7, first 2 shown]
	v_lshlrev_b32_e32 v0, 6, v8
	v_sub_u32_e32 v35, v34, v0
	v_lshlrev_b32_e32 v1, 5, v8
	v_add_co_u32_e32 v0, vcc, s8, v1
	v_addc_co_u32_e32 v1, vcc, 0, v30, vcc
	v_mov_b32_e32 v9, 0
	v_add_co_u32_e32 v30, vcc, 0x2000, v0
	v_addc_co_u32_e64 v31, s[4:5], 0, v1, vcc
	v_addc_co_u32_e32 v33, vcc, 0, v1, vcc
	v_mov_b32_e32 v32, v30
	s_waitcnt vmcnt(20)
	ds_write_b128 v34, v[4:7]
	s_waitcnt vmcnt(16)
	ds_write_b128 v34, v[10:13] offset:16
	s_waitcnt vmcnt(12)
	ds_write_b128 v34, v[14:17] offset:32
	s_waitcnt vmcnt(8)
	ds_write_b128 v34, v[18:21] offset:48
	s_waitcnt vmcnt(4)
	ds_write_b128 v34, v[22:25] offset:64
	s_waitcnt vmcnt(0)
	ds_write_b128 v34, v[26:29] offset:80
	s_waitcnt lgkmcnt(0)
	s_barrier
	ds_read_b128 v[4:7], v35 offset:8192
	ds_read_b128 v[10:13], v35 offset:8208
	;; [unrolled: 1-line block ×4, first 2 shown]
	ds_read2_b32 v[22:23], v35 offset1:1
	ds_read2_b32 v[28:29], v35 offset0:6 offset1:7
	ds_read2_b32 v[26:27], v35 offset0:4 offset1:5
	;; [unrolled: 1-line block ×3, first 2 shown]
	s_waitcnt lgkmcnt(7)
	buffer_store_dword v7, v3, s[0:3], 0 offen offset:12
	buffer_store_dword v6, v3, s[0:3], 0 offen offset:8
	;; [unrolled: 1-line block ×3, first 2 shown]
	buffer_store_dword v4, v3, s[0:3], 0 offen
	s_waitcnt lgkmcnt(6)
	buffer_store_dword v13, v3, s[0:3], 0 offen offset:28
	buffer_store_dword v12, v3, s[0:3], 0 offen offset:24
	;; [unrolled: 1-line block ×4, first 2 shown]
	s_waitcnt lgkmcnt(5)
	buffer_store_dword v17, v2, s[0:3], 0 offen offset:12
	buffer_store_dword v16, v2, s[0:3], 0 offen offset:8
	;; [unrolled: 1-line block ×3, first 2 shown]
	buffer_store_dword v14, v2, s[0:3], 0 offen
	s_waitcnt lgkmcnt(4)
	buffer_store_dword v21, v2, s[0:3], 0 offen offset:28
	buffer_store_dword v20, v2, s[0:3], 0 offen offset:24
	;; [unrolled: 1-line block ×4, first 2 shown]
	s_waitcnt lgkmcnt(1)
	flat_store_dwordx4 v[0:1], v[26:29] offset:16
	s_waitcnt lgkmcnt(0)
	flat_store_dwordx4 v[0:1], v[22:25]
	flat_store_dwordx4 v[32:33], v[4:7]
	flat_store_dwordx4 v[30:31], v[10:13] offset:16
.LBB2118_490:
	s_and_saveexec_b64 s[4:5], s[6:7]
	s_cbranch_execnz .LBB2118_492
; %bb.491:
	s_endpgm
.LBB2118_492:
	buffer_load_dword v4, v2, s[0:3], 0 offen offset:16
	buffer_load_dword v5, v2, s[0:3], 0 offen offset:20
	;; [unrolled: 1-line block ×4, first 2 shown]
	buffer_load_dword v10, v2, s[0:3], 0 offen
	buffer_load_dword v11, v2, s[0:3], 0 offen offset:4
	buffer_load_dword v12, v2, s[0:3], 0 offen offset:8
	;; [unrolled: 1-line block ×3, first 2 shown]
	v_lshlrev_b64 v[0:1], 5, v[8:9]
	v_mov_b32_e32 v2, s9
	v_add_co_u32_e32 v0, vcc, s8, v0
	v_addc_co_u32_e32 v2, vcc, v2, v1, vcc
	v_add_co_u32_e32 v0, vcc, 0x4000, v0
	v_addc_co_u32_e64 v1, s[4:5], 0, v2, vcc
	s_waitcnt vmcnt(0)
	flat_store_dwordx4 v[0:1], v[4:7] offset:16
	v_addc_co_u32_e32 v1, vcc, 0, v2, vcc
	flat_store_dwordx4 v[0:1], v[10:13]
	s_endpgm
.LBB2118_493:
	v_lshlrev_b64 v[12:13], 5, v[8:9]
	v_mov_b32_e32 v9, s33
	v_add_co_u32_e32 v12, vcc, s11, v12
	v_addc_co_u32_e32 v13, vcc, v9, v13, vcc
	flat_load_dwordx4 v[18:21], v[12:13]
	flat_load_dwordx4 v[22:25], v[12:13] offset:16
	s_waitcnt vmcnt(0) lgkmcnt(0)
	buffer_store_dword v19, off, s[0:3], 0 offset:148
	buffer_store_dword v18, off, s[0:3], 0 offset:144
	;; [unrolled: 1-line block ×8, first 2 shown]
	s_or_b64 exec, exec, s[36:37]
	s_and_saveexec_b64 s[12:13], s[8:9]
	s_cbranch_execz .LBB2118_311
.LBB2118_494:
	v_lshlrev_b32_e32 v7, 5, v7
	v_mov_b32_e32 v9, s33
	v_add_co_u32_e32 v12, vcc, s11, v7
	v_addc_co_u32_e32 v13, vcc, 0, v9, vcc
	flat_load_dwordx4 v[18:21], v[12:13]
	flat_load_dwordx4 v[22:25], v[12:13] offset:16
	s_waitcnt vmcnt(0) lgkmcnt(0)
	buffer_store_dword v19, off, s[0:3], 0 offset:180
	buffer_store_dword v18, off, s[0:3], 0 offset:176
	;; [unrolled: 1-line block ×8, first 2 shown]
	s_or_b64 exec, exec, s[12:13]
	s_and_saveexec_b64 s[8:9], s[6:7]
	s_cbranch_execnz .LBB2118_312
	s_branch .LBB2118_313
.LBB2118_495:
                                        ; implicit-def: $sgpr36_sgpr37
	s_branch .LBB2118_306
.LBB2118_496:
                                        ; implicit-def: $sgpr6_sgpr7
	s_branch .LBB2118_321
	.section	.rodata,"a",@progbits
	.p2align	6, 0x0
	.amdhsa_kernel _ZN7rocprim17ROCPRIM_400000_NS6detail17trampoline_kernelINS0_14default_configENS1_27scan_by_key_config_selectorIj11FixedVectorIiLj8EEEEZZNS1_16scan_by_key_implILNS1_25lookback_scan_determinismE0ELb0ES3_N6thrust23THRUST_200600_302600_NS6detail15normal_iteratorINSB_10device_ptrIjEEEENSD_INSE_IS6_EEEESI_S6_NSB_4plusIvEENSB_8equal_toIvEES6_EE10hipError_tPvRmT2_T3_T4_T5_mT6_T7_P12ihipStream_tbENKUlT_T0_E_clISt17integral_constantIbLb0EES13_EEDaSY_SZ_EUlSY_E_NS1_11comp_targetILNS1_3genE4ELNS1_11target_archE910ELNS1_3gpuE8ELNS1_3repE0EEENS1_30default_config_static_selectorELNS0_4arch9wavefront6targetE1EEEvT1_
		.amdhsa_group_segment_fixed_size 32768
		.amdhsa_private_segment_fixed_size 400
		.amdhsa_kernarg_size 160
		.amdhsa_user_sgpr_count 10
		.amdhsa_user_sgpr_private_segment_buffer 1
		.amdhsa_user_sgpr_dispatch_ptr 1
		.amdhsa_user_sgpr_queue_ptr 0
		.amdhsa_user_sgpr_kernarg_segment_ptr 1
		.amdhsa_user_sgpr_dispatch_id 0
		.amdhsa_user_sgpr_flat_scratch_init 1
		.amdhsa_user_sgpr_kernarg_preload_length 0
		.amdhsa_user_sgpr_kernarg_preload_offset 0
		.amdhsa_user_sgpr_private_segment_size 0
		.amdhsa_uses_dynamic_stack 0
		.amdhsa_system_sgpr_private_segment_wavefront_offset 1
		.amdhsa_system_sgpr_workgroup_id_x 1
		.amdhsa_system_sgpr_workgroup_id_y 0
		.amdhsa_system_sgpr_workgroup_id_z 0
		.amdhsa_system_sgpr_workgroup_info 0
		.amdhsa_system_vgpr_workitem_id 2
		.amdhsa_next_free_vgpr 45
		.amdhsa_next_free_sgpr 51
		.amdhsa_accum_offset 48
		.amdhsa_reserve_vcc 1
		.amdhsa_reserve_flat_scratch 1
		.amdhsa_float_round_mode_32 0
		.amdhsa_float_round_mode_16_64 0
		.amdhsa_float_denorm_mode_32 3
		.amdhsa_float_denorm_mode_16_64 3
		.amdhsa_dx10_clamp 1
		.amdhsa_ieee_mode 1
		.amdhsa_fp16_overflow 0
		.amdhsa_tg_split 0
		.amdhsa_exception_fp_ieee_invalid_op 0
		.amdhsa_exception_fp_denorm_src 0
		.amdhsa_exception_fp_ieee_div_zero 0
		.amdhsa_exception_fp_ieee_overflow 0
		.amdhsa_exception_fp_ieee_underflow 0
		.amdhsa_exception_fp_ieee_inexact 0
		.amdhsa_exception_int_div_zero 0
	.end_amdhsa_kernel
	.section	.text._ZN7rocprim17ROCPRIM_400000_NS6detail17trampoline_kernelINS0_14default_configENS1_27scan_by_key_config_selectorIj11FixedVectorIiLj8EEEEZZNS1_16scan_by_key_implILNS1_25lookback_scan_determinismE0ELb0ES3_N6thrust23THRUST_200600_302600_NS6detail15normal_iteratorINSB_10device_ptrIjEEEENSD_INSE_IS6_EEEESI_S6_NSB_4plusIvEENSB_8equal_toIvEES6_EE10hipError_tPvRmT2_T3_T4_T5_mT6_T7_P12ihipStream_tbENKUlT_T0_E_clISt17integral_constantIbLb0EES13_EEDaSY_SZ_EUlSY_E_NS1_11comp_targetILNS1_3genE4ELNS1_11target_archE910ELNS1_3gpuE8ELNS1_3repE0EEENS1_30default_config_static_selectorELNS0_4arch9wavefront6targetE1EEEvT1_,"axG",@progbits,_ZN7rocprim17ROCPRIM_400000_NS6detail17trampoline_kernelINS0_14default_configENS1_27scan_by_key_config_selectorIj11FixedVectorIiLj8EEEEZZNS1_16scan_by_key_implILNS1_25lookback_scan_determinismE0ELb0ES3_N6thrust23THRUST_200600_302600_NS6detail15normal_iteratorINSB_10device_ptrIjEEEENSD_INSE_IS6_EEEESI_S6_NSB_4plusIvEENSB_8equal_toIvEES6_EE10hipError_tPvRmT2_T3_T4_T5_mT6_T7_P12ihipStream_tbENKUlT_T0_E_clISt17integral_constantIbLb0EES13_EEDaSY_SZ_EUlSY_E_NS1_11comp_targetILNS1_3genE4ELNS1_11target_archE910ELNS1_3gpuE8ELNS1_3repE0EEENS1_30default_config_static_selectorELNS0_4arch9wavefront6targetE1EEEvT1_,comdat
.Lfunc_end2118:
	.size	_ZN7rocprim17ROCPRIM_400000_NS6detail17trampoline_kernelINS0_14default_configENS1_27scan_by_key_config_selectorIj11FixedVectorIiLj8EEEEZZNS1_16scan_by_key_implILNS1_25lookback_scan_determinismE0ELb0ES3_N6thrust23THRUST_200600_302600_NS6detail15normal_iteratorINSB_10device_ptrIjEEEENSD_INSE_IS6_EEEESI_S6_NSB_4plusIvEENSB_8equal_toIvEES6_EE10hipError_tPvRmT2_T3_T4_T5_mT6_T7_P12ihipStream_tbENKUlT_T0_E_clISt17integral_constantIbLb0EES13_EEDaSY_SZ_EUlSY_E_NS1_11comp_targetILNS1_3genE4ELNS1_11target_archE910ELNS1_3gpuE8ELNS1_3repE0EEENS1_30default_config_static_selectorELNS0_4arch9wavefront6targetE1EEEvT1_, .Lfunc_end2118-_ZN7rocprim17ROCPRIM_400000_NS6detail17trampoline_kernelINS0_14default_configENS1_27scan_by_key_config_selectorIj11FixedVectorIiLj8EEEEZZNS1_16scan_by_key_implILNS1_25lookback_scan_determinismE0ELb0ES3_N6thrust23THRUST_200600_302600_NS6detail15normal_iteratorINSB_10device_ptrIjEEEENSD_INSE_IS6_EEEESI_S6_NSB_4plusIvEENSB_8equal_toIvEES6_EE10hipError_tPvRmT2_T3_T4_T5_mT6_T7_P12ihipStream_tbENKUlT_T0_E_clISt17integral_constantIbLb0EES13_EEDaSY_SZ_EUlSY_E_NS1_11comp_targetILNS1_3genE4ELNS1_11target_archE910ELNS1_3gpuE8ELNS1_3repE0EEENS1_30default_config_static_selectorELNS0_4arch9wavefront6targetE1EEEvT1_
                                        ; -- End function
	.section	.AMDGPU.csdata,"",@progbits
; Kernel info:
; codeLenInByte = 34088
; NumSgprs: 57
; NumVgprs: 45
; NumAgprs: 0
; TotalNumVgprs: 45
; ScratchSize: 400
; MemoryBound: 0
; FloatMode: 240
; IeeeMode: 1
; LDSByteSize: 32768 bytes/workgroup (compile time only)
; SGPRBlocks: 7
; VGPRBlocks: 5
; NumSGPRsForWavesPerEU: 57
; NumVGPRsForWavesPerEU: 45
; AccumOffset: 48
; Occupancy: 2
; WaveLimiterHint : 1
; COMPUTE_PGM_RSRC2:SCRATCH_EN: 1
; COMPUTE_PGM_RSRC2:USER_SGPR: 10
; COMPUTE_PGM_RSRC2:TRAP_HANDLER: 0
; COMPUTE_PGM_RSRC2:TGID_X_EN: 1
; COMPUTE_PGM_RSRC2:TGID_Y_EN: 0
; COMPUTE_PGM_RSRC2:TGID_Z_EN: 0
; COMPUTE_PGM_RSRC2:TIDIG_COMP_CNT: 2
; COMPUTE_PGM_RSRC3_GFX90A:ACCUM_OFFSET: 11
; COMPUTE_PGM_RSRC3_GFX90A:TG_SPLIT: 0
	.section	.text._ZN7rocprim17ROCPRIM_400000_NS6detail17trampoline_kernelINS0_14default_configENS1_27scan_by_key_config_selectorIj11FixedVectorIiLj8EEEEZZNS1_16scan_by_key_implILNS1_25lookback_scan_determinismE0ELb0ES3_N6thrust23THRUST_200600_302600_NS6detail15normal_iteratorINSB_10device_ptrIjEEEENSD_INSE_IS6_EEEESI_S6_NSB_4plusIvEENSB_8equal_toIvEES6_EE10hipError_tPvRmT2_T3_T4_T5_mT6_T7_P12ihipStream_tbENKUlT_T0_E_clISt17integral_constantIbLb0EES13_EEDaSY_SZ_EUlSY_E_NS1_11comp_targetILNS1_3genE3ELNS1_11target_archE908ELNS1_3gpuE7ELNS1_3repE0EEENS1_30default_config_static_selectorELNS0_4arch9wavefront6targetE1EEEvT1_,"axG",@progbits,_ZN7rocprim17ROCPRIM_400000_NS6detail17trampoline_kernelINS0_14default_configENS1_27scan_by_key_config_selectorIj11FixedVectorIiLj8EEEEZZNS1_16scan_by_key_implILNS1_25lookback_scan_determinismE0ELb0ES3_N6thrust23THRUST_200600_302600_NS6detail15normal_iteratorINSB_10device_ptrIjEEEENSD_INSE_IS6_EEEESI_S6_NSB_4plusIvEENSB_8equal_toIvEES6_EE10hipError_tPvRmT2_T3_T4_T5_mT6_T7_P12ihipStream_tbENKUlT_T0_E_clISt17integral_constantIbLb0EES13_EEDaSY_SZ_EUlSY_E_NS1_11comp_targetILNS1_3genE3ELNS1_11target_archE908ELNS1_3gpuE7ELNS1_3repE0EEENS1_30default_config_static_selectorELNS0_4arch9wavefront6targetE1EEEvT1_,comdat
	.protected	_ZN7rocprim17ROCPRIM_400000_NS6detail17trampoline_kernelINS0_14default_configENS1_27scan_by_key_config_selectorIj11FixedVectorIiLj8EEEEZZNS1_16scan_by_key_implILNS1_25lookback_scan_determinismE0ELb0ES3_N6thrust23THRUST_200600_302600_NS6detail15normal_iteratorINSB_10device_ptrIjEEEENSD_INSE_IS6_EEEESI_S6_NSB_4plusIvEENSB_8equal_toIvEES6_EE10hipError_tPvRmT2_T3_T4_T5_mT6_T7_P12ihipStream_tbENKUlT_T0_E_clISt17integral_constantIbLb0EES13_EEDaSY_SZ_EUlSY_E_NS1_11comp_targetILNS1_3genE3ELNS1_11target_archE908ELNS1_3gpuE7ELNS1_3repE0EEENS1_30default_config_static_selectorELNS0_4arch9wavefront6targetE1EEEvT1_ ; -- Begin function _ZN7rocprim17ROCPRIM_400000_NS6detail17trampoline_kernelINS0_14default_configENS1_27scan_by_key_config_selectorIj11FixedVectorIiLj8EEEEZZNS1_16scan_by_key_implILNS1_25lookback_scan_determinismE0ELb0ES3_N6thrust23THRUST_200600_302600_NS6detail15normal_iteratorINSB_10device_ptrIjEEEENSD_INSE_IS6_EEEESI_S6_NSB_4plusIvEENSB_8equal_toIvEES6_EE10hipError_tPvRmT2_T3_T4_T5_mT6_T7_P12ihipStream_tbENKUlT_T0_E_clISt17integral_constantIbLb0EES13_EEDaSY_SZ_EUlSY_E_NS1_11comp_targetILNS1_3genE3ELNS1_11target_archE908ELNS1_3gpuE7ELNS1_3repE0EEENS1_30default_config_static_selectorELNS0_4arch9wavefront6targetE1EEEvT1_
	.globl	_ZN7rocprim17ROCPRIM_400000_NS6detail17trampoline_kernelINS0_14default_configENS1_27scan_by_key_config_selectorIj11FixedVectorIiLj8EEEEZZNS1_16scan_by_key_implILNS1_25lookback_scan_determinismE0ELb0ES3_N6thrust23THRUST_200600_302600_NS6detail15normal_iteratorINSB_10device_ptrIjEEEENSD_INSE_IS6_EEEESI_S6_NSB_4plusIvEENSB_8equal_toIvEES6_EE10hipError_tPvRmT2_T3_T4_T5_mT6_T7_P12ihipStream_tbENKUlT_T0_E_clISt17integral_constantIbLb0EES13_EEDaSY_SZ_EUlSY_E_NS1_11comp_targetILNS1_3genE3ELNS1_11target_archE908ELNS1_3gpuE7ELNS1_3repE0EEENS1_30default_config_static_selectorELNS0_4arch9wavefront6targetE1EEEvT1_
	.p2align	8
	.type	_ZN7rocprim17ROCPRIM_400000_NS6detail17trampoline_kernelINS0_14default_configENS1_27scan_by_key_config_selectorIj11FixedVectorIiLj8EEEEZZNS1_16scan_by_key_implILNS1_25lookback_scan_determinismE0ELb0ES3_N6thrust23THRUST_200600_302600_NS6detail15normal_iteratorINSB_10device_ptrIjEEEENSD_INSE_IS6_EEEESI_S6_NSB_4plusIvEENSB_8equal_toIvEES6_EE10hipError_tPvRmT2_T3_T4_T5_mT6_T7_P12ihipStream_tbENKUlT_T0_E_clISt17integral_constantIbLb0EES13_EEDaSY_SZ_EUlSY_E_NS1_11comp_targetILNS1_3genE3ELNS1_11target_archE908ELNS1_3gpuE7ELNS1_3repE0EEENS1_30default_config_static_selectorELNS0_4arch9wavefront6targetE1EEEvT1_,@function
_ZN7rocprim17ROCPRIM_400000_NS6detail17trampoline_kernelINS0_14default_configENS1_27scan_by_key_config_selectorIj11FixedVectorIiLj8EEEEZZNS1_16scan_by_key_implILNS1_25lookback_scan_determinismE0ELb0ES3_N6thrust23THRUST_200600_302600_NS6detail15normal_iteratorINSB_10device_ptrIjEEEENSD_INSE_IS6_EEEESI_S6_NSB_4plusIvEENSB_8equal_toIvEES6_EE10hipError_tPvRmT2_T3_T4_T5_mT6_T7_P12ihipStream_tbENKUlT_T0_E_clISt17integral_constantIbLb0EES13_EEDaSY_SZ_EUlSY_E_NS1_11comp_targetILNS1_3genE3ELNS1_11target_archE908ELNS1_3gpuE7ELNS1_3repE0EEENS1_30default_config_static_selectorELNS0_4arch9wavefront6targetE1EEEvT1_: ; @_ZN7rocprim17ROCPRIM_400000_NS6detail17trampoline_kernelINS0_14default_configENS1_27scan_by_key_config_selectorIj11FixedVectorIiLj8EEEEZZNS1_16scan_by_key_implILNS1_25lookback_scan_determinismE0ELb0ES3_N6thrust23THRUST_200600_302600_NS6detail15normal_iteratorINSB_10device_ptrIjEEEENSD_INSE_IS6_EEEESI_S6_NSB_4plusIvEENSB_8equal_toIvEES6_EE10hipError_tPvRmT2_T3_T4_T5_mT6_T7_P12ihipStream_tbENKUlT_T0_E_clISt17integral_constantIbLb0EES13_EEDaSY_SZ_EUlSY_E_NS1_11comp_targetILNS1_3genE3ELNS1_11target_archE908ELNS1_3gpuE7ELNS1_3repE0EEENS1_30default_config_static_selectorELNS0_4arch9wavefront6targetE1EEEvT1_
; %bb.0:
	.section	.rodata,"a",@progbits
	.p2align	6, 0x0
	.amdhsa_kernel _ZN7rocprim17ROCPRIM_400000_NS6detail17trampoline_kernelINS0_14default_configENS1_27scan_by_key_config_selectorIj11FixedVectorIiLj8EEEEZZNS1_16scan_by_key_implILNS1_25lookback_scan_determinismE0ELb0ES3_N6thrust23THRUST_200600_302600_NS6detail15normal_iteratorINSB_10device_ptrIjEEEENSD_INSE_IS6_EEEESI_S6_NSB_4plusIvEENSB_8equal_toIvEES6_EE10hipError_tPvRmT2_T3_T4_T5_mT6_T7_P12ihipStream_tbENKUlT_T0_E_clISt17integral_constantIbLb0EES13_EEDaSY_SZ_EUlSY_E_NS1_11comp_targetILNS1_3genE3ELNS1_11target_archE908ELNS1_3gpuE7ELNS1_3repE0EEENS1_30default_config_static_selectorELNS0_4arch9wavefront6targetE1EEEvT1_
		.amdhsa_group_segment_fixed_size 0
		.amdhsa_private_segment_fixed_size 0
		.amdhsa_kernarg_size 160
		.amdhsa_user_sgpr_count 6
		.amdhsa_user_sgpr_private_segment_buffer 1
		.amdhsa_user_sgpr_dispatch_ptr 0
		.amdhsa_user_sgpr_queue_ptr 0
		.amdhsa_user_sgpr_kernarg_segment_ptr 1
		.amdhsa_user_sgpr_dispatch_id 0
		.amdhsa_user_sgpr_flat_scratch_init 0
		.amdhsa_user_sgpr_kernarg_preload_length 0
		.amdhsa_user_sgpr_kernarg_preload_offset 0
		.amdhsa_user_sgpr_private_segment_size 0
		.amdhsa_uses_dynamic_stack 0
		.amdhsa_system_sgpr_private_segment_wavefront_offset 0
		.amdhsa_system_sgpr_workgroup_id_x 1
		.amdhsa_system_sgpr_workgroup_id_y 0
		.amdhsa_system_sgpr_workgroup_id_z 0
		.amdhsa_system_sgpr_workgroup_info 0
		.amdhsa_system_vgpr_workitem_id 0
		.amdhsa_next_free_vgpr 1
		.amdhsa_next_free_sgpr 0
		.amdhsa_accum_offset 4
		.amdhsa_reserve_vcc 0
		.amdhsa_reserve_flat_scratch 0
		.amdhsa_float_round_mode_32 0
		.amdhsa_float_round_mode_16_64 0
		.amdhsa_float_denorm_mode_32 3
		.amdhsa_float_denorm_mode_16_64 3
		.amdhsa_dx10_clamp 1
		.amdhsa_ieee_mode 1
		.amdhsa_fp16_overflow 0
		.amdhsa_tg_split 0
		.amdhsa_exception_fp_ieee_invalid_op 0
		.amdhsa_exception_fp_denorm_src 0
		.amdhsa_exception_fp_ieee_div_zero 0
		.amdhsa_exception_fp_ieee_overflow 0
		.amdhsa_exception_fp_ieee_underflow 0
		.amdhsa_exception_fp_ieee_inexact 0
		.amdhsa_exception_int_div_zero 0
	.end_amdhsa_kernel
	.section	.text._ZN7rocprim17ROCPRIM_400000_NS6detail17trampoline_kernelINS0_14default_configENS1_27scan_by_key_config_selectorIj11FixedVectorIiLj8EEEEZZNS1_16scan_by_key_implILNS1_25lookback_scan_determinismE0ELb0ES3_N6thrust23THRUST_200600_302600_NS6detail15normal_iteratorINSB_10device_ptrIjEEEENSD_INSE_IS6_EEEESI_S6_NSB_4plusIvEENSB_8equal_toIvEES6_EE10hipError_tPvRmT2_T3_T4_T5_mT6_T7_P12ihipStream_tbENKUlT_T0_E_clISt17integral_constantIbLb0EES13_EEDaSY_SZ_EUlSY_E_NS1_11comp_targetILNS1_3genE3ELNS1_11target_archE908ELNS1_3gpuE7ELNS1_3repE0EEENS1_30default_config_static_selectorELNS0_4arch9wavefront6targetE1EEEvT1_,"axG",@progbits,_ZN7rocprim17ROCPRIM_400000_NS6detail17trampoline_kernelINS0_14default_configENS1_27scan_by_key_config_selectorIj11FixedVectorIiLj8EEEEZZNS1_16scan_by_key_implILNS1_25lookback_scan_determinismE0ELb0ES3_N6thrust23THRUST_200600_302600_NS6detail15normal_iteratorINSB_10device_ptrIjEEEENSD_INSE_IS6_EEEESI_S6_NSB_4plusIvEENSB_8equal_toIvEES6_EE10hipError_tPvRmT2_T3_T4_T5_mT6_T7_P12ihipStream_tbENKUlT_T0_E_clISt17integral_constantIbLb0EES13_EEDaSY_SZ_EUlSY_E_NS1_11comp_targetILNS1_3genE3ELNS1_11target_archE908ELNS1_3gpuE7ELNS1_3repE0EEENS1_30default_config_static_selectorELNS0_4arch9wavefront6targetE1EEEvT1_,comdat
.Lfunc_end2119:
	.size	_ZN7rocprim17ROCPRIM_400000_NS6detail17trampoline_kernelINS0_14default_configENS1_27scan_by_key_config_selectorIj11FixedVectorIiLj8EEEEZZNS1_16scan_by_key_implILNS1_25lookback_scan_determinismE0ELb0ES3_N6thrust23THRUST_200600_302600_NS6detail15normal_iteratorINSB_10device_ptrIjEEEENSD_INSE_IS6_EEEESI_S6_NSB_4plusIvEENSB_8equal_toIvEES6_EE10hipError_tPvRmT2_T3_T4_T5_mT6_T7_P12ihipStream_tbENKUlT_T0_E_clISt17integral_constantIbLb0EES13_EEDaSY_SZ_EUlSY_E_NS1_11comp_targetILNS1_3genE3ELNS1_11target_archE908ELNS1_3gpuE7ELNS1_3repE0EEENS1_30default_config_static_selectorELNS0_4arch9wavefront6targetE1EEEvT1_, .Lfunc_end2119-_ZN7rocprim17ROCPRIM_400000_NS6detail17trampoline_kernelINS0_14default_configENS1_27scan_by_key_config_selectorIj11FixedVectorIiLj8EEEEZZNS1_16scan_by_key_implILNS1_25lookback_scan_determinismE0ELb0ES3_N6thrust23THRUST_200600_302600_NS6detail15normal_iteratorINSB_10device_ptrIjEEEENSD_INSE_IS6_EEEESI_S6_NSB_4plusIvEENSB_8equal_toIvEES6_EE10hipError_tPvRmT2_T3_T4_T5_mT6_T7_P12ihipStream_tbENKUlT_T0_E_clISt17integral_constantIbLb0EES13_EEDaSY_SZ_EUlSY_E_NS1_11comp_targetILNS1_3genE3ELNS1_11target_archE908ELNS1_3gpuE7ELNS1_3repE0EEENS1_30default_config_static_selectorELNS0_4arch9wavefront6targetE1EEEvT1_
                                        ; -- End function
	.section	.AMDGPU.csdata,"",@progbits
; Kernel info:
; codeLenInByte = 0
; NumSgprs: 4
; NumVgprs: 0
; NumAgprs: 0
; TotalNumVgprs: 0
; ScratchSize: 0
; MemoryBound: 0
; FloatMode: 240
; IeeeMode: 1
; LDSByteSize: 0 bytes/workgroup (compile time only)
; SGPRBlocks: 0
; VGPRBlocks: 0
; NumSGPRsForWavesPerEU: 4
; NumVGPRsForWavesPerEU: 1
; AccumOffset: 4
; Occupancy: 8
; WaveLimiterHint : 0
; COMPUTE_PGM_RSRC2:SCRATCH_EN: 0
; COMPUTE_PGM_RSRC2:USER_SGPR: 6
; COMPUTE_PGM_RSRC2:TRAP_HANDLER: 0
; COMPUTE_PGM_RSRC2:TGID_X_EN: 1
; COMPUTE_PGM_RSRC2:TGID_Y_EN: 0
; COMPUTE_PGM_RSRC2:TGID_Z_EN: 0
; COMPUTE_PGM_RSRC2:TIDIG_COMP_CNT: 0
; COMPUTE_PGM_RSRC3_GFX90A:ACCUM_OFFSET: 0
; COMPUTE_PGM_RSRC3_GFX90A:TG_SPLIT: 0
	.section	.text._ZN7rocprim17ROCPRIM_400000_NS6detail17trampoline_kernelINS0_14default_configENS1_27scan_by_key_config_selectorIj11FixedVectorIiLj8EEEEZZNS1_16scan_by_key_implILNS1_25lookback_scan_determinismE0ELb0ES3_N6thrust23THRUST_200600_302600_NS6detail15normal_iteratorINSB_10device_ptrIjEEEENSD_INSE_IS6_EEEESI_S6_NSB_4plusIvEENSB_8equal_toIvEES6_EE10hipError_tPvRmT2_T3_T4_T5_mT6_T7_P12ihipStream_tbENKUlT_T0_E_clISt17integral_constantIbLb0EES13_EEDaSY_SZ_EUlSY_E_NS1_11comp_targetILNS1_3genE2ELNS1_11target_archE906ELNS1_3gpuE6ELNS1_3repE0EEENS1_30default_config_static_selectorELNS0_4arch9wavefront6targetE1EEEvT1_,"axG",@progbits,_ZN7rocprim17ROCPRIM_400000_NS6detail17trampoline_kernelINS0_14default_configENS1_27scan_by_key_config_selectorIj11FixedVectorIiLj8EEEEZZNS1_16scan_by_key_implILNS1_25lookback_scan_determinismE0ELb0ES3_N6thrust23THRUST_200600_302600_NS6detail15normal_iteratorINSB_10device_ptrIjEEEENSD_INSE_IS6_EEEESI_S6_NSB_4plusIvEENSB_8equal_toIvEES6_EE10hipError_tPvRmT2_T3_T4_T5_mT6_T7_P12ihipStream_tbENKUlT_T0_E_clISt17integral_constantIbLb0EES13_EEDaSY_SZ_EUlSY_E_NS1_11comp_targetILNS1_3genE2ELNS1_11target_archE906ELNS1_3gpuE6ELNS1_3repE0EEENS1_30default_config_static_selectorELNS0_4arch9wavefront6targetE1EEEvT1_,comdat
	.protected	_ZN7rocprim17ROCPRIM_400000_NS6detail17trampoline_kernelINS0_14default_configENS1_27scan_by_key_config_selectorIj11FixedVectorIiLj8EEEEZZNS1_16scan_by_key_implILNS1_25lookback_scan_determinismE0ELb0ES3_N6thrust23THRUST_200600_302600_NS6detail15normal_iteratorINSB_10device_ptrIjEEEENSD_INSE_IS6_EEEESI_S6_NSB_4plusIvEENSB_8equal_toIvEES6_EE10hipError_tPvRmT2_T3_T4_T5_mT6_T7_P12ihipStream_tbENKUlT_T0_E_clISt17integral_constantIbLb0EES13_EEDaSY_SZ_EUlSY_E_NS1_11comp_targetILNS1_3genE2ELNS1_11target_archE906ELNS1_3gpuE6ELNS1_3repE0EEENS1_30default_config_static_selectorELNS0_4arch9wavefront6targetE1EEEvT1_ ; -- Begin function _ZN7rocprim17ROCPRIM_400000_NS6detail17trampoline_kernelINS0_14default_configENS1_27scan_by_key_config_selectorIj11FixedVectorIiLj8EEEEZZNS1_16scan_by_key_implILNS1_25lookback_scan_determinismE0ELb0ES3_N6thrust23THRUST_200600_302600_NS6detail15normal_iteratorINSB_10device_ptrIjEEEENSD_INSE_IS6_EEEESI_S6_NSB_4plusIvEENSB_8equal_toIvEES6_EE10hipError_tPvRmT2_T3_T4_T5_mT6_T7_P12ihipStream_tbENKUlT_T0_E_clISt17integral_constantIbLb0EES13_EEDaSY_SZ_EUlSY_E_NS1_11comp_targetILNS1_3genE2ELNS1_11target_archE906ELNS1_3gpuE6ELNS1_3repE0EEENS1_30default_config_static_selectorELNS0_4arch9wavefront6targetE1EEEvT1_
	.globl	_ZN7rocprim17ROCPRIM_400000_NS6detail17trampoline_kernelINS0_14default_configENS1_27scan_by_key_config_selectorIj11FixedVectorIiLj8EEEEZZNS1_16scan_by_key_implILNS1_25lookback_scan_determinismE0ELb0ES3_N6thrust23THRUST_200600_302600_NS6detail15normal_iteratorINSB_10device_ptrIjEEEENSD_INSE_IS6_EEEESI_S6_NSB_4plusIvEENSB_8equal_toIvEES6_EE10hipError_tPvRmT2_T3_T4_T5_mT6_T7_P12ihipStream_tbENKUlT_T0_E_clISt17integral_constantIbLb0EES13_EEDaSY_SZ_EUlSY_E_NS1_11comp_targetILNS1_3genE2ELNS1_11target_archE906ELNS1_3gpuE6ELNS1_3repE0EEENS1_30default_config_static_selectorELNS0_4arch9wavefront6targetE1EEEvT1_
	.p2align	8
	.type	_ZN7rocprim17ROCPRIM_400000_NS6detail17trampoline_kernelINS0_14default_configENS1_27scan_by_key_config_selectorIj11FixedVectorIiLj8EEEEZZNS1_16scan_by_key_implILNS1_25lookback_scan_determinismE0ELb0ES3_N6thrust23THRUST_200600_302600_NS6detail15normal_iteratorINSB_10device_ptrIjEEEENSD_INSE_IS6_EEEESI_S6_NSB_4plusIvEENSB_8equal_toIvEES6_EE10hipError_tPvRmT2_T3_T4_T5_mT6_T7_P12ihipStream_tbENKUlT_T0_E_clISt17integral_constantIbLb0EES13_EEDaSY_SZ_EUlSY_E_NS1_11comp_targetILNS1_3genE2ELNS1_11target_archE906ELNS1_3gpuE6ELNS1_3repE0EEENS1_30default_config_static_selectorELNS0_4arch9wavefront6targetE1EEEvT1_,@function
_ZN7rocprim17ROCPRIM_400000_NS6detail17trampoline_kernelINS0_14default_configENS1_27scan_by_key_config_selectorIj11FixedVectorIiLj8EEEEZZNS1_16scan_by_key_implILNS1_25lookback_scan_determinismE0ELb0ES3_N6thrust23THRUST_200600_302600_NS6detail15normal_iteratorINSB_10device_ptrIjEEEENSD_INSE_IS6_EEEESI_S6_NSB_4plusIvEENSB_8equal_toIvEES6_EE10hipError_tPvRmT2_T3_T4_T5_mT6_T7_P12ihipStream_tbENKUlT_T0_E_clISt17integral_constantIbLb0EES13_EEDaSY_SZ_EUlSY_E_NS1_11comp_targetILNS1_3genE2ELNS1_11target_archE906ELNS1_3gpuE6ELNS1_3repE0EEENS1_30default_config_static_selectorELNS0_4arch9wavefront6targetE1EEEvT1_: ; @_ZN7rocprim17ROCPRIM_400000_NS6detail17trampoline_kernelINS0_14default_configENS1_27scan_by_key_config_selectorIj11FixedVectorIiLj8EEEEZZNS1_16scan_by_key_implILNS1_25lookback_scan_determinismE0ELb0ES3_N6thrust23THRUST_200600_302600_NS6detail15normal_iteratorINSB_10device_ptrIjEEEENSD_INSE_IS6_EEEESI_S6_NSB_4plusIvEENSB_8equal_toIvEES6_EE10hipError_tPvRmT2_T3_T4_T5_mT6_T7_P12ihipStream_tbENKUlT_T0_E_clISt17integral_constantIbLb0EES13_EEDaSY_SZ_EUlSY_E_NS1_11comp_targetILNS1_3genE2ELNS1_11target_archE906ELNS1_3gpuE6ELNS1_3repE0EEENS1_30default_config_static_selectorELNS0_4arch9wavefront6targetE1EEEvT1_
; %bb.0:
	.section	.rodata,"a",@progbits
	.p2align	6, 0x0
	.amdhsa_kernel _ZN7rocprim17ROCPRIM_400000_NS6detail17trampoline_kernelINS0_14default_configENS1_27scan_by_key_config_selectorIj11FixedVectorIiLj8EEEEZZNS1_16scan_by_key_implILNS1_25lookback_scan_determinismE0ELb0ES3_N6thrust23THRUST_200600_302600_NS6detail15normal_iteratorINSB_10device_ptrIjEEEENSD_INSE_IS6_EEEESI_S6_NSB_4plusIvEENSB_8equal_toIvEES6_EE10hipError_tPvRmT2_T3_T4_T5_mT6_T7_P12ihipStream_tbENKUlT_T0_E_clISt17integral_constantIbLb0EES13_EEDaSY_SZ_EUlSY_E_NS1_11comp_targetILNS1_3genE2ELNS1_11target_archE906ELNS1_3gpuE6ELNS1_3repE0EEENS1_30default_config_static_selectorELNS0_4arch9wavefront6targetE1EEEvT1_
		.amdhsa_group_segment_fixed_size 0
		.amdhsa_private_segment_fixed_size 0
		.amdhsa_kernarg_size 160
		.amdhsa_user_sgpr_count 6
		.amdhsa_user_sgpr_private_segment_buffer 1
		.amdhsa_user_sgpr_dispatch_ptr 0
		.amdhsa_user_sgpr_queue_ptr 0
		.amdhsa_user_sgpr_kernarg_segment_ptr 1
		.amdhsa_user_sgpr_dispatch_id 0
		.amdhsa_user_sgpr_flat_scratch_init 0
		.amdhsa_user_sgpr_kernarg_preload_length 0
		.amdhsa_user_sgpr_kernarg_preload_offset 0
		.amdhsa_user_sgpr_private_segment_size 0
		.amdhsa_uses_dynamic_stack 0
		.amdhsa_system_sgpr_private_segment_wavefront_offset 0
		.amdhsa_system_sgpr_workgroup_id_x 1
		.amdhsa_system_sgpr_workgroup_id_y 0
		.amdhsa_system_sgpr_workgroup_id_z 0
		.amdhsa_system_sgpr_workgroup_info 0
		.amdhsa_system_vgpr_workitem_id 0
		.amdhsa_next_free_vgpr 1
		.amdhsa_next_free_sgpr 0
		.amdhsa_accum_offset 4
		.amdhsa_reserve_vcc 0
		.amdhsa_reserve_flat_scratch 0
		.amdhsa_float_round_mode_32 0
		.amdhsa_float_round_mode_16_64 0
		.amdhsa_float_denorm_mode_32 3
		.amdhsa_float_denorm_mode_16_64 3
		.amdhsa_dx10_clamp 1
		.amdhsa_ieee_mode 1
		.amdhsa_fp16_overflow 0
		.amdhsa_tg_split 0
		.amdhsa_exception_fp_ieee_invalid_op 0
		.amdhsa_exception_fp_denorm_src 0
		.amdhsa_exception_fp_ieee_div_zero 0
		.amdhsa_exception_fp_ieee_overflow 0
		.amdhsa_exception_fp_ieee_underflow 0
		.amdhsa_exception_fp_ieee_inexact 0
		.amdhsa_exception_int_div_zero 0
	.end_amdhsa_kernel
	.section	.text._ZN7rocprim17ROCPRIM_400000_NS6detail17trampoline_kernelINS0_14default_configENS1_27scan_by_key_config_selectorIj11FixedVectorIiLj8EEEEZZNS1_16scan_by_key_implILNS1_25lookback_scan_determinismE0ELb0ES3_N6thrust23THRUST_200600_302600_NS6detail15normal_iteratorINSB_10device_ptrIjEEEENSD_INSE_IS6_EEEESI_S6_NSB_4plusIvEENSB_8equal_toIvEES6_EE10hipError_tPvRmT2_T3_T4_T5_mT6_T7_P12ihipStream_tbENKUlT_T0_E_clISt17integral_constantIbLb0EES13_EEDaSY_SZ_EUlSY_E_NS1_11comp_targetILNS1_3genE2ELNS1_11target_archE906ELNS1_3gpuE6ELNS1_3repE0EEENS1_30default_config_static_selectorELNS0_4arch9wavefront6targetE1EEEvT1_,"axG",@progbits,_ZN7rocprim17ROCPRIM_400000_NS6detail17trampoline_kernelINS0_14default_configENS1_27scan_by_key_config_selectorIj11FixedVectorIiLj8EEEEZZNS1_16scan_by_key_implILNS1_25lookback_scan_determinismE0ELb0ES3_N6thrust23THRUST_200600_302600_NS6detail15normal_iteratorINSB_10device_ptrIjEEEENSD_INSE_IS6_EEEESI_S6_NSB_4plusIvEENSB_8equal_toIvEES6_EE10hipError_tPvRmT2_T3_T4_T5_mT6_T7_P12ihipStream_tbENKUlT_T0_E_clISt17integral_constantIbLb0EES13_EEDaSY_SZ_EUlSY_E_NS1_11comp_targetILNS1_3genE2ELNS1_11target_archE906ELNS1_3gpuE6ELNS1_3repE0EEENS1_30default_config_static_selectorELNS0_4arch9wavefront6targetE1EEEvT1_,comdat
.Lfunc_end2120:
	.size	_ZN7rocprim17ROCPRIM_400000_NS6detail17trampoline_kernelINS0_14default_configENS1_27scan_by_key_config_selectorIj11FixedVectorIiLj8EEEEZZNS1_16scan_by_key_implILNS1_25lookback_scan_determinismE0ELb0ES3_N6thrust23THRUST_200600_302600_NS6detail15normal_iteratorINSB_10device_ptrIjEEEENSD_INSE_IS6_EEEESI_S6_NSB_4plusIvEENSB_8equal_toIvEES6_EE10hipError_tPvRmT2_T3_T4_T5_mT6_T7_P12ihipStream_tbENKUlT_T0_E_clISt17integral_constantIbLb0EES13_EEDaSY_SZ_EUlSY_E_NS1_11comp_targetILNS1_3genE2ELNS1_11target_archE906ELNS1_3gpuE6ELNS1_3repE0EEENS1_30default_config_static_selectorELNS0_4arch9wavefront6targetE1EEEvT1_, .Lfunc_end2120-_ZN7rocprim17ROCPRIM_400000_NS6detail17trampoline_kernelINS0_14default_configENS1_27scan_by_key_config_selectorIj11FixedVectorIiLj8EEEEZZNS1_16scan_by_key_implILNS1_25lookback_scan_determinismE0ELb0ES3_N6thrust23THRUST_200600_302600_NS6detail15normal_iteratorINSB_10device_ptrIjEEEENSD_INSE_IS6_EEEESI_S6_NSB_4plusIvEENSB_8equal_toIvEES6_EE10hipError_tPvRmT2_T3_T4_T5_mT6_T7_P12ihipStream_tbENKUlT_T0_E_clISt17integral_constantIbLb0EES13_EEDaSY_SZ_EUlSY_E_NS1_11comp_targetILNS1_3genE2ELNS1_11target_archE906ELNS1_3gpuE6ELNS1_3repE0EEENS1_30default_config_static_selectorELNS0_4arch9wavefront6targetE1EEEvT1_
                                        ; -- End function
	.section	.AMDGPU.csdata,"",@progbits
; Kernel info:
; codeLenInByte = 0
; NumSgprs: 4
; NumVgprs: 0
; NumAgprs: 0
; TotalNumVgprs: 0
; ScratchSize: 0
; MemoryBound: 0
; FloatMode: 240
; IeeeMode: 1
; LDSByteSize: 0 bytes/workgroup (compile time only)
; SGPRBlocks: 0
; VGPRBlocks: 0
; NumSGPRsForWavesPerEU: 4
; NumVGPRsForWavesPerEU: 1
; AccumOffset: 4
; Occupancy: 8
; WaveLimiterHint : 0
; COMPUTE_PGM_RSRC2:SCRATCH_EN: 0
; COMPUTE_PGM_RSRC2:USER_SGPR: 6
; COMPUTE_PGM_RSRC2:TRAP_HANDLER: 0
; COMPUTE_PGM_RSRC2:TGID_X_EN: 1
; COMPUTE_PGM_RSRC2:TGID_Y_EN: 0
; COMPUTE_PGM_RSRC2:TGID_Z_EN: 0
; COMPUTE_PGM_RSRC2:TIDIG_COMP_CNT: 0
; COMPUTE_PGM_RSRC3_GFX90A:ACCUM_OFFSET: 0
; COMPUTE_PGM_RSRC3_GFX90A:TG_SPLIT: 0
	.section	.text._ZN7rocprim17ROCPRIM_400000_NS6detail17trampoline_kernelINS0_14default_configENS1_27scan_by_key_config_selectorIj11FixedVectorIiLj8EEEEZZNS1_16scan_by_key_implILNS1_25lookback_scan_determinismE0ELb0ES3_N6thrust23THRUST_200600_302600_NS6detail15normal_iteratorINSB_10device_ptrIjEEEENSD_INSE_IS6_EEEESI_S6_NSB_4plusIvEENSB_8equal_toIvEES6_EE10hipError_tPvRmT2_T3_T4_T5_mT6_T7_P12ihipStream_tbENKUlT_T0_E_clISt17integral_constantIbLb0EES13_EEDaSY_SZ_EUlSY_E_NS1_11comp_targetILNS1_3genE10ELNS1_11target_archE1200ELNS1_3gpuE4ELNS1_3repE0EEENS1_30default_config_static_selectorELNS0_4arch9wavefront6targetE1EEEvT1_,"axG",@progbits,_ZN7rocprim17ROCPRIM_400000_NS6detail17trampoline_kernelINS0_14default_configENS1_27scan_by_key_config_selectorIj11FixedVectorIiLj8EEEEZZNS1_16scan_by_key_implILNS1_25lookback_scan_determinismE0ELb0ES3_N6thrust23THRUST_200600_302600_NS6detail15normal_iteratorINSB_10device_ptrIjEEEENSD_INSE_IS6_EEEESI_S6_NSB_4plusIvEENSB_8equal_toIvEES6_EE10hipError_tPvRmT2_T3_T4_T5_mT6_T7_P12ihipStream_tbENKUlT_T0_E_clISt17integral_constantIbLb0EES13_EEDaSY_SZ_EUlSY_E_NS1_11comp_targetILNS1_3genE10ELNS1_11target_archE1200ELNS1_3gpuE4ELNS1_3repE0EEENS1_30default_config_static_selectorELNS0_4arch9wavefront6targetE1EEEvT1_,comdat
	.protected	_ZN7rocprim17ROCPRIM_400000_NS6detail17trampoline_kernelINS0_14default_configENS1_27scan_by_key_config_selectorIj11FixedVectorIiLj8EEEEZZNS1_16scan_by_key_implILNS1_25lookback_scan_determinismE0ELb0ES3_N6thrust23THRUST_200600_302600_NS6detail15normal_iteratorINSB_10device_ptrIjEEEENSD_INSE_IS6_EEEESI_S6_NSB_4plusIvEENSB_8equal_toIvEES6_EE10hipError_tPvRmT2_T3_T4_T5_mT6_T7_P12ihipStream_tbENKUlT_T0_E_clISt17integral_constantIbLb0EES13_EEDaSY_SZ_EUlSY_E_NS1_11comp_targetILNS1_3genE10ELNS1_11target_archE1200ELNS1_3gpuE4ELNS1_3repE0EEENS1_30default_config_static_selectorELNS0_4arch9wavefront6targetE1EEEvT1_ ; -- Begin function _ZN7rocprim17ROCPRIM_400000_NS6detail17trampoline_kernelINS0_14default_configENS1_27scan_by_key_config_selectorIj11FixedVectorIiLj8EEEEZZNS1_16scan_by_key_implILNS1_25lookback_scan_determinismE0ELb0ES3_N6thrust23THRUST_200600_302600_NS6detail15normal_iteratorINSB_10device_ptrIjEEEENSD_INSE_IS6_EEEESI_S6_NSB_4plusIvEENSB_8equal_toIvEES6_EE10hipError_tPvRmT2_T3_T4_T5_mT6_T7_P12ihipStream_tbENKUlT_T0_E_clISt17integral_constantIbLb0EES13_EEDaSY_SZ_EUlSY_E_NS1_11comp_targetILNS1_3genE10ELNS1_11target_archE1200ELNS1_3gpuE4ELNS1_3repE0EEENS1_30default_config_static_selectorELNS0_4arch9wavefront6targetE1EEEvT1_
	.globl	_ZN7rocprim17ROCPRIM_400000_NS6detail17trampoline_kernelINS0_14default_configENS1_27scan_by_key_config_selectorIj11FixedVectorIiLj8EEEEZZNS1_16scan_by_key_implILNS1_25lookback_scan_determinismE0ELb0ES3_N6thrust23THRUST_200600_302600_NS6detail15normal_iteratorINSB_10device_ptrIjEEEENSD_INSE_IS6_EEEESI_S6_NSB_4plusIvEENSB_8equal_toIvEES6_EE10hipError_tPvRmT2_T3_T4_T5_mT6_T7_P12ihipStream_tbENKUlT_T0_E_clISt17integral_constantIbLb0EES13_EEDaSY_SZ_EUlSY_E_NS1_11comp_targetILNS1_3genE10ELNS1_11target_archE1200ELNS1_3gpuE4ELNS1_3repE0EEENS1_30default_config_static_selectorELNS0_4arch9wavefront6targetE1EEEvT1_
	.p2align	8
	.type	_ZN7rocprim17ROCPRIM_400000_NS6detail17trampoline_kernelINS0_14default_configENS1_27scan_by_key_config_selectorIj11FixedVectorIiLj8EEEEZZNS1_16scan_by_key_implILNS1_25lookback_scan_determinismE0ELb0ES3_N6thrust23THRUST_200600_302600_NS6detail15normal_iteratorINSB_10device_ptrIjEEEENSD_INSE_IS6_EEEESI_S6_NSB_4plusIvEENSB_8equal_toIvEES6_EE10hipError_tPvRmT2_T3_T4_T5_mT6_T7_P12ihipStream_tbENKUlT_T0_E_clISt17integral_constantIbLb0EES13_EEDaSY_SZ_EUlSY_E_NS1_11comp_targetILNS1_3genE10ELNS1_11target_archE1200ELNS1_3gpuE4ELNS1_3repE0EEENS1_30default_config_static_selectorELNS0_4arch9wavefront6targetE1EEEvT1_,@function
_ZN7rocprim17ROCPRIM_400000_NS6detail17trampoline_kernelINS0_14default_configENS1_27scan_by_key_config_selectorIj11FixedVectorIiLj8EEEEZZNS1_16scan_by_key_implILNS1_25lookback_scan_determinismE0ELb0ES3_N6thrust23THRUST_200600_302600_NS6detail15normal_iteratorINSB_10device_ptrIjEEEENSD_INSE_IS6_EEEESI_S6_NSB_4plusIvEENSB_8equal_toIvEES6_EE10hipError_tPvRmT2_T3_T4_T5_mT6_T7_P12ihipStream_tbENKUlT_T0_E_clISt17integral_constantIbLb0EES13_EEDaSY_SZ_EUlSY_E_NS1_11comp_targetILNS1_3genE10ELNS1_11target_archE1200ELNS1_3gpuE4ELNS1_3repE0EEENS1_30default_config_static_selectorELNS0_4arch9wavefront6targetE1EEEvT1_: ; @_ZN7rocprim17ROCPRIM_400000_NS6detail17trampoline_kernelINS0_14default_configENS1_27scan_by_key_config_selectorIj11FixedVectorIiLj8EEEEZZNS1_16scan_by_key_implILNS1_25lookback_scan_determinismE0ELb0ES3_N6thrust23THRUST_200600_302600_NS6detail15normal_iteratorINSB_10device_ptrIjEEEENSD_INSE_IS6_EEEESI_S6_NSB_4plusIvEENSB_8equal_toIvEES6_EE10hipError_tPvRmT2_T3_T4_T5_mT6_T7_P12ihipStream_tbENKUlT_T0_E_clISt17integral_constantIbLb0EES13_EEDaSY_SZ_EUlSY_E_NS1_11comp_targetILNS1_3genE10ELNS1_11target_archE1200ELNS1_3gpuE4ELNS1_3repE0EEENS1_30default_config_static_selectorELNS0_4arch9wavefront6targetE1EEEvT1_
; %bb.0:
	.section	.rodata,"a",@progbits
	.p2align	6, 0x0
	.amdhsa_kernel _ZN7rocprim17ROCPRIM_400000_NS6detail17trampoline_kernelINS0_14default_configENS1_27scan_by_key_config_selectorIj11FixedVectorIiLj8EEEEZZNS1_16scan_by_key_implILNS1_25lookback_scan_determinismE0ELb0ES3_N6thrust23THRUST_200600_302600_NS6detail15normal_iteratorINSB_10device_ptrIjEEEENSD_INSE_IS6_EEEESI_S6_NSB_4plusIvEENSB_8equal_toIvEES6_EE10hipError_tPvRmT2_T3_T4_T5_mT6_T7_P12ihipStream_tbENKUlT_T0_E_clISt17integral_constantIbLb0EES13_EEDaSY_SZ_EUlSY_E_NS1_11comp_targetILNS1_3genE10ELNS1_11target_archE1200ELNS1_3gpuE4ELNS1_3repE0EEENS1_30default_config_static_selectorELNS0_4arch9wavefront6targetE1EEEvT1_
		.amdhsa_group_segment_fixed_size 0
		.amdhsa_private_segment_fixed_size 0
		.amdhsa_kernarg_size 160
		.amdhsa_user_sgpr_count 6
		.amdhsa_user_sgpr_private_segment_buffer 1
		.amdhsa_user_sgpr_dispatch_ptr 0
		.amdhsa_user_sgpr_queue_ptr 0
		.amdhsa_user_sgpr_kernarg_segment_ptr 1
		.amdhsa_user_sgpr_dispatch_id 0
		.amdhsa_user_sgpr_flat_scratch_init 0
		.amdhsa_user_sgpr_kernarg_preload_length 0
		.amdhsa_user_sgpr_kernarg_preload_offset 0
		.amdhsa_user_sgpr_private_segment_size 0
		.amdhsa_uses_dynamic_stack 0
		.amdhsa_system_sgpr_private_segment_wavefront_offset 0
		.amdhsa_system_sgpr_workgroup_id_x 1
		.amdhsa_system_sgpr_workgroup_id_y 0
		.amdhsa_system_sgpr_workgroup_id_z 0
		.amdhsa_system_sgpr_workgroup_info 0
		.amdhsa_system_vgpr_workitem_id 0
		.amdhsa_next_free_vgpr 1
		.amdhsa_next_free_sgpr 0
		.amdhsa_accum_offset 4
		.amdhsa_reserve_vcc 0
		.amdhsa_reserve_flat_scratch 0
		.amdhsa_float_round_mode_32 0
		.amdhsa_float_round_mode_16_64 0
		.amdhsa_float_denorm_mode_32 3
		.amdhsa_float_denorm_mode_16_64 3
		.amdhsa_dx10_clamp 1
		.amdhsa_ieee_mode 1
		.amdhsa_fp16_overflow 0
		.amdhsa_tg_split 0
		.amdhsa_exception_fp_ieee_invalid_op 0
		.amdhsa_exception_fp_denorm_src 0
		.amdhsa_exception_fp_ieee_div_zero 0
		.amdhsa_exception_fp_ieee_overflow 0
		.amdhsa_exception_fp_ieee_underflow 0
		.amdhsa_exception_fp_ieee_inexact 0
		.amdhsa_exception_int_div_zero 0
	.end_amdhsa_kernel
	.section	.text._ZN7rocprim17ROCPRIM_400000_NS6detail17trampoline_kernelINS0_14default_configENS1_27scan_by_key_config_selectorIj11FixedVectorIiLj8EEEEZZNS1_16scan_by_key_implILNS1_25lookback_scan_determinismE0ELb0ES3_N6thrust23THRUST_200600_302600_NS6detail15normal_iteratorINSB_10device_ptrIjEEEENSD_INSE_IS6_EEEESI_S6_NSB_4plusIvEENSB_8equal_toIvEES6_EE10hipError_tPvRmT2_T3_T4_T5_mT6_T7_P12ihipStream_tbENKUlT_T0_E_clISt17integral_constantIbLb0EES13_EEDaSY_SZ_EUlSY_E_NS1_11comp_targetILNS1_3genE10ELNS1_11target_archE1200ELNS1_3gpuE4ELNS1_3repE0EEENS1_30default_config_static_selectorELNS0_4arch9wavefront6targetE1EEEvT1_,"axG",@progbits,_ZN7rocprim17ROCPRIM_400000_NS6detail17trampoline_kernelINS0_14default_configENS1_27scan_by_key_config_selectorIj11FixedVectorIiLj8EEEEZZNS1_16scan_by_key_implILNS1_25lookback_scan_determinismE0ELb0ES3_N6thrust23THRUST_200600_302600_NS6detail15normal_iteratorINSB_10device_ptrIjEEEENSD_INSE_IS6_EEEESI_S6_NSB_4plusIvEENSB_8equal_toIvEES6_EE10hipError_tPvRmT2_T3_T4_T5_mT6_T7_P12ihipStream_tbENKUlT_T0_E_clISt17integral_constantIbLb0EES13_EEDaSY_SZ_EUlSY_E_NS1_11comp_targetILNS1_3genE10ELNS1_11target_archE1200ELNS1_3gpuE4ELNS1_3repE0EEENS1_30default_config_static_selectorELNS0_4arch9wavefront6targetE1EEEvT1_,comdat
.Lfunc_end2121:
	.size	_ZN7rocprim17ROCPRIM_400000_NS6detail17trampoline_kernelINS0_14default_configENS1_27scan_by_key_config_selectorIj11FixedVectorIiLj8EEEEZZNS1_16scan_by_key_implILNS1_25lookback_scan_determinismE0ELb0ES3_N6thrust23THRUST_200600_302600_NS6detail15normal_iteratorINSB_10device_ptrIjEEEENSD_INSE_IS6_EEEESI_S6_NSB_4plusIvEENSB_8equal_toIvEES6_EE10hipError_tPvRmT2_T3_T4_T5_mT6_T7_P12ihipStream_tbENKUlT_T0_E_clISt17integral_constantIbLb0EES13_EEDaSY_SZ_EUlSY_E_NS1_11comp_targetILNS1_3genE10ELNS1_11target_archE1200ELNS1_3gpuE4ELNS1_3repE0EEENS1_30default_config_static_selectorELNS0_4arch9wavefront6targetE1EEEvT1_, .Lfunc_end2121-_ZN7rocprim17ROCPRIM_400000_NS6detail17trampoline_kernelINS0_14default_configENS1_27scan_by_key_config_selectorIj11FixedVectorIiLj8EEEEZZNS1_16scan_by_key_implILNS1_25lookback_scan_determinismE0ELb0ES3_N6thrust23THRUST_200600_302600_NS6detail15normal_iteratorINSB_10device_ptrIjEEEENSD_INSE_IS6_EEEESI_S6_NSB_4plusIvEENSB_8equal_toIvEES6_EE10hipError_tPvRmT2_T3_T4_T5_mT6_T7_P12ihipStream_tbENKUlT_T0_E_clISt17integral_constantIbLb0EES13_EEDaSY_SZ_EUlSY_E_NS1_11comp_targetILNS1_3genE10ELNS1_11target_archE1200ELNS1_3gpuE4ELNS1_3repE0EEENS1_30default_config_static_selectorELNS0_4arch9wavefront6targetE1EEEvT1_
                                        ; -- End function
	.section	.AMDGPU.csdata,"",@progbits
; Kernel info:
; codeLenInByte = 0
; NumSgprs: 4
; NumVgprs: 0
; NumAgprs: 0
; TotalNumVgprs: 0
; ScratchSize: 0
; MemoryBound: 0
; FloatMode: 240
; IeeeMode: 1
; LDSByteSize: 0 bytes/workgroup (compile time only)
; SGPRBlocks: 0
; VGPRBlocks: 0
; NumSGPRsForWavesPerEU: 4
; NumVGPRsForWavesPerEU: 1
; AccumOffset: 4
; Occupancy: 8
; WaveLimiterHint : 0
; COMPUTE_PGM_RSRC2:SCRATCH_EN: 0
; COMPUTE_PGM_RSRC2:USER_SGPR: 6
; COMPUTE_PGM_RSRC2:TRAP_HANDLER: 0
; COMPUTE_PGM_RSRC2:TGID_X_EN: 1
; COMPUTE_PGM_RSRC2:TGID_Y_EN: 0
; COMPUTE_PGM_RSRC2:TGID_Z_EN: 0
; COMPUTE_PGM_RSRC2:TIDIG_COMP_CNT: 0
; COMPUTE_PGM_RSRC3_GFX90A:ACCUM_OFFSET: 0
; COMPUTE_PGM_RSRC3_GFX90A:TG_SPLIT: 0
	.section	.text._ZN7rocprim17ROCPRIM_400000_NS6detail17trampoline_kernelINS0_14default_configENS1_27scan_by_key_config_selectorIj11FixedVectorIiLj8EEEEZZNS1_16scan_by_key_implILNS1_25lookback_scan_determinismE0ELb0ES3_N6thrust23THRUST_200600_302600_NS6detail15normal_iteratorINSB_10device_ptrIjEEEENSD_INSE_IS6_EEEESI_S6_NSB_4plusIvEENSB_8equal_toIvEES6_EE10hipError_tPvRmT2_T3_T4_T5_mT6_T7_P12ihipStream_tbENKUlT_T0_E_clISt17integral_constantIbLb0EES13_EEDaSY_SZ_EUlSY_E_NS1_11comp_targetILNS1_3genE9ELNS1_11target_archE1100ELNS1_3gpuE3ELNS1_3repE0EEENS1_30default_config_static_selectorELNS0_4arch9wavefront6targetE1EEEvT1_,"axG",@progbits,_ZN7rocprim17ROCPRIM_400000_NS6detail17trampoline_kernelINS0_14default_configENS1_27scan_by_key_config_selectorIj11FixedVectorIiLj8EEEEZZNS1_16scan_by_key_implILNS1_25lookback_scan_determinismE0ELb0ES3_N6thrust23THRUST_200600_302600_NS6detail15normal_iteratorINSB_10device_ptrIjEEEENSD_INSE_IS6_EEEESI_S6_NSB_4plusIvEENSB_8equal_toIvEES6_EE10hipError_tPvRmT2_T3_T4_T5_mT6_T7_P12ihipStream_tbENKUlT_T0_E_clISt17integral_constantIbLb0EES13_EEDaSY_SZ_EUlSY_E_NS1_11comp_targetILNS1_3genE9ELNS1_11target_archE1100ELNS1_3gpuE3ELNS1_3repE0EEENS1_30default_config_static_selectorELNS0_4arch9wavefront6targetE1EEEvT1_,comdat
	.protected	_ZN7rocprim17ROCPRIM_400000_NS6detail17trampoline_kernelINS0_14default_configENS1_27scan_by_key_config_selectorIj11FixedVectorIiLj8EEEEZZNS1_16scan_by_key_implILNS1_25lookback_scan_determinismE0ELb0ES3_N6thrust23THRUST_200600_302600_NS6detail15normal_iteratorINSB_10device_ptrIjEEEENSD_INSE_IS6_EEEESI_S6_NSB_4plusIvEENSB_8equal_toIvEES6_EE10hipError_tPvRmT2_T3_T4_T5_mT6_T7_P12ihipStream_tbENKUlT_T0_E_clISt17integral_constantIbLb0EES13_EEDaSY_SZ_EUlSY_E_NS1_11comp_targetILNS1_3genE9ELNS1_11target_archE1100ELNS1_3gpuE3ELNS1_3repE0EEENS1_30default_config_static_selectorELNS0_4arch9wavefront6targetE1EEEvT1_ ; -- Begin function _ZN7rocprim17ROCPRIM_400000_NS6detail17trampoline_kernelINS0_14default_configENS1_27scan_by_key_config_selectorIj11FixedVectorIiLj8EEEEZZNS1_16scan_by_key_implILNS1_25lookback_scan_determinismE0ELb0ES3_N6thrust23THRUST_200600_302600_NS6detail15normal_iteratorINSB_10device_ptrIjEEEENSD_INSE_IS6_EEEESI_S6_NSB_4plusIvEENSB_8equal_toIvEES6_EE10hipError_tPvRmT2_T3_T4_T5_mT6_T7_P12ihipStream_tbENKUlT_T0_E_clISt17integral_constantIbLb0EES13_EEDaSY_SZ_EUlSY_E_NS1_11comp_targetILNS1_3genE9ELNS1_11target_archE1100ELNS1_3gpuE3ELNS1_3repE0EEENS1_30default_config_static_selectorELNS0_4arch9wavefront6targetE1EEEvT1_
	.globl	_ZN7rocprim17ROCPRIM_400000_NS6detail17trampoline_kernelINS0_14default_configENS1_27scan_by_key_config_selectorIj11FixedVectorIiLj8EEEEZZNS1_16scan_by_key_implILNS1_25lookback_scan_determinismE0ELb0ES3_N6thrust23THRUST_200600_302600_NS6detail15normal_iteratorINSB_10device_ptrIjEEEENSD_INSE_IS6_EEEESI_S6_NSB_4plusIvEENSB_8equal_toIvEES6_EE10hipError_tPvRmT2_T3_T4_T5_mT6_T7_P12ihipStream_tbENKUlT_T0_E_clISt17integral_constantIbLb0EES13_EEDaSY_SZ_EUlSY_E_NS1_11comp_targetILNS1_3genE9ELNS1_11target_archE1100ELNS1_3gpuE3ELNS1_3repE0EEENS1_30default_config_static_selectorELNS0_4arch9wavefront6targetE1EEEvT1_
	.p2align	8
	.type	_ZN7rocprim17ROCPRIM_400000_NS6detail17trampoline_kernelINS0_14default_configENS1_27scan_by_key_config_selectorIj11FixedVectorIiLj8EEEEZZNS1_16scan_by_key_implILNS1_25lookback_scan_determinismE0ELb0ES3_N6thrust23THRUST_200600_302600_NS6detail15normal_iteratorINSB_10device_ptrIjEEEENSD_INSE_IS6_EEEESI_S6_NSB_4plusIvEENSB_8equal_toIvEES6_EE10hipError_tPvRmT2_T3_T4_T5_mT6_T7_P12ihipStream_tbENKUlT_T0_E_clISt17integral_constantIbLb0EES13_EEDaSY_SZ_EUlSY_E_NS1_11comp_targetILNS1_3genE9ELNS1_11target_archE1100ELNS1_3gpuE3ELNS1_3repE0EEENS1_30default_config_static_selectorELNS0_4arch9wavefront6targetE1EEEvT1_,@function
_ZN7rocprim17ROCPRIM_400000_NS6detail17trampoline_kernelINS0_14default_configENS1_27scan_by_key_config_selectorIj11FixedVectorIiLj8EEEEZZNS1_16scan_by_key_implILNS1_25lookback_scan_determinismE0ELb0ES3_N6thrust23THRUST_200600_302600_NS6detail15normal_iteratorINSB_10device_ptrIjEEEENSD_INSE_IS6_EEEESI_S6_NSB_4plusIvEENSB_8equal_toIvEES6_EE10hipError_tPvRmT2_T3_T4_T5_mT6_T7_P12ihipStream_tbENKUlT_T0_E_clISt17integral_constantIbLb0EES13_EEDaSY_SZ_EUlSY_E_NS1_11comp_targetILNS1_3genE9ELNS1_11target_archE1100ELNS1_3gpuE3ELNS1_3repE0EEENS1_30default_config_static_selectorELNS0_4arch9wavefront6targetE1EEEvT1_: ; @_ZN7rocprim17ROCPRIM_400000_NS6detail17trampoline_kernelINS0_14default_configENS1_27scan_by_key_config_selectorIj11FixedVectorIiLj8EEEEZZNS1_16scan_by_key_implILNS1_25lookback_scan_determinismE0ELb0ES3_N6thrust23THRUST_200600_302600_NS6detail15normal_iteratorINSB_10device_ptrIjEEEENSD_INSE_IS6_EEEESI_S6_NSB_4plusIvEENSB_8equal_toIvEES6_EE10hipError_tPvRmT2_T3_T4_T5_mT6_T7_P12ihipStream_tbENKUlT_T0_E_clISt17integral_constantIbLb0EES13_EEDaSY_SZ_EUlSY_E_NS1_11comp_targetILNS1_3genE9ELNS1_11target_archE1100ELNS1_3gpuE3ELNS1_3repE0EEENS1_30default_config_static_selectorELNS0_4arch9wavefront6targetE1EEEvT1_
; %bb.0:
	.section	.rodata,"a",@progbits
	.p2align	6, 0x0
	.amdhsa_kernel _ZN7rocprim17ROCPRIM_400000_NS6detail17trampoline_kernelINS0_14default_configENS1_27scan_by_key_config_selectorIj11FixedVectorIiLj8EEEEZZNS1_16scan_by_key_implILNS1_25lookback_scan_determinismE0ELb0ES3_N6thrust23THRUST_200600_302600_NS6detail15normal_iteratorINSB_10device_ptrIjEEEENSD_INSE_IS6_EEEESI_S6_NSB_4plusIvEENSB_8equal_toIvEES6_EE10hipError_tPvRmT2_T3_T4_T5_mT6_T7_P12ihipStream_tbENKUlT_T0_E_clISt17integral_constantIbLb0EES13_EEDaSY_SZ_EUlSY_E_NS1_11comp_targetILNS1_3genE9ELNS1_11target_archE1100ELNS1_3gpuE3ELNS1_3repE0EEENS1_30default_config_static_selectorELNS0_4arch9wavefront6targetE1EEEvT1_
		.amdhsa_group_segment_fixed_size 0
		.amdhsa_private_segment_fixed_size 0
		.amdhsa_kernarg_size 160
		.amdhsa_user_sgpr_count 6
		.amdhsa_user_sgpr_private_segment_buffer 1
		.amdhsa_user_sgpr_dispatch_ptr 0
		.amdhsa_user_sgpr_queue_ptr 0
		.amdhsa_user_sgpr_kernarg_segment_ptr 1
		.amdhsa_user_sgpr_dispatch_id 0
		.amdhsa_user_sgpr_flat_scratch_init 0
		.amdhsa_user_sgpr_kernarg_preload_length 0
		.amdhsa_user_sgpr_kernarg_preload_offset 0
		.amdhsa_user_sgpr_private_segment_size 0
		.amdhsa_uses_dynamic_stack 0
		.amdhsa_system_sgpr_private_segment_wavefront_offset 0
		.amdhsa_system_sgpr_workgroup_id_x 1
		.amdhsa_system_sgpr_workgroup_id_y 0
		.amdhsa_system_sgpr_workgroup_id_z 0
		.amdhsa_system_sgpr_workgroup_info 0
		.amdhsa_system_vgpr_workitem_id 0
		.amdhsa_next_free_vgpr 1
		.amdhsa_next_free_sgpr 0
		.amdhsa_accum_offset 4
		.amdhsa_reserve_vcc 0
		.amdhsa_reserve_flat_scratch 0
		.amdhsa_float_round_mode_32 0
		.amdhsa_float_round_mode_16_64 0
		.amdhsa_float_denorm_mode_32 3
		.amdhsa_float_denorm_mode_16_64 3
		.amdhsa_dx10_clamp 1
		.amdhsa_ieee_mode 1
		.amdhsa_fp16_overflow 0
		.amdhsa_tg_split 0
		.amdhsa_exception_fp_ieee_invalid_op 0
		.amdhsa_exception_fp_denorm_src 0
		.amdhsa_exception_fp_ieee_div_zero 0
		.amdhsa_exception_fp_ieee_overflow 0
		.amdhsa_exception_fp_ieee_underflow 0
		.amdhsa_exception_fp_ieee_inexact 0
		.amdhsa_exception_int_div_zero 0
	.end_amdhsa_kernel
	.section	.text._ZN7rocprim17ROCPRIM_400000_NS6detail17trampoline_kernelINS0_14default_configENS1_27scan_by_key_config_selectorIj11FixedVectorIiLj8EEEEZZNS1_16scan_by_key_implILNS1_25lookback_scan_determinismE0ELb0ES3_N6thrust23THRUST_200600_302600_NS6detail15normal_iteratorINSB_10device_ptrIjEEEENSD_INSE_IS6_EEEESI_S6_NSB_4plusIvEENSB_8equal_toIvEES6_EE10hipError_tPvRmT2_T3_T4_T5_mT6_T7_P12ihipStream_tbENKUlT_T0_E_clISt17integral_constantIbLb0EES13_EEDaSY_SZ_EUlSY_E_NS1_11comp_targetILNS1_3genE9ELNS1_11target_archE1100ELNS1_3gpuE3ELNS1_3repE0EEENS1_30default_config_static_selectorELNS0_4arch9wavefront6targetE1EEEvT1_,"axG",@progbits,_ZN7rocprim17ROCPRIM_400000_NS6detail17trampoline_kernelINS0_14default_configENS1_27scan_by_key_config_selectorIj11FixedVectorIiLj8EEEEZZNS1_16scan_by_key_implILNS1_25lookback_scan_determinismE0ELb0ES3_N6thrust23THRUST_200600_302600_NS6detail15normal_iteratorINSB_10device_ptrIjEEEENSD_INSE_IS6_EEEESI_S6_NSB_4plusIvEENSB_8equal_toIvEES6_EE10hipError_tPvRmT2_T3_T4_T5_mT6_T7_P12ihipStream_tbENKUlT_T0_E_clISt17integral_constantIbLb0EES13_EEDaSY_SZ_EUlSY_E_NS1_11comp_targetILNS1_3genE9ELNS1_11target_archE1100ELNS1_3gpuE3ELNS1_3repE0EEENS1_30default_config_static_selectorELNS0_4arch9wavefront6targetE1EEEvT1_,comdat
.Lfunc_end2122:
	.size	_ZN7rocprim17ROCPRIM_400000_NS6detail17trampoline_kernelINS0_14default_configENS1_27scan_by_key_config_selectorIj11FixedVectorIiLj8EEEEZZNS1_16scan_by_key_implILNS1_25lookback_scan_determinismE0ELb0ES3_N6thrust23THRUST_200600_302600_NS6detail15normal_iteratorINSB_10device_ptrIjEEEENSD_INSE_IS6_EEEESI_S6_NSB_4plusIvEENSB_8equal_toIvEES6_EE10hipError_tPvRmT2_T3_T4_T5_mT6_T7_P12ihipStream_tbENKUlT_T0_E_clISt17integral_constantIbLb0EES13_EEDaSY_SZ_EUlSY_E_NS1_11comp_targetILNS1_3genE9ELNS1_11target_archE1100ELNS1_3gpuE3ELNS1_3repE0EEENS1_30default_config_static_selectorELNS0_4arch9wavefront6targetE1EEEvT1_, .Lfunc_end2122-_ZN7rocprim17ROCPRIM_400000_NS6detail17trampoline_kernelINS0_14default_configENS1_27scan_by_key_config_selectorIj11FixedVectorIiLj8EEEEZZNS1_16scan_by_key_implILNS1_25lookback_scan_determinismE0ELb0ES3_N6thrust23THRUST_200600_302600_NS6detail15normal_iteratorINSB_10device_ptrIjEEEENSD_INSE_IS6_EEEESI_S6_NSB_4plusIvEENSB_8equal_toIvEES6_EE10hipError_tPvRmT2_T3_T4_T5_mT6_T7_P12ihipStream_tbENKUlT_T0_E_clISt17integral_constantIbLb0EES13_EEDaSY_SZ_EUlSY_E_NS1_11comp_targetILNS1_3genE9ELNS1_11target_archE1100ELNS1_3gpuE3ELNS1_3repE0EEENS1_30default_config_static_selectorELNS0_4arch9wavefront6targetE1EEEvT1_
                                        ; -- End function
	.section	.AMDGPU.csdata,"",@progbits
; Kernel info:
; codeLenInByte = 0
; NumSgprs: 4
; NumVgprs: 0
; NumAgprs: 0
; TotalNumVgprs: 0
; ScratchSize: 0
; MemoryBound: 0
; FloatMode: 240
; IeeeMode: 1
; LDSByteSize: 0 bytes/workgroup (compile time only)
; SGPRBlocks: 0
; VGPRBlocks: 0
; NumSGPRsForWavesPerEU: 4
; NumVGPRsForWavesPerEU: 1
; AccumOffset: 4
; Occupancy: 8
; WaveLimiterHint : 0
; COMPUTE_PGM_RSRC2:SCRATCH_EN: 0
; COMPUTE_PGM_RSRC2:USER_SGPR: 6
; COMPUTE_PGM_RSRC2:TRAP_HANDLER: 0
; COMPUTE_PGM_RSRC2:TGID_X_EN: 1
; COMPUTE_PGM_RSRC2:TGID_Y_EN: 0
; COMPUTE_PGM_RSRC2:TGID_Z_EN: 0
; COMPUTE_PGM_RSRC2:TIDIG_COMP_CNT: 0
; COMPUTE_PGM_RSRC3_GFX90A:ACCUM_OFFSET: 0
; COMPUTE_PGM_RSRC3_GFX90A:TG_SPLIT: 0
	.section	.text._ZN7rocprim17ROCPRIM_400000_NS6detail17trampoline_kernelINS0_14default_configENS1_27scan_by_key_config_selectorIj11FixedVectorIiLj8EEEEZZNS1_16scan_by_key_implILNS1_25lookback_scan_determinismE0ELb0ES3_N6thrust23THRUST_200600_302600_NS6detail15normal_iteratorINSB_10device_ptrIjEEEENSD_INSE_IS6_EEEESI_S6_NSB_4plusIvEENSB_8equal_toIvEES6_EE10hipError_tPvRmT2_T3_T4_T5_mT6_T7_P12ihipStream_tbENKUlT_T0_E_clISt17integral_constantIbLb0EES13_EEDaSY_SZ_EUlSY_E_NS1_11comp_targetILNS1_3genE8ELNS1_11target_archE1030ELNS1_3gpuE2ELNS1_3repE0EEENS1_30default_config_static_selectorELNS0_4arch9wavefront6targetE1EEEvT1_,"axG",@progbits,_ZN7rocprim17ROCPRIM_400000_NS6detail17trampoline_kernelINS0_14default_configENS1_27scan_by_key_config_selectorIj11FixedVectorIiLj8EEEEZZNS1_16scan_by_key_implILNS1_25lookback_scan_determinismE0ELb0ES3_N6thrust23THRUST_200600_302600_NS6detail15normal_iteratorINSB_10device_ptrIjEEEENSD_INSE_IS6_EEEESI_S6_NSB_4plusIvEENSB_8equal_toIvEES6_EE10hipError_tPvRmT2_T3_T4_T5_mT6_T7_P12ihipStream_tbENKUlT_T0_E_clISt17integral_constantIbLb0EES13_EEDaSY_SZ_EUlSY_E_NS1_11comp_targetILNS1_3genE8ELNS1_11target_archE1030ELNS1_3gpuE2ELNS1_3repE0EEENS1_30default_config_static_selectorELNS0_4arch9wavefront6targetE1EEEvT1_,comdat
	.protected	_ZN7rocprim17ROCPRIM_400000_NS6detail17trampoline_kernelINS0_14default_configENS1_27scan_by_key_config_selectorIj11FixedVectorIiLj8EEEEZZNS1_16scan_by_key_implILNS1_25lookback_scan_determinismE0ELb0ES3_N6thrust23THRUST_200600_302600_NS6detail15normal_iteratorINSB_10device_ptrIjEEEENSD_INSE_IS6_EEEESI_S6_NSB_4plusIvEENSB_8equal_toIvEES6_EE10hipError_tPvRmT2_T3_T4_T5_mT6_T7_P12ihipStream_tbENKUlT_T0_E_clISt17integral_constantIbLb0EES13_EEDaSY_SZ_EUlSY_E_NS1_11comp_targetILNS1_3genE8ELNS1_11target_archE1030ELNS1_3gpuE2ELNS1_3repE0EEENS1_30default_config_static_selectorELNS0_4arch9wavefront6targetE1EEEvT1_ ; -- Begin function _ZN7rocprim17ROCPRIM_400000_NS6detail17trampoline_kernelINS0_14default_configENS1_27scan_by_key_config_selectorIj11FixedVectorIiLj8EEEEZZNS1_16scan_by_key_implILNS1_25lookback_scan_determinismE0ELb0ES3_N6thrust23THRUST_200600_302600_NS6detail15normal_iteratorINSB_10device_ptrIjEEEENSD_INSE_IS6_EEEESI_S6_NSB_4plusIvEENSB_8equal_toIvEES6_EE10hipError_tPvRmT2_T3_T4_T5_mT6_T7_P12ihipStream_tbENKUlT_T0_E_clISt17integral_constantIbLb0EES13_EEDaSY_SZ_EUlSY_E_NS1_11comp_targetILNS1_3genE8ELNS1_11target_archE1030ELNS1_3gpuE2ELNS1_3repE0EEENS1_30default_config_static_selectorELNS0_4arch9wavefront6targetE1EEEvT1_
	.globl	_ZN7rocprim17ROCPRIM_400000_NS6detail17trampoline_kernelINS0_14default_configENS1_27scan_by_key_config_selectorIj11FixedVectorIiLj8EEEEZZNS1_16scan_by_key_implILNS1_25lookback_scan_determinismE0ELb0ES3_N6thrust23THRUST_200600_302600_NS6detail15normal_iteratorINSB_10device_ptrIjEEEENSD_INSE_IS6_EEEESI_S6_NSB_4plusIvEENSB_8equal_toIvEES6_EE10hipError_tPvRmT2_T3_T4_T5_mT6_T7_P12ihipStream_tbENKUlT_T0_E_clISt17integral_constantIbLb0EES13_EEDaSY_SZ_EUlSY_E_NS1_11comp_targetILNS1_3genE8ELNS1_11target_archE1030ELNS1_3gpuE2ELNS1_3repE0EEENS1_30default_config_static_selectorELNS0_4arch9wavefront6targetE1EEEvT1_
	.p2align	8
	.type	_ZN7rocprim17ROCPRIM_400000_NS6detail17trampoline_kernelINS0_14default_configENS1_27scan_by_key_config_selectorIj11FixedVectorIiLj8EEEEZZNS1_16scan_by_key_implILNS1_25lookback_scan_determinismE0ELb0ES3_N6thrust23THRUST_200600_302600_NS6detail15normal_iteratorINSB_10device_ptrIjEEEENSD_INSE_IS6_EEEESI_S6_NSB_4plusIvEENSB_8equal_toIvEES6_EE10hipError_tPvRmT2_T3_T4_T5_mT6_T7_P12ihipStream_tbENKUlT_T0_E_clISt17integral_constantIbLb0EES13_EEDaSY_SZ_EUlSY_E_NS1_11comp_targetILNS1_3genE8ELNS1_11target_archE1030ELNS1_3gpuE2ELNS1_3repE0EEENS1_30default_config_static_selectorELNS0_4arch9wavefront6targetE1EEEvT1_,@function
_ZN7rocprim17ROCPRIM_400000_NS6detail17trampoline_kernelINS0_14default_configENS1_27scan_by_key_config_selectorIj11FixedVectorIiLj8EEEEZZNS1_16scan_by_key_implILNS1_25lookback_scan_determinismE0ELb0ES3_N6thrust23THRUST_200600_302600_NS6detail15normal_iteratorINSB_10device_ptrIjEEEENSD_INSE_IS6_EEEESI_S6_NSB_4plusIvEENSB_8equal_toIvEES6_EE10hipError_tPvRmT2_T3_T4_T5_mT6_T7_P12ihipStream_tbENKUlT_T0_E_clISt17integral_constantIbLb0EES13_EEDaSY_SZ_EUlSY_E_NS1_11comp_targetILNS1_3genE8ELNS1_11target_archE1030ELNS1_3gpuE2ELNS1_3repE0EEENS1_30default_config_static_selectorELNS0_4arch9wavefront6targetE1EEEvT1_: ; @_ZN7rocprim17ROCPRIM_400000_NS6detail17trampoline_kernelINS0_14default_configENS1_27scan_by_key_config_selectorIj11FixedVectorIiLj8EEEEZZNS1_16scan_by_key_implILNS1_25lookback_scan_determinismE0ELb0ES3_N6thrust23THRUST_200600_302600_NS6detail15normal_iteratorINSB_10device_ptrIjEEEENSD_INSE_IS6_EEEESI_S6_NSB_4plusIvEENSB_8equal_toIvEES6_EE10hipError_tPvRmT2_T3_T4_T5_mT6_T7_P12ihipStream_tbENKUlT_T0_E_clISt17integral_constantIbLb0EES13_EEDaSY_SZ_EUlSY_E_NS1_11comp_targetILNS1_3genE8ELNS1_11target_archE1030ELNS1_3gpuE2ELNS1_3repE0EEENS1_30default_config_static_selectorELNS0_4arch9wavefront6targetE1EEEvT1_
; %bb.0:
	.section	.rodata,"a",@progbits
	.p2align	6, 0x0
	.amdhsa_kernel _ZN7rocprim17ROCPRIM_400000_NS6detail17trampoline_kernelINS0_14default_configENS1_27scan_by_key_config_selectorIj11FixedVectorIiLj8EEEEZZNS1_16scan_by_key_implILNS1_25lookback_scan_determinismE0ELb0ES3_N6thrust23THRUST_200600_302600_NS6detail15normal_iteratorINSB_10device_ptrIjEEEENSD_INSE_IS6_EEEESI_S6_NSB_4plusIvEENSB_8equal_toIvEES6_EE10hipError_tPvRmT2_T3_T4_T5_mT6_T7_P12ihipStream_tbENKUlT_T0_E_clISt17integral_constantIbLb0EES13_EEDaSY_SZ_EUlSY_E_NS1_11comp_targetILNS1_3genE8ELNS1_11target_archE1030ELNS1_3gpuE2ELNS1_3repE0EEENS1_30default_config_static_selectorELNS0_4arch9wavefront6targetE1EEEvT1_
		.amdhsa_group_segment_fixed_size 0
		.amdhsa_private_segment_fixed_size 0
		.amdhsa_kernarg_size 160
		.amdhsa_user_sgpr_count 6
		.amdhsa_user_sgpr_private_segment_buffer 1
		.amdhsa_user_sgpr_dispatch_ptr 0
		.amdhsa_user_sgpr_queue_ptr 0
		.amdhsa_user_sgpr_kernarg_segment_ptr 1
		.amdhsa_user_sgpr_dispatch_id 0
		.amdhsa_user_sgpr_flat_scratch_init 0
		.amdhsa_user_sgpr_kernarg_preload_length 0
		.amdhsa_user_sgpr_kernarg_preload_offset 0
		.amdhsa_user_sgpr_private_segment_size 0
		.amdhsa_uses_dynamic_stack 0
		.amdhsa_system_sgpr_private_segment_wavefront_offset 0
		.amdhsa_system_sgpr_workgroup_id_x 1
		.amdhsa_system_sgpr_workgroup_id_y 0
		.amdhsa_system_sgpr_workgroup_id_z 0
		.amdhsa_system_sgpr_workgroup_info 0
		.amdhsa_system_vgpr_workitem_id 0
		.amdhsa_next_free_vgpr 1
		.amdhsa_next_free_sgpr 0
		.amdhsa_accum_offset 4
		.amdhsa_reserve_vcc 0
		.amdhsa_reserve_flat_scratch 0
		.amdhsa_float_round_mode_32 0
		.amdhsa_float_round_mode_16_64 0
		.amdhsa_float_denorm_mode_32 3
		.amdhsa_float_denorm_mode_16_64 3
		.amdhsa_dx10_clamp 1
		.amdhsa_ieee_mode 1
		.amdhsa_fp16_overflow 0
		.amdhsa_tg_split 0
		.amdhsa_exception_fp_ieee_invalid_op 0
		.amdhsa_exception_fp_denorm_src 0
		.amdhsa_exception_fp_ieee_div_zero 0
		.amdhsa_exception_fp_ieee_overflow 0
		.amdhsa_exception_fp_ieee_underflow 0
		.amdhsa_exception_fp_ieee_inexact 0
		.amdhsa_exception_int_div_zero 0
	.end_amdhsa_kernel
	.section	.text._ZN7rocprim17ROCPRIM_400000_NS6detail17trampoline_kernelINS0_14default_configENS1_27scan_by_key_config_selectorIj11FixedVectorIiLj8EEEEZZNS1_16scan_by_key_implILNS1_25lookback_scan_determinismE0ELb0ES3_N6thrust23THRUST_200600_302600_NS6detail15normal_iteratorINSB_10device_ptrIjEEEENSD_INSE_IS6_EEEESI_S6_NSB_4plusIvEENSB_8equal_toIvEES6_EE10hipError_tPvRmT2_T3_T4_T5_mT6_T7_P12ihipStream_tbENKUlT_T0_E_clISt17integral_constantIbLb0EES13_EEDaSY_SZ_EUlSY_E_NS1_11comp_targetILNS1_3genE8ELNS1_11target_archE1030ELNS1_3gpuE2ELNS1_3repE0EEENS1_30default_config_static_selectorELNS0_4arch9wavefront6targetE1EEEvT1_,"axG",@progbits,_ZN7rocprim17ROCPRIM_400000_NS6detail17trampoline_kernelINS0_14default_configENS1_27scan_by_key_config_selectorIj11FixedVectorIiLj8EEEEZZNS1_16scan_by_key_implILNS1_25lookback_scan_determinismE0ELb0ES3_N6thrust23THRUST_200600_302600_NS6detail15normal_iteratorINSB_10device_ptrIjEEEENSD_INSE_IS6_EEEESI_S6_NSB_4plusIvEENSB_8equal_toIvEES6_EE10hipError_tPvRmT2_T3_T4_T5_mT6_T7_P12ihipStream_tbENKUlT_T0_E_clISt17integral_constantIbLb0EES13_EEDaSY_SZ_EUlSY_E_NS1_11comp_targetILNS1_3genE8ELNS1_11target_archE1030ELNS1_3gpuE2ELNS1_3repE0EEENS1_30default_config_static_selectorELNS0_4arch9wavefront6targetE1EEEvT1_,comdat
.Lfunc_end2123:
	.size	_ZN7rocprim17ROCPRIM_400000_NS6detail17trampoline_kernelINS0_14default_configENS1_27scan_by_key_config_selectorIj11FixedVectorIiLj8EEEEZZNS1_16scan_by_key_implILNS1_25lookback_scan_determinismE0ELb0ES3_N6thrust23THRUST_200600_302600_NS6detail15normal_iteratorINSB_10device_ptrIjEEEENSD_INSE_IS6_EEEESI_S6_NSB_4plusIvEENSB_8equal_toIvEES6_EE10hipError_tPvRmT2_T3_T4_T5_mT6_T7_P12ihipStream_tbENKUlT_T0_E_clISt17integral_constantIbLb0EES13_EEDaSY_SZ_EUlSY_E_NS1_11comp_targetILNS1_3genE8ELNS1_11target_archE1030ELNS1_3gpuE2ELNS1_3repE0EEENS1_30default_config_static_selectorELNS0_4arch9wavefront6targetE1EEEvT1_, .Lfunc_end2123-_ZN7rocprim17ROCPRIM_400000_NS6detail17trampoline_kernelINS0_14default_configENS1_27scan_by_key_config_selectorIj11FixedVectorIiLj8EEEEZZNS1_16scan_by_key_implILNS1_25lookback_scan_determinismE0ELb0ES3_N6thrust23THRUST_200600_302600_NS6detail15normal_iteratorINSB_10device_ptrIjEEEENSD_INSE_IS6_EEEESI_S6_NSB_4plusIvEENSB_8equal_toIvEES6_EE10hipError_tPvRmT2_T3_T4_T5_mT6_T7_P12ihipStream_tbENKUlT_T0_E_clISt17integral_constantIbLb0EES13_EEDaSY_SZ_EUlSY_E_NS1_11comp_targetILNS1_3genE8ELNS1_11target_archE1030ELNS1_3gpuE2ELNS1_3repE0EEENS1_30default_config_static_selectorELNS0_4arch9wavefront6targetE1EEEvT1_
                                        ; -- End function
	.section	.AMDGPU.csdata,"",@progbits
; Kernel info:
; codeLenInByte = 0
; NumSgprs: 4
; NumVgprs: 0
; NumAgprs: 0
; TotalNumVgprs: 0
; ScratchSize: 0
; MemoryBound: 0
; FloatMode: 240
; IeeeMode: 1
; LDSByteSize: 0 bytes/workgroup (compile time only)
; SGPRBlocks: 0
; VGPRBlocks: 0
; NumSGPRsForWavesPerEU: 4
; NumVGPRsForWavesPerEU: 1
; AccumOffset: 4
; Occupancy: 8
; WaveLimiterHint : 0
; COMPUTE_PGM_RSRC2:SCRATCH_EN: 0
; COMPUTE_PGM_RSRC2:USER_SGPR: 6
; COMPUTE_PGM_RSRC2:TRAP_HANDLER: 0
; COMPUTE_PGM_RSRC2:TGID_X_EN: 1
; COMPUTE_PGM_RSRC2:TGID_Y_EN: 0
; COMPUTE_PGM_RSRC2:TGID_Z_EN: 0
; COMPUTE_PGM_RSRC2:TIDIG_COMP_CNT: 0
; COMPUTE_PGM_RSRC3_GFX90A:ACCUM_OFFSET: 0
; COMPUTE_PGM_RSRC3_GFX90A:TG_SPLIT: 0
	.section	.text._ZN7rocprim17ROCPRIM_400000_NS6detail30init_device_scan_by_key_kernelINS1_19lookback_scan_stateINS0_5tupleIJ11FixedVectorIiLj8EEbEEELb1ELb0EEEN6thrust23THRUST_200600_302600_NS6detail15normal_iteratorINSA_10device_ptrIjEEEEjNS1_16block_id_wrapperIjLb1EEEEEvT_jjPNSI_10value_typeET0_PNSt15iterator_traitsISL_E10value_typeEmT1_T2_,"axG",@progbits,_ZN7rocprim17ROCPRIM_400000_NS6detail30init_device_scan_by_key_kernelINS1_19lookback_scan_stateINS0_5tupleIJ11FixedVectorIiLj8EEbEEELb1ELb0EEEN6thrust23THRUST_200600_302600_NS6detail15normal_iteratorINSA_10device_ptrIjEEEEjNS1_16block_id_wrapperIjLb1EEEEEvT_jjPNSI_10value_typeET0_PNSt15iterator_traitsISL_E10value_typeEmT1_T2_,comdat
	.protected	_ZN7rocprim17ROCPRIM_400000_NS6detail30init_device_scan_by_key_kernelINS1_19lookback_scan_stateINS0_5tupleIJ11FixedVectorIiLj8EEbEEELb1ELb0EEEN6thrust23THRUST_200600_302600_NS6detail15normal_iteratorINSA_10device_ptrIjEEEEjNS1_16block_id_wrapperIjLb1EEEEEvT_jjPNSI_10value_typeET0_PNSt15iterator_traitsISL_E10value_typeEmT1_T2_ ; -- Begin function _ZN7rocprim17ROCPRIM_400000_NS6detail30init_device_scan_by_key_kernelINS1_19lookback_scan_stateINS0_5tupleIJ11FixedVectorIiLj8EEbEEELb1ELb0EEEN6thrust23THRUST_200600_302600_NS6detail15normal_iteratorINSA_10device_ptrIjEEEEjNS1_16block_id_wrapperIjLb1EEEEEvT_jjPNSI_10value_typeET0_PNSt15iterator_traitsISL_E10value_typeEmT1_T2_
	.globl	_ZN7rocprim17ROCPRIM_400000_NS6detail30init_device_scan_by_key_kernelINS1_19lookback_scan_stateINS0_5tupleIJ11FixedVectorIiLj8EEbEEELb1ELb0EEEN6thrust23THRUST_200600_302600_NS6detail15normal_iteratorINSA_10device_ptrIjEEEEjNS1_16block_id_wrapperIjLb1EEEEEvT_jjPNSI_10value_typeET0_PNSt15iterator_traitsISL_E10value_typeEmT1_T2_
	.p2align	8
	.type	_ZN7rocprim17ROCPRIM_400000_NS6detail30init_device_scan_by_key_kernelINS1_19lookback_scan_stateINS0_5tupleIJ11FixedVectorIiLj8EEbEEELb1ELb0EEEN6thrust23THRUST_200600_302600_NS6detail15normal_iteratorINSA_10device_ptrIjEEEEjNS1_16block_id_wrapperIjLb1EEEEEvT_jjPNSI_10value_typeET0_PNSt15iterator_traitsISL_E10value_typeEmT1_T2_,@function
_ZN7rocprim17ROCPRIM_400000_NS6detail30init_device_scan_by_key_kernelINS1_19lookback_scan_stateINS0_5tupleIJ11FixedVectorIiLj8EEbEEELb1ELb0EEEN6thrust23THRUST_200600_302600_NS6detail15normal_iteratorINSA_10device_ptrIjEEEEjNS1_16block_id_wrapperIjLb1EEEEEvT_jjPNSI_10value_typeET0_PNSt15iterator_traitsISL_E10value_typeEmT1_T2_: ; @_ZN7rocprim17ROCPRIM_400000_NS6detail30init_device_scan_by_key_kernelINS1_19lookback_scan_stateINS0_5tupleIJ11FixedVectorIiLj8EEbEEELb1ELb0EEEN6thrust23THRUST_200600_302600_NS6detail15normal_iteratorINSA_10device_ptrIjEEEEjNS1_16block_id_wrapperIjLb1EEEEEvT_jjPNSI_10value_typeET0_PNSt15iterator_traitsISL_E10value_typeEmT1_T2_
; %bb.0:
	s_load_dword s6, s[4:5], 0x5c
	s_load_dwordx8 s[12:19], s[4:5], 0x10
	s_load_dword s22, s[4:5], 0x50
	s_add_u32 s0, s0, s9
	s_addc_u32 s1, s1, 0
	s_waitcnt lgkmcnt(0)
	s_and_b32 s23, s6, 0xffff
	s_mul_i32 s8, s8, s23
	s_cmp_eq_u64 s[16:17], 0
	v_add_u32_e32 v0, s8, v0
	s_cbranch_scc1 .LBB2124_13
; %bb.1:
	s_cmp_lt_u32 s15, s14
	s_cselect_b32 s6, s15, 0
	s_mov_b32 s20, 0
	v_cmp_eq_u32_e32 vcc, s6, v0
	s_and_saveexec_b64 s[6:7], vcc
	s_cbranch_execz .LBB2124_12
; %bb.2:
	s_load_dwordx4 s[8:11], s[4:5], 0x0
	v_mov_b32_e32 v1, 0
	v_mov_b32_e32 v2, 0
	buffer_store_dword v1, off, s[0:3], 0 offset:28
	buffer_store_dword v1, off, s[0:3], 0 offset:24
	;; [unrolled: 1-line block ×7, first 2 shown]
	buffer_store_dword v1, off, s[0:3], 0
	buffer_store_dword v1, off, s[0:3], 0 offset:32
.LBB2124_3:                             ; =>This Inner Loop Header: Depth=1
	v_add_u32_e32 v3, s20, v2
	s_add_i32 s20, s20, 8
	s_cmp_lg_u32 s20, 32
	buffer_store_dword v1, v3, s[0:3], 0 offen offset:4
	buffer_store_dword v1, v3, s[0:3], 0 offen
	s_cbranch_scc1 .LBB2124_3
; %bb.4:
	v_mov_b32_e32 v1, 0
	s_add_i32 s15, s15, 64
	buffer_store_byte v1, off, s[0:3], 0 offset:32
	v_mov_b32_e32 v2, s15
	global_load_ubyte v2, v2, s[12:13] glc
	s_add_u32 s20, s12, s15
	s_addc_u32 s21, s13, 0
	s_waitcnt vmcnt(0)
	v_cmp_ne_u16_e32 vcc, 0, v2
	v_readfirstlane_b32 s24, v2
	s_cbranch_vccz .LBB2124_6
; %bb.5:
	s_and_b32 s20, 0xffff, s24
	s_branch .LBB2124_11
.LBB2124_6:
	s_mov_b32 s24, 1
.LBB2124_7:                             ; =>This Loop Header: Depth=1
                                        ;     Child Loop BB2124_8 Depth 2
	s_max_u32 s25, s24, 1
.LBB2124_8:                             ;   Parent Loop BB2124_7 Depth=1
                                        ; =>  This Inner Loop Header: Depth=2
	s_add_i32 s25, s25, -1
	s_cmp_eq_u32 s25, 0
	s_sleep 1
	s_cbranch_scc0 .LBB2124_8
; %bb.9:                                ;   in Loop: Header=BB2124_7 Depth=1
	global_load_ubyte v2, v1, s[20:21] glc
	s_cmp_lt_u32 s24, 32
	s_cselect_b64 s[26:27], -1, 0
	s_cmp_lg_u64 s[26:27], 0
	s_addc_u32 s24, s24, 0
	s_waitcnt vmcnt(0)
	v_cmp_ne_u16_e32 vcc, 0, v2
	v_readfirstlane_b32 s25, v2
	s_cbranch_vccz .LBB2124_7
; %bb.10:
	s_and_b32 s20, 0xffff, s25
.LBB2124_11:
	s_cmp_eq_u32 s20, 1
	s_waitcnt lgkmcnt(0)
	s_cselect_b32 s9, s9, s11
	s_cselect_b32 s8, s8, s10
	s_mul_i32 s11, s15, 36
	s_mul_hi_u32 s10, s15, 36
	s_add_u32 s8, s8, s11
	s_addc_u32 s9, s9, s10
	v_mov_b32_e32 v1, 0
	buffer_wbinvl1_vol
	global_load_dwordx4 v[2:5], v1, s[8:9]
	global_load_dwordx4 v[6:9], v1, s[8:9] offset:16
	global_load_ubyte v10, v1, s[8:9] offset:32
	s_waitcnt vmcnt(2)
	global_store_dwordx4 v1, v[2:5], s[16:17]
	s_waitcnt vmcnt(2)
	global_store_dwordx4 v1, v[6:9], s[16:17] offset:16
	s_waitcnt vmcnt(2)
	global_store_byte v1, v10, s[16:17] offset:32
.LBB2124_12:
	s_or_b64 exec, exec, s[6:7]
.LBB2124_13:
	v_cmp_eq_u32_e32 vcc, 0, v0
	s_and_saveexec_b64 s[6:7], vcc
	s_cbranch_execz .LBB2124_15
; %bb.14:
	s_load_dwordx2 s[8:9], s[4:5], 0x48
	v_mov_b32_e32 v1, 0
	s_waitcnt lgkmcnt(0)
	global_store_dword v1, v1, s[8:9]
.LBB2124_15:
	s_or_b64 exec, exec, s[6:7]
	v_cmp_gt_u32_e32 vcc, s14, v0
	s_and_saveexec_b64 s[6:7], vcc
	s_cbranch_execz .LBB2124_17
; %bb.16:
	v_add_u32_e32 v1, 64, v0
	v_mov_b32_e32 v2, 0
	global_store_byte v1, v2, s[12:13]
.LBB2124_17:
	s_or_b64 exec, exec, s[6:7]
	v_cmp_gt_u32_e32 vcc, 64, v0
	v_mov_b32_e32 v1, 0
	s_and_saveexec_b64 s[6:7], vcc
	s_cbranch_execz .LBB2124_19
; %bb.18:
	v_mov_b32_e32 v3, s13
	v_add_co_u32_e32 v2, vcc, s12, v0
	v_addc_co_u32_e32 v3, vcc, 0, v3, vcc
	v_mov_b32_e32 v4, 0xff
	global_store_byte v[2:3], v4, off
.LBB2124_19:
	s_or_b64 exec, exec, s[6:7]
	s_load_dwordx2 s[6:7], s[4:5], 0x38
	s_waitcnt lgkmcnt(0)
	v_cmp_gt_u64_e32 vcc, s[6:7], v[0:1]
	s_and_saveexec_b64 s[8:9], vcc
	s_cbranch_execz .LBB2124_22
; %bb.20:
	s_load_dword s14, s[4:5], 0x40
	s_load_dwordx2 s[10:11], s[4:5], 0x30
	s_mov_b32 s9, 0
	s_mov_b32 s5, s9
	s_mul_i32 s4, s22, s23
	s_waitcnt lgkmcnt(0)
	s_add_i32 s8, s14, -1
	s_lshl_b64 s[8:9], s[8:9], 2
	v_mad_u64_u32 v[2:3], s[12:13], s14, v0, 0
	s_add_u32 s8, s18, s8
	v_lshlrev_b64 v[2:3], 2, v[2:3]
	s_addc_u32 s9, s19, s9
	v_mov_b32_e32 v4, s9
	v_add_co_u32_e32 v2, vcc, s8, v2
	v_addc_co_u32_e32 v3, vcc, v4, v3, vcc
	s_mul_hi_u32 s9, s14, s4
	s_mul_i32 s8, s14, s4
	v_lshlrev_b64 v[4:5], 2, v[0:1]
	s_lshl_b64 s[8:9], s[8:9], 2
	v_mov_b32_e32 v6, s11
	v_add_co_u32_e32 v4, vcc, s10, v4
	s_lshl_b64 s[10:11], s[4:5], 2
	v_addc_co_u32_e32 v5, vcc, v6, v5, vcc
	s_mov_b64 s[12:13], 0
	v_mov_b32_e32 v6, s5
	v_mov_b32_e32 v7, s9
	;; [unrolled: 1-line block ×3, first 2 shown]
.LBB2124_21:                            ; =>This Inner Loop Header: Depth=1
	global_load_dword v9, v[2:3], off
	v_add_co_u32_e32 v0, vcc, s4, v0
	v_addc_co_u32_e32 v1, vcc, v1, v6, vcc
	v_add_co_u32_e32 v2, vcc, s8, v2
	v_addc_co_u32_e32 v3, vcc, v3, v7, vcc
	v_cmp_le_u64_e32 vcc, s[6:7], v[0:1]
	s_or_b64 s[12:13], vcc, s[12:13]
	s_waitcnt vmcnt(0)
	global_store_dword v[4:5], v9, off
	v_add_co_u32_e32 v4, vcc, s10, v4
	v_addc_co_u32_e32 v5, vcc, v5, v8, vcc
	s_andn2_b64 exec, exec, s[12:13]
	s_cbranch_execnz .LBB2124_21
.LBB2124_22:
	s_endpgm
	.section	.rodata,"a",@progbits
	.p2align	6, 0x0
	.amdhsa_kernel _ZN7rocprim17ROCPRIM_400000_NS6detail30init_device_scan_by_key_kernelINS1_19lookback_scan_stateINS0_5tupleIJ11FixedVectorIiLj8EEbEEELb1ELb0EEEN6thrust23THRUST_200600_302600_NS6detail15normal_iteratorINSA_10device_ptrIjEEEEjNS1_16block_id_wrapperIjLb1EEEEEvT_jjPNSI_10value_typeET0_PNSt15iterator_traitsISL_E10value_typeEmT1_T2_
		.amdhsa_group_segment_fixed_size 0
		.amdhsa_private_segment_fixed_size 40
		.amdhsa_kernarg_size 336
		.amdhsa_user_sgpr_count 8
		.amdhsa_user_sgpr_private_segment_buffer 1
		.amdhsa_user_sgpr_dispatch_ptr 0
		.amdhsa_user_sgpr_queue_ptr 0
		.amdhsa_user_sgpr_kernarg_segment_ptr 1
		.amdhsa_user_sgpr_dispatch_id 0
		.amdhsa_user_sgpr_flat_scratch_init 1
		.amdhsa_user_sgpr_kernarg_preload_length 0
		.amdhsa_user_sgpr_kernarg_preload_offset 0
		.amdhsa_user_sgpr_private_segment_size 0
		.amdhsa_uses_dynamic_stack 0
		.amdhsa_system_sgpr_private_segment_wavefront_offset 1
		.amdhsa_system_sgpr_workgroup_id_x 1
		.amdhsa_system_sgpr_workgroup_id_y 0
		.amdhsa_system_sgpr_workgroup_id_z 0
		.amdhsa_system_sgpr_workgroup_info 0
		.amdhsa_system_vgpr_workitem_id 0
		.amdhsa_next_free_vgpr 11
		.amdhsa_next_free_sgpr 28
		.amdhsa_accum_offset 12
		.amdhsa_reserve_vcc 1
		.amdhsa_reserve_flat_scratch 0
		.amdhsa_float_round_mode_32 0
		.amdhsa_float_round_mode_16_64 0
		.amdhsa_float_denorm_mode_32 3
		.amdhsa_float_denorm_mode_16_64 3
		.amdhsa_dx10_clamp 1
		.amdhsa_ieee_mode 1
		.amdhsa_fp16_overflow 0
		.amdhsa_tg_split 0
		.amdhsa_exception_fp_ieee_invalid_op 0
		.amdhsa_exception_fp_denorm_src 0
		.amdhsa_exception_fp_ieee_div_zero 0
		.amdhsa_exception_fp_ieee_overflow 0
		.amdhsa_exception_fp_ieee_underflow 0
		.amdhsa_exception_fp_ieee_inexact 0
		.amdhsa_exception_int_div_zero 0
	.end_amdhsa_kernel
	.section	.text._ZN7rocprim17ROCPRIM_400000_NS6detail30init_device_scan_by_key_kernelINS1_19lookback_scan_stateINS0_5tupleIJ11FixedVectorIiLj8EEbEEELb1ELb0EEEN6thrust23THRUST_200600_302600_NS6detail15normal_iteratorINSA_10device_ptrIjEEEEjNS1_16block_id_wrapperIjLb1EEEEEvT_jjPNSI_10value_typeET0_PNSt15iterator_traitsISL_E10value_typeEmT1_T2_,"axG",@progbits,_ZN7rocprim17ROCPRIM_400000_NS6detail30init_device_scan_by_key_kernelINS1_19lookback_scan_stateINS0_5tupleIJ11FixedVectorIiLj8EEbEEELb1ELb0EEEN6thrust23THRUST_200600_302600_NS6detail15normal_iteratorINSA_10device_ptrIjEEEEjNS1_16block_id_wrapperIjLb1EEEEEvT_jjPNSI_10value_typeET0_PNSt15iterator_traitsISL_E10value_typeEmT1_T2_,comdat
.Lfunc_end2124:
	.size	_ZN7rocprim17ROCPRIM_400000_NS6detail30init_device_scan_by_key_kernelINS1_19lookback_scan_stateINS0_5tupleIJ11FixedVectorIiLj8EEbEEELb1ELb0EEEN6thrust23THRUST_200600_302600_NS6detail15normal_iteratorINSA_10device_ptrIjEEEEjNS1_16block_id_wrapperIjLb1EEEEEvT_jjPNSI_10value_typeET0_PNSt15iterator_traitsISL_E10value_typeEmT1_T2_, .Lfunc_end2124-_ZN7rocprim17ROCPRIM_400000_NS6detail30init_device_scan_by_key_kernelINS1_19lookback_scan_stateINS0_5tupleIJ11FixedVectorIiLj8EEbEEELb1ELb0EEEN6thrust23THRUST_200600_302600_NS6detail15normal_iteratorINSA_10device_ptrIjEEEEjNS1_16block_id_wrapperIjLb1EEEEEvT_jjPNSI_10value_typeET0_PNSt15iterator_traitsISL_E10value_typeEmT1_T2_
                                        ; -- End function
	.section	.AMDGPU.csdata,"",@progbits
; Kernel info:
; codeLenInByte = 784
; NumSgprs: 32
; NumVgprs: 11
; NumAgprs: 0
; TotalNumVgprs: 11
; ScratchSize: 40
; MemoryBound: 0
; FloatMode: 240
; IeeeMode: 1
; LDSByteSize: 0 bytes/workgroup (compile time only)
; SGPRBlocks: 3
; VGPRBlocks: 1
; NumSGPRsForWavesPerEU: 32
; NumVGPRsForWavesPerEU: 11
; AccumOffset: 12
; Occupancy: 8
; WaveLimiterHint : 0
; COMPUTE_PGM_RSRC2:SCRATCH_EN: 1
; COMPUTE_PGM_RSRC2:USER_SGPR: 8
; COMPUTE_PGM_RSRC2:TRAP_HANDLER: 0
; COMPUTE_PGM_RSRC2:TGID_X_EN: 1
; COMPUTE_PGM_RSRC2:TGID_Y_EN: 0
; COMPUTE_PGM_RSRC2:TGID_Z_EN: 0
; COMPUTE_PGM_RSRC2:TIDIG_COMP_CNT: 0
; COMPUTE_PGM_RSRC3_GFX90A:ACCUM_OFFSET: 2
; COMPUTE_PGM_RSRC3_GFX90A:TG_SPLIT: 0
	.section	.text._ZN7rocprim17ROCPRIM_400000_NS6detail30init_device_scan_by_key_kernelINS1_19lookback_scan_stateINS0_5tupleIJ11FixedVectorIiLj8EEbEEELb1ELb0EEENS1_16block_id_wrapperIjLb1EEEEEvT_jjPNSB_10value_typeET0_,"axG",@progbits,_ZN7rocprim17ROCPRIM_400000_NS6detail30init_device_scan_by_key_kernelINS1_19lookback_scan_stateINS0_5tupleIJ11FixedVectorIiLj8EEbEEELb1ELb0EEENS1_16block_id_wrapperIjLb1EEEEEvT_jjPNSB_10value_typeET0_,comdat
	.protected	_ZN7rocprim17ROCPRIM_400000_NS6detail30init_device_scan_by_key_kernelINS1_19lookback_scan_stateINS0_5tupleIJ11FixedVectorIiLj8EEbEEELb1ELb0EEENS1_16block_id_wrapperIjLb1EEEEEvT_jjPNSB_10value_typeET0_ ; -- Begin function _ZN7rocprim17ROCPRIM_400000_NS6detail30init_device_scan_by_key_kernelINS1_19lookback_scan_stateINS0_5tupleIJ11FixedVectorIiLj8EEbEEELb1ELb0EEENS1_16block_id_wrapperIjLb1EEEEEvT_jjPNSB_10value_typeET0_
	.globl	_ZN7rocprim17ROCPRIM_400000_NS6detail30init_device_scan_by_key_kernelINS1_19lookback_scan_stateINS0_5tupleIJ11FixedVectorIiLj8EEbEEELb1ELb0EEENS1_16block_id_wrapperIjLb1EEEEEvT_jjPNSB_10value_typeET0_
	.p2align	8
	.type	_ZN7rocprim17ROCPRIM_400000_NS6detail30init_device_scan_by_key_kernelINS1_19lookback_scan_stateINS0_5tupleIJ11FixedVectorIiLj8EEbEEELb1ELb0EEENS1_16block_id_wrapperIjLb1EEEEEvT_jjPNSB_10value_typeET0_,@function
_ZN7rocprim17ROCPRIM_400000_NS6detail30init_device_scan_by_key_kernelINS1_19lookback_scan_stateINS0_5tupleIJ11FixedVectorIiLj8EEbEEELb1ELb0EEENS1_16block_id_wrapperIjLb1EEEEEvT_jjPNSB_10value_typeET0_: ; @_ZN7rocprim17ROCPRIM_400000_NS6detail30init_device_scan_by_key_kernelINS1_19lookback_scan_stateINS0_5tupleIJ11FixedVectorIiLj8EEbEEELb1ELb0EEENS1_16block_id_wrapperIjLb1EEEEEvT_jjPNSB_10value_typeET0_
; %bb.0:
	s_load_dword s6, s[4:5], 0x3c
	s_load_dwordx8 s[12:19], s[4:5], 0x10
	s_add_u32 s0, s0, s9
	s_addc_u32 s1, s1, 0
	s_waitcnt lgkmcnt(0)
	s_and_b32 s6, s6, 0xffff
	s_mul_i32 s8, s8, s6
	s_cmp_eq_u64 s[16:17], 0
	v_add_u32_e32 v0, s8, v0
	s_cbranch_scc1 .LBB2125_13
; %bb.1:
	s_cmp_lt_u32 s15, s14
	s_cselect_b32 s6, s15, 0
	s_mov_b32 s10, 0
	v_cmp_eq_u32_e32 vcc, s6, v0
	s_and_saveexec_b64 s[8:9], vcc
	s_cbranch_execz .LBB2125_12
; %bb.2:
	s_load_dwordx4 s[4:7], s[4:5], 0x0
	v_mov_b32_e32 v1, 0
	v_mov_b32_e32 v2, 0
	buffer_store_dword v1, off, s[0:3], 0 offset:28
	buffer_store_dword v1, off, s[0:3], 0 offset:24
	;; [unrolled: 1-line block ×7, first 2 shown]
	buffer_store_dword v1, off, s[0:3], 0
	buffer_store_dword v1, off, s[0:3], 0 offset:32
.LBB2125_3:                             ; =>This Inner Loop Header: Depth=1
	v_add_u32_e32 v3, s10, v2
	s_add_i32 s10, s10, 8
	s_cmp_lg_u32 s10, 32
	buffer_store_dword v1, v3, s[0:3], 0 offen offset:4
	buffer_store_dword v1, v3, s[0:3], 0 offen
	s_cbranch_scc1 .LBB2125_3
; %bb.4:
	v_mov_b32_e32 v1, 0
	s_add_i32 s15, s15, 64
	buffer_store_byte v1, off, s[0:3], 0 offset:32
	v_mov_b32_e32 v2, s15
	global_load_ubyte v2, v2, s[12:13] glc
	s_add_u32 s10, s12, s15
	s_addc_u32 s11, s13, 0
	s_waitcnt vmcnt(0)
	v_cmp_ne_u16_e32 vcc, 0, v2
	v_readfirstlane_b32 s20, v2
	s_cbranch_vccz .LBB2125_6
; %bb.5:
	s_and_b32 s10, 0xffff, s20
	s_branch .LBB2125_11
.LBB2125_6:
	s_mov_b32 s20, 1
.LBB2125_7:                             ; =>This Loop Header: Depth=1
                                        ;     Child Loop BB2125_8 Depth 2
	s_max_u32 s21, s20, 1
.LBB2125_8:                             ;   Parent Loop BB2125_7 Depth=1
                                        ; =>  This Inner Loop Header: Depth=2
	s_add_i32 s21, s21, -1
	s_cmp_eq_u32 s21, 0
	s_sleep 1
	s_cbranch_scc0 .LBB2125_8
; %bb.9:                                ;   in Loop: Header=BB2125_7 Depth=1
	global_load_ubyte v2, v1, s[10:11] glc
	s_cmp_lt_u32 s20, 32
	s_cselect_b64 s[22:23], -1, 0
	s_cmp_lg_u64 s[22:23], 0
	s_addc_u32 s20, s20, 0
	s_waitcnt vmcnt(0)
	v_cmp_ne_u16_e32 vcc, 0, v2
	v_readfirstlane_b32 s21, v2
	s_cbranch_vccz .LBB2125_7
; %bb.10:
	s_and_b32 s10, 0xffff, s21
.LBB2125_11:
	s_cmp_eq_u32 s10, 1
	s_waitcnt lgkmcnt(0)
	s_cselect_b32 s5, s5, s7
	s_cselect_b32 s4, s4, s6
	s_mul_i32 s7, s15, 36
	s_mul_hi_u32 s6, s15, 36
	s_add_u32 s4, s4, s7
	s_addc_u32 s5, s5, s6
	v_mov_b32_e32 v1, 0
	buffer_wbinvl1_vol
	global_load_dwordx4 v[2:5], v1, s[4:5]
	global_load_dwordx4 v[6:9], v1, s[4:5] offset:16
	global_load_ubyte v10, v1, s[4:5] offset:32
	s_waitcnt vmcnt(2)
	global_store_dwordx4 v1, v[2:5], s[16:17]
	s_waitcnt vmcnt(2)
	global_store_dwordx4 v1, v[6:9], s[16:17] offset:16
	s_waitcnt vmcnt(2)
	global_store_byte v1, v10, s[16:17] offset:32
.LBB2125_12:
	s_or_b64 exec, exec, s[8:9]
.LBB2125_13:
	v_cmp_eq_u32_e32 vcc, 0, v0
	s_and_saveexec_b64 s[4:5], vcc
	s_cbranch_execnz .LBB2125_17
; %bb.14:
	s_or_b64 exec, exec, s[4:5]
	v_cmp_gt_u32_e32 vcc, s14, v0
	s_and_saveexec_b64 s[4:5], vcc
	s_cbranch_execnz .LBB2125_18
.LBB2125_15:
	s_or_b64 exec, exec, s[4:5]
	v_cmp_gt_u32_e32 vcc, 64, v0
	s_and_saveexec_b64 s[4:5], vcc
	s_cbranch_execnz .LBB2125_19
.LBB2125_16:
	s_endpgm
.LBB2125_17:
	v_mov_b32_e32 v1, 0
	global_store_dword v1, v1, s[18:19]
	s_or_b64 exec, exec, s[4:5]
	v_cmp_gt_u32_e32 vcc, s14, v0
	s_and_saveexec_b64 s[4:5], vcc
	s_cbranch_execz .LBB2125_15
.LBB2125_18:
	v_add_u32_e32 v1, 64, v0
	v_mov_b32_e32 v2, 0
	global_store_byte v1, v2, s[12:13]
	s_or_b64 exec, exec, s[4:5]
	v_cmp_gt_u32_e32 vcc, 64, v0
	s_and_saveexec_b64 s[4:5], vcc
	s_cbranch_execz .LBB2125_16
.LBB2125_19:
	v_mov_b32_e32 v1, 0xff
	global_store_byte v0, v1, s[12:13]
	s_endpgm
	.section	.rodata,"a",@progbits
	.p2align	6, 0x0
	.amdhsa_kernel _ZN7rocprim17ROCPRIM_400000_NS6detail30init_device_scan_by_key_kernelINS1_19lookback_scan_stateINS0_5tupleIJ11FixedVectorIiLj8EEbEEELb1ELb0EEENS1_16block_id_wrapperIjLb1EEEEEvT_jjPNSB_10value_typeET0_
		.amdhsa_group_segment_fixed_size 0
		.amdhsa_private_segment_fixed_size 40
		.amdhsa_kernarg_size 304
		.amdhsa_user_sgpr_count 8
		.amdhsa_user_sgpr_private_segment_buffer 1
		.amdhsa_user_sgpr_dispatch_ptr 0
		.amdhsa_user_sgpr_queue_ptr 0
		.amdhsa_user_sgpr_kernarg_segment_ptr 1
		.amdhsa_user_sgpr_dispatch_id 0
		.amdhsa_user_sgpr_flat_scratch_init 1
		.amdhsa_user_sgpr_kernarg_preload_length 0
		.amdhsa_user_sgpr_kernarg_preload_offset 0
		.amdhsa_user_sgpr_private_segment_size 0
		.amdhsa_uses_dynamic_stack 0
		.amdhsa_system_sgpr_private_segment_wavefront_offset 1
		.amdhsa_system_sgpr_workgroup_id_x 1
		.amdhsa_system_sgpr_workgroup_id_y 0
		.amdhsa_system_sgpr_workgroup_id_z 0
		.amdhsa_system_sgpr_workgroup_info 0
		.amdhsa_system_vgpr_workitem_id 0
		.amdhsa_next_free_vgpr 11
		.amdhsa_next_free_sgpr 24
		.amdhsa_accum_offset 12
		.amdhsa_reserve_vcc 1
		.amdhsa_reserve_flat_scratch 0
		.amdhsa_float_round_mode_32 0
		.amdhsa_float_round_mode_16_64 0
		.amdhsa_float_denorm_mode_32 3
		.amdhsa_float_denorm_mode_16_64 3
		.amdhsa_dx10_clamp 1
		.amdhsa_ieee_mode 1
		.amdhsa_fp16_overflow 0
		.amdhsa_tg_split 0
		.amdhsa_exception_fp_ieee_invalid_op 0
		.amdhsa_exception_fp_denorm_src 0
		.amdhsa_exception_fp_ieee_div_zero 0
		.amdhsa_exception_fp_ieee_overflow 0
		.amdhsa_exception_fp_ieee_underflow 0
		.amdhsa_exception_fp_ieee_inexact 0
		.amdhsa_exception_int_div_zero 0
	.end_amdhsa_kernel
	.section	.text._ZN7rocprim17ROCPRIM_400000_NS6detail30init_device_scan_by_key_kernelINS1_19lookback_scan_stateINS0_5tupleIJ11FixedVectorIiLj8EEbEEELb1ELb0EEENS1_16block_id_wrapperIjLb1EEEEEvT_jjPNSB_10value_typeET0_,"axG",@progbits,_ZN7rocprim17ROCPRIM_400000_NS6detail30init_device_scan_by_key_kernelINS1_19lookback_scan_stateINS0_5tupleIJ11FixedVectorIiLj8EEbEEELb1ELb0EEENS1_16block_id_wrapperIjLb1EEEEEvT_jjPNSB_10value_typeET0_,comdat
.Lfunc_end2125:
	.size	_ZN7rocprim17ROCPRIM_400000_NS6detail30init_device_scan_by_key_kernelINS1_19lookback_scan_stateINS0_5tupleIJ11FixedVectorIiLj8EEbEEELb1ELb0EEENS1_16block_id_wrapperIjLb1EEEEEvT_jjPNSB_10value_typeET0_, .Lfunc_end2125-_ZN7rocprim17ROCPRIM_400000_NS6detail30init_device_scan_by_key_kernelINS1_19lookback_scan_stateINS0_5tupleIJ11FixedVectorIiLj8EEbEEELb1ELb0EEENS1_16block_id_wrapperIjLb1EEEEEvT_jjPNSB_10value_typeET0_
                                        ; -- End function
	.section	.AMDGPU.csdata,"",@progbits
; Kernel info:
; codeLenInByte = 568
; NumSgprs: 28
; NumVgprs: 11
; NumAgprs: 0
; TotalNumVgprs: 11
; ScratchSize: 40
; MemoryBound: 0
; FloatMode: 240
; IeeeMode: 1
; LDSByteSize: 0 bytes/workgroup (compile time only)
; SGPRBlocks: 3
; VGPRBlocks: 1
; NumSGPRsForWavesPerEU: 28
; NumVGPRsForWavesPerEU: 11
; AccumOffset: 12
; Occupancy: 8
; WaveLimiterHint : 0
; COMPUTE_PGM_RSRC2:SCRATCH_EN: 1
; COMPUTE_PGM_RSRC2:USER_SGPR: 8
; COMPUTE_PGM_RSRC2:TRAP_HANDLER: 0
; COMPUTE_PGM_RSRC2:TGID_X_EN: 1
; COMPUTE_PGM_RSRC2:TGID_Y_EN: 0
; COMPUTE_PGM_RSRC2:TGID_Z_EN: 0
; COMPUTE_PGM_RSRC2:TIDIG_COMP_CNT: 0
; COMPUTE_PGM_RSRC3_GFX90A:ACCUM_OFFSET: 2
; COMPUTE_PGM_RSRC3_GFX90A:TG_SPLIT: 0
	.section	.text._ZN7rocprim17ROCPRIM_400000_NS6detail17trampoline_kernelINS0_14default_configENS1_27scan_by_key_config_selectorIj11FixedVectorIiLj8EEEEZZNS1_16scan_by_key_implILNS1_25lookback_scan_determinismE0ELb0ES3_N6thrust23THRUST_200600_302600_NS6detail15normal_iteratorINSB_10device_ptrIjEEEENSD_INSE_IS6_EEEESI_S6_NSB_4plusIvEENSB_8equal_toIvEES6_EE10hipError_tPvRmT2_T3_T4_T5_mT6_T7_P12ihipStream_tbENKUlT_T0_E_clISt17integral_constantIbLb1EES13_EEDaSY_SZ_EUlSY_E_NS1_11comp_targetILNS1_3genE0ELNS1_11target_archE4294967295ELNS1_3gpuE0ELNS1_3repE0EEENS1_30default_config_static_selectorELNS0_4arch9wavefront6targetE1EEEvT1_,"axG",@progbits,_ZN7rocprim17ROCPRIM_400000_NS6detail17trampoline_kernelINS0_14default_configENS1_27scan_by_key_config_selectorIj11FixedVectorIiLj8EEEEZZNS1_16scan_by_key_implILNS1_25lookback_scan_determinismE0ELb0ES3_N6thrust23THRUST_200600_302600_NS6detail15normal_iteratorINSB_10device_ptrIjEEEENSD_INSE_IS6_EEEESI_S6_NSB_4plusIvEENSB_8equal_toIvEES6_EE10hipError_tPvRmT2_T3_T4_T5_mT6_T7_P12ihipStream_tbENKUlT_T0_E_clISt17integral_constantIbLb1EES13_EEDaSY_SZ_EUlSY_E_NS1_11comp_targetILNS1_3genE0ELNS1_11target_archE4294967295ELNS1_3gpuE0ELNS1_3repE0EEENS1_30default_config_static_selectorELNS0_4arch9wavefront6targetE1EEEvT1_,comdat
	.protected	_ZN7rocprim17ROCPRIM_400000_NS6detail17trampoline_kernelINS0_14default_configENS1_27scan_by_key_config_selectorIj11FixedVectorIiLj8EEEEZZNS1_16scan_by_key_implILNS1_25lookback_scan_determinismE0ELb0ES3_N6thrust23THRUST_200600_302600_NS6detail15normal_iteratorINSB_10device_ptrIjEEEENSD_INSE_IS6_EEEESI_S6_NSB_4plusIvEENSB_8equal_toIvEES6_EE10hipError_tPvRmT2_T3_T4_T5_mT6_T7_P12ihipStream_tbENKUlT_T0_E_clISt17integral_constantIbLb1EES13_EEDaSY_SZ_EUlSY_E_NS1_11comp_targetILNS1_3genE0ELNS1_11target_archE4294967295ELNS1_3gpuE0ELNS1_3repE0EEENS1_30default_config_static_selectorELNS0_4arch9wavefront6targetE1EEEvT1_ ; -- Begin function _ZN7rocprim17ROCPRIM_400000_NS6detail17trampoline_kernelINS0_14default_configENS1_27scan_by_key_config_selectorIj11FixedVectorIiLj8EEEEZZNS1_16scan_by_key_implILNS1_25lookback_scan_determinismE0ELb0ES3_N6thrust23THRUST_200600_302600_NS6detail15normal_iteratorINSB_10device_ptrIjEEEENSD_INSE_IS6_EEEESI_S6_NSB_4plusIvEENSB_8equal_toIvEES6_EE10hipError_tPvRmT2_T3_T4_T5_mT6_T7_P12ihipStream_tbENKUlT_T0_E_clISt17integral_constantIbLb1EES13_EEDaSY_SZ_EUlSY_E_NS1_11comp_targetILNS1_3genE0ELNS1_11target_archE4294967295ELNS1_3gpuE0ELNS1_3repE0EEENS1_30default_config_static_selectorELNS0_4arch9wavefront6targetE1EEEvT1_
	.globl	_ZN7rocprim17ROCPRIM_400000_NS6detail17trampoline_kernelINS0_14default_configENS1_27scan_by_key_config_selectorIj11FixedVectorIiLj8EEEEZZNS1_16scan_by_key_implILNS1_25lookback_scan_determinismE0ELb0ES3_N6thrust23THRUST_200600_302600_NS6detail15normal_iteratorINSB_10device_ptrIjEEEENSD_INSE_IS6_EEEESI_S6_NSB_4plusIvEENSB_8equal_toIvEES6_EE10hipError_tPvRmT2_T3_T4_T5_mT6_T7_P12ihipStream_tbENKUlT_T0_E_clISt17integral_constantIbLb1EES13_EEDaSY_SZ_EUlSY_E_NS1_11comp_targetILNS1_3genE0ELNS1_11target_archE4294967295ELNS1_3gpuE0ELNS1_3repE0EEENS1_30default_config_static_selectorELNS0_4arch9wavefront6targetE1EEEvT1_
	.p2align	8
	.type	_ZN7rocprim17ROCPRIM_400000_NS6detail17trampoline_kernelINS0_14default_configENS1_27scan_by_key_config_selectorIj11FixedVectorIiLj8EEEEZZNS1_16scan_by_key_implILNS1_25lookback_scan_determinismE0ELb0ES3_N6thrust23THRUST_200600_302600_NS6detail15normal_iteratorINSB_10device_ptrIjEEEENSD_INSE_IS6_EEEESI_S6_NSB_4plusIvEENSB_8equal_toIvEES6_EE10hipError_tPvRmT2_T3_T4_T5_mT6_T7_P12ihipStream_tbENKUlT_T0_E_clISt17integral_constantIbLb1EES13_EEDaSY_SZ_EUlSY_E_NS1_11comp_targetILNS1_3genE0ELNS1_11target_archE4294967295ELNS1_3gpuE0ELNS1_3repE0EEENS1_30default_config_static_selectorELNS0_4arch9wavefront6targetE1EEEvT1_,@function
_ZN7rocprim17ROCPRIM_400000_NS6detail17trampoline_kernelINS0_14default_configENS1_27scan_by_key_config_selectorIj11FixedVectorIiLj8EEEEZZNS1_16scan_by_key_implILNS1_25lookback_scan_determinismE0ELb0ES3_N6thrust23THRUST_200600_302600_NS6detail15normal_iteratorINSB_10device_ptrIjEEEENSD_INSE_IS6_EEEESI_S6_NSB_4plusIvEENSB_8equal_toIvEES6_EE10hipError_tPvRmT2_T3_T4_T5_mT6_T7_P12ihipStream_tbENKUlT_T0_E_clISt17integral_constantIbLb1EES13_EEDaSY_SZ_EUlSY_E_NS1_11comp_targetILNS1_3genE0ELNS1_11target_archE4294967295ELNS1_3gpuE0ELNS1_3repE0EEENS1_30default_config_static_selectorELNS0_4arch9wavefront6targetE1EEEvT1_: ; @_ZN7rocprim17ROCPRIM_400000_NS6detail17trampoline_kernelINS0_14default_configENS1_27scan_by_key_config_selectorIj11FixedVectorIiLj8EEEEZZNS1_16scan_by_key_implILNS1_25lookback_scan_determinismE0ELb0ES3_N6thrust23THRUST_200600_302600_NS6detail15normal_iteratorINSB_10device_ptrIjEEEENSD_INSE_IS6_EEEESI_S6_NSB_4plusIvEENSB_8equal_toIvEES6_EE10hipError_tPvRmT2_T3_T4_T5_mT6_T7_P12ihipStream_tbENKUlT_T0_E_clISt17integral_constantIbLb1EES13_EEDaSY_SZ_EUlSY_E_NS1_11comp_targetILNS1_3genE0ELNS1_11target_archE4294967295ELNS1_3gpuE0ELNS1_3repE0EEENS1_30default_config_static_selectorELNS0_4arch9wavefront6targetE1EEEvT1_
; %bb.0:
	.section	.rodata,"a",@progbits
	.p2align	6, 0x0
	.amdhsa_kernel _ZN7rocprim17ROCPRIM_400000_NS6detail17trampoline_kernelINS0_14default_configENS1_27scan_by_key_config_selectorIj11FixedVectorIiLj8EEEEZZNS1_16scan_by_key_implILNS1_25lookback_scan_determinismE0ELb0ES3_N6thrust23THRUST_200600_302600_NS6detail15normal_iteratorINSB_10device_ptrIjEEEENSD_INSE_IS6_EEEESI_S6_NSB_4plusIvEENSB_8equal_toIvEES6_EE10hipError_tPvRmT2_T3_T4_T5_mT6_T7_P12ihipStream_tbENKUlT_T0_E_clISt17integral_constantIbLb1EES13_EEDaSY_SZ_EUlSY_E_NS1_11comp_targetILNS1_3genE0ELNS1_11target_archE4294967295ELNS1_3gpuE0ELNS1_3repE0EEENS1_30default_config_static_selectorELNS0_4arch9wavefront6targetE1EEEvT1_
		.amdhsa_group_segment_fixed_size 0
		.amdhsa_private_segment_fixed_size 0
		.amdhsa_kernarg_size 160
		.amdhsa_user_sgpr_count 6
		.amdhsa_user_sgpr_private_segment_buffer 1
		.amdhsa_user_sgpr_dispatch_ptr 0
		.amdhsa_user_sgpr_queue_ptr 0
		.amdhsa_user_sgpr_kernarg_segment_ptr 1
		.amdhsa_user_sgpr_dispatch_id 0
		.amdhsa_user_sgpr_flat_scratch_init 0
		.amdhsa_user_sgpr_kernarg_preload_length 0
		.amdhsa_user_sgpr_kernarg_preload_offset 0
		.amdhsa_user_sgpr_private_segment_size 0
		.amdhsa_uses_dynamic_stack 0
		.amdhsa_system_sgpr_private_segment_wavefront_offset 0
		.amdhsa_system_sgpr_workgroup_id_x 1
		.amdhsa_system_sgpr_workgroup_id_y 0
		.amdhsa_system_sgpr_workgroup_id_z 0
		.amdhsa_system_sgpr_workgroup_info 0
		.amdhsa_system_vgpr_workitem_id 0
		.amdhsa_next_free_vgpr 1
		.amdhsa_next_free_sgpr 0
		.amdhsa_accum_offset 4
		.amdhsa_reserve_vcc 0
		.amdhsa_reserve_flat_scratch 0
		.amdhsa_float_round_mode_32 0
		.amdhsa_float_round_mode_16_64 0
		.amdhsa_float_denorm_mode_32 3
		.amdhsa_float_denorm_mode_16_64 3
		.amdhsa_dx10_clamp 1
		.amdhsa_ieee_mode 1
		.amdhsa_fp16_overflow 0
		.amdhsa_tg_split 0
		.amdhsa_exception_fp_ieee_invalid_op 0
		.amdhsa_exception_fp_denorm_src 0
		.amdhsa_exception_fp_ieee_div_zero 0
		.amdhsa_exception_fp_ieee_overflow 0
		.amdhsa_exception_fp_ieee_underflow 0
		.amdhsa_exception_fp_ieee_inexact 0
		.amdhsa_exception_int_div_zero 0
	.end_amdhsa_kernel
	.section	.text._ZN7rocprim17ROCPRIM_400000_NS6detail17trampoline_kernelINS0_14default_configENS1_27scan_by_key_config_selectorIj11FixedVectorIiLj8EEEEZZNS1_16scan_by_key_implILNS1_25lookback_scan_determinismE0ELb0ES3_N6thrust23THRUST_200600_302600_NS6detail15normal_iteratorINSB_10device_ptrIjEEEENSD_INSE_IS6_EEEESI_S6_NSB_4plusIvEENSB_8equal_toIvEES6_EE10hipError_tPvRmT2_T3_T4_T5_mT6_T7_P12ihipStream_tbENKUlT_T0_E_clISt17integral_constantIbLb1EES13_EEDaSY_SZ_EUlSY_E_NS1_11comp_targetILNS1_3genE0ELNS1_11target_archE4294967295ELNS1_3gpuE0ELNS1_3repE0EEENS1_30default_config_static_selectorELNS0_4arch9wavefront6targetE1EEEvT1_,"axG",@progbits,_ZN7rocprim17ROCPRIM_400000_NS6detail17trampoline_kernelINS0_14default_configENS1_27scan_by_key_config_selectorIj11FixedVectorIiLj8EEEEZZNS1_16scan_by_key_implILNS1_25lookback_scan_determinismE0ELb0ES3_N6thrust23THRUST_200600_302600_NS6detail15normal_iteratorINSB_10device_ptrIjEEEENSD_INSE_IS6_EEEESI_S6_NSB_4plusIvEENSB_8equal_toIvEES6_EE10hipError_tPvRmT2_T3_T4_T5_mT6_T7_P12ihipStream_tbENKUlT_T0_E_clISt17integral_constantIbLb1EES13_EEDaSY_SZ_EUlSY_E_NS1_11comp_targetILNS1_3genE0ELNS1_11target_archE4294967295ELNS1_3gpuE0ELNS1_3repE0EEENS1_30default_config_static_selectorELNS0_4arch9wavefront6targetE1EEEvT1_,comdat
.Lfunc_end2126:
	.size	_ZN7rocprim17ROCPRIM_400000_NS6detail17trampoline_kernelINS0_14default_configENS1_27scan_by_key_config_selectorIj11FixedVectorIiLj8EEEEZZNS1_16scan_by_key_implILNS1_25lookback_scan_determinismE0ELb0ES3_N6thrust23THRUST_200600_302600_NS6detail15normal_iteratorINSB_10device_ptrIjEEEENSD_INSE_IS6_EEEESI_S6_NSB_4plusIvEENSB_8equal_toIvEES6_EE10hipError_tPvRmT2_T3_T4_T5_mT6_T7_P12ihipStream_tbENKUlT_T0_E_clISt17integral_constantIbLb1EES13_EEDaSY_SZ_EUlSY_E_NS1_11comp_targetILNS1_3genE0ELNS1_11target_archE4294967295ELNS1_3gpuE0ELNS1_3repE0EEENS1_30default_config_static_selectorELNS0_4arch9wavefront6targetE1EEEvT1_, .Lfunc_end2126-_ZN7rocprim17ROCPRIM_400000_NS6detail17trampoline_kernelINS0_14default_configENS1_27scan_by_key_config_selectorIj11FixedVectorIiLj8EEEEZZNS1_16scan_by_key_implILNS1_25lookback_scan_determinismE0ELb0ES3_N6thrust23THRUST_200600_302600_NS6detail15normal_iteratorINSB_10device_ptrIjEEEENSD_INSE_IS6_EEEESI_S6_NSB_4plusIvEENSB_8equal_toIvEES6_EE10hipError_tPvRmT2_T3_T4_T5_mT6_T7_P12ihipStream_tbENKUlT_T0_E_clISt17integral_constantIbLb1EES13_EEDaSY_SZ_EUlSY_E_NS1_11comp_targetILNS1_3genE0ELNS1_11target_archE4294967295ELNS1_3gpuE0ELNS1_3repE0EEENS1_30default_config_static_selectorELNS0_4arch9wavefront6targetE1EEEvT1_
                                        ; -- End function
	.section	.AMDGPU.csdata,"",@progbits
; Kernel info:
; codeLenInByte = 0
; NumSgprs: 4
; NumVgprs: 0
; NumAgprs: 0
; TotalNumVgprs: 0
; ScratchSize: 0
; MemoryBound: 0
; FloatMode: 240
; IeeeMode: 1
; LDSByteSize: 0 bytes/workgroup (compile time only)
; SGPRBlocks: 0
; VGPRBlocks: 0
; NumSGPRsForWavesPerEU: 4
; NumVGPRsForWavesPerEU: 1
; AccumOffset: 4
; Occupancy: 8
; WaveLimiterHint : 0
; COMPUTE_PGM_RSRC2:SCRATCH_EN: 0
; COMPUTE_PGM_RSRC2:USER_SGPR: 6
; COMPUTE_PGM_RSRC2:TRAP_HANDLER: 0
; COMPUTE_PGM_RSRC2:TGID_X_EN: 1
; COMPUTE_PGM_RSRC2:TGID_Y_EN: 0
; COMPUTE_PGM_RSRC2:TGID_Z_EN: 0
; COMPUTE_PGM_RSRC2:TIDIG_COMP_CNT: 0
; COMPUTE_PGM_RSRC3_GFX90A:ACCUM_OFFSET: 0
; COMPUTE_PGM_RSRC3_GFX90A:TG_SPLIT: 0
	.section	.text._ZN7rocprim17ROCPRIM_400000_NS6detail17trampoline_kernelINS0_14default_configENS1_27scan_by_key_config_selectorIj11FixedVectorIiLj8EEEEZZNS1_16scan_by_key_implILNS1_25lookback_scan_determinismE0ELb0ES3_N6thrust23THRUST_200600_302600_NS6detail15normal_iteratorINSB_10device_ptrIjEEEENSD_INSE_IS6_EEEESI_S6_NSB_4plusIvEENSB_8equal_toIvEES6_EE10hipError_tPvRmT2_T3_T4_T5_mT6_T7_P12ihipStream_tbENKUlT_T0_E_clISt17integral_constantIbLb1EES13_EEDaSY_SZ_EUlSY_E_NS1_11comp_targetILNS1_3genE10ELNS1_11target_archE1201ELNS1_3gpuE5ELNS1_3repE0EEENS1_30default_config_static_selectorELNS0_4arch9wavefront6targetE1EEEvT1_,"axG",@progbits,_ZN7rocprim17ROCPRIM_400000_NS6detail17trampoline_kernelINS0_14default_configENS1_27scan_by_key_config_selectorIj11FixedVectorIiLj8EEEEZZNS1_16scan_by_key_implILNS1_25lookback_scan_determinismE0ELb0ES3_N6thrust23THRUST_200600_302600_NS6detail15normal_iteratorINSB_10device_ptrIjEEEENSD_INSE_IS6_EEEESI_S6_NSB_4plusIvEENSB_8equal_toIvEES6_EE10hipError_tPvRmT2_T3_T4_T5_mT6_T7_P12ihipStream_tbENKUlT_T0_E_clISt17integral_constantIbLb1EES13_EEDaSY_SZ_EUlSY_E_NS1_11comp_targetILNS1_3genE10ELNS1_11target_archE1201ELNS1_3gpuE5ELNS1_3repE0EEENS1_30default_config_static_selectorELNS0_4arch9wavefront6targetE1EEEvT1_,comdat
	.protected	_ZN7rocprim17ROCPRIM_400000_NS6detail17trampoline_kernelINS0_14default_configENS1_27scan_by_key_config_selectorIj11FixedVectorIiLj8EEEEZZNS1_16scan_by_key_implILNS1_25lookback_scan_determinismE0ELb0ES3_N6thrust23THRUST_200600_302600_NS6detail15normal_iteratorINSB_10device_ptrIjEEEENSD_INSE_IS6_EEEESI_S6_NSB_4plusIvEENSB_8equal_toIvEES6_EE10hipError_tPvRmT2_T3_T4_T5_mT6_T7_P12ihipStream_tbENKUlT_T0_E_clISt17integral_constantIbLb1EES13_EEDaSY_SZ_EUlSY_E_NS1_11comp_targetILNS1_3genE10ELNS1_11target_archE1201ELNS1_3gpuE5ELNS1_3repE0EEENS1_30default_config_static_selectorELNS0_4arch9wavefront6targetE1EEEvT1_ ; -- Begin function _ZN7rocprim17ROCPRIM_400000_NS6detail17trampoline_kernelINS0_14default_configENS1_27scan_by_key_config_selectorIj11FixedVectorIiLj8EEEEZZNS1_16scan_by_key_implILNS1_25lookback_scan_determinismE0ELb0ES3_N6thrust23THRUST_200600_302600_NS6detail15normal_iteratorINSB_10device_ptrIjEEEENSD_INSE_IS6_EEEESI_S6_NSB_4plusIvEENSB_8equal_toIvEES6_EE10hipError_tPvRmT2_T3_T4_T5_mT6_T7_P12ihipStream_tbENKUlT_T0_E_clISt17integral_constantIbLb1EES13_EEDaSY_SZ_EUlSY_E_NS1_11comp_targetILNS1_3genE10ELNS1_11target_archE1201ELNS1_3gpuE5ELNS1_3repE0EEENS1_30default_config_static_selectorELNS0_4arch9wavefront6targetE1EEEvT1_
	.globl	_ZN7rocprim17ROCPRIM_400000_NS6detail17trampoline_kernelINS0_14default_configENS1_27scan_by_key_config_selectorIj11FixedVectorIiLj8EEEEZZNS1_16scan_by_key_implILNS1_25lookback_scan_determinismE0ELb0ES3_N6thrust23THRUST_200600_302600_NS6detail15normal_iteratorINSB_10device_ptrIjEEEENSD_INSE_IS6_EEEESI_S6_NSB_4plusIvEENSB_8equal_toIvEES6_EE10hipError_tPvRmT2_T3_T4_T5_mT6_T7_P12ihipStream_tbENKUlT_T0_E_clISt17integral_constantIbLb1EES13_EEDaSY_SZ_EUlSY_E_NS1_11comp_targetILNS1_3genE10ELNS1_11target_archE1201ELNS1_3gpuE5ELNS1_3repE0EEENS1_30default_config_static_selectorELNS0_4arch9wavefront6targetE1EEEvT1_
	.p2align	8
	.type	_ZN7rocprim17ROCPRIM_400000_NS6detail17trampoline_kernelINS0_14default_configENS1_27scan_by_key_config_selectorIj11FixedVectorIiLj8EEEEZZNS1_16scan_by_key_implILNS1_25lookback_scan_determinismE0ELb0ES3_N6thrust23THRUST_200600_302600_NS6detail15normal_iteratorINSB_10device_ptrIjEEEENSD_INSE_IS6_EEEESI_S6_NSB_4plusIvEENSB_8equal_toIvEES6_EE10hipError_tPvRmT2_T3_T4_T5_mT6_T7_P12ihipStream_tbENKUlT_T0_E_clISt17integral_constantIbLb1EES13_EEDaSY_SZ_EUlSY_E_NS1_11comp_targetILNS1_3genE10ELNS1_11target_archE1201ELNS1_3gpuE5ELNS1_3repE0EEENS1_30default_config_static_selectorELNS0_4arch9wavefront6targetE1EEEvT1_,@function
_ZN7rocprim17ROCPRIM_400000_NS6detail17trampoline_kernelINS0_14default_configENS1_27scan_by_key_config_selectorIj11FixedVectorIiLj8EEEEZZNS1_16scan_by_key_implILNS1_25lookback_scan_determinismE0ELb0ES3_N6thrust23THRUST_200600_302600_NS6detail15normal_iteratorINSB_10device_ptrIjEEEENSD_INSE_IS6_EEEESI_S6_NSB_4plusIvEENSB_8equal_toIvEES6_EE10hipError_tPvRmT2_T3_T4_T5_mT6_T7_P12ihipStream_tbENKUlT_T0_E_clISt17integral_constantIbLb1EES13_EEDaSY_SZ_EUlSY_E_NS1_11comp_targetILNS1_3genE10ELNS1_11target_archE1201ELNS1_3gpuE5ELNS1_3repE0EEENS1_30default_config_static_selectorELNS0_4arch9wavefront6targetE1EEEvT1_: ; @_ZN7rocprim17ROCPRIM_400000_NS6detail17trampoline_kernelINS0_14default_configENS1_27scan_by_key_config_selectorIj11FixedVectorIiLj8EEEEZZNS1_16scan_by_key_implILNS1_25lookback_scan_determinismE0ELb0ES3_N6thrust23THRUST_200600_302600_NS6detail15normal_iteratorINSB_10device_ptrIjEEEENSD_INSE_IS6_EEEESI_S6_NSB_4plusIvEENSB_8equal_toIvEES6_EE10hipError_tPvRmT2_T3_T4_T5_mT6_T7_P12ihipStream_tbENKUlT_T0_E_clISt17integral_constantIbLb1EES13_EEDaSY_SZ_EUlSY_E_NS1_11comp_targetILNS1_3genE10ELNS1_11target_archE1201ELNS1_3gpuE5ELNS1_3repE0EEENS1_30default_config_static_selectorELNS0_4arch9wavefront6targetE1EEEvT1_
; %bb.0:
	.section	.rodata,"a",@progbits
	.p2align	6, 0x0
	.amdhsa_kernel _ZN7rocprim17ROCPRIM_400000_NS6detail17trampoline_kernelINS0_14default_configENS1_27scan_by_key_config_selectorIj11FixedVectorIiLj8EEEEZZNS1_16scan_by_key_implILNS1_25lookback_scan_determinismE0ELb0ES3_N6thrust23THRUST_200600_302600_NS6detail15normal_iteratorINSB_10device_ptrIjEEEENSD_INSE_IS6_EEEESI_S6_NSB_4plusIvEENSB_8equal_toIvEES6_EE10hipError_tPvRmT2_T3_T4_T5_mT6_T7_P12ihipStream_tbENKUlT_T0_E_clISt17integral_constantIbLb1EES13_EEDaSY_SZ_EUlSY_E_NS1_11comp_targetILNS1_3genE10ELNS1_11target_archE1201ELNS1_3gpuE5ELNS1_3repE0EEENS1_30default_config_static_selectorELNS0_4arch9wavefront6targetE1EEEvT1_
		.amdhsa_group_segment_fixed_size 0
		.amdhsa_private_segment_fixed_size 0
		.amdhsa_kernarg_size 160
		.amdhsa_user_sgpr_count 6
		.amdhsa_user_sgpr_private_segment_buffer 1
		.amdhsa_user_sgpr_dispatch_ptr 0
		.amdhsa_user_sgpr_queue_ptr 0
		.amdhsa_user_sgpr_kernarg_segment_ptr 1
		.amdhsa_user_sgpr_dispatch_id 0
		.amdhsa_user_sgpr_flat_scratch_init 0
		.amdhsa_user_sgpr_kernarg_preload_length 0
		.amdhsa_user_sgpr_kernarg_preload_offset 0
		.amdhsa_user_sgpr_private_segment_size 0
		.amdhsa_uses_dynamic_stack 0
		.amdhsa_system_sgpr_private_segment_wavefront_offset 0
		.amdhsa_system_sgpr_workgroup_id_x 1
		.amdhsa_system_sgpr_workgroup_id_y 0
		.amdhsa_system_sgpr_workgroup_id_z 0
		.amdhsa_system_sgpr_workgroup_info 0
		.amdhsa_system_vgpr_workitem_id 0
		.amdhsa_next_free_vgpr 1
		.amdhsa_next_free_sgpr 0
		.amdhsa_accum_offset 4
		.amdhsa_reserve_vcc 0
		.amdhsa_reserve_flat_scratch 0
		.amdhsa_float_round_mode_32 0
		.amdhsa_float_round_mode_16_64 0
		.amdhsa_float_denorm_mode_32 3
		.amdhsa_float_denorm_mode_16_64 3
		.amdhsa_dx10_clamp 1
		.amdhsa_ieee_mode 1
		.amdhsa_fp16_overflow 0
		.amdhsa_tg_split 0
		.amdhsa_exception_fp_ieee_invalid_op 0
		.amdhsa_exception_fp_denorm_src 0
		.amdhsa_exception_fp_ieee_div_zero 0
		.amdhsa_exception_fp_ieee_overflow 0
		.amdhsa_exception_fp_ieee_underflow 0
		.amdhsa_exception_fp_ieee_inexact 0
		.amdhsa_exception_int_div_zero 0
	.end_amdhsa_kernel
	.section	.text._ZN7rocprim17ROCPRIM_400000_NS6detail17trampoline_kernelINS0_14default_configENS1_27scan_by_key_config_selectorIj11FixedVectorIiLj8EEEEZZNS1_16scan_by_key_implILNS1_25lookback_scan_determinismE0ELb0ES3_N6thrust23THRUST_200600_302600_NS6detail15normal_iteratorINSB_10device_ptrIjEEEENSD_INSE_IS6_EEEESI_S6_NSB_4plusIvEENSB_8equal_toIvEES6_EE10hipError_tPvRmT2_T3_T4_T5_mT6_T7_P12ihipStream_tbENKUlT_T0_E_clISt17integral_constantIbLb1EES13_EEDaSY_SZ_EUlSY_E_NS1_11comp_targetILNS1_3genE10ELNS1_11target_archE1201ELNS1_3gpuE5ELNS1_3repE0EEENS1_30default_config_static_selectorELNS0_4arch9wavefront6targetE1EEEvT1_,"axG",@progbits,_ZN7rocprim17ROCPRIM_400000_NS6detail17trampoline_kernelINS0_14default_configENS1_27scan_by_key_config_selectorIj11FixedVectorIiLj8EEEEZZNS1_16scan_by_key_implILNS1_25lookback_scan_determinismE0ELb0ES3_N6thrust23THRUST_200600_302600_NS6detail15normal_iteratorINSB_10device_ptrIjEEEENSD_INSE_IS6_EEEESI_S6_NSB_4plusIvEENSB_8equal_toIvEES6_EE10hipError_tPvRmT2_T3_T4_T5_mT6_T7_P12ihipStream_tbENKUlT_T0_E_clISt17integral_constantIbLb1EES13_EEDaSY_SZ_EUlSY_E_NS1_11comp_targetILNS1_3genE10ELNS1_11target_archE1201ELNS1_3gpuE5ELNS1_3repE0EEENS1_30default_config_static_selectorELNS0_4arch9wavefront6targetE1EEEvT1_,comdat
.Lfunc_end2127:
	.size	_ZN7rocprim17ROCPRIM_400000_NS6detail17trampoline_kernelINS0_14default_configENS1_27scan_by_key_config_selectorIj11FixedVectorIiLj8EEEEZZNS1_16scan_by_key_implILNS1_25lookback_scan_determinismE0ELb0ES3_N6thrust23THRUST_200600_302600_NS6detail15normal_iteratorINSB_10device_ptrIjEEEENSD_INSE_IS6_EEEESI_S6_NSB_4plusIvEENSB_8equal_toIvEES6_EE10hipError_tPvRmT2_T3_T4_T5_mT6_T7_P12ihipStream_tbENKUlT_T0_E_clISt17integral_constantIbLb1EES13_EEDaSY_SZ_EUlSY_E_NS1_11comp_targetILNS1_3genE10ELNS1_11target_archE1201ELNS1_3gpuE5ELNS1_3repE0EEENS1_30default_config_static_selectorELNS0_4arch9wavefront6targetE1EEEvT1_, .Lfunc_end2127-_ZN7rocprim17ROCPRIM_400000_NS6detail17trampoline_kernelINS0_14default_configENS1_27scan_by_key_config_selectorIj11FixedVectorIiLj8EEEEZZNS1_16scan_by_key_implILNS1_25lookback_scan_determinismE0ELb0ES3_N6thrust23THRUST_200600_302600_NS6detail15normal_iteratorINSB_10device_ptrIjEEEENSD_INSE_IS6_EEEESI_S6_NSB_4plusIvEENSB_8equal_toIvEES6_EE10hipError_tPvRmT2_T3_T4_T5_mT6_T7_P12ihipStream_tbENKUlT_T0_E_clISt17integral_constantIbLb1EES13_EEDaSY_SZ_EUlSY_E_NS1_11comp_targetILNS1_3genE10ELNS1_11target_archE1201ELNS1_3gpuE5ELNS1_3repE0EEENS1_30default_config_static_selectorELNS0_4arch9wavefront6targetE1EEEvT1_
                                        ; -- End function
	.section	.AMDGPU.csdata,"",@progbits
; Kernel info:
; codeLenInByte = 0
; NumSgprs: 4
; NumVgprs: 0
; NumAgprs: 0
; TotalNumVgprs: 0
; ScratchSize: 0
; MemoryBound: 0
; FloatMode: 240
; IeeeMode: 1
; LDSByteSize: 0 bytes/workgroup (compile time only)
; SGPRBlocks: 0
; VGPRBlocks: 0
; NumSGPRsForWavesPerEU: 4
; NumVGPRsForWavesPerEU: 1
; AccumOffset: 4
; Occupancy: 8
; WaveLimiterHint : 0
; COMPUTE_PGM_RSRC2:SCRATCH_EN: 0
; COMPUTE_PGM_RSRC2:USER_SGPR: 6
; COMPUTE_PGM_RSRC2:TRAP_HANDLER: 0
; COMPUTE_PGM_RSRC2:TGID_X_EN: 1
; COMPUTE_PGM_RSRC2:TGID_Y_EN: 0
; COMPUTE_PGM_RSRC2:TGID_Z_EN: 0
; COMPUTE_PGM_RSRC2:TIDIG_COMP_CNT: 0
; COMPUTE_PGM_RSRC3_GFX90A:ACCUM_OFFSET: 0
; COMPUTE_PGM_RSRC3_GFX90A:TG_SPLIT: 0
	.section	.text._ZN7rocprim17ROCPRIM_400000_NS6detail17trampoline_kernelINS0_14default_configENS1_27scan_by_key_config_selectorIj11FixedVectorIiLj8EEEEZZNS1_16scan_by_key_implILNS1_25lookback_scan_determinismE0ELb0ES3_N6thrust23THRUST_200600_302600_NS6detail15normal_iteratorINSB_10device_ptrIjEEEENSD_INSE_IS6_EEEESI_S6_NSB_4plusIvEENSB_8equal_toIvEES6_EE10hipError_tPvRmT2_T3_T4_T5_mT6_T7_P12ihipStream_tbENKUlT_T0_E_clISt17integral_constantIbLb1EES13_EEDaSY_SZ_EUlSY_E_NS1_11comp_targetILNS1_3genE5ELNS1_11target_archE942ELNS1_3gpuE9ELNS1_3repE0EEENS1_30default_config_static_selectorELNS0_4arch9wavefront6targetE1EEEvT1_,"axG",@progbits,_ZN7rocprim17ROCPRIM_400000_NS6detail17trampoline_kernelINS0_14default_configENS1_27scan_by_key_config_selectorIj11FixedVectorIiLj8EEEEZZNS1_16scan_by_key_implILNS1_25lookback_scan_determinismE0ELb0ES3_N6thrust23THRUST_200600_302600_NS6detail15normal_iteratorINSB_10device_ptrIjEEEENSD_INSE_IS6_EEEESI_S6_NSB_4plusIvEENSB_8equal_toIvEES6_EE10hipError_tPvRmT2_T3_T4_T5_mT6_T7_P12ihipStream_tbENKUlT_T0_E_clISt17integral_constantIbLb1EES13_EEDaSY_SZ_EUlSY_E_NS1_11comp_targetILNS1_3genE5ELNS1_11target_archE942ELNS1_3gpuE9ELNS1_3repE0EEENS1_30default_config_static_selectorELNS0_4arch9wavefront6targetE1EEEvT1_,comdat
	.protected	_ZN7rocprim17ROCPRIM_400000_NS6detail17trampoline_kernelINS0_14default_configENS1_27scan_by_key_config_selectorIj11FixedVectorIiLj8EEEEZZNS1_16scan_by_key_implILNS1_25lookback_scan_determinismE0ELb0ES3_N6thrust23THRUST_200600_302600_NS6detail15normal_iteratorINSB_10device_ptrIjEEEENSD_INSE_IS6_EEEESI_S6_NSB_4plusIvEENSB_8equal_toIvEES6_EE10hipError_tPvRmT2_T3_T4_T5_mT6_T7_P12ihipStream_tbENKUlT_T0_E_clISt17integral_constantIbLb1EES13_EEDaSY_SZ_EUlSY_E_NS1_11comp_targetILNS1_3genE5ELNS1_11target_archE942ELNS1_3gpuE9ELNS1_3repE0EEENS1_30default_config_static_selectorELNS0_4arch9wavefront6targetE1EEEvT1_ ; -- Begin function _ZN7rocprim17ROCPRIM_400000_NS6detail17trampoline_kernelINS0_14default_configENS1_27scan_by_key_config_selectorIj11FixedVectorIiLj8EEEEZZNS1_16scan_by_key_implILNS1_25lookback_scan_determinismE0ELb0ES3_N6thrust23THRUST_200600_302600_NS6detail15normal_iteratorINSB_10device_ptrIjEEEENSD_INSE_IS6_EEEESI_S6_NSB_4plusIvEENSB_8equal_toIvEES6_EE10hipError_tPvRmT2_T3_T4_T5_mT6_T7_P12ihipStream_tbENKUlT_T0_E_clISt17integral_constantIbLb1EES13_EEDaSY_SZ_EUlSY_E_NS1_11comp_targetILNS1_3genE5ELNS1_11target_archE942ELNS1_3gpuE9ELNS1_3repE0EEENS1_30default_config_static_selectorELNS0_4arch9wavefront6targetE1EEEvT1_
	.globl	_ZN7rocprim17ROCPRIM_400000_NS6detail17trampoline_kernelINS0_14default_configENS1_27scan_by_key_config_selectorIj11FixedVectorIiLj8EEEEZZNS1_16scan_by_key_implILNS1_25lookback_scan_determinismE0ELb0ES3_N6thrust23THRUST_200600_302600_NS6detail15normal_iteratorINSB_10device_ptrIjEEEENSD_INSE_IS6_EEEESI_S6_NSB_4plusIvEENSB_8equal_toIvEES6_EE10hipError_tPvRmT2_T3_T4_T5_mT6_T7_P12ihipStream_tbENKUlT_T0_E_clISt17integral_constantIbLb1EES13_EEDaSY_SZ_EUlSY_E_NS1_11comp_targetILNS1_3genE5ELNS1_11target_archE942ELNS1_3gpuE9ELNS1_3repE0EEENS1_30default_config_static_selectorELNS0_4arch9wavefront6targetE1EEEvT1_
	.p2align	8
	.type	_ZN7rocprim17ROCPRIM_400000_NS6detail17trampoline_kernelINS0_14default_configENS1_27scan_by_key_config_selectorIj11FixedVectorIiLj8EEEEZZNS1_16scan_by_key_implILNS1_25lookback_scan_determinismE0ELb0ES3_N6thrust23THRUST_200600_302600_NS6detail15normal_iteratorINSB_10device_ptrIjEEEENSD_INSE_IS6_EEEESI_S6_NSB_4plusIvEENSB_8equal_toIvEES6_EE10hipError_tPvRmT2_T3_T4_T5_mT6_T7_P12ihipStream_tbENKUlT_T0_E_clISt17integral_constantIbLb1EES13_EEDaSY_SZ_EUlSY_E_NS1_11comp_targetILNS1_3genE5ELNS1_11target_archE942ELNS1_3gpuE9ELNS1_3repE0EEENS1_30default_config_static_selectorELNS0_4arch9wavefront6targetE1EEEvT1_,@function
_ZN7rocprim17ROCPRIM_400000_NS6detail17trampoline_kernelINS0_14default_configENS1_27scan_by_key_config_selectorIj11FixedVectorIiLj8EEEEZZNS1_16scan_by_key_implILNS1_25lookback_scan_determinismE0ELb0ES3_N6thrust23THRUST_200600_302600_NS6detail15normal_iteratorINSB_10device_ptrIjEEEENSD_INSE_IS6_EEEESI_S6_NSB_4plusIvEENSB_8equal_toIvEES6_EE10hipError_tPvRmT2_T3_T4_T5_mT6_T7_P12ihipStream_tbENKUlT_T0_E_clISt17integral_constantIbLb1EES13_EEDaSY_SZ_EUlSY_E_NS1_11comp_targetILNS1_3genE5ELNS1_11target_archE942ELNS1_3gpuE9ELNS1_3repE0EEENS1_30default_config_static_selectorELNS0_4arch9wavefront6targetE1EEEvT1_: ; @_ZN7rocprim17ROCPRIM_400000_NS6detail17trampoline_kernelINS0_14default_configENS1_27scan_by_key_config_selectorIj11FixedVectorIiLj8EEEEZZNS1_16scan_by_key_implILNS1_25lookback_scan_determinismE0ELb0ES3_N6thrust23THRUST_200600_302600_NS6detail15normal_iteratorINSB_10device_ptrIjEEEENSD_INSE_IS6_EEEESI_S6_NSB_4plusIvEENSB_8equal_toIvEES6_EE10hipError_tPvRmT2_T3_T4_T5_mT6_T7_P12ihipStream_tbENKUlT_T0_E_clISt17integral_constantIbLb1EES13_EEDaSY_SZ_EUlSY_E_NS1_11comp_targetILNS1_3genE5ELNS1_11target_archE942ELNS1_3gpuE9ELNS1_3repE0EEENS1_30default_config_static_selectorELNS0_4arch9wavefront6targetE1EEEvT1_
; %bb.0:
	.section	.rodata,"a",@progbits
	.p2align	6, 0x0
	.amdhsa_kernel _ZN7rocprim17ROCPRIM_400000_NS6detail17trampoline_kernelINS0_14default_configENS1_27scan_by_key_config_selectorIj11FixedVectorIiLj8EEEEZZNS1_16scan_by_key_implILNS1_25lookback_scan_determinismE0ELb0ES3_N6thrust23THRUST_200600_302600_NS6detail15normal_iteratorINSB_10device_ptrIjEEEENSD_INSE_IS6_EEEESI_S6_NSB_4plusIvEENSB_8equal_toIvEES6_EE10hipError_tPvRmT2_T3_T4_T5_mT6_T7_P12ihipStream_tbENKUlT_T0_E_clISt17integral_constantIbLb1EES13_EEDaSY_SZ_EUlSY_E_NS1_11comp_targetILNS1_3genE5ELNS1_11target_archE942ELNS1_3gpuE9ELNS1_3repE0EEENS1_30default_config_static_selectorELNS0_4arch9wavefront6targetE1EEEvT1_
		.amdhsa_group_segment_fixed_size 0
		.amdhsa_private_segment_fixed_size 0
		.amdhsa_kernarg_size 160
		.amdhsa_user_sgpr_count 6
		.amdhsa_user_sgpr_private_segment_buffer 1
		.amdhsa_user_sgpr_dispatch_ptr 0
		.amdhsa_user_sgpr_queue_ptr 0
		.amdhsa_user_sgpr_kernarg_segment_ptr 1
		.amdhsa_user_sgpr_dispatch_id 0
		.amdhsa_user_sgpr_flat_scratch_init 0
		.amdhsa_user_sgpr_kernarg_preload_length 0
		.amdhsa_user_sgpr_kernarg_preload_offset 0
		.amdhsa_user_sgpr_private_segment_size 0
		.amdhsa_uses_dynamic_stack 0
		.amdhsa_system_sgpr_private_segment_wavefront_offset 0
		.amdhsa_system_sgpr_workgroup_id_x 1
		.amdhsa_system_sgpr_workgroup_id_y 0
		.amdhsa_system_sgpr_workgroup_id_z 0
		.amdhsa_system_sgpr_workgroup_info 0
		.amdhsa_system_vgpr_workitem_id 0
		.amdhsa_next_free_vgpr 1
		.amdhsa_next_free_sgpr 0
		.amdhsa_accum_offset 4
		.amdhsa_reserve_vcc 0
		.amdhsa_reserve_flat_scratch 0
		.amdhsa_float_round_mode_32 0
		.amdhsa_float_round_mode_16_64 0
		.amdhsa_float_denorm_mode_32 3
		.amdhsa_float_denorm_mode_16_64 3
		.amdhsa_dx10_clamp 1
		.amdhsa_ieee_mode 1
		.amdhsa_fp16_overflow 0
		.amdhsa_tg_split 0
		.amdhsa_exception_fp_ieee_invalid_op 0
		.amdhsa_exception_fp_denorm_src 0
		.amdhsa_exception_fp_ieee_div_zero 0
		.amdhsa_exception_fp_ieee_overflow 0
		.amdhsa_exception_fp_ieee_underflow 0
		.amdhsa_exception_fp_ieee_inexact 0
		.amdhsa_exception_int_div_zero 0
	.end_amdhsa_kernel
	.section	.text._ZN7rocprim17ROCPRIM_400000_NS6detail17trampoline_kernelINS0_14default_configENS1_27scan_by_key_config_selectorIj11FixedVectorIiLj8EEEEZZNS1_16scan_by_key_implILNS1_25lookback_scan_determinismE0ELb0ES3_N6thrust23THRUST_200600_302600_NS6detail15normal_iteratorINSB_10device_ptrIjEEEENSD_INSE_IS6_EEEESI_S6_NSB_4plusIvEENSB_8equal_toIvEES6_EE10hipError_tPvRmT2_T3_T4_T5_mT6_T7_P12ihipStream_tbENKUlT_T0_E_clISt17integral_constantIbLb1EES13_EEDaSY_SZ_EUlSY_E_NS1_11comp_targetILNS1_3genE5ELNS1_11target_archE942ELNS1_3gpuE9ELNS1_3repE0EEENS1_30default_config_static_selectorELNS0_4arch9wavefront6targetE1EEEvT1_,"axG",@progbits,_ZN7rocprim17ROCPRIM_400000_NS6detail17trampoline_kernelINS0_14default_configENS1_27scan_by_key_config_selectorIj11FixedVectorIiLj8EEEEZZNS1_16scan_by_key_implILNS1_25lookback_scan_determinismE0ELb0ES3_N6thrust23THRUST_200600_302600_NS6detail15normal_iteratorINSB_10device_ptrIjEEEENSD_INSE_IS6_EEEESI_S6_NSB_4plusIvEENSB_8equal_toIvEES6_EE10hipError_tPvRmT2_T3_T4_T5_mT6_T7_P12ihipStream_tbENKUlT_T0_E_clISt17integral_constantIbLb1EES13_EEDaSY_SZ_EUlSY_E_NS1_11comp_targetILNS1_3genE5ELNS1_11target_archE942ELNS1_3gpuE9ELNS1_3repE0EEENS1_30default_config_static_selectorELNS0_4arch9wavefront6targetE1EEEvT1_,comdat
.Lfunc_end2128:
	.size	_ZN7rocprim17ROCPRIM_400000_NS6detail17trampoline_kernelINS0_14default_configENS1_27scan_by_key_config_selectorIj11FixedVectorIiLj8EEEEZZNS1_16scan_by_key_implILNS1_25lookback_scan_determinismE0ELb0ES3_N6thrust23THRUST_200600_302600_NS6detail15normal_iteratorINSB_10device_ptrIjEEEENSD_INSE_IS6_EEEESI_S6_NSB_4plusIvEENSB_8equal_toIvEES6_EE10hipError_tPvRmT2_T3_T4_T5_mT6_T7_P12ihipStream_tbENKUlT_T0_E_clISt17integral_constantIbLb1EES13_EEDaSY_SZ_EUlSY_E_NS1_11comp_targetILNS1_3genE5ELNS1_11target_archE942ELNS1_3gpuE9ELNS1_3repE0EEENS1_30default_config_static_selectorELNS0_4arch9wavefront6targetE1EEEvT1_, .Lfunc_end2128-_ZN7rocprim17ROCPRIM_400000_NS6detail17trampoline_kernelINS0_14default_configENS1_27scan_by_key_config_selectorIj11FixedVectorIiLj8EEEEZZNS1_16scan_by_key_implILNS1_25lookback_scan_determinismE0ELb0ES3_N6thrust23THRUST_200600_302600_NS6detail15normal_iteratorINSB_10device_ptrIjEEEENSD_INSE_IS6_EEEESI_S6_NSB_4plusIvEENSB_8equal_toIvEES6_EE10hipError_tPvRmT2_T3_T4_T5_mT6_T7_P12ihipStream_tbENKUlT_T0_E_clISt17integral_constantIbLb1EES13_EEDaSY_SZ_EUlSY_E_NS1_11comp_targetILNS1_3genE5ELNS1_11target_archE942ELNS1_3gpuE9ELNS1_3repE0EEENS1_30default_config_static_selectorELNS0_4arch9wavefront6targetE1EEEvT1_
                                        ; -- End function
	.section	.AMDGPU.csdata,"",@progbits
; Kernel info:
; codeLenInByte = 0
; NumSgprs: 4
; NumVgprs: 0
; NumAgprs: 0
; TotalNumVgprs: 0
; ScratchSize: 0
; MemoryBound: 0
; FloatMode: 240
; IeeeMode: 1
; LDSByteSize: 0 bytes/workgroup (compile time only)
; SGPRBlocks: 0
; VGPRBlocks: 0
; NumSGPRsForWavesPerEU: 4
; NumVGPRsForWavesPerEU: 1
; AccumOffset: 4
; Occupancy: 8
; WaveLimiterHint : 0
; COMPUTE_PGM_RSRC2:SCRATCH_EN: 0
; COMPUTE_PGM_RSRC2:USER_SGPR: 6
; COMPUTE_PGM_RSRC2:TRAP_HANDLER: 0
; COMPUTE_PGM_RSRC2:TGID_X_EN: 1
; COMPUTE_PGM_RSRC2:TGID_Y_EN: 0
; COMPUTE_PGM_RSRC2:TGID_Z_EN: 0
; COMPUTE_PGM_RSRC2:TIDIG_COMP_CNT: 0
; COMPUTE_PGM_RSRC3_GFX90A:ACCUM_OFFSET: 0
; COMPUTE_PGM_RSRC3_GFX90A:TG_SPLIT: 0
	.section	.text._ZN7rocprim17ROCPRIM_400000_NS6detail17trampoline_kernelINS0_14default_configENS1_27scan_by_key_config_selectorIj11FixedVectorIiLj8EEEEZZNS1_16scan_by_key_implILNS1_25lookback_scan_determinismE0ELb0ES3_N6thrust23THRUST_200600_302600_NS6detail15normal_iteratorINSB_10device_ptrIjEEEENSD_INSE_IS6_EEEESI_S6_NSB_4plusIvEENSB_8equal_toIvEES6_EE10hipError_tPvRmT2_T3_T4_T5_mT6_T7_P12ihipStream_tbENKUlT_T0_E_clISt17integral_constantIbLb1EES13_EEDaSY_SZ_EUlSY_E_NS1_11comp_targetILNS1_3genE4ELNS1_11target_archE910ELNS1_3gpuE8ELNS1_3repE0EEENS1_30default_config_static_selectorELNS0_4arch9wavefront6targetE1EEEvT1_,"axG",@progbits,_ZN7rocprim17ROCPRIM_400000_NS6detail17trampoline_kernelINS0_14default_configENS1_27scan_by_key_config_selectorIj11FixedVectorIiLj8EEEEZZNS1_16scan_by_key_implILNS1_25lookback_scan_determinismE0ELb0ES3_N6thrust23THRUST_200600_302600_NS6detail15normal_iteratorINSB_10device_ptrIjEEEENSD_INSE_IS6_EEEESI_S6_NSB_4plusIvEENSB_8equal_toIvEES6_EE10hipError_tPvRmT2_T3_T4_T5_mT6_T7_P12ihipStream_tbENKUlT_T0_E_clISt17integral_constantIbLb1EES13_EEDaSY_SZ_EUlSY_E_NS1_11comp_targetILNS1_3genE4ELNS1_11target_archE910ELNS1_3gpuE8ELNS1_3repE0EEENS1_30default_config_static_selectorELNS0_4arch9wavefront6targetE1EEEvT1_,comdat
	.protected	_ZN7rocprim17ROCPRIM_400000_NS6detail17trampoline_kernelINS0_14default_configENS1_27scan_by_key_config_selectorIj11FixedVectorIiLj8EEEEZZNS1_16scan_by_key_implILNS1_25lookback_scan_determinismE0ELb0ES3_N6thrust23THRUST_200600_302600_NS6detail15normal_iteratorINSB_10device_ptrIjEEEENSD_INSE_IS6_EEEESI_S6_NSB_4plusIvEENSB_8equal_toIvEES6_EE10hipError_tPvRmT2_T3_T4_T5_mT6_T7_P12ihipStream_tbENKUlT_T0_E_clISt17integral_constantIbLb1EES13_EEDaSY_SZ_EUlSY_E_NS1_11comp_targetILNS1_3genE4ELNS1_11target_archE910ELNS1_3gpuE8ELNS1_3repE0EEENS1_30default_config_static_selectorELNS0_4arch9wavefront6targetE1EEEvT1_ ; -- Begin function _ZN7rocprim17ROCPRIM_400000_NS6detail17trampoline_kernelINS0_14default_configENS1_27scan_by_key_config_selectorIj11FixedVectorIiLj8EEEEZZNS1_16scan_by_key_implILNS1_25lookback_scan_determinismE0ELb0ES3_N6thrust23THRUST_200600_302600_NS6detail15normal_iteratorINSB_10device_ptrIjEEEENSD_INSE_IS6_EEEESI_S6_NSB_4plusIvEENSB_8equal_toIvEES6_EE10hipError_tPvRmT2_T3_T4_T5_mT6_T7_P12ihipStream_tbENKUlT_T0_E_clISt17integral_constantIbLb1EES13_EEDaSY_SZ_EUlSY_E_NS1_11comp_targetILNS1_3genE4ELNS1_11target_archE910ELNS1_3gpuE8ELNS1_3repE0EEENS1_30default_config_static_selectorELNS0_4arch9wavefront6targetE1EEEvT1_
	.globl	_ZN7rocprim17ROCPRIM_400000_NS6detail17trampoline_kernelINS0_14default_configENS1_27scan_by_key_config_selectorIj11FixedVectorIiLj8EEEEZZNS1_16scan_by_key_implILNS1_25lookback_scan_determinismE0ELb0ES3_N6thrust23THRUST_200600_302600_NS6detail15normal_iteratorINSB_10device_ptrIjEEEENSD_INSE_IS6_EEEESI_S6_NSB_4plusIvEENSB_8equal_toIvEES6_EE10hipError_tPvRmT2_T3_T4_T5_mT6_T7_P12ihipStream_tbENKUlT_T0_E_clISt17integral_constantIbLb1EES13_EEDaSY_SZ_EUlSY_E_NS1_11comp_targetILNS1_3genE4ELNS1_11target_archE910ELNS1_3gpuE8ELNS1_3repE0EEENS1_30default_config_static_selectorELNS0_4arch9wavefront6targetE1EEEvT1_
	.p2align	8
	.type	_ZN7rocprim17ROCPRIM_400000_NS6detail17trampoline_kernelINS0_14default_configENS1_27scan_by_key_config_selectorIj11FixedVectorIiLj8EEEEZZNS1_16scan_by_key_implILNS1_25lookback_scan_determinismE0ELb0ES3_N6thrust23THRUST_200600_302600_NS6detail15normal_iteratorINSB_10device_ptrIjEEEENSD_INSE_IS6_EEEESI_S6_NSB_4plusIvEENSB_8equal_toIvEES6_EE10hipError_tPvRmT2_T3_T4_T5_mT6_T7_P12ihipStream_tbENKUlT_T0_E_clISt17integral_constantIbLb1EES13_EEDaSY_SZ_EUlSY_E_NS1_11comp_targetILNS1_3genE4ELNS1_11target_archE910ELNS1_3gpuE8ELNS1_3repE0EEENS1_30default_config_static_selectorELNS0_4arch9wavefront6targetE1EEEvT1_,@function
_ZN7rocprim17ROCPRIM_400000_NS6detail17trampoline_kernelINS0_14default_configENS1_27scan_by_key_config_selectorIj11FixedVectorIiLj8EEEEZZNS1_16scan_by_key_implILNS1_25lookback_scan_determinismE0ELb0ES3_N6thrust23THRUST_200600_302600_NS6detail15normal_iteratorINSB_10device_ptrIjEEEENSD_INSE_IS6_EEEESI_S6_NSB_4plusIvEENSB_8equal_toIvEES6_EE10hipError_tPvRmT2_T3_T4_T5_mT6_T7_P12ihipStream_tbENKUlT_T0_E_clISt17integral_constantIbLb1EES13_EEDaSY_SZ_EUlSY_E_NS1_11comp_targetILNS1_3genE4ELNS1_11target_archE910ELNS1_3gpuE8ELNS1_3repE0EEENS1_30default_config_static_selectorELNS0_4arch9wavefront6targetE1EEEvT1_: ; @_ZN7rocprim17ROCPRIM_400000_NS6detail17trampoline_kernelINS0_14default_configENS1_27scan_by_key_config_selectorIj11FixedVectorIiLj8EEEEZZNS1_16scan_by_key_implILNS1_25lookback_scan_determinismE0ELb0ES3_N6thrust23THRUST_200600_302600_NS6detail15normal_iteratorINSB_10device_ptrIjEEEENSD_INSE_IS6_EEEESI_S6_NSB_4plusIvEENSB_8equal_toIvEES6_EE10hipError_tPvRmT2_T3_T4_T5_mT6_T7_P12ihipStream_tbENKUlT_T0_E_clISt17integral_constantIbLb1EES13_EEDaSY_SZ_EUlSY_E_NS1_11comp_targetILNS1_3genE4ELNS1_11target_archE910ELNS1_3gpuE8ELNS1_3repE0EEENS1_30default_config_static_selectorELNS0_4arch9wavefront6targetE1EEEvT1_
; %bb.0:
	s_load_dwordx2 s[34:35], s[6:7], 0x68
	s_load_dwordx8 s[20:27], s[6:7], 0x48
	s_add_u32 flat_scratch_lo, s8, s11
	s_addc_u32 flat_scratch_hi, s9, 0
	s_add_u32 s0, s0, s11
	v_and_b32_e32 v10, 0x3ff, v0
	s_addc_u32 s1, s1, 0
	v_cmp_ne_u32_e64 s[8:9], 0, v10
	v_cmp_eq_u32_e64 s[10:11], 0, v10
	s_and_saveexec_b64 s[12:13], s[10:11]
	s_cbranch_execz .LBB2129_4
; %bb.1:
	s_mov_b64 s[16:17], exec
	v_mbcnt_lo_u32_b32 v1, s16, 0
	v_mbcnt_hi_u32_b32 v1, s17, v1
	v_cmp_eq_u32_e32 vcc, 0, v1
                                        ; implicit-def: $vgpr2
	s_and_saveexec_b64 s[14:15], vcc
	s_cbranch_execz .LBB2129_3
; %bb.2:
	s_load_dwordx2 s[18:19], s[6:7], 0x98
	s_bcnt1_i32_b64 s16, s[16:17]
	v_mov_b32_e32 v2, 0
	v_mov_b32_e32 v3, s16
	s_waitcnt lgkmcnt(0)
	global_atomic_add v2, v2, v3, s[18:19] glc
.LBB2129_3:
	s_or_b64 exec, exec, s[14:15]
	s_waitcnt vmcnt(0)
	v_readfirstlane_b32 s14, v2
	v_add_u32_e32 v1, s14, v1
	v_mov_b32_e32 v2, 0
	ds_write_b32 v2, v1
.LBB2129_4:
	s_or_b64 exec, exec, s[12:13]
	v_mov_b32_e32 v1, 0
	s_load_dwordx8 s[12:19], s[6:7], 0x0
	s_waitcnt lgkmcnt(0)
	s_load_dword s27, s[6:7], 0x70
	s_load_dwordx8 s[36:43], s[6:7], 0x78
	s_waitcnt lgkmcnt(0)
	s_barrier
	ds_read_b32 v2, v1
	s_mov_b32 s6, 0
	s_waitcnt lgkmcnt(0)
	s_barrier
	v_readfirstlane_b32 s33, v2
	v_mov_b32_e32 v2, 0x120
	s_barrier
	buffer_store_dword v1, off, s[0:3], 0 offset:316
	buffer_store_dword v1, off, s[0:3], 0 offset:312
	;; [unrolled: 1-line block ×9, first 2 shown]
.LBB2129_5:                             ; =>This Inner Loop Header: Depth=1
	v_add_u32_e32 v3, s6, v2
	s_add_i32 s6, s6, 8
	s_cmp_lg_u32 s6, 32
	buffer_store_dword v1, v3, s[0:3], 0 offen offset:4
	buffer_store_dword v1, v3, s[0:3], 0 offen
	s_cbranch_scc1 .LBB2129_5
; %bb.6:
	v_mov_b32_e32 v2, 0x120
	v_mov_b32_e32 v1, 0
	s_mov_b32 s6, 36
	v_add_u32_e32 v13, 36, v2
	buffer_store_byte v1, off, s[0:3], 0 offset:320
	buffer_store_dword v1, off, s[0:3], 0 offset:336
	buffer_store_dword v1, off, s[0:3], 0 offset:332
	;; [unrolled: 1-line block ×9, first 2 shown]
.LBB2129_7:                             ; =>This Inner Loop Header: Depth=1
	v_add_u32_e32 v3, s6, v2
	s_add_i32 s6, s6, 8
	s_cmpk_lg_i32 s6, 0x44
	buffer_store_dword v1, v3, s[0:3], 0 offen offset:4
	buffer_store_dword v1, v3, s[0:3], 0 offen
	s_cbranch_scc1 .LBB2129_7
; %bb.8:
	v_mov_b32_e32 v2, 0x120
	v_mov_b32_e32 v1, 0
	s_movk_i32 s6, 0x48
	v_add_u32_e32 v16, 0x48, v2
	buffer_store_byte v1, off, s[0:3], 0 offset:356
	buffer_store_dword v1, off, s[0:3], 0 offset:372
	buffer_store_dword v1, off, s[0:3], 0 offset:368
	;; [unrolled: 1-line block ×9, first 2 shown]
.LBB2129_9:                             ; =>This Inner Loop Header: Depth=1
	v_add_u32_e32 v3, s6, v2
	s_add_i32 s6, s6, 8
	s_cmpk_lg_i32 s6, 0x68
	buffer_store_dword v1, v3, s[0:3], 0 offen offset:4
	buffer_store_dword v1, v3, s[0:3], 0 offen
	s_cbranch_scc1 .LBB2129_9
; %bb.10:
	s_mov_b32 s6, 0
	v_mov_b32_e32 v1, 0
	v_mov_b32_e32 v2, 0x90
	buffer_store_byte v1, off, s[0:3], 0 offset:392
.LBB2129_11:                            ; =>This Inner Loop Header: Depth=1
	v_add_u32_e32 v3, s6, v2
	s_add_i32 s6, s6, 8
	s_cmp_lg_u32 s6, 32
	buffer_store_dword v1, v3, s[0:3], 0 offen offset:4
	buffer_store_dword v1, v3, s[0:3], 0 offen
	s_cbranch_scc1 .LBB2129_11
; %bb.12:
	s_mov_b32 s6, 32
	v_mov_b32_e32 v1, 0x90
	v_mov_b32_e32 v2, 0
.LBB2129_13:                            ; =>This Inner Loop Header: Depth=1
	v_add_u32_e32 v3, s6, v1
	s_add_i32 s6, s6, 8
	s_cmp_lg_u32 s6, 64
	buffer_store_dword v2, v3, s[0:3], 0 offen offset:4
	buffer_store_dword v2, v3, s[0:3], 0 offen
	s_cbranch_scc1 .LBB2129_13
; %bb.14:
	s_mov_b32 s6, 64
	v_mov_b32_e32 v1, 0x90
	v_mov_b32_e32 v2, 0
.LBB2129_15:                            ; =>This Inner Loop Header: Depth=1
	v_add_u32_e32 v3, s6, v1
	s_add_i32 s6, s6, 8
	s_cmpk_lg_i32 s6, 0x60
	buffer_store_dword v2, v3, s[0:3], 0 offen offset:4
	buffer_store_dword v2, v3, s[0:3], 0 offen
	s_cbranch_scc1 .LBB2129_15
; %bb.16:
	s_lshl_b64 s[6:7], s[14:15], 2
	s_add_u32 s30, s12, s6
	s_addc_u32 s31, s13, s7
	s_lshl_b64 s[28:29], s[14:15], 5
	s_add_u32 s14, s16, s28
	s_mul_i32 s6, s35, s27
	s_mul_hi_u32 s7, s34, s27
	s_addc_u32 s15, s17, s29
	s_add_i32 s16, s7, s6
	s_cmp_lg_u64 s[40:41], 0
	s_mul_i32 s6, s33, 0x300
	s_mov_b32 s7, 0
	s_cselect_b64 s[44:45], -1, 0
	s_lshl_b64 s[12:13], s[6:7], 2
	s_add_u32 s40, s30, s12
	s_addc_u32 s41, s31, s13
	s_lshl_b64 s[30:31], s[6:7], 5
	s_add_u32 s52, s14, s30
	s_mul_i32 s17, s34, s27
	s_addc_u32 s53, s15, s31
	s_add_u32 s46, s17, s33
	s_addc_u32 s47, s16, 0
	s_add_u32 s12, s36, -1
	v_mov_b32_e32 v2, 0x90
	s_addc_u32 s13, s37, -1
	v_add_u32_e32 v1, 64, v2
	v_add_u32_e32 v4, 32, v2
	v_pk_mov_b32 v[2:3], s[12:13], s[12:13] op_sel:[0,1]
	v_cmp_ge_u64_e64 s[6:7], s[46:47], v[2:3]
	s_mov_b64 s[48:49], 0
	s_mov_b64 s[14:15], -1
	s_and_b64 vcc, exec, s[6:7]
	s_mul_i32 s27, s12, 0xfffffd00
                                        ; implicit-def: $sgpr12_sgpr13
	s_cbranch_vccnz .LBB2129_303
; %bb.17:
	s_and_b64 vcc, exec, s[14:15]
	s_cbranch_vccnz .LBB2129_326
.LBB2129_18:
	s_and_saveexec_b64 s[14:15], s[48:49]
	s_cbranch_execz .LBB2129_20
.LBB2129_19:
	buffer_load_dword v2, v1, s[0:3], 0 offen offset:12
	buffer_load_dword v3, v1, s[0:3], 0 offen offset:8
	;; [unrolled: 1-line block ×3, first 2 shown]
	buffer_load_dword v5, v1, s[0:3], 0 offen
	buffer_load_dword v6, v1, s[0:3], 0 offen offset:28
	buffer_load_dword v7, v1, s[0:3], 0 offen offset:24
	;; [unrolled: 1-line block ×4, first 2 shown]
                                        ; kill: killed $vgpr1
	v_cndmask_b32_e64 v1, 0, 1, s[12:13]
	s_waitcnt vmcnt(7)
	buffer_store_dword v2, v16, s[0:3], 0 offen offset:12
	s_waitcnt vmcnt(7)
	buffer_store_dword v3, v16, s[0:3], 0 offen offset:8
	s_waitcnt vmcnt(7)
	buffer_store_dword v4, v16, s[0:3], 0 offen offset:4
	s_waitcnt vmcnt(7)
	buffer_store_dword v5, v16, s[0:3], 0 offen
	s_waitcnt vmcnt(7)
	buffer_store_dword v6, v16, s[0:3], 0 offen offset:28
	s_waitcnt vmcnt(7)
	buffer_store_dword v7, v16, s[0:3], 0 offen offset:24
	;; [unrolled: 2-line block ×4, first 2 shown]
	buffer_store_byte v1, off, s[0:3], 0 offset:392
.LBB2129_20:
	s_or_b64 exec, exec, s[14:15]
	s_cmp_lg_u32 s33, 0
	s_mov_b32 s12, 0
	s_barrier
	s_cbranch_scc0 .LBB2129_334
; %bb.21:
	v_mov_b32_e32 v1, 0
	v_mov_b32_e32 v2, 0x90
	buffer_store_dword v1, off, s[0:3], 0 offset:176
.LBB2129_22:                            ; =>This Inner Loop Header: Depth=1
	v_add_u32_e32 v3, s12, v2
	s_add_i32 s12, s12, 8
	s_cmp_lg_u32 s12, 32
	buffer_store_dword v1, v3, s[0:3], 0 offen offset:4
	buffer_store_dword v1, v3, s[0:3], 0 offen
	s_cbranch_scc1 .LBB2129_22
; %bb.23:
	buffer_load_dword v2, off, s[0:3], 0 offset:300
	buffer_load_dword v3, off, s[0:3], 0 offset:296
	;; [unrolled: 1-line block ×8, first 2 shown]
	buffer_load_ubyte v11, off, s[0:3], 0 offset:356
	buffer_load_ubyte v1, off, s[0:3], 0 offset:320
	s_waitcnt vmcnt(9)
	buffer_store_dword v2, off, s[0:3], 0 offset:156
	s_waitcnt vmcnt(9)
	buffer_store_dword v3, off, s[0:3], 0 offset:152
	;; [unrolled: 2-line block ×8, first 2 shown]
	s_waitcnt vmcnt(9)
	v_cmp_ne_u16_e32 vcc, 0, v11
                                        ; implicit-def: $vgpr8_vgpr9
                                        ; implicit-def: $vgpr6_vgpr7
                                        ; implicit-def: $vgpr4_vgpr5
                                        ; implicit-def: $vgpr2_vgpr3
	s_and_saveexec_b64 s[12:13], vcc
	s_xor_b64 s[12:13], exec, s[12:13]
	s_cbranch_execz .LBB2129_25
; %bb.24:
	buffer_load_dword v2, off, s[0:3], 0 offset:324
	buffer_load_dword v3, off, s[0:3], 0 offset:328
	buffer_load_dword v4, off, s[0:3], 0 offset:332
	buffer_load_dword v5, off, s[0:3], 0 offset:336
	buffer_load_dword v6, off, s[0:3], 0 offset:340
	buffer_load_dword v7, off, s[0:3], 0 offset:344
	buffer_load_dword v8, off, s[0:3], 0 offset:348
	buffer_load_dword v9, off, s[0:3], 0 offset:352
.LBB2129_25:
	s_andn2_saveexec_b64 s[12:13], s[12:13]
	s_cbranch_execz .LBB2129_31
; %bb.26:
	s_mov_b32 s14, 0
	s_waitcnt vmcnt(7)
	v_mov_b32_e32 v2, 0
	s_waitcnt vmcnt(6)
	v_mov_b32_e32 v3, 0
	s_waitcnt vmcnt(0)
.LBB2129_27:                            ; =>This Inner Loop Header: Depth=1
	v_add_u32_e32 v4, s14, v2
	s_add_i32 s14, s14, 8
	s_cmp_lg_u32 s14, 32
	buffer_store_dword v3, v4, s[0:3], 0 offen offset:4
	buffer_store_dword v3, v4, s[0:3], 0 offen
	s_cbranch_scc1 .LBB2129_27
; %bb.28:
	s_mov_b32 s14, 0
	v_mov_b32_e32 v2, 0x90
	v_mov_b32_e32 v3, 0x120
	v_mov_b32_e32 v4, 0
.LBB2129_29:                            ; =>This Inner Loop Header: Depth=1
	v_add_u32_e32 v5, s14, v2
	v_add_u32_e32 v6, s14, v3
	buffer_load_dword v7, v5, s[0:3], 0 offen offset:4
	buffer_load_dword v8, v6, s[0:3], 0 offen offset:36
	buffer_load_dword v9, v5, s[0:3], 0 offen
	buffer_load_dword v12, v6, s[0:3], 0 offen offset:40
                                        ; kill: killed $vgpr5
	v_add_u32_e32 v5, s14, v4
	s_add_i32 s14, s14, 8
	s_cmp_lg_u32 s14, 32
                                        ; kill: killed $vgpr6
	s_waitcnt vmcnt(1)
	v_add_u32_e32 v6, v8, v9
	s_waitcnt vmcnt(0)
	v_add_u32_e32 v7, v12, v7
	buffer_store_dword v7, v5, s[0:3], 0 offen offset:4
	buffer_store_dword v6, v5, s[0:3], 0 offen
	s_cbranch_scc1 .LBB2129_29
; %bb.30:
	buffer_load_dword v2, off, s[0:3], 0
	buffer_load_dword v3, off, s[0:3], 0 offset:4
	buffer_load_dword v4, off, s[0:3], 0 offset:8
	;; [unrolled: 1-line block ×7, first 2 shown]
.LBB2129_31:
	s_or_b64 exec, exec, s[12:13]
	buffer_load_ubyte v12, off, s[0:3], 0 offset:392
	s_waitcnt vmcnt(7)
	buffer_store_dword v3, off, s[0:3], 0 offset:148
	buffer_store_dword v2, off, s[0:3], 0 offset:144
	s_waitcnt vmcnt(7)
	buffer_store_dword v5, off, s[0:3], 0 offset:156
	buffer_store_dword v4, off, s[0:3], 0 offset:152
	;; [unrolled: 3-line block ×4, first 2 shown]
                                        ; implicit-def: $vgpr8_vgpr9
                                        ; implicit-def: $vgpr6_vgpr7
                                        ; implicit-def: $vgpr4_vgpr5
                                        ; implicit-def: $vgpr2_vgpr3
	s_waitcnt vmcnt(8)
	v_cmp_ne_u16_e32 vcc, 0, v12
	s_and_saveexec_b64 s[12:13], vcc
	s_xor_b64 s[12:13], exec, s[12:13]
	s_cbranch_execz .LBB2129_33
; %bb.32:
	buffer_load_dword v2, off, s[0:3], 0 offset:360
	buffer_load_dword v3, off, s[0:3], 0 offset:364
	;; [unrolled: 1-line block ×8, first 2 shown]
.LBB2129_33:
	s_andn2_saveexec_b64 s[12:13], s[12:13]
	s_cbranch_execz .LBB2129_39
; %bb.34:
	s_mov_b32 s14, 0
	s_waitcnt vmcnt(7)
	v_mov_b32_e32 v2, 0
	s_waitcnt vmcnt(6)
	v_mov_b32_e32 v3, 0
	s_waitcnt vmcnt(0)
.LBB2129_35:                            ; =>This Inner Loop Header: Depth=1
	v_add_u32_e32 v4, s14, v2
	s_add_i32 s14, s14, 8
	s_cmp_lg_u32 s14, 32
	buffer_store_dword v3, v4, s[0:3], 0 offen offset:4
	buffer_store_dword v3, v4, s[0:3], 0 offen
	s_cbranch_scc1 .LBB2129_35
; %bb.36:
	s_mov_b32 s14, 0
	v_mov_b32_e32 v2, 0x90
	v_mov_b32_e32 v3, 0x120
	;; [unrolled: 1-line block ×3, first 2 shown]
.LBB2129_37:                            ; =>This Inner Loop Header: Depth=1
	v_add_u32_e32 v5, s14, v2
	v_add_u32_e32 v6, s14, v3
	buffer_load_dword v7, v5, s[0:3], 0 offen offset:4
	buffer_load_dword v8, v6, s[0:3], 0 offen offset:72
	buffer_load_dword v9, v5, s[0:3], 0 offen
	buffer_load_dword v14, v6, s[0:3], 0 offen offset:76
                                        ; kill: killed $vgpr5
	v_add_u32_e32 v5, s14, v4
	s_add_i32 s14, s14, 8
	s_cmp_lg_u32 s14, 32
                                        ; kill: killed $vgpr6
	s_waitcnt vmcnt(1)
	v_add_u32_e32 v6, v8, v9
	s_waitcnt vmcnt(0)
	v_add_u32_e32 v7, v14, v7
	buffer_store_dword v7, v5, s[0:3], 0 offen offset:4
	buffer_store_dword v6, v5, s[0:3], 0 offen
	s_cbranch_scc1 .LBB2129_37
; %bb.38:
	buffer_load_dword v2, off, s[0:3], 0
	buffer_load_dword v3, off, s[0:3], 0 offset:4
	buffer_load_dword v4, off, s[0:3], 0 offset:8
	buffer_load_dword v5, off, s[0:3], 0 offset:12
	buffer_load_dword v6, off, s[0:3], 0 offset:16
	buffer_load_dword v7, off, s[0:3], 0 offset:20
	buffer_load_dword v8, off, s[0:3], 0 offset:24
	buffer_load_dword v9, off, s[0:3], 0 offset:28
.LBB2129_39:
	s_or_b64 exec, exec, s[12:13]
	buffer_load_ushort v14, off, s[0:3], 0 offset:177
	buffer_load_sbyte v15, off, s[0:3], 0 offset:179
	v_or_b32_e32 v11, v12, v11
	s_waitcnt vmcnt(9)
	v_mov_b32_dpp v17, v2 row_shr:1 row_mask:0xf bank_mask:0xf
	v_or_b32_e32 v11, v11, v1
	v_mbcnt_lo_u32_b32 v12, -1, 0
	s_waitcnt vmcnt(8)
	buffer_store_dword v3, off, s[0:3], 0 offset:244
	buffer_store_dword v2, off, s[0:3], 0 offset:240
	s_waitcnt vmcnt(8)
	buffer_store_dword v5, off, s[0:3], 0 offset:252
	buffer_store_dword v4, off, s[0:3], 0 offset:248
	;; [unrolled: 3-line block ×4, first 2 shown]
	v_mov_b32_dpp v18, v3 row_shr:1 row_mask:0xf bank_mask:0xf
	v_mov_b32_dpp v19, v4 row_shr:1 row_mask:0xf bank_mask:0xf
	;; [unrolled: 1-line block ×7, first 2 shown]
	buffer_store_dword v17, off, s[0:3], 0 offset:144
	buffer_store_dword v18, off, s[0:3], 0 offset:148
	;; [unrolled: 1-line block ×8, first 2 shown]
	v_and_b32_e32 v11, 1, v11
	v_mbcnt_hi_u32_b32 v1, -1, v12
	v_and_b32_e32 v12, 15, v1
	v_cmp_ne_u32_e32 vcc, 0, v12
	s_waitcnt vmcnt(17)
	v_lshrrev_b32_e32 v17, 8, v14
	v_lshlrev_b16_e32 v14, 8, v14
	s_waitcnt vmcnt(16)
	v_lshlrev_b16_e32 v15, 8, v15
	v_or_b32_e32 v11, v11, v14
	v_or_b32_sdwa v14, v17, v15 dst_sel:WORD_1 dst_unused:UNUSED_PAD src0_sel:BYTE_0 src1_sel:DWORD
	v_or_b32_sdwa v14, v11, v14 dst_sel:DWORD dst_unused:UNUSED_PAD src0_sel:WORD_0 src1_sel:DWORD
	buffer_store_dword v14, off, s[0:3], 0 offset:272
	s_nop 0
	v_mov_b32_dpp v15, v14 row_shr:1 row_mask:0xf bank_mask:0xf
	buffer_store_dword v15, off, s[0:3], 0 offset:176
	s_and_saveexec_b64 s[12:13], vcc
	s_cbranch_execz .LBB2129_47
; %bb.40:
	v_mov_b32_e32 v17, 0
	v_cmp_eq_u16_sdwa s[16:17], v11, v17 src0_sel:BYTE_0 src1_sel:DWORD
	s_and_saveexec_b64 s[14:15], s[16:17]
	s_cbranch_execz .LBB2129_46
; %bb.41:
	s_mov_b32 s16, 0
	v_mov_b32_e32 v2, 0
.LBB2129_42:                            ; =>This Inner Loop Header: Depth=1
	v_add_u32_e32 v3, s16, v2
	s_add_i32 s16, s16, 8
	s_cmp_lg_u32 s16, 32
	buffer_store_dword v17, v3, s[0:3], 0 offen offset:4
	buffer_store_dword v17, v3, s[0:3], 0 offen
	s_cbranch_scc1 .LBB2129_42
; %bb.43:
	s_mov_b32 s16, 0
	v_mov_b32_e32 v2, 0x90
	v_mov_b32_e32 v3, 0xf0
	;; [unrolled: 1-line block ×3, first 2 shown]
.LBB2129_44:                            ; =>This Inner Loop Header: Depth=1
	v_add_u32_e32 v5, s16, v2
	v_add_u32_e32 v6, s16, v3
	buffer_load_dword v7, v5, s[0:3], 0 offen offset:4
	buffer_load_dword v8, v6, s[0:3], 0 offen
	buffer_load_dword v9, v5, s[0:3], 0 offen
	buffer_load_dword v11, v6, s[0:3], 0 offen offset:4
                                        ; kill: killed $vgpr5
	v_add_u32_e32 v5, s16, v4
	s_add_i32 s16, s16, 8
	s_cmp_lg_u32 s16, 32
                                        ; kill: killed $vgpr6
	s_waitcnt vmcnt(1)
	v_add_u32_e32 v6, v8, v9
	s_waitcnt vmcnt(0)
	v_add_u32_e32 v7, v11, v7
	buffer_store_dword v7, v5, s[0:3], 0 offen offset:4
	buffer_store_dword v6, v5, s[0:3], 0 offen
	s_cbranch_scc1 .LBB2129_44
; %bb.45:
	buffer_load_dword v2, off, s[0:3], 0
	buffer_load_dword v3, off, s[0:3], 0 offset:4
	buffer_load_dword v4, off, s[0:3], 0 offset:8
	;; [unrolled: 1-line block ×7, first 2 shown]
.LBB2129_46:
	s_or_b64 exec, exec, s[14:15]
	v_or_b32_e32 v11, v15, v14
	v_and_b32_e32 v11, 1, v11
	buffer_store_byte v11, off, s[0:3], 0 offset:272
	buffer_load_dword v14, off, s[0:3], 0 offset:272
	s_waitcnt vmcnt(8)
	buffer_store_dword v3, off, s[0:3], 0 offset:244
	buffer_store_dword v2, off, s[0:3], 0 offset:240
	s_waitcnt vmcnt(8)
	buffer_store_dword v5, off, s[0:3], 0 offset:252
	buffer_store_dword v4, off, s[0:3], 0 offset:248
	;; [unrolled: 3-line block ×4, first 2 shown]
	s_waitcnt vmcnt(8)
	v_mov_b32_e32 v11, v14
.LBB2129_47:
	s_or_b64 exec, exec, s[12:13]
	v_mov_b32_dpp v17, v2 row_shr:2 row_mask:0xf bank_mask:0xf
	v_mov_b32_dpp v15, v14 row_shr:2 row_mask:0xf bank_mask:0xf
	v_cmp_lt_u32_e32 vcc, 1, v12
	v_mov_b32_dpp v18, v3 row_shr:2 row_mask:0xf bank_mask:0xf
	v_mov_b32_dpp v19, v4 row_shr:2 row_mask:0xf bank_mask:0xf
	;; [unrolled: 1-line block ×7, first 2 shown]
	buffer_store_dword v17, off, s[0:3], 0 offset:144
	buffer_store_dword v18, off, s[0:3], 0 offset:148
	;; [unrolled: 1-line block ×9, first 2 shown]
	s_and_saveexec_b64 s[14:15], vcc
	s_cbranch_execz .LBB2129_55
; %bb.48:
	v_mov_b32_e32 v14, 0
	s_mov_b32 s16, 0
	v_cmp_eq_u16_sdwa s[36:37], v11, v14 src0_sel:BYTE_0 src1_sel:DWORD
	s_and_saveexec_b64 s[12:13], s[36:37]
	s_cbranch_execz .LBB2129_54
; %bb.49:
	v_mov_b32_e32 v2, 0
.LBB2129_50:                            ; =>This Inner Loop Header: Depth=1
	v_add_u32_e32 v3, s16, v2
	s_add_i32 s16, s16, 8
	s_cmp_lg_u32 s16, 32
	buffer_store_dword v14, v3, s[0:3], 0 offen offset:4
	buffer_store_dword v14, v3, s[0:3], 0 offen
	s_cbranch_scc1 .LBB2129_50
; %bb.51:
	s_mov_b32 s16, 0
	v_mov_b32_e32 v2, 0x90
	v_mov_b32_e32 v3, 0xf0
	;; [unrolled: 1-line block ×3, first 2 shown]
.LBB2129_52:                            ; =>This Inner Loop Header: Depth=1
	v_add_u32_e32 v5, s16, v2
	v_add_u32_e32 v6, s16, v3
	buffer_load_dword v7, v5, s[0:3], 0 offen offset:4
	buffer_load_dword v8, v6, s[0:3], 0 offen
	buffer_load_dword v9, v5, s[0:3], 0 offen
	buffer_load_dword v14, v6, s[0:3], 0 offen offset:4
                                        ; kill: killed $vgpr5
	v_add_u32_e32 v5, s16, v4
	s_add_i32 s16, s16, 8
	s_cmp_lg_u32 s16, 32
                                        ; kill: killed $vgpr6
	s_waitcnt vmcnt(1)
	v_add_u32_e32 v6, v8, v9
	s_waitcnt vmcnt(0)
	v_add_u32_e32 v7, v14, v7
	buffer_store_dword v7, v5, s[0:3], 0 offen offset:4
	buffer_store_dword v6, v5, s[0:3], 0 offen
	s_cbranch_scc1 .LBB2129_52
; %bb.53:
	buffer_load_dword v2, off, s[0:3], 0
	buffer_load_dword v3, off, s[0:3], 0 offset:4
	buffer_load_dword v4, off, s[0:3], 0 offset:8
	;; [unrolled: 1-line block ×7, first 2 shown]
.LBB2129_54:
	s_or_b64 exec, exec, s[12:13]
	v_and_b32_e32 v11, 1, v11
	v_cmp_eq_u32_e32 vcc, 1, v11
	v_and_b32_e32 v11, 1, v15
	v_cmp_eq_u32_e64 s[12:13], 1, v11
	s_or_b64 s[12:13], vcc, s[12:13]
	v_cndmask_b32_e64 v11, 0, 1, s[12:13]
	buffer_store_byte v11, off, s[0:3], 0 offset:272
	buffer_load_dword v14, off, s[0:3], 0 offset:272
	s_waitcnt vmcnt(8)
	buffer_store_dword v3, off, s[0:3], 0 offset:244
	buffer_store_dword v2, off, s[0:3], 0 offset:240
	s_waitcnt vmcnt(8)
	buffer_store_dword v5, off, s[0:3], 0 offset:252
	buffer_store_dword v4, off, s[0:3], 0 offset:248
	;; [unrolled: 3-line block ×4, first 2 shown]
	s_waitcnt vmcnt(8)
	v_mov_b32_e32 v11, v14
.LBB2129_55:
	s_or_b64 exec, exec, s[14:15]
	v_mov_b32_dpp v17, v2 row_shr:4 row_mask:0xf bank_mask:0xf
	v_mov_b32_dpp v15, v14 row_shr:4 row_mask:0xf bank_mask:0xf
	v_cmp_lt_u32_e32 vcc, 3, v12
	v_mov_b32_dpp v18, v3 row_shr:4 row_mask:0xf bank_mask:0xf
	v_mov_b32_dpp v19, v4 row_shr:4 row_mask:0xf bank_mask:0xf
	;; [unrolled: 1-line block ×7, first 2 shown]
	buffer_store_dword v17, off, s[0:3], 0 offset:144
	buffer_store_dword v18, off, s[0:3], 0 offset:148
	;; [unrolled: 1-line block ×9, first 2 shown]
	s_and_saveexec_b64 s[14:15], vcc
	s_cbranch_execz .LBB2129_63
; %bb.56:
	v_mov_b32_e32 v14, 0
	s_mov_b32 s16, 0
	v_cmp_eq_u16_sdwa s[36:37], v11, v14 src0_sel:BYTE_0 src1_sel:DWORD
	s_and_saveexec_b64 s[12:13], s[36:37]
	s_cbranch_execz .LBB2129_62
; %bb.57:
	v_mov_b32_e32 v2, 0
.LBB2129_58:                            ; =>This Inner Loop Header: Depth=1
	v_add_u32_e32 v3, s16, v2
	s_add_i32 s16, s16, 8
	s_cmp_lg_u32 s16, 32
	buffer_store_dword v14, v3, s[0:3], 0 offen offset:4
	buffer_store_dword v14, v3, s[0:3], 0 offen
	s_cbranch_scc1 .LBB2129_58
; %bb.59:
	s_mov_b32 s16, 0
	v_mov_b32_e32 v2, 0x90
	v_mov_b32_e32 v3, 0xf0
	v_mov_b32_e32 v4, 0
.LBB2129_60:                            ; =>This Inner Loop Header: Depth=1
	v_add_u32_e32 v5, s16, v2
	v_add_u32_e32 v6, s16, v3
	buffer_load_dword v7, v5, s[0:3], 0 offen offset:4
	buffer_load_dword v8, v6, s[0:3], 0 offen
	buffer_load_dword v9, v5, s[0:3], 0 offen
	buffer_load_dword v14, v6, s[0:3], 0 offen offset:4
                                        ; kill: killed $vgpr5
	v_add_u32_e32 v5, s16, v4
	s_add_i32 s16, s16, 8
	s_cmp_lg_u32 s16, 32
                                        ; kill: killed $vgpr6
	s_waitcnt vmcnt(1)
	v_add_u32_e32 v6, v8, v9
	s_waitcnt vmcnt(0)
	v_add_u32_e32 v7, v14, v7
	buffer_store_dword v7, v5, s[0:3], 0 offen offset:4
	buffer_store_dword v6, v5, s[0:3], 0 offen
	s_cbranch_scc1 .LBB2129_60
; %bb.61:
	buffer_load_dword v2, off, s[0:3], 0
	buffer_load_dword v3, off, s[0:3], 0 offset:4
	buffer_load_dword v4, off, s[0:3], 0 offset:8
	;; [unrolled: 1-line block ×7, first 2 shown]
.LBB2129_62:
	s_or_b64 exec, exec, s[12:13]
	v_and_b32_e32 v11, 1, v11
	v_cmp_eq_u32_e32 vcc, 1, v11
	v_and_b32_e32 v11, 1, v15
	v_cmp_eq_u32_e64 s[12:13], 1, v11
	s_or_b64 s[12:13], vcc, s[12:13]
	v_cndmask_b32_e64 v11, 0, 1, s[12:13]
	buffer_store_byte v11, off, s[0:3], 0 offset:272
	buffer_load_dword v14, off, s[0:3], 0 offset:272
	s_waitcnt vmcnt(8)
	buffer_store_dword v3, off, s[0:3], 0 offset:244
	buffer_store_dword v2, off, s[0:3], 0 offset:240
	s_waitcnt vmcnt(8)
	buffer_store_dword v5, off, s[0:3], 0 offset:252
	buffer_store_dword v4, off, s[0:3], 0 offset:248
	;; [unrolled: 3-line block ×4, first 2 shown]
	s_waitcnt vmcnt(8)
	v_mov_b32_e32 v11, v14
.LBB2129_63:
	s_or_b64 exec, exec, s[14:15]
	v_mov_b32_dpp v17, v2 row_shr:8 row_mask:0xf bank_mask:0xf
	v_mov_b32_dpp v15, v14 row_shr:8 row_mask:0xf bank_mask:0xf
	v_cmp_lt_u32_e32 vcc, 7, v12
	v_mov_b32_dpp v18, v3 row_shr:8 row_mask:0xf bank_mask:0xf
	v_mov_b32_dpp v19, v4 row_shr:8 row_mask:0xf bank_mask:0xf
	;; [unrolled: 1-line block ×7, first 2 shown]
	buffer_store_dword v17, off, s[0:3], 0 offset:144
	buffer_store_dword v18, off, s[0:3], 0 offset:148
	;; [unrolled: 1-line block ×9, first 2 shown]
	s_and_saveexec_b64 s[14:15], vcc
	s_cbranch_execz .LBB2129_71
; %bb.64:
	v_mov_b32_e32 v12, 0
	s_mov_b32 s16, 0
	v_cmp_eq_u16_sdwa s[36:37], v11, v12 src0_sel:BYTE_0 src1_sel:DWORD
	s_and_saveexec_b64 s[12:13], s[36:37]
	s_cbranch_execz .LBB2129_70
; %bb.65:
	v_mov_b32_e32 v2, 0
.LBB2129_66:                            ; =>This Inner Loop Header: Depth=1
	v_add_u32_e32 v3, s16, v2
	s_add_i32 s16, s16, 8
	s_cmp_lg_u32 s16, 32
	buffer_store_dword v12, v3, s[0:3], 0 offen offset:4
	buffer_store_dword v12, v3, s[0:3], 0 offen
	s_cbranch_scc1 .LBB2129_66
; %bb.67:
	s_mov_b32 s16, 0
	v_mov_b32_e32 v2, 0x90
	v_mov_b32_e32 v3, 0xf0
	;; [unrolled: 1-line block ×3, first 2 shown]
.LBB2129_68:                            ; =>This Inner Loop Header: Depth=1
	v_add_u32_e32 v5, s16, v2
	v_add_u32_e32 v6, s16, v3
	buffer_load_dword v7, v5, s[0:3], 0 offen offset:4
	buffer_load_dword v8, v6, s[0:3], 0 offen
	buffer_load_dword v9, v5, s[0:3], 0 offen
	buffer_load_dword v12, v6, s[0:3], 0 offen offset:4
                                        ; kill: killed $vgpr5
	v_add_u32_e32 v5, s16, v4
	s_add_i32 s16, s16, 8
	s_cmp_lg_u32 s16, 32
                                        ; kill: killed $vgpr6
	s_waitcnt vmcnt(1)
	v_add_u32_e32 v6, v8, v9
	s_waitcnt vmcnt(0)
	v_add_u32_e32 v7, v12, v7
	buffer_store_dword v7, v5, s[0:3], 0 offen offset:4
	buffer_store_dword v6, v5, s[0:3], 0 offen
	s_cbranch_scc1 .LBB2129_68
; %bb.69:
	buffer_load_dword v2, off, s[0:3], 0
	buffer_load_dword v3, off, s[0:3], 0 offset:4
	buffer_load_dword v4, off, s[0:3], 0 offset:8
	buffer_load_dword v5, off, s[0:3], 0 offset:12
	buffer_load_dword v6, off, s[0:3], 0 offset:16
	buffer_load_dword v7, off, s[0:3], 0 offset:20
	buffer_load_dword v8, off, s[0:3], 0 offset:24
	buffer_load_dword v9, off, s[0:3], 0 offset:28
.LBB2129_70:
	s_or_b64 exec, exec, s[12:13]
	v_and_b32_e32 v11, 1, v11
	v_cmp_eq_u32_e32 vcc, 1, v11
	v_and_b32_e32 v11, 1, v15
	v_cmp_eq_u32_e64 s[12:13], 1, v11
	s_or_b64 s[12:13], vcc, s[12:13]
	v_cndmask_b32_e64 v11, 0, 1, s[12:13]
	buffer_store_byte v11, off, s[0:3], 0 offset:272
	buffer_load_dword v14, off, s[0:3], 0 offset:272
	s_waitcnt vmcnt(8)
	buffer_store_dword v3, off, s[0:3], 0 offset:244
	buffer_store_dword v2, off, s[0:3], 0 offset:240
	s_waitcnt vmcnt(8)
	buffer_store_dword v5, off, s[0:3], 0 offset:252
	buffer_store_dword v4, off, s[0:3], 0 offset:248
	;; [unrolled: 3-line block ×4, first 2 shown]
	s_waitcnt vmcnt(8)
	v_mov_b32_e32 v11, v14
.LBB2129_71:
	s_or_b64 exec, exec, s[14:15]
	v_mov_b32_dpp v15, v2 row_bcast:15 row_mask:0xf bank_mask:0xf
	v_mov_b32_dpp v17, v3 row_bcast:15 row_mask:0xf bank_mask:0xf
	;; [unrolled: 1-line block ×9, first 2 shown]
	buffer_store_dword v15, off, s[0:3], 0 offset:144
	buffer_store_dword v17, off, s[0:3], 0 offset:148
	buffer_store_dword v18, off, s[0:3], 0 offset:152
	buffer_store_dword v19, off, s[0:3], 0 offset:156
	buffer_store_dword v20, off, s[0:3], 0 offset:160
	buffer_store_dword v21, off, s[0:3], 0 offset:164
	buffer_store_dword v22, off, s[0:3], 0 offset:168
	buffer_store_dword v23, off, s[0:3], 0 offset:172
	buffer_store_dword v12, off, s[0:3], 0 offset:176
	v_and_b32_e32 v15, 16, v1
	v_cmp_ne_u32_e32 vcc, 0, v15
	s_and_saveexec_b64 s[14:15], vcc
	s_cbranch_execz .LBB2129_79
; %bb.72:
	v_mov_b32_e32 v14, 0
	s_mov_b32 s16, 0
	v_cmp_eq_u16_sdwa s[36:37], v11, v14 src0_sel:BYTE_0 src1_sel:DWORD
	s_and_saveexec_b64 s[12:13], s[36:37]
	s_cbranch_execz .LBB2129_78
; %bb.73:
	v_mov_b32_e32 v2, 0
.LBB2129_74:                            ; =>This Inner Loop Header: Depth=1
	v_add_u32_e32 v3, s16, v2
	s_add_i32 s16, s16, 8
	s_cmp_lg_u32 s16, 32
	buffer_store_dword v14, v3, s[0:3], 0 offen offset:4
	buffer_store_dword v14, v3, s[0:3], 0 offen
	s_cbranch_scc1 .LBB2129_74
; %bb.75:
	s_mov_b32 s16, 0
	v_mov_b32_e32 v2, 0x90
	v_mov_b32_e32 v3, 0xf0
	;; [unrolled: 1-line block ×3, first 2 shown]
.LBB2129_76:                            ; =>This Inner Loop Header: Depth=1
	v_add_u32_e32 v5, s16, v2
	v_add_u32_e32 v6, s16, v3
	buffer_load_dword v7, v5, s[0:3], 0 offen offset:4
	buffer_load_dword v8, v6, s[0:3], 0 offen
	buffer_load_dword v9, v5, s[0:3], 0 offen
	buffer_load_dword v14, v6, s[0:3], 0 offen offset:4
                                        ; kill: killed $vgpr5
	v_add_u32_e32 v5, s16, v4
	s_add_i32 s16, s16, 8
	s_cmp_lg_u32 s16, 32
                                        ; kill: killed $vgpr6
	s_waitcnt vmcnt(1)
	v_add_u32_e32 v6, v8, v9
	s_waitcnt vmcnt(0)
	v_add_u32_e32 v7, v14, v7
	buffer_store_dword v7, v5, s[0:3], 0 offen offset:4
	buffer_store_dword v6, v5, s[0:3], 0 offen
	s_cbranch_scc1 .LBB2129_76
; %bb.77:
	buffer_load_dword v2, off, s[0:3], 0
	buffer_load_dword v3, off, s[0:3], 0 offset:4
	buffer_load_dword v4, off, s[0:3], 0 offset:8
	;; [unrolled: 1-line block ×7, first 2 shown]
.LBB2129_78:
	s_or_b64 exec, exec, s[12:13]
	v_and_b32_e32 v11, 1, v11
	v_cmp_eq_u32_e32 vcc, 1, v11
	v_and_b32_e32 v11, 1, v12
	v_cmp_eq_u32_e64 s[12:13], 1, v11
	s_or_b64 s[12:13], vcc, s[12:13]
	v_cndmask_b32_e64 v11, 0, 1, s[12:13]
	buffer_store_byte v11, off, s[0:3], 0 offset:272
	buffer_load_dword v14, off, s[0:3], 0 offset:272
	s_waitcnt vmcnt(8)
	buffer_store_dword v3, off, s[0:3], 0 offset:244
	buffer_store_dword v2, off, s[0:3], 0 offset:240
	s_waitcnt vmcnt(8)
	buffer_store_dword v5, off, s[0:3], 0 offset:252
	buffer_store_dword v4, off, s[0:3], 0 offset:248
	;; [unrolled: 3-line block ×4, first 2 shown]
	s_waitcnt vmcnt(8)
	v_mov_b32_e32 v11, v14
.LBB2129_79:
	s_or_b64 exec, exec, s[14:15]
	v_mov_b32_dpp v15, v2 row_bcast:31 row_mask:0xf bank_mask:0xf
	v_mov_b32_dpp v12, v14 row_bcast:31 row_mask:0xf bank_mask:0xf
	v_cmp_lt_u32_e32 vcc, 31, v1
	v_mov_b32_dpp v17, v3 row_bcast:31 row_mask:0xf bank_mask:0xf
	v_mov_b32_dpp v18, v4 row_bcast:31 row_mask:0xf bank_mask:0xf
	;; [unrolled: 1-line block ×7, first 2 shown]
	buffer_store_dword v15, off, s[0:3], 0 offset:144
	buffer_store_dword v17, off, s[0:3], 0 offset:148
	;; [unrolled: 1-line block ×9, first 2 shown]
	s_and_saveexec_b64 s[14:15], vcc
	s_cbranch_execz .LBB2129_87
; %bb.80:
	v_mov_b32_e32 v14, 0
	s_mov_b32 s16, 0
	v_cmp_eq_u16_sdwa s[36:37], v11, v14 src0_sel:BYTE_0 src1_sel:DWORD
	s_and_saveexec_b64 s[12:13], s[36:37]
	s_cbranch_execz .LBB2129_86
; %bb.81:
	v_mov_b32_e32 v2, 0
.LBB2129_82:                            ; =>This Inner Loop Header: Depth=1
	v_add_u32_e32 v3, s16, v2
	s_add_i32 s16, s16, 8
	s_cmp_lg_u32 s16, 32
	buffer_store_dword v14, v3, s[0:3], 0 offen offset:4
	buffer_store_dword v14, v3, s[0:3], 0 offen
	s_cbranch_scc1 .LBB2129_82
; %bb.83:
	s_mov_b32 s16, 0
	v_mov_b32_e32 v2, 0x90
	v_mov_b32_e32 v3, 0xf0
	v_mov_b32_e32 v4, 0
.LBB2129_84:                            ; =>This Inner Loop Header: Depth=1
	v_add_u32_e32 v5, s16, v2
	v_add_u32_e32 v6, s16, v3
	buffer_load_dword v7, v5, s[0:3], 0 offen offset:4
	buffer_load_dword v8, v6, s[0:3], 0 offen
	buffer_load_dword v9, v5, s[0:3], 0 offen
	buffer_load_dword v14, v6, s[0:3], 0 offen offset:4
                                        ; kill: killed $vgpr5
	v_add_u32_e32 v5, s16, v4
	s_add_i32 s16, s16, 8
	s_cmp_lg_u32 s16, 32
                                        ; kill: killed $vgpr6
	s_waitcnt vmcnt(1)
	v_add_u32_e32 v6, v8, v9
	s_waitcnt vmcnt(0)
	v_add_u32_e32 v7, v14, v7
	buffer_store_dword v7, v5, s[0:3], 0 offen offset:4
	buffer_store_dword v6, v5, s[0:3], 0 offen
	s_cbranch_scc1 .LBB2129_84
; %bb.85:
	buffer_load_dword v2, off, s[0:3], 0
	buffer_load_dword v3, off, s[0:3], 0 offset:4
	buffer_load_dword v4, off, s[0:3], 0 offset:8
	;; [unrolled: 1-line block ×7, first 2 shown]
.LBB2129_86:
	s_or_b64 exec, exec, s[12:13]
	v_and_b32_e32 v11, 1, v11
	v_cmp_eq_u32_e32 vcc, 1, v11
	v_and_b32_e32 v11, 1, v12
	v_cmp_eq_u32_e64 s[12:13], 1, v11
	s_or_b64 s[12:13], vcc, s[12:13]
	v_cndmask_b32_e64 v11, 0, 1, s[12:13]
	s_waitcnt vmcnt(6)
	buffer_store_dword v3, off, s[0:3], 0 offset:244
	buffer_store_dword v2, off, s[0:3], 0 offset:240
	s_waitcnt vmcnt(6)
	buffer_store_dword v5, off, s[0:3], 0 offset:252
	buffer_store_dword v4, off, s[0:3], 0 offset:248
	;; [unrolled: 3-line block ×4, first 2 shown]
	buffer_store_byte v11, off, s[0:3], 0 offset:272
.LBB2129_87:
	s_or_b64 exec, exec, s[14:15]
	v_or_b32_e32 v14, 63, v10
	v_lshrrev_b32_e32 v12, 6, v10
	v_cmp_eq_u32_e32 vcc, v14, v10
	s_and_saveexec_b64 s[12:13], vcc
	s_cbranch_execz .LBB2129_89
; %bb.88:
	v_mul_u32_u24_e32 v14, 36, v12
	ds_write2_b32 v14, v2, v3 offset1:1
	ds_write2_b32 v14, v4, v5 offset0:2 offset1:3
	ds_write2_b32 v14, v6, v7 offset0:4 offset1:5
	;; [unrolled: 1-line block ×3, first 2 shown]
	ds_write_b8 v14, v11 offset:32
.LBB2129_89:
	s_or_b64 exec, exec, s[12:13]
	v_cmp_gt_u32_e32 vcc, 4, v10
	s_waitcnt lgkmcnt(0)
	s_barrier
	s_and_saveexec_b64 s[14:15], vcc
	s_cbranch_execz .LBB2129_107
; %bb.90:
	v_mul_u32_u24_e32 v11, 36, v10
	ds_read_b32 v14, v11 offset:32
	ds_read2_b32 v[2:3], v11 offset0:6 offset1:7
	ds_read2_b32 v[4:5], v11 offset0:4 offset1:5
	;; [unrolled: 1-line block ×3, first 2 shown]
	ds_read2_b32 v[8:9], v11 offset1:1
	v_and_b32_e32 v15, 3, v1
	s_waitcnt lgkmcnt(4)
	v_mov_b32_dpp v17, v14 row_shr:1 row_mask:0xf bank_mask:0xf
	v_cmp_ne_u32_e32 vcc, 0, v15
	buffer_store_dword v14, off, s[0:3], 0 offset:32
	s_waitcnt lgkmcnt(0)
	v_mov_b32_dpp v18, v8 row_shr:1 row_mask:0xf bank_mask:0xf
	buffer_store_dword v3, off, s[0:3], 0 offset:28
	buffer_store_dword v2, off, s[0:3], 0 offset:24
	;; [unrolled: 1-line block ×7, first 2 shown]
	buffer_store_dword v8, off, s[0:3], 0
	v_mov_b32_dpp v19, v9 row_shr:1 row_mask:0xf bank_mask:0xf
	v_mov_b32_dpp v20, v6 row_shr:1 row_mask:0xf bank_mask:0xf
	;; [unrolled: 1-line block ×7, first 2 shown]
	buffer_store_dword v18, off, s[0:3], 0 offset:144
	buffer_store_dword v19, off, s[0:3], 0 offset:148
	;; [unrolled: 1-line block ×9, first 2 shown]
	s_and_saveexec_b64 s[12:13], vcc
	s_cbranch_execz .LBB2129_98
; %bb.91:
	v_mov_b32_e32 v18, 0
	v_cmp_eq_u16_sdwa s[36:37], v14, v18 src0_sel:BYTE_0 src1_sel:DWORD
	s_and_saveexec_b64 s[16:17], s[36:37]
	s_cbranch_execz .LBB2129_97
; %bb.92:
	s_mov_b32 s36, 0
	v_mov_b32_e32 v2, 36
.LBB2129_93:                            ; =>This Inner Loop Header: Depth=1
	v_add_u32_e32 v3, s36, v2
	s_add_i32 s36, s36, 8
	s_cmp_lg_u32 s36, 32
	buffer_store_dword v18, v3, s[0:3], 0 offen offset:4
	buffer_store_dword v18, v3, s[0:3], 0 offen
	s_cbranch_scc1 .LBB2129_93
; %bb.94:
	s_mov_b32 s36, 0
	v_mov_b32_e32 v2, 0x90
	v_mov_b32_e32 v3, 0
	;; [unrolled: 1-line block ×3, first 2 shown]
.LBB2129_95:                            ; =>This Inner Loop Header: Depth=1
	v_add_u32_e32 v5, s36, v2
	v_add_u32_e32 v6, s36, v3
	buffer_load_dword v7, v5, s[0:3], 0 offen offset:4
	buffer_load_dword v8, v6, s[0:3], 0 offen
	buffer_load_dword v9, v5, s[0:3], 0 offen
	buffer_load_dword v18, v6, s[0:3], 0 offen offset:4
                                        ; kill: killed $vgpr5
	v_add_u32_e32 v5, s36, v4
	s_add_i32 s36, s36, 8
	s_cmp_lg_u32 s36, 32
                                        ; kill: killed $vgpr6
	s_waitcnt vmcnt(1)
	v_add_u32_e32 v6, v8, v9
	s_waitcnt vmcnt(0)
	v_add_u32_e32 v7, v18, v7
	buffer_store_dword v7, v5, s[0:3], 0 offen offset:4
	buffer_store_dword v6, v5, s[0:3], 0 offen
	s_cbranch_scc1 .LBB2129_95
; %bb.96:
	buffer_load_dword v8, off, s[0:3], 0 offset:36
	buffer_load_dword v9, off, s[0:3], 0 offset:40
	;; [unrolled: 1-line block ×8, first 2 shown]
.LBB2129_97:
	s_or_b64 exec, exec, s[16:17]
	v_or_b32_e32 v14, v17, v14
	v_and_b32_e32 v14, 1, v14
	buffer_store_byte v14, off, s[0:3], 0 offset:32
	buffer_load_dword v14, off, s[0:3], 0 offset:32
	s_waitcnt vmcnt(8)
	buffer_store_dword v9, off, s[0:3], 0 offset:4
	buffer_store_dword v8, off, s[0:3], 0
	s_waitcnt vmcnt(8)
	buffer_store_dword v7, off, s[0:3], 0 offset:12
	buffer_store_dword v6, off, s[0:3], 0 offset:8
	s_waitcnt vmcnt(8)
	buffer_store_dword v5, off, s[0:3], 0 offset:20
	buffer_store_dword v4, off, s[0:3], 0 offset:16
	;; [unrolled: 3-line block ×3, first 2 shown]
.LBB2129_98:
	s_or_b64 exec, exec, s[12:13]
	v_mov_b32_dpp v18, v8 row_shr:2 row_mask:0xf bank_mask:0xf
	s_waitcnt vmcnt(8)
	v_mov_b32_dpp v17, v14 row_shr:2 row_mask:0xf bank_mask:0xf
	v_cmp_lt_u32_e32 vcc, 1, v15
	v_mov_b32_dpp v19, v9 row_shr:2 row_mask:0xf bank_mask:0xf
	v_mov_b32_dpp v20, v6 row_shr:2 row_mask:0xf bank_mask:0xf
	;; [unrolled: 1-line block ×7, first 2 shown]
	buffer_store_dword v18, off, s[0:3], 0 offset:144
	buffer_store_dword v19, off, s[0:3], 0 offset:148
	;; [unrolled: 1-line block ×9, first 2 shown]
	s_and_saveexec_b64 s[16:17], vcc
	s_cbranch_execz .LBB2129_106
; %bb.99:
	v_mov_b32_e32 v15, 0
	s_mov_b32 s36, 0
	v_cmp_eq_u16_sdwa s[40:41], v14, v15 src0_sel:BYTE_0 src1_sel:DWORD
	s_and_saveexec_b64 s[12:13], s[40:41]
	s_cbranch_execz .LBB2129_105
; %bb.100:
	v_mov_b32_e32 v2, 36
.LBB2129_101:                           ; =>This Inner Loop Header: Depth=1
	v_add_u32_e32 v3, s36, v2
	s_add_i32 s36, s36, 8
	s_cmp_lg_u32 s36, 32
	buffer_store_dword v15, v3, s[0:3], 0 offen offset:4
	buffer_store_dword v15, v3, s[0:3], 0 offen
	s_cbranch_scc1 .LBB2129_101
; %bb.102:
	s_mov_b32 s36, 0
	v_mov_b32_e32 v2, 0x90
	v_mov_b32_e32 v3, 0
	;; [unrolled: 1-line block ×3, first 2 shown]
.LBB2129_103:                           ; =>This Inner Loop Header: Depth=1
	v_add_u32_e32 v5, s36, v2
	v_add_u32_e32 v6, s36, v3
	buffer_load_dword v7, v5, s[0:3], 0 offen offset:4
	buffer_load_dword v8, v6, s[0:3], 0 offen
	buffer_load_dword v9, v5, s[0:3], 0 offen
	buffer_load_dword v15, v6, s[0:3], 0 offen offset:4
                                        ; kill: killed $vgpr5
	v_add_u32_e32 v5, s36, v4
	s_add_i32 s36, s36, 8
	s_cmp_lg_u32 s36, 32
                                        ; kill: killed $vgpr6
	s_waitcnt vmcnt(1)
	v_add_u32_e32 v6, v8, v9
	s_waitcnt vmcnt(0)
	v_add_u32_e32 v7, v15, v7
	buffer_store_dword v7, v5, s[0:3], 0 offen offset:4
	buffer_store_dword v6, v5, s[0:3], 0 offen
	s_cbranch_scc1 .LBB2129_103
; %bb.104:
	buffer_load_dword v8, off, s[0:3], 0 offset:36
	buffer_load_dword v9, off, s[0:3], 0 offset:40
	;; [unrolled: 1-line block ×8, first 2 shown]
.LBB2129_105:
	s_or_b64 exec, exec, s[12:13]
	v_and_b32_e32 v14, 1, v14
	v_cmp_eq_u32_e32 vcc, 1, v14
	v_and_b32_e32 v14, 1, v17
	v_cmp_eq_u32_e64 s[12:13], 1, v14
	s_or_b64 s[12:13], vcc, s[12:13]
	v_cndmask_b32_e64 v14, 0, 1, s[12:13]
	s_waitcnt vmcnt(6)
	buffer_store_dword v9, off, s[0:3], 0 offset:4
	buffer_store_dword v8, off, s[0:3], 0
	s_waitcnt vmcnt(6)
	buffer_store_dword v7, off, s[0:3], 0 offset:12
	buffer_store_dword v6, off, s[0:3], 0 offset:8
	s_waitcnt vmcnt(6)
	buffer_store_dword v5, off, s[0:3], 0 offset:20
	buffer_store_dword v4, off, s[0:3], 0 offset:16
	s_waitcnt vmcnt(6)
	buffer_store_dword v3, off, s[0:3], 0 offset:28
	buffer_store_dword v2, off, s[0:3], 0 offset:24
.LBB2129_106:
	s_or_b64 exec, exec, s[16:17]
	buffer_load_dword v2, off, s[0:3], 0
	buffer_load_dword v3, off, s[0:3], 0 offset:4
	buffer_load_dword v4, off, s[0:3], 0 offset:8
	;; [unrolled: 1-line block ×7, first 2 shown]
	s_waitcnt vmcnt(4)
	ds_write2_b32 v11, v4, v5 offset0:2 offset1:3
	ds_write2_b32 v11, v2, v3 offset1:1
	s_waitcnt vmcnt(2)
	ds_write2_b32 v11, v6, v7 offset0:6 offset1:7
	s_waitcnt vmcnt(0)
	ds_write2_b32 v11, v8, v9 offset0:4 offset1:5
	ds_write_b8 v11, v14 offset:32
.LBB2129_107:
	s_or_b64 exec, exec, s[14:15]
	v_mov_b32_e32 v2, 0
	s_mov_b32 s12, 0
	v_mov_b32_e32 v3, 0x90
	s_waitcnt lgkmcnt(0)
	s_barrier
	buffer_store_dword v2, off, s[0:3], 0 offset:172
	buffer_store_dword v2, off, s[0:3], 0 offset:168
	;; [unrolled: 1-line block ×9, first 2 shown]
.LBB2129_108:                           ; =>This Inner Loop Header: Depth=1
	v_add_u32_e32 v4, s12, v3
	s_add_i32 s12, s12, 8
	s_cmp_lg_u32 s12, 32
	buffer_store_dword v2, v4, s[0:3], 0 offen offset:4
	buffer_store_dword v2, v4, s[0:3], 0 offen
	s_cbranch_scc1 .LBB2129_108
; %bb.109:
	v_cmp_gt_u32_e32 vcc, 64, v10
	v_cmp_lt_u32_e64 s[12:13], 63, v10
                                        ; implicit-def: $vgpr2_vgpr3
                                        ; implicit-def: $vgpr4_vgpr5
                                        ; implicit-def: $vgpr6_vgpr7
                                        ; implicit-def: $vgpr8_vgpr9
                                        ; implicit-def: $vgpr11
	s_and_saveexec_b64 s[14:15], s[12:13]
	s_xor_b64 s[14:15], exec, s[14:15]
	s_cbranch_execz .LBB2129_119
; %bb.110:
	buffer_load_ubyte v14, off, s[0:3], 0 offset:272
	v_not_b32_e32 v2, 35
	v_mad_u32_u24 v11, v12, 36, v2
	ds_read2_b32 v[2:3], v11 offset0:2 offset1:3
	ds_read2_b32 v[4:5], v11 offset0:4 offset1:5
	ds_read2_b32 v[6:7], v11 offset1:1
	ds_read2_b32 v[8:9], v11 offset0:6 offset1:7
	s_waitcnt lgkmcnt(3)
	buffer_store_dword v3, off, s[0:3], 0 offset:156
	buffer_store_dword v2, off, s[0:3], 0 offset:152
	s_waitcnt lgkmcnt(1)
	buffer_store_dword v7, off, s[0:3], 0 offset:148
	buffer_store_dword v6, off, s[0:3], 0 offset:144
	s_waitcnt lgkmcnt(0)
	buffer_store_dword v9, off, s[0:3], 0 offset:172
	ds_read_u8 v11, v11 offset:32
	buffer_store_dword v8, off, s[0:3], 0 offset:168
	buffer_store_dword v5, off, s[0:3], 0 offset:164
	;; [unrolled: 1-line block ×3, first 2 shown]
                                        ; implicit-def: $vgpr2_vgpr3
                                        ; implicit-def: $vgpr4_vgpr5
                                        ; implicit-def: $vgpr6_vgpr7
                                        ; implicit-def: $vgpr8_vgpr9
	s_waitcnt vmcnt(8)
	v_cmp_ne_u16_e64 s[12:13], 0, v14
	s_and_saveexec_b64 s[16:17], s[12:13]
	s_xor_b64 s[12:13], exec, s[16:17]
	s_cbranch_execz .LBB2129_112
; %bb.111:
	buffer_load_dword v2, off, s[0:3], 0 offset:240
	buffer_load_dword v3, off, s[0:3], 0 offset:244
	;; [unrolled: 1-line block ×8, first 2 shown]
.LBB2129_112:
	s_andn2_saveexec_b64 s[12:13], s[12:13]
	s_cbranch_execz .LBB2129_118
; %bb.113:
	s_mov_b32 s16, 0
	s_waitcnt vmcnt(7)
	v_mov_b32_e32 v2, 0
	s_waitcnt vmcnt(6)
	v_mov_b32_e32 v3, 0
	s_waitcnt vmcnt(0)
.LBB2129_114:                           ; =>This Inner Loop Header: Depth=1
	v_add_u32_e32 v4, s16, v2
	s_add_i32 s16, s16, 8
	s_cmp_lg_u32 s16, 32
	buffer_store_dword v3, v4, s[0:3], 0 offen offset:4
	buffer_store_dword v3, v4, s[0:3], 0 offen
	s_cbranch_scc1 .LBB2129_114
; %bb.115:
	s_mov_b32 s16, 0
	v_mov_b32_e32 v2, 0x90
	v_mov_b32_e32 v3, 0xf0
	;; [unrolled: 1-line block ×3, first 2 shown]
.LBB2129_116:                           ; =>This Inner Loop Header: Depth=1
	v_add_u32_e32 v5, s16, v2
	v_add_u32_e32 v6, s16, v3
	buffer_load_dword v7, v5, s[0:3], 0 offen offset:4
	buffer_load_dword v8, v6, s[0:3], 0 offen
	buffer_load_dword v9, v5, s[0:3], 0 offen
	buffer_load_dword v12, v6, s[0:3], 0 offen offset:4
                                        ; kill: killed $vgpr5
	v_add_u32_e32 v5, s16, v4
	s_add_i32 s16, s16, 8
	s_cmp_lg_u32 s16, 32
                                        ; kill: killed $vgpr6
	s_waitcnt vmcnt(1)
	v_add_u32_e32 v6, v8, v9
	s_waitcnt vmcnt(0)
	v_add_u32_e32 v7, v12, v7
	buffer_store_dword v7, v5, s[0:3], 0 offen offset:4
	buffer_store_dword v6, v5, s[0:3], 0 offen
	s_cbranch_scc1 .LBB2129_116
; %bb.117:
	buffer_load_dword v2, off, s[0:3], 0
	buffer_load_dword v3, off, s[0:3], 0 offset:4
	buffer_load_dword v4, off, s[0:3], 0 offset:8
	;; [unrolled: 1-line block ×7, first 2 shown]
.LBB2129_118:
	s_or_b64 exec, exec, s[12:13]
	s_waitcnt lgkmcnt(0)
	v_or_b32_e32 v12, v14, v11
	v_and_b32_e32 v12, 1, v12
	buffer_store_byte v12, off, s[0:3], 0 offset:272
.LBB2129_119:
	s_andn2_saveexec_b64 s[12:13], s[14:15]
	s_cbranch_execz .LBB2129_121
; %bb.120:
	buffer_load_dword v2, off, s[0:3], 0 offset:240
	buffer_load_dword v3, off, s[0:3], 0 offset:244
	;; [unrolled: 1-line block ×8, first 2 shown]
	v_mov_b32_e32 v11, 0
.LBB2129_121:
	s_or_b64 exec, exec, s[12:13]
	buffer_load_dword v12, off, s[0:3], 0 offset:272
	v_add_u32_e32 v14, -1, v1
	v_and_b32_e32 v15, 64, v1
	v_cmp_lt_i32_e64 s[14:15], v14, v15
	v_cndmask_b32_e64 v14, v14, v1, s[14:15]
	v_lshlrev_b32_e32 v14, 2, v14
	s_waitcnt vmcnt(8)
	ds_bpermute_b32 v2, v14, v2
	s_waitcnt vmcnt(7)
	ds_bpermute_b32 v3, v14, v3
	;; [unrolled: 2-line block ×5, first 2 shown]
	s_waitcnt lgkmcnt(4)
	buffer_store_dword v2, off, s[0:3], 0 offset:240
	s_waitcnt lgkmcnt(3)
	buffer_store_dword v3, off, s[0:3], 0 offset:244
	;; [unrolled: 2-line block ×4, first 2 shown]
	s_waitcnt vmcnt(7)
	ds_bpermute_b32 v7, v14, v7
	s_waitcnt vmcnt(6)
	ds_bpermute_b32 v8, v14, v8
	;; [unrolled: 2-line block ×3, first 2 shown]
	v_cmp_eq_u32_e64 s[12:13], 0, v1
	s_waitcnt vmcnt(4)
	ds_bpermute_b32 v2, v14, v12
	s_waitcnt lgkmcnt(4)
	buffer_store_dword v6, off, s[0:3], 0 offset:256
	s_waitcnt lgkmcnt(3)
	buffer_store_dword v7, off, s[0:3], 0 offset:260
	;; [unrolled: 2-line block ×4, first 2 shown]
	s_waitcnt lgkmcnt(0)
	buffer_store_byte v2, off, s[0:3], 0 offset:272
	v_and_b32_e32 v2, 1, v2
	v_cmp_eq_u32_e64 s[16:17], 1, v2
	s_and_saveexec_b64 s[36:37], s[12:13]
	s_cbranch_execz .LBB2129_123
; %bb.122:
	buffer_load_dword v2, off, s[0:3], 0 offset:156
	buffer_load_dword v3, off, s[0:3], 0 offset:152
	;; [unrolled: 1-line block ×8, first 2 shown]
	v_and_b32_e32 v12, 1, v11
	v_cmp_eq_u32_e64 s[14:15], 1, v12
	s_andn2_b64 s[16:17], s[16:17], exec
	s_and_b64 s[14:15], s[14:15], exec
	s_or_b64 s[16:17], s[16:17], s[14:15]
	buffer_store_byte v11, off, s[0:3], 0 offset:272
	s_waitcnt vmcnt(8)
	buffer_store_dword v2, off, s[0:3], 0 offset:252
	s_waitcnt vmcnt(8)
	buffer_store_dword v3, off, s[0:3], 0 offset:248
	;; [unrolled: 2-line block ×8, first 2 shown]
.LBB2129_123:
	s_or_b64 exec, exec, s[36:37]
	s_and_saveexec_b64 s[36:37], vcc
	s_cbranch_execz .LBB2129_268
; %bb.124:
	v_mov_b32_e32 v11, 0
	ds_read2_b32 v[6:7], v11 offset0:27 offset1:28
	ds_read2_b32 v[8:9], v11 offset0:29 offset1:30
	;; [unrolled: 1-line block ×4, first 2 shown]
	ds_read_b32 v12, v11 offset:140
	s_waitcnt lgkmcnt(4)
	buffer_store_dword v7, off, s[0:3], 0 offset:112
	buffer_store_dword v6, off, s[0:3], 0 offset:108
	s_waitcnt lgkmcnt(3)
	buffer_store_dword v9, off, s[0:3], 0 offset:120
	buffer_store_dword v8, off, s[0:3], 0 offset:116
	;; [unrolled: 3-line block ×4, first 2 shown]
	s_waitcnt lgkmcnt(0)
	buffer_store_dword v12, off, s[0:3], 0 offset:140
	s_and_saveexec_b64 s[14:15], s[12:13]
	s_cbranch_execz .LBB2129_126
; %bb.125:
	s_add_i32 s42, s33, 64
	s_mul_i32 s40, s42, 36
	s_mul_hi_u32 s41, s42, 36
	s_add_u32 s40, s20, s40
	s_addc_u32 s41, s21, s41
	global_store_dwordx4 v11, v[6:9], s[40:41]
	global_store_dwordx4 v11, v[2:5], s[40:41] offset:16
	global_store_byte v11, v12, s[40:41] offset:32
	v_mov_b32_e32 v2, s42
	v_mov_b32_e32 v3, 1
	s_waitcnt vmcnt(0)
	buffer_wbinvl1_vol
	global_store_byte v2, v3, s[24:25]
.LBB2129_126:
	s_or_b64 exec, exec, s[14:15]
	s_mov_b32 s14, 0
	v_mov_b32_e32 v2, 0x48
	buffer_store_dword v11, off, s[0:3], 0 offset:100
	buffer_store_dword v11, off, s[0:3], 0 offset:96
	;; [unrolled: 1-line block ×9, first 2 shown]
.LBB2129_127:                           ; =>This Inner Loop Header: Depth=1
	v_add_u32_e32 v3, s14, v2
	s_add_i32 s14, s14, 8
	s_cmp_lg_u32 s14, 32
	buffer_store_dword v11, v3, s[0:3], 0 offen offset:4
	buffer_store_dword v11, v3, s[0:3], 0 offen
	s_cbranch_scc1 .LBB2129_127
; %bb.128:
	s_mov_b32 s14, 0
	v_mov_b32_e32 v2, 0
	v_mov_b32_e32 v3, 0
	buffer_store_byte v2, off, s[0:3], 0 offset:104
	buffer_store_dword v2, off, s[0:3], 0 offset:28
	buffer_store_dword v2, off, s[0:3], 0 offset:24
	;; [unrolled: 1-line block ×7, first 2 shown]
	buffer_store_dword v2, off, s[0:3], 0
	buffer_store_dword v2, off, s[0:3], 0 offset:32
.LBB2129_129:                           ; =>This Inner Loop Header: Depth=1
	v_add_u32_e32 v4, s14, v3
	s_add_i32 s14, s14, 8
	s_cmp_lg_u32 s14, 32
	buffer_store_dword v2, v4, s[0:3], 0 offen offset:4
	buffer_store_dword v2, v4, s[0:3], 0 offen
	s_cbranch_scc1 .LBB2129_129
; %bb.130:
	v_xad_u32 v12, v1, -1, s33
	v_mov_b32_e32 v2, 0
	buffer_store_byte v2, off, s[0:3], 0 offset:32
	v_add_u32_e32 v2, 64, v12
	global_load_ubyte v11, v2, s[24:25] glc
	s_waitcnt vmcnt(0)
	v_cmp_eq_u16_e32 vcc, 0, v11
	s_and_saveexec_b64 s[14:15], vcc
	s_cbranch_execz .LBB2129_136
; %bb.131:
	v_mov_b32_e32 v3, s25
	v_add_co_u32_e32 v4, vcc, s24, v2
	v_addc_co_u32_e32 v5, vcc, 0, v3, vcc
	s_mov_b32 s42, 1
	s_mov_b64 s[40:41], 0
.LBB2129_132:                           ; =>This Loop Header: Depth=1
                                        ;     Child Loop BB2129_133 Depth 2
	s_max_u32 s43, s42, 1
.LBB2129_133:                           ;   Parent Loop BB2129_132 Depth=1
                                        ; =>  This Inner Loop Header: Depth=2
	s_add_i32 s43, s43, -1
	s_cmp_eq_u32 s43, 0
	s_sleep 1
	s_cbranch_scc0 .LBB2129_133
; %bb.134:                              ;   in Loop: Header=BB2129_132 Depth=1
	global_load_ubyte v11, v[4:5], off glc
	s_cmp_lt_u32 s42, 32
	s_cselect_b64 s[44:45], -1, 0
	s_cmp_lg_u64 s[44:45], 0
	s_addc_u32 s42, s42, 0
	s_waitcnt vmcnt(0)
	v_cmp_ne_u16_e32 vcc, 0, v11
	s_or_b64 s[40:41], vcc, s[40:41]
	s_andn2_b64 exec, exec, s[40:41]
	s_cbranch_execnz .LBB2129_132
; %bb.135:
	s_or_b64 exec, exec, s[40:41]
.LBB2129_136:
	s_or_b64 exec, exec, s[14:15]
	v_mov_b32_e32 v3, s23
	v_mov_b32_e32 v4, s21
	v_cmp_eq_u16_e32 vcc, 1, v11
	v_cndmask_b32_e32 v5, v3, v4, vcc
	v_mov_b32_e32 v3, s22
	v_mov_b32_e32 v4, s20
	v_cndmask_b32_e32 v4, v3, v4, vcc
	v_mad_u64_u32 v[14:15], s[14:15], v2, 36, v[4:5]
	buffer_wbinvl1_vol
	global_load_dwordx4 v[2:5], v[14:15], off
	global_load_dwordx4 v[6:9], v[14:15], off offset:16
	global_load_ubyte v17, v[14:15], off offset:32
                                        ; kill: killed $vgpr14_vgpr15
	v_mov_b32_e32 v14, 0
	s_mov_b32 s14, 0
	v_mov_b32_e32 v15, 0x90
	buffer_store_dword v14, off, s[0:3], 0 offset:176
	s_waitcnt vmcnt(3)
	buffer_store_dword v5, off, s[0:3], 0 offset:12
	buffer_store_dword v4, off, s[0:3], 0 offset:8
	;; [unrolled: 1-line block ×3, first 2 shown]
	buffer_store_dword v2, off, s[0:3], 0
	s_waitcnt vmcnt(6)
	buffer_store_dword v9, off, s[0:3], 0 offset:28
	buffer_store_dword v8, off, s[0:3], 0 offset:24
	;; [unrolled: 1-line block ×4, first 2 shown]
	s_waitcnt vmcnt(9)
	buffer_store_byte v17, off, s[0:3], 0 offset:32
	buffer_store_dword v3, off, s[0:3], 0 offset:76
	buffer_store_dword v2, off, s[0:3], 0 offset:72
	;; [unrolled: 1-line block ×8, first 2 shown]
	buffer_store_byte v17, off, s[0:3], 0 offset:104
.LBB2129_137:                           ; =>This Inner Loop Header: Depth=1
	v_add_u32_e32 v17, s14, v15
	s_add_i32 s14, s14, 8
	s_cmp_lg_u32 s14, 32
	buffer_store_dword v14, v17, s[0:3], 0 offen offset:4
	buffer_store_dword v14, v17, s[0:3], 0 offen
	s_cbranch_scc1 .LBB2129_137
; %bb.138:
	buffer_load_dword v29, off, s[0:3], 0 offset:104
	v_lshlrev_b64 v[14:15], v1, -1
	v_cmp_eq_u16_e32 vcc, 2, v11
	v_and_b32_e32 v17, 63, v1
	v_and_b32_e32 v18, vcc_hi, v15
	v_and_b32_e32 v19, vcc_lo, v14
	v_cmp_ne_u32_e32 vcc, 63, v17
	v_addc_co_u32_e32 v20, vcc, 0, v1, vcc
	v_or_b32_e32 v21, 0x80000000, v18
	v_lshlrev_b32_e32 v18, 2, v20
	v_ffbl_b32_e32 v20, v21
	v_ffbl_b32_e32 v19, v19
	v_add_u32_e32 v20, 32, v20
	ds_bpermute_b32 v21, v18, v2
	ds_bpermute_b32 v25, v18, v6
	v_min_u32_e32 v30, v19, v20
	ds_bpermute_b32 v22, v18, v3
	ds_bpermute_b32 v26, v18, v7
	;; [unrolled: 1-line block ×6, first 2 shown]
	v_cmp_lt_u32_e32 vcc, v17, v30
	s_waitcnt lgkmcnt(7)
	buffer_store_dword v21, off, s[0:3], 0 offset:144
	s_waitcnt lgkmcnt(5)
	buffer_store_dword v22, off, s[0:3], 0 offset:148
	;; [unrolled: 2-line block ×4, first 2 shown]
	buffer_store_dword v25, off, s[0:3], 0 offset:160
	buffer_store_dword v26, off, s[0:3], 0 offset:164
	;; [unrolled: 1-line block ×3, first 2 shown]
	s_waitcnt lgkmcnt(0)
	buffer_store_dword v28, off, s[0:3], 0 offset:172
	s_waitcnt vmcnt(8)
	ds_bpermute_b32 v19, v18, v29
	s_and_saveexec_b64 s[14:15], vcc
	s_cbranch_execz .LBB2129_146
; %bb.139:
	v_mov_b32_e32 v20, 0
	v_cmp_eq_u16_sdwa s[42:43], v29, v20 src0_sel:BYTE_0 src1_sel:DWORD
	s_and_saveexec_b64 s[40:41], s[42:43]
	s_cbranch_execz .LBB2129_145
; %bb.140:
	s_mov_b32 s42, 0
	v_mov_b32_e32 v2, 36
.LBB2129_141:                           ; =>This Inner Loop Header: Depth=1
	v_add_u32_e32 v3, s42, v2
	s_add_i32 s42, s42, 8
	s_cmp_lg_u32 s42, 32
	buffer_store_dword v20, v3, s[0:3], 0 offen offset:4
	buffer_store_dword v20, v3, s[0:3], 0 offen
	s_cbranch_scc1 .LBB2129_141
; %bb.142:
	s_mov_b32 s42, 0
	v_mov_b32_e32 v2, 0x90
	v_mov_b32_e32 v3, 0x48
	;; [unrolled: 1-line block ×3, first 2 shown]
.LBB2129_143:                           ; =>This Inner Loop Header: Depth=1
	v_add_u32_e32 v5, s42, v2
	v_add_u32_e32 v6, s42, v3
	buffer_load_dword v7, v5, s[0:3], 0 offen offset:4
	buffer_load_dword v8, v6, s[0:3], 0 offen
	buffer_load_dword v9, v5, s[0:3], 0 offen
	buffer_load_dword v20, v6, s[0:3], 0 offen offset:4
                                        ; kill: killed $vgpr5
	v_add_u32_e32 v5, s42, v4
	s_add_i32 s42, s42, 8
	s_cmp_lg_u32 s42, 32
                                        ; kill: killed $vgpr6
	s_waitcnt vmcnt(1)
	v_add_u32_e32 v6, v8, v9
	s_waitcnt vmcnt(0)
	v_add_u32_e32 v7, v20, v7
	buffer_store_dword v7, v5, s[0:3], 0 offen offset:4
	buffer_store_dword v6, v5, s[0:3], 0 offen
	s_cbranch_scc1 .LBB2129_143
; %bb.144:
	buffer_load_dword v2, off, s[0:3], 0 offset:36
	buffer_load_dword v3, off, s[0:3], 0 offset:40
	;; [unrolled: 1-line block ×8, first 2 shown]
.LBB2129_145:
	s_or_b64 exec, exec, s[40:41]
	s_waitcnt lgkmcnt(0)
	v_or_b32_e32 v19, v19, v29
	v_and_b32_e32 v19, 1, v19
	buffer_store_byte v19, off, s[0:3], 0 offset:104
	buffer_load_dword v29, off, s[0:3], 0 offset:104
	s_waitcnt vmcnt(8)
	buffer_store_dword v3, off, s[0:3], 0 offset:76
	buffer_store_dword v2, off, s[0:3], 0 offset:72
	s_waitcnt vmcnt(8)
	buffer_store_dword v5, off, s[0:3], 0 offset:84
	buffer_store_dword v4, off, s[0:3], 0 offset:80
	s_waitcnt vmcnt(8)
	buffer_store_dword v7, off, s[0:3], 0 offset:92
	buffer_store_dword v6, off, s[0:3], 0 offset:88
	s_waitcnt vmcnt(8)
	buffer_store_dword v9, off, s[0:3], 0 offset:100
	buffer_store_dword v8, off, s[0:3], 0 offset:96
.LBB2129_146:
	s_or_b64 exec, exec, s[14:15]
	v_cmp_gt_u32_e32 vcc, 62, v17
	v_cndmask_b32_e64 v20, 0, 1, vcc
	v_lshlrev_b32_e32 v20, 1, v20
	v_add_lshl_u32 v20, v20, v1, 2
	ds_bpermute_b32 v22, v20, v2
	s_waitcnt vmcnt(8)
	ds_bpermute_b32 v21, v20, v29
	ds_bpermute_b32 v23, v20, v3
	;; [unrolled: 1-line block ×3, first 2 shown]
	s_waitcnt lgkmcnt(4)
	v_add_u32_e32 v19, 2, v17
	ds_bpermute_b32 v25, v20, v5
	ds_bpermute_b32 v26, v20, v6
	v_cmp_le_u32_e32 vcc, v19, v30
	ds_bpermute_b32 v27, v20, v7
	ds_bpermute_b32 v28, v20, v8
	;; [unrolled: 1-line block ×3, first 2 shown]
	s_waitcnt lgkmcnt(8)
	buffer_store_dword v22, off, s[0:3], 0 offset:144
	s_waitcnt lgkmcnt(6)
	buffer_store_dword v23, off, s[0:3], 0 offset:148
	;; [unrolled: 2-line block ×8, first 2 shown]
	s_and_saveexec_b64 s[40:41], vcc
	s_cbranch_execz .LBB2129_154
; %bb.147:
	v_mov_b32_e32 v22, 0
	s_mov_b32 s42, 0
	v_cmp_eq_u16_sdwa s[44:45], v29, v22 src0_sel:BYTE_0 src1_sel:DWORD
	s_and_saveexec_b64 s[14:15], s[44:45]
	s_cbranch_execz .LBB2129_153
; %bb.148:
	v_mov_b32_e32 v2, 36
.LBB2129_149:                           ; =>This Inner Loop Header: Depth=1
	v_add_u32_e32 v3, s42, v2
	s_add_i32 s42, s42, 8
	s_cmp_lg_u32 s42, 32
	buffer_store_dword v22, v3, s[0:3], 0 offen offset:4
	buffer_store_dword v22, v3, s[0:3], 0 offen
	s_cbranch_scc1 .LBB2129_149
; %bb.150:
	s_mov_b32 s42, 0
	v_mov_b32_e32 v2, 0x90
	v_mov_b32_e32 v3, 0x48
	;; [unrolled: 1-line block ×3, first 2 shown]
.LBB2129_151:                           ; =>This Inner Loop Header: Depth=1
	v_add_u32_e32 v5, s42, v2
	v_add_u32_e32 v6, s42, v3
	buffer_load_dword v7, v5, s[0:3], 0 offen offset:4
	buffer_load_dword v8, v6, s[0:3], 0 offen
	buffer_load_dword v9, v5, s[0:3], 0 offen
	buffer_load_dword v22, v6, s[0:3], 0 offen offset:4
                                        ; kill: killed $vgpr5
	v_add_u32_e32 v5, s42, v4
	s_add_i32 s42, s42, 8
	s_cmp_lg_u32 s42, 32
                                        ; kill: killed $vgpr6
	s_waitcnt vmcnt(1)
	v_add_u32_e32 v6, v8, v9
	s_waitcnt vmcnt(0)
	v_add_u32_e32 v7, v22, v7
	buffer_store_dword v7, v5, s[0:3], 0 offen offset:4
	buffer_store_dword v6, v5, s[0:3], 0 offen
	s_cbranch_scc1 .LBB2129_151
; %bb.152:
	buffer_load_dword v2, off, s[0:3], 0 offset:36
	buffer_load_dword v3, off, s[0:3], 0 offset:40
	;; [unrolled: 1-line block ×8, first 2 shown]
.LBB2129_153:
	s_or_b64 exec, exec, s[14:15]
	v_and_b32_e32 v22, 1, v29
	v_and_b32_e32 v21, 1, v21
	v_cmp_eq_u32_e32 vcc, 1, v22
	v_cmp_eq_u32_e64 s[14:15], 1, v21
	s_or_b64 s[14:15], vcc, s[14:15]
	v_cndmask_b32_e64 v21, 0, 1, s[14:15]
	buffer_store_byte v21, off, s[0:3], 0 offset:104
	buffer_load_dword v29, off, s[0:3], 0 offset:104
	s_waitcnt vmcnt(8)
	buffer_store_dword v3, off, s[0:3], 0 offset:76
	buffer_store_dword v2, off, s[0:3], 0 offset:72
	s_waitcnt vmcnt(8)
	buffer_store_dword v5, off, s[0:3], 0 offset:84
	buffer_store_dword v4, off, s[0:3], 0 offset:80
	;; [unrolled: 3-line block ×4, first 2 shown]
.LBB2129_154:
	s_or_b64 exec, exec, s[40:41]
	v_cmp_gt_u32_e32 vcc, 60, v17
	v_cndmask_b32_e64 v22, 0, 1, vcc
	v_lshlrev_b32_e32 v22, 2, v22
	v_add_lshl_u32 v22, v22, v1, 2
	ds_bpermute_b32 v24, v22, v2
	s_waitcnt vmcnt(8)
	ds_bpermute_b32 v23, v22, v29
	ds_bpermute_b32 v25, v22, v3
	;; [unrolled: 1-line block ×3, first 2 shown]
	v_add_u32_e32 v21, 4, v17
	ds_bpermute_b32 v27, v22, v5
	ds_bpermute_b32 v28, v22, v6
	v_cmp_le_u32_e32 vcc, v21, v30
	ds_bpermute_b32 v31, v22, v7
	ds_bpermute_b32 v32, v22, v8
	;; [unrolled: 1-line block ×3, first 2 shown]
	s_waitcnt lgkmcnt(8)
	buffer_store_dword v24, off, s[0:3], 0 offset:144
	s_waitcnt lgkmcnt(6)
	buffer_store_dword v25, off, s[0:3], 0 offset:148
	;; [unrolled: 2-line block ×8, first 2 shown]
	s_and_saveexec_b64 s[40:41], vcc
	s_cbranch_execz .LBB2129_162
; %bb.155:
	v_mov_b32_e32 v24, 0
	s_mov_b32 s42, 0
	v_cmp_eq_u16_sdwa s[44:45], v29, v24 src0_sel:BYTE_0 src1_sel:DWORD
	s_and_saveexec_b64 s[14:15], s[44:45]
	s_cbranch_execz .LBB2129_161
; %bb.156:
	v_mov_b32_e32 v2, 36
.LBB2129_157:                           ; =>This Inner Loop Header: Depth=1
	v_add_u32_e32 v3, s42, v2
	s_add_i32 s42, s42, 8
	s_cmp_lg_u32 s42, 32
	buffer_store_dword v24, v3, s[0:3], 0 offen offset:4
	buffer_store_dword v24, v3, s[0:3], 0 offen
	s_cbranch_scc1 .LBB2129_157
; %bb.158:
	s_mov_b32 s42, 0
	v_mov_b32_e32 v2, 0x90
	v_mov_b32_e32 v3, 0x48
	;; [unrolled: 1-line block ×3, first 2 shown]
.LBB2129_159:                           ; =>This Inner Loop Header: Depth=1
	v_add_u32_e32 v5, s42, v2
	v_add_u32_e32 v6, s42, v3
	buffer_load_dword v7, v5, s[0:3], 0 offen offset:4
	buffer_load_dword v8, v6, s[0:3], 0 offen
	buffer_load_dword v9, v5, s[0:3], 0 offen
	buffer_load_dword v24, v6, s[0:3], 0 offen offset:4
                                        ; kill: killed $vgpr5
	v_add_u32_e32 v5, s42, v4
	s_add_i32 s42, s42, 8
	s_cmp_lg_u32 s42, 32
                                        ; kill: killed $vgpr6
	s_waitcnt vmcnt(1)
	v_add_u32_e32 v6, v8, v9
	s_waitcnt vmcnt(0)
	v_add_u32_e32 v7, v24, v7
	buffer_store_dword v7, v5, s[0:3], 0 offen offset:4
	buffer_store_dword v6, v5, s[0:3], 0 offen
	s_cbranch_scc1 .LBB2129_159
; %bb.160:
	buffer_load_dword v2, off, s[0:3], 0 offset:36
	buffer_load_dword v3, off, s[0:3], 0 offset:40
	;; [unrolled: 1-line block ×8, first 2 shown]
.LBB2129_161:
	s_or_b64 exec, exec, s[14:15]
	v_and_b32_e32 v24, 1, v29
	v_and_b32_e32 v23, 1, v23
	v_cmp_eq_u32_e32 vcc, 1, v24
	v_cmp_eq_u32_e64 s[14:15], 1, v23
	s_or_b64 s[14:15], vcc, s[14:15]
	v_cndmask_b32_e64 v23, 0, 1, s[14:15]
	buffer_store_byte v23, off, s[0:3], 0 offset:104
	buffer_load_dword v29, off, s[0:3], 0 offset:104
	s_waitcnt vmcnt(8)
	buffer_store_dword v3, off, s[0:3], 0 offset:76
	buffer_store_dword v2, off, s[0:3], 0 offset:72
	s_waitcnt vmcnt(8)
	buffer_store_dword v5, off, s[0:3], 0 offset:84
	buffer_store_dword v4, off, s[0:3], 0 offset:80
	;; [unrolled: 3-line block ×4, first 2 shown]
.LBB2129_162:
	s_or_b64 exec, exec, s[40:41]
	v_cmp_gt_u32_e32 vcc, 56, v17
	v_cndmask_b32_e64 v24, 0, 1, vcc
	v_lshlrev_b32_e32 v24, 3, v24
	v_add_lshl_u32 v24, v24, v1, 2
	ds_bpermute_b32 v26, v24, v2
	s_waitcnt vmcnt(8)
	ds_bpermute_b32 v25, v24, v29
	ds_bpermute_b32 v27, v24, v3
	;; [unrolled: 1-line block ×3, first 2 shown]
	v_add_u32_e32 v23, 8, v17
	ds_bpermute_b32 v31, v24, v5
	ds_bpermute_b32 v32, v24, v6
	v_cmp_le_u32_e32 vcc, v23, v30
	ds_bpermute_b32 v33, v24, v7
	ds_bpermute_b32 v34, v24, v8
	ds_bpermute_b32 v35, v24, v9
	s_waitcnt lgkmcnt(8)
	buffer_store_dword v26, off, s[0:3], 0 offset:144
	s_waitcnt lgkmcnt(6)
	buffer_store_dword v27, off, s[0:3], 0 offset:148
	;; [unrolled: 2-line block ×8, first 2 shown]
	s_and_saveexec_b64 s[40:41], vcc
	s_cbranch_execz .LBB2129_170
; %bb.163:
	v_mov_b32_e32 v26, 0
	s_mov_b32 s42, 0
	v_cmp_eq_u16_sdwa s[44:45], v29, v26 src0_sel:BYTE_0 src1_sel:DWORD
	s_and_saveexec_b64 s[14:15], s[44:45]
	s_cbranch_execz .LBB2129_169
; %bb.164:
	v_mov_b32_e32 v2, 36
.LBB2129_165:                           ; =>This Inner Loop Header: Depth=1
	v_add_u32_e32 v3, s42, v2
	s_add_i32 s42, s42, 8
	s_cmp_lg_u32 s42, 32
	buffer_store_dword v26, v3, s[0:3], 0 offen offset:4
	buffer_store_dword v26, v3, s[0:3], 0 offen
	s_cbranch_scc1 .LBB2129_165
; %bb.166:
	s_mov_b32 s42, 0
	v_mov_b32_e32 v2, 0x90
	v_mov_b32_e32 v3, 0x48
	;; [unrolled: 1-line block ×3, first 2 shown]
.LBB2129_167:                           ; =>This Inner Loop Header: Depth=1
	v_add_u32_e32 v5, s42, v2
	v_add_u32_e32 v6, s42, v3
	buffer_load_dword v7, v5, s[0:3], 0 offen offset:4
	buffer_load_dword v8, v6, s[0:3], 0 offen
	buffer_load_dword v9, v5, s[0:3], 0 offen
	buffer_load_dword v26, v6, s[0:3], 0 offen offset:4
                                        ; kill: killed $vgpr5
	v_add_u32_e32 v5, s42, v4
	s_add_i32 s42, s42, 8
	s_cmp_lg_u32 s42, 32
                                        ; kill: killed $vgpr6
	s_waitcnt vmcnt(1)
	v_add_u32_e32 v6, v8, v9
	s_waitcnt vmcnt(0)
	v_add_u32_e32 v7, v26, v7
	buffer_store_dword v7, v5, s[0:3], 0 offen offset:4
	buffer_store_dword v6, v5, s[0:3], 0 offen
	s_cbranch_scc1 .LBB2129_167
; %bb.168:
	buffer_load_dword v2, off, s[0:3], 0 offset:36
	buffer_load_dword v3, off, s[0:3], 0 offset:40
	;; [unrolled: 1-line block ×8, first 2 shown]
.LBB2129_169:
	s_or_b64 exec, exec, s[14:15]
	v_and_b32_e32 v26, 1, v29
	v_and_b32_e32 v25, 1, v25
	v_cmp_eq_u32_e32 vcc, 1, v26
	v_cmp_eq_u32_e64 s[14:15], 1, v25
	s_or_b64 s[14:15], vcc, s[14:15]
	v_cndmask_b32_e64 v25, 0, 1, s[14:15]
	buffer_store_byte v25, off, s[0:3], 0 offset:104
	buffer_load_dword v29, off, s[0:3], 0 offset:104
	s_waitcnt vmcnt(8)
	buffer_store_dword v3, off, s[0:3], 0 offset:76
	buffer_store_dword v2, off, s[0:3], 0 offset:72
	s_waitcnt vmcnt(8)
	buffer_store_dword v5, off, s[0:3], 0 offset:84
	buffer_store_dword v4, off, s[0:3], 0 offset:80
	;; [unrolled: 3-line block ×4, first 2 shown]
.LBB2129_170:
	s_or_b64 exec, exec, s[40:41]
	v_cmp_gt_u32_e32 vcc, 48, v17
	v_cndmask_b32_e64 v26, 0, 1, vcc
	v_lshlrev_b32_e32 v26, 4, v26
	v_add_lshl_u32 v26, v26, v1, 2
	ds_bpermute_b32 v28, v26, v2
	s_waitcnt vmcnt(8)
	ds_bpermute_b32 v27, v26, v29
	ds_bpermute_b32 v31, v26, v3
	ds_bpermute_b32 v32, v26, v4
	v_add_u32_e32 v25, 16, v17
	ds_bpermute_b32 v33, v26, v5
	ds_bpermute_b32 v34, v26, v6
	v_cmp_le_u32_e32 vcc, v25, v30
	ds_bpermute_b32 v35, v26, v7
	ds_bpermute_b32 v36, v26, v8
	;; [unrolled: 1-line block ×3, first 2 shown]
	s_waitcnt lgkmcnt(8)
	buffer_store_dword v28, off, s[0:3], 0 offset:144
	s_waitcnt lgkmcnt(6)
	buffer_store_dword v31, off, s[0:3], 0 offset:148
	;; [unrolled: 2-line block ×8, first 2 shown]
	s_and_saveexec_b64 s[40:41], vcc
	s_cbranch_execz .LBB2129_178
; %bb.171:
	v_mov_b32_e32 v28, 0
	s_mov_b32 s42, 0
	v_cmp_eq_u16_sdwa s[44:45], v29, v28 src0_sel:BYTE_0 src1_sel:DWORD
	s_and_saveexec_b64 s[14:15], s[44:45]
	s_cbranch_execz .LBB2129_177
; %bb.172:
	v_mov_b32_e32 v2, 36
.LBB2129_173:                           ; =>This Inner Loop Header: Depth=1
	v_add_u32_e32 v3, s42, v2
	s_add_i32 s42, s42, 8
	s_cmp_lg_u32 s42, 32
	buffer_store_dword v28, v3, s[0:3], 0 offen offset:4
	buffer_store_dword v28, v3, s[0:3], 0 offen
	s_cbranch_scc1 .LBB2129_173
; %bb.174:
	s_mov_b32 s42, 0
	v_mov_b32_e32 v2, 0x90
	v_mov_b32_e32 v3, 0x48
	;; [unrolled: 1-line block ×3, first 2 shown]
.LBB2129_175:                           ; =>This Inner Loop Header: Depth=1
	v_add_u32_e32 v5, s42, v2
	v_add_u32_e32 v6, s42, v3
	buffer_load_dword v7, v5, s[0:3], 0 offen offset:4
	buffer_load_dword v8, v6, s[0:3], 0 offen
	buffer_load_dword v9, v5, s[0:3], 0 offen
	buffer_load_dword v28, v6, s[0:3], 0 offen offset:4
                                        ; kill: killed $vgpr5
	v_add_u32_e32 v5, s42, v4
	s_add_i32 s42, s42, 8
	s_cmp_lg_u32 s42, 32
                                        ; kill: killed $vgpr6
	s_waitcnt vmcnt(1)
	v_add_u32_e32 v6, v8, v9
	s_waitcnt vmcnt(0)
	v_add_u32_e32 v7, v28, v7
	buffer_store_dword v7, v5, s[0:3], 0 offen offset:4
	buffer_store_dword v6, v5, s[0:3], 0 offen
	s_cbranch_scc1 .LBB2129_175
; %bb.176:
	buffer_load_dword v2, off, s[0:3], 0 offset:36
	buffer_load_dword v3, off, s[0:3], 0 offset:40
	;; [unrolled: 1-line block ×8, first 2 shown]
.LBB2129_177:
	s_or_b64 exec, exec, s[14:15]
	v_and_b32_e32 v28, 1, v29
	v_and_b32_e32 v27, 1, v27
	v_cmp_eq_u32_e32 vcc, 1, v28
	v_cmp_eq_u32_e64 s[14:15], 1, v27
	s_or_b64 s[14:15], vcc, s[14:15]
	v_cndmask_b32_e64 v27, 0, 1, s[14:15]
	buffer_store_byte v27, off, s[0:3], 0 offset:104
	buffer_load_dword v29, off, s[0:3], 0 offset:104
	s_waitcnt vmcnt(8)
	buffer_store_dword v3, off, s[0:3], 0 offset:76
	buffer_store_dword v2, off, s[0:3], 0 offset:72
	s_waitcnt vmcnt(8)
	buffer_store_dword v5, off, s[0:3], 0 offset:84
	buffer_store_dword v4, off, s[0:3], 0 offset:80
	;; [unrolled: 3-line block ×4, first 2 shown]
.LBB2129_178:
	s_or_b64 exec, exec, s[40:41]
	v_cmp_gt_u32_e32 vcc, 32, v17
	v_cndmask_b32_e64 v28, 0, 1, vcc
	v_lshlrev_b32_e32 v28, 5, v28
	v_add_lshl_u32 v28, v28, v1, 2
	ds_bpermute_b32 v31, v28, v2
	s_waitcnt vmcnt(8)
	ds_bpermute_b32 v1, v28, v29
	ds_bpermute_b32 v32, v28, v3
	;; [unrolled: 1-line block ×3, first 2 shown]
	v_add_u32_e32 v27, 32, v17
	ds_bpermute_b32 v34, v28, v5
	ds_bpermute_b32 v35, v28, v6
	v_cmp_le_u32_e32 vcc, v27, v30
	ds_bpermute_b32 v36, v28, v7
	ds_bpermute_b32 v37, v28, v8
	;; [unrolled: 1-line block ×3, first 2 shown]
	s_waitcnt lgkmcnt(8)
	buffer_store_dword v31, off, s[0:3], 0 offset:144
	s_waitcnt lgkmcnt(6)
	buffer_store_dword v32, off, s[0:3], 0 offset:148
	s_waitcnt lgkmcnt(5)
	buffer_store_dword v33, off, s[0:3], 0 offset:152
	s_waitcnt lgkmcnt(4)
	buffer_store_dword v34, off, s[0:3], 0 offset:156
	s_waitcnt lgkmcnt(3)
	buffer_store_dword v35, off, s[0:3], 0 offset:160
	s_waitcnt lgkmcnt(2)
	buffer_store_dword v36, off, s[0:3], 0 offset:164
	s_waitcnt lgkmcnt(1)
	buffer_store_dword v37, off, s[0:3], 0 offset:168
	s_waitcnt lgkmcnt(0)
	buffer_store_dword v38, off, s[0:3], 0 offset:172
	s_and_saveexec_b64 s[40:41], vcc
	s_cbranch_execz .LBB2129_186
; %bb.179:
	v_mov_b32_e32 v30, 0
	s_mov_b32 s42, 0
	v_cmp_eq_u16_sdwa s[44:45], v29, v30 src0_sel:BYTE_0 src1_sel:DWORD
	s_and_saveexec_b64 s[14:15], s[44:45]
	s_cbranch_execz .LBB2129_185
; %bb.180:
	v_mov_b32_e32 v2, 36
.LBB2129_181:                           ; =>This Inner Loop Header: Depth=1
	v_add_u32_e32 v3, s42, v2
	s_add_i32 s42, s42, 8
	s_cmp_lg_u32 s42, 32
	buffer_store_dword v30, v3, s[0:3], 0 offen offset:4
	buffer_store_dword v30, v3, s[0:3], 0 offen
	s_cbranch_scc1 .LBB2129_181
; %bb.182:
	s_mov_b32 s42, 0
	v_mov_b32_e32 v2, 0x90
	v_mov_b32_e32 v3, 0x48
	;; [unrolled: 1-line block ×3, first 2 shown]
.LBB2129_183:                           ; =>This Inner Loop Header: Depth=1
	v_add_u32_e32 v5, s42, v2
	v_add_u32_e32 v6, s42, v3
	buffer_load_dword v7, v5, s[0:3], 0 offen offset:4
	buffer_load_dword v8, v6, s[0:3], 0 offen
	buffer_load_dword v9, v5, s[0:3], 0 offen
	buffer_load_dword v30, v6, s[0:3], 0 offen offset:4
                                        ; kill: killed $vgpr5
	v_add_u32_e32 v5, s42, v4
	s_add_i32 s42, s42, 8
	s_cmp_lg_u32 s42, 32
                                        ; kill: killed $vgpr6
	s_waitcnt vmcnt(1)
	v_add_u32_e32 v6, v8, v9
	s_waitcnt vmcnt(0)
	v_add_u32_e32 v7, v30, v7
	buffer_store_dword v7, v5, s[0:3], 0 offen offset:4
	buffer_store_dword v6, v5, s[0:3], 0 offen
	s_cbranch_scc1 .LBB2129_183
; %bb.184:
	buffer_load_dword v2, off, s[0:3], 0 offset:36
	buffer_load_dword v3, off, s[0:3], 0 offset:40
	;; [unrolled: 1-line block ×8, first 2 shown]
.LBB2129_185:
	s_or_b64 exec, exec, s[14:15]
	v_and_b32_e32 v29, 1, v29
	v_and_b32_e32 v1, 1, v1
	v_cmp_eq_u32_e32 vcc, 1, v29
	v_cmp_eq_u32_e64 s[14:15], 1, v1
	s_or_b64 s[14:15], vcc, s[14:15]
	v_cndmask_b32_e64 v1, 0, 1, s[14:15]
	s_waitcnt vmcnt(6)
	buffer_store_dword v3, off, s[0:3], 0 offset:76
	buffer_store_dword v2, off, s[0:3], 0 offset:72
	s_waitcnt vmcnt(6)
	buffer_store_dword v5, off, s[0:3], 0 offset:84
	buffer_store_dword v4, off, s[0:3], 0 offset:80
	s_waitcnt vmcnt(6)
	buffer_store_dword v7, off, s[0:3], 0 offset:92
	buffer_store_dword v6, off, s[0:3], 0 offset:88
	s_waitcnt vmcnt(6)
	buffer_store_dword v9, off, s[0:3], 0 offset:100
	buffer_store_dword v8, off, s[0:3], 0 offset:96
	buffer_store_byte v1, off, s[0:3], 0 offset:104
.LBB2129_186:
	s_or_b64 exec, exec, s[40:41]
	buffer_load_dword v1, off, s[0:3], 0 offset:84
	buffer_load_dword v2, off, s[0:3], 0 offset:80
	;; [unrolled: 1-line block ×9, first 2 shown]
	s_load_dwordx2 s[4:5], s[4:5], 0x4
	v_bfe_u32 v32, v0, 10, 10
	v_bfe_u32 v0, v0, 20, 10
	v_mov_b32_e32 v35, 0x6000
	v_mov_b32_e32 v8, 0
	s_waitcnt lgkmcnt(0)
	s_lshr_b32 s4, s4, 16
	s_mul_i32 s4, s4, s5
	v_mul_u32_u24_e32 v32, s5, v32
	v_mul_lo_u32 v36, s4, v10
	v_add3_u32 v0, v36, v32, v0
	v_mov_b32_e32 v9, 0
	v_mov_b32_e32 v29, 0x90
	;; [unrolled: 1-line block ×4, first 2 shown]
	v_lshl_add_u32 v32, v0, 5, v35
	s_waitcnt vmcnt(8)
	buffer_store_dword v1, off, s[0:3], 0 offset:48
	s_waitcnt vmcnt(8)
	buffer_store_dword v2, off, s[0:3], 0 offset:44
	;; [unrolled: 2-line block ×9, first 2 shown]
	v_mov_b32_e32 v33, 2
	s_branch .LBB2129_188
.LBB2129_187:                           ;   in Loop: Header=BB2129_188 Depth=1
                                        ; implicit-def: $vgpr12
                                        ; implicit-def: $vgpr11
	s_cbranch_execnz .LBB2129_256
.LBB2129_188:                           ; =>This Loop Header: Depth=1
                                        ;     Child Loop BB2129_190 Depth 2
                                        ;     Child Loop BB2129_193 Depth 2
                                        ;       Child Loop BB2129_194 Depth 3
                                        ;     Child Loop BB2129_198 Depth 2
                                        ;     Child Loop BB2129_202 Depth 2
	;; [unrolled: 1-line block ×15, first 2 shown]
	v_cmp_ne_u16_sdwa s[4:5], v11, v33 src0_sel:BYTE_0 src1_sel:DWORD
	v_cndmask_b32_e64 v0, 0, 1, s[4:5]
	;;#ASMSTART
	;;#ASMEND
	v_cmp_ne_u32_e32 vcc, 0, v0
	s_cmp_lg_u64 vcc, exec
	s_cbranch_scc1 .LBB2129_187
; %bb.189:                              ;   in Loop: Header=BB2129_188 Depth=1
	s_mov_b32 s4, 0
	buffer_store_dword v8, off, s[0:3], 0 offset:28
	buffer_store_dword v8, off, s[0:3], 0 offset:24
	;; [unrolled: 1-line block ×7, first 2 shown]
	buffer_store_dword v8, off, s[0:3], 0
	buffer_store_dword v8, off, s[0:3], 0 offset:32
.LBB2129_190:                           ;   Parent Loop BB2129_188 Depth=1
                                        ; =>  This Inner Loop Header: Depth=2
	v_add_u32_e32 v0, s4, v9
	s_add_i32 s4, s4, 8
	s_cmp_lg_u32 s4, 32
	buffer_store_dword v8, v0, s[0:3], 0 offen offset:4
	buffer_store_dword v8, v0, s[0:3], 0 offen
	s_cbranch_scc1 .LBB2129_190
; %bb.191:                              ;   in Loop: Header=BB2129_188 Depth=1
	buffer_store_byte v8, off, s[0:3], 0 offset:32
	global_load_ubyte v11, v12, s[24:25] glc
	s_waitcnt vmcnt(0)
	v_cmp_eq_u16_e32 vcc, 0, v11
	s_and_saveexec_b64 s[4:5], vcc
	s_cbranch_execz .LBB2129_197
; %bb.192:                              ;   in Loop: Header=BB2129_188 Depth=1
	v_mov_b32_e32 v1, s25
	v_add_co_u32_e32 v0, vcc, s24, v12
	v_addc_co_u32_e32 v1, vcc, 0, v1, vcc
	s_mov_b32 s40, 1
	s_mov_b64 s[14:15], 0
.LBB2129_193:                           ;   Parent Loop BB2129_188 Depth=1
                                        ; =>  This Loop Header: Depth=2
                                        ;       Child Loop BB2129_194 Depth 3
	s_max_u32 s41, s40, 1
.LBB2129_194:                           ;   Parent Loop BB2129_188 Depth=1
                                        ;     Parent Loop BB2129_193 Depth=2
                                        ; =>    This Inner Loop Header: Depth=3
	s_add_i32 s41, s41, -1
	s_cmp_eq_u32 s41, 0
	s_sleep 1
	s_cbranch_scc0 .LBB2129_194
; %bb.195:                              ;   in Loop: Header=BB2129_193 Depth=2
	global_load_ubyte v11, v[0:1], off glc
	s_cmp_lt_u32 s40, 32
	s_cselect_b64 s[42:43], -1, 0
	s_cmp_lg_u64 s[42:43], 0
	s_addc_u32 s40, s40, 0
	s_waitcnt vmcnt(0)
	v_cmp_ne_u16_e32 vcc, 0, v11
	s_or_b64 s[14:15], vcc, s[14:15]
	s_andn2_b64 exec, exec, s[14:15]
	s_cbranch_execnz .LBB2129_193
; %bb.196:                              ;   in Loop: Header=BB2129_188 Depth=1
	s_or_b64 exec, exec, s[14:15]
.LBB2129_197:                           ;   in Loop: Header=BB2129_188 Depth=1
	s_or_b64 exec, exec, s[4:5]
	v_mov_b32_e32 v0, s23
	v_mov_b32_e32 v1, s21
	v_cmp_eq_u16_e32 vcc, 1, v11
	v_cndmask_b32_e32 v1, v0, v1, vcc
	v_mov_b32_e32 v0, s22
	v_mov_b32_e32 v2, s20
	v_cndmask_b32_e32 v0, v0, v2, vcc
	v_mad_u64_u32 v[34:35], s[4:5], v12, 36, v[0:1]
	buffer_wbinvl1_vol
	global_load_dwordx4 v[0:3], v[34:35], off
	global_load_dwordx4 v[4:7], v[34:35], off offset:16
	global_load_ubyte v36, v[34:35], off offset:32
	s_mov_b32 s4, 0
                                        ; kill: killed $vgpr34_vgpr35
	buffer_store_dword v8, off, s[0:3], 0 offset:176
	s_waitcnt vmcnt(3)
	buffer_store_dword v3, off, s[0:3], 0 offset:12
	buffer_store_dword v2, off, s[0:3], 0 offset:8
	;; [unrolled: 1-line block ×3, first 2 shown]
	buffer_store_dword v0, off, s[0:3], 0
	s_waitcnt vmcnt(6)
	buffer_store_dword v7, off, s[0:3], 0 offset:28
	buffer_store_dword v6, off, s[0:3], 0 offset:24
	;; [unrolled: 1-line block ×4, first 2 shown]
	s_waitcnt vmcnt(9)
	buffer_store_byte v36, off, s[0:3], 0 offset:32
	buffer_store_dword v1, off, s[0:3], 0 offset:76
	buffer_store_dword v0, off, s[0:3], 0 offset:72
	;; [unrolled: 1-line block ×8, first 2 shown]
	buffer_store_byte v36, off, s[0:3], 0 offset:104
.LBB2129_198:                           ;   Parent Loop BB2129_188 Depth=1
                                        ; =>  This Inner Loop Header: Depth=2
	v_add_u32_e32 v34, s4, v29
	s_add_i32 s4, s4, 8
	s_cmp_lg_u32 s4, 32
	buffer_store_dword v8, v34, s[0:3], 0 offen offset:4
	buffer_store_dword v8, v34, s[0:3], 0 offen
	s_cbranch_scc1 .LBB2129_198
; %bb.199:                              ;   in Loop: Header=BB2129_188 Depth=1
	buffer_load_dword v35, off, s[0:3], 0 offset:104
	ds_bpermute_b32 v36, v18, v0
	ds_bpermute_b32 v37, v18, v1
	;; [unrolled: 1-line block ×3, first 2 shown]
	v_cmp_eq_u16_e32 vcc, 2, v11
	ds_bpermute_b32 v39, v18, v3
	v_and_b32_e32 v34, vcc_hi, v15
	ds_bpermute_b32 v40, v18, v4
	v_or_b32_e32 v34, 0x80000000, v34
	s_waitcnt lgkmcnt(4)
	buffer_store_dword v36, off, s[0:3], 0 offset:144
	s_waitcnt lgkmcnt(3)
	buffer_store_dword v37, off, s[0:3], 0 offset:148
	;; [unrolled: 2-line block ×4, first 2 shown]
	ds_bpermute_b32 v41, v18, v5
	v_and_b32_e32 v44, vcc_lo, v14
	v_ffbl_b32_e32 v34, v34
	ds_bpermute_b32 v42, v18, v6
	v_ffbl_b32_e32 v44, v44
	v_add_u32_e32 v34, 32, v34
	ds_bpermute_b32 v43, v18, v7
	v_min_u32_e32 v34, v44, v34
	v_cmp_lt_u32_e32 vcc, v17, v34
	s_waitcnt lgkmcnt(3)
	buffer_store_dword v40, off, s[0:3], 0 offset:160
	s_waitcnt lgkmcnt(2)
	buffer_store_dword v41, off, s[0:3], 0 offset:164
	;; [unrolled: 2-line block ×4, first 2 shown]
	s_waitcnt vmcnt(8)
	ds_bpermute_b32 v36, v18, v35
	s_and_saveexec_b64 s[4:5], vcc
	s_cbranch_execz .LBB2129_207
; %bb.200:                              ;   in Loop: Header=BB2129_188 Depth=1
	v_cmp_eq_u16_sdwa s[40:41], v35, v8 src0_sel:BYTE_0 src1_sel:DWORD
	s_and_saveexec_b64 s[14:15], s[40:41]
	s_cbranch_execz .LBB2129_206
; %bb.201:                              ;   in Loop: Header=BB2129_188 Depth=1
	s_mov_b32 s40, 0
.LBB2129_202:                           ;   Parent Loop BB2129_188 Depth=1
                                        ; =>  This Inner Loop Header: Depth=2
	v_add_u32_e32 v0, s40, v32
	s_add_i32 s40, s40, 8
	s_cmp_lg_u32 s40, 32
	ds_write2_b32 v0, v8, v8 offset1:1
	s_cbranch_scc1 .LBB2129_202
; %bb.203:                              ;   in Loop: Header=BB2129_188 Depth=1
	s_mov_b32 s40, 0
.LBB2129_204:                           ;   Parent Loop BB2129_188 Depth=1
                                        ; =>  This Inner Loop Header: Depth=2
	v_add_u32_e32 v0, s40, v29
	v_add_u32_e32 v1, s40, v30
	buffer_load_dword v2, v0, s[0:3], 0 offen offset:4
	buffer_load_dword v3, v0, s[0:3], 0 offen
	buffer_load_dword v4, v1, s[0:3], 0 offen offset:4
	buffer_load_dword v5, v1, s[0:3], 0 offen
                                        ; kill: killed $vgpr0
	v_add_u32_e32 v0, s40, v32
	s_add_i32 s40, s40, 8
                                        ; kill: killed $vgpr1
	s_cmp_lg_u32 s40, 32
	s_waitcnt vmcnt(1)
	v_add_u32_e32 v1, v4, v2
	s_waitcnt vmcnt(0)
	v_add_u32_e32 v2, v5, v3
	ds_write2_b32 v0, v2, v1 offset1:1
	s_cbranch_scc1 .LBB2129_204
; %bb.205:                              ;   in Loop: Header=BB2129_188 Depth=1
	ds_read2_b32 v[0:1], v32 offset1:1
	ds_read2_b32 v[2:3], v32 offset0:2 offset1:3
	ds_read2_b32 v[4:5], v32 offset0:4 offset1:5
	;; [unrolled: 1-line block ×3, first 2 shown]
.LBB2129_206:                           ;   in Loop: Header=BB2129_188 Depth=1
	s_or_b64 exec, exec, s[14:15]
	s_waitcnt lgkmcnt(0)
	v_or_b32_e32 v35, v36, v35
	v_and_b32_e32 v35, 1, v35
	buffer_store_byte v35, off, s[0:3], 0 offset:104
	buffer_load_dword v35, off, s[0:3], 0 offset:104
	s_nop 0
	buffer_store_dword v1, off, s[0:3], 0 offset:76
	buffer_store_dword v0, off, s[0:3], 0 offset:72
	;; [unrolled: 1-line block ×8, first 2 shown]
.LBB2129_207:                           ;   in Loop: Header=BB2129_188 Depth=1
	s_or_b64 exec, exec, s[4:5]
	ds_bpermute_b32 v37, v20, v0
	s_waitcnt vmcnt(8) lgkmcnt(1)
	ds_bpermute_b32 v36, v20, v35
	ds_bpermute_b32 v38, v20, v1
	;; [unrolled: 1-line block ×5, first 2 shown]
	v_cmp_le_u32_e32 vcc, v19, v34
	ds_bpermute_b32 v42, v20, v5
	ds_bpermute_b32 v43, v20, v6
	;; [unrolled: 1-line block ×3, first 2 shown]
	s_waitcnt lgkmcnt(8)
	buffer_store_dword v37, off, s[0:3], 0 offset:144
	s_waitcnt lgkmcnt(6)
	buffer_store_dword v38, off, s[0:3], 0 offset:148
	;; [unrolled: 2-line block ×8, first 2 shown]
	s_and_saveexec_b64 s[14:15], vcc
	s_cbranch_execz .LBB2129_215
; %bb.208:                              ;   in Loop: Header=BB2129_188 Depth=1
	v_cmp_eq_u16_sdwa s[40:41], v35, v8 src0_sel:BYTE_0 src1_sel:DWORD
	s_and_saveexec_b64 s[4:5], s[40:41]
	s_cbranch_execz .LBB2129_214
; %bb.209:                              ;   in Loop: Header=BB2129_188 Depth=1
	s_mov_b32 s40, 0
.LBB2129_210:                           ;   Parent Loop BB2129_188 Depth=1
                                        ; =>  This Inner Loop Header: Depth=2
	v_add_u32_e32 v0, s40, v32
	s_add_i32 s40, s40, 8
	s_cmp_lg_u32 s40, 32
	ds_write2_b32 v0, v8, v8 offset1:1
	s_cbranch_scc1 .LBB2129_210
; %bb.211:                              ;   in Loop: Header=BB2129_188 Depth=1
	s_mov_b32 s40, 0
.LBB2129_212:                           ;   Parent Loop BB2129_188 Depth=1
                                        ; =>  This Inner Loop Header: Depth=2
	v_add_u32_e32 v0, s40, v29
	v_add_u32_e32 v1, s40, v30
	buffer_load_dword v2, v0, s[0:3], 0 offen offset:4
	buffer_load_dword v3, v0, s[0:3], 0 offen
	buffer_load_dword v4, v1, s[0:3], 0 offen offset:4
	buffer_load_dword v5, v1, s[0:3], 0 offen
                                        ; kill: killed $vgpr0
	v_add_u32_e32 v0, s40, v32
	s_add_i32 s40, s40, 8
                                        ; kill: killed $vgpr1
	s_cmp_lg_u32 s40, 32
	s_waitcnt vmcnt(1)
	v_add_u32_e32 v1, v4, v2
	s_waitcnt vmcnt(0)
	v_add_u32_e32 v2, v5, v3
	ds_write2_b32 v0, v2, v1 offset1:1
	s_cbranch_scc1 .LBB2129_212
; %bb.213:                              ;   in Loop: Header=BB2129_188 Depth=1
	ds_read2_b32 v[0:1], v32 offset1:1
	ds_read2_b32 v[2:3], v32 offset0:2 offset1:3
	ds_read2_b32 v[4:5], v32 offset0:4 offset1:5
	;; [unrolled: 1-line block ×3, first 2 shown]
.LBB2129_214:                           ;   in Loop: Header=BB2129_188 Depth=1
	s_or_b64 exec, exec, s[4:5]
	v_and_b32_e32 v35, 1, v35
	v_cmp_eq_u32_e32 vcc, 1, v35
	v_and_b32_e32 v35, 1, v36
	v_cmp_eq_u32_e64 s[4:5], 1, v35
	s_or_b64 s[4:5], vcc, s[4:5]
	v_cndmask_b32_e64 v35, 0, 1, s[4:5]
	buffer_store_byte v35, off, s[0:3], 0 offset:104
	buffer_load_dword v35, off, s[0:3], 0 offset:104
	s_waitcnt lgkmcnt(3)
	buffer_store_dword v1, off, s[0:3], 0 offset:76
	buffer_store_dword v0, off, s[0:3], 0 offset:72
	s_waitcnt lgkmcnt(2)
	buffer_store_dword v3, off, s[0:3], 0 offset:84
	buffer_store_dword v2, off, s[0:3], 0 offset:80
	;; [unrolled: 3-line block ×4, first 2 shown]
.LBB2129_215:                           ;   in Loop: Header=BB2129_188 Depth=1
	s_or_b64 exec, exec, s[14:15]
	ds_bpermute_b32 v37, v22, v0
	s_waitcnt vmcnt(8)
	ds_bpermute_b32 v36, v22, v35
	ds_bpermute_b32 v38, v22, v1
	;; [unrolled: 1-line block ×5, first 2 shown]
	v_cmp_le_u32_e32 vcc, v21, v34
	ds_bpermute_b32 v42, v22, v5
	ds_bpermute_b32 v43, v22, v6
	;; [unrolled: 1-line block ×3, first 2 shown]
	s_waitcnt lgkmcnt(8)
	buffer_store_dword v37, off, s[0:3], 0 offset:144
	s_waitcnt lgkmcnt(6)
	buffer_store_dword v38, off, s[0:3], 0 offset:148
	;; [unrolled: 2-line block ×8, first 2 shown]
	s_and_saveexec_b64 s[14:15], vcc
	s_cbranch_execz .LBB2129_223
; %bb.216:                              ;   in Loop: Header=BB2129_188 Depth=1
	v_cmp_eq_u16_sdwa s[40:41], v35, v8 src0_sel:BYTE_0 src1_sel:DWORD
	s_and_saveexec_b64 s[4:5], s[40:41]
	s_cbranch_execz .LBB2129_222
; %bb.217:                              ;   in Loop: Header=BB2129_188 Depth=1
	s_mov_b32 s40, 0
.LBB2129_218:                           ;   Parent Loop BB2129_188 Depth=1
                                        ; =>  This Inner Loop Header: Depth=2
	v_add_u32_e32 v0, s40, v32
	s_add_i32 s40, s40, 8
	s_cmp_lg_u32 s40, 32
	ds_write2_b32 v0, v8, v8 offset1:1
	s_cbranch_scc1 .LBB2129_218
; %bb.219:                              ;   in Loop: Header=BB2129_188 Depth=1
	s_mov_b32 s40, 0
.LBB2129_220:                           ;   Parent Loop BB2129_188 Depth=1
                                        ; =>  This Inner Loop Header: Depth=2
	v_add_u32_e32 v0, s40, v29
	v_add_u32_e32 v1, s40, v30
	buffer_load_dword v2, v0, s[0:3], 0 offen offset:4
	buffer_load_dword v3, v0, s[0:3], 0 offen
	buffer_load_dword v4, v1, s[0:3], 0 offen offset:4
	buffer_load_dword v5, v1, s[0:3], 0 offen
                                        ; kill: killed $vgpr0
	v_add_u32_e32 v0, s40, v32
	s_add_i32 s40, s40, 8
                                        ; kill: killed $vgpr1
	s_cmp_lg_u32 s40, 32
	s_waitcnt vmcnt(1)
	v_add_u32_e32 v1, v4, v2
	s_waitcnt vmcnt(0)
	v_add_u32_e32 v2, v5, v3
	ds_write2_b32 v0, v2, v1 offset1:1
	s_cbranch_scc1 .LBB2129_220
; %bb.221:                              ;   in Loop: Header=BB2129_188 Depth=1
	ds_read2_b32 v[0:1], v32 offset1:1
	ds_read2_b32 v[2:3], v32 offset0:2 offset1:3
	ds_read2_b32 v[4:5], v32 offset0:4 offset1:5
	;; [unrolled: 1-line block ×3, first 2 shown]
.LBB2129_222:                           ;   in Loop: Header=BB2129_188 Depth=1
	s_or_b64 exec, exec, s[4:5]
	v_and_b32_e32 v35, 1, v35
	v_cmp_eq_u32_e32 vcc, 1, v35
	v_and_b32_e32 v35, 1, v36
	v_cmp_eq_u32_e64 s[4:5], 1, v35
	s_or_b64 s[4:5], vcc, s[4:5]
	v_cndmask_b32_e64 v35, 0, 1, s[4:5]
	buffer_store_byte v35, off, s[0:3], 0 offset:104
	buffer_load_dword v35, off, s[0:3], 0 offset:104
	s_waitcnt lgkmcnt(3)
	buffer_store_dword v1, off, s[0:3], 0 offset:76
	buffer_store_dword v0, off, s[0:3], 0 offset:72
	s_waitcnt lgkmcnt(2)
	buffer_store_dword v3, off, s[0:3], 0 offset:84
	buffer_store_dword v2, off, s[0:3], 0 offset:80
	;; [unrolled: 3-line block ×4, first 2 shown]
.LBB2129_223:                           ;   in Loop: Header=BB2129_188 Depth=1
	s_or_b64 exec, exec, s[14:15]
	ds_bpermute_b32 v37, v24, v0
	s_waitcnt vmcnt(8)
	ds_bpermute_b32 v36, v24, v35
	ds_bpermute_b32 v38, v24, v1
	;; [unrolled: 1-line block ×5, first 2 shown]
	v_cmp_le_u32_e32 vcc, v23, v34
	ds_bpermute_b32 v42, v24, v5
	ds_bpermute_b32 v43, v24, v6
	;; [unrolled: 1-line block ×3, first 2 shown]
	s_waitcnt lgkmcnt(8)
	buffer_store_dword v37, off, s[0:3], 0 offset:144
	s_waitcnt lgkmcnt(6)
	buffer_store_dword v38, off, s[0:3], 0 offset:148
	;; [unrolled: 2-line block ×8, first 2 shown]
	s_and_saveexec_b64 s[14:15], vcc
	s_cbranch_execz .LBB2129_231
; %bb.224:                              ;   in Loop: Header=BB2129_188 Depth=1
	v_cmp_eq_u16_sdwa s[40:41], v35, v8 src0_sel:BYTE_0 src1_sel:DWORD
	s_and_saveexec_b64 s[4:5], s[40:41]
	s_cbranch_execz .LBB2129_230
; %bb.225:                              ;   in Loop: Header=BB2129_188 Depth=1
	s_mov_b32 s40, 0
.LBB2129_226:                           ;   Parent Loop BB2129_188 Depth=1
                                        ; =>  This Inner Loop Header: Depth=2
	v_add_u32_e32 v0, s40, v32
	s_add_i32 s40, s40, 8
	s_cmp_lg_u32 s40, 32
	ds_write2_b32 v0, v8, v8 offset1:1
	s_cbranch_scc1 .LBB2129_226
; %bb.227:                              ;   in Loop: Header=BB2129_188 Depth=1
	s_mov_b32 s40, 0
.LBB2129_228:                           ;   Parent Loop BB2129_188 Depth=1
                                        ; =>  This Inner Loop Header: Depth=2
	v_add_u32_e32 v0, s40, v29
	v_add_u32_e32 v1, s40, v30
	buffer_load_dword v2, v0, s[0:3], 0 offen offset:4
	buffer_load_dword v3, v0, s[0:3], 0 offen
	buffer_load_dword v4, v1, s[0:3], 0 offen offset:4
	buffer_load_dword v5, v1, s[0:3], 0 offen
                                        ; kill: killed $vgpr0
	v_add_u32_e32 v0, s40, v32
	s_add_i32 s40, s40, 8
                                        ; kill: killed $vgpr1
	s_cmp_lg_u32 s40, 32
	s_waitcnt vmcnt(1)
	v_add_u32_e32 v1, v4, v2
	s_waitcnt vmcnt(0)
	v_add_u32_e32 v2, v5, v3
	ds_write2_b32 v0, v2, v1 offset1:1
	s_cbranch_scc1 .LBB2129_228
; %bb.229:                              ;   in Loop: Header=BB2129_188 Depth=1
	ds_read2_b32 v[0:1], v32 offset1:1
	ds_read2_b32 v[2:3], v32 offset0:2 offset1:3
	ds_read2_b32 v[4:5], v32 offset0:4 offset1:5
	;; [unrolled: 1-line block ×3, first 2 shown]
.LBB2129_230:                           ;   in Loop: Header=BB2129_188 Depth=1
	s_or_b64 exec, exec, s[4:5]
	v_and_b32_e32 v35, 1, v35
	v_cmp_eq_u32_e32 vcc, 1, v35
	v_and_b32_e32 v35, 1, v36
	v_cmp_eq_u32_e64 s[4:5], 1, v35
	s_or_b64 s[4:5], vcc, s[4:5]
	v_cndmask_b32_e64 v35, 0, 1, s[4:5]
	buffer_store_byte v35, off, s[0:3], 0 offset:104
	buffer_load_dword v35, off, s[0:3], 0 offset:104
	s_waitcnt lgkmcnt(3)
	buffer_store_dword v1, off, s[0:3], 0 offset:76
	buffer_store_dword v0, off, s[0:3], 0 offset:72
	s_waitcnt lgkmcnt(2)
	buffer_store_dword v3, off, s[0:3], 0 offset:84
	buffer_store_dword v2, off, s[0:3], 0 offset:80
	s_waitcnt lgkmcnt(1)
	buffer_store_dword v5, off, s[0:3], 0 offset:92
	buffer_store_dword v4, off, s[0:3], 0 offset:88
	s_waitcnt lgkmcnt(0)
	buffer_store_dword v7, off, s[0:3], 0 offset:100
	buffer_store_dword v6, off, s[0:3], 0 offset:96
.LBB2129_231:                           ;   in Loop: Header=BB2129_188 Depth=1
	s_or_b64 exec, exec, s[14:15]
	ds_bpermute_b32 v37, v26, v0
	s_waitcnt vmcnt(8)
	ds_bpermute_b32 v36, v26, v35
	ds_bpermute_b32 v38, v26, v1
	;; [unrolled: 1-line block ×5, first 2 shown]
	v_cmp_le_u32_e32 vcc, v25, v34
	ds_bpermute_b32 v42, v26, v5
	ds_bpermute_b32 v43, v26, v6
	;; [unrolled: 1-line block ×3, first 2 shown]
	s_waitcnt lgkmcnt(8)
	buffer_store_dword v37, off, s[0:3], 0 offset:144
	s_waitcnt lgkmcnt(6)
	buffer_store_dword v38, off, s[0:3], 0 offset:148
	;; [unrolled: 2-line block ×8, first 2 shown]
	s_and_saveexec_b64 s[14:15], vcc
	s_cbranch_execz .LBB2129_239
; %bb.232:                              ;   in Loop: Header=BB2129_188 Depth=1
	v_cmp_eq_u16_sdwa s[40:41], v35, v8 src0_sel:BYTE_0 src1_sel:DWORD
	s_and_saveexec_b64 s[4:5], s[40:41]
	s_cbranch_execz .LBB2129_238
; %bb.233:                              ;   in Loop: Header=BB2129_188 Depth=1
	s_mov_b32 s40, 0
.LBB2129_234:                           ;   Parent Loop BB2129_188 Depth=1
                                        ; =>  This Inner Loop Header: Depth=2
	v_add_u32_e32 v0, s40, v32
	s_add_i32 s40, s40, 8
	s_cmp_lg_u32 s40, 32
	ds_write2_b32 v0, v8, v8 offset1:1
	s_cbranch_scc1 .LBB2129_234
; %bb.235:                              ;   in Loop: Header=BB2129_188 Depth=1
	s_mov_b32 s40, 0
.LBB2129_236:                           ;   Parent Loop BB2129_188 Depth=1
                                        ; =>  This Inner Loop Header: Depth=2
	v_add_u32_e32 v0, s40, v29
	v_add_u32_e32 v1, s40, v30
	buffer_load_dword v2, v0, s[0:3], 0 offen offset:4
	buffer_load_dword v3, v0, s[0:3], 0 offen
	buffer_load_dword v4, v1, s[0:3], 0 offen offset:4
	buffer_load_dword v5, v1, s[0:3], 0 offen
                                        ; kill: killed $vgpr0
	v_add_u32_e32 v0, s40, v32
	s_add_i32 s40, s40, 8
                                        ; kill: killed $vgpr1
	s_cmp_lg_u32 s40, 32
	s_waitcnt vmcnt(1)
	v_add_u32_e32 v1, v4, v2
	s_waitcnt vmcnt(0)
	v_add_u32_e32 v2, v5, v3
	ds_write2_b32 v0, v2, v1 offset1:1
	s_cbranch_scc1 .LBB2129_236
; %bb.237:                              ;   in Loop: Header=BB2129_188 Depth=1
	ds_read2_b32 v[0:1], v32 offset1:1
	ds_read2_b32 v[2:3], v32 offset0:2 offset1:3
	ds_read2_b32 v[4:5], v32 offset0:4 offset1:5
	;; [unrolled: 1-line block ×3, first 2 shown]
.LBB2129_238:                           ;   in Loop: Header=BB2129_188 Depth=1
	s_or_b64 exec, exec, s[4:5]
	v_and_b32_e32 v35, 1, v35
	v_cmp_eq_u32_e32 vcc, 1, v35
	v_and_b32_e32 v35, 1, v36
	v_cmp_eq_u32_e64 s[4:5], 1, v35
	s_or_b64 s[4:5], vcc, s[4:5]
	v_cndmask_b32_e64 v35, 0, 1, s[4:5]
	buffer_store_byte v35, off, s[0:3], 0 offset:104
	buffer_load_dword v35, off, s[0:3], 0 offset:104
	s_waitcnt lgkmcnt(3)
	buffer_store_dword v1, off, s[0:3], 0 offset:76
	buffer_store_dword v0, off, s[0:3], 0 offset:72
	s_waitcnt lgkmcnt(2)
	buffer_store_dword v3, off, s[0:3], 0 offset:84
	buffer_store_dword v2, off, s[0:3], 0 offset:80
	;; [unrolled: 3-line block ×4, first 2 shown]
.LBB2129_239:                           ;   in Loop: Header=BB2129_188 Depth=1
	s_or_b64 exec, exec, s[14:15]
	ds_bpermute_b32 v37, v28, v0
	s_waitcnt vmcnt(8)
	ds_bpermute_b32 v36, v28, v35
	ds_bpermute_b32 v38, v28, v1
	;; [unrolled: 1-line block ×4, first 2 shown]
	v_cmp_le_u32_e32 vcc, v27, v34
	v_and_b32_e32 v34, 1, v35
	ds_bpermute_b32 v41, v28, v4
	v_cmp_eq_u32_e64 s[4:5], 1, v34
	ds_bpermute_b32 v42, v28, v5
	ds_bpermute_b32 v43, v28, v6
	;; [unrolled: 1-line block ×3, first 2 shown]
	s_waitcnt lgkmcnt(8)
	buffer_store_dword v37, off, s[0:3], 0 offset:144
	s_waitcnt lgkmcnt(6)
	buffer_store_dword v38, off, s[0:3], 0 offset:148
	;; [unrolled: 2-line block ×8, first 2 shown]
	s_and_saveexec_b64 s[14:15], vcc
	s_cbranch_execz .LBB2129_247
; %bb.240:                              ;   in Loop: Header=BB2129_188 Depth=1
	v_cmp_eq_u16_sdwa s[42:43], v35, v8 src0_sel:BYTE_0 src1_sel:DWORD
	s_and_saveexec_b64 s[40:41], s[42:43]
	s_cbranch_execz .LBB2129_246
; %bb.241:                              ;   in Loop: Header=BB2129_188 Depth=1
	s_mov_b32 s42, 0
.LBB2129_242:                           ;   Parent Loop BB2129_188 Depth=1
                                        ; =>  This Inner Loop Header: Depth=2
	v_add_u32_e32 v0, s42, v32
	s_add_i32 s42, s42, 8
	s_cmp_lg_u32 s42, 32
	ds_write2_b32 v0, v8, v8 offset1:1
	s_cbranch_scc1 .LBB2129_242
; %bb.243:                              ;   in Loop: Header=BB2129_188 Depth=1
	s_mov_b32 s42, 0
.LBB2129_244:                           ;   Parent Loop BB2129_188 Depth=1
                                        ; =>  This Inner Loop Header: Depth=2
	v_add_u32_e32 v0, s42, v29
	v_add_u32_e32 v1, s42, v30
	buffer_load_dword v2, v0, s[0:3], 0 offen offset:4
	buffer_load_dword v3, v0, s[0:3], 0 offen
	buffer_load_dword v4, v1, s[0:3], 0 offen offset:4
	buffer_load_dword v5, v1, s[0:3], 0 offen
                                        ; kill: killed $vgpr0
	v_add_u32_e32 v0, s42, v32
	s_add_i32 s42, s42, 8
                                        ; kill: killed $vgpr1
	s_cmp_lg_u32 s42, 32
	s_waitcnt vmcnt(1)
	v_add_u32_e32 v1, v4, v2
	s_waitcnt vmcnt(0)
	v_add_u32_e32 v2, v5, v3
	ds_write2_b32 v0, v2, v1 offset1:1
	s_cbranch_scc1 .LBB2129_244
; %bb.245:                              ;   in Loop: Header=BB2129_188 Depth=1
	ds_read2_b32 v[0:1], v32 offset1:1
	ds_read2_b32 v[2:3], v32 offset0:2 offset1:3
	ds_read2_b32 v[4:5], v32 offset0:4 offset1:5
	;; [unrolled: 1-line block ×3, first 2 shown]
.LBB2129_246:                           ;   in Loop: Header=BB2129_188 Depth=1
	s_or_b64 exec, exec, s[40:41]
	v_and_b32_e32 v34, 1, v36
	v_cmp_eq_u32_e32 vcc, 1, v34
	s_or_b64 s[40:41], s[4:5], vcc
	v_cndmask_b32_e64 v34, 0, 1, s[40:41]
	s_andn2_b64 s[4:5], s[4:5], exec
	s_and_b64 s[40:41], s[40:41], exec
	s_or_b64 s[4:5], s[4:5], s[40:41]
	s_waitcnt lgkmcnt(3)
	buffer_store_dword v1, off, s[0:3], 0 offset:76
	buffer_store_dword v0, off, s[0:3], 0 offset:72
	s_waitcnt lgkmcnt(2)
	buffer_store_dword v3, off, s[0:3], 0 offset:84
	buffer_store_dword v2, off, s[0:3], 0 offset:80
	;; [unrolled: 3-line block ×4, first 2 shown]
	buffer_store_byte v34, off, s[0:3], 0 offset:104
.LBB2129_247:                           ;   in Loop: Header=BB2129_188 Depth=1
	s_or_b64 exec, exec, s[14:15]
	buffer_load_ubyte v34, off, s[0:3], 0 offset:68
                                        ; implicit-def: $vgpr6_vgpr7
                                        ; implicit-def: $vgpr4_vgpr5
                                        ; implicit-def: $vgpr2_vgpr3
                                        ; implicit-def: $vgpr0_vgpr1
	s_waitcnt vmcnt(0)
	v_cmp_ne_u16_e32 vcc, 0, v34
	s_and_saveexec_b64 s[14:15], vcc
	s_xor_b64 s[14:15], exec, s[14:15]
	s_cbranch_execz .LBB2129_249
; %bb.248:                              ;   in Loop: Header=BB2129_188 Depth=1
	buffer_load_dword v0, off, s[0:3], 0 offset:36
	buffer_load_dword v1, off, s[0:3], 0 offset:40
	;; [unrolled: 1-line block ×8, first 2 shown]
.LBB2129_249:                           ;   in Loop: Header=BB2129_188 Depth=1
	s_andn2_saveexec_b64 s[14:15], s[14:15]
	s_cbranch_execz .LBB2129_255
; %bb.250:                              ;   in Loop: Header=BB2129_188 Depth=1
	s_mov_b32 s40, 0
	s_waitcnt vmcnt(0)
.LBB2129_251:                           ;   Parent Loop BB2129_188 Depth=1
                                        ; =>  This Inner Loop Header: Depth=2
	v_add_u32_e32 v0, s40, v29
	s_add_i32 s40, s40, 8
	s_cmp_lg_u32 s40, 32
	buffer_store_dword v8, v0, s[0:3], 0 offen offset:4
	buffer_store_dword v8, v0, s[0:3], 0 offen
	s_cbranch_scc1 .LBB2129_251
; %bb.252:                              ;   in Loop: Header=BB2129_188 Depth=1
	s_mov_b32 s40, 0
.LBB2129_253:                           ;   Parent Loop BB2129_188 Depth=1
                                        ; =>  This Inner Loop Header: Depth=2
	v_add_u32_e32 v0, s40, v30
	v_add_u32_e32 v1, s40, v31
	buffer_load_dword v2, v0, s[0:3], 0 offen offset:4
	buffer_load_dword v3, v1, s[0:3], 0 offen
	buffer_load_dword v4, v0, s[0:3], 0 offen
	buffer_load_dword v5, v1, s[0:3], 0 offen offset:4
                                        ; kill: killed $vgpr0
	v_add_u32_e32 v0, s40, v29
	s_add_i32 s40, s40, 8
	s_cmp_lg_u32 s40, 32
                                        ; kill: killed $vgpr1
	s_waitcnt vmcnt(1)
	v_add_u32_e32 v1, v3, v4
	s_waitcnt vmcnt(0)
	v_add_u32_e32 v2, v5, v2
	buffer_store_dword v2, v0, s[0:3], 0 offen offset:4
	buffer_store_dword v1, v0, s[0:3], 0 offen
	s_cbranch_scc1 .LBB2129_253
; %bb.254:                              ;   in Loop: Header=BB2129_188 Depth=1
	buffer_load_dword v0, off, s[0:3], 0 offset:144
	buffer_load_dword v1, off, s[0:3], 0 offset:148
	buffer_load_dword v2, off, s[0:3], 0 offset:152
	buffer_load_dword v3, off, s[0:3], 0 offset:156
	buffer_load_dword v4, off, s[0:3], 0 offset:160
	buffer_load_dword v5, off, s[0:3], 0 offset:164
	buffer_load_dword v6, off, s[0:3], 0 offset:168
	buffer_load_dword v7, off, s[0:3], 0 offset:172
.LBB2129_255:                           ;   in Loop: Header=BB2129_188 Depth=1
	s_or_b64 exec, exec, s[14:15]
	v_and_b32_e32 v34, 1, v34
	v_cmp_eq_u32_e32 vcc, 1, v34
	s_or_b64 s[4:5], vcc, s[4:5]
	v_subrev_u32_e32 v12, 64, v12
	v_cndmask_b32_e64 v34, 0, 1, s[4:5]
	s_waitcnt vmcnt(6)
	buffer_store_dword v1, off, s[0:3], 0 offset:40
	buffer_store_dword v0, off, s[0:3], 0 offset:36
	s_waitcnt vmcnt(6)
	buffer_store_dword v3, off, s[0:3], 0 offset:48
	buffer_store_dword v2, off, s[0:3], 0 offset:44
	;; [unrolled: 3-line block ×4, first 2 shown]
	buffer_store_byte v34, off, s[0:3], 0 offset:68
	s_branch .LBB2129_188
.LBB2129_256:
	buffer_load_dword v1, off, s[0:3], 0 offset:40
	buffer_load_dword v0, off, s[0:3], 0 offset:36
	;; [unrolled: 1-line block ×9, first 2 shown]
	s_waitcnt vmcnt(8)
	buffer_store_dword v1, off, s[0:3], 0 offset:148
	s_waitcnt vmcnt(8)
	buffer_store_dword v0, off, s[0:3], 0 offset:144
	s_waitcnt vmcnt(8)
	buffer_store_dword v3, off, s[0:3], 0 offset:156
	s_waitcnt vmcnt(8)
	buffer_store_dword v2, off, s[0:3], 0 offset:152
	s_waitcnt vmcnt(8)
	buffer_store_dword v5, off, s[0:3], 0 offset:164
	s_waitcnt vmcnt(8)
	buffer_store_dword v4, off, s[0:3], 0 offset:160
	s_waitcnt vmcnt(8)
	buffer_store_dword v7, off, s[0:3], 0 offset:172
	s_waitcnt vmcnt(8)
	buffer_store_dword v6, off, s[0:3], 0 offset:168
	s_waitcnt vmcnt(8)
	buffer_store_dword v8, off, s[0:3], 0 offset:176
	s_and_saveexec_b64 s[4:5], s[12:13]
	s_cbranch_execz .LBB2129_266
; %bb.257:
	buffer_load_ubyte v9, off, s[0:3], 0 offset:140
                                        ; implicit-def: $vgpr2_vgpr3
                                        ; implicit-def: $vgpr6_vgpr7
	s_waitcnt vmcnt(0)
	v_cmp_ne_u16_e32 vcc, 0, v9
	s_and_saveexec_b64 s[12:13], vcc
	s_xor_b64 s[12:13], exec, s[12:13]
	s_cbranch_execz .LBB2129_259
; %bb.258:
	buffer_load_dword v4, off, s[0:3], 0 offset:108
	buffer_load_dword v5, off, s[0:3], 0 offset:112
	;; [unrolled: 1-line block ×8, first 2 shown]
.LBB2129_259:
	s_andn2_saveexec_b64 s[12:13], s[12:13]
	s_cbranch_execz .LBB2129_265
; %bb.260:
	s_mov_b32 s14, 0
	s_waitcnt vmcnt(3)
	v_mov_b32_e32 v0, 0
	s_waitcnt vmcnt(2)
	v_mov_b32_e32 v1, 0
	s_waitcnt vmcnt(0)
.LBB2129_261:                           ; =>This Inner Loop Header: Depth=1
	v_add_u32_e32 v2, s14, v0
	s_add_i32 s14, s14, 8
	s_cmp_lg_u32 s14, 32
	buffer_store_dword v1, v2, s[0:3], 0 offen offset:4
	buffer_store_dword v1, v2, s[0:3], 0 offen
	s_cbranch_scc1 .LBB2129_261
; %bb.262:
	s_mov_b32 s14, 0
	v_mov_b32_e32 v0, 0x90
	v_mov_b32_e32 v1, 0x6c
	;; [unrolled: 1-line block ×3, first 2 shown]
.LBB2129_263:                           ; =>This Inner Loop Header: Depth=1
	v_add_u32_e32 v3, s14, v0
	v_add_u32_e32 v4, s14, v1
	buffer_load_dword v5, v3, s[0:3], 0 offen offset:4
	buffer_load_dword v6, v4, s[0:3], 0 offen
	buffer_load_dword v7, v3, s[0:3], 0 offen
	buffer_load_dword v11, v4, s[0:3], 0 offen offset:4
                                        ; kill: killed $vgpr3
	v_add_u32_e32 v3, s14, v2
	s_add_i32 s14, s14, 8
	s_cmp_lg_u32 s14, 32
                                        ; kill: killed $vgpr4
	s_waitcnt vmcnt(1)
	v_add_u32_e32 v4, v6, v7
	s_waitcnt vmcnt(0)
	v_add_u32_e32 v5, v11, v5
	buffer_store_dword v5, v3, s[0:3], 0 offen offset:4
	buffer_store_dword v4, v3, s[0:3], 0 offen
	s_cbranch_scc1 .LBB2129_263
; %bb.264:
	buffer_load_dword v4, off, s[0:3], 0
	buffer_load_dword v5, off, s[0:3], 0 offset:4
	buffer_load_dword v6, off, s[0:3], 0 offset:8
	;; [unrolled: 1-line block ×7, first 2 shown]
.LBB2129_265:
	s_or_b64 exec, exec, s[12:13]
	s_add_i32 s14, s33, 64
	s_mul_i32 s12, s14, 36
	s_mul_hi_u32 s13, s14, 36
	s_add_u32 s12, s22, s12
	v_or_b32_e32 v8, v9, v8
	s_addc_u32 s13, s23, s13
	v_mov_b32_e32 v9, 0
	v_and_b32_e32 v8, 1, v8
	s_waitcnt vmcnt(4)
	global_store_dwordx4 v9, v[4:7], s[12:13]
	s_waitcnt vmcnt(1)
	global_store_dwordx4 v9, v[0:3], s[12:13] offset:16
	global_store_byte v9, v8, s[12:13] offset:32
	v_mov_b32_e32 v0, s14
	v_mov_b32_e32 v1, 2
	s_waitcnt vmcnt(0)
	buffer_wbinvl1_vol
	global_store_byte v0, v1, s[24:25]
	buffer_load_dword v0, off, s[0:3], 0 offset:144
	s_nop 0
	buffer_load_dword v1, off, s[0:3], 0 offset:148
	buffer_load_dword v2, off, s[0:3], 0 offset:152
	;; [unrolled: 1-line block ×7, first 2 shown]
	buffer_load_ubyte v8, off, s[0:3], 0 offset:176
.LBB2129_266:
	s_or_b64 exec, exec, s[4:5]
	s_and_b64 exec, exec, s[10:11]
	s_cbranch_execz .LBB2129_268
; %bb.267:
	v_mov_b32_e32 v9, 0
	s_waitcnt vmcnt(7)
	ds_write2_b32 v9, v0, v1 offset0:27 offset1:28
	s_waitcnt vmcnt(5)
	ds_write2_b32 v9, v2, v3 offset0:29 offset1:30
	;; [unrolled: 2-line block ×4, first 2 shown]
	s_waitcnt vmcnt(0)
	ds_write_b8 v9, v8 offset:140
.LBB2129_268:
	s_or_b64 exec, exec, s[36:37]
	s_waitcnt lgkmcnt(0)
	s_barrier
	buffer_load_ubyte v9, off, s[0:3], 0 offset:320
	s_waitcnt vmcnt(9)
	v_mov_b32_e32 v0, 0
	s_waitcnt vmcnt(6)
	ds_read2_b32 v[2:3], v0 offset0:27 offset1:28
	s_waitcnt vmcnt(1)
	ds_read_b32 v8, v0 offset:140
	ds_read2_b32 v[4:5], v0 offset0:29 offset1:30
	ds_read2_b32 v[6:7], v0 offset0:31 offset1:32
	;; [unrolled: 1-line block ×3, first 2 shown]
	s_waitcnt lgkmcnt(4)
	buffer_store_dword v3, off, s[0:3], 0 offset:148
	buffer_store_dword v2, off, s[0:3], 0 offset:144
	s_waitcnt lgkmcnt(2)
	buffer_store_dword v5, off, s[0:3], 0 offset:156
	buffer_store_dword v4, off, s[0:3], 0 offset:152
	;; [unrolled: 3-line block ×4, first 2 shown]
	buffer_store_dword v8, off, s[0:3], 0 offset:176
	s_and_saveexec_b64 s[4:5], s[8:9]
	s_cbranch_execz .LBB2129_278
; %bb.269:
	s_waitcnt vmcnt(9)
	v_cmp_ne_u16_sdwa s[12:13], v9, v0 src0_sel:BYTE_0 src1_sel:DWORD
                                        ; implicit-def: $vgpr6_vgpr7
                                        ; implicit-def: $vgpr4_vgpr5
                                        ; implicit-def: $vgpr2_vgpr3
                                        ; implicit-def: $vgpr0_vgpr1
	s_and_saveexec_b64 s[14:15], s[12:13]
	s_xor_b64 s[12:13], exec, s[14:15]
	s_cbranch_execz .LBB2129_271
; %bb.270:
	buffer_load_dword v0, off, s[0:3], 0 offset:288
	buffer_load_dword v1, off, s[0:3], 0 offset:292
	;; [unrolled: 1-line block ×8, first 2 shown]
.LBB2129_271:
	s_andn2_saveexec_b64 s[12:13], s[12:13]
	s_cbranch_execz .LBB2129_277
; %bb.272:
	s_mov_b32 s14, 0
	s_waitcnt vmcnt(7)
	v_mov_b32_e32 v0, 0
	s_waitcnt vmcnt(6)
	v_mov_b32_e32 v1, 0
	s_waitcnt vmcnt(0)
.LBB2129_273:                           ; =>This Inner Loop Header: Depth=1
	v_add_u32_e32 v2, s14, v0
	s_add_i32 s14, s14, 8
	s_cmp_lg_u32 s14, 32
	buffer_store_dword v1, v2, s[0:3], 0 offen offset:4
	buffer_store_dword v1, v2, s[0:3], 0 offen
	s_cbranch_scc1 .LBB2129_273
; %bb.274:
	s_mov_b32 s14, 0
	v_mov_b32_e32 v0, 0xf0
	v_mov_b32_e32 v1, 0x120
	;; [unrolled: 1-line block ×3, first 2 shown]
.LBB2129_275:                           ; =>This Inner Loop Header: Depth=1
	v_add_u32_e32 v3, s14, v0
	v_add_u32_e32 v4, s14, v1
	buffer_load_dword v5, v3, s[0:3], 0 offen offset:4
	buffer_load_dword v6, v4, s[0:3], 0 offen
	buffer_load_dword v7, v3, s[0:3], 0 offen
	buffer_load_dword v11, v4, s[0:3], 0 offen offset:4
                                        ; kill: killed $vgpr3
	v_add_u32_e32 v3, s14, v2
	s_add_i32 s14, s14, 8
	s_cmp_lg_u32 s14, 32
                                        ; kill: killed $vgpr4
	s_waitcnt vmcnt(1)
	v_add_u32_e32 v4, v6, v7
	s_waitcnt vmcnt(0)
	v_add_u32_e32 v5, v11, v5
	buffer_store_dword v5, v3, s[0:3], 0 offen offset:4
	buffer_store_dword v4, v3, s[0:3], 0 offen
	s_cbranch_scc1 .LBB2129_275
; %bb.276:
	buffer_load_dword v0, off, s[0:3], 0
	buffer_load_dword v1, off, s[0:3], 0 offset:4
	buffer_load_dword v2, off, s[0:3], 0 offset:8
	;; [unrolled: 1-line block ×7, first 2 shown]
.LBB2129_277:
	s_or_b64 exec, exec, s[12:13]
	v_and_b32_e32 v9, 1, v9
	v_cmp_eq_u32_e32 vcc, 1, v9
	s_or_b64 s[12:13], vcc, s[16:17]
	v_cndmask_b32_e64 v9, 0, 1, s[12:13]
	s_waitcnt vmcnt(6)
	buffer_store_dword v1, off, s[0:3], 0 offset:292
	buffer_store_dword v0, off, s[0:3], 0 offset:288
	s_waitcnt vmcnt(6)
	buffer_store_dword v3, off, s[0:3], 0 offset:300
	buffer_store_dword v2, off, s[0:3], 0 offset:296
	;; [unrolled: 3-line block ×4, first 2 shown]
.LBB2129_278:
	s_or_b64 exec, exec, s[4:5]
	v_mov_b32_e32 v0, 0
	s_waitcnt vmcnt(9)
	v_cmp_ne_u16_sdwa s[4:5], v9, v0 src0_sel:BYTE_0 src1_sel:DWORD
                                        ; implicit-def: $vgpr6_vgpr7
                                        ; implicit-def: $vgpr4_vgpr5
                                        ; implicit-def: $vgpr2_vgpr3
                                        ; implicit-def: $vgpr0_vgpr1
	s_and_saveexec_b64 s[12:13], s[4:5]
	s_xor_b64 s[4:5], exec, s[12:13]
	s_cbranch_execz .LBB2129_280
; %bb.279:
	buffer_load_dword v0, off, s[0:3], 0 offset:288
	buffer_load_dword v1, off, s[0:3], 0 offset:292
	;; [unrolled: 1-line block ×8, first 2 shown]
.LBB2129_280:
	s_andn2_saveexec_b64 s[4:5], s[4:5]
	s_cbranch_execz .LBB2129_286
; %bb.281:
	s_mov_b32 s12, 0
	s_waitcnt vmcnt(7)
	v_mov_b32_e32 v0, 0
	s_waitcnt vmcnt(6)
	v_mov_b32_e32 v1, 0
	s_waitcnt vmcnt(0)
.LBB2129_282:                           ; =>This Inner Loop Header: Depth=1
	v_add_u32_e32 v2, s12, v0
	s_add_i32 s12, s12, 8
	s_cmp_lg_u32 s12, 32
	buffer_store_dword v1, v2, s[0:3], 0 offen offset:4
	buffer_store_dword v1, v2, s[0:3], 0 offen
	s_cbranch_scc1 .LBB2129_282
; %bb.283:
	s_mov_b32 s12, 0
	v_mov_b32_e32 v0, 0x90
	v_mov_b32_e32 v1, 0x120
	v_mov_b32_e32 v2, 0
.LBB2129_284:                           ; =>This Inner Loop Header: Depth=1
	v_add_u32_e32 v3, s12, v0
	v_add_u32_e32 v4, s12, v1
	buffer_load_dword v5, v3, s[0:3], 0 offen offset:4
	buffer_load_dword v6, v4, s[0:3], 0 offen
	buffer_load_dword v7, v3, s[0:3], 0 offen
	buffer_load_dword v11, v4, s[0:3], 0 offen offset:4
                                        ; kill: killed $vgpr3
	v_add_u32_e32 v3, s12, v2
	s_add_i32 s12, s12, 8
	s_cmp_lg_u32 s12, 32
                                        ; kill: killed $vgpr4
	s_waitcnt vmcnt(1)
	v_add_u32_e32 v4, v6, v7
	s_waitcnt vmcnt(0)
	v_add_u32_e32 v5, v11, v5
	buffer_store_dword v5, v3, s[0:3], 0 offen offset:4
	buffer_store_dword v4, v3, s[0:3], 0 offen
	s_cbranch_scc1 .LBB2129_284
; %bb.285:
	buffer_load_dword v0, off, s[0:3], 0
	buffer_load_dword v1, off, s[0:3], 0 offset:4
	buffer_load_dword v2, off, s[0:3], 0 offset:8
	buffer_load_dword v3, off, s[0:3], 0 offset:12
	buffer_load_dword v4, off, s[0:3], 0 offset:16
	buffer_load_dword v5, off, s[0:3], 0 offset:20
	buffer_load_dword v6, off, s[0:3], 0 offset:24
	buffer_load_dword v7, off, s[0:3], 0 offset:28
.LBB2129_286:
	s_or_b64 exec, exec, s[4:5]
	buffer_load_ubyte v11, off, s[0:3], 0 offset:356
	v_or_b32_e32 v8, v9, v8
	v_and_b32_e32 v8, 1, v8
	v_cmp_eq_u32_e32 vcc, 1, v8
	s_waitcnt vmcnt(7)
	buffer_store_dword v1, off, s[0:3], 0 offset:292
	buffer_store_dword v0, off, s[0:3], 0 offset:288
	s_waitcnt vmcnt(7)
	buffer_store_dword v3, off, s[0:3], 0 offset:300
	buffer_store_dword v2, off, s[0:3], 0 offset:296
	s_waitcnt vmcnt(7)
	buffer_store_dword v5, off, s[0:3], 0 offset:308
	buffer_store_dword v4, off, s[0:3], 0 offset:304
	s_waitcnt vmcnt(7)
	buffer_store_dword v7, off, s[0:3], 0 offset:316
	buffer_store_dword v6, off, s[0:3], 0 offset:312
	buffer_store_byte v8, off, s[0:3], 0 offset:320
                                        ; implicit-def: $vgpr6_vgpr7
                                        ; implicit-def: $vgpr4_vgpr5
                                        ; implicit-def: $vgpr2_vgpr3
                                        ; implicit-def: $vgpr0_vgpr1
	s_waitcnt vmcnt(9)
	v_cmp_ne_u16_e64 s[4:5], 0, v11
	s_and_saveexec_b64 s[12:13], s[4:5]
	s_xor_b64 s[4:5], exec, s[12:13]
	s_cbranch_execz .LBB2129_288
; %bb.287:
	buffer_load_dword v0, off, s[0:3], 0 offset:324
	buffer_load_dword v1, off, s[0:3], 0 offset:328
	;; [unrolled: 1-line block ×8, first 2 shown]
.LBB2129_288:
	s_andn2_saveexec_b64 s[4:5], s[4:5]
	s_cbranch_execz .LBB2129_294
; %bb.289:
	s_mov_b32 s12, 0
	s_waitcnt vmcnt(7)
	v_mov_b32_e32 v0, 0
	s_waitcnt vmcnt(6)
	v_mov_b32_e32 v1, 0
	s_waitcnt vmcnt(0)
.LBB2129_290:                           ; =>This Inner Loop Header: Depth=1
	v_add_u32_e32 v2, s12, v0
	s_add_i32 s12, s12, 8
	s_cmp_lg_u32 s12, 32
	buffer_store_dword v1, v2, s[0:3], 0 offen offset:4
	buffer_store_dword v1, v2, s[0:3], 0 offen
	s_cbranch_scc1 .LBB2129_290
; %bb.291:
	s_mov_b32 s12, 0
	v_mov_b32_e32 v0, 0x120
	v_mov_b32_e32 v1, 0
.LBB2129_292:                           ; =>This Inner Loop Header: Depth=1
	v_add_u32_e32 v2, s12, v0
	buffer_load_dword v3, v2, s[0:3], 0 offen
	buffer_load_dword v4, v2, s[0:3], 0 offen offset:4
	buffer_load_dword v5, v2, s[0:3], 0 offen offset:36
	;; [unrolled: 1-line block ×3, first 2 shown]
                                        ; kill: killed $vgpr2
	v_add_u32_e32 v2, s12, v1
	s_add_i32 s12, s12, 8
	s_cmp_lg_u32 s12, 32
	s_waitcnt vmcnt(1)
	v_add_u32_e32 v3, v5, v3
	s_waitcnt vmcnt(0)
	v_add_u32_e32 v4, v6, v4
	buffer_store_dword v4, v2, s[0:3], 0 offen offset:4
	buffer_store_dword v3, v2, s[0:3], 0 offen
	s_cbranch_scc1 .LBB2129_292
; %bb.293:
	buffer_load_dword v0, off, s[0:3], 0
	buffer_load_dword v1, off, s[0:3], 0 offset:4
	buffer_load_dword v2, off, s[0:3], 0 offset:8
	;; [unrolled: 1-line block ×7, first 2 shown]
.LBB2129_294:
	s_or_b64 exec, exec, s[4:5]
	buffer_load_ubyte v8, off, s[0:3], 0 offset:392
	v_and_b32_e32 v9, 1, v11
	v_cmp_eq_u32_e64 s[4:5], 1, v9
	s_or_b64 s[4:5], s[4:5], vcc
	v_cndmask_b32_e64 v9, 0, 1, s[4:5]
	s_waitcnt vmcnt(7)
	buffer_store_dword v1, off, s[0:3], 0 offset:328
	buffer_store_dword v0, off, s[0:3], 0 offset:324
	s_waitcnt vmcnt(7)
	buffer_store_dword v3, off, s[0:3], 0 offset:336
	buffer_store_dword v2, off, s[0:3], 0 offset:332
	;; [unrolled: 3-line block ×4, first 2 shown]
	buffer_store_byte v9, off, s[0:3], 0 offset:356
                                        ; implicit-def: $vgpr6_vgpr7
                                        ; implicit-def: $vgpr4_vgpr5
                                        ; implicit-def: $vgpr2_vgpr3
                                        ; implicit-def: $vgpr0_vgpr1
	s_waitcnt vmcnt(9)
	v_cmp_ne_u16_e32 vcc, 0, v8
	s_and_saveexec_b64 s[12:13], vcc
	s_xor_b64 s[12:13], exec, s[12:13]
	s_cbranch_execz .LBB2129_296
; %bb.295:
	buffer_load_dword v0, off, s[0:3], 0 offset:360
	buffer_load_dword v1, off, s[0:3], 0 offset:364
	;; [unrolled: 1-line block ×8, first 2 shown]
.LBB2129_296:
	s_andn2_saveexec_b64 s[12:13], s[12:13]
	s_cbranch_execz .LBB2129_302
; %bb.297:
	s_mov_b32 s14, 0
	s_waitcnt vmcnt(7)
	v_mov_b32_e32 v0, 0
	s_waitcnt vmcnt(6)
	v_mov_b32_e32 v1, 0
	s_waitcnt vmcnt(0)
.LBB2129_298:                           ; =>This Inner Loop Header: Depth=1
	v_add_u32_e32 v2, s14, v0
	s_add_i32 s14, s14, 8
	s_cmp_lg_u32 s14, 32
	buffer_store_dword v1, v2, s[0:3], 0 offen offset:4
	buffer_store_dword v1, v2, s[0:3], 0 offen
	s_cbranch_scc1 .LBB2129_298
; %bb.299:
	s_mov_b32 s14, 0
	v_mov_b32_e32 v0, 0x120
	v_mov_b32_e32 v1, 0
.LBB2129_300:                           ; =>This Inner Loop Header: Depth=1
	v_add_u32_e32 v2, s14, v0
	buffer_load_dword v3, v2, s[0:3], 0 offen offset:36
	buffer_load_dword v4, v2, s[0:3], 0 offen offset:40
	;; [unrolled: 1-line block ×4, first 2 shown]
                                        ; kill: killed $vgpr2
	v_add_u32_e32 v2, s14, v1
	s_add_i32 s14, s14, 8
	s_cmp_lg_u32 s14, 32
	s_waitcnt vmcnt(1)
	v_add_u32_e32 v3, v5, v3
	s_waitcnt vmcnt(0)
	v_add_u32_e32 v4, v6, v4
	buffer_store_dword v4, v2, s[0:3], 0 offen offset:4
	buffer_store_dword v3, v2, s[0:3], 0 offen
	s_cbranch_scc1 .LBB2129_300
; %bb.301:
	buffer_load_dword v0, off, s[0:3], 0
	buffer_load_dword v1, off, s[0:3], 0 offset:4
	buffer_load_dword v2, off, s[0:3], 0 offset:8
	;; [unrolled: 1-line block ×7, first 2 shown]
.LBB2129_302:
	s_or_b64 exec, exec, s[12:13]
	v_and_b32_e32 v8, 1, v8
	v_cmp_eq_u32_e32 vcc, 1, v8
	s_or_b64 s[4:5], vcc, s[4:5]
	v_cndmask_b32_e64 v8, 0, 1, s[4:5]
	s_waitcnt vmcnt(6)
	buffer_store_dword v1, off, s[0:3], 0 offset:364
	buffer_store_dword v0, off, s[0:3], 0 offset:360
	s_waitcnt vmcnt(6)
	buffer_store_dword v3, off, s[0:3], 0 offset:372
	buffer_store_dword v2, off, s[0:3], 0 offset:368
	;; [unrolled: 3-line block ×4, first 2 shown]
	buffer_store_byte v8, off, s[0:3], 0 offset:392
	s_branch .LBB2129_480
.LBB2129_303:
	v_pk_mov_b32 v[2:3], s[40:41], s[40:41] op_sel:[0,1]
	flat_load_dword v3, v[2:3]
	s_add_i32 s54, s27, s26
	v_cmp_gt_u32_e64 s[16:17], s54, v10
	s_waitcnt vmcnt(0) lgkmcnt(0)
	v_mov_b32_e32 v2, v3
	s_and_saveexec_b64 s[12:13], s[16:17]
	s_cbranch_execz .LBB2129_305
; %bb.304:
	v_lshlrev_b32_e32 v2, 2, v10
	v_mov_b32_e32 v5, s41
	v_add_co_u32_e32 v6, vcc, s40, v2
	v_addc_co_u32_e32 v7, vcc, 0, v5, vcc
	flat_load_dword v2, v[6:7]
.LBB2129_305:
	s_or_b64 exec, exec, s[12:13]
	v_or_b32_e32 v8, 0x100, v10
	v_cmp_gt_u32_e64 s[14:15], s54, v8
	v_mov_b32_e32 v5, v3
	s_and_saveexec_b64 s[12:13], s[14:15]
	s_cbranch_execz .LBB2129_307
; %bb.306:
	v_lshlrev_b32_e32 v5, 2, v10
	v_mov_b32_e32 v7, s41
	v_add_co_u32_e32 v6, vcc, s40, v5
	v_addc_co_u32_e32 v7, vcc, 0, v7, vcc
	flat_load_dword v5, v[6:7] offset:1024
.LBB2129_307:
	s_or_b64 exec, exec, s[12:13]
	v_or_b32_e32 v7, 0x200, v10
	v_cmp_gt_u32_e64 s[12:13], s54, v7
	v_cmp_le_u32_e32 vcc, s54, v7
	s_and_saveexec_b64 s[36:37], vcc
	s_xor_b64 s[36:37], exec, s[36:37]
; %bb.308:
	v_mov_b32_e32 v11, 0
; %bb.309:
	s_andn2_saveexec_b64 s[36:37], s[36:37]
	s_cbranch_execz .LBB2129_311
; %bb.310:
	v_lshlrev_b32_e32 v3, 2, v10
	v_mov_b32_e32 v6, s41
	v_add_co_u32_e32 v14, vcc, s40, v3
	v_addc_co_u32_e32 v15, vcc, 0, v6, vcc
	flat_load_dword v3, v[14:15] offset:2048
	v_mov_b32_e32 v11, 0
.LBB2129_311:
	s_or_b64 exec, exec, s[36:37]
	v_lshlrev_b32_e32 v6, 2, v10
	v_lshlrev_b32_e32 v9, 3, v10
	v_add_u32_e32 v12, v6, v9
	s_waitcnt vmcnt(0) lgkmcnt(0)
	ds_write2st64_b32 v6, v2, v5 offset1:4
	ds_write_b32 v6, v3 offset:2048
	s_waitcnt lgkmcnt(0)
	s_barrier
	ds_read2_b32 v[2:3], v12 offset1:1
	ds_read_b32 v5, v12 offset:8
	s_cmp_eq_u64 s[46:47], 0
	s_mov_b64 s[36:37], s[40:41]
	s_cbranch_scc1 .LBB2129_315
; %bb.312:
	s_andn2_b64 vcc, exec, s[44:45]
	s_cbranch_vccnz .LBB2129_503
; %bb.313:
	s_lshl_b64 s[36:37], s[46:47], 2
	s_add_u32 s36, s42, s36
	s_addc_u32 s37, s43, s37
	s_add_u32 s36, s36, -4
	s_addc_u32 s37, s37, -1
	s_andn2_b64 vcc, exec, s[48:49]
	s_cbranch_vccnz .LBB2129_315
.LBB2129_314:
	s_add_u32 s36, s40, -4
	s_addc_u32 s37, s41, -1
.LBB2129_315:
	v_pk_mov_b32 v[14:15], s[36:37], s[36:37] op_sel:[0,1]
	flat_load_dword v6, v[14:15]
	v_sub_u32_e32 v9, v12, v9
	s_waitcnt lgkmcnt(0)
	ds_write_b32 v9, v5 offset:3072
	s_waitcnt lgkmcnt(0)
	s_barrier
	s_and_saveexec_b64 s[36:37], s[8:9]
	s_cbranch_execz .LBB2129_317
; %bb.316:
	s_waitcnt vmcnt(0)
	ds_read_b32 v6, v9 offset:3068
.LBB2129_317:
	s_or_b64 exec, exec, s[36:37]
	s_waitcnt lgkmcnt(0)
	s_barrier
	s_and_saveexec_b64 s[36:37], s[16:17]
	s_cbranch_execnz .LBB2129_501
; %bb.318:
	s_or_b64 exec, exec, s[36:37]
	s_and_saveexec_b64 s[16:17], s[14:15]
	s_cbranch_execnz .LBB2129_502
.LBB2129_319:
	s_or_b64 exec, exec, s[16:17]
	s_and_saveexec_b64 s[14:15], s[12:13]
	s_cbranch_execz .LBB2129_321
.LBB2129_320:
	v_lshlrev_b32_e32 v7, 5, v7
	v_mov_b32_e32 v8, s53
	v_add_co_u32_e32 v14, vcc, s52, v7
	v_addc_co_u32_e32 v15, vcc, 0, v8, vcc
	flat_load_dwordx4 v[18:21], v[14:15]
	flat_load_dwordx4 v[22:25], v[14:15] offset:16
                                        ; kill: killed $vgpr14 killed $vgpr15
	s_waitcnt vmcnt(0) lgkmcnt(0)
	buffer_store_dword v19, off, s[0:3], 0 offset:212
	buffer_store_dword v18, off, s[0:3], 0 offset:208
	;; [unrolled: 1-line block ×8, first 2 shown]
.LBB2129_321:
	s_or_b64 exec, exec, s[14:15]
	buffer_load_dword v18, off, s[0:3], 0 offset:144
	buffer_load_dword v19, off, s[0:3], 0 offset:148
	;; [unrolled: 1-line block ×8, first 2 shown]
	buffer_load_dword v26, v4, s[0:3], 0 offen
	buffer_load_dword v27, v4, s[0:3], 0 offen offset:4
	buffer_load_dword v28, v4, s[0:3], 0 offen offset:8
	;; [unrolled: 1-line block ×7, first 2 shown]
	buffer_load_dword v34, v1, s[0:3], 0 offen
	buffer_load_dword v35, v1, s[0:3], 0 offen offset:4
	buffer_load_dword v36, v1, s[0:3], 0 offen offset:8
	;; [unrolled: 1-line block ×7, first 2 shown]
	v_mad_u32_u24 v9, v10, 28, v9
	v_lshl_add_u32 v8, v10, 6, v9
	v_mul_u32_u24_e32 v7, 3, v10
	s_mov_b64 s[14:15], 0
	v_cmp_gt_u32_e32 vcc, s54, v7
	s_mov_b64 s[48:49], 0
                                        ; implicit-def: $sgpr12_sgpr13
	s_waitcnt vmcnt(0)
	ds_write_b128 v9, v[18:21]
	ds_write_b128 v9, v[22:25] offset:16
	ds_write_b128 v9, v[26:29] offset:8192
	;; [unrolled: 1-line block ×5, first 2 shown]
	s_waitcnt lgkmcnt(0)
	s_barrier
	ds_read_b128 v[18:21], v8 offset:32
	ds_read_b128 v[22:25], v8 offset:48
	;; [unrolled: 1-line block ×4, first 2 shown]
	s_waitcnt lgkmcnt(3)
	buffer_store_dword v21, v4, s[0:3], 0 offen offset:12
	buffer_store_dword v20, v4, s[0:3], 0 offen offset:8
	;; [unrolled: 1-line block ×3, first 2 shown]
	buffer_store_dword v18, v4, s[0:3], 0 offen
	s_waitcnt lgkmcnt(2)
	buffer_store_dword v25, v4, s[0:3], 0 offen offset:28
	buffer_store_dword v24, v4, s[0:3], 0 offen offset:24
	;; [unrolled: 1-line block ×4, first 2 shown]
	s_waitcnt lgkmcnt(1)
	buffer_store_dword v29, v1, s[0:3], 0 offen offset:12
	buffer_store_dword v28, v1, s[0:3], 0 offen offset:8
	;; [unrolled: 1-line block ×3, first 2 shown]
	buffer_store_dword v26, v1, s[0:3], 0 offen
	s_waitcnt lgkmcnt(0)
	buffer_store_dword v33, v1, s[0:3], 0 offen offset:28
	buffer_store_dword v32, v1, s[0:3], 0 offen offset:24
	;; [unrolled: 1-line block ×4, first 2 shown]
	s_and_saveexec_b64 s[16:17], vcc
	s_cbranch_execz .LBB2129_325
; %bb.322:
	ds_read_b128 v[18:21], v8
	ds_read_b128 v[22:25], v8 offset:16
	v_cmp_ne_u32_e32 vcc, v6, v2
	v_add_u32_e32 v9, 1, v7
	v_cndmask_b32_e64 v6, 0, 1, vcc
	v_cmp_gt_u32_e32 vcc, s54, v9
	s_waitcnt lgkmcnt(1)
	buffer_store_dword v21, off, s[0:3], 0 offset:300
	buffer_store_dword v20, off, s[0:3], 0 offset:296
	;; [unrolled: 1-line block ×4, first 2 shown]
	s_waitcnt lgkmcnt(0)
	buffer_store_dword v25, off, s[0:3], 0 offset:316
	buffer_store_dword v24, off, s[0:3], 0 offset:312
	;; [unrolled: 1-line block ×4, first 2 shown]
	buffer_store_byte v6, off, s[0:3], 0 offset:320
                                        ; implicit-def: $sgpr50_sgpr51
	s_and_saveexec_b64 s[12:13], vcc
	s_xor_b64 s[36:37], exec, s[12:13]
	s_cbranch_execz .LBB2129_324
; %bb.323:
	v_add_u32_e32 v6, 32, v8
	ds_read2_b32 v[8:9], v6 offset0:6 offset1:7
	ds_read2_b32 v[14:15], v6 offset0:4 offset1:5
	;; [unrolled: 1-line block ×3, first 2 shown]
	ds_read2_b32 v[20:21], v6 offset1:1
	v_cmp_ne_u32_e32 vcc, v3, v5
	v_cmp_ne_u32_e64 s[12:13], v2, v3
	v_add_u32_e32 v3, 2, v7
	v_cndmask_b32_e64 v2, 0, 1, s[12:13]
	v_cmp_gt_u32_e64 s[12:13], s54, v3
	s_waitcnt lgkmcnt(1)
	buffer_store_dword v19, v13, s[0:3], 0 offen offset:12
	buffer_store_dword v18, v13, s[0:3], 0 offen offset:8
	s_waitcnt lgkmcnt(0)
	buffer_store_dword v21, v13, s[0:3], 0 offen offset:4
	buffer_store_dword v20, v13, s[0:3], 0 offen
	buffer_store_dword v9, v13, s[0:3], 0 offen offset:28
	buffer_store_dword v8, v13, s[0:3], 0 offen offset:24
	;; [unrolled: 1-line block ×4, first 2 shown]
	buffer_store_byte v2, off, s[0:3], 0 offset:356
	s_and_b64 s[50:51], vcc, exec
	s_and_b64 s[48:49], s[12:13], exec
.LBB2129_324:
	s_or_b64 exec, exec, s[36:37]
	s_and_b64 s[12:13], s[50:51], exec
	s_and_b64 s[48:49], s[48:49], exec
.LBB2129_325:
	s_or_b64 exec, exec, s[16:17]
	s_and_b64 vcc, exec, s[14:15]
	s_cbranch_vccz .LBB2129_18
.LBB2129_326:
	v_lshlrev_b32_e32 v5, 2, v10
	v_mov_b32_e32 v3, s41
	v_add_co_u32_e32 v2, vcc, s40, v5
	v_addc_co_u32_e32 v3, vcc, 0, v3, vcc
	flat_load_dword v7, v[2:3]
	flat_load_dword v9, v[2:3] offset:1024
	flat_load_dword v11, v[2:3] offset:2048
	v_lshlrev_b32_e32 v6, 3, v10
	v_add_u32_e32 v8, v5, v6
	s_cmp_eq_u64 s[46:47], 0
	s_waitcnt vmcnt(0) lgkmcnt(0)
	ds_write2st64_b32 v5, v7, v9 offset1:4
	ds_write_b32 v5, v11 offset:2048
	s_waitcnt lgkmcnt(0)
	s_barrier
	ds_read2_b32 v[2:3], v8 offset1:1
	ds_read_b32 v5, v8 offset:8
	s_cbranch_scc1 .LBB2129_331
; %bb.327:
	s_andn2_b64 vcc, exec, s[44:45]
	s_cbranch_vccnz .LBB2129_504
; %bb.328:
	s_lshl_b64 s[12:13], s[46:47], 2
	s_add_u32 s12, s42, s12
	s_addc_u32 s13, s43, s13
	s_add_u32 s12, s12, -4
	s_addc_u32 s13, s13, -1
	s_cbranch_execnz .LBB2129_330
.LBB2129_329:
	s_add_u32 s12, s40, -4
	s_addc_u32 s13, s41, -1
.LBB2129_330:
	s_mov_b64 s[40:41], s[12:13]
.LBB2129_331:
	v_pk_mov_b32 v[14:15], s[40:41], s[40:41] op_sel:[0,1]
	flat_load_dword v7, v[14:15]
	v_sub_u32_e32 v6, v8, v6
	s_waitcnt lgkmcnt(0)
	ds_write_b32 v6, v5 offset:3072
	s_waitcnt lgkmcnt(0)
	s_barrier
	s_and_saveexec_b64 s[12:13], s[8:9]
	s_cbranch_execz .LBB2129_333
; %bb.332:
	s_waitcnt vmcnt(0)
	ds_read_b32 v7, v6 offset:3068
.LBB2129_333:
	s_or_b64 exec, exec, s[12:13]
	v_lshlrev_b32_e32 v8, 5, v10
	v_mov_b32_e32 v9, s53
	v_add_co_u32_e32 v8, vcc, s52, v8
	v_addc_co_u32_e32 v9, vcc, 0, v9, vcc
	s_waitcnt lgkmcnt(0)
	s_barrier
	flat_load_dwordx4 v[18:21], v[8:9]
	flat_load_dwordx4 v[22:25], v[8:9] offset:16
	s_movk_i32 s12, 0x2000
	v_add_co_u32_e32 v14, vcc, s12, v8
	v_addc_co_u32_e32 v15, vcc, 0, v9, vcc
	s_movk_i32 s12, 0x4000
	v_add_co_u32_e32 v8, vcc, s12, v8
	v_addc_co_u32_e32 v9, vcc, 0, v9, vcc
	v_cmp_ne_u32_e64 s[12:13], v3, v5
	v_mad_u32_u24 v5, v10, 28, v6
	v_cmp_ne_u32_e32 vcc, v2, v3
	v_lshl_add_u32 v11, v10, 6, v5
                                        ; kill: killed $vgpr8 killed $vgpr9
	v_cndmask_b32_e64 v3, 0, 1, vcc
	s_waitcnt vmcnt(0)
	v_cmp_ne_u32_e32 vcc, v7, v2
	v_cndmask_b32_e64 v2, 0, 1, vcc
	s_mov_b64 s[48:49], -1
	s_waitcnt lgkmcnt(0)
	buffer_store_dword v19, off, s[0:3], 0 offset:148
	buffer_store_dword v18, off, s[0:3], 0 offset:144
	;; [unrolled: 1-line block ×8, first 2 shown]
	flat_load_dwordx4 v[26:29], v[14:15]
	flat_load_dwordx4 v[30:33], v[14:15] offset:16
	s_waitcnt vmcnt(0) lgkmcnt(0)
	buffer_store_dword v27, off, s[0:3], 0 offset:180
	buffer_store_dword v26, off, s[0:3], 0 offset:176
	;; [unrolled: 1-line block ×8, first 2 shown]
	flat_load_dwordx4 v[26:29], v[8:9]
	s_nop 0
	flat_load_dwordx4 v[30:33], v[8:9] offset:16
	buffer_load_dword v37, v4, s[0:3], 0 offen offset:28
	buffer_load_dword v36, v4, s[0:3], 0 offen offset:24
	buffer_load_dword v35, v4, s[0:3], 0 offen offset:20
	buffer_load_dword v34, v4, s[0:3], 0 offen offset:16
	buffer_load_dword v41, v4, s[0:3], 0 offen offset:12
	buffer_load_dword v40, v4, s[0:3], 0 offen offset:8
	buffer_load_dword v39, v4, s[0:3], 0 offen offset:4
	buffer_load_dword v38, v4, s[0:3], 0 offen
	s_waitcnt vmcnt(0) lgkmcnt(0)
	buffer_store_dword v27, off, s[0:3], 0 offset:212
	buffer_store_dword v26, off, s[0:3], 0 offset:208
	;; [unrolled: 1-line block ×8, first 2 shown]
	buffer_load_dword v26, v1, s[0:3], 0 offen offset:16
	buffer_load_dword v27, v1, s[0:3], 0 offen offset:20
	;; [unrolled: 1-line block ×4, first 2 shown]
	buffer_load_dword v30, v1, s[0:3], 0 offen
	buffer_load_dword v31, v1, s[0:3], 0 offen offset:4
	buffer_load_dword v32, v1, s[0:3], 0 offen offset:8
	;; [unrolled: 1-line block ×3, first 2 shown]
	ds_write_b128 v5, v[22:25] offset:16
	ds_write_b128 v5, v[18:21]
	ds_write_b128 v5, v[38:41] offset:8192
	ds_write_b128 v5, v[34:37] offset:8208
	s_waitcnt vmcnt(4)
	ds_write_b128 v5, v[26:29] offset:16400
	s_waitcnt vmcnt(0)
	ds_write_b128 v5, v[30:33] offset:16384
	s_waitcnt lgkmcnt(0)
	s_barrier
	ds_read_b128 v[6:9], v11
	ds_read_b128 v[18:21], v11 offset:16
	ds_read_b128 v[22:25], v11 offset:32
	;; [unrolled: 1-line block ×5, first 2 shown]
	buffer_store_byte v2, off, s[0:3], 0 offset:320
	buffer_store_byte v3, off, s[0:3], 0 offset:356
	s_waitcnt lgkmcnt(3)
	buffer_store_dword v25, v4, s[0:3], 0 offen offset:12
	buffer_store_dword v24, v4, s[0:3], 0 offen offset:8
	;; [unrolled: 1-line block ×3, first 2 shown]
	buffer_store_dword v22, v4, s[0:3], 0 offen
	s_waitcnt lgkmcnt(2)
	buffer_store_dword v29, v4, s[0:3], 0 offen offset:28
	buffer_store_dword v28, v4, s[0:3], 0 offen offset:24
	;; [unrolled: 1-line block ×4, first 2 shown]
	s_waitcnt lgkmcnt(1)
	buffer_store_dword v33, v1, s[0:3], 0 offen offset:12
	buffer_store_dword v32, v1, s[0:3], 0 offen offset:8
	;; [unrolled: 1-line block ×3, first 2 shown]
	buffer_store_dword v30, v1, s[0:3], 0 offen
	s_waitcnt lgkmcnt(0)
	buffer_store_dword v37, v1, s[0:3], 0 offen offset:28
	buffer_store_dword v36, v1, s[0:3], 0 offen offset:24
	;; [unrolled: 1-line block ×4, first 2 shown]
	buffer_store_dword v9, off, s[0:3], 0 offset:300
	buffer_store_dword v8, off, s[0:3], 0 offset:296
	;; [unrolled: 1-line block ×8, first 2 shown]
	buffer_store_dword v29, v13, s[0:3], 0 offen offset:28
	buffer_store_dword v28, v13, s[0:3], 0 offen offset:24
	;; [unrolled: 1-line block ×7, first 2 shown]
	buffer_store_dword v22, v13, s[0:3], 0 offen
	s_and_saveexec_b64 s[14:15], s[48:49]
	s_cbranch_execnz .LBB2129_19
	s_branch .LBB2129_20
.LBB2129_334:
	s_cbranch_execz .LBB2129_480
; %bb.335:
	s_cmp_lg_u64 s[34:35], 0
	s_cselect_b32 s13, s39, 0
	s_cselect_b32 s12, s38, 0
	s_cmp_lg_u64 s[12:13], 0
	s_cselect_b64 s[4:5], -1, 0
	s_and_b64 s[14:15], s[10:11], s[4:5]
	s_and_saveexec_b64 s[4:5], s[14:15]
	s_cbranch_execz .LBB2129_345
; %bb.336:
	buffer_load_ubyte v8, off, s[0:3], 0 offset:320
                                        ; implicit-def: $vgpr2_vgpr3
                                        ; implicit-def: $vgpr6_vgpr7
                                        ; implicit-def: $vgpr4_vgpr5
                                        ; implicit-def: $vgpr0_vgpr1
	s_waitcnt vmcnt(0)
	v_cmp_ne_u16_e32 vcc, 0, v8
	s_and_saveexec_b64 s[14:15], vcc
	s_xor_b64 s[14:15], exec, s[14:15]
	s_cbranch_execz .LBB2129_338
; %bb.337:
	buffer_load_dword v0, off, s[0:3], 0 offset:288
	buffer_load_dword v1, off, s[0:3], 0 offset:292
	;; [unrolled: 1-line block ×8, first 2 shown]
.LBB2129_338:
	s_andn2_saveexec_b64 s[14:15], s[14:15]
	s_cbranch_execz .LBB2129_344
; %bb.339:
	s_mov_b32 s16, 0
	s_waitcnt vmcnt(7)
	v_mov_b32_e32 v0, 0x90
	s_waitcnt vmcnt(6)
	v_mov_b32_e32 v1, 0
	s_waitcnt vmcnt(0)
.LBB2129_340:                           ; =>This Inner Loop Header: Depth=1
	v_add_u32_e32 v2, s16, v0
	s_add_i32 s16, s16, 8
	s_cmp_lg_u32 s16, 32
	buffer_store_dword v1, v2, s[0:3], 0 offen offset:4
	buffer_store_dword v1, v2, s[0:3], 0 offen
	s_cbranch_scc1 .LBB2129_340
; %bb.341:
	s_mov_b32 s20, 0
	v_mov_b32_e32 v0, 0
	v_mov_b32_e32 v1, 0x120
	;; [unrolled: 1-line block ×3, first 2 shown]
	s_mov_b64 s[16:17], s[12:13]
.LBB2129_342:                           ; =>This Inner Loop Header: Depth=1
	v_add_u32_e32 v3, s20, v1
	global_load_dwordx2 v[4:5], v0, s[16:17]
	buffer_load_dword v6, v3, s[0:3], 0 offen
	buffer_load_dword v7, v3, s[0:3], 0 offen offset:4
	s_add_u32 s16, s16, 8
                                        ; kill: killed $vgpr3
	v_add_u32_e32 v3, s20, v2
	s_addc_u32 s17, s17, 0
	s_add_i32 s20, s20, 8
	s_cmp_lg_u32 s20, 32
	s_waitcnt vmcnt(1)
	v_add_u32_e32 v4, v6, v4
	s_waitcnt vmcnt(0)
	v_add_u32_e32 v5, v7, v5
	buffer_store_dword v5, v3, s[0:3], 0 offen offset:4
	buffer_store_dword v4, v3, s[0:3], 0 offen
	s_cbranch_scc1 .LBB2129_342
; %bb.343:
	buffer_load_dword v0, off, s[0:3], 0 offset:144
	buffer_load_dword v1, off, s[0:3], 0 offset:148
	;; [unrolled: 1-line block ×8, first 2 shown]
.LBB2129_344:
	s_or_b64 exec, exec, s[14:15]
	v_mov_b32_e32 v9, 0
	global_load_ubyte v9, v9, s[12:13] offset:32
	s_waitcnt vmcnt(7)
	buffer_store_dword v1, off, s[0:3], 0 offset:292
	buffer_store_dword v0, off, s[0:3], 0 offset:288
	s_waitcnt vmcnt(7)
	buffer_store_dword v5, off, s[0:3], 0 offset:300
	buffer_store_dword v4, off, s[0:3], 0 offset:296
	;; [unrolled: 3-line block ×3, first 2 shown]
	s_waitcnt vmcnt(7)
	buffer_store_dword v3, off, s[0:3], 0 offset:316
	s_waitcnt vmcnt(7)
	v_or_b32_e32 v0, v8, v9
	v_and_b32_e32 v0, 1, v0
	buffer_store_dword v2, off, s[0:3], 0 offset:312
	buffer_store_byte v0, off, s[0:3], 0 offset:320
.LBB2129_345:
	s_or_b64 exec, exec, s[4:5]
	v_mov_b32_e32 v0, 0
	s_mov_b32 s4, 0
	v_mov_b32_e32 v1, 0x6c
	buffer_store_dword v0, off, s[0:3], 0 offset:136
	buffer_store_dword v0, off, s[0:3], 0 offset:132
	buffer_store_dword v0, off, s[0:3], 0 offset:128
	buffer_store_dword v0, off, s[0:3], 0 offset:124
	buffer_store_dword v0, off, s[0:3], 0 offset:120
	buffer_store_dword v0, off, s[0:3], 0 offset:116
	buffer_store_dword v0, off, s[0:3], 0 offset:112
	buffer_store_dword v0, off, s[0:3], 0 offset:108
	buffer_store_dword v0, off, s[0:3], 0 offset:140
.LBB2129_346:                           ; =>This Inner Loop Header: Depth=1
	v_add_u32_e32 v2, s4, v1
	s_add_i32 s4, s4, 8
	s_cmp_lg_u32 s4, 32
	buffer_store_dword v0, v2, s[0:3], 0 offen offset:4
	buffer_store_dword v0, v2, s[0:3], 0 offen
	s_cbranch_scc1 .LBB2129_346
; %bb.347:
	s_mov_b32 s4, 0
	v_mov_b32_e32 v0, 0
	v_mov_b32_e32 v1, 0x90
	buffer_store_byte v0, off, s[0:3], 0 offset:140
	buffer_store_dword v0, off, s[0:3], 0 offset:176
.LBB2129_348:                           ; =>This Inner Loop Header: Depth=1
	v_add_u32_e32 v2, s4, v1
	s_add_i32 s4, s4, 8
	s_cmp_lg_u32 s4, 32
	buffer_store_dword v0, v2, s[0:3], 0 offen offset:4
	buffer_store_dword v0, v2, s[0:3], 0 offen
	s_cbranch_scc1 .LBB2129_348
; %bb.349:
	buffer_load_dword v0, off, s[0:3], 0 offset:300
	buffer_load_dword v1, off, s[0:3], 0 offset:296
	;; [unrolled: 1-line block ×8, first 2 shown]
	buffer_load_ubyte v9, off, s[0:3], 0 offset:356
	buffer_load_ubyte v8, off, s[0:3], 0 offset:320
	s_waitcnt vmcnt(9)
	buffer_store_dword v0, off, s[0:3], 0 offset:156
	s_waitcnt vmcnt(9)
	buffer_store_dword v1, off, s[0:3], 0 offset:152
	;; [unrolled: 2-line block ×8, first 2 shown]
	s_waitcnt vmcnt(9)
	v_cmp_ne_u16_e32 vcc, 0, v9
                                        ; implicit-def: $vgpr6_vgpr7
                                        ; implicit-def: $vgpr4_vgpr5
                                        ; implicit-def: $vgpr2_vgpr3
                                        ; implicit-def: $vgpr0_vgpr1
	s_and_saveexec_b64 s[4:5], vcc
	s_xor_b64 s[4:5], exec, s[4:5]
	s_cbranch_execz .LBB2129_351
; %bb.350:
	buffer_load_dword v0, off, s[0:3], 0 offset:324
	buffer_load_dword v1, off, s[0:3], 0 offset:328
	buffer_load_dword v2, off, s[0:3], 0 offset:332
	buffer_load_dword v3, off, s[0:3], 0 offset:336
	buffer_load_dword v4, off, s[0:3], 0 offset:340
	buffer_load_dword v5, off, s[0:3], 0 offset:344
	buffer_load_dword v6, off, s[0:3], 0 offset:348
	buffer_load_dword v7, off, s[0:3], 0 offset:352
.LBB2129_351:
	s_andn2_saveexec_b64 s[4:5], s[4:5]
	s_cbranch_execz .LBB2129_357
; %bb.352:
	s_mov_b32 s12, 0
	s_waitcnt vmcnt(7)
	v_mov_b32_e32 v0, 0
	s_waitcnt vmcnt(6)
	v_mov_b32_e32 v1, 0
	s_waitcnt vmcnt(0)
.LBB2129_353:                           ; =>This Inner Loop Header: Depth=1
	v_add_u32_e32 v2, s12, v0
	s_add_i32 s12, s12, 8
	s_cmp_lg_u32 s12, 32
	buffer_store_dword v1, v2, s[0:3], 0 offen offset:4
	buffer_store_dword v1, v2, s[0:3], 0 offen
	s_cbranch_scc1 .LBB2129_353
; %bb.354:
	s_mov_b32 s12, 0
	v_mov_b32_e32 v0, 0x90
	v_mov_b32_e32 v1, 0x120
	;; [unrolled: 1-line block ×3, first 2 shown]
.LBB2129_355:                           ; =>This Inner Loop Header: Depth=1
	v_add_u32_e32 v3, s12, v0
	v_add_u32_e32 v4, s12, v1
	buffer_load_dword v5, v3, s[0:3], 0 offen offset:4
	buffer_load_dword v6, v4, s[0:3], 0 offen offset:36
	buffer_load_dword v7, v3, s[0:3], 0 offen
	buffer_load_dword v11, v4, s[0:3], 0 offen offset:40
                                        ; kill: killed $vgpr3
	v_add_u32_e32 v3, s12, v2
	s_add_i32 s12, s12, 8
	s_cmp_lg_u32 s12, 32
                                        ; kill: killed $vgpr4
	s_waitcnt vmcnt(1)
	v_add_u32_e32 v4, v6, v7
	s_waitcnt vmcnt(0)
	v_add_u32_e32 v5, v11, v5
	buffer_store_dword v5, v3, s[0:3], 0 offen offset:4
	buffer_store_dword v4, v3, s[0:3], 0 offen
	s_cbranch_scc1 .LBB2129_355
; %bb.356:
	buffer_load_dword v0, off, s[0:3], 0
	buffer_load_dword v1, off, s[0:3], 0 offset:4
	buffer_load_dword v2, off, s[0:3], 0 offset:8
	;; [unrolled: 1-line block ×7, first 2 shown]
.LBB2129_357:
	s_or_b64 exec, exec, s[4:5]
	buffer_load_ubyte v11, off, s[0:3], 0 offset:392
	s_waitcnt vmcnt(7)
	buffer_store_dword v1, off, s[0:3], 0 offset:148
	buffer_store_dword v0, off, s[0:3], 0 offset:144
	s_waitcnt vmcnt(7)
	buffer_store_dword v3, off, s[0:3], 0 offset:156
	buffer_store_dword v2, off, s[0:3], 0 offset:152
	;; [unrolled: 3-line block ×4, first 2 shown]
                                        ; implicit-def: $vgpr6_vgpr7
                                        ; implicit-def: $vgpr4_vgpr5
                                        ; implicit-def: $vgpr2_vgpr3
                                        ; implicit-def: $vgpr0_vgpr1
	s_waitcnt vmcnt(8)
	v_cmp_ne_u16_e32 vcc, 0, v11
	s_and_saveexec_b64 s[4:5], vcc
	s_xor_b64 s[4:5], exec, s[4:5]
	s_cbranch_execz .LBB2129_359
; %bb.358:
	buffer_load_dword v0, off, s[0:3], 0 offset:360
	buffer_load_dword v1, off, s[0:3], 0 offset:364
	;; [unrolled: 1-line block ×8, first 2 shown]
.LBB2129_359:
	s_andn2_saveexec_b64 s[4:5], s[4:5]
	s_cbranch_execz .LBB2129_365
; %bb.360:
	s_mov_b32 s12, 0
	s_waitcnt vmcnt(7)
	v_mov_b32_e32 v0, 0
	s_waitcnt vmcnt(6)
	v_mov_b32_e32 v1, 0
	s_waitcnt vmcnt(0)
.LBB2129_361:                           ; =>This Inner Loop Header: Depth=1
	v_add_u32_e32 v2, s12, v0
	s_add_i32 s12, s12, 8
	s_cmp_lg_u32 s12, 32
	buffer_store_dword v1, v2, s[0:3], 0 offen offset:4
	buffer_store_dword v1, v2, s[0:3], 0 offen
	s_cbranch_scc1 .LBB2129_361
; %bb.362:
	s_mov_b32 s12, 0
	v_mov_b32_e32 v0, 0x90
	v_mov_b32_e32 v1, 0x120
	;; [unrolled: 1-line block ×3, first 2 shown]
.LBB2129_363:                           ; =>This Inner Loop Header: Depth=1
	v_add_u32_e32 v3, s12, v0
	v_add_u32_e32 v4, s12, v1
	buffer_load_dword v5, v3, s[0:3], 0 offen offset:4
	buffer_load_dword v6, v4, s[0:3], 0 offen offset:72
	buffer_load_dword v7, v3, s[0:3], 0 offen
	buffer_load_dword v12, v4, s[0:3], 0 offen offset:76
                                        ; kill: killed $vgpr3
	v_add_u32_e32 v3, s12, v2
	s_add_i32 s12, s12, 8
	s_cmp_lg_u32 s12, 32
                                        ; kill: killed $vgpr4
	s_waitcnt vmcnt(1)
	v_add_u32_e32 v4, v6, v7
	s_waitcnt vmcnt(0)
	v_add_u32_e32 v5, v12, v5
	buffer_store_dword v5, v3, s[0:3], 0 offen offset:4
	buffer_store_dword v4, v3, s[0:3], 0 offen
	s_cbranch_scc1 .LBB2129_363
; %bb.364:
	buffer_load_dword v0, off, s[0:3], 0
	buffer_load_dword v1, off, s[0:3], 0 offset:4
	buffer_load_dword v2, off, s[0:3], 0 offset:8
	;; [unrolled: 1-line block ×7, first 2 shown]
.LBB2129_365:
	s_or_b64 exec, exec, s[4:5]
	buffer_load_ushort v12, off, s[0:3], 0 offset:177
	buffer_load_sbyte v14, off, s[0:3], 0 offset:179
	v_or_b32_e32 v9, v11, v9
	s_waitcnt vmcnt(9)
	v_mov_b32_dpp v15, v0 row_shr:1 row_mask:0xf bank_mask:0xf
	v_or_b32_e32 v8, v9, v8
	v_mbcnt_lo_u32_b32 v11, -1, 0
	s_waitcnt vmcnt(8)
	buffer_store_dword v1, off, s[0:3], 0 offset:76
	buffer_store_dword v0, off, s[0:3], 0 offset:72
	s_waitcnt vmcnt(8)
	buffer_store_dword v3, off, s[0:3], 0 offset:84
	buffer_store_dword v2, off, s[0:3], 0 offset:80
	;; [unrolled: 3-line block ×4, first 2 shown]
	v_mov_b32_dpp v17, v1 row_shr:1 row_mask:0xf bank_mask:0xf
	v_mov_b32_dpp v18, v2 row_shr:1 row_mask:0xf bank_mask:0xf
	;; [unrolled: 1-line block ×7, first 2 shown]
	buffer_store_dword v15, off, s[0:3], 0 offset:144
	buffer_store_dword v17, off, s[0:3], 0 offset:148
	;; [unrolled: 1-line block ×8, first 2 shown]
	v_and_b32_e32 v8, 1, v8
	v_mbcnt_hi_u32_b32 v11, -1, v11
	v_and_b32_e32 v9, 15, v11
	v_cmp_ne_u32_e32 vcc, 0, v9
	s_waitcnt vmcnt(17)
	v_lshrrev_b32_e32 v15, 8, v12
	v_lshlrev_b16_e32 v12, 8, v12
	s_waitcnt vmcnt(16)
	v_lshlrev_b16_e32 v14, 8, v14
	v_or_b32_e32 v8, v8, v12
	v_or_b32_sdwa v12, v15, v14 dst_sel:WORD_1 dst_unused:UNUSED_PAD src0_sel:BYTE_0 src1_sel:DWORD
	v_or_b32_sdwa v12, v8, v12 dst_sel:DWORD dst_unused:UNUSED_PAD src0_sel:WORD_0 src1_sel:DWORD
	buffer_store_dword v12, off, s[0:3], 0 offset:104
	s_nop 0
	v_mov_b32_dpp v14, v12 row_shr:1 row_mask:0xf bank_mask:0xf
	buffer_store_dword v14, off, s[0:3], 0 offset:176
	s_and_saveexec_b64 s[4:5], vcc
	s_cbranch_execz .LBB2129_373
; %bb.366:
	v_mov_b32_e32 v15, 0
	v_cmp_eq_u16_sdwa s[14:15], v8, v15 src0_sel:BYTE_0 src1_sel:DWORD
	s_and_saveexec_b64 s[12:13], s[14:15]
	s_cbranch_execz .LBB2129_372
; %bb.367:
	s_mov_b32 s14, 0
	v_mov_b32_e32 v0, 0
.LBB2129_368:                           ; =>This Inner Loop Header: Depth=1
	v_add_u32_e32 v1, s14, v0
	s_add_i32 s14, s14, 8
	s_cmp_lg_u32 s14, 32
	buffer_store_dword v15, v1, s[0:3], 0 offen offset:4
	buffer_store_dword v15, v1, s[0:3], 0 offen
	s_cbranch_scc1 .LBB2129_368
; %bb.369:
	s_mov_b32 s14, 0
	v_mov_b32_e32 v0, 0x90
	v_mov_b32_e32 v1, 0x48
	;; [unrolled: 1-line block ×3, first 2 shown]
.LBB2129_370:                           ; =>This Inner Loop Header: Depth=1
	v_add_u32_e32 v3, s14, v0
	v_add_u32_e32 v4, s14, v1
	buffer_load_dword v5, v3, s[0:3], 0 offen offset:4
	buffer_load_dword v6, v4, s[0:3], 0 offen
	buffer_load_dword v7, v3, s[0:3], 0 offen
	buffer_load_dword v8, v4, s[0:3], 0 offen offset:4
                                        ; kill: killed $vgpr3
	v_add_u32_e32 v3, s14, v2
	s_add_i32 s14, s14, 8
	s_cmp_lg_u32 s14, 32
                                        ; kill: killed $vgpr4
	s_waitcnt vmcnt(1)
	v_add_u32_e32 v4, v6, v7
	s_waitcnt vmcnt(0)
	v_add_u32_e32 v5, v8, v5
	buffer_store_dword v5, v3, s[0:3], 0 offen offset:4
	buffer_store_dword v4, v3, s[0:3], 0 offen
	s_cbranch_scc1 .LBB2129_370
; %bb.371:
	buffer_load_dword v0, off, s[0:3], 0
	buffer_load_dword v1, off, s[0:3], 0 offset:4
	buffer_load_dword v2, off, s[0:3], 0 offset:8
	;; [unrolled: 1-line block ×7, first 2 shown]
.LBB2129_372:
	s_or_b64 exec, exec, s[12:13]
	v_or_b32_e32 v8, v14, v12
	v_and_b32_e32 v8, 1, v8
	buffer_store_byte v8, off, s[0:3], 0 offset:104
	buffer_load_dword v12, off, s[0:3], 0 offset:104
	s_waitcnt vmcnt(8)
	buffer_store_dword v1, off, s[0:3], 0 offset:76
	buffer_store_dword v0, off, s[0:3], 0 offset:72
	s_waitcnt vmcnt(8)
	buffer_store_dword v3, off, s[0:3], 0 offset:84
	buffer_store_dword v2, off, s[0:3], 0 offset:80
	;; [unrolled: 3-line block ×4, first 2 shown]
	s_waitcnt vmcnt(8)
	v_mov_b32_e32 v8, v12
.LBB2129_373:
	s_or_b64 exec, exec, s[4:5]
	v_mov_b32_dpp v15, v0 row_shr:2 row_mask:0xf bank_mask:0xf
	v_mov_b32_dpp v14, v12 row_shr:2 row_mask:0xf bank_mask:0xf
	v_cmp_lt_u32_e32 vcc, 1, v9
	v_mov_b32_dpp v17, v1 row_shr:2 row_mask:0xf bank_mask:0xf
	v_mov_b32_dpp v18, v2 row_shr:2 row_mask:0xf bank_mask:0xf
	;; [unrolled: 1-line block ×7, first 2 shown]
	buffer_store_dword v15, off, s[0:3], 0 offset:144
	buffer_store_dword v17, off, s[0:3], 0 offset:148
	;; [unrolled: 1-line block ×9, first 2 shown]
	s_and_saveexec_b64 s[12:13], vcc
	s_cbranch_execz .LBB2129_381
; %bb.374:
	v_mov_b32_e32 v12, 0
	s_mov_b32 s14, 0
	v_cmp_eq_u16_sdwa s[16:17], v8, v12 src0_sel:BYTE_0 src1_sel:DWORD
	s_and_saveexec_b64 s[4:5], s[16:17]
	s_cbranch_execz .LBB2129_380
; %bb.375:
	v_mov_b32_e32 v0, 0
.LBB2129_376:                           ; =>This Inner Loop Header: Depth=1
	v_add_u32_e32 v1, s14, v0
	s_add_i32 s14, s14, 8
	s_cmp_lg_u32 s14, 32
	buffer_store_dword v12, v1, s[0:3], 0 offen offset:4
	buffer_store_dword v12, v1, s[0:3], 0 offen
	s_cbranch_scc1 .LBB2129_376
; %bb.377:
	s_mov_b32 s14, 0
	v_mov_b32_e32 v0, 0x90
	v_mov_b32_e32 v1, 0x48
	;; [unrolled: 1-line block ×3, first 2 shown]
.LBB2129_378:                           ; =>This Inner Loop Header: Depth=1
	v_add_u32_e32 v3, s14, v0
	v_add_u32_e32 v4, s14, v1
	buffer_load_dword v5, v3, s[0:3], 0 offen offset:4
	buffer_load_dword v6, v4, s[0:3], 0 offen
	buffer_load_dword v7, v3, s[0:3], 0 offen
	buffer_load_dword v12, v4, s[0:3], 0 offen offset:4
                                        ; kill: killed $vgpr3
	v_add_u32_e32 v3, s14, v2
	s_add_i32 s14, s14, 8
	s_cmp_lg_u32 s14, 32
                                        ; kill: killed $vgpr4
	s_waitcnt vmcnt(1)
	v_add_u32_e32 v4, v6, v7
	s_waitcnt vmcnt(0)
	v_add_u32_e32 v5, v12, v5
	buffer_store_dword v5, v3, s[0:3], 0 offen offset:4
	buffer_store_dword v4, v3, s[0:3], 0 offen
	s_cbranch_scc1 .LBB2129_378
; %bb.379:
	buffer_load_dword v0, off, s[0:3], 0
	buffer_load_dword v1, off, s[0:3], 0 offset:4
	buffer_load_dword v2, off, s[0:3], 0 offset:8
	;; [unrolled: 1-line block ×7, first 2 shown]
.LBB2129_380:
	s_or_b64 exec, exec, s[4:5]
	v_and_b32_e32 v8, 1, v8
	v_cmp_eq_u32_e32 vcc, 1, v8
	v_and_b32_e32 v8, 1, v14
	v_cmp_eq_u32_e64 s[4:5], 1, v8
	s_or_b64 s[4:5], vcc, s[4:5]
	v_cndmask_b32_e64 v8, 0, 1, s[4:5]
	buffer_store_byte v8, off, s[0:3], 0 offset:104
	buffer_load_dword v12, off, s[0:3], 0 offset:104
	s_waitcnt vmcnt(8)
	buffer_store_dword v1, off, s[0:3], 0 offset:76
	buffer_store_dword v0, off, s[0:3], 0 offset:72
	s_waitcnt vmcnt(8)
	buffer_store_dword v3, off, s[0:3], 0 offset:84
	buffer_store_dword v2, off, s[0:3], 0 offset:80
	;; [unrolled: 3-line block ×4, first 2 shown]
	s_waitcnt vmcnt(8)
	v_mov_b32_e32 v8, v12
.LBB2129_381:
	s_or_b64 exec, exec, s[12:13]
	v_mov_b32_dpp v15, v0 row_shr:4 row_mask:0xf bank_mask:0xf
	v_mov_b32_dpp v14, v12 row_shr:4 row_mask:0xf bank_mask:0xf
	v_cmp_lt_u32_e32 vcc, 3, v9
	v_mov_b32_dpp v17, v1 row_shr:4 row_mask:0xf bank_mask:0xf
	v_mov_b32_dpp v18, v2 row_shr:4 row_mask:0xf bank_mask:0xf
	;; [unrolled: 1-line block ×7, first 2 shown]
	buffer_store_dword v15, off, s[0:3], 0 offset:144
	buffer_store_dword v17, off, s[0:3], 0 offset:148
	;; [unrolled: 1-line block ×9, first 2 shown]
	s_and_saveexec_b64 s[12:13], vcc
	s_cbranch_execz .LBB2129_389
; %bb.382:
	v_mov_b32_e32 v12, 0
	s_mov_b32 s14, 0
	v_cmp_eq_u16_sdwa s[16:17], v8, v12 src0_sel:BYTE_0 src1_sel:DWORD
	s_and_saveexec_b64 s[4:5], s[16:17]
	s_cbranch_execz .LBB2129_388
; %bb.383:
	v_mov_b32_e32 v0, 0
.LBB2129_384:                           ; =>This Inner Loop Header: Depth=1
	v_add_u32_e32 v1, s14, v0
	s_add_i32 s14, s14, 8
	s_cmp_lg_u32 s14, 32
	buffer_store_dword v12, v1, s[0:3], 0 offen offset:4
	buffer_store_dword v12, v1, s[0:3], 0 offen
	s_cbranch_scc1 .LBB2129_384
; %bb.385:
	s_mov_b32 s14, 0
	v_mov_b32_e32 v0, 0x90
	v_mov_b32_e32 v1, 0x48
	;; [unrolled: 1-line block ×3, first 2 shown]
.LBB2129_386:                           ; =>This Inner Loop Header: Depth=1
	v_add_u32_e32 v3, s14, v0
	v_add_u32_e32 v4, s14, v1
	buffer_load_dword v5, v3, s[0:3], 0 offen offset:4
	buffer_load_dword v6, v4, s[0:3], 0 offen
	buffer_load_dword v7, v3, s[0:3], 0 offen
	buffer_load_dword v12, v4, s[0:3], 0 offen offset:4
                                        ; kill: killed $vgpr3
	v_add_u32_e32 v3, s14, v2
	s_add_i32 s14, s14, 8
	s_cmp_lg_u32 s14, 32
                                        ; kill: killed $vgpr4
	s_waitcnt vmcnt(1)
	v_add_u32_e32 v4, v6, v7
	s_waitcnt vmcnt(0)
	v_add_u32_e32 v5, v12, v5
	buffer_store_dword v5, v3, s[0:3], 0 offen offset:4
	buffer_store_dword v4, v3, s[0:3], 0 offen
	s_cbranch_scc1 .LBB2129_386
; %bb.387:
	buffer_load_dword v0, off, s[0:3], 0
	buffer_load_dword v1, off, s[0:3], 0 offset:4
	buffer_load_dword v2, off, s[0:3], 0 offset:8
	;; [unrolled: 1-line block ×7, first 2 shown]
.LBB2129_388:
	s_or_b64 exec, exec, s[4:5]
	v_and_b32_e32 v8, 1, v8
	v_cmp_eq_u32_e32 vcc, 1, v8
	v_and_b32_e32 v8, 1, v14
	v_cmp_eq_u32_e64 s[4:5], 1, v8
	s_or_b64 s[4:5], vcc, s[4:5]
	v_cndmask_b32_e64 v8, 0, 1, s[4:5]
	buffer_store_byte v8, off, s[0:3], 0 offset:104
	buffer_load_dword v12, off, s[0:3], 0 offset:104
	s_waitcnt vmcnt(8)
	buffer_store_dword v1, off, s[0:3], 0 offset:76
	buffer_store_dword v0, off, s[0:3], 0 offset:72
	s_waitcnt vmcnt(8)
	buffer_store_dword v3, off, s[0:3], 0 offset:84
	buffer_store_dword v2, off, s[0:3], 0 offset:80
	s_waitcnt vmcnt(8)
	buffer_store_dword v5, off, s[0:3], 0 offset:92
	buffer_store_dword v4, off, s[0:3], 0 offset:88
	s_waitcnt vmcnt(8)
	buffer_store_dword v7, off, s[0:3], 0 offset:100
	buffer_store_dword v6, off, s[0:3], 0 offset:96
	s_waitcnt vmcnt(8)
	v_mov_b32_e32 v8, v12
.LBB2129_389:
	s_or_b64 exec, exec, s[12:13]
	v_mov_b32_dpp v15, v0 row_shr:8 row_mask:0xf bank_mask:0xf
	v_mov_b32_dpp v14, v12 row_shr:8 row_mask:0xf bank_mask:0xf
	v_cmp_lt_u32_e32 vcc, 7, v9
	v_mov_b32_dpp v17, v1 row_shr:8 row_mask:0xf bank_mask:0xf
	v_mov_b32_dpp v18, v2 row_shr:8 row_mask:0xf bank_mask:0xf
	;; [unrolled: 1-line block ×7, first 2 shown]
	buffer_store_dword v15, off, s[0:3], 0 offset:144
	buffer_store_dword v17, off, s[0:3], 0 offset:148
	;; [unrolled: 1-line block ×9, first 2 shown]
	s_and_saveexec_b64 s[12:13], vcc
	s_cbranch_execz .LBB2129_397
; %bb.390:
	v_mov_b32_e32 v9, 0
	s_mov_b32 s14, 0
	v_cmp_eq_u16_sdwa s[16:17], v8, v9 src0_sel:BYTE_0 src1_sel:DWORD
	s_and_saveexec_b64 s[4:5], s[16:17]
	s_cbranch_execz .LBB2129_396
; %bb.391:
	v_mov_b32_e32 v0, 0
.LBB2129_392:                           ; =>This Inner Loop Header: Depth=1
	v_add_u32_e32 v1, s14, v0
	s_add_i32 s14, s14, 8
	s_cmp_lg_u32 s14, 32
	buffer_store_dword v9, v1, s[0:3], 0 offen offset:4
	buffer_store_dword v9, v1, s[0:3], 0 offen
	s_cbranch_scc1 .LBB2129_392
; %bb.393:
	s_mov_b32 s14, 0
	v_mov_b32_e32 v0, 0x90
	v_mov_b32_e32 v1, 0x48
	;; [unrolled: 1-line block ×3, first 2 shown]
.LBB2129_394:                           ; =>This Inner Loop Header: Depth=1
	v_add_u32_e32 v3, s14, v0
	v_add_u32_e32 v4, s14, v1
	buffer_load_dword v5, v3, s[0:3], 0 offen offset:4
	buffer_load_dword v6, v4, s[0:3], 0 offen
	buffer_load_dword v7, v3, s[0:3], 0 offen
	buffer_load_dword v9, v4, s[0:3], 0 offen offset:4
                                        ; kill: killed $vgpr3
	v_add_u32_e32 v3, s14, v2
	s_add_i32 s14, s14, 8
	s_cmp_lg_u32 s14, 32
                                        ; kill: killed $vgpr4
	s_waitcnt vmcnt(1)
	v_add_u32_e32 v4, v6, v7
	s_waitcnt vmcnt(0)
	v_add_u32_e32 v5, v9, v5
	buffer_store_dword v5, v3, s[0:3], 0 offen offset:4
	buffer_store_dword v4, v3, s[0:3], 0 offen
	s_cbranch_scc1 .LBB2129_394
; %bb.395:
	buffer_load_dword v0, off, s[0:3], 0
	buffer_load_dword v1, off, s[0:3], 0 offset:4
	buffer_load_dword v2, off, s[0:3], 0 offset:8
	;; [unrolled: 1-line block ×7, first 2 shown]
.LBB2129_396:
	s_or_b64 exec, exec, s[4:5]
	v_and_b32_e32 v8, 1, v8
	v_cmp_eq_u32_e32 vcc, 1, v8
	v_and_b32_e32 v8, 1, v14
	v_cmp_eq_u32_e64 s[4:5], 1, v8
	s_or_b64 s[4:5], vcc, s[4:5]
	v_cndmask_b32_e64 v8, 0, 1, s[4:5]
	buffer_store_byte v8, off, s[0:3], 0 offset:104
	buffer_load_dword v12, off, s[0:3], 0 offset:104
	s_waitcnt vmcnt(8)
	buffer_store_dword v1, off, s[0:3], 0 offset:76
	buffer_store_dword v0, off, s[0:3], 0 offset:72
	s_waitcnt vmcnt(8)
	buffer_store_dword v3, off, s[0:3], 0 offset:84
	buffer_store_dword v2, off, s[0:3], 0 offset:80
	;; [unrolled: 3-line block ×4, first 2 shown]
	s_waitcnt vmcnt(8)
	v_mov_b32_e32 v8, v12
.LBB2129_397:
	s_or_b64 exec, exec, s[12:13]
	v_mov_b32_dpp v14, v0 row_bcast:15 row_mask:0xf bank_mask:0xf
	v_mov_b32_dpp v15, v1 row_bcast:15 row_mask:0xf bank_mask:0xf
	;; [unrolled: 1-line block ×9, first 2 shown]
	buffer_store_dword v14, off, s[0:3], 0 offset:144
	buffer_store_dword v15, off, s[0:3], 0 offset:148
	;; [unrolled: 1-line block ×9, first 2 shown]
	v_and_b32_e32 v14, 16, v11
	v_cmp_ne_u32_e32 vcc, 0, v14
	s_and_saveexec_b64 s[12:13], vcc
	s_cbranch_execz .LBB2129_405
; %bb.398:
	v_mov_b32_e32 v12, 0
	s_mov_b32 s14, 0
	v_cmp_eq_u16_sdwa s[16:17], v8, v12 src0_sel:BYTE_0 src1_sel:DWORD
	s_and_saveexec_b64 s[4:5], s[16:17]
	s_cbranch_execz .LBB2129_404
; %bb.399:
	v_mov_b32_e32 v0, 0
.LBB2129_400:                           ; =>This Inner Loop Header: Depth=1
	v_add_u32_e32 v1, s14, v0
	s_add_i32 s14, s14, 8
	s_cmp_lg_u32 s14, 32
	buffer_store_dword v12, v1, s[0:3], 0 offen offset:4
	buffer_store_dword v12, v1, s[0:3], 0 offen
	s_cbranch_scc1 .LBB2129_400
; %bb.401:
	s_mov_b32 s14, 0
	v_mov_b32_e32 v0, 0x90
	v_mov_b32_e32 v1, 0x48
	;; [unrolled: 1-line block ×3, first 2 shown]
.LBB2129_402:                           ; =>This Inner Loop Header: Depth=1
	v_add_u32_e32 v3, s14, v0
	v_add_u32_e32 v4, s14, v1
	buffer_load_dword v5, v3, s[0:3], 0 offen offset:4
	buffer_load_dword v6, v4, s[0:3], 0 offen
	buffer_load_dword v7, v3, s[0:3], 0 offen
	buffer_load_dword v12, v4, s[0:3], 0 offen offset:4
                                        ; kill: killed $vgpr3
	v_add_u32_e32 v3, s14, v2
	s_add_i32 s14, s14, 8
	s_cmp_lg_u32 s14, 32
                                        ; kill: killed $vgpr4
	s_waitcnt vmcnt(1)
	v_add_u32_e32 v4, v6, v7
	s_waitcnt vmcnt(0)
	v_add_u32_e32 v5, v12, v5
	buffer_store_dword v5, v3, s[0:3], 0 offen offset:4
	buffer_store_dword v4, v3, s[0:3], 0 offen
	s_cbranch_scc1 .LBB2129_402
; %bb.403:
	buffer_load_dword v0, off, s[0:3], 0
	buffer_load_dword v1, off, s[0:3], 0 offset:4
	buffer_load_dword v2, off, s[0:3], 0 offset:8
	buffer_load_dword v3, off, s[0:3], 0 offset:12
	buffer_load_dword v4, off, s[0:3], 0 offset:16
	buffer_load_dword v5, off, s[0:3], 0 offset:20
	buffer_load_dword v6, off, s[0:3], 0 offset:24
	buffer_load_dword v7, off, s[0:3], 0 offset:28
.LBB2129_404:
	s_or_b64 exec, exec, s[4:5]
	v_and_b32_e32 v8, 1, v8
	v_cmp_eq_u32_e32 vcc, 1, v8
	v_and_b32_e32 v8, 1, v9
	v_cmp_eq_u32_e64 s[4:5], 1, v8
	s_or_b64 s[4:5], vcc, s[4:5]
	v_cndmask_b32_e64 v8, 0, 1, s[4:5]
	buffer_store_byte v8, off, s[0:3], 0 offset:104
	buffer_load_dword v12, off, s[0:3], 0 offset:104
	s_waitcnt vmcnt(8)
	buffer_store_dword v1, off, s[0:3], 0 offset:76
	buffer_store_dword v0, off, s[0:3], 0 offset:72
	s_waitcnt vmcnt(8)
	buffer_store_dword v3, off, s[0:3], 0 offset:84
	buffer_store_dword v2, off, s[0:3], 0 offset:80
	;; [unrolled: 3-line block ×4, first 2 shown]
	s_waitcnt vmcnt(8)
	v_mov_b32_e32 v8, v12
.LBB2129_405:
	s_or_b64 exec, exec, s[12:13]
	v_mov_b32_dpp v14, v0 row_bcast:31 row_mask:0xf bank_mask:0xf
	v_mov_b32_dpp v9, v12 row_bcast:31 row_mask:0xf bank_mask:0xf
	v_cmp_lt_u32_e32 vcc, 31, v11
	v_mov_b32_dpp v15, v1 row_bcast:31 row_mask:0xf bank_mask:0xf
	v_mov_b32_dpp v17, v2 row_bcast:31 row_mask:0xf bank_mask:0xf
	;; [unrolled: 1-line block ×7, first 2 shown]
	buffer_store_dword v14, off, s[0:3], 0 offset:144
	buffer_store_dword v15, off, s[0:3], 0 offset:148
	;; [unrolled: 1-line block ×9, first 2 shown]
	s_and_saveexec_b64 s[12:13], vcc
	s_cbranch_execz .LBB2129_413
; %bb.406:
	v_mov_b32_e32 v12, 0
	s_mov_b32 s14, 0
	v_cmp_eq_u16_sdwa s[16:17], v8, v12 src0_sel:BYTE_0 src1_sel:DWORD
	s_and_saveexec_b64 s[4:5], s[16:17]
	s_cbranch_execz .LBB2129_412
; %bb.407:
	v_mov_b32_e32 v0, 0
.LBB2129_408:                           ; =>This Inner Loop Header: Depth=1
	v_add_u32_e32 v1, s14, v0
	s_add_i32 s14, s14, 8
	s_cmp_lg_u32 s14, 32
	buffer_store_dword v12, v1, s[0:3], 0 offen offset:4
	buffer_store_dword v12, v1, s[0:3], 0 offen
	s_cbranch_scc1 .LBB2129_408
; %bb.409:
	s_mov_b32 s14, 0
	v_mov_b32_e32 v0, 0x90
	v_mov_b32_e32 v1, 0x48
	;; [unrolled: 1-line block ×3, first 2 shown]
.LBB2129_410:                           ; =>This Inner Loop Header: Depth=1
	v_add_u32_e32 v3, s14, v0
	v_add_u32_e32 v4, s14, v1
	buffer_load_dword v5, v3, s[0:3], 0 offen offset:4
	buffer_load_dword v6, v4, s[0:3], 0 offen
	buffer_load_dword v7, v3, s[0:3], 0 offen
	buffer_load_dword v12, v4, s[0:3], 0 offen offset:4
                                        ; kill: killed $vgpr3
	v_add_u32_e32 v3, s14, v2
	s_add_i32 s14, s14, 8
	s_cmp_lg_u32 s14, 32
                                        ; kill: killed $vgpr4
	s_waitcnt vmcnt(1)
	v_add_u32_e32 v4, v6, v7
	s_waitcnt vmcnt(0)
	v_add_u32_e32 v5, v12, v5
	buffer_store_dword v5, v3, s[0:3], 0 offen offset:4
	buffer_store_dword v4, v3, s[0:3], 0 offen
	s_cbranch_scc1 .LBB2129_410
; %bb.411:
	buffer_load_dword v0, off, s[0:3], 0
	buffer_load_dword v1, off, s[0:3], 0 offset:4
	buffer_load_dword v2, off, s[0:3], 0 offset:8
	;; [unrolled: 1-line block ×7, first 2 shown]
.LBB2129_412:
	s_or_b64 exec, exec, s[4:5]
	v_and_b32_e32 v8, 1, v8
	v_cmp_eq_u32_e32 vcc, 1, v8
	v_and_b32_e32 v8, 1, v9
	v_cmp_eq_u32_e64 s[4:5], 1, v8
	s_or_b64 s[4:5], vcc, s[4:5]
	v_cndmask_b32_e64 v8, 0, 1, s[4:5]
	s_waitcnt vmcnt(6)
	buffer_store_dword v1, off, s[0:3], 0 offset:76
	buffer_store_dword v0, off, s[0:3], 0 offset:72
	s_waitcnt vmcnt(6)
	buffer_store_dword v3, off, s[0:3], 0 offset:84
	buffer_store_dword v2, off, s[0:3], 0 offset:80
	;; [unrolled: 3-line block ×4, first 2 shown]
	buffer_store_byte v8, off, s[0:3], 0 offset:104
.LBB2129_413:
	s_or_b64 exec, exec, s[12:13]
	v_or_b32_e32 v12, 63, v10
	v_lshrrev_b32_e32 v9, 6, v10
	v_cmp_eq_u32_e32 vcc, v12, v10
	s_and_saveexec_b64 s[4:5], vcc
	s_cbranch_execz .LBB2129_415
; %bb.414:
	v_mul_u32_u24_e32 v12, 36, v9
	ds_write2_b32 v12, v0, v1 offset1:1
	ds_write2_b32 v12, v2, v3 offset0:2 offset1:3
	ds_write2_b32 v12, v4, v5 offset0:4 offset1:5
	;; [unrolled: 1-line block ×3, first 2 shown]
	ds_write_b8 v12, v8 offset:32
.LBB2129_415:
	s_or_b64 exec, exec, s[4:5]
	v_cmp_gt_u32_e32 vcc, 4, v10
	s_waitcnt lgkmcnt(0)
	s_barrier
	s_and_saveexec_b64 s[12:13], vcc
	s_cbranch_execz .LBB2129_433
; %bb.416:
	v_mul_u32_u24_e32 v8, 36, v10
	ds_read_b32 v12, v8 offset:32
	ds_read2_b32 v[0:1], v8 offset0:6 offset1:7
	ds_read2_b32 v[2:3], v8 offset0:4 offset1:5
	ds_read2_b32 v[4:5], v8 offset0:2 offset1:3
	ds_read2_b32 v[6:7], v8 offset1:1
	v_and_b32_e32 v14, 3, v11
	s_waitcnt lgkmcnt(4)
	v_mov_b32_dpp v15, v12 row_shr:1 row_mask:0xf bank_mask:0xf
	v_cmp_ne_u32_e32 vcc, 0, v14
	buffer_store_dword v12, off, s[0:3], 0 offset:32
	s_waitcnt lgkmcnt(0)
	v_mov_b32_dpp v17, v6 row_shr:1 row_mask:0xf bank_mask:0xf
	buffer_store_dword v1, off, s[0:3], 0 offset:28
	buffer_store_dword v0, off, s[0:3], 0 offset:24
	;; [unrolled: 1-line block ×7, first 2 shown]
	buffer_store_dword v6, off, s[0:3], 0
	v_mov_b32_dpp v18, v7 row_shr:1 row_mask:0xf bank_mask:0xf
	v_mov_b32_dpp v19, v4 row_shr:1 row_mask:0xf bank_mask:0xf
	;; [unrolled: 1-line block ×7, first 2 shown]
	buffer_store_dword v17, off, s[0:3], 0 offset:144
	buffer_store_dword v18, off, s[0:3], 0 offset:148
	;; [unrolled: 1-line block ×9, first 2 shown]
	s_and_saveexec_b64 s[4:5], vcc
	s_cbranch_execz .LBB2129_424
; %bb.417:
	v_mov_b32_e32 v17, 0
	v_cmp_eq_u16_sdwa s[16:17], v12, v17 src0_sel:BYTE_0 src1_sel:DWORD
	s_and_saveexec_b64 s[14:15], s[16:17]
	s_cbranch_execz .LBB2129_423
; %bb.418:
	s_mov_b32 s16, 0
	v_mov_b32_e32 v0, 36
.LBB2129_419:                           ; =>This Inner Loop Header: Depth=1
	v_add_u32_e32 v1, s16, v0
	s_add_i32 s16, s16, 8
	s_cmp_lg_u32 s16, 32
	buffer_store_dword v17, v1, s[0:3], 0 offen offset:4
	buffer_store_dword v17, v1, s[0:3], 0 offen
	s_cbranch_scc1 .LBB2129_419
; %bb.420:
	s_mov_b32 s16, 0
	v_mov_b32_e32 v0, 0x90
	v_mov_b32_e32 v1, 0
	;; [unrolled: 1-line block ×3, first 2 shown]
.LBB2129_421:                           ; =>This Inner Loop Header: Depth=1
	v_add_u32_e32 v3, s16, v0
	v_add_u32_e32 v4, s16, v1
	buffer_load_dword v5, v3, s[0:3], 0 offen offset:4
	buffer_load_dword v6, v4, s[0:3], 0 offen
	buffer_load_dword v7, v3, s[0:3], 0 offen
	buffer_load_dword v17, v4, s[0:3], 0 offen offset:4
                                        ; kill: killed $vgpr3
	v_add_u32_e32 v3, s16, v2
	s_add_i32 s16, s16, 8
	s_cmp_lg_u32 s16, 32
                                        ; kill: killed $vgpr4
	s_waitcnt vmcnt(1)
	v_add_u32_e32 v4, v6, v7
	s_waitcnt vmcnt(0)
	v_add_u32_e32 v5, v17, v5
	buffer_store_dword v5, v3, s[0:3], 0 offen offset:4
	buffer_store_dword v4, v3, s[0:3], 0 offen
	s_cbranch_scc1 .LBB2129_421
; %bb.422:
	buffer_load_dword v6, off, s[0:3], 0 offset:36
	buffer_load_dword v7, off, s[0:3], 0 offset:40
	;; [unrolled: 1-line block ×8, first 2 shown]
.LBB2129_423:
	s_or_b64 exec, exec, s[14:15]
	v_or_b32_e32 v12, v15, v12
	v_and_b32_e32 v12, 1, v12
	buffer_store_byte v12, off, s[0:3], 0 offset:32
	buffer_load_dword v12, off, s[0:3], 0 offset:32
	s_waitcnt vmcnt(8)
	buffer_store_dword v7, off, s[0:3], 0 offset:4
	buffer_store_dword v6, off, s[0:3], 0
	s_waitcnt vmcnt(8)
	buffer_store_dword v5, off, s[0:3], 0 offset:12
	buffer_store_dword v4, off, s[0:3], 0 offset:8
	s_waitcnt vmcnt(8)
	buffer_store_dword v3, off, s[0:3], 0 offset:20
	buffer_store_dword v2, off, s[0:3], 0 offset:16
	;; [unrolled: 3-line block ×3, first 2 shown]
.LBB2129_424:
	s_or_b64 exec, exec, s[4:5]
	v_mov_b32_dpp v17, v6 row_shr:2 row_mask:0xf bank_mask:0xf
	s_waitcnt vmcnt(8)
	v_mov_b32_dpp v15, v12 row_shr:2 row_mask:0xf bank_mask:0xf
	v_cmp_lt_u32_e32 vcc, 1, v14
	v_mov_b32_dpp v18, v7 row_shr:2 row_mask:0xf bank_mask:0xf
	v_mov_b32_dpp v19, v4 row_shr:2 row_mask:0xf bank_mask:0xf
	;; [unrolled: 1-line block ×7, first 2 shown]
	buffer_store_dword v17, off, s[0:3], 0 offset:144
	buffer_store_dword v18, off, s[0:3], 0 offset:148
	;; [unrolled: 1-line block ×9, first 2 shown]
	s_and_saveexec_b64 s[14:15], vcc
	s_cbranch_execz .LBB2129_432
; %bb.425:
	v_mov_b32_e32 v14, 0
	s_mov_b32 s16, 0
	v_cmp_eq_u16_sdwa s[20:21], v12, v14 src0_sel:BYTE_0 src1_sel:DWORD
	s_and_saveexec_b64 s[4:5], s[20:21]
	s_cbranch_execz .LBB2129_431
; %bb.426:
	v_mov_b32_e32 v0, 36
.LBB2129_427:                           ; =>This Inner Loop Header: Depth=1
	v_add_u32_e32 v1, s16, v0
	s_add_i32 s16, s16, 8
	s_cmp_lg_u32 s16, 32
	buffer_store_dword v14, v1, s[0:3], 0 offen offset:4
	buffer_store_dword v14, v1, s[0:3], 0 offen
	s_cbranch_scc1 .LBB2129_427
; %bb.428:
	s_mov_b32 s16, 0
	v_mov_b32_e32 v0, 0x90
	v_mov_b32_e32 v1, 0
	;; [unrolled: 1-line block ×3, first 2 shown]
.LBB2129_429:                           ; =>This Inner Loop Header: Depth=1
	v_add_u32_e32 v3, s16, v0
	v_add_u32_e32 v4, s16, v1
	buffer_load_dword v5, v3, s[0:3], 0 offen offset:4
	buffer_load_dword v6, v4, s[0:3], 0 offen
	buffer_load_dword v7, v3, s[0:3], 0 offen
	buffer_load_dword v14, v4, s[0:3], 0 offen offset:4
                                        ; kill: killed $vgpr3
	v_add_u32_e32 v3, s16, v2
	s_add_i32 s16, s16, 8
	s_cmp_lg_u32 s16, 32
                                        ; kill: killed $vgpr4
	s_waitcnt vmcnt(1)
	v_add_u32_e32 v4, v6, v7
	s_waitcnt vmcnt(0)
	v_add_u32_e32 v5, v14, v5
	buffer_store_dword v5, v3, s[0:3], 0 offen offset:4
	buffer_store_dword v4, v3, s[0:3], 0 offen
	s_cbranch_scc1 .LBB2129_429
; %bb.430:
	buffer_load_dword v6, off, s[0:3], 0 offset:36
	buffer_load_dword v7, off, s[0:3], 0 offset:40
	;; [unrolled: 1-line block ×8, first 2 shown]
.LBB2129_431:
	s_or_b64 exec, exec, s[4:5]
	v_and_b32_e32 v12, 1, v12
	v_cmp_eq_u32_e32 vcc, 1, v12
	v_and_b32_e32 v12, 1, v15
	v_cmp_eq_u32_e64 s[4:5], 1, v12
	s_or_b64 s[4:5], vcc, s[4:5]
	v_cndmask_b32_e64 v12, 0, 1, s[4:5]
	s_waitcnt vmcnt(6)
	buffer_store_dword v7, off, s[0:3], 0 offset:4
	buffer_store_dword v6, off, s[0:3], 0
	s_waitcnt vmcnt(6)
	buffer_store_dword v5, off, s[0:3], 0 offset:12
	buffer_store_dword v4, off, s[0:3], 0 offset:8
	s_waitcnt vmcnt(6)
	buffer_store_dword v3, off, s[0:3], 0 offset:20
	buffer_store_dword v2, off, s[0:3], 0 offset:16
	;; [unrolled: 3-line block ×3, first 2 shown]
.LBB2129_432:
	s_or_b64 exec, exec, s[14:15]
	buffer_load_dword v0, off, s[0:3], 0
	buffer_load_dword v1, off, s[0:3], 0 offset:4
	buffer_load_dword v2, off, s[0:3], 0 offset:8
	;; [unrolled: 1-line block ×7, first 2 shown]
	s_waitcnt vmcnt(4)
	ds_write2_b32 v8, v2, v3 offset0:2 offset1:3
	ds_write2_b32 v8, v0, v1 offset1:1
	s_waitcnt vmcnt(2)
	ds_write2_b32 v8, v4, v5 offset0:6 offset1:7
	s_waitcnt vmcnt(0)
	ds_write2_b32 v8, v6, v7 offset0:4 offset1:5
	ds_write_b8 v8, v12 offset:32
.LBB2129_433:
	s_or_b64 exec, exec, s[12:13]
	v_mov_b32_e32 v0, 0
	s_mov_b32 s4, 0
	v_mov_b32_e32 v1, 0x90
	s_waitcnt lgkmcnt(0)
	s_barrier
	buffer_store_dword v0, off, s[0:3], 0 offset:172
	buffer_store_dword v0, off, s[0:3], 0 offset:168
	;; [unrolled: 1-line block ×9, first 2 shown]
.LBB2129_434:                           ; =>This Inner Loop Header: Depth=1
	v_add_u32_e32 v2, s4, v1
	s_add_i32 s4, s4, 8
	s_cmp_lg_u32 s4, 32
	buffer_store_dword v0, v2, s[0:3], 0 offen offset:4
	buffer_store_dword v0, v2, s[0:3], 0 offen
	s_cbranch_scc1 .LBB2129_434
; %bb.435:
	v_cmp_lt_u32_e32 vcc, 63, v10
                                        ; implicit-def: $vgpr0_vgpr1
                                        ; implicit-def: $vgpr2_vgpr3
                                        ; implicit-def: $vgpr4_vgpr5
                                        ; implicit-def: $vgpr6_vgpr7
                                        ; implicit-def: $vgpr12
	s_and_saveexec_b64 s[4:5], vcc
	s_xor_b64 s[4:5], exec, s[4:5]
	s_cbranch_execz .LBB2129_445
; %bb.436:
	buffer_load_ubyte v8, off, s[0:3], 0 offset:104
	v_not_b32_e32 v0, 35
	v_mad_u32_u24 v9, v9, 36, v0
	ds_read2_b32 v[0:1], v9 offset0:2 offset1:3
	ds_read2_b32 v[2:3], v9 offset0:4 offset1:5
	ds_read2_b32 v[4:5], v9 offset1:1
	ds_read2_b32 v[6:7], v9 offset0:6 offset1:7
	s_waitcnt lgkmcnt(3)
	buffer_store_dword v1, off, s[0:3], 0 offset:156
	buffer_store_dword v0, off, s[0:3], 0 offset:152
	s_waitcnt lgkmcnt(1)
	buffer_store_dword v5, off, s[0:3], 0 offset:148
	buffer_store_dword v4, off, s[0:3], 0 offset:144
	s_waitcnt lgkmcnt(0)
	buffer_store_dword v7, off, s[0:3], 0 offset:172
	ds_read_u8 v12, v9 offset:32
	buffer_store_dword v6, off, s[0:3], 0 offset:168
	buffer_store_dword v3, off, s[0:3], 0 offset:164
	;; [unrolled: 1-line block ×3, first 2 shown]
                                        ; implicit-def: $vgpr0_vgpr1
                                        ; implicit-def: $vgpr2_vgpr3
                                        ; implicit-def: $vgpr4_vgpr5
                                        ; implicit-def: $vgpr6_vgpr7
	s_waitcnt vmcnt(8)
	v_cmp_ne_u16_e32 vcc, 0, v8
	s_and_saveexec_b64 s[12:13], vcc
	s_xor_b64 s[12:13], exec, s[12:13]
	s_cbranch_execz .LBB2129_438
; %bb.437:
	buffer_load_dword v0, off, s[0:3], 0 offset:72
	buffer_load_dword v1, off, s[0:3], 0 offset:76
	;; [unrolled: 1-line block ×8, first 2 shown]
.LBB2129_438:
	s_andn2_saveexec_b64 s[12:13], s[12:13]
	s_cbranch_execz .LBB2129_444
; %bb.439:
	s_mov_b32 s14, 0
	s_waitcnt vmcnt(7)
	v_mov_b32_e32 v0, 0
	s_waitcnt vmcnt(6)
	v_mov_b32_e32 v1, 0
	s_waitcnt vmcnt(0)
.LBB2129_440:                           ; =>This Inner Loop Header: Depth=1
	v_add_u32_e32 v2, s14, v0
	s_add_i32 s14, s14, 8
	s_cmp_lg_u32 s14, 32
	buffer_store_dword v1, v2, s[0:3], 0 offen offset:4
	buffer_store_dword v1, v2, s[0:3], 0 offen
	s_cbranch_scc1 .LBB2129_440
; %bb.441:
	s_mov_b32 s14, 0
	v_mov_b32_e32 v0, 0x90
	v_mov_b32_e32 v1, 0x48
	;; [unrolled: 1-line block ×3, first 2 shown]
.LBB2129_442:                           ; =>This Inner Loop Header: Depth=1
	v_add_u32_e32 v3, s14, v0
	v_add_u32_e32 v4, s14, v1
	buffer_load_dword v5, v3, s[0:3], 0 offen offset:4
	buffer_load_dword v6, v4, s[0:3], 0 offen
	buffer_load_dword v7, v3, s[0:3], 0 offen
	buffer_load_dword v9, v4, s[0:3], 0 offen offset:4
                                        ; kill: killed $vgpr3
	v_add_u32_e32 v3, s14, v2
	s_add_i32 s14, s14, 8
	s_cmp_lg_u32 s14, 32
                                        ; kill: killed $vgpr4
	s_waitcnt vmcnt(1)
	v_add_u32_e32 v4, v6, v7
	s_waitcnt vmcnt(0)
	v_add_u32_e32 v5, v9, v5
	buffer_store_dword v5, v3, s[0:3], 0 offen offset:4
	buffer_store_dword v4, v3, s[0:3], 0 offen
	s_cbranch_scc1 .LBB2129_442
; %bb.443:
	buffer_load_dword v0, off, s[0:3], 0
	buffer_load_dword v1, off, s[0:3], 0 offset:4
	buffer_load_dword v2, off, s[0:3], 0 offset:8
	;; [unrolled: 1-line block ×7, first 2 shown]
.LBB2129_444:
	s_or_b64 exec, exec, s[12:13]
	s_waitcnt lgkmcnt(0)
	v_or_b32_e32 v8, v8, v12
	v_and_b32_e32 v8, 1, v8
	buffer_store_byte v8, off, s[0:3], 0 offset:104
.LBB2129_445:
	s_andn2_saveexec_b64 s[4:5], s[4:5]
	s_cbranch_execz .LBB2129_447
; %bb.446:
	buffer_load_dword v0, off, s[0:3], 0 offset:72
	buffer_load_dword v1, off, s[0:3], 0 offset:76
	;; [unrolled: 1-line block ×8, first 2 shown]
	v_mov_b32_e32 v12, 0
.LBB2129_447:
	s_or_b64 exec, exec, s[4:5]
	buffer_load_dword v15, off, s[0:3], 0 offset:104
	v_add_u32_e32 v8, -1, v11
	v_and_b32_e32 v9, 64, v11
	v_cmp_lt_i32_e32 vcc, v8, v9
	v_cndmask_b32_e32 v8, v8, v11, vcc
	v_lshlrev_b32_e32 v14, 2, v8
	s_waitcnt vmcnt(8)
	ds_bpermute_b32 v8, v14, v0
	s_waitcnt vmcnt(7)
	ds_bpermute_b32 v9, v14, v1
	s_waitcnt vmcnt(6)
	ds_bpermute_b32 v0, v14, v2
	s_waitcnt vmcnt(5)
	ds_bpermute_b32 v1, v14, v3
	s_waitcnt vmcnt(4)
	ds_bpermute_b32 v4, v14, v4
	s_waitcnt vmcnt(3)
	ds_bpermute_b32 v5, v14, v5
	s_waitcnt vmcnt(2)
	ds_bpermute_b32 v2, v14, v6
	s_waitcnt vmcnt(1)
	ds_bpermute_b32 v3, v14, v7
	v_cmp_eq_u32_e32 vcc, 0, v11
	s_waitcnt lgkmcnt(7)
	buffer_store_dword v8, off, s[0:3], 0 offset:72
	s_waitcnt lgkmcnt(6)
	buffer_store_dword v9, off, s[0:3], 0 offset:76
	s_waitcnt lgkmcnt(5)
	buffer_store_dword v0, off, s[0:3], 0 offset:80
	s_waitcnt lgkmcnt(4)
	buffer_store_dword v1, off, s[0:3], 0 offset:84
	s_waitcnt vmcnt(4)
	ds_bpermute_b32 v14, v14, v15
	s_waitcnt lgkmcnt(4)
	buffer_store_dword v4, off, s[0:3], 0 offset:88
	s_waitcnt lgkmcnt(3)
	buffer_store_dword v5, off, s[0:3], 0 offset:92
	;; [unrolled: 2-line block ×4, first 2 shown]
	s_waitcnt lgkmcnt(0)
	buffer_store_byte v14, off, s[0:3], 0 offset:104
	s_and_saveexec_b64 s[4:5], vcc
	s_cbranch_execz .LBB2129_449
; %bb.448:
	buffer_load_dword v1, off, s[0:3], 0 offset:156
	buffer_load_dword v0, off, s[0:3], 0 offset:152
	;; [unrolled: 1-line block ×8, first 2 shown]
	v_mov_b32_e32 v14, v12
	buffer_store_byte v12, off, s[0:3], 0 offset:104
	s_waitcnt vmcnt(8)
	buffer_store_dword v1, off, s[0:3], 0 offset:84
	s_waitcnt vmcnt(8)
	buffer_store_dword v0, off, s[0:3], 0 offset:80
	;; [unrolled: 2-line block ×8, first 2 shown]
.LBB2129_449:
	s_or_b64 exec, exec, s[4:5]
	buffer_load_dword v6, off, s[0:3], 0 offset:300
	buffer_load_dword v7, off, s[0:3], 0 offset:296
	;; [unrolled: 1-line block ×9, first 2 shown]
	s_mov_b32 s4, 0x3020104
	buffer_store_dword v9, off, s[0:3], 0 offset:4
	buffer_store_dword v8, off, s[0:3], 0
	buffer_store_dword v1, off, s[0:3], 0 offset:12
	buffer_store_dword v0, off, s[0:3], 0 offset:8
	;; [unrolled: 1-line block ×6, first 2 shown]
	v_perm_b32 v0, v14, v15, s4
                                        ; implicit-def: $vgpr4_vgpr5
                                        ; implicit-def: $vgpr2_vgpr3
	buffer_store_dword v0, off, s[0:3], 0 offset:32
	s_waitcnt vmcnt(17)
	buffer_store_dword v6, off, s[0:3], 0 offset:48
	s_waitcnt vmcnt(17)
	;; [unrolled: 2-line block ×9, first 2 shown]
	buffer_store_dword v11, off, s[0:3], 0 offset:68
                                        ; implicit-def: $vgpr6_vgpr7
                                        ; implicit-def: $vgpr0_vgpr1
	s_and_saveexec_b64 s[4:5], s[8:9]
	s_xor_b64 s[4:5], exec, s[4:5]
	s_cbranch_execz .LBB2129_459
; %bb.450:
	v_mov_b32_e32 v0, 0
	v_cmp_ne_u16_sdwa s[8:9], v11, v0 src0_sel:BYTE_0 src1_sel:DWORD
                                        ; implicit-def: $vgpr6_vgpr7
                                        ; implicit-def: $vgpr4_vgpr5
                                        ; implicit-def: $vgpr2_vgpr3
                                        ; implicit-def: $vgpr0_vgpr1
	s_and_saveexec_b64 s[12:13], s[8:9]
	s_xor_b64 s[8:9], exec, s[12:13]
	s_cbranch_execz .LBB2129_452
; %bb.451:
	buffer_load_dword v0, off, s[0:3], 0 offset:36
	buffer_load_dword v1, off, s[0:3], 0 offset:40
	;; [unrolled: 1-line block ×8, first 2 shown]
.LBB2129_452:
	s_andn2_saveexec_b64 s[8:9], s[8:9]
	s_cbranch_execz .LBB2129_458
; %bb.453:
	s_mov_b32 s12, 0
	s_waitcnt vmcnt(7)
	v_mov_b32_e32 v0, 0x90
	s_waitcnt vmcnt(6)
	v_mov_b32_e32 v1, 0
	s_waitcnt vmcnt(0)
.LBB2129_454:                           ; =>This Inner Loop Header: Depth=1
	v_add_u32_e32 v2, s12, v0
	s_add_i32 s12, s12, 8
	s_cmp_lg_u32 s12, 32
	buffer_store_dword v1, v2, s[0:3], 0 offen offset:4
	buffer_store_dword v1, v2, s[0:3], 0 offen
	s_cbranch_scc1 .LBB2129_454
; %bb.455:
	s_mov_b32 s12, 0
	v_mov_b32_e32 v0, 0
	v_mov_b32_e32 v1, 36
	;; [unrolled: 1-line block ×3, first 2 shown]
.LBB2129_456:                           ; =>This Inner Loop Header: Depth=1
	v_add_u32_e32 v3, s12, v0
	v_add_u32_e32 v4, s12, v1
	buffer_load_dword v5, v3, s[0:3], 0 offen offset:4
	buffer_load_dword v6, v4, s[0:3], 0 offen
	buffer_load_dword v7, v3, s[0:3], 0 offen
	buffer_load_dword v8, v4, s[0:3], 0 offen offset:4
                                        ; kill: killed $vgpr3
	v_add_u32_e32 v3, s12, v2
	s_add_i32 s12, s12, 8
	s_cmp_lg_u32 s12, 32
                                        ; kill: killed $vgpr4
	s_waitcnt vmcnt(1)
	v_add_u32_e32 v4, v6, v7
	s_waitcnt vmcnt(0)
	v_add_u32_e32 v5, v8, v5
	buffer_store_dword v5, v3, s[0:3], 0 offen offset:4
	buffer_store_dword v4, v3, s[0:3], 0 offen
	s_cbranch_scc1 .LBB2129_456
; %bb.457:
	buffer_load_dword v0, off, s[0:3], 0 offset:144
	buffer_load_dword v1, off, s[0:3], 0 offset:148
	buffer_load_dword v2, off, s[0:3], 0 offset:152
	buffer_load_dword v3, off, s[0:3], 0 offset:156
	buffer_load_dword v4, off, s[0:3], 0 offset:160
	buffer_load_dword v5, off, s[0:3], 0 offset:164
	buffer_load_dword v6, off, s[0:3], 0 offset:168
	buffer_load_dword v7, off, s[0:3], 0 offset:172
.LBB2129_458:
	s_or_b64 exec, exec, s[8:9]
	v_or_b32_e32 v8, v11, v14
	v_and_b32_e32 v11, 1, v8
	s_waitcnt vmcnt(6)
	buffer_store_dword v1, off, s[0:3], 0 offset:40
	buffer_store_dword v0, off, s[0:3], 0 offset:36
	s_waitcnt vmcnt(6)
	buffer_store_dword v3, off, s[0:3], 0 offset:48
	buffer_store_dword v2, off, s[0:3], 0 offset:44
	;; [unrolled: 3-line block ×4, first 2 shown]
	;;#ASMSTART
	;;#ASMEND
.LBB2129_459:
	s_andn2_saveexec_b64 s[4:5], s[4:5]
	s_cbranch_execz .LBB2129_461
; %bb.460:
	buffer_load_dword v0, off, s[0:3], 0 offset:36
	buffer_load_dword v1, off, s[0:3], 0 offset:40
	;; [unrolled: 1-line block ×8, first 2 shown]
.LBB2129_461:
	s_or_b64 exec, exec, s[4:5]
	buffer_load_dword v9, off, s[0:3], 0 offset:48
	buffer_load_dword v12, off, s[0:3], 0 offset:44
	;; [unrolled: 1-line block ×8, first 2 shown]
	buffer_load_ushort v21, off, s[0:3], 0 offset:69
	buffer_load_ubyte v22, off, s[0:3], 0 offset:71
	buffer_load_ubyte v8, off, s[0:3], 0 offset:356
	s_nop 0
	buffer_store_byte v11, off, s[0:3], 0 offset:320
	s_waitcnt vmcnt(18)
	buffer_store_dword v1, off, s[0:3], 0 offset:148
	buffer_store_dword v0, off, s[0:3], 0 offset:144
	s_waitcnt vmcnt(18)
	buffer_store_dword v3, off, s[0:3], 0 offset:156
	buffer_store_dword v2, off, s[0:3], 0 offset:152
	;; [unrolled: 3-line block ×4, first 2 shown]
	s_waitcnt vmcnt(19)
	buffer_store_dword v9, off, s[0:3], 0 offset:300
	s_waitcnt vmcnt(19)
	buffer_store_dword v12, off, s[0:3], 0 offset:296
	s_waitcnt vmcnt(19)
	buffer_store_dword v14, off, s[0:3], 0 offset:292
	s_waitcnt vmcnt(19)
	buffer_store_dword v15, off, s[0:3], 0 offset:288
	s_waitcnt vmcnt(19)
	buffer_store_dword v17, off, s[0:3], 0 offset:316
	s_waitcnt vmcnt(19)
	buffer_store_dword v18, off, s[0:3], 0 offset:312
	s_waitcnt vmcnt(19)
	buffer_store_dword v19, off, s[0:3], 0 offset:308
	s_waitcnt vmcnt(19)
	buffer_store_dword v20, off, s[0:3], 0 offset:304
	s_waitcnt vmcnt(19)
	v_lshrrev_b32_e32 v0, 8, v21
	v_lshlrev_b16_e32 v1, 8, v21
	s_waitcnt vmcnt(18)
	v_lshlrev_b16_e32 v2, 8, v22
	v_or_b32_sdwa v1, v11, v1 dst_sel:DWORD dst_unused:UNUSED_PAD src0_sel:BYTE_0 src1_sel:DWORD
	v_or_b32_sdwa v0, v0, v2 dst_sel:WORD_1 dst_unused:UNUSED_PAD src0_sel:BYTE_0 src1_sel:DWORD
	v_or_b32_sdwa v0, v1, v0 dst_sel:DWORD dst_unused:UNUSED_PAD src0_sel:WORD_0 src1_sel:DWORD
	s_waitcnt vmcnt(17)
	v_cmp_ne_u16_e32 vcc, 0, v8
	buffer_store_dword v0, off, s[0:3], 0 offset:176
                                        ; implicit-def: $vgpr6_vgpr7
                                        ; implicit-def: $vgpr2_vgpr3
                                        ; implicit-def: $vgpr4_vgpr5
                                        ; implicit-def: $vgpr0_vgpr1
	s_and_saveexec_b64 s[4:5], vcc
	s_xor_b64 s[4:5], exec, s[4:5]
	s_cbranch_execz .LBB2129_463
; %bb.462:
	buffer_load_dword v0, off, s[0:3], 0 offset:324
	buffer_load_dword v1, off, s[0:3], 0 offset:328
	;; [unrolled: 1-line block ×8, first 2 shown]
.LBB2129_463:
	s_andn2_saveexec_b64 s[4:5], s[4:5]
	s_cbranch_execz .LBB2129_469
; %bb.464:
	s_mov_b32 s8, 0
	s_waitcnt vmcnt(7)
	v_mov_b32_e32 v0, 0xf0
	s_waitcnt vmcnt(6)
	v_mov_b32_e32 v1, 0
	s_waitcnt vmcnt(0)
.LBB2129_465:                           ; =>This Inner Loop Header: Depth=1
	v_add_u32_e32 v2, s8, v0
	s_add_i32 s8, s8, 8
	s_cmp_lg_u32 s8, 32
	buffer_store_dword v1, v2, s[0:3], 0 offen offset:4
	buffer_store_dword v1, v2, s[0:3], 0 offen
	s_cbranch_scc1 .LBB2129_465
; %bb.466:
	s_mov_b32 s8, 0
	v_mov_b32_e32 v0, 0x90
	v_mov_b32_e32 v1, 0x120
	;; [unrolled: 1-line block ×3, first 2 shown]
.LBB2129_467:                           ; =>This Inner Loop Header: Depth=1
	v_add_u32_e32 v3, s8, v0
	v_add_u32_e32 v4, s8, v1
	buffer_load_dword v5, v3, s[0:3], 0 offen offset:4
	buffer_load_dword v6, v4, s[0:3], 0 offen offset:36
	buffer_load_dword v7, v3, s[0:3], 0 offen
	buffer_load_dword v9, v4, s[0:3], 0 offen offset:40
                                        ; kill: killed $vgpr3
	v_add_u32_e32 v3, s8, v2
	s_add_i32 s8, s8, 8
	s_cmp_lg_u32 s8, 32
                                        ; kill: killed $vgpr4
	s_waitcnt vmcnt(1)
	v_add_u32_e32 v4, v6, v7
	s_waitcnt vmcnt(0)
	v_add_u32_e32 v5, v9, v5
	buffer_store_dword v5, v3, s[0:3], 0 offen offset:4
	buffer_store_dword v4, v3, s[0:3], 0 offen
	s_cbranch_scc1 .LBB2129_467
; %bb.468:
	buffer_load_dword v0, off, s[0:3], 0 offset:240
	buffer_load_dword v1, off, s[0:3], 0 offset:244
	buffer_load_dword v4, off, s[0:3], 0 offset:248
	buffer_load_dword v5, off, s[0:3], 0 offset:252
	buffer_load_dword v2, off, s[0:3], 0 offset:256
	buffer_load_dword v3, off, s[0:3], 0 offset:260
	buffer_load_dword v6, off, s[0:3], 0 offset:264
	buffer_load_dword v7, off, s[0:3], 0 offset:268
.LBB2129_469:
	s_or_b64 exec, exec, s[4:5]
	buffer_load_ubyte v9, off, s[0:3], 0 offset:392
	v_or_b32_e32 v8, v8, v11
	v_and_b32_e32 v8, 1, v8
	v_cmp_eq_u32_e32 vcc, 1, v8
	s_waitcnt vmcnt(7)
	buffer_store_dword v1, off, s[0:3], 0 offset:148
	buffer_store_dword v0, off, s[0:3], 0 offset:144
	s_waitcnt vmcnt(7)
	buffer_store_dword v5, off, s[0:3], 0 offset:156
	buffer_store_dword v4, off, s[0:3], 0 offset:152
	;; [unrolled: 3-line block ×4, first 2 shown]
	buffer_store_dword v5, v13, s[0:3], 0 offen offset:12
	buffer_store_dword v4, v13, s[0:3], 0 offen offset:8
	;; [unrolled: 1-line block ×3, first 2 shown]
	buffer_store_dword v0, v13, s[0:3], 0 offen
	buffer_store_dword v7, v13, s[0:3], 0 offen offset:28
	buffer_store_dword v6, v13, s[0:3], 0 offen offset:24
	;; [unrolled: 1-line block ×4, first 2 shown]
	buffer_store_byte v8, off, s[0:3], 0 offset:356
                                        ; implicit-def: $vgpr2_vgpr3
                                        ; implicit-def: $vgpr0_vgpr1
                                        ; implicit-def: $vgpr6_vgpr7
                                        ; implicit-def: $vgpr4_vgpr5
	s_waitcnt vmcnt(17)
	v_cmp_ne_u16_e64 s[4:5], 0, v9
	s_and_saveexec_b64 s[8:9], s[4:5]
	s_xor_b64 s[4:5], exec, s[8:9]
	s_cbranch_execz .LBB2129_471
; %bb.470:
	buffer_load_dword v4, off, s[0:3], 0 offset:360
	buffer_load_dword v5, off, s[0:3], 0 offset:364
	;; [unrolled: 1-line block ×8, first 2 shown]
.LBB2129_471:
	s_andn2_saveexec_b64 s[4:5], s[4:5]
	s_cbranch_execz .LBB2129_477
; %bb.472:
	s_mov_b32 s8, 0
	s_waitcnt vmcnt(3)
	v_mov_b32_e32 v0, 0xf0
	s_waitcnt vmcnt(2)
	v_mov_b32_e32 v1, 0
	s_waitcnt vmcnt(0)
.LBB2129_473:                           ; =>This Inner Loop Header: Depth=1
	v_add_u32_e32 v2, s8, v0
	s_add_i32 s8, s8, 8
	s_cmp_lg_u32 s8, 32
	buffer_store_dword v1, v2, s[0:3], 0 offen offset:4
	buffer_store_dword v1, v2, s[0:3], 0 offen
	s_cbranch_scc1 .LBB2129_473
; %bb.474:
	s_mov_b32 s8, 0
	v_mov_b32_e32 v0, 0x90
	v_mov_b32_e32 v1, 0x120
	;; [unrolled: 1-line block ×3, first 2 shown]
.LBB2129_475:                           ; =>This Inner Loop Header: Depth=1
	v_add_u32_e32 v3, s8, v0
	v_add_u32_e32 v4, s8, v1
	buffer_load_dword v5, v3, s[0:3], 0 offen offset:4
	buffer_load_dword v6, v4, s[0:3], 0 offen offset:72
	buffer_load_dword v7, v3, s[0:3], 0 offen
	buffer_load_dword v8, v4, s[0:3], 0 offen offset:76
                                        ; kill: killed $vgpr3
	v_add_u32_e32 v3, s8, v2
	s_add_i32 s8, s8, 8
	s_cmp_lg_u32 s8, 32
                                        ; kill: killed $vgpr4
	s_waitcnt vmcnt(1)
	v_add_u32_e32 v4, v6, v7
	s_waitcnt vmcnt(0)
	v_add_u32_e32 v5, v8, v5
	buffer_store_dword v5, v3, s[0:3], 0 offen offset:4
	buffer_store_dword v4, v3, s[0:3], 0 offen
	s_cbranch_scc1 .LBB2129_475
; %bb.476:
	buffer_load_dword v4, off, s[0:3], 0 offset:240
	buffer_load_dword v5, off, s[0:3], 0 offset:244
	;; [unrolled: 1-line block ×8, first 2 shown]
.LBB2129_477:
	s_or_b64 exec, exec, s[4:5]
	v_and_b32_e32 v8, 1, v9
	s_waitcnt vmcnt(4)
	buffer_store_dword v7, v16, s[0:3], 0 offen offset:12
	buffer_store_dword v6, v16, s[0:3], 0 offen offset:8
	;; [unrolled: 1-line block ×3, first 2 shown]
	buffer_store_dword v4, v16, s[0:3], 0 offen
	s_waitcnt vmcnt(4)
	buffer_store_dword v3, v16, s[0:3], 0 offen offset:28
	v_mov_b32_e32 v3, 0
	v_cmp_eq_u32_e64 s[4:5], 1, v8
	ds_read2_b32 v[4:5], v3 offset0:27 offset1:28
	ds_read2_b32 v[6:7], v3 offset0:29 offset1:30
	;; [unrolled: 1-line block ×4, first 2 shown]
	s_or_b64 s[4:5], s[4:5], vcc
	v_cndmask_b32_e64 v11, 0, 1, s[4:5]
	buffer_store_dword v2, v16, s[0:3], 0 offen offset:24
	buffer_store_dword v1, v16, s[0:3], 0 offen offset:20
	;; [unrolled: 1-line block ×3, first 2 shown]
	buffer_store_byte v11, off, s[0:3], 0 offset:392
	s_waitcnt lgkmcnt(0)
	buffer_store_dword v15, off, s[0:3], 0 offset:136
	buffer_store_dword v14, off, s[0:3], 0 offset:132
	;; [unrolled: 1-line block ×4, first 2 shown]
	ds_read_u8 v0, v3 offset:140
	buffer_store_dword v7, off, s[0:3], 0 offset:120
	buffer_store_dword v6, off, s[0:3], 0 offset:116
	;; [unrolled: 1-line block ×4, first 2 shown]
	s_waitcnt lgkmcnt(0)
	buffer_store_byte v0, off, s[0:3], 0 offset:140
	s_and_saveexec_b64 s[4:5], s[10:11]
	s_cbranch_execz .LBB2129_479
; %bb.478:
	buffer_load_dword v4, off, s[0:3], 0 offset:108
	buffer_load_dword v5, off, s[0:3], 0 offset:112
	;; [unrolled: 1-line block ×8, first 2 shown]
	s_nop 0
	global_store_byte v3, v0, s[22:23] offset:2336
	v_mov_b32_e32 v0, 2
	s_waitcnt vmcnt(5)
	global_store_dwordx4 v3, v[4:7], s[22:23] offset:2304
	s_waitcnt vmcnt(2)
	global_store_dwordx4 v3, v[18:21], s[22:23] offset:2320
	s_waitcnt vmcnt(0)
	buffer_wbinvl1_vol
	global_store_byte v3, v0, s[24:25] offset:64
.LBB2129_479:
	s_or_b64 exec, exec, s[4:5]
.LBB2129_480:
	s_mov_b32 s4, 0
	v_mov_b32_e32 v0, 0x90
	v_mov_b32_e32 v1, 0
.LBB2129_481:                           ; =>This Inner Loop Header: Depth=1
	v_add_u32_e32 v2, s4, v0
	s_add_i32 s4, s4, 8
	s_cmp_lg_u32 s4, 32
	buffer_store_dword v1, v2, s[0:3], 0 offen offset:4
	buffer_store_dword v1, v2, s[0:3], 0 offen
	s_cbranch_scc1 .LBB2129_481
; %bb.482:
	s_mov_b32 s4, 32
	v_mov_b32_e32 v0, 0x90
	v_mov_b32_e32 v1, 0
.LBB2129_483:                           ; =>This Inner Loop Header: Depth=1
	v_add_u32_e32 v2, s4, v0
	s_add_i32 s4, s4, 8
	s_cmp_lg_u32 s4, 64
	buffer_store_dword v1, v2, s[0:3], 0 offen offset:4
	buffer_store_dword v1, v2, s[0:3], 0 offen
	s_cbranch_scc1 .LBB2129_483
; %bb.484:
	s_mov_b32 s4, 64
	v_mov_b32_e32 v0, 0x90
	v_mov_b32_e32 v1, 0
.LBB2129_485:                           ; =>This Inner Loop Header: Depth=1
	v_add_u32_e32 v2, s4, v0
	s_add_i32 s4, s4, 8
	s_cmpk_lg_i32 s4, 0x60
	buffer_store_dword v1, v2, s[0:3], 0 offen offset:4
	buffer_store_dword v1, v2, s[0:3], 0 offen
	s_cbranch_scc1 .LBB2129_485
; %bb.486:
	s_add_u32 s4, s18, s28
	s_addc_u32 s5, s19, s29
	v_mov_b32_e32 v0, 0x90
	s_add_u32 s8, s4, s30
	v_add_u32_e32 v2, 64, v0
	v_add_u32_e32 v3, 32, v0
	s_addc_u32 s9, s5, s31
	s_and_b64 vcc, exec, s[6:7]
	s_cbranch_vccz .LBB2129_496
; %bb.487:
	s_add_i32 s27, s27, s26
	v_mul_u32_u24_e32 v0, 3, v10
	v_cmp_gt_u32_e32 vcc, s27, v0
	s_and_saveexec_b64 s[4:5], vcc
	s_cbranch_execz .LBB2129_491
; %bb.488:
	buffer_load_dword v1, off, s[0:3], 0 offset:300
	buffer_load_dword v4, off, s[0:3], 0 offset:296
	;; [unrolled: 1-line block ×8, first 2 shown]
	v_add_u32_e32 v12, 1, v0
	v_cmp_gt_u32_e32 vcc, s27, v12
	s_waitcnt vmcnt(7)
	buffer_store_dword v1, off, s[0:3], 0 offset:156
	s_waitcnt vmcnt(7)
	buffer_store_dword v4, off, s[0:3], 0 offset:152
	;; [unrolled: 2-line block ×8, first 2 shown]
	s_and_b64 exec, exec, vcc
	s_cbranch_execz .LBB2129_491
; %bb.489:
	buffer_load_dword v1, v13, s[0:3], 0 offen offset:12
	buffer_load_dword v4, v13, s[0:3], 0 offen offset:8
	;; [unrolled: 1-line block ×3, first 2 shown]
	buffer_load_dword v6, v13, s[0:3], 0 offen
	buffer_load_dword v7, v13, s[0:3], 0 offen offset:28
	buffer_load_dword v8, v13, s[0:3], 0 offen offset:24
	;; [unrolled: 1-line block ×4, first 2 shown]
	v_add_u32_e32 v12, 2, v0
	v_cmp_gt_u32_e32 vcc, s27, v12
	s_waitcnt vmcnt(7)
	buffer_store_dword v1, v3, s[0:3], 0 offen offset:12
	s_waitcnt vmcnt(7)
	buffer_store_dword v4, v3, s[0:3], 0 offen offset:8
	;; [unrolled: 2-line block ×3, first 2 shown]
	s_waitcnt vmcnt(7)
	buffer_store_dword v6, v3, s[0:3], 0 offen
	s_waitcnt vmcnt(7)
	buffer_store_dword v7, v3, s[0:3], 0 offen offset:28
	s_waitcnt vmcnt(7)
	buffer_store_dword v8, v3, s[0:3], 0 offen offset:24
	;; [unrolled: 2-line block ×4, first 2 shown]
	s_and_b64 exec, exec, vcc
	s_cbranch_execz .LBB2129_491
; %bb.490:
	buffer_load_dword v1, v16, s[0:3], 0 offen offset:12
	buffer_load_dword v4, v16, s[0:3], 0 offen offset:8
	;; [unrolled: 1-line block ×3, first 2 shown]
	buffer_load_dword v6, v16, s[0:3], 0 offen
	buffer_load_dword v7, v16, s[0:3], 0 offen offset:28
	buffer_load_dword v8, v16, s[0:3], 0 offen offset:24
	;; [unrolled: 1-line block ×4, first 2 shown]
	s_waitcnt vmcnt(7)
	buffer_store_dword v1, v2, s[0:3], 0 offen offset:12
	s_waitcnt vmcnt(7)
	buffer_store_dword v4, v2, s[0:3], 0 offen offset:8
	s_waitcnt vmcnt(7)
	buffer_store_dword v5, v2, s[0:3], 0 offen offset:4
	s_waitcnt vmcnt(7)
	buffer_store_dword v6, v2, s[0:3], 0 offen
	s_waitcnt vmcnt(7)
	buffer_store_dword v7, v2, s[0:3], 0 offen offset:28
	s_waitcnt vmcnt(7)
	buffer_store_dword v8, v2, s[0:3], 0 offen offset:24
	;; [unrolled: 2-line block ×4, first 2 shown]
.LBB2129_491:
	s_or_b64 exec, exec, s[4:5]
	s_barrier
	buffer_load_dword v6, off, s[0:3], 0 offset:144
	buffer_load_dword v7, off, s[0:3], 0 offset:148
	buffer_load_dword v8, off, s[0:3], 0 offset:152
	buffer_load_dword v9, off, s[0:3], 0 offset:156
	buffer_load_dword v18, off, s[0:3], 0 offset:160
	buffer_load_dword v19, off, s[0:3], 0 offset:164
	buffer_load_dword v20, off, s[0:3], 0 offset:168
	buffer_load_dword v21, off, s[0:3], 0 offset:172
	buffer_load_dword v22, v3, s[0:3], 0 offen
	buffer_load_dword v23, v3, s[0:3], 0 offen offset:4
	buffer_load_dword v24, v3, s[0:3], 0 offen offset:8
	buffer_load_dword v25, v3, s[0:3], 0 offen offset:12
	buffer_load_dword v26, v3, s[0:3], 0 offen offset:16
	buffer_load_dword v27, v3, s[0:3], 0 offen offset:20
	buffer_load_dword v28, v3, s[0:3], 0 offen offset:24
	buffer_load_dword v29, v3, s[0:3], 0 offen offset:28
	buffer_load_dword v30, v2, s[0:3], 0 offen
	buffer_load_dword v31, v2, s[0:3], 0 offen offset:4
	buffer_load_dword v32, v2, s[0:3], 0 offen offset:8
	;; [unrolled: 1-line block ×7, first 2 shown]
	v_lshlrev_b32_e32 v0, 5, v0
	v_lshlrev_b32_e32 v1, 6, v10
	v_sub_u32_e32 v4, v0, v1
	v_lshlrev_b32_e32 v5, 5, v10
	v_mov_b32_e32 v12, s9
	v_mov_b32_e32 v11, 0
	s_waitcnt vmcnt(20)
	ds_write_b128 v0, v[6:9]
	s_waitcnt vmcnt(16)
	ds_write_b128 v0, v[18:21] offset:16
	s_waitcnt vmcnt(12)
	ds_write_b128 v0, v[22:25] offset:32
	s_waitcnt vmcnt(8)
	ds_write_b128 v0, v[26:29] offset:48
	s_waitcnt vmcnt(4)
	ds_write_b128 v0, v[30:33] offset:64
	s_waitcnt vmcnt(0)
	ds_write_b128 v0, v[34:37] offset:80
	s_waitcnt lgkmcnt(0)
	s_barrier
	ds_read_b128 v[6:9], v4 offset:8192
	ds_read_b128 v[18:21], v4 offset:8208
	;; [unrolled: 1-line block ×4, first 2 shown]
	v_add_co_u32_e32 v0, vcc, s8, v5
	v_addc_co_u32_e32 v1, vcc, 0, v12, vcc
	v_cmp_gt_u32_e32 vcc, s27, v10
	s_waitcnt lgkmcnt(3)
	buffer_store_dword v9, v3, s[0:3], 0 offen offset:12
	buffer_store_dword v8, v3, s[0:3], 0 offen offset:8
	;; [unrolled: 1-line block ×3, first 2 shown]
	buffer_store_dword v6, v3, s[0:3], 0 offen
	s_waitcnt lgkmcnt(2)
	buffer_store_dword v21, v3, s[0:3], 0 offen offset:28
	buffer_store_dword v20, v3, s[0:3], 0 offen offset:24
	;; [unrolled: 1-line block ×4, first 2 shown]
	s_waitcnt lgkmcnt(1)
	buffer_store_dword v25, v2, s[0:3], 0 offen offset:12
	buffer_store_dword v24, v2, s[0:3], 0 offen offset:8
	;; [unrolled: 1-line block ×3, first 2 shown]
	buffer_store_dword v22, v2, s[0:3], 0 offen
	s_waitcnt lgkmcnt(0)
	buffer_store_dword v29, v2, s[0:3], 0 offen offset:28
	buffer_store_dword v28, v2, s[0:3], 0 offen offset:24
	;; [unrolled: 1-line block ×4, first 2 shown]
	s_and_saveexec_b64 s[4:5], vcc
	s_cbranch_execz .LBB2129_493
; %bb.492:
	ds_read2_b32 v[6:7], v4 offset0:4 offset1:5
	ds_read2_b32 v[8:9], v4 offset0:6 offset1:7
	ds_read2_b32 v[20:21], v4 offset0:2 offset1:3
	ds_read2_b32 v[18:19], v4 offset1:1
	s_waitcnt lgkmcnt(0)
	flat_store_dwordx4 v[0:1], v[18:21]
	flat_store_dwordx4 v[0:1], v[6:9] offset:16
.LBB2129_493:
	s_or_b64 exec, exec, s[4:5]
	v_or_b32_e32 v4, 0x100, v10
	v_cmp_gt_u32_e32 vcc, s27, v4
	s_and_saveexec_b64 s[6:7], vcc
	s_cbranch_execz .LBB2129_495
; %bb.494:
	buffer_load_dword v4, v3, s[0:3], 0 offen offset:16
	buffer_load_dword v5, v3, s[0:3], 0 offen offset:20
	;; [unrolled: 1-line block ×4, first 2 shown]
	buffer_load_dword v18, v3, s[0:3], 0 offen
	buffer_load_dword v19, v3, s[0:3], 0 offen offset:4
	buffer_load_dword v20, v3, s[0:3], 0 offen offset:8
	;; [unrolled: 1-line block ×3, first 2 shown]
	v_add_co_u32_e32 v8, vcc, 0x2000, v0
	s_mov_b64 s[4:5], vcc
	v_addc_co_u32_e64 v9, s[4:5], 0, v1, s[4:5]
	s_waitcnt vmcnt(0)
	flat_store_dwordx4 v[8:9], v[4:7] offset:16
	v_addc_co_u32_e32 v9, vcc, 0, v1, vcc
	flat_store_dwordx4 v[8:9], v[18:21]
.LBB2129_495:
	s_or_b64 exec, exec, s[6:7]
	v_or_b32_e32 v0, 0x200, v10
	v_cmp_gt_u32_e64 s[6:7], s27, v0
	s_branch .LBB2129_498
.LBB2129_496:
	s_mov_b64 s[6:7], 0
	s_cbranch_execz .LBB2129_498
; %bb.497:
	buffer_load_dword v0, off, s[0:3], 0 offset:300
	buffer_load_dword v1, off, s[0:3], 0 offset:296
	;; [unrolled: 1-line block ×8, first 2 shown]
	buffer_load_dword v11, v13, s[0:3], 0 offen offset:12
	buffer_load_dword v12, v13, s[0:3], 0 offen offset:8
	;; [unrolled: 1-line block ×3, first 2 shown]
	buffer_load_dword v15, v13, s[0:3], 0 offen
	buffer_load_dword v17, v13, s[0:3], 0 offen offset:28
	buffer_load_dword v18, v13, s[0:3], 0 offen offset:24
	;; [unrolled: 1-line block ×7, first 2 shown]
	buffer_load_dword v24, v16, s[0:3], 0 offen
	buffer_load_dword v25, v16, s[0:3], 0 offen offset:28
	buffer_load_dword v26, v16, s[0:3], 0 offen offset:24
	;; [unrolled: 1-line block ×3, first 2 shown]
                                        ; kill: killed $vgpr13
	buffer_load_dword v13, v16, s[0:3], 0 offen offset:16
	v_mul_u32_u24_e32 v34, 0x60, v10
	s_or_b64 s[6:7], s[6:7], exec
	s_waitcnt vmcnt(0)
	buffer_store_dword v0, off, s[0:3], 0 offset:156
	buffer_store_dword v1, off, s[0:3], 0 offset:152
	;; [unrolled: 1-line block ×8, first 2 shown]
	buffer_store_dword v11, v3, s[0:3], 0 offen offset:12
	buffer_store_dword v12, v3, s[0:3], 0 offen offset:8
	;; [unrolled: 1-line block ×3, first 2 shown]
	buffer_store_dword v15, v3, s[0:3], 0 offen
	buffer_store_dword v17, v3, s[0:3], 0 offen offset:28
	buffer_store_dword v18, v3, s[0:3], 0 offen offset:24
	;; [unrolled: 1-line block ×7, first 2 shown]
	buffer_store_dword v24, v2, s[0:3], 0 offen
	buffer_store_dword v25, v2, s[0:3], 0 offen offset:28
	buffer_store_dword v26, v2, s[0:3], 0 offen offset:24
	;; [unrolled: 1-line block ×4, first 2 shown]
	s_waitcnt lgkmcnt(0)
	s_barrier
	buffer_load_dword v4, off, s[0:3], 0 offset:144
	buffer_load_dword v5, off, s[0:3], 0 offset:148
	;; [unrolled: 1-line block ×8, first 2 shown]
	buffer_load_dword v16, v3, s[0:3], 0 offen
	buffer_load_dword v17, v3, s[0:3], 0 offen offset:4
	buffer_load_dword v18, v3, s[0:3], 0 offen offset:8
	;; [unrolled: 1-line block ×7, first 2 shown]
	buffer_load_dword v24, v2, s[0:3], 0 offen
	buffer_load_dword v25, v2, s[0:3], 0 offen offset:4
	buffer_load_dword v26, v2, s[0:3], 0 offen offset:8
	;; [unrolled: 1-line block ×7, first 2 shown]
	v_lshlrev_b32_e32 v0, 6, v10
	v_sub_u32_e32 v35, v34, v0
	v_lshlrev_b32_e32 v1, 5, v10
	v_mov_b32_e32 v8, s9
	v_add_co_u32_e32 v0, vcc, s8, v1
	v_addc_co_u32_e32 v1, vcc, 0, v8, vcc
	v_mov_b32_e32 v11, 0
	v_add_co_u32_e32 v8, vcc, 0x2000, v0
	v_addc_co_u32_e64 v9, s[4:5], 0, v1, vcc
	v_addc_co_u32_e32 v33, vcc, 0, v1, vcc
	v_mov_b32_e32 v32, v8
	s_waitcnt vmcnt(20)
	ds_write_b128 v34, v[4:7]
	s_waitcnt vmcnt(16)
	ds_write_b128 v34, v[12:15] offset:16
	s_waitcnt vmcnt(12)
	ds_write_b128 v34, v[16:19] offset:32
	;; [unrolled: 2-line block ×5, first 2 shown]
	s_waitcnt lgkmcnt(0)
	s_barrier
	ds_read_b128 v[4:7], v35 offset:8192
	ds_read_b128 v[12:15], v35 offset:8208
	;; [unrolled: 1-line block ×4, first 2 shown]
	ds_read2_b32 v[24:25], v35 offset1:1
	ds_read2_b32 v[30:31], v35 offset0:6 offset1:7
	ds_read2_b32 v[28:29], v35 offset0:4 offset1:5
	;; [unrolled: 1-line block ×3, first 2 shown]
	s_waitcnt lgkmcnt(7)
	buffer_store_dword v7, v3, s[0:3], 0 offen offset:12
	buffer_store_dword v6, v3, s[0:3], 0 offen offset:8
	;; [unrolled: 1-line block ×3, first 2 shown]
	buffer_store_dword v4, v3, s[0:3], 0 offen
	s_waitcnt lgkmcnt(6)
	buffer_store_dword v15, v3, s[0:3], 0 offen offset:28
	buffer_store_dword v14, v3, s[0:3], 0 offen offset:24
	;; [unrolled: 1-line block ×4, first 2 shown]
	s_waitcnt lgkmcnt(5)
	buffer_store_dword v19, v2, s[0:3], 0 offen offset:12
	buffer_store_dword v18, v2, s[0:3], 0 offen offset:8
	;; [unrolled: 1-line block ×3, first 2 shown]
	buffer_store_dword v16, v2, s[0:3], 0 offen
	s_waitcnt lgkmcnt(4)
	buffer_store_dword v23, v2, s[0:3], 0 offen offset:28
	buffer_store_dword v22, v2, s[0:3], 0 offen offset:24
	;; [unrolled: 1-line block ×4, first 2 shown]
	s_waitcnt lgkmcnt(1)
	flat_store_dwordx4 v[0:1], v[28:31] offset:16
	s_waitcnt lgkmcnt(0)
	flat_store_dwordx4 v[0:1], v[24:27]
	flat_store_dwordx4 v[32:33], v[4:7]
	flat_store_dwordx4 v[8:9], v[12:15] offset:16
.LBB2129_498:
	s_and_saveexec_b64 s[4:5], s[6:7]
	s_cbranch_execnz .LBB2129_500
; %bb.499:
	s_endpgm
.LBB2129_500:
	buffer_load_dword v4, v2, s[0:3], 0 offen offset:16
	buffer_load_dword v5, v2, s[0:3], 0 offen offset:20
	;; [unrolled: 1-line block ×4, first 2 shown]
	buffer_load_dword v12, v2, s[0:3], 0 offen
	buffer_load_dword v13, v2, s[0:3], 0 offen offset:4
	buffer_load_dword v14, v2, s[0:3], 0 offen offset:8
	;; [unrolled: 1-line block ×3, first 2 shown]
	v_lshlrev_b64 v[0:1], 5, v[10:11]
                                        ; kill: killed $vgpr2
	v_mov_b32_e32 v2, s9
	v_add_co_u32_e32 v0, vcc, s8, v0
	v_addc_co_u32_e32 v2, vcc, v2, v1, vcc
	v_add_co_u32_e32 v0, vcc, 0x4000, v0
	v_addc_co_u32_e64 v1, s[4:5], 0, v2, vcc
	s_waitcnt vmcnt(0)
	flat_store_dwordx4 v[0:1], v[4:7] offset:16
	v_addc_co_u32_e32 v1, vcc, 0, v2, vcc
	flat_store_dwordx4 v[0:1], v[12:15]
	s_endpgm
.LBB2129_501:
	v_lshlrev_b64 v[14:15], 5, v[10:11]
	v_mov_b32_e32 v11, s53
	v_add_co_u32_e32 v14, vcc, s52, v14
	v_addc_co_u32_e32 v15, vcc, v11, v15, vcc
	flat_load_dwordx4 v[18:21], v[14:15]
	flat_load_dwordx4 v[22:25], v[14:15] offset:16
                                        ; kill: killed $vgpr14 killed $vgpr15
	s_waitcnt vmcnt(0) lgkmcnt(0)
	buffer_store_dword v19, off, s[0:3], 0 offset:148
	buffer_store_dword v18, off, s[0:3], 0 offset:144
	;; [unrolled: 1-line block ×8, first 2 shown]
	s_or_b64 exec, exec, s[36:37]
	s_and_saveexec_b64 s[16:17], s[14:15]
	s_cbranch_execz .LBB2129_319
.LBB2129_502:
	v_lshlrev_b32_e32 v8, 5, v8
	v_mov_b32_e32 v11, s53
	v_add_co_u32_e32 v14, vcc, s52, v8
	v_addc_co_u32_e32 v15, vcc, 0, v11, vcc
	flat_load_dwordx4 v[18:21], v[14:15]
	flat_load_dwordx4 v[22:25], v[14:15] offset:16
                                        ; kill: killed $vgpr14 killed $vgpr15
	s_waitcnt vmcnt(0) lgkmcnt(0)
	buffer_store_dword v19, off, s[0:3], 0 offset:180
	buffer_store_dword v18, off, s[0:3], 0 offset:176
	;; [unrolled: 1-line block ×8, first 2 shown]
	s_or_b64 exec, exec, s[16:17]
	s_and_saveexec_b64 s[14:15], s[12:13]
	s_cbranch_execnz .LBB2129_320
	s_branch .LBB2129_321
.LBB2129_503:
                                        ; implicit-def: $sgpr36_sgpr37
	s_branch .LBB2129_314
.LBB2129_504:
                                        ; implicit-def: $sgpr12_sgpr13
	s_branch .LBB2129_329
	.section	.rodata,"a",@progbits
	.p2align	6, 0x0
	.amdhsa_kernel _ZN7rocprim17ROCPRIM_400000_NS6detail17trampoline_kernelINS0_14default_configENS1_27scan_by_key_config_selectorIj11FixedVectorIiLj8EEEEZZNS1_16scan_by_key_implILNS1_25lookback_scan_determinismE0ELb0ES3_N6thrust23THRUST_200600_302600_NS6detail15normal_iteratorINSB_10device_ptrIjEEEENSD_INSE_IS6_EEEESI_S6_NSB_4plusIvEENSB_8equal_toIvEES6_EE10hipError_tPvRmT2_T3_T4_T5_mT6_T7_P12ihipStream_tbENKUlT_T0_E_clISt17integral_constantIbLb1EES13_EEDaSY_SZ_EUlSY_E_NS1_11comp_targetILNS1_3genE4ELNS1_11target_archE910ELNS1_3gpuE8ELNS1_3repE0EEENS1_30default_config_static_selectorELNS0_4arch9wavefront6targetE1EEEvT1_
		.amdhsa_group_segment_fixed_size 32768
		.amdhsa_private_segment_fixed_size 400
		.amdhsa_kernarg_size 160
		.amdhsa_user_sgpr_count 10
		.amdhsa_user_sgpr_private_segment_buffer 1
		.amdhsa_user_sgpr_dispatch_ptr 1
		.amdhsa_user_sgpr_queue_ptr 0
		.amdhsa_user_sgpr_kernarg_segment_ptr 1
		.amdhsa_user_sgpr_dispatch_id 0
		.amdhsa_user_sgpr_flat_scratch_init 1
		.amdhsa_user_sgpr_kernarg_preload_length 0
		.amdhsa_user_sgpr_kernarg_preload_offset 0
		.amdhsa_user_sgpr_private_segment_size 0
		.amdhsa_uses_dynamic_stack 0
		.amdhsa_system_sgpr_private_segment_wavefront_offset 1
		.amdhsa_system_sgpr_workgroup_id_x 1
		.amdhsa_system_sgpr_workgroup_id_y 0
		.amdhsa_system_sgpr_workgroup_id_z 0
		.amdhsa_system_sgpr_workgroup_info 0
		.amdhsa_system_vgpr_workitem_id 2
		.amdhsa_next_free_vgpr 45
		.amdhsa_next_free_sgpr 55
		.amdhsa_accum_offset 48
		.amdhsa_reserve_vcc 1
		.amdhsa_reserve_flat_scratch 1
		.amdhsa_float_round_mode_32 0
		.amdhsa_float_round_mode_16_64 0
		.amdhsa_float_denorm_mode_32 3
		.amdhsa_float_denorm_mode_16_64 3
		.amdhsa_dx10_clamp 1
		.amdhsa_ieee_mode 1
		.amdhsa_fp16_overflow 0
		.amdhsa_tg_split 0
		.amdhsa_exception_fp_ieee_invalid_op 0
		.amdhsa_exception_fp_denorm_src 0
		.amdhsa_exception_fp_ieee_div_zero 0
		.amdhsa_exception_fp_ieee_overflow 0
		.amdhsa_exception_fp_ieee_underflow 0
		.amdhsa_exception_fp_ieee_inexact 0
		.amdhsa_exception_int_div_zero 0
	.end_amdhsa_kernel
	.section	.text._ZN7rocprim17ROCPRIM_400000_NS6detail17trampoline_kernelINS0_14default_configENS1_27scan_by_key_config_selectorIj11FixedVectorIiLj8EEEEZZNS1_16scan_by_key_implILNS1_25lookback_scan_determinismE0ELb0ES3_N6thrust23THRUST_200600_302600_NS6detail15normal_iteratorINSB_10device_ptrIjEEEENSD_INSE_IS6_EEEESI_S6_NSB_4plusIvEENSB_8equal_toIvEES6_EE10hipError_tPvRmT2_T3_T4_T5_mT6_T7_P12ihipStream_tbENKUlT_T0_E_clISt17integral_constantIbLb1EES13_EEDaSY_SZ_EUlSY_E_NS1_11comp_targetILNS1_3genE4ELNS1_11target_archE910ELNS1_3gpuE8ELNS1_3repE0EEENS1_30default_config_static_selectorELNS0_4arch9wavefront6targetE1EEEvT1_,"axG",@progbits,_ZN7rocprim17ROCPRIM_400000_NS6detail17trampoline_kernelINS0_14default_configENS1_27scan_by_key_config_selectorIj11FixedVectorIiLj8EEEEZZNS1_16scan_by_key_implILNS1_25lookback_scan_determinismE0ELb0ES3_N6thrust23THRUST_200600_302600_NS6detail15normal_iteratorINSB_10device_ptrIjEEEENSD_INSE_IS6_EEEESI_S6_NSB_4plusIvEENSB_8equal_toIvEES6_EE10hipError_tPvRmT2_T3_T4_T5_mT6_T7_P12ihipStream_tbENKUlT_T0_E_clISt17integral_constantIbLb1EES13_EEDaSY_SZ_EUlSY_E_NS1_11comp_targetILNS1_3genE4ELNS1_11target_archE910ELNS1_3gpuE8ELNS1_3repE0EEENS1_30default_config_static_selectorELNS0_4arch9wavefront6targetE1EEEvT1_,comdat
.Lfunc_end2129:
	.size	_ZN7rocprim17ROCPRIM_400000_NS6detail17trampoline_kernelINS0_14default_configENS1_27scan_by_key_config_selectorIj11FixedVectorIiLj8EEEEZZNS1_16scan_by_key_implILNS1_25lookback_scan_determinismE0ELb0ES3_N6thrust23THRUST_200600_302600_NS6detail15normal_iteratorINSB_10device_ptrIjEEEENSD_INSE_IS6_EEEESI_S6_NSB_4plusIvEENSB_8equal_toIvEES6_EE10hipError_tPvRmT2_T3_T4_T5_mT6_T7_P12ihipStream_tbENKUlT_T0_E_clISt17integral_constantIbLb1EES13_EEDaSY_SZ_EUlSY_E_NS1_11comp_targetILNS1_3genE4ELNS1_11target_archE910ELNS1_3gpuE8ELNS1_3repE0EEENS1_30default_config_static_selectorELNS0_4arch9wavefront6targetE1EEEvT1_, .Lfunc_end2129-_ZN7rocprim17ROCPRIM_400000_NS6detail17trampoline_kernelINS0_14default_configENS1_27scan_by_key_config_selectorIj11FixedVectorIiLj8EEEEZZNS1_16scan_by_key_implILNS1_25lookback_scan_determinismE0ELb0ES3_N6thrust23THRUST_200600_302600_NS6detail15normal_iteratorINSB_10device_ptrIjEEEENSD_INSE_IS6_EEEESI_S6_NSB_4plusIvEENSB_8equal_toIvEES6_EE10hipError_tPvRmT2_T3_T4_T5_mT6_T7_P12ihipStream_tbENKUlT_T0_E_clISt17integral_constantIbLb1EES13_EEDaSY_SZ_EUlSY_E_NS1_11comp_targetILNS1_3genE4ELNS1_11target_archE910ELNS1_3gpuE8ELNS1_3repE0EEENS1_30default_config_static_selectorELNS0_4arch9wavefront6targetE1EEEvT1_
                                        ; -- End function
	.section	.AMDGPU.csdata,"",@progbits
; Kernel info:
; codeLenInByte = 34184
; NumSgprs: 61
; NumVgprs: 45
; NumAgprs: 0
; TotalNumVgprs: 45
; ScratchSize: 400
; MemoryBound: 0
; FloatMode: 240
; IeeeMode: 1
; LDSByteSize: 32768 bytes/workgroup (compile time only)
; SGPRBlocks: 7
; VGPRBlocks: 5
; NumSGPRsForWavesPerEU: 61
; NumVGPRsForWavesPerEU: 45
; AccumOffset: 48
; Occupancy: 2
; WaveLimiterHint : 1
; COMPUTE_PGM_RSRC2:SCRATCH_EN: 1
; COMPUTE_PGM_RSRC2:USER_SGPR: 10
; COMPUTE_PGM_RSRC2:TRAP_HANDLER: 0
; COMPUTE_PGM_RSRC2:TGID_X_EN: 1
; COMPUTE_PGM_RSRC2:TGID_Y_EN: 0
; COMPUTE_PGM_RSRC2:TGID_Z_EN: 0
; COMPUTE_PGM_RSRC2:TIDIG_COMP_CNT: 2
; COMPUTE_PGM_RSRC3_GFX90A:ACCUM_OFFSET: 11
; COMPUTE_PGM_RSRC3_GFX90A:TG_SPLIT: 0
	.section	.text._ZN7rocprim17ROCPRIM_400000_NS6detail17trampoline_kernelINS0_14default_configENS1_27scan_by_key_config_selectorIj11FixedVectorIiLj8EEEEZZNS1_16scan_by_key_implILNS1_25lookback_scan_determinismE0ELb0ES3_N6thrust23THRUST_200600_302600_NS6detail15normal_iteratorINSB_10device_ptrIjEEEENSD_INSE_IS6_EEEESI_S6_NSB_4plusIvEENSB_8equal_toIvEES6_EE10hipError_tPvRmT2_T3_T4_T5_mT6_T7_P12ihipStream_tbENKUlT_T0_E_clISt17integral_constantIbLb1EES13_EEDaSY_SZ_EUlSY_E_NS1_11comp_targetILNS1_3genE3ELNS1_11target_archE908ELNS1_3gpuE7ELNS1_3repE0EEENS1_30default_config_static_selectorELNS0_4arch9wavefront6targetE1EEEvT1_,"axG",@progbits,_ZN7rocprim17ROCPRIM_400000_NS6detail17trampoline_kernelINS0_14default_configENS1_27scan_by_key_config_selectorIj11FixedVectorIiLj8EEEEZZNS1_16scan_by_key_implILNS1_25lookback_scan_determinismE0ELb0ES3_N6thrust23THRUST_200600_302600_NS6detail15normal_iteratorINSB_10device_ptrIjEEEENSD_INSE_IS6_EEEESI_S6_NSB_4plusIvEENSB_8equal_toIvEES6_EE10hipError_tPvRmT2_T3_T4_T5_mT6_T7_P12ihipStream_tbENKUlT_T0_E_clISt17integral_constantIbLb1EES13_EEDaSY_SZ_EUlSY_E_NS1_11comp_targetILNS1_3genE3ELNS1_11target_archE908ELNS1_3gpuE7ELNS1_3repE0EEENS1_30default_config_static_selectorELNS0_4arch9wavefront6targetE1EEEvT1_,comdat
	.protected	_ZN7rocprim17ROCPRIM_400000_NS6detail17trampoline_kernelINS0_14default_configENS1_27scan_by_key_config_selectorIj11FixedVectorIiLj8EEEEZZNS1_16scan_by_key_implILNS1_25lookback_scan_determinismE0ELb0ES3_N6thrust23THRUST_200600_302600_NS6detail15normal_iteratorINSB_10device_ptrIjEEEENSD_INSE_IS6_EEEESI_S6_NSB_4plusIvEENSB_8equal_toIvEES6_EE10hipError_tPvRmT2_T3_T4_T5_mT6_T7_P12ihipStream_tbENKUlT_T0_E_clISt17integral_constantIbLb1EES13_EEDaSY_SZ_EUlSY_E_NS1_11comp_targetILNS1_3genE3ELNS1_11target_archE908ELNS1_3gpuE7ELNS1_3repE0EEENS1_30default_config_static_selectorELNS0_4arch9wavefront6targetE1EEEvT1_ ; -- Begin function _ZN7rocprim17ROCPRIM_400000_NS6detail17trampoline_kernelINS0_14default_configENS1_27scan_by_key_config_selectorIj11FixedVectorIiLj8EEEEZZNS1_16scan_by_key_implILNS1_25lookback_scan_determinismE0ELb0ES3_N6thrust23THRUST_200600_302600_NS6detail15normal_iteratorINSB_10device_ptrIjEEEENSD_INSE_IS6_EEEESI_S6_NSB_4plusIvEENSB_8equal_toIvEES6_EE10hipError_tPvRmT2_T3_T4_T5_mT6_T7_P12ihipStream_tbENKUlT_T0_E_clISt17integral_constantIbLb1EES13_EEDaSY_SZ_EUlSY_E_NS1_11comp_targetILNS1_3genE3ELNS1_11target_archE908ELNS1_3gpuE7ELNS1_3repE0EEENS1_30default_config_static_selectorELNS0_4arch9wavefront6targetE1EEEvT1_
	.globl	_ZN7rocprim17ROCPRIM_400000_NS6detail17trampoline_kernelINS0_14default_configENS1_27scan_by_key_config_selectorIj11FixedVectorIiLj8EEEEZZNS1_16scan_by_key_implILNS1_25lookback_scan_determinismE0ELb0ES3_N6thrust23THRUST_200600_302600_NS6detail15normal_iteratorINSB_10device_ptrIjEEEENSD_INSE_IS6_EEEESI_S6_NSB_4plusIvEENSB_8equal_toIvEES6_EE10hipError_tPvRmT2_T3_T4_T5_mT6_T7_P12ihipStream_tbENKUlT_T0_E_clISt17integral_constantIbLb1EES13_EEDaSY_SZ_EUlSY_E_NS1_11comp_targetILNS1_3genE3ELNS1_11target_archE908ELNS1_3gpuE7ELNS1_3repE0EEENS1_30default_config_static_selectorELNS0_4arch9wavefront6targetE1EEEvT1_
	.p2align	8
	.type	_ZN7rocprim17ROCPRIM_400000_NS6detail17trampoline_kernelINS0_14default_configENS1_27scan_by_key_config_selectorIj11FixedVectorIiLj8EEEEZZNS1_16scan_by_key_implILNS1_25lookback_scan_determinismE0ELb0ES3_N6thrust23THRUST_200600_302600_NS6detail15normal_iteratorINSB_10device_ptrIjEEEENSD_INSE_IS6_EEEESI_S6_NSB_4plusIvEENSB_8equal_toIvEES6_EE10hipError_tPvRmT2_T3_T4_T5_mT6_T7_P12ihipStream_tbENKUlT_T0_E_clISt17integral_constantIbLb1EES13_EEDaSY_SZ_EUlSY_E_NS1_11comp_targetILNS1_3genE3ELNS1_11target_archE908ELNS1_3gpuE7ELNS1_3repE0EEENS1_30default_config_static_selectorELNS0_4arch9wavefront6targetE1EEEvT1_,@function
_ZN7rocprim17ROCPRIM_400000_NS6detail17trampoline_kernelINS0_14default_configENS1_27scan_by_key_config_selectorIj11FixedVectorIiLj8EEEEZZNS1_16scan_by_key_implILNS1_25lookback_scan_determinismE0ELb0ES3_N6thrust23THRUST_200600_302600_NS6detail15normal_iteratorINSB_10device_ptrIjEEEENSD_INSE_IS6_EEEESI_S6_NSB_4plusIvEENSB_8equal_toIvEES6_EE10hipError_tPvRmT2_T3_T4_T5_mT6_T7_P12ihipStream_tbENKUlT_T0_E_clISt17integral_constantIbLb1EES13_EEDaSY_SZ_EUlSY_E_NS1_11comp_targetILNS1_3genE3ELNS1_11target_archE908ELNS1_3gpuE7ELNS1_3repE0EEENS1_30default_config_static_selectorELNS0_4arch9wavefront6targetE1EEEvT1_: ; @_ZN7rocprim17ROCPRIM_400000_NS6detail17trampoline_kernelINS0_14default_configENS1_27scan_by_key_config_selectorIj11FixedVectorIiLj8EEEEZZNS1_16scan_by_key_implILNS1_25lookback_scan_determinismE0ELb0ES3_N6thrust23THRUST_200600_302600_NS6detail15normal_iteratorINSB_10device_ptrIjEEEENSD_INSE_IS6_EEEESI_S6_NSB_4plusIvEENSB_8equal_toIvEES6_EE10hipError_tPvRmT2_T3_T4_T5_mT6_T7_P12ihipStream_tbENKUlT_T0_E_clISt17integral_constantIbLb1EES13_EEDaSY_SZ_EUlSY_E_NS1_11comp_targetILNS1_3genE3ELNS1_11target_archE908ELNS1_3gpuE7ELNS1_3repE0EEENS1_30default_config_static_selectorELNS0_4arch9wavefront6targetE1EEEvT1_
; %bb.0:
	.section	.rodata,"a",@progbits
	.p2align	6, 0x0
	.amdhsa_kernel _ZN7rocprim17ROCPRIM_400000_NS6detail17trampoline_kernelINS0_14default_configENS1_27scan_by_key_config_selectorIj11FixedVectorIiLj8EEEEZZNS1_16scan_by_key_implILNS1_25lookback_scan_determinismE0ELb0ES3_N6thrust23THRUST_200600_302600_NS6detail15normal_iteratorINSB_10device_ptrIjEEEENSD_INSE_IS6_EEEESI_S6_NSB_4plusIvEENSB_8equal_toIvEES6_EE10hipError_tPvRmT2_T3_T4_T5_mT6_T7_P12ihipStream_tbENKUlT_T0_E_clISt17integral_constantIbLb1EES13_EEDaSY_SZ_EUlSY_E_NS1_11comp_targetILNS1_3genE3ELNS1_11target_archE908ELNS1_3gpuE7ELNS1_3repE0EEENS1_30default_config_static_selectorELNS0_4arch9wavefront6targetE1EEEvT1_
		.amdhsa_group_segment_fixed_size 0
		.amdhsa_private_segment_fixed_size 0
		.amdhsa_kernarg_size 160
		.amdhsa_user_sgpr_count 6
		.amdhsa_user_sgpr_private_segment_buffer 1
		.amdhsa_user_sgpr_dispatch_ptr 0
		.amdhsa_user_sgpr_queue_ptr 0
		.amdhsa_user_sgpr_kernarg_segment_ptr 1
		.amdhsa_user_sgpr_dispatch_id 0
		.amdhsa_user_sgpr_flat_scratch_init 0
		.amdhsa_user_sgpr_kernarg_preload_length 0
		.amdhsa_user_sgpr_kernarg_preload_offset 0
		.amdhsa_user_sgpr_private_segment_size 0
		.amdhsa_uses_dynamic_stack 0
		.amdhsa_system_sgpr_private_segment_wavefront_offset 0
		.amdhsa_system_sgpr_workgroup_id_x 1
		.amdhsa_system_sgpr_workgroup_id_y 0
		.amdhsa_system_sgpr_workgroup_id_z 0
		.amdhsa_system_sgpr_workgroup_info 0
		.amdhsa_system_vgpr_workitem_id 0
		.amdhsa_next_free_vgpr 1
		.amdhsa_next_free_sgpr 0
		.amdhsa_accum_offset 4
		.amdhsa_reserve_vcc 0
		.amdhsa_reserve_flat_scratch 0
		.amdhsa_float_round_mode_32 0
		.amdhsa_float_round_mode_16_64 0
		.amdhsa_float_denorm_mode_32 3
		.amdhsa_float_denorm_mode_16_64 3
		.amdhsa_dx10_clamp 1
		.amdhsa_ieee_mode 1
		.amdhsa_fp16_overflow 0
		.amdhsa_tg_split 0
		.amdhsa_exception_fp_ieee_invalid_op 0
		.amdhsa_exception_fp_denorm_src 0
		.amdhsa_exception_fp_ieee_div_zero 0
		.amdhsa_exception_fp_ieee_overflow 0
		.amdhsa_exception_fp_ieee_underflow 0
		.amdhsa_exception_fp_ieee_inexact 0
		.amdhsa_exception_int_div_zero 0
	.end_amdhsa_kernel
	.section	.text._ZN7rocprim17ROCPRIM_400000_NS6detail17trampoline_kernelINS0_14default_configENS1_27scan_by_key_config_selectorIj11FixedVectorIiLj8EEEEZZNS1_16scan_by_key_implILNS1_25lookback_scan_determinismE0ELb0ES3_N6thrust23THRUST_200600_302600_NS6detail15normal_iteratorINSB_10device_ptrIjEEEENSD_INSE_IS6_EEEESI_S6_NSB_4plusIvEENSB_8equal_toIvEES6_EE10hipError_tPvRmT2_T3_T4_T5_mT6_T7_P12ihipStream_tbENKUlT_T0_E_clISt17integral_constantIbLb1EES13_EEDaSY_SZ_EUlSY_E_NS1_11comp_targetILNS1_3genE3ELNS1_11target_archE908ELNS1_3gpuE7ELNS1_3repE0EEENS1_30default_config_static_selectorELNS0_4arch9wavefront6targetE1EEEvT1_,"axG",@progbits,_ZN7rocprim17ROCPRIM_400000_NS6detail17trampoline_kernelINS0_14default_configENS1_27scan_by_key_config_selectorIj11FixedVectorIiLj8EEEEZZNS1_16scan_by_key_implILNS1_25lookback_scan_determinismE0ELb0ES3_N6thrust23THRUST_200600_302600_NS6detail15normal_iteratorINSB_10device_ptrIjEEEENSD_INSE_IS6_EEEESI_S6_NSB_4plusIvEENSB_8equal_toIvEES6_EE10hipError_tPvRmT2_T3_T4_T5_mT6_T7_P12ihipStream_tbENKUlT_T0_E_clISt17integral_constantIbLb1EES13_EEDaSY_SZ_EUlSY_E_NS1_11comp_targetILNS1_3genE3ELNS1_11target_archE908ELNS1_3gpuE7ELNS1_3repE0EEENS1_30default_config_static_selectorELNS0_4arch9wavefront6targetE1EEEvT1_,comdat
.Lfunc_end2130:
	.size	_ZN7rocprim17ROCPRIM_400000_NS6detail17trampoline_kernelINS0_14default_configENS1_27scan_by_key_config_selectorIj11FixedVectorIiLj8EEEEZZNS1_16scan_by_key_implILNS1_25lookback_scan_determinismE0ELb0ES3_N6thrust23THRUST_200600_302600_NS6detail15normal_iteratorINSB_10device_ptrIjEEEENSD_INSE_IS6_EEEESI_S6_NSB_4plusIvEENSB_8equal_toIvEES6_EE10hipError_tPvRmT2_T3_T4_T5_mT6_T7_P12ihipStream_tbENKUlT_T0_E_clISt17integral_constantIbLb1EES13_EEDaSY_SZ_EUlSY_E_NS1_11comp_targetILNS1_3genE3ELNS1_11target_archE908ELNS1_3gpuE7ELNS1_3repE0EEENS1_30default_config_static_selectorELNS0_4arch9wavefront6targetE1EEEvT1_, .Lfunc_end2130-_ZN7rocprim17ROCPRIM_400000_NS6detail17trampoline_kernelINS0_14default_configENS1_27scan_by_key_config_selectorIj11FixedVectorIiLj8EEEEZZNS1_16scan_by_key_implILNS1_25lookback_scan_determinismE0ELb0ES3_N6thrust23THRUST_200600_302600_NS6detail15normal_iteratorINSB_10device_ptrIjEEEENSD_INSE_IS6_EEEESI_S6_NSB_4plusIvEENSB_8equal_toIvEES6_EE10hipError_tPvRmT2_T3_T4_T5_mT6_T7_P12ihipStream_tbENKUlT_T0_E_clISt17integral_constantIbLb1EES13_EEDaSY_SZ_EUlSY_E_NS1_11comp_targetILNS1_3genE3ELNS1_11target_archE908ELNS1_3gpuE7ELNS1_3repE0EEENS1_30default_config_static_selectorELNS0_4arch9wavefront6targetE1EEEvT1_
                                        ; -- End function
	.section	.AMDGPU.csdata,"",@progbits
; Kernel info:
; codeLenInByte = 0
; NumSgprs: 4
; NumVgprs: 0
; NumAgprs: 0
; TotalNumVgprs: 0
; ScratchSize: 0
; MemoryBound: 0
; FloatMode: 240
; IeeeMode: 1
; LDSByteSize: 0 bytes/workgroup (compile time only)
; SGPRBlocks: 0
; VGPRBlocks: 0
; NumSGPRsForWavesPerEU: 4
; NumVGPRsForWavesPerEU: 1
; AccumOffset: 4
; Occupancy: 8
; WaveLimiterHint : 0
; COMPUTE_PGM_RSRC2:SCRATCH_EN: 0
; COMPUTE_PGM_RSRC2:USER_SGPR: 6
; COMPUTE_PGM_RSRC2:TRAP_HANDLER: 0
; COMPUTE_PGM_RSRC2:TGID_X_EN: 1
; COMPUTE_PGM_RSRC2:TGID_Y_EN: 0
; COMPUTE_PGM_RSRC2:TGID_Z_EN: 0
; COMPUTE_PGM_RSRC2:TIDIG_COMP_CNT: 0
; COMPUTE_PGM_RSRC3_GFX90A:ACCUM_OFFSET: 0
; COMPUTE_PGM_RSRC3_GFX90A:TG_SPLIT: 0
	.section	.text._ZN7rocprim17ROCPRIM_400000_NS6detail17trampoline_kernelINS0_14default_configENS1_27scan_by_key_config_selectorIj11FixedVectorIiLj8EEEEZZNS1_16scan_by_key_implILNS1_25lookback_scan_determinismE0ELb0ES3_N6thrust23THRUST_200600_302600_NS6detail15normal_iteratorINSB_10device_ptrIjEEEENSD_INSE_IS6_EEEESI_S6_NSB_4plusIvEENSB_8equal_toIvEES6_EE10hipError_tPvRmT2_T3_T4_T5_mT6_T7_P12ihipStream_tbENKUlT_T0_E_clISt17integral_constantIbLb1EES13_EEDaSY_SZ_EUlSY_E_NS1_11comp_targetILNS1_3genE2ELNS1_11target_archE906ELNS1_3gpuE6ELNS1_3repE0EEENS1_30default_config_static_selectorELNS0_4arch9wavefront6targetE1EEEvT1_,"axG",@progbits,_ZN7rocprim17ROCPRIM_400000_NS6detail17trampoline_kernelINS0_14default_configENS1_27scan_by_key_config_selectorIj11FixedVectorIiLj8EEEEZZNS1_16scan_by_key_implILNS1_25lookback_scan_determinismE0ELb0ES3_N6thrust23THRUST_200600_302600_NS6detail15normal_iteratorINSB_10device_ptrIjEEEENSD_INSE_IS6_EEEESI_S6_NSB_4plusIvEENSB_8equal_toIvEES6_EE10hipError_tPvRmT2_T3_T4_T5_mT6_T7_P12ihipStream_tbENKUlT_T0_E_clISt17integral_constantIbLb1EES13_EEDaSY_SZ_EUlSY_E_NS1_11comp_targetILNS1_3genE2ELNS1_11target_archE906ELNS1_3gpuE6ELNS1_3repE0EEENS1_30default_config_static_selectorELNS0_4arch9wavefront6targetE1EEEvT1_,comdat
	.protected	_ZN7rocprim17ROCPRIM_400000_NS6detail17trampoline_kernelINS0_14default_configENS1_27scan_by_key_config_selectorIj11FixedVectorIiLj8EEEEZZNS1_16scan_by_key_implILNS1_25lookback_scan_determinismE0ELb0ES3_N6thrust23THRUST_200600_302600_NS6detail15normal_iteratorINSB_10device_ptrIjEEEENSD_INSE_IS6_EEEESI_S6_NSB_4plusIvEENSB_8equal_toIvEES6_EE10hipError_tPvRmT2_T3_T4_T5_mT6_T7_P12ihipStream_tbENKUlT_T0_E_clISt17integral_constantIbLb1EES13_EEDaSY_SZ_EUlSY_E_NS1_11comp_targetILNS1_3genE2ELNS1_11target_archE906ELNS1_3gpuE6ELNS1_3repE0EEENS1_30default_config_static_selectorELNS0_4arch9wavefront6targetE1EEEvT1_ ; -- Begin function _ZN7rocprim17ROCPRIM_400000_NS6detail17trampoline_kernelINS0_14default_configENS1_27scan_by_key_config_selectorIj11FixedVectorIiLj8EEEEZZNS1_16scan_by_key_implILNS1_25lookback_scan_determinismE0ELb0ES3_N6thrust23THRUST_200600_302600_NS6detail15normal_iteratorINSB_10device_ptrIjEEEENSD_INSE_IS6_EEEESI_S6_NSB_4plusIvEENSB_8equal_toIvEES6_EE10hipError_tPvRmT2_T3_T4_T5_mT6_T7_P12ihipStream_tbENKUlT_T0_E_clISt17integral_constantIbLb1EES13_EEDaSY_SZ_EUlSY_E_NS1_11comp_targetILNS1_3genE2ELNS1_11target_archE906ELNS1_3gpuE6ELNS1_3repE0EEENS1_30default_config_static_selectorELNS0_4arch9wavefront6targetE1EEEvT1_
	.globl	_ZN7rocprim17ROCPRIM_400000_NS6detail17trampoline_kernelINS0_14default_configENS1_27scan_by_key_config_selectorIj11FixedVectorIiLj8EEEEZZNS1_16scan_by_key_implILNS1_25lookback_scan_determinismE0ELb0ES3_N6thrust23THRUST_200600_302600_NS6detail15normal_iteratorINSB_10device_ptrIjEEEENSD_INSE_IS6_EEEESI_S6_NSB_4plusIvEENSB_8equal_toIvEES6_EE10hipError_tPvRmT2_T3_T4_T5_mT6_T7_P12ihipStream_tbENKUlT_T0_E_clISt17integral_constantIbLb1EES13_EEDaSY_SZ_EUlSY_E_NS1_11comp_targetILNS1_3genE2ELNS1_11target_archE906ELNS1_3gpuE6ELNS1_3repE0EEENS1_30default_config_static_selectorELNS0_4arch9wavefront6targetE1EEEvT1_
	.p2align	8
	.type	_ZN7rocprim17ROCPRIM_400000_NS6detail17trampoline_kernelINS0_14default_configENS1_27scan_by_key_config_selectorIj11FixedVectorIiLj8EEEEZZNS1_16scan_by_key_implILNS1_25lookback_scan_determinismE0ELb0ES3_N6thrust23THRUST_200600_302600_NS6detail15normal_iteratorINSB_10device_ptrIjEEEENSD_INSE_IS6_EEEESI_S6_NSB_4plusIvEENSB_8equal_toIvEES6_EE10hipError_tPvRmT2_T3_T4_T5_mT6_T7_P12ihipStream_tbENKUlT_T0_E_clISt17integral_constantIbLb1EES13_EEDaSY_SZ_EUlSY_E_NS1_11comp_targetILNS1_3genE2ELNS1_11target_archE906ELNS1_3gpuE6ELNS1_3repE0EEENS1_30default_config_static_selectorELNS0_4arch9wavefront6targetE1EEEvT1_,@function
_ZN7rocprim17ROCPRIM_400000_NS6detail17trampoline_kernelINS0_14default_configENS1_27scan_by_key_config_selectorIj11FixedVectorIiLj8EEEEZZNS1_16scan_by_key_implILNS1_25lookback_scan_determinismE0ELb0ES3_N6thrust23THRUST_200600_302600_NS6detail15normal_iteratorINSB_10device_ptrIjEEEENSD_INSE_IS6_EEEESI_S6_NSB_4plusIvEENSB_8equal_toIvEES6_EE10hipError_tPvRmT2_T3_T4_T5_mT6_T7_P12ihipStream_tbENKUlT_T0_E_clISt17integral_constantIbLb1EES13_EEDaSY_SZ_EUlSY_E_NS1_11comp_targetILNS1_3genE2ELNS1_11target_archE906ELNS1_3gpuE6ELNS1_3repE0EEENS1_30default_config_static_selectorELNS0_4arch9wavefront6targetE1EEEvT1_: ; @_ZN7rocprim17ROCPRIM_400000_NS6detail17trampoline_kernelINS0_14default_configENS1_27scan_by_key_config_selectorIj11FixedVectorIiLj8EEEEZZNS1_16scan_by_key_implILNS1_25lookback_scan_determinismE0ELb0ES3_N6thrust23THRUST_200600_302600_NS6detail15normal_iteratorINSB_10device_ptrIjEEEENSD_INSE_IS6_EEEESI_S6_NSB_4plusIvEENSB_8equal_toIvEES6_EE10hipError_tPvRmT2_T3_T4_T5_mT6_T7_P12ihipStream_tbENKUlT_T0_E_clISt17integral_constantIbLb1EES13_EEDaSY_SZ_EUlSY_E_NS1_11comp_targetILNS1_3genE2ELNS1_11target_archE906ELNS1_3gpuE6ELNS1_3repE0EEENS1_30default_config_static_selectorELNS0_4arch9wavefront6targetE1EEEvT1_
; %bb.0:
	.section	.rodata,"a",@progbits
	.p2align	6, 0x0
	.amdhsa_kernel _ZN7rocprim17ROCPRIM_400000_NS6detail17trampoline_kernelINS0_14default_configENS1_27scan_by_key_config_selectorIj11FixedVectorIiLj8EEEEZZNS1_16scan_by_key_implILNS1_25lookback_scan_determinismE0ELb0ES3_N6thrust23THRUST_200600_302600_NS6detail15normal_iteratorINSB_10device_ptrIjEEEENSD_INSE_IS6_EEEESI_S6_NSB_4plusIvEENSB_8equal_toIvEES6_EE10hipError_tPvRmT2_T3_T4_T5_mT6_T7_P12ihipStream_tbENKUlT_T0_E_clISt17integral_constantIbLb1EES13_EEDaSY_SZ_EUlSY_E_NS1_11comp_targetILNS1_3genE2ELNS1_11target_archE906ELNS1_3gpuE6ELNS1_3repE0EEENS1_30default_config_static_selectorELNS0_4arch9wavefront6targetE1EEEvT1_
		.amdhsa_group_segment_fixed_size 0
		.amdhsa_private_segment_fixed_size 0
		.amdhsa_kernarg_size 160
		.amdhsa_user_sgpr_count 6
		.amdhsa_user_sgpr_private_segment_buffer 1
		.amdhsa_user_sgpr_dispatch_ptr 0
		.amdhsa_user_sgpr_queue_ptr 0
		.amdhsa_user_sgpr_kernarg_segment_ptr 1
		.amdhsa_user_sgpr_dispatch_id 0
		.amdhsa_user_sgpr_flat_scratch_init 0
		.amdhsa_user_sgpr_kernarg_preload_length 0
		.amdhsa_user_sgpr_kernarg_preload_offset 0
		.amdhsa_user_sgpr_private_segment_size 0
		.amdhsa_uses_dynamic_stack 0
		.amdhsa_system_sgpr_private_segment_wavefront_offset 0
		.amdhsa_system_sgpr_workgroup_id_x 1
		.amdhsa_system_sgpr_workgroup_id_y 0
		.amdhsa_system_sgpr_workgroup_id_z 0
		.amdhsa_system_sgpr_workgroup_info 0
		.amdhsa_system_vgpr_workitem_id 0
		.amdhsa_next_free_vgpr 1
		.amdhsa_next_free_sgpr 0
		.amdhsa_accum_offset 4
		.amdhsa_reserve_vcc 0
		.amdhsa_reserve_flat_scratch 0
		.amdhsa_float_round_mode_32 0
		.amdhsa_float_round_mode_16_64 0
		.amdhsa_float_denorm_mode_32 3
		.amdhsa_float_denorm_mode_16_64 3
		.amdhsa_dx10_clamp 1
		.amdhsa_ieee_mode 1
		.amdhsa_fp16_overflow 0
		.amdhsa_tg_split 0
		.amdhsa_exception_fp_ieee_invalid_op 0
		.amdhsa_exception_fp_denorm_src 0
		.amdhsa_exception_fp_ieee_div_zero 0
		.amdhsa_exception_fp_ieee_overflow 0
		.amdhsa_exception_fp_ieee_underflow 0
		.amdhsa_exception_fp_ieee_inexact 0
		.amdhsa_exception_int_div_zero 0
	.end_amdhsa_kernel
	.section	.text._ZN7rocprim17ROCPRIM_400000_NS6detail17trampoline_kernelINS0_14default_configENS1_27scan_by_key_config_selectorIj11FixedVectorIiLj8EEEEZZNS1_16scan_by_key_implILNS1_25lookback_scan_determinismE0ELb0ES3_N6thrust23THRUST_200600_302600_NS6detail15normal_iteratorINSB_10device_ptrIjEEEENSD_INSE_IS6_EEEESI_S6_NSB_4plusIvEENSB_8equal_toIvEES6_EE10hipError_tPvRmT2_T3_T4_T5_mT6_T7_P12ihipStream_tbENKUlT_T0_E_clISt17integral_constantIbLb1EES13_EEDaSY_SZ_EUlSY_E_NS1_11comp_targetILNS1_3genE2ELNS1_11target_archE906ELNS1_3gpuE6ELNS1_3repE0EEENS1_30default_config_static_selectorELNS0_4arch9wavefront6targetE1EEEvT1_,"axG",@progbits,_ZN7rocprim17ROCPRIM_400000_NS6detail17trampoline_kernelINS0_14default_configENS1_27scan_by_key_config_selectorIj11FixedVectorIiLj8EEEEZZNS1_16scan_by_key_implILNS1_25lookback_scan_determinismE0ELb0ES3_N6thrust23THRUST_200600_302600_NS6detail15normal_iteratorINSB_10device_ptrIjEEEENSD_INSE_IS6_EEEESI_S6_NSB_4plusIvEENSB_8equal_toIvEES6_EE10hipError_tPvRmT2_T3_T4_T5_mT6_T7_P12ihipStream_tbENKUlT_T0_E_clISt17integral_constantIbLb1EES13_EEDaSY_SZ_EUlSY_E_NS1_11comp_targetILNS1_3genE2ELNS1_11target_archE906ELNS1_3gpuE6ELNS1_3repE0EEENS1_30default_config_static_selectorELNS0_4arch9wavefront6targetE1EEEvT1_,comdat
.Lfunc_end2131:
	.size	_ZN7rocprim17ROCPRIM_400000_NS6detail17trampoline_kernelINS0_14default_configENS1_27scan_by_key_config_selectorIj11FixedVectorIiLj8EEEEZZNS1_16scan_by_key_implILNS1_25lookback_scan_determinismE0ELb0ES3_N6thrust23THRUST_200600_302600_NS6detail15normal_iteratorINSB_10device_ptrIjEEEENSD_INSE_IS6_EEEESI_S6_NSB_4plusIvEENSB_8equal_toIvEES6_EE10hipError_tPvRmT2_T3_T4_T5_mT6_T7_P12ihipStream_tbENKUlT_T0_E_clISt17integral_constantIbLb1EES13_EEDaSY_SZ_EUlSY_E_NS1_11comp_targetILNS1_3genE2ELNS1_11target_archE906ELNS1_3gpuE6ELNS1_3repE0EEENS1_30default_config_static_selectorELNS0_4arch9wavefront6targetE1EEEvT1_, .Lfunc_end2131-_ZN7rocprim17ROCPRIM_400000_NS6detail17trampoline_kernelINS0_14default_configENS1_27scan_by_key_config_selectorIj11FixedVectorIiLj8EEEEZZNS1_16scan_by_key_implILNS1_25lookback_scan_determinismE0ELb0ES3_N6thrust23THRUST_200600_302600_NS6detail15normal_iteratorINSB_10device_ptrIjEEEENSD_INSE_IS6_EEEESI_S6_NSB_4plusIvEENSB_8equal_toIvEES6_EE10hipError_tPvRmT2_T3_T4_T5_mT6_T7_P12ihipStream_tbENKUlT_T0_E_clISt17integral_constantIbLb1EES13_EEDaSY_SZ_EUlSY_E_NS1_11comp_targetILNS1_3genE2ELNS1_11target_archE906ELNS1_3gpuE6ELNS1_3repE0EEENS1_30default_config_static_selectorELNS0_4arch9wavefront6targetE1EEEvT1_
                                        ; -- End function
	.section	.AMDGPU.csdata,"",@progbits
; Kernel info:
; codeLenInByte = 0
; NumSgprs: 4
; NumVgprs: 0
; NumAgprs: 0
; TotalNumVgprs: 0
; ScratchSize: 0
; MemoryBound: 0
; FloatMode: 240
; IeeeMode: 1
; LDSByteSize: 0 bytes/workgroup (compile time only)
; SGPRBlocks: 0
; VGPRBlocks: 0
; NumSGPRsForWavesPerEU: 4
; NumVGPRsForWavesPerEU: 1
; AccumOffset: 4
; Occupancy: 8
; WaveLimiterHint : 0
; COMPUTE_PGM_RSRC2:SCRATCH_EN: 0
; COMPUTE_PGM_RSRC2:USER_SGPR: 6
; COMPUTE_PGM_RSRC2:TRAP_HANDLER: 0
; COMPUTE_PGM_RSRC2:TGID_X_EN: 1
; COMPUTE_PGM_RSRC2:TGID_Y_EN: 0
; COMPUTE_PGM_RSRC2:TGID_Z_EN: 0
; COMPUTE_PGM_RSRC2:TIDIG_COMP_CNT: 0
; COMPUTE_PGM_RSRC3_GFX90A:ACCUM_OFFSET: 0
; COMPUTE_PGM_RSRC3_GFX90A:TG_SPLIT: 0
	.section	.text._ZN7rocprim17ROCPRIM_400000_NS6detail17trampoline_kernelINS0_14default_configENS1_27scan_by_key_config_selectorIj11FixedVectorIiLj8EEEEZZNS1_16scan_by_key_implILNS1_25lookback_scan_determinismE0ELb0ES3_N6thrust23THRUST_200600_302600_NS6detail15normal_iteratorINSB_10device_ptrIjEEEENSD_INSE_IS6_EEEESI_S6_NSB_4plusIvEENSB_8equal_toIvEES6_EE10hipError_tPvRmT2_T3_T4_T5_mT6_T7_P12ihipStream_tbENKUlT_T0_E_clISt17integral_constantIbLb1EES13_EEDaSY_SZ_EUlSY_E_NS1_11comp_targetILNS1_3genE10ELNS1_11target_archE1200ELNS1_3gpuE4ELNS1_3repE0EEENS1_30default_config_static_selectorELNS0_4arch9wavefront6targetE1EEEvT1_,"axG",@progbits,_ZN7rocprim17ROCPRIM_400000_NS6detail17trampoline_kernelINS0_14default_configENS1_27scan_by_key_config_selectorIj11FixedVectorIiLj8EEEEZZNS1_16scan_by_key_implILNS1_25lookback_scan_determinismE0ELb0ES3_N6thrust23THRUST_200600_302600_NS6detail15normal_iteratorINSB_10device_ptrIjEEEENSD_INSE_IS6_EEEESI_S6_NSB_4plusIvEENSB_8equal_toIvEES6_EE10hipError_tPvRmT2_T3_T4_T5_mT6_T7_P12ihipStream_tbENKUlT_T0_E_clISt17integral_constantIbLb1EES13_EEDaSY_SZ_EUlSY_E_NS1_11comp_targetILNS1_3genE10ELNS1_11target_archE1200ELNS1_3gpuE4ELNS1_3repE0EEENS1_30default_config_static_selectorELNS0_4arch9wavefront6targetE1EEEvT1_,comdat
	.protected	_ZN7rocprim17ROCPRIM_400000_NS6detail17trampoline_kernelINS0_14default_configENS1_27scan_by_key_config_selectorIj11FixedVectorIiLj8EEEEZZNS1_16scan_by_key_implILNS1_25lookback_scan_determinismE0ELb0ES3_N6thrust23THRUST_200600_302600_NS6detail15normal_iteratorINSB_10device_ptrIjEEEENSD_INSE_IS6_EEEESI_S6_NSB_4plusIvEENSB_8equal_toIvEES6_EE10hipError_tPvRmT2_T3_T4_T5_mT6_T7_P12ihipStream_tbENKUlT_T0_E_clISt17integral_constantIbLb1EES13_EEDaSY_SZ_EUlSY_E_NS1_11comp_targetILNS1_3genE10ELNS1_11target_archE1200ELNS1_3gpuE4ELNS1_3repE0EEENS1_30default_config_static_selectorELNS0_4arch9wavefront6targetE1EEEvT1_ ; -- Begin function _ZN7rocprim17ROCPRIM_400000_NS6detail17trampoline_kernelINS0_14default_configENS1_27scan_by_key_config_selectorIj11FixedVectorIiLj8EEEEZZNS1_16scan_by_key_implILNS1_25lookback_scan_determinismE0ELb0ES3_N6thrust23THRUST_200600_302600_NS6detail15normal_iteratorINSB_10device_ptrIjEEEENSD_INSE_IS6_EEEESI_S6_NSB_4plusIvEENSB_8equal_toIvEES6_EE10hipError_tPvRmT2_T3_T4_T5_mT6_T7_P12ihipStream_tbENKUlT_T0_E_clISt17integral_constantIbLb1EES13_EEDaSY_SZ_EUlSY_E_NS1_11comp_targetILNS1_3genE10ELNS1_11target_archE1200ELNS1_3gpuE4ELNS1_3repE0EEENS1_30default_config_static_selectorELNS0_4arch9wavefront6targetE1EEEvT1_
	.globl	_ZN7rocprim17ROCPRIM_400000_NS6detail17trampoline_kernelINS0_14default_configENS1_27scan_by_key_config_selectorIj11FixedVectorIiLj8EEEEZZNS1_16scan_by_key_implILNS1_25lookback_scan_determinismE0ELb0ES3_N6thrust23THRUST_200600_302600_NS6detail15normal_iteratorINSB_10device_ptrIjEEEENSD_INSE_IS6_EEEESI_S6_NSB_4plusIvEENSB_8equal_toIvEES6_EE10hipError_tPvRmT2_T3_T4_T5_mT6_T7_P12ihipStream_tbENKUlT_T0_E_clISt17integral_constantIbLb1EES13_EEDaSY_SZ_EUlSY_E_NS1_11comp_targetILNS1_3genE10ELNS1_11target_archE1200ELNS1_3gpuE4ELNS1_3repE0EEENS1_30default_config_static_selectorELNS0_4arch9wavefront6targetE1EEEvT1_
	.p2align	8
	.type	_ZN7rocprim17ROCPRIM_400000_NS6detail17trampoline_kernelINS0_14default_configENS1_27scan_by_key_config_selectorIj11FixedVectorIiLj8EEEEZZNS1_16scan_by_key_implILNS1_25lookback_scan_determinismE0ELb0ES3_N6thrust23THRUST_200600_302600_NS6detail15normal_iteratorINSB_10device_ptrIjEEEENSD_INSE_IS6_EEEESI_S6_NSB_4plusIvEENSB_8equal_toIvEES6_EE10hipError_tPvRmT2_T3_T4_T5_mT6_T7_P12ihipStream_tbENKUlT_T0_E_clISt17integral_constantIbLb1EES13_EEDaSY_SZ_EUlSY_E_NS1_11comp_targetILNS1_3genE10ELNS1_11target_archE1200ELNS1_3gpuE4ELNS1_3repE0EEENS1_30default_config_static_selectorELNS0_4arch9wavefront6targetE1EEEvT1_,@function
_ZN7rocprim17ROCPRIM_400000_NS6detail17trampoline_kernelINS0_14default_configENS1_27scan_by_key_config_selectorIj11FixedVectorIiLj8EEEEZZNS1_16scan_by_key_implILNS1_25lookback_scan_determinismE0ELb0ES3_N6thrust23THRUST_200600_302600_NS6detail15normal_iteratorINSB_10device_ptrIjEEEENSD_INSE_IS6_EEEESI_S6_NSB_4plusIvEENSB_8equal_toIvEES6_EE10hipError_tPvRmT2_T3_T4_T5_mT6_T7_P12ihipStream_tbENKUlT_T0_E_clISt17integral_constantIbLb1EES13_EEDaSY_SZ_EUlSY_E_NS1_11comp_targetILNS1_3genE10ELNS1_11target_archE1200ELNS1_3gpuE4ELNS1_3repE0EEENS1_30default_config_static_selectorELNS0_4arch9wavefront6targetE1EEEvT1_: ; @_ZN7rocprim17ROCPRIM_400000_NS6detail17trampoline_kernelINS0_14default_configENS1_27scan_by_key_config_selectorIj11FixedVectorIiLj8EEEEZZNS1_16scan_by_key_implILNS1_25lookback_scan_determinismE0ELb0ES3_N6thrust23THRUST_200600_302600_NS6detail15normal_iteratorINSB_10device_ptrIjEEEENSD_INSE_IS6_EEEESI_S6_NSB_4plusIvEENSB_8equal_toIvEES6_EE10hipError_tPvRmT2_T3_T4_T5_mT6_T7_P12ihipStream_tbENKUlT_T0_E_clISt17integral_constantIbLb1EES13_EEDaSY_SZ_EUlSY_E_NS1_11comp_targetILNS1_3genE10ELNS1_11target_archE1200ELNS1_3gpuE4ELNS1_3repE0EEENS1_30default_config_static_selectorELNS0_4arch9wavefront6targetE1EEEvT1_
; %bb.0:
	.section	.rodata,"a",@progbits
	.p2align	6, 0x0
	.amdhsa_kernel _ZN7rocprim17ROCPRIM_400000_NS6detail17trampoline_kernelINS0_14default_configENS1_27scan_by_key_config_selectorIj11FixedVectorIiLj8EEEEZZNS1_16scan_by_key_implILNS1_25lookback_scan_determinismE0ELb0ES3_N6thrust23THRUST_200600_302600_NS6detail15normal_iteratorINSB_10device_ptrIjEEEENSD_INSE_IS6_EEEESI_S6_NSB_4plusIvEENSB_8equal_toIvEES6_EE10hipError_tPvRmT2_T3_T4_T5_mT6_T7_P12ihipStream_tbENKUlT_T0_E_clISt17integral_constantIbLb1EES13_EEDaSY_SZ_EUlSY_E_NS1_11comp_targetILNS1_3genE10ELNS1_11target_archE1200ELNS1_3gpuE4ELNS1_3repE0EEENS1_30default_config_static_selectorELNS0_4arch9wavefront6targetE1EEEvT1_
		.amdhsa_group_segment_fixed_size 0
		.amdhsa_private_segment_fixed_size 0
		.amdhsa_kernarg_size 160
		.amdhsa_user_sgpr_count 6
		.amdhsa_user_sgpr_private_segment_buffer 1
		.amdhsa_user_sgpr_dispatch_ptr 0
		.amdhsa_user_sgpr_queue_ptr 0
		.amdhsa_user_sgpr_kernarg_segment_ptr 1
		.amdhsa_user_sgpr_dispatch_id 0
		.amdhsa_user_sgpr_flat_scratch_init 0
		.amdhsa_user_sgpr_kernarg_preload_length 0
		.amdhsa_user_sgpr_kernarg_preload_offset 0
		.amdhsa_user_sgpr_private_segment_size 0
		.amdhsa_uses_dynamic_stack 0
		.amdhsa_system_sgpr_private_segment_wavefront_offset 0
		.amdhsa_system_sgpr_workgroup_id_x 1
		.amdhsa_system_sgpr_workgroup_id_y 0
		.amdhsa_system_sgpr_workgroup_id_z 0
		.amdhsa_system_sgpr_workgroup_info 0
		.amdhsa_system_vgpr_workitem_id 0
		.amdhsa_next_free_vgpr 1
		.amdhsa_next_free_sgpr 0
		.amdhsa_accum_offset 4
		.amdhsa_reserve_vcc 0
		.amdhsa_reserve_flat_scratch 0
		.amdhsa_float_round_mode_32 0
		.amdhsa_float_round_mode_16_64 0
		.amdhsa_float_denorm_mode_32 3
		.amdhsa_float_denorm_mode_16_64 3
		.amdhsa_dx10_clamp 1
		.amdhsa_ieee_mode 1
		.amdhsa_fp16_overflow 0
		.amdhsa_tg_split 0
		.amdhsa_exception_fp_ieee_invalid_op 0
		.amdhsa_exception_fp_denorm_src 0
		.amdhsa_exception_fp_ieee_div_zero 0
		.amdhsa_exception_fp_ieee_overflow 0
		.amdhsa_exception_fp_ieee_underflow 0
		.amdhsa_exception_fp_ieee_inexact 0
		.amdhsa_exception_int_div_zero 0
	.end_amdhsa_kernel
	.section	.text._ZN7rocprim17ROCPRIM_400000_NS6detail17trampoline_kernelINS0_14default_configENS1_27scan_by_key_config_selectorIj11FixedVectorIiLj8EEEEZZNS1_16scan_by_key_implILNS1_25lookback_scan_determinismE0ELb0ES3_N6thrust23THRUST_200600_302600_NS6detail15normal_iteratorINSB_10device_ptrIjEEEENSD_INSE_IS6_EEEESI_S6_NSB_4plusIvEENSB_8equal_toIvEES6_EE10hipError_tPvRmT2_T3_T4_T5_mT6_T7_P12ihipStream_tbENKUlT_T0_E_clISt17integral_constantIbLb1EES13_EEDaSY_SZ_EUlSY_E_NS1_11comp_targetILNS1_3genE10ELNS1_11target_archE1200ELNS1_3gpuE4ELNS1_3repE0EEENS1_30default_config_static_selectorELNS0_4arch9wavefront6targetE1EEEvT1_,"axG",@progbits,_ZN7rocprim17ROCPRIM_400000_NS6detail17trampoline_kernelINS0_14default_configENS1_27scan_by_key_config_selectorIj11FixedVectorIiLj8EEEEZZNS1_16scan_by_key_implILNS1_25lookback_scan_determinismE0ELb0ES3_N6thrust23THRUST_200600_302600_NS6detail15normal_iteratorINSB_10device_ptrIjEEEENSD_INSE_IS6_EEEESI_S6_NSB_4plusIvEENSB_8equal_toIvEES6_EE10hipError_tPvRmT2_T3_T4_T5_mT6_T7_P12ihipStream_tbENKUlT_T0_E_clISt17integral_constantIbLb1EES13_EEDaSY_SZ_EUlSY_E_NS1_11comp_targetILNS1_3genE10ELNS1_11target_archE1200ELNS1_3gpuE4ELNS1_3repE0EEENS1_30default_config_static_selectorELNS0_4arch9wavefront6targetE1EEEvT1_,comdat
.Lfunc_end2132:
	.size	_ZN7rocprim17ROCPRIM_400000_NS6detail17trampoline_kernelINS0_14default_configENS1_27scan_by_key_config_selectorIj11FixedVectorIiLj8EEEEZZNS1_16scan_by_key_implILNS1_25lookback_scan_determinismE0ELb0ES3_N6thrust23THRUST_200600_302600_NS6detail15normal_iteratorINSB_10device_ptrIjEEEENSD_INSE_IS6_EEEESI_S6_NSB_4plusIvEENSB_8equal_toIvEES6_EE10hipError_tPvRmT2_T3_T4_T5_mT6_T7_P12ihipStream_tbENKUlT_T0_E_clISt17integral_constantIbLb1EES13_EEDaSY_SZ_EUlSY_E_NS1_11comp_targetILNS1_3genE10ELNS1_11target_archE1200ELNS1_3gpuE4ELNS1_3repE0EEENS1_30default_config_static_selectorELNS0_4arch9wavefront6targetE1EEEvT1_, .Lfunc_end2132-_ZN7rocprim17ROCPRIM_400000_NS6detail17trampoline_kernelINS0_14default_configENS1_27scan_by_key_config_selectorIj11FixedVectorIiLj8EEEEZZNS1_16scan_by_key_implILNS1_25lookback_scan_determinismE0ELb0ES3_N6thrust23THRUST_200600_302600_NS6detail15normal_iteratorINSB_10device_ptrIjEEEENSD_INSE_IS6_EEEESI_S6_NSB_4plusIvEENSB_8equal_toIvEES6_EE10hipError_tPvRmT2_T3_T4_T5_mT6_T7_P12ihipStream_tbENKUlT_T0_E_clISt17integral_constantIbLb1EES13_EEDaSY_SZ_EUlSY_E_NS1_11comp_targetILNS1_3genE10ELNS1_11target_archE1200ELNS1_3gpuE4ELNS1_3repE0EEENS1_30default_config_static_selectorELNS0_4arch9wavefront6targetE1EEEvT1_
                                        ; -- End function
	.section	.AMDGPU.csdata,"",@progbits
; Kernel info:
; codeLenInByte = 0
; NumSgprs: 4
; NumVgprs: 0
; NumAgprs: 0
; TotalNumVgprs: 0
; ScratchSize: 0
; MemoryBound: 0
; FloatMode: 240
; IeeeMode: 1
; LDSByteSize: 0 bytes/workgroup (compile time only)
; SGPRBlocks: 0
; VGPRBlocks: 0
; NumSGPRsForWavesPerEU: 4
; NumVGPRsForWavesPerEU: 1
; AccumOffset: 4
; Occupancy: 8
; WaveLimiterHint : 0
; COMPUTE_PGM_RSRC2:SCRATCH_EN: 0
; COMPUTE_PGM_RSRC2:USER_SGPR: 6
; COMPUTE_PGM_RSRC2:TRAP_HANDLER: 0
; COMPUTE_PGM_RSRC2:TGID_X_EN: 1
; COMPUTE_PGM_RSRC2:TGID_Y_EN: 0
; COMPUTE_PGM_RSRC2:TGID_Z_EN: 0
; COMPUTE_PGM_RSRC2:TIDIG_COMP_CNT: 0
; COMPUTE_PGM_RSRC3_GFX90A:ACCUM_OFFSET: 0
; COMPUTE_PGM_RSRC3_GFX90A:TG_SPLIT: 0
	.section	.text._ZN7rocprim17ROCPRIM_400000_NS6detail17trampoline_kernelINS0_14default_configENS1_27scan_by_key_config_selectorIj11FixedVectorIiLj8EEEEZZNS1_16scan_by_key_implILNS1_25lookback_scan_determinismE0ELb0ES3_N6thrust23THRUST_200600_302600_NS6detail15normal_iteratorINSB_10device_ptrIjEEEENSD_INSE_IS6_EEEESI_S6_NSB_4plusIvEENSB_8equal_toIvEES6_EE10hipError_tPvRmT2_T3_T4_T5_mT6_T7_P12ihipStream_tbENKUlT_T0_E_clISt17integral_constantIbLb1EES13_EEDaSY_SZ_EUlSY_E_NS1_11comp_targetILNS1_3genE9ELNS1_11target_archE1100ELNS1_3gpuE3ELNS1_3repE0EEENS1_30default_config_static_selectorELNS0_4arch9wavefront6targetE1EEEvT1_,"axG",@progbits,_ZN7rocprim17ROCPRIM_400000_NS6detail17trampoline_kernelINS0_14default_configENS1_27scan_by_key_config_selectorIj11FixedVectorIiLj8EEEEZZNS1_16scan_by_key_implILNS1_25lookback_scan_determinismE0ELb0ES3_N6thrust23THRUST_200600_302600_NS6detail15normal_iteratorINSB_10device_ptrIjEEEENSD_INSE_IS6_EEEESI_S6_NSB_4plusIvEENSB_8equal_toIvEES6_EE10hipError_tPvRmT2_T3_T4_T5_mT6_T7_P12ihipStream_tbENKUlT_T0_E_clISt17integral_constantIbLb1EES13_EEDaSY_SZ_EUlSY_E_NS1_11comp_targetILNS1_3genE9ELNS1_11target_archE1100ELNS1_3gpuE3ELNS1_3repE0EEENS1_30default_config_static_selectorELNS0_4arch9wavefront6targetE1EEEvT1_,comdat
	.protected	_ZN7rocprim17ROCPRIM_400000_NS6detail17trampoline_kernelINS0_14default_configENS1_27scan_by_key_config_selectorIj11FixedVectorIiLj8EEEEZZNS1_16scan_by_key_implILNS1_25lookback_scan_determinismE0ELb0ES3_N6thrust23THRUST_200600_302600_NS6detail15normal_iteratorINSB_10device_ptrIjEEEENSD_INSE_IS6_EEEESI_S6_NSB_4plusIvEENSB_8equal_toIvEES6_EE10hipError_tPvRmT2_T3_T4_T5_mT6_T7_P12ihipStream_tbENKUlT_T0_E_clISt17integral_constantIbLb1EES13_EEDaSY_SZ_EUlSY_E_NS1_11comp_targetILNS1_3genE9ELNS1_11target_archE1100ELNS1_3gpuE3ELNS1_3repE0EEENS1_30default_config_static_selectorELNS0_4arch9wavefront6targetE1EEEvT1_ ; -- Begin function _ZN7rocprim17ROCPRIM_400000_NS6detail17trampoline_kernelINS0_14default_configENS1_27scan_by_key_config_selectorIj11FixedVectorIiLj8EEEEZZNS1_16scan_by_key_implILNS1_25lookback_scan_determinismE0ELb0ES3_N6thrust23THRUST_200600_302600_NS6detail15normal_iteratorINSB_10device_ptrIjEEEENSD_INSE_IS6_EEEESI_S6_NSB_4plusIvEENSB_8equal_toIvEES6_EE10hipError_tPvRmT2_T3_T4_T5_mT6_T7_P12ihipStream_tbENKUlT_T0_E_clISt17integral_constantIbLb1EES13_EEDaSY_SZ_EUlSY_E_NS1_11comp_targetILNS1_3genE9ELNS1_11target_archE1100ELNS1_3gpuE3ELNS1_3repE0EEENS1_30default_config_static_selectorELNS0_4arch9wavefront6targetE1EEEvT1_
	.globl	_ZN7rocprim17ROCPRIM_400000_NS6detail17trampoline_kernelINS0_14default_configENS1_27scan_by_key_config_selectorIj11FixedVectorIiLj8EEEEZZNS1_16scan_by_key_implILNS1_25lookback_scan_determinismE0ELb0ES3_N6thrust23THRUST_200600_302600_NS6detail15normal_iteratorINSB_10device_ptrIjEEEENSD_INSE_IS6_EEEESI_S6_NSB_4plusIvEENSB_8equal_toIvEES6_EE10hipError_tPvRmT2_T3_T4_T5_mT6_T7_P12ihipStream_tbENKUlT_T0_E_clISt17integral_constantIbLb1EES13_EEDaSY_SZ_EUlSY_E_NS1_11comp_targetILNS1_3genE9ELNS1_11target_archE1100ELNS1_3gpuE3ELNS1_3repE0EEENS1_30default_config_static_selectorELNS0_4arch9wavefront6targetE1EEEvT1_
	.p2align	8
	.type	_ZN7rocprim17ROCPRIM_400000_NS6detail17trampoline_kernelINS0_14default_configENS1_27scan_by_key_config_selectorIj11FixedVectorIiLj8EEEEZZNS1_16scan_by_key_implILNS1_25lookback_scan_determinismE0ELb0ES3_N6thrust23THRUST_200600_302600_NS6detail15normal_iteratorINSB_10device_ptrIjEEEENSD_INSE_IS6_EEEESI_S6_NSB_4plusIvEENSB_8equal_toIvEES6_EE10hipError_tPvRmT2_T3_T4_T5_mT6_T7_P12ihipStream_tbENKUlT_T0_E_clISt17integral_constantIbLb1EES13_EEDaSY_SZ_EUlSY_E_NS1_11comp_targetILNS1_3genE9ELNS1_11target_archE1100ELNS1_3gpuE3ELNS1_3repE0EEENS1_30default_config_static_selectorELNS0_4arch9wavefront6targetE1EEEvT1_,@function
_ZN7rocprim17ROCPRIM_400000_NS6detail17trampoline_kernelINS0_14default_configENS1_27scan_by_key_config_selectorIj11FixedVectorIiLj8EEEEZZNS1_16scan_by_key_implILNS1_25lookback_scan_determinismE0ELb0ES3_N6thrust23THRUST_200600_302600_NS6detail15normal_iteratorINSB_10device_ptrIjEEEENSD_INSE_IS6_EEEESI_S6_NSB_4plusIvEENSB_8equal_toIvEES6_EE10hipError_tPvRmT2_T3_T4_T5_mT6_T7_P12ihipStream_tbENKUlT_T0_E_clISt17integral_constantIbLb1EES13_EEDaSY_SZ_EUlSY_E_NS1_11comp_targetILNS1_3genE9ELNS1_11target_archE1100ELNS1_3gpuE3ELNS1_3repE0EEENS1_30default_config_static_selectorELNS0_4arch9wavefront6targetE1EEEvT1_: ; @_ZN7rocprim17ROCPRIM_400000_NS6detail17trampoline_kernelINS0_14default_configENS1_27scan_by_key_config_selectorIj11FixedVectorIiLj8EEEEZZNS1_16scan_by_key_implILNS1_25lookback_scan_determinismE0ELb0ES3_N6thrust23THRUST_200600_302600_NS6detail15normal_iteratorINSB_10device_ptrIjEEEENSD_INSE_IS6_EEEESI_S6_NSB_4plusIvEENSB_8equal_toIvEES6_EE10hipError_tPvRmT2_T3_T4_T5_mT6_T7_P12ihipStream_tbENKUlT_T0_E_clISt17integral_constantIbLb1EES13_EEDaSY_SZ_EUlSY_E_NS1_11comp_targetILNS1_3genE9ELNS1_11target_archE1100ELNS1_3gpuE3ELNS1_3repE0EEENS1_30default_config_static_selectorELNS0_4arch9wavefront6targetE1EEEvT1_
; %bb.0:
	.section	.rodata,"a",@progbits
	.p2align	6, 0x0
	.amdhsa_kernel _ZN7rocprim17ROCPRIM_400000_NS6detail17trampoline_kernelINS0_14default_configENS1_27scan_by_key_config_selectorIj11FixedVectorIiLj8EEEEZZNS1_16scan_by_key_implILNS1_25lookback_scan_determinismE0ELb0ES3_N6thrust23THRUST_200600_302600_NS6detail15normal_iteratorINSB_10device_ptrIjEEEENSD_INSE_IS6_EEEESI_S6_NSB_4plusIvEENSB_8equal_toIvEES6_EE10hipError_tPvRmT2_T3_T4_T5_mT6_T7_P12ihipStream_tbENKUlT_T0_E_clISt17integral_constantIbLb1EES13_EEDaSY_SZ_EUlSY_E_NS1_11comp_targetILNS1_3genE9ELNS1_11target_archE1100ELNS1_3gpuE3ELNS1_3repE0EEENS1_30default_config_static_selectorELNS0_4arch9wavefront6targetE1EEEvT1_
		.amdhsa_group_segment_fixed_size 0
		.amdhsa_private_segment_fixed_size 0
		.amdhsa_kernarg_size 160
		.amdhsa_user_sgpr_count 6
		.amdhsa_user_sgpr_private_segment_buffer 1
		.amdhsa_user_sgpr_dispatch_ptr 0
		.amdhsa_user_sgpr_queue_ptr 0
		.amdhsa_user_sgpr_kernarg_segment_ptr 1
		.amdhsa_user_sgpr_dispatch_id 0
		.amdhsa_user_sgpr_flat_scratch_init 0
		.amdhsa_user_sgpr_kernarg_preload_length 0
		.amdhsa_user_sgpr_kernarg_preload_offset 0
		.amdhsa_user_sgpr_private_segment_size 0
		.amdhsa_uses_dynamic_stack 0
		.amdhsa_system_sgpr_private_segment_wavefront_offset 0
		.amdhsa_system_sgpr_workgroup_id_x 1
		.amdhsa_system_sgpr_workgroup_id_y 0
		.amdhsa_system_sgpr_workgroup_id_z 0
		.amdhsa_system_sgpr_workgroup_info 0
		.amdhsa_system_vgpr_workitem_id 0
		.amdhsa_next_free_vgpr 1
		.amdhsa_next_free_sgpr 0
		.amdhsa_accum_offset 4
		.amdhsa_reserve_vcc 0
		.amdhsa_reserve_flat_scratch 0
		.amdhsa_float_round_mode_32 0
		.amdhsa_float_round_mode_16_64 0
		.amdhsa_float_denorm_mode_32 3
		.amdhsa_float_denorm_mode_16_64 3
		.amdhsa_dx10_clamp 1
		.amdhsa_ieee_mode 1
		.amdhsa_fp16_overflow 0
		.amdhsa_tg_split 0
		.amdhsa_exception_fp_ieee_invalid_op 0
		.amdhsa_exception_fp_denorm_src 0
		.amdhsa_exception_fp_ieee_div_zero 0
		.amdhsa_exception_fp_ieee_overflow 0
		.amdhsa_exception_fp_ieee_underflow 0
		.amdhsa_exception_fp_ieee_inexact 0
		.amdhsa_exception_int_div_zero 0
	.end_amdhsa_kernel
	.section	.text._ZN7rocprim17ROCPRIM_400000_NS6detail17trampoline_kernelINS0_14default_configENS1_27scan_by_key_config_selectorIj11FixedVectorIiLj8EEEEZZNS1_16scan_by_key_implILNS1_25lookback_scan_determinismE0ELb0ES3_N6thrust23THRUST_200600_302600_NS6detail15normal_iteratorINSB_10device_ptrIjEEEENSD_INSE_IS6_EEEESI_S6_NSB_4plusIvEENSB_8equal_toIvEES6_EE10hipError_tPvRmT2_T3_T4_T5_mT6_T7_P12ihipStream_tbENKUlT_T0_E_clISt17integral_constantIbLb1EES13_EEDaSY_SZ_EUlSY_E_NS1_11comp_targetILNS1_3genE9ELNS1_11target_archE1100ELNS1_3gpuE3ELNS1_3repE0EEENS1_30default_config_static_selectorELNS0_4arch9wavefront6targetE1EEEvT1_,"axG",@progbits,_ZN7rocprim17ROCPRIM_400000_NS6detail17trampoline_kernelINS0_14default_configENS1_27scan_by_key_config_selectorIj11FixedVectorIiLj8EEEEZZNS1_16scan_by_key_implILNS1_25lookback_scan_determinismE0ELb0ES3_N6thrust23THRUST_200600_302600_NS6detail15normal_iteratorINSB_10device_ptrIjEEEENSD_INSE_IS6_EEEESI_S6_NSB_4plusIvEENSB_8equal_toIvEES6_EE10hipError_tPvRmT2_T3_T4_T5_mT6_T7_P12ihipStream_tbENKUlT_T0_E_clISt17integral_constantIbLb1EES13_EEDaSY_SZ_EUlSY_E_NS1_11comp_targetILNS1_3genE9ELNS1_11target_archE1100ELNS1_3gpuE3ELNS1_3repE0EEENS1_30default_config_static_selectorELNS0_4arch9wavefront6targetE1EEEvT1_,comdat
.Lfunc_end2133:
	.size	_ZN7rocprim17ROCPRIM_400000_NS6detail17trampoline_kernelINS0_14default_configENS1_27scan_by_key_config_selectorIj11FixedVectorIiLj8EEEEZZNS1_16scan_by_key_implILNS1_25lookback_scan_determinismE0ELb0ES3_N6thrust23THRUST_200600_302600_NS6detail15normal_iteratorINSB_10device_ptrIjEEEENSD_INSE_IS6_EEEESI_S6_NSB_4plusIvEENSB_8equal_toIvEES6_EE10hipError_tPvRmT2_T3_T4_T5_mT6_T7_P12ihipStream_tbENKUlT_T0_E_clISt17integral_constantIbLb1EES13_EEDaSY_SZ_EUlSY_E_NS1_11comp_targetILNS1_3genE9ELNS1_11target_archE1100ELNS1_3gpuE3ELNS1_3repE0EEENS1_30default_config_static_selectorELNS0_4arch9wavefront6targetE1EEEvT1_, .Lfunc_end2133-_ZN7rocprim17ROCPRIM_400000_NS6detail17trampoline_kernelINS0_14default_configENS1_27scan_by_key_config_selectorIj11FixedVectorIiLj8EEEEZZNS1_16scan_by_key_implILNS1_25lookback_scan_determinismE0ELb0ES3_N6thrust23THRUST_200600_302600_NS6detail15normal_iteratorINSB_10device_ptrIjEEEENSD_INSE_IS6_EEEESI_S6_NSB_4plusIvEENSB_8equal_toIvEES6_EE10hipError_tPvRmT2_T3_T4_T5_mT6_T7_P12ihipStream_tbENKUlT_T0_E_clISt17integral_constantIbLb1EES13_EEDaSY_SZ_EUlSY_E_NS1_11comp_targetILNS1_3genE9ELNS1_11target_archE1100ELNS1_3gpuE3ELNS1_3repE0EEENS1_30default_config_static_selectorELNS0_4arch9wavefront6targetE1EEEvT1_
                                        ; -- End function
	.section	.AMDGPU.csdata,"",@progbits
; Kernel info:
; codeLenInByte = 0
; NumSgprs: 4
; NumVgprs: 0
; NumAgprs: 0
; TotalNumVgprs: 0
; ScratchSize: 0
; MemoryBound: 0
; FloatMode: 240
; IeeeMode: 1
; LDSByteSize: 0 bytes/workgroup (compile time only)
; SGPRBlocks: 0
; VGPRBlocks: 0
; NumSGPRsForWavesPerEU: 4
; NumVGPRsForWavesPerEU: 1
; AccumOffset: 4
; Occupancy: 8
; WaveLimiterHint : 0
; COMPUTE_PGM_RSRC2:SCRATCH_EN: 0
; COMPUTE_PGM_RSRC2:USER_SGPR: 6
; COMPUTE_PGM_RSRC2:TRAP_HANDLER: 0
; COMPUTE_PGM_RSRC2:TGID_X_EN: 1
; COMPUTE_PGM_RSRC2:TGID_Y_EN: 0
; COMPUTE_PGM_RSRC2:TGID_Z_EN: 0
; COMPUTE_PGM_RSRC2:TIDIG_COMP_CNT: 0
; COMPUTE_PGM_RSRC3_GFX90A:ACCUM_OFFSET: 0
; COMPUTE_PGM_RSRC3_GFX90A:TG_SPLIT: 0
	.section	.text._ZN7rocprim17ROCPRIM_400000_NS6detail17trampoline_kernelINS0_14default_configENS1_27scan_by_key_config_selectorIj11FixedVectorIiLj8EEEEZZNS1_16scan_by_key_implILNS1_25lookback_scan_determinismE0ELb0ES3_N6thrust23THRUST_200600_302600_NS6detail15normal_iteratorINSB_10device_ptrIjEEEENSD_INSE_IS6_EEEESI_S6_NSB_4plusIvEENSB_8equal_toIvEES6_EE10hipError_tPvRmT2_T3_T4_T5_mT6_T7_P12ihipStream_tbENKUlT_T0_E_clISt17integral_constantIbLb1EES13_EEDaSY_SZ_EUlSY_E_NS1_11comp_targetILNS1_3genE8ELNS1_11target_archE1030ELNS1_3gpuE2ELNS1_3repE0EEENS1_30default_config_static_selectorELNS0_4arch9wavefront6targetE1EEEvT1_,"axG",@progbits,_ZN7rocprim17ROCPRIM_400000_NS6detail17trampoline_kernelINS0_14default_configENS1_27scan_by_key_config_selectorIj11FixedVectorIiLj8EEEEZZNS1_16scan_by_key_implILNS1_25lookback_scan_determinismE0ELb0ES3_N6thrust23THRUST_200600_302600_NS6detail15normal_iteratorINSB_10device_ptrIjEEEENSD_INSE_IS6_EEEESI_S6_NSB_4plusIvEENSB_8equal_toIvEES6_EE10hipError_tPvRmT2_T3_T4_T5_mT6_T7_P12ihipStream_tbENKUlT_T0_E_clISt17integral_constantIbLb1EES13_EEDaSY_SZ_EUlSY_E_NS1_11comp_targetILNS1_3genE8ELNS1_11target_archE1030ELNS1_3gpuE2ELNS1_3repE0EEENS1_30default_config_static_selectorELNS0_4arch9wavefront6targetE1EEEvT1_,comdat
	.protected	_ZN7rocprim17ROCPRIM_400000_NS6detail17trampoline_kernelINS0_14default_configENS1_27scan_by_key_config_selectorIj11FixedVectorIiLj8EEEEZZNS1_16scan_by_key_implILNS1_25lookback_scan_determinismE0ELb0ES3_N6thrust23THRUST_200600_302600_NS6detail15normal_iteratorINSB_10device_ptrIjEEEENSD_INSE_IS6_EEEESI_S6_NSB_4plusIvEENSB_8equal_toIvEES6_EE10hipError_tPvRmT2_T3_T4_T5_mT6_T7_P12ihipStream_tbENKUlT_T0_E_clISt17integral_constantIbLb1EES13_EEDaSY_SZ_EUlSY_E_NS1_11comp_targetILNS1_3genE8ELNS1_11target_archE1030ELNS1_3gpuE2ELNS1_3repE0EEENS1_30default_config_static_selectorELNS0_4arch9wavefront6targetE1EEEvT1_ ; -- Begin function _ZN7rocprim17ROCPRIM_400000_NS6detail17trampoline_kernelINS0_14default_configENS1_27scan_by_key_config_selectorIj11FixedVectorIiLj8EEEEZZNS1_16scan_by_key_implILNS1_25lookback_scan_determinismE0ELb0ES3_N6thrust23THRUST_200600_302600_NS6detail15normal_iteratorINSB_10device_ptrIjEEEENSD_INSE_IS6_EEEESI_S6_NSB_4plusIvEENSB_8equal_toIvEES6_EE10hipError_tPvRmT2_T3_T4_T5_mT6_T7_P12ihipStream_tbENKUlT_T0_E_clISt17integral_constantIbLb1EES13_EEDaSY_SZ_EUlSY_E_NS1_11comp_targetILNS1_3genE8ELNS1_11target_archE1030ELNS1_3gpuE2ELNS1_3repE0EEENS1_30default_config_static_selectorELNS0_4arch9wavefront6targetE1EEEvT1_
	.globl	_ZN7rocprim17ROCPRIM_400000_NS6detail17trampoline_kernelINS0_14default_configENS1_27scan_by_key_config_selectorIj11FixedVectorIiLj8EEEEZZNS1_16scan_by_key_implILNS1_25lookback_scan_determinismE0ELb0ES3_N6thrust23THRUST_200600_302600_NS6detail15normal_iteratorINSB_10device_ptrIjEEEENSD_INSE_IS6_EEEESI_S6_NSB_4plusIvEENSB_8equal_toIvEES6_EE10hipError_tPvRmT2_T3_T4_T5_mT6_T7_P12ihipStream_tbENKUlT_T0_E_clISt17integral_constantIbLb1EES13_EEDaSY_SZ_EUlSY_E_NS1_11comp_targetILNS1_3genE8ELNS1_11target_archE1030ELNS1_3gpuE2ELNS1_3repE0EEENS1_30default_config_static_selectorELNS0_4arch9wavefront6targetE1EEEvT1_
	.p2align	8
	.type	_ZN7rocprim17ROCPRIM_400000_NS6detail17trampoline_kernelINS0_14default_configENS1_27scan_by_key_config_selectorIj11FixedVectorIiLj8EEEEZZNS1_16scan_by_key_implILNS1_25lookback_scan_determinismE0ELb0ES3_N6thrust23THRUST_200600_302600_NS6detail15normal_iteratorINSB_10device_ptrIjEEEENSD_INSE_IS6_EEEESI_S6_NSB_4plusIvEENSB_8equal_toIvEES6_EE10hipError_tPvRmT2_T3_T4_T5_mT6_T7_P12ihipStream_tbENKUlT_T0_E_clISt17integral_constantIbLb1EES13_EEDaSY_SZ_EUlSY_E_NS1_11comp_targetILNS1_3genE8ELNS1_11target_archE1030ELNS1_3gpuE2ELNS1_3repE0EEENS1_30default_config_static_selectorELNS0_4arch9wavefront6targetE1EEEvT1_,@function
_ZN7rocprim17ROCPRIM_400000_NS6detail17trampoline_kernelINS0_14default_configENS1_27scan_by_key_config_selectorIj11FixedVectorIiLj8EEEEZZNS1_16scan_by_key_implILNS1_25lookback_scan_determinismE0ELb0ES3_N6thrust23THRUST_200600_302600_NS6detail15normal_iteratorINSB_10device_ptrIjEEEENSD_INSE_IS6_EEEESI_S6_NSB_4plusIvEENSB_8equal_toIvEES6_EE10hipError_tPvRmT2_T3_T4_T5_mT6_T7_P12ihipStream_tbENKUlT_T0_E_clISt17integral_constantIbLb1EES13_EEDaSY_SZ_EUlSY_E_NS1_11comp_targetILNS1_3genE8ELNS1_11target_archE1030ELNS1_3gpuE2ELNS1_3repE0EEENS1_30default_config_static_selectorELNS0_4arch9wavefront6targetE1EEEvT1_: ; @_ZN7rocprim17ROCPRIM_400000_NS6detail17trampoline_kernelINS0_14default_configENS1_27scan_by_key_config_selectorIj11FixedVectorIiLj8EEEEZZNS1_16scan_by_key_implILNS1_25lookback_scan_determinismE0ELb0ES3_N6thrust23THRUST_200600_302600_NS6detail15normal_iteratorINSB_10device_ptrIjEEEENSD_INSE_IS6_EEEESI_S6_NSB_4plusIvEENSB_8equal_toIvEES6_EE10hipError_tPvRmT2_T3_T4_T5_mT6_T7_P12ihipStream_tbENKUlT_T0_E_clISt17integral_constantIbLb1EES13_EEDaSY_SZ_EUlSY_E_NS1_11comp_targetILNS1_3genE8ELNS1_11target_archE1030ELNS1_3gpuE2ELNS1_3repE0EEENS1_30default_config_static_selectorELNS0_4arch9wavefront6targetE1EEEvT1_
; %bb.0:
	.section	.rodata,"a",@progbits
	.p2align	6, 0x0
	.amdhsa_kernel _ZN7rocprim17ROCPRIM_400000_NS6detail17trampoline_kernelINS0_14default_configENS1_27scan_by_key_config_selectorIj11FixedVectorIiLj8EEEEZZNS1_16scan_by_key_implILNS1_25lookback_scan_determinismE0ELb0ES3_N6thrust23THRUST_200600_302600_NS6detail15normal_iteratorINSB_10device_ptrIjEEEENSD_INSE_IS6_EEEESI_S6_NSB_4plusIvEENSB_8equal_toIvEES6_EE10hipError_tPvRmT2_T3_T4_T5_mT6_T7_P12ihipStream_tbENKUlT_T0_E_clISt17integral_constantIbLb1EES13_EEDaSY_SZ_EUlSY_E_NS1_11comp_targetILNS1_3genE8ELNS1_11target_archE1030ELNS1_3gpuE2ELNS1_3repE0EEENS1_30default_config_static_selectorELNS0_4arch9wavefront6targetE1EEEvT1_
		.amdhsa_group_segment_fixed_size 0
		.amdhsa_private_segment_fixed_size 0
		.amdhsa_kernarg_size 160
		.amdhsa_user_sgpr_count 6
		.amdhsa_user_sgpr_private_segment_buffer 1
		.amdhsa_user_sgpr_dispatch_ptr 0
		.amdhsa_user_sgpr_queue_ptr 0
		.amdhsa_user_sgpr_kernarg_segment_ptr 1
		.amdhsa_user_sgpr_dispatch_id 0
		.amdhsa_user_sgpr_flat_scratch_init 0
		.amdhsa_user_sgpr_kernarg_preload_length 0
		.amdhsa_user_sgpr_kernarg_preload_offset 0
		.amdhsa_user_sgpr_private_segment_size 0
		.amdhsa_uses_dynamic_stack 0
		.amdhsa_system_sgpr_private_segment_wavefront_offset 0
		.amdhsa_system_sgpr_workgroup_id_x 1
		.amdhsa_system_sgpr_workgroup_id_y 0
		.amdhsa_system_sgpr_workgroup_id_z 0
		.amdhsa_system_sgpr_workgroup_info 0
		.amdhsa_system_vgpr_workitem_id 0
		.amdhsa_next_free_vgpr 1
		.amdhsa_next_free_sgpr 0
		.amdhsa_accum_offset 4
		.amdhsa_reserve_vcc 0
		.amdhsa_reserve_flat_scratch 0
		.amdhsa_float_round_mode_32 0
		.amdhsa_float_round_mode_16_64 0
		.amdhsa_float_denorm_mode_32 3
		.amdhsa_float_denorm_mode_16_64 3
		.amdhsa_dx10_clamp 1
		.amdhsa_ieee_mode 1
		.amdhsa_fp16_overflow 0
		.amdhsa_tg_split 0
		.amdhsa_exception_fp_ieee_invalid_op 0
		.amdhsa_exception_fp_denorm_src 0
		.amdhsa_exception_fp_ieee_div_zero 0
		.amdhsa_exception_fp_ieee_overflow 0
		.amdhsa_exception_fp_ieee_underflow 0
		.amdhsa_exception_fp_ieee_inexact 0
		.amdhsa_exception_int_div_zero 0
	.end_amdhsa_kernel
	.section	.text._ZN7rocprim17ROCPRIM_400000_NS6detail17trampoline_kernelINS0_14default_configENS1_27scan_by_key_config_selectorIj11FixedVectorIiLj8EEEEZZNS1_16scan_by_key_implILNS1_25lookback_scan_determinismE0ELb0ES3_N6thrust23THRUST_200600_302600_NS6detail15normal_iteratorINSB_10device_ptrIjEEEENSD_INSE_IS6_EEEESI_S6_NSB_4plusIvEENSB_8equal_toIvEES6_EE10hipError_tPvRmT2_T3_T4_T5_mT6_T7_P12ihipStream_tbENKUlT_T0_E_clISt17integral_constantIbLb1EES13_EEDaSY_SZ_EUlSY_E_NS1_11comp_targetILNS1_3genE8ELNS1_11target_archE1030ELNS1_3gpuE2ELNS1_3repE0EEENS1_30default_config_static_selectorELNS0_4arch9wavefront6targetE1EEEvT1_,"axG",@progbits,_ZN7rocprim17ROCPRIM_400000_NS6detail17trampoline_kernelINS0_14default_configENS1_27scan_by_key_config_selectorIj11FixedVectorIiLj8EEEEZZNS1_16scan_by_key_implILNS1_25lookback_scan_determinismE0ELb0ES3_N6thrust23THRUST_200600_302600_NS6detail15normal_iteratorINSB_10device_ptrIjEEEENSD_INSE_IS6_EEEESI_S6_NSB_4plusIvEENSB_8equal_toIvEES6_EE10hipError_tPvRmT2_T3_T4_T5_mT6_T7_P12ihipStream_tbENKUlT_T0_E_clISt17integral_constantIbLb1EES13_EEDaSY_SZ_EUlSY_E_NS1_11comp_targetILNS1_3genE8ELNS1_11target_archE1030ELNS1_3gpuE2ELNS1_3repE0EEENS1_30default_config_static_selectorELNS0_4arch9wavefront6targetE1EEEvT1_,comdat
.Lfunc_end2134:
	.size	_ZN7rocprim17ROCPRIM_400000_NS6detail17trampoline_kernelINS0_14default_configENS1_27scan_by_key_config_selectorIj11FixedVectorIiLj8EEEEZZNS1_16scan_by_key_implILNS1_25lookback_scan_determinismE0ELb0ES3_N6thrust23THRUST_200600_302600_NS6detail15normal_iteratorINSB_10device_ptrIjEEEENSD_INSE_IS6_EEEESI_S6_NSB_4plusIvEENSB_8equal_toIvEES6_EE10hipError_tPvRmT2_T3_T4_T5_mT6_T7_P12ihipStream_tbENKUlT_T0_E_clISt17integral_constantIbLb1EES13_EEDaSY_SZ_EUlSY_E_NS1_11comp_targetILNS1_3genE8ELNS1_11target_archE1030ELNS1_3gpuE2ELNS1_3repE0EEENS1_30default_config_static_selectorELNS0_4arch9wavefront6targetE1EEEvT1_, .Lfunc_end2134-_ZN7rocprim17ROCPRIM_400000_NS6detail17trampoline_kernelINS0_14default_configENS1_27scan_by_key_config_selectorIj11FixedVectorIiLj8EEEEZZNS1_16scan_by_key_implILNS1_25lookback_scan_determinismE0ELb0ES3_N6thrust23THRUST_200600_302600_NS6detail15normal_iteratorINSB_10device_ptrIjEEEENSD_INSE_IS6_EEEESI_S6_NSB_4plusIvEENSB_8equal_toIvEES6_EE10hipError_tPvRmT2_T3_T4_T5_mT6_T7_P12ihipStream_tbENKUlT_T0_E_clISt17integral_constantIbLb1EES13_EEDaSY_SZ_EUlSY_E_NS1_11comp_targetILNS1_3genE8ELNS1_11target_archE1030ELNS1_3gpuE2ELNS1_3repE0EEENS1_30default_config_static_selectorELNS0_4arch9wavefront6targetE1EEEvT1_
                                        ; -- End function
	.section	.AMDGPU.csdata,"",@progbits
; Kernel info:
; codeLenInByte = 0
; NumSgprs: 4
; NumVgprs: 0
; NumAgprs: 0
; TotalNumVgprs: 0
; ScratchSize: 0
; MemoryBound: 0
; FloatMode: 240
; IeeeMode: 1
; LDSByteSize: 0 bytes/workgroup (compile time only)
; SGPRBlocks: 0
; VGPRBlocks: 0
; NumSGPRsForWavesPerEU: 4
; NumVGPRsForWavesPerEU: 1
; AccumOffset: 4
; Occupancy: 8
; WaveLimiterHint : 0
; COMPUTE_PGM_RSRC2:SCRATCH_EN: 0
; COMPUTE_PGM_RSRC2:USER_SGPR: 6
; COMPUTE_PGM_RSRC2:TRAP_HANDLER: 0
; COMPUTE_PGM_RSRC2:TGID_X_EN: 1
; COMPUTE_PGM_RSRC2:TGID_Y_EN: 0
; COMPUTE_PGM_RSRC2:TGID_Z_EN: 0
; COMPUTE_PGM_RSRC2:TIDIG_COMP_CNT: 0
; COMPUTE_PGM_RSRC3_GFX90A:ACCUM_OFFSET: 0
; COMPUTE_PGM_RSRC3_GFX90A:TG_SPLIT: 0
	.section	.text._ZN7rocprim17ROCPRIM_400000_NS6detail30init_device_scan_by_key_kernelINS1_19lookback_scan_stateINS0_5tupleIJ11FixedVectorIiLj8EEbEEELb1ELb0EEEN6thrust23THRUST_200600_302600_NS6detail15normal_iteratorINSA_10device_ptrIjEEEEjNS1_16block_id_wrapperIjLb0EEEEEvT_jjPNSI_10value_typeET0_PNSt15iterator_traitsISL_E10value_typeEmT1_T2_,"axG",@progbits,_ZN7rocprim17ROCPRIM_400000_NS6detail30init_device_scan_by_key_kernelINS1_19lookback_scan_stateINS0_5tupleIJ11FixedVectorIiLj8EEbEEELb1ELb0EEEN6thrust23THRUST_200600_302600_NS6detail15normal_iteratorINSA_10device_ptrIjEEEEjNS1_16block_id_wrapperIjLb0EEEEEvT_jjPNSI_10value_typeET0_PNSt15iterator_traitsISL_E10value_typeEmT1_T2_,comdat
	.protected	_ZN7rocprim17ROCPRIM_400000_NS6detail30init_device_scan_by_key_kernelINS1_19lookback_scan_stateINS0_5tupleIJ11FixedVectorIiLj8EEbEEELb1ELb0EEEN6thrust23THRUST_200600_302600_NS6detail15normal_iteratorINSA_10device_ptrIjEEEEjNS1_16block_id_wrapperIjLb0EEEEEvT_jjPNSI_10value_typeET0_PNSt15iterator_traitsISL_E10value_typeEmT1_T2_ ; -- Begin function _ZN7rocprim17ROCPRIM_400000_NS6detail30init_device_scan_by_key_kernelINS1_19lookback_scan_stateINS0_5tupleIJ11FixedVectorIiLj8EEbEEELb1ELb0EEEN6thrust23THRUST_200600_302600_NS6detail15normal_iteratorINSA_10device_ptrIjEEEEjNS1_16block_id_wrapperIjLb0EEEEEvT_jjPNSI_10value_typeET0_PNSt15iterator_traitsISL_E10value_typeEmT1_T2_
	.globl	_ZN7rocprim17ROCPRIM_400000_NS6detail30init_device_scan_by_key_kernelINS1_19lookback_scan_stateINS0_5tupleIJ11FixedVectorIiLj8EEbEEELb1ELb0EEEN6thrust23THRUST_200600_302600_NS6detail15normal_iteratorINSA_10device_ptrIjEEEEjNS1_16block_id_wrapperIjLb0EEEEEvT_jjPNSI_10value_typeET0_PNSt15iterator_traitsISL_E10value_typeEmT1_T2_
	.p2align	8
	.type	_ZN7rocprim17ROCPRIM_400000_NS6detail30init_device_scan_by_key_kernelINS1_19lookback_scan_stateINS0_5tupleIJ11FixedVectorIiLj8EEbEEELb1ELb0EEEN6thrust23THRUST_200600_302600_NS6detail15normal_iteratorINSA_10device_ptrIjEEEEjNS1_16block_id_wrapperIjLb0EEEEEvT_jjPNSI_10value_typeET0_PNSt15iterator_traitsISL_E10value_typeEmT1_T2_,@function
_ZN7rocprim17ROCPRIM_400000_NS6detail30init_device_scan_by_key_kernelINS1_19lookback_scan_stateINS0_5tupleIJ11FixedVectorIiLj8EEbEEELb1ELb0EEEN6thrust23THRUST_200600_302600_NS6detail15normal_iteratorINSA_10device_ptrIjEEEEjNS1_16block_id_wrapperIjLb0EEEEEvT_jjPNSI_10value_typeET0_PNSt15iterator_traitsISL_E10value_typeEmT1_T2_: ; @_ZN7rocprim17ROCPRIM_400000_NS6detail30init_device_scan_by_key_kernelINS1_19lookback_scan_stateINS0_5tupleIJ11FixedVectorIiLj8EEbEEELb1ELb0EEEN6thrust23THRUST_200600_302600_NS6detail15normal_iteratorINSA_10device_ptrIjEEEEjNS1_16block_id_wrapperIjLb0EEEEEvT_jjPNSI_10value_typeET0_PNSt15iterator_traitsISL_E10value_typeEmT1_T2_
; %bb.0:
	s_load_dword s6, s[4:5], 0x54
	s_load_dwordx8 s[12:19], s[4:5], 0x10
	s_load_dword s22, s[4:5], 0x48
	s_add_u32 s0, s0, s9
	s_addc_u32 s1, s1, 0
	s_waitcnt lgkmcnt(0)
	s_and_b32 s23, s6, 0xffff
	s_mul_i32 s8, s8, s23
	s_cmp_eq_u64 s[16:17], 0
	v_add_u32_e32 v0, s8, v0
	s_cbranch_scc1 .LBB2135_13
; %bb.1:
	s_cmp_lt_u32 s15, s14
	s_cselect_b32 s6, s15, 0
	s_mov_b32 s20, 0
	v_cmp_eq_u32_e32 vcc, s6, v0
	s_and_saveexec_b64 s[6:7], vcc
	s_cbranch_execz .LBB2135_12
; %bb.2:
	s_load_dwordx4 s[8:11], s[4:5], 0x0
	v_mov_b32_e32 v1, 0
	v_mov_b32_e32 v2, 0
	buffer_store_dword v1, off, s[0:3], 0 offset:28
	buffer_store_dword v1, off, s[0:3], 0 offset:24
	;; [unrolled: 1-line block ×7, first 2 shown]
	buffer_store_dword v1, off, s[0:3], 0
	buffer_store_dword v1, off, s[0:3], 0 offset:32
.LBB2135_3:                             ; =>This Inner Loop Header: Depth=1
	v_add_u32_e32 v3, s20, v2
	s_add_i32 s20, s20, 8
	s_cmp_lg_u32 s20, 32
	buffer_store_dword v1, v3, s[0:3], 0 offen offset:4
	buffer_store_dword v1, v3, s[0:3], 0 offen
	s_cbranch_scc1 .LBB2135_3
; %bb.4:
	v_mov_b32_e32 v1, 0
	s_add_i32 s15, s15, 64
	buffer_store_byte v1, off, s[0:3], 0 offset:32
	v_mov_b32_e32 v2, s15
	global_load_ubyte v2, v2, s[12:13] glc
	s_add_u32 s20, s12, s15
	s_addc_u32 s21, s13, 0
	s_waitcnt vmcnt(0)
	v_cmp_ne_u16_e32 vcc, 0, v2
	v_readfirstlane_b32 s24, v2
	s_cbranch_vccz .LBB2135_6
; %bb.5:
	s_and_b32 s20, 0xffff, s24
	s_branch .LBB2135_11
.LBB2135_6:
	s_mov_b32 s24, 1
.LBB2135_7:                             ; =>This Loop Header: Depth=1
                                        ;     Child Loop BB2135_8 Depth 2
	s_max_u32 s25, s24, 1
.LBB2135_8:                             ;   Parent Loop BB2135_7 Depth=1
                                        ; =>  This Inner Loop Header: Depth=2
	s_add_i32 s25, s25, -1
	s_cmp_eq_u32 s25, 0
	s_sleep 1
	s_cbranch_scc0 .LBB2135_8
; %bb.9:                                ;   in Loop: Header=BB2135_7 Depth=1
	global_load_ubyte v2, v1, s[20:21] glc
	s_cmp_lt_u32 s24, 32
	s_cselect_b64 s[26:27], -1, 0
	s_cmp_lg_u64 s[26:27], 0
	s_addc_u32 s24, s24, 0
	s_waitcnt vmcnt(0)
	v_cmp_ne_u16_e32 vcc, 0, v2
	v_readfirstlane_b32 s25, v2
	s_cbranch_vccz .LBB2135_7
; %bb.10:
	s_and_b32 s20, 0xffff, s25
.LBB2135_11:
	s_cmp_eq_u32 s20, 1
	s_waitcnt lgkmcnt(0)
	s_cselect_b32 s9, s9, s11
	s_cselect_b32 s8, s8, s10
	s_mul_i32 s11, s15, 36
	s_mul_hi_u32 s10, s15, 36
	s_add_u32 s8, s8, s11
	s_addc_u32 s9, s9, s10
	v_mov_b32_e32 v1, 0
	buffer_wbinvl1_vol
	global_load_dwordx4 v[2:5], v1, s[8:9]
	global_load_dwordx4 v[6:9], v1, s[8:9] offset:16
	global_load_ubyte v10, v1, s[8:9] offset:32
	s_waitcnt vmcnt(2)
	global_store_dwordx4 v1, v[2:5], s[16:17]
	s_waitcnt vmcnt(2)
	global_store_dwordx4 v1, v[6:9], s[16:17] offset:16
	s_waitcnt vmcnt(2)
	global_store_byte v1, v10, s[16:17] offset:32
.LBB2135_12:
	s_or_b64 exec, exec, s[6:7]
.LBB2135_13:
	v_cmp_gt_u32_e32 vcc, s14, v0
	s_and_saveexec_b64 s[6:7], vcc
	s_cbranch_execz .LBB2135_15
; %bb.14:
	v_add_u32_e32 v1, 64, v0
	v_mov_b32_e32 v2, 0
	global_store_byte v1, v2, s[12:13]
.LBB2135_15:
	s_or_b64 exec, exec, s[6:7]
	v_cmp_gt_u32_e32 vcc, 64, v0
	v_mov_b32_e32 v1, 0
	s_and_saveexec_b64 s[6:7], vcc
	s_cbranch_execz .LBB2135_17
; %bb.16:
	v_mov_b32_e32 v3, s13
	v_add_co_u32_e32 v2, vcc, s12, v0
	v_addc_co_u32_e32 v3, vcc, 0, v3, vcc
	v_mov_b32_e32 v4, 0xff
	global_store_byte v[2:3], v4, off
.LBB2135_17:
	s_or_b64 exec, exec, s[6:7]
	s_load_dwordx2 s[6:7], s[4:5], 0x38
	s_waitcnt lgkmcnt(0)
	v_cmp_gt_u64_e32 vcc, s[6:7], v[0:1]
	s_and_saveexec_b64 s[8:9], vcc
	s_cbranch_execz .LBB2135_20
; %bb.18:
	s_load_dword s14, s[4:5], 0x40
	s_load_dwordx2 s[10:11], s[4:5], 0x30
	s_mov_b32 s9, 0
	s_mov_b32 s5, s9
	s_mul_i32 s4, s22, s23
	s_waitcnt lgkmcnt(0)
	s_add_i32 s8, s14, -1
	s_lshl_b64 s[8:9], s[8:9], 2
	v_mad_u64_u32 v[2:3], s[12:13], s14, v0, 0
	s_add_u32 s8, s18, s8
	v_lshlrev_b64 v[2:3], 2, v[2:3]
	s_addc_u32 s9, s19, s9
	v_mov_b32_e32 v4, s9
	v_add_co_u32_e32 v2, vcc, s8, v2
	v_addc_co_u32_e32 v3, vcc, v4, v3, vcc
	s_mul_hi_u32 s9, s14, s4
	s_mul_i32 s8, s14, s4
	v_lshlrev_b64 v[4:5], 2, v[0:1]
	s_lshl_b64 s[8:9], s[8:9], 2
	v_mov_b32_e32 v6, s11
	v_add_co_u32_e32 v4, vcc, s10, v4
	s_lshl_b64 s[10:11], s[4:5], 2
	v_addc_co_u32_e32 v5, vcc, v6, v5, vcc
	s_mov_b64 s[12:13], 0
	v_mov_b32_e32 v6, s5
	v_mov_b32_e32 v7, s9
	;; [unrolled: 1-line block ×3, first 2 shown]
.LBB2135_19:                            ; =>This Inner Loop Header: Depth=1
	global_load_dword v9, v[2:3], off
	v_add_co_u32_e32 v0, vcc, s4, v0
	v_addc_co_u32_e32 v1, vcc, v1, v6, vcc
	v_add_co_u32_e32 v2, vcc, s8, v2
	v_addc_co_u32_e32 v3, vcc, v3, v7, vcc
	v_cmp_le_u64_e32 vcc, s[6:7], v[0:1]
	s_or_b64 s[12:13], vcc, s[12:13]
	s_waitcnt vmcnt(0)
	global_store_dword v[4:5], v9, off
	v_add_co_u32_e32 v4, vcc, s10, v4
	v_addc_co_u32_e32 v5, vcc, v5, v8, vcc
	s_andn2_b64 exec, exec, s[12:13]
	s_cbranch_execnz .LBB2135_19
.LBB2135_20:
	s_endpgm
	.section	.rodata,"a",@progbits
	.p2align	6, 0x0
	.amdhsa_kernel _ZN7rocprim17ROCPRIM_400000_NS6detail30init_device_scan_by_key_kernelINS1_19lookback_scan_stateINS0_5tupleIJ11FixedVectorIiLj8EEbEEELb1ELb0EEEN6thrust23THRUST_200600_302600_NS6detail15normal_iteratorINSA_10device_ptrIjEEEEjNS1_16block_id_wrapperIjLb0EEEEEvT_jjPNSI_10value_typeET0_PNSt15iterator_traitsISL_E10value_typeEmT1_T2_
		.amdhsa_group_segment_fixed_size 0
		.amdhsa_private_segment_fixed_size 40
		.amdhsa_kernarg_size 328
		.amdhsa_user_sgpr_count 8
		.amdhsa_user_sgpr_private_segment_buffer 1
		.amdhsa_user_sgpr_dispatch_ptr 0
		.amdhsa_user_sgpr_queue_ptr 0
		.amdhsa_user_sgpr_kernarg_segment_ptr 1
		.amdhsa_user_sgpr_dispatch_id 0
		.amdhsa_user_sgpr_flat_scratch_init 1
		.amdhsa_user_sgpr_kernarg_preload_length 0
		.amdhsa_user_sgpr_kernarg_preload_offset 0
		.amdhsa_user_sgpr_private_segment_size 0
		.amdhsa_uses_dynamic_stack 0
		.amdhsa_system_sgpr_private_segment_wavefront_offset 1
		.amdhsa_system_sgpr_workgroup_id_x 1
		.amdhsa_system_sgpr_workgroup_id_y 0
		.amdhsa_system_sgpr_workgroup_id_z 0
		.amdhsa_system_sgpr_workgroup_info 0
		.amdhsa_system_vgpr_workitem_id 0
		.amdhsa_next_free_vgpr 11
		.amdhsa_next_free_sgpr 28
		.amdhsa_accum_offset 12
		.amdhsa_reserve_vcc 1
		.amdhsa_reserve_flat_scratch 0
		.amdhsa_float_round_mode_32 0
		.amdhsa_float_round_mode_16_64 0
		.amdhsa_float_denorm_mode_32 3
		.amdhsa_float_denorm_mode_16_64 3
		.amdhsa_dx10_clamp 1
		.amdhsa_ieee_mode 1
		.amdhsa_fp16_overflow 0
		.amdhsa_tg_split 0
		.amdhsa_exception_fp_ieee_invalid_op 0
		.amdhsa_exception_fp_denorm_src 0
		.amdhsa_exception_fp_ieee_div_zero 0
		.amdhsa_exception_fp_ieee_overflow 0
		.amdhsa_exception_fp_ieee_underflow 0
		.amdhsa_exception_fp_ieee_inexact 0
		.amdhsa_exception_int_div_zero 0
	.end_amdhsa_kernel
	.section	.text._ZN7rocprim17ROCPRIM_400000_NS6detail30init_device_scan_by_key_kernelINS1_19lookback_scan_stateINS0_5tupleIJ11FixedVectorIiLj8EEbEEELb1ELb0EEEN6thrust23THRUST_200600_302600_NS6detail15normal_iteratorINSA_10device_ptrIjEEEEjNS1_16block_id_wrapperIjLb0EEEEEvT_jjPNSI_10value_typeET0_PNSt15iterator_traitsISL_E10value_typeEmT1_T2_,"axG",@progbits,_ZN7rocprim17ROCPRIM_400000_NS6detail30init_device_scan_by_key_kernelINS1_19lookback_scan_stateINS0_5tupleIJ11FixedVectorIiLj8EEbEEELb1ELb0EEEN6thrust23THRUST_200600_302600_NS6detail15normal_iteratorINSA_10device_ptrIjEEEEjNS1_16block_id_wrapperIjLb0EEEEEvT_jjPNSI_10value_typeET0_PNSt15iterator_traitsISL_E10value_typeEmT1_T2_,comdat
.Lfunc_end2135:
	.size	_ZN7rocprim17ROCPRIM_400000_NS6detail30init_device_scan_by_key_kernelINS1_19lookback_scan_stateINS0_5tupleIJ11FixedVectorIiLj8EEbEEELb1ELb0EEEN6thrust23THRUST_200600_302600_NS6detail15normal_iteratorINSA_10device_ptrIjEEEEjNS1_16block_id_wrapperIjLb0EEEEEvT_jjPNSI_10value_typeET0_PNSt15iterator_traitsISL_E10value_typeEmT1_T2_, .Lfunc_end2135-_ZN7rocprim17ROCPRIM_400000_NS6detail30init_device_scan_by_key_kernelINS1_19lookback_scan_stateINS0_5tupleIJ11FixedVectorIiLj8EEbEEELb1ELb0EEEN6thrust23THRUST_200600_302600_NS6detail15normal_iteratorINSA_10device_ptrIjEEEEjNS1_16block_id_wrapperIjLb0EEEEEvT_jjPNSI_10value_typeET0_PNSt15iterator_traitsISL_E10value_typeEmT1_T2_
                                        ; -- End function
	.section	.AMDGPU.csdata,"",@progbits
; Kernel info:
; codeLenInByte = 744
; NumSgprs: 32
; NumVgprs: 11
; NumAgprs: 0
; TotalNumVgprs: 11
; ScratchSize: 40
; MemoryBound: 0
; FloatMode: 240
; IeeeMode: 1
; LDSByteSize: 0 bytes/workgroup (compile time only)
; SGPRBlocks: 3
; VGPRBlocks: 1
; NumSGPRsForWavesPerEU: 32
; NumVGPRsForWavesPerEU: 11
; AccumOffset: 12
; Occupancy: 8
; WaveLimiterHint : 0
; COMPUTE_PGM_RSRC2:SCRATCH_EN: 1
; COMPUTE_PGM_RSRC2:USER_SGPR: 8
; COMPUTE_PGM_RSRC2:TRAP_HANDLER: 0
; COMPUTE_PGM_RSRC2:TGID_X_EN: 1
; COMPUTE_PGM_RSRC2:TGID_Y_EN: 0
; COMPUTE_PGM_RSRC2:TGID_Z_EN: 0
; COMPUTE_PGM_RSRC2:TIDIG_COMP_CNT: 0
; COMPUTE_PGM_RSRC3_GFX90A:ACCUM_OFFSET: 2
; COMPUTE_PGM_RSRC3_GFX90A:TG_SPLIT: 0
	.section	.text._ZN7rocprim17ROCPRIM_400000_NS6detail30init_device_scan_by_key_kernelINS1_19lookback_scan_stateINS0_5tupleIJ11FixedVectorIiLj8EEbEEELb1ELb0EEENS1_16block_id_wrapperIjLb0EEEEEvT_jjPNSB_10value_typeET0_,"axG",@progbits,_ZN7rocprim17ROCPRIM_400000_NS6detail30init_device_scan_by_key_kernelINS1_19lookback_scan_stateINS0_5tupleIJ11FixedVectorIiLj8EEbEEELb1ELb0EEENS1_16block_id_wrapperIjLb0EEEEEvT_jjPNSB_10value_typeET0_,comdat
	.protected	_ZN7rocprim17ROCPRIM_400000_NS6detail30init_device_scan_by_key_kernelINS1_19lookback_scan_stateINS0_5tupleIJ11FixedVectorIiLj8EEbEEELb1ELb0EEENS1_16block_id_wrapperIjLb0EEEEEvT_jjPNSB_10value_typeET0_ ; -- Begin function _ZN7rocprim17ROCPRIM_400000_NS6detail30init_device_scan_by_key_kernelINS1_19lookback_scan_stateINS0_5tupleIJ11FixedVectorIiLj8EEbEEELb1ELb0EEENS1_16block_id_wrapperIjLb0EEEEEvT_jjPNSB_10value_typeET0_
	.globl	_ZN7rocprim17ROCPRIM_400000_NS6detail30init_device_scan_by_key_kernelINS1_19lookback_scan_stateINS0_5tupleIJ11FixedVectorIiLj8EEbEEELb1ELb0EEENS1_16block_id_wrapperIjLb0EEEEEvT_jjPNSB_10value_typeET0_
	.p2align	8
	.type	_ZN7rocprim17ROCPRIM_400000_NS6detail30init_device_scan_by_key_kernelINS1_19lookback_scan_stateINS0_5tupleIJ11FixedVectorIiLj8EEbEEELb1ELb0EEENS1_16block_id_wrapperIjLb0EEEEEvT_jjPNSB_10value_typeET0_,@function
_ZN7rocprim17ROCPRIM_400000_NS6detail30init_device_scan_by_key_kernelINS1_19lookback_scan_stateINS0_5tupleIJ11FixedVectorIiLj8EEbEEELb1ELb0EEENS1_16block_id_wrapperIjLb0EEEEEvT_jjPNSB_10value_typeET0_: ; @_ZN7rocprim17ROCPRIM_400000_NS6detail30init_device_scan_by_key_kernelINS1_19lookback_scan_stateINS0_5tupleIJ11FixedVectorIiLj8EEbEEELb1ELb0EEENS1_16block_id_wrapperIjLb0EEEEEvT_jjPNSB_10value_typeET0_
; %bb.0:
	s_load_dword s6, s[4:5], 0x3c
	s_load_dwordx2 s[10:11], s[4:5], 0x20
	s_load_dwordx4 s[12:15], s[4:5], 0x10
	s_add_u32 s0, s0, s9
	s_addc_u32 s1, s1, 0
	s_waitcnt lgkmcnt(0)
	s_and_b32 s6, s6, 0xffff
	s_mul_i32 s8, s8, s6
	s_cmp_eq_u64 s[10:11], 0
	v_add_u32_e32 v0, s8, v0
	s_cbranch_scc1 .LBB2136_13
; %bb.1:
	s_cmp_lt_u32 s15, s14
	s_cselect_b32 s6, s15, 0
	s_mov_b32 s16, 0
	v_cmp_eq_u32_e32 vcc, s6, v0
	s_and_saveexec_b64 s[8:9], vcc
	s_cbranch_execz .LBB2136_12
; %bb.2:
	s_load_dwordx4 s[4:7], s[4:5], 0x0
	v_mov_b32_e32 v1, 0
	v_mov_b32_e32 v2, 0
	buffer_store_dword v1, off, s[0:3], 0 offset:28
	buffer_store_dword v1, off, s[0:3], 0 offset:24
	;; [unrolled: 1-line block ×7, first 2 shown]
	buffer_store_dword v1, off, s[0:3], 0
	buffer_store_dword v1, off, s[0:3], 0 offset:32
.LBB2136_3:                             ; =>This Inner Loop Header: Depth=1
	v_add_u32_e32 v3, s16, v2
	s_add_i32 s16, s16, 8
	s_cmp_lg_u32 s16, 32
	buffer_store_dword v1, v3, s[0:3], 0 offen offset:4
	buffer_store_dword v1, v3, s[0:3], 0 offen
	s_cbranch_scc1 .LBB2136_3
; %bb.4:
	v_mov_b32_e32 v1, 0
	s_add_i32 s15, s15, 64
	buffer_store_byte v1, off, s[0:3], 0 offset:32
	v_mov_b32_e32 v2, s15
	global_load_ubyte v2, v2, s[12:13] glc
	s_add_u32 s16, s12, s15
	s_addc_u32 s17, s13, 0
	s_waitcnt vmcnt(0)
	v_cmp_ne_u16_e32 vcc, 0, v2
	v_readfirstlane_b32 s18, v2
	s_cbranch_vccz .LBB2136_6
; %bb.5:
	s_and_b32 s16, 0xffff, s18
	s_branch .LBB2136_11
.LBB2136_6:
	s_mov_b32 s18, 1
.LBB2136_7:                             ; =>This Loop Header: Depth=1
                                        ;     Child Loop BB2136_8 Depth 2
	s_max_u32 s19, s18, 1
.LBB2136_8:                             ;   Parent Loop BB2136_7 Depth=1
                                        ; =>  This Inner Loop Header: Depth=2
	s_add_i32 s19, s19, -1
	s_cmp_eq_u32 s19, 0
	s_sleep 1
	s_cbranch_scc0 .LBB2136_8
; %bb.9:                                ;   in Loop: Header=BB2136_7 Depth=1
	global_load_ubyte v2, v1, s[16:17] glc
	s_cmp_lt_u32 s18, 32
	s_cselect_b64 s[20:21], -1, 0
	s_cmp_lg_u64 s[20:21], 0
	s_addc_u32 s18, s18, 0
	s_waitcnt vmcnt(0)
	v_cmp_ne_u16_e32 vcc, 0, v2
	v_readfirstlane_b32 s19, v2
	s_cbranch_vccz .LBB2136_7
; %bb.10:
	s_and_b32 s16, 0xffff, s19
.LBB2136_11:
	s_cmp_eq_u32 s16, 1
	s_waitcnt lgkmcnt(0)
	s_cselect_b32 s5, s5, s7
	s_cselect_b32 s4, s4, s6
	s_mul_i32 s7, s15, 36
	s_mul_hi_u32 s6, s15, 36
	s_add_u32 s4, s4, s7
	s_addc_u32 s5, s5, s6
	v_mov_b32_e32 v1, 0
	buffer_wbinvl1_vol
	global_load_dwordx4 v[2:5], v1, s[4:5]
	global_load_dwordx4 v[6:9], v1, s[4:5] offset:16
	global_load_ubyte v10, v1, s[4:5] offset:32
	s_waitcnt vmcnt(2)
	global_store_dwordx4 v1, v[2:5], s[10:11]
	s_waitcnt vmcnt(2)
	global_store_dwordx4 v1, v[6:9], s[10:11] offset:16
	s_waitcnt vmcnt(2)
	global_store_byte v1, v10, s[10:11] offset:32
.LBB2136_12:
	s_or_b64 exec, exec, s[8:9]
.LBB2136_13:
	v_cmp_gt_u32_e32 vcc, s14, v0
	s_and_saveexec_b64 s[4:5], vcc
	s_cbranch_execnz .LBB2136_16
; %bb.14:
	s_or_b64 exec, exec, s[4:5]
	v_cmp_gt_u32_e32 vcc, 64, v0
	s_and_saveexec_b64 s[4:5], vcc
	s_cbranch_execnz .LBB2136_17
.LBB2136_15:
	s_endpgm
.LBB2136_16:
	v_add_u32_e32 v1, 64, v0
	v_mov_b32_e32 v2, 0
	global_store_byte v1, v2, s[12:13]
	s_or_b64 exec, exec, s[4:5]
	v_cmp_gt_u32_e32 vcc, 64, v0
	s_and_saveexec_b64 s[4:5], vcc
	s_cbranch_execz .LBB2136_15
.LBB2136_17:
	v_mov_b32_e32 v1, 0xff
	global_store_byte v0, v1, s[12:13]
	s_endpgm
	.section	.rodata,"a",@progbits
	.p2align	6, 0x0
	.amdhsa_kernel _ZN7rocprim17ROCPRIM_400000_NS6detail30init_device_scan_by_key_kernelINS1_19lookback_scan_stateINS0_5tupleIJ11FixedVectorIiLj8EEbEEELb1ELb0EEENS1_16block_id_wrapperIjLb0EEEEEvT_jjPNSB_10value_typeET0_
		.amdhsa_group_segment_fixed_size 0
		.amdhsa_private_segment_fixed_size 40
		.amdhsa_kernarg_size 304
		.amdhsa_user_sgpr_count 8
		.amdhsa_user_sgpr_private_segment_buffer 1
		.amdhsa_user_sgpr_dispatch_ptr 0
		.amdhsa_user_sgpr_queue_ptr 0
		.amdhsa_user_sgpr_kernarg_segment_ptr 1
		.amdhsa_user_sgpr_dispatch_id 0
		.amdhsa_user_sgpr_flat_scratch_init 1
		.amdhsa_user_sgpr_kernarg_preload_length 0
		.amdhsa_user_sgpr_kernarg_preload_offset 0
		.amdhsa_user_sgpr_private_segment_size 0
		.amdhsa_uses_dynamic_stack 0
		.amdhsa_system_sgpr_private_segment_wavefront_offset 1
		.amdhsa_system_sgpr_workgroup_id_x 1
		.amdhsa_system_sgpr_workgroup_id_y 0
		.amdhsa_system_sgpr_workgroup_id_z 0
		.amdhsa_system_sgpr_workgroup_info 0
		.amdhsa_system_vgpr_workitem_id 0
		.amdhsa_next_free_vgpr 11
		.amdhsa_next_free_sgpr 22
		.amdhsa_accum_offset 12
		.amdhsa_reserve_vcc 1
		.amdhsa_reserve_flat_scratch 0
		.amdhsa_float_round_mode_32 0
		.amdhsa_float_round_mode_16_64 0
		.amdhsa_float_denorm_mode_32 3
		.amdhsa_float_denorm_mode_16_64 3
		.amdhsa_dx10_clamp 1
		.amdhsa_ieee_mode 1
		.amdhsa_fp16_overflow 0
		.amdhsa_tg_split 0
		.amdhsa_exception_fp_ieee_invalid_op 0
		.amdhsa_exception_fp_denorm_src 0
		.amdhsa_exception_fp_ieee_div_zero 0
		.amdhsa_exception_fp_ieee_overflow 0
		.amdhsa_exception_fp_ieee_underflow 0
		.amdhsa_exception_fp_ieee_inexact 0
		.amdhsa_exception_int_div_zero 0
	.end_amdhsa_kernel
	.section	.text._ZN7rocprim17ROCPRIM_400000_NS6detail30init_device_scan_by_key_kernelINS1_19lookback_scan_stateINS0_5tupleIJ11FixedVectorIiLj8EEbEEELb1ELb0EEENS1_16block_id_wrapperIjLb0EEEEEvT_jjPNSB_10value_typeET0_,"axG",@progbits,_ZN7rocprim17ROCPRIM_400000_NS6detail30init_device_scan_by_key_kernelINS1_19lookback_scan_stateINS0_5tupleIJ11FixedVectorIiLj8EEbEEELb1ELb0EEENS1_16block_id_wrapperIjLb0EEEEEvT_jjPNSB_10value_typeET0_,comdat
.Lfunc_end2136:
	.size	_ZN7rocprim17ROCPRIM_400000_NS6detail30init_device_scan_by_key_kernelINS1_19lookback_scan_stateINS0_5tupleIJ11FixedVectorIiLj8EEbEEELb1ELb0EEENS1_16block_id_wrapperIjLb0EEEEEvT_jjPNSB_10value_typeET0_, .Lfunc_end2136-_ZN7rocprim17ROCPRIM_400000_NS6detail30init_device_scan_by_key_kernelINS1_19lookback_scan_stateINS0_5tupleIJ11FixedVectorIiLj8EEbEEELb1ELb0EEENS1_16block_id_wrapperIjLb0EEEEEvT_jjPNSB_10value_typeET0_
                                        ; -- End function
	.section	.AMDGPU.csdata,"",@progbits
; Kernel info:
; codeLenInByte = 532
; NumSgprs: 26
; NumVgprs: 11
; NumAgprs: 0
; TotalNumVgprs: 11
; ScratchSize: 40
; MemoryBound: 0
; FloatMode: 240
; IeeeMode: 1
; LDSByteSize: 0 bytes/workgroup (compile time only)
; SGPRBlocks: 3
; VGPRBlocks: 1
; NumSGPRsForWavesPerEU: 26
; NumVGPRsForWavesPerEU: 11
; AccumOffset: 12
; Occupancy: 8
; WaveLimiterHint : 0
; COMPUTE_PGM_RSRC2:SCRATCH_EN: 1
; COMPUTE_PGM_RSRC2:USER_SGPR: 8
; COMPUTE_PGM_RSRC2:TRAP_HANDLER: 0
; COMPUTE_PGM_RSRC2:TGID_X_EN: 1
; COMPUTE_PGM_RSRC2:TGID_Y_EN: 0
; COMPUTE_PGM_RSRC2:TGID_Z_EN: 0
; COMPUTE_PGM_RSRC2:TIDIG_COMP_CNT: 0
; COMPUTE_PGM_RSRC3_GFX90A:ACCUM_OFFSET: 2
; COMPUTE_PGM_RSRC3_GFX90A:TG_SPLIT: 0
	.section	.text._ZN7rocprim17ROCPRIM_400000_NS6detail17trampoline_kernelINS0_14default_configENS1_27scan_by_key_config_selectorIj11FixedVectorIiLj8EEEEZZNS1_16scan_by_key_implILNS1_25lookback_scan_determinismE0ELb0ES3_N6thrust23THRUST_200600_302600_NS6detail15normal_iteratorINSB_10device_ptrIjEEEENSD_INSE_IS6_EEEESI_S6_NSB_4plusIvEENSB_8equal_toIvEES6_EE10hipError_tPvRmT2_T3_T4_T5_mT6_T7_P12ihipStream_tbENKUlT_T0_E_clISt17integral_constantIbLb1EES12_IbLb0EEEEDaSY_SZ_EUlSY_E_NS1_11comp_targetILNS1_3genE0ELNS1_11target_archE4294967295ELNS1_3gpuE0ELNS1_3repE0EEENS1_30default_config_static_selectorELNS0_4arch9wavefront6targetE1EEEvT1_,"axG",@progbits,_ZN7rocprim17ROCPRIM_400000_NS6detail17trampoline_kernelINS0_14default_configENS1_27scan_by_key_config_selectorIj11FixedVectorIiLj8EEEEZZNS1_16scan_by_key_implILNS1_25lookback_scan_determinismE0ELb0ES3_N6thrust23THRUST_200600_302600_NS6detail15normal_iteratorINSB_10device_ptrIjEEEENSD_INSE_IS6_EEEESI_S6_NSB_4plusIvEENSB_8equal_toIvEES6_EE10hipError_tPvRmT2_T3_T4_T5_mT6_T7_P12ihipStream_tbENKUlT_T0_E_clISt17integral_constantIbLb1EES12_IbLb0EEEEDaSY_SZ_EUlSY_E_NS1_11comp_targetILNS1_3genE0ELNS1_11target_archE4294967295ELNS1_3gpuE0ELNS1_3repE0EEENS1_30default_config_static_selectorELNS0_4arch9wavefront6targetE1EEEvT1_,comdat
	.protected	_ZN7rocprim17ROCPRIM_400000_NS6detail17trampoline_kernelINS0_14default_configENS1_27scan_by_key_config_selectorIj11FixedVectorIiLj8EEEEZZNS1_16scan_by_key_implILNS1_25lookback_scan_determinismE0ELb0ES3_N6thrust23THRUST_200600_302600_NS6detail15normal_iteratorINSB_10device_ptrIjEEEENSD_INSE_IS6_EEEESI_S6_NSB_4plusIvEENSB_8equal_toIvEES6_EE10hipError_tPvRmT2_T3_T4_T5_mT6_T7_P12ihipStream_tbENKUlT_T0_E_clISt17integral_constantIbLb1EES12_IbLb0EEEEDaSY_SZ_EUlSY_E_NS1_11comp_targetILNS1_3genE0ELNS1_11target_archE4294967295ELNS1_3gpuE0ELNS1_3repE0EEENS1_30default_config_static_selectorELNS0_4arch9wavefront6targetE1EEEvT1_ ; -- Begin function _ZN7rocprim17ROCPRIM_400000_NS6detail17trampoline_kernelINS0_14default_configENS1_27scan_by_key_config_selectorIj11FixedVectorIiLj8EEEEZZNS1_16scan_by_key_implILNS1_25lookback_scan_determinismE0ELb0ES3_N6thrust23THRUST_200600_302600_NS6detail15normal_iteratorINSB_10device_ptrIjEEEENSD_INSE_IS6_EEEESI_S6_NSB_4plusIvEENSB_8equal_toIvEES6_EE10hipError_tPvRmT2_T3_T4_T5_mT6_T7_P12ihipStream_tbENKUlT_T0_E_clISt17integral_constantIbLb1EES12_IbLb0EEEEDaSY_SZ_EUlSY_E_NS1_11comp_targetILNS1_3genE0ELNS1_11target_archE4294967295ELNS1_3gpuE0ELNS1_3repE0EEENS1_30default_config_static_selectorELNS0_4arch9wavefront6targetE1EEEvT1_
	.globl	_ZN7rocprim17ROCPRIM_400000_NS6detail17trampoline_kernelINS0_14default_configENS1_27scan_by_key_config_selectorIj11FixedVectorIiLj8EEEEZZNS1_16scan_by_key_implILNS1_25lookback_scan_determinismE0ELb0ES3_N6thrust23THRUST_200600_302600_NS6detail15normal_iteratorINSB_10device_ptrIjEEEENSD_INSE_IS6_EEEESI_S6_NSB_4plusIvEENSB_8equal_toIvEES6_EE10hipError_tPvRmT2_T3_T4_T5_mT6_T7_P12ihipStream_tbENKUlT_T0_E_clISt17integral_constantIbLb1EES12_IbLb0EEEEDaSY_SZ_EUlSY_E_NS1_11comp_targetILNS1_3genE0ELNS1_11target_archE4294967295ELNS1_3gpuE0ELNS1_3repE0EEENS1_30default_config_static_selectorELNS0_4arch9wavefront6targetE1EEEvT1_
	.p2align	8
	.type	_ZN7rocprim17ROCPRIM_400000_NS6detail17trampoline_kernelINS0_14default_configENS1_27scan_by_key_config_selectorIj11FixedVectorIiLj8EEEEZZNS1_16scan_by_key_implILNS1_25lookback_scan_determinismE0ELb0ES3_N6thrust23THRUST_200600_302600_NS6detail15normal_iteratorINSB_10device_ptrIjEEEENSD_INSE_IS6_EEEESI_S6_NSB_4plusIvEENSB_8equal_toIvEES6_EE10hipError_tPvRmT2_T3_T4_T5_mT6_T7_P12ihipStream_tbENKUlT_T0_E_clISt17integral_constantIbLb1EES12_IbLb0EEEEDaSY_SZ_EUlSY_E_NS1_11comp_targetILNS1_3genE0ELNS1_11target_archE4294967295ELNS1_3gpuE0ELNS1_3repE0EEENS1_30default_config_static_selectorELNS0_4arch9wavefront6targetE1EEEvT1_,@function
_ZN7rocprim17ROCPRIM_400000_NS6detail17trampoline_kernelINS0_14default_configENS1_27scan_by_key_config_selectorIj11FixedVectorIiLj8EEEEZZNS1_16scan_by_key_implILNS1_25lookback_scan_determinismE0ELb0ES3_N6thrust23THRUST_200600_302600_NS6detail15normal_iteratorINSB_10device_ptrIjEEEENSD_INSE_IS6_EEEESI_S6_NSB_4plusIvEENSB_8equal_toIvEES6_EE10hipError_tPvRmT2_T3_T4_T5_mT6_T7_P12ihipStream_tbENKUlT_T0_E_clISt17integral_constantIbLb1EES12_IbLb0EEEEDaSY_SZ_EUlSY_E_NS1_11comp_targetILNS1_3genE0ELNS1_11target_archE4294967295ELNS1_3gpuE0ELNS1_3repE0EEENS1_30default_config_static_selectorELNS0_4arch9wavefront6targetE1EEEvT1_: ; @_ZN7rocprim17ROCPRIM_400000_NS6detail17trampoline_kernelINS0_14default_configENS1_27scan_by_key_config_selectorIj11FixedVectorIiLj8EEEEZZNS1_16scan_by_key_implILNS1_25lookback_scan_determinismE0ELb0ES3_N6thrust23THRUST_200600_302600_NS6detail15normal_iteratorINSB_10device_ptrIjEEEENSD_INSE_IS6_EEEESI_S6_NSB_4plusIvEENSB_8equal_toIvEES6_EE10hipError_tPvRmT2_T3_T4_T5_mT6_T7_P12ihipStream_tbENKUlT_T0_E_clISt17integral_constantIbLb1EES12_IbLb0EEEEDaSY_SZ_EUlSY_E_NS1_11comp_targetILNS1_3genE0ELNS1_11target_archE4294967295ELNS1_3gpuE0ELNS1_3repE0EEENS1_30default_config_static_selectorELNS0_4arch9wavefront6targetE1EEEvT1_
; %bb.0:
	.section	.rodata,"a",@progbits
	.p2align	6, 0x0
	.amdhsa_kernel _ZN7rocprim17ROCPRIM_400000_NS6detail17trampoline_kernelINS0_14default_configENS1_27scan_by_key_config_selectorIj11FixedVectorIiLj8EEEEZZNS1_16scan_by_key_implILNS1_25lookback_scan_determinismE0ELb0ES3_N6thrust23THRUST_200600_302600_NS6detail15normal_iteratorINSB_10device_ptrIjEEEENSD_INSE_IS6_EEEESI_S6_NSB_4plusIvEENSB_8equal_toIvEES6_EE10hipError_tPvRmT2_T3_T4_T5_mT6_T7_P12ihipStream_tbENKUlT_T0_E_clISt17integral_constantIbLb1EES12_IbLb0EEEEDaSY_SZ_EUlSY_E_NS1_11comp_targetILNS1_3genE0ELNS1_11target_archE4294967295ELNS1_3gpuE0ELNS1_3repE0EEENS1_30default_config_static_selectorELNS0_4arch9wavefront6targetE1EEEvT1_
		.amdhsa_group_segment_fixed_size 0
		.amdhsa_private_segment_fixed_size 0
		.amdhsa_kernarg_size 160
		.amdhsa_user_sgpr_count 6
		.amdhsa_user_sgpr_private_segment_buffer 1
		.amdhsa_user_sgpr_dispatch_ptr 0
		.amdhsa_user_sgpr_queue_ptr 0
		.amdhsa_user_sgpr_kernarg_segment_ptr 1
		.amdhsa_user_sgpr_dispatch_id 0
		.amdhsa_user_sgpr_flat_scratch_init 0
		.amdhsa_user_sgpr_kernarg_preload_length 0
		.amdhsa_user_sgpr_kernarg_preload_offset 0
		.amdhsa_user_sgpr_private_segment_size 0
		.amdhsa_uses_dynamic_stack 0
		.amdhsa_system_sgpr_private_segment_wavefront_offset 0
		.amdhsa_system_sgpr_workgroup_id_x 1
		.amdhsa_system_sgpr_workgroup_id_y 0
		.amdhsa_system_sgpr_workgroup_id_z 0
		.amdhsa_system_sgpr_workgroup_info 0
		.amdhsa_system_vgpr_workitem_id 0
		.amdhsa_next_free_vgpr 1
		.amdhsa_next_free_sgpr 0
		.amdhsa_accum_offset 4
		.amdhsa_reserve_vcc 0
		.amdhsa_reserve_flat_scratch 0
		.amdhsa_float_round_mode_32 0
		.amdhsa_float_round_mode_16_64 0
		.amdhsa_float_denorm_mode_32 3
		.amdhsa_float_denorm_mode_16_64 3
		.amdhsa_dx10_clamp 1
		.amdhsa_ieee_mode 1
		.amdhsa_fp16_overflow 0
		.amdhsa_tg_split 0
		.amdhsa_exception_fp_ieee_invalid_op 0
		.amdhsa_exception_fp_denorm_src 0
		.amdhsa_exception_fp_ieee_div_zero 0
		.amdhsa_exception_fp_ieee_overflow 0
		.amdhsa_exception_fp_ieee_underflow 0
		.amdhsa_exception_fp_ieee_inexact 0
		.amdhsa_exception_int_div_zero 0
	.end_amdhsa_kernel
	.section	.text._ZN7rocprim17ROCPRIM_400000_NS6detail17trampoline_kernelINS0_14default_configENS1_27scan_by_key_config_selectorIj11FixedVectorIiLj8EEEEZZNS1_16scan_by_key_implILNS1_25lookback_scan_determinismE0ELb0ES3_N6thrust23THRUST_200600_302600_NS6detail15normal_iteratorINSB_10device_ptrIjEEEENSD_INSE_IS6_EEEESI_S6_NSB_4plusIvEENSB_8equal_toIvEES6_EE10hipError_tPvRmT2_T3_T4_T5_mT6_T7_P12ihipStream_tbENKUlT_T0_E_clISt17integral_constantIbLb1EES12_IbLb0EEEEDaSY_SZ_EUlSY_E_NS1_11comp_targetILNS1_3genE0ELNS1_11target_archE4294967295ELNS1_3gpuE0ELNS1_3repE0EEENS1_30default_config_static_selectorELNS0_4arch9wavefront6targetE1EEEvT1_,"axG",@progbits,_ZN7rocprim17ROCPRIM_400000_NS6detail17trampoline_kernelINS0_14default_configENS1_27scan_by_key_config_selectorIj11FixedVectorIiLj8EEEEZZNS1_16scan_by_key_implILNS1_25lookback_scan_determinismE0ELb0ES3_N6thrust23THRUST_200600_302600_NS6detail15normal_iteratorINSB_10device_ptrIjEEEENSD_INSE_IS6_EEEESI_S6_NSB_4plusIvEENSB_8equal_toIvEES6_EE10hipError_tPvRmT2_T3_T4_T5_mT6_T7_P12ihipStream_tbENKUlT_T0_E_clISt17integral_constantIbLb1EES12_IbLb0EEEEDaSY_SZ_EUlSY_E_NS1_11comp_targetILNS1_3genE0ELNS1_11target_archE4294967295ELNS1_3gpuE0ELNS1_3repE0EEENS1_30default_config_static_selectorELNS0_4arch9wavefront6targetE1EEEvT1_,comdat
.Lfunc_end2137:
	.size	_ZN7rocprim17ROCPRIM_400000_NS6detail17trampoline_kernelINS0_14default_configENS1_27scan_by_key_config_selectorIj11FixedVectorIiLj8EEEEZZNS1_16scan_by_key_implILNS1_25lookback_scan_determinismE0ELb0ES3_N6thrust23THRUST_200600_302600_NS6detail15normal_iteratorINSB_10device_ptrIjEEEENSD_INSE_IS6_EEEESI_S6_NSB_4plusIvEENSB_8equal_toIvEES6_EE10hipError_tPvRmT2_T3_T4_T5_mT6_T7_P12ihipStream_tbENKUlT_T0_E_clISt17integral_constantIbLb1EES12_IbLb0EEEEDaSY_SZ_EUlSY_E_NS1_11comp_targetILNS1_3genE0ELNS1_11target_archE4294967295ELNS1_3gpuE0ELNS1_3repE0EEENS1_30default_config_static_selectorELNS0_4arch9wavefront6targetE1EEEvT1_, .Lfunc_end2137-_ZN7rocprim17ROCPRIM_400000_NS6detail17trampoline_kernelINS0_14default_configENS1_27scan_by_key_config_selectorIj11FixedVectorIiLj8EEEEZZNS1_16scan_by_key_implILNS1_25lookback_scan_determinismE0ELb0ES3_N6thrust23THRUST_200600_302600_NS6detail15normal_iteratorINSB_10device_ptrIjEEEENSD_INSE_IS6_EEEESI_S6_NSB_4plusIvEENSB_8equal_toIvEES6_EE10hipError_tPvRmT2_T3_T4_T5_mT6_T7_P12ihipStream_tbENKUlT_T0_E_clISt17integral_constantIbLb1EES12_IbLb0EEEEDaSY_SZ_EUlSY_E_NS1_11comp_targetILNS1_3genE0ELNS1_11target_archE4294967295ELNS1_3gpuE0ELNS1_3repE0EEENS1_30default_config_static_selectorELNS0_4arch9wavefront6targetE1EEEvT1_
                                        ; -- End function
	.section	.AMDGPU.csdata,"",@progbits
; Kernel info:
; codeLenInByte = 0
; NumSgprs: 4
; NumVgprs: 0
; NumAgprs: 0
; TotalNumVgprs: 0
; ScratchSize: 0
; MemoryBound: 0
; FloatMode: 240
; IeeeMode: 1
; LDSByteSize: 0 bytes/workgroup (compile time only)
; SGPRBlocks: 0
; VGPRBlocks: 0
; NumSGPRsForWavesPerEU: 4
; NumVGPRsForWavesPerEU: 1
; AccumOffset: 4
; Occupancy: 8
; WaveLimiterHint : 0
; COMPUTE_PGM_RSRC2:SCRATCH_EN: 0
; COMPUTE_PGM_RSRC2:USER_SGPR: 6
; COMPUTE_PGM_RSRC2:TRAP_HANDLER: 0
; COMPUTE_PGM_RSRC2:TGID_X_EN: 1
; COMPUTE_PGM_RSRC2:TGID_Y_EN: 0
; COMPUTE_PGM_RSRC2:TGID_Z_EN: 0
; COMPUTE_PGM_RSRC2:TIDIG_COMP_CNT: 0
; COMPUTE_PGM_RSRC3_GFX90A:ACCUM_OFFSET: 0
; COMPUTE_PGM_RSRC3_GFX90A:TG_SPLIT: 0
	.section	.text._ZN7rocprim17ROCPRIM_400000_NS6detail17trampoline_kernelINS0_14default_configENS1_27scan_by_key_config_selectorIj11FixedVectorIiLj8EEEEZZNS1_16scan_by_key_implILNS1_25lookback_scan_determinismE0ELb0ES3_N6thrust23THRUST_200600_302600_NS6detail15normal_iteratorINSB_10device_ptrIjEEEENSD_INSE_IS6_EEEESI_S6_NSB_4plusIvEENSB_8equal_toIvEES6_EE10hipError_tPvRmT2_T3_T4_T5_mT6_T7_P12ihipStream_tbENKUlT_T0_E_clISt17integral_constantIbLb1EES12_IbLb0EEEEDaSY_SZ_EUlSY_E_NS1_11comp_targetILNS1_3genE10ELNS1_11target_archE1201ELNS1_3gpuE5ELNS1_3repE0EEENS1_30default_config_static_selectorELNS0_4arch9wavefront6targetE1EEEvT1_,"axG",@progbits,_ZN7rocprim17ROCPRIM_400000_NS6detail17trampoline_kernelINS0_14default_configENS1_27scan_by_key_config_selectorIj11FixedVectorIiLj8EEEEZZNS1_16scan_by_key_implILNS1_25lookback_scan_determinismE0ELb0ES3_N6thrust23THRUST_200600_302600_NS6detail15normal_iteratorINSB_10device_ptrIjEEEENSD_INSE_IS6_EEEESI_S6_NSB_4plusIvEENSB_8equal_toIvEES6_EE10hipError_tPvRmT2_T3_T4_T5_mT6_T7_P12ihipStream_tbENKUlT_T0_E_clISt17integral_constantIbLb1EES12_IbLb0EEEEDaSY_SZ_EUlSY_E_NS1_11comp_targetILNS1_3genE10ELNS1_11target_archE1201ELNS1_3gpuE5ELNS1_3repE0EEENS1_30default_config_static_selectorELNS0_4arch9wavefront6targetE1EEEvT1_,comdat
	.protected	_ZN7rocprim17ROCPRIM_400000_NS6detail17trampoline_kernelINS0_14default_configENS1_27scan_by_key_config_selectorIj11FixedVectorIiLj8EEEEZZNS1_16scan_by_key_implILNS1_25lookback_scan_determinismE0ELb0ES3_N6thrust23THRUST_200600_302600_NS6detail15normal_iteratorINSB_10device_ptrIjEEEENSD_INSE_IS6_EEEESI_S6_NSB_4plusIvEENSB_8equal_toIvEES6_EE10hipError_tPvRmT2_T3_T4_T5_mT6_T7_P12ihipStream_tbENKUlT_T0_E_clISt17integral_constantIbLb1EES12_IbLb0EEEEDaSY_SZ_EUlSY_E_NS1_11comp_targetILNS1_3genE10ELNS1_11target_archE1201ELNS1_3gpuE5ELNS1_3repE0EEENS1_30default_config_static_selectorELNS0_4arch9wavefront6targetE1EEEvT1_ ; -- Begin function _ZN7rocprim17ROCPRIM_400000_NS6detail17trampoline_kernelINS0_14default_configENS1_27scan_by_key_config_selectorIj11FixedVectorIiLj8EEEEZZNS1_16scan_by_key_implILNS1_25lookback_scan_determinismE0ELb0ES3_N6thrust23THRUST_200600_302600_NS6detail15normal_iteratorINSB_10device_ptrIjEEEENSD_INSE_IS6_EEEESI_S6_NSB_4plusIvEENSB_8equal_toIvEES6_EE10hipError_tPvRmT2_T3_T4_T5_mT6_T7_P12ihipStream_tbENKUlT_T0_E_clISt17integral_constantIbLb1EES12_IbLb0EEEEDaSY_SZ_EUlSY_E_NS1_11comp_targetILNS1_3genE10ELNS1_11target_archE1201ELNS1_3gpuE5ELNS1_3repE0EEENS1_30default_config_static_selectorELNS0_4arch9wavefront6targetE1EEEvT1_
	.globl	_ZN7rocprim17ROCPRIM_400000_NS6detail17trampoline_kernelINS0_14default_configENS1_27scan_by_key_config_selectorIj11FixedVectorIiLj8EEEEZZNS1_16scan_by_key_implILNS1_25lookback_scan_determinismE0ELb0ES3_N6thrust23THRUST_200600_302600_NS6detail15normal_iteratorINSB_10device_ptrIjEEEENSD_INSE_IS6_EEEESI_S6_NSB_4plusIvEENSB_8equal_toIvEES6_EE10hipError_tPvRmT2_T3_T4_T5_mT6_T7_P12ihipStream_tbENKUlT_T0_E_clISt17integral_constantIbLb1EES12_IbLb0EEEEDaSY_SZ_EUlSY_E_NS1_11comp_targetILNS1_3genE10ELNS1_11target_archE1201ELNS1_3gpuE5ELNS1_3repE0EEENS1_30default_config_static_selectorELNS0_4arch9wavefront6targetE1EEEvT1_
	.p2align	8
	.type	_ZN7rocprim17ROCPRIM_400000_NS6detail17trampoline_kernelINS0_14default_configENS1_27scan_by_key_config_selectorIj11FixedVectorIiLj8EEEEZZNS1_16scan_by_key_implILNS1_25lookback_scan_determinismE0ELb0ES3_N6thrust23THRUST_200600_302600_NS6detail15normal_iteratorINSB_10device_ptrIjEEEENSD_INSE_IS6_EEEESI_S6_NSB_4plusIvEENSB_8equal_toIvEES6_EE10hipError_tPvRmT2_T3_T4_T5_mT6_T7_P12ihipStream_tbENKUlT_T0_E_clISt17integral_constantIbLb1EES12_IbLb0EEEEDaSY_SZ_EUlSY_E_NS1_11comp_targetILNS1_3genE10ELNS1_11target_archE1201ELNS1_3gpuE5ELNS1_3repE0EEENS1_30default_config_static_selectorELNS0_4arch9wavefront6targetE1EEEvT1_,@function
_ZN7rocprim17ROCPRIM_400000_NS6detail17trampoline_kernelINS0_14default_configENS1_27scan_by_key_config_selectorIj11FixedVectorIiLj8EEEEZZNS1_16scan_by_key_implILNS1_25lookback_scan_determinismE0ELb0ES3_N6thrust23THRUST_200600_302600_NS6detail15normal_iteratorINSB_10device_ptrIjEEEENSD_INSE_IS6_EEEESI_S6_NSB_4plusIvEENSB_8equal_toIvEES6_EE10hipError_tPvRmT2_T3_T4_T5_mT6_T7_P12ihipStream_tbENKUlT_T0_E_clISt17integral_constantIbLb1EES12_IbLb0EEEEDaSY_SZ_EUlSY_E_NS1_11comp_targetILNS1_3genE10ELNS1_11target_archE1201ELNS1_3gpuE5ELNS1_3repE0EEENS1_30default_config_static_selectorELNS0_4arch9wavefront6targetE1EEEvT1_: ; @_ZN7rocprim17ROCPRIM_400000_NS6detail17trampoline_kernelINS0_14default_configENS1_27scan_by_key_config_selectorIj11FixedVectorIiLj8EEEEZZNS1_16scan_by_key_implILNS1_25lookback_scan_determinismE0ELb0ES3_N6thrust23THRUST_200600_302600_NS6detail15normal_iteratorINSB_10device_ptrIjEEEENSD_INSE_IS6_EEEESI_S6_NSB_4plusIvEENSB_8equal_toIvEES6_EE10hipError_tPvRmT2_T3_T4_T5_mT6_T7_P12ihipStream_tbENKUlT_T0_E_clISt17integral_constantIbLb1EES12_IbLb0EEEEDaSY_SZ_EUlSY_E_NS1_11comp_targetILNS1_3genE10ELNS1_11target_archE1201ELNS1_3gpuE5ELNS1_3repE0EEENS1_30default_config_static_selectorELNS0_4arch9wavefront6targetE1EEEvT1_
; %bb.0:
	.section	.rodata,"a",@progbits
	.p2align	6, 0x0
	.amdhsa_kernel _ZN7rocprim17ROCPRIM_400000_NS6detail17trampoline_kernelINS0_14default_configENS1_27scan_by_key_config_selectorIj11FixedVectorIiLj8EEEEZZNS1_16scan_by_key_implILNS1_25lookback_scan_determinismE0ELb0ES3_N6thrust23THRUST_200600_302600_NS6detail15normal_iteratorINSB_10device_ptrIjEEEENSD_INSE_IS6_EEEESI_S6_NSB_4plusIvEENSB_8equal_toIvEES6_EE10hipError_tPvRmT2_T3_T4_T5_mT6_T7_P12ihipStream_tbENKUlT_T0_E_clISt17integral_constantIbLb1EES12_IbLb0EEEEDaSY_SZ_EUlSY_E_NS1_11comp_targetILNS1_3genE10ELNS1_11target_archE1201ELNS1_3gpuE5ELNS1_3repE0EEENS1_30default_config_static_selectorELNS0_4arch9wavefront6targetE1EEEvT1_
		.amdhsa_group_segment_fixed_size 0
		.amdhsa_private_segment_fixed_size 0
		.amdhsa_kernarg_size 160
		.amdhsa_user_sgpr_count 6
		.amdhsa_user_sgpr_private_segment_buffer 1
		.amdhsa_user_sgpr_dispatch_ptr 0
		.amdhsa_user_sgpr_queue_ptr 0
		.amdhsa_user_sgpr_kernarg_segment_ptr 1
		.amdhsa_user_sgpr_dispatch_id 0
		.amdhsa_user_sgpr_flat_scratch_init 0
		.amdhsa_user_sgpr_kernarg_preload_length 0
		.amdhsa_user_sgpr_kernarg_preload_offset 0
		.amdhsa_user_sgpr_private_segment_size 0
		.amdhsa_uses_dynamic_stack 0
		.amdhsa_system_sgpr_private_segment_wavefront_offset 0
		.amdhsa_system_sgpr_workgroup_id_x 1
		.amdhsa_system_sgpr_workgroup_id_y 0
		.amdhsa_system_sgpr_workgroup_id_z 0
		.amdhsa_system_sgpr_workgroup_info 0
		.amdhsa_system_vgpr_workitem_id 0
		.amdhsa_next_free_vgpr 1
		.amdhsa_next_free_sgpr 0
		.amdhsa_accum_offset 4
		.amdhsa_reserve_vcc 0
		.amdhsa_reserve_flat_scratch 0
		.amdhsa_float_round_mode_32 0
		.amdhsa_float_round_mode_16_64 0
		.amdhsa_float_denorm_mode_32 3
		.amdhsa_float_denorm_mode_16_64 3
		.amdhsa_dx10_clamp 1
		.amdhsa_ieee_mode 1
		.amdhsa_fp16_overflow 0
		.amdhsa_tg_split 0
		.amdhsa_exception_fp_ieee_invalid_op 0
		.amdhsa_exception_fp_denorm_src 0
		.amdhsa_exception_fp_ieee_div_zero 0
		.amdhsa_exception_fp_ieee_overflow 0
		.amdhsa_exception_fp_ieee_underflow 0
		.amdhsa_exception_fp_ieee_inexact 0
		.amdhsa_exception_int_div_zero 0
	.end_amdhsa_kernel
	.section	.text._ZN7rocprim17ROCPRIM_400000_NS6detail17trampoline_kernelINS0_14default_configENS1_27scan_by_key_config_selectorIj11FixedVectorIiLj8EEEEZZNS1_16scan_by_key_implILNS1_25lookback_scan_determinismE0ELb0ES3_N6thrust23THRUST_200600_302600_NS6detail15normal_iteratorINSB_10device_ptrIjEEEENSD_INSE_IS6_EEEESI_S6_NSB_4plusIvEENSB_8equal_toIvEES6_EE10hipError_tPvRmT2_T3_T4_T5_mT6_T7_P12ihipStream_tbENKUlT_T0_E_clISt17integral_constantIbLb1EES12_IbLb0EEEEDaSY_SZ_EUlSY_E_NS1_11comp_targetILNS1_3genE10ELNS1_11target_archE1201ELNS1_3gpuE5ELNS1_3repE0EEENS1_30default_config_static_selectorELNS0_4arch9wavefront6targetE1EEEvT1_,"axG",@progbits,_ZN7rocprim17ROCPRIM_400000_NS6detail17trampoline_kernelINS0_14default_configENS1_27scan_by_key_config_selectorIj11FixedVectorIiLj8EEEEZZNS1_16scan_by_key_implILNS1_25lookback_scan_determinismE0ELb0ES3_N6thrust23THRUST_200600_302600_NS6detail15normal_iteratorINSB_10device_ptrIjEEEENSD_INSE_IS6_EEEESI_S6_NSB_4plusIvEENSB_8equal_toIvEES6_EE10hipError_tPvRmT2_T3_T4_T5_mT6_T7_P12ihipStream_tbENKUlT_T0_E_clISt17integral_constantIbLb1EES12_IbLb0EEEEDaSY_SZ_EUlSY_E_NS1_11comp_targetILNS1_3genE10ELNS1_11target_archE1201ELNS1_3gpuE5ELNS1_3repE0EEENS1_30default_config_static_selectorELNS0_4arch9wavefront6targetE1EEEvT1_,comdat
.Lfunc_end2138:
	.size	_ZN7rocprim17ROCPRIM_400000_NS6detail17trampoline_kernelINS0_14default_configENS1_27scan_by_key_config_selectorIj11FixedVectorIiLj8EEEEZZNS1_16scan_by_key_implILNS1_25lookback_scan_determinismE0ELb0ES3_N6thrust23THRUST_200600_302600_NS6detail15normal_iteratorINSB_10device_ptrIjEEEENSD_INSE_IS6_EEEESI_S6_NSB_4plusIvEENSB_8equal_toIvEES6_EE10hipError_tPvRmT2_T3_T4_T5_mT6_T7_P12ihipStream_tbENKUlT_T0_E_clISt17integral_constantIbLb1EES12_IbLb0EEEEDaSY_SZ_EUlSY_E_NS1_11comp_targetILNS1_3genE10ELNS1_11target_archE1201ELNS1_3gpuE5ELNS1_3repE0EEENS1_30default_config_static_selectorELNS0_4arch9wavefront6targetE1EEEvT1_, .Lfunc_end2138-_ZN7rocprim17ROCPRIM_400000_NS6detail17trampoline_kernelINS0_14default_configENS1_27scan_by_key_config_selectorIj11FixedVectorIiLj8EEEEZZNS1_16scan_by_key_implILNS1_25lookback_scan_determinismE0ELb0ES3_N6thrust23THRUST_200600_302600_NS6detail15normal_iteratorINSB_10device_ptrIjEEEENSD_INSE_IS6_EEEESI_S6_NSB_4plusIvEENSB_8equal_toIvEES6_EE10hipError_tPvRmT2_T3_T4_T5_mT6_T7_P12ihipStream_tbENKUlT_T0_E_clISt17integral_constantIbLb1EES12_IbLb0EEEEDaSY_SZ_EUlSY_E_NS1_11comp_targetILNS1_3genE10ELNS1_11target_archE1201ELNS1_3gpuE5ELNS1_3repE0EEENS1_30default_config_static_selectorELNS0_4arch9wavefront6targetE1EEEvT1_
                                        ; -- End function
	.section	.AMDGPU.csdata,"",@progbits
; Kernel info:
; codeLenInByte = 0
; NumSgprs: 4
; NumVgprs: 0
; NumAgprs: 0
; TotalNumVgprs: 0
; ScratchSize: 0
; MemoryBound: 0
; FloatMode: 240
; IeeeMode: 1
; LDSByteSize: 0 bytes/workgroup (compile time only)
; SGPRBlocks: 0
; VGPRBlocks: 0
; NumSGPRsForWavesPerEU: 4
; NumVGPRsForWavesPerEU: 1
; AccumOffset: 4
; Occupancy: 8
; WaveLimiterHint : 0
; COMPUTE_PGM_RSRC2:SCRATCH_EN: 0
; COMPUTE_PGM_RSRC2:USER_SGPR: 6
; COMPUTE_PGM_RSRC2:TRAP_HANDLER: 0
; COMPUTE_PGM_RSRC2:TGID_X_EN: 1
; COMPUTE_PGM_RSRC2:TGID_Y_EN: 0
; COMPUTE_PGM_RSRC2:TGID_Z_EN: 0
; COMPUTE_PGM_RSRC2:TIDIG_COMP_CNT: 0
; COMPUTE_PGM_RSRC3_GFX90A:ACCUM_OFFSET: 0
; COMPUTE_PGM_RSRC3_GFX90A:TG_SPLIT: 0
	.section	.text._ZN7rocprim17ROCPRIM_400000_NS6detail17trampoline_kernelINS0_14default_configENS1_27scan_by_key_config_selectorIj11FixedVectorIiLj8EEEEZZNS1_16scan_by_key_implILNS1_25lookback_scan_determinismE0ELb0ES3_N6thrust23THRUST_200600_302600_NS6detail15normal_iteratorINSB_10device_ptrIjEEEENSD_INSE_IS6_EEEESI_S6_NSB_4plusIvEENSB_8equal_toIvEES6_EE10hipError_tPvRmT2_T3_T4_T5_mT6_T7_P12ihipStream_tbENKUlT_T0_E_clISt17integral_constantIbLb1EES12_IbLb0EEEEDaSY_SZ_EUlSY_E_NS1_11comp_targetILNS1_3genE5ELNS1_11target_archE942ELNS1_3gpuE9ELNS1_3repE0EEENS1_30default_config_static_selectorELNS0_4arch9wavefront6targetE1EEEvT1_,"axG",@progbits,_ZN7rocprim17ROCPRIM_400000_NS6detail17trampoline_kernelINS0_14default_configENS1_27scan_by_key_config_selectorIj11FixedVectorIiLj8EEEEZZNS1_16scan_by_key_implILNS1_25lookback_scan_determinismE0ELb0ES3_N6thrust23THRUST_200600_302600_NS6detail15normal_iteratorINSB_10device_ptrIjEEEENSD_INSE_IS6_EEEESI_S6_NSB_4plusIvEENSB_8equal_toIvEES6_EE10hipError_tPvRmT2_T3_T4_T5_mT6_T7_P12ihipStream_tbENKUlT_T0_E_clISt17integral_constantIbLb1EES12_IbLb0EEEEDaSY_SZ_EUlSY_E_NS1_11comp_targetILNS1_3genE5ELNS1_11target_archE942ELNS1_3gpuE9ELNS1_3repE0EEENS1_30default_config_static_selectorELNS0_4arch9wavefront6targetE1EEEvT1_,comdat
	.protected	_ZN7rocprim17ROCPRIM_400000_NS6detail17trampoline_kernelINS0_14default_configENS1_27scan_by_key_config_selectorIj11FixedVectorIiLj8EEEEZZNS1_16scan_by_key_implILNS1_25lookback_scan_determinismE0ELb0ES3_N6thrust23THRUST_200600_302600_NS6detail15normal_iteratorINSB_10device_ptrIjEEEENSD_INSE_IS6_EEEESI_S6_NSB_4plusIvEENSB_8equal_toIvEES6_EE10hipError_tPvRmT2_T3_T4_T5_mT6_T7_P12ihipStream_tbENKUlT_T0_E_clISt17integral_constantIbLb1EES12_IbLb0EEEEDaSY_SZ_EUlSY_E_NS1_11comp_targetILNS1_3genE5ELNS1_11target_archE942ELNS1_3gpuE9ELNS1_3repE0EEENS1_30default_config_static_selectorELNS0_4arch9wavefront6targetE1EEEvT1_ ; -- Begin function _ZN7rocprim17ROCPRIM_400000_NS6detail17trampoline_kernelINS0_14default_configENS1_27scan_by_key_config_selectorIj11FixedVectorIiLj8EEEEZZNS1_16scan_by_key_implILNS1_25lookback_scan_determinismE0ELb0ES3_N6thrust23THRUST_200600_302600_NS6detail15normal_iteratorINSB_10device_ptrIjEEEENSD_INSE_IS6_EEEESI_S6_NSB_4plusIvEENSB_8equal_toIvEES6_EE10hipError_tPvRmT2_T3_T4_T5_mT6_T7_P12ihipStream_tbENKUlT_T0_E_clISt17integral_constantIbLb1EES12_IbLb0EEEEDaSY_SZ_EUlSY_E_NS1_11comp_targetILNS1_3genE5ELNS1_11target_archE942ELNS1_3gpuE9ELNS1_3repE0EEENS1_30default_config_static_selectorELNS0_4arch9wavefront6targetE1EEEvT1_
	.globl	_ZN7rocprim17ROCPRIM_400000_NS6detail17trampoline_kernelINS0_14default_configENS1_27scan_by_key_config_selectorIj11FixedVectorIiLj8EEEEZZNS1_16scan_by_key_implILNS1_25lookback_scan_determinismE0ELb0ES3_N6thrust23THRUST_200600_302600_NS6detail15normal_iteratorINSB_10device_ptrIjEEEENSD_INSE_IS6_EEEESI_S6_NSB_4plusIvEENSB_8equal_toIvEES6_EE10hipError_tPvRmT2_T3_T4_T5_mT6_T7_P12ihipStream_tbENKUlT_T0_E_clISt17integral_constantIbLb1EES12_IbLb0EEEEDaSY_SZ_EUlSY_E_NS1_11comp_targetILNS1_3genE5ELNS1_11target_archE942ELNS1_3gpuE9ELNS1_3repE0EEENS1_30default_config_static_selectorELNS0_4arch9wavefront6targetE1EEEvT1_
	.p2align	8
	.type	_ZN7rocprim17ROCPRIM_400000_NS6detail17trampoline_kernelINS0_14default_configENS1_27scan_by_key_config_selectorIj11FixedVectorIiLj8EEEEZZNS1_16scan_by_key_implILNS1_25lookback_scan_determinismE0ELb0ES3_N6thrust23THRUST_200600_302600_NS6detail15normal_iteratorINSB_10device_ptrIjEEEENSD_INSE_IS6_EEEESI_S6_NSB_4plusIvEENSB_8equal_toIvEES6_EE10hipError_tPvRmT2_T3_T4_T5_mT6_T7_P12ihipStream_tbENKUlT_T0_E_clISt17integral_constantIbLb1EES12_IbLb0EEEEDaSY_SZ_EUlSY_E_NS1_11comp_targetILNS1_3genE5ELNS1_11target_archE942ELNS1_3gpuE9ELNS1_3repE0EEENS1_30default_config_static_selectorELNS0_4arch9wavefront6targetE1EEEvT1_,@function
_ZN7rocprim17ROCPRIM_400000_NS6detail17trampoline_kernelINS0_14default_configENS1_27scan_by_key_config_selectorIj11FixedVectorIiLj8EEEEZZNS1_16scan_by_key_implILNS1_25lookback_scan_determinismE0ELb0ES3_N6thrust23THRUST_200600_302600_NS6detail15normal_iteratorINSB_10device_ptrIjEEEENSD_INSE_IS6_EEEESI_S6_NSB_4plusIvEENSB_8equal_toIvEES6_EE10hipError_tPvRmT2_T3_T4_T5_mT6_T7_P12ihipStream_tbENKUlT_T0_E_clISt17integral_constantIbLb1EES12_IbLb0EEEEDaSY_SZ_EUlSY_E_NS1_11comp_targetILNS1_3genE5ELNS1_11target_archE942ELNS1_3gpuE9ELNS1_3repE0EEENS1_30default_config_static_selectorELNS0_4arch9wavefront6targetE1EEEvT1_: ; @_ZN7rocprim17ROCPRIM_400000_NS6detail17trampoline_kernelINS0_14default_configENS1_27scan_by_key_config_selectorIj11FixedVectorIiLj8EEEEZZNS1_16scan_by_key_implILNS1_25lookback_scan_determinismE0ELb0ES3_N6thrust23THRUST_200600_302600_NS6detail15normal_iteratorINSB_10device_ptrIjEEEENSD_INSE_IS6_EEEESI_S6_NSB_4plusIvEENSB_8equal_toIvEES6_EE10hipError_tPvRmT2_T3_T4_T5_mT6_T7_P12ihipStream_tbENKUlT_T0_E_clISt17integral_constantIbLb1EES12_IbLb0EEEEDaSY_SZ_EUlSY_E_NS1_11comp_targetILNS1_3genE5ELNS1_11target_archE942ELNS1_3gpuE9ELNS1_3repE0EEENS1_30default_config_static_selectorELNS0_4arch9wavefront6targetE1EEEvT1_
; %bb.0:
	.section	.rodata,"a",@progbits
	.p2align	6, 0x0
	.amdhsa_kernel _ZN7rocprim17ROCPRIM_400000_NS6detail17trampoline_kernelINS0_14default_configENS1_27scan_by_key_config_selectorIj11FixedVectorIiLj8EEEEZZNS1_16scan_by_key_implILNS1_25lookback_scan_determinismE0ELb0ES3_N6thrust23THRUST_200600_302600_NS6detail15normal_iteratorINSB_10device_ptrIjEEEENSD_INSE_IS6_EEEESI_S6_NSB_4plusIvEENSB_8equal_toIvEES6_EE10hipError_tPvRmT2_T3_T4_T5_mT6_T7_P12ihipStream_tbENKUlT_T0_E_clISt17integral_constantIbLb1EES12_IbLb0EEEEDaSY_SZ_EUlSY_E_NS1_11comp_targetILNS1_3genE5ELNS1_11target_archE942ELNS1_3gpuE9ELNS1_3repE0EEENS1_30default_config_static_selectorELNS0_4arch9wavefront6targetE1EEEvT1_
		.amdhsa_group_segment_fixed_size 0
		.amdhsa_private_segment_fixed_size 0
		.amdhsa_kernarg_size 160
		.amdhsa_user_sgpr_count 6
		.amdhsa_user_sgpr_private_segment_buffer 1
		.amdhsa_user_sgpr_dispatch_ptr 0
		.amdhsa_user_sgpr_queue_ptr 0
		.amdhsa_user_sgpr_kernarg_segment_ptr 1
		.amdhsa_user_sgpr_dispatch_id 0
		.amdhsa_user_sgpr_flat_scratch_init 0
		.amdhsa_user_sgpr_kernarg_preload_length 0
		.amdhsa_user_sgpr_kernarg_preload_offset 0
		.amdhsa_user_sgpr_private_segment_size 0
		.amdhsa_uses_dynamic_stack 0
		.amdhsa_system_sgpr_private_segment_wavefront_offset 0
		.amdhsa_system_sgpr_workgroup_id_x 1
		.amdhsa_system_sgpr_workgroup_id_y 0
		.amdhsa_system_sgpr_workgroup_id_z 0
		.amdhsa_system_sgpr_workgroup_info 0
		.amdhsa_system_vgpr_workitem_id 0
		.amdhsa_next_free_vgpr 1
		.amdhsa_next_free_sgpr 0
		.amdhsa_accum_offset 4
		.amdhsa_reserve_vcc 0
		.amdhsa_reserve_flat_scratch 0
		.amdhsa_float_round_mode_32 0
		.amdhsa_float_round_mode_16_64 0
		.amdhsa_float_denorm_mode_32 3
		.amdhsa_float_denorm_mode_16_64 3
		.amdhsa_dx10_clamp 1
		.amdhsa_ieee_mode 1
		.amdhsa_fp16_overflow 0
		.amdhsa_tg_split 0
		.amdhsa_exception_fp_ieee_invalid_op 0
		.amdhsa_exception_fp_denorm_src 0
		.amdhsa_exception_fp_ieee_div_zero 0
		.amdhsa_exception_fp_ieee_overflow 0
		.amdhsa_exception_fp_ieee_underflow 0
		.amdhsa_exception_fp_ieee_inexact 0
		.amdhsa_exception_int_div_zero 0
	.end_amdhsa_kernel
	.section	.text._ZN7rocprim17ROCPRIM_400000_NS6detail17trampoline_kernelINS0_14default_configENS1_27scan_by_key_config_selectorIj11FixedVectorIiLj8EEEEZZNS1_16scan_by_key_implILNS1_25lookback_scan_determinismE0ELb0ES3_N6thrust23THRUST_200600_302600_NS6detail15normal_iteratorINSB_10device_ptrIjEEEENSD_INSE_IS6_EEEESI_S6_NSB_4plusIvEENSB_8equal_toIvEES6_EE10hipError_tPvRmT2_T3_T4_T5_mT6_T7_P12ihipStream_tbENKUlT_T0_E_clISt17integral_constantIbLb1EES12_IbLb0EEEEDaSY_SZ_EUlSY_E_NS1_11comp_targetILNS1_3genE5ELNS1_11target_archE942ELNS1_3gpuE9ELNS1_3repE0EEENS1_30default_config_static_selectorELNS0_4arch9wavefront6targetE1EEEvT1_,"axG",@progbits,_ZN7rocprim17ROCPRIM_400000_NS6detail17trampoline_kernelINS0_14default_configENS1_27scan_by_key_config_selectorIj11FixedVectorIiLj8EEEEZZNS1_16scan_by_key_implILNS1_25lookback_scan_determinismE0ELb0ES3_N6thrust23THRUST_200600_302600_NS6detail15normal_iteratorINSB_10device_ptrIjEEEENSD_INSE_IS6_EEEESI_S6_NSB_4plusIvEENSB_8equal_toIvEES6_EE10hipError_tPvRmT2_T3_T4_T5_mT6_T7_P12ihipStream_tbENKUlT_T0_E_clISt17integral_constantIbLb1EES12_IbLb0EEEEDaSY_SZ_EUlSY_E_NS1_11comp_targetILNS1_3genE5ELNS1_11target_archE942ELNS1_3gpuE9ELNS1_3repE0EEENS1_30default_config_static_selectorELNS0_4arch9wavefront6targetE1EEEvT1_,comdat
.Lfunc_end2139:
	.size	_ZN7rocprim17ROCPRIM_400000_NS6detail17trampoline_kernelINS0_14default_configENS1_27scan_by_key_config_selectorIj11FixedVectorIiLj8EEEEZZNS1_16scan_by_key_implILNS1_25lookback_scan_determinismE0ELb0ES3_N6thrust23THRUST_200600_302600_NS6detail15normal_iteratorINSB_10device_ptrIjEEEENSD_INSE_IS6_EEEESI_S6_NSB_4plusIvEENSB_8equal_toIvEES6_EE10hipError_tPvRmT2_T3_T4_T5_mT6_T7_P12ihipStream_tbENKUlT_T0_E_clISt17integral_constantIbLb1EES12_IbLb0EEEEDaSY_SZ_EUlSY_E_NS1_11comp_targetILNS1_3genE5ELNS1_11target_archE942ELNS1_3gpuE9ELNS1_3repE0EEENS1_30default_config_static_selectorELNS0_4arch9wavefront6targetE1EEEvT1_, .Lfunc_end2139-_ZN7rocprim17ROCPRIM_400000_NS6detail17trampoline_kernelINS0_14default_configENS1_27scan_by_key_config_selectorIj11FixedVectorIiLj8EEEEZZNS1_16scan_by_key_implILNS1_25lookback_scan_determinismE0ELb0ES3_N6thrust23THRUST_200600_302600_NS6detail15normal_iteratorINSB_10device_ptrIjEEEENSD_INSE_IS6_EEEESI_S6_NSB_4plusIvEENSB_8equal_toIvEES6_EE10hipError_tPvRmT2_T3_T4_T5_mT6_T7_P12ihipStream_tbENKUlT_T0_E_clISt17integral_constantIbLb1EES12_IbLb0EEEEDaSY_SZ_EUlSY_E_NS1_11comp_targetILNS1_3genE5ELNS1_11target_archE942ELNS1_3gpuE9ELNS1_3repE0EEENS1_30default_config_static_selectorELNS0_4arch9wavefront6targetE1EEEvT1_
                                        ; -- End function
	.section	.AMDGPU.csdata,"",@progbits
; Kernel info:
; codeLenInByte = 0
; NumSgprs: 4
; NumVgprs: 0
; NumAgprs: 0
; TotalNumVgprs: 0
; ScratchSize: 0
; MemoryBound: 0
; FloatMode: 240
; IeeeMode: 1
; LDSByteSize: 0 bytes/workgroup (compile time only)
; SGPRBlocks: 0
; VGPRBlocks: 0
; NumSGPRsForWavesPerEU: 4
; NumVGPRsForWavesPerEU: 1
; AccumOffset: 4
; Occupancy: 8
; WaveLimiterHint : 0
; COMPUTE_PGM_RSRC2:SCRATCH_EN: 0
; COMPUTE_PGM_RSRC2:USER_SGPR: 6
; COMPUTE_PGM_RSRC2:TRAP_HANDLER: 0
; COMPUTE_PGM_RSRC2:TGID_X_EN: 1
; COMPUTE_PGM_RSRC2:TGID_Y_EN: 0
; COMPUTE_PGM_RSRC2:TGID_Z_EN: 0
; COMPUTE_PGM_RSRC2:TIDIG_COMP_CNT: 0
; COMPUTE_PGM_RSRC3_GFX90A:ACCUM_OFFSET: 0
; COMPUTE_PGM_RSRC3_GFX90A:TG_SPLIT: 0
	.section	.text._ZN7rocprim17ROCPRIM_400000_NS6detail17trampoline_kernelINS0_14default_configENS1_27scan_by_key_config_selectorIj11FixedVectorIiLj8EEEEZZNS1_16scan_by_key_implILNS1_25lookback_scan_determinismE0ELb0ES3_N6thrust23THRUST_200600_302600_NS6detail15normal_iteratorINSB_10device_ptrIjEEEENSD_INSE_IS6_EEEESI_S6_NSB_4plusIvEENSB_8equal_toIvEES6_EE10hipError_tPvRmT2_T3_T4_T5_mT6_T7_P12ihipStream_tbENKUlT_T0_E_clISt17integral_constantIbLb1EES12_IbLb0EEEEDaSY_SZ_EUlSY_E_NS1_11comp_targetILNS1_3genE4ELNS1_11target_archE910ELNS1_3gpuE8ELNS1_3repE0EEENS1_30default_config_static_selectorELNS0_4arch9wavefront6targetE1EEEvT1_,"axG",@progbits,_ZN7rocprim17ROCPRIM_400000_NS6detail17trampoline_kernelINS0_14default_configENS1_27scan_by_key_config_selectorIj11FixedVectorIiLj8EEEEZZNS1_16scan_by_key_implILNS1_25lookback_scan_determinismE0ELb0ES3_N6thrust23THRUST_200600_302600_NS6detail15normal_iteratorINSB_10device_ptrIjEEEENSD_INSE_IS6_EEEESI_S6_NSB_4plusIvEENSB_8equal_toIvEES6_EE10hipError_tPvRmT2_T3_T4_T5_mT6_T7_P12ihipStream_tbENKUlT_T0_E_clISt17integral_constantIbLb1EES12_IbLb0EEEEDaSY_SZ_EUlSY_E_NS1_11comp_targetILNS1_3genE4ELNS1_11target_archE910ELNS1_3gpuE8ELNS1_3repE0EEENS1_30default_config_static_selectorELNS0_4arch9wavefront6targetE1EEEvT1_,comdat
	.protected	_ZN7rocprim17ROCPRIM_400000_NS6detail17trampoline_kernelINS0_14default_configENS1_27scan_by_key_config_selectorIj11FixedVectorIiLj8EEEEZZNS1_16scan_by_key_implILNS1_25lookback_scan_determinismE0ELb0ES3_N6thrust23THRUST_200600_302600_NS6detail15normal_iteratorINSB_10device_ptrIjEEEENSD_INSE_IS6_EEEESI_S6_NSB_4plusIvEENSB_8equal_toIvEES6_EE10hipError_tPvRmT2_T3_T4_T5_mT6_T7_P12ihipStream_tbENKUlT_T0_E_clISt17integral_constantIbLb1EES12_IbLb0EEEEDaSY_SZ_EUlSY_E_NS1_11comp_targetILNS1_3genE4ELNS1_11target_archE910ELNS1_3gpuE8ELNS1_3repE0EEENS1_30default_config_static_selectorELNS0_4arch9wavefront6targetE1EEEvT1_ ; -- Begin function _ZN7rocprim17ROCPRIM_400000_NS6detail17trampoline_kernelINS0_14default_configENS1_27scan_by_key_config_selectorIj11FixedVectorIiLj8EEEEZZNS1_16scan_by_key_implILNS1_25lookback_scan_determinismE0ELb0ES3_N6thrust23THRUST_200600_302600_NS6detail15normal_iteratorINSB_10device_ptrIjEEEENSD_INSE_IS6_EEEESI_S6_NSB_4plusIvEENSB_8equal_toIvEES6_EE10hipError_tPvRmT2_T3_T4_T5_mT6_T7_P12ihipStream_tbENKUlT_T0_E_clISt17integral_constantIbLb1EES12_IbLb0EEEEDaSY_SZ_EUlSY_E_NS1_11comp_targetILNS1_3genE4ELNS1_11target_archE910ELNS1_3gpuE8ELNS1_3repE0EEENS1_30default_config_static_selectorELNS0_4arch9wavefront6targetE1EEEvT1_
	.globl	_ZN7rocprim17ROCPRIM_400000_NS6detail17trampoline_kernelINS0_14default_configENS1_27scan_by_key_config_selectorIj11FixedVectorIiLj8EEEEZZNS1_16scan_by_key_implILNS1_25lookback_scan_determinismE0ELb0ES3_N6thrust23THRUST_200600_302600_NS6detail15normal_iteratorINSB_10device_ptrIjEEEENSD_INSE_IS6_EEEESI_S6_NSB_4plusIvEENSB_8equal_toIvEES6_EE10hipError_tPvRmT2_T3_T4_T5_mT6_T7_P12ihipStream_tbENKUlT_T0_E_clISt17integral_constantIbLb1EES12_IbLb0EEEEDaSY_SZ_EUlSY_E_NS1_11comp_targetILNS1_3genE4ELNS1_11target_archE910ELNS1_3gpuE8ELNS1_3repE0EEENS1_30default_config_static_selectorELNS0_4arch9wavefront6targetE1EEEvT1_
	.p2align	8
	.type	_ZN7rocprim17ROCPRIM_400000_NS6detail17trampoline_kernelINS0_14default_configENS1_27scan_by_key_config_selectorIj11FixedVectorIiLj8EEEEZZNS1_16scan_by_key_implILNS1_25lookback_scan_determinismE0ELb0ES3_N6thrust23THRUST_200600_302600_NS6detail15normal_iteratorINSB_10device_ptrIjEEEENSD_INSE_IS6_EEEESI_S6_NSB_4plusIvEENSB_8equal_toIvEES6_EE10hipError_tPvRmT2_T3_T4_T5_mT6_T7_P12ihipStream_tbENKUlT_T0_E_clISt17integral_constantIbLb1EES12_IbLb0EEEEDaSY_SZ_EUlSY_E_NS1_11comp_targetILNS1_3genE4ELNS1_11target_archE910ELNS1_3gpuE8ELNS1_3repE0EEENS1_30default_config_static_selectorELNS0_4arch9wavefront6targetE1EEEvT1_,@function
_ZN7rocprim17ROCPRIM_400000_NS6detail17trampoline_kernelINS0_14default_configENS1_27scan_by_key_config_selectorIj11FixedVectorIiLj8EEEEZZNS1_16scan_by_key_implILNS1_25lookback_scan_determinismE0ELb0ES3_N6thrust23THRUST_200600_302600_NS6detail15normal_iteratorINSB_10device_ptrIjEEEENSD_INSE_IS6_EEEESI_S6_NSB_4plusIvEENSB_8equal_toIvEES6_EE10hipError_tPvRmT2_T3_T4_T5_mT6_T7_P12ihipStream_tbENKUlT_T0_E_clISt17integral_constantIbLb1EES12_IbLb0EEEEDaSY_SZ_EUlSY_E_NS1_11comp_targetILNS1_3genE4ELNS1_11target_archE910ELNS1_3gpuE8ELNS1_3repE0EEENS1_30default_config_static_selectorELNS0_4arch9wavefront6targetE1EEEvT1_: ; @_ZN7rocprim17ROCPRIM_400000_NS6detail17trampoline_kernelINS0_14default_configENS1_27scan_by_key_config_selectorIj11FixedVectorIiLj8EEEEZZNS1_16scan_by_key_implILNS1_25lookback_scan_determinismE0ELb0ES3_N6thrust23THRUST_200600_302600_NS6detail15normal_iteratorINSB_10device_ptrIjEEEENSD_INSE_IS6_EEEESI_S6_NSB_4plusIvEENSB_8equal_toIvEES6_EE10hipError_tPvRmT2_T3_T4_T5_mT6_T7_P12ihipStream_tbENKUlT_T0_E_clISt17integral_constantIbLb1EES12_IbLb0EEEEDaSY_SZ_EUlSY_E_NS1_11comp_targetILNS1_3genE4ELNS1_11target_archE910ELNS1_3gpuE8ELNS1_3repE0EEENS1_30default_config_static_selectorELNS0_4arch9wavefront6targetE1EEEvT1_
; %bb.0:
	s_load_dwordx2 s[44:45], s[4:5], 0x4
	s_load_dwordx8 s[24:31], s[6:7], 0x0
	s_load_dwordx8 s[16:23], s[6:7], 0x48
	s_load_dwordx2 s[34:35], s[6:7], 0x68
	s_nop 0
	s_load_dword s4, s[6:7], 0x70
	s_load_dwordx8 s[36:43], s[6:7], 0x78
	s_add_u32 flat_scratch_lo, s8, s11
	s_addc_u32 flat_scratch_hi, s9, 0
	s_add_u32 s0, s0, s11
	v_and_b32_e32 v8, 0x3ff, v0
	v_bfe_u32 v15, v0, 20, 10
	v_bfe_u32 v0, v0, 10, 10
	s_addc_u32 s1, s1, 0
	s_waitcnt lgkmcnt(0)
	v_mul_u32_u24_e32 v16, s45, v0
	v_mov_b32_e32 v0, 0
	s_mov_b32 s5, 0
	v_mov_b32_e32 v1, 0x120
	s_barrier
	buffer_store_dword v0, off, s[0:3], 0 offset:316
	buffer_store_dword v0, off, s[0:3], 0 offset:312
	;; [unrolled: 1-line block ×9, first 2 shown]
.LBB2140_1:                             ; =>This Inner Loop Header: Depth=1
	v_add_u32_e32 v2, s5, v1
	s_add_i32 s5, s5, 8
	s_cmp_lg_u32 s5, 32
	buffer_store_dword v0, v2, s[0:3], 0 offen offset:4
	buffer_store_dword v0, v2, s[0:3], 0 offen
	s_cbranch_scc1 .LBB2140_1
; %bb.2:
	v_mov_b32_e32 v1, 0x120
	v_mov_b32_e32 v0, 0
	s_mov_b32 s5, 36
	v_add_u32_e32 v11, 36, v1
	buffer_store_byte v0, off, s[0:3], 0 offset:320
	buffer_store_dword v0, off, s[0:3], 0 offset:336
	buffer_store_dword v0, off, s[0:3], 0 offset:332
	buffer_store_dword v0, off, s[0:3], 0 offset:328
	buffer_store_dword v0, off, s[0:3], 0 offset:324
	buffer_store_dword v0, off, s[0:3], 0 offset:352
	buffer_store_dword v0, off, s[0:3], 0 offset:348
	buffer_store_dword v0, off, s[0:3], 0 offset:344
	buffer_store_dword v0, off, s[0:3], 0 offset:340
	buffer_store_dword v0, off, s[0:3], 0 offset:356
.LBB2140_3:                             ; =>This Inner Loop Header: Depth=1
	v_add_u32_e32 v2, s5, v1
	s_add_i32 s5, s5, 8
	s_cmpk_lg_i32 s5, 0x44
	buffer_store_dword v0, v2, s[0:3], 0 offen offset:4
	buffer_store_dword v0, v2, s[0:3], 0 offen
	s_cbranch_scc1 .LBB2140_3
; %bb.4:
	v_mov_b32_e32 v1, 0x120
	v_mov_b32_e32 v0, 0
	s_movk_i32 s5, 0x48
	v_add_u32_e32 v14, 0x48, v1
	buffer_store_byte v0, off, s[0:3], 0 offset:356
	buffer_store_dword v0, off, s[0:3], 0 offset:372
	buffer_store_dword v0, off, s[0:3], 0 offset:368
	;; [unrolled: 1-line block ×9, first 2 shown]
.LBB2140_5:                             ; =>This Inner Loop Header: Depth=1
	v_add_u32_e32 v2, s5, v1
	s_add_i32 s5, s5, 8
	s_cmpk_lg_i32 s5, 0x68
	buffer_store_dword v0, v2, s[0:3], 0 offen offset:4
	buffer_store_dword v0, v2, s[0:3], 0 offen
	s_cbranch_scc1 .LBB2140_5
; %bb.6:
	s_mov_b32 s5, 0
	v_mov_b32_e32 v0, 0
	v_mov_b32_e32 v1, 0x90
	buffer_store_byte v0, off, s[0:3], 0 offset:392
.LBB2140_7:                             ; =>This Inner Loop Header: Depth=1
	v_add_u32_e32 v2, s5, v1
	s_add_i32 s5, s5, 8
	s_cmp_lg_u32 s5, 32
	buffer_store_dword v0, v2, s[0:3], 0 offen offset:4
	buffer_store_dword v0, v2, s[0:3], 0 offen
	s_cbranch_scc1 .LBB2140_7
; %bb.8:
	s_mov_b32 s5, 32
	v_mov_b32_e32 v0, 0x90
	v_mov_b32_e32 v1, 0
.LBB2140_9:                             ; =>This Inner Loop Header: Depth=1
	v_add_u32_e32 v2, s5, v0
	s_add_i32 s5, s5, 8
	s_cmp_lg_u32 s5, 64
	buffer_store_dword v1, v2, s[0:3], 0 offen offset:4
	buffer_store_dword v1, v2, s[0:3], 0 offen
	s_cbranch_scc1 .LBB2140_9
; %bb.10:
	s_mov_b32 s5, 64
	v_mov_b32_e32 v0, 0x90
	v_mov_b32_e32 v1, 0
.LBB2140_11:                            ; =>This Inner Loop Header: Depth=1
	v_add_u32_e32 v2, s5, v0
	s_add_i32 s5, s5, 8
	s_cmpk_lg_i32 s5, 0x60
	buffer_store_dword v1, v2, s[0:3], 0 offen offset:4
	buffer_store_dword v1, v2, s[0:3], 0 offen
	s_cbranch_scc1 .LBB2140_11
; %bb.12:
	s_cmp_lg_u64 s[40:41], 0
	s_mul_i32 s5, s35, s4
	s_mul_hi_u32 s7, s34, s4
	s_cselect_b64 s[40:41], -1, 0
	s_add_i32 s8, s7, s5
	s_lshl_b64 s[14:15], s[26:27], 5
	s_add_u32 s11, s28, s14
	s_mul_i32 s9, s34, s4
	s_addc_u32 s23, s29, s15
	s_lshl_b64 s[4:5], s[26:27], 2
	s_mul_i32 s6, s10, 0x300
	s_add_u32 s24, s24, s4
	s_mov_b32 s7, 0
	s_addc_u32 s25, s25, s5
	s_lshl_b64 s[4:5], s[6:7], 2
	s_add_u32 s26, s24, s4
	s_addc_u32 s27, s25, s5
	s_lshl_b64 s[24:25], s[6:7], 5
	s_add_u32 s11, s11, s24
	s_addc_u32 s33, s23, s25
	s_add_u32 s28, s9, s10
	s_addc_u32 s29, s8, 0
	s_add_u32 s6, s36, -1
	v_mov_b32_e32 v0, 0x90
	s_addc_u32 s7, s37, -1
	v_add_u32_e32 v2, 64, v0
	v_add_u32_e32 v3, 32, v0
	v_pk_mov_b32 v[0:1], s[6:7], s[6:7] op_sel:[0,1]
	v_cmp_ge_u64_e64 s[4:5], s[28:29], v[0:1]
	s_mov_b64 s[12:13], 0
	s_mov_b64 s[8:9], -1
	s_and_b64 vcc, exec, s[4:5]
	s_mul_i32 s23, s6, 0xfffffd00
                                        ; implicit-def: $sgpr6_sgpr7
	s_cbranch_vccnz .LBB2140_299
; %bb.13:
	s_and_b64 vcc, exec, s[8:9]
	s_cbranch_vccnz .LBB2140_322
.LBB2140_14:
	s_and_saveexec_b64 s[8:9], s[12:13]
	s_cbranch_execz .LBB2140_16
.LBB2140_15:
	buffer_load_dword v0, v2, s[0:3], 0 offen offset:12
	buffer_load_dword v1, v2, s[0:3], 0 offen offset:8
	;; [unrolled: 1-line block ×3, first 2 shown]
	buffer_load_dword v4, v2, s[0:3], 0 offen
	buffer_load_dword v5, v2, s[0:3], 0 offen offset:28
	buffer_load_dword v6, v2, s[0:3], 0 offen offset:24
	;; [unrolled: 1-line block ×4, first 2 shown]
                                        ; kill: killed $vgpr2
	v_cndmask_b32_e64 v2, 0, 1, s[6:7]
	s_waitcnt vmcnt(7)
	buffer_store_dword v0, v14, s[0:3], 0 offen offset:12
	s_waitcnt vmcnt(7)
	buffer_store_dword v1, v14, s[0:3], 0 offen offset:8
	;; [unrolled: 2-line block ×3, first 2 shown]
	s_waitcnt vmcnt(7)
	buffer_store_dword v4, v14, s[0:3], 0 offen
	s_waitcnt vmcnt(7)
	buffer_store_dword v5, v14, s[0:3], 0 offen offset:28
	s_waitcnt vmcnt(7)
	buffer_store_dword v6, v14, s[0:3], 0 offen offset:24
	;; [unrolled: 2-line block ×4, first 2 shown]
	buffer_store_byte v2, off, s[0:3], 0 offset:392
.LBB2140_16:
	s_or_b64 exec, exec, s[8:9]
	s_cmp_lg_u32 s10, 0
	s_mov_b32 s6, 0
	s_barrier
	s_cbranch_scc0 .LBB2140_330
; %bb.17:
	v_mov_b32_e32 v0, 0
	v_mov_b32_e32 v1, 0x90
	buffer_store_dword v0, off, s[0:3], 0 offset:176
.LBB2140_18:                            ; =>This Inner Loop Header: Depth=1
	v_add_u32_e32 v2, s6, v1
	s_add_i32 s6, s6, 8
	s_cmp_lg_u32 s6, 32
	buffer_store_dword v0, v2, s[0:3], 0 offen offset:4
	buffer_store_dword v0, v2, s[0:3], 0 offen
	s_cbranch_scc1 .LBB2140_18
; %bb.19:
	buffer_load_dword v0, off, s[0:3], 0 offset:300
	buffer_load_dword v1, off, s[0:3], 0 offset:296
	;; [unrolled: 1-line block ×8, first 2 shown]
	buffer_load_ubyte v10, off, s[0:3], 0 offset:356
	buffer_load_ubyte v9, off, s[0:3], 0 offset:320
	s_waitcnt vmcnt(9)
	buffer_store_dword v0, off, s[0:3], 0 offset:156
	s_waitcnt vmcnt(9)
	buffer_store_dword v1, off, s[0:3], 0 offset:152
	;; [unrolled: 2-line block ×8, first 2 shown]
	s_waitcnt vmcnt(9)
	v_cmp_ne_u16_e32 vcc, 0, v10
                                        ; implicit-def: $vgpr6_vgpr7
                                        ; implicit-def: $vgpr4_vgpr5
                                        ; implicit-def: $vgpr2_vgpr3
                                        ; implicit-def: $vgpr0_vgpr1
	s_and_saveexec_b64 s[6:7], vcc
	s_xor_b64 s[6:7], exec, s[6:7]
	s_cbranch_execz .LBB2140_21
; %bb.20:
	buffer_load_dword v0, off, s[0:3], 0 offset:324
	buffer_load_dword v1, off, s[0:3], 0 offset:328
	;; [unrolled: 1-line block ×8, first 2 shown]
.LBB2140_21:
	s_andn2_saveexec_b64 s[6:7], s[6:7]
	s_cbranch_execz .LBB2140_27
; %bb.22:
	s_mov_b32 s8, 0
	s_waitcnt vmcnt(7)
	v_mov_b32_e32 v0, 0
	s_waitcnt vmcnt(6)
	v_mov_b32_e32 v1, 0
	s_waitcnt vmcnt(0)
.LBB2140_23:                            ; =>This Inner Loop Header: Depth=1
	v_add_u32_e32 v2, s8, v0
	s_add_i32 s8, s8, 8
	s_cmp_lg_u32 s8, 32
	buffer_store_dword v1, v2, s[0:3], 0 offen offset:4
	buffer_store_dword v1, v2, s[0:3], 0 offen
	s_cbranch_scc1 .LBB2140_23
; %bb.24:
	s_mov_b32 s8, 0
	v_mov_b32_e32 v0, 0x90
	v_mov_b32_e32 v1, 0x120
	;; [unrolled: 1-line block ×3, first 2 shown]
.LBB2140_25:                            ; =>This Inner Loop Header: Depth=1
	v_add_u32_e32 v3, s8, v0
	v_add_u32_e32 v4, s8, v1
	buffer_load_dword v5, v3, s[0:3], 0 offen offset:4
	buffer_load_dword v6, v4, s[0:3], 0 offen offset:36
	buffer_load_dword v7, v3, s[0:3], 0 offen
	buffer_load_dword v12, v4, s[0:3], 0 offen offset:40
	v_add_u32_e32 v3, s8, v2
	s_add_i32 s8, s8, 8
	s_cmp_lg_u32 s8, 32
	s_waitcnt vmcnt(1)
	v_add_u32_e32 v4, v6, v7
	s_waitcnt vmcnt(0)
	v_add_u32_e32 v5, v12, v5
	buffer_store_dword v5, v3, s[0:3], 0 offen offset:4
	buffer_store_dword v4, v3, s[0:3], 0 offen
	s_cbranch_scc1 .LBB2140_25
; %bb.26:
	buffer_load_dword v0, off, s[0:3], 0
	buffer_load_dword v1, off, s[0:3], 0 offset:4
	buffer_load_dword v2, off, s[0:3], 0 offset:8
	;; [unrolled: 1-line block ×7, first 2 shown]
.LBB2140_27:
	s_or_b64 exec, exec, s[6:7]
	buffer_load_ubyte v12, off, s[0:3], 0 offset:392
	s_waitcnt vmcnt(7)
	buffer_store_dword v1, off, s[0:3], 0 offset:148
	buffer_store_dword v0, off, s[0:3], 0 offset:144
	s_waitcnt vmcnt(7)
	buffer_store_dword v3, off, s[0:3], 0 offset:156
	buffer_store_dword v2, off, s[0:3], 0 offset:152
	;; [unrolled: 3-line block ×4, first 2 shown]
                                        ; implicit-def: $vgpr6_vgpr7
                                        ; implicit-def: $vgpr4_vgpr5
                                        ; implicit-def: $vgpr2_vgpr3
                                        ; implicit-def: $vgpr0_vgpr1
	s_waitcnt vmcnt(8)
	v_cmp_ne_u16_e32 vcc, 0, v12
	s_and_saveexec_b64 s[6:7], vcc
	s_xor_b64 s[6:7], exec, s[6:7]
	s_cbranch_execz .LBB2140_29
; %bb.28:
	buffer_load_dword v0, off, s[0:3], 0 offset:360
	buffer_load_dword v1, off, s[0:3], 0 offset:364
	;; [unrolled: 1-line block ×8, first 2 shown]
.LBB2140_29:
	s_andn2_saveexec_b64 s[6:7], s[6:7]
	s_cbranch_execz .LBB2140_35
; %bb.30:
	s_mov_b32 s8, 0
	s_waitcnt vmcnt(7)
	v_mov_b32_e32 v0, 0
	s_waitcnt vmcnt(6)
	v_mov_b32_e32 v1, 0
	s_waitcnt vmcnt(0)
.LBB2140_31:                            ; =>This Inner Loop Header: Depth=1
	v_add_u32_e32 v2, s8, v0
	s_add_i32 s8, s8, 8
	s_cmp_lg_u32 s8, 32
	buffer_store_dword v1, v2, s[0:3], 0 offen offset:4
	buffer_store_dword v1, v2, s[0:3], 0 offen
	s_cbranch_scc1 .LBB2140_31
; %bb.32:
	s_mov_b32 s8, 0
	v_mov_b32_e32 v0, 0x90
	v_mov_b32_e32 v1, 0x120
	;; [unrolled: 1-line block ×3, first 2 shown]
.LBB2140_33:                            ; =>This Inner Loop Header: Depth=1
	v_add_u32_e32 v3, s8, v0
	v_add_u32_e32 v4, s8, v1
	buffer_load_dword v5, v3, s[0:3], 0 offen offset:4
	buffer_load_dword v6, v4, s[0:3], 0 offen offset:72
	buffer_load_dword v7, v3, s[0:3], 0 offen
	buffer_load_dword v13, v4, s[0:3], 0 offen offset:76
	v_add_u32_e32 v3, s8, v2
	s_add_i32 s8, s8, 8
	s_cmp_lg_u32 s8, 32
	s_waitcnt vmcnt(1)
	v_add_u32_e32 v4, v6, v7
	s_waitcnt vmcnt(0)
	v_add_u32_e32 v5, v13, v5
	buffer_store_dword v5, v3, s[0:3], 0 offen offset:4
	buffer_store_dword v4, v3, s[0:3], 0 offen
	s_cbranch_scc1 .LBB2140_33
; %bb.34:
	buffer_load_dword v0, off, s[0:3], 0
	buffer_load_dword v1, off, s[0:3], 0 offset:4
	buffer_load_dword v2, off, s[0:3], 0 offset:8
	;; [unrolled: 1-line block ×7, first 2 shown]
.LBB2140_35:
	s_or_b64 exec, exec, s[6:7]
	buffer_load_ushort v13, off, s[0:3], 0 offset:177
	buffer_load_sbyte v17, off, s[0:3], 0 offset:179
	v_or_b32_e32 v10, v12, v10
	s_waitcnt vmcnt(9)
	v_mov_b32_dpp v18, v0 row_shr:1 row_mask:0xf bank_mask:0xf
	v_or_b32_e32 v10, v10, v9
	v_mbcnt_lo_u32_b32 v12, -1, 0
	s_waitcnt vmcnt(8)
	buffer_store_dword v1, off, s[0:3], 0 offset:244
	buffer_store_dword v0, off, s[0:3], 0 offset:240
	s_waitcnt vmcnt(8)
	buffer_store_dword v3, off, s[0:3], 0 offset:252
	buffer_store_dword v2, off, s[0:3], 0 offset:248
	s_waitcnt vmcnt(8)
	buffer_store_dword v5, off, s[0:3], 0 offset:260
	buffer_store_dword v4, off, s[0:3], 0 offset:256
	s_waitcnt vmcnt(8)
	buffer_store_dword v7, off, s[0:3], 0 offset:268
	buffer_store_dword v6, off, s[0:3], 0 offset:264
	v_mov_b32_dpp v19, v1 row_shr:1 row_mask:0xf bank_mask:0xf
	v_mov_b32_dpp v20, v2 row_shr:1 row_mask:0xf bank_mask:0xf
	;; [unrolled: 1-line block ×7, first 2 shown]
	buffer_store_dword v18, off, s[0:3], 0 offset:144
	buffer_store_dword v19, off, s[0:3], 0 offset:148
	;; [unrolled: 1-line block ×8, first 2 shown]
	v_and_b32_e32 v10, 1, v10
	v_mbcnt_hi_u32_b32 v9, -1, v12
	v_and_b32_e32 v12, 15, v9
	v_cmp_ne_u32_e32 vcc, 0, v12
	s_waitcnt vmcnt(17)
	v_lshrrev_b32_e32 v18, 8, v13
	v_lshlrev_b16_e32 v13, 8, v13
	s_waitcnt vmcnt(16)
	v_lshlrev_b16_e32 v17, 8, v17
	v_or_b32_e32 v10, v10, v13
	v_or_b32_sdwa v13, v18, v17 dst_sel:WORD_1 dst_unused:UNUSED_PAD src0_sel:BYTE_0 src1_sel:DWORD
	v_or_b32_sdwa v13, v10, v13 dst_sel:DWORD dst_unused:UNUSED_PAD src0_sel:WORD_0 src1_sel:DWORD
	buffer_store_dword v13, off, s[0:3], 0 offset:272
	s_nop 0
	v_mov_b32_dpp v17, v13 row_shr:1 row_mask:0xf bank_mask:0xf
	buffer_store_dword v17, off, s[0:3], 0 offset:176
	s_and_saveexec_b64 s[6:7], vcc
	s_cbranch_execz .LBB2140_43
; %bb.36:
	v_mov_b32_e32 v18, 0
	v_cmp_eq_u16_sdwa s[12:13], v10, v18 src0_sel:BYTE_0 src1_sel:DWORD
	s_and_saveexec_b64 s[8:9], s[12:13]
	s_cbranch_execz .LBB2140_42
; %bb.37:
	s_mov_b32 s11, 0
	v_mov_b32_e32 v0, 0
.LBB2140_38:                            ; =>This Inner Loop Header: Depth=1
	v_add_u32_e32 v1, s11, v0
	s_add_i32 s11, s11, 8
	s_cmp_lg_u32 s11, 32
	buffer_store_dword v18, v1, s[0:3], 0 offen offset:4
	buffer_store_dword v18, v1, s[0:3], 0 offen
	s_cbranch_scc1 .LBB2140_38
; %bb.39:
	s_mov_b32 s11, 0
	v_mov_b32_e32 v0, 0x90
	v_mov_b32_e32 v1, 0xf0
	v_mov_b32_e32 v2, 0
.LBB2140_40:                            ; =>This Inner Loop Header: Depth=1
	v_add_u32_e32 v3, s11, v0
	v_add_u32_e32 v4, s11, v1
	buffer_load_dword v5, v3, s[0:3], 0 offen offset:4
	buffer_load_dword v6, v4, s[0:3], 0 offen
	buffer_load_dword v7, v3, s[0:3], 0 offen
	buffer_load_dword v10, v4, s[0:3], 0 offen offset:4
	v_add_u32_e32 v3, s11, v2
	s_add_i32 s11, s11, 8
	s_cmp_lg_u32 s11, 32
	s_waitcnt vmcnt(1)
	v_add_u32_e32 v4, v6, v7
	s_waitcnt vmcnt(0)
	v_add_u32_e32 v5, v10, v5
	buffer_store_dword v5, v3, s[0:3], 0 offen offset:4
	buffer_store_dword v4, v3, s[0:3], 0 offen
	s_cbranch_scc1 .LBB2140_40
; %bb.41:
	buffer_load_dword v0, off, s[0:3], 0
	buffer_load_dword v1, off, s[0:3], 0 offset:4
	buffer_load_dword v2, off, s[0:3], 0 offset:8
	;; [unrolled: 1-line block ×7, first 2 shown]
.LBB2140_42:
	s_or_b64 exec, exec, s[8:9]
	v_or_b32_e32 v10, v17, v13
	v_and_b32_e32 v10, 1, v10
	buffer_store_byte v10, off, s[0:3], 0 offset:272
	buffer_load_dword v13, off, s[0:3], 0 offset:272
	s_waitcnt vmcnt(8)
	buffer_store_dword v1, off, s[0:3], 0 offset:244
	buffer_store_dword v0, off, s[0:3], 0 offset:240
	s_waitcnt vmcnt(8)
	buffer_store_dword v3, off, s[0:3], 0 offset:252
	buffer_store_dword v2, off, s[0:3], 0 offset:248
	;; [unrolled: 3-line block ×4, first 2 shown]
	s_waitcnt vmcnt(8)
	v_mov_b32_e32 v10, v13
.LBB2140_43:
	s_or_b64 exec, exec, s[6:7]
	v_mov_b32_dpp v18, v0 row_shr:2 row_mask:0xf bank_mask:0xf
	v_mov_b32_dpp v17, v13 row_shr:2 row_mask:0xf bank_mask:0xf
	v_cmp_lt_u32_e32 vcc, 1, v12
	v_mov_b32_dpp v19, v1 row_shr:2 row_mask:0xf bank_mask:0xf
	v_mov_b32_dpp v20, v2 row_shr:2 row_mask:0xf bank_mask:0xf
	v_mov_b32_dpp v21, v3 row_shr:2 row_mask:0xf bank_mask:0xf
	v_mov_b32_dpp v22, v4 row_shr:2 row_mask:0xf bank_mask:0xf
	v_mov_b32_dpp v23, v5 row_shr:2 row_mask:0xf bank_mask:0xf
	v_mov_b32_dpp v24, v6 row_shr:2 row_mask:0xf bank_mask:0xf
	v_mov_b32_dpp v25, v7 row_shr:2 row_mask:0xf bank_mask:0xf
	buffer_store_dword v18, off, s[0:3], 0 offset:144
	buffer_store_dword v19, off, s[0:3], 0 offset:148
	buffer_store_dword v20, off, s[0:3], 0 offset:152
	buffer_store_dword v21, off, s[0:3], 0 offset:156
	buffer_store_dword v22, off, s[0:3], 0 offset:160
	buffer_store_dword v23, off, s[0:3], 0 offset:164
	buffer_store_dword v24, off, s[0:3], 0 offset:168
	buffer_store_dword v25, off, s[0:3], 0 offset:172
	buffer_store_dword v17, off, s[0:3], 0 offset:176
	s_and_saveexec_b64 s[8:9], vcc
	s_cbranch_execz .LBB2140_51
; %bb.44:
	v_mov_b32_e32 v13, 0
	s_mov_b32 s11, 0
	v_cmp_eq_u16_sdwa s[12:13], v10, v13 src0_sel:BYTE_0 src1_sel:DWORD
	s_and_saveexec_b64 s[6:7], s[12:13]
	s_cbranch_execz .LBB2140_50
; %bb.45:
	v_mov_b32_e32 v0, 0
.LBB2140_46:                            ; =>This Inner Loop Header: Depth=1
	v_add_u32_e32 v1, s11, v0
	s_add_i32 s11, s11, 8
	s_cmp_lg_u32 s11, 32
	buffer_store_dword v13, v1, s[0:3], 0 offen offset:4
	buffer_store_dword v13, v1, s[0:3], 0 offen
	s_cbranch_scc1 .LBB2140_46
; %bb.47:
	s_mov_b32 s11, 0
	v_mov_b32_e32 v0, 0x90
	v_mov_b32_e32 v1, 0xf0
	;; [unrolled: 1-line block ×3, first 2 shown]
.LBB2140_48:                            ; =>This Inner Loop Header: Depth=1
	v_add_u32_e32 v3, s11, v0
	v_add_u32_e32 v4, s11, v1
	buffer_load_dword v5, v3, s[0:3], 0 offen offset:4
	buffer_load_dword v6, v4, s[0:3], 0 offen
	buffer_load_dword v7, v3, s[0:3], 0 offen
	buffer_load_dword v13, v4, s[0:3], 0 offen offset:4
	v_add_u32_e32 v3, s11, v2
	s_add_i32 s11, s11, 8
	s_cmp_lg_u32 s11, 32
	s_waitcnt vmcnt(1)
	v_add_u32_e32 v4, v6, v7
	s_waitcnt vmcnt(0)
	v_add_u32_e32 v5, v13, v5
	buffer_store_dword v5, v3, s[0:3], 0 offen offset:4
	buffer_store_dword v4, v3, s[0:3], 0 offen
	s_cbranch_scc1 .LBB2140_48
; %bb.49:
	buffer_load_dword v0, off, s[0:3], 0
	buffer_load_dword v1, off, s[0:3], 0 offset:4
	buffer_load_dword v2, off, s[0:3], 0 offset:8
	;; [unrolled: 1-line block ×7, first 2 shown]
.LBB2140_50:
	s_or_b64 exec, exec, s[6:7]
	v_and_b32_e32 v10, 1, v10
	v_cmp_eq_u32_e32 vcc, 1, v10
	v_and_b32_e32 v10, 1, v17
	v_cmp_eq_u32_e64 s[6:7], 1, v10
	s_or_b64 s[6:7], vcc, s[6:7]
	v_cndmask_b32_e64 v10, 0, 1, s[6:7]
	buffer_store_byte v10, off, s[0:3], 0 offset:272
	buffer_load_dword v13, off, s[0:3], 0 offset:272
	s_waitcnt vmcnt(8)
	buffer_store_dword v1, off, s[0:3], 0 offset:244
	buffer_store_dword v0, off, s[0:3], 0 offset:240
	s_waitcnt vmcnt(8)
	buffer_store_dword v3, off, s[0:3], 0 offset:252
	buffer_store_dword v2, off, s[0:3], 0 offset:248
	;; [unrolled: 3-line block ×4, first 2 shown]
	s_waitcnt vmcnt(8)
	v_mov_b32_e32 v10, v13
.LBB2140_51:
	s_or_b64 exec, exec, s[8:9]
	v_mov_b32_dpp v18, v0 row_shr:4 row_mask:0xf bank_mask:0xf
	v_mov_b32_dpp v17, v13 row_shr:4 row_mask:0xf bank_mask:0xf
	v_cmp_lt_u32_e32 vcc, 3, v12
	v_mov_b32_dpp v19, v1 row_shr:4 row_mask:0xf bank_mask:0xf
	v_mov_b32_dpp v20, v2 row_shr:4 row_mask:0xf bank_mask:0xf
	;; [unrolled: 1-line block ×7, first 2 shown]
	buffer_store_dword v18, off, s[0:3], 0 offset:144
	buffer_store_dword v19, off, s[0:3], 0 offset:148
	;; [unrolled: 1-line block ×9, first 2 shown]
	s_and_saveexec_b64 s[8:9], vcc
	s_cbranch_execz .LBB2140_59
; %bb.52:
	v_mov_b32_e32 v13, 0
	s_mov_b32 s11, 0
	v_cmp_eq_u16_sdwa s[12:13], v10, v13 src0_sel:BYTE_0 src1_sel:DWORD
	s_and_saveexec_b64 s[6:7], s[12:13]
	s_cbranch_execz .LBB2140_58
; %bb.53:
	v_mov_b32_e32 v0, 0
.LBB2140_54:                            ; =>This Inner Loop Header: Depth=1
	v_add_u32_e32 v1, s11, v0
	s_add_i32 s11, s11, 8
	s_cmp_lg_u32 s11, 32
	buffer_store_dword v13, v1, s[0:3], 0 offen offset:4
	buffer_store_dword v13, v1, s[0:3], 0 offen
	s_cbranch_scc1 .LBB2140_54
; %bb.55:
	s_mov_b32 s11, 0
	v_mov_b32_e32 v0, 0x90
	v_mov_b32_e32 v1, 0xf0
	;; [unrolled: 1-line block ×3, first 2 shown]
.LBB2140_56:                            ; =>This Inner Loop Header: Depth=1
	v_add_u32_e32 v3, s11, v0
	v_add_u32_e32 v4, s11, v1
	buffer_load_dword v5, v3, s[0:3], 0 offen offset:4
	buffer_load_dword v6, v4, s[0:3], 0 offen
	buffer_load_dword v7, v3, s[0:3], 0 offen
	buffer_load_dword v13, v4, s[0:3], 0 offen offset:4
	v_add_u32_e32 v3, s11, v2
	s_add_i32 s11, s11, 8
	s_cmp_lg_u32 s11, 32
	s_waitcnt vmcnt(1)
	v_add_u32_e32 v4, v6, v7
	s_waitcnt vmcnt(0)
	v_add_u32_e32 v5, v13, v5
	buffer_store_dword v5, v3, s[0:3], 0 offen offset:4
	buffer_store_dword v4, v3, s[0:3], 0 offen
	s_cbranch_scc1 .LBB2140_56
; %bb.57:
	buffer_load_dword v0, off, s[0:3], 0
	buffer_load_dword v1, off, s[0:3], 0 offset:4
	buffer_load_dword v2, off, s[0:3], 0 offset:8
	;; [unrolled: 1-line block ×7, first 2 shown]
.LBB2140_58:
	s_or_b64 exec, exec, s[6:7]
	v_and_b32_e32 v10, 1, v10
	v_cmp_eq_u32_e32 vcc, 1, v10
	v_and_b32_e32 v10, 1, v17
	v_cmp_eq_u32_e64 s[6:7], 1, v10
	s_or_b64 s[6:7], vcc, s[6:7]
	v_cndmask_b32_e64 v10, 0, 1, s[6:7]
	buffer_store_byte v10, off, s[0:3], 0 offset:272
	buffer_load_dword v13, off, s[0:3], 0 offset:272
	s_waitcnt vmcnt(8)
	buffer_store_dword v1, off, s[0:3], 0 offset:244
	buffer_store_dword v0, off, s[0:3], 0 offset:240
	s_waitcnt vmcnt(8)
	buffer_store_dword v3, off, s[0:3], 0 offset:252
	buffer_store_dword v2, off, s[0:3], 0 offset:248
	;; [unrolled: 3-line block ×4, first 2 shown]
	s_waitcnt vmcnt(8)
	v_mov_b32_e32 v10, v13
.LBB2140_59:
	s_or_b64 exec, exec, s[8:9]
	v_mov_b32_dpp v18, v0 row_shr:8 row_mask:0xf bank_mask:0xf
	v_mov_b32_dpp v17, v13 row_shr:8 row_mask:0xf bank_mask:0xf
	v_cmp_lt_u32_e32 vcc, 7, v12
	v_mov_b32_dpp v19, v1 row_shr:8 row_mask:0xf bank_mask:0xf
	v_mov_b32_dpp v20, v2 row_shr:8 row_mask:0xf bank_mask:0xf
	;; [unrolled: 1-line block ×7, first 2 shown]
	buffer_store_dword v18, off, s[0:3], 0 offset:144
	buffer_store_dword v19, off, s[0:3], 0 offset:148
	;; [unrolled: 1-line block ×9, first 2 shown]
	s_and_saveexec_b64 s[8:9], vcc
	s_cbranch_execz .LBB2140_67
; %bb.60:
	v_mov_b32_e32 v12, 0
	s_mov_b32 s11, 0
	v_cmp_eq_u16_sdwa s[12:13], v10, v12 src0_sel:BYTE_0 src1_sel:DWORD
	s_and_saveexec_b64 s[6:7], s[12:13]
	s_cbranch_execz .LBB2140_66
; %bb.61:
	v_mov_b32_e32 v0, 0
.LBB2140_62:                            ; =>This Inner Loop Header: Depth=1
	v_add_u32_e32 v1, s11, v0
	s_add_i32 s11, s11, 8
	s_cmp_lg_u32 s11, 32
	buffer_store_dword v12, v1, s[0:3], 0 offen offset:4
	buffer_store_dword v12, v1, s[0:3], 0 offen
	s_cbranch_scc1 .LBB2140_62
; %bb.63:
	s_mov_b32 s11, 0
	v_mov_b32_e32 v0, 0x90
	v_mov_b32_e32 v1, 0xf0
	;; [unrolled: 1-line block ×3, first 2 shown]
.LBB2140_64:                            ; =>This Inner Loop Header: Depth=1
	v_add_u32_e32 v3, s11, v0
	v_add_u32_e32 v4, s11, v1
	buffer_load_dword v5, v3, s[0:3], 0 offen offset:4
	buffer_load_dword v6, v4, s[0:3], 0 offen
	buffer_load_dword v7, v3, s[0:3], 0 offen
	buffer_load_dword v12, v4, s[0:3], 0 offen offset:4
	v_add_u32_e32 v3, s11, v2
	s_add_i32 s11, s11, 8
	s_cmp_lg_u32 s11, 32
	s_waitcnt vmcnt(1)
	v_add_u32_e32 v4, v6, v7
	s_waitcnt vmcnt(0)
	v_add_u32_e32 v5, v12, v5
	buffer_store_dword v5, v3, s[0:3], 0 offen offset:4
	buffer_store_dword v4, v3, s[0:3], 0 offen
	s_cbranch_scc1 .LBB2140_64
; %bb.65:
	buffer_load_dword v0, off, s[0:3], 0
	buffer_load_dword v1, off, s[0:3], 0 offset:4
	buffer_load_dword v2, off, s[0:3], 0 offset:8
	;; [unrolled: 1-line block ×7, first 2 shown]
.LBB2140_66:
	s_or_b64 exec, exec, s[6:7]
	v_and_b32_e32 v10, 1, v10
	v_cmp_eq_u32_e32 vcc, 1, v10
	v_and_b32_e32 v10, 1, v17
	v_cmp_eq_u32_e64 s[6:7], 1, v10
	s_or_b64 s[6:7], vcc, s[6:7]
	v_cndmask_b32_e64 v10, 0, 1, s[6:7]
	buffer_store_byte v10, off, s[0:3], 0 offset:272
	buffer_load_dword v13, off, s[0:3], 0 offset:272
	s_waitcnt vmcnt(8)
	buffer_store_dword v1, off, s[0:3], 0 offset:244
	buffer_store_dword v0, off, s[0:3], 0 offset:240
	s_waitcnt vmcnt(8)
	buffer_store_dword v3, off, s[0:3], 0 offset:252
	buffer_store_dword v2, off, s[0:3], 0 offset:248
	;; [unrolled: 3-line block ×4, first 2 shown]
	s_waitcnt vmcnt(8)
	v_mov_b32_e32 v10, v13
.LBB2140_67:
	s_or_b64 exec, exec, s[8:9]
	v_mov_b32_dpp v17, v0 row_bcast:15 row_mask:0xf bank_mask:0xf
	v_mov_b32_dpp v18, v1 row_bcast:15 row_mask:0xf bank_mask:0xf
	;; [unrolled: 1-line block ×9, first 2 shown]
	buffer_store_dword v17, off, s[0:3], 0 offset:144
	buffer_store_dword v18, off, s[0:3], 0 offset:148
	;; [unrolled: 1-line block ×9, first 2 shown]
	v_and_b32_e32 v17, 16, v9
	v_cmp_ne_u32_e32 vcc, 0, v17
	s_and_saveexec_b64 s[8:9], vcc
	s_cbranch_execz .LBB2140_75
; %bb.68:
	v_mov_b32_e32 v13, 0
	s_mov_b32 s11, 0
	v_cmp_eq_u16_sdwa s[12:13], v10, v13 src0_sel:BYTE_0 src1_sel:DWORD
	s_and_saveexec_b64 s[6:7], s[12:13]
	s_cbranch_execz .LBB2140_74
; %bb.69:
	v_mov_b32_e32 v0, 0
.LBB2140_70:                            ; =>This Inner Loop Header: Depth=1
	v_add_u32_e32 v1, s11, v0
	s_add_i32 s11, s11, 8
	s_cmp_lg_u32 s11, 32
	buffer_store_dword v13, v1, s[0:3], 0 offen offset:4
	buffer_store_dword v13, v1, s[0:3], 0 offen
	s_cbranch_scc1 .LBB2140_70
; %bb.71:
	s_mov_b32 s11, 0
	v_mov_b32_e32 v0, 0x90
	v_mov_b32_e32 v1, 0xf0
	;; [unrolled: 1-line block ×3, first 2 shown]
.LBB2140_72:                            ; =>This Inner Loop Header: Depth=1
	v_add_u32_e32 v3, s11, v0
	v_add_u32_e32 v4, s11, v1
	buffer_load_dword v5, v3, s[0:3], 0 offen offset:4
	buffer_load_dword v6, v4, s[0:3], 0 offen
	buffer_load_dword v7, v3, s[0:3], 0 offen
	buffer_load_dword v13, v4, s[0:3], 0 offen offset:4
	v_add_u32_e32 v3, s11, v2
	s_add_i32 s11, s11, 8
	s_cmp_lg_u32 s11, 32
	s_waitcnt vmcnt(1)
	v_add_u32_e32 v4, v6, v7
	s_waitcnt vmcnt(0)
	v_add_u32_e32 v5, v13, v5
	buffer_store_dword v5, v3, s[0:3], 0 offen offset:4
	buffer_store_dword v4, v3, s[0:3], 0 offen
	s_cbranch_scc1 .LBB2140_72
; %bb.73:
	buffer_load_dword v0, off, s[0:3], 0
	buffer_load_dword v1, off, s[0:3], 0 offset:4
	buffer_load_dword v2, off, s[0:3], 0 offset:8
	;; [unrolled: 1-line block ×7, first 2 shown]
.LBB2140_74:
	s_or_b64 exec, exec, s[6:7]
	v_and_b32_e32 v10, 1, v10
	v_cmp_eq_u32_e32 vcc, 1, v10
	v_and_b32_e32 v10, 1, v12
	v_cmp_eq_u32_e64 s[6:7], 1, v10
	s_or_b64 s[6:7], vcc, s[6:7]
	v_cndmask_b32_e64 v10, 0, 1, s[6:7]
	buffer_store_byte v10, off, s[0:3], 0 offset:272
	buffer_load_dword v13, off, s[0:3], 0 offset:272
	s_waitcnt vmcnt(8)
	buffer_store_dword v1, off, s[0:3], 0 offset:244
	buffer_store_dword v0, off, s[0:3], 0 offset:240
	s_waitcnt vmcnt(8)
	buffer_store_dword v3, off, s[0:3], 0 offset:252
	buffer_store_dword v2, off, s[0:3], 0 offset:248
	;; [unrolled: 3-line block ×4, first 2 shown]
	s_waitcnt vmcnt(8)
	v_mov_b32_e32 v10, v13
.LBB2140_75:
	s_or_b64 exec, exec, s[8:9]
	v_mov_b32_dpp v17, v0 row_bcast:31 row_mask:0xf bank_mask:0xf
	v_mov_b32_dpp v12, v13 row_bcast:31 row_mask:0xf bank_mask:0xf
	v_cmp_lt_u32_e32 vcc, 31, v9
	v_mov_b32_dpp v18, v1 row_bcast:31 row_mask:0xf bank_mask:0xf
	v_mov_b32_dpp v19, v2 row_bcast:31 row_mask:0xf bank_mask:0xf
	;; [unrolled: 1-line block ×7, first 2 shown]
	buffer_store_dword v17, off, s[0:3], 0 offset:144
	buffer_store_dword v18, off, s[0:3], 0 offset:148
	buffer_store_dword v19, off, s[0:3], 0 offset:152
	buffer_store_dword v20, off, s[0:3], 0 offset:156
	buffer_store_dword v21, off, s[0:3], 0 offset:160
	buffer_store_dword v22, off, s[0:3], 0 offset:164
	buffer_store_dword v23, off, s[0:3], 0 offset:168
	buffer_store_dword v24, off, s[0:3], 0 offset:172
	buffer_store_dword v12, off, s[0:3], 0 offset:176
	s_and_saveexec_b64 s[8:9], vcc
	s_cbranch_execz .LBB2140_83
; %bb.76:
	v_mov_b32_e32 v13, 0
	s_mov_b32 s11, 0
	v_cmp_eq_u16_sdwa s[12:13], v10, v13 src0_sel:BYTE_0 src1_sel:DWORD
	s_and_saveexec_b64 s[6:7], s[12:13]
	s_cbranch_execz .LBB2140_82
; %bb.77:
	v_mov_b32_e32 v0, 0
.LBB2140_78:                            ; =>This Inner Loop Header: Depth=1
	v_add_u32_e32 v1, s11, v0
	s_add_i32 s11, s11, 8
	s_cmp_lg_u32 s11, 32
	buffer_store_dword v13, v1, s[0:3], 0 offen offset:4
	buffer_store_dword v13, v1, s[0:3], 0 offen
	s_cbranch_scc1 .LBB2140_78
; %bb.79:
	s_mov_b32 s11, 0
	v_mov_b32_e32 v0, 0x90
	v_mov_b32_e32 v1, 0xf0
	;; [unrolled: 1-line block ×3, first 2 shown]
.LBB2140_80:                            ; =>This Inner Loop Header: Depth=1
	v_add_u32_e32 v3, s11, v0
	v_add_u32_e32 v4, s11, v1
	buffer_load_dword v5, v3, s[0:3], 0 offen offset:4
	buffer_load_dword v6, v4, s[0:3], 0 offen
	buffer_load_dword v7, v3, s[0:3], 0 offen
	buffer_load_dword v13, v4, s[0:3], 0 offen offset:4
	v_add_u32_e32 v3, s11, v2
	s_add_i32 s11, s11, 8
	s_cmp_lg_u32 s11, 32
	s_waitcnt vmcnt(1)
	v_add_u32_e32 v4, v6, v7
	s_waitcnt vmcnt(0)
	v_add_u32_e32 v5, v13, v5
	buffer_store_dword v5, v3, s[0:3], 0 offen offset:4
	buffer_store_dword v4, v3, s[0:3], 0 offen
	s_cbranch_scc1 .LBB2140_80
; %bb.81:
	buffer_load_dword v0, off, s[0:3], 0
	buffer_load_dword v1, off, s[0:3], 0 offset:4
	buffer_load_dword v2, off, s[0:3], 0 offset:8
	;; [unrolled: 1-line block ×7, first 2 shown]
.LBB2140_82:
	s_or_b64 exec, exec, s[6:7]
	v_and_b32_e32 v10, 1, v10
	v_cmp_eq_u32_e32 vcc, 1, v10
	v_and_b32_e32 v10, 1, v12
	v_cmp_eq_u32_e64 s[6:7], 1, v10
	s_or_b64 s[6:7], vcc, s[6:7]
	v_cndmask_b32_e64 v10, 0, 1, s[6:7]
	s_waitcnt vmcnt(6)
	buffer_store_dword v1, off, s[0:3], 0 offset:244
	buffer_store_dword v0, off, s[0:3], 0 offset:240
	s_waitcnt vmcnt(6)
	buffer_store_dword v3, off, s[0:3], 0 offset:252
	buffer_store_dword v2, off, s[0:3], 0 offset:248
	;; [unrolled: 3-line block ×4, first 2 shown]
	buffer_store_byte v10, off, s[0:3], 0 offset:272
.LBB2140_83:
	s_or_b64 exec, exec, s[8:9]
	v_or_b32_e32 v13, 63, v8
	v_lshrrev_b32_e32 v12, 6, v8
	v_cmp_eq_u32_e32 vcc, v13, v8
	s_and_saveexec_b64 s[6:7], vcc
	s_cbranch_execz .LBB2140_85
; %bb.84:
	v_mul_u32_u24_e32 v13, 36, v12
	ds_write2_b32 v13, v0, v1 offset1:1
	ds_write2_b32 v13, v2, v3 offset0:2 offset1:3
	ds_write2_b32 v13, v4, v5 offset0:4 offset1:5
	;; [unrolled: 1-line block ×3, first 2 shown]
	ds_write_b8 v13, v10 offset:32
.LBB2140_85:
	s_or_b64 exec, exec, s[6:7]
	v_cmp_gt_u32_e32 vcc, 4, v8
	s_waitcnt lgkmcnt(0)
	s_barrier
	s_and_saveexec_b64 s[8:9], vcc
	s_cbranch_execz .LBB2140_103
; %bb.86:
	v_mul_u32_u24_e32 v10, 36, v8
	ds_read_b32 v13, v10 offset:32
	ds_read2_b32 v[0:1], v10 offset0:6 offset1:7
	ds_read2_b32 v[2:3], v10 offset0:4 offset1:5
	;; [unrolled: 1-line block ×3, first 2 shown]
	ds_read2_b32 v[6:7], v10 offset1:1
	v_and_b32_e32 v17, 3, v9
	s_waitcnt lgkmcnt(4)
	v_mov_b32_dpp v18, v13 row_shr:1 row_mask:0xf bank_mask:0xf
	v_cmp_ne_u32_e32 vcc, 0, v17
	buffer_store_dword v13, off, s[0:3], 0 offset:32
	s_waitcnt lgkmcnt(0)
	v_mov_b32_dpp v19, v6 row_shr:1 row_mask:0xf bank_mask:0xf
	buffer_store_dword v1, off, s[0:3], 0 offset:28
	buffer_store_dword v0, off, s[0:3], 0 offset:24
	;; [unrolled: 1-line block ×7, first 2 shown]
	buffer_store_dword v6, off, s[0:3], 0
	v_mov_b32_dpp v20, v7 row_shr:1 row_mask:0xf bank_mask:0xf
	v_mov_b32_dpp v21, v4 row_shr:1 row_mask:0xf bank_mask:0xf
	;; [unrolled: 1-line block ×7, first 2 shown]
	buffer_store_dword v19, off, s[0:3], 0 offset:144
	buffer_store_dword v20, off, s[0:3], 0 offset:148
	;; [unrolled: 1-line block ×9, first 2 shown]
	s_and_saveexec_b64 s[6:7], vcc
	s_cbranch_execz .LBB2140_94
; %bb.87:
	v_mov_b32_e32 v19, 0
	v_cmp_eq_u16_sdwa s[26:27], v13, v19 src0_sel:BYTE_0 src1_sel:DWORD
	s_and_saveexec_b64 s[12:13], s[26:27]
	s_cbranch_execz .LBB2140_93
; %bb.88:
	s_mov_b32 s11, 0
	v_mov_b32_e32 v0, 36
.LBB2140_89:                            ; =>This Inner Loop Header: Depth=1
	v_add_u32_e32 v1, s11, v0
	s_add_i32 s11, s11, 8
	s_cmp_lg_u32 s11, 32
	buffer_store_dword v19, v1, s[0:3], 0 offen offset:4
	buffer_store_dword v19, v1, s[0:3], 0 offen
	s_cbranch_scc1 .LBB2140_89
; %bb.90:
	s_mov_b32 s11, 0
	v_mov_b32_e32 v0, 0x90
	v_mov_b32_e32 v1, 0
	;; [unrolled: 1-line block ×3, first 2 shown]
.LBB2140_91:                            ; =>This Inner Loop Header: Depth=1
	v_add_u32_e32 v3, s11, v0
	v_add_u32_e32 v4, s11, v1
	buffer_load_dword v5, v3, s[0:3], 0 offen offset:4
	buffer_load_dword v6, v4, s[0:3], 0 offen
	buffer_load_dword v7, v3, s[0:3], 0 offen
	buffer_load_dword v19, v4, s[0:3], 0 offen offset:4
	v_add_u32_e32 v3, s11, v2
	s_add_i32 s11, s11, 8
	s_cmp_lg_u32 s11, 32
	s_waitcnt vmcnt(1)
	v_add_u32_e32 v4, v6, v7
	s_waitcnt vmcnt(0)
	v_add_u32_e32 v5, v19, v5
	buffer_store_dword v5, v3, s[0:3], 0 offen offset:4
	buffer_store_dword v4, v3, s[0:3], 0 offen
	s_cbranch_scc1 .LBB2140_91
; %bb.92:
	buffer_load_dword v6, off, s[0:3], 0 offset:36
	buffer_load_dword v7, off, s[0:3], 0 offset:40
	;; [unrolled: 1-line block ×8, first 2 shown]
.LBB2140_93:
	s_or_b64 exec, exec, s[12:13]
	v_or_b32_e32 v13, v18, v13
	v_and_b32_e32 v13, 1, v13
	buffer_store_byte v13, off, s[0:3], 0 offset:32
	buffer_load_dword v13, off, s[0:3], 0 offset:32
	s_waitcnt vmcnt(8)
	buffer_store_dword v7, off, s[0:3], 0 offset:4
	buffer_store_dword v6, off, s[0:3], 0
	s_waitcnt vmcnt(8)
	buffer_store_dword v5, off, s[0:3], 0 offset:12
	buffer_store_dword v4, off, s[0:3], 0 offset:8
	s_waitcnt vmcnt(8)
	buffer_store_dword v3, off, s[0:3], 0 offset:20
	buffer_store_dword v2, off, s[0:3], 0 offset:16
	s_waitcnt vmcnt(8)
	buffer_store_dword v1, off, s[0:3], 0 offset:28
	buffer_store_dword v0, off, s[0:3], 0 offset:24
.LBB2140_94:
	s_or_b64 exec, exec, s[6:7]
	v_mov_b32_dpp v19, v6 row_shr:2 row_mask:0xf bank_mask:0xf
	s_waitcnt vmcnt(8)
	v_mov_b32_dpp v18, v13 row_shr:2 row_mask:0xf bank_mask:0xf
	v_cmp_lt_u32_e32 vcc, 1, v17
	v_mov_b32_dpp v20, v7 row_shr:2 row_mask:0xf bank_mask:0xf
	v_mov_b32_dpp v21, v4 row_shr:2 row_mask:0xf bank_mask:0xf
	;; [unrolled: 1-line block ×7, first 2 shown]
	buffer_store_dword v19, off, s[0:3], 0 offset:144
	buffer_store_dword v20, off, s[0:3], 0 offset:148
	;; [unrolled: 1-line block ×9, first 2 shown]
	s_and_saveexec_b64 s[12:13], vcc
	s_cbranch_execz .LBB2140_102
; %bb.95:
	v_mov_b32_e32 v17, 0
	s_mov_b32 s11, 0
	v_cmp_eq_u16_sdwa s[26:27], v13, v17 src0_sel:BYTE_0 src1_sel:DWORD
	s_and_saveexec_b64 s[6:7], s[26:27]
	s_cbranch_execz .LBB2140_101
; %bb.96:
	v_mov_b32_e32 v0, 36
.LBB2140_97:                            ; =>This Inner Loop Header: Depth=1
	v_add_u32_e32 v1, s11, v0
	s_add_i32 s11, s11, 8
	s_cmp_lg_u32 s11, 32
	buffer_store_dword v17, v1, s[0:3], 0 offen offset:4
	buffer_store_dword v17, v1, s[0:3], 0 offen
	s_cbranch_scc1 .LBB2140_97
; %bb.98:
	s_mov_b32 s11, 0
	v_mov_b32_e32 v0, 0x90
	v_mov_b32_e32 v1, 0
	;; [unrolled: 1-line block ×3, first 2 shown]
.LBB2140_99:                            ; =>This Inner Loop Header: Depth=1
	v_add_u32_e32 v3, s11, v0
	v_add_u32_e32 v4, s11, v1
	buffer_load_dword v5, v3, s[0:3], 0 offen offset:4
	buffer_load_dword v6, v4, s[0:3], 0 offen
	buffer_load_dword v7, v3, s[0:3], 0 offen
	buffer_load_dword v17, v4, s[0:3], 0 offen offset:4
	v_add_u32_e32 v3, s11, v2
	s_add_i32 s11, s11, 8
	s_cmp_lg_u32 s11, 32
	s_waitcnt vmcnt(1)
	v_add_u32_e32 v4, v6, v7
	s_waitcnt vmcnt(0)
	v_add_u32_e32 v5, v17, v5
	buffer_store_dword v5, v3, s[0:3], 0 offen offset:4
	buffer_store_dword v4, v3, s[0:3], 0 offen
	s_cbranch_scc1 .LBB2140_99
; %bb.100:
	buffer_load_dword v6, off, s[0:3], 0 offset:36
	buffer_load_dword v7, off, s[0:3], 0 offset:40
	;; [unrolled: 1-line block ×8, first 2 shown]
.LBB2140_101:
	s_or_b64 exec, exec, s[6:7]
	v_and_b32_e32 v13, 1, v13
	v_cmp_eq_u32_e32 vcc, 1, v13
	v_and_b32_e32 v13, 1, v18
	v_cmp_eq_u32_e64 s[6:7], 1, v13
	s_or_b64 s[6:7], vcc, s[6:7]
	v_cndmask_b32_e64 v13, 0, 1, s[6:7]
	s_waitcnt vmcnt(6)
	buffer_store_dword v7, off, s[0:3], 0 offset:4
	buffer_store_dword v6, off, s[0:3], 0
	s_waitcnt vmcnt(6)
	buffer_store_dword v5, off, s[0:3], 0 offset:12
	buffer_store_dword v4, off, s[0:3], 0 offset:8
	s_waitcnt vmcnt(6)
	buffer_store_dword v3, off, s[0:3], 0 offset:20
	buffer_store_dword v2, off, s[0:3], 0 offset:16
	;; [unrolled: 3-line block ×3, first 2 shown]
.LBB2140_102:
	s_or_b64 exec, exec, s[12:13]
	buffer_load_dword v0, off, s[0:3], 0
	buffer_load_dword v1, off, s[0:3], 0 offset:4
	buffer_load_dword v2, off, s[0:3], 0 offset:8
	;; [unrolled: 1-line block ×7, first 2 shown]
	s_waitcnt vmcnt(4)
	ds_write2_b32 v10, v2, v3 offset0:2 offset1:3
	ds_write2_b32 v10, v0, v1 offset1:1
	s_waitcnt vmcnt(2)
	ds_write2_b32 v10, v4, v5 offset0:6 offset1:7
	s_waitcnt vmcnt(0)
	ds_write2_b32 v10, v6, v7 offset0:4 offset1:5
	ds_write_b8 v10, v13 offset:32
.LBB2140_103:
	s_or_b64 exec, exec, s[8:9]
	v_mov_b32_e32 v0, 0
	s_mov_b32 s6, 0
	v_mov_b32_e32 v1, 0x90
	s_waitcnt lgkmcnt(0)
	s_barrier
	buffer_store_dword v0, off, s[0:3], 0 offset:172
	buffer_store_dword v0, off, s[0:3], 0 offset:168
	;; [unrolled: 1-line block ×9, first 2 shown]
.LBB2140_104:                           ; =>This Inner Loop Header: Depth=1
	v_add_u32_e32 v2, s6, v1
	s_add_i32 s6, s6, 8
	s_cmp_lg_u32 s6, 32
	buffer_store_dword v0, v2, s[0:3], 0 offen offset:4
	buffer_store_dword v0, v2, s[0:3], 0 offen
	s_cbranch_scc1 .LBB2140_104
; %bb.105:
	v_cmp_gt_u32_e32 vcc, 64, v8
	v_cmp_lt_u32_e64 s[6:7], 63, v8
                                        ; implicit-def: $vgpr0_vgpr1
                                        ; implicit-def: $vgpr2_vgpr3
                                        ; implicit-def: $vgpr4_vgpr5
                                        ; implicit-def: $vgpr6_vgpr7
                                        ; implicit-def: $vgpr10
	s_and_saveexec_b64 s[8:9], s[6:7]
	s_xor_b64 s[8:9], exec, s[8:9]
	s_cbranch_execz .LBB2140_115
; %bb.106:
	buffer_load_ubyte v13, off, s[0:3], 0 offset:272
	v_not_b32_e32 v0, 35
	v_mad_u32_u24 v10, v12, 36, v0
	ds_read2_b32 v[0:1], v10 offset0:2 offset1:3
	ds_read2_b32 v[2:3], v10 offset0:4 offset1:5
	ds_read2_b32 v[4:5], v10 offset1:1
	ds_read2_b32 v[6:7], v10 offset0:6 offset1:7
	s_waitcnt lgkmcnt(3)
	buffer_store_dword v1, off, s[0:3], 0 offset:156
	buffer_store_dword v0, off, s[0:3], 0 offset:152
	s_waitcnt lgkmcnt(1)
	buffer_store_dword v5, off, s[0:3], 0 offset:148
	buffer_store_dword v4, off, s[0:3], 0 offset:144
	s_waitcnt lgkmcnt(0)
	buffer_store_dword v7, off, s[0:3], 0 offset:172
	ds_read_u8 v10, v10 offset:32
	buffer_store_dword v6, off, s[0:3], 0 offset:168
	buffer_store_dword v3, off, s[0:3], 0 offset:164
	;; [unrolled: 1-line block ×3, first 2 shown]
                                        ; implicit-def: $vgpr0_vgpr1
                                        ; implicit-def: $vgpr2_vgpr3
                                        ; implicit-def: $vgpr4_vgpr5
                                        ; implicit-def: $vgpr6_vgpr7
	s_waitcnt vmcnt(8)
	v_cmp_ne_u16_e64 s[6:7], 0, v13
	s_and_saveexec_b64 s[12:13], s[6:7]
	s_xor_b64 s[6:7], exec, s[12:13]
	s_cbranch_execz .LBB2140_108
; %bb.107:
	buffer_load_dword v0, off, s[0:3], 0 offset:240
	buffer_load_dword v1, off, s[0:3], 0 offset:244
	;; [unrolled: 1-line block ×8, first 2 shown]
.LBB2140_108:
	s_andn2_saveexec_b64 s[6:7], s[6:7]
	s_cbranch_execz .LBB2140_114
; %bb.109:
	s_mov_b32 s11, 0
	s_waitcnt vmcnt(7)
	v_mov_b32_e32 v0, 0
	s_waitcnt vmcnt(6)
	v_mov_b32_e32 v1, 0
	s_waitcnt vmcnt(0)
.LBB2140_110:                           ; =>This Inner Loop Header: Depth=1
	v_add_u32_e32 v2, s11, v0
	s_add_i32 s11, s11, 8
	s_cmp_lg_u32 s11, 32
	buffer_store_dword v1, v2, s[0:3], 0 offen offset:4
	buffer_store_dword v1, v2, s[0:3], 0 offen
	s_cbranch_scc1 .LBB2140_110
; %bb.111:
	s_mov_b32 s11, 0
	v_mov_b32_e32 v0, 0x90
	v_mov_b32_e32 v1, 0xf0
	;; [unrolled: 1-line block ×3, first 2 shown]
.LBB2140_112:                           ; =>This Inner Loop Header: Depth=1
	v_add_u32_e32 v3, s11, v0
	v_add_u32_e32 v4, s11, v1
	buffer_load_dword v5, v3, s[0:3], 0 offen offset:4
	buffer_load_dword v6, v4, s[0:3], 0 offen
	buffer_load_dword v7, v3, s[0:3], 0 offen
	buffer_load_dword v12, v4, s[0:3], 0 offen offset:4
	v_add_u32_e32 v3, s11, v2
	s_add_i32 s11, s11, 8
	s_cmp_lg_u32 s11, 32
	s_waitcnt vmcnt(1)
	v_add_u32_e32 v4, v6, v7
	s_waitcnt vmcnt(0)
	v_add_u32_e32 v5, v12, v5
	buffer_store_dword v5, v3, s[0:3], 0 offen offset:4
	buffer_store_dword v4, v3, s[0:3], 0 offen
	s_cbranch_scc1 .LBB2140_112
; %bb.113:
	buffer_load_dword v0, off, s[0:3], 0
	buffer_load_dword v1, off, s[0:3], 0 offset:4
	buffer_load_dword v2, off, s[0:3], 0 offset:8
	;; [unrolled: 1-line block ×7, first 2 shown]
.LBB2140_114:
	s_or_b64 exec, exec, s[6:7]
	s_waitcnt lgkmcnt(0)
	v_or_b32_e32 v12, v13, v10
	v_and_b32_e32 v12, 1, v12
	buffer_store_byte v12, off, s[0:3], 0 offset:272
.LBB2140_115:
	s_andn2_saveexec_b64 s[6:7], s[8:9]
	s_cbranch_execz .LBB2140_117
; %bb.116:
	buffer_load_dword v0, off, s[0:3], 0 offset:240
	buffer_load_dword v1, off, s[0:3], 0 offset:244
	;; [unrolled: 1-line block ×8, first 2 shown]
	v_mov_b32_e32 v10, 0
.LBB2140_117:
	s_or_b64 exec, exec, s[6:7]
	buffer_load_dword v12, off, s[0:3], 0 offset:272
	v_add_u32_e32 v13, -1, v9
	v_and_b32_e32 v17, 64, v9
	v_cmp_lt_i32_e64 s[8:9], v13, v17
	v_cndmask_b32_e64 v13, v13, v9, s[8:9]
	v_lshlrev_b32_e32 v13, 2, v13
	s_waitcnt vmcnt(8)
	ds_bpermute_b32 v0, v13, v0
	s_waitcnt vmcnt(7)
	ds_bpermute_b32 v1, v13, v1
	;; [unrolled: 2-line block ×5, first 2 shown]
	s_waitcnt lgkmcnt(4)
	buffer_store_dword v0, off, s[0:3], 0 offset:240
	s_waitcnt lgkmcnt(3)
	buffer_store_dword v1, off, s[0:3], 0 offset:244
	;; [unrolled: 2-line block ×4, first 2 shown]
	s_waitcnt vmcnt(7)
	ds_bpermute_b32 v5, v13, v5
	s_waitcnt vmcnt(6)
	ds_bpermute_b32 v6, v13, v6
	s_waitcnt vmcnt(5)
	ds_bpermute_b32 v7, v13, v7
	v_cmp_eq_u32_e64 s[6:7], 0, v9
	s_waitcnt vmcnt(4)
	ds_bpermute_b32 v0, v13, v12
	s_waitcnt lgkmcnt(4)
	buffer_store_dword v4, off, s[0:3], 0 offset:256
	s_waitcnt lgkmcnt(3)
	buffer_store_dword v5, off, s[0:3], 0 offset:260
	;; [unrolled: 2-line block ×4, first 2 shown]
	s_waitcnt lgkmcnt(0)
	buffer_store_byte v0, off, s[0:3], 0 offset:272
	v_and_b32_e32 v0, 1, v0
	v_cmp_eq_u32_e64 s[12:13], 1, v0
	s_and_saveexec_b64 s[26:27], s[6:7]
	s_cbranch_execz .LBB2140_119
; %bb.118:
	buffer_load_dword v0, off, s[0:3], 0 offset:156
	buffer_load_dword v1, off, s[0:3], 0 offset:152
	;; [unrolled: 1-line block ×8, first 2 shown]
	v_and_b32_e32 v12, 1, v10
	v_cmp_eq_u32_e64 s[8:9], 1, v12
	s_andn2_b64 s[12:13], s[12:13], exec
	s_and_b64 s[8:9], s[8:9], exec
	s_or_b64 s[12:13], s[12:13], s[8:9]
	buffer_store_byte v10, off, s[0:3], 0 offset:272
	s_waitcnt vmcnt(8)
	buffer_store_dword v0, off, s[0:3], 0 offset:252
	s_waitcnt vmcnt(8)
	buffer_store_dword v1, off, s[0:3], 0 offset:248
	;; [unrolled: 2-line block ×8, first 2 shown]
.LBB2140_119:
	s_or_b64 exec, exec, s[26:27]
	s_and_saveexec_b64 s[26:27], vcc
	s_cbranch_execz .LBB2140_264
; %bb.120:
	v_mov_b32_e32 v10, 0
	ds_read2_b32 v[4:5], v10 offset0:27 offset1:28
	ds_read2_b32 v[6:7], v10 offset0:29 offset1:30
	;; [unrolled: 1-line block ×4, first 2 shown]
	ds_read_b32 v12, v10 offset:140
	s_waitcnt lgkmcnt(4)
	buffer_store_dword v5, off, s[0:3], 0 offset:112
	buffer_store_dword v4, off, s[0:3], 0 offset:108
	s_waitcnt lgkmcnt(3)
	buffer_store_dword v7, off, s[0:3], 0 offset:120
	buffer_store_dword v6, off, s[0:3], 0 offset:116
	;; [unrolled: 3-line block ×4, first 2 shown]
	s_waitcnt lgkmcnt(0)
	buffer_store_dword v12, off, s[0:3], 0 offset:140
	s_and_saveexec_b64 s[8:9], s[6:7]
	s_cbranch_execz .LBB2140_122
; %bb.121:
	s_add_i32 s11, s10, 64
	s_mul_i32 s28, s11, 36
	s_mul_hi_u32 s29, s11, 36
	s_add_u32 s28, s16, s28
	s_addc_u32 s29, s17, s29
	global_store_dwordx4 v10, v[4:7], s[28:29]
	global_store_dwordx4 v10, v[0:3], s[28:29] offset:16
	global_store_byte v10, v12, s[28:29] offset:32
	v_mov_b32_e32 v0, s11
	v_mov_b32_e32 v1, 1
	s_waitcnt vmcnt(0)
	buffer_wbinvl1_vol
	global_store_byte v0, v1, s[20:21]
.LBB2140_122:
	s_or_b64 exec, exec, s[8:9]
	s_mov_b32 s8, 0
	v_mov_b32_e32 v0, 0x48
	buffer_store_dword v10, off, s[0:3], 0 offset:100
	buffer_store_dword v10, off, s[0:3], 0 offset:96
	;; [unrolled: 1-line block ×9, first 2 shown]
.LBB2140_123:                           ; =>This Inner Loop Header: Depth=1
	v_add_u32_e32 v1, s8, v0
	s_add_i32 s8, s8, 8
	s_cmp_lg_u32 s8, 32
	buffer_store_dword v10, v1, s[0:3], 0 offen offset:4
	buffer_store_dword v10, v1, s[0:3], 0 offen
	s_cbranch_scc1 .LBB2140_123
; %bb.124:
	s_mov_b32 s8, 0
	v_mov_b32_e32 v0, 0
	v_mov_b32_e32 v1, 0
	buffer_store_byte v0, off, s[0:3], 0 offset:104
	buffer_store_dword v0, off, s[0:3], 0 offset:28
	buffer_store_dword v0, off, s[0:3], 0 offset:24
	;; [unrolled: 1-line block ×7, first 2 shown]
	buffer_store_dword v0, off, s[0:3], 0
	buffer_store_dword v0, off, s[0:3], 0 offset:32
.LBB2140_125:                           ; =>This Inner Loop Header: Depth=1
	v_add_u32_e32 v2, s8, v1
	s_add_i32 s8, s8, 8
	s_cmp_lg_u32 s8, 32
	buffer_store_dword v0, v2, s[0:3], 0 offen offset:4
	buffer_store_dword v0, v2, s[0:3], 0 offen
	s_cbranch_scc1 .LBB2140_125
; %bb.126:
	v_xad_u32 v10, v9, -1, s10
	v_mov_b32_e32 v0, 0
	buffer_store_byte v0, off, s[0:3], 0 offset:32
	v_add_u32_e32 v0, 64, v10
	global_load_ubyte v17, v0, s[20:21] glc
	s_waitcnt vmcnt(0)
	v_cmp_eq_u16_e32 vcc, 0, v17
	s_and_saveexec_b64 s[8:9], vcc
	s_cbranch_execz .LBB2140_132
; %bb.127:
	v_mov_b32_e32 v1, s21
	v_add_co_u32_e32 v2, vcc, s20, v0
	v_addc_co_u32_e32 v3, vcc, 0, v1, vcc
	s_mov_b32 s11, 1
	s_mov_b64 s[28:29], 0
.LBB2140_128:                           ; =>This Loop Header: Depth=1
                                        ;     Child Loop BB2140_129 Depth 2
	s_max_u32 s33, s11, 1
.LBB2140_129:                           ;   Parent Loop BB2140_128 Depth=1
                                        ; =>  This Inner Loop Header: Depth=2
	s_add_i32 s33, s33, -1
	s_cmp_eq_u32 s33, 0
	s_sleep 1
	s_cbranch_scc0 .LBB2140_129
; %bb.130:                              ;   in Loop: Header=BB2140_128 Depth=1
	global_load_ubyte v17, v[2:3], off glc
	s_cmp_lt_u32 s11, 32
	s_cselect_b64 s[36:37], -1, 0
	s_cmp_lg_u64 s[36:37], 0
	s_addc_u32 s11, s11, 0
	s_waitcnt vmcnt(0)
	v_cmp_ne_u16_e32 vcc, 0, v17
	s_or_b64 s[28:29], vcc, s[28:29]
	s_andn2_b64 exec, exec, s[28:29]
	s_cbranch_execnz .LBB2140_128
; %bb.131:
	s_or_b64 exec, exec, s[28:29]
.LBB2140_132:
	s_or_b64 exec, exec, s[8:9]
	v_mov_b32_e32 v1, s19
	v_mov_b32_e32 v2, s17
	v_cmp_eq_u16_e32 vcc, 1, v17
	v_cndmask_b32_e32 v3, v1, v2, vcc
	v_mov_b32_e32 v1, s18
	v_mov_b32_e32 v2, s16
	v_cndmask_b32_e32 v2, v1, v2, vcc
	v_mad_u64_u32 v[12:13], s[8:9], v0, 36, v[2:3]
	buffer_wbinvl1_vol
	global_load_dwordx4 v[0:3], v[12:13], off
	global_load_dwordx4 v[4:7], v[12:13], off offset:16
	global_load_ubyte v18, v[12:13], off offset:32
	v_mov_b32_e32 v12, 0
	s_mov_b32 s8, 0
	v_mov_b32_e32 v13, 0x90
	buffer_store_dword v12, off, s[0:3], 0 offset:176
	s_waitcnt vmcnt(3)
	buffer_store_dword v3, off, s[0:3], 0 offset:12
	buffer_store_dword v2, off, s[0:3], 0 offset:8
	;; [unrolled: 1-line block ×3, first 2 shown]
	buffer_store_dword v0, off, s[0:3], 0
	s_waitcnt vmcnt(6)
	buffer_store_dword v7, off, s[0:3], 0 offset:28
	buffer_store_dword v6, off, s[0:3], 0 offset:24
	;; [unrolled: 1-line block ×4, first 2 shown]
	s_waitcnt vmcnt(9)
	buffer_store_byte v18, off, s[0:3], 0 offset:32
	buffer_store_dword v1, off, s[0:3], 0 offset:76
	buffer_store_dword v0, off, s[0:3], 0 offset:72
	;; [unrolled: 1-line block ×8, first 2 shown]
	buffer_store_byte v18, off, s[0:3], 0 offset:104
.LBB2140_133:                           ; =>This Inner Loop Header: Depth=1
	v_add_u32_e32 v18, s8, v13
	s_add_i32 s8, s8, 8
	s_cmp_lg_u32 s8, 32
	buffer_store_dword v12, v18, s[0:3], 0 offen offset:4
	buffer_store_dword v12, v18, s[0:3], 0 offen
	s_cbranch_scc1 .LBB2140_133
; %bb.134:
	buffer_load_dword v29, off, s[0:3], 0 offset:104
	v_lshlrev_b64 v[12:13], v9, -1
	v_cmp_eq_u16_e32 vcc, 2, v17
	v_and_b32_e32 v18, 63, v9
	v_and_b32_e32 v19, vcc_hi, v13
	v_and_b32_e32 v20, vcc_lo, v12
	v_cmp_ne_u32_e32 vcc, 63, v18
	v_addc_co_u32_e32 v21, vcc, 0, v9, vcc
	v_or_b32_e32 v22, 0x80000000, v19
	v_lshlrev_b32_e32 v19, 2, v21
	v_ffbl_b32_e32 v21, v22
	v_ffbl_b32_e32 v20, v20
	v_add_u32_e32 v21, 32, v21
	ds_bpermute_b32 v22, v19, v0
	ds_bpermute_b32 v26, v19, v4
	v_min_u32_e32 v30, v20, v21
	ds_bpermute_b32 v23, v19, v1
	ds_bpermute_b32 v27, v19, v5
	;; [unrolled: 1-line block ×6, first 2 shown]
	v_cmp_lt_u32_e32 vcc, v18, v30
	s_waitcnt lgkmcnt(7)
	buffer_store_dword v22, off, s[0:3], 0 offset:144
	s_waitcnt lgkmcnt(5)
	buffer_store_dword v23, off, s[0:3], 0 offset:148
	;; [unrolled: 2-line block ×4, first 2 shown]
	buffer_store_dword v26, off, s[0:3], 0 offset:160
	buffer_store_dword v27, off, s[0:3], 0 offset:164
	;; [unrolled: 1-line block ×3, first 2 shown]
	s_waitcnt lgkmcnt(0)
	buffer_store_dword v31, off, s[0:3], 0 offset:172
	s_waitcnt vmcnt(8)
	ds_bpermute_b32 v20, v19, v29
	s_and_saveexec_b64 s[8:9], vcc
	s_cbranch_execz .LBB2140_142
; %bb.135:
	v_mov_b32_e32 v21, 0
	v_cmp_eq_u16_sdwa s[36:37], v29, v21 src0_sel:BYTE_0 src1_sel:DWORD
	s_and_saveexec_b64 s[28:29], s[36:37]
	s_cbranch_execz .LBB2140_141
; %bb.136:
	s_mov_b32 s11, 0
	v_mov_b32_e32 v0, 36
.LBB2140_137:                           ; =>This Inner Loop Header: Depth=1
	v_add_u32_e32 v1, s11, v0
	s_add_i32 s11, s11, 8
	s_cmp_lg_u32 s11, 32
	buffer_store_dword v21, v1, s[0:3], 0 offen offset:4
	buffer_store_dword v21, v1, s[0:3], 0 offen
	s_cbranch_scc1 .LBB2140_137
; %bb.138:
	s_mov_b32 s11, 0
	v_mov_b32_e32 v0, 0x90
	v_mov_b32_e32 v1, 0x48
	;; [unrolled: 1-line block ×3, first 2 shown]
.LBB2140_139:                           ; =>This Inner Loop Header: Depth=1
	v_add_u32_e32 v3, s11, v0
	v_add_u32_e32 v4, s11, v1
	buffer_load_dword v5, v3, s[0:3], 0 offen offset:4
	buffer_load_dword v6, v4, s[0:3], 0 offen
	buffer_load_dword v7, v3, s[0:3], 0 offen
	buffer_load_dword v21, v4, s[0:3], 0 offen offset:4
	v_add_u32_e32 v3, s11, v2
	s_add_i32 s11, s11, 8
	s_cmp_lg_u32 s11, 32
	s_waitcnt vmcnt(1)
	v_add_u32_e32 v4, v6, v7
	s_waitcnt vmcnt(0)
	v_add_u32_e32 v5, v21, v5
	buffer_store_dword v5, v3, s[0:3], 0 offen offset:4
	buffer_store_dword v4, v3, s[0:3], 0 offen
	s_cbranch_scc1 .LBB2140_139
; %bb.140:
	buffer_load_dword v0, off, s[0:3], 0 offset:36
	buffer_load_dword v1, off, s[0:3], 0 offset:40
	;; [unrolled: 1-line block ×8, first 2 shown]
.LBB2140_141:
	s_or_b64 exec, exec, s[28:29]
	s_waitcnt lgkmcnt(0)
	v_or_b32_e32 v20, v20, v29
	v_and_b32_e32 v20, 1, v20
	buffer_store_byte v20, off, s[0:3], 0 offset:104
	buffer_load_dword v29, off, s[0:3], 0 offset:104
	s_waitcnt vmcnt(8)
	buffer_store_dword v1, off, s[0:3], 0 offset:76
	buffer_store_dword v0, off, s[0:3], 0 offset:72
	s_waitcnt vmcnt(8)
	buffer_store_dword v3, off, s[0:3], 0 offset:84
	buffer_store_dword v2, off, s[0:3], 0 offset:80
	;; [unrolled: 3-line block ×4, first 2 shown]
.LBB2140_142:
	s_or_b64 exec, exec, s[8:9]
	v_cmp_gt_u32_e32 vcc, 62, v18
	v_cndmask_b32_e64 v21, 0, 1, vcc
	v_lshlrev_b32_e32 v21, 1, v21
	v_add_lshl_u32 v21, v21, v9, 2
	ds_bpermute_b32 v23, v21, v0
	s_waitcnt vmcnt(8)
	ds_bpermute_b32 v22, v21, v29
	ds_bpermute_b32 v24, v21, v1
	;; [unrolled: 1-line block ×3, first 2 shown]
	s_waitcnt lgkmcnt(4)
	v_add_u32_e32 v20, 2, v18
	ds_bpermute_b32 v26, v21, v3
	ds_bpermute_b32 v27, v21, v4
	v_cmp_le_u32_e32 vcc, v20, v30
	ds_bpermute_b32 v28, v21, v5
	ds_bpermute_b32 v31, v21, v6
	;; [unrolled: 1-line block ×3, first 2 shown]
	s_waitcnt lgkmcnt(8)
	buffer_store_dword v23, off, s[0:3], 0 offset:144
	s_waitcnt lgkmcnt(6)
	buffer_store_dword v24, off, s[0:3], 0 offset:148
	;; [unrolled: 2-line block ×8, first 2 shown]
	s_and_saveexec_b64 s[28:29], vcc
	s_cbranch_execz .LBB2140_150
; %bb.143:
	v_mov_b32_e32 v23, 0
	s_mov_b32 s11, 0
	v_cmp_eq_u16_sdwa s[36:37], v29, v23 src0_sel:BYTE_0 src1_sel:DWORD
	s_and_saveexec_b64 s[8:9], s[36:37]
	s_cbranch_execz .LBB2140_149
; %bb.144:
	v_mov_b32_e32 v0, 36
.LBB2140_145:                           ; =>This Inner Loop Header: Depth=1
	v_add_u32_e32 v1, s11, v0
	s_add_i32 s11, s11, 8
	s_cmp_lg_u32 s11, 32
	buffer_store_dword v23, v1, s[0:3], 0 offen offset:4
	buffer_store_dword v23, v1, s[0:3], 0 offen
	s_cbranch_scc1 .LBB2140_145
; %bb.146:
	s_mov_b32 s11, 0
	v_mov_b32_e32 v0, 0x90
	v_mov_b32_e32 v1, 0x48
	;; [unrolled: 1-line block ×3, first 2 shown]
.LBB2140_147:                           ; =>This Inner Loop Header: Depth=1
	v_add_u32_e32 v3, s11, v0
	v_add_u32_e32 v4, s11, v1
	buffer_load_dword v5, v3, s[0:3], 0 offen offset:4
	buffer_load_dword v6, v4, s[0:3], 0 offen
	buffer_load_dword v7, v3, s[0:3], 0 offen
	buffer_load_dword v23, v4, s[0:3], 0 offen offset:4
	v_add_u32_e32 v3, s11, v2
	s_add_i32 s11, s11, 8
	s_cmp_lg_u32 s11, 32
	s_waitcnt vmcnt(1)
	v_add_u32_e32 v4, v6, v7
	s_waitcnt vmcnt(0)
	v_add_u32_e32 v5, v23, v5
	buffer_store_dword v5, v3, s[0:3], 0 offen offset:4
	buffer_store_dword v4, v3, s[0:3], 0 offen
	s_cbranch_scc1 .LBB2140_147
; %bb.148:
	buffer_load_dword v0, off, s[0:3], 0 offset:36
	buffer_load_dword v1, off, s[0:3], 0 offset:40
	;; [unrolled: 1-line block ×8, first 2 shown]
.LBB2140_149:
	s_or_b64 exec, exec, s[8:9]
	v_and_b32_e32 v23, 1, v29
	v_and_b32_e32 v22, 1, v22
	v_cmp_eq_u32_e32 vcc, 1, v23
	v_cmp_eq_u32_e64 s[8:9], 1, v22
	s_or_b64 s[8:9], vcc, s[8:9]
	v_cndmask_b32_e64 v22, 0, 1, s[8:9]
	buffer_store_byte v22, off, s[0:3], 0 offset:104
	buffer_load_dword v29, off, s[0:3], 0 offset:104
	s_waitcnt vmcnt(8)
	buffer_store_dword v1, off, s[0:3], 0 offset:76
	buffer_store_dword v0, off, s[0:3], 0 offset:72
	s_waitcnt vmcnt(8)
	buffer_store_dword v3, off, s[0:3], 0 offset:84
	buffer_store_dword v2, off, s[0:3], 0 offset:80
	;; [unrolled: 3-line block ×4, first 2 shown]
.LBB2140_150:
	s_or_b64 exec, exec, s[28:29]
	v_cmp_gt_u32_e32 vcc, 60, v18
	v_cndmask_b32_e64 v23, 0, 1, vcc
	v_lshlrev_b32_e32 v23, 2, v23
	v_add_lshl_u32 v23, v23, v9, 2
	ds_bpermute_b32 v25, v23, v0
	s_waitcnt vmcnt(8)
	ds_bpermute_b32 v24, v23, v29
	ds_bpermute_b32 v26, v23, v1
	;; [unrolled: 1-line block ×3, first 2 shown]
	v_add_u32_e32 v22, 4, v18
	ds_bpermute_b32 v28, v23, v3
	ds_bpermute_b32 v31, v23, v4
	v_cmp_le_u32_e32 vcc, v22, v30
	ds_bpermute_b32 v32, v23, v5
	ds_bpermute_b32 v33, v23, v6
	ds_bpermute_b32 v34, v23, v7
	s_waitcnt lgkmcnt(8)
	buffer_store_dword v25, off, s[0:3], 0 offset:144
	s_waitcnt lgkmcnt(6)
	buffer_store_dword v26, off, s[0:3], 0 offset:148
	s_waitcnt lgkmcnt(5)
	buffer_store_dword v27, off, s[0:3], 0 offset:152
	s_waitcnt lgkmcnt(4)
	buffer_store_dword v28, off, s[0:3], 0 offset:156
	s_waitcnt lgkmcnt(3)
	buffer_store_dword v31, off, s[0:3], 0 offset:160
	s_waitcnt lgkmcnt(2)
	buffer_store_dword v32, off, s[0:3], 0 offset:164
	s_waitcnt lgkmcnt(1)
	buffer_store_dword v33, off, s[0:3], 0 offset:168
	s_waitcnt lgkmcnt(0)
	buffer_store_dword v34, off, s[0:3], 0 offset:172
	s_and_saveexec_b64 s[28:29], vcc
	s_cbranch_execz .LBB2140_158
; %bb.151:
	v_mov_b32_e32 v25, 0
	s_mov_b32 s11, 0
	v_cmp_eq_u16_sdwa s[36:37], v29, v25 src0_sel:BYTE_0 src1_sel:DWORD
	s_and_saveexec_b64 s[8:9], s[36:37]
	s_cbranch_execz .LBB2140_157
; %bb.152:
	v_mov_b32_e32 v0, 36
.LBB2140_153:                           ; =>This Inner Loop Header: Depth=1
	v_add_u32_e32 v1, s11, v0
	s_add_i32 s11, s11, 8
	s_cmp_lg_u32 s11, 32
	buffer_store_dword v25, v1, s[0:3], 0 offen offset:4
	buffer_store_dword v25, v1, s[0:3], 0 offen
	s_cbranch_scc1 .LBB2140_153
; %bb.154:
	s_mov_b32 s11, 0
	v_mov_b32_e32 v0, 0x90
	v_mov_b32_e32 v1, 0x48
	;; [unrolled: 1-line block ×3, first 2 shown]
.LBB2140_155:                           ; =>This Inner Loop Header: Depth=1
	v_add_u32_e32 v3, s11, v0
	v_add_u32_e32 v4, s11, v1
	buffer_load_dword v5, v3, s[0:3], 0 offen offset:4
	buffer_load_dword v6, v4, s[0:3], 0 offen
	buffer_load_dword v7, v3, s[0:3], 0 offen
	buffer_load_dword v25, v4, s[0:3], 0 offen offset:4
	v_add_u32_e32 v3, s11, v2
	s_add_i32 s11, s11, 8
	s_cmp_lg_u32 s11, 32
	s_waitcnt vmcnt(1)
	v_add_u32_e32 v4, v6, v7
	s_waitcnt vmcnt(0)
	v_add_u32_e32 v5, v25, v5
	buffer_store_dword v5, v3, s[0:3], 0 offen offset:4
	buffer_store_dword v4, v3, s[0:3], 0 offen
	s_cbranch_scc1 .LBB2140_155
; %bb.156:
	buffer_load_dword v0, off, s[0:3], 0 offset:36
	buffer_load_dword v1, off, s[0:3], 0 offset:40
	;; [unrolled: 1-line block ×8, first 2 shown]
.LBB2140_157:
	s_or_b64 exec, exec, s[8:9]
	v_and_b32_e32 v25, 1, v29
	v_and_b32_e32 v24, 1, v24
	v_cmp_eq_u32_e32 vcc, 1, v25
	v_cmp_eq_u32_e64 s[8:9], 1, v24
	s_or_b64 s[8:9], vcc, s[8:9]
	v_cndmask_b32_e64 v24, 0, 1, s[8:9]
	buffer_store_byte v24, off, s[0:3], 0 offset:104
	buffer_load_dword v29, off, s[0:3], 0 offset:104
	s_waitcnt vmcnt(8)
	buffer_store_dword v1, off, s[0:3], 0 offset:76
	buffer_store_dword v0, off, s[0:3], 0 offset:72
	s_waitcnt vmcnt(8)
	buffer_store_dword v3, off, s[0:3], 0 offset:84
	buffer_store_dword v2, off, s[0:3], 0 offset:80
	;; [unrolled: 3-line block ×4, first 2 shown]
.LBB2140_158:
	s_or_b64 exec, exec, s[28:29]
	v_cmp_gt_u32_e32 vcc, 56, v18
	v_cndmask_b32_e64 v25, 0, 1, vcc
	v_lshlrev_b32_e32 v25, 3, v25
	v_add_lshl_u32 v25, v25, v9, 2
	ds_bpermute_b32 v27, v25, v0
	s_waitcnt vmcnt(8)
	ds_bpermute_b32 v26, v25, v29
	ds_bpermute_b32 v28, v25, v1
	;; [unrolled: 1-line block ×3, first 2 shown]
	v_add_u32_e32 v24, 8, v18
	ds_bpermute_b32 v32, v25, v3
	ds_bpermute_b32 v33, v25, v4
	v_cmp_le_u32_e32 vcc, v24, v30
	ds_bpermute_b32 v34, v25, v5
	ds_bpermute_b32 v35, v25, v6
	ds_bpermute_b32 v36, v25, v7
	s_waitcnt lgkmcnt(8)
	buffer_store_dword v27, off, s[0:3], 0 offset:144
	s_waitcnt lgkmcnt(6)
	buffer_store_dword v28, off, s[0:3], 0 offset:148
	;; [unrolled: 2-line block ×8, first 2 shown]
	s_and_saveexec_b64 s[28:29], vcc
	s_cbranch_execz .LBB2140_166
; %bb.159:
	v_mov_b32_e32 v27, 0
	s_mov_b32 s11, 0
	v_cmp_eq_u16_sdwa s[36:37], v29, v27 src0_sel:BYTE_0 src1_sel:DWORD
	s_and_saveexec_b64 s[8:9], s[36:37]
	s_cbranch_execz .LBB2140_165
; %bb.160:
	v_mov_b32_e32 v0, 36
.LBB2140_161:                           ; =>This Inner Loop Header: Depth=1
	v_add_u32_e32 v1, s11, v0
	s_add_i32 s11, s11, 8
	s_cmp_lg_u32 s11, 32
	buffer_store_dword v27, v1, s[0:3], 0 offen offset:4
	buffer_store_dword v27, v1, s[0:3], 0 offen
	s_cbranch_scc1 .LBB2140_161
; %bb.162:
	s_mov_b32 s11, 0
	v_mov_b32_e32 v0, 0x90
	v_mov_b32_e32 v1, 0x48
	;; [unrolled: 1-line block ×3, first 2 shown]
.LBB2140_163:                           ; =>This Inner Loop Header: Depth=1
	v_add_u32_e32 v3, s11, v0
	v_add_u32_e32 v4, s11, v1
	buffer_load_dword v5, v3, s[0:3], 0 offen offset:4
	buffer_load_dword v6, v4, s[0:3], 0 offen
	buffer_load_dword v7, v3, s[0:3], 0 offen
	buffer_load_dword v27, v4, s[0:3], 0 offen offset:4
	v_add_u32_e32 v3, s11, v2
	s_add_i32 s11, s11, 8
	s_cmp_lg_u32 s11, 32
	s_waitcnt vmcnt(1)
	v_add_u32_e32 v4, v6, v7
	s_waitcnt vmcnt(0)
	v_add_u32_e32 v5, v27, v5
	buffer_store_dword v5, v3, s[0:3], 0 offen offset:4
	buffer_store_dword v4, v3, s[0:3], 0 offen
	s_cbranch_scc1 .LBB2140_163
; %bb.164:
	buffer_load_dword v0, off, s[0:3], 0 offset:36
	buffer_load_dword v1, off, s[0:3], 0 offset:40
	;; [unrolled: 1-line block ×8, first 2 shown]
.LBB2140_165:
	s_or_b64 exec, exec, s[8:9]
	v_and_b32_e32 v27, 1, v29
	v_and_b32_e32 v26, 1, v26
	v_cmp_eq_u32_e32 vcc, 1, v27
	v_cmp_eq_u32_e64 s[8:9], 1, v26
	s_or_b64 s[8:9], vcc, s[8:9]
	v_cndmask_b32_e64 v26, 0, 1, s[8:9]
	buffer_store_byte v26, off, s[0:3], 0 offset:104
	buffer_load_dword v29, off, s[0:3], 0 offset:104
	s_waitcnt vmcnt(8)
	buffer_store_dword v1, off, s[0:3], 0 offset:76
	buffer_store_dword v0, off, s[0:3], 0 offset:72
	s_waitcnt vmcnt(8)
	buffer_store_dword v3, off, s[0:3], 0 offset:84
	buffer_store_dword v2, off, s[0:3], 0 offset:80
	;; [unrolled: 3-line block ×4, first 2 shown]
.LBB2140_166:
	s_or_b64 exec, exec, s[28:29]
	v_cmp_gt_u32_e32 vcc, 48, v18
	v_cndmask_b32_e64 v27, 0, 1, vcc
	v_lshlrev_b32_e32 v27, 4, v27
	v_add_lshl_u32 v27, v27, v9, 2
	ds_bpermute_b32 v31, v27, v0
	s_waitcnt vmcnt(8)
	ds_bpermute_b32 v28, v27, v29
	ds_bpermute_b32 v32, v27, v1
	;; [unrolled: 1-line block ×3, first 2 shown]
	v_add_u32_e32 v26, 16, v18
	ds_bpermute_b32 v34, v27, v3
	ds_bpermute_b32 v35, v27, v4
	v_cmp_le_u32_e32 vcc, v26, v30
	ds_bpermute_b32 v36, v27, v5
	ds_bpermute_b32 v37, v27, v6
	;; [unrolled: 1-line block ×3, first 2 shown]
	s_waitcnt lgkmcnt(8)
	buffer_store_dword v31, off, s[0:3], 0 offset:144
	s_waitcnt lgkmcnt(6)
	buffer_store_dword v32, off, s[0:3], 0 offset:148
	;; [unrolled: 2-line block ×8, first 2 shown]
	s_and_saveexec_b64 s[28:29], vcc
	s_cbranch_execz .LBB2140_174
; %bb.167:
	v_mov_b32_e32 v31, 0
	s_mov_b32 s11, 0
	v_cmp_eq_u16_sdwa s[36:37], v29, v31 src0_sel:BYTE_0 src1_sel:DWORD
	s_and_saveexec_b64 s[8:9], s[36:37]
	s_cbranch_execz .LBB2140_173
; %bb.168:
	v_mov_b32_e32 v0, 36
.LBB2140_169:                           ; =>This Inner Loop Header: Depth=1
	v_add_u32_e32 v1, s11, v0
	s_add_i32 s11, s11, 8
	s_cmp_lg_u32 s11, 32
	buffer_store_dword v31, v1, s[0:3], 0 offen offset:4
	buffer_store_dword v31, v1, s[0:3], 0 offen
	s_cbranch_scc1 .LBB2140_169
; %bb.170:
	s_mov_b32 s11, 0
	v_mov_b32_e32 v0, 0x90
	v_mov_b32_e32 v1, 0x48
	;; [unrolled: 1-line block ×3, first 2 shown]
.LBB2140_171:                           ; =>This Inner Loop Header: Depth=1
	v_add_u32_e32 v3, s11, v0
	v_add_u32_e32 v4, s11, v1
	buffer_load_dword v5, v3, s[0:3], 0 offen offset:4
	buffer_load_dword v6, v4, s[0:3], 0 offen
	buffer_load_dword v7, v3, s[0:3], 0 offen
	buffer_load_dword v31, v4, s[0:3], 0 offen offset:4
	v_add_u32_e32 v3, s11, v2
	s_add_i32 s11, s11, 8
	s_cmp_lg_u32 s11, 32
	s_waitcnt vmcnt(1)
	v_add_u32_e32 v4, v6, v7
	s_waitcnt vmcnt(0)
	v_add_u32_e32 v5, v31, v5
	buffer_store_dword v5, v3, s[0:3], 0 offen offset:4
	buffer_store_dword v4, v3, s[0:3], 0 offen
	s_cbranch_scc1 .LBB2140_171
; %bb.172:
	buffer_load_dword v0, off, s[0:3], 0 offset:36
	buffer_load_dword v1, off, s[0:3], 0 offset:40
	;; [unrolled: 1-line block ×8, first 2 shown]
.LBB2140_173:
	s_or_b64 exec, exec, s[8:9]
	v_and_b32_e32 v29, 1, v29
	v_and_b32_e32 v28, 1, v28
	v_cmp_eq_u32_e32 vcc, 1, v29
	v_cmp_eq_u32_e64 s[8:9], 1, v28
	s_or_b64 s[8:9], vcc, s[8:9]
	v_cndmask_b32_e64 v28, 0, 1, s[8:9]
	buffer_store_byte v28, off, s[0:3], 0 offset:104
	buffer_load_dword v29, off, s[0:3], 0 offset:104
	s_waitcnt vmcnt(8)
	buffer_store_dword v1, off, s[0:3], 0 offset:76
	buffer_store_dword v0, off, s[0:3], 0 offset:72
	s_waitcnt vmcnt(8)
	buffer_store_dword v3, off, s[0:3], 0 offset:84
	buffer_store_dword v2, off, s[0:3], 0 offset:80
	;; [unrolled: 3-line block ×4, first 2 shown]
.LBB2140_174:
	s_or_b64 exec, exec, s[28:29]
	v_cmp_gt_u32_e32 vcc, 32, v18
	v_cndmask_b32_e64 v31, 0, 1, vcc
	v_lshlrev_b32_e32 v31, 5, v31
	v_add_lshl_u32 v9, v31, v9, 2
	ds_bpermute_b32 v32, v9, v0
	s_waitcnt vmcnt(8)
	ds_bpermute_b32 v31, v9, v29
	ds_bpermute_b32 v33, v9, v1
	;; [unrolled: 1-line block ×3, first 2 shown]
	v_add_u32_e32 v28, 32, v18
	ds_bpermute_b32 v35, v9, v3
	ds_bpermute_b32 v36, v9, v4
	v_cmp_le_u32_e32 vcc, v28, v30
	ds_bpermute_b32 v37, v9, v5
	ds_bpermute_b32 v38, v9, v6
	;; [unrolled: 1-line block ×3, first 2 shown]
	s_waitcnt lgkmcnt(8)
	buffer_store_dword v32, off, s[0:3], 0 offset:144
	s_waitcnt lgkmcnt(6)
	buffer_store_dword v33, off, s[0:3], 0 offset:148
	;; [unrolled: 2-line block ×8, first 2 shown]
	s_and_saveexec_b64 s[28:29], vcc
	s_cbranch_execz .LBB2140_182
; %bb.175:
	v_mov_b32_e32 v30, 0
	s_mov_b32 s11, 0
	v_cmp_eq_u16_sdwa s[36:37], v29, v30 src0_sel:BYTE_0 src1_sel:DWORD
	s_and_saveexec_b64 s[8:9], s[36:37]
	s_cbranch_execz .LBB2140_181
; %bb.176:
	v_mov_b32_e32 v0, 36
.LBB2140_177:                           ; =>This Inner Loop Header: Depth=1
	v_add_u32_e32 v1, s11, v0
	s_add_i32 s11, s11, 8
	s_cmp_lg_u32 s11, 32
	buffer_store_dword v30, v1, s[0:3], 0 offen offset:4
	buffer_store_dword v30, v1, s[0:3], 0 offen
	s_cbranch_scc1 .LBB2140_177
; %bb.178:
	s_mov_b32 s11, 0
	v_mov_b32_e32 v0, 0x90
	v_mov_b32_e32 v1, 0x48
	;; [unrolled: 1-line block ×3, first 2 shown]
.LBB2140_179:                           ; =>This Inner Loop Header: Depth=1
	v_add_u32_e32 v3, s11, v0
	v_add_u32_e32 v4, s11, v1
	buffer_load_dword v5, v3, s[0:3], 0 offen offset:4
	buffer_load_dword v6, v4, s[0:3], 0 offen
	buffer_load_dword v7, v3, s[0:3], 0 offen
	buffer_load_dword v30, v4, s[0:3], 0 offen offset:4
	v_add_u32_e32 v3, s11, v2
	s_add_i32 s11, s11, 8
	s_cmp_lg_u32 s11, 32
	s_waitcnt vmcnt(1)
	v_add_u32_e32 v4, v6, v7
	s_waitcnt vmcnt(0)
	v_add_u32_e32 v5, v30, v5
	buffer_store_dword v5, v3, s[0:3], 0 offen offset:4
	buffer_store_dword v4, v3, s[0:3], 0 offen
	s_cbranch_scc1 .LBB2140_179
; %bb.180:
	buffer_load_dword v0, off, s[0:3], 0 offset:36
	buffer_load_dword v1, off, s[0:3], 0 offset:40
	;; [unrolled: 1-line block ×8, first 2 shown]
.LBB2140_181:
	s_or_b64 exec, exec, s[8:9]
	v_and_b32_e32 v29, 1, v29
	v_cmp_eq_u32_e32 vcc, 1, v29
	v_and_b32_e32 v29, 1, v31
	v_cmp_eq_u32_e64 s[8:9], 1, v29
	s_or_b64 s[8:9], vcc, s[8:9]
	v_cndmask_b32_e64 v29, 0, 1, s[8:9]
	s_waitcnt vmcnt(6)
	buffer_store_dword v1, off, s[0:3], 0 offset:76
	buffer_store_dword v0, off, s[0:3], 0 offset:72
	s_waitcnt vmcnt(6)
	buffer_store_dword v3, off, s[0:3], 0 offset:84
	buffer_store_dword v2, off, s[0:3], 0 offset:80
	;; [unrolled: 3-line block ×4, first 2 shown]
	buffer_store_byte v29, off, s[0:3], 0 offset:104
.LBB2140_182:
	s_or_b64 exec, exec, s[28:29]
	buffer_load_dword v0, off, s[0:3], 0 offset:84
	buffer_load_dword v1, off, s[0:3], 0 offset:80
	;; [unrolled: 1-line block ×9, first 2 shown]
	s_lshr_b32 s8, s44, 16
	s_mul_i32 s8, s8, s45
	v_mul_lo_u32 v36, s8, v8
	v_mov_b32_e32 v35, 0x6000
	v_add3_u32 v15, v36, v16, v15
	v_mov_b32_e32 v29, 0
	v_mov_b32_e32 v30, 0
	;; [unrolled: 1-line block ×5, first 2 shown]
	v_lshl_add_u32 v15, v15, 5, v35
	v_mov_b32_e32 v16, 2
	s_waitcnt vmcnt(8)
	buffer_store_dword v0, off, s[0:3], 0 offset:48
	s_waitcnt vmcnt(8)
	buffer_store_dword v1, off, s[0:3], 0 offset:44
	;; [unrolled: 2-line block ×9, first 2 shown]
	s_branch .LBB2140_184
.LBB2140_183:                           ;   in Loop: Header=BB2140_184 Depth=1
                                        ; implicit-def: $vgpr10
                                        ; implicit-def: $vgpr17
	s_cbranch_execnz .LBB2140_252
.LBB2140_184:                           ; =>This Loop Header: Depth=1
                                        ;     Child Loop BB2140_186 Depth 2
                                        ;     Child Loop BB2140_189 Depth 2
                                        ;       Child Loop BB2140_190 Depth 3
                                        ;     Child Loop BB2140_194 Depth 2
                                        ;     Child Loop BB2140_198 Depth 2
	;; [unrolled: 1-line block ×15, first 2 shown]
	v_cmp_ne_u16_sdwa s[8:9], v17, v16 src0_sel:BYTE_0 src1_sel:DWORD
	v_cndmask_b32_e64 v0, 0, 1, s[8:9]
	;;#ASMSTART
	;;#ASMEND
	v_cmp_ne_u32_e32 vcc, 0, v0
	s_cmp_lg_u64 vcc, exec
	s_cbranch_scc1 .LBB2140_183
; %bb.185:                              ;   in Loop: Header=BB2140_184 Depth=1
	s_mov_b32 s8, 0
	buffer_store_dword v29, off, s[0:3], 0 offset:28
	buffer_store_dword v29, off, s[0:3], 0 offset:24
	;; [unrolled: 1-line block ×7, first 2 shown]
	buffer_store_dword v29, off, s[0:3], 0
	buffer_store_dword v29, off, s[0:3], 0 offset:32
.LBB2140_186:                           ;   Parent Loop BB2140_184 Depth=1
                                        ; =>  This Inner Loop Header: Depth=2
	v_add_u32_e32 v0, s8, v30
	s_add_i32 s8, s8, 8
	s_cmp_lg_u32 s8, 32
	buffer_store_dword v29, v0, s[0:3], 0 offen offset:4
	buffer_store_dword v29, v0, s[0:3], 0 offen
	s_cbranch_scc1 .LBB2140_186
; %bb.187:                              ;   in Loop: Header=BB2140_184 Depth=1
	buffer_store_byte v29, off, s[0:3], 0 offset:32
	global_load_ubyte v17, v10, s[20:21] glc
	s_waitcnt vmcnt(0)
	v_cmp_eq_u16_e32 vcc, 0, v17
	s_and_saveexec_b64 s[8:9], vcc
	s_cbranch_execz .LBB2140_193
; %bb.188:                              ;   in Loop: Header=BB2140_184 Depth=1
	v_mov_b32_e32 v1, s21
	v_add_co_u32_e32 v0, vcc, s20, v10
	v_addc_co_u32_e32 v1, vcc, 0, v1, vcc
	s_mov_b32 s11, 1
	s_mov_b64 s[28:29], 0
.LBB2140_189:                           ;   Parent Loop BB2140_184 Depth=1
                                        ; =>  This Loop Header: Depth=2
                                        ;       Child Loop BB2140_190 Depth 3
	s_max_u32 s33, s11, 1
.LBB2140_190:                           ;   Parent Loop BB2140_184 Depth=1
                                        ;     Parent Loop BB2140_189 Depth=2
                                        ; =>    This Inner Loop Header: Depth=3
	s_add_i32 s33, s33, -1
	s_cmp_eq_u32 s33, 0
	s_sleep 1
	s_cbranch_scc0 .LBB2140_190
; %bb.191:                              ;   in Loop: Header=BB2140_189 Depth=2
	global_load_ubyte v17, v[0:1], off glc
	s_cmp_lt_u32 s11, 32
	s_cselect_b64 s[36:37], -1, 0
	s_cmp_lg_u64 s[36:37], 0
	s_addc_u32 s11, s11, 0
	s_waitcnt vmcnt(0)
	v_cmp_ne_u16_e32 vcc, 0, v17
	s_or_b64 s[28:29], vcc, s[28:29]
	s_andn2_b64 exec, exec, s[28:29]
	s_cbranch_execnz .LBB2140_189
; %bb.192:                              ;   in Loop: Header=BB2140_184 Depth=1
	s_or_b64 exec, exec, s[28:29]
.LBB2140_193:                           ;   in Loop: Header=BB2140_184 Depth=1
	s_or_b64 exec, exec, s[8:9]
	v_mov_b32_e32 v0, s19
	v_mov_b32_e32 v1, s17
	v_cmp_eq_u16_e32 vcc, 1, v17
	v_cndmask_b32_e32 v1, v0, v1, vcc
	v_mov_b32_e32 v0, s18
	v_mov_b32_e32 v2, s16
	v_cndmask_b32_e32 v0, v0, v2, vcc
	v_mad_u64_u32 v[34:35], s[8:9], v10, 36, v[0:1]
	buffer_wbinvl1_vol
	global_load_dwordx4 v[0:3], v[34:35], off
	global_load_dwordx4 v[4:7], v[34:35], off offset:16
	global_load_ubyte v36, v[34:35], off offset:32
	s_mov_b32 s8, 0
	buffer_store_dword v29, off, s[0:3], 0 offset:176
	s_waitcnt vmcnt(3)
	buffer_store_dword v3, off, s[0:3], 0 offset:12
	buffer_store_dword v2, off, s[0:3], 0 offset:8
	;; [unrolled: 1-line block ×3, first 2 shown]
	buffer_store_dword v0, off, s[0:3], 0
	s_waitcnt vmcnt(6)
	buffer_store_dword v7, off, s[0:3], 0 offset:28
	buffer_store_dword v6, off, s[0:3], 0 offset:24
	;; [unrolled: 1-line block ×4, first 2 shown]
	s_waitcnt vmcnt(9)
	buffer_store_byte v36, off, s[0:3], 0 offset:32
	buffer_store_dword v1, off, s[0:3], 0 offset:76
	buffer_store_dword v0, off, s[0:3], 0 offset:72
	;; [unrolled: 1-line block ×8, first 2 shown]
	buffer_store_byte v36, off, s[0:3], 0 offset:104
.LBB2140_194:                           ;   Parent Loop BB2140_184 Depth=1
                                        ; =>  This Inner Loop Header: Depth=2
	v_add_u32_e32 v34, s8, v31
	s_add_i32 s8, s8, 8
	s_cmp_lg_u32 s8, 32
	buffer_store_dword v29, v34, s[0:3], 0 offen offset:4
	buffer_store_dword v29, v34, s[0:3], 0 offen
	s_cbranch_scc1 .LBB2140_194
; %bb.195:                              ;   in Loop: Header=BB2140_184 Depth=1
	buffer_load_dword v35, off, s[0:3], 0 offset:104
	ds_bpermute_b32 v36, v19, v0
	ds_bpermute_b32 v37, v19, v1
	;; [unrolled: 1-line block ×3, first 2 shown]
	v_cmp_eq_u16_e32 vcc, 2, v17
	ds_bpermute_b32 v39, v19, v3
	v_and_b32_e32 v34, vcc_hi, v13
	ds_bpermute_b32 v40, v19, v4
	v_or_b32_e32 v34, 0x80000000, v34
	s_waitcnt lgkmcnt(4)
	buffer_store_dword v36, off, s[0:3], 0 offset:144
	s_waitcnt lgkmcnt(3)
	buffer_store_dword v37, off, s[0:3], 0 offset:148
	;; [unrolled: 2-line block ×4, first 2 shown]
	ds_bpermute_b32 v41, v19, v5
	v_and_b32_e32 v44, vcc_lo, v12
	v_ffbl_b32_e32 v34, v34
	ds_bpermute_b32 v42, v19, v6
	v_ffbl_b32_e32 v44, v44
	v_add_u32_e32 v34, 32, v34
	ds_bpermute_b32 v43, v19, v7
	v_min_u32_e32 v34, v44, v34
	v_cmp_lt_u32_e32 vcc, v18, v34
	s_waitcnt lgkmcnt(3)
	buffer_store_dword v40, off, s[0:3], 0 offset:160
	s_waitcnt lgkmcnt(2)
	buffer_store_dword v41, off, s[0:3], 0 offset:164
	;; [unrolled: 2-line block ×4, first 2 shown]
	s_waitcnt vmcnt(8)
	ds_bpermute_b32 v36, v19, v35
	s_and_saveexec_b64 s[8:9], vcc
	s_cbranch_execz .LBB2140_203
; %bb.196:                              ;   in Loop: Header=BB2140_184 Depth=1
	v_cmp_eq_u16_sdwa s[36:37], v35, v29 src0_sel:BYTE_0 src1_sel:DWORD
	s_and_saveexec_b64 s[28:29], s[36:37]
	s_cbranch_execz .LBB2140_202
; %bb.197:                              ;   in Loop: Header=BB2140_184 Depth=1
	s_mov_b32 s11, 0
.LBB2140_198:                           ;   Parent Loop BB2140_184 Depth=1
                                        ; =>  This Inner Loop Header: Depth=2
	v_add_u32_e32 v0, s11, v15
	s_add_i32 s11, s11, 8
	s_cmp_lg_u32 s11, 32
	ds_write2_b32 v0, v29, v29 offset1:1
	s_cbranch_scc1 .LBB2140_198
; %bb.199:                              ;   in Loop: Header=BB2140_184 Depth=1
	s_mov_b32 s11, 0
.LBB2140_200:                           ;   Parent Loop BB2140_184 Depth=1
                                        ; =>  This Inner Loop Header: Depth=2
	v_add_u32_e32 v0, s11, v31
	v_add_u32_e32 v1, s11, v32
	buffer_load_dword v2, v0, s[0:3], 0 offen offset:4
	buffer_load_dword v3, v0, s[0:3], 0 offen
	buffer_load_dword v4, v1, s[0:3], 0 offen offset:4
	buffer_load_dword v5, v1, s[0:3], 0 offen
	v_add_u32_e32 v0, s11, v15
	s_add_i32 s11, s11, 8
	s_cmp_lg_u32 s11, 32
	s_waitcnt vmcnt(1)
	v_add_u32_e32 v1, v4, v2
	s_waitcnt vmcnt(0)
	v_add_u32_e32 v2, v5, v3
	ds_write2_b32 v0, v2, v1 offset1:1
	s_cbranch_scc1 .LBB2140_200
; %bb.201:                              ;   in Loop: Header=BB2140_184 Depth=1
	ds_read2_b32 v[0:1], v15 offset1:1
	ds_read2_b32 v[2:3], v15 offset0:2 offset1:3
	ds_read2_b32 v[4:5], v15 offset0:4 offset1:5
	ds_read2_b32 v[6:7], v15 offset0:6 offset1:7
.LBB2140_202:                           ;   in Loop: Header=BB2140_184 Depth=1
	s_or_b64 exec, exec, s[28:29]
	s_waitcnt lgkmcnt(0)
	v_or_b32_e32 v35, v36, v35
	v_and_b32_e32 v35, 1, v35
	buffer_store_byte v35, off, s[0:3], 0 offset:104
	buffer_load_dword v35, off, s[0:3], 0 offset:104
	s_nop 0
	buffer_store_dword v1, off, s[0:3], 0 offset:76
	buffer_store_dword v0, off, s[0:3], 0 offset:72
	;; [unrolled: 1-line block ×8, first 2 shown]
.LBB2140_203:                           ;   in Loop: Header=BB2140_184 Depth=1
	s_or_b64 exec, exec, s[8:9]
	ds_bpermute_b32 v37, v21, v0
	s_waitcnt vmcnt(8) lgkmcnt(1)
	ds_bpermute_b32 v36, v21, v35
	ds_bpermute_b32 v38, v21, v1
	;; [unrolled: 1-line block ×5, first 2 shown]
	v_cmp_le_u32_e32 vcc, v20, v34
	ds_bpermute_b32 v42, v21, v5
	ds_bpermute_b32 v43, v21, v6
	;; [unrolled: 1-line block ×3, first 2 shown]
	s_waitcnt lgkmcnt(8)
	buffer_store_dword v37, off, s[0:3], 0 offset:144
	s_waitcnt lgkmcnt(6)
	buffer_store_dword v38, off, s[0:3], 0 offset:148
	;; [unrolled: 2-line block ×8, first 2 shown]
	s_and_saveexec_b64 s[28:29], vcc
	s_cbranch_execz .LBB2140_211
; %bb.204:                              ;   in Loop: Header=BB2140_184 Depth=1
	v_cmp_eq_u16_sdwa s[36:37], v35, v29 src0_sel:BYTE_0 src1_sel:DWORD
	s_and_saveexec_b64 s[8:9], s[36:37]
	s_cbranch_execz .LBB2140_210
; %bb.205:                              ;   in Loop: Header=BB2140_184 Depth=1
	s_mov_b32 s11, 0
.LBB2140_206:                           ;   Parent Loop BB2140_184 Depth=1
                                        ; =>  This Inner Loop Header: Depth=2
	v_add_u32_e32 v0, s11, v15
	s_add_i32 s11, s11, 8
	s_cmp_lg_u32 s11, 32
	ds_write2_b32 v0, v29, v29 offset1:1
	s_cbranch_scc1 .LBB2140_206
; %bb.207:                              ;   in Loop: Header=BB2140_184 Depth=1
	s_mov_b32 s11, 0
.LBB2140_208:                           ;   Parent Loop BB2140_184 Depth=1
                                        ; =>  This Inner Loop Header: Depth=2
	v_add_u32_e32 v0, s11, v31
	v_add_u32_e32 v1, s11, v32
	buffer_load_dword v2, v0, s[0:3], 0 offen offset:4
	buffer_load_dword v3, v0, s[0:3], 0 offen
	buffer_load_dword v4, v1, s[0:3], 0 offen offset:4
	buffer_load_dword v5, v1, s[0:3], 0 offen
	v_add_u32_e32 v0, s11, v15
	s_add_i32 s11, s11, 8
	s_cmp_lg_u32 s11, 32
	s_waitcnt vmcnt(1)
	v_add_u32_e32 v1, v4, v2
	s_waitcnt vmcnt(0)
	v_add_u32_e32 v2, v5, v3
	ds_write2_b32 v0, v2, v1 offset1:1
	s_cbranch_scc1 .LBB2140_208
; %bb.209:                              ;   in Loop: Header=BB2140_184 Depth=1
	ds_read2_b32 v[0:1], v15 offset1:1
	ds_read2_b32 v[2:3], v15 offset0:2 offset1:3
	ds_read2_b32 v[4:5], v15 offset0:4 offset1:5
	ds_read2_b32 v[6:7], v15 offset0:6 offset1:7
.LBB2140_210:                           ;   in Loop: Header=BB2140_184 Depth=1
	s_or_b64 exec, exec, s[8:9]
	v_and_b32_e32 v35, 1, v35
	v_cmp_eq_u32_e32 vcc, 1, v35
	v_and_b32_e32 v35, 1, v36
	v_cmp_eq_u32_e64 s[8:9], 1, v35
	s_or_b64 s[8:9], vcc, s[8:9]
	v_cndmask_b32_e64 v35, 0, 1, s[8:9]
	buffer_store_byte v35, off, s[0:3], 0 offset:104
	buffer_load_dword v35, off, s[0:3], 0 offset:104
	s_waitcnt lgkmcnt(3)
	buffer_store_dword v1, off, s[0:3], 0 offset:76
	buffer_store_dword v0, off, s[0:3], 0 offset:72
	s_waitcnt lgkmcnt(2)
	buffer_store_dword v3, off, s[0:3], 0 offset:84
	buffer_store_dword v2, off, s[0:3], 0 offset:80
	;; [unrolled: 3-line block ×4, first 2 shown]
.LBB2140_211:                           ;   in Loop: Header=BB2140_184 Depth=1
	s_or_b64 exec, exec, s[28:29]
	ds_bpermute_b32 v37, v23, v0
	s_waitcnt vmcnt(8)
	ds_bpermute_b32 v36, v23, v35
	ds_bpermute_b32 v38, v23, v1
	ds_bpermute_b32 v39, v23, v2
	ds_bpermute_b32 v40, v23, v3
	ds_bpermute_b32 v41, v23, v4
	v_cmp_le_u32_e32 vcc, v22, v34
	ds_bpermute_b32 v42, v23, v5
	ds_bpermute_b32 v43, v23, v6
	;; [unrolled: 1-line block ×3, first 2 shown]
	s_waitcnt lgkmcnt(8)
	buffer_store_dword v37, off, s[0:3], 0 offset:144
	s_waitcnt lgkmcnt(6)
	buffer_store_dword v38, off, s[0:3], 0 offset:148
	;; [unrolled: 2-line block ×8, first 2 shown]
	s_and_saveexec_b64 s[28:29], vcc
	s_cbranch_execz .LBB2140_219
; %bb.212:                              ;   in Loop: Header=BB2140_184 Depth=1
	v_cmp_eq_u16_sdwa s[36:37], v35, v29 src0_sel:BYTE_0 src1_sel:DWORD
	s_and_saveexec_b64 s[8:9], s[36:37]
	s_cbranch_execz .LBB2140_218
; %bb.213:                              ;   in Loop: Header=BB2140_184 Depth=1
	s_mov_b32 s11, 0
.LBB2140_214:                           ;   Parent Loop BB2140_184 Depth=1
                                        ; =>  This Inner Loop Header: Depth=2
	v_add_u32_e32 v0, s11, v15
	s_add_i32 s11, s11, 8
	s_cmp_lg_u32 s11, 32
	ds_write2_b32 v0, v29, v29 offset1:1
	s_cbranch_scc1 .LBB2140_214
; %bb.215:                              ;   in Loop: Header=BB2140_184 Depth=1
	s_mov_b32 s11, 0
.LBB2140_216:                           ;   Parent Loop BB2140_184 Depth=1
                                        ; =>  This Inner Loop Header: Depth=2
	v_add_u32_e32 v0, s11, v31
	v_add_u32_e32 v1, s11, v32
	buffer_load_dword v2, v0, s[0:3], 0 offen offset:4
	buffer_load_dword v3, v0, s[0:3], 0 offen
	buffer_load_dword v4, v1, s[0:3], 0 offen offset:4
	buffer_load_dword v5, v1, s[0:3], 0 offen
	v_add_u32_e32 v0, s11, v15
	s_add_i32 s11, s11, 8
	s_cmp_lg_u32 s11, 32
	s_waitcnt vmcnt(1)
	v_add_u32_e32 v1, v4, v2
	s_waitcnt vmcnt(0)
	v_add_u32_e32 v2, v5, v3
	ds_write2_b32 v0, v2, v1 offset1:1
	s_cbranch_scc1 .LBB2140_216
; %bb.217:                              ;   in Loop: Header=BB2140_184 Depth=1
	ds_read2_b32 v[0:1], v15 offset1:1
	ds_read2_b32 v[2:3], v15 offset0:2 offset1:3
	ds_read2_b32 v[4:5], v15 offset0:4 offset1:5
	;; [unrolled: 1-line block ×3, first 2 shown]
.LBB2140_218:                           ;   in Loop: Header=BB2140_184 Depth=1
	s_or_b64 exec, exec, s[8:9]
	v_and_b32_e32 v35, 1, v35
	v_cmp_eq_u32_e32 vcc, 1, v35
	v_and_b32_e32 v35, 1, v36
	v_cmp_eq_u32_e64 s[8:9], 1, v35
	s_or_b64 s[8:9], vcc, s[8:9]
	v_cndmask_b32_e64 v35, 0, 1, s[8:9]
	buffer_store_byte v35, off, s[0:3], 0 offset:104
	buffer_load_dword v35, off, s[0:3], 0 offset:104
	s_waitcnt lgkmcnt(3)
	buffer_store_dword v1, off, s[0:3], 0 offset:76
	buffer_store_dword v0, off, s[0:3], 0 offset:72
	s_waitcnt lgkmcnt(2)
	buffer_store_dword v3, off, s[0:3], 0 offset:84
	buffer_store_dword v2, off, s[0:3], 0 offset:80
	;; [unrolled: 3-line block ×4, first 2 shown]
.LBB2140_219:                           ;   in Loop: Header=BB2140_184 Depth=1
	s_or_b64 exec, exec, s[28:29]
	ds_bpermute_b32 v37, v25, v0
	s_waitcnt vmcnt(8)
	ds_bpermute_b32 v36, v25, v35
	ds_bpermute_b32 v38, v25, v1
	;; [unrolled: 1-line block ×5, first 2 shown]
	v_cmp_le_u32_e32 vcc, v24, v34
	ds_bpermute_b32 v42, v25, v5
	ds_bpermute_b32 v43, v25, v6
	ds_bpermute_b32 v44, v25, v7
	s_waitcnt lgkmcnt(8)
	buffer_store_dword v37, off, s[0:3], 0 offset:144
	s_waitcnt lgkmcnt(6)
	buffer_store_dword v38, off, s[0:3], 0 offset:148
	;; [unrolled: 2-line block ×8, first 2 shown]
	s_and_saveexec_b64 s[28:29], vcc
	s_cbranch_execz .LBB2140_227
; %bb.220:                              ;   in Loop: Header=BB2140_184 Depth=1
	v_cmp_eq_u16_sdwa s[36:37], v35, v29 src0_sel:BYTE_0 src1_sel:DWORD
	s_and_saveexec_b64 s[8:9], s[36:37]
	s_cbranch_execz .LBB2140_226
; %bb.221:                              ;   in Loop: Header=BB2140_184 Depth=1
	s_mov_b32 s11, 0
.LBB2140_222:                           ;   Parent Loop BB2140_184 Depth=1
                                        ; =>  This Inner Loop Header: Depth=2
	v_add_u32_e32 v0, s11, v15
	s_add_i32 s11, s11, 8
	s_cmp_lg_u32 s11, 32
	ds_write2_b32 v0, v29, v29 offset1:1
	s_cbranch_scc1 .LBB2140_222
; %bb.223:                              ;   in Loop: Header=BB2140_184 Depth=1
	s_mov_b32 s11, 0
.LBB2140_224:                           ;   Parent Loop BB2140_184 Depth=1
                                        ; =>  This Inner Loop Header: Depth=2
	v_add_u32_e32 v0, s11, v31
	v_add_u32_e32 v1, s11, v32
	buffer_load_dword v2, v0, s[0:3], 0 offen offset:4
	buffer_load_dword v3, v0, s[0:3], 0 offen
	buffer_load_dword v4, v1, s[0:3], 0 offen offset:4
	buffer_load_dword v5, v1, s[0:3], 0 offen
	v_add_u32_e32 v0, s11, v15
	s_add_i32 s11, s11, 8
	s_cmp_lg_u32 s11, 32
	s_waitcnt vmcnt(1)
	v_add_u32_e32 v1, v4, v2
	s_waitcnt vmcnt(0)
	v_add_u32_e32 v2, v5, v3
	ds_write2_b32 v0, v2, v1 offset1:1
	s_cbranch_scc1 .LBB2140_224
; %bb.225:                              ;   in Loop: Header=BB2140_184 Depth=1
	ds_read2_b32 v[0:1], v15 offset1:1
	ds_read2_b32 v[2:3], v15 offset0:2 offset1:3
	ds_read2_b32 v[4:5], v15 offset0:4 offset1:5
	;; [unrolled: 1-line block ×3, first 2 shown]
.LBB2140_226:                           ;   in Loop: Header=BB2140_184 Depth=1
	s_or_b64 exec, exec, s[8:9]
	v_and_b32_e32 v35, 1, v35
	v_cmp_eq_u32_e32 vcc, 1, v35
	v_and_b32_e32 v35, 1, v36
	v_cmp_eq_u32_e64 s[8:9], 1, v35
	s_or_b64 s[8:9], vcc, s[8:9]
	v_cndmask_b32_e64 v35, 0, 1, s[8:9]
	buffer_store_byte v35, off, s[0:3], 0 offset:104
	buffer_load_dword v35, off, s[0:3], 0 offset:104
	s_waitcnt lgkmcnt(3)
	buffer_store_dword v1, off, s[0:3], 0 offset:76
	buffer_store_dword v0, off, s[0:3], 0 offset:72
	s_waitcnt lgkmcnt(2)
	buffer_store_dword v3, off, s[0:3], 0 offset:84
	buffer_store_dword v2, off, s[0:3], 0 offset:80
	;; [unrolled: 3-line block ×4, first 2 shown]
.LBB2140_227:                           ;   in Loop: Header=BB2140_184 Depth=1
	s_or_b64 exec, exec, s[28:29]
	ds_bpermute_b32 v37, v27, v0
	s_waitcnt vmcnt(8)
	ds_bpermute_b32 v36, v27, v35
	ds_bpermute_b32 v38, v27, v1
	;; [unrolled: 1-line block ×5, first 2 shown]
	v_cmp_le_u32_e32 vcc, v26, v34
	ds_bpermute_b32 v42, v27, v5
	ds_bpermute_b32 v43, v27, v6
	;; [unrolled: 1-line block ×3, first 2 shown]
	s_waitcnt lgkmcnt(8)
	buffer_store_dword v37, off, s[0:3], 0 offset:144
	s_waitcnt lgkmcnt(6)
	buffer_store_dword v38, off, s[0:3], 0 offset:148
	;; [unrolled: 2-line block ×8, first 2 shown]
	s_and_saveexec_b64 s[28:29], vcc
	s_cbranch_execz .LBB2140_235
; %bb.228:                              ;   in Loop: Header=BB2140_184 Depth=1
	v_cmp_eq_u16_sdwa s[36:37], v35, v29 src0_sel:BYTE_0 src1_sel:DWORD
	s_and_saveexec_b64 s[8:9], s[36:37]
	s_cbranch_execz .LBB2140_234
; %bb.229:                              ;   in Loop: Header=BB2140_184 Depth=1
	s_mov_b32 s11, 0
.LBB2140_230:                           ;   Parent Loop BB2140_184 Depth=1
                                        ; =>  This Inner Loop Header: Depth=2
	v_add_u32_e32 v0, s11, v15
	s_add_i32 s11, s11, 8
	s_cmp_lg_u32 s11, 32
	ds_write2_b32 v0, v29, v29 offset1:1
	s_cbranch_scc1 .LBB2140_230
; %bb.231:                              ;   in Loop: Header=BB2140_184 Depth=1
	s_mov_b32 s11, 0
.LBB2140_232:                           ;   Parent Loop BB2140_184 Depth=1
                                        ; =>  This Inner Loop Header: Depth=2
	v_add_u32_e32 v0, s11, v31
	v_add_u32_e32 v1, s11, v32
	buffer_load_dword v2, v0, s[0:3], 0 offen offset:4
	buffer_load_dword v3, v0, s[0:3], 0 offen
	buffer_load_dword v4, v1, s[0:3], 0 offen offset:4
	buffer_load_dword v5, v1, s[0:3], 0 offen
	v_add_u32_e32 v0, s11, v15
	s_add_i32 s11, s11, 8
	s_cmp_lg_u32 s11, 32
	s_waitcnt vmcnt(1)
	v_add_u32_e32 v1, v4, v2
	s_waitcnt vmcnt(0)
	v_add_u32_e32 v2, v5, v3
	ds_write2_b32 v0, v2, v1 offset1:1
	s_cbranch_scc1 .LBB2140_232
; %bb.233:                              ;   in Loop: Header=BB2140_184 Depth=1
	ds_read2_b32 v[0:1], v15 offset1:1
	ds_read2_b32 v[2:3], v15 offset0:2 offset1:3
	ds_read2_b32 v[4:5], v15 offset0:4 offset1:5
	ds_read2_b32 v[6:7], v15 offset0:6 offset1:7
.LBB2140_234:                           ;   in Loop: Header=BB2140_184 Depth=1
	s_or_b64 exec, exec, s[8:9]
	v_and_b32_e32 v35, 1, v35
	v_cmp_eq_u32_e32 vcc, 1, v35
	v_and_b32_e32 v35, 1, v36
	v_cmp_eq_u32_e64 s[8:9], 1, v35
	s_or_b64 s[8:9], vcc, s[8:9]
	v_cndmask_b32_e64 v35, 0, 1, s[8:9]
	buffer_store_byte v35, off, s[0:3], 0 offset:104
	buffer_load_dword v35, off, s[0:3], 0 offset:104
	s_waitcnt lgkmcnt(3)
	buffer_store_dword v1, off, s[0:3], 0 offset:76
	buffer_store_dword v0, off, s[0:3], 0 offset:72
	s_waitcnt lgkmcnt(2)
	buffer_store_dword v3, off, s[0:3], 0 offset:84
	buffer_store_dword v2, off, s[0:3], 0 offset:80
	;; [unrolled: 3-line block ×4, first 2 shown]
.LBB2140_235:                           ;   in Loop: Header=BB2140_184 Depth=1
	s_or_b64 exec, exec, s[28:29]
	ds_bpermute_b32 v37, v9, v0
	s_waitcnt vmcnt(8)
	ds_bpermute_b32 v36, v9, v35
	ds_bpermute_b32 v38, v9, v1
	;; [unrolled: 1-line block ×4, first 2 shown]
	v_cmp_le_u32_e32 vcc, v28, v34
	v_and_b32_e32 v34, 1, v35
	ds_bpermute_b32 v41, v9, v4
	v_cmp_eq_u32_e64 s[8:9], 1, v34
	ds_bpermute_b32 v42, v9, v5
	ds_bpermute_b32 v43, v9, v6
	;; [unrolled: 1-line block ×3, first 2 shown]
	s_waitcnt lgkmcnt(8)
	buffer_store_dword v37, off, s[0:3], 0 offset:144
	s_waitcnt lgkmcnt(6)
	buffer_store_dword v38, off, s[0:3], 0 offset:148
	;; [unrolled: 2-line block ×8, first 2 shown]
	s_and_saveexec_b64 s[28:29], vcc
	s_cbranch_execz .LBB2140_243
; %bb.236:                              ;   in Loop: Header=BB2140_184 Depth=1
	v_cmp_eq_u16_sdwa s[40:41], v35, v29 src0_sel:BYTE_0 src1_sel:DWORD
	s_and_saveexec_b64 s[36:37], s[40:41]
	s_cbranch_execz .LBB2140_242
; %bb.237:                              ;   in Loop: Header=BB2140_184 Depth=1
	s_mov_b32 s11, 0
.LBB2140_238:                           ;   Parent Loop BB2140_184 Depth=1
                                        ; =>  This Inner Loop Header: Depth=2
	v_add_u32_e32 v0, s11, v15
	s_add_i32 s11, s11, 8
	s_cmp_lg_u32 s11, 32
	ds_write2_b32 v0, v29, v29 offset1:1
	s_cbranch_scc1 .LBB2140_238
; %bb.239:                              ;   in Loop: Header=BB2140_184 Depth=1
	s_mov_b32 s11, 0
.LBB2140_240:                           ;   Parent Loop BB2140_184 Depth=1
                                        ; =>  This Inner Loop Header: Depth=2
	v_add_u32_e32 v0, s11, v31
	v_add_u32_e32 v1, s11, v32
	buffer_load_dword v2, v0, s[0:3], 0 offen offset:4
	buffer_load_dword v3, v0, s[0:3], 0 offen
	buffer_load_dword v4, v1, s[0:3], 0 offen offset:4
	buffer_load_dword v5, v1, s[0:3], 0 offen
	v_add_u32_e32 v0, s11, v15
	s_add_i32 s11, s11, 8
	s_cmp_lg_u32 s11, 32
	s_waitcnt vmcnt(1)
	v_add_u32_e32 v1, v4, v2
	s_waitcnt vmcnt(0)
	v_add_u32_e32 v2, v5, v3
	ds_write2_b32 v0, v2, v1 offset1:1
	s_cbranch_scc1 .LBB2140_240
; %bb.241:                              ;   in Loop: Header=BB2140_184 Depth=1
	ds_read2_b32 v[0:1], v15 offset1:1
	ds_read2_b32 v[2:3], v15 offset0:2 offset1:3
	ds_read2_b32 v[4:5], v15 offset0:4 offset1:5
	;; [unrolled: 1-line block ×3, first 2 shown]
.LBB2140_242:                           ;   in Loop: Header=BB2140_184 Depth=1
	s_or_b64 exec, exec, s[36:37]
	v_and_b32_e32 v34, 1, v36
	v_cmp_eq_u32_e32 vcc, 1, v34
	s_or_b64 s[36:37], s[8:9], vcc
	v_cndmask_b32_e64 v34, 0, 1, s[36:37]
	s_andn2_b64 s[8:9], s[8:9], exec
	s_and_b64 s[36:37], s[36:37], exec
	s_or_b64 s[8:9], s[8:9], s[36:37]
	s_waitcnt lgkmcnt(3)
	buffer_store_dword v1, off, s[0:3], 0 offset:76
	buffer_store_dword v0, off, s[0:3], 0 offset:72
	s_waitcnt lgkmcnt(2)
	buffer_store_dword v3, off, s[0:3], 0 offset:84
	buffer_store_dword v2, off, s[0:3], 0 offset:80
	s_waitcnt lgkmcnt(1)
	buffer_store_dword v5, off, s[0:3], 0 offset:92
	buffer_store_dword v4, off, s[0:3], 0 offset:88
	s_waitcnt lgkmcnt(0)
	buffer_store_dword v7, off, s[0:3], 0 offset:100
	buffer_store_dword v6, off, s[0:3], 0 offset:96
	buffer_store_byte v34, off, s[0:3], 0 offset:104
.LBB2140_243:                           ;   in Loop: Header=BB2140_184 Depth=1
	s_or_b64 exec, exec, s[28:29]
	buffer_load_ubyte v34, off, s[0:3], 0 offset:68
                                        ; implicit-def: $vgpr6_vgpr7
                                        ; implicit-def: $vgpr4_vgpr5
                                        ; implicit-def: $vgpr2_vgpr3
                                        ; implicit-def: $vgpr0_vgpr1
	s_waitcnt vmcnt(0)
	v_cmp_ne_u16_e32 vcc, 0, v34
	s_and_saveexec_b64 s[28:29], vcc
	s_xor_b64 s[28:29], exec, s[28:29]
	s_cbranch_execz .LBB2140_245
; %bb.244:                              ;   in Loop: Header=BB2140_184 Depth=1
	buffer_load_dword v0, off, s[0:3], 0 offset:36
	buffer_load_dword v1, off, s[0:3], 0 offset:40
	;; [unrolled: 1-line block ×8, first 2 shown]
.LBB2140_245:                           ;   in Loop: Header=BB2140_184 Depth=1
	s_andn2_saveexec_b64 s[28:29], s[28:29]
	s_cbranch_execz .LBB2140_251
; %bb.246:                              ;   in Loop: Header=BB2140_184 Depth=1
	s_mov_b32 s11, 0
	s_waitcnt vmcnt(0)
.LBB2140_247:                           ;   Parent Loop BB2140_184 Depth=1
                                        ; =>  This Inner Loop Header: Depth=2
	v_add_u32_e32 v0, s11, v31
	s_add_i32 s11, s11, 8
	s_cmp_lg_u32 s11, 32
	buffer_store_dword v29, v0, s[0:3], 0 offen offset:4
	buffer_store_dword v29, v0, s[0:3], 0 offen
	s_cbranch_scc1 .LBB2140_247
; %bb.248:                              ;   in Loop: Header=BB2140_184 Depth=1
	s_mov_b32 s11, 0
.LBB2140_249:                           ;   Parent Loop BB2140_184 Depth=1
                                        ; =>  This Inner Loop Header: Depth=2
	v_add_u32_e32 v0, s11, v32
	v_add_u32_e32 v1, s11, v33
	buffer_load_dword v2, v0, s[0:3], 0 offen offset:4
	buffer_load_dword v3, v1, s[0:3], 0 offen
	buffer_load_dword v4, v0, s[0:3], 0 offen
	buffer_load_dword v5, v1, s[0:3], 0 offen offset:4
	v_add_u32_e32 v0, s11, v31
	s_add_i32 s11, s11, 8
	s_cmp_lg_u32 s11, 32
	s_waitcnt vmcnt(1)
	v_add_u32_e32 v1, v3, v4
	s_waitcnt vmcnt(0)
	v_add_u32_e32 v2, v5, v2
	buffer_store_dword v2, v0, s[0:3], 0 offen offset:4
	buffer_store_dword v1, v0, s[0:3], 0 offen
	s_cbranch_scc1 .LBB2140_249
; %bb.250:                              ;   in Loop: Header=BB2140_184 Depth=1
	buffer_load_dword v0, off, s[0:3], 0 offset:144
	buffer_load_dword v1, off, s[0:3], 0 offset:148
	;; [unrolled: 1-line block ×8, first 2 shown]
.LBB2140_251:                           ;   in Loop: Header=BB2140_184 Depth=1
	s_or_b64 exec, exec, s[28:29]
	v_and_b32_e32 v34, 1, v34
	v_cmp_eq_u32_e32 vcc, 1, v34
	s_or_b64 s[8:9], vcc, s[8:9]
	v_subrev_u32_e32 v10, 64, v10
	v_cndmask_b32_e64 v34, 0, 1, s[8:9]
	s_waitcnt vmcnt(6)
	buffer_store_dword v1, off, s[0:3], 0 offset:40
	buffer_store_dword v0, off, s[0:3], 0 offset:36
	s_waitcnt vmcnt(6)
	buffer_store_dword v3, off, s[0:3], 0 offset:48
	buffer_store_dword v2, off, s[0:3], 0 offset:44
	;; [unrolled: 3-line block ×4, first 2 shown]
	buffer_store_byte v34, off, s[0:3], 0 offset:68
	s_branch .LBB2140_184
.LBB2140_252:
	buffer_load_dword v1, off, s[0:3], 0 offset:40
	buffer_load_dword v0, off, s[0:3], 0 offset:36
	;; [unrolled: 1-line block ×9, first 2 shown]
	s_waitcnt vmcnt(8)
	buffer_store_dword v1, off, s[0:3], 0 offset:148
	s_waitcnt vmcnt(8)
	buffer_store_dword v0, off, s[0:3], 0 offset:144
	;; [unrolled: 2-line block ×9, first 2 shown]
	s_and_saveexec_b64 s[8:9], s[6:7]
	s_cbranch_execz .LBB2140_262
; %bb.253:
	buffer_load_ubyte v10, off, s[0:3], 0 offset:140
                                        ; implicit-def: $vgpr2_vgpr3
                                        ; implicit-def: $vgpr6_vgpr7
	s_waitcnt vmcnt(0)
	v_cmp_ne_u16_e32 vcc, 0, v10
	s_and_saveexec_b64 s[6:7], vcc
	s_xor_b64 s[6:7], exec, s[6:7]
	s_cbranch_execz .LBB2140_255
; %bb.254:
	buffer_load_dword v4, off, s[0:3], 0 offset:108
	buffer_load_dword v5, off, s[0:3], 0 offset:112
	;; [unrolled: 1-line block ×8, first 2 shown]
.LBB2140_255:
	s_andn2_saveexec_b64 s[6:7], s[6:7]
	s_cbranch_execz .LBB2140_261
; %bb.256:
	s_mov_b32 s11, 0
	s_waitcnt vmcnt(3)
	v_mov_b32_e32 v0, 0
	s_waitcnt vmcnt(2)
	v_mov_b32_e32 v1, 0
	s_waitcnt vmcnt(0)
.LBB2140_257:                           ; =>This Inner Loop Header: Depth=1
	v_add_u32_e32 v2, s11, v0
	s_add_i32 s11, s11, 8
	s_cmp_lg_u32 s11, 32
	buffer_store_dword v1, v2, s[0:3], 0 offen offset:4
	buffer_store_dword v1, v2, s[0:3], 0 offen
	s_cbranch_scc1 .LBB2140_257
; %bb.258:
	s_mov_b32 s11, 0
	v_mov_b32_e32 v0, 0x90
	v_mov_b32_e32 v1, 0x6c
	;; [unrolled: 1-line block ×3, first 2 shown]
.LBB2140_259:                           ; =>This Inner Loop Header: Depth=1
	v_add_u32_e32 v3, s11, v0
	v_add_u32_e32 v4, s11, v1
	buffer_load_dword v5, v3, s[0:3], 0 offen offset:4
	buffer_load_dword v6, v4, s[0:3], 0 offen
	buffer_load_dword v7, v3, s[0:3], 0 offen
	buffer_load_dword v12, v4, s[0:3], 0 offen offset:4
	v_add_u32_e32 v3, s11, v2
	s_add_i32 s11, s11, 8
	s_cmp_lg_u32 s11, 32
	s_waitcnt vmcnt(1)
	v_add_u32_e32 v4, v6, v7
	s_waitcnt vmcnt(0)
	v_add_u32_e32 v5, v12, v5
	buffer_store_dword v5, v3, s[0:3], 0 offen offset:4
	buffer_store_dword v4, v3, s[0:3], 0 offen
	s_cbranch_scc1 .LBB2140_259
; %bb.260:
	buffer_load_dword v4, off, s[0:3], 0
	buffer_load_dword v5, off, s[0:3], 0 offset:4
	buffer_load_dword v6, off, s[0:3], 0 offset:8
	;; [unrolled: 1-line block ×7, first 2 shown]
.LBB2140_261:
	s_or_b64 exec, exec, s[6:7]
	s_add_i32 s10, s10, 64
	s_mul_i32 s6, s10, 36
	s_mul_hi_u32 s7, s10, 36
	s_add_u32 s6, s18, s6
	v_or_b32_e32 v9, v10, v9
	s_addc_u32 s7, s19, s7
	v_mov_b32_e32 v10, 0
	v_and_b32_e32 v9, 1, v9
	s_waitcnt vmcnt(4)
	global_store_dwordx4 v10, v[4:7], s[6:7]
	s_waitcnt vmcnt(1)
	global_store_dwordx4 v10, v[0:3], s[6:7] offset:16
	global_store_byte v10, v9, s[6:7] offset:32
	v_mov_b32_e32 v0, s10
	v_mov_b32_e32 v1, 2
	s_waitcnt vmcnt(0)
	buffer_wbinvl1_vol
	global_store_byte v0, v1, s[20:21]
	buffer_load_dword v0, off, s[0:3], 0 offset:144
	s_nop 0
	buffer_load_dword v1, off, s[0:3], 0 offset:148
	buffer_load_dword v2, off, s[0:3], 0 offset:152
	;; [unrolled: 1-line block ×7, first 2 shown]
	buffer_load_ubyte v9, off, s[0:3], 0 offset:176
.LBB2140_262:
	s_or_b64 exec, exec, s[8:9]
	v_cmp_eq_u32_e32 vcc, 0, v8
	s_and_b64 exec, exec, vcc
	s_cbranch_execz .LBB2140_264
; %bb.263:
	v_mov_b32_e32 v10, 0
	s_waitcnt vmcnt(7)
	ds_write2_b32 v10, v0, v1 offset0:27 offset1:28
	s_waitcnt vmcnt(5)
	ds_write2_b32 v10, v2, v3 offset0:29 offset1:30
	;; [unrolled: 2-line block ×4, first 2 shown]
	s_waitcnt vmcnt(0)
	ds_write_b8 v10, v9 offset:140
.LBB2140_264:
	s_or_b64 exec, exec, s[26:27]
	s_waitcnt lgkmcnt(0)
	s_barrier
	buffer_load_ubyte v10, off, s[0:3], 0 offset:320
	s_waitcnt vmcnt(9)
	v_mov_b32_e32 v0, 0
	s_waitcnt vmcnt(6)
	ds_read2_b32 v[2:3], v0 offset0:27 offset1:28
	s_waitcnt vmcnt(1)
	ds_read_b32 v9, v0 offset:140
	ds_read2_b32 v[4:5], v0 offset0:29 offset1:30
	ds_read2_b32 v[6:7], v0 offset0:31 offset1:32
	;; [unrolled: 1-line block ×3, first 2 shown]
	v_cmp_ne_u32_e32 vcc, 0, v8
	s_waitcnt lgkmcnt(4)
	buffer_store_dword v3, off, s[0:3], 0 offset:148
	buffer_store_dword v2, off, s[0:3], 0 offset:144
	s_waitcnt lgkmcnt(2)
	buffer_store_dword v5, off, s[0:3], 0 offset:156
	buffer_store_dword v4, off, s[0:3], 0 offset:152
	s_waitcnt lgkmcnt(1)
	buffer_store_dword v7, off, s[0:3], 0 offset:164
	buffer_store_dword v6, off, s[0:3], 0 offset:160
	s_waitcnt lgkmcnt(0)
	buffer_store_dword v13, off, s[0:3], 0 offset:172
	buffer_store_dword v12, off, s[0:3], 0 offset:168
	buffer_store_dword v9, off, s[0:3], 0 offset:176
	s_and_saveexec_b64 s[6:7], vcc
	s_cbranch_execz .LBB2140_274
; %bb.265:
	s_waitcnt vmcnt(9)
	v_cmp_ne_u16_sdwa s[8:9], v10, v0 src0_sel:BYTE_0 src1_sel:DWORD
                                        ; implicit-def: $vgpr6_vgpr7
                                        ; implicit-def: $vgpr4_vgpr5
                                        ; implicit-def: $vgpr2_vgpr3
                                        ; implicit-def: $vgpr0_vgpr1
	s_and_saveexec_b64 s[10:11], s[8:9]
	s_xor_b64 s[8:9], exec, s[10:11]
	s_cbranch_execz .LBB2140_267
; %bb.266:
	buffer_load_dword v0, off, s[0:3], 0 offset:288
	buffer_load_dword v1, off, s[0:3], 0 offset:292
	;; [unrolled: 1-line block ×8, first 2 shown]
.LBB2140_267:
	s_andn2_saveexec_b64 s[8:9], s[8:9]
	s_cbranch_execz .LBB2140_273
; %bb.268:
	s_mov_b32 s10, 0
	s_waitcnt vmcnt(7)
	v_mov_b32_e32 v0, 0
	s_waitcnt vmcnt(6)
	v_mov_b32_e32 v1, 0
	s_waitcnt vmcnt(0)
.LBB2140_269:                           ; =>This Inner Loop Header: Depth=1
	v_add_u32_e32 v2, s10, v0
	s_add_i32 s10, s10, 8
	s_cmp_lg_u32 s10, 32
	buffer_store_dword v1, v2, s[0:3], 0 offen offset:4
	buffer_store_dword v1, v2, s[0:3], 0 offen
	s_cbranch_scc1 .LBB2140_269
; %bb.270:
	s_mov_b32 s10, 0
	v_mov_b32_e32 v0, 0xf0
	v_mov_b32_e32 v1, 0x120
	;; [unrolled: 1-line block ×3, first 2 shown]
.LBB2140_271:                           ; =>This Inner Loop Header: Depth=1
	v_add_u32_e32 v3, s10, v0
	v_add_u32_e32 v4, s10, v1
	buffer_load_dword v5, v3, s[0:3], 0 offen offset:4
	buffer_load_dword v6, v4, s[0:3], 0 offen
	buffer_load_dword v7, v3, s[0:3], 0 offen
	buffer_load_dword v12, v4, s[0:3], 0 offen offset:4
	v_add_u32_e32 v3, s10, v2
	s_add_i32 s10, s10, 8
	s_cmp_lg_u32 s10, 32
	s_waitcnt vmcnt(1)
	v_add_u32_e32 v4, v6, v7
	s_waitcnt vmcnt(0)
	v_add_u32_e32 v5, v12, v5
	buffer_store_dword v5, v3, s[0:3], 0 offen offset:4
	buffer_store_dword v4, v3, s[0:3], 0 offen
	s_cbranch_scc1 .LBB2140_271
; %bb.272:
	buffer_load_dword v0, off, s[0:3], 0
	buffer_load_dword v1, off, s[0:3], 0 offset:4
	buffer_load_dword v2, off, s[0:3], 0 offset:8
	;; [unrolled: 1-line block ×7, first 2 shown]
.LBB2140_273:
	s_or_b64 exec, exec, s[8:9]
	v_and_b32_e32 v10, 1, v10
	v_cmp_eq_u32_e32 vcc, 1, v10
	s_or_b64 s[8:9], vcc, s[12:13]
	v_cndmask_b32_e64 v10, 0, 1, s[8:9]
	s_waitcnt vmcnt(6)
	buffer_store_dword v1, off, s[0:3], 0 offset:292
	buffer_store_dword v0, off, s[0:3], 0 offset:288
	s_waitcnt vmcnt(6)
	buffer_store_dword v3, off, s[0:3], 0 offset:300
	buffer_store_dword v2, off, s[0:3], 0 offset:296
	;; [unrolled: 3-line block ×4, first 2 shown]
.LBB2140_274:
	s_or_b64 exec, exec, s[6:7]
	v_mov_b32_e32 v0, 0
	s_waitcnt vmcnt(9)
	v_cmp_ne_u16_sdwa s[6:7], v10, v0 src0_sel:BYTE_0 src1_sel:DWORD
                                        ; implicit-def: $vgpr6_vgpr7
                                        ; implicit-def: $vgpr4_vgpr5
                                        ; implicit-def: $vgpr2_vgpr3
                                        ; implicit-def: $vgpr0_vgpr1
	s_and_saveexec_b64 s[8:9], s[6:7]
	s_xor_b64 s[6:7], exec, s[8:9]
	s_cbranch_execz .LBB2140_276
; %bb.275:
	buffer_load_dword v0, off, s[0:3], 0 offset:288
	buffer_load_dword v1, off, s[0:3], 0 offset:292
	;; [unrolled: 1-line block ×8, first 2 shown]
.LBB2140_276:
	s_andn2_saveexec_b64 s[6:7], s[6:7]
	s_cbranch_execz .LBB2140_282
; %bb.277:
	s_mov_b32 s8, 0
	s_waitcnt vmcnt(7)
	v_mov_b32_e32 v0, 0
	s_waitcnt vmcnt(6)
	v_mov_b32_e32 v1, 0
	s_waitcnt vmcnt(0)
.LBB2140_278:                           ; =>This Inner Loop Header: Depth=1
	v_add_u32_e32 v2, s8, v0
	s_add_i32 s8, s8, 8
	s_cmp_lg_u32 s8, 32
	buffer_store_dword v1, v2, s[0:3], 0 offen offset:4
	buffer_store_dword v1, v2, s[0:3], 0 offen
	s_cbranch_scc1 .LBB2140_278
; %bb.279:
	s_mov_b32 s8, 0
	v_mov_b32_e32 v0, 0x90
	v_mov_b32_e32 v1, 0x120
	;; [unrolled: 1-line block ×3, first 2 shown]
.LBB2140_280:                           ; =>This Inner Loop Header: Depth=1
	v_add_u32_e32 v3, s8, v0
	v_add_u32_e32 v4, s8, v1
	buffer_load_dword v5, v3, s[0:3], 0 offen offset:4
	buffer_load_dword v6, v4, s[0:3], 0 offen
	buffer_load_dword v7, v3, s[0:3], 0 offen
	buffer_load_dword v12, v4, s[0:3], 0 offen offset:4
	v_add_u32_e32 v3, s8, v2
	s_add_i32 s8, s8, 8
	s_cmp_lg_u32 s8, 32
	s_waitcnt vmcnt(1)
	v_add_u32_e32 v4, v6, v7
	s_waitcnt vmcnt(0)
	v_add_u32_e32 v5, v12, v5
	buffer_store_dword v5, v3, s[0:3], 0 offen offset:4
	buffer_store_dword v4, v3, s[0:3], 0 offen
	s_cbranch_scc1 .LBB2140_280
; %bb.281:
	buffer_load_dword v0, off, s[0:3], 0
	buffer_load_dword v1, off, s[0:3], 0 offset:4
	buffer_load_dword v2, off, s[0:3], 0 offset:8
	;; [unrolled: 1-line block ×7, first 2 shown]
.LBB2140_282:
	s_or_b64 exec, exec, s[6:7]
	buffer_load_ubyte v12, off, s[0:3], 0 offset:356
	v_or_b32_e32 v9, v10, v9
	v_and_b32_e32 v9, 1, v9
	v_cmp_eq_u32_e32 vcc, 1, v9
	s_waitcnt vmcnt(7)
	buffer_store_dword v1, off, s[0:3], 0 offset:292
	buffer_store_dword v0, off, s[0:3], 0 offset:288
	s_waitcnt vmcnt(7)
	buffer_store_dword v3, off, s[0:3], 0 offset:300
	buffer_store_dword v2, off, s[0:3], 0 offset:296
	;; [unrolled: 3-line block ×4, first 2 shown]
	buffer_store_byte v9, off, s[0:3], 0 offset:320
                                        ; implicit-def: $vgpr6_vgpr7
                                        ; implicit-def: $vgpr4_vgpr5
                                        ; implicit-def: $vgpr2_vgpr3
                                        ; implicit-def: $vgpr0_vgpr1
	s_waitcnt vmcnt(9)
	v_cmp_ne_u16_e64 s[6:7], 0, v12
	s_and_saveexec_b64 s[8:9], s[6:7]
	s_xor_b64 s[6:7], exec, s[8:9]
	s_cbranch_execz .LBB2140_284
; %bb.283:
	buffer_load_dword v0, off, s[0:3], 0 offset:324
	buffer_load_dword v1, off, s[0:3], 0 offset:328
	;; [unrolled: 1-line block ×8, first 2 shown]
.LBB2140_284:
	s_andn2_saveexec_b64 s[6:7], s[6:7]
	s_cbranch_execz .LBB2140_290
; %bb.285:
	s_mov_b32 s8, 0
	s_waitcnt vmcnt(7)
	v_mov_b32_e32 v0, 0
	s_waitcnt vmcnt(6)
	v_mov_b32_e32 v1, 0
	s_waitcnt vmcnt(0)
.LBB2140_286:                           ; =>This Inner Loop Header: Depth=1
	v_add_u32_e32 v2, s8, v0
	s_add_i32 s8, s8, 8
	s_cmp_lg_u32 s8, 32
	buffer_store_dword v1, v2, s[0:3], 0 offen offset:4
	buffer_store_dword v1, v2, s[0:3], 0 offen
	s_cbranch_scc1 .LBB2140_286
; %bb.287:
	s_mov_b32 s8, 0
	v_mov_b32_e32 v0, 0x120
	v_mov_b32_e32 v1, 0
.LBB2140_288:                           ; =>This Inner Loop Header: Depth=1
	v_add_u32_e32 v2, s8, v0
	buffer_load_dword v3, v2, s[0:3], 0 offen
	buffer_load_dword v4, v2, s[0:3], 0 offen offset:4
	buffer_load_dword v5, v2, s[0:3], 0 offen offset:36
	;; [unrolled: 1-line block ×3, first 2 shown]
	v_add_u32_e32 v2, s8, v1
	s_add_i32 s8, s8, 8
	s_cmp_lg_u32 s8, 32
	s_waitcnt vmcnt(1)
	v_add_u32_e32 v3, v5, v3
	s_waitcnt vmcnt(0)
	v_add_u32_e32 v4, v6, v4
	buffer_store_dword v4, v2, s[0:3], 0 offen offset:4
	buffer_store_dword v3, v2, s[0:3], 0 offen
	s_cbranch_scc1 .LBB2140_288
; %bb.289:
	buffer_load_dword v0, off, s[0:3], 0
	buffer_load_dword v1, off, s[0:3], 0 offset:4
	buffer_load_dword v2, off, s[0:3], 0 offset:8
	;; [unrolled: 1-line block ×7, first 2 shown]
.LBB2140_290:
	s_or_b64 exec, exec, s[6:7]
	buffer_load_ubyte v9, off, s[0:3], 0 offset:392
	v_and_b32_e32 v10, 1, v12
	v_cmp_eq_u32_e64 s[6:7], 1, v10
	s_or_b64 s[6:7], s[6:7], vcc
	v_cndmask_b32_e64 v10, 0, 1, s[6:7]
	s_waitcnt vmcnt(7)
	buffer_store_dword v1, off, s[0:3], 0 offset:328
	buffer_store_dword v0, off, s[0:3], 0 offset:324
	s_waitcnt vmcnt(7)
	buffer_store_dword v3, off, s[0:3], 0 offset:336
	buffer_store_dword v2, off, s[0:3], 0 offset:332
	;; [unrolled: 3-line block ×4, first 2 shown]
	buffer_store_byte v10, off, s[0:3], 0 offset:356
                                        ; implicit-def: $vgpr6_vgpr7
                                        ; implicit-def: $vgpr4_vgpr5
                                        ; implicit-def: $vgpr2_vgpr3
                                        ; implicit-def: $vgpr0_vgpr1
	s_waitcnt vmcnt(9)
	v_cmp_ne_u16_e32 vcc, 0, v9
	s_and_saveexec_b64 s[8:9], vcc
	s_xor_b64 s[8:9], exec, s[8:9]
	s_cbranch_execz .LBB2140_292
; %bb.291:
	buffer_load_dword v0, off, s[0:3], 0 offset:360
	buffer_load_dword v1, off, s[0:3], 0 offset:364
	;; [unrolled: 1-line block ×8, first 2 shown]
.LBB2140_292:
	s_andn2_saveexec_b64 s[8:9], s[8:9]
	s_cbranch_execz .LBB2140_298
; %bb.293:
	s_mov_b32 s10, 0
	s_waitcnt vmcnt(7)
	v_mov_b32_e32 v0, 0
	s_waitcnt vmcnt(6)
	v_mov_b32_e32 v1, 0
	s_waitcnt vmcnt(0)
.LBB2140_294:                           ; =>This Inner Loop Header: Depth=1
	v_add_u32_e32 v2, s10, v0
	s_add_i32 s10, s10, 8
	s_cmp_lg_u32 s10, 32
	buffer_store_dword v1, v2, s[0:3], 0 offen offset:4
	buffer_store_dword v1, v2, s[0:3], 0 offen
	s_cbranch_scc1 .LBB2140_294
; %bb.295:
	s_mov_b32 s10, 0
	v_mov_b32_e32 v0, 0x120
	v_mov_b32_e32 v1, 0
.LBB2140_296:                           ; =>This Inner Loop Header: Depth=1
	v_add_u32_e32 v2, s10, v0
	buffer_load_dword v3, v2, s[0:3], 0 offen offset:36
	buffer_load_dword v4, v2, s[0:3], 0 offen offset:40
	;; [unrolled: 1-line block ×4, first 2 shown]
	v_add_u32_e32 v2, s10, v1
	s_add_i32 s10, s10, 8
	s_cmp_lg_u32 s10, 32
	s_waitcnt vmcnt(1)
	v_add_u32_e32 v3, v5, v3
	s_waitcnt vmcnt(0)
	v_add_u32_e32 v4, v6, v4
	buffer_store_dword v4, v2, s[0:3], 0 offen offset:4
	buffer_store_dword v3, v2, s[0:3], 0 offen
	s_cbranch_scc1 .LBB2140_296
; %bb.297:
	buffer_load_dword v0, off, s[0:3], 0
	buffer_load_dword v1, off, s[0:3], 0 offset:4
	buffer_load_dword v2, off, s[0:3], 0 offset:8
	buffer_load_dword v3, off, s[0:3], 0 offset:12
	buffer_load_dword v4, off, s[0:3], 0 offset:16
	buffer_load_dword v5, off, s[0:3], 0 offset:20
	buffer_load_dword v6, off, s[0:3], 0 offset:24
	buffer_load_dword v7, off, s[0:3], 0 offset:28
.LBB2140_298:
	s_or_b64 exec, exec, s[8:9]
	v_and_b32_e32 v9, 1, v9
	v_cmp_eq_u32_e32 vcc, 1, v9
	s_or_b64 s[6:7], vcc, s[6:7]
	v_cndmask_b32_e64 v9, 0, 1, s[6:7]
	s_waitcnt vmcnt(6)
	buffer_store_dword v1, off, s[0:3], 0 offset:364
	buffer_store_dword v0, off, s[0:3], 0 offset:360
	s_waitcnt vmcnt(6)
	buffer_store_dword v3, off, s[0:3], 0 offset:372
	buffer_store_dword v2, off, s[0:3], 0 offset:368
	;; [unrolled: 3-line block ×4, first 2 shown]
	buffer_store_byte v9, off, s[0:3], 0 offset:392
	s_branch .LBB2140_476
.LBB2140_299:
	v_pk_mov_b32 v[0:1], s[26:27], s[26:27] op_sel:[0,1]
	flat_load_dword v1, v[0:1]
	s_add_i32 s50, s23, s22
	v_cmp_gt_u32_e64 s[12:13], s50, v8
	s_waitcnt vmcnt(0) lgkmcnt(0)
	v_mov_b32_e32 v0, v1
	s_and_saveexec_b64 s[6:7], s[12:13]
	s_cbranch_execz .LBB2140_301
; %bb.300:
	v_lshlrev_b32_e32 v0, 2, v8
	v_mov_b32_e32 v5, s27
	v_add_co_u32_e32 v4, vcc, s26, v0
	v_addc_co_u32_e32 v5, vcc, 0, v5, vcc
	flat_load_dword v0, v[4:5]
.LBB2140_301:
	s_or_b64 exec, exec, s[6:7]
	v_or_b32_e32 v7, 0x100, v8
	v_cmp_gt_u32_e64 s[8:9], s50, v7
	v_mov_b32_e32 v4, v1
	s_and_saveexec_b64 s[6:7], s[8:9]
	s_cbranch_execz .LBB2140_303
; %bb.302:
	v_lshlrev_b32_e32 v4, 2, v8
	v_mov_b32_e32 v5, s27
	v_add_co_u32_e32 v4, vcc, s26, v4
	v_addc_co_u32_e32 v5, vcc, 0, v5, vcc
	flat_load_dword v4, v[4:5] offset:1024
.LBB2140_303:
	s_or_b64 exec, exec, s[6:7]
	v_or_b32_e32 v6, 0x200, v8
	v_cmp_gt_u32_e64 s[6:7], s50, v6
	v_cmp_le_u32_e32 vcc, s50, v6
	s_and_saveexec_b64 s[36:37], vcc
	s_xor_b64 s[36:37], exec, s[36:37]
; %bb.304:
	v_mov_b32_e32 v9, 0
; %bb.305:
	s_andn2_saveexec_b64 s[36:37], s[36:37]
	s_cbranch_execz .LBB2140_307
; %bb.306:
	v_lshlrev_b32_e32 v1, 2, v8
	v_mov_b32_e32 v5, s27
	v_add_co_u32_e32 v12, vcc, s26, v1
	v_addc_co_u32_e32 v13, vcc, 0, v5, vcc
	flat_load_dword v1, v[12:13] offset:2048
	v_mov_b32_e32 v9, 0
.LBB2140_307:
	s_or_b64 exec, exec, s[36:37]
	v_lshlrev_b32_e32 v5, 2, v8
	v_lshlrev_b32_e32 v10, 3, v8
	v_add_u32_e32 v12, v5, v10
	s_waitcnt vmcnt(0) lgkmcnt(0)
	ds_write2st64_b32 v5, v0, v4 offset1:4
	ds_write_b32 v5, v1 offset:2048
	s_waitcnt lgkmcnt(0)
	s_barrier
	ds_read2_b32 v[0:1], v12 offset1:1
	ds_read_b32 v4, v12 offset:8
	s_cmp_eq_u64 s[28:29], 0
	s_mov_b64 s[36:37], s[26:27]
	s_cbranch_scc1 .LBB2140_311
; %bb.308:
	s_andn2_b64 vcc, exec, s[40:41]
	s_cbranch_vccnz .LBB2140_499
; %bb.309:
	s_lshl_b64 s[36:37], s[28:29], 2
	s_add_u32 s36, s42, s36
	s_addc_u32 s37, s43, s37
	s_add_u32 s36, s36, -4
	s_addc_u32 s37, s37, -1
	s_cbranch_execnz .LBB2140_311
.LBB2140_310:
	s_add_u32 s36, s26, -4
	s_addc_u32 s37, s27, -1
.LBB2140_311:
	v_pk_mov_b32 v[18:19], s[36:37], s[36:37] op_sel:[0,1]
	flat_load_dword v5, v[18:19]
	v_sub_u32_e32 v10, v12, v10
	v_cmp_ne_u32_e32 vcc, 0, v8
	s_waitcnt lgkmcnt(0)
	ds_write_b32 v10, v4 offset:3072
	s_waitcnt lgkmcnt(0)
	s_barrier
	s_and_saveexec_b64 s[36:37], vcc
	s_cbranch_execz .LBB2140_313
; %bb.312:
	s_waitcnt vmcnt(0)
	ds_read_b32 v5, v10 offset:3068
.LBB2140_313:
	s_or_b64 exec, exec, s[36:37]
	s_waitcnt lgkmcnt(0)
	s_barrier
	s_and_saveexec_b64 s[36:37], s[12:13]
	s_cbranch_execnz .LBB2140_497
; %bb.314:
	s_or_b64 exec, exec, s[36:37]
	s_and_saveexec_b64 s[12:13], s[8:9]
	s_cbranch_execnz .LBB2140_498
.LBB2140_315:
	s_or_b64 exec, exec, s[12:13]
	s_and_saveexec_b64 s[8:9], s[6:7]
	s_cbranch_execz .LBB2140_317
.LBB2140_316:
	v_lshlrev_b32_e32 v6, 5, v6
	v_mov_b32_e32 v7, s33
	v_add_co_u32_e32 v6, vcc, s11, v6
	v_addc_co_u32_e32 v7, vcc, 0, v7, vcc
	flat_load_dwordx4 v[18:21], v[6:7]
	flat_load_dwordx4 v[22:25], v[6:7] offset:16
	s_waitcnt vmcnt(0) lgkmcnt(0)
	buffer_store_dword v19, off, s[0:3], 0 offset:212
	buffer_store_dword v18, off, s[0:3], 0 offset:208
	;; [unrolled: 1-line block ×8, first 2 shown]
.LBB2140_317:
	s_or_b64 exec, exec, s[8:9]
	buffer_load_dword v18, off, s[0:3], 0 offset:144
	buffer_load_dword v19, off, s[0:3], 0 offset:148
	;; [unrolled: 1-line block ×8, first 2 shown]
	buffer_load_dword v26, v3, s[0:3], 0 offen
	buffer_load_dword v27, v3, s[0:3], 0 offen offset:4
	buffer_load_dword v28, v3, s[0:3], 0 offen offset:8
	;; [unrolled: 1-line block ×7, first 2 shown]
	buffer_load_dword v34, v2, s[0:3], 0 offen
	buffer_load_dword v35, v2, s[0:3], 0 offen offset:4
	buffer_load_dword v36, v2, s[0:3], 0 offen offset:8
	;; [unrolled: 1-line block ×7, first 2 shown]
	v_mad_u32_u24 v9, v8, 28, v10
	v_lshl_add_u32 v7, v8, 6, v9
	v_mul_u32_u24_e32 v6, 3, v8
	s_mov_b64 s[8:9], 0
	v_cmp_gt_u32_e32 vcc, s50, v6
	s_mov_b64 s[12:13], 0
                                        ; implicit-def: $sgpr6_sgpr7
	s_waitcnt vmcnt(0)
	ds_write_b128 v9, v[18:21]
	ds_write_b128 v9, v[22:25] offset:16
	ds_write_b128 v9, v[26:29] offset:8192
	;; [unrolled: 1-line block ×5, first 2 shown]
	s_waitcnt lgkmcnt(0)
	s_barrier
	ds_read_b128 v[18:21], v7 offset:32
	ds_read_b128 v[22:25], v7 offset:48
	;; [unrolled: 1-line block ×4, first 2 shown]
	s_waitcnt lgkmcnt(3)
	buffer_store_dword v21, v3, s[0:3], 0 offen offset:12
	buffer_store_dword v20, v3, s[0:3], 0 offen offset:8
	buffer_store_dword v19, v3, s[0:3], 0 offen offset:4
	buffer_store_dword v18, v3, s[0:3], 0 offen
	s_waitcnt lgkmcnt(2)
	buffer_store_dword v25, v3, s[0:3], 0 offen offset:28
	buffer_store_dword v24, v3, s[0:3], 0 offen offset:24
	;; [unrolled: 1-line block ×4, first 2 shown]
	s_waitcnt lgkmcnt(1)
	buffer_store_dword v29, v2, s[0:3], 0 offen offset:12
	buffer_store_dword v28, v2, s[0:3], 0 offen offset:8
	;; [unrolled: 1-line block ×3, first 2 shown]
	buffer_store_dword v26, v2, s[0:3], 0 offen
	s_waitcnt lgkmcnt(0)
	buffer_store_dword v33, v2, s[0:3], 0 offen offset:28
	buffer_store_dword v32, v2, s[0:3], 0 offen offset:24
	;; [unrolled: 1-line block ×4, first 2 shown]
	s_and_saveexec_b64 s[36:37], vcc
	s_cbranch_execz .LBB2140_321
; %bb.318:
	ds_read_b128 v[18:21], v7
	ds_read_b128 v[22:25], v7 offset:16
	v_cmp_ne_u32_e32 vcc, v5, v0
	v_add_u32_e32 v9, 1, v6
	v_cndmask_b32_e64 v5, 0, 1, vcc
	v_cmp_gt_u32_e32 vcc, s50, v9
	s_mov_b64 s[46:47], 0
	s_waitcnt lgkmcnt(1)
	buffer_store_dword v21, off, s[0:3], 0 offset:300
	buffer_store_dword v20, off, s[0:3], 0 offset:296
	;; [unrolled: 1-line block ×4, first 2 shown]
	s_waitcnt lgkmcnt(0)
	buffer_store_dword v25, off, s[0:3], 0 offset:316
	buffer_store_dword v24, off, s[0:3], 0 offset:312
	;; [unrolled: 1-line block ×4, first 2 shown]
	buffer_store_byte v5, off, s[0:3], 0 offset:320
                                        ; implicit-def: $sgpr48_sgpr49
	s_and_saveexec_b64 s[6:7], vcc
	s_xor_b64 s[12:13], exec, s[6:7]
	s_cbranch_execz .LBB2140_320
; %bb.319:
	v_add_u32_e32 v7, 32, v7
	v_cmp_ne_u32_e32 vcc, v1, v4
	ds_read2_b32 v[4:5], v7 offset0:6 offset1:7
	ds_read2_b32 v[12:13], v7 offset0:4 offset1:5
	;; [unrolled: 1-line block ×3, first 2 shown]
	ds_read2_b32 v[20:21], v7 offset1:1
	v_cmp_ne_u32_e64 s[6:7], v0, v1
	v_add_u32_e32 v1, 2, v6
	v_cndmask_b32_e64 v0, 0, 1, s[6:7]
	v_cmp_gt_u32_e64 s[6:7], s50, v1
	s_waitcnt lgkmcnt(1)
	buffer_store_dword v19, v11, s[0:3], 0 offen offset:12
	buffer_store_dword v18, v11, s[0:3], 0 offen offset:8
	s_waitcnt lgkmcnt(0)
	buffer_store_dword v21, v11, s[0:3], 0 offen offset:4
	buffer_store_dword v20, v11, s[0:3], 0 offen
	buffer_store_dword v5, v11, s[0:3], 0 offen offset:28
	buffer_store_dword v4, v11, s[0:3], 0 offen offset:24
	;; [unrolled: 1-line block ×4, first 2 shown]
	buffer_store_byte v0, off, s[0:3], 0 offset:356
	s_and_b64 s[48:49], vcc, exec
	s_and_b64 s[46:47], s[6:7], exec
.LBB2140_320:
	s_or_b64 exec, exec, s[12:13]
	s_and_b64 s[6:7], s[48:49], exec
	s_and_b64 s[12:13], s[46:47], exec
.LBB2140_321:
	s_or_b64 exec, exec, s[36:37]
	s_and_b64 vcc, exec, s[8:9]
	s_cbranch_vccz .LBB2140_14
.LBB2140_322:
	v_lshlrev_b32_e32 v4, 2, v8
	v_mov_b32_e32 v1, s27
	v_add_co_u32_e32 v0, vcc, s26, v4
	v_addc_co_u32_e32 v1, vcc, 0, v1, vcc
	flat_load_dword v6, v[0:1]
	flat_load_dword v9, v[0:1] offset:1024
	flat_load_dword v10, v[0:1] offset:2048
	v_lshlrev_b32_e32 v5, 3, v8
	v_add_u32_e32 v7, v4, v5
	s_cmp_eq_u64 s[28:29], 0
	s_waitcnt vmcnt(0) lgkmcnt(0)
	ds_write2st64_b32 v4, v6, v9 offset1:4
	ds_write_b32 v4, v10 offset:2048
	s_waitcnt lgkmcnt(0)
	s_barrier
	ds_read2_b32 v[0:1], v7 offset1:1
	ds_read_b32 v4, v7 offset:8
	s_cbranch_scc1 .LBB2140_327
; %bb.323:
	s_andn2_b64 vcc, exec, s[40:41]
	s_cbranch_vccnz .LBB2140_500
; %bb.324:
	s_lshl_b64 s[6:7], s[28:29], 2
	s_add_u32 s6, s42, s6
	s_addc_u32 s7, s43, s7
	s_add_u32 s6, s6, -4
	s_addc_u32 s7, s7, -1
	s_cbranch_execnz .LBB2140_326
.LBB2140_325:
	s_add_u32 s6, s26, -4
	s_addc_u32 s7, s27, -1
.LBB2140_326:
	s_mov_b64 s[26:27], s[6:7]
.LBB2140_327:
	v_pk_mov_b32 v[12:13], s[26:27], s[26:27] op_sel:[0,1]
	flat_load_dword v6, v[12:13]
	v_sub_u32_e32 v5, v7, v5
	v_cmp_ne_u32_e32 vcc, 0, v8
	s_waitcnt lgkmcnt(0)
	ds_write_b32 v5, v4 offset:3072
	s_waitcnt lgkmcnt(0)
	s_barrier
	s_and_saveexec_b64 s[6:7], vcc
	s_cbranch_execz .LBB2140_329
; %bb.328:
	s_waitcnt vmcnt(0)
	ds_read_b32 v6, v5 offset:3068
.LBB2140_329:
	s_or_b64 exec, exec, s[6:7]
	v_lshlrev_b32_e32 v7, 5, v8
	v_mov_b32_e32 v9, s33
	v_add_co_u32_e32 v12, vcc, s11, v7
	v_addc_co_u32_e32 v13, vcc, 0, v9, vcc
	s_waitcnt lgkmcnt(0)
	s_barrier
	flat_load_dwordx4 v[18:21], v[12:13]
	flat_load_dwordx4 v[22:25], v[12:13] offset:16
	s_movk_i32 s6, 0x2000
	v_add_co_u32_e32 v34, vcc, s6, v12
	v_addc_co_u32_e32 v35, vcc, 0, v13, vcc
	s_movk_i32 s6, 0x4000
	v_add_co_u32_e32 v12, vcc, s6, v12
	v_addc_co_u32_e32 v13, vcc, 0, v13, vcc
	v_cmp_ne_u32_e64 s[6:7], v1, v4
	v_mad_u32_u24 v4, v8, 28, v5
	v_cmp_ne_u32_e32 vcc, v0, v1
	v_lshl_add_u32 v9, v8, 6, v4
	v_cndmask_b32_e64 v1, 0, 1, vcc
	s_waitcnt vmcnt(0)
	v_cmp_ne_u32_e32 vcc, v6, v0
	v_cndmask_b32_e64 v0, 0, 1, vcc
                                        ; kill: killed $vgpr12 killed $vgpr13
	s_mov_b64 s[12:13], -1
	s_waitcnt lgkmcnt(0)
	buffer_store_dword v19, off, s[0:3], 0 offset:148
	buffer_store_dword v18, off, s[0:3], 0 offset:144
	;; [unrolled: 1-line block ×8, first 2 shown]
	flat_load_dwordx4 v[26:29], v[34:35]
	flat_load_dwordx4 v[30:33], v[34:35] offset:16
	s_waitcnt vmcnt(0) lgkmcnt(0)
	buffer_store_dword v27, off, s[0:3], 0 offset:180
	buffer_store_dword v26, off, s[0:3], 0 offset:176
	;; [unrolled: 1-line block ×8, first 2 shown]
	flat_load_dwordx4 v[26:29], v[12:13]
	s_nop 0
	flat_load_dwordx4 v[30:33], v[12:13] offset:16
	buffer_load_dword v37, v3, s[0:3], 0 offen offset:28
	buffer_load_dword v36, v3, s[0:3], 0 offen offset:24
	;; [unrolled: 1-line block ×7, first 2 shown]
	buffer_load_dword v38, v3, s[0:3], 0 offen
	s_waitcnt vmcnt(0) lgkmcnt(0)
	buffer_store_dword v27, off, s[0:3], 0 offset:212
	buffer_store_dword v26, off, s[0:3], 0 offset:208
	;; [unrolled: 1-line block ×8, first 2 shown]
	buffer_load_dword v26, v2, s[0:3], 0 offen offset:16
	buffer_load_dword v27, v2, s[0:3], 0 offen offset:20
	;; [unrolled: 1-line block ×4, first 2 shown]
	buffer_load_dword v30, v2, s[0:3], 0 offen
	buffer_load_dword v31, v2, s[0:3], 0 offen offset:4
	buffer_load_dword v32, v2, s[0:3], 0 offen offset:8
	;; [unrolled: 1-line block ×3, first 2 shown]
	ds_write_b128 v4, v[22:25] offset:16
	ds_write_b128 v4, v[18:21]
	ds_write_b128 v4, v[38:41] offset:8192
	ds_write_b128 v4, v[34:37] offset:8208
	s_waitcnt vmcnt(4)
	ds_write_b128 v4, v[26:29] offset:16400
	s_waitcnt vmcnt(0)
	ds_write_b128 v4, v[30:33] offset:16384
	s_waitcnt lgkmcnt(0)
	s_barrier
	ds_read_b128 v[4:7], v9
	ds_read_b128 v[18:21], v9 offset:16
	ds_read_b128 v[22:25], v9 offset:32
	;; [unrolled: 1-line block ×5, first 2 shown]
	buffer_store_byte v0, off, s[0:3], 0 offset:320
	buffer_store_byte v1, off, s[0:3], 0 offset:356
	s_waitcnt lgkmcnt(3)
	buffer_store_dword v25, v3, s[0:3], 0 offen offset:12
	buffer_store_dword v24, v3, s[0:3], 0 offen offset:8
	;; [unrolled: 1-line block ×3, first 2 shown]
	buffer_store_dword v22, v3, s[0:3], 0 offen
	s_waitcnt lgkmcnt(2)
	buffer_store_dword v29, v3, s[0:3], 0 offen offset:28
	buffer_store_dword v28, v3, s[0:3], 0 offen offset:24
	;; [unrolled: 1-line block ×4, first 2 shown]
	s_waitcnt lgkmcnt(1)
	buffer_store_dword v33, v2, s[0:3], 0 offen offset:12
	buffer_store_dword v32, v2, s[0:3], 0 offen offset:8
	;; [unrolled: 1-line block ×3, first 2 shown]
	buffer_store_dword v30, v2, s[0:3], 0 offen
	s_waitcnt lgkmcnt(0)
	buffer_store_dword v37, v2, s[0:3], 0 offen offset:28
	buffer_store_dword v36, v2, s[0:3], 0 offen offset:24
	buffer_store_dword v35, v2, s[0:3], 0 offen offset:20
	buffer_store_dword v34, v2, s[0:3], 0 offen offset:16
	buffer_store_dword v7, off, s[0:3], 0 offset:300
	buffer_store_dword v6, off, s[0:3], 0 offset:296
	;; [unrolled: 1-line block ×8, first 2 shown]
	buffer_store_dword v29, v11, s[0:3], 0 offen offset:28
	buffer_store_dword v28, v11, s[0:3], 0 offen offset:24
	;; [unrolled: 1-line block ×7, first 2 shown]
	buffer_store_dword v22, v11, s[0:3], 0 offen
	s_and_saveexec_b64 s[8:9], s[12:13]
	s_cbranch_execnz .LBB2140_15
	s_branch .LBB2140_16
.LBB2140_330:
	s_cbranch_execz .LBB2140_476
; %bb.331:
	s_cmp_lg_u64 s[34:35], 0
	s_cselect_b32 s13, s39, 0
	s_cselect_b32 s12, s38, 0
	s_cmp_lg_u64 s[12:13], 0
	s_cselect_b64 s[8:9], -1, 0
	v_cmp_eq_u32_e32 vcc, 0, v8
	v_cmp_ne_u32_e64 s[6:7], 0, v8
	s_and_b64 s[8:9], vcc, s[8:9]
	s_and_saveexec_b64 s[10:11], s[8:9]
	s_cbranch_execz .LBB2140_341
; %bb.332:
	buffer_load_ubyte v9, off, s[0:3], 0 offset:320
                                        ; implicit-def: $vgpr2_vgpr3
                                        ; implicit-def: $vgpr6_vgpr7
                                        ; implicit-def: $vgpr4_vgpr5
                                        ; implicit-def: $vgpr0_vgpr1
	s_waitcnt vmcnt(0)
	v_cmp_ne_u16_e64 s[8:9], 0, v9
	s_and_saveexec_b64 s[16:17], s[8:9]
	s_xor_b64 s[8:9], exec, s[16:17]
	s_cbranch_execz .LBB2140_334
; %bb.333:
	buffer_load_dword v0, off, s[0:3], 0 offset:288
	buffer_load_dword v1, off, s[0:3], 0 offset:292
	;; [unrolled: 1-line block ×8, first 2 shown]
.LBB2140_334:
	s_andn2_saveexec_b64 s[8:9], s[8:9]
	s_cbranch_execz .LBB2140_340
; %bb.335:
	s_mov_b32 s16, 0
	s_waitcnt vmcnt(7)
	v_mov_b32_e32 v0, 0x90
	s_waitcnt vmcnt(6)
	v_mov_b32_e32 v1, 0
	s_waitcnt vmcnt(0)
.LBB2140_336:                           ; =>This Inner Loop Header: Depth=1
	v_add_u32_e32 v2, s16, v0
	s_add_i32 s16, s16, 8
	s_cmp_lg_u32 s16, 32
	buffer_store_dword v1, v2, s[0:3], 0 offen offset:4
	buffer_store_dword v1, v2, s[0:3], 0 offen
	s_cbranch_scc1 .LBB2140_336
; %bb.337:
	s_mov_b32 s26, 0
	v_mov_b32_e32 v0, 0
	v_mov_b32_e32 v1, 0x120
	;; [unrolled: 1-line block ×3, first 2 shown]
	s_mov_b64 s[16:17], s[12:13]
.LBB2140_338:                           ; =>This Inner Loop Header: Depth=1
	v_add_u32_e32 v3, s26, v1
	global_load_dwordx2 v[4:5], v0, s[16:17]
	buffer_load_dword v6, v3, s[0:3], 0 offen
	buffer_load_dword v7, v3, s[0:3], 0 offen offset:4
	s_add_u32 s16, s16, 8
	v_add_u32_e32 v3, s26, v2
	s_addc_u32 s17, s17, 0
	s_add_i32 s26, s26, 8
	s_cmp_lg_u32 s26, 32
	s_waitcnt vmcnt(1)
	v_add_u32_e32 v4, v6, v4
	s_waitcnt vmcnt(0)
	v_add_u32_e32 v5, v7, v5
	buffer_store_dword v5, v3, s[0:3], 0 offen offset:4
	buffer_store_dword v4, v3, s[0:3], 0 offen
	s_cbranch_scc1 .LBB2140_338
; %bb.339:
	buffer_load_dword v0, off, s[0:3], 0 offset:144
	buffer_load_dword v1, off, s[0:3], 0 offset:148
	;; [unrolled: 1-line block ×8, first 2 shown]
.LBB2140_340:
	s_or_b64 exec, exec, s[8:9]
	v_mov_b32_e32 v10, 0
	global_load_ubyte v10, v10, s[12:13] offset:32
	s_waitcnt vmcnt(7)
	buffer_store_dword v1, off, s[0:3], 0 offset:292
	buffer_store_dword v0, off, s[0:3], 0 offset:288
	s_waitcnt vmcnt(7)
	buffer_store_dword v5, off, s[0:3], 0 offset:300
	buffer_store_dword v4, off, s[0:3], 0 offset:296
	;; [unrolled: 3-line block ×3, first 2 shown]
	s_waitcnt vmcnt(7)
	buffer_store_dword v3, off, s[0:3], 0 offset:316
	s_waitcnt vmcnt(7)
	v_or_b32_e32 v0, v9, v10
	v_and_b32_e32 v0, 1, v0
	buffer_store_dword v2, off, s[0:3], 0 offset:312
	buffer_store_byte v0, off, s[0:3], 0 offset:320
.LBB2140_341:
	s_or_b64 exec, exec, s[10:11]
	v_mov_b32_e32 v0, 0
	s_mov_b32 s8, 0
	v_mov_b32_e32 v1, 0x6c
	buffer_store_dword v0, off, s[0:3], 0 offset:136
	buffer_store_dword v0, off, s[0:3], 0 offset:132
	;; [unrolled: 1-line block ×9, first 2 shown]
.LBB2140_342:                           ; =>This Inner Loop Header: Depth=1
	v_add_u32_e32 v2, s8, v1
	s_add_i32 s8, s8, 8
	s_cmp_lg_u32 s8, 32
	buffer_store_dword v0, v2, s[0:3], 0 offen offset:4
	buffer_store_dword v0, v2, s[0:3], 0 offen
	s_cbranch_scc1 .LBB2140_342
; %bb.343:
	s_mov_b32 s8, 0
	v_mov_b32_e32 v0, 0
	v_mov_b32_e32 v1, 0x90
	buffer_store_byte v0, off, s[0:3], 0 offset:140
	buffer_store_dword v0, off, s[0:3], 0 offset:176
.LBB2140_344:                           ; =>This Inner Loop Header: Depth=1
	v_add_u32_e32 v2, s8, v1
	s_add_i32 s8, s8, 8
	s_cmp_lg_u32 s8, 32
	buffer_store_dword v0, v2, s[0:3], 0 offen offset:4
	buffer_store_dword v0, v2, s[0:3], 0 offen
	s_cbranch_scc1 .LBB2140_344
; %bb.345:
	buffer_load_dword v0, off, s[0:3], 0 offset:300
	buffer_load_dword v1, off, s[0:3], 0 offset:296
	;; [unrolled: 1-line block ×8, first 2 shown]
	buffer_load_ubyte v10, off, s[0:3], 0 offset:356
	buffer_load_ubyte v9, off, s[0:3], 0 offset:320
	s_waitcnt vmcnt(9)
	buffer_store_dword v0, off, s[0:3], 0 offset:156
	s_waitcnt vmcnt(9)
	buffer_store_dword v1, off, s[0:3], 0 offset:152
	;; [unrolled: 2-line block ×8, first 2 shown]
	s_waitcnt vmcnt(9)
	v_cmp_ne_u16_e64 s[8:9], 0, v10
                                        ; implicit-def: $vgpr6_vgpr7
                                        ; implicit-def: $vgpr4_vgpr5
                                        ; implicit-def: $vgpr2_vgpr3
                                        ; implicit-def: $vgpr0_vgpr1
	s_and_saveexec_b64 s[10:11], s[8:9]
	s_xor_b64 s[8:9], exec, s[10:11]
	s_cbranch_execz .LBB2140_347
; %bb.346:
	buffer_load_dword v0, off, s[0:3], 0 offset:324
	buffer_load_dword v1, off, s[0:3], 0 offset:328
	;; [unrolled: 1-line block ×8, first 2 shown]
.LBB2140_347:
	s_andn2_saveexec_b64 s[8:9], s[8:9]
	s_cbranch_execz .LBB2140_353
; %bb.348:
	s_mov_b32 s10, 0
	s_waitcnt vmcnt(7)
	v_mov_b32_e32 v0, 0
	s_waitcnt vmcnt(6)
	v_mov_b32_e32 v1, 0
	s_waitcnt vmcnt(0)
.LBB2140_349:                           ; =>This Inner Loop Header: Depth=1
	v_add_u32_e32 v2, s10, v0
	s_add_i32 s10, s10, 8
	s_cmp_lg_u32 s10, 32
	buffer_store_dword v1, v2, s[0:3], 0 offen offset:4
	buffer_store_dword v1, v2, s[0:3], 0 offen
	s_cbranch_scc1 .LBB2140_349
; %bb.350:
	s_mov_b32 s10, 0
	v_mov_b32_e32 v0, 0x90
	v_mov_b32_e32 v1, 0x120
	;; [unrolled: 1-line block ×3, first 2 shown]
.LBB2140_351:                           ; =>This Inner Loop Header: Depth=1
	v_add_u32_e32 v3, s10, v0
	v_add_u32_e32 v4, s10, v1
	buffer_load_dword v5, v3, s[0:3], 0 offen offset:4
	buffer_load_dword v6, v4, s[0:3], 0 offen offset:36
	buffer_load_dword v7, v3, s[0:3], 0 offen
	buffer_load_dword v12, v4, s[0:3], 0 offen offset:40
	v_add_u32_e32 v3, s10, v2
	s_add_i32 s10, s10, 8
	s_cmp_lg_u32 s10, 32
	s_waitcnt vmcnt(1)
	v_add_u32_e32 v4, v6, v7
	s_waitcnt vmcnt(0)
	v_add_u32_e32 v5, v12, v5
	buffer_store_dword v5, v3, s[0:3], 0 offen offset:4
	buffer_store_dword v4, v3, s[0:3], 0 offen
	s_cbranch_scc1 .LBB2140_351
; %bb.352:
	buffer_load_dword v0, off, s[0:3], 0
	buffer_load_dword v1, off, s[0:3], 0 offset:4
	buffer_load_dword v2, off, s[0:3], 0 offset:8
	;; [unrolled: 1-line block ×7, first 2 shown]
.LBB2140_353:
	s_or_b64 exec, exec, s[8:9]
	buffer_load_ubyte v12, off, s[0:3], 0 offset:392
	s_waitcnt vmcnt(7)
	buffer_store_dword v1, off, s[0:3], 0 offset:148
	buffer_store_dword v0, off, s[0:3], 0 offset:144
	s_waitcnt vmcnt(7)
	buffer_store_dword v3, off, s[0:3], 0 offset:156
	buffer_store_dword v2, off, s[0:3], 0 offset:152
	;; [unrolled: 3-line block ×4, first 2 shown]
                                        ; implicit-def: $vgpr6_vgpr7
                                        ; implicit-def: $vgpr4_vgpr5
                                        ; implicit-def: $vgpr2_vgpr3
                                        ; implicit-def: $vgpr0_vgpr1
	s_waitcnt vmcnt(8)
	v_cmp_ne_u16_e64 s[8:9], 0, v12
	s_and_saveexec_b64 s[10:11], s[8:9]
	s_xor_b64 s[8:9], exec, s[10:11]
	s_cbranch_execz .LBB2140_355
; %bb.354:
	buffer_load_dword v0, off, s[0:3], 0 offset:360
	buffer_load_dword v1, off, s[0:3], 0 offset:364
	;; [unrolled: 1-line block ×8, first 2 shown]
.LBB2140_355:
	s_andn2_saveexec_b64 s[8:9], s[8:9]
	s_cbranch_execz .LBB2140_361
; %bb.356:
	s_mov_b32 s10, 0
	s_waitcnt vmcnt(7)
	v_mov_b32_e32 v0, 0
	s_waitcnt vmcnt(6)
	v_mov_b32_e32 v1, 0
	s_waitcnt vmcnt(0)
.LBB2140_357:                           ; =>This Inner Loop Header: Depth=1
	v_add_u32_e32 v2, s10, v0
	s_add_i32 s10, s10, 8
	s_cmp_lg_u32 s10, 32
	buffer_store_dword v1, v2, s[0:3], 0 offen offset:4
	buffer_store_dword v1, v2, s[0:3], 0 offen
	s_cbranch_scc1 .LBB2140_357
; %bb.358:
	s_mov_b32 s10, 0
	v_mov_b32_e32 v0, 0x90
	v_mov_b32_e32 v1, 0x120
	;; [unrolled: 1-line block ×3, first 2 shown]
.LBB2140_359:                           ; =>This Inner Loop Header: Depth=1
	v_add_u32_e32 v3, s10, v0
	v_add_u32_e32 v4, s10, v1
	buffer_load_dword v5, v3, s[0:3], 0 offen offset:4
	buffer_load_dword v6, v4, s[0:3], 0 offen offset:72
	buffer_load_dword v7, v3, s[0:3], 0 offen
	buffer_load_dword v13, v4, s[0:3], 0 offen offset:76
	v_add_u32_e32 v3, s10, v2
	s_add_i32 s10, s10, 8
	s_cmp_lg_u32 s10, 32
	s_waitcnt vmcnt(1)
	v_add_u32_e32 v4, v6, v7
	s_waitcnt vmcnt(0)
	v_add_u32_e32 v5, v13, v5
	buffer_store_dword v5, v3, s[0:3], 0 offen offset:4
	buffer_store_dword v4, v3, s[0:3], 0 offen
	s_cbranch_scc1 .LBB2140_359
; %bb.360:
	buffer_load_dword v0, off, s[0:3], 0
	buffer_load_dword v1, off, s[0:3], 0 offset:4
	buffer_load_dword v2, off, s[0:3], 0 offset:8
	;; [unrolled: 1-line block ×7, first 2 shown]
.LBB2140_361:
	s_or_b64 exec, exec, s[8:9]
	buffer_load_ushort v13, off, s[0:3], 0 offset:177
	buffer_load_sbyte v15, off, s[0:3], 0 offset:179
	v_or_b32_e32 v10, v12, v10
	s_waitcnt vmcnt(9)
	v_mov_b32_dpp v16, v0 row_shr:1 row_mask:0xf bank_mask:0xf
	v_or_b32_e32 v9, v10, v9
	v_mbcnt_lo_u32_b32 v12, -1, 0
	s_waitcnt vmcnt(8)
	buffer_store_dword v1, off, s[0:3], 0 offset:76
	buffer_store_dword v0, off, s[0:3], 0 offset:72
	s_waitcnt vmcnt(8)
	buffer_store_dword v3, off, s[0:3], 0 offset:84
	buffer_store_dword v2, off, s[0:3], 0 offset:80
	;; [unrolled: 3-line block ×4, first 2 shown]
	v_mov_b32_dpp v17, v1 row_shr:1 row_mask:0xf bank_mask:0xf
	v_mov_b32_dpp v18, v2 row_shr:1 row_mask:0xf bank_mask:0xf
	;; [unrolled: 1-line block ×7, first 2 shown]
	buffer_store_dword v16, off, s[0:3], 0 offset:144
	buffer_store_dword v17, off, s[0:3], 0 offset:148
	;; [unrolled: 1-line block ×8, first 2 shown]
	v_and_b32_e32 v9, 1, v9
	v_mbcnt_hi_u32_b32 v12, -1, v12
	v_and_b32_e32 v10, 15, v12
	v_cmp_ne_u32_e64 s[8:9], 0, v10
	s_waitcnt vmcnt(17)
	v_lshrrev_b32_e32 v16, 8, v13
	v_lshlrev_b16_e32 v13, 8, v13
	s_waitcnt vmcnt(16)
	v_lshlrev_b16_e32 v15, 8, v15
	v_or_b32_e32 v9, v9, v13
	v_or_b32_sdwa v13, v16, v15 dst_sel:WORD_1 dst_unused:UNUSED_PAD src0_sel:BYTE_0 src1_sel:DWORD
	v_or_b32_sdwa v13, v9, v13 dst_sel:DWORD dst_unused:UNUSED_PAD src0_sel:WORD_0 src1_sel:DWORD
	buffer_store_dword v13, off, s[0:3], 0 offset:104
	s_nop 0
	v_mov_b32_dpp v15, v13 row_shr:1 row_mask:0xf bank_mask:0xf
	buffer_store_dword v15, off, s[0:3], 0 offset:176
	s_and_saveexec_b64 s[10:11], s[8:9]
	s_cbranch_execz .LBB2140_369
; %bb.362:
	v_mov_b32_e32 v16, 0
	v_cmp_eq_u16_sdwa s[12:13], v9, v16 src0_sel:BYTE_0 src1_sel:DWORD
	s_and_saveexec_b64 s[8:9], s[12:13]
	s_cbranch_execz .LBB2140_368
; %bb.363:
	s_mov_b32 s12, 0
	v_mov_b32_e32 v0, 0
.LBB2140_364:                           ; =>This Inner Loop Header: Depth=1
	v_add_u32_e32 v1, s12, v0
	s_add_i32 s12, s12, 8
	s_cmp_lg_u32 s12, 32
	buffer_store_dword v16, v1, s[0:3], 0 offen offset:4
	buffer_store_dword v16, v1, s[0:3], 0 offen
	s_cbranch_scc1 .LBB2140_364
; %bb.365:
	s_mov_b32 s12, 0
	v_mov_b32_e32 v0, 0x90
	v_mov_b32_e32 v1, 0x48
	;; [unrolled: 1-line block ×3, first 2 shown]
.LBB2140_366:                           ; =>This Inner Loop Header: Depth=1
	v_add_u32_e32 v3, s12, v0
	v_add_u32_e32 v4, s12, v1
	buffer_load_dword v5, v3, s[0:3], 0 offen offset:4
	buffer_load_dword v6, v4, s[0:3], 0 offen
	buffer_load_dword v7, v3, s[0:3], 0 offen
	buffer_load_dword v9, v4, s[0:3], 0 offen offset:4
	v_add_u32_e32 v3, s12, v2
	s_add_i32 s12, s12, 8
	s_cmp_lg_u32 s12, 32
	s_waitcnt vmcnt(1)
	v_add_u32_e32 v4, v6, v7
	s_waitcnt vmcnt(0)
	v_add_u32_e32 v5, v9, v5
	buffer_store_dword v5, v3, s[0:3], 0 offen offset:4
	buffer_store_dword v4, v3, s[0:3], 0 offen
	s_cbranch_scc1 .LBB2140_366
; %bb.367:
	buffer_load_dword v0, off, s[0:3], 0
	buffer_load_dword v1, off, s[0:3], 0 offset:4
	buffer_load_dword v2, off, s[0:3], 0 offset:8
	;; [unrolled: 1-line block ×7, first 2 shown]
.LBB2140_368:
	s_or_b64 exec, exec, s[8:9]
	v_or_b32_e32 v9, v15, v13
	v_and_b32_e32 v9, 1, v9
	buffer_store_byte v9, off, s[0:3], 0 offset:104
	buffer_load_dword v13, off, s[0:3], 0 offset:104
	s_waitcnt vmcnt(8)
	buffer_store_dword v1, off, s[0:3], 0 offset:76
	buffer_store_dword v0, off, s[0:3], 0 offset:72
	s_waitcnt vmcnt(8)
	buffer_store_dword v3, off, s[0:3], 0 offset:84
	buffer_store_dword v2, off, s[0:3], 0 offset:80
	;; [unrolled: 3-line block ×4, first 2 shown]
	s_waitcnt vmcnt(8)
	v_mov_b32_e32 v9, v13
.LBB2140_369:
	s_or_b64 exec, exec, s[10:11]
	v_mov_b32_dpp v16, v0 row_shr:2 row_mask:0xf bank_mask:0xf
	v_mov_b32_dpp v15, v13 row_shr:2 row_mask:0xf bank_mask:0xf
	v_cmp_lt_u32_e64 s[8:9], 1, v10
	v_mov_b32_dpp v17, v1 row_shr:2 row_mask:0xf bank_mask:0xf
	v_mov_b32_dpp v18, v2 row_shr:2 row_mask:0xf bank_mask:0xf
	;; [unrolled: 1-line block ×7, first 2 shown]
	buffer_store_dword v16, off, s[0:3], 0 offset:144
	buffer_store_dword v17, off, s[0:3], 0 offset:148
	;; [unrolled: 1-line block ×9, first 2 shown]
	s_and_saveexec_b64 s[12:13], s[8:9]
	s_cbranch_execz .LBB2140_377
; %bb.370:
	v_mov_b32_e32 v13, 0
	s_mov_b32 s10, 0
	v_cmp_eq_u16_sdwa s[16:17], v9, v13 src0_sel:BYTE_0 src1_sel:DWORD
	s_and_saveexec_b64 s[8:9], s[16:17]
	s_cbranch_execz .LBB2140_376
; %bb.371:
	v_mov_b32_e32 v0, 0
.LBB2140_372:                           ; =>This Inner Loop Header: Depth=1
	v_add_u32_e32 v1, s10, v0
	s_add_i32 s10, s10, 8
	s_cmp_lg_u32 s10, 32
	buffer_store_dword v13, v1, s[0:3], 0 offen offset:4
	buffer_store_dword v13, v1, s[0:3], 0 offen
	s_cbranch_scc1 .LBB2140_372
; %bb.373:
	s_mov_b32 s10, 0
	v_mov_b32_e32 v0, 0x90
	v_mov_b32_e32 v1, 0x48
	v_mov_b32_e32 v2, 0
.LBB2140_374:                           ; =>This Inner Loop Header: Depth=1
	v_add_u32_e32 v3, s10, v0
	v_add_u32_e32 v4, s10, v1
	buffer_load_dword v5, v3, s[0:3], 0 offen offset:4
	buffer_load_dword v6, v4, s[0:3], 0 offen
	buffer_load_dword v7, v3, s[0:3], 0 offen
	buffer_load_dword v13, v4, s[0:3], 0 offen offset:4
	v_add_u32_e32 v3, s10, v2
	s_add_i32 s10, s10, 8
	s_cmp_lg_u32 s10, 32
	s_waitcnt vmcnt(1)
	v_add_u32_e32 v4, v6, v7
	s_waitcnt vmcnt(0)
	v_add_u32_e32 v5, v13, v5
	buffer_store_dword v5, v3, s[0:3], 0 offen offset:4
	buffer_store_dword v4, v3, s[0:3], 0 offen
	s_cbranch_scc1 .LBB2140_374
; %bb.375:
	buffer_load_dword v0, off, s[0:3], 0
	buffer_load_dword v1, off, s[0:3], 0 offset:4
	buffer_load_dword v2, off, s[0:3], 0 offset:8
	buffer_load_dword v3, off, s[0:3], 0 offset:12
	buffer_load_dword v4, off, s[0:3], 0 offset:16
	buffer_load_dword v5, off, s[0:3], 0 offset:20
	buffer_load_dword v6, off, s[0:3], 0 offset:24
	buffer_load_dword v7, off, s[0:3], 0 offset:28
.LBB2140_376:
	s_or_b64 exec, exec, s[8:9]
	v_and_b32_e32 v9, 1, v9
	v_cmp_eq_u32_e64 s[8:9], 1, v9
	v_and_b32_e32 v9, 1, v15
	v_cmp_eq_u32_e64 s[10:11], 1, v9
	s_or_b64 s[8:9], s[8:9], s[10:11]
	v_cndmask_b32_e64 v9, 0, 1, s[8:9]
	buffer_store_byte v9, off, s[0:3], 0 offset:104
	buffer_load_dword v13, off, s[0:3], 0 offset:104
	s_waitcnt vmcnt(8)
	buffer_store_dword v1, off, s[0:3], 0 offset:76
	buffer_store_dword v0, off, s[0:3], 0 offset:72
	s_waitcnt vmcnt(8)
	buffer_store_dword v3, off, s[0:3], 0 offset:84
	buffer_store_dword v2, off, s[0:3], 0 offset:80
	;; [unrolled: 3-line block ×4, first 2 shown]
	s_waitcnt vmcnt(8)
	v_mov_b32_e32 v9, v13
.LBB2140_377:
	s_or_b64 exec, exec, s[12:13]
	v_mov_b32_dpp v16, v0 row_shr:4 row_mask:0xf bank_mask:0xf
	v_mov_b32_dpp v15, v13 row_shr:4 row_mask:0xf bank_mask:0xf
	v_cmp_lt_u32_e64 s[8:9], 3, v10
	v_mov_b32_dpp v17, v1 row_shr:4 row_mask:0xf bank_mask:0xf
	v_mov_b32_dpp v18, v2 row_shr:4 row_mask:0xf bank_mask:0xf
	;; [unrolled: 1-line block ×7, first 2 shown]
	buffer_store_dword v16, off, s[0:3], 0 offset:144
	buffer_store_dword v17, off, s[0:3], 0 offset:148
	;; [unrolled: 1-line block ×9, first 2 shown]
	s_and_saveexec_b64 s[12:13], s[8:9]
	s_cbranch_execz .LBB2140_385
; %bb.378:
	v_mov_b32_e32 v13, 0
	s_mov_b32 s10, 0
	v_cmp_eq_u16_sdwa s[16:17], v9, v13 src0_sel:BYTE_0 src1_sel:DWORD
	s_and_saveexec_b64 s[8:9], s[16:17]
	s_cbranch_execz .LBB2140_384
; %bb.379:
	v_mov_b32_e32 v0, 0
.LBB2140_380:                           ; =>This Inner Loop Header: Depth=1
	v_add_u32_e32 v1, s10, v0
	s_add_i32 s10, s10, 8
	s_cmp_lg_u32 s10, 32
	buffer_store_dword v13, v1, s[0:3], 0 offen offset:4
	buffer_store_dword v13, v1, s[0:3], 0 offen
	s_cbranch_scc1 .LBB2140_380
; %bb.381:
	s_mov_b32 s10, 0
	v_mov_b32_e32 v0, 0x90
	v_mov_b32_e32 v1, 0x48
	;; [unrolled: 1-line block ×3, first 2 shown]
.LBB2140_382:                           ; =>This Inner Loop Header: Depth=1
	v_add_u32_e32 v3, s10, v0
	v_add_u32_e32 v4, s10, v1
	buffer_load_dword v5, v3, s[0:3], 0 offen offset:4
	buffer_load_dword v6, v4, s[0:3], 0 offen
	buffer_load_dword v7, v3, s[0:3], 0 offen
	buffer_load_dword v13, v4, s[0:3], 0 offen offset:4
	v_add_u32_e32 v3, s10, v2
	s_add_i32 s10, s10, 8
	s_cmp_lg_u32 s10, 32
	s_waitcnt vmcnt(1)
	v_add_u32_e32 v4, v6, v7
	s_waitcnt vmcnt(0)
	v_add_u32_e32 v5, v13, v5
	buffer_store_dword v5, v3, s[0:3], 0 offen offset:4
	buffer_store_dword v4, v3, s[0:3], 0 offen
	s_cbranch_scc1 .LBB2140_382
; %bb.383:
	buffer_load_dword v0, off, s[0:3], 0
	buffer_load_dword v1, off, s[0:3], 0 offset:4
	buffer_load_dword v2, off, s[0:3], 0 offset:8
	;; [unrolled: 1-line block ×7, first 2 shown]
.LBB2140_384:
	s_or_b64 exec, exec, s[8:9]
	v_and_b32_e32 v9, 1, v9
	v_cmp_eq_u32_e64 s[8:9], 1, v9
	v_and_b32_e32 v9, 1, v15
	v_cmp_eq_u32_e64 s[10:11], 1, v9
	s_or_b64 s[8:9], s[8:9], s[10:11]
	v_cndmask_b32_e64 v9, 0, 1, s[8:9]
	buffer_store_byte v9, off, s[0:3], 0 offset:104
	buffer_load_dword v13, off, s[0:3], 0 offset:104
	s_waitcnt vmcnt(8)
	buffer_store_dword v1, off, s[0:3], 0 offset:76
	buffer_store_dword v0, off, s[0:3], 0 offset:72
	s_waitcnt vmcnt(8)
	buffer_store_dword v3, off, s[0:3], 0 offset:84
	buffer_store_dword v2, off, s[0:3], 0 offset:80
	;; [unrolled: 3-line block ×4, first 2 shown]
	s_waitcnt vmcnt(8)
	v_mov_b32_e32 v9, v13
.LBB2140_385:
	s_or_b64 exec, exec, s[12:13]
	v_mov_b32_dpp v16, v0 row_shr:8 row_mask:0xf bank_mask:0xf
	v_mov_b32_dpp v15, v13 row_shr:8 row_mask:0xf bank_mask:0xf
	v_cmp_lt_u32_e64 s[8:9], 7, v10
	v_mov_b32_dpp v17, v1 row_shr:8 row_mask:0xf bank_mask:0xf
	v_mov_b32_dpp v18, v2 row_shr:8 row_mask:0xf bank_mask:0xf
	;; [unrolled: 1-line block ×7, first 2 shown]
	buffer_store_dword v16, off, s[0:3], 0 offset:144
	buffer_store_dword v17, off, s[0:3], 0 offset:148
	;; [unrolled: 1-line block ×9, first 2 shown]
	s_and_saveexec_b64 s[12:13], s[8:9]
	s_cbranch_execz .LBB2140_393
; %bb.386:
	v_mov_b32_e32 v10, 0
	s_mov_b32 s10, 0
	v_cmp_eq_u16_sdwa s[16:17], v9, v10 src0_sel:BYTE_0 src1_sel:DWORD
	s_and_saveexec_b64 s[8:9], s[16:17]
	s_cbranch_execz .LBB2140_392
; %bb.387:
	v_mov_b32_e32 v0, 0
.LBB2140_388:                           ; =>This Inner Loop Header: Depth=1
	v_add_u32_e32 v1, s10, v0
	s_add_i32 s10, s10, 8
	s_cmp_lg_u32 s10, 32
	buffer_store_dword v10, v1, s[0:3], 0 offen offset:4
	buffer_store_dword v10, v1, s[0:3], 0 offen
	s_cbranch_scc1 .LBB2140_388
; %bb.389:
	s_mov_b32 s10, 0
	v_mov_b32_e32 v0, 0x90
	v_mov_b32_e32 v1, 0x48
	;; [unrolled: 1-line block ×3, first 2 shown]
.LBB2140_390:                           ; =>This Inner Loop Header: Depth=1
	v_add_u32_e32 v3, s10, v0
	v_add_u32_e32 v4, s10, v1
	buffer_load_dword v5, v3, s[0:3], 0 offen offset:4
	buffer_load_dword v6, v4, s[0:3], 0 offen
	buffer_load_dword v7, v3, s[0:3], 0 offen
	buffer_load_dword v10, v4, s[0:3], 0 offen offset:4
	v_add_u32_e32 v3, s10, v2
	s_add_i32 s10, s10, 8
	s_cmp_lg_u32 s10, 32
	s_waitcnt vmcnt(1)
	v_add_u32_e32 v4, v6, v7
	s_waitcnt vmcnt(0)
	v_add_u32_e32 v5, v10, v5
	buffer_store_dword v5, v3, s[0:3], 0 offen offset:4
	buffer_store_dword v4, v3, s[0:3], 0 offen
	s_cbranch_scc1 .LBB2140_390
; %bb.391:
	buffer_load_dword v0, off, s[0:3], 0
	buffer_load_dword v1, off, s[0:3], 0 offset:4
	buffer_load_dword v2, off, s[0:3], 0 offset:8
	buffer_load_dword v3, off, s[0:3], 0 offset:12
	buffer_load_dword v4, off, s[0:3], 0 offset:16
	buffer_load_dword v5, off, s[0:3], 0 offset:20
	buffer_load_dword v6, off, s[0:3], 0 offset:24
	buffer_load_dword v7, off, s[0:3], 0 offset:28
.LBB2140_392:
	s_or_b64 exec, exec, s[8:9]
	v_and_b32_e32 v9, 1, v9
	v_cmp_eq_u32_e64 s[8:9], 1, v9
	v_and_b32_e32 v9, 1, v15
	v_cmp_eq_u32_e64 s[10:11], 1, v9
	s_or_b64 s[8:9], s[8:9], s[10:11]
	v_cndmask_b32_e64 v9, 0, 1, s[8:9]
	buffer_store_byte v9, off, s[0:3], 0 offset:104
	buffer_load_dword v13, off, s[0:3], 0 offset:104
	s_waitcnt vmcnt(8)
	buffer_store_dword v1, off, s[0:3], 0 offset:76
	buffer_store_dword v0, off, s[0:3], 0 offset:72
	s_waitcnt vmcnt(8)
	buffer_store_dword v3, off, s[0:3], 0 offset:84
	buffer_store_dword v2, off, s[0:3], 0 offset:80
	s_waitcnt vmcnt(8)
	buffer_store_dword v5, off, s[0:3], 0 offset:92
	buffer_store_dword v4, off, s[0:3], 0 offset:88
	s_waitcnt vmcnt(8)
	buffer_store_dword v7, off, s[0:3], 0 offset:100
	buffer_store_dword v6, off, s[0:3], 0 offset:96
	s_waitcnt vmcnt(8)
	v_mov_b32_e32 v9, v13
.LBB2140_393:
	s_or_b64 exec, exec, s[12:13]
	v_mov_b32_dpp v15, v0 row_bcast:15 row_mask:0xf bank_mask:0xf
	v_mov_b32_dpp v16, v1 row_bcast:15 row_mask:0xf bank_mask:0xf
	;; [unrolled: 1-line block ×9, first 2 shown]
	buffer_store_dword v15, off, s[0:3], 0 offset:144
	buffer_store_dword v16, off, s[0:3], 0 offset:148
	buffer_store_dword v17, off, s[0:3], 0 offset:152
	buffer_store_dword v18, off, s[0:3], 0 offset:156
	buffer_store_dword v19, off, s[0:3], 0 offset:160
	buffer_store_dword v20, off, s[0:3], 0 offset:164
	buffer_store_dword v21, off, s[0:3], 0 offset:168
	buffer_store_dword v22, off, s[0:3], 0 offset:172
	buffer_store_dword v10, off, s[0:3], 0 offset:176
	v_and_b32_e32 v15, 16, v12
	v_cmp_ne_u32_e64 s[8:9], 0, v15
	s_and_saveexec_b64 s[12:13], s[8:9]
	s_cbranch_execz .LBB2140_401
; %bb.394:
	v_mov_b32_e32 v13, 0
	s_mov_b32 s10, 0
	v_cmp_eq_u16_sdwa s[16:17], v9, v13 src0_sel:BYTE_0 src1_sel:DWORD
	s_and_saveexec_b64 s[8:9], s[16:17]
	s_cbranch_execz .LBB2140_400
; %bb.395:
	v_mov_b32_e32 v0, 0
.LBB2140_396:                           ; =>This Inner Loop Header: Depth=1
	v_add_u32_e32 v1, s10, v0
	s_add_i32 s10, s10, 8
	s_cmp_lg_u32 s10, 32
	buffer_store_dword v13, v1, s[0:3], 0 offen offset:4
	buffer_store_dword v13, v1, s[0:3], 0 offen
	s_cbranch_scc1 .LBB2140_396
; %bb.397:
	s_mov_b32 s10, 0
	v_mov_b32_e32 v0, 0x90
	v_mov_b32_e32 v1, 0x48
	;; [unrolled: 1-line block ×3, first 2 shown]
.LBB2140_398:                           ; =>This Inner Loop Header: Depth=1
	v_add_u32_e32 v3, s10, v0
	v_add_u32_e32 v4, s10, v1
	buffer_load_dword v5, v3, s[0:3], 0 offen offset:4
	buffer_load_dword v6, v4, s[0:3], 0 offen
	buffer_load_dword v7, v3, s[0:3], 0 offen
	buffer_load_dword v13, v4, s[0:3], 0 offen offset:4
	v_add_u32_e32 v3, s10, v2
	s_add_i32 s10, s10, 8
	s_cmp_lg_u32 s10, 32
	s_waitcnt vmcnt(1)
	v_add_u32_e32 v4, v6, v7
	s_waitcnt vmcnt(0)
	v_add_u32_e32 v5, v13, v5
	buffer_store_dword v5, v3, s[0:3], 0 offen offset:4
	buffer_store_dword v4, v3, s[0:3], 0 offen
	s_cbranch_scc1 .LBB2140_398
; %bb.399:
	buffer_load_dword v0, off, s[0:3], 0
	buffer_load_dword v1, off, s[0:3], 0 offset:4
	buffer_load_dword v2, off, s[0:3], 0 offset:8
	;; [unrolled: 1-line block ×7, first 2 shown]
.LBB2140_400:
	s_or_b64 exec, exec, s[8:9]
	v_and_b32_e32 v9, 1, v9
	v_cmp_eq_u32_e64 s[8:9], 1, v9
	v_and_b32_e32 v9, 1, v10
	v_cmp_eq_u32_e64 s[10:11], 1, v9
	s_or_b64 s[8:9], s[8:9], s[10:11]
	v_cndmask_b32_e64 v9, 0, 1, s[8:9]
	buffer_store_byte v9, off, s[0:3], 0 offset:104
	buffer_load_dword v13, off, s[0:3], 0 offset:104
	s_waitcnt vmcnt(8)
	buffer_store_dword v1, off, s[0:3], 0 offset:76
	buffer_store_dword v0, off, s[0:3], 0 offset:72
	s_waitcnt vmcnt(8)
	buffer_store_dword v3, off, s[0:3], 0 offset:84
	buffer_store_dword v2, off, s[0:3], 0 offset:80
	;; [unrolled: 3-line block ×4, first 2 shown]
	s_waitcnt vmcnt(8)
	v_mov_b32_e32 v9, v13
.LBB2140_401:
	s_or_b64 exec, exec, s[12:13]
	v_mov_b32_dpp v15, v0 row_bcast:31 row_mask:0xf bank_mask:0xf
	v_mov_b32_dpp v10, v13 row_bcast:31 row_mask:0xf bank_mask:0xf
	v_cmp_lt_u32_e64 s[8:9], 31, v12
	v_mov_b32_dpp v16, v1 row_bcast:31 row_mask:0xf bank_mask:0xf
	v_mov_b32_dpp v17, v2 row_bcast:31 row_mask:0xf bank_mask:0xf
	;; [unrolled: 1-line block ×7, first 2 shown]
	buffer_store_dword v15, off, s[0:3], 0 offset:144
	buffer_store_dword v16, off, s[0:3], 0 offset:148
	;; [unrolled: 1-line block ×9, first 2 shown]
	s_and_saveexec_b64 s[12:13], s[8:9]
	s_cbranch_execz .LBB2140_409
; %bb.402:
	v_mov_b32_e32 v13, 0
	s_mov_b32 s10, 0
	v_cmp_eq_u16_sdwa s[16:17], v9, v13 src0_sel:BYTE_0 src1_sel:DWORD
	s_and_saveexec_b64 s[8:9], s[16:17]
	s_cbranch_execz .LBB2140_408
; %bb.403:
	v_mov_b32_e32 v0, 0
.LBB2140_404:                           ; =>This Inner Loop Header: Depth=1
	v_add_u32_e32 v1, s10, v0
	s_add_i32 s10, s10, 8
	s_cmp_lg_u32 s10, 32
	buffer_store_dword v13, v1, s[0:3], 0 offen offset:4
	buffer_store_dword v13, v1, s[0:3], 0 offen
	s_cbranch_scc1 .LBB2140_404
; %bb.405:
	s_mov_b32 s10, 0
	v_mov_b32_e32 v0, 0x90
	v_mov_b32_e32 v1, 0x48
	;; [unrolled: 1-line block ×3, first 2 shown]
.LBB2140_406:                           ; =>This Inner Loop Header: Depth=1
	v_add_u32_e32 v3, s10, v0
	v_add_u32_e32 v4, s10, v1
	buffer_load_dword v5, v3, s[0:3], 0 offen offset:4
	buffer_load_dword v6, v4, s[0:3], 0 offen
	buffer_load_dword v7, v3, s[0:3], 0 offen
	buffer_load_dword v13, v4, s[0:3], 0 offen offset:4
	v_add_u32_e32 v3, s10, v2
	s_add_i32 s10, s10, 8
	s_cmp_lg_u32 s10, 32
	s_waitcnt vmcnt(1)
	v_add_u32_e32 v4, v6, v7
	s_waitcnt vmcnt(0)
	v_add_u32_e32 v5, v13, v5
	buffer_store_dword v5, v3, s[0:3], 0 offen offset:4
	buffer_store_dword v4, v3, s[0:3], 0 offen
	s_cbranch_scc1 .LBB2140_406
; %bb.407:
	buffer_load_dword v0, off, s[0:3], 0
	buffer_load_dword v1, off, s[0:3], 0 offset:4
	buffer_load_dword v2, off, s[0:3], 0 offset:8
	;; [unrolled: 1-line block ×7, first 2 shown]
.LBB2140_408:
	s_or_b64 exec, exec, s[8:9]
	v_and_b32_e32 v9, 1, v9
	v_cmp_eq_u32_e64 s[8:9], 1, v9
	v_and_b32_e32 v9, 1, v10
	v_cmp_eq_u32_e64 s[10:11], 1, v9
	s_or_b64 s[8:9], s[8:9], s[10:11]
	v_cndmask_b32_e64 v9, 0, 1, s[8:9]
	s_waitcnt vmcnt(6)
	buffer_store_dword v1, off, s[0:3], 0 offset:76
	buffer_store_dword v0, off, s[0:3], 0 offset:72
	s_waitcnt vmcnt(6)
	buffer_store_dword v3, off, s[0:3], 0 offset:84
	buffer_store_dword v2, off, s[0:3], 0 offset:80
	;; [unrolled: 3-line block ×4, first 2 shown]
	buffer_store_byte v9, off, s[0:3], 0 offset:104
.LBB2140_409:
	s_or_b64 exec, exec, s[12:13]
	v_or_b32_e32 v13, 63, v8
	v_lshrrev_b32_e32 v10, 6, v8
	v_cmp_eq_u32_e64 s[8:9], v13, v8
	s_and_saveexec_b64 s[10:11], s[8:9]
	s_cbranch_execz .LBB2140_411
; %bb.410:
	v_mul_u32_u24_e32 v13, 36, v10
	ds_write2_b32 v13, v0, v1 offset1:1
	ds_write2_b32 v13, v2, v3 offset0:2 offset1:3
	ds_write2_b32 v13, v4, v5 offset0:4 offset1:5
	;; [unrolled: 1-line block ×3, first 2 shown]
	ds_write_b8 v13, v9 offset:32
.LBB2140_411:
	s_or_b64 exec, exec, s[10:11]
	v_cmp_gt_u32_e64 s[8:9], 4, v8
	s_waitcnt lgkmcnt(0)
	s_barrier
	s_and_saveexec_b64 s[12:13], s[8:9]
	s_cbranch_execz .LBB2140_429
; %bb.412:
	v_mul_u32_u24_e32 v9, 36, v8
	ds_read_b32 v13, v9 offset:32
	ds_read2_b32 v[0:1], v9 offset0:6 offset1:7
	ds_read2_b32 v[2:3], v9 offset0:4 offset1:5
	ds_read2_b32 v[4:5], v9 offset0:2 offset1:3
	ds_read2_b32 v[6:7], v9 offset1:1
	v_and_b32_e32 v15, 3, v12
	s_waitcnt lgkmcnt(4)
	v_mov_b32_dpp v16, v13 row_shr:1 row_mask:0xf bank_mask:0xf
	v_cmp_ne_u32_e64 s[8:9], 0, v15
	buffer_store_dword v13, off, s[0:3], 0 offset:32
	s_waitcnt lgkmcnt(0)
	v_mov_b32_dpp v17, v6 row_shr:1 row_mask:0xf bank_mask:0xf
	buffer_store_dword v1, off, s[0:3], 0 offset:28
	buffer_store_dword v0, off, s[0:3], 0 offset:24
	;; [unrolled: 1-line block ×7, first 2 shown]
	buffer_store_dword v6, off, s[0:3], 0
	v_mov_b32_dpp v18, v7 row_shr:1 row_mask:0xf bank_mask:0xf
	v_mov_b32_dpp v19, v4 row_shr:1 row_mask:0xf bank_mask:0xf
	;; [unrolled: 1-line block ×7, first 2 shown]
	buffer_store_dword v17, off, s[0:3], 0 offset:144
	buffer_store_dword v18, off, s[0:3], 0 offset:148
	;; [unrolled: 1-line block ×9, first 2 shown]
	s_and_saveexec_b64 s[10:11], s[8:9]
	s_cbranch_execz .LBB2140_420
; %bb.413:
	v_mov_b32_e32 v17, 0
	v_cmp_eq_u16_sdwa s[16:17], v13, v17 src0_sel:BYTE_0 src1_sel:DWORD
	s_and_saveexec_b64 s[8:9], s[16:17]
	s_cbranch_execz .LBB2140_419
; %bb.414:
	s_mov_b32 s16, 0
	v_mov_b32_e32 v0, 36
.LBB2140_415:                           ; =>This Inner Loop Header: Depth=1
	v_add_u32_e32 v1, s16, v0
	s_add_i32 s16, s16, 8
	s_cmp_lg_u32 s16, 32
	buffer_store_dword v17, v1, s[0:3], 0 offen offset:4
	buffer_store_dword v17, v1, s[0:3], 0 offen
	s_cbranch_scc1 .LBB2140_415
; %bb.416:
	s_mov_b32 s16, 0
	v_mov_b32_e32 v0, 0x90
	v_mov_b32_e32 v1, 0
	;; [unrolled: 1-line block ×3, first 2 shown]
.LBB2140_417:                           ; =>This Inner Loop Header: Depth=1
	v_add_u32_e32 v3, s16, v0
	v_add_u32_e32 v4, s16, v1
	buffer_load_dword v5, v3, s[0:3], 0 offen offset:4
	buffer_load_dword v6, v4, s[0:3], 0 offen
	buffer_load_dword v7, v3, s[0:3], 0 offen
	buffer_load_dword v17, v4, s[0:3], 0 offen offset:4
	v_add_u32_e32 v3, s16, v2
	s_add_i32 s16, s16, 8
	s_cmp_lg_u32 s16, 32
	s_waitcnt vmcnt(1)
	v_add_u32_e32 v4, v6, v7
	s_waitcnt vmcnt(0)
	v_add_u32_e32 v5, v17, v5
	buffer_store_dword v5, v3, s[0:3], 0 offen offset:4
	buffer_store_dword v4, v3, s[0:3], 0 offen
	s_cbranch_scc1 .LBB2140_417
; %bb.418:
	buffer_load_dword v6, off, s[0:3], 0 offset:36
	buffer_load_dword v7, off, s[0:3], 0 offset:40
	;; [unrolled: 1-line block ×8, first 2 shown]
.LBB2140_419:
	s_or_b64 exec, exec, s[8:9]
	v_or_b32_e32 v13, v16, v13
	v_and_b32_e32 v13, 1, v13
	buffer_store_byte v13, off, s[0:3], 0 offset:32
	buffer_load_dword v13, off, s[0:3], 0 offset:32
	s_waitcnt vmcnt(8)
	buffer_store_dword v7, off, s[0:3], 0 offset:4
	buffer_store_dword v6, off, s[0:3], 0
	s_waitcnt vmcnt(8)
	buffer_store_dword v5, off, s[0:3], 0 offset:12
	buffer_store_dword v4, off, s[0:3], 0 offset:8
	s_waitcnt vmcnt(8)
	buffer_store_dword v3, off, s[0:3], 0 offset:20
	buffer_store_dword v2, off, s[0:3], 0 offset:16
	;; [unrolled: 3-line block ×3, first 2 shown]
.LBB2140_420:
	s_or_b64 exec, exec, s[10:11]
	v_mov_b32_dpp v17, v6 row_shr:2 row_mask:0xf bank_mask:0xf
	s_waitcnt vmcnt(8)
	v_mov_b32_dpp v16, v13 row_shr:2 row_mask:0xf bank_mask:0xf
	v_cmp_lt_u32_e64 s[8:9], 1, v15
	v_mov_b32_dpp v18, v7 row_shr:2 row_mask:0xf bank_mask:0xf
	v_mov_b32_dpp v19, v4 row_shr:2 row_mask:0xf bank_mask:0xf
	v_mov_b32_dpp v20, v5 row_shr:2 row_mask:0xf bank_mask:0xf
	v_mov_b32_dpp v21, v2 row_shr:2 row_mask:0xf bank_mask:0xf
	v_mov_b32_dpp v22, v3 row_shr:2 row_mask:0xf bank_mask:0xf
	v_mov_b32_dpp v23, v0 row_shr:2 row_mask:0xf bank_mask:0xf
	v_mov_b32_dpp v24, v1 row_shr:2 row_mask:0xf bank_mask:0xf
	buffer_store_dword v17, off, s[0:3], 0 offset:144
	buffer_store_dword v18, off, s[0:3], 0 offset:148
	;; [unrolled: 1-line block ×9, first 2 shown]
	s_and_saveexec_b64 s[16:17], s[8:9]
	s_cbranch_execz .LBB2140_428
; %bb.421:
	v_mov_b32_e32 v15, 0
	s_mov_b32 s10, 0
	v_cmp_eq_u16_sdwa s[26:27], v13, v15 src0_sel:BYTE_0 src1_sel:DWORD
	s_and_saveexec_b64 s[8:9], s[26:27]
	s_cbranch_execz .LBB2140_427
; %bb.422:
	v_mov_b32_e32 v0, 36
.LBB2140_423:                           ; =>This Inner Loop Header: Depth=1
	v_add_u32_e32 v1, s10, v0
	s_add_i32 s10, s10, 8
	s_cmp_lg_u32 s10, 32
	buffer_store_dword v15, v1, s[0:3], 0 offen offset:4
	buffer_store_dword v15, v1, s[0:3], 0 offen
	s_cbranch_scc1 .LBB2140_423
; %bb.424:
	s_mov_b32 s10, 0
	v_mov_b32_e32 v0, 0x90
	v_mov_b32_e32 v1, 0
	;; [unrolled: 1-line block ×3, first 2 shown]
.LBB2140_425:                           ; =>This Inner Loop Header: Depth=1
	v_add_u32_e32 v3, s10, v0
	v_add_u32_e32 v4, s10, v1
	buffer_load_dword v5, v3, s[0:3], 0 offen offset:4
	buffer_load_dword v6, v4, s[0:3], 0 offen
	buffer_load_dword v7, v3, s[0:3], 0 offen
	buffer_load_dword v15, v4, s[0:3], 0 offen offset:4
	v_add_u32_e32 v3, s10, v2
	s_add_i32 s10, s10, 8
	s_cmp_lg_u32 s10, 32
	s_waitcnt vmcnt(1)
	v_add_u32_e32 v4, v6, v7
	s_waitcnt vmcnt(0)
	v_add_u32_e32 v5, v15, v5
	buffer_store_dword v5, v3, s[0:3], 0 offen offset:4
	buffer_store_dword v4, v3, s[0:3], 0 offen
	s_cbranch_scc1 .LBB2140_425
; %bb.426:
	buffer_load_dword v6, off, s[0:3], 0 offset:36
	buffer_load_dword v7, off, s[0:3], 0 offset:40
	;; [unrolled: 1-line block ×8, first 2 shown]
.LBB2140_427:
	s_or_b64 exec, exec, s[8:9]
	v_and_b32_e32 v13, 1, v13
	v_cmp_eq_u32_e64 s[8:9], 1, v13
	v_and_b32_e32 v13, 1, v16
	v_cmp_eq_u32_e64 s[10:11], 1, v13
	s_or_b64 s[8:9], s[8:9], s[10:11]
	v_cndmask_b32_e64 v13, 0, 1, s[8:9]
	s_waitcnt vmcnt(6)
	buffer_store_dword v7, off, s[0:3], 0 offset:4
	buffer_store_dword v6, off, s[0:3], 0
	s_waitcnt vmcnt(6)
	buffer_store_dword v5, off, s[0:3], 0 offset:12
	buffer_store_dword v4, off, s[0:3], 0 offset:8
	s_waitcnt vmcnt(6)
	buffer_store_dword v3, off, s[0:3], 0 offset:20
	buffer_store_dword v2, off, s[0:3], 0 offset:16
	;; [unrolled: 3-line block ×3, first 2 shown]
.LBB2140_428:
	s_or_b64 exec, exec, s[16:17]
	buffer_load_dword v0, off, s[0:3], 0
	buffer_load_dword v1, off, s[0:3], 0 offset:4
	buffer_load_dword v2, off, s[0:3], 0 offset:8
	;; [unrolled: 1-line block ×7, first 2 shown]
	s_waitcnt vmcnt(4)
	ds_write2_b32 v9, v2, v3 offset0:2 offset1:3
	ds_write2_b32 v9, v0, v1 offset1:1
	s_waitcnt vmcnt(2)
	ds_write2_b32 v9, v4, v5 offset0:6 offset1:7
	s_waitcnt vmcnt(0)
	ds_write2_b32 v9, v6, v7 offset0:4 offset1:5
	ds_write_b8 v9, v13 offset:32
.LBB2140_429:
	s_or_b64 exec, exec, s[12:13]
	v_mov_b32_e32 v0, 0
	s_mov_b32 s8, 0
	v_mov_b32_e32 v1, 0x90
	s_waitcnt lgkmcnt(0)
	s_barrier
	buffer_store_dword v0, off, s[0:3], 0 offset:172
	buffer_store_dword v0, off, s[0:3], 0 offset:168
	;; [unrolled: 1-line block ×9, first 2 shown]
.LBB2140_430:                           ; =>This Inner Loop Header: Depth=1
	v_add_u32_e32 v2, s8, v1
	s_add_i32 s8, s8, 8
	s_cmp_lg_u32 s8, 32
	buffer_store_dword v0, v2, s[0:3], 0 offen offset:4
	buffer_store_dword v0, v2, s[0:3], 0 offen
	s_cbranch_scc1 .LBB2140_430
; %bb.431:
	v_cmp_lt_u32_e64 s[8:9], 63, v8
                                        ; implicit-def: $vgpr0_vgpr1
                                        ; implicit-def: $vgpr2_vgpr3
                                        ; implicit-def: $vgpr4_vgpr5
                                        ; implicit-def: $vgpr6_vgpr7
                                        ; implicit-def: $vgpr13
	s_and_saveexec_b64 s[10:11], s[8:9]
	s_xor_b64 s[10:11], exec, s[10:11]
	s_cbranch_execz .LBB2140_441
; %bb.432:
	buffer_load_ubyte v9, off, s[0:3], 0 offset:104
	v_not_b32_e32 v0, 35
	v_mad_u32_u24 v10, v10, 36, v0
	ds_read2_b32 v[0:1], v10 offset0:2 offset1:3
	ds_read2_b32 v[2:3], v10 offset0:4 offset1:5
	ds_read2_b32 v[4:5], v10 offset1:1
	ds_read2_b32 v[6:7], v10 offset0:6 offset1:7
	s_waitcnt lgkmcnt(3)
	buffer_store_dword v1, off, s[0:3], 0 offset:156
	buffer_store_dword v0, off, s[0:3], 0 offset:152
	s_waitcnt lgkmcnt(1)
	buffer_store_dword v5, off, s[0:3], 0 offset:148
	buffer_store_dword v4, off, s[0:3], 0 offset:144
	s_waitcnt lgkmcnt(0)
	buffer_store_dword v7, off, s[0:3], 0 offset:172
	ds_read_u8 v13, v10 offset:32
	buffer_store_dword v6, off, s[0:3], 0 offset:168
	buffer_store_dword v3, off, s[0:3], 0 offset:164
	;; [unrolled: 1-line block ×3, first 2 shown]
                                        ; implicit-def: $vgpr0_vgpr1
                                        ; implicit-def: $vgpr2_vgpr3
                                        ; implicit-def: $vgpr4_vgpr5
                                        ; implicit-def: $vgpr6_vgpr7
	s_waitcnt vmcnt(8)
	v_cmp_ne_u16_e64 s[8:9], 0, v9
	s_and_saveexec_b64 s[12:13], s[8:9]
	s_xor_b64 s[8:9], exec, s[12:13]
	s_cbranch_execz .LBB2140_434
; %bb.433:
	buffer_load_dword v0, off, s[0:3], 0 offset:72
	buffer_load_dword v1, off, s[0:3], 0 offset:76
	;; [unrolled: 1-line block ×8, first 2 shown]
.LBB2140_434:
	s_andn2_saveexec_b64 s[8:9], s[8:9]
	s_cbranch_execz .LBB2140_440
; %bb.435:
	s_mov_b32 s12, 0
	s_waitcnt vmcnt(7)
	v_mov_b32_e32 v0, 0
	s_waitcnt vmcnt(6)
	v_mov_b32_e32 v1, 0
	s_waitcnt vmcnt(0)
.LBB2140_436:                           ; =>This Inner Loop Header: Depth=1
	v_add_u32_e32 v2, s12, v0
	s_add_i32 s12, s12, 8
	s_cmp_lg_u32 s12, 32
	buffer_store_dword v1, v2, s[0:3], 0 offen offset:4
	buffer_store_dword v1, v2, s[0:3], 0 offen
	s_cbranch_scc1 .LBB2140_436
; %bb.437:
	s_mov_b32 s12, 0
	v_mov_b32_e32 v0, 0x90
	v_mov_b32_e32 v1, 0x48
	;; [unrolled: 1-line block ×3, first 2 shown]
.LBB2140_438:                           ; =>This Inner Loop Header: Depth=1
	v_add_u32_e32 v3, s12, v0
	v_add_u32_e32 v4, s12, v1
	buffer_load_dword v5, v3, s[0:3], 0 offen offset:4
	buffer_load_dword v6, v4, s[0:3], 0 offen
	buffer_load_dword v7, v3, s[0:3], 0 offen
	buffer_load_dword v10, v4, s[0:3], 0 offen offset:4
	v_add_u32_e32 v3, s12, v2
	s_add_i32 s12, s12, 8
	s_cmp_lg_u32 s12, 32
	s_waitcnt vmcnt(1)
	v_add_u32_e32 v4, v6, v7
	s_waitcnt vmcnt(0)
	v_add_u32_e32 v5, v10, v5
	buffer_store_dword v5, v3, s[0:3], 0 offen offset:4
	buffer_store_dword v4, v3, s[0:3], 0 offen
	s_cbranch_scc1 .LBB2140_438
; %bb.439:
	buffer_load_dword v0, off, s[0:3], 0
	buffer_load_dword v1, off, s[0:3], 0 offset:4
	buffer_load_dword v2, off, s[0:3], 0 offset:8
	buffer_load_dword v3, off, s[0:3], 0 offset:12
	buffer_load_dword v4, off, s[0:3], 0 offset:16
	buffer_load_dword v5, off, s[0:3], 0 offset:20
	buffer_load_dword v6, off, s[0:3], 0 offset:24
	buffer_load_dword v7, off, s[0:3], 0 offset:28
.LBB2140_440:
	s_or_b64 exec, exec, s[8:9]
	s_waitcnt lgkmcnt(0)
	v_or_b32_e32 v9, v9, v13
	v_and_b32_e32 v9, 1, v9
	buffer_store_byte v9, off, s[0:3], 0 offset:104
.LBB2140_441:
	s_andn2_saveexec_b64 s[8:9], s[10:11]
	s_cbranch_execz .LBB2140_443
; %bb.442:
	buffer_load_dword v0, off, s[0:3], 0 offset:72
	buffer_load_dword v1, off, s[0:3], 0 offset:76
	;; [unrolled: 1-line block ×8, first 2 shown]
	v_mov_b32_e32 v13, 0
.LBB2140_443:
	s_or_b64 exec, exec, s[8:9]
	buffer_load_dword v16, off, s[0:3], 0 offset:104
	v_add_u32_e32 v9, -1, v12
	v_and_b32_e32 v10, 64, v12
	v_cmp_lt_i32_e64 s[8:9], v9, v10
	v_cndmask_b32_e64 v9, v9, v12, s[8:9]
	v_lshlrev_b32_e32 v15, 2, v9
	s_waitcnt vmcnt(8)
	ds_bpermute_b32 v10, v15, v0
	s_waitcnt vmcnt(7)
	ds_bpermute_b32 v9, v15, v1
	;; [unrolled: 2-line block ×8, first 2 shown]
	v_cmp_eq_u32_e64 s[8:9], 0, v12
	s_waitcnt lgkmcnt(7)
	buffer_store_dword v10, off, s[0:3], 0 offset:72
	s_waitcnt lgkmcnt(6)
	buffer_store_dword v9, off, s[0:3], 0 offset:76
	;; [unrolled: 2-line block ×4, first 2 shown]
	s_waitcnt vmcnt(4)
	ds_bpermute_b32 v15, v15, v16
	s_waitcnt lgkmcnt(4)
	buffer_store_dword v4, off, s[0:3], 0 offset:88
	s_waitcnt lgkmcnt(3)
	buffer_store_dword v5, off, s[0:3], 0 offset:92
	s_waitcnt lgkmcnt(2)
	buffer_store_dword v2, off, s[0:3], 0 offset:96
	s_waitcnt lgkmcnt(1)
	buffer_store_dword v3, off, s[0:3], 0 offset:100
	s_waitcnt lgkmcnt(0)
	buffer_store_byte v15, off, s[0:3], 0 offset:104
	s_and_saveexec_b64 s[10:11], s[8:9]
	s_cbranch_execz .LBB2140_445
; %bb.444:
	buffer_load_dword v1, off, s[0:3], 0 offset:156
	buffer_load_dword v0, off, s[0:3], 0 offset:152
	;; [unrolled: 1-line block ×8, first 2 shown]
	v_mov_b32_e32 v15, v13
	buffer_store_byte v13, off, s[0:3], 0 offset:104
	s_waitcnt vmcnt(8)
	buffer_store_dword v1, off, s[0:3], 0 offset:84
	s_waitcnt vmcnt(8)
	buffer_store_dword v0, off, s[0:3], 0 offset:80
	;; [unrolled: 2-line block ×8, first 2 shown]
.LBB2140_445:
	s_or_b64 exec, exec, s[10:11]
	buffer_load_dword v6, off, s[0:3], 0 offset:300
	buffer_load_dword v7, off, s[0:3], 0 offset:296
	;; [unrolled: 1-line block ×9, first 2 shown]
	s_mov_b32 s8, 0x3020104
	buffer_store_dword v9, off, s[0:3], 0 offset:4
	buffer_store_dword v10, off, s[0:3], 0
	buffer_store_dword v1, off, s[0:3], 0 offset:12
	buffer_store_dword v0, off, s[0:3], 0 offset:8
	;; [unrolled: 1-line block ×6, first 2 shown]
	v_perm_b32 v0, v15, v16, s8
                                        ; implicit-def: $vgpr4_vgpr5
                                        ; implicit-def: $vgpr2_vgpr3
	buffer_store_dword v0, off, s[0:3], 0 offset:32
	s_waitcnt vmcnt(17)
	buffer_store_dword v6, off, s[0:3], 0 offset:48
	s_waitcnt vmcnt(17)
	;; [unrolled: 2-line block ×9, first 2 shown]
	buffer_store_dword v12, off, s[0:3], 0 offset:68
                                        ; implicit-def: $vgpr6_vgpr7
                                        ; implicit-def: $vgpr0_vgpr1
	s_and_saveexec_b64 s[8:9], s[6:7]
	s_xor_b64 s[6:7], exec, s[8:9]
	s_cbranch_execz .LBB2140_455
; %bb.446:
	v_mov_b32_e32 v0, 0
	v_cmp_ne_u16_sdwa s[8:9], v12, v0 src0_sel:BYTE_0 src1_sel:DWORD
                                        ; implicit-def: $vgpr6_vgpr7
                                        ; implicit-def: $vgpr4_vgpr5
                                        ; implicit-def: $vgpr2_vgpr3
                                        ; implicit-def: $vgpr0_vgpr1
	s_and_saveexec_b64 s[10:11], s[8:9]
	s_xor_b64 s[8:9], exec, s[10:11]
	s_cbranch_execz .LBB2140_448
; %bb.447:
	buffer_load_dword v0, off, s[0:3], 0 offset:36
	buffer_load_dword v1, off, s[0:3], 0 offset:40
	;; [unrolled: 1-line block ×8, first 2 shown]
.LBB2140_448:
	s_andn2_saveexec_b64 s[8:9], s[8:9]
	s_cbranch_execz .LBB2140_454
; %bb.449:
	s_mov_b32 s10, 0
	s_waitcnt vmcnt(7)
	v_mov_b32_e32 v0, 0x90
	s_waitcnt vmcnt(6)
	v_mov_b32_e32 v1, 0
	s_waitcnt vmcnt(0)
.LBB2140_450:                           ; =>This Inner Loop Header: Depth=1
	v_add_u32_e32 v2, s10, v0
	s_add_i32 s10, s10, 8
	s_cmp_lg_u32 s10, 32
	buffer_store_dword v1, v2, s[0:3], 0 offen offset:4
	buffer_store_dword v1, v2, s[0:3], 0 offen
	s_cbranch_scc1 .LBB2140_450
; %bb.451:
	s_mov_b32 s10, 0
	v_mov_b32_e32 v0, 0
	v_mov_b32_e32 v1, 36
	;; [unrolled: 1-line block ×3, first 2 shown]
.LBB2140_452:                           ; =>This Inner Loop Header: Depth=1
	v_add_u32_e32 v3, s10, v0
	v_add_u32_e32 v4, s10, v1
	buffer_load_dword v5, v3, s[0:3], 0 offen offset:4
	buffer_load_dword v6, v4, s[0:3], 0 offen
	buffer_load_dword v7, v3, s[0:3], 0 offen
	buffer_load_dword v9, v4, s[0:3], 0 offen offset:4
	v_add_u32_e32 v3, s10, v2
	s_add_i32 s10, s10, 8
	s_cmp_lg_u32 s10, 32
	s_waitcnt vmcnt(1)
	v_add_u32_e32 v4, v6, v7
	s_waitcnt vmcnt(0)
	v_add_u32_e32 v5, v9, v5
	buffer_store_dword v5, v3, s[0:3], 0 offen offset:4
	buffer_store_dword v4, v3, s[0:3], 0 offen
	s_cbranch_scc1 .LBB2140_452
; %bb.453:
	buffer_load_dword v0, off, s[0:3], 0 offset:144
	buffer_load_dword v1, off, s[0:3], 0 offset:148
	;; [unrolled: 1-line block ×8, first 2 shown]
.LBB2140_454:
	s_or_b64 exec, exec, s[8:9]
	v_or_b32_e32 v9, v12, v15
	v_and_b32_e32 v12, 1, v9
	s_waitcnt vmcnt(6)
	buffer_store_dword v1, off, s[0:3], 0 offset:40
	buffer_store_dword v0, off, s[0:3], 0 offset:36
	s_waitcnt vmcnt(6)
	buffer_store_dword v3, off, s[0:3], 0 offset:48
	buffer_store_dword v2, off, s[0:3], 0 offset:44
	;; [unrolled: 3-line block ×4, first 2 shown]
	;;#ASMSTART
	;;#ASMEND
.LBB2140_455:
	s_andn2_saveexec_b64 s[6:7], s[6:7]
	s_cbranch_execz .LBB2140_457
; %bb.456:
	buffer_load_dword v0, off, s[0:3], 0 offset:36
	buffer_load_dword v1, off, s[0:3], 0 offset:40
	;; [unrolled: 1-line block ×8, first 2 shown]
.LBB2140_457:
	s_or_b64 exec, exec, s[6:7]
	buffer_load_dword v10, off, s[0:3], 0 offset:48
	buffer_load_dword v13, off, s[0:3], 0 offset:44
	;; [unrolled: 1-line block ×8, first 2 shown]
	buffer_load_ushort v21, off, s[0:3], 0 offset:69
	buffer_load_ubyte v22, off, s[0:3], 0 offset:71
	buffer_load_ubyte v9, off, s[0:3], 0 offset:356
	s_nop 0
	buffer_store_byte v12, off, s[0:3], 0 offset:320
	s_waitcnt vmcnt(18)
	buffer_store_dword v1, off, s[0:3], 0 offset:148
	buffer_store_dword v0, off, s[0:3], 0 offset:144
	s_waitcnt vmcnt(18)
	buffer_store_dword v3, off, s[0:3], 0 offset:156
	buffer_store_dword v2, off, s[0:3], 0 offset:152
	s_waitcnt vmcnt(18)
	buffer_store_dword v5, off, s[0:3], 0 offset:164
	buffer_store_dword v4, off, s[0:3], 0 offset:160
	s_waitcnt vmcnt(18)
	buffer_store_dword v7, off, s[0:3], 0 offset:172
	buffer_store_dword v6, off, s[0:3], 0 offset:168
	s_waitcnt vmcnt(19)
	buffer_store_dword v10, off, s[0:3], 0 offset:300
	s_waitcnt vmcnt(19)
	buffer_store_dword v13, off, s[0:3], 0 offset:296
	;; [unrolled: 2-line block ×8, first 2 shown]
	s_waitcnt vmcnt(19)
	v_lshrrev_b32_e32 v0, 8, v21
	v_lshlrev_b16_e32 v1, 8, v21
	s_waitcnt vmcnt(18)
	v_lshlrev_b16_e32 v2, 8, v22
	v_or_b32_sdwa v1, v12, v1 dst_sel:DWORD dst_unused:UNUSED_PAD src0_sel:BYTE_0 src1_sel:DWORD
	v_or_b32_sdwa v0, v0, v2 dst_sel:WORD_1 dst_unused:UNUSED_PAD src0_sel:BYTE_0 src1_sel:DWORD
	v_or_b32_sdwa v0, v1, v0 dst_sel:DWORD dst_unused:UNUSED_PAD src0_sel:WORD_0 src1_sel:DWORD
	s_waitcnt vmcnt(17)
	v_cmp_ne_u16_e64 s[6:7], 0, v9
	buffer_store_dword v0, off, s[0:3], 0 offset:176
                                        ; implicit-def: $vgpr6_vgpr7
                                        ; implicit-def: $vgpr2_vgpr3
                                        ; implicit-def: $vgpr4_vgpr5
                                        ; implicit-def: $vgpr0_vgpr1
	s_and_saveexec_b64 s[8:9], s[6:7]
	s_xor_b64 s[6:7], exec, s[8:9]
	s_cbranch_execz .LBB2140_459
; %bb.458:
	buffer_load_dword v0, off, s[0:3], 0 offset:324
	buffer_load_dword v1, off, s[0:3], 0 offset:328
	;; [unrolled: 1-line block ×8, first 2 shown]
.LBB2140_459:
	s_andn2_saveexec_b64 s[6:7], s[6:7]
	s_cbranch_execz .LBB2140_465
; %bb.460:
	s_mov_b32 s8, 0
	s_waitcnt vmcnt(7)
	v_mov_b32_e32 v0, 0xf0
	s_waitcnt vmcnt(6)
	v_mov_b32_e32 v1, 0
	s_waitcnt vmcnt(0)
.LBB2140_461:                           ; =>This Inner Loop Header: Depth=1
	v_add_u32_e32 v2, s8, v0
	s_add_i32 s8, s8, 8
	s_cmp_lg_u32 s8, 32
	buffer_store_dword v1, v2, s[0:3], 0 offen offset:4
	buffer_store_dword v1, v2, s[0:3], 0 offen
	s_cbranch_scc1 .LBB2140_461
; %bb.462:
	s_mov_b32 s8, 0
	v_mov_b32_e32 v0, 0x90
	v_mov_b32_e32 v1, 0x120
	;; [unrolled: 1-line block ×3, first 2 shown]
.LBB2140_463:                           ; =>This Inner Loop Header: Depth=1
	v_add_u32_e32 v3, s8, v0
	v_add_u32_e32 v4, s8, v1
	buffer_load_dword v5, v3, s[0:3], 0 offen offset:4
	buffer_load_dword v6, v4, s[0:3], 0 offen offset:36
	buffer_load_dword v7, v3, s[0:3], 0 offen
	buffer_load_dword v10, v4, s[0:3], 0 offen offset:40
	v_add_u32_e32 v3, s8, v2
	s_add_i32 s8, s8, 8
	s_cmp_lg_u32 s8, 32
	s_waitcnt vmcnt(1)
	v_add_u32_e32 v4, v6, v7
	s_waitcnt vmcnt(0)
	v_add_u32_e32 v5, v10, v5
	buffer_store_dword v5, v3, s[0:3], 0 offen offset:4
	buffer_store_dword v4, v3, s[0:3], 0 offen
	s_cbranch_scc1 .LBB2140_463
; %bb.464:
	buffer_load_dword v0, off, s[0:3], 0 offset:240
	buffer_load_dword v1, off, s[0:3], 0 offset:244
	;; [unrolled: 1-line block ×8, first 2 shown]
.LBB2140_465:
	s_or_b64 exec, exec, s[6:7]
	buffer_load_ubyte v10, off, s[0:3], 0 offset:392
	v_or_b32_e32 v9, v9, v12
	v_and_b32_e32 v9, 1, v9
	v_cmp_eq_u32_e64 s[6:7], 1, v9
	s_waitcnt vmcnt(7)
	buffer_store_dword v1, off, s[0:3], 0 offset:148
	buffer_store_dword v0, off, s[0:3], 0 offset:144
	s_waitcnt vmcnt(7)
	buffer_store_dword v5, off, s[0:3], 0 offset:156
	buffer_store_dword v4, off, s[0:3], 0 offset:152
	;; [unrolled: 3-line block ×4, first 2 shown]
	buffer_store_dword v5, v11, s[0:3], 0 offen offset:12
	buffer_store_dword v4, v11, s[0:3], 0 offen offset:8
	;; [unrolled: 1-line block ×3, first 2 shown]
	buffer_store_dword v0, v11, s[0:3], 0 offen
	buffer_store_dword v7, v11, s[0:3], 0 offen offset:28
	buffer_store_dword v6, v11, s[0:3], 0 offen offset:24
	;; [unrolled: 1-line block ×4, first 2 shown]
	buffer_store_byte v9, off, s[0:3], 0 offset:356
                                        ; implicit-def: $vgpr2_vgpr3
                                        ; implicit-def: $vgpr0_vgpr1
                                        ; implicit-def: $vgpr6_vgpr7
                                        ; implicit-def: $vgpr4_vgpr5
	s_waitcnt vmcnt(17)
	v_cmp_ne_u16_e64 s[8:9], 0, v10
	s_and_saveexec_b64 s[10:11], s[8:9]
	s_xor_b64 s[8:9], exec, s[10:11]
	s_cbranch_execz .LBB2140_467
; %bb.466:
	buffer_load_dword v4, off, s[0:3], 0 offset:360
	buffer_load_dword v5, off, s[0:3], 0 offset:364
	;; [unrolled: 1-line block ×8, first 2 shown]
.LBB2140_467:
	s_andn2_saveexec_b64 s[8:9], s[8:9]
	s_cbranch_execz .LBB2140_473
; %bb.468:
	s_mov_b32 s10, 0
	s_waitcnt vmcnt(3)
	v_mov_b32_e32 v0, 0xf0
	s_waitcnt vmcnt(2)
	v_mov_b32_e32 v1, 0
	s_waitcnt vmcnt(0)
.LBB2140_469:                           ; =>This Inner Loop Header: Depth=1
	v_add_u32_e32 v2, s10, v0
	s_add_i32 s10, s10, 8
	s_cmp_lg_u32 s10, 32
	buffer_store_dword v1, v2, s[0:3], 0 offen offset:4
	buffer_store_dword v1, v2, s[0:3], 0 offen
	s_cbranch_scc1 .LBB2140_469
; %bb.470:
	s_mov_b32 s10, 0
	v_mov_b32_e32 v0, 0x90
	v_mov_b32_e32 v1, 0x120
	;; [unrolled: 1-line block ×3, first 2 shown]
.LBB2140_471:                           ; =>This Inner Loop Header: Depth=1
	v_add_u32_e32 v3, s10, v0
	v_add_u32_e32 v4, s10, v1
	buffer_load_dword v5, v3, s[0:3], 0 offen offset:4
	buffer_load_dword v6, v4, s[0:3], 0 offen offset:72
	buffer_load_dword v7, v3, s[0:3], 0 offen
	buffer_load_dword v9, v4, s[0:3], 0 offen offset:76
	v_add_u32_e32 v3, s10, v2
	s_add_i32 s10, s10, 8
	s_cmp_lg_u32 s10, 32
	s_waitcnt vmcnt(1)
	v_add_u32_e32 v4, v6, v7
	s_waitcnt vmcnt(0)
	v_add_u32_e32 v5, v9, v5
	buffer_store_dword v5, v3, s[0:3], 0 offen offset:4
	buffer_store_dword v4, v3, s[0:3], 0 offen
	s_cbranch_scc1 .LBB2140_471
; %bb.472:
	buffer_load_dword v4, off, s[0:3], 0 offset:240
	buffer_load_dword v5, off, s[0:3], 0 offset:244
	;; [unrolled: 1-line block ×8, first 2 shown]
.LBB2140_473:
	s_or_b64 exec, exec, s[8:9]
	s_waitcnt vmcnt(4)
	buffer_store_dword v7, v14, s[0:3], 0 offen offset:12
	buffer_store_dword v6, v14, s[0:3], 0 offen offset:8
	;; [unrolled: 1-line block ×3, first 2 shown]
	buffer_store_dword v4, v14, s[0:3], 0 offen
	s_waitcnt vmcnt(4)
	buffer_store_dword v3, v14, s[0:3], 0 offen offset:28
	v_mov_b32_e32 v3, 0
	ds_read2_b32 v[4:5], v3 offset0:27 offset1:28
	ds_read2_b32 v[6:7], v3 offset0:29 offset1:30
	;; [unrolled: 1-line block ×4, first 2 shown]
	v_and_b32_e32 v9, 1, v10
	v_cmp_eq_u32_e64 s[8:9], 1, v9
	s_or_b64 s[6:7], s[8:9], s[6:7]
	v_cndmask_b32_e64 v9, 0, 1, s[6:7]
	buffer_store_dword v2, v14, s[0:3], 0 offen offset:24
	buffer_store_dword v1, v14, s[0:3], 0 offen offset:20
	buffer_store_dword v0, v14, s[0:3], 0 offen offset:16
	buffer_store_byte v9, off, s[0:3], 0 offset:392
	s_waitcnt lgkmcnt(0)
	buffer_store_dword v17, off, s[0:3], 0 offset:136
	buffer_store_dword v16, off, s[0:3], 0 offset:132
	;; [unrolled: 1-line block ×4, first 2 shown]
	ds_read_u8 v0, v3 offset:140
	buffer_store_dword v7, off, s[0:3], 0 offset:120
	buffer_store_dword v6, off, s[0:3], 0 offset:116
	;; [unrolled: 1-line block ×4, first 2 shown]
	s_waitcnt lgkmcnt(0)
	buffer_store_byte v0, off, s[0:3], 0 offset:140
	s_and_saveexec_b64 s[6:7], vcc
	s_cbranch_execz .LBB2140_475
; %bb.474:
	buffer_load_dword v4, off, s[0:3], 0 offset:108
	buffer_load_dword v5, off, s[0:3], 0 offset:112
	;; [unrolled: 1-line block ×8, first 2 shown]
	s_nop 0
	global_store_byte v3, v0, s[18:19] offset:2336
	v_mov_b32_e32 v0, 2
	s_waitcnt vmcnt(5)
	global_store_dwordx4 v3, v[4:7], s[18:19] offset:2304
	s_waitcnt vmcnt(2)
	global_store_dwordx4 v3, v[16:19], s[18:19] offset:2320
	s_waitcnt vmcnt(0)
	buffer_wbinvl1_vol
	global_store_byte v3, v0, s[20:21] offset:64
.LBB2140_475:
	s_or_b64 exec, exec, s[6:7]
.LBB2140_476:
	s_mov_b32 s6, 0
	v_mov_b32_e32 v0, 0x90
	v_mov_b32_e32 v1, 0
.LBB2140_477:                           ; =>This Inner Loop Header: Depth=1
	v_add_u32_e32 v2, s6, v0
	s_add_i32 s6, s6, 8
	s_cmp_lg_u32 s6, 32
	buffer_store_dword v1, v2, s[0:3], 0 offen offset:4
	buffer_store_dword v1, v2, s[0:3], 0 offen
	s_cbranch_scc1 .LBB2140_477
; %bb.478:
	s_mov_b32 s6, 32
	v_mov_b32_e32 v0, 0x90
	v_mov_b32_e32 v1, 0
.LBB2140_479:                           ; =>This Inner Loop Header: Depth=1
	v_add_u32_e32 v2, s6, v0
	s_add_i32 s6, s6, 8
	s_cmp_lg_u32 s6, 64
	buffer_store_dword v1, v2, s[0:3], 0 offen offset:4
	buffer_store_dword v1, v2, s[0:3], 0 offen
	s_cbranch_scc1 .LBB2140_479
; %bb.480:
	s_mov_b32 s6, 64
	v_mov_b32_e32 v0, 0x90
	v_mov_b32_e32 v1, 0
.LBB2140_481:                           ; =>This Inner Loop Header: Depth=1
	v_add_u32_e32 v2, s6, v0
	s_add_i32 s6, s6, 8
	s_cmpk_lg_i32 s6, 0x60
	buffer_store_dword v1, v2, s[0:3], 0 offen offset:4
	buffer_store_dword v1, v2, s[0:3], 0 offen
	s_cbranch_scc1 .LBB2140_481
; %bb.482:
	s_add_u32 s6, s30, s14
	s_addc_u32 s7, s31, s15
	v_mov_b32_e32 v0, 0x90
	s_add_u32 s8, s6, s24
	v_add_u32_e32 v2, 64, v0
	v_add_u32_e32 v3, 32, v0
	s_addc_u32 s9, s7, s25
	s_and_b64 vcc, exec, s[4:5]
	s_cbranch_vccz .LBB2140_492
; %bb.483:
	s_add_i32 s23, s23, s22
	v_mul_u32_u24_e32 v0, 3, v8
	v_cmp_gt_u32_e32 vcc, s23, v0
	s_and_saveexec_b64 s[4:5], vcc
	s_cbranch_execz .LBB2140_487
; %bb.484:
	buffer_load_dword v1, off, s[0:3], 0 offset:300
	buffer_load_dword v4, off, s[0:3], 0 offset:296
	;; [unrolled: 1-line block ×8, first 2 shown]
	v_add_u32_e32 v13, 1, v0
	v_cmp_gt_u32_e32 vcc, s23, v13
	s_waitcnt vmcnt(7)
	buffer_store_dword v1, off, s[0:3], 0 offset:156
	s_waitcnt vmcnt(7)
	buffer_store_dword v4, off, s[0:3], 0 offset:152
	;; [unrolled: 2-line block ×8, first 2 shown]
	s_and_b64 exec, exec, vcc
	s_cbranch_execz .LBB2140_487
; %bb.485:
	buffer_load_dword v1, v11, s[0:3], 0 offen offset:12
	buffer_load_dword v4, v11, s[0:3], 0 offen offset:8
	buffer_load_dword v5, v11, s[0:3], 0 offen offset:4
	buffer_load_dword v6, v11, s[0:3], 0 offen
	buffer_load_dword v7, v11, s[0:3], 0 offen offset:28
	buffer_load_dword v9, v11, s[0:3], 0 offen offset:24
	;; [unrolled: 1-line block ×4, first 2 shown]
	v_add_u32_e32 v13, 2, v0
	v_cmp_gt_u32_e32 vcc, s23, v13
	s_waitcnt vmcnt(7)
	buffer_store_dword v1, v3, s[0:3], 0 offen offset:12
	s_waitcnt vmcnt(7)
	buffer_store_dword v4, v3, s[0:3], 0 offen offset:8
	;; [unrolled: 2-line block ×3, first 2 shown]
	s_waitcnt vmcnt(7)
	buffer_store_dword v6, v3, s[0:3], 0 offen
	s_waitcnt vmcnt(7)
	buffer_store_dword v7, v3, s[0:3], 0 offen offset:28
	s_waitcnt vmcnt(7)
	buffer_store_dword v9, v3, s[0:3], 0 offen offset:24
	;; [unrolled: 2-line block ×4, first 2 shown]
	s_and_b64 exec, exec, vcc
	s_cbranch_execz .LBB2140_487
; %bb.486:
	buffer_load_dword v1, v14, s[0:3], 0 offen offset:12
	buffer_load_dword v4, v14, s[0:3], 0 offen offset:8
	;; [unrolled: 1-line block ×3, first 2 shown]
	buffer_load_dword v6, v14, s[0:3], 0 offen
	buffer_load_dword v7, v14, s[0:3], 0 offen offset:28
	buffer_load_dword v9, v14, s[0:3], 0 offen offset:24
	buffer_load_dword v10, v14, s[0:3], 0 offen offset:20
	buffer_load_dword v12, v14, s[0:3], 0 offen offset:16
	s_waitcnt vmcnt(7)
	buffer_store_dword v1, v2, s[0:3], 0 offen offset:12
	s_waitcnt vmcnt(7)
	buffer_store_dword v4, v2, s[0:3], 0 offen offset:8
	;; [unrolled: 2-line block ×3, first 2 shown]
	s_waitcnt vmcnt(7)
	buffer_store_dword v6, v2, s[0:3], 0 offen
	s_waitcnt vmcnt(7)
	buffer_store_dword v7, v2, s[0:3], 0 offen offset:28
	s_waitcnt vmcnt(7)
	buffer_store_dword v9, v2, s[0:3], 0 offen offset:24
	;; [unrolled: 2-line block ×4, first 2 shown]
.LBB2140_487:
	s_or_b64 exec, exec, s[4:5]
	s_barrier
	buffer_load_dword v16, off, s[0:3], 0 offset:144
	buffer_load_dword v17, off, s[0:3], 0 offset:148
	;; [unrolled: 1-line block ×8, first 2 shown]
	buffer_load_dword v24, v3, s[0:3], 0 offen
	buffer_load_dword v25, v3, s[0:3], 0 offen offset:4
	buffer_load_dword v26, v3, s[0:3], 0 offen offset:8
	buffer_load_dword v27, v3, s[0:3], 0 offen offset:12
	buffer_load_dword v28, v3, s[0:3], 0 offen offset:16
	buffer_load_dword v29, v3, s[0:3], 0 offen offset:20
	buffer_load_dword v30, v3, s[0:3], 0 offen offset:24
	buffer_load_dword v31, v3, s[0:3], 0 offen offset:28
	buffer_load_dword v32, v2, s[0:3], 0 offen
	buffer_load_dword v33, v2, s[0:3], 0 offen offset:4
	buffer_load_dword v34, v2, s[0:3], 0 offen offset:8
	;; [unrolled: 1-line block ×7, first 2 shown]
	v_lshlrev_b32_e32 v0, 5, v0
	v_lshlrev_b32_e32 v1, 6, v8
	v_sub_u32_e32 v4, v0, v1
	v_lshlrev_b32_e32 v5, 5, v8
	v_mov_b32_e32 v6, s9
	v_mov_b32_e32 v9, 0
	s_waitcnt vmcnt(20)
	ds_write_b128 v0, v[16:19]
	s_waitcnt vmcnt(16)
	ds_write_b128 v0, v[20:23] offset:16
	s_waitcnt vmcnt(12)
	ds_write_b128 v0, v[24:27] offset:32
	;; [unrolled: 2-line block ×5, first 2 shown]
	s_waitcnt lgkmcnt(0)
	s_barrier
	ds_read_b128 v[16:19], v4 offset:8192
	ds_read_b128 v[20:23], v4 offset:8208
	;; [unrolled: 1-line block ×4, first 2 shown]
	v_add_co_u32_e32 v0, vcc, s8, v5
	v_addc_co_u32_e32 v1, vcc, 0, v6, vcc
	v_cmp_gt_u32_e32 vcc, s23, v8
	s_waitcnt lgkmcnt(3)
	buffer_store_dword v19, v3, s[0:3], 0 offen offset:12
	buffer_store_dword v18, v3, s[0:3], 0 offen offset:8
	;; [unrolled: 1-line block ×3, first 2 shown]
	buffer_store_dword v16, v3, s[0:3], 0 offen
	s_waitcnt lgkmcnt(2)
	buffer_store_dword v23, v3, s[0:3], 0 offen offset:28
	buffer_store_dword v22, v3, s[0:3], 0 offen offset:24
	;; [unrolled: 1-line block ×4, first 2 shown]
	s_waitcnt lgkmcnt(1)
	buffer_store_dword v27, v2, s[0:3], 0 offen offset:12
	buffer_store_dword v26, v2, s[0:3], 0 offen offset:8
	;; [unrolled: 1-line block ×3, first 2 shown]
	buffer_store_dword v24, v2, s[0:3], 0 offen
	s_waitcnt lgkmcnt(0)
	buffer_store_dword v31, v2, s[0:3], 0 offen offset:28
	buffer_store_dword v30, v2, s[0:3], 0 offen offset:24
	;; [unrolled: 1-line block ×4, first 2 shown]
	s_and_saveexec_b64 s[4:5], vcc
	s_cbranch_execz .LBB2140_489
; %bb.488:
	ds_read2_b32 v[16:17], v4 offset0:4 offset1:5
	ds_read2_b32 v[18:19], v4 offset0:6 offset1:7
	;; [unrolled: 1-line block ×3, first 2 shown]
	ds_read2_b32 v[4:5], v4 offset1:1
	s_waitcnt lgkmcnt(0)
	flat_store_dwordx4 v[0:1], v[4:7]
	flat_store_dwordx4 v[0:1], v[16:19] offset:16
.LBB2140_489:
	s_or_b64 exec, exec, s[4:5]
	v_or_b32_e32 v4, 0x100, v8
	v_cmp_gt_u32_e32 vcc, s23, v4
	s_and_saveexec_b64 s[6:7], vcc
	s_cbranch_execz .LBB2140_491
; %bb.490:
	buffer_load_dword v4, v3, s[0:3], 0 offen offset:16
	buffer_load_dword v5, v3, s[0:3], 0 offen offset:20
	buffer_load_dword v6, v3, s[0:3], 0 offen offset:24
	buffer_load_dword v7, v3, s[0:3], 0 offen offset:28
	buffer_load_dword v16, v3, s[0:3], 0 offen
	buffer_load_dword v17, v3, s[0:3], 0 offen offset:4
	buffer_load_dword v18, v3, s[0:3], 0 offen offset:8
	;; [unrolled: 1-line block ×3, first 2 shown]
	v_add_co_u32_e32 v12, vcc, 0x2000, v0
	s_mov_b64 s[4:5], vcc
	v_addc_co_u32_e64 v13, s[4:5], 0, v1, s[4:5]
	s_waitcnt vmcnt(0)
	flat_store_dwordx4 v[12:13], v[4:7] offset:16
	v_addc_co_u32_e32 v13, vcc, 0, v1, vcc
	flat_store_dwordx4 v[12:13], v[16:19]
.LBB2140_491:
	s_or_b64 exec, exec, s[6:7]
	v_or_b32_e32 v0, 0x200, v8
	v_cmp_gt_u32_e64 s[6:7], s23, v0
	s_branch .LBB2140_494
.LBB2140_492:
	s_mov_b64 s[6:7], 0
	s_cbranch_execz .LBB2140_494
; %bb.493:
	buffer_load_dword v0, off, s[0:3], 0 offset:300
	buffer_load_dword v1, off, s[0:3], 0 offset:296
	;; [unrolled: 1-line block ×8, first 2 shown]
	buffer_load_dword v12, v11, s[0:3], 0 offen offset:12
	buffer_load_dword v13, v11, s[0:3], 0 offen offset:8
	;; [unrolled: 1-line block ×3, first 2 shown]
	buffer_load_dword v16, v11, s[0:3], 0 offen
	buffer_load_dword v17, v11, s[0:3], 0 offen offset:28
	buffer_load_dword v18, v11, s[0:3], 0 offen offset:24
	;; [unrolled: 1-line block ×7, first 2 shown]
	buffer_load_dword v24, v14, s[0:3], 0 offen
	buffer_load_dword v25, v14, s[0:3], 0 offen offset:28
	buffer_load_dword v26, v14, s[0:3], 0 offen offset:24
	;; [unrolled: 1-line block ×3, first 2 shown]
                                        ; kill: killed $vgpr11
	buffer_load_dword v11, v14, s[0:3], 0 offen offset:16
	v_mul_u32_u24_e32 v34, 0x60, v8
	v_mov_b32_e32 v30, s9
	s_or_b64 s[6:7], s[6:7], exec
	s_waitcnt vmcnt(0)
	buffer_store_dword v0, off, s[0:3], 0 offset:156
	buffer_store_dword v1, off, s[0:3], 0 offset:152
	;; [unrolled: 1-line block ×8, first 2 shown]
	buffer_store_dword v12, v3, s[0:3], 0 offen offset:12
	buffer_store_dword v13, v3, s[0:3], 0 offen offset:8
	;; [unrolled: 1-line block ×3, first 2 shown]
	buffer_store_dword v16, v3, s[0:3], 0 offen
	buffer_store_dword v17, v3, s[0:3], 0 offen offset:28
	buffer_store_dword v18, v3, s[0:3], 0 offen offset:24
	;; [unrolled: 1-line block ×7, first 2 shown]
	buffer_store_dword v24, v2, s[0:3], 0 offen
	buffer_store_dword v25, v2, s[0:3], 0 offen offset:28
	buffer_store_dword v26, v2, s[0:3], 0 offen offset:24
	;; [unrolled: 1-line block ×4, first 2 shown]
	s_waitcnt lgkmcnt(0)
	s_barrier
	buffer_load_dword v4, off, s[0:3], 0 offset:144
	buffer_load_dword v5, off, s[0:3], 0 offset:148
	;; [unrolled: 1-line block ×8, first 2 shown]
	buffer_load_dword v14, v3, s[0:3], 0 offen
	buffer_load_dword v15, v3, s[0:3], 0 offen offset:4
	buffer_load_dword v16, v3, s[0:3], 0 offen offset:8
	;; [unrolled: 1-line block ×7, first 2 shown]
	buffer_load_dword v22, v2, s[0:3], 0 offen
	buffer_load_dword v23, v2, s[0:3], 0 offen offset:4
	buffer_load_dword v24, v2, s[0:3], 0 offen offset:8
	;; [unrolled: 1-line block ×7, first 2 shown]
	v_lshlrev_b32_e32 v0, 6, v8
	v_sub_u32_e32 v35, v34, v0
	v_lshlrev_b32_e32 v1, 5, v8
	v_add_co_u32_e32 v0, vcc, s8, v1
	v_addc_co_u32_e32 v1, vcc, 0, v30, vcc
	v_mov_b32_e32 v9, 0
	v_add_co_u32_e32 v30, vcc, 0x2000, v0
	v_addc_co_u32_e64 v31, s[4:5], 0, v1, vcc
	v_addc_co_u32_e32 v33, vcc, 0, v1, vcc
	v_mov_b32_e32 v32, v30
	s_waitcnt vmcnt(20)
	ds_write_b128 v34, v[4:7]
	s_waitcnt vmcnt(16)
	ds_write_b128 v34, v[10:13] offset:16
	s_waitcnt vmcnt(12)
	ds_write_b128 v34, v[14:17] offset:32
	;; [unrolled: 2-line block ×5, first 2 shown]
	s_waitcnt lgkmcnt(0)
	s_barrier
	ds_read_b128 v[4:7], v35 offset:8192
	ds_read_b128 v[10:13], v35 offset:8208
	;; [unrolled: 1-line block ×4, first 2 shown]
	ds_read2_b32 v[22:23], v35 offset1:1
	ds_read2_b32 v[28:29], v35 offset0:6 offset1:7
	ds_read2_b32 v[26:27], v35 offset0:4 offset1:5
	;; [unrolled: 1-line block ×3, first 2 shown]
	s_waitcnt lgkmcnt(7)
	buffer_store_dword v7, v3, s[0:3], 0 offen offset:12
	buffer_store_dword v6, v3, s[0:3], 0 offen offset:8
	;; [unrolled: 1-line block ×3, first 2 shown]
	buffer_store_dword v4, v3, s[0:3], 0 offen
	s_waitcnt lgkmcnt(6)
	buffer_store_dword v13, v3, s[0:3], 0 offen offset:28
	buffer_store_dword v12, v3, s[0:3], 0 offen offset:24
	;; [unrolled: 1-line block ×4, first 2 shown]
	s_waitcnt lgkmcnt(5)
	buffer_store_dword v17, v2, s[0:3], 0 offen offset:12
	buffer_store_dword v16, v2, s[0:3], 0 offen offset:8
	;; [unrolled: 1-line block ×3, first 2 shown]
	buffer_store_dword v14, v2, s[0:3], 0 offen
	s_waitcnt lgkmcnt(4)
	buffer_store_dword v21, v2, s[0:3], 0 offen offset:28
	buffer_store_dword v20, v2, s[0:3], 0 offen offset:24
	;; [unrolled: 1-line block ×4, first 2 shown]
	s_waitcnt lgkmcnt(1)
	flat_store_dwordx4 v[0:1], v[26:29] offset:16
	s_waitcnt lgkmcnt(0)
	flat_store_dwordx4 v[0:1], v[22:25]
	flat_store_dwordx4 v[32:33], v[4:7]
	flat_store_dwordx4 v[30:31], v[10:13] offset:16
.LBB2140_494:
	s_and_saveexec_b64 s[4:5], s[6:7]
	s_cbranch_execnz .LBB2140_496
; %bb.495:
	s_endpgm
.LBB2140_496:
	buffer_load_dword v4, v2, s[0:3], 0 offen offset:16
	buffer_load_dword v5, v2, s[0:3], 0 offen offset:20
	;; [unrolled: 1-line block ×4, first 2 shown]
	buffer_load_dword v10, v2, s[0:3], 0 offen
	buffer_load_dword v11, v2, s[0:3], 0 offen offset:4
	buffer_load_dword v12, v2, s[0:3], 0 offen offset:8
	;; [unrolled: 1-line block ×3, first 2 shown]
	v_lshlrev_b64 v[0:1], 5, v[8:9]
	v_mov_b32_e32 v2, s9
	v_add_co_u32_e32 v0, vcc, s8, v0
	v_addc_co_u32_e32 v2, vcc, v2, v1, vcc
	v_add_co_u32_e32 v0, vcc, 0x4000, v0
	v_addc_co_u32_e64 v1, s[4:5], 0, v2, vcc
	s_waitcnt vmcnt(0)
	flat_store_dwordx4 v[0:1], v[4:7] offset:16
	v_addc_co_u32_e32 v1, vcc, 0, v2, vcc
	flat_store_dwordx4 v[0:1], v[10:13]
	s_endpgm
.LBB2140_497:
	v_lshlrev_b64 v[12:13], 5, v[8:9]
	v_mov_b32_e32 v9, s33
	v_add_co_u32_e32 v12, vcc, s11, v12
	v_addc_co_u32_e32 v13, vcc, v9, v13, vcc
	flat_load_dwordx4 v[18:21], v[12:13]
	flat_load_dwordx4 v[22:25], v[12:13] offset:16
	s_waitcnt vmcnt(0) lgkmcnt(0)
	buffer_store_dword v19, off, s[0:3], 0 offset:148
	buffer_store_dword v18, off, s[0:3], 0 offset:144
	;; [unrolled: 1-line block ×8, first 2 shown]
	s_or_b64 exec, exec, s[36:37]
	s_and_saveexec_b64 s[12:13], s[8:9]
	s_cbranch_execz .LBB2140_315
.LBB2140_498:
	v_lshlrev_b32_e32 v7, 5, v7
	v_mov_b32_e32 v9, s33
	v_add_co_u32_e32 v12, vcc, s11, v7
	v_addc_co_u32_e32 v13, vcc, 0, v9, vcc
	flat_load_dwordx4 v[18:21], v[12:13]
	flat_load_dwordx4 v[22:25], v[12:13] offset:16
	s_waitcnt vmcnt(0) lgkmcnt(0)
	buffer_store_dword v19, off, s[0:3], 0 offset:180
	buffer_store_dword v18, off, s[0:3], 0 offset:176
	;; [unrolled: 1-line block ×8, first 2 shown]
	s_or_b64 exec, exec, s[12:13]
	s_and_saveexec_b64 s[8:9], s[6:7]
	s_cbranch_execnz .LBB2140_316
	s_branch .LBB2140_317
.LBB2140_499:
                                        ; implicit-def: $sgpr36_sgpr37
	s_branch .LBB2140_310
.LBB2140_500:
                                        ; implicit-def: $sgpr6_sgpr7
	s_branch .LBB2140_325
	.section	.rodata,"a",@progbits
	.p2align	6, 0x0
	.amdhsa_kernel _ZN7rocprim17ROCPRIM_400000_NS6detail17trampoline_kernelINS0_14default_configENS1_27scan_by_key_config_selectorIj11FixedVectorIiLj8EEEEZZNS1_16scan_by_key_implILNS1_25lookback_scan_determinismE0ELb0ES3_N6thrust23THRUST_200600_302600_NS6detail15normal_iteratorINSB_10device_ptrIjEEEENSD_INSE_IS6_EEEESI_S6_NSB_4plusIvEENSB_8equal_toIvEES6_EE10hipError_tPvRmT2_T3_T4_T5_mT6_T7_P12ihipStream_tbENKUlT_T0_E_clISt17integral_constantIbLb1EES12_IbLb0EEEEDaSY_SZ_EUlSY_E_NS1_11comp_targetILNS1_3genE4ELNS1_11target_archE910ELNS1_3gpuE8ELNS1_3repE0EEENS1_30default_config_static_selectorELNS0_4arch9wavefront6targetE1EEEvT1_
		.amdhsa_group_segment_fixed_size 32768
		.amdhsa_private_segment_fixed_size 400
		.amdhsa_kernarg_size 160
		.amdhsa_user_sgpr_count 10
		.amdhsa_user_sgpr_private_segment_buffer 1
		.amdhsa_user_sgpr_dispatch_ptr 1
		.amdhsa_user_sgpr_queue_ptr 0
		.amdhsa_user_sgpr_kernarg_segment_ptr 1
		.amdhsa_user_sgpr_dispatch_id 0
		.amdhsa_user_sgpr_flat_scratch_init 1
		.amdhsa_user_sgpr_kernarg_preload_length 0
		.amdhsa_user_sgpr_kernarg_preload_offset 0
		.amdhsa_user_sgpr_private_segment_size 0
		.amdhsa_uses_dynamic_stack 0
		.amdhsa_system_sgpr_private_segment_wavefront_offset 1
		.amdhsa_system_sgpr_workgroup_id_x 1
		.amdhsa_system_sgpr_workgroup_id_y 0
		.amdhsa_system_sgpr_workgroup_id_z 0
		.amdhsa_system_sgpr_workgroup_info 0
		.amdhsa_system_vgpr_workitem_id 2
		.amdhsa_next_free_vgpr 45
		.amdhsa_next_free_sgpr 51
		.amdhsa_accum_offset 48
		.amdhsa_reserve_vcc 1
		.amdhsa_reserve_flat_scratch 1
		.amdhsa_float_round_mode_32 0
		.amdhsa_float_round_mode_16_64 0
		.amdhsa_float_denorm_mode_32 3
		.amdhsa_float_denorm_mode_16_64 3
		.amdhsa_dx10_clamp 1
		.amdhsa_ieee_mode 1
		.amdhsa_fp16_overflow 0
		.amdhsa_tg_split 0
		.amdhsa_exception_fp_ieee_invalid_op 0
		.amdhsa_exception_fp_denorm_src 0
		.amdhsa_exception_fp_ieee_div_zero 0
		.amdhsa_exception_fp_ieee_overflow 0
		.amdhsa_exception_fp_ieee_underflow 0
		.amdhsa_exception_fp_ieee_inexact 0
		.amdhsa_exception_int_div_zero 0
	.end_amdhsa_kernel
	.section	.text._ZN7rocprim17ROCPRIM_400000_NS6detail17trampoline_kernelINS0_14default_configENS1_27scan_by_key_config_selectorIj11FixedVectorIiLj8EEEEZZNS1_16scan_by_key_implILNS1_25lookback_scan_determinismE0ELb0ES3_N6thrust23THRUST_200600_302600_NS6detail15normal_iteratorINSB_10device_ptrIjEEEENSD_INSE_IS6_EEEESI_S6_NSB_4plusIvEENSB_8equal_toIvEES6_EE10hipError_tPvRmT2_T3_T4_T5_mT6_T7_P12ihipStream_tbENKUlT_T0_E_clISt17integral_constantIbLb1EES12_IbLb0EEEEDaSY_SZ_EUlSY_E_NS1_11comp_targetILNS1_3genE4ELNS1_11target_archE910ELNS1_3gpuE8ELNS1_3repE0EEENS1_30default_config_static_selectorELNS0_4arch9wavefront6targetE1EEEvT1_,"axG",@progbits,_ZN7rocprim17ROCPRIM_400000_NS6detail17trampoline_kernelINS0_14default_configENS1_27scan_by_key_config_selectorIj11FixedVectorIiLj8EEEEZZNS1_16scan_by_key_implILNS1_25lookback_scan_determinismE0ELb0ES3_N6thrust23THRUST_200600_302600_NS6detail15normal_iteratorINSB_10device_ptrIjEEEENSD_INSE_IS6_EEEESI_S6_NSB_4plusIvEENSB_8equal_toIvEES6_EE10hipError_tPvRmT2_T3_T4_T5_mT6_T7_P12ihipStream_tbENKUlT_T0_E_clISt17integral_constantIbLb1EES12_IbLb0EEEEDaSY_SZ_EUlSY_E_NS1_11comp_targetILNS1_3genE4ELNS1_11target_archE910ELNS1_3gpuE8ELNS1_3repE0EEENS1_30default_config_static_selectorELNS0_4arch9wavefront6targetE1EEEvT1_,comdat
.Lfunc_end2140:
	.size	_ZN7rocprim17ROCPRIM_400000_NS6detail17trampoline_kernelINS0_14default_configENS1_27scan_by_key_config_selectorIj11FixedVectorIiLj8EEEEZZNS1_16scan_by_key_implILNS1_25lookback_scan_determinismE0ELb0ES3_N6thrust23THRUST_200600_302600_NS6detail15normal_iteratorINSB_10device_ptrIjEEEENSD_INSE_IS6_EEEESI_S6_NSB_4plusIvEENSB_8equal_toIvEES6_EE10hipError_tPvRmT2_T3_T4_T5_mT6_T7_P12ihipStream_tbENKUlT_T0_E_clISt17integral_constantIbLb1EES12_IbLb0EEEEDaSY_SZ_EUlSY_E_NS1_11comp_targetILNS1_3genE4ELNS1_11target_archE910ELNS1_3gpuE8ELNS1_3repE0EEENS1_30default_config_static_selectorELNS0_4arch9wavefront6targetE1EEEvT1_, .Lfunc_end2140-_ZN7rocprim17ROCPRIM_400000_NS6detail17trampoline_kernelINS0_14default_configENS1_27scan_by_key_config_selectorIj11FixedVectorIiLj8EEEEZZNS1_16scan_by_key_implILNS1_25lookback_scan_determinismE0ELb0ES3_N6thrust23THRUST_200600_302600_NS6detail15normal_iteratorINSB_10device_ptrIjEEEENSD_INSE_IS6_EEEESI_S6_NSB_4plusIvEENSB_8equal_toIvEES6_EE10hipError_tPvRmT2_T3_T4_T5_mT6_T7_P12ihipStream_tbENKUlT_T0_E_clISt17integral_constantIbLb1EES12_IbLb0EEEEDaSY_SZ_EUlSY_E_NS1_11comp_targetILNS1_3genE4ELNS1_11target_archE910ELNS1_3gpuE8ELNS1_3repE0EEENS1_30default_config_static_selectorELNS0_4arch9wavefront6targetE1EEEvT1_
                                        ; -- End function
	.section	.AMDGPU.csdata,"",@progbits
; Kernel info:
; codeLenInByte = 34168
; NumSgprs: 57
; NumVgprs: 45
; NumAgprs: 0
; TotalNumVgprs: 45
; ScratchSize: 400
; MemoryBound: 0
; FloatMode: 240
; IeeeMode: 1
; LDSByteSize: 32768 bytes/workgroup (compile time only)
; SGPRBlocks: 7
; VGPRBlocks: 5
; NumSGPRsForWavesPerEU: 57
; NumVGPRsForWavesPerEU: 45
; AccumOffset: 48
; Occupancy: 2
; WaveLimiterHint : 1
; COMPUTE_PGM_RSRC2:SCRATCH_EN: 1
; COMPUTE_PGM_RSRC2:USER_SGPR: 10
; COMPUTE_PGM_RSRC2:TRAP_HANDLER: 0
; COMPUTE_PGM_RSRC2:TGID_X_EN: 1
; COMPUTE_PGM_RSRC2:TGID_Y_EN: 0
; COMPUTE_PGM_RSRC2:TGID_Z_EN: 0
; COMPUTE_PGM_RSRC2:TIDIG_COMP_CNT: 2
; COMPUTE_PGM_RSRC3_GFX90A:ACCUM_OFFSET: 11
; COMPUTE_PGM_RSRC3_GFX90A:TG_SPLIT: 0
	.section	.text._ZN7rocprim17ROCPRIM_400000_NS6detail17trampoline_kernelINS0_14default_configENS1_27scan_by_key_config_selectorIj11FixedVectorIiLj8EEEEZZNS1_16scan_by_key_implILNS1_25lookback_scan_determinismE0ELb0ES3_N6thrust23THRUST_200600_302600_NS6detail15normal_iteratorINSB_10device_ptrIjEEEENSD_INSE_IS6_EEEESI_S6_NSB_4plusIvEENSB_8equal_toIvEES6_EE10hipError_tPvRmT2_T3_T4_T5_mT6_T7_P12ihipStream_tbENKUlT_T0_E_clISt17integral_constantIbLb1EES12_IbLb0EEEEDaSY_SZ_EUlSY_E_NS1_11comp_targetILNS1_3genE3ELNS1_11target_archE908ELNS1_3gpuE7ELNS1_3repE0EEENS1_30default_config_static_selectorELNS0_4arch9wavefront6targetE1EEEvT1_,"axG",@progbits,_ZN7rocprim17ROCPRIM_400000_NS6detail17trampoline_kernelINS0_14default_configENS1_27scan_by_key_config_selectorIj11FixedVectorIiLj8EEEEZZNS1_16scan_by_key_implILNS1_25lookback_scan_determinismE0ELb0ES3_N6thrust23THRUST_200600_302600_NS6detail15normal_iteratorINSB_10device_ptrIjEEEENSD_INSE_IS6_EEEESI_S6_NSB_4plusIvEENSB_8equal_toIvEES6_EE10hipError_tPvRmT2_T3_T4_T5_mT6_T7_P12ihipStream_tbENKUlT_T0_E_clISt17integral_constantIbLb1EES12_IbLb0EEEEDaSY_SZ_EUlSY_E_NS1_11comp_targetILNS1_3genE3ELNS1_11target_archE908ELNS1_3gpuE7ELNS1_3repE0EEENS1_30default_config_static_selectorELNS0_4arch9wavefront6targetE1EEEvT1_,comdat
	.protected	_ZN7rocprim17ROCPRIM_400000_NS6detail17trampoline_kernelINS0_14default_configENS1_27scan_by_key_config_selectorIj11FixedVectorIiLj8EEEEZZNS1_16scan_by_key_implILNS1_25lookback_scan_determinismE0ELb0ES3_N6thrust23THRUST_200600_302600_NS6detail15normal_iteratorINSB_10device_ptrIjEEEENSD_INSE_IS6_EEEESI_S6_NSB_4plusIvEENSB_8equal_toIvEES6_EE10hipError_tPvRmT2_T3_T4_T5_mT6_T7_P12ihipStream_tbENKUlT_T0_E_clISt17integral_constantIbLb1EES12_IbLb0EEEEDaSY_SZ_EUlSY_E_NS1_11comp_targetILNS1_3genE3ELNS1_11target_archE908ELNS1_3gpuE7ELNS1_3repE0EEENS1_30default_config_static_selectorELNS0_4arch9wavefront6targetE1EEEvT1_ ; -- Begin function _ZN7rocprim17ROCPRIM_400000_NS6detail17trampoline_kernelINS0_14default_configENS1_27scan_by_key_config_selectorIj11FixedVectorIiLj8EEEEZZNS1_16scan_by_key_implILNS1_25lookback_scan_determinismE0ELb0ES3_N6thrust23THRUST_200600_302600_NS6detail15normal_iteratorINSB_10device_ptrIjEEEENSD_INSE_IS6_EEEESI_S6_NSB_4plusIvEENSB_8equal_toIvEES6_EE10hipError_tPvRmT2_T3_T4_T5_mT6_T7_P12ihipStream_tbENKUlT_T0_E_clISt17integral_constantIbLb1EES12_IbLb0EEEEDaSY_SZ_EUlSY_E_NS1_11comp_targetILNS1_3genE3ELNS1_11target_archE908ELNS1_3gpuE7ELNS1_3repE0EEENS1_30default_config_static_selectorELNS0_4arch9wavefront6targetE1EEEvT1_
	.globl	_ZN7rocprim17ROCPRIM_400000_NS6detail17trampoline_kernelINS0_14default_configENS1_27scan_by_key_config_selectorIj11FixedVectorIiLj8EEEEZZNS1_16scan_by_key_implILNS1_25lookback_scan_determinismE0ELb0ES3_N6thrust23THRUST_200600_302600_NS6detail15normal_iteratorINSB_10device_ptrIjEEEENSD_INSE_IS6_EEEESI_S6_NSB_4plusIvEENSB_8equal_toIvEES6_EE10hipError_tPvRmT2_T3_T4_T5_mT6_T7_P12ihipStream_tbENKUlT_T0_E_clISt17integral_constantIbLb1EES12_IbLb0EEEEDaSY_SZ_EUlSY_E_NS1_11comp_targetILNS1_3genE3ELNS1_11target_archE908ELNS1_3gpuE7ELNS1_3repE0EEENS1_30default_config_static_selectorELNS0_4arch9wavefront6targetE1EEEvT1_
	.p2align	8
	.type	_ZN7rocprim17ROCPRIM_400000_NS6detail17trampoline_kernelINS0_14default_configENS1_27scan_by_key_config_selectorIj11FixedVectorIiLj8EEEEZZNS1_16scan_by_key_implILNS1_25lookback_scan_determinismE0ELb0ES3_N6thrust23THRUST_200600_302600_NS6detail15normal_iteratorINSB_10device_ptrIjEEEENSD_INSE_IS6_EEEESI_S6_NSB_4plusIvEENSB_8equal_toIvEES6_EE10hipError_tPvRmT2_T3_T4_T5_mT6_T7_P12ihipStream_tbENKUlT_T0_E_clISt17integral_constantIbLb1EES12_IbLb0EEEEDaSY_SZ_EUlSY_E_NS1_11comp_targetILNS1_3genE3ELNS1_11target_archE908ELNS1_3gpuE7ELNS1_3repE0EEENS1_30default_config_static_selectorELNS0_4arch9wavefront6targetE1EEEvT1_,@function
_ZN7rocprim17ROCPRIM_400000_NS6detail17trampoline_kernelINS0_14default_configENS1_27scan_by_key_config_selectorIj11FixedVectorIiLj8EEEEZZNS1_16scan_by_key_implILNS1_25lookback_scan_determinismE0ELb0ES3_N6thrust23THRUST_200600_302600_NS6detail15normal_iteratorINSB_10device_ptrIjEEEENSD_INSE_IS6_EEEESI_S6_NSB_4plusIvEENSB_8equal_toIvEES6_EE10hipError_tPvRmT2_T3_T4_T5_mT6_T7_P12ihipStream_tbENKUlT_T0_E_clISt17integral_constantIbLb1EES12_IbLb0EEEEDaSY_SZ_EUlSY_E_NS1_11comp_targetILNS1_3genE3ELNS1_11target_archE908ELNS1_3gpuE7ELNS1_3repE0EEENS1_30default_config_static_selectorELNS0_4arch9wavefront6targetE1EEEvT1_: ; @_ZN7rocprim17ROCPRIM_400000_NS6detail17trampoline_kernelINS0_14default_configENS1_27scan_by_key_config_selectorIj11FixedVectorIiLj8EEEEZZNS1_16scan_by_key_implILNS1_25lookback_scan_determinismE0ELb0ES3_N6thrust23THRUST_200600_302600_NS6detail15normal_iteratorINSB_10device_ptrIjEEEENSD_INSE_IS6_EEEESI_S6_NSB_4plusIvEENSB_8equal_toIvEES6_EE10hipError_tPvRmT2_T3_T4_T5_mT6_T7_P12ihipStream_tbENKUlT_T0_E_clISt17integral_constantIbLb1EES12_IbLb0EEEEDaSY_SZ_EUlSY_E_NS1_11comp_targetILNS1_3genE3ELNS1_11target_archE908ELNS1_3gpuE7ELNS1_3repE0EEENS1_30default_config_static_selectorELNS0_4arch9wavefront6targetE1EEEvT1_
; %bb.0:
	.section	.rodata,"a",@progbits
	.p2align	6, 0x0
	.amdhsa_kernel _ZN7rocprim17ROCPRIM_400000_NS6detail17trampoline_kernelINS0_14default_configENS1_27scan_by_key_config_selectorIj11FixedVectorIiLj8EEEEZZNS1_16scan_by_key_implILNS1_25lookback_scan_determinismE0ELb0ES3_N6thrust23THRUST_200600_302600_NS6detail15normal_iteratorINSB_10device_ptrIjEEEENSD_INSE_IS6_EEEESI_S6_NSB_4plusIvEENSB_8equal_toIvEES6_EE10hipError_tPvRmT2_T3_T4_T5_mT6_T7_P12ihipStream_tbENKUlT_T0_E_clISt17integral_constantIbLb1EES12_IbLb0EEEEDaSY_SZ_EUlSY_E_NS1_11comp_targetILNS1_3genE3ELNS1_11target_archE908ELNS1_3gpuE7ELNS1_3repE0EEENS1_30default_config_static_selectorELNS0_4arch9wavefront6targetE1EEEvT1_
		.amdhsa_group_segment_fixed_size 0
		.amdhsa_private_segment_fixed_size 0
		.amdhsa_kernarg_size 160
		.amdhsa_user_sgpr_count 6
		.amdhsa_user_sgpr_private_segment_buffer 1
		.amdhsa_user_sgpr_dispatch_ptr 0
		.amdhsa_user_sgpr_queue_ptr 0
		.amdhsa_user_sgpr_kernarg_segment_ptr 1
		.amdhsa_user_sgpr_dispatch_id 0
		.amdhsa_user_sgpr_flat_scratch_init 0
		.amdhsa_user_sgpr_kernarg_preload_length 0
		.amdhsa_user_sgpr_kernarg_preload_offset 0
		.amdhsa_user_sgpr_private_segment_size 0
		.amdhsa_uses_dynamic_stack 0
		.amdhsa_system_sgpr_private_segment_wavefront_offset 0
		.amdhsa_system_sgpr_workgroup_id_x 1
		.amdhsa_system_sgpr_workgroup_id_y 0
		.amdhsa_system_sgpr_workgroup_id_z 0
		.amdhsa_system_sgpr_workgroup_info 0
		.amdhsa_system_vgpr_workitem_id 0
		.amdhsa_next_free_vgpr 1
		.amdhsa_next_free_sgpr 0
		.amdhsa_accum_offset 4
		.amdhsa_reserve_vcc 0
		.amdhsa_reserve_flat_scratch 0
		.amdhsa_float_round_mode_32 0
		.amdhsa_float_round_mode_16_64 0
		.amdhsa_float_denorm_mode_32 3
		.amdhsa_float_denorm_mode_16_64 3
		.amdhsa_dx10_clamp 1
		.amdhsa_ieee_mode 1
		.amdhsa_fp16_overflow 0
		.amdhsa_tg_split 0
		.amdhsa_exception_fp_ieee_invalid_op 0
		.amdhsa_exception_fp_denorm_src 0
		.amdhsa_exception_fp_ieee_div_zero 0
		.amdhsa_exception_fp_ieee_overflow 0
		.amdhsa_exception_fp_ieee_underflow 0
		.amdhsa_exception_fp_ieee_inexact 0
		.amdhsa_exception_int_div_zero 0
	.end_amdhsa_kernel
	.section	.text._ZN7rocprim17ROCPRIM_400000_NS6detail17trampoline_kernelINS0_14default_configENS1_27scan_by_key_config_selectorIj11FixedVectorIiLj8EEEEZZNS1_16scan_by_key_implILNS1_25lookback_scan_determinismE0ELb0ES3_N6thrust23THRUST_200600_302600_NS6detail15normal_iteratorINSB_10device_ptrIjEEEENSD_INSE_IS6_EEEESI_S6_NSB_4plusIvEENSB_8equal_toIvEES6_EE10hipError_tPvRmT2_T3_T4_T5_mT6_T7_P12ihipStream_tbENKUlT_T0_E_clISt17integral_constantIbLb1EES12_IbLb0EEEEDaSY_SZ_EUlSY_E_NS1_11comp_targetILNS1_3genE3ELNS1_11target_archE908ELNS1_3gpuE7ELNS1_3repE0EEENS1_30default_config_static_selectorELNS0_4arch9wavefront6targetE1EEEvT1_,"axG",@progbits,_ZN7rocprim17ROCPRIM_400000_NS6detail17trampoline_kernelINS0_14default_configENS1_27scan_by_key_config_selectorIj11FixedVectorIiLj8EEEEZZNS1_16scan_by_key_implILNS1_25lookback_scan_determinismE0ELb0ES3_N6thrust23THRUST_200600_302600_NS6detail15normal_iteratorINSB_10device_ptrIjEEEENSD_INSE_IS6_EEEESI_S6_NSB_4plusIvEENSB_8equal_toIvEES6_EE10hipError_tPvRmT2_T3_T4_T5_mT6_T7_P12ihipStream_tbENKUlT_T0_E_clISt17integral_constantIbLb1EES12_IbLb0EEEEDaSY_SZ_EUlSY_E_NS1_11comp_targetILNS1_3genE3ELNS1_11target_archE908ELNS1_3gpuE7ELNS1_3repE0EEENS1_30default_config_static_selectorELNS0_4arch9wavefront6targetE1EEEvT1_,comdat
.Lfunc_end2141:
	.size	_ZN7rocprim17ROCPRIM_400000_NS6detail17trampoline_kernelINS0_14default_configENS1_27scan_by_key_config_selectorIj11FixedVectorIiLj8EEEEZZNS1_16scan_by_key_implILNS1_25lookback_scan_determinismE0ELb0ES3_N6thrust23THRUST_200600_302600_NS6detail15normal_iteratorINSB_10device_ptrIjEEEENSD_INSE_IS6_EEEESI_S6_NSB_4plusIvEENSB_8equal_toIvEES6_EE10hipError_tPvRmT2_T3_T4_T5_mT6_T7_P12ihipStream_tbENKUlT_T0_E_clISt17integral_constantIbLb1EES12_IbLb0EEEEDaSY_SZ_EUlSY_E_NS1_11comp_targetILNS1_3genE3ELNS1_11target_archE908ELNS1_3gpuE7ELNS1_3repE0EEENS1_30default_config_static_selectorELNS0_4arch9wavefront6targetE1EEEvT1_, .Lfunc_end2141-_ZN7rocprim17ROCPRIM_400000_NS6detail17trampoline_kernelINS0_14default_configENS1_27scan_by_key_config_selectorIj11FixedVectorIiLj8EEEEZZNS1_16scan_by_key_implILNS1_25lookback_scan_determinismE0ELb0ES3_N6thrust23THRUST_200600_302600_NS6detail15normal_iteratorINSB_10device_ptrIjEEEENSD_INSE_IS6_EEEESI_S6_NSB_4plusIvEENSB_8equal_toIvEES6_EE10hipError_tPvRmT2_T3_T4_T5_mT6_T7_P12ihipStream_tbENKUlT_T0_E_clISt17integral_constantIbLb1EES12_IbLb0EEEEDaSY_SZ_EUlSY_E_NS1_11comp_targetILNS1_3genE3ELNS1_11target_archE908ELNS1_3gpuE7ELNS1_3repE0EEENS1_30default_config_static_selectorELNS0_4arch9wavefront6targetE1EEEvT1_
                                        ; -- End function
	.section	.AMDGPU.csdata,"",@progbits
; Kernel info:
; codeLenInByte = 0
; NumSgprs: 4
; NumVgprs: 0
; NumAgprs: 0
; TotalNumVgprs: 0
; ScratchSize: 0
; MemoryBound: 0
; FloatMode: 240
; IeeeMode: 1
; LDSByteSize: 0 bytes/workgroup (compile time only)
; SGPRBlocks: 0
; VGPRBlocks: 0
; NumSGPRsForWavesPerEU: 4
; NumVGPRsForWavesPerEU: 1
; AccumOffset: 4
; Occupancy: 8
; WaveLimiterHint : 0
; COMPUTE_PGM_RSRC2:SCRATCH_EN: 0
; COMPUTE_PGM_RSRC2:USER_SGPR: 6
; COMPUTE_PGM_RSRC2:TRAP_HANDLER: 0
; COMPUTE_PGM_RSRC2:TGID_X_EN: 1
; COMPUTE_PGM_RSRC2:TGID_Y_EN: 0
; COMPUTE_PGM_RSRC2:TGID_Z_EN: 0
; COMPUTE_PGM_RSRC2:TIDIG_COMP_CNT: 0
; COMPUTE_PGM_RSRC3_GFX90A:ACCUM_OFFSET: 0
; COMPUTE_PGM_RSRC3_GFX90A:TG_SPLIT: 0
	.section	.text._ZN7rocprim17ROCPRIM_400000_NS6detail17trampoline_kernelINS0_14default_configENS1_27scan_by_key_config_selectorIj11FixedVectorIiLj8EEEEZZNS1_16scan_by_key_implILNS1_25lookback_scan_determinismE0ELb0ES3_N6thrust23THRUST_200600_302600_NS6detail15normal_iteratorINSB_10device_ptrIjEEEENSD_INSE_IS6_EEEESI_S6_NSB_4plusIvEENSB_8equal_toIvEES6_EE10hipError_tPvRmT2_T3_T4_T5_mT6_T7_P12ihipStream_tbENKUlT_T0_E_clISt17integral_constantIbLb1EES12_IbLb0EEEEDaSY_SZ_EUlSY_E_NS1_11comp_targetILNS1_3genE2ELNS1_11target_archE906ELNS1_3gpuE6ELNS1_3repE0EEENS1_30default_config_static_selectorELNS0_4arch9wavefront6targetE1EEEvT1_,"axG",@progbits,_ZN7rocprim17ROCPRIM_400000_NS6detail17trampoline_kernelINS0_14default_configENS1_27scan_by_key_config_selectorIj11FixedVectorIiLj8EEEEZZNS1_16scan_by_key_implILNS1_25lookback_scan_determinismE0ELb0ES3_N6thrust23THRUST_200600_302600_NS6detail15normal_iteratorINSB_10device_ptrIjEEEENSD_INSE_IS6_EEEESI_S6_NSB_4plusIvEENSB_8equal_toIvEES6_EE10hipError_tPvRmT2_T3_T4_T5_mT6_T7_P12ihipStream_tbENKUlT_T0_E_clISt17integral_constantIbLb1EES12_IbLb0EEEEDaSY_SZ_EUlSY_E_NS1_11comp_targetILNS1_3genE2ELNS1_11target_archE906ELNS1_3gpuE6ELNS1_3repE0EEENS1_30default_config_static_selectorELNS0_4arch9wavefront6targetE1EEEvT1_,comdat
	.protected	_ZN7rocprim17ROCPRIM_400000_NS6detail17trampoline_kernelINS0_14default_configENS1_27scan_by_key_config_selectorIj11FixedVectorIiLj8EEEEZZNS1_16scan_by_key_implILNS1_25lookback_scan_determinismE0ELb0ES3_N6thrust23THRUST_200600_302600_NS6detail15normal_iteratorINSB_10device_ptrIjEEEENSD_INSE_IS6_EEEESI_S6_NSB_4plusIvEENSB_8equal_toIvEES6_EE10hipError_tPvRmT2_T3_T4_T5_mT6_T7_P12ihipStream_tbENKUlT_T0_E_clISt17integral_constantIbLb1EES12_IbLb0EEEEDaSY_SZ_EUlSY_E_NS1_11comp_targetILNS1_3genE2ELNS1_11target_archE906ELNS1_3gpuE6ELNS1_3repE0EEENS1_30default_config_static_selectorELNS0_4arch9wavefront6targetE1EEEvT1_ ; -- Begin function _ZN7rocprim17ROCPRIM_400000_NS6detail17trampoline_kernelINS0_14default_configENS1_27scan_by_key_config_selectorIj11FixedVectorIiLj8EEEEZZNS1_16scan_by_key_implILNS1_25lookback_scan_determinismE0ELb0ES3_N6thrust23THRUST_200600_302600_NS6detail15normal_iteratorINSB_10device_ptrIjEEEENSD_INSE_IS6_EEEESI_S6_NSB_4plusIvEENSB_8equal_toIvEES6_EE10hipError_tPvRmT2_T3_T4_T5_mT6_T7_P12ihipStream_tbENKUlT_T0_E_clISt17integral_constantIbLb1EES12_IbLb0EEEEDaSY_SZ_EUlSY_E_NS1_11comp_targetILNS1_3genE2ELNS1_11target_archE906ELNS1_3gpuE6ELNS1_3repE0EEENS1_30default_config_static_selectorELNS0_4arch9wavefront6targetE1EEEvT1_
	.globl	_ZN7rocprim17ROCPRIM_400000_NS6detail17trampoline_kernelINS0_14default_configENS1_27scan_by_key_config_selectorIj11FixedVectorIiLj8EEEEZZNS1_16scan_by_key_implILNS1_25lookback_scan_determinismE0ELb0ES3_N6thrust23THRUST_200600_302600_NS6detail15normal_iteratorINSB_10device_ptrIjEEEENSD_INSE_IS6_EEEESI_S6_NSB_4plusIvEENSB_8equal_toIvEES6_EE10hipError_tPvRmT2_T3_T4_T5_mT6_T7_P12ihipStream_tbENKUlT_T0_E_clISt17integral_constantIbLb1EES12_IbLb0EEEEDaSY_SZ_EUlSY_E_NS1_11comp_targetILNS1_3genE2ELNS1_11target_archE906ELNS1_3gpuE6ELNS1_3repE0EEENS1_30default_config_static_selectorELNS0_4arch9wavefront6targetE1EEEvT1_
	.p2align	8
	.type	_ZN7rocprim17ROCPRIM_400000_NS6detail17trampoline_kernelINS0_14default_configENS1_27scan_by_key_config_selectorIj11FixedVectorIiLj8EEEEZZNS1_16scan_by_key_implILNS1_25lookback_scan_determinismE0ELb0ES3_N6thrust23THRUST_200600_302600_NS6detail15normal_iteratorINSB_10device_ptrIjEEEENSD_INSE_IS6_EEEESI_S6_NSB_4plusIvEENSB_8equal_toIvEES6_EE10hipError_tPvRmT2_T3_T4_T5_mT6_T7_P12ihipStream_tbENKUlT_T0_E_clISt17integral_constantIbLb1EES12_IbLb0EEEEDaSY_SZ_EUlSY_E_NS1_11comp_targetILNS1_3genE2ELNS1_11target_archE906ELNS1_3gpuE6ELNS1_3repE0EEENS1_30default_config_static_selectorELNS0_4arch9wavefront6targetE1EEEvT1_,@function
_ZN7rocprim17ROCPRIM_400000_NS6detail17trampoline_kernelINS0_14default_configENS1_27scan_by_key_config_selectorIj11FixedVectorIiLj8EEEEZZNS1_16scan_by_key_implILNS1_25lookback_scan_determinismE0ELb0ES3_N6thrust23THRUST_200600_302600_NS6detail15normal_iteratorINSB_10device_ptrIjEEEENSD_INSE_IS6_EEEESI_S6_NSB_4plusIvEENSB_8equal_toIvEES6_EE10hipError_tPvRmT2_T3_T4_T5_mT6_T7_P12ihipStream_tbENKUlT_T0_E_clISt17integral_constantIbLb1EES12_IbLb0EEEEDaSY_SZ_EUlSY_E_NS1_11comp_targetILNS1_3genE2ELNS1_11target_archE906ELNS1_3gpuE6ELNS1_3repE0EEENS1_30default_config_static_selectorELNS0_4arch9wavefront6targetE1EEEvT1_: ; @_ZN7rocprim17ROCPRIM_400000_NS6detail17trampoline_kernelINS0_14default_configENS1_27scan_by_key_config_selectorIj11FixedVectorIiLj8EEEEZZNS1_16scan_by_key_implILNS1_25lookback_scan_determinismE0ELb0ES3_N6thrust23THRUST_200600_302600_NS6detail15normal_iteratorINSB_10device_ptrIjEEEENSD_INSE_IS6_EEEESI_S6_NSB_4plusIvEENSB_8equal_toIvEES6_EE10hipError_tPvRmT2_T3_T4_T5_mT6_T7_P12ihipStream_tbENKUlT_T0_E_clISt17integral_constantIbLb1EES12_IbLb0EEEEDaSY_SZ_EUlSY_E_NS1_11comp_targetILNS1_3genE2ELNS1_11target_archE906ELNS1_3gpuE6ELNS1_3repE0EEENS1_30default_config_static_selectorELNS0_4arch9wavefront6targetE1EEEvT1_
; %bb.0:
	.section	.rodata,"a",@progbits
	.p2align	6, 0x0
	.amdhsa_kernel _ZN7rocprim17ROCPRIM_400000_NS6detail17trampoline_kernelINS0_14default_configENS1_27scan_by_key_config_selectorIj11FixedVectorIiLj8EEEEZZNS1_16scan_by_key_implILNS1_25lookback_scan_determinismE0ELb0ES3_N6thrust23THRUST_200600_302600_NS6detail15normal_iteratorINSB_10device_ptrIjEEEENSD_INSE_IS6_EEEESI_S6_NSB_4plusIvEENSB_8equal_toIvEES6_EE10hipError_tPvRmT2_T3_T4_T5_mT6_T7_P12ihipStream_tbENKUlT_T0_E_clISt17integral_constantIbLb1EES12_IbLb0EEEEDaSY_SZ_EUlSY_E_NS1_11comp_targetILNS1_3genE2ELNS1_11target_archE906ELNS1_3gpuE6ELNS1_3repE0EEENS1_30default_config_static_selectorELNS0_4arch9wavefront6targetE1EEEvT1_
		.amdhsa_group_segment_fixed_size 0
		.amdhsa_private_segment_fixed_size 0
		.amdhsa_kernarg_size 160
		.amdhsa_user_sgpr_count 6
		.amdhsa_user_sgpr_private_segment_buffer 1
		.amdhsa_user_sgpr_dispatch_ptr 0
		.amdhsa_user_sgpr_queue_ptr 0
		.amdhsa_user_sgpr_kernarg_segment_ptr 1
		.amdhsa_user_sgpr_dispatch_id 0
		.amdhsa_user_sgpr_flat_scratch_init 0
		.amdhsa_user_sgpr_kernarg_preload_length 0
		.amdhsa_user_sgpr_kernarg_preload_offset 0
		.amdhsa_user_sgpr_private_segment_size 0
		.amdhsa_uses_dynamic_stack 0
		.amdhsa_system_sgpr_private_segment_wavefront_offset 0
		.amdhsa_system_sgpr_workgroup_id_x 1
		.amdhsa_system_sgpr_workgroup_id_y 0
		.amdhsa_system_sgpr_workgroup_id_z 0
		.amdhsa_system_sgpr_workgroup_info 0
		.amdhsa_system_vgpr_workitem_id 0
		.amdhsa_next_free_vgpr 1
		.amdhsa_next_free_sgpr 0
		.amdhsa_accum_offset 4
		.amdhsa_reserve_vcc 0
		.amdhsa_reserve_flat_scratch 0
		.amdhsa_float_round_mode_32 0
		.amdhsa_float_round_mode_16_64 0
		.amdhsa_float_denorm_mode_32 3
		.amdhsa_float_denorm_mode_16_64 3
		.amdhsa_dx10_clamp 1
		.amdhsa_ieee_mode 1
		.amdhsa_fp16_overflow 0
		.amdhsa_tg_split 0
		.amdhsa_exception_fp_ieee_invalid_op 0
		.amdhsa_exception_fp_denorm_src 0
		.amdhsa_exception_fp_ieee_div_zero 0
		.amdhsa_exception_fp_ieee_overflow 0
		.amdhsa_exception_fp_ieee_underflow 0
		.amdhsa_exception_fp_ieee_inexact 0
		.amdhsa_exception_int_div_zero 0
	.end_amdhsa_kernel
	.section	.text._ZN7rocprim17ROCPRIM_400000_NS6detail17trampoline_kernelINS0_14default_configENS1_27scan_by_key_config_selectorIj11FixedVectorIiLj8EEEEZZNS1_16scan_by_key_implILNS1_25lookback_scan_determinismE0ELb0ES3_N6thrust23THRUST_200600_302600_NS6detail15normal_iteratorINSB_10device_ptrIjEEEENSD_INSE_IS6_EEEESI_S6_NSB_4plusIvEENSB_8equal_toIvEES6_EE10hipError_tPvRmT2_T3_T4_T5_mT6_T7_P12ihipStream_tbENKUlT_T0_E_clISt17integral_constantIbLb1EES12_IbLb0EEEEDaSY_SZ_EUlSY_E_NS1_11comp_targetILNS1_3genE2ELNS1_11target_archE906ELNS1_3gpuE6ELNS1_3repE0EEENS1_30default_config_static_selectorELNS0_4arch9wavefront6targetE1EEEvT1_,"axG",@progbits,_ZN7rocprim17ROCPRIM_400000_NS6detail17trampoline_kernelINS0_14default_configENS1_27scan_by_key_config_selectorIj11FixedVectorIiLj8EEEEZZNS1_16scan_by_key_implILNS1_25lookback_scan_determinismE0ELb0ES3_N6thrust23THRUST_200600_302600_NS6detail15normal_iteratorINSB_10device_ptrIjEEEENSD_INSE_IS6_EEEESI_S6_NSB_4plusIvEENSB_8equal_toIvEES6_EE10hipError_tPvRmT2_T3_T4_T5_mT6_T7_P12ihipStream_tbENKUlT_T0_E_clISt17integral_constantIbLb1EES12_IbLb0EEEEDaSY_SZ_EUlSY_E_NS1_11comp_targetILNS1_3genE2ELNS1_11target_archE906ELNS1_3gpuE6ELNS1_3repE0EEENS1_30default_config_static_selectorELNS0_4arch9wavefront6targetE1EEEvT1_,comdat
.Lfunc_end2142:
	.size	_ZN7rocprim17ROCPRIM_400000_NS6detail17trampoline_kernelINS0_14default_configENS1_27scan_by_key_config_selectorIj11FixedVectorIiLj8EEEEZZNS1_16scan_by_key_implILNS1_25lookback_scan_determinismE0ELb0ES3_N6thrust23THRUST_200600_302600_NS6detail15normal_iteratorINSB_10device_ptrIjEEEENSD_INSE_IS6_EEEESI_S6_NSB_4plusIvEENSB_8equal_toIvEES6_EE10hipError_tPvRmT2_T3_T4_T5_mT6_T7_P12ihipStream_tbENKUlT_T0_E_clISt17integral_constantIbLb1EES12_IbLb0EEEEDaSY_SZ_EUlSY_E_NS1_11comp_targetILNS1_3genE2ELNS1_11target_archE906ELNS1_3gpuE6ELNS1_3repE0EEENS1_30default_config_static_selectorELNS0_4arch9wavefront6targetE1EEEvT1_, .Lfunc_end2142-_ZN7rocprim17ROCPRIM_400000_NS6detail17trampoline_kernelINS0_14default_configENS1_27scan_by_key_config_selectorIj11FixedVectorIiLj8EEEEZZNS1_16scan_by_key_implILNS1_25lookback_scan_determinismE0ELb0ES3_N6thrust23THRUST_200600_302600_NS6detail15normal_iteratorINSB_10device_ptrIjEEEENSD_INSE_IS6_EEEESI_S6_NSB_4plusIvEENSB_8equal_toIvEES6_EE10hipError_tPvRmT2_T3_T4_T5_mT6_T7_P12ihipStream_tbENKUlT_T0_E_clISt17integral_constantIbLb1EES12_IbLb0EEEEDaSY_SZ_EUlSY_E_NS1_11comp_targetILNS1_3genE2ELNS1_11target_archE906ELNS1_3gpuE6ELNS1_3repE0EEENS1_30default_config_static_selectorELNS0_4arch9wavefront6targetE1EEEvT1_
                                        ; -- End function
	.section	.AMDGPU.csdata,"",@progbits
; Kernel info:
; codeLenInByte = 0
; NumSgprs: 4
; NumVgprs: 0
; NumAgprs: 0
; TotalNumVgprs: 0
; ScratchSize: 0
; MemoryBound: 0
; FloatMode: 240
; IeeeMode: 1
; LDSByteSize: 0 bytes/workgroup (compile time only)
; SGPRBlocks: 0
; VGPRBlocks: 0
; NumSGPRsForWavesPerEU: 4
; NumVGPRsForWavesPerEU: 1
; AccumOffset: 4
; Occupancy: 8
; WaveLimiterHint : 0
; COMPUTE_PGM_RSRC2:SCRATCH_EN: 0
; COMPUTE_PGM_RSRC2:USER_SGPR: 6
; COMPUTE_PGM_RSRC2:TRAP_HANDLER: 0
; COMPUTE_PGM_RSRC2:TGID_X_EN: 1
; COMPUTE_PGM_RSRC2:TGID_Y_EN: 0
; COMPUTE_PGM_RSRC2:TGID_Z_EN: 0
; COMPUTE_PGM_RSRC2:TIDIG_COMP_CNT: 0
; COMPUTE_PGM_RSRC3_GFX90A:ACCUM_OFFSET: 0
; COMPUTE_PGM_RSRC3_GFX90A:TG_SPLIT: 0
	.section	.text._ZN7rocprim17ROCPRIM_400000_NS6detail17trampoline_kernelINS0_14default_configENS1_27scan_by_key_config_selectorIj11FixedVectorIiLj8EEEEZZNS1_16scan_by_key_implILNS1_25lookback_scan_determinismE0ELb0ES3_N6thrust23THRUST_200600_302600_NS6detail15normal_iteratorINSB_10device_ptrIjEEEENSD_INSE_IS6_EEEESI_S6_NSB_4plusIvEENSB_8equal_toIvEES6_EE10hipError_tPvRmT2_T3_T4_T5_mT6_T7_P12ihipStream_tbENKUlT_T0_E_clISt17integral_constantIbLb1EES12_IbLb0EEEEDaSY_SZ_EUlSY_E_NS1_11comp_targetILNS1_3genE10ELNS1_11target_archE1200ELNS1_3gpuE4ELNS1_3repE0EEENS1_30default_config_static_selectorELNS0_4arch9wavefront6targetE1EEEvT1_,"axG",@progbits,_ZN7rocprim17ROCPRIM_400000_NS6detail17trampoline_kernelINS0_14default_configENS1_27scan_by_key_config_selectorIj11FixedVectorIiLj8EEEEZZNS1_16scan_by_key_implILNS1_25lookback_scan_determinismE0ELb0ES3_N6thrust23THRUST_200600_302600_NS6detail15normal_iteratorINSB_10device_ptrIjEEEENSD_INSE_IS6_EEEESI_S6_NSB_4plusIvEENSB_8equal_toIvEES6_EE10hipError_tPvRmT2_T3_T4_T5_mT6_T7_P12ihipStream_tbENKUlT_T0_E_clISt17integral_constantIbLb1EES12_IbLb0EEEEDaSY_SZ_EUlSY_E_NS1_11comp_targetILNS1_3genE10ELNS1_11target_archE1200ELNS1_3gpuE4ELNS1_3repE0EEENS1_30default_config_static_selectorELNS0_4arch9wavefront6targetE1EEEvT1_,comdat
	.protected	_ZN7rocprim17ROCPRIM_400000_NS6detail17trampoline_kernelINS0_14default_configENS1_27scan_by_key_config_selectorIj11FixedVectorIiLj8EEEEZZNS1_16scan_by_key_implILNS1_25lookback_scan_determinismE0ELb0ES3_N6thrust23THRUST_200600_302600_NS6detail15normal_iteratorINSB_10device_ptrIjEEEENSD_INSE_IS6_EEEESI_S6_NSB_4plusIvEENSB_8equal_toIvEES6_EE10hipError_tPvRmT2_T3_T4_T5_mT6_T7_P12ihipStream_tbENKUlT_T0_E_clISt17integral_constantIbLb1EES12_IbLb0EEEEDaSY_SZ_EUlSY_E_NS1_11comp_targetILNS1_3genE10ELNS1_11target_archE1200ELNS1_3gpuE4ELNS1_3repE0EEENS1_30default_config_static_selectorELNS0_4arch9wavefront6targetE1EEEvT1_ ; -- Begin function _ZN7rocprim17ROCPRIM_400000_NS6detail17trampoline_kernelINS0_14default_configENS1_27scan_by_key_config_selectorIj11FixedVectorIiLj8EEEEZZNS1_16scan_by_key_implILNS1_25lookback_scan_determinismE0ELb0ES3_N6thrust23THRUST_200600_302600_NS6detail15normal_iteratorINSB_10device_ptrIjEEEENSD_INSE_IS6_EEEESI_S6_NSB_4plusIvEENSB_8equal_toIvEES6_EE10hipError_tPvRmT2_T3_T4_T5_mT6_T7_P12ihipStream_tbENKUlT_T0_E_clISt17integral_constantIbLb1EES12_IbLb0EEEEDaSY_SZ_EUlSY_E_NS1_11comp_targetILNS1_3genE10ELNS1_11target_archE1200ELNS1_3gpuE4ELNS1_3repE0EEENS1_30default_config_static_selectorELNS0_4arch9wavefront6targetE1EEEvT1_
	.globl	_ZN7rocprim17ROCPRIM_400000_NS6detail17trampoline_kernelINS0_14default_configENS1_27scan_by_key_config_selectorIj11FixedVectorIiLj8EEEEZZNS1_16scan_by_key_implILNS1_25lookback_scan_determinismE0ELb0ES3_N6thrust23THRUST_200600_302600_NS6detail15normal_iteratorINSB_10device_ptrIjEEEENSD_INSE_IS6_EEEESI_S6_NSB_4plusIvEENSB_8equal_toIvEES6_EE10hipError_tPvRmT2_T3_T4_T5_mT6_T7_P12ihipStream_tbENKUlT_T0_E_clISt17integral_constantIbLb1EES12_IbLb0EEEEDaSY_SZ_EUlSY_E_NS1_11comp_targetILNS1_3genE10ELNS1_11target_archE1200ELNS1_3gpuE4ELNS1_3repE0EEENS1_30default_config_static_selectorELNS0_4arch9wavefront6targetE1EEEvT1_
	.p2align	8
	.type	_ZN7rocprim17ROCPRIM_400000_NS6detail17trampoline_kernelINS0_14default_configENS1_27scan_by_key_config_selectorIj11FixedVectorIiLj8EEEEZZNS1_16scan_by_key_implILNS1_25lookback_scan_determinismE0ELb0ES3_N6thrust23THRUST_200600_302600_NS6detail15normal_iteratorINSB_10device_ptrIjEEEENSD_INSE_IS6_EEEESI_S6_NSB_4plusIvEENSB_8equal_toIvEES6_EE10hipError_tPvRmT2_T3_T4_T5_mT6_T7_P12ihipStream_tbENKUlT_T0_E_clISt17integral_constantIbLb1EES12_IbLb0EEEEDaSY_SZ_EUlSY_E_NS1_11comp_targetILNS1_3genE10ELNS1_11target_archE1200ELNS1_3gpuE4ELNS1_3repE0EEENS1_30default_config_static_selectorELNS0_4arch9wavefront6targetE1EEEvT1_,@function
_ZN7rocprim17ROCPRIM_400000_NS6detail17trampoline_kernelINS0_14default_configENS1_27scan_by_key_config_selectorIj11FixedVectorIiLj8EEEEZZNS1_16scan_by_key_implILNS1_25lookback_scan_determinismE0ELb0ES3_N6thrust23THRUST_200600_302600_NS6detail15normal_iteratorINSB_10device_ptrIjEEEENSD_INSE_IS6_EEEESI_S6_NSB_4plusIvEENSB_8equal_toIvEES6_EE10hipError_tPvRmT2_T3_T4_T5_mT6_T7_P12ihipStream_tbENKUlT_T0_E_clISt17integral_constantIbLb1EES12_IbLb0EEEEDaSY_SZ_EUlSY_E_NS1_11comp_targetILNS1_3genE10ELNS1_11target_archE1200ELNS1_3gpuE4ELNS1_3repE0EEENS1_30default_config_static_selectorELNS0_4arch9wavefront6targetE1EEEvT1_: ; @_ZN7rocprim17ROCPRIM_400000_NS6detail17trampoline_kernelINS0_14default_configENS1_27scan_by_key_config_selectorIj11FixedVectorIiLj8EEEEZZNS1_16scan_by_key_implILNS1_25lookback_scan_determinismE0ELb0ES3_N6thrust23THRUST_200600_302600_NS6detail15normal_iteratorINSB_10device_ptrIjEEEENSD_INSE_IS6_EEEESI_S6_NSB_4plusIvEENSB_8equal_toIvEES6_EE10hipError_tPvRmT2_T3_T4_T5_mT6_T7_P12ihipStream_tbENKUlT_T0_E_clISt17integral_constantIbLb1EES12_IbLb0EEEEDaSY_SZ_EUlSY_E_NS1_11comp_targetILNS1_3genE10ELNS1_11target_archE1200ELNS1_3gpuE4ELNS1_3repE0EEENS1_30default_config_static_selectorELNS0_4arch9wavefront6targetE1EEEvT1_
; %bb.0:
	.section	.rodata,"a",@progbits
	.p2align	6, 0x0
	.amdhsa_kernel _ZN7rocprim17ROCPRIM_400000_NS6detail17trampoline_kernelINS0_14default_configENS1_27scan_by_key_config_selectorIj11FixedVectorIiLj8EEEEZZNS1_16scan_by_key_implILNS1_25lookback_scan_determinismE0ELb0ES3_N6thrust23THRUST_200600_302600_NS6detail15normal_iteratorINSB_10device_ptrIjEEEENSD_INSE_IS6_EEEESI_S6_NSB_4plusIvEENSB_8equal_toIvEES6_EE10hipError_tPvRmT2_T3_T4_T5_mT6_T7_P12ihipStream_tbENKUlT_T0_E_clISt17integral_constantIbLb1EES12_IbLb0EEEEDaSY_SZ_EUlSY_E_NS1_11comp_targetILNS1_3genE10ELNS1_11target_archE1200ELNS1_3gpuE4ELNS1_3repE0EEENS1_30default_config_static_selectorELNS0_4arch9wavefront6targetE1EEEvT1_
		.amdhsa_group_segment_fixed_size 0
		.amdhsa_private_segment_fixed_size 0
		.amdhsa_kernarg_size 160
		.amdhsa_user_sgpr_count 6
		.amdhsa_user_sgpr_private_segment_buffer 1
		.amdhsa_user_sgpr_dispatch_ptr 0
		.amdhsa_user_sgpr_queue_ptr 0
		.amdhsa_user_sgpr_kernarg_segment_ptr 1
		.amdhsa_user_sgpr_dispatch_id 0
		.amdhsa_user_sgpr_flat_scratch_init 0
		.amdhsa_user_sgpr_kernarg_preload_length 0
		.amdhsa_user_sgpr_kernarg_preload_offset 0
		.amdhsa_user_sgpr_private_segment_size 0
		.amdhsa_uses_dynamic_stack 0
		.amdhsa_system_sgpr_private_segment_wavefront_offset 0
		.amdhsa_system_sgpr_workgroup_id_x 1
		.amdhsa_system_sgpr_workgroup_id_y 0
		.amdhsa_system_sgpr_workgroup_id_z 0
		.amdhsa_system_sgpr_workgroup_info 0
		.amdhsa_system_vgpr_workitem_id 0
		.amdhsa_next_free_vgpr 1
		.amdhsa_next_free_sgpr 0
		.amdhsa_accum_offset 4
		.amdhsa_reserve_vcc 0
		.amdhsa_reserve_flat_scratch 0
		.amdhsa_float_round_mode_32 0
		.amdhsa_float_round_mode_16_64 0
		.amdhsa_float_denorm_mode_32 3
		.amdhsa_float_denorm_mode_16_64 3
		.amdhsa_dx10_clamp 1
		.amdhsa_ieee_mode 1
		.amdhsa_fp16_overflow 0
		.amdhsa_tg_split 0
		.amdhsa_exception_fp_ieee_invalid_op 0
		.amdhsa_exception_fp_denorm_src 0
		.amdhsa_exception_fp_ieee_div_zero 0
		.amdhsa_exception_fp_ieee_overflow 0
		.amdhsa_exception_fp_ieee_underflow 0
		.amdhsa_exception_fp_ieee_inexact 0
		.amdhsa_exception_int_div_zero 0
	.end_amdhsa_kernel
	.section	.text._ZN7rocprim17ROCPRIM_400000_NS6detail17trampoline_kernelINS0_14default_configENS1_27scan_by_key_config_selectorIj11FixedVectorIiLj8EEEEZZNS1_16scan_by_key_implILNS1_25lookback_scan_determinismE0ELb0ES3_N6thrust23THRUST_200600_302600_NS6detail15normal_iteratorINSB_10device_ptrIjEEEENSD_INSE_IS6_EEEESI_S6_NSB_4plusIvEENSB_8equal_toIvEES6_EE10hipError_tPvRmT2_T3_T4_T5_mT6_T7_P12ihipStream_tbENKUlT_T0_E_clISt17integral_constantIbLb1EES12_IbLb0EEEEDaSY_SZ_EUlSY_E_NS1_11comp_targetILNS1_3genE10ELNS1_11target_archE1200ELNS1_3gpuE4ELNS1_3repE0EEENS1_30default_config_static_selectorELNS0_4arch9wavefront6targetE1EEEvT1_,"axG",@progbits,_ZN7rocprim17ROCPRIM_400000_NS6detail17trampoline_kernelINS0_14default_configENS1_27scan_by_key_config_selectorIj11FixedVectorIiLj8EEEEZZNS1_16scan_by_key_implILNS1_25lookback_scan_determinismE0ELb0ES3_N6thrust23THRUST_200600_302600_NS6detail15normal_iteratorINSB_10device_ptrIjEEEENSD_INSE_IS6_EEEESI_S6_NSB_4plusIvEENSB_8equal_toIvEES6_EE10hipError_tPvRmT2_T3_T4_T5_mT6_T7_P12ihipStream_tbENKUlT_T0_E_clISt17integral_constantIbLb1EES12_IbLb0EEEEDaSY_SZ_EUlSY_E_NS1_11comp_targetILNS1_3genE10ELNS1_11target_archE1200ELNS1_3gpuE4ELNS1_3repE0EEENS1_30default_config_static_selectorELNS0_4arch9wavefront6targetE1EEEvT1_,comdat
.Lfunc_end2143:
	.size	_ZN7rocprim17ROCPRIM_400000_NS6detail17trampoline_kernelINS0_14default_configENS1_27scan_by_key_config_selectorIj11FixedVectorIiLj8EEEEZZNS1_16scan_by_key_implILNS1_25lookback_scan_determinismE0ELb0ES3_N6thrust23THRUST_200600_302600_NS6detail15normal_iteratorINSB_10device_ptrIjEEEENSD_INSE_IS6_EEEESI_S6_NSB_4plusIvEENSB_8equal_toIvEES6_EE10hipError_tPvRmT2_T3_T4_T5_mT6_T7_P12ihipStream_tbENKUlT_T0_E_clISt17integral_constantIbLb1EES12_IbLb0EEEEDaSY_SZ_EUlSY_E_NS1_11comp_targetILNS1_3genE10ELNS1_11target_archE1200ELNS1_3gpuE4ELNS1_3repE0EEENS1_30default_config_static_selectorELNS0_4arch9wavefront6targetE1EEEvT1_, .Lfunc_end2143-_ZN7rocprim17ROCPRIM_400000_NS6detail17trampoline_kernelINS0_14default_configENS1_27scan_by_key_config_selectorIj11FixedVectorIiLj8EEEEZZNS1_16scan_by_key_implILNS1_25lookback_scan_determinismE0ELb0ES3_N6thrust23THRUST_200600_302600_NS6detail15normal_iteratorINSB_10device_ptrIjEEEENSD_INSE_IS6_EEEESI_S6_NSB_4plusIvEENSB_8equal_toIvEES6_EE10hipError_tPvRmT2_T3_T4_T5_mT6_T7_P12ihipStream_tbENKUlT_T0_E_clISt17integral_constantIbLb1EES12_IbLb0EEEEDaSY_SZ_EUlSY_E_NS1_11comp_targetILNS1_3genE10ELNS1_11target_archE1200ELNS1_3gpuE4ELNS1_3repE0EEENS1_30default_config_static_selectorELNS0_4arch9wavefront6targetE1EEEvT1_
                                        ; -- End function
	.section	.AMDGPU.csdata,"",@progbits
; Kernel info:
; codeLenInByte = 0
; NumSgprs: 4
; NumVgprs: 0
; NumAgprs: 0
; TotalNumVgprs: 0
; ScratchSize: 0
; MemoryBound: 0
; FloatMode: 240
; IeeeMode: 1
; LDSByteSize: 0 bytes/workgroup (compile time only)
; SGPRBlocks: 0
; VGPRBlocks: 0
; NumSGPRsForWavesPerEU: 4
; NumVGPRsForWavesPerEU: 1
; AccumOffset: 4
; Occupancy: 8
; WaveLimiterHint : 0
; COMPUTE_PGM_RSRC2:SCRATCH_EN: 0
; COMPUTE_PGM_RSRC2:USER_SGPR: 6
; COMPUTE_PGM_RSRC2:TRAP_HANDLER: 0
; COMPUTE_PGM_RSRC2:TGID_X_EN: 1
; COMPUTE_PGM_RSRC2:TGID_Y_EN: 0
; COMPUTE_PGM_RSRC2:TGID_Z_EN: 0
; COMPUTE_PGM_RSRC2:TIDIG_COMP_CNT: 0
; COMPUTE_PGM_RSRC3_GFX90A:ACCUM_OFFSET: 0
; COMPUTE_PGM_RSRC3_GFX90A:TG_SPLIT: 0
	.section	.text._ZN7rocprim17ROCPRIM_400000_NS6detail17trampoline_kernelINS0_14default_configENS1_27scan_by_key_config_selectorIj11FixedVectorIiLj8EEEEZZNS1_16scan_by_key_implILNS1_25lookback_scan_determinismE0ELb0ES3_N6thrust23THRUST_200600_302600_NS6detail15normal_iteratorINSB_10device_ptrIjEEEENSD_INSE_IS6_EEEESI_S6_NSB_4plusIvEENSB_8equal_toIvEES6_EE10hipError_tPvRmT2_T3_T4_T5_mT6_T7_P12ihipStream_tbENKUlT_T0_E_clISt17integral_constantIbLb1EES12_IbLb0EEEEDaSY_SZ_EUlSY_E_NS1_11comp_targetILNS1_3genE9ELNS1_11target_archE1100ELNS1_3gpuE3ELNS1_3repE0EEENS1_30default_config_static_selectorELNS0_4arch9wavefront6targetE1EEEvT1_,"axG",@progbits,_ZN7rocprim17ROCPRIM_400000_NS6detail17trampoline_kernelINS0_14default_configENS1_27scan_by_key_config_selectorIj11FixedVectorIiLj8EEEEZZNS1_16scan_by_key_implILNS1_25lookback_scan_determinismE0ELb0ES3_N6thrust23THRUST_200600_302600_NS6detail15normal_iteratorINSB_10device_ptrIjEEEENSD_INSE_IS6_EEEESI_S6_NSB_4plusIvEENSB_8equal_toIvEES6_EE10hipError_tPvRmT2_T3_T4_T5_mT6_T7_P12ihipStream_tbENKUlT_T0_E_clISt17integral_constantIbLb1EES12_IbLb0EEEEDaSY_SZ_EUlSY_E_NS1_11comp_targetILNS1_3genE9ELNS1_11target_archE1100ELNS1_3gpuE3ELNS1_3repE0EEENS1_30default_config_static_selectorELNS0_4arch9wavefront6targetE1EEEvT1_,comdat
	.protected	_ZN7rocprim17ROCPRIM_400000_NS6detail17trampoline_kernelINS0_14default_configENS1_27scan_by_key_config_selectorIj11FixedVectorIiLj8EEEEZZNS1_16scan_by_key_implILNS1_25lookback_scan_determinismE0ELb0ES3_N6thrust23THRUST_200600_302600_NS6detail15normal_iteratorINSB_10device_ptrIjEEEENSD_INSE_IS6_EEEESI_S6_NSB_4plusIvEENSB_8equal_toIvEES6_EE10hipError_tPvRmT2_T3_T4_T5_mT6_T7_P12ihipStream_tbENKUlT_T0_E_clISt17integral_constantIbLb1EES12_IbLb0EEEEDaSY_SZ_EUlSY_E_NS1_11comp_targetILNS1_3genE9ELNS1_11target_archE1100ELNS1_3gpuE3ELNS1_3repE0EEENS1_30default_config_static_selectorELNS0_4arch9wavefront6targetE1EEEvT1_ ; -- Begin function _ZN7rocprim17ROCPRIM_400000_NS6detail17trampoline_kernelINS0_14default_configENS1_27scan_by_key_config_selectorIj11FixedVectorIiLj8EEEEZZNS1_16scan_by_key_implILNS1_25lookback_scan_determinismE0ELb0ES3_N6thrust23THRUST_200600_302600_NS6detail15normal_iteratorINSB_10device_ptrIjEEEENSD_INSE_IS6_EEEESI_S6_NSB_4plusIvEENSB_8equal_toIvEES6_EE10hipError_tPvRmT2_T3_T4_T5_mT6_T7_P12ihipStream_tbENKUlT_T0_E_clISt17integral_constantIbLb1EES12_IbLb0EEEEDaSY_SZ_EUlSY_E_NS1_11comp_targetILNS1_3genE9ELNS1_11target_archE1100ELNS1_3gpuE3ELNS1_3repE0EEENS1_30default_config_static_selectorELNS0_4arch9wavefront6targetE1EEEvT1_
	.globl	_ZN7rocprim17ROCPRIM_400000_NS6detail17trampoline_kernelINS0_14default_configENS1_27scan_by_key_config_selectorIj11FixedVectorIiLj8EEEEZZNS1_16scan_by_key_implILNS1_25lookback_scan_determinismE0ELb0ES3_N6thrust23THRUST_200600_302600_NS6detail15normal_iteratorINSB_10device_ptrIjEEEENSD_INSE_IS6_EEEESI_S6_NSB_4plusIvEENSB_8equal_toIvEES6_EE10hipError_tPvRmT2_T3_T4_T5_mT6_T7_P12ihipStream_tbENKUlT_T0_E_clISt17integral_constantIbLb1EES12_IbLb0EEEEDaSY_SZ_EUlSY_E_NS1_11comp_targetILNS1_3genE9ELNS1_11target_archE1100ELNS1_3gpuE3ELNS1_3repE0EEENS1_30default_config_static_selectorELNS0_4arch9wavefront6targetE1EEEvT1_
	.p2align	8
	.type	_ZN7rocprim17ROCPRIM_400000_NS6detail17trampoline_kernelINS0_14default_configENS1_27scan_by_key_config_selectorIj11FixedVectorIiLj8EEEEZZNS1_16scan_by_key_implILNS1_25lookback_scan_determinismE0ELb0ES3_N6thrust23THRUST_200600_302600_NS6detail15normal_iteratorINSB_10device_ptrIjEEEENSD_INSE_IS6_EEEESI_S6_NSB_4plusIvEENSB_8equal_toIvEES6_EE10hipError_tPvRmT2_T3_T4_T5_mT6_T7_P12ihipStream_tbENKUlT_T0_E_clISt17integral_constantIbLb1EES12_IbLb0EEEEDaSY_SZ_EUlSY_E_NS1_11comp_targetILNS1_3genE9ELNS1_11target_archE1100ELNS1_3gpuE3ELNS1_3repE0EEENS1_30default_config_static_selectorELNS0_4arch9wavefront6targetE1EEEvT1_,@function
_ZN7rocprim17ROCPRIM_400000_NS6detail17trampoline_kernelINS0_14default_configENS1_27scan_by_key_config_selectorIj11FixedVectorIiLj8EEEEZZNS1_16scan_by_key_implILNS1_25lookback_scan_determinismE0ELb0ES3_N6thrust23THRUST_200600_302600_NS6detail15normal_iteratorINSB_10device_ptrIjEEEENSD_INSE_IS6_EEEESI_S6_NSB_4plusIvEENSB_8equal_toIvEES6_EE10hipError_tPvRmT2_T3_T4_T5_mT6_T7_P12ihipStream_tbENKUlT_T0_E_clISt17integral_constantIbLb1EES12_IbLb0EEEEDaSY_SZ_EUlSY_E_NS1_11comp_targetILNS1_3genE9ELNS1_11target_archE1100ELNS1_3gpuE3ELNS1_3repE0EEENS1_30default_config_static_selectorELNS0_4arch9wavefront6targetE1EEEvT1_: ; @_ZN7rocprim17ROCPRIM_400000_NS6detail17trampoline_kernelINS0_14default_configENS1_27scan_by_key_config_selectorIj11FixedVectorIiLj8EEEEZZNS1_16scan_by_key_implILNS1_25lookback_scan_determinismE0ELb0ES3_N6thrust23THRUST_200600_302600_NS6detail15normal_iteratorINSB_10device_ptrIjEEEENSD_INSE_IS6_EEEESI_S6_NSB_4plusIvEENSB_8equal_toIvEES6_EE10hipError_tPvRmT2_T3_T4_T5_mT6_T7_P12ihipStream_tbENKUlT_T0_E_clISt17integral_constantIbLb1EES12_IbLb0EEEEDaSY_SZ_EUlSY_E_NS1_11comp_targetILNS1_3genE9ELNS1_11target_archE1100ELNS1_3gpuE3ELNS1_3repE0EEENS1_30default_config_static_selectorELNS0_4arch9wavefront6targetE1EEEvT1_
; %bb.0:
	.section	.rodata,"a",@progbits
	.p2align	6, 0x0
	.amdhsa_kernel _ZN7rocprim17ROCPRIM_400000_NS6detail17trampoline_kernelINS0_14default_configENS1_27scan_by_key_config_selectorIj11FixedVectorIiLj8EEEEZZNS1_16scan_by_key_implILNS1_25lookback_scan_determinismE0ELb0ES3_N6thrust23THRUST_200600_302600_NS6detail15normal_iteratorINSB_10device_ptrIjEEEENSD_INSE_IS6_EEEESI_S6_NSB_4plusIvEENSB_8equal_toIvEES6_EE10hipError_tPvRmT2_T3_T4_T5_mT6_T7_P12ihipStream_tbENKUlT_T0_E_clISt17integral_constantIbLb1EES12_IbLb0EEEEDaSY_SZ_EUlSY_E_NS1_11comp_targetILNS1_3genE9ELNS1_11target_archE1100ELNS1_3gpuE3ELNS1_3repE0EEENS1_30default_config_static_selectorELNS0_4arch9wavefront6targetE1EEEvT1_
		.amdhsa_group_segment_fixed_size 0
		.amdhsa_private_segment_fixed_size 0
		.amdhsa_kernarg_size 160
		.amdhsa_user_sgpr_count 6
		.amdhsa_user_sgpr_private_segment_buffer 1
		.amdhsa_user_sgpr_dispatch_ptr 0
		.amdhsa_user_sgpr_queue_ptr 0
		.amdhsa_user_sgpr_kernarg_segment_ptr 1
		.amdhsa_user_sgpr_dispatch_id 0
		.amdhsa_user_sgpr_flat_scratch_init 0
		.amdhsa_user_sgpr_kernarg_preload_length 0
		.amdhsa_user_sgpr_kernarg_preload_offset 0
		.amdhsa_user_sgpr_private_segment_size 0
		.amdhsa_uses_dynamic_stack 0
		.amdhsa_system_sgpr_private_segment_wavefront_offset 0
		.amdhsa_system_sgpr_workgroup_id_x 1
		.amdhsa_system_sgpr_workgroup_id_y 0
		.amdhsa_system_sgpr_workgroup_id_z 0
		.amdhsa_system_sgpr_workgroup_info 0
		.amdhsa_system_vgpr_workitem_id 0
		.amdhsa_next_free_vgpr 1
		.amdhsa_next_free_sgpr 0
		.amdhsa_accum_offset 4
		.amdhsa_reserve_vcc 0
		.amdhsa_reserve_flat_scratch 0
		.amdhsa_float_round_mode_32 0
		.amdhsa_float_round_mode_16_64 0
		.amdhsa_float_denorm_mode_32 3
		.amdhsa_float_denorm_mode_16_64 3
		.amdhsa_dx10_clamp 1
		.amdhsa_ieee_mode 1
		.amdhsa_fp16_overflow 0
		.amdhsa_tg_split 0
		.amdhsa_exception_fp_ieee_invalid_op 0
		.amdhsa_exception_fp_denorm_src 0
		.amdhsa_exception_fp_ieee_div_zero 0
		.amdhsa_exception_fp_ieee_overflow 0
		.amdhsa_exception_fp_ieee_underflow 0
		.amdhsa_exception_fp_ieee_inexact 0
		.amdhsa_exception_int_div_zero 0
	.end_amdhsa_kernel
	.section	.text._ZN7rocprim17ROCPRIM_400000_NS6detail17trampoline_kernelINS0_14default_configENS1_27scan_by_key_config_selectorIj11FixedVectorIiLj8EEEEZZNS1_16scan_by_key_implILNS1_25lookback_scan_determinismE0ELb0ES3_N6thrust23THRUST_200600_302600_NS6detail15normal_iteratorINSB_10device_ptrIjEEEENSD_INSE_IS6_EEEESI_S6_NSB_4plusIvEENSB_8equal_toIvEES6_EE10hipError_tPvRmT2_T3_T4_T5_mT6_T7_P12ihipStream_tbENKUlT_T0_E_clISt17integral_constantIbLb1EES12_IbLb0EEEEDaSY_SZ_EUlSY_E_NS1_11comp_targetILNS1_3genE9ELNS1_11target_archE1100ELNS1_3gpuE3ELNS1_3repE0EEENS1_30default_config_static_selectorELNS0_4arch9wavefront6targetE1EEEvT1_,"axG",@progbits,_ZN7rocprim17ROCPRIM_400000_NS6detail17trampoline_kernelINS0_14default_configENS1_27scan_by_key_config_selectorIj11FixedVectorIiLj8EEEEZZNS1_16scan_by_key_implILNS1_25lookback_scan_determinismE0ELb0ES3_N6thrust23THRUST_200600_302600_NS6detail15normal_iteratorINSB_10device_ptrIjEEEENSD_INSE_IS6_EEEESI_S6_NSB_4plusIvEENSB_8equal_toIvEES6_EE10hipError_tPvRmT2_T3_T4_T5_mT6_T7_P12ihipStream_tbENKUlT_T0_E_clISt17integral_constantIbLb1EES12_IbLb0EEEEDaSY_SZ_EUlSY_E_NS1_11comp_targetILNS1_3genE9ELNS1_11target_archE1100ELNS1_3gpuE3ELNS1_3repE0EEENS1_30default_config_static_selectorELNS0_4arch9wavefront6targetE1EEEvT1_,comdat
.Lfunc_end2144:
	.size	_ZN7rocprim17ROCPRIM_400000_NS6detail17trampoline_kernelINS0_14default_configENS1_27scan_by_key_config_selectorIj11FixedVectorIiLj8EEEEZZNS1_16scan_by_key_implILNS1_25lookback_scan_determinismE0ELb0ES3_N6thrust23THRUST_200600_302600_NS6detail15normal_iteratorINSB_10device_ptrIjEEEENSD_INSE_IS6_EEEESI_S6_NSB_4plusIvEENSB_8equal_toIvEES6_EE10hipError_tPvRmT2_T3_T4_T5_mT6_T7_P12ihipStream_tbENKUlT_T0_E_clISt17integral_constantIbLb1EES12_IbLb0EEEEDaSY_SZ_EUlSY_E_NS1_11comp_targetILNS1_3genE9ELNS1_11target_archE1100ELNS1_3gpuE3ELNS1_3repE0EEENS1_30default_config_static_selectorELNS0_4arch9wavefront6targetE1EEEvT1_, .Lfunc_end2144-_ZN7rocprim17ROCPRIM_400000_NS6detail17trampoline_kernelINS0_14default_configENS1_27scan_by_key_config_selectorIj11FixedVectorIiLj8EEEEZZNS1_16scan_by_key_implILNS1_25lookback_scan_determinismE0ELb0ES3_N6thrust23THRUST_200600_302600_NS6detail15normal_iteratorINSB_10device_ptrIjEEEENSD_INSE_IS6_EEEESI_S6_NSB_4plusIvEENSB_8equal_toIvEES6_EE10hipError_tPvRmT2_T3_T4_T5_mT6_T7_P12ihipStream_tbENKUlT_T0_E_clISt17integral_constantIbLb1EES12_IbLb0EEEEDaSY_SZ_EUlSY_E_NS1_11comp_targetILNS1_3genE9ELNS1_11target_archE1100ELNS1_3gpuE3ELNS1_3repE0EEENS1_30default_config_static_selectorELNS0_4arch9wavefront6targetE1EEEvT1_
                                        ; -- End function
	.section	.AMDGPU.csdata,"",@progbits
; Kernel info:
; codeLenInByte = 0
; NumSgprs: 4
; NumVgprs: 0
; NumAgprs: 0
; TotalNumVgprs: 0
; ScratchSize: 0
; MemoryBound: 0
; FloatMode: 240
; IeeeMode: 1
; LDSByteSize: 0 bytes/workgroup (compile time only)
; SGPRBlocks: 0
; VGPRBlocks: 0
; NumSGPRsForWavesPerEU: 4
; NumVGPRsForWavesPerEU: 1
; AccumOffset: 4
; Occupancy: 8
; WaveLimiterHint : 0
; COMPUTE_PGM_RSRC2:SCRATCH_EN: 0
; COMPUTE_PGM_RSRC2:USER_SGPR: 6
; COMPUTE_PGM_RSRC2:TRAP_HANDLER: 0
; COMPUTE_PGM_RSRC2:TGID_X_EN: 1
; COMPUTE_PGM_RSRC2:TGID_Y_EN: 0
; COMPUTE_PGM_RSRC2:TGID_Z_EN: 0
; COMPUTE_PGM_RSRC2:TIDIG_COMP_CNT: 0
; COMPUTE_PGM_RSRC3_GFX90A:ACCUM_OFFSET: 0
; COMPUTE_PGM_RSRC3_GFX90A:TG_SPLIT: 0
	.section	.text._ZN7rocprim17ROCPRIM_400000_NS6detail17trampoline_kernelINS0_14default_configENS1_27scan_by_key_config_selectorIj11FixedVectorIiLj8EEEEZZNS1_16scan_by_key_implILNS1_25lookback_scan_determinismE0ELb0ES3_N6thrust23THRUST_200600_302600_NS6detail15normal_iteratorINSB_10device_ptrIjEEEENSD_INSE_IS6_EEEESI_S6_NSB_4plusIvEENSB_8equal_toIvEES6_EE10hipError_tPvRmT2_T3_T4_T5_mT6_T7_P12ihipStream_tbENKUlT_T0_E_clISt17integral_constantIbLb1EES12_IbLb0EEEEDaSY_SZ_EUlSY_E_NS1_11comp_targetILNS1_3genE8ELNS1_11target_archE1030ELNS1_3gpuE2ELNS1_3repE0EEENS1_30default_config_static_selectorELNS0_4arch9wavefront6targetE1EEEvT1_,"axG",@progbits,_ZN7rocprim17ROCPRIM_400000_NS6detail17trampoline_kernelINS0_14default_configENS1_27scan_by_key_config_selectorIj11FixedVectorIiLj8EEEEZZNS1_16scan_by_key_implILNS1_25lookback_scan_determinismE0ELb0ES3_N6thrust23THRUST_200600_302600_NS6detail15normal_iteratorINSB_10device_ptrIjEEEENSD_INSE_IS6_EEEESI_S6_NSB_4plusIvEENSB_8equal_toIvEES6_EE10hipError_tPvRmT2_T3_T4_T5_mT6_T7_P12ihipStream_tbENKUlT_T0_E_clISt17integral_constantIbLb1EES12_IbLb0EEEEDaSY_SZ_EUlSY_E_NS1_11comp_targetILNS1_3genE8ELNS1_11target_archE1030ELNS1_3gpuE2ELNS1_3repE0EEENS1_30default_config_static_selectorELNS0_4arch9wavefront6targetE1EEEvT1_,comdat
	.protected	_ZN7rocprim17ROCPRIM_400000_NS6detail17trampoline_kernelINS0_14default_configENS1_27scan_by_key_config_selectorIj11FixedVectorIiLj8EEEEZZNS1_16scan_by_key_implILNS1_25lookback_scan_determinismE0ELb0ES3_N6thrust23THRUST_200600_302600_NS6detail15normal_iteratorINSB_10device_ptrIjEEEENSD_INSE_IS6_EEEESI_S6_NSB_4plusIvEENSB_8equal_toIvEES6_EE10hipError_tPvRmT2_T3_T4_T5_mT6_T7_P12ihipStream_tbENKUlT_T0_E_clISt17integral_constantIbLb1EES12_IbLb0EEEEDaSY_SZ_EUlSY_E_NS1_11comp_targetILNS1_3genE8ELNS1_11target_archE1030ELNS1_3gpuE2ELNS1_3repE0EEENS1_30default_config_static_selectorELNS0_4arch9wavefront6targetE1EEEvT1_ ; -- Begin function _ZN7rocprim17ROCPRIM_400000_NS6detail17trampoline_kernelINS0_14default_configENS1_27scan_by_key_config_selectorIj11FixedVectorIiLj8EEEEZZNS1_16scan_by_key_implILNS1_25lookback_scan_determinismE0ELb0ES3_N6thrust23THRUST_200600_302600_NS6detail15normal_iteratorINSB_10device_ptrIjEEEENSD_INSE_IS6_EEEESI_S6_NSB_4plusIvEENSB_8equal_toIvEES6_EE10hipError_tPvRmT2_T3_T4_T5_mT6_T7_P12ihipStream_tbENKUlT_T0_E_clISt17integral_constantIbLb1EES12_IbLb0EEEEDaSY_SZ_EUlSY_E_NS1_11comp_targetILNS1_3genE8ELNS1_11target_archE1030ELNS1_3gpuE2ELNS1_3repE0EEENS1_30default_config_static_selectorELNS0_4arch9wavefront6targetE1EEEvT1_
	.globl	_ZN7rocprim17ROCPRIM_400000_NS6detail17trampoline_kernelINS0_14default_configENS1_27scan_by_key_config_selectorIj11FixedVectorIiLj8EEEEZZNS1_16scan_by_key_implILNS1_25lookback_scan_determinismE0ELb0ES3_N6thrust23THRUST_200600_302600_NS6detail15normal_iteratorINSB_10device_ptrIjEEEENSD_INSE_IS6_EEEESI_S6_NSB_4plusIvEENSB_8equal_toIvEES6_EE10hipError_tPvRmT2_T3_T4_T5_mT6_T7_P12ihipStream_tbENKUlT_T0_E_clISt17integral_constantIbLb1EES12_IbLb0EEEEDaSY_SZ_EUlSY_E_NS1_11comp_targetILNS1_3genE8ELNS1_11target_archE1030ELNS1_3gpuE2ELNS1_3repE0EEENS1_30default_config_static_selectorELNS0_4arch9wavefront6targetE1EEEvT1_
	.p2align	8
	.type	_ZN7rocprim17ROCPRIM_400000_NS6detail17trampoline_kernelINS0_14default_configENS1_27scan_by_key_config_selectorIj11FixedVectorIiLj8EEEEZZNS1_16scan_by_key_implILNS1_25lookback_scan_determinismE0ELb0ES3_N6thrust23THRUST_200600_302600_NS6detail15normal_iteratorINSB_10device_ptrIjEEEENSD_INSE_IS6_EEEESI_S6_NSB_4plusIvEENSB_8equal_toIvEES6_EE10hipError_tPvRmT2_T3_T4_T5_mT6_T7_P12ihipStream_tbENKUlT_T0_E_clISt17integral_constantIbLb1EES12_IbLb0EEEEDaSY_SZ_EUlSY_E_NS1_11comp_targetILNS1_3genE8ELNS1_11target_archE1030ELNS1_3gpuE2ELNS1_3repE0EEENS1_30default_config_static_selectorELNS0_4arch9wavefront6targetE1EEEvT1_,@function
_ZN7rocprim17ROCPRIM_400000_NS6detail17trampoline_kernelINS0_14default_configENS1_27scan_by_key_config_selectorIj11FixedVectorIiLj8EEEEZZNS1_16scan_by_key_implILNS1_25lookback_scan_determinismE0ELb0ES3_N6thrust23THRUST_200600_302600_NS6detail15normal_iteratorINSB_10device_ptrIjEEEENSD_INSE_IS6_EEEESI_S6_NSB_4plusIvEENSB_8equal_toIvEES6_EE10hipError_tPvRmT2_T3_T4_T5_mT6_T7_P12ihipStream_tbENKUlT_T0_E_clISt17integral_constantIbLb1EES12_IbLb0EEEEDaSY_SZ_EUlSY_E_NS1_11comp_targetILNS1_3genE8ELNS1_11target_archE1030ELNS1_3gpuE2ELNS1_3repE0EEENS1_30default_config_static_selectorELNS0_4arch9wavefront6targetE1EEEvT1_: ; @_ZN7rocprim17ROCPRIM_400000_NS6detail17trampoline_kernelINS0_14default_configENS1_27scan_by_key_config_selectorIj11FixedVectorIiLj8EEEEZZNS1_16scan_by_key_implILNS1_25lookback_scan_determinismE0ELb0ES3_N6thrust23THRUST_200600_302600_NS6detail15normal_iteratorINSB_10device_ptrIjEEEENSD_INSE_IS6_EEEESI_S6_NSB_4plusIvEENSB_8equal_toIvEES6_EE10hipError_tPvRmT2_T3_T4_T5_mT6_T7_P12ihipStream_tbENKUlT_T0_E_clISt17integral_constantIbLb1EES12_IbLb0EEEEDaSY_SZ_EUlSY_E_NS1_11comp_targetILNS1_3genE8ELNS1_11target_archE1030ELNS1_3gpuE2ELNS1_3repE0EEENS1_30default_config_static_selectorELNS0_4arch9wavefront6targetE1EEEvT1_
; %bb.0:
	.section	.rodata,"a",@progbits
	.p2align	6, 0x0
	.amdhsa_kernel _ZN7rocprim17ROCPRIM_400000_NS6detail17trampoline_kernelINS0_14default_configENS1_27scan_by_key_config_selectorIj11FixedVectorIiLj8EEEEZZNS1_16scan_by_key_implILNS1_25lookback_scan_determinismE0ELb0ES3_N6thrust23THRUST_200600_302600_NS6detail15normal_iteratorINSB_10device_ptrIjEEEENSD_INSE_IS6_EEEESI_S6_NSB_4plusIvEENSB_8equal_toIvEES6_EE10hipError_tPvRmT2_T3_T4_T5_mT6_T7_P12ihipStream_tbENKUlT_T0_E_clISt17integral_constantIbLb1EES12_IbLb0EEEEDaSY_SZ_EUlSY_E_NS1_11comp_targetILNS1_3genE8ELNS1_11target_archE1030ELNS1_3gpuE2ELNS1_3repE0EEENS1_30default_config_static_selectorELNS0_4arch9wavefront6targetE1EEEvT1_
		.amdhsa_group_segment_fixed_size 0
		.amdhsa_private_segment_fixed_size 0
		.amdhsa_kernarg_size 160
		.amdhsa_user_sgpr_count 6
		.amdhsa_user_sgpr_private_segment_buffer 1
		.amdhsa_user_sgpr_dispatch_ptr 0
		.amdhsa_user_sgpr_queue_ptr 0
		.amdhsa_user_sgpr_kernarg_segment_ptr 1
		.amdhsa_user_sgpr_dispatch_id 0
		.amdhsa_user_sgpr_flat_scratch_init 0
		.amdhsa_user_sgpr_kernarg_preload_length 0
		.amdhsa_user_sgpr_kernarg_preload_offset 0
		.amdhsa_user_sgpr_private_segment_size 0
		.amdhsa_uses_dynamic_stack 0
		.amdhsa_system_sgpr_private_segment_wavefront_offset 0
		.amdhsa_system_sgpr_workgroup_id_x 1
		.amdhsa_system_sgpr_workgroup_id_y 0
		.amdhsa_system_sgpr_workgroup_id_z 0
		.amdhsa_system_sgpr_workgroup_info 0
		.amdhsa_system_vgpr_workitem_id 0
		.amdhsa_next_free_vgpr 1
		.amdhsa_next_free_sgpr 0
		.amdhsa_accum_offset 4
		.amdhsa_reserve_vcc 0
		.amdhsa_reserve_flat_scratch 0
		.amdhsa_float_round_mode_32 0
		.amdhsa_float_round_mode_16_64 0
		.amdhsa_float_denorm_mode_32 3
		.amdhsa_float_denorm_mode_16_64 3
		.amdhsa_dx10_clamp 1
		.amdhsa_ieee_mode 1
		.amdhsa_fp16_overflow 0
		.amdhsa_tg_split 0
		.amdhsa_exception_fp_ieee_invalid_op 0
		.amdhsa_exception_fp_denorm_src 0
		.amdhsa_exception_fp_ieee_div_zero 0
		.amdhsa_exception_fp_ieee_overflow 0
		.amdhsa_exception_fp_ieee_underflow 0
		.amdhsa_exception_fp_ieee_inexact 0
		.amdhsa_exception_int_div_zero 0
	.end_amdhsa_kernel
	.section	.text._ZN7rocprim17ROCPRIM_400000_NS6detail17trampoline_kernelINS0_14default_configENS1_27scan_by_key_config_selectorIj11FixedVectorIiLj8EEEEZZNS1_16scan_by_key_implILNS1_25lookback_scan_determinismE0ELb0ES3_N6thrust23THRUST_200600_302600_NS6detail15normal_iteratorINSB_10device_ptrIjEEEENSD_INSE_IS6_EEEESI_S6_NSB_4plusIvEENSB_8equal_toIvEES6_EE10hipError_tPvRmT2_T3_T4_T5_mT6_T7_P12ihipStream_tbENKUlT_T0_E_clISt17integral_constantIbLb1EES12_IbLb0EEEEDaSY_SZ_EUlSY_E_NS1_11comp_targetILNS1_3genE8ELNS1_11target_archE1030ELNS1_3gpuE2ELNS1_3repE0EEENS1_30default_config_static_selectorELNS0_4arch9wavefront6targetE1EEEvT1_,"axG",@progbits,_ZN7rocprim17ROCPRIM_400000_NS6detail17trampoline_kernelINS0_14default_configENS1_27scan_by_key_config_selectorIj11FixedVectorIiLj8EEEEZZNS1_16scan_by_key_implILNS1_25lookback_scan_determinismE0ELb0ES3_N6thrust23THRUST_200600_302600_NS6detail15normal_iteratorINSB_10device_ptrIjEEEENSD_INSE_IS6_EEEESI_S6_NSB_4plusIvEENSB_8equal_toIvEES6_EE10hipError_tPvRmT2_T3_T4_T5_mT6_T7_P12ihipStream_tbENKUlT_T0_E_clISt17integral_constantIbLb1EES12_IbLb0EEEEDaSY_SZ_EUlSY_E_NS1_11comp_targetILNS1_3genE8ELNS1_11target_archE1030ELNS1_3gpuE2ELNS1_3repE0EEENS1_30default_config_static_selectorELNS0_4arch9wavefront6targetE1EEEvT1_,comdat
.Lfunc_end2145:
	.size	_ZN7rocprim17ROCPRIM_400000_NS6detail17trampoline_kernelINS0_14default_configENS1_27scan_by_key_config_selectorIj11FixedVectorIiLj8EEEEZZNS1_16scan_by_key_implILNS1_25lookback_scan_determinismE0ELb0ES3_N6thrust23THRUST_200600_302600_NS6detail15normal_iteratorINSB_10device_ptrIjEEEENSD_INSE_IS6_EEEESI_S6_NSB_4plusIvEENSB_8equal_toIvEES6_EE10hipError_tPvRmT2_T3_T4_T5_mT6_T7_P12ihipStream_tbENKUlT_T0_E_clISt17integral_constantIbLb1EES12_IbLb0EEEEDaSY_SZ_EUlSY_E_NS1_11comp_targetILNS1_3genE8ELNS1_11target_archE1030ELNS1_3gpuE2ELNS1_3repE0EEENS1_30default_config_static_selectorELNS0_4arch9wavefront6targetE1EEEvT1_, .Lfunc_end2145-_ZN7rocprim17ROCPRIM_400000_NS6detail17trampoline_kernelINS0_14default_configENS1_27scan_by_key_config_selectorIj11FixedVectorIiLj8EEEEZZNS1_16scan_by_key_implILNS1_25lookback_scan_determinismE0ELb0ES3_N6thrust23THRUST_200600_302600_NS6detail15normal_iteratorINSB_10device_ptrIjEEEENSD_INSE_IS6_EEEESI_S6_NSB_4plusIvEENSB_8equal_toIvEES6_EE10hipError_tPvRmT2_T3_T4_T5_mT6_T7_P12ihipStream_tbENKUlT_T0_E_clISt17integral_constantIbLb1EES12_IbLb0EEEEDaSY_SZ_EUlSY_E_NS1_11comp_targetILNS1_3genE8ELNS1_11target_archE1030ELNS1_3gpuE2ELNS1_3repE0EEENS1_30default_config_static_selectorELNS0_4arch9wavefront6targetE1EEEvT1_
                                        ; -- End function
	.section	.AMDGPU.csdata,"",@progbits
; Kernel info:
; codeLenInByte = 0
; NumSgprs: 4
; NumVgprs: 0
; NumAgprs: 0
; TotalNumVgprs: 0
; ScratchSize: 0
; MemoryBound: 0
; FloatMode: 240
; IeeeMode: 1
; LDSByteSize: 0 bytes/workgroup (compile time only)
; SGPRBlocks: 0
; VGPRBlocks: 0
; NumSGPRsForWavesPerEU: 4
; NumVGPRsForWavesPerEU: 1
; AccumOffset: 4
; Occupancy: 8
; WaveLimiterHint : 0
; COMPUTE_PGM_RSRC2:SCRATCH_EN: 0
; COMPUTE_PGM_RSRC2:USER_SGPR: 6
; COMPUTE_PGM_RSRC2:TRAP_HANDLER: 0
; COMPUTE_PGM_RSRC2:TGID_X_EN: 1
; COMPUTE_PGM_RSRC2:TGID_Y_EN: 0
; COMPUTE_PGM_RSRC2:TGID_Z_EN: 0
; COMPUTE_PGM_RSRC2:TIDIG_COMP_CNT: 0
; COMPUTE_PGM_RSRC3_GFX90A:ACCUM_OFFSET: 0
; COMPUTE_PGM_RSRC3_GFX90A:TG_SPLIT: 0
	.section	.text._ZN7rocprim17ROCPRIM_400000_NS6detail30init_device_scan_by_key_kernelINS1_19lookback_scan_stateINS0_5tupleIJ11FixedVectorIiLj8EEbEEELb0ELb0EEEN6thrust23THRUST_200600_302600_NS6detail15normal_iteratorINSA_10device_ptrIjEEEEjNS1_16block_id_wrapperIjLb1EEEEEvT_jjPNSI_10value_typeET0_PNSt15iterator_traitsISL_E10value_typeEmT1_T2_,"axG",@progbits,_ZN7rocprim17ROCPRIM_400000_NS6detail30init_device_scan_by_key_kernelINS1_19lookback_scan_stateINS0_5tupleIJ11FixedVectorIiLj8EEbEEELb0ELb0EEEN6thrust23THRUST_200600_302600_NS6detail15normal_iteratorINSA_10device_ptrIjEEEEjNS1_16block_id_wrapperIjLb1EEEEEvT_jjPNSI_10value_typeET0_PNSt15iterator_traitsISL_E10value_typeEmT1_T2_,comdat
	.protected	_ZN7rocprim17ROCPRIM_400000_NS6detail30init_device_scan_by_key_kernelINS1_19lookback_scan_stateINS0_5tupleIJ11FixedVectorIiLj8EEbEEELb0ELb0EEEN6thrust23THRUST_200600_302600_NS6detail15normal_iteratorINSA_10device_ptrIjEEEEjNS1_16block_id_wrapperIjLb1EEEEEvT_jjPNSI_10value_typeET0_PNSt15iterator_traitsISL_E10value_typeEmT1_T2_ ; -- Begin function _ZN7rocprim17ROCPRIM_400000_NS6detail30init_device_scan_by_key_kernelINS1_19lookback_scan_stateINS0_5tupleIJ11FixedVectorIiLj8EEbEEELb0ELb0EEEN6thrust23THRUST_200600_302600_NS6detail15normal_iteratorINSA_10device_ptrIjEEEEjNS1_16block_id_wrapperIjLb1EEEEEvT_jjPNSI_10value_typeET0_PNSt15iterator_traitsISL_E10value_typeEmT1_T2_
	.globl	_ZN7rocprim17ROCPRIM_400000_NS6detail30init_device_scan_by_key_kernelINS1_19lookback_scan_stateINS0_5tupleIJ11FixedVectorIiLj8EEbEEELb0ELb0EEEN6thrust23THRUST_200600_302600_NS6detail15normal_iteratorINSA_10device_ptrIjEEEEjNS1_16block_id_wrapperIjLb1EEEEEvT_jjPNSI_10value_typeET0_PNSt15iterator_traitsISL_E10value_typeEmT1_T2_
	.p2align	8
	.type	_ZN7rocprim17ROCPRIM_400000_NS6detail30init_device_scan_by_key_kernelINS1_19lookback_scan_stateINS0_5tupleIJ11FixedVectorIiLj8EEbEEELb0ELb0EEEN6thrust23THRUST_200600_302600_NS6detail15normal_iteratorINSA_10device_ptrIjEEEEjNS1_16block_id_wrapperIjLb1EEEEEvT_jjPNSI_10value_typeET0_PNSt15iterator_traitsISL_E10value_typeEmT1_T2_,@function
_ZN7rocprim17ROCPRIM_400000_NS6detail30init_device_scan_by_key_kernelINS1_19lookback_scan_stateINS0_5tupleIJ11FixedVectorIiLj8EEbEEELb0ELb0EEEN6thrust23THRUST_200600_302600_NS6detail15normal_iteratorINSA_10device_ptrIjEEEEjNS1_16block_id_wrapperIjLb1EEEEEvT_jjPNSI_10value_typeET0_PNSt15iterator_traitsISL_E10value_typeEmT1_T2_: ; @_ZN7rocprim17ROCPRIM_400000_NS6detail30init_device_scan_by_key_kernelINS1_19lookback_scan_stateINS0_5tupleIJ11FixedVectorIiLj8EEbEEELb0ELb0EEEN6thrust23THRUST_200600_302600_NS6detail15normal_iteratorINSA_10device_ptrIjEEEEjNS1_16block_id_wrapperIjLb1EEEEEvT_jjPNSI_10value_typeET0_PNSt15iterator_traitsISL_E10value_typeEmT1_T2_
; %bb.0:
	s_load_dword s6, s[4:5], 0x5c
	s_load_dwordx8 s[12:19], s[4:5], 0x10
	s_load_dword s22, s[4:5], 0x50
	s_add_u32 s0, s0, s9
	s_addc_u32 s1, s1, 0
	s_waitcnt lgkmcnt(0)
	s_and_b32 s23, s6, 0xffff
	s_mul_i32 s8, s8, s23
	s_cmp_eq_u64 s[16:17], 0
	v_add_u32_e32 v0, s8, v0
	s_cbranch_scc1 .LBB2146_8
; %bb.1:
	s_cmp_lt_u32 s15, s14
	s_cselect_b32 s6, s15, 0
	s_mov_b32 s20, 0
	v_cmp_eq_u32_e32 vcc, s6, v0
	s_and_saveexec_b64 s[6:7], vcc
	s_cbranch_execz .LBB2146_7
; %bb.2:
	s_load_dwordx4 s[8:11], s[4:5], 0x0
	v_mov_b32_e32 v1, 0
	v_mov_b32_e32 v2, 0
	buffer_store_dword v1, off, s[0:3], 0 offset:28
	buffer_store_dword v1, off, s[0:3], 0 offset:24
	;; [unrolled: 1-line block ×7, first 2 shown]
	buffer_store_dword v1, off, s[0:3], 0
	buffer_store_dword v1, off, s[0:3], 0 offset:32
.LBB2146_3:                             ; =>This Inner Loop Header: Depth=1
	v_add_u32_e32 v3, s20, v2
	s_add_i32 s20, s20, 8
	s_cmp_lg_u32 s20, 32
	buffer_store_dword v1, v3, s[0:3], 0 offen offset:4
	buffer_store_dword v1, v3, s[0:3], 0 offen
	s_cbranch_scc1 .LBB2146_3
; %bb.4:
	v_mov_b32_e32 v1, 0
	s_add_i32 s15, s15, 64
	buffer_store_byte v1, off, s[0:3], 0 offset:32
	v_mov_b32_e32 v2, s15
	global_load_ubyte v2, v2, s[12:13] glc
	s_add_u32 s20, s12, s15
	s_addc_u32 s21, s13, 0
	s_waitcnt vmcnt(0)
	v_cmp_ne_u16_e32 vcc, 0, v2
	v_readfirstlane_b32 s24, v2
	s_cbranch_vccnz .LBB2146_6
.LBB2146_5:                             ; =>This Inner Loop Header: Depth=1
	global_load_ubyte v2, v1, s[20:21] glc
	s_waitcnt vmcnt(0)
	v_cmp_eq_u16_e32 vcc, 0, v2
	v_readfirstlane_b32 s24, v2
	s_cbranch_vccnz .LBB2146_5
.LBB2146_6:
	s_and_b32 s20, 0xffff, s24
	s_cmp_eq_u32 s20, 1
	s_waitcnt lgkmcnt(0)
	s_cselect_b32 s9, s9, s11
	s_cselect_b32 s8, s8, s10
	s_mul_i32 s11, s15, 36
	s_mul_hi_u32 s10, s15, 36
	s_add_u32 s8, s8, s11
	s_addc_u32 s9, s9, s10
	v_mov_b32_e32 v1, 0
	buffer_wbinvl1_vol
	global_load_dwordx4 v[2:5], v1, s[8:9]
	global_load_dwordx4 v[6:9], v1, s[8:9] offset:16
	global_load_ubyte v10, v1, s[8:9] offset:32
	s_waitcnt vmcnt(2)
	global_store_dwordx4 v1, v[2:5], s[16:17]
	s_waitcnt vmcnt(2)
	global_store_dwordx4 v1, v[6:9], s[16:17] offset:16
	s_waitcnt vmcnt(2)
	global_store_byte v1, v10, s[16:17] offset:32
.LBB2146_7:
	s_or_b64 exec, exec, s[6:7]
.LBB2146_8:
	v_cmp_eq_u32_e32 vcc, 0, v0
	s_and_saveexec_b64 s[6:7], vcc
	s_cbranch_execz .LBB2146_10
; %bb.9:
	s_load_dwordx2 s[8:9], s[4:5], 0x48
	v_mov_b32_e32 v1, 0
	s_waitcnt lgkmcnt(0)
	global_store_dword v1, v1, s[8:9]
.LBB2146_10:
	s_or_b64 exec, exec, s[6:7]
	v_cmp_gt_u32_e32 vcc, s14, v0
	s_and_saveexec_b64 s[6:7], vcc
	s_cbranch_execz .LBB2146_12
; %bb.11:
	v_add_u32_e32 v1, 64, v0
	v_mov_b32_e32 v2, 0
	global_store_byte v1, v2, s[12:13]
.LBB2146_12:
	s_or_b64 exec, exec, s[6:7]
	v_cmp_gt_u32_e32 vcc, 64, v0
	v_mov_b32_e32 v1, 0
	s_and_saveexec_b64 s[6:7], vcc
	s_cbranch_execz .LBB2146_14
; %bb.13:
	v_mov_b32_e32 v3, s13
	v_add_co_u32_e32 v2, vcc, s12, v0
	v_addc_co_u32_e32 v3, vcc, 0, v3, vcc
	v_mov_b32_e32 v4, 0xff
	global_store_byte v[2:3], v4, off
.LBB2146_14:
	s_or_b64 exec, exec, s[6:7]
	s_load_dwordx2 s[6:7], s[4:5], 0x38
	s_waitcnt lgkmcnt(0)
	v_cmp_gt_u64_e32 vcc, s[6:7], v[0:1]
	s_and_saveexec_b64 s[8:9], vcc
	s_cbranch_execz .LBB2146_17
; %bb.15:
	s_load_dword s14, s[4:5], 0x40
	s_load_dwordx2 s[10:11], s[4:5], 0x30
	s_mov_b32 s9, 0
	s_mov_b32 s5, s9
	s_mul_i32 s4, s22, s23
	s_waitcnt lgkmcnt(0)
	s_add_i32 s8, s14, -1
	s_lshl_b64 s[8:9], s[8:9], 2
	v_mad_u64_u32 v[2:3], s[12:13], s14, v0, 0
	s_add_u32 s8, s18, s8
	v_lshlrev_b64 v[2:3], 2, v[2:3]
	s_addc_u32 s9, s19, s9
	v_mov_b32_e32 v4, s9
	v_add_co_u32_e32 v2, vcc, s8, v2
	v_addc_co_u32_e32 v3, vcc, v4, v3, vcc
	s_mul_hi_u32 s9, s14, s4
	s_mul_i32 s8, s14, s4
	v_lshlrev_b64 v[4:5], 2, v[0:1]
	s_lshl_b64 s[8:9], s[8:9], 2
	v_mov_b32_e32 v6, s11
	v_add_co_u32_e32 v4, vcc, s10, v4
	s_lshl_b64 s[10:11], s[4:5], 2
	v_addc_co_u32_e32 v5, vcc, v6, v5, vcc
	s_mov_b64 s[12:13], 0
	v_mov_b32_e32 v6, s5
	v_mov_b32_e32 v7, s9
	;; [unrolled: 1-line block ×3, first 2 shown]
.LBB2146_16:                            ; =>This Inner Loop Header: Depth=1
	global_load_dword v9, v[2:3], off
	v_add_co_u32_e32 v0, vcc, s4, v0
	v_addc_co_u32_e32 v1, vcc, v1, v6, vcc
	v_add_co_u32_e32 v2, vcc, s8, v2
	v_addc_co_u32_e32 v3, vcc, v3, v7, vcc
	v_cmp_le_u64_e32 vcc, s[6:7], v[0:1]
	s_or_b64 s[12:13], vcc, s[12:13]
	s_waitcnt vmcnt(0)
	global_store_dword v[4:5], v9, off
	v_add_co_u32_e32 v4, vcc, s10, v4
	v_addc_co_u32_e32 v5, vcc, v5, v8, vcc
	s_andn2_b64 exec, exec, s[12:13]
	s_cbranch_execnz .LBB2146_16
.LBB2146_17:
	s_endpgm
	.section	.rodata,"a",@progbits
	.p2align	6, 0x0
	.amdhsa_kernel _ZN7rocprim17ROCPRIM_400000_NS6detail30init_device_scan_by_key_kernelINS1_19lookback_scan_stateINS0_5tupleIJ11FixedVectorIiLj8EEbEEELb0ELb0EEEN6thrust23THRUST_200600_302600_NS6detail15normal_iteratorINSA_10device_ptrIjEEEEjNS1_16block_id_wrapperIjLb1EEEEEvT_jjPNSI_10value_typeET0_PNSt15iterator_traitsISL_E10value_typeEmT1_T2_
		.amdhsa_group_segment_fixed_size 0
		.amdhsa_private_segment_fixed_size 40
		.amdhsa_kernarg_size 336
		.amdhsa_user_sgpr_count 8
		.amdhsa_user_sgpr_private_segment_buffer 1
		.amdhsa_user_sgpr_dispatch_ptr 0
		.amdhsa_user_sgpr_queue_ptr 0
		.amdhsa_user_sgpr_kernarg_segment_ptr 1
		.amdhsa_user_sgpr_dispatch_id 0
		.amdhsa_user_sgpr_flat_scratch_init 1
		.amdhsa_user_sgpr_kernarg_preload_length 0
		.amdhsa_user_sgpr_kernarg_preload_offset 0
		.amdhsa_user_sgpr_private_segment_size 0
		.amdhsa_uses_dynamic_stack 0
		.amdhsa_system_sgpr_private_segment_wavefront_offset 1
		.amdhsa_system_sgpr_workgroup_id_x 1
		.amdhsa_system_sgpr_workgroup_id_y 0
		.amdhsa_system_sgpr_workgroup_id_z 0
		.amdhsa_system_sgpr_workgroup_info 0
		.amdhsa_system_vgpr_workitem_id 0
		.amdhsa_next_free_vgpr 11
		.amdhsa_next_free_sgpr 25
		.amdhsa_accum_offset 12
		.amdhsa_reserve_vcc 1
		.amdhsa_reserve_flat_scratch 0
		.amdhsa_float_round_mode_32 0
		.amdhsa_float_round_mode_16_64 0
		.amdhsa_float_denorm_mode_32 3
		.amdhsa_float_denorm_mode_16_64 3
		.amdhsa_dx10_clamp 1
		.amdhsa_ieee_mode 1
		.amdhsa_fp16_overflow 0
		.amdhsa_tg_split 0
		.amdhsa_exception_fp_ieee_invalid_op 0
		.amdhsa_exception_fp_denorm_src 0
		.amdhsa_exception_fp_ieee_div_zero 0
		.amdhsa_exception_fp_ieee_overflow 0
		.amdhsa_exception_fp_ieee_underflow 0
		.amdhsa_exception_fp_ieee_inexact 0
		.amdhsa_exception_int_div_zero 0
	.end_amdhsa_kernel
	.section	.text._ZN7rocprim17ROCPRIM_400000_NS6detail30init_device_scan_by_key_kernelINS1_19lookback_scan_stateINS0_5tupleIJ11FixedVectorIiLj8EEbEEELb0ELb0EEEN6thrust23THRUST_200600_302600_NS6detail15normal_iteratorINSA_10device_ptrIjEEEEjNS1_16block_id_wrapperIjLb1EEEEEvT_jjPNSI_10value_typeET0_PNSt15iterator_traitsISL_E10value_typeEmT1_T2_,"axG",@progbits,_ZN7rocprim17ROCPRIM_400000_NS6detail30init_device_scan_by_key_kernelINS1_19lookback_scan_stateINS0_5tupleIJ11FixedVectorIiLj8EEbEEELb0ELb0EEEN6thrust23THRUST_200600_302600_NS6detail15normal_iteratorINSA_10device_ptrIjEEEEjNS1_16block_id_wrapperIjLb1EEEEEvT_jjPNSI_10value_typeET0_PNSt15iterator_traitsISL_E10value_typeEmT1_T2_,comdat
.Lfunc_end2146:
	.size	_ZN7rocprim17ROCPRIM_400000_NS6detail30init_device_scan_by_key_kernelINS1_19lookback_scan_stateINS0_5tupleIJ11FixedVectorIiLj8EEbEEELb0ELb0EEEN6thrust23THRUST_200600_302600_NS6detail15normal_iteratorINSA_10device_ptrIjEEEEjNS1_16block_id_wrapperIjLb1EEEEEvT_jjPNSI_10value_typeET0_PNSt15iterator_traitsISL_E10value_typeEmT1_T2_, .Lfunc_end2146-_ZN7rocprim17ROCPRIM_400000_NS6detail30init_device_scan_by_key_kernelINS1_19lookback_scan_stateINS0_5tupleIJ11FixedVectorIiLj8EEbEEELb0ELb0EEEN6thrust23THRUST_200600_302600_NS6detail15normal_iteratorINSA_10device_ptrIjEEEEjNS1_16block_id_wrapperIjLb1EEEEEvT_jjPNSI_10value_typeET0_PNSt15iterator_traitsISL_E10value_typeEmT1_T2_
                                        ; -- End function
	.section	.AMDGPU.csdata,"",@progbits
; Kernel info:
; codeLenInByte = 732
; NumSgprs: 29
; NumVgprs: 11
; NumAgprs: 0
; TotalNumVgprs: 11
; ScratchSize: 40
; MemoryBound: 0
; FloatMode: 240
; IeeeMode: 1
; LDSByteSize: 0 bytes/workgroup (compile time only)
; SGPRBlocks: 3
; VGPRBlocks: 1
; NumSGPRsForWavesPerEU: 29
; NumVGPRsForWavesPerEU: 11
; AccumOffset: 12
; Occupancy: 8
; WaveLimiterHint : 0
; COMPUTE_PGM_RSRC2:SCRATCH_EN: 1
; COMPUTE_PGM_RSRC2:USER_SGPR: 8
; COMPUTE_PGM_RSRC2:TRAP_HANDLER: 0
; COMPUTE_PGM_RSRC2:TGID_X_EN: 1
; COMPUTE_PGM_RSRC2:TGID_Y_EN: 0
; COMPUTE_PGM_RSRC2:TGID_Z_EN: 0
; COMPUTE_PGM_RSRC2:TIDIG_COMP_CNT: 0
; COMPUTE_PGM_RSRC3_GFX90A:ACCUM_OFFSET: 2
; COMPUTE_PGM_RSRC3_GFX90A:TG_SPLIT: 0
	.section	.text._ZN7rocprim17ROCPRIM_400000_NS6detail30init_device_scan_by_key_kernelINS1_19lookback_scan_stateINS0_5tupleIJ11FixedVectorIiLj8EEbEEELb0ELb0EEENS1_16block_id_wrapperIjLb1EEEEEvT_jjPNSB_10value_typeET0_,"axG",@progbits,_ZN7rocprim17ROCPRIM_400000_NS6detail30init_device_scan_by_key_kernelINS1_19lookback_scan_stateINS0_5tupleIJ11FixedVectorIiLj8EEbEEELb0ELb0EEENS1_16block_id_wrapperIjLb1EEEEEvT_jjPNSB_10value_typeET0_,comdat
	.protected	_ZN7rocprim17ROCPRIM_400000_NS6detail30init_device_scan_by_key_kernelINS1_19lookback_scan_stateINS0_5tupleIJ11FixedVectorIiLj8EEbEEELb0ELb0EEENS1_16block_id_wrapperIjLb1EEEEEvT_jjPNSB_10value_typeET0_ ; -- Begin function _ZN7rocprim17ROCPRIM_400000_NS6detail30init_device_scan_by_key_kernelINS1_19lookback_scan_stateINS0_5tupleIJ11FixedVectorIiLj8EEbEEELb0ELb0EEENS1_16block_id_wrapperIjLb1EEEEEvT_jjPNSB_10value_typeET0_
	.globl	_ZN7rocprim17ROCPRIM_400000_NS6detail30init_device_scan_by_key_kernelINS1_19lookback_scan_stateINS0_5tupleIJ11FixedVectorIiLj8EEbEEELb0ELb0EEENS1_16block_id_wrapperIjLb1EEEEEvT_jjPNSB_10value_typeET0_
	.p2align	8
	.type	_ZN7rocprim17ROCPRIM_400000_NS6detail30init_device_scan_by_key_kernelINS1_19lookback_scan_stateINS0_5tupleIJ11FixedVectorIiLj8EEbEEELb0ELb0EEENS1_16block_id_wrapperIjLb1EEEEEvT_jjPNSB_10value_typeET0_,@function
_ZN7rocprim17ROCPRIM_400000_NS6detail30init_device_scan_by_key_kernelINS1_19lookback_scan_stateINS0_5tupleIJ11FixedVectorIiLj8EEbEEELb0ELb0EEENS1_16block_id_wrapperIjLb1EEEEEvT_jjPNSB_10value_typeET0_: ; @_ZN7rocprim17ROCPRIM_400000_NS6detail30init_device_scan_by_key_kernelINS1_19lookback_scan_stateINS0_5tupleIJ11FixedVectorIiLj8EEbEEELb0ELb0EEENS1_16block_id_wrapperIjLb1EEEEEvT_jjPNSB_10value_typeET0_
; %bb.0:
	s_load_dword s6, s[4:5], 0x3c
	s_load_dwordx8 s[12:19], s[4:5], 0x10
	s_add_u32 s0, s0, s9
	s_addc_u32 s1, s1, 0
	s_waitcnt lgkmcnt(0)
	s_and_b32 s6, s6, 0xffff
	s_mul_i32 s8, s8, s6
	s_cmp_eq_u64 s[16:17], 0
	v_add_u32_e32 v0, s8, v0
	s_cbranch_scc1 .LBB2147_8
; %bb.1:
	s_cmp_lt_u32 s15, s14
	s_cselect_b32 s6, s15, 0
	s_mov_b32 s10, 0
	v_cmp_eq_u32_e32 vcc, s6, v0
	s_and_saveexec_b64 s[8:9], vcc
	s_cbranch_execz .LBB2147_7
; %bb.2:
	s_load_dwordx4 s[4:7], s[4:5], 0x0
	v_mov_b32_e32 v1, 0
	v_mov_b32_e32 v2, 0
	buffer_store_dword v1, off, s[0:3], 0 offset:28
	buffer_store_dword v1, off, s[0:3], 0 offset:24
	;; [unrolled: 1-line block ×7, first 2 shown]
	buffer_store_dword v1, off, s[0:3], 0
	buffer_store_dword v1, off, s[0:3], 0 offset:32
.LBB2147_3:                             ; =>This Inner Loop Header: Depth=1
	v_add_u32_e32 v3, s10, v2
	s_add_i32 s10, s10, 8
	s_cmp_lg_u32 s10, 32
	buffer_store_dword v1, v3, s[0:3], 0 offen offset:4
	buffer_store_dword v1, v3, s[0:3], 0 offen
	s_cbranch_scc1 .LBB2147_3
; %bb.4:
	v_mov_b32_e32 v1, 0
	s_add_i32 s15, s15, 64
	buffer_store_byte v1, off, s[0:3], 0 offset:32
	v_mov_b32_e32 v2, s15
	global_load_ubyte v2, v2, s[12:13] glc
	s_add_u32 s10, s12, s15
	s_addc_u32 s11, s13, 0
	s_waitcnt vmcnt(0)
	v_cmp_ne_u16_e32 vcc, 0, v2
	v_readfirstlane_b32 s20, v2
	s_cbranch_vccnz .LBB2147_6
.LBB2147_5:                             ; =>This Inner Loop Header: Depth=1
	global_load_ubyte v2, v1, s[10:11] glc
	s_waitcnt vmcnt(0)
	v_cmp_eq_u16_e32 vcc, 0, v2
	v_readfirstlane_b32 s20, v2
	s_cbranch_vccnz .LBB2147_5
.LBB2147_6:
	s_and_b32 s10, 0xffff, s20
	s_cmp_eq_u32 s10, 1
	s_waitcnt lgkmcnt(0)
	s_cselect_b32 s5, s5, s7
	s_cselect_b32 s4, s4, s6
	s_mul_i32 s7, s15, 36
	s_mul_hi_u32 s6, s15, 36
	s_add_u32 s4, s4, s7
	s_addc_u32 s5, s5, s6
	v_mov_b32_e32 v1, 0
	buffer_wbinvl1_vol
	global_load_dwordx4 v[2:5], v1, s[4:5]
	global_load_dwordx4 v[6:9], v1, s[4:5] offset:16
	global_load_ubyte v10, v1, s[4:5] offset:32
	s_waitcnt vmcnt(2)
	global_store_dwordx4 v1, v[2:5], s[16:17]
	s_waitcnt vmcnt(2)
	global_store_dwordx4 v1, v[6:9], s[16:17] offset:16
	s_waitcnt vmcnt(2)
	global_store_byte v1, v10, s[16:17] offset:32
.LBB2147_7:
	s_or_b64 exec, exec, s[8:9]
.LBB2147_8:
	v_cmp_eq_u32_e32 vcc, 0, v0
	s_and_saveexec_b64 s[4:5], vcc
	s_cbranch_execnz .LBB2147_12
; %bb.9:
	s_or_b64 exec, exec, s[4:5]
	v_cmp_gt_u32_e32 vcc, s14, v0
	s_and_saveexec_b64 s[4:5], vcc
	s_cbranch_execnz .LBB2147_13
.LBB2147_10:
	s_or_b64 exec, exec, s[4:5]
	v_cmp_gt_u32_e32 vcc, 64, v0
	s_and_saveexec_b64 s[4:5], vcc
	s_cbranch_execnz .LBB2147_14
.LBB2147_11:
	s_endpgm
.LBB2147_12:
	v_mov_b32_e32 v1, 0
	global_store_dword v1, v1, s[18:19]
	s_or_b64 exec, exec, s[4:5]
	v_cmp_gt_u32_e32 vcc, s14, v0
	s_and_saveexec_b64 s[4:5], vcc
	s_cbranch_execz .LBB2147_10
.LBB2147_13:
	v_add_u32_e32 v1, 64, v0
	v_mov_b32_e32 v2, 0
	global_store_byte v1, v2, s[12:13]
	s_or_b64 exec, exec, s[4:5]
	v_cmp_gt_u32_e32 vcc, 64, v0
	s_and_saveexec_b64 s[4:5], vcc
	s_cbranch_execz .LBB2147_11
.LBB2147_14:
	v_mov_b32_e32 v1, 0xff
	global_store_byte v0, v1, s[12:13]
	s_endpgm
	.section	.rodata,"a",@progbits
	.p2align	6, 0x0
	.amdhsa_kernel _ZN7rocprim17ROCPRIM_400000_NS6detail30init_device_scan_by_key_kernelINS1_19lookback_scan_stateINS0_5tupleIJ11FixedVectorIiLj8EEbEEELb0ELb0EEENS1_16block_id_wrapperIjLb1EEEEEvT_jjPNSB_10value_typeET0_
		.amdhsa_group_segment_fixed_size 0
		.amdhsa_private_segment_fixed_size 40
		.amdhsa_kernarg_size 304
		.amdhsa_user_sgpr_count 8
		.amdhsa_user_sgpr_private_segment_buffer 1
		.amdhsa_user_sgpr_dispatch_ptr 0
		.amdhsa_user_sgpr_queue_ptr 0
		.amdhsa_user_sgpr_kernarg_segment_ptr 1
		.amdhsa_user_sgpr_dispatch_id 0
		.amdhsa_user_sgpr_flat_scratch_init 1
		.amdhsa_user_sgpr_kernarg_preload_length 0
		.amdhsa_user_sgpr_kernarg_preload_offset 0
		.amdhsa_user_sgpr_private_segment_size 0
		.amdhsa_uses_dynamic_stack 0
		.amdhsa_system_sgpr_private_segment_wavefront_offset 1
		.amdhsa_system_sgpr_workgroup_id_x 1
		.amdhsa_system_sgpr_workgroup_id_y 0
		.amdhsa_system_sgpr_workgroup_id_z 0
		.amdhsa_system_sgpr_workgroup_info 0
		.amdhsa_system_vgpr_workitem_id 0
		.amdhsa_next_free_vgpr 11
		.amdhsa_next_free_sgpr 21
		.amdhsa_accum_offset 12
		.amdhsa_reserve_vcc 1
		.amdhsa_reserve_flat_scratch 0
		.amdhsa_float_round_mode_32 0
		.amdhsa_float_round_mode_16_64 0
		.amdhsa_float_denorm_mode_32 3
		.amdhsa_float_denorm_mode_16_64 3
		.amdhsa_dx10_clamp 1
		.amdhsa_ieee_mode 1
		.amdhsa_fp16_overflow 0
		.amdhsa_tg_split 0
		.amdhsa_exception_fp_ieee_invalid_op 0
		.amdhsa_exception_fp_denorm_src 0
		.amdhsa_exception_fp_ieee_div_zero 0
		.amdhsa_exception_fp_ieee_overflow 0
		.amdhsa_exception_fp_ieee_underflow 0
		.amdhsa_exception_fp_ieee_inexact 0
		.amdhsa_exception_int_div_zero 0
	.end_amdhsa_kernel
	.section	.text._ZN7rocprim17ROCPRIM_400000_NS6detail30init_device_scan_by_key_kernelINS1_19lookback_scan_stateINS0_5tupleIJ11FixedVectorIiLj8EEbEEELb0ELb0EEENS1_16block_id_wrapperIjLb1EEEEEvT_jjPNSB_10value_typeET0_,"axG",@progbits,_ZN7rocprim17ROCPRIM_400000_NS6detail30init_device_scan_by_key_kernelINS1_19lookback_scan_stateINS0_5tupleIJ11FixedVectorIiLj8EEbEEELb0ELb0EEENS1_16block_id_wrapperIjLb1EEEEEvT_jjPNSB_10value_typeET0_,comdat
.Lfunc_end2147:
	.size	_ZN7rocprim17ROCPRIM_400000_NS6detail30init_device_scan_by_key_kernelINS1_19lookback_scan_stateINS0_5tupleIJ11FixedVectorIiLj8EEbEEELb0ELb0EEENS1_16block_id_wrapperIjLb1EEEEEvT_jjPNSB_10value_typeET0_, .Lfunc_end2147-_ZN7rocprim17ROCPRIM_400000_NS6detail30init_device_scan_by_key_kernelINS1_19lookback_scan_stateINS0_5tupleIJ11FixedVectorIiLj8EEbEEELb0ELb0EEENS1_16block_id_wrapperIjLb1EEEEEvT_jjPNSB_10value_typeET0_
                                        ; -- End function
	.section	.AMDGPU.csdata,"",@progbits
; Kernel info:
; codeLenInByte = 516
; NumSgprs: 25
; NumVgprs: 11
; NumAgprs: 0
; TotalNumVgprs: 11
; ScratchSize: 40
; MemoryBound: 0
; FloatMode: 240
; IeeeMode: 1
; LDSByteSize: 0 bytes/workgroup (compile time only)
; SGPRBlocks: 3
; VGPRBlocks: 1
; NumSGPRsForWavesPerEU: 25
; NumVGPRsForWavesPerEU: 11
; AccumOffset: 12
; Occupancy: 8
; WaveLimiterHint : 0
; COMPUTE_PGM_RSRC2:SCRATCH_EN: 1
; COMPUTE_PGM_RSRC2:USER_SGPR: 8
; COMPUTE_PGM_RSRC2:TRAP_HANDLER: 0
; COMPUTE_PGM_RSRC2:TGID_X_EN: 1
; COMPUTE_PGM_RSRC2:TGID_Y_EN: 0
; COMPUTE_PGM_RSRC2:TGID_Z_EN: 0
; COMPUTE_PGM_RSRC2:TIDIG_COMP_CNT: 0
; COMPUTE_PGM_RSRC3_GFX90A:ACCUM_OFFSET: 2
; COMPUTE_PGM_RSRC3_GFX90A:TG_SPLIT: 0
	.section	.text._ZN7rocprim17ROCPRIM_400000_NS6detail17trampoline_kernelINS0_14default_configENS1_27scan_by_key_config_selectorIj11FixedVectorIiLj8EEEEZZNS1_16scan_by_key_implILNS1_25lookback_scan_determinismE0ELb0ES3_N6thrust23THRUST_200600_302600_NS6detail15normal_iteratorINSB_10device_ptrIjEEEENSD_INSE_IS6_EEEESI_S6_NSB_4plusIvEENSB_8equal_toIvEES6_EE10hipError_tPvRmT2_T3_T4_T5_mT6_T7_P12ihipStream_tbENKUlT_T0_E_clISt17integral_constantIbLb0EES12_IbLb1EEEEDaSY_SZ_EUlSY_E_NS1_11comp_targetILNS1_3genE0ELNS1_11target_archE4294967295ELNS1_3gpuE0ELNS1_3repE0EEENS1_30default_config_static_selectorELNS0_4arch9wavefront6targetE1EEEvT1_,"axG",@progbits,_ZN7rocprim17ROCPRIM_400000_NS6detail17trampoline_kernelINS0_14default_configENS1_27scan_by_key_config_selectorIj11FixedVectorIiLj8EEEEZZNS1_16scan_by_key_implILNS1_25lookback_scan_determinismE0ELb0ES3_N6thrust23THRUST_200600_302600_NS6detail15normal_iteratorINSB_10device_ptrIjEEEENSD_INSE_IS6_EEEESI_S6_NSB_4plusIvEENSB_8equal_toIvEES6_EE10hipError_tPvRmT2_T3_T4_T5_mT6_T7_P12ihipStream_tbENKUlT_T0_E_clISt17integral_constantIbLb0EES12_IbLb1EEEEDaSY_SZ_EUlSY_E_NS1_11comp_targetILNS1_3genE0ELNS1_11target_archE4294967295ELNS1_3gpuE0ELNS1_3repE0EEENS1_30default_config_static_selectorELNS0_4arch9wavefront6targetE1EEEvT1_,comdat
	.protected	_ZN7rocprim17ROCPRIM_400000_NS6detail17trampoline_kernelINS0_14default_configENS1_27scan_by_key_config_selectorIj11FixedVectorIiLj8EEEEZZNS1_16scan_by_key_implILNS1_25lookback_scan_determinismE0ELb0ES3_N6thrust23THRUST_200600_302600_NS6detail15normal_iteratorINSB_10device_ptrIjEEEENSD_INSE_IS6_EEEESI_S6_NSB_4plusIvEENSB_8equal_toIvEES6_EE10hipError_tPvRmT2_T3_T4_T5_mT6_T7_P12ihipStream_tbENKUlT_T0_E_clISt17integral_constantIbLb0EES12_IbLb1EEEEDaSY_SZ_EUlSY_E_NS1_11comp_targetILNS1_3genE0ELNS1_11target_archE4294967295ELNS1_3gpuE0ELNS1_3repE0EEENS1_30default_config_static_selectorELNS0_4arch9wavefront6targetE1EEEvT1_ ; -- Begin function _ZN7rocprim17ROCPRIM_400000_NS6detail17trampoline_kernelINS0_14default_configENS1_27scan_by_key_config_selectorIj11FixedVectorIiLj8EEEEZZNS1_16scan_by_key_implILNS1_25lookback_scan_determinismE0ELb0ES3_N6thrust23THRUST_200600_302600_NS6detail15normal_iteratorINSB_10device_ptrIjEEEENSD_INSE_IS6_EEEESI_S6_NSB_4plusIvEENSB_8equal_toIvEES6_EE10hipError_tPvRmT2_T3_T4_T5_mT6_T7_P12ihipStream_tbENKUlT_T0_E_clISt17integral_constantIbLb0EES12_IbLb1EEEEDaSY_SZ_EUlSY_E_NS1_11comp_targetILNS1_3genE0ELNS1_11target_archE4294967295ELNS1_3gpuE0ELNS1_3repE0EEENS1_30default_config_static_selectorELNS0_4arch9wavefront6targetE1EEEvT1_
	.globl	_ZN7rocprim17ROCPRIM_400000_NS6detail17trampoline_kernelINS0_14default_configENS1_27scan_by_key_config_selectorIj11FixedVectorIiLj8EEEEZZNS1_16scan_by_key_implILNS1_25lookback_scan_determinismE0ELb0ES3_N6thrust23THRUST_200600_302600_NS6detail15normal_iteratorINSB_10device_ptrIjEEEENSD_INSE_IS6_EEEESI_S6_NSB_4plusIvEENSB_8equal_toIvEES6_EE10hipError_tPvRmT2_T3_T4_T5_mT6_T7_P12ihipStream_tbENKUlT_T0_E_clISt17integral_constantIbLb0EES12_IbLb1EEEEDaSY_SZ_EUlSY_E_NS1_11comp_targetILNS1_3genE0ELNS1_11target_archE4294967295ELNS1_3gpuE0ELNS1_3repE0EEENS1_30default_config_static_selectorELNS0_4arch9wavefront6targetE1EEEvT1_
	.p2align	8
	.type	_ZN7rocprim17ROCPRIM_400000_NS6detail17trampoline_kernelINS0_14default_configENS1_27scan_by_key_config_selectorIj11FixedVectorIiLj8EEEEZZNS1_16scan_by_key_implILNS1_25lookback_scan_determinismE0ELb0ES3_N6thrust23THRUST_200600_302600_NS6detail15normal_iteratorINSB_10device_ptrIjEEEENSD_INSE_IS6_EEEESI_S6_NSB_4plusIvEENSB_8equal_toIvEES6_EE10hipError_tPvRmT2_T3_T4_T5_mT6_T7_P12ihipStream_tbENKUlT_T0_E_clISt17integral_constantIbLb0EES12_IbLb1EEEEDaSY_SZ_EUlSY_E_NS1_11comp_targetILNS1_3genE0ELNS1_11target_archE4294967295ELNS1_3gpuE0ELNS1_3repE0EEENS1_30default_config_static_selectorELNS0_4arch9wavefront6targetE1EEEvT1_,@function
_ZN7rocprim17ROCPRIM_400000_NS6detail17trampoline_kernelINS0_14default_configENS1_27scan_by_key_config_selectorIj11FixedVectorIiLj8EEEEZZNS1_16scan_by_key_implILNS1_25lookback_scan_determinismE0ELb0ES3_N6thrust23THRUST_200600_302600_NS6detail15normal_iteratorINSB_10device_ptrIjEEEENSD_INSE_IS6_EEEESI_S6_NSB_4plusIvEENSB_8equal_toIvEES6_EE10hipError_tPvRmT2_T3_T4_T5_mT6_T7_P12ihipStream_tbENKUlT_T0_E_clISt17integral_constantIbLb0EES12_IbLb1EEEEDaSY_SZ_EUlSY_E_NS1_11comp_targetILNS1_3genE0ELNS1_11target_archE4294967295ELNS1_3gpuE0ELNS1_3repE0EEENS1_30default_config_static_selectorELNS0_4arch9wavefront6targetE1EEEvT1_: ; @_ZN7rocprim17ROCPRIM_400000_NS6detail17trampoline_kernelINS0_14default_configENS1_27scan_by_key_config_selectorIj11FixedVectorIiLj8EEEEZZNS1_16scan_by_key_implILNS1_25lookback_scan_determinismE0ELb0ES3_N6thrust23THRUST_200600_302600_NS6detail15normal_iteratorINSB_10device_ptrIjEEEENSD_INSE_IS6_EEEESI_S6_NSB_4plusIvEENSB_8equal_toIvEES6_EE10hipError_tPvRmT2_T3_T4_T5_mT6_T7_P12ihipStream_tbENKUlT_T0_E_clISt17integral_constantIbLb0EES12_IbLb1EEEEDaSY_SZ_EUlSY_E_NS1_11comp_targetILNS1_3genE0ELNS1_11target_archE4294967295ELNS1_3gpuE0ELNS1_3repE0EEENS1_30default_config_static_selectorELNS0_4arch9wavefront6targetE1EEEvT1_
; %bb.0:
	.section	.rodata,"a",@progbits
	.p2align	6, 0x0
	.amdhsa_kernel _ZN7rocprim17ROCPRIM_400000_NS6detail17trampoline_kernelINS0_14default_configENS1_27scan_by_key_config_selectorIj11FixedVectorIiLj8EEEEZZNS1_16scan_by_key_implILNS1_25lookback_scan_determinismE0ELb0ES3_N6thrust23THRUST_200600_302600_NS6detail15normal_iteratorINSB_10device_ptrIjEEEENSD_INSE_IS6_EEEESI_S6_NSB_4plusIvEENSB_8equal_toIvEES6_EE10hipError_tPvRmT2_T3_T4_T5_mT6_T7_P12ihipStream_tbENKUlT_T0_E_clISt17integral_constantIbLb0EES12_IbLb1EEEEDaSY_SZ_EUlSY_E_NS1_11comp_targetILNS1_3genE0ELNS1_11target_archE4294967295ELNS1_3gpuE0ELNS1_3repE0EEENS1_30default_config_static_selectorELNS0_4arch9wavefront6targetE1EEEvT1_
		.amdhsa_group_segment_fixed_size 0
		.amdhsa_private_segment_fixed_size 0
		.amdhsa_kernarg_size 160
		.amdhsa_user_sgpr_count 6
		.amdhsa_user_sgpr_private_segment_buffer 1
		.amdhsa_user_sgpr_dispatch_ptr 0
		.amdhsa_user_sgpr_queue_ptr 0
		.amdhsa_user_sgpr_kernarg_segment_ptr 1
		.amdhsa_user_sgpr_dispatch_id 0
		.amdhsa_user_sgpr_flat_scratch_init 0
		.amdhsa_user_sgpr_kernarg_preload_length 0
		.amdhsa_user_sgpr_kernarg_preload_offset 0
		.amdhsa_user_sgpr_private_segment_size 0
		.amdhsa_uses_dynamic_stack 0
		.amdhsa_system_sgpr_private_segment_wavefront_offset 0
		.amdhsa_system_sgpr_workgroup_id_x 1
		.amdhsa_system_sgpr_workgroup_id_y 0
		.amdhsa_system_sgpr_workgroup_id_z 0
		.amdhsa_system_sgpr_workgroup_info 0
		.amdhsa_system_vgpr_workitem_id 0
		.amdhsa_next_free_vgpr 1
		.amdhsa_next_free_sgpr 0
		.amdhsa_accum_offset 4
		.amdhsa_reserve_vcc 0
		.amdhsa_reserve_flat_scratch 0
		.amdhsa_float_round_mode_32 0
		.amdhsa_float_round_mode_16_64 0
		.amdhsa_float_denorm_mode_32 3
		.amdhsa_float_denorm_mode_16_64 3
		.amdhsa_dx10_clamp 1
		.amdhsa_ieee_mode 1
		.amdhsa_fp16_overflow 0
		.amdhsa_tg_split 0
		.amdhsa_exception_fp_ieee_invalid_op 0
		.amdhsa_exception_fp_denorm_src 0
		.amdhsa_exception_fp_ieee_div_zero 0
		.amdhsa_exception_fp_ieee_overflow 0
		.amdhsa_exception_fp_ieee_underflow 0
		.amdhsa_exception_fp_ieee_inexact 0
		.amdhsa_exception_int_div_zero 0
	.end_amdhsa_kernel
	.section	.text._ZN7rocprim17ROCPRIM_400000_NS6detail17trampoline_kernelINS0_14default_configENS1_27scan_by_key_config_selectorIj11FixedVectorIiLj8EEEEZZNS1_16scan_by_key_implILNS1_25lookback_scan_determinismE0ELb0ES3_N6thrust23THRUST_200600_302600_NS6detail15normal_iteratorINSB_10device_ptrIjEEEENSD_INSE_IS6_EEEESI_S6_NSB_4plusIvEENSB_8equal_toIvEES6_EE10hipError_tPvRmT2_T3_T4_T5_mT6_T7_P12ihipStream_tbENKUlT_T0_E_clISt17integral_constantIbLb0EES12_IbLb1EEEEDaSY_SZ_EUlSY_E_NS1_11comp_targetILNS1_3genE0ELNS1_11target_archE4294967295ELNS1_3gpuE0ELNS1_3repE0EEENS1_30default_config_static_selectorELNS0_4arch9wavefront6targetE1EEEvT1_,"axG",@progbits,_ZN7rocprim17ROCPRIM_400000_NS6detail17trampoline_kernelINS0_14default_configENS1_27scan_by_key_config_selectorIj11FixedVectorIiLj8EEEEZZNS1_16scan_by_key_implILNS1_25lookback_scan_determinismE0ELb0ES3_N6thrust23THRUST_200600_302600_NS6detail15normal_iteratorINSB_10device_ptrIjEEEENSD_INSE_IS6_EEEESI_S6_NSB_4plusIvEENSB_8equal_toIvEES6_EE10hipError_tPvRmT2_T3_T4_T5_mT6_T7_P12ihipStream_tbENKUlT_T0_E_clISt17integral_constantIbLb0EES12_IbLb1EEEEDaSY_SZ_EUlSY_E_NS1_11comp_targetILNS1_3genE0ELNS1_11target_archE4294967295ELNS1_3gpuE0ELNS1_3repE0EEENS1_30default_config_static_selectorELNS0_4arch9wavefront6targetE1EEEvT1_,comdat
.Lfunc_end2148:
	.size	_ZN7rocprim17ROCPRIM_400000_NS6detail17trampoline_kernelINS0_14default_configENS1_27scan_by_key_config_selectorIj11FixedVectorIiLj8EEEEZZNS1_16scan_by_key_implILNS1_25lookback_scan_determinismE0ELb0ES3_N6thrust23THRUST_200600_302600_NS6detail15normal_iteratorINSB_10device_ptrIjEEEENSD_INSE_IS6_EEEESI_S6_NSB_4plusIvEENSB_8equal_toIvEES6_EE10hipError_tPvRmT2_T3_T4_T5_mT6_T7_P12ihipStream_tbENKUlT_T0_E_clISt17integral_constantIbLb0EES12_IbLb1EEEEDaSY_SZ_EUlSY_E_NS1_11comp_targetILNS1_3genE0ELNS1_11target_archE4294967295ELNS1_3gpuE0ELNS1_3repE0EEENS1_30default_config_static_selectorELNS0_4arch9wavefront6targetE1EEEvT1_, .Lfunc_end2148-_ZN7rocprim17ROCPRIM_400000_NS6detail17trampoline_kernelINS0_14default_configENS1_27scan_by_key_config_selectorIj11FixedVectorIiLj8EEEEZZNS1_16scan_by_key_implILNS1_25lookback_scan_determinismE0ELb0ES3_N6thrust23THRUST_200600_302600_NS6detail15normal_iteratorINSB_10device_ptrIjEEEENSD_INSE_IS6_EEEESI_S6_NSB_4plusIvEENSB_8equal_toIvEES6_EE10hipError_tPvRmT2_T3_T4_T5_mT6_T7_P12ihipStream_tbENKUlT_T0_E_clISt17integral_constantIbLb0EES12_IbLb1EEEEDaSY_SZ_EUlSY_E_NS1_11comp_targetILNS1_3genE0ELNS1_11target_archE4294967295ELNS1_3gpuE0ELNS1_3repE0EEENS1_30default_config_static_selectorELNS0_4arch9wavefront6targetE1EEEvT1_
                                        ; -- End function
	.section	.AMDGPU.csdata,"",@progbits
; Kernel info:
; codeLenInByte = 0
; NumSgprs: 4
; NumVgprs: 0
; NumAgprs: 0
; TotalNumVgprs: 0
; ScratchSize: 0
; MemoryBound: 0
; FloatMode: 240
; IeeeMode: 1
; LDSByteSize: 0 bytes/workgroup (compile time only)
; SGPRBlocks: 0
; VGPRBlocks: 0
; NumSGPRsForWavesPerEU: 4
; NumVGPRsForWavesPerEU: 1
; AccumOffset: 4
; Occupancy: 8
; WaveLimiterHint : 0
; COMPUTE_PGM_RSRC2:SCRATCH_EN: 0
; COMPUTE_PGM_RSRC2:USER_SGPR: 6
; COMPUTE_PGM_RSRC2:TRAP_HANDLER: 0
; COMPUTE_PGM_RSRC2:TGID_X_EN: 1
; COMPUTE_PGM_RSRC2:TGID_Y_EN: 0
; COMPUTE_PGM_RSRC2:TGID_Z_EN: 0
; COMPUTE_PGM_RSRC2:TIDIG_COMP_CNT: 0
; COMPUTE_PGM_RSRC3_GFX90A:ACCUM_OFFSET: 0
; COMPUTE_PGM_RSRC3_GFX90A:TG_SPLIT: 0
	.section	.text._ZN7rocprim17ROCPRIM_400000_NS6detail17trampoline_kernelINS0_14default_configENS1_27scan_by_key_config_selectorIj11FixedVectorIiLj8EEEEZZNS1_16scan_by_key_implILNS1_25lookback_scan_determinismE0ELb0ES3_N6thrust23THRUST_200600_302600_NS6detail15normal_iteratorINSB_10device_ptrIjEEEENSD_INSE_IS6_EEEESI_S6_NSB_4plusIvEENSB_8equal_toIvEES6_EE10hipError_tPvRmT2_T3_T4_T5_mT6_T7_P12ihipStream_tbENKUlT_T0_E_clISt17integral_constantIbLb0EES12_IbLb1EEEEDaSY_SZ_EUlSY_E_NS1_11comp_targetILNS1_3genE10ELNS1_11target_archE1201ELNS1_3gpuE5ELNS1_3repE0EEENS1_30default_config_static_selectorELNS0_4arch9wavefront6targetE1EEEvT1_,"axG",@progbits,_ZN7rocprim17ROCPRIM_400000_NS6detail17trampoline_kernelINS0_14default_configENS1_27scan_by_key_config_selectorIj11FixedVectorIiLj8EEEEZZNS1_16scan_by_key_implILNS1_25lookback_scan_determinismE0ELb0ES3_N6thrust23THRUST_200600_302600_NS6detail15normal_iteratorINSB_10device_ptrIjEEEENSD_INSE_IS6_EEEESI_S6_NSB_4plusIvEENSB_8equal_toIvEES6_EE10hipError_tPvRmT2_T3_T4_T5_mT6_T7_P12ihipStream_tbENKUlT_T0_E_clISt17integral_constantIbLb0EES12_IbLb1EEEEDaSY_SZ_EUlSY_E_NS1_11comp_targetILNS1_3genE10ELNS1_11target_archE1201ELNS1_3gpuE5ELNS1_3repE0EEENS1_30default_config_static_selectorELNS0_4arch9wavefront6targetE1EEEvT1_,comdat
	.protected	_ZN7rocprim17ROCPRIM_400000_NS6detail17trampoline_kernelINS0_14default_configENS1_27scan_by_key_config_selectorIj11FixedVectorIiLj8EEEEZZNS1_16scan_by_key_implILNS1_25lookback_scan_determinismE0ELb0ES3_N6thrust23THRUST_200600_302600_NS6detail15normal_iteratorINSB_10device_ptrIjEEEENSD_INSE_IS6_EEEESI_S6_NSB_4plusIvEENSB_8equal_toIvEES6_EE10hipError_tPvRmT2_T3_T4_T5_mT6_T7_P12ihipStream_tbENKUlT_T0_E_clISt17integral_constantIbLb0EES12_IbLb1EEEEDaSY_SZ_EUlSY_E_NS1_11comp_targetILNS1_3genE10ELNS1_11target_archE1201ELNS1_3gpuE5ELNS1_3repE0EEENS1_30default_config_static_selectorELNS0_4arch9wavefront6targetE1EEEvT1_ ; -- Begin function _ZN7rocprim17ROCPRIM_400000_NS6detail17trampoline_kernelINS0_14default_configENS1_27scan_by_key_config_selectorIj11FixedVectorIiLj8EEEEZZNS1_16scan_by_key_implILNS1_25lookback_scan_determinismE0ELb0ES3_N6thrust23THRUST_200600_302600_NS6detail15normal_iteratorINSB_10device_ptrIjEEEENSD_INSE_IS6_EEEESI_S6_NSB_4plusIvEENSB_8equal_toIvEES6_EE10hipError_tPvRmT2_T3_T4_T5_mT6_T7_P12ihipStream_tbENKUlT_T0_E_clISt17integral_constantIbLb0EES12_IbLb1EEEEDaSY_SZ_EUlSY_E_NS1_11comp_targetILNS1_3genE10ELNS1_11target_archE1201ELNS1_3gpuE5ELNS1_3repE0EEENS1_30default_config_static_selectorELNS0_4arch9wavefront6targetE1EEEvT1_
	.globl	_ZN7rocprim17ROCPRIM_400000_NS6detail17trampoline_kernelINS0_14default_configENS1_27scan_by_key_config_selectorIj11FixedVectorIiLj8EEEEZZNS1_16scan_by_key_implILNS1_25lookback_scan_determinismE0ELb0ES3_N6thrust23THRUST_200600_302600_NS6detail15normal_iteratorINSB_10device_ptrIjEEEENSD_INSE_IS6_EEEESI_S6_NSB_4plusIvEENSB_8equal_toIvEES6_EE10hipError_tPvRmT2_T3_T4_T5_mT6_T7_P12ihipStream_tbENKUlT_T0_E_clISt17integral_constantIbLb0EES12_IbLb1EEEEDaSY_SZ_EUlSY_E_NS1_11comp_targetILNS1_3genE10ELNS1_11target_archE1201ELNS1_3gpuE5ELNS1_3repE0EEENS1_30default_config_static_selectorELNS0_4arch9wavefront6targetE1EEEvT1_
	.p2align	8
	.type	_ZN7rocprim17ROCPRIM_400000_NS6detail17trampoline_kernelINS0_14default_configENS1_27scan_by_key_config_selectorIj11FixedVectorIiLj8EEEEZZNS1_16scan_by_key_implILNS1_25lookback_scan_determinismE0ELb0ES3_N6thrust23THRUST_200600_302600_NS6detail15normal_iteratorINSB_10device_ptrIjEEEENSD_INSE_IS6_EEEESI_S6_NSB_4plusIvEENSB_8equal_toIvEES6_EE10hipError_tPvRmT2_T3_T4_T5_mT6_T7_P12ihipStream_tbENKUlT_T0_E_clISt17integral_constantIbLb0EES12_IbLb1EEEEDaSY_SZ_EUlSY_E_NS1_11comp_targetILNS1_3genE10ELNS1_11target_archE1201ELNS1_3gpuE5ELNS1_3repE0EEENS1_30default_config_static_selectorELNS0_4arch9wavefront6targetE1EEEvT1_,@function
_ZN7rocprim17ROCPRIM_400000_NS6detail17trampoline_kernelINS0_14default_configENS1_27scan_by_key_config_selectorIj11FixedVectorIiLj8EEEEZZNS1_16scan_by_key_implILNS1_25lookback_scan_determinismE0ELb0ES3_N6thrust23THRUST_200600_302600_NS6detail15normal_iteratorINSB_10device_ptrIjEEEENSD_INSE_IS6_EEEESI_S6_NSB_4plusIvEENSB_8equal_toIvEES6_EE10hipError_tPvRmT2_T3_T4_T5_mT6_T7_P12ihipStream_tbENKUlT_T0_E_clISt17integral_constantIbLb0EES12_IbLb1EEEEDaSY_SZ_EUlSY_E_NS1_11comp_targetILNS1_3genE10ELNS1_11target_archE1201ELNS1_3gpuE5ELNS1_3repE0EEENS1_30default_config_static_selectorELNS0_4arch9wavefront6targetE1EEEvT1_: ; @_ZN7rocprim17ROCPRIM_400000_NS6detail17trampoline_kernelINS0_14default_configENS1_27scan_by_key_config_selectorIj11FixedVectorIiLj8EEEEZZNS1_16scan_by_key_implILNS1_25lookback_scan_determinismE0ELb0ES3_N6thrust23THRUST_200600_302600_NS6detail15normal_iteratorINSB_10device_ptrIjEEEENSD_INSE_IS6_EEEESI_S6_NSB_4plusIvEENSB_8equal_toIvEES6_EE10hipError_tPvRmT2_T3_T4_T5_mT6_T7_P12ihipStream_tbENKUlT_T0_E_clISt17integral_constantIbLb0EES12_IbLb1EEEEDaSY_SZ_EUlSY_E_NS1_11comp_targetILNS1_3genE10ELNS1_11target_archE1201ELNS1_3gpuE5ELNS1_3repE0EEENS1_30default_config_static_selectorELNS0_4arch9wavefront6targetE1EEEvT1_
; %bb.0:
	.section	.rodata,"a",@progbits
	.p2align	6, 0x0
	.amdhsa_kernel _ZN7rocprim17ROCPRIM_400000_NS6detail17trampoline_kernelINS0_14default_configENS1_27scan_by_key_config_selectorIj11FixedVectorIiLj8EEEEZZNS1_16scan_by_key_implILNS1_25lookback_scan_determinismE0ELb0ES3_N6thrust23THRUST_200600_302600_NS6detail15normal_iteratorINSB_10device_ptrIjEEEENSD_INSE_IS6_EEEESI_S6_NSB_4plusIvEENSB_8equal_toIvEES6_EE10hipError_tPvRmT2_T3_T4_T5_mT6_T7_P12ihipStream_tbENKUlT_T0_E_clISt17integral_constantIbLb0EES12_IbLb1EEEEDaSY_SZ_EUlSY_E_NS1_11comp_targetILNS1_3genE10ELNS1_11target_archE1201ELNS1_3gpuE5ELNS1_3repE0EEENS1_30default_config_static_selectorELNS0_4arch9wavefront6targetE1EEEvT1_
		.amdhsa_group_segment_fixed_size 0
		.amdhsa_private_segment_fixed_size 0
		.amdhsa_kernarg_size 160
		.amdhsa_user_sgpr_count 6
		.amdhsa_user_sgpr_private_segment_buffer 1
		.amdhsa_user_sgpr_dispatch_ptr 0
		.amdhsa_user_sgpr_queue_ptr 0
		.amdhsa_user_sgpr_kernarg_segment_ptr 1
		.amdhsa_user_sgpr_dispatch_id 0
		.amdhsa_user_sgpr_flat_scratch_init 0
		.amdhsa_user_sgpr_kernarg_preload_length 0
		.amdhsa_user_sgpr_kernarg_preload_offset 0
		.amdhsa_user_sgpr_private_segment_size 0
		.amdhsa_uses_dynamic_stack 0
		.amdhsa_system_sgpr_private_segment_wavefront_offset 0
		.amdhsa_system_sgpr_workgroup_id_x 1
		.amdhsa_system_sgpr_workgroup_id_y 0
		.amdhsa_system_sgpr_workgroup_id_z 0
		.amdhsa_system_sgpr_workgroup_info 0
		.amdhsa_system_vgpr_workitem_id 0
		.amdhsa_next_free_vgpr 1
		.amdhsa_next_free_sgpr 0
		.amdhsa_accum_offset 4
		.amdhsa_reserve_vcc 0
		.amdhsa_reserve_flat_scratch 0
		.amdhsa_float_round_mode_32 0
		.amdhsa_float_round_mode_16_64 0
		.amdhsa_float_denorm_mode_32 3
		.amdhsa_float_denorm_mode_16_64 3
		.amdhsa_dx10_clamp 1
		.amdhsa_ieee_mode 1
		.amdhsa_fp16_overflow 0
		.amdhsa_tg_split 0
		.amdhsa_exception_fp_ieee_invalid_op 0
		.amdhsa_exception_fp_denorm_src 0
		.amdhsa_exception_fp_ieee_div_zero 0
		.amdhsa_exception_fp_ieee_overflow 0
		.amdhsa_exception_fp_ieee_underflow 0
		.amdhsa_exception_fp_ieee_inexact 0
		.amdhsa_exception_int_div_zero 0
	.end_amdhsa_kernel
	.section	.text._ZN7rocprim17ROCPRIM_400000_NS6detail17trampoline_kernelINS0_14default_configENS1_27scan_by_key_config_selectorIj11FixedVectorIiLj8EEEEZZNS1_16scan_by_key_implILNS1_25lookback_scan_determinismE0ELb0ES3_N6thrust23THRUST_200600_302600_NS6detail15normal_iteratorINSB_10device_ptrIjEEEENSD_INSE_IS6_EEEESI_S6_NSB_4plusIvEENSB_8equal_toIvEES6_EE10hipError_tPvRmT2_T3_T4_T5_mT6_T7_P12ihipStream_tbENKUlT_T0_E_clISt17integral_constantIbLb0EES12_IbLb1EEEEDaSY_SZ_EUlSY_E_NS1_11comp_targetILNS1_3genE10ELNS1_11target_archE1201ELNS1_3gpuE5ELNS1_3repE0EEENS1_30default_config_static_selectorELNS0_4arch9wavefront6targetE1EEEvT1_,"axG",@progbits,_ZN7rocprim17ROCPRIM_400000_NS6detail17trampoline_kernelINS0_14default_configENS1_27scan_by_key_config_selectorIj11FixedVectorIiLj8EEEEZZNS1_16scan_by_key_implILNS1_25lookback_scan_determinismE0ELb0ES3_N6thrust23THRUST_200600_302600_NS6detail15normal_iteratorINSB_10device_ptrIjEEEENSD_INSE_IS6_EEEESI_S6_NSB_4plusIvEENSB_8equal_toIvEES6_EE10hipError_tPvRmT2_T3_T4_T5_mT6_T7_P12ihipStream_tbENKUlT_T0_E_clISt17integral_constantIbLb0EES12_IbLb1EEEEDaSY_SZ_EUlSY_E_NS1_11comp_targetILNS1_3genE10ELNS1_11target_archE1201ELNS1_3gpuE5ELNS1_3repE0EEENS1_30default_config_static_selectorELNS0_4arch9wavefront6targetE1EEEvT1_,comdat
.Lfunc_end2149:
	.size	_ZN7rocprim17ROCPRIM_400000_NS6detail17trampoline_kernelINS0_14default_configENS1_27scan_by_key_config_selectorIj11FixedVectorIiLj8EEEEZZNS1_16scan_by_key_implILNS1_25lookback_scan_determinismE0ELb0ES3_N6thrust23THRUST_200600_302600_NS6detail15normal_iteratorINSB_10device_ptrIjEEEENSD_INSE_IS6_EEEESI_S6_NSB_4plusIvEENSB_8equal_toIvEES6_EE10hipError_tPvRmT2_T3_T4_T5_mT6_T7_P12ihipStream_tbENKUlT_T0_E_clISt17integral_constantIbLb0EES12_IbLb1EEEEDaSY_SZ_EUlSY_E_NS1_11comp_targetILNS1_3genE10ELNS1_11target_archE1201ELNS1_3gpuE5ELNS1_3repE0EEENS1_30default_config_static_selectorELNS0_4arch9wavefront6targetE1EEEvT1_, .Lfunc_end2149-_ZN7rocprim17ROCPRIM_400000_NS6detail17trampoline_kernelINS0_14default_configENS1_27scan_by_key_config_selectorIj11FixedVectorIiLj8EEEEZZNS1_16scan_by_key_implILNS1_25lookback_scan_determinismE0ELb0ES3_N6thrust23THRUST_200600_302600_NS6detail15normal_iteratorINSB_10device_ptrIjEEEENSD_INSE_IS6_EEEESI_S6_NSB_4plusIvEENSB_8equal_toIvEES6_EE10hipError_tPvRmT2_T3_T4_T5_mT6_T7_P12ihipStream_tbENKUlT_T0_E_clISt17integral_constantIbLb0EES12_IbLb1EEEEDaSY_SZ_EUlSY_E_NS1_11comp_targetILNS1_3genE10ELNS1_11target_archE1201ELNS1_3gpuE5ELNS1_3repE0EEENS1_30default_config_static_selectorELNS0_4arch9wavefront6targetE1EEEvT1_
                                        ; -- End function
	.section	.AMDGPU.csdata,"",@progbits
; Kernel info:
; codeLenInByte = 0
; NumSgprs: 4
; NumVgprs: 0
; NumAgprs: 0
; TotalNumVgprs: 0
; ScratchSize: 0
; MemoryBound: 0
; FloatMode: 240
; IeeeMode: 1
; LDSByteSize: 0 bytes/workgroup (compile time only)
; SGPRBlocks: 0
; VGPRBlocks: 0
; NumSGPRsForWavesPerEU: 4
; NumVGPRsForWavesPerEU: 1
; AccumOffset: 4
; Occupancy: 8
; WaveLimiterHint : 0
; COMPUTE_PGM_RSRC2:SCRATCH_EN: 0
; COMPUTE_PGM_RSRC2:USER_SGPR: 6
; COMPUTE_PGM_RSRC2:TRAP_HANDLER: 0
; COMPUTE_PGM_RSRC2:TGID_X_EN: 1
; COMPUTE_PGM_RSRC2:TGID_Y_EN: 0
; COMPUTE_PGM_RSRC2:TGID_Z_EN: 0
; COMPUTE_PGM_RSRC2:TIDIG_COMP_CNT: 0
; COMPUTE_PGM_RSRC3_GFX90A:ACCUM_OFFSET: 0
; COMPUTE_PGM_RSRC3_GFX90A:TG_SPLIT: 0
	.section	.text._ZN7rocprim17ROCPRIM_400000_NS6detail17trampoline_kernelINS0_14default_configENS1_27scan_by_key_config_selectorIj11FixedVectorIiLj8EEEEZZNS1_16scan_by_key_implILNS1_25lookback_scan_determinismE0ELb0ES3_N6thrust23THRUST_200600_302600_NS6detail15normal_iteratorINSB_10device_ptrIjEEEENSD_INSE_IS6_EEEESI_S6_NSB_4plusIvEENSB_8equal_toIvEES6_EE10hipError_tPvRmT2_T3_T4_T5_mT6_T7_P12ihipStream_tbENKUlT_T0_E_clISt17integral_constantIbLb0EES12_IbLb1EEEEDaSY_SZ_EUlSY_E_NS1_11comp_targetILNS1_3genE5ELNS1_11target_archE942ELNS1_3gpuE9ELNS1_3repE0EEENS1_30default_config_static_selectorELNS0_4arch9wavefront6targetE1EEEvT1_,"axG",@progbits,_ZN7rocprim17ROCPRIM_400000_NS6detail17trampoline_kernelINS0_14default_configENS1_27scan_by_key_config_selectorIj11FixedVectorIiLj8EEEEZZNS1_16scan_by_key_implILNS1_25lookback_scan_determinismE0ELb0ES3_N6thrust23THRUST_200600_302600_NS6detail15normal_iteratorINSB_10device_ptrIjEEEENSD_INSE_IS6_EEEESI_S6_NSB_4plusIvEENSB_8equal_toIvEES6_EE10hipError_tPvRmT2_T3_T4_T5_mT6_T7_P12ihipStream_tbENKUlT_T0_E_clISt17integral_constantIbLb0EES12_IbLb1EEEEDaSY_SZ_EUlSY_E_NS1_11comp_targetILNS1_3genE5ELNS1_11target_archE942ELNS1_3gpuE9ELNS1_3repE0EEENS1_30default_config_static_selectorELNS0_4arch9wavefront6targetE1EEEvT1_,comdat
	.protected	_ZN7rocprim17ROCPRIM_400000_NS6detail17trampoline_kernelINS0_14default_configENS1_27scan_by_key_config_selectorIj11FixedVectorIiLj8EEEEZZNS1_16scan_by_key_implILNS1_25lookback_scan_determinismE0ELb0ES3_N6thrust23THRUST_200600_302600_NS6detail15normal_iteratorINSB_10device_ptrIjEEEENSD_INSE_IS6_EEEESI_S6_NSB_4plusIvEENSB_8equal_toIvEES6_EE10hipError_tPvRmT2_T3_T4_T5_mT6_T7_P12ihipStream_tbENKUlT_T0_E_clISt17integral_constantIbLb0EES12_IbLb1EEEEDaSY_SZ_EUlSY_E_NS1_11comp_targetILNS1_3genE5ELNS1_11target_archE942ELNS1_3gpuE9ELNS1_3repE0EEENS1_30default_config_static_selectorELNS0_4arch9wavefront6targetE1EEEvT1_ ; -- Begin function _ZN7rocprim17ROCPRIM_400000_NS6detail17trampoline_kernelINS0_14default_configENS1_27scan_by_key_config_selectorIj11FixedVectorIiLj8EEEEZZNS1_16scan_by_key_implILNS1_25lookback_scan_determinismE0ELb0ES3_N6thrust23THRUST_200600_302600_NS6detail15normal_iteratorINSB_10device_ptrIjEEEENSD_INSE_IS6_EEEESI_S6_NSB_4plusIvEENSB_8equal_toIvEES6_EE10hipError_tPvRmT2_T3_T4_T5_mT6_T7_P12ihipStream_tbENKUlT_T0_E_clISt17integral_constantIbLb0EES12_IbLb1EEEEDaSY_SZ_EUlSY_E_NS1_11comp_targetILNS1_3genE5ELNS1_11target_archE942ELNS1_3gpuE9ELNS1_3repE0EEENS1_30default_config_static_selectorELNS0_4arch9wavefront6targetE1EEEvT1_
	.globl	_ZN7rocprim17ROCPRIM_400000_NS6detail17trampoline_kernelINS0_14default_configENS1_27scan_by_key_config_selectorIj11FixedVectorIiLj8EEEEZZNS1_16scan_by_key_implILNS1_25lookback_scan_determinismE0ELb0ES3_N6thrust23THRUST_200600_302600_NS6detail15normal_iteratorINSB_10device_ptrIjEEEENSD_INSE_IS6_EEEESI_S6_NSB_4plusIvEENSB_8equal_toIvEES6_EE10hipError_tPvRmT2_T3_T4_T5_mT6_T7_P12ihipStream_tbENKUlT_T0_E_clISt17integral_constantIbLb0EES12_IbLb1EEEEDaSY_SZ_EUlSY_E_NS1_11comp_targetILNS1_3genE5ELNS1_11target_archE942ELNS1_3gpuE9ELNS1_3repE0EEENS1_30default_config_static_selectorELNS0_4arch9wavefront6targetE1EEEvT1_
	.p2align	8
	.type	_ZN7rocprim17ROCPRIM_400000_NS6detail17trampoline_kernelINS0_14default_configENS1_27scan_by_key_config_selectorIj11FixedVectorIiLj8EEEEZZNS1_16scan_by_key_implILNS1_25lookback_scan_determinismE0ELb0ES3_N6thrust23THRUST_200600_302600_NS6detail15normal_iteratorINSB_10device_ptrIjEEEENSD_INSE_IS6_EEEESI_S6_NSB_4plusIvEENSB_8equal_toIvEES6_EE10hipError_tPvRmT2_T3_T4_T5_mT6_T7_P12ihipStream_tbENKUlT_T0_E_clISt17integral_constantIbLb0EES12_IbLb1EEEEDaSY_SZ_EUlSY_E_NS1_11comp_targetILNS1_3genE5ELNS1_11target_archE942ELNS1_3gpuE9ELNS1_3repE0EEENS1_30default_config_static_selectorELNS0_4arch9wavefront6targetE1EEEvT1_,@function
_ZN7rocprim17ROCPRIM_400000_NS6detail17trampoline_kernelINS0_14default_configENS1_27scan_by_key_config_selectorIj11FixedVectorIiLj8EEEEZZNS1_16scan_by_key_implILNS1_25lookback_scan_determinismE0ELb0ES3_N6thrust23THRUST_200600_302600_NS6detail15normal_iteratorINSB_10device_ptrIjEEEENSD_INSE_IS6_EEEESI_S6_NSB_4plusIvEENSB_8equal_toIvEES6_EE10hipError_tPvRmT2_T3_T4_T5_mT6_T7_P12ihipStream_tbENKUlT_T0_E_clISt17integral_constantIbLb0EES12_IbLb1EEEEDaSY_SZ_EUlSY_E_NS1_11comp_targetILNS1_3genE5ELNS1_11target_archE942ELNS1_3gpuE9ELNS1_3repE0EEENS1_30default_config_static_selectorELNS0_4arch9wavefront6targetE1EEEvT1_: ; @_ZN7rocprim17ROCPRIM_400000_NS6detail17trampoline_kernelINS0_14default_configENS1_27scan_by_key_config_selectorIj11FixedVectorIiLj8EEEEZZNS1_16scan_by_key_implILNS1_25lookback_scan_determinismE0ELb0ES3_N6thrust23THRUST_200600_302600_NS6detail15normal_iteratorINSB_10device_ptrIjEEEENSD_INSE_IS6_EEEESI_S6_NSB_4plusIvEENSB_8equal_toIvEES6_EE10hipError_tPvRmT2_T3_T4_T5_mT6_T7_P12ihipStream_tbENKUlT_T0_E_clISt17integral_constantIbLb0EES12_IbLb1EEEEDaSY_SZ_EUlSY_E_NS1_11comp_targetILNS1_3genE5ELNS1_11target_archE942ELNS1_3gpuE9ELNS1_3repE0EEENS1_30default_config_static_selectorELNS0_4arch9wavefront6targetE1EEEvT1_
; %bb.0:
	.section	.rodata,"a",@progbits
	.p2align	6, 0x0
	.amdhsa_kernel _ZN7rocprim17ROCPRIM_400000_NS6detail17trampoline_kernelINS0_14default_configENS1_27scan_by_key_config_selectorIj11FixedVectorIiLj8EEEEZZNS1_16scan_by_key_implILNS1_25lookback_scan_determinismE0ELb0ES3_N6thrust23THRUST_200600_302600_NS6detail15normal_iteratorINSB_10device_ptrIjEEEENSD_INSE_IS6_EEEESI_S6_NSB_4plusIvEENSB_8equal_toIvEES6_EE10hipError_tPvRmT2_T3_T4_T5_mT6_T7_P12ihipStream_tbENKUlT_T0_E_clISt17integral_constantIbLb0EES12_IbLb1EEEEDaSY_SZ_EUlSY_E_NS1_11comp_targetILNS1_3genE5ELNS1_11target_archE942ELNS1_3gpuE9ELNS1_3repE0EEENS1_30default_config_static_selectorELNS0_4arch9wavefront6targetE1EEEvT1_
		.amdhsa_group_segment_fixed_size 0
		.amdhsa_private_segment_fixed_size 0
		.amdhsa_kernarg_size 160
		.amdhsa_user_sgpr_count 6
		.amdhsa_user_sgpr_private_segment_buffer 1
		.amdhsa_user_sgpr_dispatch_ptr 0
		.amdhsa_user_sgpr_queue_ptr 0
		.amdhsa_user_sgpr_kernarg_segment_ptr 1
		.amdhsa_user_sgpr_dispatch_id 0
		.amdhsa_user_sgpr_flat_scratch_init 0
		.amdhsa_user_sgpr_kernarg_preload_length 0
		.amdhsa_user_sgpr_kernarg_preload_offset 0
		.amdhsa_user_sgpr_private_segment_size 0
		.amdhsa_uses_dynamic_stack 0
		.amdhsa_system_sgpr_private_segment_wavefront_offset 0
		.amdhsa_system_sgpr_workgroup_id_x 1
		.amdhsa_system_sgpr_workgroup_id_y 0
		.amdhsa_system_sgpr_workgroup_id_z 0
		.amdhsa_system_sgpr_workgroup_info 0
		.amdhsa_system_vgpr_workitem_id 0
		.amdhsa_next_free_vgpr 1
		.amdhsa_next_free_sgpr 0
		.amdhsa_accum_offset 4
		.amdhsa_reserve_vcc 0
		.amdhsa_reserve_flat_scratch 0
		.amdhsa_float_round_mode_32 0
		.amdhsa_float_round_mode_16_64 0
		.amdhsa_float_denorm_mode_32 3
		.amdhsa_float_denorm_mode_16_64 3
		.amdhsa_dx10_clamp 1
		.amdhsa_ieee_mode 1
		.amdhsa_fp16_overflow 0
		.amdhsa_tg_split 0
		.amdhsa_exception_fp_ieee_invalid_op 0
		.amdhsa_exception_fp_denorm_src 0
		.amdhsa_exception_fp_ieee_div_zero 0
		.amdhsa_exception_fp_ieee_overflow 0
		.amdhsa_exception_fp_ieee_underflow 0
		.amdhsa_exception_fp_ieee_inexact 0
		.amdhsa_exception_int_div_zero 0
	.end_amdhsa_kernel
	.section	.text._ZN7rocprim17ROCPRIM_400000_NS6detail17trampoline_kernelINS0_14default_configENS1_27scan_by_key_config_selectorIj11FixedVectorIiLj8EEEEZZNS1_16scan_by_key_implILNS1_25lookback_scan_determinismE0ELb0ES3_N6thrust23THRUST_200600_302600_NS6detail15normal_iteratorINSB_10device_ptrIjEEEENSD_INSE_IS6_EEEESI_S6_NSB_4plusIvEENSB_8equal_toIvEES6_EE10hipError_tPvRmT2_T3_T4_T5_mT6_T7_P12ihipStream_tbENKUlT_T0_E_clISt17integral_constantIbLb0EES12_IbLb1EEEEDaSY_SZ_EUlSY_E_NS1_11comp_targetILNS1_3genE5ELNS1_11target_archE942ELNS1_3gpuE9ELNS1_3repE0EEENS1_30default_config_static_selectorELNS0_4arch9wavefront6targetE1EEEvT1_,"axG",@progbits,_ZN7rocprim17ROCPRIM_400000_NS6detail17trampoline_kernelINS0_14default_configENS1_27scan_by_key_config_selectorIj11FixedVectorIiLj8EEEEZZNS1_16scan_by_key_implILNS1_25lookback_scan_determinismE0ELb0ES3_N6thrust23THRUST_200600_302600_NS6detail15normal_iteratorINSB_10device_ptrIjEEEENSD_INSE_IS6_EEEESI_S6_NSB_4plusIvEENSB_8equal_toIvEES6_EE10hipError_tPvRmT2_T3_T4_T5_mT6_T7_P12ihipStream_tbENKUlT_T0_E_clISt17integral_constantIbLb0EES12_IbLb1EEEEDaSY_SZ_EUlSY_E_NS1_11comp_targetILNS1_3genE5ELNS1_11target_archE942ELNS1_3gpuE9ELNS1_3repE0EEENS1_30default_config_static_selectorELNS0_4arch9wavefront6targetE1EEEvT1_,comdat
.Lfunc_end2150:
	.size	_ZN7rocprim17ROCPRIM_400000_NS6detail17trampoline_kernelINS0_14default_configENS1_27scan_by_key_config_selectorIj11FixedVectorIiLj8EEEEZZNS1_16scan_by_key_implILNS1_25lookback_scan_determinismE0ELb0ES3_N6thrust23THRUST_200600_302600_NS6detail15normal_iteratorINSB_10device_ptrIjEEEENSD_INSE_IS6_EEEESI_S6_NSB_4plusIvEENSB_8equal_toIvEES6_EE10hipError_tPvRmT2_T3_T4_T5_mT6_T7_P12ihipStream_tbENKUlT_T0_E_clISt17integral_constantIbLb0EES12_IbLb1EEEEDaSY_SZ_EUlSY_E_NS1_11comp_targetILNS1_3genE5ELNS1_11target_archE942ELNS1_3gpuE9ELNS1_3repE0EEENS1_30default_config_static_selectorELNS0_4arch9wavefront6targetE1EEEvT1_, .Lfunc_end2150-_ZN7rocprim17ROCPRIM_400000_NS6detail17trampoline_kernelINS0_14default_configENS1_27scan_by_key_config_selectorIj11FixedVectorIiLj8EEEEZZNS1_16scan_by_key_implILNS1_25lookback_scan_determinismE0ELb0ES3_N6thrust23THRUST_200600_302600_NS6detail15normal_iteratorINSB_10device_ptrIjEEEENSD_INSE_IS6_EEEESI_S6_NSB_4plusIvEENSB_8equal_toIvEES6_EE10hipError_tPvRmT2_T3_T4_T5_mT6_T7_P12ihipStream_tbENKUlT_T0_E_clISt17integral_constantIbLb0EES12_IbLb1EEEEDaSY_SZ_EUlSY_E_NS1_11comp_targetILNS1_3genE5ELNS1_11target_archE942ELNS1_3gpuE9ELNS1_3repE0EEENS1_30default_config_static_selectorELNS0_4arch9wavefront6targetE1EEEvT1_
                                        ; -- End function
	.section	.AMDGPU.csdata,"",@progbits
; Kernel info:
; codeLenInByte = 0
; NumSgprs: 4
; NumVgprs: 0
; NumAgprs: 0
; TotalNumVgprs: 0
; ScratchSize: 0
; MemoryBound: 0
; FloatMode: 240
; IeeeMode: 1
; LDSByteSize: 0 bytes/workgroup (compile time only)
; SGPRBlocks: 0
; VGPRBlocks: 0
; NumSGPRsForWavesPerEU: 4
; NumVGPRsForWavesPerEU: 1
; AccumOffset: 4
; Occupancy: 8
; WaveLimiterHint : 0
; COMPUTE_PGM_RSRC2:SCRATCH_EN: 0
; COMPUTE_PGM_RSRC2:USER_SGPR: 6
; COMPUTE_PGM_RSRC2:TRAP_HANDLER: 0
; COMPUTE_PGM_RSRC2:TGID_X_EN: 1
; COMPUTE_PGM_RSRC2:TGID_Y_EN: 0
; COMPUTE_PGM_RSRC2:TGID_Z_EN: 0
; COMPUTE_PGM_RSRC2:TIDIG_COMP_CNT: 0
; COMPUTE_PGM_RSRC3_GFX90A:ACCUM_OFFSET: 0
; COMPUTE_PGM_RSRC3_GFX90A:TG_SPLIT: 0
	.section	.text._ZN7rocprim17ROCPRIM_400000_NS6detail17trampoline_kernelINS0_14default_configENS1_27scan_by_key_config_selectorIj11FixedVectorIiLj8EEEEZZNS1_16scan_by_key_implILNS1_25lookback_scan_determinismE0ELb0ES3_N6thrust23THRUST_200600_302600_NS6detail15normal_iteratorINSB_10device_ptrIjEEEENSD_INSE_IS6_EEEESI_S6_NSB_4plusIvEENSB_8equal_toIvEES6_EE10hipError_tPvRmT2_T3_T4_T5_mT6_T7_P12ihipStream_tbENKUlT_T0_E_clISt17integral_constantIbLb0EES12_IbLb1EEEEDaSY_SZ_EUlSY_E_NS1_11comp_targetILNS1_3genE4ELNS1_11target_archE910ELNS1_3gpuE8ELNS1_3repE0EEENS1_30default_config_static_selectorELNS0_4arch9wavefront6targetE1EEEvT1_,"axG",@progbits,_ZN7rocprim17ROCPRIM_400000_NS6detail17trampoline_kernelINS0_14default_configENS1_27scan_by_key_config_selectorIj11FixedVectorIiLj8EEEEZZNS1_16scan_by_key_implILNS1_25lookback_scan_determinismE0ELb0ES3_N6thrust23THRUST_200600_302600_NS6detail15normal_iteratorINSB_10device_ptrIjEEEENSD_INSE_IS6_EEEESI_S6_NSB_4plusIvEENSB_8equal_toIvEES6_EE10hipError_tPvRmT2_T3_T4_T5_mT6_T7_P12ihipStream_tbENKUlT_T0_E_clISt17integral_constantIbLb0EES12_IbLb1EEEEDaSY_SZ_EUlSY_E_NS1_11comp_targetILNS1_3genE4ELNS1_11target_archE910ELNS1_3gpuE8ELNS1_3repE0EEENS1_30default_config_static_selectorELNS0_4arch9wavefront6targetE1EEEvT1_,comdat
	.protected	_ZN7rocprim17ROCPRIM_400000_NS6detail17trampoline_kernelINS0_14default_configENS1_27scan_by_key_config_selectorIj11FixedVectorIiLj8EEEEZZNS1_16scan_by_key_implILNS1_25lookback_scan_determinismE0ELb0ES3_N6thrust23THRUST_200600_302600_NS6detail15normal_iteratorINSB_10device_ptrIjEEEENSD_INSE_IS6_EEEESI_S6_NSB_4plusIvEENSB_8equal_toIvEES6_EE10hipError_tPvRmT2_T3_T4_T5_mT6_T7_P12ihipStream_tbENKUlT_T0_E_clISt17integral_constantIbLb0EES12_IbLb1EEEEDaSY_SZ_EUlSY_E_NS1_11comp_targetILNS1_3genE4ELNS1_11target_archE910ELNS1_3gpuE8ELNS1_3repE0EEENS1_30default_config_static_selectorELNS0_4arch9wavefront6targetE1EEEvT1_ ; -- Begin function _ZN7rocprim17ROCPRIM_400000_NS6detail17trampoline_kernelINS0_14default_configENS1_27scan_by_key_config_selectorIj11FixedVectorIiLj8EEEEZZNS1_16scan_by_key_implILNS1_25lookback_scan_determinismE0ELb0ES3_N6thrust23THRUST_200600_302600_NS6detail15normal_iteratorINSB_10device_ptrIjEEEENSD_INSE_IS6_EEEESI_S6_NSB_4plusIvEENSB_8equal_toIvEES6_EE10hipError_tPvRmT2_T3_T4_T5_mT6_T7_P12ihipStream_tbENKUlT_T0_E_clISt17integral_constantIbLb0EES12_IbLb1EEEEDaSY_SZ_EUlSY_E_NS1_11comp_targetILNS1_3genE4ELNS1_11target_archE910ELNS1_3gpuE8ELNS1_3repE0EEENS1_30default_config_static_selectorELNS0_4arch9wavefront6targetE1EEEvT1_
	.globl	_ZN7rocprim17ROCPRIM_400000_NS6detail17trampoline_kernelINS0_14default_configENS1_27scan_by_key_config_selectorIj11FixedVectorIiLj8EEEEZZNS1_16scan_by_key_implILNS1_25lookback_scan_determinismE0ELb0ES3_N6thrust23THRUST_200600_302600_NS6detail15normal_iteratorINSB_10device_ptrIjEEEENSD_INSE_IS6_EEEESI_S6_NSB_4plusIvEENSB_8equal_toIvEES6_EE10hipError_tPvRmT2_T3_T4_T5_mT6_T7_P12ihipStream_tbENKUlT_T0_E_clISt17integral_constantIbLb0EES12_IbLb1EEEEDaSY_SZ_EUlSY_E_NS1_11comp_targetILNS1_3genE4ELNS1_11target_archE910ELNS1_3gpuE8ELNS1_3repE0EEENS1_30default_config_static_selectorELNS0_4arch9wavefront6targetE1EEEvT1_
	.p2align	8
	.type	_ZN7rocprim17ROCPRIM_400000_NS6detail17trampoline_kernelINS0_14default_configENS1_27scan_by_key_config_selectorIj11FixedVectorIiLj8EEEEZZNS1_16scan_by_key_implILNS1_25lookback_scan_determinismE0ELb0ES3_N6thrust23THRUST_200600_302600_NS6detail15normal_iteratorINSB_10device_ptrIjEEEENSD_INSE_IS6_EEEESI_S6_NSB_4plusIvEENSB_8equal_toIvEES6_EE10hipError_tPvRmT2_T3_T4_T5_mT6_T7_P12ihipStream_tbENKUlT_T0_E_clISt17integral_constantIbLb0EES12_IbLb1EEEEDaSY_SZ_EUlSY_E_NS1_11comp_targetILNS1_3genE4ELNS1_11target_archE910ELNS1_3gpuE8ELNS1_3repE0EEENS1_30default_config_static_selectorELNS0_4arch9wavefront6targetE1EEEvT1_,@function
_ZN7rocprim17ROCPRIM_400000_NS6detail17trampoline_kernelINS0_14default_configENS1_27scan_by_key_config_selectorIj11FixedVectorIiLj8EEEEZZNS1_16scan_by_key_implILNS1_25lookback_scan_determinismE0ELb0ES3_N6thrust23THRUST_200600_302600_NS6detail15normal_iteratorINSB_10device_ptrIjEEEENSD_INSE_IS6_EEEESI_S6_NSB_4plusIvEENSB_8equal_toIvEES6_EE10hipError_tPvRmT2_T3_T4_T5_mT6_T7_P12ihipStream_tbENKUlT_T0_E_clISt17integral_constantIbLb0EES12_IbLb1EEEEDaSY_SZ_EUlSY_E_NS1_11comp_targetILNS1_3genE4ELNS1_11target_archE910ELNS1_3gpuE8ELNS1_3repE0EEENS1_30default_config_static_selectorELNS0_4arch9wavefront6targetE1EEEvT1_: ; @_ZN7rocprim17ROCPRIM_400000_NS6detail17trampoline_kernelINS0_14default_configENS1_27scan_by_key_config_selectorIj11FixedVectorIiLj8EEEEZZNS1_16scan_by_key_implILNS1_25lookback_scan_determinismE0ELb0ES3_N6thrust23THRUST_200600_302600_NS6detail15normal_iteratorINSB_10device_ptrIjEEEENSD_INSE_IS6_EEEESI_S6_NSB_4plusIvEENSB_8equal_toIvEES6_EE10hipError_tPvRmT2_T3_T4_T5_mT6_T7_P12ihipStream_tbENKUlT_T0_E_clISt17integral_constantIbLb0EES12_IbLb1EEEEDaSY_SZ_EUlSY_E_NS1_11comp_targetILNS1_3genE4ELNS1_11target_archE910ELNS1_3gpuE8ELNS1_3repE0EEENS1_30default_config_static_selectorELNS0_4arch9wavefront6targetE1EEEvT1_
; %bb.0:
	s_load_dwordx2 s[34:35], s[6:7], 0x68
	s_load_dwordx8 s[20:27], s[6:7], 0x48
	s_add_u32 flat_scratch_lo, s8, s11
	s_addc_u32 flat_scratch_hi, s9, 0
	s_add_u32 s0, s0, s11
	v_and_b32_e32 v10, 0x3ff, v0
	s_addc_u32 s1, s1, 0
	v_cmp_ne_u32_e64 s[8:9], 0, v10
	v_cmp_eq_u32_e64 s[10:11], 0, v10
	s_and_saveexec_b64 s[12:13], s[10:11]
	s_cbranch_execz .LBB2151_4
; %bb.1:
	s_mov_b64 s[16:17], exec
	v_mbcnt_lo_u32_b32 v1, s16, 0
	v_mbcnt_hi_u32_b32 v1, s17, v1
	v_cmp_eq_u32_e32 vcc, 0, v1
                                        ; implicit-def: $vgpr2
	s_and_saveexec_b64 s[14:15], vcc
	s_cbranch_execz .LBB2151_3
; %bb.2:
	s_load_dwordx2 s[18:19], s[6:7], 0x98
	s_bcnt1_i32_b64 s16, s[16:17]
	v_mov_b32_e32 v2, 0
	v_mov_b32_e32 v3, s16
	s_waitcnt lgkmcnt(0)
	global_atomic_add v2, v2, v3, s[18:19] glc
.LBB2151_3:
	s_or_b64 exec, exec, s[14:15]
	s_waitcnt vmcnt(0)
	v_readfirstlane_b32 s14, v2
	v_add_u32_e32 v1, s14, v1
	v_mov_b32_e32 v2, 0
	ds_write_b32 v2, v1
.LBB2151_4:
	s_or_b64 exec, exec, s[12:13]
	v_mov_b32_e32 v1, 0
	s_load_dwordx8 s[12:19], s[6:7], 0x0
	s_waitcnt lgkmcnt(0)
	s_load_dword s27, s[6:7], 0x70
	s_load_dwordx8 s[36:43], s[6:7], 0x78
	s_waitcnt lgkmcnt(0)
	s_barrier
	ds_read_b32 v2, v1
	s_mov_b32 s6, 0
	s_waitcnt lgkmcnt(0)
	s_barrier
	v_readfirstlane_b32 s33, v2
	v_mov_b32_e32 v2, 0x120
	s_barrier
	buffer_store_dword v1, off, s[0:3], 0 offset:316
	buffer_store_dword v1, off, s[0:3], 0 offset:312
	;; [unrolled: 1-line block ×9, first 2 shown]
.LBB2151_5:                             ; =>This Inner Loop Header: Depth=1
	v_add_u32_e32 v3, s6, v2
	s_add_i32 s6, s6, 8
	s_cmp_lg_u32 s6, 32
	buffer_store_dword v1, v3, s[0:3], 0 offen offset:4
	buffer_store_dword v1, v3, s[0:3], 0 offen
	s_cbranch_scc1 .LBB2151_5
; %bb.6:
	v_mov_b32_e32 v2, 0x120
	v_mov_b32_e32 v1, 0
	s_mov_b32 s6, 36
	v_add_u32_e32 v13, 36, v2
	buffer_store_byte v1, off, s[0:3], 0 offset:320
	buffer_store_dword v1, off, s[0:3], 0 offset:336
	buffer_store_dword v1, off, s[0:3], 0 offset:332
	;; [unrolled: 1-line block ×9, first 2 shown]
.LBB2151_7:                             ; =>This Inner Loop Header: Depth=1
	v_add_u32_e32 v3, s6, v2
	s_add_i32 s6, s6, 8
	s_cmpk_lg_i32 s6, 0x44
	buffer_store_dword v1, v3, s[0:3], 0 offen offset:4
	buffer_store_dword v1, v3, s[0:3], 0 offen
	s_cbranch_scc1 .LBB2151_7
; %bb.8:
	v_mov_b32_e32 v2, 0x120
	v_mov_b32_e32 v1, 0
	s_movk_i32 s6, 0x48
	v_add_u32_e32 v16, 0x48, v2
	buffer_store_byte v1, off, s[0:3], 0 offset:356
	buffer_store_dword v1, off, s[0:3], 0 offset:372
	buffer_store_dword v1, off, s[0:3], 0 offset:368
	;; [unrolled: 1-line block ×9, first 2 shown]
.LBB2151_9:                             ; =>This Inner Loop Header: Depth=1
	v_add_u32_e32 v3, s6, v2
	s_add_i32 s6, s6, 8
	s_cmpk_lg_i32 s6, 0x68
	buffer_store_dword v1, v3, s[0:3], 0 offen offset:4
	buffer_store_dword v1, v3, s[0:3], 0 offen
	s_cbranch_scc1 .LBB2151_9
; %bb.10:
	s_mov_b32 s6, 0
	v_mov_b32_e32 v1, 0
	v_mov_b32_e32 v2, 0x90
	buffer_store_byte v1, off, s[0:3], 0 offset:392
.LBB2151_11:                            ; =>This Inner Loop Header: Depth=1
	v_add_u32_e32 v3, s6, v2
	s_add_i32 s6, s6, 8
	s_cmp_lg_u32 s6, 32
	buffer_store_dword v1, v3, s[0:3], 0 offen offset:4
	buffer_store_dword v1, v3, s[0:3], 0 offen
	s_cbranch_scc1 .LBB2151_11
; %bb.12:
	s_mov_b32 s6, 32
	v_mov_b32_e32 v1, 0x90
	v_mov_b32_e32 v2, 0
.LBB2151_13:                            ; =>This Inner Loop Header: Depth=1
	v_add_u32_e32 v3, s6, v1
	s_add_i32 s6, s6, 8
	s_cmp_lg_u32 s6, 64
	buffer_store_dword v2, v3, s[0:3], 0 offen offset:4
	buffer_store_dword v2, v3, s[0:3], 0 offen
	s_cbranch_scc1 .LBB2151_13
; %bb.14:
	s_mov_b32 s6, 64
	v_mov_b32_e32 v1, 0x90
	v_mov_b32_e32 v2, 0
.LBB2151_15:                            ; =>This Inner Loop Header: Depth=1
	v_add_u32_e32 v3, s6, v1
	s_add_i32 s6, s6, 8
	s_cmpk_lg_i32 s6, 0x60
	buffer_store_dword v2, v3, s[0:3], 0 offen offset:4
	buffer_store_dword v2, v3, s[0:3], 0 offen
	s_cbranch_scc1 .LBB2151_15
; %bb.16:
	s_lshl_b64 s[6:7], s[14:15], 2
	s_add_u32 s30, s12, s6
	s_addc_u32 s31, s13, s7
	s_lshl_b64 s[28:29], s[14:15], 5
	s_add_u32 s14, s16, s28
	s_mul_i32 s6, s35, s27
	s_mul_hi_u32 s7, s34, s27
	s_addc_u32 s15, s17, s29
	s_add_i32 s16, s7, s6
	s_cmp_lg_u64 s[40:41], 0
	s_mul_i32 s6, s33, 0x300
	s_mov_b32 s7, 0
	s_cselect_b64 s[44:45], -1, 0
	s_lshl_b64 s[12:13], s[6:7], 2
	s_add_u32 s40, s30, s12
	s_addc_u32 s41, s31, s13
	s_lshl_b64 s[30:31], s[6:7], 5
	s_add_u32 s52, s14, s30
	s_mul_i32 s17, s34, s27
	s_addc_u32 s53, s15, s31
	s_add_u32 s46, s17, s33
	s_addc_u32 s47, s16, 0
	s_add_u32 s12, s36, -1
	v_mov_b32_e32 v2, 0x90
	s_addc_u32 s13, s37, -1
	v_add_u32_e32 v1, 64, v2
	v_add_u32_e32 v4, 32, v2
	v_pk_mov_b32 v[2:3], s[12:13], s[12:13] op_sel:[0,1]
	v_cmp_ge_u64_e64 s[6:7], s[46:47], v[2:3]
	s_mov_b64 s[48:49], 0
	s_mov_b64 s[14:15], -1
	s_and_b64 vcc, exec, s[6:7]
	s_mul_i32 s27, s12, 0xfffffd00
                                        ; implicit-def: $sgpr12_sgpr13
	s_cbranch_vccnz .LBB2151_299
; %bb.17:
	s_and_b64 vcc, exec, s[14:15]
	s_cbranch_vccnz .LBB2151_322
.LBB2151_18:
	s_and_saveexec_b64 s[14:15], s[48:49]
	s_cbranch_execz .LBB2151_20
.LBB2151_19:
	buffer_load_dword v2, v1, s[0:3], 0 offen offset:12
	buffer_load_dword v3, v1, s[0:3], 0 offen offset:8
	buffer_load_dword v4, v1, s[0:3], 0 offen offset:4
	buffer_load_dword v5, v1, s[0:3], 0 offen
	buffer_load_dword v6, v1, s[0:3], 0 offen offset:28
	buffer_load_dword v7, v1, s[0:3], 0 offen offset:24
	;; [unrolled: 1-line block ×4, first 2 shown]
                                        ; kill: killed $vgpr1
	v_cndmask_b32_e64 v1, 0, 1, s[12:13]
	s_waitcnt vmcnt(7)
	buffer_store_dword v2, v16, s[0:3], 0 offen offset:12
	s_waitcnt vmcnt(7)
	buffer_store_dword v3, v16, s[0:3], 0 offen offset:8
	;; [unrolled: 2-line block ×3, first 2 shown]
	s_waitcnt vmcnt(7)
	buffer_store_dword v5, v16, s[0:3], 0 offen
	s_waitcnt vmcnt(7)
	buffer_store_dword v6, v16, s[0:3], 0 offen offset:28
	s_waitcnt vmcnt(7)
	buffer_store_dword v7, v16, s[0:3], 0 offen offset:24
	;; [unrolled: 2-line block ×4, first 2 shown]
	buffer_store_byte v1, off, s[0:3], 0 offset:392
.LBB2151_20:
	s_or_b64 exec, exec, s[14:15]
	s_cmp_lg_u32 s33, 0
	s_mov_b32 s12, 0
	s_barrier
	s_cbranch_scc0 .LBB2151_330
; %bb.21:
	v_mov_b32_e32 v1, 0
	v_mov_b32_e32 v2, 0x90
	buffer_store_dword v1, off, s[0:3], 0 offset:176
.LBB2151_22:                            ; =>This Inner Loop Header: Depth=1
	v_add_u32_e32 v3, s12, v2
	s_add_i32 s12, s12, 8
	s_cmp_lg_u32 s12, 32
	buffer_store_dword v1, v3, s[0:3], 0 offen offset:4
	buffer_store_dword v1, v3, s[0:3], 0 offen
	s_cbranch_scc1 .LBB2151_22
; %bb.23:
	buffer_load_dword v2, off, s[0:3], 0 offset:300
	buffer_load_dword v3, off, s[0:3], 0 offset:296
	;; [unrolled: 1-line block ×8, first 2 shown]
	buffer_load_ubyte v11, off, s[0:3], 0 offset:356
	buffer_load_ubyte v1, off, s[0:3], 0 offset:320
	s_waitcnt vmcnt(9)
	buffer_store_dword v2, off, s[0:3], 0 offset:156
	s_waitcnt vmcnt(9)
	buffer_store_dword v3, off, s[0:3], 0 offset:152
	;; [unrolled: 2-line block ×8, first 2 shown]
	s_waitcnt vmcnt(9)
	v_cmp_ne_u16_e32 vcc, 0, v11
                                        ; implicit-def: $vgpr8_vgpr9
                                        ; implicit-def: $vgpr6_vgpr7
                                        ; implicit-def: $vgpr4_vgpr5
                                        ; implicit-def: $vgpr2_vgpr3
	s_and_saveexec_b64 s[12:13], vcc
	s_xor_b64 s[12:13], exec, s[12:13]
	s_cbranch_execz .LBB2151_25
; %bb.24:
	buffer_load_dword v2, off, s[0:3], 0 offset:324
	buffer_load_dword v3, off, s[0:3], 0 offset:328
	;; [unrolled: 1-line block ×8, first 2 shown]
.LBB2151_25:
	s_andn2_saveexec_b64 s[12:13], s[12:13]
	s_cbranch_execz .LBB2151_31
; %bb.26:
	s_mov_b32 s14, 0
	s_waitcnt vmcnt(7)
	v_mov_b32_e32 v2, 0
	s_waitcnt vmcnt(6)
	v_mov_b32_e32 v3, 0
	s_waitcnt vmcnt(0)
.LBB2151_27:                            ; =>This Inner Loop Header: Depth=1
	v_add_u32_e32 v4, s14, v2
	s_add_i32 s14, s14, 8
	s_cmp_lg_u32 s14, 32
	buffer_store_dword v3, v4, s[0:3], 0 offen offset:4
	buffer_store_dword v3, v4, s[0:3], 0 offen
	s_cbranch_scc1 .LBB2151_27
; %bb.28:
	s_mov_b32 s14, 0
	v_mov_b32_e32 v2, 0x90
	v_mov_b32_e32 v3, 0x120
	;; [unrolled: 1-line block ×3, first 2 shown]
.LBB2151_29:                            ; =>This Inner Loop Header: Depth=1
	v_add_u32_e32 v5, s14, v2
	v_add_u32_e32 v6, s14, v3
	buffer_load_dword v7, v5, s[0:3], 0 offen offset:4
	buffer_load_dword v8, v6, s[0:3], 0 offen offset:36
	buffer_load_dword v9, v5, s[0:3], 0 offen
	buffer_load_dword v12, v6, s[0:3], 0 offen offset:40
                                        ; kill: killed $vgpr5
	v_add_u32_e32 v5, s14, v4
	s_add_i32 s14, s14, 8
	s_cmp_lg_u32 s14, 32
                                        ; kill: killed $vgpr6
	s_waitcnt vmcnt(1)
	v_add_u32_e32 v6, v8, v9
	s_waitcnt vmcnt(0)
	v_add_u32_e32 v7, v12, v7
	buffer_store_dword v7, v5, s[0:3], 0 offen offset:4
	buffer_store_dword v6, v5, s[0:3], 0 offen
	s_cbranch_scc1 .LBB2151_29
; %bb.30:
	buffer_load_dword v2, off, s[0:3], 0
	buffer_load_dword v3, off, s[0:3], 0 offset:4
	buffer_load_dword v4, off, s[0:3], 0 offset:8
	;; [unrolled: 1-line block ×7, first 2 shown]
.LBB2151_31:
	s_or_b64 exec, exec, s[12:13]
	buffer_load_ubyte v12, off, s[0:3], 0 offset:392
	s_waitcnt vmcnt(7)
	buffer_store_dword v3, off, s[0:3], 0 offset:148
	buffer_store_dword v2, off, s[0:3], 0 offset:144
	s_waitcnt vmcnt(7)
	buffer_store_dword v5, off, s[0:3], 0 offset:156
	buffer_store_dword v4, off, s[0:3], 0 offset:152
	;; [unrolled: 3-line block ×4, first 2 shown]
                                        ; implicit-def: $vgpr8_vgpr9
                                        ; implicit-def: $vgpr6_vgpr7
                                        ; implicit-def: $vgpr4_vgpr5
                                        ; implicit-def: $vgpr2_vgpr3
	s_waitcnt vmcnt(8)
	v_cmp_ne_u16_e32 vcc, 0, v12
	s_and_saveexec_b64 s[12:13], vcc
	s_xor_b64 s[12:13], exec, s[12:13]
	s_cbranch_execz .LBB2151_33
; %bb.32:
	buffer_load_dword v2, off, s[0:3], 0 offset:360
	buffer_load_dword v3, off, s[0:3], 0 offset:364
	;; [unrolled: 1-line block ×8, first 2 shown]
.LBB2151_33:
	s_andn2_saveexec_b64 s[12:13], s[12:13]
	s_cbranch_execz .LBB2151_39
; %bb.34:
	s_mov_b32 s14, 0
	s_waitcnt vmcnt(7)
	v_mov_b32_e32 v2, 0
	s_waitcnt vmcnt(6)
	v_mov_b32_e32 v3, 0
	s_waitcnt vmcnt(0)
.LBB2151_35:                            ; =>This Inner Loop Header: Depth=1
	v_add_u32_e32 v4, s14, v2
	s_add_i32 s14, s14, 8
	s_cmp_lg_u32 s14, 32
	buffer_store_dword v3, v4, s[0:3], 0 offen offset:4
	buffer_store_dword v3, v4, s[0:3], 0 offen
	s_cbranch_scc1 .LBB2151_35
; %bb.36:
	s_mov_b32 s14, 0
	v_mov_b32_e32 v2, 0x90
	v_mov_b32_e32 v3, 0x120
	;; [unrolled: 1-line block ×3, first 2 shown]
.LBB2151_37:                            ; =>This Inner Loop Header: Depth=1
	v_add_u32_e32 v5, s14, v2
	v_add_u32_e32 v6, s14, v3
	buffer_load_dword v7, v5, s[0:3], 0 offen offset:4
	buffer_load_dword v8, v6, s[0:3], 0 offen offset:72
	buffer_load_dword v9, v5, s[0:3], 0 offen
	buffer_load_dword v14, v6, s[0:3], 0 offen offset:76
                                        ; kill: killed $vgpr5
	v_add_u32_e32 v5, s14, v4
	s_add_i32 s14, s14, 8
	s_cmp_lg_u32 s14, 32
                                        ; kill: killed $vgpr6
	s_waitcnt vmcnt(1)
	v_add_u32_e32 v6, v8, v9
	s_waitcnt vmcnt(0)
	v_add_u32_e32 v7, v14, v7
	buffer_store_dword v7, v5, s[0:3], 0 offen offset:4
	buffer_store_dword v6, v5, s[0:3], 0 offen
	s_cbranch_scc1 .LBB2151_37
; %bb.38:
	buffer_load_dword v2, off, s[0:3], 0
	buffer_load_dword v3, off, s[0:3], 0 offset:4
	buffer_load_dword v4, off, s[0:3], 0 offset:8
	;; [unrolled: 1-line block ×7, first 2 shown]
.LBB2151_39:
	s_or_b64 exec, exec, s[12:13]
	buffer_load_ushort v14, off, s[0:3], 0 offset:177
	buffer_load_sbyte v15, off, s[0:3], 0 offset:179
	v_or_b32_e32 v11, v12, v11
	s_waitcnt vmcnt(9)
	v_mov_b32_dpp v17, v2 row_shr:1 row_mask:0xf bank_mask:0xf
	v_or_b32_e32 v11, v11, v1
	v_mbcnt_lo_u32_b32 v12, -1, 0
	s_waitcnt vmcnt(8)
	buffer_store_dword v3, off, s[0:3], 0 offset:244
	buffer_store_dword v2, off, s[0:3], 0 offset:240
	s_waitcnt vmcnt(8)
	buffer_store_dword v5, off, s[0:3], 0 offset:252
	buffer_store_dword v4, off, s[0:3], 0 offset:248
	;; [unrolled: 3-line block ×4, first 2 shown]
	v_mov_b32_dpp v18, v3 row_shr:1 row_mask:0xf bank_mask:0xf
	v_mov_b32_dpp v19, v4 row_shr:1 row_mask:0xf bank_mask:0xf
	;; [unrolled: 1-line block ×7, first 2 shown]
	buffer_store_dword v17, off, s[0:3], 0 offset:144
	buffer_store_dword v18, off, s[0:3], 0 offset:148
	;; [unrolled: 1-line block ×8, first 2 shown]
	v_and_b32_e32 v11, 1, v11
	v_mbcnt_hi_u32_b32 v1, -1, v12
	v_and_b32_e32 v12, 15, v1
	v_cmp_ne_u32_e32 vcc, 0, v12
	s_waitcnt vmcnt(17)
	v_lshrrev_b32_e32 v17, 8, v14
	v_lshlrev_b16_e32 v14, 8, v14
	s_waitcnt vmcnt(16)
	v_lshlrev_b16_e32 v15, 8, v15
	v_or_b32_e32 v11, v11, v14
	v_or_b32_sdwa v14, v17, v15 dst_sel:WORD_1 dst_unused:UNUSED_PAD src0_sel:BYTE_0 src1_sel:DWORD
	v_or_b32_sdwa v14, v11, v14 dst_sel:DWORD dst_unused:UNUSED_PAD src0_sel:WORD_0 src1_sel:DWORD
	buffer_store_dword v14, off, s[0:3], 0 offset:272
	s_nop 0
	v_mov_b32_dpp v15, v14 row_shr:1 row_mask:0xf bank_mask:0xf
	buffer_store_dword v15, off, s[0:3], 0 offset:176
	s_and_saveexec_b64 s[12:13], vcc
	s_cbranch_execz .LBB2151_47
; %bb.40:
	v_mov_b32_e32 v17, 0
	v_cmp_eq_u16_sdwa s[16:17], v11, v17 src0_sel:BYTE_0 src1_sel:DWORD
	s_and_saveexec_b64 s[14:15], s[16:17]
	s_cbranch_execz .LBB2151_46
; %bb.41:
	s_mov_b32 s16, 0
	v_mov_b32_e32 v2, 0
.LBB2151_42:                            ; =>This Inner Loop Header: Depth=1
	v_add_u32_e32 v3, s16, v2
	s_add_i32 s16, s16, 8
	s_cmp_lg_u32 s16, 32
	buffer_store_dword v17, v3, s[0:3], 0 offen offset:4
	buffer_store_dword v17, v3, s[0:3], 0 offen
	s_cbranch_scc1 .LBB2151_42
; %bb.43:
	s_mov_b32 s16, 0
	v_mov_b32_e32 v2, 0x90
	v_mov_b32_e32 v3, 0xf0
	;; [unrolled: 1-line block ×3, first 2 shown]
.LBB2151_44:                            ; =>This Inner Loop Header: Depth=1
	v_add_u32_e32 v5, s16, v2
	v_add_u32_e32 v6, s16, v3
	buffer_load_dword v7, v5, s[0:3], 0 offen offset:4
	buffer_load_dword v8, v6, s[0:3], 0 offen
	buffer_load_dword v9, v5, s[0:3], 0 offen
	buffer_load_dword v11, v6, s[0:3], 0 offen offset:4
                                        ; kill: killed $vgpr5
	v_add_u32_e32 v5, s16, v4
	s_add_i32 s16, s16, 8
	s_cmp_lg_u32 s16, 32
                                        ; kill: killed $vgpr6
	s_waitcnt vmcnt(1)
	v_add_u32_e32 v6, v8, v9
	s_waitcnt vmcnt(0)
	v_add_u32_e32 v7, v11, v7
	buffer_store_dword v7, v5, s[0:3], 0 offen offset:4
	buffer_store_dword v6, v5, s[0:3], 0 offen
	s_cbranch_scc1 .LBB2151_44
; %bb.45:
	buffer_load_dword v2, off, s[0:3], 0
	buffer_load_dword v3, off, s[0:3], 0 offset:4
	buffer_load_dword v4, off, s[0:3], 0 offset:8
	;; [unrolled: 1-line block ×7, first 2 shown]
.LBB2151_46:
	s_or_b64 exec, exec, s[14:15]
	v_or_b32_e32 v11, v15, v14
	v_and_b32_e32 v11, 1, v11
	buffer_store_byte v11, off, s[0:3], 0 offset:272
	buffer_load_dword v14, off, s[0:3], 0 offset:272
	s_waitcnt vmcnt(8)
	buffer_store_dword v3, off, s[0:3], 0 offset:244
	buffer_store_dword v2, off, s[0:3], 0 offset:240
	s_waitcnt vmcnt(8)
	buffer_store_dword v5, off, s[0:3], 0 offset:252
	buffer_store_dword v4, off, s[0:3], 0 offset:248
	;; [unrolled: 3-line block ×4, first 2 shown]
	s_waitcnt vmcnt(8)
	v_mov_b32_e32 v11, v14
.LBB2151_47:
	s_or_b64 exec, exec, s[12:13]
	v_mov_b32_dpp v17, v2 row_shr:2 row_mask:0xf bank_mask:0xf
	v_mov_b32_dpp v15, v14 row_shr:2 row_mask:0xf bank_mask:0xf
	v_cmp_lt_u32_e32 vcc, 1, v12
	v_mov_b32_dpp v18, v3 row_shr:2 row_mask:0xf bank_mask:0xf
	v_mov_b32_dpp v19, v4 row_shr:2 row_mask:0xf bank_mask:0xf
	;; [unrolled: 1-line block ×7, first 2 shown]
	buffer_store_dword v17, off, s[0:3], 0 offset:144
	buffer_store_dword v18, off, s[0:3], 0 offset:148
	;; [unrolled: 1-line block ×9, first 2 shown]
	s_and_saveexec_b64 s[14:15], vcc
	s_cbranch_execz .LBB2151_55
; %bb.48:
	v_mov_b32_e32 v14, 0
	s_mov_b32 s16, 0
	v_cmp_eq_u16_sdwa s[36:37], v11, v14 src0_sel:BYTE_0 src1_sel:DWORD
	s_and_saveexec_b64 s[12:13], s[36:37]
	s_cbranch_execz .LBB2151_54
; %bb.49:
	v_mov_b32_e32 v2, 0
.LBB2151_50:                            ; =>This Inner Loop Header: Depth=1
	v_add_u32_e32 v3, s16, v2
	s_add_i32 s16, s16, 8
	s_cmp_lg_u32 s16, 32
	buffer_store_dword v14, v3, s[0:3], 0 offen offset:4
	buffer_store_dword v14, v3, s[0:3], 0 offen
	s_cbranch_scc1 .LBB2151_50
; %bb.51:
	s_mov_b32 s16, 0
	v_mov_b32_e32 v2, 0x90
	v_mov_b32_e32 v3, 0xf0
	;; [unrolled: 1-line block ×3, first 2 shown]
.LBB2151_52:                            ; =>This Inner Loop Header: Depth=1
	v_add_u32_e32 v5, s16, v2
	v_add_u32_e32 v6, s16, v3
	buffer_load_dword v7, v5, s[0:3], 0 offen offset:4
	buffer_load_dword v8, v6, s[0:3], 0 offen
	buffer_load_dword v9, v5, s[0:3], 0 offen
	buffer_load_dword v14, v6, s[0:3], 0 offen offset:4
                                        ; kill: killed $vgpr5
	v_add_u32_e32 v5, s16, v4
	s_add_i32 s16, s16, 8
	s_cmp_lg_u32 s16, 32
                                        ; kill: killed $vgpr6
	s_waitcnt vmcnt(1)
	v_add_u32_e32 v6, v8, v9
	s_waitcnt vmcnt(0)
	v_add_u32_e32 v7, v14, v7
	buffer_store_dword v7, v5, s[0:3], 0 offen offset:4
	buffer_store_dword v6, v5, s[0:3], 0 offen
	s_cbranch_scc1 .LBB2151_52
; %bb.53:
	buffer_load_dword v2, off, s[0:3], 0
	buffer_load_dword v3, off, s[0:3], 0 offset:4
	buffer_load_dword v4, off, s[0:3], 0 offset:8
	buffer_load_dword v5, off, s[0:3], 0 offset:12
	buffer_load_dword v6, off, s[0:3], 0 offset:16
	buffer_load_dword v7, off, s[0:3], 0 offset:20
	buffer_load_dword v8, off, s[0:3], 0 offset:24
	buffer_load_dword v9, off, s[0:3], 0 offset:28
.LBB2151_54:
	s_or_b64 exec, exec, s[12:13]
	v_and_b32_e32 v11, 1, v11
	v_cmp_eq_u32_e32 vcc, 1, v11
	v_and_b32_e32 v11, 1, v15
	v_cmp_eq_u32_e64 s[12:13], 1, v11
	s_or_b64 s[12:13], vcc, s[12:13]
	v_cndmask_b32_e64 v11, 0, 1, s[12:13]
	buffer_store_byte v11, off, s[0:3], 0 offset:272
	buffer_load_dword v14, off, s[0:3], 0 offset:272
	s_waitcnt vmcnt(8)
	buffer_store_dword v3, off, s[0:3], 0 offset:244
	buffer_store_dword v2, off, s[0:3], 0 offset:240
	s_waitcnt vmcnt(8)
	buffer_store_dword v5, off, s[0:3], 0 offset:252
	buffer_store_dword v4, off, s[0:3], 0 offset:248
	;; [unrolled: 3-line block ×4, first 2 shown]
	s_waitcnt vmcnt(8)
	v_mov_b32_e32 v11, v14
.LBB2151_55:
	s_or_b64 exec, exec, s[14:15]
	v_mov_b32_dpp v17, v2 row_shr:4 row_mask:0xf bank_mask:0xf
	v_mov_b32_dpp v15, v14 row_shr:4 row_mask:0xf bank_mask:0xf
	v_cmp_lt_u32_e32 vcc, 3, v12
	v_mov_b32_dpp v18, v3 row_shr:4 row_mask:0xf bank_mask:0xf
	v_mov_b32_dpp v19, v4 row_shr:4 row_mask:0xf bank_mask:0xf
	;; [unrolled: 1-line block ×7, first 2 shown]
	buffer_store_dword v17, off, s[0:3], 0 offset:144
	buffer_store_dword v18, off, s[0:3], 0 offset:148
	;; [unrolled: 1-line block ×9, first 2 shown]
	s_and_saveexec_b64 s[14:15], vcc
	s_cbranch_execz .LBB2151_63
; %bb.56:
	v_mov_b32_e32 v14, 0
	s_mov_b32 s16, 0
	v_cmp_eq_u16_sdwa s[36:37], v11, v14 src0_sel:BYTE_0 src1_sel:DWORD
	s_and_saveexec_b64 s[12:13], s[36:37]
	s_cbranch_execz .LBB2151_62
; %bb.57:
	v_mov_b32_e32 v2, 0
.LBB2151_58:                            ; =>This Inner Loop Header: Depth=1
	v_add_u32_e32 v3, s16, v2
	s_add_i32 s16, s16, 8
	s_cmp_lg_u32 s16, 32
	buffer_store_dword v14, v3, s[0:3], 0 offen offset:4
	buffer_store_dword v14, v3, s[0:3], 0 offen
	s_cbranch_scc1 .LBB2151_58
; %bb.59:
	s_mov_b32 s16, 0
	v_mov_b32_e32 v2, 0x90
	v_mov_b32_e32 v3, 0xf0
	;; [unrolled: 1-line block ×3, first 2 shown]
.LBB2151_60:                            ; =>This Inner Loop Header: Depth=1
	v_add_u32_e32 v5, s16, v2
	v_add_u32_e32 v6, s16, v3
	buffer_load_dword v7, v5, s[0:3], 0 offen offset:4
	buffer_load_dword v8, v6, s[0:3], 0 offen
	buffer_load_dword v9, v5, s[0:3], 0 offen
	buffer_load_dword v14, v6, s[0:3], 0 offen offset:4
                                        ; kill: killed $vgpr5
	v_add_u32_e32 v5, s16, v4
	s_add_i32 s16, s16, 8
	s_cmp_lg_u32 s16, 32
                                        ; kill: killed $vgpr6
	s_waitcnt vmcnt(1)
	v_add_u32_e32 v6, v8, v9
	s_waitcnt vmcnt(0)
	v_add_u32_e32 v7, v14, v7
	buffer_store_dword v7, v5, s[0:3], 0 offen offset:4
	buffer_store_dword v6, v5, s[0:3], 0 offen
	s_cbranch_scc1 .LBB2151_60
; %bb.61:
	buffer_load_dword v2, off, s[0:3], 0
	buffer_load_dword v3, off, s[0:3], 0 offset:4
	buffer_load_dword v4, off, s[0:3], 0 offset:8
	;; [unrolled: 1-line block ×7, first 2 shown]
.LBB2151_62:
	s_or_b64 exec, exec, s[12:13]
	v_and_b32_e32 v11, 1, v11
	v_cmp_eq_u32_e32 vcc, 1, v11
	v_and_b32_e32 v11, 1, v15
	v_cmp_eq_u32_e64 s[12:13], 1, v11
	s_or_b64 s[12:13], vcc, s[12:13]
	v_cndmask_b32_e64 v11, 0, 1, s[12:13]
	buffer_store_byte v11, off, s[0:3], 0 offset:272
	buffer_load_dword v14, off, s[0:3], 0 offset:272
	s_waitcnt vmcnt(8)
	buffer_store_dword v3, off, s[0:3], 0 offset:244
	buffer_store_dword v2, off, s[0:3], 0 offset:240
	s_waitcnt vmcnt(8)
	buffer_store_dword v5, off, s[0:3], 0 offset:252
	buffer_store_dword v4, off, s[0:3], 0 offset:248
	;; [unrolled: 3-line block ×4, first 2 shown]
	s_waitcnt vmcnt(8)
	v_mov_b32_e32 v11, v14
.LBB2151_63:
	s_or_b64 exec, exec, s[14:15]
	v_mov_b32_dpp v17, v2 row_shr:8 row_mask:0xf bank_mask:0xf
	v_mov_b32_dpp v15, v14 row_shr:8 row_mask:0xf bank_mask:0xf
	v_cmp_lt_u32_e32 vcc, 7, v12
	v_mov_b32_dpp v18, v3 row_shr:8 row_mask:0xf bank_mask:0xf
	v_mov_b32_dpp v19, v4 row_shr:8 row_mask:0xf bank_mask:0xf
	;; [unrolled: 1-line block ×7, first 2 shown]
	buffer_store_dword v17, off, s[0:3], 0 offset:144
	buffer_store_dword v18, off, s[0:3], 0 offset:148
	;; [unrolled: 1-line block ×9, first 2 shown]
	s_and_saveexec_b64 s[14:15], vcc
	s_cbranch_execz .LBB2151_71
; %bb.64:
	v_mov_b32_e32 v12, 0
	s_mov_b32 s16, 0
	v_cmp_eq_u16_sdwa s[36:37], v11, v12 src0_sel:BYTE_0 src1_sel:DWORD
	s_and_saveexec_b64 s[12:13], s[36:37]
	s_cbranch_execz .LBB2151_70
; %bb.65:
	v_mov_b32_e32 v2, 0
.LBB2151_66:                            ; =>This Inner Loop Header: Depth=1
	v_add_u32_e32 v3, s16, v2
	s_add_i32 s16, s16, 8
	s_cmp_lg_u32 s16, 32
	buffer_store_dword v12, v3, s[0:3], 0 offen offset:4
	buffer_store_dword v12, v3, s[0:3], 0 offen
	s_cbranch_scc1 .LBB2151_66
; %bb.67:
	s_mov_b32 s16, 0
	v_mov_b32_e32 v2, 0x90
	v_mov_b32_e32 v3, 0xf0
	;; [unrolled: 1-line block ×3, first 2 shown]
.LBB2151_68:                            ; =>This Inner Loop Header: Depth=1
	v_add_u32_e32 v5, s16, v2
	v_add_u32_e32 v6, s16, v3
	buffer_load_dword v7, v5, s[0:3], 0 offen offset:4
	buffer_load_dword v8, v6, s[0:3], 0 offen
	buffer_load_dword v9, v5, s[0:3], 0 offen
	buffer_load_dword v12, v6, s[0:3], 0 offen offset:4
                                        ; kill: killed $vgpr5
	v_add_u32_e32 v5, s16, v4
	s_add_i32 s16, s16, 8
	s_cmp_lg_u32 s16, 32
                                        ; kill: killed $vgpr6
	s_waitcnt vmcnt(1)
	v_add_u32_e32 v6, v8, v9
	s_waitcnt vmcnt(0)
	v_add_u32_e32 v7, v12, v7
	buffer_store_dword v7, v5, s[0:3], 0 offen offset:4
	buffer_store_dword v6, v5, s[0:3], 0 offen
	s_cbranch_scc1 .LBB2151_68
; %bb.69:
	buffer_load_dword v2, off, s[0:3], 0
	buffer_load_dword v3, off, s[0:3], 0 offset:4
	buffer_load_dword v4, off, s[0:3], 0 offset:8
	;; [unrolled: 1-line block ×7, first 2 shown]
.LBB2151_70:
	s_or_b64 exec, exec, s[12:13]
	v_and_b32_e32 v11, 1, v11
	v_cmp_eq_u32_e32 vcc, 1, v11
	v_and_b32_e32 v11, 1, v15
	v_cmp_eq_u32_e64 s[12:13], 1, v11
	s_or_b64 s[12:13], vcc, s[12:13]
	v_cndmask_b32_e64 v11, 0, 1, s[12:13]
	buffer_store_byte v11, off, s[0:3], 0 offset:272
	buffer_load_dword v14, off, s[0:3], 0 offset:272
	s_waitcnt vmcnt(8)
	buffer_store_dword v3, off, s[0:3], 0 offset:244
	buffer_store_dword v2, off, s[0:3], 0 offset:240
	s_waitcnt vmcnt(8)
	buffer_store_dword v5, off, s[0:3], 0 offset:252
	buffer_store_dword v4, off, s[0:3], 0 offset:248
	s_waitcnt vmcnt(8)
	buffer_store_dword v7, off, s[0:3], 0 offset:260
	buffer_store_dword v6, off, s[0:3], 0 offset:256
	s_waitcnt vmcnt(8)
	buffer_store_dword v9, off, s[0:3], 0 offset:268
	buffer_store_dword v8, off, s[0:3], 0 offset:264
	s_waitcnt vmcnt(8)
	v_mov_b32_e32 v11, v14
.LBB2151_71:
	s_or_b64 exec, exec, s[14:15]
	v_mov_b32_dpp v15, v2 row_bcast:15 row_mask:0xf bank_mask:0xf
	v_mov_b32_dpp v17, v3 row_bcast:15 row_mask:0xf bank_mask:0xf
	;; [unrolled: 1-line block ×9, first 2 shown]
	buffer_store_dword v15, off, s[0:3], 0 offset:144
	buffer_store_dword v17, off, s[0:3], 0 offset:148
	;; [unrolled: 1-line block ×9, first 2 shown]
	v_and_b32_e32 v15, 16, v1
	v_cmp_ne_u32_e32 vcc, 0, v15
	s_and_saveexec_b64 s[14:15], vcc
	s_cbranch_execz .LBB2151_79
; %bb.72:
	v_mov_b32_e32 v14, 0
	s_mov_b32 s16, 0
	v_cmp_eq_u16_sdwa s[36:37], v11, v14 src0_sel:BYTE_0 src1_sel:DWORD
	s_and_saveexec_b64 s[12:13], s[36:37]
	s_cbranch_execz .LBB2151_78
; %bb.73:
	v_mov_b32_e32 v2, 0
.LBB2151_74:                            ; =>This Inner Loop Header: Depth=1
	v_add_u32_e32 v3, s16, v2
	s_add_i32 s16, s16, 8
	s_cmp_lg_u32 s16, 32
	buffer_store_dword v14, v3, s[0:3], 0 offen offset:4
	buffer_store_dword v14, v3, s[0:3], 0 offen
	s_cbranch_scc1 .LBB2151_74
; %bb.75:
	s_mov_b32 s16, 0
	v_mov_b32_e32 v2, 0x90
	v_mov_b32_e32 v3, 0xf0
	;; [unrolled: 1-line block ×3, first 2 shown]
.LBB2151_76:                            ; =>This Inner Loop Header: Depth=1
	v_add_u32_e32 v5, s16, v2
	v_add_u32_e32 v6, s16, v3
	buffer_load_dword v7, v5, s[0:3], 0 offen offset:4
	buffer_load_dword v8, v6, s[0:3], 0 offen
	buffer_load_dword v9, v5, s[0:3], 0 offen
	buffer_load_dword v14, v6, s[0:3], 0 offen offset:4
                                        ; kill: killed $vgpr5
	v_add_u32_e32 v5, s16, v4
	s_add_i32 s16, s16, 8
	s_cmp_lg_u32 s16, 32
                                        ; kill: killed $vgpr6
	s_waitcnt vmcnt(1)
	v_add_u32_e32 v6, v8, v9
	s_waitcnt vmcnt(0)
	v_add_u32_e32 v7, v14, v7
	buffer_store_dword v7, v5, s[0:3], 0 offen offset:4
	buffer_store_dword v6, v5, s[0:3], 0 offen
	s_cbranch_scc1 .LBB2151_76
; %bb.77:
	buffer_load_dword v2, off, s[0:3], 0
	buffer_load_dword v3, off, s[0:3], 0 offset:4
	buffer_load_dword v4, off, s[0:3], 0 offset:8
	;; [unrolled: 1-line block ×7, first 2 shown]
.LBB2151_78:
	s_or_b64 exec, exec, s[12:13]
	v_and_b32_e32 v11, 1, v11
	v_cmp_eq_u32_e32 vcc, 1, v11
	v_and_b32_e32 v11, 1, v12
	v_cmp_eq_u32_e64 s[12:13], 1, v11
	s_or_b64 s[12:13], vcc, s[12:13]
	v_cndmask_b32_e64 v11, 0, 1, s[12:13]
	buffer_store_byte v11, off, s[0:3], 0 offset:272
	buffer_load_dword v14, off, s[0:3], 0 offset:272
	s_waitcnt vmcnt(8)
	buffer_store_dword v3, off, s[0:3], 0 offset:244
	buffer_store_dword v2, off, s[0:3], 0 offset:240
	s_waitcnt vmcnt(8)
	buffer_store_dword v5, off, s[0:3], 0 offset:252
	buffer_store_dword v4, off, s[0:3], 0 offset:248
	s_waitcnt vmcnt(8)
	buffer_store_dword v7, off, s[0:3], 0 offset:260
	buffer_store_dword v6, off, s[0:3], 0 offset:256
	s_waitcnt vmcnt(8)
	buffer_store_dword v9, off, s[0:3], 0 offset:268
	buffer_store_dword v8, off, s[0:3], 0 offset:264
	s_waitcnt vmcnt(8)
	v_mov_b32_e32 v11, v14
.LBB2151_79:
	s_or_b64 exec, exec, s[14:15]
	v_mov_b32_dpp v15, v2 row_bcast:31 row_mask:0xf bank_mask:0xf
	v_mov_b32_dpp v12, v14 row_bcast:31 row_mask:0xf bank_mask:0xf
	v_cmp_lt_u32_e32 vcc, 31, v1
	v_mov_b32_dpp v17, v3 row_bcast:31 row_mask:0xf bank_mask:0xf
	v_mov_b32_dpp v18, v4 row_bcast:31 row_mask:0xf bank_mask:0xf
	;; [unrolled: 1-line block ×7, first 2 shown]
	buffer_store_dword v15, off, s[0:3], 0 offset:144
	buffer_store_dword v17, off, s[0:3], 0 offset:148
	;; [unrolled: 1-line block ×9, first 2 shown]
	s_and_saveexec_b64 s[14:15], vcc
	s_cbranch_execz .LBB2151_87
; %bb.80:
	v_mov_b32_e32 v14, 0
	s_mov_b32 s16, 0
	v_cmp_eq_u16_sdwa s[36:37], v11, v14 src0_sel:BYTE_0 src1_sel:DWORD
	s_and_saveexec_b64 s[12:13], s[36:37]
	s_cbranch_execz .LBB2151_86
; %bb.81:
	v_mov_b32_e32 v2, 0
.LBB2151_82:                            ; =>This Inner Loop Header: Depth=1
	v_add_u32_e32 v3, s16, v2
	s_add_i32 s16, s16, 8
	s_cmp_lg_u32 s16, 32
	buffer_store_dword v14, v3, s[0:3], 0 offen offset:4
	buffer_store_dword v14, v3, s[0:3], 0 offen
	s_cbranch_scc1 .LBB2151_82
; %bb.83:
	s_mov_b32 s16, 0
	v_mov_b32_e32 v2, 0x90
	v_mov_b32_e32 v3, 0xf0
	;; [unrolled: 1-line block ×3, first 2 shown]
.LBB2151_84:                            ; =>This Inner Loop Header: Depth=1
	v_add_u32_e32 v5, s16, v2
	v_add_u32_e32 v6, s16, v3
	buffer_load_dword v7, v5, s[0:3], 0 offen offset:4
	buffer_load_dword v8, v6, s[0:3], 0 offen
	buffer_load_dword v9, v5, s[0:3], 0 offen
	buffer_load_dword v14, v6, s[0:3], 0 offen offset:4
                                        ; kill: killed $vgpr5
	v_add_u32_e32 v5, s16, v4
	s_add_i32 s16, s16, 8
	s_cmp_lg_u32 s16, 32
                                        ; kill: killed $vgpr6
	s_waitcnt vmcnt(1)
	v_add_u32_e32 v6, v8, v9
	s_waitcnt vmcnt(0)
	v_add_u32_e32 v7, v14, v7
	buffer_store_dword v7, v5, s[0:3], 0 offen offset:4
	buffer_store_dword v6, v5, s[0:3], 0 offen
	s_cbranch_scc1 .LBB2151_84
; %bb.85:
	buffer_load_dword v2, off, s[0:3], 0
	buffer_load_dword v3, off, s[0:3], 0 offset:4
	buffer_load_dword v4, off, s[0:3], 0 offset:8
	;; [unrolled: 1-line block ×7, first 2 shown]
.LBB2151_86:
	s_or_b64 exec, exec, s[12:13]
	v_and_b32_e32 v11, 1, v11
	v_cmp_eq_u32_e32 vcc, 1, v11
	v_and_b32_e32 v11, 1, v12
	v_cmp_eq_u32_e64 s[12:13], 1, v11
	s_or_b64 s[12:13], vcc, s[12:13]
	v_cndmask_b32_e64 v11, 0, 1, s[12:13]
	s_waitcnt vmcnt(6)
	buffer_store_dword v3, off, s[0:3], 0 offset:244
	buffer_store_dword v2, off, s[0:3], 0 offset:240
	s_waitcnt vmcnt(6)
	buffer_store_dword v5, off, s[0:3], 0 offset:252
	buffer_store_dword v4, off, s[0:3], 0 offset:248
	;; [unrolled: 3-line block ×4, first 2 shown]
	buffer_store_byte v11, off, s[0:3], 0 offset:272
.LBB2151_87:
	s_or_b64 exec, exec, s[14:15]
	v_or_b32_e32 v14, 63, v10
	v_lshrrev_b32_e32 v12, 6, v10
	v_cmp_eq_u32_e32 vcc, v14, v10
	s_and_saveexec_b64 s[12:13], vcc
	s_cbranch_execz .LBB2151_89
; %bb.88:
	v_mul_u32_u24_e32 v14, 36, v12
	ds_write2_b32 v14, v2, v3 offset1:1
	ds_write2_b32 v14, v4, v5 offset0:2 offset1:3
	ds_write2_b32 v14, v6, v7 offset0:4 offset1:5
	;; [unrolled: 1-line block ×3, first 2 shown]
	ds_write_b8 v14, v11 offset:32
.LBB2151_89:
	s_or_b64 exec, exec, s[12:13]
	v_cmp_gt_u32_e32 vcc, 4, v10
	s_waitcnt lgkmcnt(0)
	s_barrier
	s_and_saveexec_b64 s[14:15], vcc
	s_cbranch_execz .LBB2151_107
; %bb.90:
	v_mul_u32_u24_e32 v11, 36, v10
	ds_read_b32 v14, v11 offset:32
	ds_read2_b32 v[2:3], v11 offset0:6 offset1:7
	ds_read2_b32 v[4:5], v11 offset0:4 offset1:5
	;; [unrolled: 1-line block ×3, first 2 shown]
	ds_read2_b32 v[8:9], v11 offset1:1
	v_and_b32_e32 v15, 3, v1
	s_waitcnt lgkmcnt(4)
	v_mov_b32_dpp v17, v14 row_shr:1 row_mask:0xf bank_mask:0xf
	v_cmp_ne_u32_e32 vcc, 0, v15
	buffer_store_dword v14, off, s[0:3], 0 offset:32
	s_waitcnt lgkmcnt(0)
	v_mov_b32_dpp v18, v8 row_shr:1 row_mask:0xf bank_mask:0xf
	buffer_store_dword v3, off, s[0:3], 0 offset:28
	buffer_store_dword v2, off, s[0:3], 0 offset:24
	;; [unrolled: 1-line block ×7, first 2 shown]
	buffer_store_dword v8, off, s[0:3], 0
	v_mov_b32_dpp v19, v9 row_shr:1 row_mask:0xf bank_mask:0xf
	v_mov_b32_dpp v20, v6 row_shr:1 row_mask:0xf bank_mask:0xf
	;; [unrolled: 1-line block ×7, first 2 shown]
	buffer_store_dword v18, off, s[0:3], 0 offset:144
	buffer_store_dword v19, off, s[0:3], 0 offset:148
	;; [unrolled: 1-line block ×9, first 2 shown]
	s_and_saveexec_b64 s[12:13], vcc
	s_cbranch_execz .LBB2151_98
; %bb.91:
	v_mov_b32_e32 v18, 0
	v_cmp_eq_u16_sdwa s[36:37], v14, v18 src0_sel:BYTE_0 src1_sel:DWORD
	s_and_saveexec_b64 s[16:17], s[36:37]
	s_cbranch_execz .LBB2151_97
; %bb.92:
	s_mov_b32 s36, 0
	v_mov_b32_e32 v2, 36
.LBB2151_93:                            ; =>This Inner Loop Header: Depth=1
	v_add_u32_e32 v3, s36, v2
	s_add_i32 s36, s36, 8
	s_cmp_lg_u32 s36, 32
	buffer_store_dword v18, v3, s[0:3], 0 offen offset:4
	buffer_store_dword v18, v3, s[0:3], 0 offen
	s_cbranch_scc1 .LBB2151_93
; %bb.94:
	s_mov_b32 s36, 0
	v_mov_b32_e32 v2, 0x90
	v_mov_b32_e32 v3, 0
	;; [unrolled: 1-line block ×3, first 2 shown]
.LBB2151_95:                            ; =>This Inner Loop Header: Depth=1
	v_add_u32_e32 v5, s36, v2
	v_add_u32_e32 v6, s36, v3
	buffer_load_dword v7, v5, s[0:3], 0 offen offset:4
	buffer_load_dword v8, v6, s[0:3], 0 offen
	buffer_load_dword v9, v5, s[0:3], 0 offen
	buffer_load_dword v18, v6, s[0:3], 0 offen offset:4
                                        ; kill: killed $vgpr5
	v_add_u32_e32 v5, s36, v4
	s_add_i32 s36, s36, 8
	s_cmp_lg_u32 s36, 32
                                        ; kill: killed $vgpr6
	s_waitcnt vmcnt(1)
	v_add_u32_e32 v6, v8, v9
	s_waitcnt vmcnt(0)
	v_add_u32_e32 v7, v18, v7
	buffer_store_dword v7, v5, s[0:3], 0 offen offset:4
	buffer_store_dword v6, v5, s[0:3], 0 offen
	s_cbranch_scc1 .LBB2151_95
; %bb.96:
	buffer_load_dword v8, off, s[0:3], 0 offset:36
	buffer_load_dword v9, off, s[0:3], 0 offset:40
	;; [unrolled: 1-line block ×8, first 2 shown]
.LBB2151_97:
	s_or_b64 exec, exec, s[16:17]
	v_or_b32_e32 v14, v17, v14
	v_and_b32_e32 v14, 1, v14
	buffer_store_byte v14, off, s[0:3], 0 offset:32
	buffer_load_dword v14, off, s[0:3], 0 offset:32
	s_waitcnt vmcnt(8)
	buffer_store_dword v9, off, s[0:3], 0 offset:4
	buffer_store_dword v8, off, s[0:3], 0
	s_waitcnt vmcnt(8)
	buffer_store_dword v7, off, s[0:3], 0 offset:12
	buffer_store_dword v6, off, s[0:3], 0 offset:8
	s_waitcnt vmcnt(8)
	buffer_store_dword v5, off, s[0:3], 0 offset:20
	buffer_store_dword v4, off, s[0:3], 0 offset:16
	s_waitcnt vmcnt(8)
	buffer_store_dword v3, off, s[0:3], 0 offset:28
	buffer_store_dword v2, off, s[0:3], 0 offset:24
.LBB2151_98:
	s_or_b64 exec, exec, s[12:13]
	v_mov_b32_dpp v18, v8 row_shr:2 row_mask:0xf bank_mask:0xf
	s_waitcnt vmcnt(8)
	v_mov_b32_dpp v17, v14 row_shr:2 row_mask:0xf bank_mask:0xf
	v_cmp_lt_u32_e32 vcc, 1, v15
	v_mov_b32_dpp v19, v9 row_shr:2 row_mask:0xf bank_mask:0xf
	v_mov_b32_dpp v20, v6 row_shr:2 row_mask:0xf bank_mask:0xf
	;; [unrolled: 1-line block ×7, first 2 shown]
	buffer_store_dword v18, off, s[0:3], 0 offset:144
	buffer_store_dword v19, off, s[0:3], 0 offset:148
	;; [unrolled: 1-line block ×9, first 2 shown]
	s_and_saveexec_b64 s[16:17], vcc
	s_cbranch_execz .LBB2151_106
; %bb.99:
	v_mov_b32_e32 v15, 0
	s_mov_b32 s36, 0
	v_cmp_eq_u16_sdwa s[40:41], v14, v15 src0_sel:BYTE_0 src1_sel:DWORD
	s_and_saveexec_b64 s[12:13], s[40:41]
	s_cbranch_execz .LBB2151_105
; %bb.100:
	v_mov_b32_e32 v2, 36
.LBB2151_101:                           ; =>This Inner Loop Header: Depth=1
	v_add_u32_e32 v3, s36, v2
	s_add_i32 s36, s36, 8
	s_cmp_lg_u32 s36, 32
	buffer_store_dword v15, v3, s[0:3], 0 offen offset:4
	buffer_store_dword v15, v3, s[0:3], 0 offen
	s_cbranch_scc1 .LBB2151_101
; %bb.102:
	s_mov_b32 s36, 0
	v_mov_b32_e32 v2, 0x90
	v_mov_b32_e32 v3, 0
	;; [unrolled: 1-line block ×3, first 2 shown]
.LBB2151_103:                           ; =>This Inner Loop Header: Depth=1
	v_add_u32_e32 v5, s36, v2
	v_add_u32_e32 v6, s36, v3
	buffer_load_dword v7, v5, s[0:3], 0 offen offset:4
	buffer_load_dword v8, v6, s[0:3], 0 offen
	buffer_load_dword v9, v5, s[0:3], 0 offen
	buffer_load_dword v15, v6, s[0:3], 0 offen offset:4
                                        ; kill: killed $vgpr5
	v_add_u32_e32 v5, s36, v4
	s_add_i32 s36, s36, 8
	s_cmp_lg_u32 s36, 32
                                        ; kill: killed $vgpr6
	s_waitcnt vmcnt(1)
	v_add_u32_e32 v6, v8, v9
	s_waitcnt vmcnt(0)
	v_add_u32_e32 v7, v15, v7
	buffer_store_dword v7, v5, s[0:3], 0 offen offset:4
	buffer_store_dword v6, v5, s[0:3], 0 offen
	s_cbranch_scc1 .LBB2151_103
; %bb.104:
	buffer_load_dword v8, off, s[0:3], 0 offset:36
	buffer_load_dword v9, off, s[0:3], 0 offset:40
	;; [unrolled: 1-line block ×8, first 2 shown]
.LBB2151_105:
	s_or_b64 exec, exec, s[12:13]
	v_and_b32_e32 v14, 1, v14
	v_cmp_eq_u32_e32 vcc, 1, v14
	v_and_b32_e32 v14, 1, v17
	v_cmp_eq_u32_e64 s[12:13], 1, v14
	s_or_b64 s[12:13], vcc, s[12:13]
	v_cndmask_b32_e64 v14, 0, 1, s[12:13]
	s_waitcnt vmcnt(6)
	buffer_store_dword v9, off, s[0:3], 0 offset:4
	buffer_store_dword v8, off, s[0:3], 0
	s_waitcnt vmcnt(6)
	buffer_store_dword v7, off, s[0:3], 0 offset:12
	buffer_store_dword v6, off, s[0:3], 0 offset:8
	s_waitcnt vmcnt(6)
	buffer_store_dword v5, off, s[0:3], 0 offset:20
	buffer_store_dword v4, off, s[0:3], 0 offset:16
	;; [unrolled: 3-line block ×3, first 2 shown]
.LBB2151_106:
	s_or_b64 exec, exec, s[16:17]
	buffer_load_dword v2, off, s[0:3], 0
	buffer_load_dword v3, off, s[0:3], 0 offset:4
	buffer_load_dword v4, off, s[0:3], 0 offset:8
	;; [unrolled: 1-line block ×7, first 2 shown]
	s_waitcnt vmcnt(4)
	ds_write2_b32 v11, v4, v5 offset0:2 offset1:3
	ds_write2_b32 v11, v2, v3 offset1:1
	s_waitcnt vmcnt(2)
	ds_write2_b32 v11, v6, v7 offset0:6 offset1:7
	s_waitcnt vmcnt(0)
	ds_write2_b32 v11, v8, v9 offset0:4 offset1:5
	ds_write_b8 v11, v14 offset:32
.LBB2151_107:
	s_or_b64 exec, exec, s[14:15]
	v_mov_b32_e32 v2, 0
	s_mov_b32 s12, 0
	v_mov_b32_e32 v3, 0x90
	s_waitcnt lgkmcnt(0)
	s_barrier
	buffer_store_dword v2, off, s[0:3], 0 offset:172
	buffer_store_dword v2, off, s[0:3], 0 offset:168
	;; [unrolled: 1-line block ×9, first 2 shown]
.LBB2151_108:                           ; =>This Inner Loop Header: Depth=1
	v_add_u32_e32 v4, s12, v3
	s_add_i32 s12, s12, 8
	s_cmp_lg_u32 s12, 32
	buffer_store_dword v2, v4, s[0:3], 0 offen offset:4
	buffer_store_dword v2, v4, s[0:3], 0 offen
	s_cbranch_scc1 .LBB2151_108
; %bb.109:
	v_cmp_gt_u32_e32 vcc, 64, v10
	v_cmp_lt_u32_e64 s[12:13], 63, v10
                                        ; implicit-def: $vgpr2_vgpr3
                                        ; implicit-def: $vgpr4_vgpr5
                                        ; implicit-def: $vgpr6_vgpr7
                                        ; implicit-def: $vgpr8_vgpr9
                                        ; implicit-def: $vgpr11
	s_and_saveexec_b64 s[14:15], s[12:13]
	s_xor_b64 s[14:15], exec, s[14:15]
	s_cbranch_execz .LBB2151_119
; %bb.110:
	buffer_load_ubyte v14, off, s[0:3], 0 offset:272
	v_not_b32_e32 v2, 35
	v_mad_u32_u24 v11, v12, 36, v2
	ds_read2_b32 v[2:3], v11 offset0:2 offset1:3
	ds_read2_b32 v[4:5], v11 offset0:4 offset1:5
	ds_read2_b32 v[6:7], v11 offset1:1
	ds_read2_b32 v[8:9], v11 offset0:6 offset1:7
	s_waitcnt lgkmcnt(3)
	buffer_store_dword v3, off, s[0:3], 0 offset:156
	buffer_store_dword v2, off, s[0:3], 0 offset:152
	s_waitcnt lgkmcnt(1)
	buffer_store_dword v7, off, s[0:3], 0 offset:148
	buffer_store_dword v6, off, s[0:3], 0 offset:144
	s_waitcnt lgkmcnt(0)
	buffer_store_dword v9, off, s[0:3], 0 offset:172
	ds_read_u8 v11, v11 offset:32
	buffer_store_dword v8, off, s[0:3], 0 offset:168
	buffer_store_dword v5, off, s[0:3], 0 offset:164
	;; [unrolled: 1-line block ×3, first 2 shown]
                                        ; implicit-def: $vgpr2_vgpr3
                                        ; implicit-def: $vgpr4_vgpr5
                                        ; implicit-def: $vgpr6_vgpr7
                                        ; implicit-def: $vgpr8_vgpr9
	s_waitcnt vmcnt(8)
	v_cmp_ne_u16_e64 s[12:13], 0, v14
	s_and_saveexec_b64 s[16:17], s[12:13]
	s_xor_b64 s[12:13], exec, s[16:17]
	s_cbranch_execz .LBB2151_112
; %bb.111:
	buffer_load_dword v2, off, s[0:3], 0 offset:240
	buffer_load_dword v3, off, s[0:3], 0 offset:244
	buffer_load_dword v4, off, s[0:3], 0 offset:248
	buffer_load_dword v5, off, s[0:3], 0 offset:252
	buffer_load_dword v6, off, s[0:3], 0 offset:256
	buffer_load_dword v7, off, s[0:3], 0 offset:260
	buffer_load_dword v8, off, s[0:3], 0 offset:264
	buffer_load_dword v9, off, s[0:3], 0 offset:268
.LBB2151_112:
	s_andn2_saveexec_b64 s[12:13], s[12:13]
	s_cbranch_execz .LBB2151_118
; %bb.113:
	s_mov_b32 s16, 0
	s_waitcnt vmcnt(7)
	v_mov_b32_e32 v2, 0
	s_waitcnt vmcnt(6)
	v_mov_b32_e32 v3, 0
	s_waitcnt vmcnt(0)
.LBB2151_114:                           ; =>This Inner Loop Header: Depth=1
	v_add_u32_e32 v4, s16, v2
	s_add_i32 s16, s16, 8
	s_cmp_lg_u32 s16, 32
	buffer_store_dword v3, v4, s[0:3], 0 offen offset:4
	buffer_store_dword v3, v4, s[0:3], 0 offen
	s_cbranch_scc1 .LBB2151_114
; %bb.115:
	s_mov_b32 s16, 0
	v_mov_b32_e32 v2, 0x90
	v_mov_b32_e32 v3, 0xf0
	;; [unrolled: 1-line block ×3, first 2 shown]
.LBB2151_116:                           ; =>This Inner Loop Header: Depth=1
	v_add_u32_e32 v5, s16, v2
	v_add_u32_e32 v6, s16, v3
	buffer_load_dword v7, v5, s[0:3], 0 offen offset:4
	buffer_load_dword v8, v6, s[0:3], 0 offen
	buffer_load_dword v9, v5, s[0:3], 0 offen
	buffer_load_dword v12, v6, s[0:3], 0 offen offset:4
                                        ; kill: killed $vgpr5
	v_add_u32_e32 v5, s16, v4
	s_add_i32 s16, s16, 8
	s_cmp_lg_u32 s16, 32
                                        ; kill: killed $vgpr6
	s_waitcnt vmcnt(1)
	v_add_u32_e32 v6, v8, v9
	s_waitcnt vmcnt(0)
	v_add_u32_e32 v7, v12, v7
	buffer_store_dword v7, v5, s[0:3], 0 offen offset:4
	buffer_store_dword v6, v5, s[0:3], 0 offen
	s_cbranch_scc1 .LBB2151_116
; %bb.117:
	buffer_load_dword v2, off, s[0:3], 0
	buffer_load_dword v3, off, s[0:3], 0 offset:4
	buffer_load_dword v4, off, s[0:3], 0 offset:8
	;; [unrolled: 1-line block ×7, first 2 shown]
.LBB2151_118:
	s_or_b64 exec, exec, s[12:13]
	s_waitcnt lgkmcnt(0)
	v_or_b32_e32 v12, v14, v11
	v_and_b32_e32 v12, 1, v12
	buffer_store_byte v12, off, s[0:3], 0 offset:272
.LBB2151_119:
	s_andn2_saveexec_b64 s[12:13], s[14:15]
	s_cbranch_execz .LBB2151_121
; %bb.120:
	buffer_load_dword v2, off, s[0:3], 0 offset:240
	buffer_load_dword v3, off, s[0:3], 0 offset:244
	;; [unrolled: 1-line block ×8, first 2 shown]
	v_mov_b32_e32 v11, 0
.LBB2151_121:
	s_or_b64 exec, exec, s[12:13]
	buffer_load_dword v12, off, s[0:3], 0 offset:272
	v_add_u32_e32 v14, -1, v1
	v_and_b32_e32 v15, 64, v1
	v_cmp_lt_i32_e64 s[14:15], v14, v15
	v_cndmask_b32_e64 v14, v14, v1, s[14:15]
	v_lshlrev_b32_e32 v14, 2, v14
	s_waitcnt vmcnt(8)
	ds_bpermute_b32 v2, v14, v2
	s_waitcnt vmcnt(7)
	ds_bpermute_b32 v3, v14, v3
	s_waitcnt vmcnt(6)
	ds_bpermute_b32 v4, v14, v4
	s_waitcnt vmcnt(5)
	ds_bpermute_b32 v5, v14, v5
	s_waitcnt vmcnt(4)
	ds_bpermute_b32 v6, v14, v6
	s_waitcnt lgkmcnt(4)
	buffer_store_dword v2, off, s[0:3], 0 offset:240
	s_waitcnt lgkmcnt(3)
	buffer_store_dword v3, off, s[0:3], 0 offset:244
	;; [unrolled: 2-line block ×4, first 2 shown]
	s_waitcnt vmcnt(7)
	ds_bpermute_b32 v7, v14, v7
	s_waitcnt vmcnt(6)
	ds_bpermute_b32 v8, v14, v8
	;; [unrolled: 2-line block ×3, first 2 shown]
	v_cmp_eq_u32_e64 s[12:13], 0, v1
	s_waitcnt vmcnt(4)
	ds_bpermute_b32 v2, v14, v12
	s_waitcnt lgkmcnt(4)
	buffer_store_dword v6, off, s[0:3], 0 offset:256
	s_waitcnt lgkmcnt(3)
	buffer_store_dword v7, off, s[0:3], 0 offset:260
	;; [unrolled: 2-line block ×4, first 2 shown]
	s_waitcnt lgkmcnt(0)
	buffer_store_byte v2, off, s[0:3], 0 offset:272
	v_and_b32_e32 v2, 1, v2
	v_cmp_eq_u32_e64 s[16:17], 1, v2
	s_and_saveexec_b64 s[36:37], s[12:13]
	s_cbranch_execz .LBB2151_123
; %bb.122:
	buffer_load_dword v2, off, s[0:3], 0 offset:156
	buffer_load_dword v3, off, s[0:3], 0 offset:152
	;; [unrolled: 1-line block ×8, first 2 shown]
	v_and_b32_e32 v12, 1, v11
	v_cmp_eq_u32_e64 s[14:15], 1, v12
	s_andn2_b64 s[16:17], s[16:17], exec
	s_and_b64 s[14:15], s[14:15], exec
	s_or_b64 s[16:17], s[16:17], s[14:15]
	buffer_store_byte v11, off, s[0:3], 0 offset:272
	s_waitcnt vmcnt(8)
	buffer_store_dword v2, off, s[0:3], 0 offset:252
	s_waitcnt vmcnt(8)
	buffer_store_dword v3, off, s[0:3], 0 offset:248
	;; [unrolled: 2-line block ×8, first 2 shown]
.LBB2151_123:
	s_or_b64 exec, exec, s[36:37]
	s_and_saveexec_b64 s[36:37], vcc
	s_cbranch_execz .LBB2151_264
; %bb.124:
	v_mov_b32_e32 v11, 0
	ds_read2_b32 v[6:7], v11 offset0:27 offset1:28
	ds_read2_b32 v[8:9], v11 offset0:29 offset1:30
	;; [unrolled: 1-line block ×4, first 2 shown]
	ds_read_b32 v12, v11 offset:140
	s_waitcnt lgkmcnt(4)
	buffer_store_dword v7, off, s[0:3], 0 offset:112
	buffer_store_dword v6, off, s[0:3], 0 offset:108
	s_waitcnt lgkmcnt(3)
	buffer_store_dword v9, off, s[0:3], 0 offset:120
	buffer_store_dword v8, off, s[0:3], 0 offset:116
	;; [unrolled: 3-line block ×4, first 2 shown]
	s_waitcnt lgkmcnt(0)
	buffer_store_dword v12, off, s[0:3], 0 offset:140
	s_and_saveexec_b64 s[14:15], s[12:13]
	s_cbranch_execz .LBB2151_126
; %bb.125:
	s_add_i32 s42, s33, 64
	s_mul_i32 s40, s42, 36
	s_mul_hi_u32 s41, s42, 36
	s_add_u32 s40, s20, s40
	s_addc_u32 s41, s21, s41
	global_store_dwordx4 v11, v[6:9], s[40:41]
	global_store_dwordx4 v11, v[2:5], s[40:41] offset:16
	global_store_byte v11, v12, s[40:41] offset:32
	v_mov_b32_e32 v2, s42
	v_mov_b32_e32 v3, 1
	s_waitcnt vmcnt(0)
	buffer_wbinvl1_vol
	global_store_byte v2, v3, s[24:25]
.LBB2151_126:
	s_or_b64 exec, exec, s[14:15]
	s_mov_b32 s14, 0
	v_mov_b32_e32 v2, 0x48
	buffer_store_dword v11, off, s[0:3], 0 offset:100
	buffer_store_dword v11, off, s[0:3], 0 offset:96
	;; [unrolled: 1-line block ×9, first 2 shown]
.LBB2151_127:                           ; =>This Inner Loop Header: Depth=1
	v_add_u32_e32 v3, s14, v2
	s_add_i32 s14, s14, 8
	s_cmp_lg_u32 s14, 32
	buffer_store_dword v11, v3, s[0:3], 0 offen offset:4
	buffer_store_dword v11, v3, s[0:3], 0 offen
	s_cbranch_scc1 .LBB2151_127
; %bb.128:
	s_mov_b32 s14, 0
	v_mov_b32_e32 v2, 0
	v_mov_b32_e32 v3, 0
	buffer_store_byte v2, off, s[0:3], 0 offset:104
	buffer_store_dword v2, off, s[0:3], 0 offset:28
	buffer_store_dword v2, off, s[0:3], 0 offset:24
	;; [unrolled: 1-line block ×7, first 2 shown]
	buffer_store_dword v2, off, s[0:3], 0
	buffer_store_dword v2, off, s[0:3], 0 offset:32
.LBB2151_129:                           ; =>This Inner Loop Header: Depth=1
	v_add_u32_e32 v4, s14, v3
	s_add_i32 s14, s14, 8
	s_cmp_lg_u32 s14, 32
	buffer_store_dword v2, v4, s[0:3], 0 offen offset:4
	buffer_store_dword v2, v4, s[0:3], 0 offen
	s_cbranch_scc1 .LBB2151_129
; %bb.130:
	v_xad_u32 v12, v1, -1, s33
	v_mov_b32_e32 v2, 0
	buffer_store_byte v2, off, s[0:3], 0 offset:32
	v_add_u32_e32 v2, 64, v12
	global_load_ubyte v11, v2, s[24:25] glc
	s_waitcnt vmcnt(0)
	v_cmp_eq_u16_e32 vcc, 0, v11
	s_and_saveexec_b64 s[14:15], vcc
	s_cbranch_execz .LBB2151_134
; %bb.131:
	v_mov_b32_e32 v3, s25
	v_add_co_u32_e32 v4, vcc, s24, v2
	v_addc_co_u32_e32 v5, vcc, 0, v3, vcc
	s_mov_b64 s[40:41], 0
.LBB2151_132:                           ; =>This Inner Loop Header: Depth=1
	global_load_ubyte v11, v[4:5], off glc
	s_waitcnt vmcnt(0)
	v_cmp_ne_u16_e32 vcc, 0, v11
	s_or_b64 s[40:41], vcc, s[40:41]
	s_andn2_b64 exec, exec, s[40:41]
	s_cbranch_execnz .LBB2151_132
; %bb.133:
	s_or_b64 exec, exec, s[40:41]
.LBB2151_134:
	s_or_b64 exec, exec, s[14:15]
	v_mov_b32_e32 v3, s23
	v_mov_b32_e32 v4, s21
	v_cmp_eq_u16_e32 vcc, 1, v11
	v_cndmask_b32_e32 v5, v3, v4, vcc
	v_mov_b32_e32 v3, s22
	v_mov_b32_e32 v4, s20
	v_cndmask_b32_e32 v4, v3, v4, vcc
	v_mad_u64_u32 v[14:15], s[14:15], v2, 36, v[4:5]
	buffer_wbinvl1_vol
	global_load_dwordx4 v[2:5], v[14:15], off
	global_load_dwordx4 v[6:9], v[14:15], off offset:16
	global_load_ubyte v17, v[14:15], off offset:32
                                        ; kill: killed $vgpr14_vgpr15
	v_mov_b32_e32 v14, 0
	s_mov_b32 s14, 0
	v_mov_b32_e32 v15, 0x90
	buffer_store_dword v14, off, s[0:3], 0 offset:176
	s_waitcnt vmcnt(3)
	buffer_store_dword v5, off, s[0:3], 0 offset:12
	buffer_store_dword v4, off, s[0:3], 0 offset:8
	;; [unrolled: 1-line block ×3, first 2 shown]
	buffer_store_dword v2, off, s[0:3], 0
	s_waitcnt vmcnt(6)
	buffer_store_dword v9, off, s[0:3], 0 offset:28
	buffer_store_dword v8, off, s[0:3], 0 offset:24
	;; [unrolled: 1-line block ×4, first 2 shown]
	s_waitcnt vmcnt(9)
	buffer_store_byte v17, off, s[0:3], 0 offset:32
	buffer_store_dword v3, off, s[0:3], 0 offset:76
	buffer_store_dword v2, off, s[0:3], 0 offset:72
	;; [unrolled: 1-line block ×8, first 2 shown]
	buffer_store_byte v17, off, s[0:3], 0 offset:104
.LBB2151_135:                           ; =>This Inner Loop Header: Depth=1
	v_add_u32_e32 v17, s14, v15
	s_add_i32 s14, s14, 8
	s_cmp_lg_u32 s14, 32
	buffer_store_dword v14, v17, s[0:3], 0 offen offset:4
	buffer_store_dword v14, v17, s[0:3], 0 offen
	s_cbranch_scc1 .LBB2151_135
; %bb.136:
	buffer_load_dword v29, off, s[0:3], 0 offset:104
	v_lshlrev_b64 v[14:15], v1, -1
	v_cmp_eq_u16_e32 vcc, 2, v11
	v_and_b32_e32 v17, 63, v1
	v_and_b32_e32 v18, vcc_hi, v15
	v_and_b32_e32 v19, vcc_lo, v14
	v_cmp_ne_u32_e32 vcc, 63, v17
	v_addc_co_u32_e32 v20, vcc, 0, v1, vcc
	v_or_b32_e32 v21, 0x80000000, v18
	v_lshlrev_b32_e32 v18, 2, v20
	v_ffbl_b32_e32 v20, v21
	v_ffbl_b32_e32 v19, v19
	v_add_u32_e32 v20, 32, v20
	ds_bpermute_b32 v21, v18, v2
	ds_bpermute_b32 v25, v18, v6
	v_min_u32_e32 v30, v19, v20
	ds_bpermute_b32 v22, v18, v3
	ds_bpermute_b32 v26, v18, v7
	;; [unrolled: 1-line block ×6, first 2 shown]
	v_cmp_lt_u32_e32 vcc, v17, v30
	s_waitcnt lgkmcnt(7)
	buffer_store_dword v21, off, s[0:3], 0 offset:144
	s_waitcnt lgkmcnt(5)
	buffer_store_dword v22, off, s[0:3], 0 offset:148
	s_waitcnt lgkmcnt(3)
	buffer_store_dword v23, off, s[0:3], 0 offset:152
	s_waitcnt lgkmcnt(1)
	buffer_store_dword v24, off, s[0:3], 0 offset:156
	buffer_store_dword v25, off, s[0:3], 0 offset:160
	buffer_store_dword v26, off, s[0:3], 0 offset:164
	;; [unrolled: 1-line block ×3, first 2 shown]
	s_waitcnt lgkmcnt(0)
	buffer_store_dword v28, off, s[0:3], 0 offset:172
	s_waitcnt vmcnt(8)
	ds_bpermute_b32 v19, v18, v29
	s_and_saveexec_b64 s[14:15], vcc
	s_cbranch_execz .LBB2151_144
; %bb.137:
	v_mov_b32_e32 v20, 0
	v_cmp_eq_u16_sdwa s[42:43], v29, v20 src0_sel:BYTE_0 src1_sel:DWORD
	s_and_saveexec_b64 s[40:41], s[42:43]
	s_cbranch_execz .LBB2151_143
; %bb.138:
	s_mov_b32 s42, 0
	v_mov_b32_e32 v2, 36
.LBB2151_139:                           ; =>This Inner Loop Header: Depth=1
	v_add_u32_e32 v3, s42, v2
	s_add_i32 s42, s42, 8
	s_cmp_lg_u32 s42, 32
	buffer_store_dword v20, v3, s[0:3], 0 offen offset:4
	buffer_store_dword v20, v3, s[0:3], 0 offen
	s_cbranch_scc1 .LBB2151_139
; %bb.140:
	s_mov_b32 s42, 0
	v_mov_b32_e32 v2, 0x90
	v_mov_b32_e32 v3, 0x48
	;; [unrolled: 1-line block ×3, first 2 shown]
.LBB2151_141:                           ; =>This Inner Loop Header: Depth=1
	v_add_u32_e32 v5, s42, v2
	v_add_u32_e32 v6, s42, v3
	buffer_load_dword v7, v5, s[0:3], 0 offen offset:4
	buffer_load_dword v8, v6, s[0:3], 0 offen
	buffer_load_dword v9, v5, s[0:3], 0 offen
	buffer_load_dword v20, v6, s[0:3], 0 offen offset:4
                                        ; kill: killed $vgpr5
	v_add_u32_e32 v5, s42, v4
	s_add_i32 s42, s42, 8
	s_cmp_lg_u32 s42, 32
                                        ; kill: killed $vgpr6
	s_waitcnt vmcnt(1)
	v_add_u32_e32 v6, v8, v9
	s_waitcnt vmcnt(0)
	v_add_u32_e32 v7, v20, v7
	buffer_store_dword v7, v5, s[0:3], 0 offen offset:4
	buffer_store_dword v6, v5, s[0:3], 0 offen
	s_cbranch_scc1 .LBB2151_141
; %bb.142:
	buffer_load_dword v2, off, s[0:3], 0 offset:36
	buffer_load_dword v3, off, s[0:3], 0 offset:40
	;; [unrolled: 1-line block ×8, first 2 shown]
.LBB2151_143:
	s_or_b64 exec, exec, s[40:41]
	s_waitcnt lgkmcnt(0)
	v_or_b32_e32 v19, v19, v29
	v_and_b32_e32 v19, 1, v19
	buffer_store_byte v19, off, s[0:3], 0 offset:104
	buffer_load_dword v29, off, s[0:3], 0 offset:104
	s_waitcnt vmcnt(8)
	buffer_store_dword v3, off, s[0:3], 0 offset:76
	buffer_store_dword v2, off, s[0:3], 0 offset:72
	s_waitcnt vmcnt(8)
	buffer_store_dword v5, off, s[0:3], 0 offset:84
	buffer_store_dword v4, off, s[0:3], 0 offset:80
	;; [unrolled: 3-line block ×4, first 2 shown]
.LBB2151_144:
	s_or_b64 exec, exec, s[14:15]
	v_cmp_gt_u32_e32 vcc, 62, v17
	v_cndmask_b32_e64 v20, 0, 1, vcc
	v_lshlrev_b32_e32 v20, 1, v20
	v_add_lshl_u32 v20, v20, v1, 2
	ds_bpermute_b32 v22, v20, v2
	s_waitcnt vmcnt(8)
	ds_bpermute_b32 v21, v20, v29
	ds_bpermute_b32 v23, v20, v3
	;; [unrolled: 1-line block ×3, first 2 shown]
	s_waitcnt lgkmcnt(4)
	v_add_u32_e32 v19, 2, v17
	ds_bpermute_b32 v25, v20, v5
	ds_bpermute_b32 v26, v20, v6
	v_cmp_le_u32_e32 vcc, v19, v30
	ds_bpermute_b32 v27, v20, v7
	ds_bpermute_b32 v28, v20, v8
	;; [unrolled: 1-line block ×3, first 2 shown]
	s_waitcnt lgkmcnt(8)
	buffer_store_dword v22, off, s[0:3], 0 offset:144
	s_waitcnt lgkmcnt(6)
	buffer_store_dword v23, off, s[0:3], 0 offset:148
	;; [unrolled: 2-line block ×8, first 2 shown]
	s_and_saveexec_b64 s[40:41], vcc
	s_cbranch_execz .LBB2151_152
; %bb.145:
	v_mov_b32_e32 v22, 0
	s_mov_b32 s42, 0
	v_cmp_eq_u16_sdwa s[44:45], v29, v22 src0_sel:BYTE_0 src1_sel:DWORD
	s_and_saveexec_b64 s[14:15], s[44:45]
	s_cbranch_execz .LBB2151_151
; %bb.146:
	v_mov_b32_e32 v2, 36
.LBB2151_147:                           ; =>This Inner Loop Header: Depth=1
	v_add_u32_e32 v3, s42, v2
	s_add_i32 s42, s42, 8
	s_cmp_lg_u32 s42, 32
	buffer_store_dword v22, v3, s[0:3], 0 offen offset:4
	buffer_store_dword v22, v3, s[0:3], 0 offen
	s_cbranch_scc1 .LBB2151_147
; %bb.148:
	s_mov_b32 s42, 0
	v_mov_b32_e32 v2, 0x90
	v_mov_b32_e32 v3, 0x48
	v_mov_b32_e32 v4, 36
.LBB2151_149:                           ; =>This Inner Loop Header: Depth=1
	v_add_u32_e32 v5, s42, v2
	v_add_u32_e32 v6, s42, v3
	buffer_load_dword v7, v5, s[0:3], 0 offen offset:4
	buffer_load_dword v8, v6, s[0:3], 0 offen
	buffer_load_dword v9, v5, s[0:3], 0 offen
	buffer_load_dword v22, v6, s[0:3], 0 offen offset:4
                                        ; kill: killed $vgpr5
	v_add_u32_e32 v5, s42, v4
	s_add_i32 s42, s42, 8
	s_cmp_lg_u32 s42, 32
                                        ; kill: killed $vgpr6
	s_waitcnt vmcnt(1)
	v_add_u32_e32 v6, v8, v9
	s_waitcnt vmcnt(0)
	v_add_u32_e32 v7, v22, v7
	buffer_store_dword v7, v5, s[0:3], 0 offen offset:4
	buffer_store_dword v6, v5, s[0:3], 0 offen
	s_cbranch_scc1 .LBB2151_149
; %bb.150:
	buffer_load_dword v2, off, s[0:3], 0 offset:36
	buffer_load_dword v3, off, s[0:3], 0 offset:40
	;; [unrolled: 1-line block ×8, first 2 shown]
.LBB2151_151:
	s_or_b64 exec, exec, s[14:15]
	v_and_b32_e32 v22, 1, v29
	v_and_b32_e32 v21, 1, v21
	v_cmp_eq_u32_e32 vcc, 1, v22
	v_cmp_eq_u32_e64 s[14:15], 1, v21
	s_or_b64 s[14:15], vcc, s[14:15]
	v_cndmask_b32_e64 v21, 0, 1, s[14:15]
	buffer_store_byte v21, off, s[0:3], 0 offset:104
	buffer_load_dword v29, off, s[0:3], 0 offset:104
	s_waitcnt vmcnt(8)
	buffer_store_dword v3, off, s[0:3], 0 offset:76
	buffer_store_dword v2, off, s[0:3], 0 offset:72
	s_waitcnt vmcnt(8)
	buffer_store_dword v5, off, s[0:3], 0 offset:84
	buffer_store_dword v4, off, s[0:3], 0 offset:80
	;; [unrolled: 3-line block ×4, first 2 shown]
.LBB2151_152:
	s_or_b64 exec, exec, s[40:41]
	v_cmp_gt_u32_e32 vcc, 60, v17
	v_cndmask_b32_e64 v22, 0, 1, vcc
	v_lshlrev_b32_e32 v22, 2, v22
	v_add_lshl_u32 v22, v22, v1, 2
	ds_bpermute_b32 v24, v22, v2
	s_waitcnt vmcnt(8)
	ds_bpermute_b32 v23, v22, v29
	ds_bpermute_b32 v25, v22, v3
	;; [unrolled: 1-line block ×3, first 2 shown]
	v_add_u32_e32 v21, 4, v17
	ds_bpermute_b32 v27, v22, v5
	ds_bpermute_b32 v28, v22, v6
	v_cmp_le_u32_e32 vcc, v21, v30
	ds_bpermute_b32 v31, v22, v7
	ds_bpermute_b32 v32, v22, v8
	;; [unrolled: 1-line block ×3, first 2 shown]
	s_waitcnt lgkmcnt(8)
	buffer_store_dword v24, off, s[0:3], 0 offset:144
	s_waitcnt lgkmcnt(6)
	buffer_store_dword v25, off, s[0:3], 0 offset:148
	;; [unrolled: 2-line block ×8, first 2 shown]
	s_and_saveexec_b64 s[40:41], vcc
	s_cbranch_execz .LBB2151_160
; %bb.153:
	v_mov_b32_e32 v24, 0
	s_mov_b32 s42, 0
	v_cmp_eq_u16_sdwa s[44:45], v29, v24 src0_sel:BYTE_0 src1_sel:DWORD
	s_and_saveexec_b64 s[14:15], s[44:45]
	s_cbranch_execz .LBB2151_159
; %bb.154:
	v_mov_b32_e32 v2, 36
.LBB2151_155:                           ; =>This Inner Loop Header: Depth=1
	v_add_u32_e32 v3, s42, v2
	s_add_i32 s42, s42, 8
	s_cmp_lg_u32 s42, 32
	buffer_store_dword v24, v3, s[0:3], 0 offen offset:4
	buffer_store_dword v24, v3, s[0:3], 0 offen
	s_cbranch_scc1 .LBB2151_155
; %bb.156:
	s_mov_b32 s42, 0
	v_mov_b32_e32 v2, 0x90
	v_mov_b32_e32 v3, 0x48
	;; [unrolled: 1-line block ×3, first 2 shown]
.LBB2151_157:                           ; =>This Inner Loop Header: Depth=1
	v_add_u32_e32 v5, s42, v2
	v_add_u32_e32 v6, s42, v3
	buffer_load_dword v7, v5, s[0:3], 0 offen offset:4
	buffer_load_dword v8, v6, s[0:3], 0 offen
	buffer_load_dword v9, v5, s[0:3], 0 offen
	buffer_load_dword v24, v6, s[0:3], 0 offen offset:4
                                        ; kill: killed $vgpr5
	v_add_u32_e32 v5, s42, v4
	s_add_i32 s42, s42, 8
	s_cmp_lg_u32 s42, 32
                                        ; kill: killed $vgpr6
	s_waitcnt vmcnt(1)
	v_add_u32_e32 v6, v8, v9
	s_waitcnt vmcnt(0)
	v_add_u32_e32 v7, v24, v7
	buffer_store_dword v7, v5, s[0:3], 0 offen offset:4
	buffer_store_dword v6, v5, s[0:3], 0 offen
	s_cbranch_scc1 .LBB2151_157
; %bb.158:
	buffer_load_dword v2, off, s[0:3], 0 offset:36
	buffer_load_dword v3, off, s[0:3], 0 offset:40
	;; [unrolled: 1-line block ×8, first 2 shown]
.LBB2151_159:
	s_or_b64 exec, exec, s[14:15]
	v_and_b32_e32 v24, 1, v29
	v_and_b32_e32 v23, 1, v23
	v_cmp_eq_u32_e32 vcc, 1, v24
	v_cmp_eq_u32_e64 s[14:15], 1, v23
	s_or_b64 s[14:15], vcc, s[14:15]
	v_cndmask_b32_e64 v23, 0, 1, s[14:15]
	buffer_store_byte v23, off, s[0:3], 0 offset:104
	buffer_load_dword v29, off, s[0:3], 0 offset:104
	s_waitcnt vmcnt(8)
	buffer_store_dword v3, off, s[0:3], 0 offset:76
	buffer_store_dword v2, off, s[0:3], 0 offset:72
	s_waitcnt vmcnt(8)
	buffer_store_dword v5, off, s[0:3], 0 offset:84
	buffer_store_dword v4, off, s[0:3], 0 offset:80
	;; [unrolled: 3-line block ×4, first 2 shown]
.LBB2151_160:
	s_or_b64 exec, exec, s[40:41]
	v_cmp_gt_u32_e32 vcc, 56, v17
	v_cndmask_b32_e64 v24, 0, 1, vcc
	v_lshlrev_b32_e32 v24, 3, v24
	v_add_lshl_u32 v24, v24, v1, 2
	ds_bpermute_b32 v26, v24, v2
	s_waitcnt vmcnt(8)
	ds_bpermute_b32 v25, v24, v29
	ds_bpermute_b32 v27, v24, v3
	;; [unrolled: 1-line block ×3, first 2 shown]
	v_add_u32_e32 v23, 8, v17
	ds_bpermute_b32 v31, v24, v5
	ds_bpermute_b32 v32, v24, v6
	v_cmp_le_u32_e32 vcc, v23, v30
	ds_bpermute_b32 v33, v24, v7
	ds_bpermute_b32 v34, v24, v8
	;; [unrolled: 1-line block ×3, first 2 shown]
	s_waitcnt lgkmcnt(8)
	buffer_store_dword v26, off, s[0:3], 0 offset:144
	s_waitcnt lgkmcnt(6)
	buffer_store_dword v27, off, s[0:3], 0 offset:148
	s_waitcnt lgkmcnt(5)
	buffer_store_dword v28, off, s[0:3], 0 offset:152
	s_waitcnt lgkmcnt(4)
	buffer_store_dword v31, off, s[0:3], 0 offset:156
	s_waitcnt lgkmcnt(3)
	buffer_store_dword v32, off, s[0:3], 0 offset:160
	s_waitcnt lgkmcnt(2)
	buffer_store_dword v33, off, s[0:3], 0 offset:164
	s_waitcnt lgkmcnt(1)
	buffer_store_dword v34, off, s[0:3], 0 offset:168
	s_waitcnt lgkmcnt(0)
	buffer_store_dword v35, off, s[0:3], 0 offset:172
	s_and_saveexec_b64 s[40:41], vcc
	s_cbranch_execz .LBB2151_168
; %bb.161:
	v_mov_b32_e32 v26, 0
	s_mov_b32 s42, 0
	v_cmp_eq_u16_sdwa s[44:45], v29, v26 src0_sel:BYTE_0 src1_sel:DWORD
	s_and_saveexec_b64 s[14:15], s[44:45]
	s_cbranch_execz .LBB2151_167
; %bb.162:
	v_mov_b32_e32 v2, 36
.LBB2151_163:                           ; =>This Inner Loop Header: Depth=1
	v_add_u32_e32 v3, s42, v2
	s_add_i32 s42, s42, 8
	s_cmp_lg_u32 s42, 32
	buffer_store_dword v26, v3, s[0:3], 0 offen offset:4
	buffer_store_dword v26, v3, s[0:3], 0 offen
	s_cbranch_scc1 .LBB2151_163
; %bb.164:
	s_mov_b32 s42, 0
	v_mov_b32_e32 v2, 0x90
	v_mov_b32_e32 v3, 0x48
	;; [unrolled: 1-line block ×3, first 2 shown]
.LBB2151_165:                           ; =>This Inner Loop Header: Depth=1
	v_add_u32_e32 v5, s42, v2
	v_add_u32_e32 v6, s42, v3
	buffer_load_dword v7, v5, s[0:3], 0 offen offset:4
	buffer_load_dword v8, v6, s[0:3], 0 offen
	buffer_load_dword v9, v5, s[0:3], 0 offen
	buffer_load_dword v26, v6, s[0:3], 0 offen offset:4
                                        ; kill: killed $vgpr5
	v_add_u32_e32 v5, s42, v4
	s_add_i32 s42, s42, 8
	s_cmp_lg_u32 s42, 32
                                        ; kill: killed $vgpr6
	s_waitcnt vmcnt(1)
	v_add_u32_e32 v6, v8, v9
	s_waitcnt vmcnt(0)
	v_add_u32_e32 v7, v26, v7
	buffer_store_dword v7, v5, s[0:3], 0 offen offset:4
	buffer_store_dword v6, v5, s[0:3], 0 offen
	s_cbranch_scc1 .LBB2151_165
; %bb.166:
	buffer_load_dword v2, off, s[0:3], 0 offset:36
	buffer_load_dword v3, off, s[0:3], 0 offset:40
	;; [unrolled: 1-line block ×8, first 2 shown]
.LBB2151_167:
	s_or_b64 exec, exec, s[14:15]
	v_and_b32_e32 v26, 1, v29
	v_and_b32_e32 v25, 1, v25
	v_cmp_eq_u32_e32 vcc, 1, v26
	v_cmp_eq_u32_e64 s[14:15], 1, v25
	s_or_b64 s[14:15], vcc, s[14:15]
	v_cndmask_b32_e64 v25, 0, 1, s[14:15]
	buffer_store_byte v25, off, s[0:3], 0 offset:104
	buffer_load_dword v29, off, s[0:3], 0 offset:104
	s_waitcnt vmcnt(8)
	buffer_store_dword v3, off, s[0:3], 0 offset:76
	buffer_store_dword v2, off, s[0:3], 0 offset:72
	s_waitcnt vmcnt(8)
	buffer_store_dword v5, off, s[0:3], 0 offset:84
	buffer_store_dword v4, off, s[0:3], 0 offset:80
	;; [unrolled: 3-line block ×4, first 2 shown]
.LBB2151_168:
	s_or_b64 exec, exec, s[40:41]
	v_cmp_gt_u32_e32 vcc, 48, v17
	v_cndmask_b32_e64 v26, 0, 1, vcc
	v_lshlrev_b32_e32 v26, 4, v26
	v_add_lshl_u32 v26, v26, v1, 2
	ds_bpermute_b32 v28, v26, v2
	s_waitcnt vmcnt(8)
	ds_bpermute_b32 v27, v26, v29
	ds_bpermute_b32 v31, v26, v3
	;; [unrolled: 1-line block ×3, first 2 shown]
	v_add_u32_e32 v25, 16, v17
	ds_bpermute_b32 v33, v26, v5
	ds_bpermute_b32 v34, v26, v6
	v_cmp_le_u32_e32 vcc, v25, v30
	ds_bpermute_b32 v35, v26, v7
	ds_bpermute_b32 v36, v26, v8
	;; [unrolled: 1-line block ×3, first 2 shown]
	s_waitcnt lgkmcnt(8)
	buffer_store_dword v28, off, s[0:3], 0 offset:144
	s_waitcnt lgkmcnt(6)
	buffer_store_dword v31, off, s[0:3], 0 offset:148
	;; [unrolled: 2-line block ×8, first 2 shown]
	s_and_saveexec_b64 s[40:41], vcc
	s_cbranch_execz .LBB2151_176
; %bb.169:
	v_mov_b32_e32 v28, 0
	s_mov_b32 s42, 0
	v_cmp_eq_u16_sdwa s[44:45], v29, v28 src0_sel:BYTE_0 src1_sel:DWORD
	s_and_saveexec_b64 s[14:15], s[44:45]
	s_cbranch_execz .LBB2151_175
; %bb.170:
	v_mov_b32_e32 v2, 36
.LBB2151_171:                           ; =>This Inner Loop Header: Depth=1
	v_add_u32_e32 v3, s42, v2
	s_add_i32 s42, s42, 8
	s_cmp_lg_u32 s42, 32
	buffer_store_dword v28, v3, s[0:3], 0 offen offset:4
	buffer_store_dword v28, v3, s[0:3], 0 offen
	s_cbranch_scc1 .LBB2151_171
; %bb.172:
	s_mov_b32 s42, 0
	v_mov_b32_e32 v2, 0x90
	v_mov_b32_e32 v3, 0x48
	;; [unrolled: 1-line block ×3, first 2 shown]
.LBB2151_173:                           ; =>This Inner Loop Header: Depth=1
	v_add_u32_e32 v5, s42, v2
	v_add_u32_e32 v6, s42, v3
	buffer_load_dword v7, v5, s[0:3], 0 offen offset:4
	buffer_load_dword v8, v6, s[0:3], 0 offen
	buffer_load_dword v9, v5, s[0:3], 0 offen
	buffer_load_dword v28, v6, s[0:3], 0 offen offset:4
                                        ; kill: killed $vgpr5
	v_add_u32_e32 v5, s42, v4
	s_add_i32 s42, s42, 8
	s_cmp_lg_u32 s42, 32
                                        ; kill: killed $vgpr6
	s_waitcnt vmcnt(1)
	v_add_u32_e32 v6, v8, v9
	s_waitcnt vmcnt(0)
	v_add_u32_e32 v7, v28, v7
	buffer_store_dword v7, v5, s[0:3], 0 offen offset:4
	buffer_store_dword v6, v5, s[0:3], 0 offen
	s_cbranch_scc1 .LBB2151_173
; %bb.174:
	buffer_load_dword v2, off, s[0:3], 0 offset:36
	buffer_load_dword v3, off, s[0:3], 0 offset:40
	;; [unrolled: 1-line block ×8, first 2 shown]
.LBB2151_175:
	s_or_b64 exec, exec, s[14:15]
	v_and_b32_e32 v28, 1, v29
	v_and_b32_e32 v27, 1, v27
	v_cmp_eq_u32_e32 vcc, 1, v28
	v_cmp_eq_u32_e64 s[14:15], 1, v27
	s_or_b64 s[14:15], vcc, s[14:15]
	v_cndmask_b32_e64 v27, 0, 1, s[14:15]
	buffer_store_byte v27, off, s[0:3], 0 offset:104
	buffer_load_dword v29, off, s[0:3], 0 offset:104
	s_waitcnt vmcnt(8)
	buffer_store_dword v3, off, s[0:3], 0 offset:76
	buffer_store_dword v2, off, s[0:3], 0 offset:72
	s_waitcnt vmcnt(8)
	buffer_store_dword v5, off, s[0:3], 0 offset:84
	buffer_store_dword v4, off, s[0:3], 0 offset:80
	;; [unrolled: 3-line block ×4, first 2 shown]
.LBB2151_176:
	s_or_b64 exec, exec, s[40:41]
	v_cmp_gt_u32_e32 vcc, 32, v17
	v_cndmask_b32_e64 v28, 0, 1, vcc
	v_lshlrev_b32_e32 v28, 5, v28
	v_add_lshl_u32 v28, v28, v1, 2
	ds_bpermute_b32 v31, v28, v2
	s_waitcnt vmcnt(8)
	ds_bpermute_b32 v1, v28, v29
	ds_bpermute_b32 v32, v28, v3
	;; [unrolled: 1-line block ×3, first 2 shown]
	v_add_u32_e32 v27, 32, v17
	ds_bpermute_b32 v34, v28, v5
	ds_bpermute_b32 v35, v28, v6
	v_cmp_le_u32_e32 vcc, v27, v30
	ds_bpermute_b32 v36, v28, v7
	ds_bpermute_b32 v37, v28, v8
	;; [unrolled: 1-line block ×3, first 2 shown]
	s_waitcnt lgkmcnt(8)
	buffer_store_dword v31, off, s[0:3], 0 offset:144
	s_waitcnt lgkmcnt(6)
	buffer_store_dword v32, off, s[0:3], 0 offset:148
	;; [unrolled: 2-line block ×8, first 2 shown]
	s_and_saveexec_b64 s[40:41], vcc
	s_cbranch_execz .LBB2151_184
; %bb.177:
	v_mov_b32_e32 v30, 0
	s_mov_b32 s42, 0
	v_cmp_eq_u16_sdwa s[44:45], v29, v30 src0_sel:BYTE_0 src1_sel:DWORD
	s_and_saveexec_b64 s[14:15], s[44:45]
	s_cbranch_execz .LBB2151_183
; %bb.178:
	v_mov_b32_e32 v2, 36
.LBB2151_179:                           ; =>This Inner Loop Header: Depth=1
	v_add_u32_e32 v3, s42, v2
	s_add_i32 s42, s42, 8
	s_cmp_lg_u32 s42, 32
	buffer_store_dword v30, v3, s[0:3], 0 offen offset:4
	buffer_store_dword v30, v3, s[0:3], 0 offen
	s_cbranch_scc1 .LBB2151_179
; %bb.180:
	s_mov_b32 s42, 0
	v_mov_b32_e32 v2, 0x90
	v_mov_b32_e32 v3, 0x48
	;; [unrolled: 1-line block ×3, first 2 shown]
.LBB2151_181:                           ; =>This Inner Loop Header: Depth=1
	v_add_u32_e32 v5, s42, v2
	v_add_u32_e32 v6, s42, v3
	buffer_load_dword v7, v5, s[0:3], 0 offen offset:4
	buffer_load_dword v8, v6, s[0:3], 0 offen
	buffer_load_dword v9, v5, s[0:3], 0 offen
	buffer_load_dword v30, v6, s[0:3], 0 offen offset:4
                                        ; kill: killed $vgpr5
	v_add_u32_e32 v5, s42, v4
	s_add_i32 s42, s42, 8
	s_cmp_lg_u32 s42, 32
                                        ; kill: killed $vgpr6
	s_waitcnt vmcnt(1)
	v_add_u32_e32 v6, v8, v9
	s_waitcnt vmcnt(0)
	v_add_u32_e32 v7, v30, v7
	buffer_store_dword v7, v5, s[0:3], 0 offen offset:4
	buffer_store_dword v6, v5, s[0:3], 0 offen
	s_cbranch_scc1 .LBB2151_181
; %bb.182:
	buffer_load_dword v2, off, s[0:3], 0 offset:36
	buffer_load_dword v3, off, s[0:3], 0 offset:40
	;; [unrolled: 1-line block ×8, first 2 shown]
.LBB2151_183:
	s_or_b64 exec, exec, s[14:15]
	v_and_b32_e32 v29, 1, v29
	v_and_b32_e32 v1, 1, v1
	v_cmp_eq_u32_e32 vcc, 1, v29
	v_cmp_eq_u32_e64 s[14:15], 1, v1
	s_or_b64 s[14:15], vcc, s[14:15]
	v_cndmask_b32_e64 v1, 0, 1, s[14:15]
	s_waitcnt vmcnt(6)
	buffer_store_dword v3, off, s[0:3], 0 offset:76
	buffer_store_dword v2, off, s[0:3], 0 offset:72
	s_waitcnt vmcnt(6)
	buffer_store_dword v5, off, s[0:3], 0 offset:84
	buffer_store_dword v4, off, s[0:3], 0 offset:80
	;; [unrolled: 3-line block ×4, first 2 shown]
	buffer_store_byte v1, off, s[0:3], 0 offset:104
.LBB2151_184:
	s_or_b64 exec, exec, s[40:41]
	buffer_load_dword v1, off, s[0:3], 0 offset:84
	buffer_load_dword v2, off, s[0:3], 0 offset:80
	;; [unrolled: 1-line block ×9, first 2 shown]
	s_load_dwordx2 s[4:5], s[4:5], 0x4
	v_bfe_u32 v32, v0, 10, 10
	v_bfe_u32 v0, v0, 20, 10
	v_mov_b32_e32 v35, 0x6000
	v_mov_b32_e32 v8, 0
	s_waitcnt lgkmcnt(0)
	s_lshr_b32 s4, s4, 16
	s_mul_i32 s4, s4, s5
	v_mul_u32_u24_e32 v32, s5, v32
	v_mul_lo_u32 v36, s4, v10
	v_add3_u32 v0, v36, v32, v0
	v_mov_b32_e32 v9, 0
	v_mov_b32_e32 v29, 0x90
	;; [unrolled: 1-line block ×4, first 2 shown]
	v_lshl_add_u32 v32, v0, 5, v35
	s_waitcnt vmcnt(8)
	buffer_store_dword v1, off, s[0:3], 0 offset:48
	s_waitcnt vmcnt(8)
	buffer_store_dword v2, off, s[0:3], 0 offset:44
	;; [unrolled: 2-line block ×9, first 2 shown]
	v_mov_b32_e32 v33, 2
	s_branch .LBB2151_186
.LBB2151_185:                           ;   in Loop: Header=BB2151_186 Depth=1
                                        ; implicit-def: $vgpr12
                                        ; implicit-def: $vgpr11
	s_cbranch_execnz .LBB2151_252
.LBB2151_186:                           ; =>This Loop Header: Depth=1
                                        ;     Child Loop BB2151_188 Depth 2
                                        ;     Child Loop BB2151_191 Depth 2
	;; [unrolled: 1-line block ×17, first 2 shown]
	v_cmp_ne_u16_sdwa s[4:5], v11, v33 src0_sel:BYTE_0 src1_sel:DWORD
	v_cndmask_b32_e64 v0, 0, 1, s[4:5]
	;;#ASMSTART
	;;#ASMEND
	v_cmp_ne_u32_e32 vcc, 0, v0
	s_cmp_lg_u64 vcc, exec
	s_cbranch_scc1 .LBB2151_185
; %bb.187:                              ;   in Loop: Header=BB2151_186 Depth=1
	s_mov_b32 s4, 0
	buffer_store_dword v8, off, s[0:3], 0 offset:28
	buffer_store_dword v8, off, s[0:3], 0 offset:24
	;; [unrolled: 1-line block ×7, first 2 shown]
	buffer_store_dword v8, off, s[0:3], 0
	buffer_store_dword v8, off, s[0:3], 0 offset:32
.LBB2151_188:                           ;   Parent Loop BB2151_186 Depth=1
                                        ; =>  This Inner Loop Header: Depth=2
	v_add_u32_e32 v0, s4, v9
	s_add_i32 s4, s4, 8
	s_cmp_lg_u32 s4, 32
	buffer_store_dword v8, v0, s[0:3], 0 offen offset:4
	buffer_store_dword v8, v0, s[0:3], 0 offen
	s_cbranch_scc1 .LBB2151_188
; %bb.189:                              ;   in Loop: Header=BB2151_186 Depth=1
	buffer_store_byte v8, off, s[0:3], 0 offset:32
	global_load_ubyte v11, v12, s[24:25] glc
	s_waitcnt vmcnt(0)
	v_cmp_eq_u16_e32 vcc, 0, v11
	s_and_saveexec_b64 s[4:5], vcc
	s_cbranch_execz .LBB2151_193
; %bb.190:                              ;   in Loop: Header=BB2151_186 Depth=1
	v_mov_b32_e32 v1, s25
	v_add_co_u32_e32 v0, vcc, s24, v12
	v_addc_co_u32_e32 v1, vcc, 0, v1, vcc
	s_mov_b64 s[14:15], 0
.LBB2151_191:                           ;   Parent Loop BB2151_186 Depth=1
                                        ; =>  This Inner Loop Header: Depth=2
	global_load_ubyte v11, v[0:1], off glc
	s_waitcnt vmcnt(0)
	v_cmp_ne_u16_e32 vcc, 0, v11
	s_or_b64 s[14:15], vcc, s[14:15]
	s_andn2_b64 exec, exec, s[14:15]
	s_cbranch_execnz .LBB2151_191
; %bb.192:                              ;   in Loop: Header=BB2151_186 Depth=1
	s_or_b64 exec, exec, s[14:15]
.LBB2151_193:                           ;   in Loop: Header=BB2151_186 Depth=1
	s_or_b64 exec, exec, s[4:5]
	v_mov_b32_e32 v0, s23
	v_mov_b32_e32 v1, s21
	v_cmp_eq_u16_e32 vcc, 1, v11
	v_cndmask_b32_e32 v1, v0, v1, vcc
	v_mov_b32_e32 v0, s22
	v_mov_b32_e32 v2, s20
	v_cndmask_b32_e32 v0, v0, v2, vcc
	v_mad_u64_u32 v[34:35], s[4:5], v12, 36, v[0:1]
	buffer_wbinvl1_vol
	global_load_dwordx4 v[0:3], v[34:35], off
	global_load_dwordx4 v[4:7], v[34:35], off offset:16
	global_load_ubyte v36, v[34:35], off offset:32
	s_mov_b32 s4, 0
                                        ; kill: killed $vgpr34_vgpr35
	buffer_store_dword v8, off, s[0:3], 0 offset:176
	s_waitcnt vmcnt(3)
	buffer_store_dword v3, off, s[0:3], 0 offset:12
	buffer_store_dword v2, off, s[0:3], 0 offset:8
	;; [unrolled: 1-line block ×3, first 2 shown]
	buffer_store_dword v0, off, s[0:3], 0
	s_waitcnt vmcnt(6)
	buffer_store_dword v7, off, s[0:3], 0 offset:28
	buffer_store_dword v6, off, s[0:3], 0 offset:24
	;; [unrolled: 1-line block ×4, first 2 shown]
	s_waitcnt vmcnt(9)
	buffer_store_byte v36, off, s[0:3], 0 offset:32
	buffer_store_dword v1, off, s[0:3], 0 offset:76
	buffer_store_dword v0, off, s[0:3], 0 offset:72
	;; [unrolled: 1-line block ×8, first 2 shown]
	buffer_store_byte v36, off, s[0:3], 0 offset:104
.LBB2151_194:                           ;   Parent Loop BB2151_186 Depth=1
                                        ; =>  This Inner Loop Header: Depth=2
	v_add_u32_e32 v34, s4, v29
	s_add_i32 s4, s4, 8
	s_cmp_lg_u32 s4, 32
	buffer_store_dword v8, v34, s[0:3], 0 offen offset:4
	buffer_store_dword v8, v34, s[0:3], 0 offen
	s_cbranch_scc1 .LBB2151_194
; %bb.195:                              ;   in Loop: Header=BB2151_186 Depth=1
	buffer_load_dword v35, off, s[0:3], 0 offset:104
	ds_bpermute_b32 v36, v18, v0
	ds_bpermute_b32 v37, v18, v1
	;; [unrolled: 1-line block ×3, first 2 shown]
	v_cmp_eq_u16_e32 vcc, 2, v11
	ds_bpermute_b32 v39, v18, v3
	v_and_b32_e32 v34, vcc_hi, v15
	ds_bpermute_b32 v40, v18, v4
	v_or_b32_e32 v34, 0x80000000, v34
	s_waitcnt lgkmcnt(4)
	buffer_store_dword v36, off, s[0:3], 0 offset:144
	s_waitcnt lgkmcnt(3)
	buffer_store_dword v37, off, s[0:3], 0 offset:148
	;; [unrolled: 2-line block ×4, first 2 shown]
	ds_bpermute_b32 v41, v18, v5
	v_and_b32_e32 v44, vcc_lo, v14
	v_ffbl_b32_e32 v34, v34
	ds_bpermute_b32 v42, v18, v6
	v_ffbl_b32_e32 v44, v44
	v_add_u32_e32 v34, 32, v34
	ds_bpermute_b32 v43, v18, v7
	v_min_u32_e32 v34, v44, v34
	v_cmp_lt_u32_e32 vcc, v17, v34
	s_waitcnt lgkmcnt(3)
	buffer_store_dword v40, off, s[0:3], 0 offset:160
	s_waitcnt lgkmcnt(2)
	buffer_store_dword v41, off, s[0:3], 0 offset:164
	;; [unrolled: 2-line block ×4, first 2 shown]
	s_waitcnt vmcnt(8)
	ds_bpermute_b32 v36, v18, v35
	s_and_saveexec_b64 s[4:5], vcc
	s_cbranch_execz .LBB2151_203
; %bb.196:                              ;   in Loop: Header=BB2151_186 Depth=1
	v_cmp_eq_u16_sdwa s[40:41], v35, v8 src0_sel:BYTE_0 src1_sel:DWORD
	s_and_saveexec_b64 s[14:15], s[40:41]
	s_cbranch_execz .LBB2151_202
; %bb.197:                              ;   in Loop: Header=BB2151_186 Depth=1
	s_mov_b32 s40, 0
.LBB2151_198:                           ;   Parent Loop BB2151_186 Depth=1
                                        ; =>  This Inner Loop Header: Depth=2
	v_add_u32_e32 v0, s40, v32
	s_add_i32 s40, s40, 8
	s_cmp_lg_u32 s40, 32
	ds_write2_b32 v0, v8, v8 offset1:1
	s_cbranch_scc1 .LBB2151_198
; %bb.199:                              ;   in Loop: Header=BB2151_186 Depth=1
	s_mov_b32 s40, 0
.LBB2151_200:                           ;   Parent Loop BB2151_186 Depth=1
                                        ; =>  This Inner Loop Header: Depth=2
	v_add_u32_e32 v0, s40, v29
	v_add_u32_e32 v1, s40, v30
	buffer_load_dword v2, v0, s[0:3], 0 offen offset:4
	buffer_load_dword v3, v0, s[0:3], 0 offen
	buffer_load_dword v4, v1, s[0:3], 0 offen offset:4
	buffer_load_dword v5, v1, s[0:3], 0 offen
                                        ; kill: killed $vgpr0
	v_add_u32_e32 v0, s40, v32
	s_add_i32 s40, s40, 8
                                        ; kill: killed $vgpr1
	s_cmp_lg_u32 s40, 32
	s_waitcnt vmcnt(1)
	v_add_u32_e32 v1, v4, v2
	s_waitcnt vmcnt(0)
	v_add_u32_e32 v2, v5, v3
	ds_write2_b32 v0, v2, v1 offset1:1
	s_cbranch_scc1 .LBB2151_200
; %bb.201:                              ;   in Loop: Header=BB2151_186 Depth=1
	ds_read2_b32 v[0:1], v32 offset1:1
	ds_read2_b32 v[2:3], v32 offset0:2 offset1:3
	ds_read2_b32 v[4:5], v32 offset0:4 offset1:5
	;; [unrolled: 1-line block ×3, first 2 shown]
.LBB2151_202:                           ;   in Loop: Header=BB2151_186 Depth=1
	s_or_b64 exec, exec, s[14:15]
	s_waitcnt lgkmcnt(0)
	v_or_b32_e32 v35, v36, v35
	v_and_b32_e32 v35, 1, v35
	buffer_store_byte v35, off, s[0:3], 0 offset:104
	buffer_load_dword v35, off, s[0:3], 0 offset:104
	s_nop 0
	buffer_store_dword v1, off, s[0:3], 0 offset:76
	buffer_store_dword v0, off, s[0:3], 0 offset:72
	;; [unrolled: 1-line block ×8, first 2 shown]
.LBB2151_203:                           ;   in Loop: Header=BB2151_186 Depth=1
	s_or_b64 exec, exec, s[4:5]
	ds_bpermute_b32 v37, v20, v0
	s_waitcnt vmcnt(8) lgkmcnt(1)
	ds_bpermute_b32 v36, v20, v35
	ds_bpermute_b32 v38, v20, v1
	;; [unrolled: 1-line block ×5, first 2 shown]
	v_cmp_le_u32_e32 vcc, v19, v34
	ds_bpermute_b32 v42, v20, v5
	ds_bpermute_b32 v43, v20, v6
	;; [unrolled: 1-line block ×3, first 2 shown]
	s_waitcnt lgkmcnt(8)
	buffer_store_dword v37, off, s[0:3], 0 offset:144
	s_waitcnt lgkmcnt(6)
	buffer_store_dword v38, off, s[0:3], 0 offset:148
	;; [unrolled: 2-line block ×8, first 2 shown]
	s_and_saveexec_b64 s[14:15], vcc
	s_cbranch_execz .LBB2151_211
; %bb.204:                              ;   in Loop: Header=BB2151_186 Depth=1
	v_cmp_eq_u16_sdwa s[40:41], v35, v8 src0_sel:BYTE_0 src1_sel:DWORD
	s_and_saveexec_b64 s[4:5], s[40:41]
	s_cbranch_execz .LBB2151_210
; %bb.205:                              ;   in Loop: Header=BB2151_186 Depth=1
	s_mov_b32 s40, 0
.LBB2151_206:                           ;   Parent Loop BB2151_186 Depth=1
                                        ; =>  This Inner Loop Header: Depth=2
	v_add_u32_e32 v0, s40, v32
	s_add_i32 s40, s40, 8
	s_cmp_lg_u32 s40, 32
	ds_write2_b32 v0, v8, v8 offset1:1
	s_cbranch_scc1 .LBB2151_206
; %bb.207:                              ;   in Loop: Header=BB2151_186 Depth=1
	s_mov_b32 s40, 0
.LBB2151_208:                           ;   Parent Loop BB2151_186 Depth=1
                                        ; =>  This Inner Loop Header: Depth=2
	v_add_u32_e32 v0, s40, v29
	v_add_u32_e32 v1, s40, v30
	buffer_load_dword v2, v0, s[0:3], 0 offen offset:4
	buffer_load_dword v3, v0, s[0:3], 0 offen
	buffer_load_dword v4, v1, s[0:3], 0 offen offset:4
	buffer_load_dword v5, v1, s[0:3], 0 offen
                                        ; kill: killed $vgpr0
	v_add_u32_e32 v0, s40, v32
	s_add_i32 s40, s40, 8
                                        ; kill: killed $vgpr1
	s_cmp_lg_u32 s40, 32
	s_waitcnt vmcnt(1)
	v_add_u32_e32 v1, v4, v2
	s_waitcnt vmcnt(0)
	v_add_u32_e32 v2, v5, v3
	ds_write2_b32 v0, v2, v1 offset1:1
	s_cbranch_scc1 .LBB2151_208
; %bb.209:                              ;   in Loop: Header=BB2151_186 Depth=1
	ds_read2_b32 v[0:1], v32 offset1:1
	ds_read2_b32 v[2:3], v32 offset0:2 offset1:3
	ds_read2_b32 v[4:5], v32 offset0:4 offset1:5
	;; [unrolled: 1-line block ×3, first 2 shown]
.LBB2151_210:                           ;   in Loop: Header=BB2151_186 Depth=1
	s_or_b64 exec, exec, s[4:5]
	v_and_b32_e32 v35, 1, v35
	v_cmp_eq_u32_e32 vcc, 1, v35
	v_and_b32_e32 v35, 1, v36
	v_cmp_eq_u32_e64 s[4:5], 1, v35
	s_or_b64 s[4:5], vcc, s[4:5]
	v_cndmask_b32_e64 v35, 0, 1, s[4:5]
	buffer_store_byte v35, off, s[0:3], 0 offset:104
	buffer_load_dword v35, off, s[0:3], 0 offset:104
	s_waitcnt lgkmcnt(3)
	buffer_store_dword v1, off, s[0:3], 0 offset:76
	buffer_store_dword v0, off, s[0:3], 0 offset:72
	s_waitcnt lgkmcnt(2)
	buffer_store_dword v3, off, s[0:3], 0 offset:84
	buffer_store_dword v2, off, s[0:3], 0 offset:80
	;; [unrolled: 3-line block ×4, first 2 shown]
.LBB2151_211:                           ;   in Loop: Header=BB2151_186 Depth=1
	s_or_b64 exec, exec, s[14:15]
	ds_bpermute_b32 v37, v22, v0
	s_waitcnt vmcnt(8)
	ds_bpermute_b32 v36, v22, v35
	ds_bpermute_b32 v38, v22, v1
	;; [unrolled: 1-line block ×5, first 2 shown]
	v_cmp_le_u32_e32 vcc, v21, v34
	ds_bpermute_b32 v42, v22, v5
	ds_bpermute_b32 v43, v22, v6
	ds_bpermute_b32 v44, v22, v7
	s_waitcnt lgkmcnt(8)
	buffer_store_dword v37, off, s[0:3], 0 offset:144
	s_waitcnt lgkmcnt(6)
	buffer_store_dword v38, off, s[0:3], 0 offset:148
	;; [unrolled: 2-line block ×8, first 2 shown]
	s_and_saveexec_b64 s[14:15], vcc
	s_cbranch_execz .LBB2151_219
; %bb.212:                              ;   in Loop: Header=BB2151_186 Depth=1
	v_cmp_eq_u16_sdwa s[40:41], v35, v8 src0_sel:BYTE_0 src1_sel:DWORD
	s_and_saveexec_b64 s[4:5], s[40:41]
	s_cbranch_execz .LBB2151_218
; %bb.213:                              ;   in Loop: Header=BB2151_186 Depth=1
	s_mov_b32 s40, 0
.LBB2151_214:                           ;   Parent Loop BB2151_186 Depth=1
                                        ; =>  This Inner Loop Header: Depth=2
	v_add_u32_e32 v0, s40, v32
	s_add_i32 s40, s40, 8
	s_cmp_lg_u32 s40, 32
	ds_write2_b32 v0, v8, v8 offset1:1
	s_cbranch_scc1 .LBB2151_214
; %bb.215:                              ;   in Loop: Header=BB2151_186 Depth=1
	s_mov_b32 s40, 0
.LBB2151_216:                           ;   Parent Loop BB2151_186 Depth=1
                                        ; =>  This Inner Loop Header: Depth=2
	v_add_u32_e32 v0, s40, v29
	v_add_u32_e32 v1, s40, v30
	buffer_load_dword v2, v0, s[0:3], 0 offen offset:4
	buffer_load_dword v3, v0, s[0:3], 0 offen
	buffer_load_dword v4, v1, s[0:3], 0 offen offset:4
	buffer_load_dword v5, v1, s[0:3], 0 offen
                                        ; kill: killed $vgpr0
	v_add_u32_e32 v0, s40, v32
	s_add_i32 s40, s40, 8
                                        ; kill: killed $vgpr1
	s_cmp_lg_u32 s40, 32
	s_waitcnt vmcnt(1)
	v_add_u32_e32 v1, v4, v2
	s_waitcnt vmcnt(0)
	v_add_u32_e32 v2, v5, v3
	ds_write2_b32 v0, v2, v1 offset1:1
	s_cbranch_scc1 .LBB2151_216
; %bb.217:                              ;   in Loop: Header=BB2151_186 Depth=1
	ds_read2_b32 v[0:1], v32 offset1:1
	ds_read2_b32 v[2:3], v32 offset0:2 offset1:3
	ds_read2_b32 v[4:5], v32 offset0:4 offset1:5
	;; [unrolled: 1-line block ×3, first 2 shown]
.LBB2151_218:                           ;   in Loop: Header=BB2151_186 Depth=1
	s_or_b64 exec, exec, s[4:5]
	v_and_b32_e32 v35, 1, v35
	v_cmp_eq_u32_e32 vcc, 1, v35
	v_and_b32_e32 v35, 1, v36
	v_cmp_eq_u32_e64 s[4:5], 1, v35
	s_or_b64 s[4:5], vcc, s[4:5]
	v_cndmask_b32_e64 v35, 0, 1, s[4:5]
	buffer_store_byte v35, off, s[0:3], 0 offset:104
	buffer_load_dword v35, off, s[0:3], 0 offset:104
	s_waitcnt lgkmcnt(3)
	buffer_store_dword v1, off, s[0:3], 0 offset:76
	buffer_store_dword v0, off, s[0:3], 0 offset:72
	s_waitcnt lgkmcnt(2)
	buffer_store_dword v3, off, s[0:3], 0 offset:84
	buffer_store_dword v2, off, s[0:3], 0 offset:80
	;; [unrolled: 3-line block ×4, first 2 shown]
.LBB2151_219:                           ;   in Loop: Header=BB2151_186 Depth=1
	s_or_b64 exec, exec, s[14:15]
	ds_bpermute_b32 v37, v24, v0
	s_waitcnt vmcnt(8)
	ds_bpermute_b32 v36, v24, v35
	ds_bpermute_b32 v38, v24, v1
	;; [unrolled: 1-line block ×5, first 2 shown]
	v_cmp_le_u32_e32 vcc, v23, v34
	ds_bpermute_b32 v42, v24, v5
	ds_bpermute_b32 v43, v24, v6
	;; [unrolled: 1-line block ×3, first 2 shown]
	s_waitcnt lgkmcnt(8)
	buffer_store_dword v37, off, s[0:3], 0 offset:144
	s_waitcnt lgkmcnt(6)
	buffer_store_dword v38, off, s[0:3], 0 offset:148
	;; [unrolled: 2-line block ×8, first 2 shown]
	s_and_saveexec_b64 s[14:15], vcc
	s_cbranch_execz .LBB2151_227
; %bb.220:                              ;   in Loop: Header=BB2151_186 Depth=1
	v_cmp_eq_u16_sdwa s[40:41], v35, v8 src0_sel:BYTE_0 src1_sel:DWORD
	s_and_saveexec_b64 s[4:5], s[40:41]
	s_cbranch_execz .LBB2151_226
; %bb.221:                              ;   in Loop: Header=BB2151_186 Depth=1
	s_mov_b32 s40, 0
.LBB2151_222:                           ;   Parent Loop BB2151_186 Depth=1
                                        ; =>  This Inner Loop Header: Depth=2
	v_add_u32_e32 v0, s40, v32
	s_add_i32 s40, s40, 8
	s_cmp_lg_u32 s40, 32
	ds_write2_b32 v0, v8, v8 offset1:1
	s_cbranch_scc1 .LBB2151_222
; %bb.223:                              ;   in Loop: Header=BB2151_186 Depth=1
	s_mov_b32 s40, 0
.LBB2151_224:                           ;   Parent Loop BB2151_186 Depth=1
                                        ; =>  This Inner Loop Header: Depth=2
	v_add_u32_e32 v0, s40, v29
	v_add_u32_e32 v1, s40, v30
	buffer_load_dword v2, v0, s[0:3], 0 offen offset:4
	buffer_load_dword v3, v0, s[0:3], 0 offen
	buffer_load_dword v4, v1, s[0:3], 0 offen offset:4
	buffer_load_dword v5, v1, s[0:3], 0 offen
                                        ; kill: killed $vgpr0
	v_add_u32_e32 v0, s40, v32
	s_add_i32 s40, s40, 8
                                        ; kill: killed $vgpr1
	s_cmp_lg_u32 s40, 32
	s_waitcnt vmcnt(1)
	v_add_u32_e32 v1, v4, v2
	s_waitcnt vmcnt(0)
	v_add_u32_e32 v2, v5, v3
	ds_write2_b32 v0, v2, v1 offset1:1
	s_cbranch_scc1 .LBB2151_224
; %bb.225:                              ;   in Loop: Header=BB2151_186 Depth=1
	ds_read2_b32 v[0:1], v32 offset1:1
	ds_read2_b32 v[2:3], v32 offset0:2 offset1:3
	ds_read2_b32 v[4:5], v32 offset0:4 offset1:5
	ds_read2_b32 v[6:7], v32 offset0:6 offset1:7
.LBB2151_226:                           ;   in Loop: Header=BB2151_186 Depth=1
	s_or_b64 exec, exec, s[4:5]
	v_and_b32_e32 v35, 1, v35
	v_cmp_eq_u32_e32 vcc, 1, v35
	v_and_b32_e32 v35, 1, v36
	v_cmp_eq_u32_e64 s[4:5], 1, v35
	s_or_b64 s[4:5], vcc, s[4:5]
	v_cndmask_b32_e64 v35, 0, 1, s[4:5]
	buffer_store_byte v35, off, s[0:3], 0 offset:104
	buffer_load_dword v35, off, s[0:3], 0 offset:104
	s_waitcnt lgkmcnt(3)
	buffer_store_dword v1, off, s[0:3], 0 offset:76
	buffer_store_dword v0, off, s[0:3], 0 offset:72
	s_waitcnt lgkmcnt(2)
	buffer_store_dword v3, off, s[0:3], 0 offset:84
	buffer_store_dword v2, off, s[0:3], 0 offset:80
	;; [unrolled: 3-line block ×4, first 2 shown]
.LBB2151_227:                           ;   in Loop: Header=BB2151_186 Depth=1
	s_or_b64 exec, exec, s[14:15]
	ds_bpermute_b32 v37, v26, v0
	s_waitcnt vmcnt(8)
	ds_bpermute_b32 v36, v26, v35
	ds_bpermute_b32 v38, v26, v1
	;; [unrolled: 1-line block ×5, first 2 shown]
	v_cmp_le_u32_e32 vcc, v25, v34
	ds_bpermute_b32 v42, v26, v5
	ds_bpermute_b32 v43, v26, v6
	;; [unrolled: 1-line block ×3, first 2 shown]
	s_waitcnt lgkmcnt(8)
	buffer_store_dword v37, off, s[0:3], 0 offset:144
	s_waitcnt lgkmcnt(6)
	buffer_store_dword v38, off, s[0:3], 0 offset:148
	;; [unrolled: 2-line block ×8, first 2 shown]
	s_and_saveexec_b64 s[14:15], vcc
	s_cbranch_execz .LBB2151_235
; %bb.228:                              ;   in Loop: Header=BB2151_186 Depth=1
	v_cmp_eq_u16_sdwa s[40:41], v35, v8 src0_sel:BYTE_0 src1_sel:DWORD
	s_and_saveexec_b64 s[4:5], s[40:41]
	s_cbranch_execz .LBB2151_234
; %bb.229:                              ;   in Loop: Header=BB2151_186 Depth=1
	s_mov_b32 s40, 0
.LBB2151_230:                           ;   Parent Loop BB2151_186 Depth=1
                                        ; =>  This Inner Loop Header: Depth=2
	v_add_u32_e32 v0, s40, v32
	s_add_i32 s40, s40, 8
	s_cmp_lg_u32 s40, 32
	ds_write2_b32 v0, v8, v8 offset1:1
	s_cbranch_scc1 .LBB2151_230
; %bb.231:                              ;   in Loop: Header=BB2151_186 Depth=1
	s_mov_b32 s40, 0
.LBB2151_232:                           ;   Parent Loop BB2151_186 Depth=1
                                        ; =>  This Inner Loop Header: Depth=2
	v_add_u32_e32 v0, s40, v29
	v_add_u32_e32 v1, s40, v30
	buffer_load_dword v2, v0, s[0:3], 0 offen offset:4
	buffer_load_dword v3, v0, s[0:3], 0 offen
	buffer_load_dword v4, v1, s[0:3], 0 offen offset:4
	buffer_load_dword v5, v1, s[0:3], 0 offen
                                        ; kill: killed $vgpr0
	v_add_u32_e32 v0, s40, v32
	s_add_i32 s40, s40, 8
                                        ; kill: killed $vgpr1
	s_cmp_lg_u32 s40, 32
	s_waitcnt vmcnt(1)
	v_add_u32_e32 v1, v4, v2
	s_waitcnt vmcnt(0)
	v_add_u32_e32 v2, v5, v3
	ds_write2_b32 v0, v2, v1 offset1:1
	s_cbranch_scc1 .LBB2151_232
; %bb.233:                              ;   in Loop: Header=BB2151_186 Depth=1
	ds_read2_b32 v[0:1], v32 offset1:1
	ds_read2_b32 v[2:3], v32 offset0:2 offset1:3
	ds_read2_b32 v[4:5], v32 offset0:4 offset1:5
	;; [unrolled: 1-line block ×3, first 2 shown]
.LBB2151_234:                           ;   in Loop: Header=BB2151_186 Depth=1
	s_or_b64 exec, exec, s[4:5]
	v_and_b32_e32 v35, 1, v35
	v_cmp_eq_u32_e32 vcc, 1, v35
	v_and_b32_e32 v35, 1, v36
	v_cmp_eq_u32_e64 s[4:5], 1, v35
	s_or_b64 s[4:5], vcc, s[4:5]
	v_cndmask_b32_e64 v35, 0, 1, s[4:5]
	buffer_store_byte v35, off, s[0:3], 0 offset:104
	buffer_load_dword v35, off, s[0:3], 0 offset:104
	s_waitcnt lgkmcnt(3)
	buffer_store_dword v1, off, s[0:3], 0 offset:76
	buffer_store_dword v0, off, s[0:3], 0 offset:72
	s_waitcnt lgkmcnt(2)
	buffer_store_dword v3, off, s[0:3], 0 offset:84
	buffer_store_dword v2, off, s[0:3], 0 offset:80
	;; [unrolled: 3-line block ×4, first 2 shown]
.LBB2151_235:                           ;   in Loop: Header=BB2151_186 Depth=1
	s_or_b64 exec, exec, s[14:15]
	ds_bpermute_b32 v37, v28, v0
	s_waitcnt vmcnt(8)
	ds_bpermute_b32 v36, v28, v35
	ds_bpermute_b32 v38, v28, v1
	;; [unrolled: 1-line block ×4, first 2 shown]
	v_cmp_le_u32_e32 vcc, v27, v34
	v_and_b32_e32 v34, 1, v35
	ds_bpermute_b32 v41, v28, v4
	v_cmp_eq_u32_e64 s[4:5], 1, v34
	ds_bpermute_b32 v42, v28, v5
	ds_bpermute_b32 v43, v28, v6
	;; [unrolled: 1-line block ×3, first 2 shown]
	s_waitcnt lgkmcnt(8)
	buffer_store_dword v37, off, s[0:3], 0 offset:144
	s_waitcnt lgkmcnt(6)
	buffer_store_dword v38, off, s[0:3], 0 offset:148
	;; [unrolled: 2-line block ×8, first 2 shown]
	s_and_saveexec_b64 s[14:15], vcc
	s_cbranch_execz .LBB2151_243
; %bb.236:                              ;   in Loop: Header=BB2151_186 Depth=1
	v_cmp_eq_u16_sdwa s[42:43], v35, v8 src0_sel:BYTE_0 src1_sel:DWORD
	s_and_saveexec_b64 s[40:41], s[42:43]
	s_cbranch_execz .LBB2151_242
; %bb.237:                              ;   in Loop: Header=BB2151_186 Depth=1
	s_mov_b32 s42, 0
.LBB2151_238:                           ;   Parent Loop BB2151_186 Depth=1
                                        ; =>  This Inner Loop Header: Depth=2
	v_add_u32_e32 v0, s42, v32
	s_add_i32 s42, s42, 8
	s_cmp_lg_u32 s42, 32
	ds_write2_b32 v0, v8, v8 offset1:1
	s_cbranch_scc1 .LBB2151_238
; %bb.239:                              ;   in Loop: Header=BB2151_186 Depth=1
	s_mov_b32 s42, 0
.LBB2151_240:                           ;   Parent Loop BB2151_186 Depth=1
                                        ; =>  This Inner Loop Header: Depth=2
	v_add_u32_e32 v0, s42, v29
	v_add_u32_e32 v1, s42, v30
	buffer_load_dword v2, v0, s[0:3], 0 offen offset:4
	buffer_load_dword v3, v0, s[0:3], 0 offen
	buffer_load_dword v4, v1, s[0:3], 0 offen offset:4
	buffer_load_dword v5, v1, s[0:3], 0 offen
                                        ; kill: killed $vgpr0
	v_add_u32_e32 v0, s42, v32
	s_add_i32 s42, s42, 8
                                        ; kill: killed $vgpr1
	s_cmp_lg_u32 s42, 32
	s_waitcnt vmcnt(1)
	v_add_u32_e32 v1, v4, v2
	s_waitcnt vmcnt(0)
	v_add_u32_e32 v2, v5, v3
	ds_write2_b32 v0, v2, v1 offset1:1
	s_cbranch_scc1 .LBB2151_240
; %bb.241:                              ;   in Loop: Header=BB2151_186 Depth=1
	ds_read2_b32 v[0:1], v32 offset1:1
	ds_read2_b32 v[2:3], v32 offset0:2 offset1:3
	ds_read2_b32 v[4:5], v32 offset0:4 offset1:5
	;; [unrolled: 1-line block ×3, first 2 shown]
.LBB2151_242:                           ;   in Loop: Header=BB2151_186 Depth=1
	s_or_b64 exec, exec, s[40:41]
	v_and_b32_e32 v34, 1, v36
	v_cmp_eq_u32_e32 vcc, 1, v34
	s_or_b64 s[40:41], s[4:5], vcc
	v_cndmask_b32_e64 v34, 0, 1, s[40:41]
	s_andn2_b64 s[4:5], s[4:5], exec
	s_and_b64 s[40:41], s[40:41], exec
	s_or_b64 s[4:5], s[4:5], s[40:41]
	s_waitcnt lgkmcnt(3)
	buffer_store_dword v1, off, s[0:3], 0 offset:76
	buffer_store_dword v0, off, s[0:3], 0 offset:72
	s_waitcnt lgkmcnt(2)
	buffer_store_dword v3, off, s[0:3], 0 offset:84
	buffer_store_dword v2, off, s[0:3], 0 offset:80
	;; [unrolled: 3-line block ×4, first 2 shown]
	buffer_store_byte v34, off, s[0:3], 0 offset:104
.LBB2151_243:                           ;   in Loop: Header=BB2151_186 Depth=1
	s_or_b64 exec, exec, s[14:15]
	buffer_load_ubyte v34, off, s[0:3], 0 offset:68
                                        ; implicit-def: $vgpr6_vgpr7
                                        ; implicit-def: $vgpr4_vgpr5
                                        ; implicit-def: $vgpr2_vgpr3
                                        ; implicit-def: $vgpr0_vgpr1
	s_waitcnt vmcnt(0)
	v_cmp_ne_u16_e32 vcc, 0, v34
	s_and_saveexec_b64 s[14:15], vcc
	s_xor_b64 s[14:15], exec, s[14:15]
	s_cbranch_execz .LBB2151_245
; %bb.244:                              ;   in Loop: Header=BB2151_186 Depth=1
	buffer_load_dword v0, off, s[0:3], 0 offset:36
	buffer_load_dword v1, off, s[0:3], 0 offset:40
	;; [unrolled: 1-line block ×8, first 2 shown]
.LBB2151_245:                           ;   in Loop: Header=BB2151_186 Depth=1
	s_andn2_saveexec_b64 s[14:15], s[14:15]
	s_cbranch_execz .LBB2151_251
; %bb.246:                              ;   in Loop: Header=BB2151_186 Depth=1
	s_mov_b32 s40, 0
	s_waitcnt vmcnt(0)
.LBB2151_247:                           ;   Parent Loop BB2151_186 Depth=1
                                        ; =>  This Inner Loop Header: Depth=2
	v_add_u32_e32 v0, s40, v29
	s_add_i32 s40, s40, 8
	s_cmp_lg_u32 s40, 32
	buffer_store_dword v8, v0, s[0:3], 0 offen offset:4
	buffer_store_dword v8, v0, s[0:3], 0 offen
	s_cbranch_scc1 .LBB2151_247
; %bb.248:                              ;   in Loop: Header=BB2151_186 Depth=1
	s_mov_b32 s40, 0
.LBB2151_249:                           ;   Parent Loop BB2151_186 Depth=1
                                        ; =>  This Inner Loop Header: Depth=2
	v_add_u32_e32 v0, s40, v30
	v_add_u32_e32 v1, s40, v31
	buffer_load_dword v2, v0, s[0:3], 0 offen offset:4
	buffer_load_dword v3, v1, s[0:3], 0 offen
	buffer_load_dword v4, v0, s[0:3], 0 offen
	buffer_load_dword v5, v1, s[0:3], 0 offen offset:4
                                        ; kill: killed $vgpr0
	v_add_u32_e32 v0, s40, v29
	s_add_i32 s40, s40, 8
	s_cmp_lg_u32 s40, 32
                                        ; kill: killed $vgpr1
	s_waitcnt vmcnt(1)
	v_add_u32_e32 v1, v3, v4
	s_waitcnt vmcnt(0)
	v_add_u32_e32 v2, v5, v2
	buffer_store_dword v2, v0, s[0:3], 0 offen offset:4
	buffer_store_dword v1, v0, s[0:3], 0 offen
	s_cbranch_scc1 .LBB2151_249
; %bb.250:                              ;   in Loop: Header=BB2151_186 Depth=1
	buffer_load_dword v0, off, s[0:3], 0 offset:144
	buffer_load_dword v1, off, s[0:3], 0 offset:148
	;; [unrolled: 1-line block ×8, first 2 shown]
.LBB2151_251:                           ;   in Loop: Header=BB2151_186 Depth=1
	s_or_b64 exec, exec, s[14:15]
	v_and_b32_e32 v34, 1, v34
	v_cmp_eq_u32_e32 vcc, 1, v34
	s_or_b64 s[4:5], vcc, s[4:5]
	v_subrev_u32_e32 v12, 64, v12
	v_cndmask_b32_e64 v34, 0, 1, s[4:5]
	s_waitcnt vmcnt(6)
	buffer_store_dword v1, off, s[0:3], 0 offset:40
	buffer_store_dword v0, off, s[0:3], 0 offset:36
	s_waitcnt vmcnt(6)
	buffer_store_dword v3, off, s[0:3], 0 offset:48
	buffer_store_dword v2, off, s[0:3], 0 offset:44
	;; [unrolled: 3-line block ×4, first 2 shown]
	buffer_store_byte v34, off, s[0:3], 0 offset:68
	s_branch .LBB2151_186
.LBB2151_252:
	buffer_load_dword v1, off, s[0:3], 0 offset:40
	buffer_load_dword v0, off, s[0:3], 0 offset:36
	;; [unrolled: 1-line block ×9, first 2 shown]
	s_waitcnt vmcnt(8)
	buffer_store_dword v1, off, s[0:3], 0 offset:148
	s_waitcnt vmcnt(8)
	buffer_store_dword v0, off, s[0:3], 0 offset:144
	;; [unrolled: 2-line block ×9, first 2 shown]
	s_and_saveexec_b64 s[4:5], s[12:13]
	s_cbranch_execz .LBB2151_262
; %bb.253:
	buffer_load_ubyte v9, off, s[0:3], 0 offset:140
                                        ; implicit-def: $vgpr2_vgpr3
                                        ; implicit-def: $vgpr6_vgpr7
	s_waitcnt vmcnt(0)
	v_cmp_ne_u16_e32 vcc, 0, v9
	s_and_saveexec_b64 s[12:13], vcc
	s_xor_b64 s[12:13], exec, s[12:13]
	s_cbranch_execz .LBB2151_255
; %bb.254:
	buffer_load_dword v4, off, s[0:3], 0 offset:108
	buffer_load_dword v5, off, s[0:3], 0 offset:112
	;; [unrolled: 1-line block ×8, first 2 shown]
.LBB2151_255:
	s_andn2_saveexec_b64 s[12:13], s[12:13]
	s_cbranch_execz .LBB2151_261
; %bb.256:
	s_mov_b32 s14, 0
	s_waitcnt vmcnt(3)
	v_mov_b32_e32 v0, 0
	s_waitcnt vmcnt(2)
	v_mov_b32_e32 v1, 0
	s_waitcnt vmcnt(0)
.LBB2151_257:                           ; =>This Inner Loop Header: Depth=1
	v_add_u32_e32 v2, s14, v0
	s_add_i32 s14, s14, 8
	s_cmp_lg_u32 s14, 32
	buffer_store_dword v1, v2, s[0:3], 0 offen offset:4
	buffer_store_dword v1, v2, s[0:3], 0 offen
	s_cbranch_scc1 .LBB2151_257
; %bb.258:
	s_mov_b32 s14, 0
	v_mov_b32_e32 v0, 0x90
	v_mov_b32_e32 v1, 0x6c
	;; [unrolled: 1-line block ×3, first 2 shown]
.LBB2151_259:                           ; =>This Inner Loop Header: Depth=1
	v_add_u32_e32 v3, s14, v0
	v_add_u32_e32 v4, s14, v1
	buffer_load_dword v5, v3, s[0:3], 0 offen offset:4
	buffer_load_dword v6, v4, s[0:3], 0 offen
	buffer_load_dword v7, v3, s[0:3], 0 offen
	buffer_load_dword v11, v4, s[0:3], 0 offen offset:4
                                        ; kill: killed $vgpr3
	v_add_u32_e32 v3, s14, v2
	s_add_i32 s14, s14, 8
	s_cmp_lg_u32 s14, 32
                                        ; kill: killed $vgpr4
	s_waitcnt vmcnt(1)
	v_add_u32_e32 v4, v6, v7
	s_waitcnt vmcnt(0)
	v_add_u32_e32 v5, v11, v5
	buffer_store_dword v5, v3, s[0:3], 0 offen offset:4
	buffer_store_dword v4, v3, s[0:3], 0 offen
	s_cbranch_scc1 .LBB2151_259
; %bb.260:
	buffer_load_dword v4, off, s[0:3], 0
	buffer_load_dword v5, off, s[0:3], 0 offset:4
	buffer_load_dword v6, off, s[0:3], 0 offset:8
	;; [unrolled: 1-line block ×7, first 2 shown]
.LBB2151_261:
	s_or_b64 exec, exec, s[12:13]
	s_add_i32 s14, s33, 64
	s_mul_i32 s12, s14, 36
	s_mul_hi_u32 s13, s14, 36
	s_add_u32 s12, s22, s12
	v_or_b32_e32 v8, v9, v8
	s_addc_u32 s13, s23, s13
	v_mov_b32_e32 v9, 0
	v_and_b32_e32 v8, 1, v8
	s_waitcnt vmcnt(4)
	global_store_dwordx4 v9, v[4:7], s[12:13]
	s_waitcnt vmcnt(1)
	global_store_dwordx4 v9, v[0:3], s[12:13] offset:16
	global_store_byte v9, v8, s[12:13] offset:32
	v_mov_b32_e32 v0, s14
	v_mov_b32_e32 v1, 2
	s_waitcnt vmcnt(0)
	buffer_wbinvl1_vol
	global_store_byte v0, v1, s[24:25]
	buffer_load_dword v0, off, s[0:3], 0 offset:144
	s_nop 0
	buffer_load_dword v1, off, s[0:3], 0 offset:148
	buffer_load_dword v2, off, s[0:3], 0 offset:152
	;; [unrolled: 1-line block ×7, first 2 shown]
	buffer_load_ubyte v8, off, s[0:3], 0 offset:176
.LBB2151_262:
	s_or_b64 exec, exec, s[4:5]
	s_and_b64 exec, exec, s[10:11]
	s_cbranch_execz .LBB2151_264
; %bb.263:
	v_mov_b32_e32 v9, 0
	s_waitcnt vmcnt(7)
	ds_write2_b32 v9, v0, v1 offset0:27 offset1:28
	s_waitcnt vmcnt(5)
	ds_write2_b32 v9, v2, v3 offset0:29 offset1:30
	;; [unrolled: 2-line block ×4, first 2 shown]
	s_waitcnt vmcnt(0)
	ds_write_b8 v9, v8 offset:140
.LBB2151_264:
	s_or_b64 exec, exec, s[36:37]
	s_waitcnt lgkmcnt(0)
	s_barrier
	buffer_load_ubyte v9, off, s[0:3], 0 offset:320
	s_waitcnt vmcnt(9)
	v_mov_b32_e32 v0, 0
	s_waitcnt vmcnt(6)
	ds_read2_b32 v[2:3], v0 offset0:27 offset1:28
	s_waitcnt vmcnt(1)
	ds_read_b32 v8, v0 offset:140
	ds_read2_b32 v[4:5], v0 offset0:29 offset1:30
	ds_read2_b32 v[6:7], v0 offset0:31 offset1:32
	;; [unrolled: 1-line block ×3, first 2 shown]
	s_waitcnt lgkmcnt(4)
	buffer_store_dword v3, off, s[0:3], 0 offset:148
	buffer_store_dword v2, off, s[0:3], 0 offset:144
	s_waitcnt lgkmcnt(2)
	buffer_store_dword v5, off, s[0:3], 0 offset:156
	buffer_store_dword v4, off, s[0:3], 0 offset:152
	;; [unrolled: 3-line block ×4, first 2 shown]
	buffer_store_dword v8, off, s[0:3], 0 offset:176
	s_and_saveexec_b64 s[4:5], s[8:9]
	s_cbranch_execz .LBB2151_274
; %bb.265:
	s_waitcnt vmcnt(9)
	v_cmp_ne_u16_sdwa s[12:13], v9, v0 src0_sel:BYTE_0 src1_sel:DWORD
                                        ; implicit-def: $vgpr6_vgpr7
                                        ; implicit-def: $vgpr4_vgpr5
                                        ; implicit-def: $vgpr2_vgpr3
                                        ; implicit-def: $vgpr0_vgpr1
	s_and_saveexec_b64 s[14:15], s[12:13]
	s_xor_b64 s[12:13], exec, s[14:15]
	s_cbranch_execz .LBB2151_267
; %bb.266:
	buffer_load_dword v0, off, s[0:3], 0 offset:288
	buffer_load_dword v1, off, s[0:3], 0 offset:292
	;; [unrolled: 1-line block ×8, first 2 shown]
.LBB2151_267:
	s_andn2_saveexec_b64 s[12:13], s[12:13]
	s_cbranch_execz .LBB2151_273
; %bb.268:
	s_mov_b32 s14, 0
	s_waitcnt vmcnt(7)
	v_mov_b32_e32 v0, 0
	s_waitcnt vmcnt(6)
	v_mov_b32_e32 v1, 0
	s_waitcnt vmcnt(0)
.LBB2151_269:                           ; =>This Inner Loop Header: Depth=1
	v_add_u32_e32 v2, s14, v0
	s_add_i32 s14, s14, 8
	s_cmp_lg_u32 s14, 32
	buffer_store_dword v1, v2, s[0:3], 0 offen offset:4
	buffer_store_dword v1, v2, s[0:3], 0 offen
	s_cbranch_scc1 .LBB2151_269
; %bb.270:
	s_mov_b32 s14, 0
	v_mov_b32_e32 v0, 0xf0
	v_mov_b32_e32 v1, 0x120
	;; [unrolled: 1-line block ×3, first 2 shown]
.LBB2151_271:                           ; =>This Inner Loop Header: Depth=1
	v_add_u32_e32 v3, s14, v0
	v_add_u32_e32 v4, s14, v1
	buffer_load_dword v5, v3, s[0:3], 0 offen offset:4
	buffer_load_dword v6, v4, s[0:3], 0 offen
	buffer_load_dword v7, v3, s[0:3], 0 offen
	buffer_load_dword v11, v4, s[0:3], 0 offen offset:4
                                        ; kill: killed $vgpr3
	v_add_u32_e32 v3, s14, v2
	s_add_i32 s14, s14, 8
	s_cmp_lg_u32 s14, 32
                                        ; kill: killed $vgpr4
	s_waitcnt vmcnt(1)
	v_add_u32_e32 v4, v6, v7
	s_waitcnt vmcnt(0)
	v_add_u32_e32 v5, v11, v5
	buffer_store_dword v5, v3, s[0:3], 0 offen offset:4
	buffer_store_dword v4, v3, s[0:3], 0 offen
	s_cbranch_scc1 .LBB2151_271
; %bb.272:
	buffer_load_dword v0, off, s[0:3], 0
	buffer_load_dword v1, off, s[0:3], 0 offset:4
	buffer_load_dword v2, off, s[0:3], 0 offset:8
	buffer_load_dword v3, off, s[0:3], 0 offset:12
	buffer_load_dword v4, off, s[0:3], 0 offset:16
	buffer_load_dword v5, off, s[0:3], 0 offset:20
	buffer_load_dword v6, off, s[0:3], 0 offset:24
	buffer_load_dword v7, off, s[0:3], 0 offset:28
.LBB2151_273:
	s_or_b64 exec, exec, s[12:13]
	v_and_b32_e32 v9, 1, v9
	v_cmp_eq_u32_e32 vcc, 1, v9
	s_or_b64 s[12:13], vcc, s[16:17]
	v_cndmask_b32_e64 v9, 0, 1, s[12:13]
	s_waitcnt vmcnt(6)
	buffer_store_dword v1, off, s[0:3], 0 offset:292
	buffer_store_dword v0, off, s[0:3], 0 offset:288
	s_waitcnt vmcnt(6)
	buffer_store_dword v3, off, s[0:3], 0 offset:300
	buffer_store_dword v2, off, s[0:3], 0 offset:296
	;; [unrolled: 3-line block ×4, first 2 shown]
.LBB2151_274:
	s_or_b64 exec, exec, s[4:5]
	v_mov_b32_e32 v0, 0
	s_waitcnt vmcnt(9)
	v_cmp_ne_u16_sdwa s[4:5], v9, v0 src0_sel:BYTE_0 src1_sel:DWORD
                                        ; implicit-def: $vgpr6_vgpr7
                                        ; implicit-def: $vgpr4_vgpr5
                                        ; implicit-def: $vgpr2_vgpr3
                                        ; implicit-def: $vgpr0_vgpr1
	s_and_saveexec_b64 s[12:13], s[4:5]
	s_xor_b64 s[4:5], exec, s[12:13]
	s_cbranch_execz .LBB2151_276
; %bb.275:
	buffer_load_dword v0, off, s[0:3], 0 offset:288
	buffer_load_dword v1, off, s[0:3], 0 offset:292
	;; [unrolled: 1-line block ×8, first 2 shown]
.LBB2151_276:
	s_andn2_saveexec_b64 s[4:5], s[4:5]
	s_cbranch_execz .LBB2151_282
; %bb.277:
	s_mov_b32 s12, 0
	s_waitcnt vmcnt(7)
	v_mov_b32_e32 v0, 0
	s_waitcnt vmcnt(6)
	v_mov_b32_e32 v1, 0
	s_waitcnt vmcnt(0)
.LBB2151_278:                           ; =>This Inner Loop Header: Depth=1
	v_add_u32_e32 v2, s12, v0
	s_add_i32 s12, s12, 8
	s_cmp_lg_u32 s12, 32
	buffer_store_dword v1, v2, s[0:3], 0 offen offset:4
	buffer_store_dword v1, v2, s[0:3], 0 offen
	s_cbranch_scc1 .LBB2151_278
; %bb.279:
	s_mov_b32 s12, 0
	v_mov_b32_e32 v0, 0x90
	v_mov_b32_e32 v1, 0x120
	v_mov_b32_e32 v2, 0
.LBB2151_280:                           ; =>This Inner Loop Header: Depth=1
	v_add_u32_e32 v3, s12, v0
	v_add_u32_e32 v4, s12, v1
	buffer_load_dword v5, v3, s[0:3], 0 offen offset:4
	buffer_load_dword v6, v4, s[0:3], 0 offen
	buffer_load_dword v7, v3, s[0:3], 0 offen
	buffer_load_dword v11, v4, s[0:3], 0 offen offset:4
                                        ; kill: killed $vgpr3
	v_add_u32_e32 v3, s12, v2
	s_add_i32 s12, s12, 8
	s_cmp_lg_u32 s12, 32
                                        ; kill: killed $vgpr4
	s_waitcnt vmcnt(1)
	v_add_u32_e32 v4, v6, v7
	s_waitcnt vmcnt(0)
	v_add_u32_e32 v5, v11, v5
	buffer_store_dword v5, v3, s[0:3], 0 offen offset:4
	buffer_store_dword v4, v3, s[0:3], 0 offen
	s_cbranch_scc1 .LBB2151_280
; %bb.281:
	buffer_load_dword v0, off, s[0:3], 0
	buffer_load_dword v1, off, s[0:3], 0 offset:4
	buffer_load_dword v2, off, s[0:3], 0 offset:8
	buffer_load_dword v3, off, s[0:3], 0 offset:12
	buffer_load_dword v4, off, s[0:3], 0 offset:16
	buffer_load_dword v5, off, s[0:3], 0 offset:20
	buffer_load_dword v6, off, s[0:3], 0 offset:24
	buffer_load_dword v7, off, s[0:3], 0 offset:28
.LBB2151_282:
	s_or_b64 exec, exec, s[4:5]
	buffer_load_ubyte v11, off, s[0:3], 0 offset:356
	v_or_b32_e32 v8, v9, v8
	v_and_b32_e32 v8, 1, v8
	v_cmp_eq_u32_e32 vcc, 1, v8
	s_waitcnt vmcnt(7)
	buffer_store_dword v1, off, s[0:3], 0 offset:292
	buffer_store_dword v0, off, s[0:3], 0 offset:288
	s_waitcnt vmcnt(7)
	buffer_store_dword v3, off, s[0:3], 0 offset:300
	buffer_store_dword v2, off, s[0:3], 0 offset:296
	;; [unrolled: 3-line block ×4, first 2 shown]
	buffer_store_byte v8, off, s[0:3], 0 offset:320
                                        ; implicit-def: $vgpr6_vgpr7
                                        ; implicit-def: $vgpr4_vgpr5
                                        ; implicit-def: $vgpr2_vgpr3
                                        ; implicit-def: $vgpr0_vgpr1
	s_waitcnt vmcnt(9)
	v_cmp_ne_u16_e64 s[4:5], 0, v11
	s_and_saveexec_b64 s[12:13], s[4:5]
	s_xor_b64 s[4:5], exec, s[12:13]
	s_cbranch_execz .LBB2151_284
; %bb.283:
	buffer_load_dword v0, off, s[0:3], 0 offset:324
	buffer_load_dword v1, off, s[0:3], 0 offset:328
	;; [unrolled: 1-line block ×8, first 2 shown]
.LBB2151_284:
	s_andn2_saveexec_b64 s[4:5], s[4:5]
	s_cbranch_execz .LBB2151_290
; %bb.285:
	s_mov_b32 s12, 0
	s_waitcnt vmcnt(7)
	v_mov_b32_e32 v0, 0
	s_waitcnt vmcnt(6)
	v_mov_b32_e32 v1, 0
	s_waitcnt vmcnt(0)
.LBB2151_286:                           ; =>This Inner Loop Header: Depth=1
	v_add_u32_e32 v2, s12, v0
	s_add_i32 s12, s12, 8
	s_cmp_lg_u32 s12, 32
	buffer_store_dword v1, v2, s[0:3], 0 offen offset:4
	buffer_store_dword v1, v2, s[0:3], 0 offen
	s_cbranch_scc1 .LBB2151_286
; %bb.287:
	s_mov_b32 s12, 0
	v_mov_b32_e32 v0, 0x120
	v_mov_b32_e32 v1, 0
.LBB2151_288:                           ; =>This Inner Loop Header: Depth=1
	v_add_u32_e32 v2, s12, v0
	buffer_load_dword v3, v2, s[0:3], 0 offen
	buffer_load_dword v4, v2, s[0:3], 0 offen offset:4
	buffer_load_dword v5, v2, s[0:3], 0 offen offset:36
	;; [unrolled: 1-line block ×3, first 2 shown]
                                        ; kill: killed $vgpr2
	v_add_u32_e32 v2, s12, v1
	s_add_i32 s12, s12, 8
	s_cmp_lg_u32 s12, 32
	s_waitcnt vmcnt(1)
	v_add_u32_e32 v3, v5, v3
	s_waitcnt vmcnt(0)
	v_add_u32_e32 v4, v6, v4
	buffer_store_dword v4, v2, s[0:3], 0 offen offset:4
	buffer_store_dword v3, v2, s[0:3], 0 offen
	s_cbranch_scc1 .LBB2151_288
; %bb.289:
	buffer_load_dword v0, off, s[0:3], 0
	buffer_load_dword v1, off, s[0:3], 0 offset:4
	buffer_load_dword v2, off, s[0:3], 0 offset:8
	;; [unrolled: 1-line block ×7, first 2 shown]
.LBB2151_290:
	s_or_b64 exec, exec, s[4:5]
	buffer_load_ubyte v8, off, s[0:3], 0 offset:392
	v_and_b32_e32 v9, 1, v11
	v_cmp_eq_u32_e64 s[4:5], 1, v9
	s_or_b64 s[4:5], s[4:5], vcc
	v_cndmask_b32_e64 v9, 0, 1, s[4:5]
	s_waitcnt vmcnt(7)
	buffer_store_dword v1, off, s[0:3], 0 offset:328
	buffer_store_dword v0, off, s[0:3], 0 offset:324
	s_waitcnt vmcnt(7)
	buffer_store_dword v3, off, s[0:3], 0 offset:336
	buffer_store_dword v2, off, s[0:3], 0 offset:332
	;; [unrolled: 3-line block ×4, first 2 shown]
	buffer_store_byte v9, off, s[0:3], 0 offset:356
                                        ; implicit-def: $vgpr6_vgpr7
                                        ; implicit-def: $vgpr4_vgpr5
                                        ; implicit-def: $vgpr2_vgpr3
                                        ; implicit-def: $vgpr0_vgpr1
	s_waitcnt vmcnt(9)
	v_cmp_ne_u16_e32 vcc, 0, v8
	s_and_saveexec_b64 s[12:13], vcc
	s_xor_b64 s[12:13], exec, s[12:13]
	s_cbranch_execz .LBB2151_292
; %bb.291:
	buffer_load_dword v0, off, s[0:3], 0 offset:360
	buffer_load_dword v1, off, s[0:3], 0 offset:364
	;; [unrolled: 1-line block ×8, first 2 shown]
.LBB2151_292:
	s_andn2_saveexec_b64 s[12:13], s[12:13]
	s_cbranch_execz .LBB2151_298
; %bb.293:
	s_mov_b32 s14, 0
	s_waitcnt vmcnt(7)
	v_mov_b32_e32 v0, 0
	s_waitcnt vmcnt(6)
	v_mov_b32_e32 v1, 0
	s_waitcnt vmcnt(0)
.LBB2151_294:                           ; =>This Inner Loop Header: Depth=1
	v_add_u32_e32 v2, s14, v0
	s_add_i32 s14, s14, 8
	s_cmp_lg_u32 s14, 32
	buffer_store_dword v1, v2, s[0:3], 0 offen offset:4
	buffer_store_dword v1, v2, s[0:3], 0 offen
	s_cbranch_scc1 .LBB2151_294
; %bb.295:
	s_mov_b32 s14, 0
	v_mov_b32_e32 v0, 0x120
	v_mov_b32_e32 v1, 0
.LBB2151_296:                           ; =>This Inner Loop Header: Depth=1
	v_add_u32_e32 v2, s14, v0
	buffer_load_dword v3, v2, s[0:3], 0 offen offset:36
	buffer_load_dword v4, v2, s[0:3], 0 offen offset:40
	buffer_load_dword v5, v2, s[0:3], 0 offen offset:72
	buffer_load_dword v6, v2, s[0:3], 0 offen offset:76
                                        ; kill: killed $vgpr2
	v_add_u32_e32 v2, s14, v1
	s_add_i32 s14, s14, 8
	s_cmp_lg_u32 s14, 32
	s_waitcnt vmcnt(1)
	v_add_u32_e32 v3, v5, v3
	s_waitcnt vmcnt(0)
	v_add_u32_e32 v4, v6, v4
	buffer_store_dword v4, v2, s[0:3], 0 offen offset:4
	buffer_store_dword v3, v2, s[0:3], 0 offen
	s_cbranch_scc1 .LBB2151_296
; %bb.297:
	buffer_load_dword v0, off, s[0:3], 0
	buffer_load_dword v1, off, s[0:3], 0 offset:4
	buffer_load_dword v2, off, s[0:3], 0 offset:8
	;; [unrolled: 1-line block ×7, first 2 shown]
.LBB2151_298:
	s_or_b64 exec, exec, s[12:13]
	v_and_b32_e32 v8, 1, v8
	v_cmp_eq_u32_e32 vcc, 1, v8
	s_or_b64 s[4:5], vcc, s[4:5]
	v_cndmask_b32_e64 v8, 0, 1, s[4:5]
	s_waitcnt vmcnt(6)
	buffer_store_dword v1, off, s[0:3], 0 offset:364
	buffer_store_dword v0, off, s[0:3], 0 offset:360
	s_waitcnt vmcnt(6)
	buffer_store_dword v3, off, s[0:3], 0 offset:372
	buffer_store_dword v2, off, s[0:3], 0 offset:368
	;; [unrolled: 3-line block ×4, first 2 shown]
	buffer_store_byte v8, off, s[0:3], 0 offset:392
	s_branch .LBB2151_476
.LBB2151_299:
	v_pk_mov_b32 v[2:3], s[40:41], s[40:41] op_sel:[0,1]
	flat_load_dword v3, v[2:3]
	s_add_i32 s54, s27, s26
	v_cmp_gt_u32_e64 s[16:17], s54, v10
	s_waitcnt vmcnt(0) lgkmcnt(0)
	v_mov_b32_e32 v2, v3
	s_and_saveexec_b64 s[12:13], s[16:17]
	s_cbranch_execz .LBB2151_301
; %bb.300:
	v_lshlrev_b32_e32 v2, 2, v10
	v_mov_b32_e32 v5, s41
	v_add_co_u32_e32 v6, vcc, s40, v2
	v_addc_co_u32_e32 v7, vcc, 0, v5, vcc
	flat_load_dword v2, v[6:7]
.LBB2151_301:
	s_or_b64 exec, exec, s[12:13]
	v_or_b32_e32 v8, 0x100, v10
	v_cmp_gt_u32_e64 s[14:15], s54, v8
	v_mov_b32_e32 v5, v3
	s_and_saveexec_b64 s[12:13], s[14:15]
	s_cbranch_execz .LBB2151_303
; %bb.302:
	v_lshlrev_b32_e32 v5, 2, v10
	v_mov_b32_e32 v7, s41
	v_add_co_u32_e32 v6, vcc, s40, v5
	v_addc_co_u32_e32 v7, vcc, 0, v7, vcc
	flat_load_dword v5, v[6:7] offset:1024
.LBB2151_303:
	s_or_b64 exec, exec, s[12:13]
	v_or_b32_e32 v7, 0x200, v10
	v_cmp_gt_u32_e64 s[12:13], s54, v7
	v_cmp_le_u32_e32 vcc, s54, v7
	s_and_saveexec_b64 s[36:37], vcc
	s_xor_b64 s[36:37], exec, s[36:37]
; %bb.304:
	v_mov_b32_e32 v11, 0
; %bb.305:
	s_andn2_saveexec_b64 s[36:37], s[36:37]
	s_cbranch_execz .LBB2151_307
; %bb.306:
	v_lshlrev_b32_e32 v3, 2, v10
	v_mov_b32_e32 v6, s41
	v_add_co_u32_e32 v14, vcc, s40, v3
	v_addc_co_u32_e32 v15, vcc, 0, v6, vcc
	flat_load_dword v3, v[14:15] offset:2048
	v_mov_b32_e32 v11, 0
.LBB2151_307:
	s_or_b64 exec, exec, s[36:37]
	v_lshlrev_b32_e32 v6, 2, v10
	v_lshlrev_b32_e32 v9, 3, v10
	v_add_u32_e32 v12, v6, v9
	s_waitcnt vmcnt(0) lgkmcnt(0)
	ds_write2st64_b32 v6, v2, v5 offset1:4
	ds_write_b32 v6, v3 offset:2048
	s_waitcnt lgkmcnt(0)
	s_barrier
	ds_read2_b32 v[2:3], v12 offset1:1
	ds_read_b32 v5, v12 offset:8
	s_cmp_eq_u64 s[46:47], 0
	s_mov_b64 s[36:37], s[40:41]
	s_cbranch_scc1 .LBB2151_311
; %bb.308:
	s_andn2_b64 vcc, exec, s[44:45]
	s_cbranch_vccnz .LBB2151_499
; %bb.309:
	s_lshl_b64 s[36:37], s[46:47], 2
	s_add_u32 s36, s42, s36
	s_addc_u32 s37, s43, s37
	s_add_u32 s36, s36, -4
	s_addc_u32 s37, s37, -1
	s_andn2_b64 vcc, exec, s[48:49]
	s_cbranch_vccnz .LBB2151_311
.LBB2151_310:
	s_add_u32 s36, s40, -4
	s_addc_u32 s37, s41, -1
.LBB2151_311:
	v_pk_mov_b32 v[14:15], s[36:37], s[36:37] op_sel:[0,1]
	flat_load_dword v6, v[14:15]
	v_sub_u32_e32 v9, v12, v9
	s_waitcnt lgkmcnt(0)
	ds_write_b32 v9, v5 offset:3072
	s_waitcnt lgkmcnt(0)
	s_barrier
	s_and_saveexec_b64 s[36:37], s[8:9]
	s_cbranch_execz .LBB2151_313
; %bb.312:
	s_waitcnt vmcnt(0)
	ds_read_b32 v6, v9 offset:3068
.LBB2151_313:
	s_or_b64 exec, exec, s[36:37]
	s_waitcnt lgkmcnt(0)
	s_barrier
	s_and_saveexec_b64 s[36:37], s[16:17]
	s_cbranch_execnz .LBB2151_497
; %bb.314:
	s_or_b64 exec, exec, s[36:37]
	s_and_saveexec_b64 s[16:17], s[14:15]
	s_cbranch_execnz .LBB2151_498
.LBB2151_315:
	s_or_b64 exec, exec, s[16:17]
	s_and_saveexec_b64 s[14:15], s[12:13]
	s_cbranch_execz .LBB2151_317
.LBB2151_316:
	v_lshlrev_b32_e32 v7, 5, v7
	v_mov_b32_e32 v8, s53
	v_add_co_u32_e32 v14, vcc, s52, v7
	v_addc_co_u32_e32 v15, vcc, 0, v8, vcc
	flat_load_dwordx4 v[18:21], v[14:15]
	flat_load_dwordx4 v[22:25], v[14:15] offset:16
                                        ; kill: killed $vgpr14 killed $vgpr15
	s_waitcnt vmcnt(0) lgkmcnt(0)
	buffer_store_dword v19, off, s[0:3], 0 offset:212
	buffer_store_dword v18, off, s[0:3], 0 offset:208
	;; [unrolled: 1-line block ×8, first 2 shown]
.LBB2151_317:
	s_or_b64 exec, exec, s[14:15]
	buffer_load_dword v18, off, s[0:3], 0 offset:144
	buffer_load_dword v19, off, s[0:3], 0 offset:148
	;; [unrolled: 1-line block ×8, first 2 shown]
	buffer_load_dword v26, v4, s[0:3], 0 offen
	buffer_load_dword v27, v4, s[0:3], 0 offen offset:4
	buffer_load_dword v28, v4, s[0:3], 0 offen offset:8
	;; [unrolled: 1-line block ×7, first 2 shown]
	buffer_load_dword v34, v1, s[0:3], 0 offen
	buffer_load_dword v35, v1, s[0:3], 0 offen offset:4
	buffer_load_dword v36, v1, s[0:3], 0 offen offset:8
	buffer_load_dword v37, v1, s[0:3], 0 offen offset:12
	buffer_load_dword v38, v1, s[0:3], 0 offen offset:16
	buffer_load_dword v39, v1, s[0:3], 0 offen offset:20
	buffer_load_dword v40, v1, s[0:3], 0 offen offset:24
	buffer_load_dword v41, v1, s[0:3], 0 offen offset:28
	v_mad_u32_u24 v9, v10, 28, v9
	v_lshl_add_u32 v8, v10, 6, v9
	v_mul_u32_u24_e32 v7, 3, v10
	s_mov_b64 s[14:15], 0
	v_cmp_gt_u32_e32 vcc, s54, v7
	s_mov_b64 s[48:49], 0
                                        ; implicit-def: $sgpr12_sgpr13
	s_waitcnt vmcnt(0)
	ds_write_b128 v9, v[18:21]
	ds_write_b128 v9, v[22:25] offset:16
	ds_write_b128 v9, v[26:29] offset:8192
	;; [unrolled: 1-line block ×5, first 2 shown]
	s_waitcnt lgkmcnt(0)
	s_barrier
	ds_read_b128 v[18:21], v8 offset:32
	ds_read_b128 v[22:25], v8 offset:48
	;; [unrolled: 1-line block ×4, first 2 shown]
	s_waitcnt lgkmcnt(3)
	buffer_store_dword v21, v4, s[0:3], 0 offen offset:12
	buffer_store_dword v20, v4, s[0:3], 0 offen offset:8
	;; [unrolled: 1-line block ×3, first 2 shown]
	buffer_store_dword v18, v4, s[0:3], 0 offen
	s_waitcnt lgkmcnt(2)
	buffer_store_dword v25, v4, s[0:3], 0 offen offset:28
	buffer_store_dword v24, v4, s[0:3], 0 offen offset:24
	;; [unrolled: 1-line block ×4, first 2 shown]
	s_waitcnt lgkmcnt(1)
	buffer_store_dword v29, v1, s[0:3], 0 offen offset:12
	buffer_store_dword v28, v1, s[0:3], 0 offen offset:8
	;; [unrolled: 1-line block ×3, first 2 shown]
	buffer_store_dword v26, v1, s[0:3], 0 offen
	s_waitcnt lgkmcnt(0)
	buffer_store_dword v33, v1, s[0:3], 0 offen offset:28
	buffer_store_dword v32, v1, s[0:3], 0 offen offset:24
	;; [unrolled: 1-line block ×4, first 2 shown]
	s_and_saveexec_b64 s[16:17], vcc
	s_cbranch_execz .LBB2151_321
; %bb.318:
	ds_read_b128 v[18:21], v8
	ds_read_b128 v[22:25], v8 offset:16
	v_cmp_ne_u32_e32 vcc, v6, v2
	v_add_u32_e32 v9, 1, v7
	v_cndmask_b32_e64 v6, 0, 1, vcc
	v_cmp_gt_u32_e32 vcc, s54, v9
	s_waitcnt lgkmcnt(1)
	buffer_store_dword v21, off, s[0:3], 0 offset:300
	buffer_store_dword v20, off, s[0:3], 0 offset:296
	;; [unrolled: 1-line block ×4, first 2 shown]
	s_waitcnt lgkmcnt(0)
	buffer_store_dword v25, off, s[0:3], 0 offset:316
	buffer_store_dword v24, off, s[0:3], 0 offset:312
	;; [unrolled: 1-line block ×4, first 2 shown]
	buffer_store_byte v6, off, s[0:3], 0 offset:320
                                        ; implicit-def: $sgpr50_sgpr51
	s_and_saveexec_b64 s[12:13], vcc
	s_xor_b64 s[36:37], exec, s[12:13]
	s_cbranch_execz .LBB2151_320
; %bb.319:
	v_add_u32_e32 v6, 32, v8
	ds_read2_b32 v[8:9], v6 offset0:6 offset1:7
	ds_read2_b32 v[14:15], v6 offset0:4 offset1:5
	;; [unrolled: 1-line block ×3, first 2 shown]
	ds_read2_b32 v[20:21], v6 offset1:1
	v_cmp_ne_u32_e32 vcc, v3, v5
	v_cmp_ne_u32_e64 s[12:13], v2, v3
	v_add_u32_e32 v3, 2, v7
	v_cndmask_b32_e64 v2, 0, 1, s[12:13]
	v_cmp_gt_u32_e64 s[12:13], s54, v3
	s_waitcnt lgkmcnt(1)
	buffer_store_dword v19, v13, s[0:3], 0 offen offset:12
	buffer_store_dword v18, v13, s[0:3], 0 offen offset:8
	s_waitcnt lgkmcnt(0)
	buffer_store_dword v21, v13, s[0:3], 0 offen offset:4
	buffer_store_dword v20, v13, s[0:3], 0 offen
	buffer_store_dword v9, v13, s[0:3], 0 offen offset:28
	buffer_store_dword v8, v13, s[0:3], 0 offen offset:24
	;; [unrolled: 1-line block ×4, first 2 shown]
	buffer_store_byte v2, off, s[0:3], 0 offset:356
	s_and_b64 s[50:51], vcc, exec
	s_and_b64 s[48:49], s[12:13], exec
.LBB2151_320:
	s_or_b64 exec, exec, s[36:37]
	s_and_b64 s[12:13], s[50:51], exec
	s_and_b64 s[48:49], s[48:49], exec
.LBB2151_321:
	s_or_b64 exec, exec, s[16:17]
	s_and_b64 vcc, exec, s[14:15]
	s_cbranch_vccz .LBB2151_18
.LBB2151_322:
	v_lshlrev_b32_e32 v5, 2, v10
	v_mov_b32_e32 v3, s41
	v_add_co_u32_e32 v2, vcc, s40, v5
	v_addc_co_u32_e32 v3, vcc, 0, v3, vcc
	flat_load_dword v7, v[2:3]
	flat_load_dword v9, v[2:3] offset:1024
	flat_load_dword v11, v[2:3] offset:2048
	v_lshlrev_b32_e32 v6, 3, v10
	v_add_u32_e32 v8, v5, v6
	s_cmp_eq_u64 s[46:47], 0
	s_waitcnt vmcnt(0) lgkmcnt(0)
	ds_write2st64_b32 v5, v7, v9 offset1:4
	ds_write_b32 v5, v11 offset:2048
	s_waitcnt lgkmcnt(0)
	s_barrier
	ds_read2_b32 v[2:3], v8 offset1:1
	ds_read_b32 v5, v8 offset:8
	s_cbranch_scc1 .LBB2151_327
; %bb.323:
	s_andn2_b64 vcc, exec, s[44:45]
	s_cbranch_vccnz .LBB2151_500
; %bb.324:
	s_lshl_b64 s[12:13], s[46:47], 2
	s_add_u32 s12, s42, s12
	s_addc_u32 s13, s43, s13
	s_add_u32 s12, s12, -4
	s_addc_u32 s13, s13, -1
	s_cbranch_execnz .LBB2151_326
.LBB2151_325:
	s_add_u32 s12, s40, -4
	s_addc_u32 s13, s41, -1
.LBB2151_326:
	s_mov_b64 s[40:41], s[12:13]
.LBB2151_327:
	v_pk_mov_b32 v[14:15], s[40:41], s[40:41] op_sel:[0,1]
	flat_load_dword v7, v[14:15]
	v_sub_u32_e32 v6, v8, v6
	s_waitcnt lgkmcnt(0)
	ds_write_b32 v6, v5 offset:3072
	s_waitcnt lgkmcnt(0)
	s_barrier
	s_and_saveexec_b64 s[12:13], s[8:9]
	s_cbranch_execz .LBB2151_329
; %bb.328:
	s_waitcnt vmcnt(0)
	ds_read_b32 v7, v6 offset:3068
.LBB2151_329:
	s_or_b64 exec, exec, s[12:13]
	v_lshlrev_b32_e32 v8, 5, v10
	v_mov_b32_e32 v9, s53
	v_add_co_u32_e32 v8, vcc, s52, v8
	v_addc_co_u32_e32 v9, vcc, 0, v9, vcc
	s_waitcnt lgkmcnt(0)
	s_barrier
	flat_load_dwordx4 v[18:21], v[8:9]
	flat_load_dwordx4 v[22:25], v[8:9] offset:16
	s_movk_i32 s12, 0x2000
	v_add_co_u32_e32 v14, vcc, s12, v8
	v_addc_co_u32_e32 v15, vcc, 0, v9, vcc
	s_movk_i32 s12, 0x4000
	v_add_co_u32_e32 v8, vcc, s12, v8
	v_addc_co_u32_e32 v9, vcc, 0, v9, vcc
	v_cmp_ne_u32_e64 s[12:13], v3, v5
	v_mad_u32_u24 v5, v10, 28, v6
	v_cmp_ne_u32_e32 vcc, v2, v3
	v_lshl_add_u32 v11, v10, 6, v5
                                        ; kill: killed $vgpr8 killed $vgpr9
	v_cndmask_b32_e64 v3, 0, 1, vcc
	s_waitcnt vmcnt(0)
	v_cmp_ne_u32_e32 vcc, v7, v2
	v_cndmask_b32_e64 v2, 0, 1, vcc
	s_mov_b64 s[48:49], -1
	s_waitcnt lgkmcnt(0)
	buffer_store_dword v19, off, s[0:3], 0 offset:148
	buffer_store_dword v18, off, s[0:3], 0 offset:144
	;; [unrolled: 1-line block ×8, first 2 shown]
	flat_load_dwordx4 v[26:29], v[14:15]
	flat_load_dwordx4 v[30:33], v[14:15] offset:16
	s_waitcnt vmcnt(0) lgkmcnt(0)
	buffer_store_dword v27, off, s[0:3], 0 offset:180
	buffer_store_dword v26, off, s[0:3], 0 offset:176
	;; [unrolled: 1-line block ×8, first 2 shown]
	flat_load_dwordx4 v[26:29], v[8:9]
	s_nop 0
	flat_load_dwordx4 v[30:33], v[8:9] offset:16
	buffer_load_dword v37, v4, s[0:3], 0 offen offset:28
	buffer_load_dword v36, v4, s[0:3], 0 offen offset:24
	;; [unrolled: 1-line block ×7, first 2 shown]
	buffer_load_dword v38, v4, s[0:3], 0 offen
	s_waitcnt vmcnt(0) lgkmcnt(0)
	buffer_store_dword v27, off, s[0:3], 0 offset:212
	buffer_store_dword v26, off, s[0:3], 0 offset:208
	;; [unrolled: 1-line block ×8, first 2 shown]
	buffer_load_dword v26, v1, s[0:3], 0 offen offset:16
	buffer_load_dword v27, v1, s[0:3], 0 offen offset:20
	;; [unrolled: 1-line block ×4, first 2 shown]
	buffer_load_dword v30, v1, s[0:3], 0 offen
	buffer_load_dword v31, v1, s[0:3], 0 offen offset:4
	buffer_load_dword v32, v1, s[0:3], 0 offen offset:8
	;; [unrolled: 1-line block ×3, first 2 shown]
	ds_write_b128 v5, v[22:25] offset:16
	ds_write_b128 v5, v[18:21]
	ds_write_b128 v5, v[38:41] offset:8192
	ds_write_b128 v5, v[34:37] offset:8208
	s_waitcnt vmcnt(4)
	ds_write_b128 v5, v[26:29] offset:16400
	s_waitcnt vmcnt(0)
	ds_write_b128 v5, v[30:33] offset:16384
	s_waitcnt lgkmcnt(0)
	s_barrier
	ds_read_b128 v[6:9], v11
	ds_read_b128 v[18:21], v11 offset:16
	ds_read_b128 v[22:25], v11 offset:32
	;; [unrolled: 1-line block ×5, first 2 shown]
	buffer_store_byte v2, off, s[0:3], 0 offset:320
	buffer_store_byte v3, off, s[0:3], 0 offset:356
	s_waitcnt lgkmcnt(3)
	buffer_store_dword v25, v4, s[0:3], 0 offen offset:12
	buffer_store_dword v24, v4, s[0:3], 0 offen offset:8
	;; [unrolled: 1-line block ×3, first 2 shown]
	buffer_store_dword v22, v4, s[0:3], 0 offen
	s_waitcnt lgkmcnt(2)
	buffer_store_dword v29, v4, s[0:3], 0 offen offset:28
	buffer_store_dword v28, v4, s[0:3], 0 offen offset:24
	;; [unrolled: 1-line block ×4, first 2 shown]
	s_waitcnt lgkmcnt(1)
	buffer_store_dword v33, v1, s[0:3], 0 offen offset:12
	buffer_store_dword v32, v1, s[0:3], 0 offen offset:8
	;; [unrolled: 1-line block ×3, first 2 shown]
	buffer_store_dword v30, v1, s[0:3], 0 offen
	s_waitcnt lgkmcnt(0)
	buffer_store_dword v37, v1, s[0:3], 0 offen offset:28
	buffer_store_dword v36, v1, s[0:3], 0 offen offset:24
	buffer_store_dword v35, v1, s[0:3], 0 offen offset:20
	buffer_store_dword v34, v1, s[0:3], 0 offen offset:16
	buffer_store_dword v9, off, s[0:3], 0 offset:300
	buffer_store_dword v8, off, s[0:3], 0 offset:296
	;; [unrolled: 1-line block ×8, first 2 shown]
	buffer_store_dword v29, v13, s[0:3], 0 offen offset:28
	buffer_store_dword v28, v13, s[0:3], 0 offen offset:24
	;; [unrolled: 1-line block ×7, first 2 shown]
	buffer_store_dword v22, v13, s[0:3], 0 offen
	s_and_saveexec_b64 s[14:15], s[48:49]
	s_cbranch_execnz .LBB2151_19
	s_branch .LBB2151_20
.LBB2151_330:
	s_cbranch_execz .LBB2151_476
; %bb.331:
	s_cmp_lg_u64 s[34:35], 0
	s_cselect_b32 s13, s39, 0
	s_cselect_b32 s12, s38, 0
	s_cmp_lg_u64 s[12:13], 0
	s_cselect_b64 s[4:5], -1, 0
	s_and_b64 s[14:15], s[10:11], s[4:5]
	s_and_saveexec_b64 s[4:5], s[14:15]
	s_cbranch_execz .LBB2151_341
; %bb.332:
	buffer_load_ubyte v8, off, s[0:3], 0 offset:320
                                        ; implicit-def: $vgpr2_vgpr3
                                        ; implicit-def: $vgpr6_vgpr7
                                        ; implicit-def: $vgpr4_vgpr5
                                        ; implicit-def: $vgpr0_vgpr1
	s_waitcnt vmcnt(0)
	v_cmp_ne_u16_e32 vcc, 0, v8
	s_and_saveexec_b64 s[14:15], vcc
	s_xor_b64 s[14:15], exec, s[14:15]
	s_cbranch_execz .LBB2151_334
; %bb.333:
	buffer_load_dword v0, off, s[0:3], 0 offset:288
	buffer_load_dword v1, off, s[0:3], 0 offset:292
	;; [unrolled: 1-line block ×8, first 2 shown]
.LBB2151_334:
	s_andn2_saveexec_b64 s[14:15], s[14:15]
	s_cbranch_execz .LBB2151_340
; %bb.335:
	s_mov_b32 s16, 0
	s_waitcnt vmcnt(7)
	v_mov_b32_e32 v0, 0x90
	s_waitcnt vmcnt(6)
	v_mov_b32_e32 v1, 0
	s_waitcnt vmcnt(0)
.LBB2151_336:                           ; =>This Inner Loop Header: Depth=1
	v_add_u32_e32 v2, s16, v0
	s_add_i32 s16, s16, 8
	s_cmp_lg_u32 s16, 32
	buffer_store_dword v1, v2, s[0:3], 0 offen offset:4
	buffer_store_dword v1, v2, s[0:3], 0 offen
	s_cbranch_scc1 .LBB2151_336
; %bb.337:
	s_mov_b32 s20, 0
	v_mov_b32_e32 v0, 0
	v_mov_b32_e32 v1, 0x120
	;; [unrolled: 1-line block ×3, first 2 shown]
	s_mov_b64 s[16:17], s[12:13]
.LBB2151_338:                           ; =>This Inner Loop Header: Depth=1
	v_add_u32_e32 v3, s20, v1
	global_load_dwordx2 v[4:5], v0, s[16:17]
	buffer_load_dword v6, v3, s[0:3], 0 offen
	buffer_load_dword v7, v3, s[0:3], 0 offen offset:4
	s_add_u32 s16, s16, 8
                                        ; kill: killed $vgpr3
	v_add_u32_e32 v3, s20, v2
	s_addc_u32 s17, s17, 0
	s_add_i32 s20, s20, 8
	s_cmp_lg_u32 s20, 32
	s_waitcnt vmcnt(1)
	v_add_u32_e32 v4, v6, v4
	s_waitcnt vmcnt(0)
	v_add_u32_e32 v5, v7, v5
	buffer_store_dword v5, v3, s[0:3], 0 offen offset:4
	buffer_store_dword v4, v3, s[0:3], 0 offen
	s_cbranch_scc1 .LBB2151_338
; %bb.339:
	buffer_load_dword v0, off, s[0:3], 0 offset:144
	buffer_load_dword v1, off, s[0:3], 0 offset:148
	;; [unrolled: 1-line block ×8, first 2 shown]
.LBB2151_340:
	s_or_b64 exec, exec, s[14:15]
	v_mov_b32_e32 v9, 0
	global_load_ubyte v9, v9, s[12:13] offset:32
	s_waitcnt vmcnt(7)
	buffer_store_dword v1, off, s[0:3], 0 offset:292
	buffer_store_dword v0, off, s[0:3], 0 offset:288
	s_waitcnt vmcnt(7)
	buffer_store_dword v5, off, s[0:3], 0 offset:300
	buffer_store_dword v4, off, s[0:3], 0 offset:296
	;; [unrolled: 3-line block ×3, first 2 shown]
	s_waitcnt vmcnt(7)
	buffer_store_dword v3, off, s[0:3], 0 offset:316
	s_waitcnt vmcnt(7)
	v_or_b32_e32 v0, v8, v9
	v_and_b32_e32 v0, 1, v0
	buffer_store_dword v2, off, s[0:3], 0 offset:312
	buffer_store_byte v0, off, s[0:3], 0 offset:320
.LBB2151_341:
	s_or_b64 exec, exec, s[4:5]
	v_mov_b32_e32 v0, 0
	s_mov_b32 s4, 0
	v_mov_b32_e32 v1, 0x6c
	buffer_store_dword v0, off, s[0:3], 0 offset:136
	buffer_store_dword v0, off, s[0:3], 0 offset:132
	;; [unrolled: 1-line block ×9, first 2 shown]
.LBB2151_342:                           ; =>This Inner Loop Header: Depth=1
	v_add_u32_e32 v2, s4, v1
	s_add_i32 s4, s4, 8
	s_cmp_lg_u32 s4, 32
	buffer_store_dword v0, v2, s[0:3], 0 offen offset:4
	buffer_store_dword v0, v2, s[0:3], 0 offen
	s_cbranch_scc1 .LBB2151_342
; %bb.343:
	s_mov_b32 s4, 0
	v_mov_b32_e32 v0, 0
	v_mov_b32_e32 v1, 0x90
	buffer_store_byte v0, off, s[0:3], 0 offset:140
	buffer_store_dword v0, off, s[0:3], 0 offset:176
.LBB2151_344:                           ; =>This Inner Loop Header: Depth=1
	v_add_u32_e32 v2, s4, v1
	s_add_i32 s4, s4, 8
	s_cmp_lg_u32 s4, 32
	buffer_store_dword v0, v2, s[0:3], 0 offen offset:4
	buffer_store_dword v0, v2, s[0:3], 0 offen
	s_cbranch_scc1 .LBB2151_344
; %bb.345:
	buffer_load_dword v0, off, s[0:3], 0 offset:300
	buffer_load_dword v1, off, s[0:3], 0 offset:296
	;; [unrolled: 1-line block ×8, first 2 shown]
	buffer_load_ubyte v9, off, s[0:3], 0 offset:356
	buffer_load_ubyte v8, off, s[0:3], 0 offset:320
	s_waitcnt vmcnt(9)
	buffer_store_dword v0, off, s[0:3], 0 offset:156
	s_waitcnt vmcnt(9)
	buffer_store_dword v1, off, s[0:3], 0 offset:152
	;; [unrolled: 2-line block ×8, first 2 shown]
	s_waitcnt vmcnt(9)
	v_cmp_ne_u16_e32 vcc, 0, v9
                                        ; implicit-def: $vgpr6_vgpr7
                                        ; implicit-def: $vgpr4_vgpr5
                                        ; implicit-def: $vgpr2_vgpr3
                                        ; implicit-def: $vgpr0_vgpr1
	s_and_saveexec_b64 s[4:5], vcc
	s_xor_b64 s[4:5], exec, s[4:5]
	s_cbranch_execz .LBB2151_347
; %bb.346:
	buffer_load_dword v0, off, s[0:3], 0 offset:324
	buffer_load_dword v1, off, s[0:3], 0 offset:328
	;; [unrolled: 1-line block ×8, first 2 shown]
.LBB2151_347:
	s_andn2_saveexec_b64 s[4:5], s[4:5]
	s_cbranch_execz .LBB2151_353
; %bb.348:
	s_mov_b32 s12, 0
	s_waitcnt vmcnt(7)
	v_mov_b32_e32 v0, 0
	s_waitcnt vmcnt(6)
	v_mov_b32_e32 v1, 0
	s_waitcnt vmcnt(0)
.LBB2151_349:                           ; =>This Inner Loop Header: Depth=1
	v_add_u32_e32 v2, s12, v0
	s_add_i32 s12, s12, 8
	s_cmp_lg_u32 s12, 32
	buffer_store_dword v1, v2, s[0:3], 0 offen offset:4
	buffer_store_dword v1, v2, s[0:3], 0 offen
	s_cbranch_scc1 .LBB2151_349
; %bb.350:
	s_mov_b32 s12, 0
	v_mov_b32_e32 v0, 0x90
	v_mov_b32_e32 v1, 0x120
	;; [unrolled: 1-line block ×3, first 2 shown]
.LBB2151_351:                           ; =>This Inner Loop Header: Depth=1
	v_add_u32_e32 v3, s12, v0
	v_add_u32_e32 v4, s12, v1
	buffer_load_dword v5, v3, s[0:3], 0 offen offset:4
	buffer_load_dword v6, v4, s[0:3], 0 offen offset:36
	buffer_load_dword v7, v3, s[0:3], 0 offen
	buffer_load_dword v11, v4, s[0:3], 0 offen offset:40
                                        ; kill: killed $vgpr3
	v_add_u32_e32 v3, s12, v2
	s_add_i32 s12, s12, 8
	s_cmp_lg_u32 s12, 32
                                        ; kill: killed $vgpr4
	s_waitcnt vmcnt(1)
	v_add_u32_e32 v4, v6, v7
	s_waitcnt vmcnt(0)
	v_add_u32_e32 v5, v11, v5
	buffer_store_dword v5, v3, s[0:3], 0 offen offset:4
	buffer_store_dword v4, v3, s[0:3], 0 offen
	s_cbranch_scc1 .LBB2151_351
; %bb.352:
	buffer_load_dword v0, off, s[0:3], 0
	buffer_load_dword v1, off, s[0:3], 0 offset:4
	buffer_load_dword v2, off, s[0:3], 0 offset:8
	buffer_load_dword v3, off, s[0:3], 0 offset:12
	buffer_load_dword v4, off, s[0:3], 0 offset:16
	buffer_load_dword v5, off, s[0:3], 0 offset:20
	buffer_load_dword v6, off, s[0:3], 0 offset:24
	buffer_load_dword v7, off, s[0:3], 0 offset:28
.LBB2151_353:
	s_or_b64 exec, exec, s[4:5]
	buffer_load_ubyte v11, off, s[0:3], 0 offset:392
	s_waitcnt vmcnt(7)
	buffer_store_dword v1, off, s[0:3], 0 offset:148
	buffer_store_dword v0, off, s[0:3], 0 offset:144
	s_waitcnt vmcnt(7)
	buffer_store_dword v3, off, s[0:3], 0 offset:156
	buffer_store_dword v2, off, s[0:3], 0 offset:152
	;; [unrolled: 3-line block ×4, first 2 shown]
                                        ; implicit-def: $vgpr6_vgpr7
                                        ; implicit-def: $vgpr4_vgpr5
                                        ; implicit-def: $vgpr2_vgpr3
                                        ; implicit-def: $vgpr0_vgpr1
	s_waitcnt vmcnt(8)
	v_cmp_ne_u16_e32 vcc, 0, v11
	s_and_saveexec_b64 s[4:5], vcc
	s_xor_b64 s[4:5], exec, s[4:5]
	s_cbranch_execz .LBB2151_355
; %bb.354:
	buffer_load_dword v0, off, s[0:3], 0 offset:360
	buffer_load_dword v1, off, s[0:3], 0 offset:364
	;; [unrolled: 1-line block ×8, first 2 shown]
.LBB2151_355:
	s_andn2_saveexec_b64 s[4:5], s[4:5]
	s_cbranch_execz .LBB2151_361
; %bb.356:
	s_mov_b32 s12, 0
	s_waitcnt vmcnt(7)
	v_mov_b32_e32 v0, 0
	s_waitcnt vmcnt(6)
	v_mov_b32_e32 v1, 0
	s_waitcnt vmcnt(0)
.LBB2151_357:                           ; =>This Inner Loop Header: Depth=1
	v_add_u32_e32 v2, s12, v0
	s_add_i32 s12, s12, 8
	s_cmp_lg_u32 s12, 32
	buffer_store_dword v1, v2, s[0:3], 0 offen offset:4
	buffer_store_dword v1, v2, s[0:3], 0 offen
	s_cbranch_scc1 .LBB2151_357
; %bb.358:
	s_mov_b32 s12, 0
	v_mov_b32_e32 v0, 0x90
	v_mov_b32_e32 v1, 0x120
	;; [unrolled: 1-line block ×3, first 2 shown]
.LBB2151_359:                           ; =>This Inner Loop Header: Depth=1
	v_add_u32_e32 v3, s12, v0
	v_add_u32_e32 v4, s12, v1
	buffer_load_dword v5, v3, s[0:3], 0 offen offset:4
	buffer_load_dword v6, v4, s[0:3], 0 offen offset:72
	buffer_load_dword v7, v3, s[0:3], 0 offen
	buffer_load_dword v12, v4, s[0:3], 0 offen offset:76
                                        ; kill: killed $vgpr3
	v_add_u32_e32 v3, s12, v2
	s_add_i32 s12, s12, 8
	s_cmp_lg_u32 s12, 32
                                        ; kill: killed $vgpr4
	s_waitcnt vmcnt(1)
	v_add_u32_e32 v4, v6, v7
	s_waitcnt vmcnt(0)
	v_add_u32_e32 v5, v12, v5
	buffer_store_dword v5, v3, s[0:3], 0 offen offset:4
	buffer_store_dword v4, v3, s[0:3], 0 offen
	s_cbranch_scc1 .LBB2151_359
; %bb.360:
	buffer_load_dword v0, off, s[0:3], 0
	buffer_load_dword v1, off, s[0:3], 0 offset:4
	buffer_load_dword v2, off, s[0:3], 0 offset:8
	buffer_load_dword v3, off, s[0:3], 0 offset:12
	buffer_load_dword v4, off, s[0:3], 0 offset:16
	buffer_load_dword v5, off, s[0:3], 0 offset:20
	buffer_load_dword v6, off, s[0:3], 0 offset:24
	buffer_load_dword v7, off, s[0:3], 0 offset:28
.LBB2151_361:
	s_or_b64 exec, exec, s[4:5]
	buffer_load_ushort v12, off, s[0:3], 0 offset:177
	buffer_load_sbyte v14, off, s[0:3], 0 offset:179
	v_or_b32_e32 v9, v11, v9
	s_waitcnt vmcnt(9)
	v_mov_b32_dpp v15, v0 row_shr:1 row_mask:0xf bank_mask:0xf
	v_or_b32_e32 v8, v9, v8
	v_mbcnt_lo_u32_b32 v11, -1, 0
	s_waitcnt vmcnt(8)
	buffer_store_dword v1, off, s[0:3], 0 offset:76
	buffer_store_dword v0, off, s[0:3], 0 offset:72
	s_waitcnt vmcnt(8)
	buffer_store_dword v3, off, s[0:3], 0 offset:84
	buffer_store_dword v2, off, s[0:3], 0 offset:80
	;; [unrolled: 3-line block ×4, first 2 shown]
	v_mov_b32_dpp v17, v1 row_shr:1 row_mask:0xf bank_mask:0xf
	v_mov_b32_dpp v18, v2 row_shr:1 row_mask:0xf bank_mask:0xf
	;; [unrolled: 1-line block ×7, first 2 shown]
	buffer_store_dword v15, off, s[0:3], 0 offset:144
	buffer_store_dword v17, off, s[0:3], 0 offset:148
	;; [unrolled: 1-line block ×8, first 2 shown]
	v_and_b32_e32 v8, 1, v8
	v_mbcnt_hi_u32_b32 v11, -1, v11
	v_and_b32_e32 v9, 15, v11
	v_cmp_ne_u32_e32 vcc, 0, v9
	s_waitcnt vmcnt(17)
	v_lshrrev_b32_e32 v15, 8, v12
	v_lshlrev_b16_e32 v12, 8, v12
	s_waitcnt vmcnt(16)
	v_lshlrev_b16_e32 v14, 8, v14
	v_or_b32_e32 v8, v8, v12
	v_or_b32_sdwa v12, v15, v14 dst_sel:WORD_1 dst_unused:UNUSED_PAD src0_sel:BYTE_0 src1_sel:DWORD
	v_or_b32_sdwa v12, v8, v12 dst_sel:DWORD dst_unused:UNUSED_PAD src0_sel:WORD_0 src1_sel:DWORD
	buffer_store_dword v12, off, s[0:3], 0 offset:104
	s_nop 0
	v_mov_b32_dpp v14, v12 row_shr:1 row_mask:0xf bank_mask:0xf
	buffer_store_dword v14, off, s[0:3], 0 offset:176
	s_and_saveexec_b64 s[4:5], vcc
	s_cbranch_execz .LBB2151_369
; %bb.362:
	v_mov_b32_e32 v15, 0
	v_cmp_eq_u16_sdwa s[14:15], v8, v15 src0_sel:BYTE_0 src1_sel:DWORD
	s_and_saveexec_b64 s[12:13], s[14:15]
	s_cbranch_execz .LBB2151_368
; %bb.363:
	s_mov_b32 s14, 0
	v_mov_b32_e32 v0, 0
.LBB2151_364:                           ; =>This Inner Loop Header: Depth=1
	v_add_u32_e32 v1, s14, v0
	s_add_i32 s14, s14, 8
	s_cmp_lg_u32 s14, 32
	buffer_store_dword v15, v1, s[0:3], 0 offen offset:4
	buffer_store_dword v15, v1, s[0:3], 0 offen
	s_cbranch_scc1 .LBB2151_364
; %bb.365:
	s_mov_b32 s14, 0
	v_mov_b32_e32 v0, 0x90
	v_mov_b32_e32 v1, 0x48
	;; [unrolled: 1-line block ×3, first 2 shown]
.LBB2151_366:                           ; =>This Inner Loop Header: Depth=1
	v_add_u32_e32 v3, s14, v0
	v_add_u32_e32 v4, s14, v1
	buffer_load_dword v5, v3, s[0:3], 0 offen offset:4
	buffer_load_dword v6, v4, s[0:3], 0 offen
	buffer_load_dword v7, v3, s[0:3], 0 offen
	buffer_load_dword v8, v4, s[0:3], 0 offen offset:4
                                        ; kill: killed $vgpr3
	v_add_u32_e32 v3, s14, v2
	s_add_i32 s14, s14, 8
	s_cmp_lg_u32 s14, 32
                                        ; kill: killed $vgpr4
	s_waitcnt vmcnt(1)
	v_add_u32_e32 v4, v6, v7
	s_waitcnt vmcnt(0)
	v_add_u32_e32 v5, v8, v5
	buffer_store_dword v5, v3, s[0:3], 0 offen offset:4
	buffer_store_dword v4, v3, s[0:3], 0 offen
	s_cbranch_scc1 .LBB2151_366
; %bb.367:
	buffer_load_dword v0, off, s[0:3], 0
	buffer_load_dword v1, off, s[0:3], 0 offset:4
	buffer_load_dword v2, off, s[0:3], 0 offset:8
	;; [unrolled: 1-line block ×7, first 2 shown]
.LBB2151_368:
	s_or_b64 exec, exec, s[12:13]
	v_or_b32_e32 v8, v14, v12
	v_and_b32_e32 v8, 1, v8
	buffer_store_byte v8, off, s[0:3], 0 offset:104
	buffer_load_dword v12, off, s[0:3], 0 offset:104
	s_waitcnt vmcnt(8)
	buffer_store_dword v1, off, s[0:3], 0 offset:76
	buffer_store_dword v0, off, s[0:3], 0 offset:72
	s_waitcnt vmcnt(8)
	buffer_store_dword v3, off, s[0:3], 0 offset:84
	buffer_store_dword v2, off, s[0:3], 0 offset:80
	;; [unrolled: 3-line block ×4, first 2 shown]
	s_waitcnt vmcnt(8)
	v_mov_b32_e32 v8, v12
.LBB2151_369:
	s_or_b64 exec, exec, s[4:5]
	v_mov_b32_dpp v15, v0 row_shr:2 row_mask:0xf bank_mask:0xf
	v_mov_b32_dpp v14, v12 row_shr:2 row_mask:0xf bank_mask:0xf
	v_cmp_lt_u32_e32 vcc, 1, v9
	v_mov_b32_dpp v17, v1 row_shr:2 row_mask:0xf bank_mask:0xf
	v_mov_b32_dpp v18, v2 row_shr:2 row_mask:0xf bank_mask:0xf
	;; [unrolled: 1-line block ×7, first 2 shown]
	buffer_store_dword v15, off, s[0:3], 0 offset:144
	buffer_store_dword v17, off, s[0:3], 0 offset:148
	;; [unrolled: 1-line block ×9, first 2 shown]
	s_and_saveexec_b64 s[12:13], vcc
	s_cbranch_execz .LBB2151_377
; %bb.370:
	v_mov_b32_e32 v12, 0
	s_mov_b32 s14, 0
	v_cmp_eq_u16_sdwa s[16:17], v8, v12 src0_sel:BYTE_0 src1_sel:DWORD
	s_and_saveexec_b64 s[4:5], s[16:17]
	s_cbranch_execz .LBB2151_376
; %bb.371:
	v_mov_b32_e32 v0, 0
.LBB2151_372:                           ; =>This Inner Loop Header: Depth=1
	v_add_u32_e32 v1, s14, v0
	s_add_i32 s14, s14, 8
	s_cmp_lg_u32 s14, 32
	buffer_store_dword v12, v1, s[0:3], 0 offen offset:4
	buffer_store_dword v12, v1, s[0:3], 0 offen
	s_cbranch_scc1 .LBB2151_372
; %bb.373:
	s_mov_b32 s14, 0
	v_mov_b32_e32 v0, 0x90
	v_mov_b32_e32 v1, 0x48
	;; [unrolled: 1-line block ×3, first 2 shown]
.LBB2151_374:                           ; =>This Inner Loop Header: Depth=1
	v_add_u32_e32 v3, s14, v0
	v_add_u32_e32 v4, s14, v1
	buffer_load_dword v5, v3, s[0:3], 0 offen offset:4
	buffer_load_dword v6, v4, s[0:3], 0 offen
	buffer_load_dword v7, v3, s[0:3], 0 offen
	buffer_load_dword v12, v4, s[0:3], 0 offen offset:4
                                        ; kill: killed $vgpr3
	v_add_u32_e32 v3, s14, v2
	s_add_i32 s14, s14, 8
	s_cmp_lg_u32 s14, 32
                                        ; kill: killed $vgpr4
	s_waitcnt vmcnt(1)
	v_add_u32_e32 v4, v6, v7
	s_waitcnt vmcnt(0)
	v_add_u32_e32 v5, v12, v5
	buffer_store_dword v5, v3, s[0:3], 0 offen offset:4
	buffer_store_dword v4, v3, s[0:3], 0 offen
	s_cbranch_scc1 .LBB2151_374
; %bb.375:
	buffer_load_dword v0, off, s[0:3], 0
	buffer_load_dword v1, off, s[0:3], 0 offset:4
	buffer_load_dword v2, off, s[0:3], 0 offset:8
	;; [unrolled: 1-line block ×7, first 2 shown]
.LBB2151_376:
	s_or_b64 exec, exec, s[4:5]
	v_and_b32_e32 v8, 1, v8
	v_cmp_eq_u32_e32 vcc, 1, v8
	v_and_b32_e32 v8, 1, v14
	v_cmp_eq_u32_e64 s[4:5], 1, v8
	s_or_b64 s[4:5], vcc, s[4:5]
	v_cndmask_b32_e64 v8, 0, 1, s[4:5]
	buffer_store_byte v8, off, s[0:3], 0 offset:104
	buffer_load_dword v12, off, s[0:3], 0 offset:104
	s_waitcnt vmcnt(8)
	buffer_store_dword v1, off, s[0:3], 0 offset:76
	buffer_store_dword v0, off, s[0:3], 0 offset:72
	s_waitcnt vmcnt(8)
	buffer_store_dword v3, off, s[0:3], 0 offset:84
	buffer_store_dword v2, off, s[0:3], 0 offset:80
	;; [unrolled: 3-line block ×4, first 2 shown]
	s_waitcnt vmcnt(8)
	v_mov_b32_e32 v8, v12
.LBB2151_377:
	s_or_b64 exec, exec, s[12:13]
	v_mov_b32_dpp v15, v0 row_shr:4 row_mask:0xf bank_mask:0xf
	v_mov_b32_dpp v14, v12 row_shr:4 row_mask:0xf bank_mask:0xf
	v_cmp_lt_u32_e32 vcc, 3, v9
	v_mov_b32_dpp v17, v1 row_shr:4 row_mask:0xf bank_mask:0xf
	v_mov_b32_dpp v18, v2 row_shr:4 row_mask:0xf bank_mask:0xf
	;; [unrolled: 1-line block ×7, first 2 shown]
	buffer_store_dword v15, off, s[0:3], 0 offset:144
	buffer_store_dword v17, off, s[0:3], 0 offset:148
	;; [unrolled: 1-line block ×9, first 2 shown]
	s_and_saveexec_b64 s[12:13], vcc
	s_cbranch_execz .LBB2151_385
; %bb.378:
	v_mov_b32_e32 v12, 0
	s_mov_b32 s14, 0
	v_cmp_eq_u16_sdwa s[16:17], v8, v12 src0_sel:BYTE_0 src1_sel:DWORD
	s_and_saveexec_b64 s[4:5], s[16:17]
	s_cbranch_execz .LBB2151_384
; %bb.379:
	v_mov_b32_e32 v0, 0
.LBB2151_380:                           ; =>This Inner Loop Header: Depth=1
	v_add_u32_e32 v1, s14, v0
	s_add_i32 s14, s14, 8
	s_cmp_lg_u32 s14, 32
	buffer_store_dword v12, v1, s[0:3], 0 offen offset:4
	buffer_store_dword v12, v1, s[0:3], 0 offen
	s_cbranch_scc1 .LBB2151_380
; %bb.381:
	s_mov_b32 s14, 0
	v_mov_b32_e32 v0, 0x90
	v_mov_b32_e32 v1, 0x48
	;; [unrolled: 1-line block ×3, first 2 shown]
.LBB2151_382:                           ; =>This Inner Loop Header: Depth=1
	v_add_u32_e32 v3, s14, v0
	v_add_u32_e32 v4, s14, v1
	buffer_load_dword v5, v3, s[0:3], 0 offen offset:4
	buffer_load_dword v6, v4, s[0:3], 0 offen
	buffer_load_dword v7, v3, s[0:3], 0 offen
	buffer_load_dword v12, v4, s[0:3], 0 offen offset:4
                                        ; kill: killed $vgpr3
	v_add_u32_e32 v3, s14, v2
	s_add_i32 s14, s14, 8
	s_cmp_lg_u32 s14, 32
                                        ; kill: killed $vgpr4
	s_waitcnt vmcnt(1)
	v_add_u32_e32 v4, v6, v7
	s_waitcnt vmcnt(0)
	v_add_u32_e32 v5, v12, v5
	buffer_store_dword v5, v3, s[0:3], 0 offen offset:4
	buffer_store_dword v4, v3, s[0:3], 0 offen
	s_cbranch_scc1 .LBB2151_382
; %bb.383:
	buffer_load_dword v0, off, s[0:3], 0
	buffer_load_dword v1, off, s[0:3], 0 offset:4
	buffer_load_dword v2, off, s[0:3], 0 offset:8
	;; [unrolled: 1-line block ×7, first 2 shown]
.LBB2151_384:
	s_or_b64 exec, exec, s[4:5]
	v_and_b32_e32 v8, 1, v8
	v_cmp_eq_u32_e32 vcc, 1, v8
	v_and_b32_e32 v8, 1, v14
	v_cmp_eq_u32_e64 s[4:5], 1, v8
	s_or_b64 s[4:5], vcc, s[4:5]
	v_cndmask_b32_e64 v8, 0, 1, s[4:5]
	buffer_store_byte v8, off, s[0:3], 0 offset:104
	buffer_load_dword v12, off, s[0:3], 0 offset:104
	s_waitcnt vmcnt(8)
	buffer_store_dword v1, off, s[0:3], 0 offset:76
	buffer_store_dword v0, off, s[0:3], 0 offset:72
	s_waitcnt vmcnt(8)
	buffer_store_dword v3, off, s[0:3], 0 offset:84
	buffer_store_dword v2, off, s[0:3], 0 offset:80
	;; [unrolled: 3-line block ×4, first 2 shown]
	s_waitcnt vmcnt(8)
	v_mov_b32_e32 v8, v12
.LBB2151_385:
	s_or_b64 exec, exec, s[12:13]
	v_mov_b32_dpp v15, v0 row_shr:8 row_mask:0xf bank_mask:0xf
	v_mov_b32_dpp v14, v12 row_shr:8 row_mask:0xf bank_mask:0xf
	v_cmp_lt_u32_e32 vcc, 7, v9
	v_mov_b32_dpp v17, v1 row_shr:8 row_mask:0xf bank_mask:0xf
	v_mov_b32_dpp v18, v2 row_shr:8 row_mask:0xf bank_mask:0xf
	;; [unrolled: 1-line block ×7, first 2 shown]
	buffer_store_dword v15, off, s[0:3], 0 offset:144
	buffer_store_dword v17, off, s[0:3], 0 offset:148
	;; [unrolled: 1-line block ×9, first 2 shown]
	s_and_saveexec_b64 s[12:13], vcc
	s_cbranch_execz .LBB2151_393
; %bb.386:
	v_mov_b32_e32 v9, 0
	s_mov_b32 s14, 0
	v_cmp_eq_u16_sdwa s[16:17], v8, v9 src0_sel:BYTE_0 src1_sel:DWORD
	s_and_saveexec_b64 s[4:5], s[16:17]
	s_cbranch_execz .LBB2151_392
; %bb.387:
	v_mov_b32_e32 v0, 0
.LBB2151_388:                           ; =>This Inner Loop Header: Depth=1
	v_add_u32_e32 v1, s14, v0
	s_add_i32 s14, s14, 8
	s_cmp_lg_u32 s14, 32
	buffer_store_dword v9, v1, s[0:3], 0 offen offset:4
	buffer_store_dword v9, v1, s[0:3], 0 offen
	s_cbranch_scc1 .LBB2151_388
; %bb.389:
	s_mov_b32 s14, 0
	v_mov_b32_e32 v0, 0x90
	v_mov_b32_e32 v1, 0x48
	;; [unrolled: 1-line block ×3, first 2 shown]
.LBB2151_390:                           ; =>This Inner Loop Header: Depth=1
	v_add_u32_e32 v3, s14, v0
	v_add_u32_e32 v4, s14, v1
	buffer_load_dword v5, v3, s[0:3], 0 offen offset:4
	buffer_load_dword v6, v4, s[0:3], 0 offen
	buffer_load_dword v7, v3, s[0:3], 0 offen
	buffer_load_dword v9, v4, s[0:3], 0 offen offset:4
                                        ; kill: killed $vgpr3
	v_add_u32_e32 v3, s14, v2
	s_add_i32 s14, s14, 8
	s_cmp_lg_u32 s14, 32
                                        ; kill: killed $vgpr4
	s_waitcnt vmcnt(1)
	v_add_u32_e32 v4, v6, v7
	s_waitcnt vmcnt(0)
	v_add_u32_e32 v5, v9, v5
	buffer_store_dword v5, v3, s[0:3], 0 offen offset:4
	buffer_store_dword v4, v3, s[0:3], 0 offen
	s_cbranch_scc1 .LBB2151_390
; %bb.391:
	buffer_load_dword v0, off, s[0:3], 0
	buffer_load_dword v1, off, s[0:3], 0 offset:4
	buffer_load_dword v2, off, s[0:3], 0 offset:8
	;; [unrolled: 1-line block ×7, first 2 shown]
.LBB2151_392:
	s_or_b64 exec, exec, s[4:5]
	v_and_b32_e32 v8, 1, v8
	v_cmp_eq_u32_e32 vcc, 1, v8
	v_and_b32_e32 v8, 1, v14
	v_cmp_eq_u32_e64 s[4:5], 1, v8
	s_or_b64 s[4:5], vcc, s[4:5]
	v_cndmask_b32_e64 v8, 0, 1, s[4:5]
	buffer_store_byte v8, off, s[0:3], 0 offset:104
	buffer_load_dword v12, off, s[0:3], 0 offset:104
	s_waitcnt vmcnt(8)
	buffer_store_dword v1, off, s[0:3], 0 offset:76
	buffer_store_dword v0, off, s[0:3], 0 offset:72
	s_waitcnt vmcnt(8)
	buffer_store_dword v3, off, s[0:3], 0 offset:84
	buffer_store_dword v2, off, s[0:3], 0 offset:80
	;; [unrolled: 3-line block ×4, first 2 shown]
	s_waitcnt vmcnt(8)
	v_mov_b32_e32 v8, v12
.LBB2151_393:
	s_or_b64 exec, exec, s[12:13]
	v_mov_b32_dpp v14, v0 row_bcast:15 row_mask:0xf bank_mask:0xf
	v_mov_b32_dpp v15, v1 row_bcast:15 row_mask:0xf bank_mask:0xf
	;; [unrolled: 1-line block ×9, first 2 shown]
	buffer_store_dword v14, off, s[0:3], 0 offset:144
	buffer_store_dword v15, off, s[0:3], 0 offset:148
	;; [unrolled: 1-line block ×9, first 2 shown]
	v_and_b32_e32 v14, 16, v11
	v_cmp_ne_u32_e32 vcc, 0, v14
	s_and_saveexec_b64 s[12:13], vcc
	s_cbranch_execz .LBB2151_401
; %bb.394:
	v_mov_b32_e32 v12, 0
	s_mov_b32 s14, 0
	v_cmp_eq_u16_sdwa s[16:17], v8, v12 src0_sel:BYTE_0 src1_sel:DWORD
	s_and_saveexec_b64 s[4:5], s[16:17]
	s_cbranch_execz .LBB2151_400
; %bb.395:
	v_mov_b32_e32 v0, 0
.LBB2151_396:                           ; =>This Inner Loop Header: Depth=1
	v_add_u32_e32 v1, s14, v0
	s_add_i32 s14, s14, 8
	s_cmp_lg_u32 s14, 32
	buffer_store_dword v12, v1, s[0:3], 0 offen offset:4
	buffer_store_dword v12, v1, s[0:3], 0 offen
	s_cbranch_scc1 .LBB2151_396
; %bb.397:
	s_mov_b32 s14, 0
	v_mov_b32_e32 v0, 0x90
	v_mov_b32_e32 v1, 0x48
	;; [unrolled: 1-line block ×3, first 2 shown]
.LBB2151_398:                           ; =>This Inner Loop Header: Depth=1
	v_add_u32_e32 v3, s14, v0
	v_add_u32_e32 v4, s14, v1
	buffer_load_dword v5, v3, s[0:3], 0 offen offset:4
	buffer_load_dword v6, v4, s[0:3], 0 offen
	buffer_load_dword v7, v3, s[0:3], 0 offen
	buffer_load_dword v12, v4, s[0:3], 0 offen offset:4
                                        ; kill: killed $vgpr3
	v_add_u32_e32 v3, s14, v2
	s_add_i32 s14, s14, 8
	s_cmp_lg_u32 s14, 32
                                        ; kill: killed $vgpr4
	s_waitcnt vmcnt(1)
	v_add_u32_e32 v4, v6, v7
	s_waitcnt vmcnt(0)
	v_add_u32_e32 v5, v12, v5
	buffer_store_dword v5, v3, s[0:3], 0 offen offset:4
	buffer_store_dword v4, v3, s[0:3], 0 offen
	s_cbranch_scc1 .LBB2151_398
; %bb.399:
	buffer_load_dword v0, off, s[0:3], 0
	buffer_load_dword v1, off, s[0:3], 0 offset:4
	buffer_load_dword v2, off, s[0:3], 0 offset:8
	;; [unrolled: 1-line block ×7, first 2 shown]
.LBB2151_400:
	s_or_b64 exec, exec, s[4:5]
	v_and_b32_e32 v8, 1, v8
	v_cmp_eq_u32_e32 vcc, 1, v8
	v_and_b32_e32 v8, 1, v9
	v_cmp_eq_u32_e64 s[4:5], 1, v8
	s_or_b64 s[4:5], vcc, s[4:5]
	v_cndmask_b32_e64 v8, 0, 1, s[4:5]
	buffer_store_byte v8, off, s[0:3], 0 offset:104
	buffer_load_dword v12, off, s[0:3], 0 offset:104
	s_waitcnt vmcnt(8)
	buffer_store_dword v1, off, s[0:3], 0 offset:76
	buffer_store_dword v0, off, s[0:3], 0 offset:72
	s_waitcnt vmcnt(8)
	buffer_store_dword v3, off, s[0:3], 0 offset:84
	buffer_store_dword v2, off, s[0:3], 0 offset:80
	;; [unrolled: 3-line block ×4, first 2 shown]
	s_waitcnt vmcnt(8)
	v_mov_b32_e32 v8, v12
.LBB2151_401:
	s_or_b64 exec, exec, s[12:13]
	v_mov_b32_dpp v14, v0 row_bcast:31 row_mask:0xf bank_mask:0xf
	v_mov_b32_dpp v9, v12 row_bcast:31 row_mask:0xf bank_mask:0xf
	v_cmp_lt_u32_e32 vcc, 31, v11
	v_mov_b32_dpp v15, v1 row_bcast:31 row_mask:0xf bank_mask:0xf
	v_mov_b32_dpp v17, v2 row_bcast:31 row_mask:0xf bank_mask:0xf
	;; [unrolled: 1-line block ×7, first 2 shown]
	buffer_store_dword v14, off, s[0:3], 0 offset:144
	buffer_store_dword v15, off, s[0:3], 0 offset:148
	;; [unrolled: 1-line block ×9, first 2 shown]
	s_and_saveexec_b64 s[12:13], vcc
	s_cbranch_execz .LBB2151_409
; %bb.402:
	v_mov_b32_e32 v12, 0
	s_mov_b32 s14, 0
	v_cmp_eq_u16_sdwa s[16:17], v8, v12 src0_sel:BYTE_0 src1_sel:DWORD
	s_and_saveexec_b64 s[4:5], s[16:17]
	s_cbranch_execz .LBB2151_408
; %bb.403:
	v_mov_b32_e32 v0, 0
.LBB2151_404:                           ; =>This Inner Loop Header: Depth=1
	v_add_u32_e32 v1, s14, v0
	s_add_i32 s14, s14, 8
	s_cmp_lg_u32 s14, 32
	buffer_store_dword v12, v1, s[0:3], 0 offen offset:4
	buffer_store_dword v12, v1, s[0:3], 0 offen
	s_cbranch_scc1 .LBB2151_404
; %bb.405:
	s_mov_b32 s14, 0
	v_mov_b32_e32 v0, 0x90
	v_mov_b32_e32 v1, 0x48
	v_mov_b32_e32 v2, 0
.LBB2151_406:                           ; =>This Inner Loop Header: Depth=1
	v_add_u32_e32 v3, s14, v0
	v_add_u32_e32 v4, s14, v1
	buffer_load_dword v5, v3, s[0:3], 0 offen offset:4
	buffer_load_dword v6, v4, s[0:3], 0 offen
	buffer_load_dword v7, v3, s[0:3], 0 offen
	buffer_load_dword v12, v4, s[0:3], 0 offen offset:4
                                        ; kill: killed $vgpr3
	v_add_u32_e32 v3, s14, v2
	s_add_i32 s14, s14, 8
	s_cmp_lg_u32 s14, 32
                                        ; kill: killed $vgpr4
	s_waitcnt vmcnt(1)
	v_add_u32_e32 v4, v6, v7
	s_waitcnt vmcnt(0)
	v_add_u32_e32 v5, v12, v5
	buffer_store_dword v5, v3, s[0:3], 0 offen offset:4
	buffer_store_dword v4, v3, s[0:3], 0 offen
	s_cbranch_scc1 .LBB2151_406
; %bb.407:
	buffer_load_dword v0, off, s[0:3], 0
	buffer_load_dword v1, off, s[0:3], 0 offset:4
	buffer_load_dword v2, off, s[0:3], 0 offset:8
	;; [unrolled: 1-line block ×7, first 2 shown]
.LBB2151_408:
	s_or_b64 exec, exec, s[4:5]
	v_and_b32_e32 v8, 1, v8
	v_cmp_eq_u32_e32 vcc, 1, v8
	v_and_b32_e32 v8, 1, v9
	v_cmp_eq_u32_e64 s[4:5], 1, v8
	s_or_b64 s[4:5], vcc, s[4:5]
	v_cndmask_b32_e64 v8, 0, 1, s[4:5]
	s_waitcnt vmcnt(6)
	buffer_store_dword v1, off, s[0:3], 0 offset:76
	buffer_store_dword v0, off, s[0:3], 0 offset:72
	s_waitcnt vmcnt(6)
	buffer_store_dword v3, off, s[0:3], 0 offset:84
	buffer_store_dword v2, off, s[0:3], 0 offset:80
	;; [unrolled: 3-line block ×4, first 2 shown]
	buffer_store_byte v8, off, s[0:3], 0 offset:104
.LBB2151_409:
	s_or_b64 exec, exec, s[12:13]
	v_or_b32_e32 v12, 63, v10
	v_lshrrev_b32_e32 v9, 6, v10
	v_cmp_eq_u32_e32 vcc, v12, v10
	s_and_saveexec_b64 s[4:5], vcc
	s_cbranch_execz .LBB2151_411
; %bb.410:
	v_mul_u32_u24_e32 v12, 36, v9
	ds_write2_b32 v12, v0, v1 offset1:1
	ds_write2_b32 v12, v2, v3 offset0:2 offset1:3
	ds_write2_b32 v12, v4, v5 offset0:4 offset1:5
	;; [unrolled: 1-line block ×3, first 2 shown]
	ds_write_b8 v12, v8 offset:32
.LBB2151_411:
	s_or_b64 exec, exec, s[4:5]
	v_cmp_gt_u32_e32 vcc, 4, v10
	s_waitcnt lgkmcnt(0)
	s_barrier
	s_and_saveexec_b64 s[12:13], vcc
	s_cbranch_execz .LBB2151_429
; %bb.412:
	v_mul_u32_u24_e32 v8, 36, v10
	ds_read_b32 v12, v8 offset:32
	ds_read2_b32 v[0:1], v8 offset0:6 offset1:7
	ds_read2_b32 v[2:3], v8 offset0:4 offset1:5
	;; [unrolled: 1-line block ×3, first 2 shown]
	ds_read2_b32 v[6:7], v8 offset1:1
	v_and_b32_e32 v14, 3, v11
	s_waitcnt lgkmcnt(4)
	v_mov_b32_dpp v15, v12 row_shr:1 row_mask:0xf bank_mask:0xf
	v_cmp_ne_u32_e32 vcc, 0, v14
	buffer_store_dword v12, off, s[0:3], 0 offset:32
	s_waitcnt lgkmcnt(0)
	v_mov_b32_dpp v17, v6 row_shr:1 row_mask:0xf bank_mask:0xf
	buffer_store_dword v1, off, s[0:3], 0 offset:28
	buffer_store_dword v0, off, s[0:3], 0 offset:24
	;; [unrolled: 1-line block ×7, first 2 shown]
	buffer_store_dword v6, off, s[0:3], 0
	v_mov_b32_dpp v18, v7 row_shr:1 row_mask:0xf bank_mask:0xf
	v_mov_b32_dpp v19, v4 row_shr:1 row_mask:0xf bank_mask:0xf
	;; [unrolled: 1-line block ×7, first 2 shown]
	buffer_store_dword v17, off, s[0:3], 0 offset:144
	buffer_store_dword v18, off, s[0:3], 0 offset:148
	;; [unrolled: 1-line block ×9, first 2 shown]
	s_and_saveexec_b64 s[4:5], vcc
	s_cbranch_execz .LBB2151_420
; %bb.413:
	v_mov_b32_e32 v17, 0
	v_cmp_eq_u16_sdwa s[16:17], v12, v17 src0_sel:BYTE_0 src1_sel:DWORD
	s_and_saveexec_b64 s[14:15], s[16:17]
	s_cbranch_execz .LBB2151_419
; %bb.414:
	s_mov_b32 s16, 0
	v_mov_b32_e32 v0, 36
.LBB2151_415:                           ; =>This Inner Loop Header: Depth=1
	v_add_u32_e32 v1, s16, v0
	s_add_i32 s16, s16, 8
	s_cmp_lg_u32 s16, 32
	buffer_store_dword v17, v1, s[0:3], 0 offen offset:4
	buffer_store_dword v17, v1, s[0:3], 0 offen
	s_cbranch_scc1 .LBB2151_415
; %bb.416:
	s_mov_b32 s16, 0
	v_mov_b32_e32 v0, 0x90
	v_mov_b32_e32 v1, 0
	;; [unrolled: 1-line block ×3, first 2 shown]
.LBB2151_417:                           ; =>This Inner Loop Header: Depth=1
	v_add_u32_e32 v3, s16, v0
	v_add_u32_e32 v4, s16, v1
	buffer_load_dword v5, v3, s[0:3], 0 offen offset:4
	buffer_load_dword v6, v4, s[0:3], 0 offen
	buffer_load_dword v7, v3, s[0:3], 0 offen
	buffer_load_dword v17, v4, s[0:3], 0 offen offset:4
                                        ; kill: killed $vgpr3
	v_add_u32_e32 v3, s16, v2
	s_add_i32 s16, s16, 8
	s_cmp_lg_u32 s16, 32
                                        ; kill: killed $vgpr4
	s_waitcnt vmcnt(1)
	v_add_u32_e32 v4, v6, v7
	s_waitcnt vmcnt(0)
	v_add_u32_e32 v5, v17, v5
	buffer_store_dword v5, v3, s[0:3], 0 offen offset:4
	buffer_store_dword v4, v3, s[0:3], 0 offen
	s_cbranch_scc1 .LBB2151_417
; %bb.418:
	buffer_load_dword v6, off, s[0:3], 0 offset:36
	buffer_load_dword v7, off, s[0:3], 0 offset:40
	;; [unrolled: 1-line block ×8, first 2 shown]
.LBB2151_419:
	s_or_b64 exec, exec, s[14:15]
	v_or_b32_e32 v12, v15, v12
	v_and_b32_e32 v12, 1, v12
	buffer_store_byte v12, off, s[0:3], 0 offset:32
	buffer_load_dword v12, off, s[0:3], 0 offset:32
	s_waitcnt vmcnt(8)
	buffer_store_dword v7, off, s[0:3], 0 offset:4
	buffer_store_dword v6, off, s[0:3], 0
	s_waitcnt vmcnt(8)
	buffer_store_dword v5, off, s[0:3], 0 offset:12
	buffer_store_dword v4, off, s[0:3], 0 offset:8
	s_waitcnt vmcnt(8)
	buffer_store_dword v3, off, s[0:3], 0 offset:20
	buffer_store_dword v2, off, s[0:3], 0 offset:16
	;; [unrolled: 3-line block ×3, first 2 shown]
.LBB2151_420:
	s_or_b64 exec, exec, s[4:5]
	v_mov_b32_dpp v17, v6 row_shr:2 row_mask:0xf bank_mask:0xf
	s_waitcnt vmcnt(8)
	v_mov_b32_dpp v15, v12 row_shr:2 row_mask:0xf bank_mask:0xf
	v_cmp_lt_u32_e32 vcc, 1, v14
	v_mov_b32_dpp v18, v7 row_shr:2 row_mask:0xf bank_mask:0xf
	v_mov_b32_dpp v19, v4 row_shr:2 row_mask:0xf bank_mask:0xf
	;; [unrolled: 1-line block ×7, first 2 shown]
	buffer_store_dword v17, off, s[0:3], 0 offset:144
	buffer_store_dword v18, off, s[0:3], 0 offset:148
	;; [unrolled: 1-line block ×9, first 2 shown]
	s_and_saveexec_b64 s[14:15], vcc
	s_cbranch_execz .LBB2151_428
; %bb.421:
	v_mov_b32_e32 v14, 0
	s_mov_b32 s16, 0
	v_cmp_eq_u16_sdwa s[20:21], v12, v14 src0_sel:BYTE_0 src1_sel:DWORD
	s_and_saveexec_b64 s[4:5], s[20:21]
	s_cbranch_execz .LBB2151_427
; %bb.422:
	v_mov_b32_e32 v0, 36
.LBB2151_423:                           ; =>This Inner Loop Header: Depth=1
	v_add_u32_e32 v1, s16, v0
	s_add_i32 s16, s16, 8
	s_cmp_lg_u32 s16, 32
	buffer_store_dword v14, v1, s[0:3], 0 offen offset:4
	buffer_store_dword v14, v1, s[0:3], 0 offen
	s_cbranch_scc1 .LBB2151_423
; %bb.424:
	s_mov_b32 s16, 0
	v_mov_b32_e32 v0, 0x90
	v_mov_b32_e32 v1, 0
	;; [unrolled: 1-line block ×3, first 2 shown]
.LBB2151_425:                           ; =>This Inner Loop Header: Depth=1
	v_add_u32_e32 v3, s16, v0
	v_add_u32_e32 v4, s16, v1
	buffer_load_dword v5, v3, s[0:3], 0 offen offset:4
	buffer_load_dword v6, v4, s[0:3], 0 offen
	buffer_load_dword v7, v3, s[0:3], 0 offen
	buffer_load_dword v14, v4, s[0:3], 0 offen offset:4
                                        ; kill: killed $vgpr3
	v_add_u32_e32 v3, s16, v2
	s_add_i32 s16, s16, 8
	s_cmp_lg_u32 s16, 32
                                        ; kill: killed $vgpr4
	s_waitcnt vmcnt(1)
	v_add_u32_e32 v4, v6, v7
	s_waitcnt vmcnt(0)
	v_add_u32_e32 v5, v14, v5
	buffer_store_dword v5, v3, s[0:3], 0 offen offset:4
	buffer_store_dword v4, v3, s[0:3], 0 offen
	s_cbranch_scc1 .LBB2151_425
; %bb.426:
	buffer_load_dword v6, off, s[0:3], 0 offset:36
	buffer_load_dword v7, off, s[0:3], 0 offset:40
	buffer_load_dword v4, off, s[0:3], 0 offset:44
	buffer_load_dword v5, off, s[0:3], 0 offset:48
	buffer_load_dword v2, off, s[0:3], 0 offset:52
	buffer_load_dword v3, off, s[0:3], 0 offset:56
	buffer_load_dword v0, off, s[0:3], 0 offset:60
	buffer_load_dword v1, off, s[0:3], 0 offset:64
.LBB2151_427:
	s_or_b64 exec, exec, s[4:5]
	v_and_b32_e32 v12, 1, v12
	v_cmp_eq_u32_e32 vcc, 1, v12
	v_and_b32_e32 v12, 1, v15
	v_cmp_eq_u32_e64 s[4:5], 1, v12
	s_or_b64 s[4:5], vcc, s[4:5]
	v_cndmask_b32_e64 v12, 0, 1, s[4:5]
	s_waitcnt vmcnt(6)
	buffer_store_dword v7, off, s[0:3], 0 offset:4
	buffer_store_dword v6, off, s[0:3], 0
	s_waitcnt vmcnt(6)
	buffer_store_dword v5, off, s[0:3], 0 offset:12
	buffer_store_dword v4, off, s[0:3], 0 offset:8
	s_waitcnt vmcnt(6)
	buffer_store_dword v3, off, s[0:3], 0 offset:20
	buffer_store_dword v2, off, s[0:3], 0 offset:16
	;; [unrolled: 3-line block ×3, first 2 shown]
.LBB2151_428:
	s_or_b64 exec, exec, s[14:15]
	buffer_load_dword v0, off, s[0:3], 0
	buffer_load_dword v1, off, s[0:3], 0 offset:4
	buffer_load_dword v2, off, s[0:3], 0 offset:8
	;; [unrolled: 1-line block ×7, first 2 shown]
	s_waitcnt vmcnt(4)
	ds_write2_b32 v8, v2, v3 offset0:2 offset1:3
	ds_write2_b32 v8, v0, v1 offset1:1
	s_waitcnt vmcnt(2)
	ds_write2_b32 v8, v4, v5 offset0:6 offset1:7
	s_waitcnt vmcnt(0)
	ds_write2_b32 v8, v6, v7 offset0:4 offset1:5
	ds_write_b8 v8, v12 offset:32
.LBB2151_429:
	s_or_b64 exec, exec, s[12:13]
	v_mov_b32_e32 v0, 0
	s_mov_b32 s4, 0
	v_mov_b32_e32 v1, 0x90
	s_waitcnt lgkmcnt(0)
	s_barrier
	buffer_store_dword v0, off, s[0:3], 0 offset:172
	buffer_store_dword v0, off, s[0:3], 0 offset:168
	buffer_store_dword v0, off, s[0:3], 0 offset:164
	buffer_store_dword v0, off, s[0:3], 0 offset:160
	buffer_store_dword v0, off, s[0:3], 0 offset:156
	buffer_store_dword v0, off, s[0:3], 0 offset:152
	buffer_store_dword v0, off, s[0:3], 0 offset:148
	buffer_store_dword v0, off, s[0:3], 0 offset:144
	buffer_store_dword v0, off, s[0:3], 0 offset:176
.LBB2151_430:                           ; =>This Inner Loop Header: Depth=1
	v_add_u32_e32 v2, s4, v1
	s_add_i32 s4, s4, 8
	s_cmp_lg_u32 s4, 32
	buffer_store_dword v0, v2, s[0:3], 0 offen offset:4
	buffer_store_dword v0, v2, s[0:3], 0 offen
	s_cbranch_scc1 .LBB2151_430
; %bb.431:
	v_cmp_lt_u32_e32 vcc, 63, v10
                                        ; implicit-def: $vgpr0_vgpr1
                                        ; implicit-def: $vgpr2_vgpr3
                                        ; implicit-def: $vgpr4_vgpr5
                                        ; implicit-def: $vgpr6_vgpr7
                                        ; implicit-def: $vgpr12
	s_and_saveexec_b64 s[4:5], vcc
	s_xor_b64 s[4:5], exec, s[4:5]
	s_cbranch_execz .LBB2151_441
; %bb.432:
	buffer_load_ubyte v8, off, s[0:3], 0 offset:104
	v_not_b32_e32 v0, 35
	v_mad_u32_u24 v9, v9, 36, v0
	ds_read2_b32 v[0:1], v9 offset0:2 offset1:3
	ds_read2_b32 v[2:3], v9 offset0:4 offset1:5
	ds_read2_b32 v[4:5], v9 offset1:1
	ds_read2_b32 v[6:7], v9 offset0:6 offset1:7
	s_waitcnt lgkmcnt(3)
	buffer_store_dword v1, off, s[0:3], 0 offset:156
	buffer_store_dword v0, off, s[0:3], 0 offset:152
	s_waitcnt lgkmcnt(1)
	buffer_store_dword v5, off, s[0:3], 0 offset:148
	buffer_store_dword v4, off, s[0:3], 0 offset:144
	s_waitcnt lgkmcnt(0)
	buffer_store_dword v7, off, s[0:3], 0 offset:172
	ds_read_u8 v12, v9 offset:32
	buffer_store_dword v6, off, s[0:3], 0 offset:168
	buffer_store_dword v3, off, s[0:3], 0 offset:164
	;; [unrolled: 1-line block ×3, first 2 shown]
                                        ; implicit-def: $vgpr0_vgpr1
                                        ; implicit-def: $vgpr2_vgpr3
                                        ; implicit-def: $vgpr4_vgpr5
                                        ; implicit-def: $vgpr6_vgpr7
	s_waitcnt vmcnt(8)
	v_cmp_ne_u16_e32 vcc, 0, v8
	s_and_saveexec_b64 s[12:13], vcc
	s_xor_b64 s[12:13], exec, s[12:13]
	s_cbranch_execz .LBB2151_434
; %bb.433:
	buffer_load_dword v0, off, s[0:3], 0 offset:72
	buffer_load_dword v1, off, s[0:3], 0 offset:76
	;; [unrolled: 1-line block ×8, first 2 shown]
.LBB2151_434:
	s_andn2_saveexec_b64 s[12:13], s[12:13]
	s_cbranch_execz .LBB2151_440
; %bb.435:
	s_mov_b32 s14, 0
	s_waitcnt vmcnt(7)
	v_mov_b32_e32 v0, 0
	s_waitcnt vmcnt(6)
	v_mov_b32_e32 v1, 0
	s_waitcnt vmcnt(0)
.LBB2151_436:                           ; =>This Inner Loop Header: Depth=1
	v_add_u32_e32 v2, s14, v0
	s_add_i32 s14, s14, 8
	s_cmp_lg_u32 s14, 32
	buffer_store_dword v1, v2, s[0:3], 0 offen offset:4
	buffer_store_dword v1, v2, s[0:3], 0 offen
	s_cbranch_scc1 .LBB2151_436
; %bb.437:
	s_mov_b32 s14, 0
	v_mov_b32_e32 v0, 0x90
	v_mov_b32_e32 v1, 0x48
	;; [unrolled: 1-line block ×3, first 2 shown]
.LBB2151_438:                           ; =>This Inner Loop Header: Depth=1
	v_add_u32_e32 v3, s14, v0
	v_add_u32_e32 v4, s14, v1
	buffer_load_dword v5, v3, s[0:3], 0 offen offset:4
	buffer_load_dword v6, v4, s[0:3], 0 offen
	buffer_load_dword v7, v3, s[0:3], 0 offen
	buffer_load_dword v9, v4, s[0:3], 0 offen offset:4
                                        ; kill: killed $vgpr3
	v_add_u32_e32 v3, s14, v2
	s_add_i32 s14, s14, 8
	s_cmp_lg_u32 s14, 32
                                        ; kill: killed $vgpr4
	s_waitcnt vmcnt(1)
	v_add_u32_e32 v4, v6, v7
	s_waitcnt vmcnt(0)
	v_add_u32_e32 v5, v9, v5
	buffer_store_dword v5, v3, s[0:3], 0 offen offset:4
	buffer_store_dword v4, v3, s[0:3], 0 offen
	s_cbranch_scc1 .LBB2151_438
; %bb.439:
	buffer_load_dword v0, off, s[0:3], 0
	buffer_load_dword v1, off, s[0:3], 0 offset:4
	buffer_load_dword v2, off, s[0:3], 0 offset:8
	;; [unrolled: 1-line block ×7, first 2 shown]
.LBB2151_440:
	s_or_b64 exec, exec, s[12:13]
	s_waitcnt lgkmcnt(0)
	v_or_b32_e32 v8, v8, v12
	v_and_b32_e32 v8, 1, v8
	buffer_store_byte v8, off, s[0:3], 0 offset:104
.LBB2151_441:
	s_andn2_saveexec_b64 s[4:5], s[4:5]
	s_cbranch_execz .LBB2151_443
; %bb.442:
	buffer_load_dword v0, off, s[0:3], 0 offset:72
	buffer_load_dword v1, off, s[0:3], 0 offset:76
	;; [unrolled: 1-line block ×8, first 2 shown]
	v_mov_b32_e32 v12, 0
.LBB2151_443:
	s_or_b64 exec, exec, s[4:5]
	buffer_load_dword v15, off, s[0:3], 0 offset:104
	v_add_u32_e32 v8, -1, v11
	v_and_b32_e32 v9, 64, v11
	v_cmp_lt_i32_e32 vcc, v8, v9
	v_cndmask_b32_e32 v8, v8, v11, vcc
	v_lshlrev_b32_e32 v14, 2, v8
	s_waitcnt vmcnt(8)
	ds_bpermute_b32 v8, v14, v0
	s_waitcnt vmcnt(7)
	ds_bpermute_b32 v9, v14, v1
	;; [unrolled: 2-line block ×8, first 2 shown]
	v_cmp_eq_u32_e32 vcc, 0, v11
	s_waitcnt lgkmcnt(7)
	buffer_store_dword v8, off, s[0:3], 0 offset:72
	s_waitcnt lgkmcnt(6)
	buffer_store_dword v9, off, s[0:3], 0 offset:76
	;; [unrolled: 2-line block ×4, first 2 shown]
	s_waitcnt vmcnt(4)
	ds_bpermute_b32 v14, v14, v15
	s_waitcnt lgkmcnt(4)
	buffer_store_dword v4, off, s[0:3], 0 offset:88
	s_waitcnt lgkmcnt(3)
	buffer_store_dword v5, off, s[0:3], 0 offset:92
	;; [unrolled: 2-line block ×4, first 2 shown]
	s_waitcnt lgkmcnt(0)
	buffer_store_byte v14, off, s[0:3], 0 offset:104
	s_and_saveexec_b64 s[4:5], vcc
	s_cbranch_execz .LBB2151_445
; %bb.444:
	buffer_load_dword v1, off, s[0:3], 0 offset:156
	buffer_load_dword v0, off, s[0:3], 0 offset:152
	;; [unrolled: 1-line block ×8, first 2 shown]
	v_mov_b32_e32 v14, v12
	buffer_store_byte v12, off, s[0:3], 0 offset:104
	s_waitcnt vmcnt(8)
	buffer_store_dword v1, off, s[0:3], 0 offset:84
	s_waitcnt vmcnt(8)
	buffer_store_dword v0, off, s[0:3], 0 offset:80
	;; [unrolled: 2-line block ×8, first 2 shown]
.LBB2151_445:
	s_or_b64 exec, exec, s[4:5]
	buffer_load_dword v6, off, s[0:3], 0 offset:300
	buffer_load_dword v7, off, s[0:3], 0 offset:296
	;; [unrolled: 1-line block ×9, first 2 shown]
	s_mov_b32 s4, 0x3020104
	buffer_store_dword v9, off, s[0:3], 0 offset:4
	buffer_store_dword v8, off, s[0:3], 0
	buffer_store_dword v1, off, s[0:3], 0 offset:12
	buffer_store_dword v0, off, s[0:3], 0 offset:8
	;; [unrolled: 1-line block ×6, first 2 shown]
	v_perm_b32 v0, v14, v15, s4
                                        ; implicit-def: $vgpr4_vgpr5
                                        ; implicit-def: $vgpr2_vgpr3
	buffer_store_dword v0, off, s[0:3], 0 offset:32
	s_waitcnt vmcnt(17)
	buffer_store_dword v6, off, s[0:3], 0 offset:48
	s_waitcnt vmcnt(17)
	;; [unrolled: 2-line block ×9, first 2 shown]
	buffer_store_dword v11, off, s[0:3], 0 offset:68
                                        ; implicit-def: $vgpr6_vgpr7
                                        ; implicit-def: $vgpr0_vgpr1
	s_and_saveexec_b64 s[4:5], s[8:9]
	s_xor_b64 s[4:5], exec, s[4:5]
	s_cbranch_execz .LBB2151_455
; %bb.446:
	v_mov_b32_e32 v0, 0
	v_cmp_ne_u16_sdwa s[8:9], v11, v0 src0_sel:BYTE_0 src1_sel:DWORD
                                        ; implicit-def: $vgpr6_vgpr7
                                        ; implicit-def: $vgpr4_vgpr5
                                        ; implicit-def: $vgpr2_vgpr3
                                        ; implicit-def: $vgpr0_vgpr1
	s_and_saveexec_b64 s[12:13], s[8:9]
	s_xor_b64 s[8:9], exec, s[12:13]
	s_cbranch_execz .LBB2151_448
; %bb.447:
	buffer_load_dword v0, off, s[0:3], 0 offset:36
	buffer_load_dword v1, off, s[0:3], 0 offset:40
	;; [unrolled: 1-line block ×8, first 2 shown]
.LBB2151_448:
	s_andn2_saveexec_b64 s[8:9], s[8:9]
	s_cbranch_execz .LBB2151_454
; %bb.449:
	s_mov_b32 s12, 0
	s_waitcnt vmcnt(7)
	v_mov_b32_e32 v0, 0x90
	s_waitcnt vmcnt(6)
	v_mov_b32_e32 v1, 0
	s_waitcnt vmcnt(0)
.LBB2151_450:                           ; =>This Inner Loop Header: Depth=1
	v_add_u32_e32 v2, s12, v0
	s_add_i32 s12, s12, 8
	s_cmp_lg_u32 s12, 32
	buffer_store_dword v1, v2, s[0:3], 0 offen offset:4
	buffer_store_dword v1, v2, s[0:3], 0 offen
	s_cbranch_scc1 .LBB2151_450
; %bb.451:
	s_mov_b32 s12, 0
	v_mov_b32_e32 v0, 0
	v_mov_b32_e32 v1, 36
	v_mov_b32_e32 v2, 0x90
.LBB2151_452:                           ; =>This Inner Loop Header: Depth=1
	v_add_u32_e32 v3, s12, v0
	v_add_u32_e32 v4, s12, v1
	buffer_load_dword v5, v3, s[0:3], 0 offen offset:4
	buffer_load_dword v6, v4, s[0:3], 0 offen
	buffer_load_dword v7, v3, s[0:3], 0 offen
	buffer_load_dword v8, v4, s[0:3], 0 offen offset:4
                                        ; kill: killed $vgpr3
	v_add_u32_e32 v3, s12, v2
	s_add_i32 s12, s12, 8
	s_cmp_lg_u32 s12, 32
                                        ; kill: killed $vgpr4
	s_waitcnt vmcnt(1)
	v_add_u32_e32 v4, v6, v7
	s_waitcnt vmcnt(0)
	v_add_u32_e32 v5, v8, v5
	buffer_store_dword v5, v3, s[0:3], 0 offen offset:4
	buffer_store_dword v4, v3, s[0:3], 0 offen
	s_cbranch_scc1 .LBB2151_452
; %bb.453:
	buffer_load_dword v0, off, s[0:3], 0 offset:144
	buffer_load_dword v1, off, s[0:3], 0 offset:148
	buffer_load_dword v2, off, s[0:3], 0 offset:152
	buffer_load_dword v3, off, s[0:3], 0 offset:156
	buffer_load_dword v4, off, s[0:3], 0 offset:160
	buffer_load_dword v5, off, s[0:3], 0 offset:164
	buffer_load_dword v6, off, s[0:3], 0 offset:168
	buffer_load_dword v7, off, s[0:3], 0 offset:172
.LBB2151_454:
	s_or_b64 exec, exec, s[8:9]
	v_or_b32_e32 v8, v11, v14
	v_and_b32_e32 v11, 1, v8
	s_waitcnt vmcnt(6)
	buffer_store_dword v1, off, s[0:3], 0 offset:40
	buffer_store_dword v0, off, s[0:3], 0 offset:36
	s_waitcnt vmcnt(6)
	buffer_store_dword v3, off, s[0:3], 0 offset:48
	buffer_store_dword v2, off, s[0:3], 0 offset:44
	;; [unrolled: 3-line block ×4, first 2 shown]
	;;#ASMSTART
	;;#ASMEND
.LBB2151_455:
	s_andn2_saveexec_b64 s[4:5], s[4:5]
	s_cbranch_execz .LBB2151_457
; %bb.456:
	buffer_load_dword v0, off, s[0:3], 0 offset:36
	buffer_load_dword v1, off, s[0:3], 0 offset:40
	;; [unrolled: 1-line block ×8, first 2 shown]
.LBB2151_457:
	s_or_b64 exec, exec, s[4:5]
	buffer_load_dword v9, off, s[0:3], 0 offset:48
	buffer_load_dword v12, off, s[0:3], 0 offset:44
	;; [unrolled: 1-line block ×8, first 2 shown]
	buffer_load_ushort v21, off, s[0:3], 0 offset:69
	buffer_load_ubyte v22, off, s[0:3], 0 offset:71
	buffer_load_ubyte v8, off, s[0:3], 0 offset:356
	s_nop 0
	buffer_store_byte v11, off, s[0:3], 0 offset:320
	s_waitcnt vmcnt(18)
	buffer_store_dword v1, off, s[0:3], 0 offset:148
	buffer_store_dword v0, off, s[0:3], 0 offset:144
	s_waitcnt vmcnt(18)
	buffer_store_dword v3, off, s[0:3], 0 offset:156
	buffer_store_dword v2, off, s[0:3], 0 offset:152
	;; [unrolled: 3-line block ×4, first 2 shown]
	s_waitcnt vmcnt(19)
	buffer_store_dword v9, off, s[0:3], 0 offset:300
	s_waitcnt vmcnt(19)
	buffer_store_dword v12, off, s[0:3], 0 offset:296
	;; [unrolled: 2-line block ×8, first 2 shown]
	s_waitcnt vmcnt(19)
	v_lshrrev_b32_e32 v0, 8, v21
	v_lshlrev_b16_e32 v1, 8, v21
	s_waitcnt vmcnt(18)
	v_lshlrev_b16_e32 v2, 8, v22
	v_or_b32_sdwa v1, v11, v1 dst_sel:DWORD dst_unused:UNUSED_PAD src0_sel:BYTE_0 src1_sel:DWORD
	v_or_b32_sdwa v0, v0, v2 dst_sel:WORD_1 dst_unused:UNUSED_PAD src0_sel:BYTE_0 src1_sel:DWORD
	v_or_b32_sdwa v0, v1, v0 dst_sel:DWORD dst_unused:UNUSED_PAD src0_sel:WORD_0 src1_sel:DWORD
	s_waitcnt vmcnt(17)
	v_cmp_ne_u16_e32 vcc, 0, v8
	buffer_store_dword v0, off, s[0:3], 0 offset:176
                                        ; implicit-def: $vgpr6_vgpr7
                                        ; implicit-def: $vgpr2_vgpr3
                                        ; implicit-def: $vgpr4_vgpr5
                                        ; implicit-def: $vgpr0_vgpr1
	s_and_saveexec_b64 s[4:5], vcc
	s_xor_b64 s[4:5], exec, s[4:5]
	s_cbranch_execz .LBB2151_459
; %bb.458:
	buffer_load_dword v0, off, s[0:3], 0 offset:324
	buffer_load_dword v1, off, s[0:3], 0 offset:328
	;; [unrolled: 1-line block ×8, first 2 shown]
.LBB2151_459:
	s_andn2_saveexec_b64 s[4:5], s[4:5]
	s_cbranch_execz .LBB2151_465
; %bb.460:
	s_mov_b32 s8, 0
	s_waitcnt vmcnt(7)
	v_mov_b32_e32 v0, 0xf0
	s_waitcnt vmcnt(6)
	v_mov_b32_e32 v1, 0
	s_waitcnt vmcnt(0)
.LBB2151_461:                           ; =>This Inner Loop Header: Depth=1
	v_add_u32_e32 v2, s8, v0
	s_add_i32 s8, s8, 8
	s_cmp_lg_u32 s8, 32
	buffer_store_dword v1, v2, s[0:3], 0 offen offset:4
	buffer_store_dword v1, v2, s[0:3], 0 offen
	s_cbranch_scc1 .LBB2151_461
; %bb.462:
	s_mov_b32 s8, 0
	v_mov_b32_e32 v0, 0x90
	v_mov_b32_e32 v1, 0x120
	;; [unrolled: 1-line block ×3, first 2 shown]
.LBB2151_463:                           ; =>This Inner Loop Header: Depth=1
	v_add_u32_e32 v3, s8, v0
	v_add_u32_e32 v4, s8, v1
	buffer_load_dword v5, v3, s[0:3], 0 offen offset:4
	buffer_load_dword v6, v4, s[0:3], 0 offen offset:36
	buffer_load_dword v7, v3, s[0:3], 0 offen
	buffer_load_dword v9, v4, s[0:3], 0 offen offset:40
                                        ; kill: killed $vgpr3
	v_add_u32_e32 v3, s8, v2
	s_add_i32 s8, s8, 8
	s_cmp_lg_u32 s8, 32
                                        ; kill: killed $vgpr4
	s_waitcnt vmcnt(1)
	v_add_u32_e32 v4, v6, v7
	s_waitcnt vmcnt(0)
	v_add_u32_e32 v5, v9, v5
	buffer_store_dword v5, v3, s[0:3], 0 offen offset:4
	buffer_store_dword v4, v3, s[0:3], 0 offen
	s_cbranch_scc1 .LBB2151_463
; %bb.464:
	buffer_load_dword v0, off, s[0:3], 0 offset:240
	buffer_load_dword v1, off, s[0:3], 0 offset:244
	;; [unrolled: 1-line block ×8, first 2 shown]
.LBB2151_465:
	s_or_b64 exec, exec, s[4:5]
	buffer_load_ubyte v9, off, s[0:3], 0 offset:392
	v_or_b32_e32 v8, v8, v11
	v_and_b32_e32 v8, 1, v8
	v_cmp_eq_u32_e32 vcc, 1, v8
	s_waitcnt vmcnt(7)
	buffer_store_dword v1, off, s[0:3], 0 offset:148
	buffer_store_dword v0, off, s[0:3], 0 offset:144
	s_waitcnt vmcnt(7)
	buffer_store_dword v5, off, s[0:3], 0 offset:156
	buffer_store_dword v4, off, s[0:3], 0 offset:152
	;; [unrolled: 3-line block ×4, first 2 shown]
	buffer_store_dword v5, v13, s[0:3], 0 offen offset:12
	buffer_store_dword v4, v13, s[0:3], 0 offen offset:8
	;; [unrolled: 1-line block ×3, first 2 shown]
	buffer_store_dword v0, v13, s[0:3], 0 offen
	buffer_store_dword v7, v13, s[0:3], 0 offen offset:28
	buffer_store_dword v6, v13, s[0:3], 0 offen offset:24
	;; [unrolled: 1-line block ×4, first 2 shown]
	buffer_store_byte v8, off, s[0:3], 0 offset:356
                                        ; implicit-def: $vgpr2_vgpr3
                                        ; implicit-def: $vgpr0_vgpr1
                                        ; implicit-def: $vgpr6_vgpr7
                                        ; implicit-def: $vgpr4_vgpr5
	s_waitcnt vmcnt(17)
	v_cmp_ne_u16_e64 s[4:5], 0, v9
	s_and_saveexec_b64 s[8:9], s[4:5]
	s_xor_b64 s[4:5], exec, s[8:9]
	s_cbranch_execz .LBB2151_467
; %bb.466:
	buffer_load_dword v4, off, s[0:3], 0 offset:360
	buffer_load_dword v5, off, s[0:3], 0 offset:364
	;; [unrolled: 1-line block ×8, first 2 shown]
.LBB2151_467:
	s_andn2_saveexec_b64 s[4:5], s[4:5]
	s_cbranch_execz .LBB2151_473
; %bb.468:
	s_mov_b32 s8, 0
	s_waitcnt vmcnt(3)
	v_mov_b32_e32 v0, 0xf0
	s_waitcnt vmcnt(2)
	v_mov_b32_e32 v1, 0
	s_waitcnt vmcnt(0)
.LBB2151_469:                           ; =>This Inner Loop Header: Depth=1
	v_add_u32_e32 v2, s8, v0
	s_add_i32 s8, s8, 8
	s_cmp_lg_u32 s8, 32
	buffer_store_dword v1, v2, s[0:3], 0 offen offset:4
	buffer_store_dword v1, v2, s[0:3], 0 offen
	s_cbranch_scc1 .LBB2151_469
; %bb.470:
	s_mov_b32 s8, 0
	v_mov_b32_e32 v0, 0x90
	v_mov_b32_e32 v1, 0x120
	;; [unrolled: 1-line block ×3, first 2 shown]
.LBB2151_471:                           ; =>This Inner Loop Header: Depth=1
	v_add_u32_e32 v3, s8, v0
	v_add_u32_e32 v4, s8, v1
	buffer_load_dword v5, v3, s[0:3], 0 offen offset:4
	buffer_load_dword v6, v4, s[0:3], 0 offen offset:72
	buffer_load_dword v7, v3, s[0:3], 0 offen
	buffer_load_dword v8, v4, s[0:3], 0 offen offset:76
                                        ; kill: killed $vgpr3
	v_add_u32_e32 v3, s8, v2
	s_add_i32 s8, s8, 8
	s_cmp_lg_u32 s8, 32
                                        ; kill: killed $vgpr4
	s_waitcnt vmcnt(1)
	v_add_u32_e32 v4, v6, v7
	s_waitcnt vmcnt(0)
	v_add_u32_e32 v5, v8, v5
	buffer_store_dword v5, v3, s[0:3], 0 offen offset:4
	buffer_store_dword v4, v3, s[0:3], 0 offen
	s_cbranch_scc1 .LBB2151_471
; %bb.472:
	buffer_load_dword v4, off, s[0:3], 0 offset:240
	buffer_load_dword v5, off, s[0:3], 0 offset:244
	;; [unrolled: 1-line block ×8, first 2 shown]
.LBB2151_473:
	s_or_b64 exec, exec, s[4:5]
	v_and_b32_e32 v8, 1, v9
	s_waitcnt vmcnt(4)
	buffer_store_dword v7, v16, s[0:3], 0 offen offset:12
	buffer_store_dword v6, v16, s[0:3], 0 offen offset:8
	;; [unrolled: 1-line block ×3, first 2 shown]
	buffer_store_dword v4, v16, s[0:3], 0 offen
	s_waitcnt vmcnt(4)
	buffer_store_dword v3, v16, s[0:3], 0 offen offset:28
	v_mov_b32_e32 v3, 0
	v_cmp_eq_u32_e64 s[4:5], 1, v8
	ds_read2_b32 v[4:5], v3 offset0:27 offset1:28
	ds_read2_b32 v[6:7], v3 offset0:29 offset1:30
	;; [unrolled: 1-line block ×4, first 2 shown]
	s_or_b64 s[4:5], s[4:5], vcc
	v_cndmask_b32_e64 v11, 0, 1, s[4:5]
	buffer_store_dword v2, v16, s[0:3], 0 offen offset:24
	buffer_store_dword v1, v16, s[0:3], 0 offen offset:20
	;; [unrolled: 1-line block ×3, first 2 shown]
	buffer_store_byte v11, off, s[0:3], 0 offset:392
	s_waitcnt lgkmcnt(0)
	buffer_store_dword v15, off, s[0:3], 0 offset:136
	buffer_store_dword v14, off, s[0:3], 0 offset:132
	;; [unrolled: 1-line block ×4, first 2 shown]
	ds_read_u8 v0, v3 offset:140
	buffer_store_dword v7, off, s[0:3], 0 offset:120
	buffer_store_dword v6, off, s[0:3], 0 offset:116
	;; [unrolled: 1-line block ×4, first 2 shown]
	s_waitcnt lgkmcnt(0)
	buffer_store_byte v0, off, s[0:3], 0 offset:140
	s_and_saveexec_b64 s[4:5], s[10:11]
	s_cbranch_execz .LBB2151_475
; %bb.474:
	buffer_load_dword v4, off, s[0:3], 0 offset:108
	buffer_load_dword v5, off, s[0:3], 0 offset:112
	;; [unrolled: 1-line block ×8, first 2 shown]
	s_nop 0
	global_store_byte v3, v0, s[22:23] offset:2336
	v_mov_b32_e32 v0, 2
	s_waitcnt vmcnt(5)
	global_store_dwordx4 v3, v[4:7], s[22:23] offset:2304
	s_waitcnt vmcnt(2)
	global_store_dwordx4 v3, v[18:21], s[22:23] offset:2320
	s_waitcnt vmcnt(0)
	buffer_wbinvl1_vol
	global_store_byte v3, v0, s[24:25] offset:64
.LBB2151_475:
	s_or_b64 exec, exec, s[4:5]
.LBB2151_476:
	s_mov_b32 s4, 0
	v_mov_b32_e32 v0, 0x90
	v_mov_b32_e32 v1, 0
.LBB2151_477:                           ; =>This Inner Loop Header: Depth=1
	v_add_u32_e32 v2, s4, v0
	s_add_i32 s4, s4, 8
	s_cmp_lg_u32 s4, 32
	buffer_store_dword v1, v2, s[0:3], 0 offen offset:4
	buffer_store_dword v1, v2, s[0:3], 0 offen
	s_cbranch_scc1 .LBB2151_477
; %bb.478:
	s_mov_b32 s4, 32
	v_mov_b32_e32 v0, 0x90
	v_mov_b32_e32 v1, 0
.LBB2151_479:                           ; =>This Inner Loop Header: Depth=1
	v_add_u32_e32 v2, s4, v0
	s_add_i32 s4, s4, 8
	s_cmp_lg_u32 s4, 64
	buffer_store_dword v1, v2, s[0:3], 0 offen offset:4
	buffer_store_dword v1, v2, s[0:3], 0 offen
	s_cbranch_scc1 .LBB2151_479
; %bb.480:
	s_mov_b32 s4, 64
	v_mov_b32_e32 v0, 0x90
	v_mov_b32_e32 v1, 0
.LBB2151_481:                           ; =>This Inner Loop Header: Depth=1
	v_add_u32_e32 v2, s4, v0
	s_add_i32 s4, s4, 8
	s_cmpk_lg_i32 s4, 0x60
	buffer_store_dword v1, v2, s[0:3], 0 offen offset:4
	buffer_store_dword v1, v2, s[0:3], 0 offen
	s_cbranch_scc1 .LBB2151_481
; %bb.482:
	s_add_u32 s4, s18, s28
	s_addc_u32 s5, s19, s29
	v_mov_b32_e32 v0, 0x90
	s_add_u32 s8, s4, s30
	v_add_u32_e32 v2, 64, v0
	v_add_u32_e32 v3, 32, v0
	s_addc_u32 s9, s5, s31
	s_and_b64 vcc, exec, s[6:7]
	s_cbranch_vccz .LBB2151_492
; %bb.483:
	s_add_i32 s27, s27, s26
	v_mul_u32_u24_e32 v0, 3, v10
	v_cmp_gt_u32_e32 vcc, s27, v0
	s_and_saveexec_b64 s[4:5], vcc
	s_cbranch_execz .LBB2151_487
; %bb.484:
	buffer_load_dword v1, off, s[0:3], 0 offset:300
	buffer_load_dword v4, off, s[0:3], 0 offset:296
	;; [unrolled: 1-line block ×8, first 2 shown]
	v_add_u32_e32 v12, 1, v0
	v_cmp_gt_u32_e32 vcc, s27, v12
	s_waitcnt vmcnt(7)
	buffer_store_dword v1, off, s[0:3], 0 offset:156
	s_waitcnt vmcnt(7)
	buffer_store_dword v4, off, s[0:3], 0 offset:152
	;; [unrolled: 2-line block ×8, first 2 shown]
	s_and_b64 exec, exec, vcc
	s_cbranch_execz .LBB2151_487
; %bb.485:
	buffer_load_dword v1, v13, s[0:3], 0 offen offset:12
	buffer_load_dword v4, v13, s[0:3], 0 offen offset:8
	;; [unrolled: 1-line block ×3, first 2 shown]
	buffer_load_dword v6, v13, s[0:3], 0 offen
	buffer_load_dword v7, v13, s[0:3], 0 offen offset:28
	buffer_load_dword v8, v13, s[0:3], 0 offen offset:24
	;; [unrolled: 1-line block ×4, first 2 shown]
	v_add_u32_e32 v12, 2, v0
	v_cmp_gt_u32_e32 vcc, s27, v12
	s_waitcnt vmcnt(7)
	buffer_store_dword v1, v3, s[0:3], 0 offen offset:12
	s_waitcnt vmcnt(7)
	buffer_store_dword v4, v3, s[0:3], 0 offen offset:8
	;; [unrolled: 2-line block ×3, first 2 shown]
	s_waitcnt vmcnt(7)
	buffer_store_dword v6, v3, s[0:3], 0 offen
	s_waitcnt vmcnt(7)
	buffer_store_dword v7, v3, s[0:3], 0 offen offset:28
	s_waitcnt vmcnt(7)
	buffer_store_dword v8, v3, s[0:3], 0 offen offset:24
	;; [unrolled: 2-line block ×4, first 2 shown]
	s_and_b64 exec, exec, vcc
	s_cbranch_execz .LBB2151_487
; %bb.486:
	buffer_load_dword v1, v16, s[0:3], 0 offen offset:12
	buffer_load_dword v4, v16, s[0:3], 0 offen offset:8
	;; [unrolled: 1-line block ×3, first 2 shown]
	buffer_load_dword v6, v16, s[0:3], 0 offen
	buffer_load_dword v7, v16, s[0:3], 0 offen offset:28
	buffer_load_dword v8, v16, s[0:3], 0 offen offset:24
	;; [unrolled: 1-line block ×4, first 2 shown]
	s_waitcnt vmcnt(7)
	buffer_store_dword v1, v2, s[0:3], 0 offen offset:12
	s_waitcnt vmcnt(7)
	buffer_store_dword v4, v2, s[0:3], 0 offen offset:8
	;; [unrolled: 2-line block ×3, first 2 shown]
	s_waitcnt vmcnt(7)
	buffer_store_dword v6, v2, s[0:3], 0 offen
	s_waitcnt vmcnt(7)
	buffer_store_dword v7, v2, s[0:3], 0 offen offset:28
	s_waitcnt vmcnt(7)
	buffer_store_dword v8, v2, s[0:3], 0 offen offset:24
	;; [unrolled: 2-line block ×4, first 2 shown]
.LBB2151_487:
	s_or_b64 exec, exec, s[4:5]
	s_barrier
	buffer_load_dword v6, off, s[0:3], 0 offset:144
	buffer_load_dword v7, off, s[0:3], 0 offset:148
	;; [unrolled: 1-line block ×8, first 2 shown]
	buffer_load_dword v22, v3, s[0:3], 0 offen
	buffer_load_dword v23, v3, s[0:3], 0 offen offset:4
	buffer_load_dword v24, v3, s[0:3], 0 offen offset:8
	;; [unrolled: 1-line block ×7, first 2 shown]
	buffer_load_dword v30, v2, s[0:3], 0 offen
	buffer_load_dword v31, v2, s[0:3], 0 offen offset:4
	buffer_load_dword v32, v2, s[0:3], 0 offen offset:8
	;; [unrolled: 1-line block ×7, first 2 shown]
	v_lshlrev_b32_e32 v0, 5, v0
	v_lshlrev_b32_e32 v1, 6, v10
	v_sub_u32_e32 v4, v0, v1
	v_lshlrev_b32_e32 v5, 5, v10
	v_mov_b32_e32 v12, s9
	v_mov_b32_e32 v11, 0
	s_waitcnt vmcnt(20)
	ds_write_b128 v0, v[6:9]
	s_waitcnt vmcnt(16)
	ds_write_b128 v0, v[18:21] offset:16
	s_waitcnt vmcnt(12)
	ds_write_b128 v0, v[22:25] offset:32
	;; [unrolled: 2-line block ×5, first 2 shown]
	s_waitcnt lgkmcnt(0)
	s_barrier
	ds_read_b128 v[6:9], v4 offset:8192
	ds_read_b128 v[18:21], v4 offset:8208
	;; [unrolled: 1-line block ×4, first 2 shown]
	v_add_co_u32_e32 v0, vcc, s8, v5
	v_addc_co_u32_e32 v1, vcc, 0, v12, vcc
	v_cmp_gt_u32_e32 vcc, s27, v10
	s_waitcnt lgkmcnt(3)
	buffer_store_dword v9, v3, s[0:3], 0 offen offset:12
	buffer_store_dword v8, v3, s[0:3], 0 offen offset:8
	;; [unrolled: 1-line block ×3, first 2 shown]
	buffer_store_dword v6, v3, s[0:3], 0 offen
	s_waitcnt lgkmcnt(2)
	buffer_store_dword v21, v3, s[0:3], 0 offen offset:28
	buffer_store_dword v20, v3, s[0:3], 0 offen offset:24
	;; [unrolled: 1-line block ×4, first 2 shown]
	s_waitcnt lgkmcnt(1)
	buffer_store_dword v25, v2, s[0:3], 0 offen offset:12
	buffer_store_dword v24, v2, s[0:3], 0 offen offset:8
	;; [unrolled: 1-line block ×3, first 2 shown]
	buffer_store_dword v22, v2, s[0:3], 0 offen
	s_waitcnt lgkmcnt(0)
	buffer_store_dword v29, v2, s[0:3], 0 offen offset:28
	buffer_store_dword v28, v2, s[0:3], 0 offen offset:24
	;; [unrolled: 1-line block ×4, first 2 shown]
	s_and_saveexec_b64 s[4:5], vcc
	s_cbranch_execz .LBB2151_489
; %bb.488:
	ds_read2_b32 v[6:7], v4 offset0:4 offset1:5
	ds_read2_b32 v[8:9], v4 offset0:6 offset1:7
	;; [unrolled: 1-line block ×3, first 2 shown]
	ds_read2_b32 v[18:19], v4 offset1:1
	s_waitcnt lgkmcnt(0)
	flat_store_dwordx4 v[0:1], v[18:21]
	flat_store_dwordx4 v[0:1], v[6:9] offset:16
.LBB2151_489:
	s_or_b64 exec, exec, s[4:5]
	v_or_b32_e32 v4, 0x100, v10
	v_cmp_gt_u32_e32 vcc, s27, v4
	s_and_saveexec_b64 s[6:7], vcc
	s_cbranch_execz .LBB2151_491
; %bb.490:
	buffer_load_dword v4, v3, s[0:3], 0 offen offset:16
	buffer_load_dword v5, v3, s[0:3], 0 offen offset:20
	buffer_load_dword v6, v3, s[0:3], 0 offen offset:24
	buffer_load_dword v7, v3, s[0:3], 0 offen offset:28
	buffer_load_dword v18, v3, s[0:3], 0 offen
	buffer_load_dword v19, v3, s[0:3], 0 offen offset:4
	buffer_load_dword v20, v3, s[0:3], 0 offen offset:8
	;; [unrolled: 1-line block ×3, first 2 shown]
	v_add_co_u32_e32 v8, vcc, 0x2000, v0
	s_mov_b64 s[4:5], vcc
	v_addc_co_u32_e64 v9, s[4:5], 0, v1, s[4:5]
	s_waitcnt vmcnt(0)
	flat_store_dwordx4 v[8:9], v[4:7] offset:16
	v_addc_co_u32_e32 v9, vcc, 0, v1, vcc
	flat_store_dwordx4 v[8:9], v[18:21]
.LBB2151_491:
	s_or_b64 exec, exec, s[6:7]
	v_or_b32_e32 v0, 0x200, v10
	v_cmp_gt_u32_e64 s[6:7], s27, v0
	s_branch .LBB2151_494
.LBB2151_492:
	s_mov_b64 s[6:7], 0
	s_cbranch_execz .LBB2151_494
; %bb.493:
	buffer_load_dword v0, off, s[0:3], 0 offset:300
	buffer_load_dword v1, off, s[0:3], 0 offset:296
	buffer_load_dword v4, off, s[0:3], 0 offset:292
	buffer_load_dword v5, off, s[0:3], 0 offset:288
	buffer_load_dword v6, off, s[0:3], 0 offset:316
	buffer_load_dword v7, off, s[0:3], 0 offset:312
	buffer_load_dword v8, off, s[0:3], 0 offset:308
	buffer_load_dword v9, off, s[0:3], 0 offset:304
	buffer_load_dword v11, v13, s[0:3], 0 offen offset:12
	buffer_load_dword v12, v13, s[0:3], 0 offen offset:8
	;; [unrolled: 1-line block ×3, first 2 shown]
	buffer_load_dword v15, v13, s[0:3], 0 offen
	buffer_load_dword v17, v13, s[0:3], 0 offen offset:28
	buffer_load_dword v18, v13, s[0:3], 0 offen offset:24
	;; [unrolled: 1-line block ×7, first 2 shown]
	buffer_load_dword v24, v16, s[0:3], 0 offen
	buffer_load_dword v25, v16, s[0:3], 0 offen offset:28
	buffer_load_dword v26, v16, s[0:3], 0 offen offset:24
	;; [unrolled: 1-line block ×3, first 2 shown]
                                        ; kill: killed $vgpr13
	buffer_load_dword v13, v16, s[0:3], 0 offen offset:16
	v_mul_u32_u24_e32 v34, 0x60, v10
	s_or_b64 s[6:7], s[6:7], exec
	s_waitcnt vmcnt(0)
	buffer_store_dword v0, off, s[0:3], 0 offset:156
	buffer_store_dword v1, off, s[0:3], 0 offset:152
	;; [unrolled: 1-line block ×8, first 2 shown]
	buffer_store_dword v11, v3, s[0:3], 0 offen offset:12
	buffer_store_dword v12, v3, s[0:3], 0 offen offset:8
	;; [unrolled: 1-line block ×3, first 2 shown]
	buffer_store_dword v15, v3, s[0:3], 0 offen
	buffer_store_dword v17, v3, s[0:3], 0 offen offset:28
	buffer_store_dword v18, v3, s[0:3], 0 offen offset:24
	;; [unrolled: 1-line block ×7, first 2 shown]
	buffer_store_dword v24, v2, s[0:3], 0 offen
	buffer_store_dword v25, v2, s[0:3], 0 offen offset:28
	buffer_store_dword v26, v2, s[0:3], 0 offen offset:24
	;; [unrolled: 1-line block ×4, first 2 shown]
	s_waitcnt lgkmcnt(0)
	s_barrier
	buffer_load_dword v4, off, s[0:3], 0 offset:144
	buffer_load_dword v5, off, s[0:3], 0 offset:148
	;; [unrolled: 1-line block ×8, first 2 shown]
	buffer_load_dword v16, v3, s[0:3], 0 offen
	buffer_load_dword v17, v3, s[0:3], 0 offen offset:4
	buffer_load_dword v18, v3, s[0:3], 0 offen offset:8
	buffer_load_dword v19, v3, s[0:3], 0 offen offset:12
	buffer_load_dword v20, v3, s[0:3], 0 offen offset:16
	buffer_load_dword v21, v3, s[0:3], 0 offen offset:20
	buffer_load_dword v22, v3, s[0:3], 0 offen offset:24
	buffer_load_dword v23, v3, s[0:3], 0 offen offset:28
	buffer_load_dword v24, v2, s[0:3], 0 offen
	buffer_load_dword v25, v2, s[0:3], 0 offen offset:4
	buffer_load_dword v26, v2, s[0:3], 0 offen offset:8
	;; [unrolled: 1-line block ×7, first 2 shown]
	v_lshlrev_b32_e32 v0, 6, v10
	v_sub_u32_e32 v35, v34, v0
	v_lshlrev_b32_e32 v1, 5, v10
	v_mov_b32_e32 v8, s9
	v_add_co_u32_e32 v0, vcc, s8, v1
	v_addc_co_u32_e32 v1, vcc, 0, v8, vcc
	v_mov_b32_e32 v11, 0
	v_add_co_u32_e32 v8, vcc, 0x2000, v0
	v_addc_co_u32_e64 v9, s[4:5], 0, v1, vcc
	v_addc_co_u32_e32 v33, vcc, 0, v1, vcc
	v_mov_b32_e32 v32, v8
	s_waitcnt vmcnt(20)
	ds_write_b128 v34, v[4:7]
	s_waitcnt vmcnt(16)
	ds_write_b128 v34, v[12:15] offset:16
	s_waitcnt vmcnt(12)
	ds_write_b128 v34, v[16:19] offset:32
	;; [unrolled: 2-line block ×5, first 2 shown]
	s_waitcnt lgkmcnt(0)
	s_barrier
	ds_read_b128 v[4:7], v35 offset:8192
	ds_read_b128 v[12:15], v35 offset:8208
	;; [unrolled: 1-line block ×4, first 2 shown]
	ds_read2_b32 v[24:25], v35 offset1:1
	ds_read2_b32 v[30:31], v35 offset0:6 offset1:7
	ds_read2_b32 v[28:29], v35 offset0:4 offset1:5
	ds_read2_b32 v[26:27], v35 offset0:2 offset1:3
	s_waitcnt lgkmcnt(7)
	buffer_store_dword v7, v3, s[0:3], 0 offen offset:12
	buffer_store_dword v6, v3, s[0:3], 0 offen offset:8
	;; [unrolled: 1-line block ×3, first 2 shown]
	buffer_store_dword v4, v3, s[0:3], 0 offen
	s_waitcnt lgkmcnt(6)
	buffer_store_dword v15, v3, s[0:3], 0 offen offset:28
	buffer_store_dword v14, v3, s[0:3], 0 offen offset:24
	;; [unrolled: 1-line block ×4, first 2 shown]
	s_waitcnt lgkmcnt(5)
	buffer_store_dword v19, v2, s[0:3], 0 offen offset:12
	buffer_store_dword v18, v2, s[0:3], 0 offen offset:8
	;; [unrolled: 1-line block ×3, first 2 shown]
	buffer_store_dword v16, v2, s[0:3], 0 offen
	s_waitcnt lgkmcnt(4)
	buffer_store_dword v23, v2, s[0:3], 0 offen offset:28
	buffer_store_dword v22, v2, s[0:3], 0 offen offset:24
	;; [unrolled: 1-line block ×4, first 2 shown]
	s_waitcnt lgkmcnt(1)
	flat_store_dwordx4 v[0:1], v[28:31] offset:16
	s_waitcnt lgkmcnt(0)
	flat_store_dwordx4 v[0:1], v[24:27]
	flat_store_dwordx4 v[32:33], v[4:7]
	flat_store_dwordx4 v[8:9], v[12:15] offset:16
.LBB2151_494:
	s_and_saveexec_b64 s[4:5], s[6:7]
	s_cbranch_execnz .LBB2151_496
; %bb.495:
	s_endpgm
.LBB2151_496:
	buffer_load_dword v4, v2, s[0:3], 0 offen offset:16
	buffer_load_dword v5, v2, s[0:3], 0 offen offset:20
	;; [unrolled: 1-line block ×4, first 2 shown]
	buffer_load_dword v12, v2, s[0:3], 0 offen
	buffer_load_dword v13, v2, s[0:3], 0 offen offset:4
	buffer_load_dword v14, v2, s[0:3], 0 offen offset:8
	;; [unrolled: 1-line block ×3, first 2 shown]
	v_lshlrev_b64 v[0:1], 5, v[10:11]
                                        ; kill: killed $vgpr2
	v_mov_b32_e32 v2, s9
	v_add_co_u32_e32 v0, vcc, s8, v0
	v_addc_co_u32_e32 v2, vcc, v2, v1, vcc
	v_add_co_u32_e32 v0, vcc, 0x4000, v0
	v_addc_co_u32_e64 v1, s[4:5], 0, v2, vcc
	s_waitcnt vmcnt(0)
	flat_store_dwordx4 v[0:1], v[4:7] offset:16
	v_addc_co_u32_e32 v1, vcc, 0, v2, vcc
	flat_store_dwordx4 v[0:1], v[12:15]
	s_endpgm
.LBB2151_497:
	v_lshlrev_b64 v[14:15], 5, v[10:11]
	v_mov_b32_e32 v11, s53
	v_add_co_u32_e32 v14, vcc, s52, v14
	v_addc_co_u32_e32 v15, vcc, v11, v15, vcc
	flat_load_dwordx4 v[18:21], v[14:15]
	flat_load_dwordx4 v[22:25], v[14:15] offset:16
                                        ; kill: killed $vgpr14 killed $vgpr15
	s_waitcnt vmcnt(0) lgkmcnt(0)
	buffer_store_dword v19, off, s[0:3], 0 offset:148
	buffer_store_dword v18, off, s[0:3], 0 offset:144
	;; [unrolled: 1-line block ×8, first 2 shown]
	s_or_b64 exec, exec, s[36:37]
	s_and_saveexec_b64 s[16:17], s[14:15]
	s_cbranch_execz .LBB2151_315
.LBB2151_498:
	v_lshlrev_b32_e32 v8, 5, v8
	v_mov_b32_e32 v11, s53
	v_add_co_u32_e32 v14, vcc, s52, v8
	v_addc_co_u32_e32 v15, vcc, 0, v11, vcc
	flat_load_dwordx4 v[18:21], v[14:15]
	flat_load_dwordx4 v[22:25], v[14:15] offset:16
                                        ; kill: killed $vgpr14 killed $vgpr15
	s_waitcnt vmcnt(0) lgkmcnt(0)
	buffer_store_dword v19, off, s[0:3], 0 offset:180
	buffer_store_dword v18, off, s[0:3], 0 offset:176
	;; [unrolled: 1-line block ×8, first 2 shown]
	s_or_b64 exec, exec, s[16:17]
	s_and_saveexec_b64 s[14:15], s[12:13]
	s_cbranch_execnz .LBB2151_316
	s_branch .LBB2151_317
.LBB2151_499:
                                        ; implicit-def: $sgpr36_sgpr37
	s_branch .LBB2151_310
.LBB2151_500:
                                        ; implicit-def: $sgpr12_sgpr13
	s_branch .LBB2151_325
	.section	.rodata,"a",@progbits
	.p2align	6, 0x0
	.amdhsa_kernel _ZN7rocprim17ROCPRIM_400000_NS6detail17trampoline_kernelINS0_14default_configENS1_27scan_by_key_config_selectorIj11FixedVectorIiLj8EEEEZZNS1_16scan_by_key_implILNS1_25lookback_scan_determinismE0ELb0ES3_N6thrust23THRUST_200600_302600_NS6detail15normal_iteratorINSB_10device_ptrIjEEEENSD_INSE_IS6_EEEESI_S6_NSB_4plusIvEENSB_8equal_toIvEES6_EE10hipError_tPvRmT2_T3_T4_T5_mT6_T7_P12ihipStream_tbENKUlT_T0_E_clISt17integral_constantIbLb0EES12_IbLb1EEEEDaSY_SZ_EUlSY_E_NS1_11comp_targetILNS1_3genE4ELNS1_11target_archE910ELNS1_3gpuE8ELNS1_3repE0EEENS1_30default_config_static_selectorELNS0_4arch9wavefront6targetE1EEEvT1_
		.amdhsa_group_segment_fixed_size 32768
		.amdhsa_private_segment_fixed_size 400
		.amdhsa_kernarg_size 160
		.amdhsa_user_sgpr_count 10
		.amdhsa_user_sgpr_private_segment_buffer 1
		.amdhsa_user_sgpr_dispatch_ptr 1
		.amdhsa_user_sgpr_queue_ptr 0
		.amdhsa_user_sgpr_kernarg_segment_ptr 1
		.amdhsa_user_sgpr_dispatch_id 0
		.amdhsa_user_sgpr_flat_scratch_init 1
		.amdhsa_user_sgpr_kernarg_preload_length 0
		.amdhsa_user_sgpr_kernarg_preload_offset 0
		.amdhsa_user_sgpr_private_segment_size 0
		.amdhsa_uses_dynamic_stack 0
		.amdhsa_system_sgpr_private_segment_wavefront_offset 1
		.amdhsa_system_sgpr_workgroup_id_x 1
		.amdhsa_system_sgpr_workgroup_id_y 0
		.amdhsa_system_sgpr_workgroup_id_z 0
		.amdhsa_system_sgpr_workgroup_info 0
		.amdhsa_system_vgpr_workitem_id 2
		.amdhsa_next_free_vgpr 45
		.amdhsa_next_free_sgpr 55
		.amdhsa_accum_offset 48
		.amdhsa_reserve_vcc 1
		.amdhsa_reserve_flat_scratch 1
		.amdhsa_float_round_mode_32 0
		.amdhsa_float_round_mode_16_64 0
		.amdhsa_float_denorm_mode_32 3
		.amdhsa_float_denorm_mode_16_64 3
		.amdhsa_dx10_clamp 1
		.amdhsa_ieee_mode 1
		.amdhsa_fp16_overflow 0
		.amdhsa_tg_split 0
		.amdhsa_exception_fp_ieee_invalid_op 0
		.amdhsa_exception_fp_denorm_src 0
		.amdhsa_exception_fp_ieee_div_zero 0
		.amdhsa_exception_fp_ieee_overflow 0
		.amdhsa_exception_fp_ieee_underflow 0
		.amdhsa_exception_fp_ieee_inexact 0
		.amdhsa_exception_int_div_zero 0
	.end_amdhsa_kernel
	.section	.text._ZN7rocprim17ROCPRIM_400000_NS6detail17trampoline_kernelINS0_14default_configENS1_27scan_by_key_config_selectorIj11FixedVectorIiLj8EEEEZZNS1_16scan_by_key_implILNS1_25lookback_scan_determinismE0ELb0ES3_N6thrust23THRUST_200600_302600_NS6detail15normal_iteratorINSB_10device_ptrIjEEEENSD_INSE_IS6_EEEESI_S6_NSB_4plusIvEENSB_8equal_toIvEES6_EE10hipError_tPvRmT2_T3_T4_T5_mT6_T7_P12ihipStream_tbENKUlT_T0_E_clISt17integral_constantIbLb0EES12_IbLb1EEEEDaSY_SZ_EUlSY_E_NS1_11comp_targetILNS1_3genE4ELNS1_11target_archE910ELNS1_3gpuE8ELNS1_3repE0EEENS1_30default_config_static_selectorELNS0_4arch9wavefront6targetE1EEEvT1_,"axG",@progbits,_ZN7rocprim17ROCPRIM_400000_NS6detail17trampoline_kernelINS0_14default_configENS1_27scan_by_key_config_selectorIj11FixedVectorIiLj8EEEEZZNS1_16scan_by_key_implILNS1_25lookback_scan_determinismE0ELb0ES3_N6thrust23THRUST_200600_302600_NS6detail15normal_iteratorINSB_10device_ptrIjEEEENSD_INSE_IS6_EEEESI_S6_NSB_4plusIvEENSB_8equal_toIvEES6_EE10hipError_tPvRmT2_T3_T4_T5_mT6_T7_P12ihipStream_tbENKUlT_T0_E_clISt17integral_constantIbLb0EES12_IbLb1EEEEDaSY_SZ_EUlSY_E_NS1_11comp_targetILNS1_3genE4ELNS1_11target_archE910ELNS1_3gpuE8ELNS1_3repE0EEENS1_30default_config_static_selectorELNS0_4arch9wavefront6targetE1EEEvT1_,comdat
.Lfunc_end2151:
	.size	_ZN7rocprim17ROCPRIM_400000_NS6detail17trampoline_kernelINS0_14default_configENS1_27scan_by_key_config_selectorIj11FixedVectorIiLj8EEEEZZNS1_16scan_by_key_implILNS1_25lookback_scan_determinismE0ELb0ES3_N6thrust23THRUST_200600_302600_NS6detail15normal_iteratorINSB_10device_ptrIjEEEENSD_INSE_IS6_EEEESI_S6_NSB_4plusIvEENSB_8equal_toIvEES6_EE10hipError_tPvRmT2_T3_T4_T5_mT6_T7_P12ihipStream_tbENKUlT_T0_E_clISt17integral_constantIbLb0EES12_IbLb1EEEEDaSY_SZ_EUlSY_E_NS1_11comp_targetILNS1_3genE4ELNS1_11target_archE910ELNS1_3gpuE8ELNS1_3repE0EEENS1_30default_config_static_selectorELNS0_4arch9wavefront6targetE1EEEvT1_, .Lfunc_end2151-_ZN7rocprim17ROCPRIM_400000_NS6detail17trampoline_kernelINS0_14default_configENS1_27scan_by_key_config_selectorIj11FixedVectorIiLj8EEEEZZNS1_16scan_by_key_implILNS1_25lookback_scan_determinismE0ELb0ES3_N6thrust23THRUST_200600_302600_NS6detail15normal_iteratorINSB_10device_ptrIjEEEENSD_INSE_IS6_EEEESI_S6_NSB_4plusIvEENSB_8equal_toIvEES6_EE10hipError_tPvRmT2_T3_T4_T5_mT6_T7_P12ihipStream_tbENKUlT_T0_E_clISt17integral_constantIbLb0EES12_IbLb1EEEEDaSY_SZ_EUlSY_E_NS1_11comp_targetILNS1_3genE4ELNS1_11target_archE910ELNS1_3gpuE8ELNS1_3repE0EEENS1_30default_config_static_selectorELNS0_4arch9wavefront6targetE1EEEvT1_
                                        ; -- End function
	.section	.AMDGPU.csdata,"",@progbits
; Kernel info:
; codeLenInByte = 34104
; NumSgprs: 61
; NumVgprs: 45
; NumAgprs: 0
; TotalNumVgprs: 45
; ScratchSize: 400
; MemoryBound: 0
; FloatMode: 240
; IeeeMode: 1
; LDSByteSize: 32768 bytes/workgroup (compile time only)
; SGPRBlocks: 7
; VGPRBlocks: 5
; NumSGPRsForWavesPerEU: 61
; NumVGPRsForWavesPerEU: 45
; AccumOffset: 48
; Occupancy: 2
; WaveLimiterHint : 1
; COMPUTE_PGM_RSRC2:SCRATCH_EN: 1
; COMPUTE_PGM_RSRC2:USER_SGPR: 10
; COMPUTE_PGM_RSRC2:TRAP_HANDLER: 0
; COMPUTE_PGM_RSRC2:TGID_X_EN: 1
; COMPUTE_PGM_RSRC2:TGID_Y_EN: 0
; COMPUTE_PGM_RSRC2:TGID_Z_EN: 0
; COMPUTE_PGM_RSRC2:TIDIG_COMP_CNT: 2
; COMPUTE_PGM_RSRC3_GFX90A:ACCUM_OFFSET: 11
; COMPUTE_PGM_RSRC3_GFX90A:TG_SPLIT: 0
	.section	.text._ZN7rocprim17ROCPRIM_400000_NS6detail17trampoline_kernelINS0_14default_configENS1_27scan_by_key_config_selectorIj11FixedVectorIiLj8EEEEZZNS1_16scan_by_key_implILNS1_25lookback_scan_determinismE0ELb0ES3_N6thrust23THRUST_200600_302600_NS6detail15normal_iteratorINSB_10device_ptrIjEEEENSD_INSE_IS6_EEEESI_S6_NSB_4plusIvEENSB_8equal_toIvEES6_EE10hipError_tPvRmT2_T3_T4_T5_mT6_T7_P12ihipStream_tbENKUlT_T0_E_clISt17integral_constantIbLb0EES12_IbLb1EEEEDaSY_SZ_EUlSY_E_NS1_11comp_targetILNS1_3genE3ELNS1_11target_archE908ELNS1_3gpuE7ELNS1_3repE0EEENS1_30default_config_static_selectorELNS0_4arch9wavefront6targetE1EEEvT1_,"axG",@progbits,_ZN7rocprim17ROCPRIM_400000_NS6detail17trampoline_kernelINS0_14default_configENS1_27scan_by_key_config_selectorIj11FixedVectorIiLj8EEEEZZNS1_16scan_by_key_implILNS1_25lookback_scan_determinismE0ELb0ES3_N6thrust23THRUST_200600_302600_NS6detail15normal_iteratorINSB_10device_ptrIjEEEENSD_INSE_IS6_EEEESI_S6_NSB_4plusIvEENSB_8equal_toIvEES6_EE10hipError_tPvRmT2_T3_T4_T5_mT6_T7_P12ihipStream_tbENKUlT_T0_E_clISt17integral_constantIbLb0EES12_IbLb1EEEEDaSY_SZ_EUlSY_E_NS1_11comp_targetILNS1_3genE3ELNS1_11target_archE908ELNS1_3gpuE7ELNS1_3repE0EEENS1_30default_config_static_selectorELNS0_4arch9wavefront6targetE1EEEvT1_,comdat
	.protected	_ZN7rocprim17ROCPRIM_400000_NS6detail17trampoline_kernelINS0_14default_configENS1_27scan_by_key_config_selectorIj11FixedVectorIiLj8EEEEZZNS1_16scan_by_key_implILNS1_25lookback_scan_determinismE0ELb0ES3_N6thrust23THRUST_200600_302600_NS6detail15normal_iteratorINSB_10device_ptrIjEEEENSD_INSE_IS6_EEEESI_S6_NSB_4plusIvEENSB_8equal_toIvEES6_EE10hipError_tPvRmT2_T3_T4_T5_mT6_T7_P12ihipStream_tbENKUlT_T0_E_clISt17integral_constantIbLb0EES12_IbLb1EEEEDaSY_SZ_EUlSY_E_NS1_11comp_targetILNS1_3genE3ELNS1_11target_archE908ELNS1_3gpuE7ELNS1_3repE0EEENS1_30default_config_static_selectorELNS0_4arch9wavefront6targetE1EEEvT1_ ; -- Begin function _ZN7rocprim17ROCPRIM_400000_NS6detail17trampoline_kernelINS0_14default_configENS1_27scan_by_key_config_selectorIj11FixedVectorIiLj8EEEEZZNS1_16scan_by_key_implILNS1_25lookback_scan_determinismE0ELb0ES3_N6thrust23THRUST_200600_302600_NS6detail15normal_iteratorINSB_10device_ptrIjEEEENSD_INSE_IS6_EEEESI_S6_NSB_4plusIvEENSB_8equal_toIvEES6_EE10hipError_tPvRmT2_T3_T4_T5_mT6_T7_P12ihipStream_tbENKUlT_T0_E_clISt17integral_constantIbLb0EES12_IbLb1EEEEDaSY_SZ_EUlSY_E_NS1_11comp_targetILNS1_3genE3ELNS1_11target_archE908ELNS1_3gpuE7ELNS1_3repE0EEENS1_30default_config_static_selectorELNS0_4arch9wavefront6targetE1EEEvT1_
	.globl	_ZN7rocprim17ROCPRIM_400000_NS6detail17trampoline_kernelINS0_14default_configENS1_27scan_by_key_config_selectorIj11FixedVectorIiLj8EEEEZZNS1_16scan_by_key_implILNS1_25lookback_scan_determinismE0ELb0ES3_N6thrust23THRUST_200600_302600_NS6detail15normal_iteratorINSB_10device_ptrIjEEEENSD_INSE_IS6_EEEESI_S6_NSB_4plusIvEENSB_8equal_toIvEES6_EE10hipError_tPvRmT2_T3_T4_T5_mT6_T7_P12ihipStream_tbENKUlT_T0_E_clISt17integral_constantIbLb0EES12_IbLb1EEEEDaSY_SZ_EUlSY_E_NS1_11comp_targetILNS1_3genE3ELNS1_11target_archE908ELNS1_3gpuE7ELNS1_3repE0EEENS1_30default_config_static_selectorELNS0_4arch9wavefront6targetE1EEEvT1_
	.p2align	8
	.type	_ZN7rocprim17ROCPRIM_400000_NS6detail17trampoline_kernelINS0_14default_configENS1_27scan_by_key_config_selectorIj11FixedVectorIiLj8EEEEZZNS1_16scan_by_key_implILNS1_25lookback_scan_determinismE0ELb0ES3_N6thrust23THRUST_200600_302600_NS6detail15normal_iteratorINSB_10device_ptrIjEEEENSD_INSE_IS6_EEEESI_S6_NSB_4plusIvEENSB_8equal_toIvEES6_EE10hipError_tPvRmT2_T3_T4_T5_mT6_T7_P12ihipStream_tbENKUlT_T0_E_clISt17integral_constantIbLb0EES12_IbLb1EEEEDaSY_SZ_EUlSY_E_NS1_11comp_targetILNS1_3genE3ELNS1_11target_archE908ELNS1_3gpuE7ELNS1_3repE0EEENS1_30default_config_static_selectorELNS0_4arch9wavefront6targetE1EEEvT1_,@function
_ZN7rocprim17ROCPRIM_400000_NS6detail17trampoline_kernelINS0_14default_configENS1_27scan_by_key_config_selectorIj11FixedVectorIiLj8EEEEZZNS1_16scan_by_key_implILNS1_25lookback_scan_determinismE0ELb0ES3_N6thrust23THRUST_200600_302600_NS6detail15normal_iteratorINSB_10device_ptrIjEEEENSD_INSE_IS6_EEEESI_S6_NSB_4plusIvEENSB_8equal_toIvEES6_EE10hipError_tPvRmT2_T3_T4_T5_mT6_T7_P12ihipStream_tbENKUlT_T0_E_clISt17integral_constantIbLb0EES12_IbLb1EEEEDaSY_SZ_EUlSY_E_NS1_11comp_targetILNS1_3genE3ELNS1_11target_archE908ELNS1_3gpuE7ELNS1_3repE0EEENS1_30default_config_static_selectorELNS0_4arch9wavefront6targetE1EEEvT1_: ; @_ZN7rocprim17ROCPRIM_400000_NS6detail17trampoline_kernelINS0_14default_configENS1_27scan_by_key_config_selectorIj11FixedVectorIiLj8EEEEZZNS1_16scan_by_key_implILNS1_25lookback_scan_determinismE0ELb0ES3_N6thrust23THRUST_200600_302600_NS6detail15normal_iteratorINSB_10device_ptrIjEEEENSD_INSE_IS6_EEEESI_S6_NSB_4plusIvEENSB_8equal_toIvEES6_EE10hipError_tPvRmT2_T3_T4_T5_mT6_T7_P12ihipStream_tbENKUlT_T0_E_clISt17integral_constantIbLb0EES12_IbLb1EEEEDaSY_SZ_EUlSY_E_NS1_11comp_targetILNS1_3genE3ELNS1_11target_archE908ELNS1_3gpuE7ELNS1_3repE0EEENS1_30default_config_static_selectorELNS0_4arch9wavefront6targetE1EEEvT1_
; %bb.0:
	.section	.rodata,"a",@progbits
	.p2align	6, 0x0
	.amdhsa_kernel _ZN7rocprim17ROCPRIM_400000_NS6detail17trampoline_kernelINS0_14default_configENS1_27scan_by_key_config_selectorIj11FixedVectorIiLj8EEEEZZNS1_16scan_by_key_implILNS1_25lookback_scan_determinismE0ELb0ES3_N6thrust23THRUST_200600_302600_NS6detail15normal_iteratorINSB_10device_ptrIjEEEENSD_INSE_IS6_EEEESI_S6_NSB_4plusIvEENSB_8equal_toIvEES6_EE10hipError_tPvRmT2_T3_T4_T5_mT6_T7_P12ihipStream_tbENKUlT_T0_E_clISt17integral_constantIbLb0EES12_IbLb1EEEEDaSY_SZ_EUlSY_E_NS1_11comp_targetILNS1_3genE3ELNS1_11target_archE908ELNS1_3gpuE7ELNS1_3repE0EEENS1_30default_config_static_selectorELNS0_4arch9wavefront6targetE1EEEvT1_
		.amdhsa_group_segment_fixed_size 0
		.amdhsa_private_segment_fixed_size 0
		.amdhsa_kernarg_size 160
		.amdhsa_user_sgpr_count 6
		.amdhsa_user_sgpr_private_segment_buffer 1
		.amdhsa_user_sgpr_dispatch_ptr 0
		.amdhsa_user_sgpr_queue_ptr 0
		.amdhsa_user_sgpr_kernarg_segment_ptr 1
		.amdhsa_user_sgpr_dispatch_id 0
		.amdhsa_user_sgpr_flat_scratch_init 0
		.amdhsa_user_sgpr_kernarg_preload_length 0
		.amdhsa_user_sgpr_kernarg_preload_offset 0
		.amdhsa_user_sgpr_private_segment_size 0
		.amdhsa_uses_dynamic_stack 0
		.amdhsa_system_sgpr_private_segment_wavefront_offset 0
		.amdhsa_system_sgpr_workgroup_id_x 1
		.amdhsa_system_sgpr_workgroup_id_y 0
		.amdhsa_system_sgpr_workgroup_id_z 0
		.amdhsa_system_sgpr_workgroup_info 0
		.amdhsa_system_vgpr_workitem_id 0
		.amdhsa_next_free_vgpr 1
		.amdhsa_next_free_sgpr 0
		.amdhsa_accum_offset 4
		.amdhsa_reserve_vcc 0
		.amdhsa_reserve_flat_scratch 0
		.amdhsa_float_round_mode_32 0
		.amdhsa_float_round_mode_16_64 0
		.amdhsa_float_denorm_mode_32 3
		.amdhsa_float_denorm_mode_16_64 3
		.amdhsa_dx10_clamp 1
		.amdhsa_ieee_mode 1
		.amdhsa_fp16_overflow 0
		.amdhsa_tg_split 0
		.amdhsa_exception_fp_ieee_invalid_op 0
		.amdhsa_exception_fp_denorm_src 0
		.amdhsa_exception_fp_ieee_div_zero 0
		.amdhsa_exception_fp_ieee_overflow 0
		.amdhsa_exception_fp_ieee_underflow 0
		.amdhsa_exception_fp_ieee_inexact 0
		.amdhsa_exception_int_div_zero 0
	.end_amdhsa_kernel
	.section	.text._ZN7rocprim17ROCPRIM_400000_NS6detail17trampoline_kernelINS0_14default_configENS1_27scan_by_key_config_selectorIj11FixedVectorIiLj8EEEEZZNS1_16scan_by_key_implILNS1_25lookback_scan_determinismE0ELb0ES3_N6thrust23THRUST_200600_302600_NS6detail15normal_iteratorINSB_10device_ptrIjEEEENSD_INSE_IS6_EEEESI_S6_NSB_4plusIvEENSB_8equal_toIvEES6_EE10hipError_tPvRmT2_T3_T4_T5_mT6_T7_P12ihipStream_tbENKUlT_T0_E_clISt17integral_constantIbLb0EES12_IbLb1EEEEDaSY_SZ_EUlSY_E_NS1_11comp_targetILNS1_3genE3ELNS1_11target_archE908ELNS1_3gpuE7ELNS1_3repE0EEENS1_30default_config_static_selectorELNS0_4arch9wavefront6targetE1EEEvT1_,"axG",@progbits,_ZN7rocprim17ROCPRIM_400000_NS6detail17trampoline_kernelINS0_14default_configENS1_27scan_by_key_config_selectorIj11FixedVectorIiLj8EEEEZZNS1_16scan_by_key_implILNS1_25lookback_scan_determinismE0ELb0ES3_N6thrust23THRUST_200600_302600_NS6detail15normal_iteratorINSB_10device_ptrIjEEEENSD_INSE_IS6_EEEESI_S6_NSB_4plusIvEENSB_8equal_toIvEES6_EE10hipError_tPvRmT2_T3_T4_T5_mT6_T7_P12ihipStream_tbENKUlT_T0_E_clISt17integral_constantIbLb0EES12_IbLb1EEEEDaSY_SZ_EUlSY_E_NS1_11comp_targetILNS1_3genE3ELNS1_11target_archE908ELNS1_3gpuE7ELNS1_3repE0EEENS1_30default_config_static_selectorELNS0_4arch9wavefront6targetE1EEEvT1_,comdat
.Lfunc_end2152:
	.size	_ZN7rocprim17ROCPRIM_400000_NS6detail17trampoline_kernelINS0_14default_configENS1_27scan_by_key_config_selectorIj11FixedVectorIiLj8EEEEZZNS1_16scan_by_key_implILNS1_25lookback_scan_determinismE0ELb0ES3_N6thrust23THRUST_200600_302600_NS6detail15normal_iteratorINSB_10device_ptrIjEEEENSD_INSE_IS6_EEEESI_S6_NSB_4plusIvEENSB_8equal_toIvEES6_EE10hipError_tPvRmT2_T3_T4_T5_mT6_T7_P12ihipStream_tbENKUlT_T0_E_clISt17integral_constantIbLb0EES12_IbLb1EEEEDaSY_SZ_EUlSY_E_NS1_11comp_targetILNS1_3genE3ELNS1_11target_archE908ELNS1_3gpuE7ELNS1_3repE0EEENS1_30default_config_static_selectorELNS0_4arch9wavefront6targetE1EEEvT1_, .Lfunc_end2152-_ZN7rocprim17ROCPRIM_400000_NS6detail17trampoline_kernelINS0_14default_configENS1_27scan_by_key_config_selectorIj11FixedVectorIiLj8EEEEZZNS1_16scan_by_key_implILNS1_25lookback_scan_determinismE0ELb0ES3_N6thrust23THRUST_200600_302600_NS6detail15normal_iteratorINSB_10device_ptrIjEEEENSD_INSE_IS6_EEEESI_S6_NSB_4plusIvEENSB_8equal_toIvEES6_EE10hipError_tPvRmT2_T3_T4_T5_mT6_T7_P12ihipStream_tbENKUlT_T0_E_clISt17integral_constantIbLb0EES12_IbLb1EEEEDaSY_SZ_EUlSY_E_NS1_11comp_targetILNS1_3genE3ELNS1_11target_archE908ELNS1_3gpuE7ELNS1_3repE0EEENS1_30default_config_static_selectorELNS0_4arch9wavefront6targetE1EEEvT1_
                                        ; -- End function
	.section	.AMDGPU.csdata,"",@progbits
; Kernel info:
; codeLenInByte = 0
; NumSgprs: 4
; NumVgprs: 0
; NumAgprs: 0
; TotalNumVgprs: 0
; ScratchSize: 0
; MemoryBound: 0
; FloatMode: 240
; IeeeMode: 1
; LDSByteSize: 0 bytes/workgroup (compile time only)
; SGPRBlocks: 0
; VGPRBlocks: 0
; NumSGPRsForWavesPerEU: 4
; NumVGPRsForWavesPerEU: 1
; AccumOffset: 4
; Occupancy: 8
; WaveLimiterHint : 0
; COMPUTE_PGM_RSRC2:SCRATCH_EN: 0
; COMPUTE_PGM_RSRC2:USER_SGPR: 6
; COMPUTE_PGM_RSRC2:TRAP_HANDLER: 0
; COMPUTE_PGM_RSRC2:TGID_X_EN: 1
; COMPUTE_PGM_RSRC2:TGID_Y_EN: 0
; COMPUTE_PGM_RSRC2:TGID_Z_EN: 0
; COMPUTE_PGM_RSRC2:TIDIG_COMP_CNT: 0
; COMPUTE_PGM_RSRC3_GFX90A:ACCUM_OFFSET: 0
; COMPUTE_PGM_RSRC3_GFX90A:TG_SPLIT: 0
	.section	.text._ZN7rocprim17ROCPRIM_400000_NS6detail17trampoline_kernelINS0_14default_configENS1_27scan_by_key_config_selectorIj11FixedVectorIiLj8EEEEZZNS1_16scan_by_key_implILNS1_25lookback_scan_determinismE0ELb0ES3_N6thrust23THRUST_200600_302600_NS6detail15normal_iteratorINSB_10device_ptrIjEEEENSD_INSE_IS6_EEEESI_S6_NSB_4plusIvEENSB_8equal_toIvEES6_EE10hipError_tPvRmT2_T3_T4_T5_mT6_T7_P12ihipStream_tbENKUlT_T0_E_clISt17integral_constantIbLb0EES12_IbLb1EEEEDaSY_SZ_EUlSY_E_NS1_11comp_targetILNS1_3genE2ELNS1_11target_archE906ELNS1_3gpuE6ELNS1_3repE0EEENS1_30default_config_static_selectorELNS0_4arch9wavefront6targetE1EEEvT1_,"axG",@progbits,_ZN7rocprim17ROCPRIM_400000_NS6detail17trampoline_kernelINS0_14default_configENS1_27scan_by_key_config_selectorIj11FixedVectorIiLj8EEEEZZNS1_16scan_by_key_implILNS1_25lookback_scan_determinismE0ELb0ES3_N6thrust23THRUST_200600_302600_NS6detail15normal_iteratorINSB_10device_ptrIjEEEENSD_INSE_IS6_EEEESI_S6_NSB_4plusIvEENSB_8equal_toIvEES6_EE10hipError_tPvRmT2_T3_T4_T5_mT6_T7_P12ihipStream_tbENKUlT_T0_E_clISt17integral_constantIbLb0EES12_IbLb1EEEEDaSY_SZ_EUlSY_E_NS1_11comp_targetILNS1_3genE2ELNS1_11target_archE906ELNS1_3gpuE6ELNS1_3repE0EEENS1_30default_config_static_selectorELNS0_4arch9wavefront6targetE1EEEvT1_,comdat
	.protected	_ZN7rocprim17ROCPRIM_400000_NS6detail17trampoline_kernelINS0_14default_configENS1_27scan_by_key_config_selectorIj11FixedVectorIiLj8EEEEZZNS1_16scan_by_key_implILNS1_25lookback_scan_determinismE0ELb0ES3_N6thrust23THRUST_200600_302600_NS6detail15normal_iteratorINSB_10device_ptrIjEEEENSD_INSE_IS6_EEEESI_S6_NSB_4plusIvEENSB_8equal_toIvEES6_EE10hipError_tPvRmT2_T3_T4_T5_mT6_T7_P12ihipStream_tbENKUlT_T0_E_clISt17integral_constantIbLb0EES12_IbLb1EEEEDaSY_SZ_EUlSY_E_NS1_11comp_targetILNS1_3genE2ELNS1_11target_archE906ELNS1_3gpuE6ELNS1_3repE0EEENS1_30default_config_static_selectorELNS0_4arch9wavefront6targetE1EEEvT1_ ; -- Begin function _ZN7rocprim17ROCPRIM_400000_NS6detail17trampoline_kernelINS0_14default_configENS1_27scan_by_key_config_selectorIj11FixedVectorIiLj8EEEEZZNS1_16scan_by_key_implILNS1_25lookback_scan_determinismE0ELb0ES3_N6thrust23THRUST_200600_302600_NS6detail15normal_iteratorINSB_10device_ptrIjEEEENSD_INSE_IS6_EEEESI_S6_NSB_4plusIvEENSB_8equal_toIvEES6_EE10hipError_tPvRmT2_T3_T4_T5_mT6_T7_P12ihipStream_tbENKUlT_T0_E_clISt17integral_constantIbLb0EES12_IbLb1EEEEDaSY_SZ_EUlSY_E_NS1_11comp_targetILNS1_3genE2ELNS1_11target_archE906ELNS1_3gpuE6ELNS1_3repE0EEENS1_30default_config_static_selectorELNS0_4arch9wavefront6targetE1EEEvT1_
	.globl	_ZN7rocprim17ROCPRIM_400000_NS6detail17trampoline_kernelINS0_14default_configENS1_27scan_by_key_config_selectorIj11FixedVectorIiLj8EEEEZZNS1_16scan_by_key_implILNS1_25lookback_scan_determinismE0ELb0ES3_N6thrust23THRUST_200600_302600_NS6detail15normal_iteratorINSB_10device_ptrIjEEEENSD_INSE_IS6_EEEESI_S6_NSB_4plusIvEENSB_8equal_toIvEES6_EE10hipError_tPvRmT2_T3_T4_T5_mT6_T7_P12ihipStream_tbENKUlT_T0_E_clISt17integral_constantIbLb0EES12_IbLb1EEEEDaSY_SZ_EUlSY_E_NS1_11comp_targetILNS1_3genE2ELNS1_11target_archE906ELNS1_3gpuE6ELNS1_3repE0EEENS1_30default_config_static_selectorELNS0_4arch9wavefront6targetE1EEEvT1_
	.p2align	8
	.type	_ZN7rocprim17ROCPRIM_400000_NS6detail17trampoline_kernelINS0_14default_configENS1_27scan_by_key_config_selectorIj11FixedVectorIiLj8EEEEZZNS1_16scan_by_key_implILNS1_25lookback_scan_determinismE0ELb0ES3_N6thrust23THRUST_200600_302600_NS6detail15normal_iteratorINSB_10device_ptrIjEEEENSD_INSE_IS6_EEEESI_S6_NSB_4plusIvEENSB_8equal_toIvEES6_EE10hipError_tPvRmT2_T3_T4_T5_mT6_T7_P12ihipStream_tbENKUlT_T0_E_clISt17integral_constantIbLb0EES12_IbLb1EEEEDaSY_SZ_EUlSY_E_NS1_11comp_targetILNS1_3genE2ELNS1_11target_archE906ELNS1_3gpuE6ELNS1_3repE0EEENS1_30default_config_static_selectorELNS0_4arch9wavefront6targetE1EEEvT1_,@function
_ZN7rocprim17ROCPRIM_400000_NS6detail17trampoline_kernelINS0_14default_configENS1_27scan_by_key_config_selectorIj11FixedVectorIiLj8EEEEZZNS1_16scan_by_key_implILNS1_25lookback_scan_determinismE0ELb0ES3_N6thrust23THRUST_200600_302600_NS6detail15normal_iteratorINSB_10device_ptrIjEEEENSD_INSE_IS6_EEEESI_S6_NSB_4plusIvEENSB_8equal_toIvEES6_EE10hipError_tPvRmT2_T3_T4_T5_mT6_T7_P12ihipStream_tbENKUlT_T0_E_clISt17integral_constantIbLb0EES12_IbLb1EEEEDaSY_SZ_EUlSY_E_NS1_11comp_targetILNS1_3genE2ELNS1_11target_archE906ELNS1_3gpuE6ELNS1_3repE0EEENS1_30default_config_static_selectorELNS0_4arch9wavefront6targetE1EEEvT1_: ; @_ZN7rocprim17ROCPRIM_400000_NS6detail17trampoline_kernelINS0_14default_configENS1_27scan_by_key_config_selectorIj11FixedVectorIiLj8EEEEZZNS1_16scan_by_key_implILNS1_25lookback_scan_determinismE0ELb0ES3_N6thrust23THRUST_200600_302600_NS6detail15normal_iteratorINSB_10device_ptrIjEEEENSD_INSE_IS6_EEEESI_S6_NSB_4plusIvEENSB_8equal_toIvEES6_EE10hipError_tPvRmT2_T3_T4_T5_mT6_T7_P12ihipStream_tbENKUlT_T0_E_clISt17integral_constantIbLb0EES12_IbLb1EEEEDaSY_SZ_EUlSY_E_NS1_11comp_targetILNS1_3genE2ELNS1_11target_archE906ELNS1_3gpuE6ELNS1_3repE0EEENS1_30default_config_static_selectorELNS0_4arch9wavefront6targetE1EEEvT1_
; %bb.0:
	.section	.rodata,"a",@progbits
	.p2align	6, 0x0
	.amdhsa_kernel _ZN7rocprim17ROCPRIM_400000_NS6detail17trampoline_kernelINS0_14default_configENS1_27scan_by_key_config_selectorIj11FixedVectorIiLj8EEEEZZNS1_16scan_by_key_implILNS1_25lookback_scan_determinismE0ELb0ES3_N6thrust23THRUST_200600_302600_NS6detail15normal_iteratorINSB_10device_ptrIjEEEENSD_INSE_IS6_EEEESI_S6_NSB_4plusIvEENSB_8equal_toIvEES6_EE10hipError_tPvRmT2_T3_T4_T5_mT6_T7_P12ihipStream_tbENKUlT_T0_E_clISt17integral_constantIbLb0EES12_IbLb1EEEEDaSY_SZ_EUlSY_E_NS1_11comp_targetILNS1_3genE2ELNS1_11target_archE906ELNS1_3gpuE6ELNS1_3repE0EEENS1_30default_config_static_selectorELNS0_4arch9wavefront6targetE1EEEvT1_
		.amdhsa_group_segment_fixed_size 0
		.amdhsa_private_segment_fixed_size 0
		.amdhsa_kernarg_size 160
		.amdhsa_user_sgpr_count 6
		.amdhsa_user_sgpr_private_segment_buffer 1
		.amdhsa_user_sgpr_dispatch_ptr 0
		.amdhsa_user_sgpr_queue_ptr 0
		.amdhsa_user_sgpr_kernarg_segment_ptr 1
		.amdhsa_user_sgpr_dispatch_id 0
		.amdhsa_user_sgpr_flat_scratch_init 0
		.amdhsa_user_sgpr_kernarg_preload_length 0
		.amdhsa_user_sgpr_kernarg_preload_offset 0
		.amdhsa_user_sgpr_private_segment_size 0
		.amdhsa_uses_dynamic_stack 0
		.amdhsa_system_sgpr_private_segment_wavefront_offset 0
		.amdhsa_system_sgpr_workgroup_id_x 1
		.amdhsa_system_sgpr_workgroup_id_y 0
		.amdhsa_system_sgpr_workgroup_id_z 0
		.amdhsa_system_sgpr_workgroup_info 0
		.amdhsa_system_vgpr_workitem_id 0
		.amdhsa_next_free_vgpr 1
		.amdhsa_next_free_sgpr 0
		.amdhsa_accum_offset 4
		.amdhsa_reserve_vcc 0
		.amdhsa_reserve_flat_scratch 0
		.amdhsa_float_round_mode_32 0
		.amdhsa_float_round_mode_16_64 0
		.amdhsa_float_denorm_mode_32 3
		.amdhsa_float_denorm_mode_16_64 3
		.amdhsa_dx10_clamp 1
		.amdhsa_ieee_mode 1
		.amdhsa_fp16_overflow 0
		.amdhsa_tg_split 0
		.amdhsa_exception_fp_ieee_invalid_op 0
		.amdhsa_exception_fp_denorm_src 0
		.amdhsa_exception_fp_ieee_div_zero 0
		.amdhsa_exception_fp_ieee_overflow 0
		.amdhsa_exception_fp_ieee_underflow 0
		.amdhsa_exception_fp_ieee_inexact 0
		.amdhsa_exception_int_div_zero 0
	.end_amdhsa_kernel
	.section	.text._ZN7rocprim17ROCPRIM_400000_NS6detail17trampoline_kernelINS0_14default_configENS1_27scan_by_key_config_selectorIj11FixedVectorIiLj8EEEEZZNS1_16scan_by_key_implILNS1_25lookback_scan_determinismE0ELb0ES3_N6thrust23THRUST_200600_302600_NS6detail15normal_iteratorINSB_10device_ptrIjEEEENSD_INSE_IS6_EEEESI_S6_NSB_4plusIvEENSB_8equal_toIvEES6_EE10hipError_tPvRmT2_T3_T4_T5_mT6_T7_P12ihipStream_tbENKUlT_T0_E_clISt17integral_constantIbLb0EES12_IbLb1EEEEDaSY_SZ_EUlSY_E_NS1_11comp_targetILNS1_3genE2ELNS1_11target_archE906ELNS1_3gpuE6ELNS1_3repE0EEENS1_30default_config_static_selectorELNS0_4arch9wavefront6targetE1EEEvT1_,"axG",@progbits,_ZN7rocprim17ROCPRIM_400000_NS6detail17trampoline_kernelINS0_14default_configENS1_27scan_by_key_config_selectorIj11FixedVectorIiLj8EEEEZZNS1_16scan_by_key_implILNS1_25lookback_scan_determinismE0ELb0ES3_N6thrust23THRUST_200600_302600_NS6detail15normal_iteratorINSB_10device_ptrIjEEEENSD_INSE_IS6_EEEESI_S6_NSB_4plusIvEENSB_8equal_toIvEES6_EE10hipError_tPvRmT2_T3_T4_T5_mT6_T7_P12ihipStream_tbENKUlT_T0_E_clISt17integral_constantIbLb0EES12_IbLb1EEEEDaSY_SZ_EUlSY_E_NS1_11comp_targetILNS1_3genE2ELNS1_11target_archE906ELNS1_3gpuE6ELNS1_3repE0EEENS1_30default_config_static_selectorELNS0_4arch9wavefront6targetE1EEEvT1_,comdat
.Lfunc_end2153:
	.size	_ZN7rocprim17ROCPRIM_400000_NS6detail17trampoline_kernelINS0_14default_configENS1_27scan_by_key_config_selectorIj11FixedVectorIiLj8EEEEZZNS1_16scan_by_key_implILNS1_25lookback_scan_determinismE0ELb0ES3_N6thrust23THRUST_200600_302600_NS6detail15normal_iteratorINSB_10device_ptrIjEEEENSD_INSE_IS6_EEEESI_S6_NSB_4plusIvEENSB_8equal_toIvEES6_EE10hipError_tPvRmT2_T3_T4_T5_mT6_T7_P12ihipStream_tbENKUlT_T0_E_clISt17integral_constantIbLb0EES12_IbLb1EEEEDaSY_SZ_EUlSY_E_NS1_11comp_targetILNS1_3genE2ELNS1_11target_archE906ELNS1_3gpuE6ELNS1_3repE0EEENS1_30default_config_static_selectorELNS0_4arch9wavefront6targetE1EEEvT1_, .Lfunc_end2153-_ZN7rocprim17ROCPRIM_400000_NS6detail17trampoline_kernelINS0_14default_configENS1_27scan_by_key_config_selectorIj11FixedVectorIiLj8EEEEZZNS1_16scan_by_key_implILNS1_25lookback_scan_determinismE0ELb0ES3_N6thrust23THRUST_200600_302600_NS6detail15normal_iteratorINSB_10device_ptrIjEEEENSD_INSE_IS6_EEEESI_S6_NSB_4plusIvEENSB_8equal_toIvEES6_EE10hipError_tPvRmT2_T3_T4_T5_mT6_T7_P12ihipStream_tbENKUlT_T0_E_clISt17integral_constantIbLb0EES12_IbLb1EEEEDaSY_SZ_EUlSY_E_NS1_11comp_targetILNS1_3genE2ELNS1_11target_archE906ELNS1_3gpuE6ELNS1_3repE0EEENS1_30default_config_static_selectorELNS0_4arch9wavefront6targetE1EEEvT1_
                                        ; -- End function
	.section	.AMDGPU.csdata,"",@progbits
; Kernel info:
; codeLenInByte = 0
; NumSgprs: 4
; NumVgprs: 0
; NumAgprs: 0
; TotalNumVgprs: 0
; ScratchSize: 0
; MemoryBound: 0
; FloatMode: 240
; IeeeMode: 1
; LDSByteSize: 0 bytes/workgroup (compile time only)
; SGPRBlocks: 0
; VGPRBlocks: 0
; NumSGPRsForWavesPerEU: 4
; NumVGPRsForWavesPerEU: 1
; AccumOffset: 4
; Occupancy: 8
; WaveLimiterHint : 0
; COMPUTE_PGM_RSRC2:SCRATCH_EN: 0
; COMPUTE_PGM_RSRC2:USER_SGPR: 6
; COMPUTE_PGM_RSRC2:TRAP_HANDLER: 0
; COMPUTE_PGM_RSRC2:TGID_X_EN: 1
; COMPUTE_PGM_RSRC2:TGID_Y_EN: 0
; COMPUTE_PGM_RSRC2:TGID_Z_EN: 0
; COMPUTE_PGM_RSRC2:TIDIG_COMP_CNT: 0
; COMPUTE_PGM_RSRC3_GFX90A:ACCUM_OFFSET: 0
; COMPUTE_PGM_RSRC3_GFX90A:TG_SPLIT: 0
	.section	.text._ZN7rocprim17ROCPRIM_400000_NS6detail17trampoline_kernelINS0_14default_configENS1_27scan_by_key_config_selectorIj11FixedVectorIiLj8EEEEZZNS1_16scan_by_key_implILNS1_25lookback_scan_determinismE0ELb0ES3_N6thrust23THRUST_200600_302600_NS6detail15normal_iteratorINSB_10device_ptrIjEEEENSD_INSE_IS6_EEEESI_S6_NSB_4plusIvEENSB_8equal_toIvEES6_EE10hipError_tPvRmT2_T3_T4_T5_mT6_T7_P12ihipStream_tbENKUlT_T0_E_clISt17integral_constantIbLb0EES12_IbLb1EEEEDaSY_SZ_EUlSY_E_NS1_11comp_targetILNS1_3genE10ELNS1_11target_archE1200ELNS1_3gpuE4ELNS1_3repE0EEENS1_30default_config_static_selectorELNS0_4arch9wavefront6targetE1EEEvT1_,"axG",@progbits,_ZN7rocprim17ROCPRIM_400000_NS6detail17trampoline_kernelINS0_14default_configENS1_27scan_by_key_config_selectorIj11FixedVectorIiLj8EEEEZZNS1_16scan_by_key_implILNS1_25lookback_scan_determinismE0ELb0ES3_N6thrust23THRUST_200600_302600_NS6detail15normal_iteratorINSB_10device_ptrIjEEEENSD_INSE_IS6_EEEESI_S6_NSB_4plusIvEENSB_8equal_toIvEES6_EE10hipError_tPvRmT2_T3_T4_T5_mT6_T7_P12ihipStream_tbENKUlT_T0_E_clISt17integral_constantIbLb0EES12_IbLb1EEEEDaSY_SZ_EUlSY_E_NS1_11comp_targetILNS1_3genE10ELNS1_11target_archE1200ELNS1_3gpuE4ELNS1_3repE0EEENS1_30default_config_static_selectorELNS0_4arch9wavefront6targetE1EEEvT1_,comdat
	.protected	_ZN7rocprim17ROCPRIM_400000_NS6detail17trampoline_kernelINS0_14default_configENS1_27scan_by_key_config_selectorIj11FixedVectorIiLj8EEEEZZNS1_16scan_by_key_implILNS1_25lookback_scan_determinismE0ELb0ES3_N6thrust23THRUST_200600_302600_NS6detail15normal_iteratorINSB_10device_ptrIjEEEENSD_INSE_IS6_EEEESI_S6_NSB_4plusIvEENSB_8equal_toIvEES6_EE10hipError_tPvRmT2_T3_T4_T5_mT6_T7_P12ihipStream_tbENKUlT_T0_E_clISt17integral_constantIbLb0EES12_IbLb1EEEEDaSY_SZ_EUlSY_E_NS1_11comp_targetILNS1_3genE10ELNS1_11target_archE1200ELNS1_3gpuE4ELNS1_3repE0EEENS1_30default_config_static_selectorELNS0_4arch9wavefront6targetE1EEEvT1_ ; -- Begin function _ZN7rocprim17ROCPRIM_400000_NS6detail17trampoline_kernelINS0_14default_configENS1_27scan_by_key_config_selectorIj11FixedVectorIiLj8EEEEZZNS1_16scan_by_key_implILNS1_25lookback_scan_determinismE0ELb0ES3_N6thrust23THRUST_200600_302600_NS6detail15normal_iteratorINSB_10device_ptrIjEEEENSD_INSE_IS6_EEEESI_S6_NSB_4plusIvEENSB_8equal_toIvEES6_EE10hipError_tPvRmT2_T3_T4_T5_mT6_T7_P12ihipStream_tbENKUlT_T0_E_clISt17integral_constantIbLb0EES12_IbLb1EEEEDaSY_SZ_EUlSY_E_NS1_11comp_targetILNS1_3genE10ELNS1_11target_archE1200ELNS1_3gpuE4ELNS1_3repE0EEENS1_30default_config_static_selectorELNS0_4arch9wavefront6targetE1EEEvT1_
	.globl	_ZN7rocprim17ROCPRIM_400000_NS6detail17trampoline_kernelINS0_14default_configENS1_27scan_by_key_config_selectorIj11FixedVectorIiLj8EEEEZZNS1_16scan_by_key_implILNS1_25lookback_scan_determinismE0ELb0ES3_N6thrust23THRUST_200600_302600_NS6detail15normal_iteratorINSB_10device_ptrIjEEEENSD_INSE_IS6_EEEESI_S6_NSB_4plusIvEENSB_8equal_toIvEES6_EE10hipError_tPvRmT2_T3_T4_T5_mT6_T7_P12ihipStream_tbENKUlT_T0_E_clISt17integral_constantIbLb0EES12_IbLb1EEEEDaSY_SZ_EUlSY_E_NS1_11comp_targetILNS1_3genE10ELNS1_11target_archE1200ELNS1_3gpuE4ELNS1_3repE0EEENS1_30default_config_static_selectorELNS0_4arch9wavefront6targetE1EEEvT1_
	.p2align	8
	.type	_ZN7rocprim17ROCPRIM_400000_NS6detail17trampoline_kernelINS0_14default_configENS1_27scan_by_key_config_selectorIj11FixedVectorIiLj8EEEEZZNS1_16scan_by_key_implILNS1_25lookback_scan_determinismE0ELb0ES3_N6thrust23THRUST_200600_302600_NS6detail15normal_iteratorINSB_10device_ptrIjEEEENSD_INSE_IS6_EEEESI_S6_NSB_4plusIvEENSB_8equal_toIvEES6_EE10hipError_tPvRmT2_T3_T4_T5_mT6_T7_P12ihipStream_tbENKUlT_T0_E_clISt17integral_constantIbLb0EES12_IbLb1EEEEDaSY_SZ_EUlSY_E_NS1_11comp_targetILNS1_3genE10ELNS1_11target_archE1200ELNS1_3gpuE4ELNS1_3repE0EEENS1_30default_config_static_selectorELNS0_4arch9wavefront6targetE1EEEvT1_,@function
_ZN7rocprim17ROCPRIM_400000_NS6detail17trampoline_kernelINS0_14default_configENS1_27scan_by_key_config_selectorIj11FixedVectorIiLj8EEEEZZNS1_16scan_by_key_implILNS1_25lookback_scan_determinismE0ELb0ES3_N6thrust23THRUST_200600_302600_NS6detail15normal_iteratorINSB_10device_ptrIjEEEENSD_INSE_IS6_EEEESI_S6_NSB_4plusIvEENSB_8equal_toIvEES6_EE10hipError_tPvRmT2_T3_T4_T5_mT6_T7_P12ihipStream_tbENKUlT_T0_E_clISt17integral_constantIbLb0EES12_IbLb1EEEEDaSY_SZ_EUlSY_E_NS1_11comp_targetILNS1_3genE10ELNS1_11target_archE1200ELNS1_3gpuE4ELNS1_3repE0EEENS1_30default_config_static_selectorELNS0_4arch9wavefront6targetE1EEEvT1_: ; @_ZN7rocprim17ROCPRIM_400000_NS6detail17trampoline_kernelINS0_14default_configENS1_27scan_by_key_config_selectorIj11FixedVectorIiLj8EEEEZZNS1_16scan_by_key_implILNS1_25lookback_scan_determinismE0ELb0ES3_N6thrust23THRUST_200600_302600_NS6detail15normal_iteratorINSB_10device_ptrIjEEEENSD_INSE_IS6_EEEESI_S6_NSB_4plusIvEENSB_8equal_toIvEES6_EE10hipError_tPvRmT2_T3_T4_T5_mT6_T7_P12ihipStream_tbENKUlT_T0_E_clISt17integral_constantIbLb0EES12_IbLb1EEEEDaSY_SZ_EUlSY_E_NS1_11comp_targetILNS1_3genE10ELNS1_11target_archE1200ELNS1_3gpuE4ELNS1_3repE0EEENS1_30default_config_static_selectorELNS0_4arch9wavefront6targetE1EEEvT1_
; %bb.0:
	.section	.rodata,"a",@progbits
	.p2align	6, 0x0
	.amdhsa_kernel _ZN7rocprim17ROCPRIM_400000_NS6detail17trampoline_kernelINS0_14default_configENS1_27scan_by_key_config_selectorIj11FixedVectorIiLj8EEEEZZNS1_16scan_by_key_implILNS1_25lookback_scan_determinismE0ELb0ES3_N6thrust23THRUST_200600_302600_NS6detail15normal_iteratorINSB_10device_ptrIjEEEENSD_INSE_IS6_EEEESI_S6_NSB_4plusIvEENSB_8equal_toIvEES6_EE10hipError_tPvRmT2_T3_T4_T5_mT6_T7_P12ihipStream_tbENKUlT_T0_E_clISt17integral_constantIbLb0EES12_IbLb1EEEEDaSY_SZ_EUlSY_E_NS1_11comp_targetILNS1_3genE10ELNS1_11target_archE1200ELNS1_3gpuE4ELNS1_3repE0EEENS1_30default_config_static_selectorELNS0_4arch9wavefront6targetE1EEEvT1_
		.amdhsa_group_segment_fixed_size 0
		.amdhsa_private_segment_fixed_size 0
		.amdhsa_kernarg_size 160
		.amdhsa_user_sgpr_count 6
		.amdhsa_user_sgpr_private_segment_buffer 1
		.amdhsa_user_sgpr_dispatch_ptr 0
		.amdhsa_user_sgpr_queue_ptr 0
		.amdhsa_user_sgpr_kernarg_segment_ptr 1
		.amdhsa_user_sgpr_dispatch_id 0
		.amdhsa_user_sgpr_flat_scratch_init 0
		.amdhsa_user_sgpr_kernarg_preload_length 0
		.amdhsa_user_sgpr_kernarg_preload_offset 0
		.amdhsa_user_sgpr_private_segment_size 0
		.amdhsa_uses_dynamic_stack 0
		.amdhsa_system_sgpr_private_segment_wavefront_offset 0
		.amdhsa_system_sgpr_workgroup_id_x 1
		.amdhsa_system_sgpr_workgroup_id_y 0
		.amdhsa_system_sgpr_workgroup_id_z 0
		.amdhsa_system_sgpr_workgroup_info 0
		.amdhsa_system_vgpr_workitem_id 0
		.amdhsa_next_free_vgpr 1
		.amdhsa_next_free_sgpr 0
		.amdhsa_accum_offset 4
		.amdhsa_reserve_vcc 0
		.amdhsa_reserve_flat_scratch 0
		.amdhsa_float_round_mode_32 0
		.amdhsa_float_round_mode_16_64 0
		.amdhsa_float_denorm_mode_32 3
		.amdhsa_float_denorm_mode_16_64 3
		.amdhsa_dx10_clamp 1
		.amdhsa_ieee_mode 1
		.amdhsa_fp16_overflow 0
		.amdhsa_tg_split 0
		.amdhsa_exception_fp_ieee_invalid_op 0
		.amdhsa_exception_fp_denorm_src 0
		.amdhsa_exception_fp_ieee_div_zero 0
		.amdhsa_exception_fp_ieee_overflow 0
		.amdhsa_exception_fp_ieee_underflow 0
		.amdhsa_exception_fp_ieee_inexact 0
		.amdhsa_exception_int_div_zero 0
	.end_amdhsa_kernel
	.section	.text._ZN7rocprim17ROCPRIM_400000_NS6detail17trampoline_kernelINS0_14default_configENS1_27scan_by_key_config_selectorIj11FixedVectorIiLj8EEEEZZNS1_16scan_by_key_implILNS1_25lookback_scan_determinismE0ELb0ES3_N6thrust23THRUST_200600_302600_NS6detail15normal_iteratorINSB_10device_ptrIjEEEENSD_INSE_IS6_EEEESI_S6_NSB_4plusIvEENSB_8equal_toIvEES6_EE10hipError_tPvRmT2_T3_T4_T5_mT6_T7_P12ihipStream_tbENKUlT_T0_E_clISt17integral_constantIbLb0EES12_IbLb1EEEEDaSY_SZ_EUlSY_E_NS1_11comp_targetILNS1_3genE10ELNS1_11target_archE1200ELNS1_3gpuE4ELNS1_3repE0EEENS1_30default_config_static_selectorELNS0_4arch9wavefront6targetE1EEEvT1_,"axG",@progbits,_ZN7rocprim17ROCPRIM_400000_NS6detail17trampoline_kernelINS0_14default_configENS1_27scan_by_key_config_selectorIj11FixedVectorIiLj8EEEEZZNS1_16scan_by_key_implILNS1_25lookback_scan_determinismE0ELb0ES3_N6thrust23THRUST_200600_302600_NS6detail15normal_iteratorINSB_10device_ptrIjEEEENSD_INSE_IS6_EEEESI_S6_NSB_4plusIvEENSB_8equal_toIvEES6_EE10hipError_tPvRmT2_T3_T4_T5_mT6_T7_P12ihipStream_tbENKUlT_T0_E_clISt17integral_constantIbLb0EES12_IbLb1EEEEDaSY_SZ_EUlSY_E_NS1_11comp_targetILNS1_3genE10ELNS1_11target_archE1200ELNS1_3gpuE4ELNS1_3repE0EEENS1_30default_config_static_selectorELNS0_4arch9wavefront6targetE1EEEvT1_,comdat
.Lfunc_end2154:
	.size	_ZN7rocprim17ROCPRIM_400000_NS6detail17trampoline_kernelINS0_14default_configENS1_27scan_by_key_config_selectorIj11FixedVectorIiLj8EEEEZZNS1_16scan_by_key_implILNS1_25lookback_scan_determinismE0ELb0ES3_N6thrust23THRUST_200600_302600_NS6detail15normal_iteratorINSB_10device_ptrIjEEEENSD_INSE_IS6_EEEESI_S6_NSB_4plusIvEENSB_8equal_toIvEES6_EE10hipError_tPvRmT2_T3_T4_T5_mT6_T7_P12ihipStream_tbENKUlT_T0_E_clISt17integral_constantIbLb0EES12_IbLb1EEEEDaSY_SZ_EUlSY_E_NS1_11comp_targetILNS1_3genE10ELNS1_11target_archE1200ELNS1_3gpuE4ELNS1_3repE0EEENS1_30default_config_static_selectorELNS0_4arch9wavefront6targetE1EEEvT1_, .Lfunc_end2154-_ZN7rocprim17ROCPRIM_400000_NS6detail17trampoline_kernelINS0_14default_configENS1_27scan_by_key_config_selectorIj11FixedVectorIiLj8EEEEZZNS1_16scan_by_key_implILNS1_25lookback_scan_determinismE0ELb0ES3_N6thrust23THRUST_200600_302600_NS6detail15normal_iteratorINSB_10device_ptrIjEEEENSD_INSE_IS6_EEEESI_S6_NSB_4plusIvEENSB_8equal_toIvEES6_EE10hipError_tPvRmT2_T3_T4_T5_mT6_T7_P12ihipStream_tbENKUlT_T0_E_clISt17integral_constantIbLb0EES12_IbLb1EEEEDaSY_SZ_EUlSY_E_NS1_11comp_targetILNS1_3genE10ELNS1_11target_archE1200ELNS1_3gpuE4ELNS1_3repE0EEENS1_30default_config_static_selectorELNS0_4arch9wavefront6targetE1EEEvT1_
                                        ; -- End function
	.section	.AMDGPU.csdata,"",@progbits
; Kernel info:
; codeLenInByte = 0
; NumSgprs: 4
; NumVgprs: 0
; NumAgprs: 0
; TotalNumVgprs: 0
; ScratchSize: 0
; MemoryBound: 0
; FloatMode: 240
; IeeeMode: 1
; LDSByteSize: 0 bytes/workgroup (compile time only)
; SGPRBlocks: 0
; VGPRBlocks: 0
; NumSGPRsForWavesPerEU: 4
; NumVGPRsForWavesPerEU: 1
; AccumOffset: 4
; Occupancy: 8
; WaveLimiterHint : 0
; COMPUTE_PGM_RSRC2:SCRATCH_EN: 0
; COMPUTE_PGM_RSRC2:USER_SGPR: 6
; COMPUTE_PGM_RSRC2:TRAP_HANDLER: 0
; COMPUTE_PGM_RSRC2:TGID_X_EN: 1
; COMPUTE_PGM_RSRC2:TGID_Y_EN: 0
; COMPUTE_PGM_RSRC2:TGID_Z_EN: 0
; COMPUTE_PGM_RSRC2:TIDIG_COMP_CNT: 0
; COMPUTE_PGM_RSRC3_GFX90A:ACCUM_OFFSET: 0
; COMPUTE_PGM_RSRC3_GFX90A:TG_SPLIT: 0
	.section	.text._ZN7rocprim17ROCPRIM_400000_NS6detail17trampoline_kernelINS0_14default_configENS1_27scan_by_key_config_selectorIj11FixedVectorIiLj8EEEEZZNS1_16scan_by_key_implILNS1_25lookback_scan_determinismE0ELb0ES3_N6thrust23THRUST_200600_302600_NS6detail15normal_iteratorINSB_10device_ptrIjEEEENSD_INSE_IS6_EEEESI_S6_NSB_4plusIvEENSB_8equal_toIvEES6_EE10hipError_tPvRmT2_T3_T4_T5_mT6_T7_P12ihipStream_tbENKUlT_T0_E_clISt17integral_constantIbLb0EES12_IbLb1EEEEDaSY_SZ_EUlSY_E_NS1_11comp_targetILNS1_3genE9ELNS1_11target_archE1100ELNS1_3gpuE3ELNS1_3repE0EEENS1_30default_config_static_selectorELNS0_4arch9wavefront6targetE1EEEvT1_,"axG",@progbits,_ZN7rocprim17ROCPRIM_400000_NS6detail17trampoline_kernelINS0_14default_configENS1_27scan_by_key_config_selectorIj11FixedVectorIiLj8EEEEZZNS1_16scan_by_key_implILNS1_25lookback_scan_determinismE0ELb0ES3_N6thrust23THRUST_200600_302600_NS6detail15normal_iteratorINSB_10device_ptrIjEEEENSD_INSE_IS6_EEEESI_S6_NSB_4plusIvEENSB_8equal_toIvEES6_EE10hipError_tPvRmT2_T3_T4_T5_mT6_T7_P12ihipStream_tbENKUlT_T0_E_clISt17integral_constantIbLb0EES12_IbLb1EEEEDaSY_SZ_EUlSY_E_NS1_11comp_targetILNS1_3genE9ELNS1_11target_archE1100ELNS1_3gpuE3ELNS1_3repE0EEENS1_30default_config_static_selectorELNS0_4arch9wavefront6targetE1EEEvT1_,comdat
	.protected	_ZN7rocprim17ROCPRIM_400000_NS6detail17trampoline_kernelINS0_14default_configENS1_27scan_by_key_config_selectorIj11FixedVectorIiLj8EEEEZZNS1_16scan_by_key_implILNS1_25lookback_scan_determinismE0ELb0ES3_N6thrust23THRUST_200600_302600_NS6detail15normal_iteratorINSB_10device_ptrIjEEEENSD_INSE_IS6_EEEESI_S6_NSB_4plusIvEENSB_8equal_toIvEES6_EE10hipError_tPvRmT2_T3_T4_T5_mT6_T7_P12ihipStream_tbENKUlT_T0_E_clISt17integral_constantIbLb0EES12_IbLb1EEEEDaSY_SZ_EUlSY_E_NS1_11comp_targetILNS1_3genE9ELNS1_11target_archE1100ELNS1_3gpuE3ELNS1_3repE0EEENS1_30default_config_static_selectorELNS0_4arch9wavefront6targetE1EEEvT1_ ; -- Begin function _ZN7rocprim17ROCPRIM_400000_NS6detail17trampoline_kernelINS0_14default_configENS1_27scan_by_key_config_selectorIj11FixedVectorIiLj8EEEEZZNS1_16scan_by_key_implILNS1_25lookback_scan_determinismE0ELb0ES3_N6thrust23THRUST_200600_302600_NS6detail15normal_iteratorINSB_10device_ptrIjEEEENSD_INSE_IS6_EEEESI_S6_NSB_4plusIvEENSB_8equal_toIvEES6_EE10hipError_tPvRmT2_T3_T4_T5_mT6_T7_P12ihipStream_tbENKUlT_T0_E_clISt17integral_constantIbLb0EES12_IbLb1EEEEDaSY_SZ_EUlSY_E_NS1_11comp_targetILNS1_3genE9ELNS1_11target_archE1100ELNS1_3gpuE3ELNS1_3repE0EEENS1_30default_config_static_selectorELNS0_4arch9wavefront6targetE1EEEvT1_
	.globl	_ZN7rocprim17ROCPRIM_400000_NS6detail17trampoline_kernelINS0_14default_configENS1_27scan_by_key_config_selectorIj11FixedVectorIiLj8EEEEZZNS1_16scan_by_key_implILNS1_25lookback_scan_determinismE0ELb0ES3_N6thrust23THRUST_200600_302600_NS6detail15normal_iteratorINSB_10device_ptrIjEEEENSD_INSE_IS6_EEEESI_S6_NSB_4plusIvEENSB_8equal_toIvEES6_EE10hipError_tPvRmT2_T3_T4_T5_mT6_T7_P12ihipStream_tbENKUlT_T0_E_clISt17integral_constantIbLb0EES12_IbLb1EEEEDaSY_SZ_EUlSY_E_NS1_11comp_targetILNS1_3genE9ELNS1_11target_archE1100ELNS1_3gpuE3ELNS1_3repE0EEENS1_30default_config_static_selectorELNS0_4arch9wavefront6targetE1EEEvT1_
	.p2align	8
	.type	_ZN7rocprim17ROCPRIM_400000_NS6detail17trampoline_kernelINS0_14default_configENS1_27scan_by_key_config_selectorIj11FixedVectorIiLj8EEEEZZNS1_16scan_by_key_implILNS1_25lookback_scan_determinismE0ELb0ES3_N6thrust23THRUST_200600_302600_NS6detail15normal_iteratorINSB_10device_ptrIjEEEENSD_INSE_IS6_EEEESI_S6_NSB_4plusIvEENSB_8equal_toIvEES6_EE10hipError_tPvRmT2_T3_T4_T5_mT6_T7_P12ihipStream_tbENKUlT_T0_E_clISt17integral_constantIbLb0EES12_IbLb1EEEEDaSY_SZ_EUlSY_E_NS1_11comp_targetILNS1_3genE9ELNS1_11target_archE1100ELNS1_3gpuE3ELNS1_3repE0EEENS1_30default_config_static_selectorELNS0_4arch9wavefront6targetE1EEEvT1_,@function
_ZN7rocprim17ROCPRIM_400000_NS6detail17trampoline_kernelINS0_14default_configENS1_27scan_by_key_config_selectorIj11FixedVectorIiLj8EEEEZZNS1_16scan_by_key_implILNS1_25lookback_scan_determinismE0ELb0ES3_N6thrust23THRUST_200600_302600_NS6detail15normal_iteratorINSB_10device_ptrIjEEEENSD_INSE_IS6_EEEESI_S6_NSB_4plusIvEENSB_8equal_toIvEES6_EE10hipError_tPvRmT2_T3_T4_T5_mT6_T7_P12ihipStream_tbENKUlT_T0_E_clISt17integral_constantIbLb0EES12_IbLb1EEEEDaSY_SZ_EUlSY_E_NS1_11comp_targetILNS1_3genE9ELNS1_11target_archE1100ELNS1_3gpuE3ELNS1_3repE0EEENS1_30default_config_static_selectorELNS0_4arch9wavefront6targetE1EEEvT1_: ; @_ZN7rocprim17ROCPRIM_400000_NS6detail17trampoline_kernelINS0_14default_configENS1_27scan_by_key_config_selectorIj11FixedVectorIiLj8EEEEZZNS1_16scan_by_key_implILNS1_25lookback_scan_determinismE0ELb0ES3_N6thrust23THRUST_200600_302600_NS6detail15normal_iteratorINSB_10device_ptrIjEEEENSD_INSE_IS6_EEEESI_S6_NSB_4plusIvEENSB_8equal_toIvEES6_EE10hipError_tPvRmT2_T3_T4_T5_mT6_T7_P12ihipStream_tbENKUlT_T0_E_clISt17integral_constantIbLb0EES12_IbLb1EEEEDaSY_SZ_EUlSY_E_NS1_11comp_targetILNS1_3genE9ELNS1_11target_archE1100ELNS1_3gpuE3ELNS1_3repE0EEENS1_30default_config_static_selectorELNS0_4arch9wavefront6targetE1EEEvT1_
; %bb.0:
	.section	.rodata,"a",@progbits
	.p2align	6, 0x0
	.amdhsa_kernel _ZN7rocprim17ROCPRIM_400000_NS6detail17trampoline_kernelINS0_14default_configENS1_27scan_by_key_config_selectorIj11FixedVectorIiLj8EEEEZZNS1_16scan_by_key_implILNS1_25lookback_scan_determinismE0ELb0ES3_N6thrust23THRUST_200600_302600_NS6detail15normal_iteratorINSB_10device_ptrIjEEEENSD_INSE_IS6_EEEESI_S6_NSB_4plusIvEENSB_8equal_toIvEES6_EE10hipError_tPvRmT2_T3_T4_T5_mT6_T7_P12ihipStream_tbENKUlT_T0_E_clISt17integral_constantIbLb0EES12_IbLb1EEEEDaSY_SZ_EUlSY_E_NS1_11comp_targetILNS1_3genE9ELNS1_11target_archE1100ELNS1_3gpuE3ELNS1_3repE0EEENS1_30default_config_static_selectorELNS0_4arch9wavefront6targetE1EEEvT1_
		.amdhsa_group_segment_fixed_size 0
		.amdhsa_private_segment_fixed_size 0
		.amdhsa_kernarg_size 160
		.amdhsa_user_sgpr_count 6
		.amdhsa_user_sgpr_private_segment_buffer 1
		.amdhsa_user_sgpr_dispatch_ptr 0
		.amdhsa_user_sgpr_queue_ptr 0
		.amdhsa_user_sgpr_kernarg_segment_ptr 1
		.amdhsa_user_sgpr_dispatch_id 0
		.amdhsa_user_sgpr_flat_scratch_init 0
		.amdhsa_user_sgpr_kernarg_preload_length 0
		.amdhsa_user_sgpr_kernarg_preload_offset 0
		.amdhsa_user_sgpr_private_segment_size 0
		.amdhsa_uses_dynamic_stack 0
		.amdhsa_system_sgpr_private_segment_wavefront_offset 0
		.amdhsa_system_sgpr_workgroup_id_x 1
		.amdhsa_system_sgpr_workgroup_id_y 0
		.amdhsa_system_sgpr_workgroup_id_z 0
		.amdhsa_system_sgpr_workgroup_info 0
		.amdhsa_system_vgpr_workitem_id 0
		.amdhsa_next_free_vgpr 1
		.amdhsa_next_free_sgpr 0
		.amdhsa_accum_offset 4
		.amdhsa_reserve_vcc 0
		.amdhsa_reserve_flat_scratch 0
		.amdhsa_float_round_mode_32 0
		.amdhsa_float_round_mode_16_64 0
		.amdhsa_float_denorm_mode_32 3
		.amdhsa_float_denorm_mode_16_64 3
		.amdhsa_dx10_clamp 1
		.amdhsa_ieee_mode 1
		.amdhsa_fp16_overflow 0
		.amdhsa_tg_split 0
		.amdhsa_exception_fp_ieee_invalid_op 0
		.amdhsa_exception_fp_denorm_src 0
		.amdhsa_exception_fp_ieee_div_zero 0
		.amdhsa_exception_fp_ieee_overflow 0
		.amdhsa_exception_fp_ieee_underflow 0
		.amdhsa_exception_fp_ieee_inexact 0
		.amdhsa_exception_int_div_zero 0
	.end_amdhsa_kernel
	.section	.text._ZN7rocprim17ROCPRIM_400000_NS6detail17trampoline_kernelINS0_14default_configENS1_27scan_by_key_config_selectorIj11FixedVectorIiLj8EEEEZZNS1_16scan_by_key_implILNS1_25lookback_scan_determinismE0ELb0ES3_N6thrust23THRUST_200600_302600_NS6detail15normal_iteratorINSB_10device_ptrIjEEEENSD_INSE_IS6_EEEESI_S6_NSB_4plusIvEENSB_8equal_toIvEES6_EE10hipError_tPvRmT2_T3_T4_T5_mT6_T7_P12ihipStream_tbENKUlT_T0_E_clISt17integral_constantIbLb0EES12_IbLb1EEEEDaSY_SZ_EUlSY_E_NS1_11comp_targetILNS1_3genE9ELNS1_11target_archE1100ELNS1_3gpuE3ELNS1_3repE0EEENS1_30default_config_static_selectorELNS0_4arch9wavefront6targetE1EEEvT1_,"axG",@progbits,_ZN7rocprim17ROCPRIM_400000_NS6detail17trampoline_kernelINS0_14default_configENS1_27scan_by_key_config_selectorIj11FixedVectorIiLj8EEEEZZNS1_16scan_by_key_implILNS1_25lookback_scan_determinismE0ELb0ES3_N6thrust23THRUST_200600_302600_NS6detail15normal_iteratorINSB_10device_ptrIjEEEENSD_INSE_IS6_EEEESI_S6_NSB_4plusIvEENSB_8equal_toIvEES6_EE10hipError_tPvRmT2_T3_T4_T5_mT6_T7_P12ihipStream_tbENKUlT_T0_E_clISt17integral_constantIbLb0EES12_IbLb1EEEEDaSY_SZ_EUlSY_E_NS1_11comp_targetILNS1_3genE9ELNS1_11target_archE1100ELNS1_3gpuE3ELNS1_3repE0EEENS1_30default_config_static_selectorELNS0_4arch9wavefront6targetE1EEEvT1_,comdat
.Lfunc_end2155:
	.size	_ZN7rocprim17ROCPRIM_400000_NS6detail17trampoline_kernelINS0_14default_configENS1_27scan_by_key_config_selectorIj11FixedVectorIiLj8EEEEZZNS1_16scan_by_key_implILNS1_25lookback_scan_determinismE0ELb0ES3_N6thrust23THRUST_200600_302600_NS6detail15normal_iteratorINSB_10device_ptrIjEEEENSD_INSE_IS6_EEEESI_S6_NSB_4plusIvEENSB_8equal_toIvEES6_EE10hipError_tPvRmT2_T3_T4_T5_mT6_T7_P12ihipStream_tbENKUlT_T0_E_clISt17integral_constantIbLb0EES12_IbLb1EEEEDaSY_SZ_EUlSY_E_NS1_11comp_targetILNS1_3genE9ELNS1_11target_archE1100ELNS1_3gpuE3ELNS1_3repE0EEENS1_30default_config_static_selectorELNS0_4arch9wavefront6targetE1EEEvT1_, .Lfunc_end2155-_ZN7rocprim17ROCPRIM_400000_NS6detail17trampoline_kernelINS0_14default_configENS1_27scan_by_key_config_selectorIj11FixedVectorIiLj8EEEEZZNS1_16scan_by_key_implILNS1_25lookback_scan_determinismE0ELb0ES3_N6thrust23THRUST_200600_302600_NS6detail15normal_iteratorINSB_10device_ptrIjEEEENSD_INSE_IS6_EEEESI_S6_NSB_4plusIvEENSB_8equal_toIvEES6_EE10hipError_tPvRmT2_T3_T4_T5_mT6_T7_P12ihipStream_tbENKUlT_T0_E_clISt17integral_constantIbLb0EES12_IbLb1EEEEDaSY_SZ_EUlSY_E_NS1_11comp_targetILNS1_3genE9ELNS1_11target_archE1100ELNS1_3gpuE3ELNS1_3repE0EEENS1_30default_config_static_selectorELNS0_4arch9wavefront6targetE1EEEvT1_
                                        ; -- End function
	.section	.AMDGPU.csdata,"",@progbits
; Kernel info:
; codeLenInByte = 0
; NumSgprs: 4
; NumVgprs: 0
; NumAgprs: 0
; TotalNumVgprs: 0
; ScratchSize: 0
; MemoryBound: 0
; FloatMode: 240
; IeeeMode: 1
; LDSByteSize: 0 bytes/workgroup (compile time only)
; SGPRBlocks: 0
; VGPRBlocks: 0
; NumSGPRsForWavesPerEU: 4
; NumVGPRsForWavesPerEU: 1
; AccumOffset: 4
; Occupancy: 8
; WaveLimiterHint : 0
; COMPUTE_PGM_RSRC2:SCRATCH_EN: 0
; COMPUTE_PGM_RSRC2:USER_SGPR: 6
; COMPUTE_PGM_RSRC2:TRAP_HANDLER: 0
; COMPUTE_PGM_RSRC2:TGID_X_EN: 1
; COMPUTE_PGM_RSRC2:TGID_Y_EN: 0
; COMPUTE_PGM_RSRC2:TGID_Z_EN: 0
; COMPUTE_PGM_RSRC2:TIDIG_COMP_CNT: 0
; COMPUTE_PGM_RSRC3_GFX90A:ACCUM_OFFSET: 0
; COMPUTE_PGM_RSRC3_GFX90A:TG_SPLIT: 0
	.section	.text._ZN7rocprim17ROCPRIM_400000_NS6detail17trampoline_kernelINS0_14default_configENS1_27scan_by_key_config_selectorIj11FixedVectorIiLj8EEEEZZNS1_16scan_by_key_implILNS1_25lookback_scan_determinismE0ELb0ES3_N6thrust23THRUST_200600_302600_NS6detail15normal_iteratorINSB_10device_ptrIjEEEENSD_INSE_IS6_EEEESI_S6_NSB_4plusIvEENSB_8equal_toIvEES6_EE10hipError_tPvRmT2_T3_T4_T5_mT6_T7_P12ihipStream_tbENKUlT_T0_E_clISt17integral_constantIbLb0EES12_IbLb1EEEEDaSY_SZ_EUlSY_E_NS1_11comp_targetILNS1_3genE8ELNS1_11target_archE1030ELNS1_3gpuE2ELNS1_3repE0EEENS1_30default_config_static_selectorELNS0_4arch9wavefront6targetE1EEEvT1_,"axG",@progbits,_ZN7rocprim17ROCPRIM_400000_NS6detail17trampoline_kernelINS0_14default_configENS1_27scan_by_key_config_selectorIj11FixedVectorIiLj8EEEEZZNS1_16scan_by_key_implILNS1_25lookback_scan_determinismE0ELb0ES3_N6thrust23THRUST_200600_302600_NS6detail15normal_iteratorINSB_10device_ptrIjEEEENSD_INSE_IS6_EEEESI_S6_NSB_4plusIvEENSB_8equal_toIvEES6_EE10hipError_tPvRmT2_T3_T4_T5_mT6_T7_P12ihipStream_tbENKUlT_T0_E_clISt17integral_constantIbLb0EES12_IbLb1EEEEDaSY_SZ_EUlSY_E_NS1_11comp_targetILNS1_3genE8ELNS1_11target_archE1030ELNS1_3gpuE2ELNS1_3repE0EEENS1_30default_config_static_selectorELNS0_4arch9wavefront6targetE1EEEvT1_,comdat
	.protected	_ZN7rocprim17ROCPRIM_400000_NS6detail17trampoline_kernelINS0_14default_configENS1_27scan_by_key_config_selectorIj11FixedVectorIiLj8EEEEZZNS1_16scan_by_key_implILNS1_25lookback_scan_determinismE0ELb0ES3_N6thrust23THRUST_200600_302600_NS6detail15normal_iteratorINSB_10device_ptrIjEEEENSD_INSE_IS6_EEEESI_S6_NSB_4plusIvEENSB_8equal_toIvEES6_EE10hipError_tPvRmT2_T3_T4_T5_mT6_T7_P12ihipStream_tbENKUlT_T0_E_clISt17integral_constantIbLb0EES12_IbLb1EEEEDaSY_SZ_EUlSY_E_NS1_11comp_targetILNS1_3genE8ELNS1_11target_archE1030ELNS1_3gpuE2ELNS1_3repE0EEENS1_30default_config_static_selectorELNS0_4arch9wavefront6targetE1EEEvT1_ ; -- Begin function _ZN7rocprim17ROCPRIM_400000_NS6detail17trampoline_kernelINS0_14default_configENS1_27scan_by_key_config_selectorIj11FixedVectorIiLj8EEEEZZNS1_16scan_by_key_implILNS1_25lookback_scan_determinismE0ELb0ES3_N6thrust23THRUST_200600_302600_NS6detail15normal_iteratorINSB_10device_ptrIjEEEENSD_INSE_IS6_EEEESI_S6_NSB_4plusIvEENSB_8equal_toIvEES6_EE10hipError_tPvRmT2_T3_T4_T5_mT6_T7_P12ihipStream_tbENKUlT_T0_E_clISt17integral_constantIbLb0EES12_IbLb1EEEEDaSY_SZ_EUlSY_E_NS1_11comp_targetILNS1_3genE8ELNS1_11target_archE1030ELNS1_3gpuE2ELNS1_3repE0EEENS1_30default_config_static_selectorELNS0_4arch9wavefront6targetE1EEEvT1_
	.globl	_ZN7rocprim17ROCPRIM_400000_NS6detail17trampoline_kernelINS0_14default_configENS1_27scan_by_key_config_selectorIj11FixedVectorIiLj8EEEEZZNS1_16scan_by_key_implILNS1_25lookback_scan_determinismE0ELb0ES3_N6thrust23THRUST_200600_302600_NS6detail15normal_iteratorINSB_10device_ptrIjEEEENSD_INSE_IS6_EEEESI_S6_NSB_4plusIvEENSB_8equal_toIvEES6_EE10hipError_tPvRmT2_T3_T4_T5_mT6_T7_P12ihipStream_tbENKUlT_T0_E_clISt17integral_constantIbLb0EES12_IbLb1EEEEDaSY_SZ_EUlSY_E_NS1_11comp_targetILNS1_3genE8ELNS1_11target_archE1030ELNS1_3gpuE2ELNS1_3repE0EEENS1_30default_config_static_selectorELNS0_4arch9wavefront6targetE1EEEvT1_
	.p2align	8
	.type	_ZN7rocprim17ROCPRIM_400000_NS6detail17trampoline_kernelINS0_14default_configENS1_27scan_by_key_config_selectorIj11FixedVectorIiLj8EEEEZZNS1_16scan_by_key_implILNS1_25lookback_scan_determinismE0ELb0ES3_N6thrust23THRUST_200600_302600_NS6detail15normal_iteratorINSB_10device_ptrIjEEEENSD_INSE_IS6_EEEESI_S6_NSB_4plusIvEENSB_8equal_toIvEES6_EE10hipError_tPvRmT2_T3_T4_T5_mT6_T7_P12ihipStream_tbENKUlT_T0_E_clISt17integral_constantIbLb0EES12_IbLb1EEEEDaSY_SZ_EUlSY_E_NS1_11comp_targetILNS1_3genE8ELNS1_11target_archE1030ELNS1_3gpuE2ELNS1_3repE0EEENS1_30default_config_static_selectorELNS0_4arch9wavefront6targetE1EEEvT1_,@function
_ZN7rocprim17ROCPRIM_400000_NS6detail17trampoline_kernelINS0_14default_configENS1_27scan_by_key_config_selectorIj11FixedVectorIiLj8EEEEZZNS1_16scan_by_key_implILNS1_25lookback_scan_determinismE0ELb0ES3_N6thrust23THRUST_200600_302600_NS6detail15normal_iteratorINSB_10device_ptrIjEEEENSD_INSE_IS6_EEEESI_S6_NSB_4plusIvEENSB_8equal_toIvEES6_EE10hipError_tPvRmT2_T3_T4_T5_mT6_T7_P12ihipStream_tbENKUlT_T0_E_clISt17integral_constantIbLb0EES12_IbLb1EEEEDaSY_SZ_EUlSY_E_NS1_11comp_targetILNS1_3genE8ELNS1_11target_archE1030ELNS1_3gpuE2ELNS1_3repE0EEENS1_30default_config_static_selectorELNS0_4arch9wavefront6targetE1EEEvT1_: ; @_ZN7rocprim17ROCPRIM_400000_NS6detail17trampoline_kernelINS0_14default_configENS1_27scan_by_key_config_selectorIj11FixedVectorIiLj8EEEEZZNS1_16scan_by_key_implILNS1_25lookback_scan_determinismE0ELb0ES3_N6thrust23THRUST_200600_302600_NS6detail15normal_iteratorINSB_10device_ptrIjEEEENSD_INSE_IS6_EEEESI_S6_NSB_4plusIvEENSB_8equal_toIvEES6_EE10hipError_tPvRmT2_T3_T4_T5_mT6_T7_P12ihipStream_tbENKUlT_T0_E_clISt17integral_constantIbLb0EES12_IbLb1EEEEDaSY_SZ_EUlSY_E_NS1_11comp_targetILNS1_3genE8ELNS1_11target_archE1030ELNS1_3gpuE2ELNS1_3repE0EEENS1_30default_config_static_selectorELNS0_4arch9wavefront6targetE1EEEvT1_
; %bb.0:
	.section	.rodata,"a",@progbits
	.p2align	6, 0x0
	.amdhsa_kernel _ZN7rocprim17ROCPRIM_400000_NS6detail17trampoline_kernelINS0_14default_configENS1_27scan_by_key_config_selectorIj11FixedVectorIiLj8EEEEZZNS1_16scan_by_key_implILNS1_25lookback_scan_determinismE0ELb0ES3_N6thrust23THRUST_200600_302600_NS6detail15normal_iteratorINSB_10device_ptrIjEEEENSD_INSE_IS6_EEEESI_S6_NSB_4plusIvEENSB_8equal_toIvEES6_EE10hipError_tPvRmT2_T3_T4_T5_mT6_T7_P12ihipStream_tbENKUlT_T0_E_clISt17integral_constantIbLb0EES12_IbLb1EEEEDaSY_SZ_EUlSY_E_NS1_11comp_targetILNS1_3genE8ELNS1_11target_archE1030ELNS1_3gpuE2ELNS1_3repE0EEENS1_30default_config_static_selectorELNS0_4arch9wavefront6targetE1EEEvT1_
		.amdhsa_group_segment_fixed_size 0
		.amdhsa_private_segment_fixed_size 0
		.amdhsa_kernarg_size 160
		.amdhsa_user_sgpr_count 6
		.amdhsa_user_sgpr_private_segment_buffer 1
		.amdhsa_user_sgpr_dispatch_ptr 0
		.amdhsa_user_sgpr_queue_ptr 0
		.amdhsa_user_sgpr_kernarg_segment_ptr 1
		.amdhsa_user_sgpr_dispatch_id 0
		.amdhsa_user_sgpr_flat_scratch_init 0
		.amdhsa_user_sgpr_kernarg_preload_length 0
		.amdhsa_user_sgpr_kernarg_preload_offset 0
		.amdhsa_user_sgpr_private_segment_size 0
		.amdhsa_uses_dynamic_stack 0
		.amdhsa_system_sgpr_private_segment_wavefront_offset 0
		.amdhsa_system_sgpr_workgroup_id_x 1
		.amdhsa_system_sgpr_workgroup_id_y 0
		.amdhsa_system_sgpr_workgroup_id_z 0
		.amdhsa_system_sgpr_workgroup_info 0
		.amdhsa_system_vgpr_workitem_id 0
		.amdhsa_next_free_vgpr 1
		.amdhsa_next_free_sgpr 0
		.amdhsa_accum_offset 4
		.amdhsa_reserve_vcc 0
		.amdhsa_reserve_flat_scratch 0
		.amdhsa_float_round_mode_32 0
		.amdhsa_float_round_mode_16_64 0
		.amdhsa_float_denorm_mode_32 3
		.amdhsa_float_denorm_mode_16_64 3
		.amdhsa_dx10_clamp 1
		.amdhsa_ieee_mode 1
		.amdhsa_fp16_overflow 0
		.amdhsa_tg_split 0
		.amdhsa_exception_fp_ieee_invalid_op 0
		.amdhsa_exception_fp_denorm_src 0
		.amdhsa_exception_fp_ieee_div_zero 0
		.amdhsa_exception_fp_ieee_overflow 0
		.amdhsa_exception_fp_ieee_underflow 0
		.amdhsa_exception_fp_ieee_inexact 0
		.amdhsa_exception_int_div_zero 0
	.end_amdhsa_kernel
	.section	.text._ZN7rocprim17ROCPRIM_400000_NS6detail17trampoline_kernelINS0_14default_configENS1_27scan_by_key_config_selectorIj11FixedVectorIiLj8EEEEZZNS1_16scan_by_key_implILNS1_25lookback_scan_determinismE0ELb0ES3_N6thrust23THRUST_200600_302600_NS6detail15normal_iteratorINSB_10device_ptrIjEEEENSD_INSE_IS6_EEEESI_S6_NSB_4plusIvEENSB_8equal_toIvEES6_EE10hipError_tPvRmT2_T3_T4_T5_mT6_T7_P12ihipStream_tbENKUlT_T0_E_clISt17integral_constantIbLb0EES12_IbLb1EEEEDaSY_SZ_EUlSY_E_NS1_11comp_targetILNS1_3genE8ELNS1_11target_archE1030ELNS1_3gpuE2ELNS1_3repE0EEENS1_30default_config_static_selectorELNS0_4arch9wavefront6targetE1EEEvT1_,"axG",@progbits,_ZN7rocprim17ROCPRIM_400000_NS6detail17trampoline_kernelINS0_14default_configENS1_27scan_by_key_config_selectorIj11FixedVectorIiLj8EEEEZZNS1_16scan_by_key_implILNS1_25lookback_scan_determinismE0ELb0ES3_N6thrust23THRUST_200600_302600_NS6detail15normal_iteratorINSB_10device_ptrIjEEEENSD_INSE_IS6_EEEESI_S6_NSB_4plusIvEENSB_8equal_toIvEES6_EE10hipError_tPvRmT2_T3_T4_T5_mT6_T7_P12ihipStream_tbENKUlT_T0_E_clISt17integral_constantIbLb0EES12_IbLb1EEEEDaSY_SZ_EUlSY_E_NS1_11comp_targetILNS1_3genE8ELNS1_11target_archE1030ELNS1_3gpuE2ELNS1_3repE0EEENS1_30default_config_static_selectorELNS0_4arch9wavefront6targetE1EEEvT1_,comdat
.Lfunc_end2156:
	.size	_ZN7rocprim17ROCPRIM_400000_NS6detail17trampoline_kernelINS0_14default_configENS1_27scan_by_key_config_selectorIj11FixedVectorIiLj8EEEEZZNS1_16scan_by_key_implILNS1_25lookback_scan_determinismE0ELb0ES3_N6thrust23THRUST_200600_302600_NS6detail15normal_iteratorINSB_10device_ptrIjEEEENSD_INSE_IS6_EEEESI_S6_NSB_4plusIvEENSB_8equal_toIvEES6_EE10hipError_tPvRmT2_T3_T4_T5_mT6_T7_P12ihipStream_tbENKUlT_T0_E_clISt17integral_constantIbLb0EES12_IbLb1EEEEDaSY_SZ_EUlSY_E_NS1_11comp_targetILNS1_3genE8ELNS1_11target_archE1030ELNS1_3gpuE2ELNS1_3repE0EEENS1_30default_config_static_selectorELNS0_4arch9wavefront6targetE1EEEvT1_, .Lfunc_end2156-_ZN7rocprim17ROCPRIM_400000_NS6detail17trampoline_kernelINS0_14default_configENS1_27scan_by_key_config_selectorIj11FixedVectorIiLj8EEEEZZNS1_16scan_by_key_implILNS1_25lookback_scan_determinismE0ELb0ES3_N6thrust23THRUST_200600_302600_NS6detail15normal_iteratorINSB_10device_ptrIjEEEENSD_INSE_IS6_EEEESI_S6_NSB_4plusIvEENSB_8equal_toIvEES6_EE10hipError_tPvRmT2_T3_T4_T5_mT6_T7_P12ihipStream_tbENKUlT_T0_E_clISt17integral_constantIbLb0EES12_IbLb1EEEEDaSY_SZ_EUlSY_E_NS1_11comp_targetILNS1_3genE8ELNS1_11target_archE1030ELNS1_3gpuE2ELNS1_3repE0EEENS1_30default_config_static_selectorELNS0_4arch9wavefront6targetE1EEEvT1_
                                        ; -- End function
	.section	.AMDGPU.csdata,"",@progbits
; Kernel info:
; codeLenInByte = 0
; NumSgprs: 4
; NumVgprs: 0
; NumAgprs: 0
; TotalNumVgprs: 0
; ScratchSize: 0
; MemoryBound: 0
; FloatMode: 240
; IeeeMode: 1
; LDSByteSize: 0 bytes/workgroup (compile time only)
; SGPRBlocks: 0
; VGPRBlocks: 0
; NumSGPRsForWavesPerEU: 4
; NumVGPRsForWavesPerEU: 1
; AccumOffset: 4
; Occupancy: 8
; WaveLimiterHint : 0
; COMPUTE_PGM_RSRC2:SCRATCH_EN: 0
; COMPUTE_PGM_RSRC2:USER_SGPR: 6
; COMPUTE_PGM_RSRC2:TRAP_HANDLER: 0
; COMPUTE_PGM_RSRC2:TGID_X_EN: 1
; COMPUTE_PGM_RSRC2:TGID_Y_EN: 0
; COMPUTE_PGM_RSRC2:TGID_Z_EN: 0
; COMPUTE_PGM_RSRC2:TIDIG_COMP_CNT: 0
; COMPUTE_PGM_RSRC3_GFX90A:ACCUM_OFFSET: 0
; COMPUTE_PGM_RSRC3_GFX90A:TG_SPLIT: 0
	.section	.text._ZN7rocprim17ROCPRIM_400000_NS6detail17trampoline_kernelINS0_14default_configENS1_27scan_by_key_config_selectorIj11FixedVectorIiLj8EEEEZZNS1_16scan_by_key_implILNS1_25lookback_scan_determinismE0ELb1ES3_N6thrust23THRUST_200600_302600_NS6detail15normal_iteratorINSB_10device_ptrIjEEEENSD_INSE_IS6_EEEESI_S6_NSB_4plusIvEENSB_8equal_toIvEES6_EE10hipError_tPvRmT2_T3_T4_T5_mT6_T7_P12ihipStream_tbENKUlT_T0_E_clISt17integral_constantIbLb0EES13_EEDaSY_SZ_EUlSY_E_NS1_11comp_targetILNS1_3genE0ELNS1_11target_archE4294967295ELNS1_3gpuE0ELNS1_3repE0EEENS1_30default_config_static_selectorELNS0_4arch9wavefront6targetE1EEEvT1_,"axG",@progbits,_ZN7rocprim17ROCPRIM_400000_NS6detail17trampoline_kernelINS0_14default_configENS1_27scan_by_key_config_selectorIj11FixedVectorIiLj8EEEEZZNS1_16scan_by_key_implILNS1_25lookback_scan_determinismE0ELb1ES3_N6thrust23THRUST_200600_302600_NS6detail15normal_iteratorINSB_10device_ptrIjEEEENSD_INSE_IS6_EEEESI_S6_NSB_4plusIvEENSB_8equal_toIvEES6_EE10hipError_tPvRmT2_T3_T4_T5_mT6_T7_P12ihipStream_tbENKUlT_T0_E_clISt17integral_constantIbLb0EES13_EEDaSY_SZ_EUlSY_E_NS1_11comp_targetILNS1_3genE0ELNS1_11target_archE4294967295ELNS1_3gpuE0ELNS1_3repE0EEENS1_30default_config_static_selectorELNS0_4arch9wavefront6targetE1EEEvT1_,comdat
	.protected	_ZN7rocprim17ROCPRIM_400000_NS6detail17trampoline_kernelINS0_14default_configENS1_27scan_by_key_config_selectorIj11FixedVectorIiLj8EEEEZZNS1_16scan_by_key_implILNS1_25lookback_scan_determinismE0ELb1ES3_N6thrust23THRUST_200600_302600_NS6detail15normal_iteratorINSB_10device_ptrIjEEEENSD_INSE_IS6_EEEESI_S6_NSB_4plusIvEENSB_8equal_toIvEES6_EE10hipError_tPvRmT2_T3_T4_T5_mT6_T7_P12ihipStream_tbENKUlT_T0_E_clISt17integral_constantIbLb0EES13_EEDaSY_SZ_EUlSY_E_NS1_11comp_targetILNS1_3genE0ELNS1_11target_archE4294967295ELNS1_3gpuE0ELNS1_3repE0EEENS1_30default_config_static_selectorELNS0_4arch9wavefront6targetE1EEEvT1_ ; -- Begin function _ZN7rocprim17ROCPRIM_400000_NS6detail17trampoline_kernelINS0_14default_configENS1_27scan_by_key_config_selectorIj11FixedVectorIiLj8EEEEZZNS1_16scan_by_key_implILNS1_25lookback_scan_determinismE0ELb1ES3_N6thrust23THRUST_200600_302600_NS6detail15normal_iteratorINSB_10device_ptrIjEEEENSD_INSE_IS6_EEEESI_S6_NSB_4plusIvEENSB_8equal_toIvEES6_EE10hipError_tPvRmT2_T3_T4_T5_mT6_T7_P12ihipStream_tbENKUlT_T0_E_clISt17integral_constantIbLb0EES13_EEDaSY_SZ_EUlSY_E_NS1_11comp_targetILNS1_3genE0ELNS1_11target_archE4294967295ELNS1_3gpuE0ELNS1_3repE0EEENS1_30default_config_static_selectorELNS0_4arch9wavefront6targetE1EEEvT1_
	.globl	_ZN7rocprim17ROCPRIM_400000_NS6detail17trampoline_kernelINS0_14default_configENS1_27scan_by_key_config_selectorIj11FixedVectorIiLj8EEEEZZNS1_16scan_by_key_implILNS1_25lookback_scan_determinismE0ELb1ES3_N6thrust23THRUST_200600_302600_NS6detail15normal_iteratorINSB_10device_ptrIjEEEENSD_INSE_IS6_EEEESI_S6_NSB_4plusIvEENSB_8equal_toIvEES6_EE10hipError_tPvRmT2_T3_T4_T5_mT6_T7_P12ihipStream_tbENKUlT_T0_E_clISt17integral_constantIbLb0EES13_EEDaSY_SZ_EUlSY_E_NS1_11comp_targetILNS1_3genE0ELNS1_11target_archE4294967295ELNS1_3gpuE0ELNS1_3repE0EEENS1_30default_config_static_selectorELNS0_4arch9wavefront6targetE1EEEvT1_
	.p2align	8
	.type	_ZN7rocprim17ROCPRIM_400000_NS6detail17trampoline_kernelINS0_14default_configENS1_27scan_by_key_config_selectorIj11FixedVectorIiLj8EEEEZZNS1_16scan_by_key_implILNS1_25lookback_scan_determinismE0ELb1ES3_N6thrust23THRUST_200600_302600_NS6detail15normal_iteratorINSB_10device_ptrIjEEEENSD_INSE_IS6_EEEESI_S6_NSB_4plusIvEENSB_8equal_toIvEES6_EE10hipError_tPvRmT2_T3_T4_T5_mT6_T7_P12ihipStream_tbENKUlT_T0_E_clISt17integral_constantIbLb0EES13_EEDaSY_SZ_EUlSY_E_NS1_11comp_targetILNS1_3genE0ELNS1_11target_archE4294967295ELNS1_3gpuE0ELNS1_3repE0EEENS1_30default_config_static_selectorELNS0_4arch9wavefront6targetE1EEEvT1_,@function
_ZN7rocprim17ROCPRIM_400000_NS6detail17trampoline_kernelINS0_14default_configENS1_27scan_by_key_config_selectorIj11FixedVectorIiLj8EEEEZZNS1_16scan_by_key_implILNS1_25lookback_scan_determinismE0ELb1ES3_N6thrust23THRUST_200600_302600_NS6detail15normal_iteratorINSB_10device_ptrIjEEEENSD_INSE_IS6_EEEESI_S6_NSB_4plusIvEENSB_8equal_toIvEES6_EE10hipError_tPvRmT2_T3_T4_T5_mT6_T7_P12ihipStream_tbENKUlT_T0_E_clISt17integral_constantIbLb0EES13_EEDaSY_SZ_EUlSY_E_NS1_11comp_targetILNS1_3genE0ELNS1_11target_archE4294967295ELNS1_3gpuE0ELNS1_3repE0EEENS1_30default_config_static_selectorELNS0_4arch9wavefront6targetE1EEEvT1_: ; @_ZN7rocprim17ROCPRIM_400000_NS6detail17trampoline_kernelINS0_14default_configENS1_27scan_by_key_config_selectorIj11FixedVectorIiLj8EEEEZZNS1_16scan_by_key_implILNS1_25lookback_scan_determinismE0ELb1ES3_N6thrust23THRUST_200600_302600_NS6detail15normal_iteratorINSB_10device_ptrIjEEEENSD_INSE_IS6_EEEESI_S6_NSB_4plusIvEENSB_8equal_toIvEES6_EE10hipError_tPvRmT2_T3_T4_T5_mT6_T7_P12ihipStream_tbENKUlT_T0_E_clISt17integral_constantIbLb0EES13_EEDaSY_SZ_EUlSY_E_NS1_11comp_targetILNS1_3genE0ELNS1_11target_archE4294967295ELNS1_3gpuE0ELNS1_3repE0EEENS1_30default_config_static_selectorELNS0_4arch9wavefront6targetE1EEEvT1_
; %bb.0:
	.section	.rodata,"a",@progbits
	.p2align	6, 0x0
	.amdhsa_kernel _ZN7rocprim17ROCPRIM_400000_NS6detail17trampoline_kernelINS0_14default_configENS1_27scan_by_key_config_selectorIj11FixedVectorIiLj8EEEEZZNS1_16scan_by_key_implILNS1_25lookback_scan_determinismE0ELb1ES3_N6thrust23THRUST_200600_302600_NS6detail15normal_iteratorINSB_10device_ptrIjEEEENSD_INSE_IS6_EEEESI_S6_NSB_4plusIvEENSB_8equal_toIvEES6_EE10hipError_tPvRmT2_T3_T4_T5_mT6_T7_P12ihipStream_tbENKUlT_T0_E_clISt17integral_constantIbLb0EES13_EEDaSY_SZ_EUlSY_E_NS1_11comp_targetILNS1_3genE0ELNS1_11target_archE4294967295ELNS1_3gpuE0ELNS1_3repE0EEENS1_30default_config_static_selectorELNS0_4arch9wavefront6targetE1EEEvT1_
		.amdhsa_group_segment_fixed_size 0
		.amdhsa_private_segment_fixed_size 0
		.amdhsa_kernarg_size 160
		.amdhsa_user_sgpr_count 6
		.amdhsa_user_sgpr_private_segment_buffer 1
		.amdhsa_user_sgpr_dispatch_ptr 0
		.amdhsa_user_sgpr_queue_ptr 0
		.amdhsa_user_sgpr_kernarg_segment_ptr 1
		.amdhsa_user_sgpr_dispatch_id 0
		.amdhsa_user_sgpr_flat_scratch_init 0
		.amdhsa_user_sgpr_kernarg_preload_length 0
		.amdhsa_user_sgpr_kernarg_preload_offset 0
		.amdhsa_user_sgpr_private_segment_size 0
		.amdhsa_uses_dynamic_stack 0
		.amdhsa_system_sgpr_private_segment_wavefront_offset 0
		.amdhsa_system_sgpr_workgroup_id_x 1
		.amdhsa_system_sgpr_workgroup_id_y 0
		.amdhsa_system_sgpr_workgroup_id_z 0
		.amdhsa_system_sgpr_workgroup_info 0
		.amdhsa_system_vgpr_workitem_id 0
		.amdhsa_next_free_vgpr 1
		.amdhsa_next_free_sgpr 0
		.amdhsa_accum_offset 4
		.amdhsa_reserve_vcc 0
		.amdhsa_reserve_flat_scratch 0
		.amdhsa_float_round_mode_32 0
		.amdhsa_float_round_mode_16_64 0
		.amdhsa_float_denorm_mode_32 3
		.amdhsa_float_denorm_mode_16_64 3
		.amdhsa_dx10_clamp 1
		.amdhsa_ieee_mode 1
		.amdhsa_fp16_overflow 0
		.amdhsa_tg_split 0
		.amdhsa_exception_fp_ieee_invalid_op 0
		.amdhsa_exception_fp_denorm_src 0
		.amdhsa_exception_fp_ieee_div_zero 0
		.amdhsa_exception_fp_ieee_overflow 0
		.amdhsa_exception_fp_ieee_underflow 0
		.amdhsa_exception_fp_ieee_inexact 0
		.amdhsa_exception_int_div_zero 0
	.end_amdhsa_kernel
	.section	.text._ZN7rocprim17ROCPRIM_400000_NS6detail17trampoline_kernelINS0_14default_configENS1_27scan_by_key_config_selectorIj11FixedVectorIiLj8EEEEZZNS1_16scan_by_key_implILNS1_25lookback_scan_determinismE0ELb1ES3_N6thrust23THRUST_200600_302600_NS6detail15normal_iteratorINSB_10device_ptrIjEEEENSD_INSE_IS6_EEEESI_S6_NSB_4plusIvEENSB_8equal_toIvEES6_EE10hipError_tPvRmT2_T3_T4_T5_mT6_T7_P12ihipStream_tbENKUlT_T0_E_clISt17integral_constantIbLb0EES13_EEDaSY_SZ_EUlSY_E_NS1_11comp_targetILNS1_3genE0ELNS1_11target_archE4294967295ELNS1_3gpuE0ELNS1_3repE0EEENS1_30default_config_static_selectorELNS0_4arch9wavefront6targetE1EEEvT1_,"axG",@progbits,_ZN7rocprim17ROCPRIM_400000_NS6detail17trampoline_kernelINS0_14default_configENS1_27scan_by_key_config_selectorIj11FixedVectorIiLj8EEEEZZNS1_16scan_by_key_implILNS1_25lookback_scan_determinismE0ELb1ES3_N6thrust23THRUST_200600_302600_NS6detail15normal_iteratorINSB_10device_ptrIjEEEENSD_INSE_IS6_EEEESI_S6_NSB_4plusIvEENSB_8equal_toIvEES6_EE10hipError_tPvRmT2_T3_T4_T5_mT6_T7_P12ihipStream_tbENKUlT_T0_E_clISt17integral_constantIbLb0EES13_EEDaSY_SZ_EUlSY_E_NS1_11comp_targetILNS1_3genE0ELNS1_11target_archE4294967295ELNS1_3gpuE0ELNS1_3repE0EEENS1_30default_config_static_selectorELNS0_4arch9wavefront6targetE1EEEvT1_,comdat
.Lfunc_end2157:
	.size	_ZN7rocprim17ROCPRIM_400000_NS6detail17trampoline_kernelINS0_14default_configENS1_27scan_by_key_config_selectorIj11FixedVectorIiLj8EEEEZZNS1_16scan_by_key_implILNS1_25lookback_scan_determinismE0ELb1ES3_N6thrust23THRUST_200600_302600_NS6detail15normal_iteratorINSB_10device_ptrIjEEEENSD_INSE_IS6_EEEESI_S6_NSB_4plusIvEENSB_8equal_toIvEES6_EE10hipError_tPvRmT2_T3_T4_T5_mT6_T7_P12ihipStream_tbENKUlT_T0_E_clISt17integral_constantIbLb0EES13_EEDaSY_SZ_EUlSY_E_NS1_11comp_targetILNS1_3genE0ELNS1_11target_archE4294967295ELNS1_3gpuE0ELNS1_3repE0EEENS1_30default_config_static_selectorELNS0_4arch9wavefront6targetE1EEEvT1_, .Lfunc_end2157-_ZN7rocprim17ROCPRIM_400000_NS6detail17trampoline_kernelINS0_14default_configENS1_27scan_by_key_config_selectorIj11FixedVectorIiLj8EEEEZZNS1_16scan_by_key_implILNS1_25lookback_scan_determinismE0ELb1ES3_N6thrust23THRUST_200600_302600_NS6detail15normal_iteratorINSB_10device_ptrIjEEEENSD_INSE_IS6_EEEESI_S6_NSB_4plusIvEENSB_8equal_toIvEES6_EE10hipError_tPvRmT2_T3_T4_T5_mT6_T7_P12ihipStream_tbENKUlT_T0_E_clISt17integral_constantIbLb0EES13_EEDaSY_SZ_EUlSY_E_NS1_11comp_targetILNS1_3genE0ELNS1_11target_archE4294967295ELNS1_3gpuE0ELNS1_3repE0EEENS1_30default_config_static_selectorELNS0_4arch9wavefront6targetE1EEEvT1_
                                        ; -- End function
	.section	.AMDGPU.csdata,"",@progbits
; Kernel info:
; codeLenInByte = 0
; NumSgprs: 4
; NumVgprs: 0
; NumAgprs: 0
; TotalNumVgprs: 0
; ScratchSize: 0
; MemoryBound: 0
; FloatMode: 240
; IeeeMode: 1
; LDSByteSize: 0 bytes/workgroup (compile time only)
; SGPRBlocks: 0
; VGPRBlocks: 0
; NumSGPRsForWavesPerEU: 4
; NumVGPRsForWavesPerEU: 1
; AccumOffset: 4
; Occupancy: 8
; WaveLimiterHint : 0
; COMPUTE_PGM_RSRC2:SCRATCH_EN: 0
; COMPUTE_PGM_RSRC2:USER_SGPR: 6
; COMPUTE_PGM_RSRC2:TRAP_HANDLER: 0
; COMPUTE_PGM_RSRC2:TGID_X_EN: 1
; COMPUTE_PGM_RSRC2:TGID_Y_EN: 0
; COMPUTE_PGM_RSRC2:TGID_Z_EN: 0
; COMPUTE_PGM_RSRC2:TIDIG_COMP_CNT: 0
; COMPUTE_PGM_RSRC3_GFX90A:ACCUM_OFFSET: 0
; COMPUTE_PGM_RSRC3_GFX90A:TG_SPLIT: 0
	.section	.text._ZN7rocprim17ROCPRIM_400000_NS6detail17trampoline_kernelINS0_14default_configENS1_27scan_by_key_config_selectorIj11FixedVectorIiLj8EEEEZZNS1_16scan_by_key_implILNS1_25lookback_scan_determinismE0ELb1ES3_N6thrust23THRUST_200600_302600_NS6detail15normal_iteratorINSB_10device_ptrIjEEEENSD_INSE_IS6_EEEESI_S6_NSB_4plusIvEENSB_8equal_toIvEES6_EE10hipError_tPvRmT2_T3_T4_T5_mT6_T7_P12ihipStream_tbENKUlT_T0_E_clISt17integral_constantIbLb0EES13_EEDaSY_SZ_EUlSY_E_NS1_11comp_targetILNS1_3genE10ELNS1_11target_archE1201ELNS1_3gpuE5ELNS1_3repE0EEENS1_30default_config_static_selectorELNS0_4arch9wavefront6targetE1EEEvT1_,"axG",@progbits,_ZN7rocprim17ROCPRIM_400000_NS6detail17trampoline_kernelINS0_14default_configENS1_27scan_by_key_config_selectorIj11FixedVectorIiLj8EEEEZZNS1_16scan_by_key_implILNS1_25lookback_scan_determinismE0ELb1ES3_N6thrust23THRUST_200600_302600_NS6detail15normal_iteratorINSB_10device_ptrIjEEEENSD_INSE_IS6_EEEESI_S6_NSB_4plusIvEENSB_8equal_toIvEES6_EE10hipError_tPvRmT2_T3_T4_T5_mT6_T7_P12ihipStream_tbENKUlT_T0_E_clISt17integral_constantIbLb0EES13_EEDaSY_SZ_EUlSY_E_NS1_11comp_targetILNS1_3genE10ELNS1_11target_archE1201ELNS1_3gpuE5ELNS1_3repE0EEENS1_30default_config_static_selectorELNS0_4arch9wavefront6targetE1EEEvT1_,comdat
	.protected	_ZN7rocprim17ROCPRIM_400000_NS6detail17trampoline_kernelINS0_14default_configENS1_27scan_by_key_config_selectorIj11FixedVectorIiLj8EEEEZZNS1_16scan_by_key_implILNS1_25lookback_scan_determinismE0ELb1ES3_N6thrust23THRUST_200600_302600_NS6detail15normal_iteratorINSB_10device_ptrIjEEEENSD_INSE_IS6_EEEESI_S6_NSB_4plusIvEENSB_8equal_toIvEES6_EE10hipError_tPvRmT2_T3_T4_T5_mT6_T7_P12ihipStream_tbENKUlT_T0_E_clISt17integral_constantIbLb0EES13_EEDaSY_SZ_EUlSY_E_NS1_11comp_targetILNS1_3genE10ELNS1_11target_archE1201ELNS1_3gpuE5ELNS1_3repE0EEENS1_30default_config_static_selectorELNS0_4arch9wavefront6targetE1EEEvT1_ ; -- Begin function _ZN7rocprim17ROCPRIM_400000_NS6detail17trampoline_kernelINS0_14default_configENS1_27scan_by_key_config_selectorIj11FixedVectorIiLj8EEEEZZNS1_16scan_by_key_implILNS1_25lookback_scan_determinismE0ELb1ES3_N6thrust23THRUST_200600_302600_NS6detail15normal_iteratorINSB_10device_ptrIjEEEENSD_INSE_IS6_EEEESI_S6_NSB_4plusIvEENSB_8equal_toIvEES6_EE10hipError_tPvRmT2_T3_T4_T5_mT6_T7_P12ihipStream_tbENKUlT_T0_E_clISt17integral_constantIbLb0EES13_EEDaSY_SZ_EUlSY_E_NS1_11comp_targetILNS1_3genE10ELNS1_11target_archE1201ELNS1_3gpuE5ELNS1_3repE0EEENS1_30default_config_static_selectorELNS0_4arch9wavefront6targetE1EEEvT1_
	.globl	_ZN7rocprim17ROCPRIM_400000_NS6detail17trampoline_kernelINS0_14default_configENS1_27scan_by_key_config_selectorIj11FixedVectorIiLj8EEEEZZNS1_16scan_by_key_implILNS1_25lookback_scan_determinismE0ELb1ES3_N6thrust23THRUST_200600_302600_NS6detail15normal_iteratorINSB_10device_ptrIjEEEENSD_INSE_IS6_EEEESI_S6_NSB_4plusIvEENSB_8equal_toIvEES6_EE10hipError_tPvRmT2_T3_T4_T5_mT6_T7_P12ihipStream_tbENKUlT_T0_E_clISt17integral_constantIbLb0EES13_EEDaSY_SZ_EUlSY_E_NS1_11comp_targetILNS1_3genE10ELNS1_11target_archE1201ELNS1_3gpuE5ELNS1_3repE0EEENS1_30default_config_static_selectorELNS0_4arch9wavefront6targetE1EEEvT1_
	.p2align	8
	.type	_ZN7rocprim17ROCPRIM_400000_NS6detail17trampoline_kernelINS0_14default_configENS1_27scan_by_key_config_selectorIj11FixedVectorIiLj8EEEEZZNS1_16scan_by_key_implILNS1_25lookback_scan_determinismE0ELb1ES3_N6thrust23THRUST_200600_302600_NS6detail15normal_iteratorINSB_10device_ptrIjEEEENSD_INSE_IS6_EEEESI_S6_NSB_4plusIvEENSB_8equal_toIvEES6_EE10hipError_tPvRmT2_T3_T4_T5_mT6_T7_P12ihipStream_tbENKUlT_T0_E_clISt17integral_constantIbLb0EES13_EEDaSY_SZ_EUlSY_E_NS1_11comp_targetILNS1_3genE10ELNS1_11target_archE1201ELNS1_3gpuE5ELNS1_3repE0EEENS1_30default_config_static_selectorELNS0_4arch9wavefront6targetE1EEEvT1_,@function
_ZN7rocprim17ROCPRIM_400000_NS6detail17trampoline_kernelINS0_14default_configENS1_27scan_by_key_config_selectorIj11FixedVectorIiLj8EEEEZZNS1_16scan_by_key_implILNS1_25lookback_scan_determinismE0ELb1ES3_N6thrust23THRUST_200600_302600_NS6detail15normal_iteratorINSB_10device_ptrIjEEEENSD_INSE_IS6_EEEESI_S6_NSB_4plusIvEENSB_8equal_toIvEES6_EE10hipError_tPvRmT2_T3_T4_T5_mT6_T7_P12ihipStream_tbENKUlT_T0_E_clISt17integral_constantIbLb0EES13_EEDaSY_SZ_EUlSY_E_NS1_11comp_targetILNS1_3genE10ELNS1_11target_archE1201ELNS1_3gpuE5ELNS1_3repE0EEENS1_30default_config_static_selectorELNS0_4arch9wavefront6targetE1EEEvT1_: ; @_ZN7rocprim17ROCPRIM_400000_NS6detail17trampoline_kernelINS0_14default_configENS1_27scan_by_key_config_selectorIj11FixedVectorIiLj8EEEEZZNS1_16scan_by_key_implILNS1_25lookback_scan_determinismE0ELb1ES3_N6thrust23THRUST_200600_302600_NS6detail15normal_iteratorINSB_10device_ptrIjEEEENSD_INSE_IS6_EEEESI_S6_NSB_4plusIvEENSB_8equal_toIvEES6_EE10hipError_tPvRmT2_T3_T4_T5_mT6_T7_P12ihipStream_tbENKUlT_T0_E_clISt17integral_constantIbLb0EES13_EEDaSY_SZ_EUlSY_E_NS1_11comp_targetILNS1_3genE10ELNS1_11target_archE1201ELNS1_3gpuE5ELNS1_3repE0EEENS1_30default_config_static_selectorELNS0_4arch9wavefront6targetE1EEEvT1_
; %bb.0:
	.section	.rodata,"a",@progbits
	.p2align	6, 0x0
	.amdhsa_kernel _ZN7rocprim17ROCPRIM_400000_NS6detail17trampoline_kernelINS0_14default_configENS1_27scan_by_key_config_selectorIj11FixedVectorIiLj8EEEEZZNS1_16scan_by_key_implILNS1_25lookback_scan_determinismE0ELb1ES3_N6thrust23THRUST_200600_302600_NS6detail15normal_iteratorINSB_10device_ptrIjEEEENSD_INSE_IS6_EEEESI_S6_NSB_4plusIvEENSB_8equal_toIvEES6_EE10hipError_tPvRmT2_T3_T4_T5_mT6_T7_P12ihipStream_tbENKUlT_T0_E_clISt17integral_constantIbLb0EES13_EEDaSY_SZ_EUlSY_E_NS1_11comp_targetILNS1_3genE10ELNS1_11target_archE1201ELNS1_3gpuE5ELNS1_3repE0EEENS1_30default_config_static_selectorELNS0_4arch9wavefront6targetE1EEEvT1_
		.amdhsa_group_segment_fixed_size 0
		.amdhsa_private_segment_fixed_size 0
		.amdhsa_kernarg_size 160
		.amdhsa_user_sgpr_count 6
		.amdhsa_user_sgpr_private_segment_buffer 1
		.amdhsa_user_sgpr_dispatch_ptr 0
		.amdhsa_user_sgpr_queue_ptr 0
		.amdhsa_user_sgpr_kernarg_segment_ptr 1
		.amdhsa_user_sgpr_dispatch_id 0
		.amdhsa_user_sgpr_flat_scratch_init 0
		.amdhsa_user_sgpr_kernarg_preload_length 0
		.amdhsa_user_sgpr_kernarg_preload_offset 0
		.amdhsa_user_sgpr_private_segment_size 0
		.amdhsa_uses_dynamic_stack 0
		.amdhsa_system_sgpr_private_segment_wavefront_offset 0
		.amdhsa_system_sgpr_workgroup_id_x 1
		.amdhsa_system_sgpr_workgroup_id_y 0
		.amdhsa_system_sgpr_workgroup_id_z 0
		.amdhsa_system_sgpr_workgroup_info 0
		.amdhsa_system_vgpr_workitem_id 0
		.amdhsa_next_free_vgpr 1
		.amdhsa_next_free_sgpr 0
		.amdhsa_accum_offset 4
		.amdhsa_reserve_vcc 0
		.amdhsa_reserve_flat_scratch 0
		.amdhsa_float_round_mode_32 0
		.amdhsa_float_round_mode_16_64 0
		.amdhsa_float_denorm_mode_32 3
		.amdhsa_float_denorm_mode_16_64 3
		.amdhsa_dx10_clamp 1
		.amdhsa_ieee_mode 1
		.amdhsa_fp16_overflow 0
		.amdhsa_tg_split 0
		.amdhsa_exception_fp_ieee_invalid_op 0
		.amdhsa_exception_fp_denorm_src 0
		.amdhsa_exception_fp_ieee_div_zero 0
		.amdhsa_exception_fp_ieee_overflow 0
		.amdhsa_exception_fp_ieee_underflow 0
		.amdhsa_exception_fp_ieee_inexact 0
		.amdhsa_exception_int_div_zero 0
	.end_amdhsa_kernel
	.section	.text._ZN7rocprim17ROCPRIM_400000_NS6detail17trampoline_kernelINS0_14default_configENS1_27scan_by_key_config_selectorIj11FixedVectorIiLj8EEEEZZNS1_16scan_by_key_implILNS1_25lookback_scan_determinismE0ELb1ES3_N6thrust23THRUST_200600_302600_NS6detail15normal_iteratorINSB_10device_ptrIjEEEENSD_INSE_IS6_EEEESI_S6_NSB_4plusIvEENSB_8equal_toIvEES6_EE10hipError_tPvRmT2_T3_T4_T5_mT6_T7_P12ihipStream_tbENKUlT_T0_E_clISt17integral_constantIbLb0EES13_EEDaSY_SZ_EUlSY_E_NS1_11comp_targetILNS1_3genE10ELNS1_11target_archE1201ELNS1_3gpuE5ELNS1_3repE0EEENS1_30default_config_static_selectorELNS0_4arch9wavefront6targetE1EEEvT1_,"axG",@progbits,_ZN7rocprim17ROCPRIM_400000_NS6detail17trampoline_kernelINS0_14default_configENS1_27scan_by_key_config_selectorIj11FixedVectorIiLj8EEEEZZNS1_16scan_by_key_implILNS1_25lookback_scan_determinismE0ELb1ES3_N6thrust23THRUST_200600_302600_NS6detail15normal_iteratorINSB_10device_ptrIjEEEENSD_INSE_IS6_EEEESI_S6_NSB_4plusIvEENSB_8equal_toIvEES6_EE10hipError_tPvRmT2_T3_T4_T5_mT6_T7_P12ihipStream_tbENKUlT_T0_E_clISt17integral_constantIbLb0EES13_EEDaSY_SZ_EUlSY_E_NS1_11comp_targetILNS1_3genE10ELNS1_11target_archE1201ELNS1_3gpuE5ELNS1_3repE0EEENS1_30default_config_static_selectorELNS0_4arch9wavefront6targetE1EEEvT1_,comdat
.Lfunc_end2158:
	.size	_ZN7rocprim17ROCPRIM_400000_NS6detail17trampoline_kernelINS0_14default_configENS1_27scan_by_key_config_selectorIj11FixedVectorIiLj8EEEEZZNS1_16scan_by_key_implILNS1_25lookback_scan_determinismE0ELb1ES3_N6thrust23THRUST_200600_302600_NS6detail15normal_iteratorINSB_10device_ptrIjEEEENSD_INSE_IS6_EEEESI_S6_NSB_4plusIvEENSB_8equal_toIvEES6_EE10hipError_tPvRmT2_T3_T4_T5_mT6_T7_P12ihipStream_tbENKUlT_T0_E_clISt17integral_constantIbLb0EES13_EEDaSY_SZ_EUlSY_E_NS1_11comp_targetILNS1_3genE10ELNS1_11target_archE1201ELNS1_3gpuE5ELNS1_3repE0EEENS1_30default_config_static_selectorELNS0_4arch9wavefront6targetE1EEEvT1_, .Lfunc_end2158-_ZN7rocprim17ROCPRIM_400000_NS6detail17trampoline_kernelINS0_14default_configENS1_27scan_by_key_config_selectorIj11FixedVectorIiLj8EEEEZZNS1_16scan_by_key_implILNS1_25lookback_scan_determinismE0ELb1ES3_N6thrust23THRUST_200600_302600_NS6detail15normal_iteratorINSB_10device_ptrIjEEEENSD_INSE_IS6_EEEESI_S6_NSB_4plusIvEENSB_8equal_toIvEES6_EE10hipError_tPvRmT2_T3_T4_T5_mT6_T7_P12ihipStream_tbENKUlT_T0_E_clISt17integral_constantIbLb0EES13_EEDaSY_SZ_EUlSY_E_NS1_11comp_targetILNS1_3genE10ELNS1_11target_archE1201ELNS1_3gpuE5ELNS1_3repE0EEENS1_30default_config_static_selectorELNS0_4arch9wavefront6targetE1EEEvT1_
                                        ; -- End function
	.section	.AMDGPU.csdata,"",@progbits
; Kernel info:
; codeLenInByte = 0
; NumSgprs: 4
; NumVgprs: 0
; NumAgprs: 0
; TotalNumVgprs: 0
; ScratchSize: 0
; MemoryBound: 0
; FloatMode: 240
; IeeeMode: 1
; LDSByteSize: 0 bytes/workgroup (compile time only)
; SGPRBlocks: 0
; VGPRBlocks: 0
; NumSGPRsForWavesPerEU: 4
; NumVGPRsForWavesPerEU: 1
; AccumOffset: 4
; Occupancy: 8
; WaveLimiterHint : 0
; COMPUTE_PGM_RSRC2:SCRATCH_EN: 0
; COMPUTE_PGM_RSRC2:USER_SGPR: 6
; COMPUTE_PGM_RSRC2:TRAP_HANDLER: 0
; COMPUTE_PGM_RSRC2:TGID_X_EN: 1
; COMPUTE_PGM_RSRC2:TGID_Y_EN: 0
; COMPUTE_PGM_RSRC2:TGID_Z_EN: 0
; COMPUTE_PGM_RSRC2:TIDIG_COMP_CNT: 0
; COMPUTE_PGM_RSRC3_GFX90A:ACCUM_OFFSET: 0
; COMPUTE_PGM_RSRC3_GFX90A:TG_SPLIT: 0
	.section	.text._ZN7rocprim17ROCPRIM_400000_NS6detail17trampoline_kernelINS0_14default_configENS1_27scan_by_key_config_selectorIj11FixedVectorIiLj8EEEEZZNS1_16scan_by_key_implILNS1_25lookback_scan_determinismE0ELb1ES3_N6thrust23THRUST_200600_302600_NS6detail15normal_iteratorINSB_10device_ptrIjEEEENSD_INSE_IS6_EEEESI_S6_NSB_4plusIvEENSB_8equal_toIvEES6_EE10hipError_tPvRmT2_T3_T4_T5_mT6_T7_P12ihipStream_tbENKUlT_T0_E_clISt17integral_constantIbLb0EES13_EEDaSY_SZ_EUlSY_E_NS1_11comp_targetILNS1_3genE5ELNS1_11target_archE942ELNS1_3gpuE9ELNS1_3repE0EEENS1_30default_config_static_selectorELNS0_4arch9wavefront6targetE1EEEvT1_,"axG",@progbits,_ZN7rocprim17ROCPRIM_400000_NS6detail17trampoline_kernelINS0_14default_configENS1_27scan_by_key_config_selectorIj11FixedVectorIiLj8EEEEZZNS1_16scan_by_key_implILNS1_25lookback_scan_determinismE0ELb1ES3_N6thrust23THRUST_200600_302600_NS6detail15normal_iteratorINSB_10device_ptrIjEEEENSD_INSE_IS6_EEEESI_S6_NSB_4plusIvEENSB_8equal_toIvEES6_EE10hipError_tPvRmT2_T3_T4_T5_mT6_T7_P12ihipStream_tbENKUlT_T0_E_clISt17integral_constantIbLb0EES13_EEDaSY_SZ_EUlSY_E_NS1_11comp_targetILNS1_3genE5ELNS1_11target_archE942ELNS1_3gpuE9ELNS1_3repE0EEENS1_30default_config_static_selectorELNS0_4arch9wavefront6targetE1EEEvT1_,comdat
	.protected	_ZN7rocprim17ROCPRIM_400000_NS6detail17trampoline_kernelINS0_14default_configENS1_27scan_by_key_config_selectorIj11FixedVectorIiLj8EEEEZZNS1_16scan_by_key_implILNS1_25lookback_scan_determinismE0ELb1ES3_N6thrust23THRUST_200600_302600_NS6detail15normal_iteratorINSB_10device_ptrIjEEEENSD_INSE_IS6_EEEESI_S6_NSB_4plusIvEENSB_8equal_toIvEES6_EE10hipError_tPvRmT2_T3_T4_T5_mT6_T7_P12ihipStream_tbENKUlT_T0_E_clISt17integral_constantIbLb0EES13_EEDaSY_SZ_EUlSY_E_NS1_11comp_targetILNS1_3genE5ELNS1_11target_archE942ELNS1_3gpuE9ELNS1_3repE0EEENS1_30default_config_static_selectorELNS0_4arch9wavefront6targetE1EEEvT1_ ; -- Begin function _ZN7rocprim17ROCPRIM_400000_NS6detail17trampoline_kernelINS0_14default_configENS1_27scan_by_key_config_selectorIj11FixedVectorIiLj8EEEEZZNS1_16scan_by_key_implILNS1_25lookback_scan_determinismE0ELb1ES3_N6thrust23THRUST_200600_302600_NS6detail15normal_iteratorINSB_10device_ptrIjEEEENSD_INSE_IS6_EEEESI_S6_NSB_4plusIvEENSB_8equal_toIvEES6_EE10hipError_tPvRmT2_T3_T4_T5_mT6_T7_P12ihipStream_tbENKUlT_T0_E_clISt17integral_constantIbLb0EES13_EEDaSY_SZ_EUlSY_E_NS1_11comp_targetILNS1_3genE5ELNS1_11target_archE942ELNS1_3gpuE9ELNS1_3repE0EEENS1_30default_config_static_selectorELNS0_4arch9wavefront6targetE1EEEvT1_
	.globl	_ZN7rocprim17ROCPRIM_400000_NS6detail17trampoline_kernelINS0_14default_configENS1_27scan_by_key_config_selectorIj11FixedVectorIiLj8EEEEZZNS1_16scan_by_key_implILNS1_25lookback_scan_determinismE0ELb1ES3_N6thrust23THRUST_200600_302600_NS6detail15normal_iteratorINSB_10device_ptrIjEEEENSD_INSE_IS6_EEEESI_S6_NSB_4plusIvEENSB_8equal_toIvEES6_EE10hipError_tPvRmT2_T3_T4_T5_mT6_T7_P12ihipStream_tbENKUlT_T0_E_clISt17integral_constantIbLb0EES13_EEDaSY_SZ_EUlSY_E_NS1_11comp_targetILNS1_3genE5ELNS1_11target_archE942ELNS1_3gpuE9ELNS1_3repE0EEENS1_30default_config_static_selectorELNS0_4arch9wavefront6targetE1EEEvT1_
	.p2align	8
	.type	_ZN7rocprim17ROCPRIM_400000_NS6detail17trampoline_kernelINS0_14default_configENS1_27scan_by_key_config_selectorIj11FixedVectorIiLj8EEEEZZNS1_16scan_by_key_implILNS1_25lookback_scan_determinismE0ELb1ES3_N6thrust23THRUST_200600_302600_NS6detail15normal_iteratorINSB_10device_ptrIjEEEENSD_INSE_IS6_EEEESI_S6_NSB_4plusIvEENSB_8equal_toIvEES6_EE10hipError_tPvRmT2_T3_T4_T5_mT6_T7_P12ihipStream_tbENKUlT_T0_E_clISt17integral_constantIbLb0EES13_EEDaSY_SZ_EUlSY_E_NS1_11comp_targetILNS1_3genE5ELNS1_11target_archE942ELNS1_3gpuE9ELNS1_3repE0EEENS1_30default_config_static_selectorELNS0_4arch9wavefront6targetE1EEEvT1_,@function
_ZN7rocprim17ROCPRIM_400000_NS6detail17trampoline_kernelINS0_14default_configENS1_27scan_by_key_config_selectorIj11FixedVectorIiLj8EEEEZZNS1_16scan_by_key_implILNS1_25lookback_scan_determinismE0ELb1ES3_N6thrust23THRUST_200600_302600_NS6detail15normal_iteratorINSB_10device_ptrIjEEEENSD_INSE_IS6_EEEESI_S6_NSB_4plusIvEENSB_8equal_toIvEES6_EE10hipError_tPvRmT2_T3_T4_T5_mT6_T7_P12ihipStream_tbENKUlT_T0_E_clISt17integral_constantIbLb0EES13_EEDaSY_SZ_EUlSY_E_NS1_11comp_targetILNS1_3genE5ELNS1_11target_archE942ELNS1_3gpuE9ELNS1_3repE0EEENS1_30default_config_static_selectorELNS0_4arch9wavefront6targetE1EEEvT1_: ; @_ZN7rocprim17ROCPRIM_400000_NS6detail17trampoline_kernelINS0_14default_configENS1_27scan_by_key_config_selectorIj11FixedVectorIiLj8EEEEZZNS1_16scan_by_key_implILNS1_25lookback_scan_determinismE0ELb1ES3_N6thrust23THRUST_200600_302600_NS6detail15normal_iteratorINSB_10device_ptrIjEEEENSD_INSE_IS6_EEEESI_S6_NSB_4plusIvEENSB_8equal_toIvEES6_EE10hipError_tPvRmT2_T3_T4_T5_mT6_T7_P12ihipStream_tbENKUlT_T0_E_clISt17integral_constantIbLb0EES13_EEDaSY_SZ_EUlSY_E_NS1_11comp_targetILNS1_3genE5ELNS1_11target_archE942ELNS1_3gpuE9ELNS1_3repE0EEENS1_30default_config_static_selectorELNS0_4arch9wavefront6targetE1EEEvT1_
; %bb.0:
	.section	.rodata,"a",@progbits
	.p2align	6, 0x0
	.amdhsa_kernel _ZN7rocprim17ROCPRIM_400000_NS6detail17trampoline_kernelINS0_14default_configENS1_27scan_by_key_config_selectorIj11FixedVectorIiLj8EEEEZZNS1_16scan_by_key_implILNS1_25lookback_scan_determinismE0ELb1ES3_N6thrust23THRUST_200600_302600_NS6detail15normal_iteratorINSB_10device_ptrIjEEEENSD_INSE_IS6_EEEESI_S6_NSB_4plusIvEENSB_8equal_toIvEES6_EE10hipError_tPvRmT2_T3_T4_T5_mT6_T7_P12ihipStream_tbENKUlT_T0_E_clISt17integral_constantIbLb0EES13_EEDaSY_SZ_EUlSY_E_NS1_11comp_targetILNS1_3genE5ELNS1_11target_archE942ELNS1_3gpuE9ELNS1_3repE0EEENS1_30default_config_static_selectorELNS0_4arch9wavefront6targetE1EEEvT1_
		.amdhsa_group_segment_fixed_size 0
		.amdhsa_private_segment_fixed_size 0
		.amdhsa_kernarg_size 160
		.amdhsa_user_sgpr_count 6
		.amdhsa_user_sgpr_private_segment_buffer 1
		.amdhsa_user_sgpr_dispatch_ptr 0
		.amdhsa_user_sgpr_queue_ptr 0
		.amdhsa_user_sgpr_kernarg_segment_ptr 1
		.amdhsa_user_sgpr_dispatch_id 0
		.amdhsa_user_sgpr_flat_scratch_init 0
		.amdhsa_user_sgpr_kernarg_preload_length 0
		.amdhsa_user_sgpr_kernarg_preload_offset 0
		.amdhsa_user_sgpr_private_segment_size 0
		.amdhsa_uses_dynamic_stack 0
		.amdhsa_system_sgpr_private_segment_wavefront_offset 0
		.amdhsa_system_sgpr_workgroup_id_x 1
		.amdhsa_system_sgpr_workgroup_id_y 0
		.amdhsa_system_sgpr_workgroup_id_z 0
		.amdhsa_system_sgpr_workgroup_info 0
		.amdhsa_system_vgpr_workitem_id 0
		.amdhsa_next_free_vgpr 1
		.amdhsa_next_free_sgpr 0
		.amdhsa_accum_offset 4
		.amdhsa_reserve_vcc 0
		.amdhsa_reserve_flat_scratch 0
		.amdhsa_float_round_mode_32 0
		.amdhsa_float_round_mode_16_64 0
		.amdhsa_float_denorm_mode_32 3
		.amdhsa_float_denorm_mode_16_64 3
		.amdhsa_dx10_clamp 1
		.amdhsa_ieee_mode 1
		.amdhsa_fp16_overflow 0
		.amdhsa_tg_split 0
		.amdhsa_exception_fp_ieee_invalid_op 0
		.amdhsa_exception_fp_denorm_src 0
		.amdhsa_exception_fp_ieee_div_zero 0
		.amdhsa_exception_fp_ieee_overflow 0
		.amdhsa_exception_fp_ieee_underflow 0
		.amdhsa_exception_fp_ieee_inexact 0
		.amdhsa_exception_int_div_zero 0
	.end_amdhsa_kernel
	.section	.text._ZN7rocprim17ROCPRIM_400000_NS6detail17trampoline_kernelINS0_14default_configENS1_27scan_by_key_config_selectorIj11FixedVectorIiLj8EEEEZZNS1_16scan_by_key_implILNS1_25lookback_scan_determinismE0ELb1ES3_N6thrust23THRUST_200600_302600_NS6detail15normal_iteratorINSB_10device_ptrIjEEEENSD_INSE_IS6_EEEESI_S6_NSB_4plusIvEENSB_8equal_toIvEES6_EE10hipError_tPvRmT2_T3_T4_T5_mT6_T7_P12ihipStream_tbENKUlT_T0_E_clISt17integral_constantIbLb0EES13_EEDaSY_SZ_EUlSY_E_NS1_11comp_targetILNS1_3genE5ELNS1_11target_archE942ELNS1_3gpuE9ELNS1_3repE0EEENS1_30default_config_static_selectorELNS0_4arch9wavefront6targetE1EEEvT1_,"axG",@progbits,_ZN7rocprim17ROCPRIM_400000_NS6detail17trampoline_kernelINS0_14default_configENS1_27scan_by_key_config_selectorIj11FixedVectorIiLj8EEEEZZNS1_16scan_by_key_implILNS1_25lookback_scan_determinismE0ELb1ES3_N6thrust23THRUST_200600_302600_NS6detail15normal_iteratorINSB_10device_ptrIjEEEENSD_INSE_IS6_EEEESI_S6_NSB_4plusIvEENSB_8equal_toIvEES6_EE10hipError_tPvRmT2_T3_T4_T5_mT6_T7_P12ihipStream_tbENKUlT_T0_E_clISt17integral_constantIbLb0EES13_EEDaSY_SZ_EUlSY_E_NS1_11comp_targetILNS1_3genE5ELNS1_11target_archE942ELNS1_3gpuE9ELNS1_3repE0EEENS1_30default_config_static_selectorELNS0_4arch9wavefront6targetE1EEEvT1_,comdat
.Lfunc_end2159:
	.size	_ZN7rocprim17ROCPRIM_400000_NS6detail17trampoline_kernelINS0_14default_configENS1_27scan_by_key_config_selectorIj11FixedVectorIiLj8EEEEZZNS1_16scan_by_key_implILNS1_25lookback_scan_determinismE0ELb1ES3_N6thrust23THRUST_200600_302600_NS6detail15normal_iteratorINSB_10device_ptrIjEEEENSD_INSE_IS6_EEEESI_S6_NSB_4plusIvEENSB_8equal_toIvEES6_EE10hipError_tPvRmT2_T3_T4_T5_mT6_T7_P12ihipStream_tbENKUlT_T0_E_clISt17integral_constantIbLb0EES13_EEDaSY_SZ_EUlSY_E_NS1_11comp_targetILNS1_3genE5ELNS1_11target_archE942ELNS1_3gpuE9ELNS1_3repE0EEENS1_30default_config_static_selectorELNS0_4arch9wavefront6targetE1EEEvT1_, .Lfunc_end2159-_ZN7rocprim17ROCPRIM_400000_NS6detail17trampoline_kernelINS0_14default_configENS1_27scan_by_key_config_selectorIj11FixedVectorIiLj8EEEEZZNS1_16scan_by_key_implILNS1_25lookback_scan_determinismE0ELb1ES3_N6thrust23THRUST_200600_302600_NS6detail15normal_iteratorINSB_10device_ptrIjEEEENSD_INSE_IS6_EEEESI_S6_NSB_4plusIvEENSB_8equal_toIvEES6_EE10hipError_tPvRmT2_T3_T4_T5_mT6_T7_P12ihipStream_tbENKUlT_T0_E_clISt17integral_constantIbLb0EES13_EEDaSY_SZ_EUlSY_E_NS1_11comp_targetILNS1_3genE5ELNS1_11target_archE942ELNS1_3gpuE9ELNS1_3repE0EEENS1_30default_config_static_selectorELNS0_4arch9wavefront6targetE1EEEvT1_
                                        ; -- End function
	.section	.AMDGPU.csdata,"",@progbits
; Kernel info:
; codeLenInByte = 0
; NumSgprs: 4
; NumVgprs: 0
; NumAgprs: 0
; TotalNumVgprs: 0
; ScratchSize: 0
; MemoryBound: 0
; FloatMode: 240
; IeeeMode: 1
; LDSByteSize: 0 bytes/workgroup (compile time only)
; SGPRBlocks: 0
; VGPRBlocks: 0
; NumSGPRsForWavesPerEU: 4
; NumVGPRsForWavesPerEU: 1
; AccumOffset: 4
; Occupancy: 8
; WaveLimiterHint : 0
; COMPUTE_PGM_RSRC2:SCRATCH_EN: 0
; COMPUTE_PGM_RSRC2:USER_SGPR: 6
; COMPUTE_PGM_RSRC2:TRAP_HANDLER: 0
; COMPUTE_PGM_RSRC2:TGID_X_EN: 1
; COMPUTE_PGM_RSRC2:TGID_Y_EN: 0
; COMPUTE_PGM_RSRC2:TGID_Z_EN: 0
; COMPUTE_PGM_RSRC2:TIDIG_COMP_CNT: 0
; COMPUTE_PGM_RSRC3_GFX90A:ACCUM_OFFSET: 0
; COMPUTE_PGM_RSRC3_GFX90A:TG_SPLIT: 0
	.section	.text._ZN7rocprim17ROCPRIM_400000_NS6detail17trampoline_kernelINS0_14default_configENS1_27scan_by_key_config_selectorIj11FixedVectorIiLj8EEEEZZNS1_16scan_by_key_implILNS1_25lookback_scan_determinismE0ELb1ES3_N6thrust23THRUST_200600_302600_NS6detail15normal_iteratorINSB_10device_ptrIjEEEENSD_INSE_IS6_EEEESI_S6_NSB_4plusIvEENSB_8equal_toIvEES6_EE10hipError_tPvRmT2_T3_T4_T5_mT6_T7_P12ihipStream_tbENKUlT_T0_E_clISt17integral_constantIbLb0EES13_EEDaSY_SZ_EUlSY_E_NS1_11comp_targetILNS1_3genE4ELNS1_11target_archE910ELNS1_3gpuE8ELNS1_3repE0EEENS1_30default_config_static_selectorELNS0_4arch9wavefront6targetE1EEEvT1_,"axG",@progbits,_ZN7rocprim17ROCPRIM_400000_NS6detail17trampoline_kernelINS0_14default_configENS1_27scan_by_key_config_selectorIj11FixedVectorIiLj8EEEEZZNS1_16scan_by_key_implILNS1_25lookback_scan_determinismE0ELb1ES3_N6thrust23THRUST_200600_302600_NS6detail15normal_iteratorINSB_10device_ptrIjEEEENSD_INSE_IS6_EEEESI_S6_NSB_4plusIvEENSB_8equal_toIvEES6_EE10hipError_tPvRmT2_T3_T4_T5_mT6_T7_P12ihipStream_tbENKUlT_T0_E_clISt17integral_constantIbLb0EES13_EEDaSY_SZ_EUlSY_E_NS1_11comp_targetILNS1_3genE4ELNS1_11target_archE910ELNS1_3gpuE8ELNS1_3repE0EEENS1_30default_config_static_selectorELNS0_4arch9wavefront6targetE1EEEvT1_,comdat
	.protected	_ZN7rocprim17ROCPRIM_400000_NS6detail17trampoline_kernelINS0_14default_configENS1_27scan_by_key_config_selectorIj11FixedVectorIiLj8EEEEZZNS1_16scan_by_key_implILNS1_25lookback_scan_determinismE0ELb1ES3_N6thrust23THRUST_200600_302600_NS6detail15normal_iteratorINSB_10device_ptrIjEEEENSD_INSE_IS6_EEEESI_S6_NSB_4plusIvEENSB_8equal_toIvEES6_EE10hipError_tPvRmT2_T3_T4_T5_mT6_T7_P12ihipStream_tbENKUlT_T0_E_clISt17integral_constantIbLb0EES13_EEDaSY_SZ_EUlSY_E_NS1_11comp_targetILNS1_3genE4ELNS1_11target_archE910ELNS1_3gpuE8ELNS1_3repE0EEENS1_30default_config_static_selectorELNS0_4arch9wavefront6targetE1EEEvT1_ ; -- Begin function _ZN7rocprim17ROCPRIM_400000_NS6detail17trampoline_kernelINS0_14default_configENS1_27scan_by_key_config_selectorIj11FixedVectorIiLj8EEEEZZNS1_16scan_by_key_implILNS1_25lookback_scan_determinismE0ELb1ES3_N6thrust23THRUST_200600_302600_NS6detail15normal_iteratorINSB_10device_ptrIjEEEENSD_INSE_IS6_EEEESI_S6_NSB_4plusIvEENSB_8equal_toIvEES6_EE10hipError_tPvRmT2_T3_T4_T5_mT6_T7_P12ihipStream_tbENKUlT_T0_E_clISt17integral_constantIbLb0EES13_EEDaSY_SZ_EUlSY_E_NS1_11comp_targetILNS1_3genE4ELNS1_11target_archE910ELNS1_3gpuE8ELNS1_3repE0EEENS1_30default_config_static_selectorELNS0_4arch9wavefront6targetE1EEEvT1_
	.globl	_ZN7rocprim17ROCPRIM_400000_NS6detail17trampoline_kernelINS0_14default_configENS1_27scan_by_key_config_selectorIj11FixedVectorIiLj8EEEEZZNS1_16scan_by_key_implILNS1_25lookback_scan_determinismE0ELb1ES3_N6thrust23THRUST_200600_302600_NS6detail15normal_iteratorINSB_10device_ptrIjEEEENSD_INSE_IS6_EEEESI_S6_NSB_4plusIvEENSB_8equal_toIvEES6_EE10hipError_tPvRmT2_T3_T4_T5_mT6_T7_P12ihipStream_tbENKUlT_T0_E_clISt17integral_constantIbLb0EES13_EEDaSY_SZ_EUlSY_E_NS1_11comp_targetILNS1_3genE4ELNS1_11target_archE910ELNS1_3gpuE8ELNS1_3repE0EEENS1_30default_config_static_selectorELNS0_4arch9wavefront6targetE1EEEvT1_
	.p2align	8
	.type	_ZN7rocprim17ROCPRIM_400000_NS6detail17trampoline_kernelINS0_14default_configENS1_27scan_by_key_config_selectorIj11FixedVectorIiLj8EEEEZZNS1_16scan_by_key_implILNS1_25lookback_scan_determinismE0ELb1ES3_N6thrust23THRUST_200600_302600_NS6detail15normal_iteratorINSB_10device_ptrIjEEEENSD_INSE_IS6_EEEESI_S6_NSB_4plusIvEENSB_8equal_toIvEES6_EE10hipError_tPvRmT2_T3_T4_T5_mT6_T7_P12ihipStream_tbENKUlT_T0_E_clISt17integral_constantIbLb0EES13_EEDaSY_SZ_EUlSY_E_NS1_11comp_targetILNS1_3genE4ELNS1_11target_archE910ELNS1_3gpuE8ELNS1_3repE0EEENS1_30default_config_static_selectorELNS0_4arch9wavefront6targetE1EEEvT1_,@function
_ZN7rocprim17ROCPRIM_400000_NS6detail17trampoline_kernelINS0_14default_configENS1_27scan_by_key_config_selectorIj11FixedVectorIiLj8EEEEZZNS1_16scan_by_key_implILNS1_25lookback_scan_determinismE0ELb1ES3_N6thrust23THRUST_200600_302600_NS6detail15normal_iteratorINSB_10device_ptrIjEEEENSD_INSE_IS6_EEEESI_S6_NSB_4plusIvEENSB_8equal_toIvEES6_EE10hipError_tPvRmT2_T3_T4_T5_mT6_T7_P12ihipStream_tbENKUlT_T0_E_clISt17integral_constantIbLb0EES13_EEDaSY_SZ_EUlSY_E_NS1_11comp_targetILNS1_3genE4ELNS1_11target_archE910ELNS1_3gpuE8ELNS1_3repE0EEENS1_30default_config_static_selectorELNS0_4arch9wavefront6targetE1EEEvT1_: ; @_ZN7rocprim17ROCPRIM_400000_NS6detail17trampoline_kernelINS0_14default_configENS1_27scan_by_key_config_selectorIj11FixedVectorIiLj8EEEEZZNS1_16scan_by_key_implILNS1_25lookback_scan_determinismE0ELb1ES3_N6thrust23THRUST_200600_302600_NS6detail15normal_iteratorINSB_10device_ptrIjEEEENSD_INSE_IS6_EEEESI_S6_NSB_4plusIvEENSB_8equal_toIvEES6_EE10hipError_tPvRmT2_T3_T4_T5_mT6_T7_P12ihipStream_tbENKUlT_T0_E_clISt17integral_constantIbLb0EES13_EEDaSY_SZ_EUlSY_E_NS1_11comp_targetILNS1_3genE4ELNS1_11target_archE910ELNS1_3gpuE8ELNS1_3repE0EEENS1_30default_config_static_selectorELNS0_4arch9wavefront6targetE1EEEvT1_
; %bb.0:
	s_load_dwordx2 s[44:45], s[4:5], 0x4
	s_load_dwordx8 s[24:31], s[6:7], 0x0
	s_load_dwordx8 s[36:43], s[6:7], 0x20
	;; [unrolled: 1-line block ×3, first 2 shown]
	s_load_dwordx2 s[34:35], s[6:7], 0x68
	s_nop 0
	s_load_dword s4, s[6:7], 0x70
	s_load_dwordx4 s[12:15], s[6:7], 0x78
	s_add_u32 flat_scratch_lo, s8, s11
	s_addc_u32 flat_scratch_hi, s9, 0
	s_add_u32 s0, s0, s11
	v_and_b32_e32 v8, 0x3ff, v0
	v_bfe_u32 v11, v0, 20, 10
	v_bfe_u32 v0, v0, 10, 10
	s_addc_u32 s1, s1, 0
	s_waitcnt lgkmcnt(0)
	v_mul_u32_u24_e32 v14, s45, v0
	v_mov_b32_e32 v0, 0
	s_mov_b32 s5, 0
	v_mov_b32_e32 v1, 0x140
	s_barrier
	buffer_store_dword v0, off, s[0:3], 0 offset:348
	buffer_store_dword v0, off, s[0:3], 0 offset:344
	;; [unrolled: 1-line block ×9, first 2 shown]
.LBB2160_1:                             ; =>This Inner Loop Header: Depth=1
	v_add_u32_e32 v2, s5, v1
	s_add_i32 s5, s5, 8
	s_cmp_lg_u32 s5, 32
	buffer_store_dword v0, v2, s[0:3], 0 offen offset:4
	buffer_store_dword v0, v2, s[0:3], 0 offen
	s_cbranch_scc1 .LBB2160_1
; %bb.2:
	v_mov_b32_e32 v1, 0x140
	v_mov_b32_e32 v0, 0
	s_mov_b32 s5, 36
	v_add_u32_e32 v18, 36, v1
	buffer_store_byte v0, off, s[0:3], 0 offset:352
	buffer_store_dword v0, off, s[0:3], 0 offset:368
	buffer_store_dword v0, off, s[0:3], 0 offset:364
	;; [unrolled: 1-line block ×9, first 2 shown]
.LBB2160_3:                             ; =>This Inner Loop Header: Depth=1
	v_add_u32_e32 v2, s5, v1
	s_add_i32 s5, s5, 8
	s_cmpk_lg_i32 s5, 0x44
	buffer_store_dword v0, v2, s[0:3], 0 offen offset:4
	buffer_store_dword v0, v2, s[0:3], 0 offen
	s_cbranch_scc1 .LBB2160_3
; %bb.4:
	v_mov_b32_e32 v1, 0x140
	v_mov_b32_e32 v0, 0
	s_movk_i32 s5, 0x48
	v_add_u32_e32 v19, 0x48, v1
	buffer_store_byte v0, off, s[0:3], 0 offset:388
	buffer_store_dword v0, off, s[0:3], 0 offset:404
	buffer_store_dword v0, off, s[0:3], 0 offset:400
	;; [unrolled: 1-line block ×9, first 2 shown]
.LBB2160_5:                             ; =>This Inner Loop Header: Depth=1
	v_add_u32_e32 v2, s5, v1
	s_add_i32 s5, s5, 8
	s_cmpk_lg_i32 s5, 0x68
	buffer_store_dword v0, v2, s[0:3], 0 offen offset:4
	buffer_store_dword v0, v2, s[0:3], 0 offen
	s_cbranch_scc1 .LBB2160_5
; %bb.6:
	v_mov_b32_e32 v1, s37
	buffer_store_dword v1, off, s[0:3], 0 offset:100
	v_mov_b32_e32 v1, s36
	buffer_store_dword v1, off, s[0:3], 0 offset:96
	;; [unrolled: 2-line block ×7, first 2 shown]
	v_mov_b32_e32 v1, s42
	s_mov_b32 s5, 0
	v_mov_b32_e32 v0, 0
	buffer_store_dword v1, off, s[0:3], 0 offset:120
	v_mov_b32_e32 v1, 0
	buffer_store_byte v0, off, s[0:3], 0 offset:424
.LBB2160_7:                             ; =>This Inner Loop Header: Depth=1
	v_add_u32_e32 v2, s5, v1
	s_add_i32 s5, s5, 8
	s_cmp_lg_u32 s5, 32
	buffer_store_dword v0, v2, s[0:3], 0 offen offset:4
	buffer_store_dword v0, v2, s[0:3], 0 offen
	s_cbranch_scc1 .LBB2160_7
; %bb.8:
	s_mov_b32 s5, 32
	v_mov_b32_e32 v0, 0
	v_mov_b32_e32 v1, 0
.LBB2160_9:                             ; =>This Inner Loop Header: Depth=1
	v_add_u32_e32 v2, s5, v0
	s_add_i32 s5, s5, 8
	s_cmp_lg_u32 s5, 64
	buffer_store_dword v1, v2, s[0:3], 0 offen offset:4
	buffer_store_dword v1, v2, s[0:3], 0 offen
	s_cbranch_scc1 .LBB2160_9
; %bb.10:
	s_mov_b32 s5, 64
	v_mov_b32_e32 v0, 0
	v_mov_b32_e32 v1, 0
.LBB2160_11:                            ; =>This Inner Loop Header: Depth=1
	v_add_u32_e32 v2, s5, v0
	s_add_i32 s5, s5, 8
	s_cmpk_lg_i32 s5, 0x60
	buffer_store_dword v1, v2, s[0:3], 0 offen offset:4
	buffer_store_dword v1, v2, s[0:3], 0 offen
	s_cbranch_scc1 .LBB2160_11
; %bb.12:
	s_lshl_b64 s[6:7], s[26:27], 2
	s_add_u32 s8, s24, s6
	s_addc_u32 s9, s25, s7
	s_lshl_b64 s[24:25], s[26:27], 5
	s_add_u32 s11, s28, s24
	s_mul_i32 s5, s35, s4
	s_mul_hi_u32 s7, s34, s4
	s_addc_u32 s23, s29, s25
	s_mul_i32 s6, s10, 0x300
	s_add_i32 s46, s7, s5
	s_mov_b32 s7, 0
	s_mul_i32 s47, s34, s4
	s_lshl_b64 s[4:5], s[6:7], 2
	s_add_u32 s28, s8, s4
	s_addc_u32 s29, s9, s5
	s_lshl_b64 s[26:27], s[6:7], 5
	s_add_u32 s11, s11, s26
	s_addc_u32 s33, s23, s27
	s_add_u32 s4, s47, s10
	s_addc_u32 s5, s46, 0
	s_add_u32 s6, s12, -1
	v_mov_b32_e32 v0, 0
	s_addc_u32 s7, s13, -1
	v_add_u32_e32 v2, 64, v0
	v_add_u32_e32 v3, 32, v0
	v_pk_mov_b32 v[0:1], s[6:7], s[6:7] op_sel:[0,1]
	v_cmp_ge_u64_e64 s[4:5], s[4:5], v[0:1]
	s_mov_b64 s[8:9], -1
	s_and_b64 vcc, exec, s[4:5]
	s_mul_i32 s23, s6, 0xfffffd00
	s_cbranch_vccz .LBB2160_32
; %bb.13:
	v_pk_mov_b32 v[0:1], s[28:29], s[28:29] op_sel:[0,1]
	flat_load_dword v1, v[0:1]
	s_add_i32 s52, s23, s22
	v_cmp_gt_u32_e64 s[8:9], s52, v8
	s_waitcnt vmcnt(0) lgkmcnt(0)
	v_mov_b32_e32 v0, v1
	s_and_saveexec_b64 s[6:7], s[8:9]
	s_cbranch_execz .LBB2160_15
; %bb.14:
	v_lshlrev_b32_e32 v0, 2, v8
	v_mov_b32_e32 v5, s29
	v_add_co_u32_e32 v4, vcc, s28, v0
	v_addc_co_u32_e32 v5, vcc, 0, v5, vcc
	flat_load_dword v0, v[4:5]
.LBB2160_15:
	s_or_b64 exec, exec, s[6:7]
	v_or_b32_e32 v6, 0x100, v8
	v_cmp_gt_u32_e64 s[6:7], s52, v6
	v_mov_b32_e32 v4, v1
	s_and_saveexec_b64 s[12:13], s[6:7]
	s_cbranch_execz .LBB2160_17
; %bb.16:
	v_lshlrev_b32_e32 v4, 2, v8
	v_mov_b32_e32 v5, s29
	v_add_co_u32_e32 v4, vcc, s28, v4
	v_addc_co_u32_e32 v5, vcc, 0, v5, vcc
	flat_load_dword v4, v[4:5] offset:1024
.LBB2160_17:
	s_or_b64 exec, exec, s[12:13]
	v_or_b32_e32 v10, 0x200, v8
	v_cmp_gt_u32_e32 vcc, s52, v10
	v_cmp_le_u32_e64 s[12:13], s52, v10
	s_and_saveexec_b64 s[46:47], s[12:13]
	s_xor_b64 s[12:13], exec, s[46:47]
; %bb.18:
	v_mov_b32_e32 v9, 0
; %bb.19:
	s_andn2_saveexec_b64 s[46:47], s[12:13]
	s_cbranch_execz .LBB2160_21
; %bb.20:
	v_lshlrev_b32_e32 v1, 2, v8
	v_mov_b32_e32 v5, s29
	v_add_co_u32_e64 v12, s[12:13], s28, v1
	v_addc_co_u32_e64 v13, s[12:13], 0, v5, s[12:13]
	flat_load_dword v1, v[12:13] offset:2048
	v_mov_b32_e32 v9, 0
.LBB2160_21:
	s_or_b64 exec, exec, s[46:47]
	v_lshlrev_b32_e32 v7, 2, v8
	s_waitcnt vmcnt(0) lgkmcnt(0)
	ds_write2st64_b32 v7, v0, v4 offset1:4
	ds_write_b32 v7, v1 offset:2048
	v_pk_mov_b32 v[0:1], s[28:29], s[28:29] op_sel:[0,1]
	s_waitcnt lgkmcnt(0)
	s_barrier
	flat_load_dword v4, v[0:1]
	v_lshl_add_u32 v0, v8, 3, v7
	ds_read_b32 v5, v0
	ds_read2_b32 v[0:1], v0 offset0:1 offset1:2
	s_movk_i32 s12, 0xff
	v_cmp_ne_u32_e64 s[12:13], s12, v8
	s_waitcnt lgkmcnt(0)
	ds_write_b32 v7, v5 offset:4096
	s_waitcnt lgkmcnt(0)
	s_barrier
	s_and_saveexec_b64 s[46:47], s[12:13]
	s_cbranch_execz .LBB2160_23
; %bb.22:
	s_waitcnt vmcnt(0)
	ds_read_b32 v4, v7 offset:4100
.LBB2160_23:
	s_or_b64 exec, exec, s[46:47]
	s_waitcnt lgkmcnt(0)
	s_barrier
	s_and_saveexec_b64 s[12:13], s[8:9]
	s_cbranch_execnz .LBB2160_438
; %bb.24:
	s_or_b64 exec, exec, s[12:13]
	s_and_saveexec_b64 s[8:9], s[6:7]
	s_cbranch_execnz .LBB2160_439
.LBB2160_25:
	s_or_b64 exec, exec, s[8:9]
	v_mul_u32_u24_e32 v6, 3, v8
	s_and_saveexec_b64 s[6:7], vcc
	s_cbranch_execz .LBB2160_27
.LBB2160_26:
	v_lshlrev_b32_e32 v9, 5, v10
	v_mov_b32_e32 v10, s33
	v_add_co_u32_e32 v12, vcc, s11, v9
	v_addc_co_u32_e32 v13, vcc, 0, v10, vcc
	flat_load_dwordx4 v[20:23], v[12:13]
	flat_load_dwordx4 v[24:27], v[12:13] offset:16
	s_waitcnt vmcnt(0) lgkmcnt(0)
	buffer_store_dword v21, off, s[0:3], 0 offset:68
	buffer_store_dword v20, off, s[0:3], 0 offset:64
	;; [unrolled: 1-line block ×8, first 2 shown]
.LBB2160_27:
	s_or_b64 exec, exec, s[6:7]
	buffer_load_dword v20, off, s[0:3], 0
	buffer_load_dword v21, off, s[0:3], 0 offset:4
	buffer_load_dword v22, off, s[0:3], 0 offset:8
	;; [unrolled: 1-line block ×7, first 2 shown]
	buffer_load_dword v28, v3, s[0:3], 0 offen
	buffer_load_dword v29, v3, s[0:3], 0 offen offset:4
	buffer_load_dword v30, v3, s[0:3], 0 offen offset:8
	;; [unrolled: 1-line block ×7, first 2 shown]
	buffer_load_dword v36, v2, s[0:3], 0 offen
	buffer_load_dword v37, v2, s[0:3], 0 offen offset:4
	buffer_load_dword v38, v2, s[0:3], 0 offen offset:8
	;; [unrolled: 1-line block ×7, first 2 shown]
	v_mad_u32_u24 v7, v8, 28, v7
	v_lshl_add_u32 v9, v8, 6, v7
	v_cmp_gt_u32_e32 vcc, s52, v6
	s_mov_b64 s[8:9], 0
	s_mov_b64 s[46:47], 0
                                        ; implicit-def: $sgpr6_sgpr7
	s_waitcnt vmcnt(0)
	ds_write_b128 v7, v[20:23]
	ds_write_b128 v7, v[24:27] offset:16
	ds_write_b128 v7, v[28:31] offset:8192
	;; [unrolled: 1-line block ×5, first 2 shown]
	s_waitcnt lgkmcnt(0)
	s_barrier
	ds_read_b128 v[20:23], v9
	ds_read_b128 v[24:27], v9 offset:16
	ds_read_b128 v[28:31], v9 offset:32
	;; [unrolled: 1-line block ×5, first 2 shown]
	s_waitcnt lgkmcnt(5)
	buffer_store_dword v23, off, s[0:3], 0 offset:12
	buffer_store_dword v22, off, s[0:3], 0 offset:8
	;; [unrolled: 1-line block ×3, first 2 shown]
	buffer_store_dword v20, off, s[0:3], 0
	s_waitcnt lgkmcnt(4)
	buffer_store_dword v27, off, s[0:3], 0 offset:28
	buffer_store_dword v26, off, s[0:3], 0 offset:24
	;; [unrolled: 1-line block ×4, first 2 shown]
	s_waitcnt lgkmcnt(3)
	buffer_store_dword v31, v3, s[0:3], 0 offen offset:12
	buffer_store_dword v30, v3, s[0:3], 0 offen offset:8
	;; [unrolled: 1-line block ×3, first 2 shown]
	buffer_store_dword v28, v3, s[0:3], 0 offen
	s_waitcnt lgkmcnt(2)
	buffer_store_dword v35, v3, s[0:3], 0 offen offset:28
	buffer_store_dword v34, v3, s[0:3], 0 offen offset:24
	;; [unrolled: 1-line block ×4, first 2 shown]
	s_waitcnt lgkmcnt(1)
	buffer_store_dword v39, v2, s[0:3], 0 offen offset:12
	buffer_store_dword v38, v2, s[0:3], 0 offen offset:8
	;; [unrolled: 1-line block ×3, first 2 shown]
	buffer_store_dword v36, v2, s[0:3], 0 offen
	s_waitcnt lgkmcnt(0)
	buffer_store_dword v43, v2, s[0:3], 0 offen offset:28
	buffer_store_dword v42, v2, s[0:3], 0 offen offset:24
	;; [unrolled: 1-line block ×4, first 2 shown]
	s_and_saveexec_b64 s[12:13], vcc
	s_cbranch_execz .LBB2160_31
; %bb.28:
	v_cmp_ne_u32_e32 vcc, v5, v0
	v_mov_b32_e32 v5, 0x60
	v_mov_b32_e32 v9, 0
	v_cndmask_b32_e32 v9, v9, v5, vcc
	buffer_load_dword v10, v9, s[0:3], 0 offen offset:12
	buffer_load_dword v12, v9, s[0:3], 0 offen offset:8
	;; [unrolled: 1-line block ×3, first 2 shown]
	buffer_load_dword v15, v9, s[0:3], 0 offen
	buffer_load_dword v16, v9, s[0:3], 0 offen offset:28
	buffer_load_dword v17, v9, s[0:3], 0 offen offset:24
	;; [unrolled: 1-line block ×4, first 2 shown]
	v_add_u32_e32 v9, 1, v6
	v_cndmask_b32_e64 v7, 0, 1, vcc
	v_cmp_gt_u32_e32 vcc, s52, v9
	s_mov_b64 s[50:51], 0
	buffer_store_byte v7, off, s[0:3], 0 offset:352
                                        ; implicit-def: $sgpr48_sgpr49
	s_waitcnt vmcnt(8)
	buffer_store_dword v10, off, s[0:3], 0 offset:332
	s_waitcnt vmcnt(8)
	buffer_store_dword v12, off, s[0:3], 0 offset:328
	;; [unrolled: 2-line block ×8, first 2 shown]
	s_and_saveexec_b64 s[6:7], vcc
	s_xor_b64 s[46:47], exec, s[6:7]
	s_cbranch_execz .LBB2160_30
; %bb.29:
	v_cmp_ne_u32_e32 vcc, v0, v1
	v_cndmask_b32_e32 v5, v3, v5, vcc
	buffer_load_dword v7, v5, s[0:3], 0 offen offset:12
	buffer_load_dword v9, v5, s[0:3], 0 offen offset:8
	;; [unrolled: 1-line block ×3, first 2 shown]
	buffer_load_dword v12, v5, s[0:3], 0 offen
	buffer_load_dword v13, v5, s[0:3], 0 offen offset:28
	buffer_load_dword v15, v5, s[0:3], 0 offen offset:24
	;; [unrolled: 1-line block ×4, first 2 shown]
	v_cndmask_b32_e64 v0, 0, 1, vcc
	v_cmp_ne_u32_e32 vcc, v1, v4
	v_add_u32_e32 v1, 2, v6
	v_cmp_gt_u32_e64 s[6:7], s52, v1
	buffer_store_byte v0, off, s[0:3], 0 offset:388
	s_and_b64 s[48:49], vcc, exec
	s_and_b64 s[50:51], s[6:7], exec
	s_waitcnt vmcnt(8)
	buffer_store_dword v7, v18, s[0:3], 0 offen offset:12
	s_waitcnt vmcnt(8)
	buffer_store_dword v9, v18, s[0:3], 0 offen offset:8
	;; [unrolled: 2-line block ×3, first 2 shown]
	s_waitcnt vmcnt(8)
	buffer_store_dword v12, v18, s[0:3], 0 offen
	s_waitcnt vmcnt(8)
	buffer_store_dword v13, v18, s[0:3], 0 offen offset:28
	s_waitcnt vmcnt(8)
	buffer_store_dword v15, v18, s[0:3], 0 offen offset:24
	;; [unrolled: 2-line block ×4, first 2 shown]
.LBB2160_30:
	s_or_b64 exec, exec, s[46:47]
	s_and_b64 s[6:7], s[48:49], exec
	s_and_b64 s[46:47], s[50:51], exec
.LBB2160_31:
	s_or_b64 exec, exec, s[12:13]
	s_and_b64 vcc, exec, s[8:9]
	s_cbranch_vccnz .LBB2160_33
	s_branch .LBB2160_36
.LBB2160_32:
	s_mov_b64 s[46:47], 0
                                        ; implicit-def: $sgpr6_sgpr7
	s_and_b64 vcc, exec, s[8:9]
	s_cbranch_vccz .LBB2160_36
.LBB2160_33:
	v_lshlrev_b32_e32 v5, 2, v8
	v_mov_b32_e32 v1, s29
	v_add_co_u32_e32 v0, vcc, s28, v5
	v_addc_co_u32_e32 v1, vcc, 0, v1, vcc
	flat_load_dword v4, v[0:1]
	flat_load_dword v6, v[0:1] offset:1024
	flat_load_dword v7, v[0:1] offset:2048
	v_pk_mov_b32 v[0:1], s[28:29], s[28:29] op_sel:[0,1]
	s_movk_i32 s6, 0xff
	v_cmp_ne_u32_e32 vcc, s6, v8
	s_waitcnt vmcnt(0) lgkmcnt(0)
	ds_write2st64_b32 v5, v4, v6 offset1:4
	ds_write_b32 v5, v7 offset:2048
	s_waitcnt lgkmcnt(0)
	s_barrier
	flat_load_dword v4, v[0:1] offset:3072
	v_lshl_add_u32 v0, v8, 3, v5
	ds_read_b32 v6, v0
	ds_read2_b32 v[0:1], v0 offset0:1 offset1:2
	s_waitcnt lgkmcnt(0)
	ds_write_b32 v5, v6 offset:4096
	s_waitcnt lgkmcnt(0)
	s_barrier
	s_and_saveexec_b64 s[6:7], vcc
	s_cbranch_execz .LBB2160_35
; %bb.34:
	s_waitcnt vmcnt(0)
	ds_read_b32 v4, v5 offset:4100
.LBB2160_35:
	s_or_b64 exec, exec, s[6:7]
	v_lshlrev_b32_e32 v7, 5, v8
	v_mov_b32_e32 v9, s33
	v_add_co_u32_e32 v12, vcc, s11, v7
	v_addc_co_u32_e32 v13, vcc, 0, v9, vcc
	s_waitcnt lgkmcnt(0)
	s_barrier
	flat_load_dwordx4 v[20:23], v[12:13]
	flat_load_dwordx4 v[24:27], v[12:13] offset:16
	s_movk_i32 s6, 0x2000
	v_add_co_u32_e32 v16, vcc, s6, v12
	v_addc_co_u32_e32 v17, vcc, 0, v13, vcc
	s_movk_i32 s6, 0x4000
	v_add_co_u32_e32 v12, vcc, s6, v12
	v_addc_co_u32_e32 v13, vcc, 0, v13, vcc
	v_mad_u32_u24 v5, v8, 28, v5
	v_lshl_add_u32 v10, v8, 6, v5
	v_cmp_ne_u32_e32 vcc, v6, v0
	v_mov_b32_e32 v6, 0x60
	v_mov_b32_e32 v7, 0
	v_cmp_ne_u32_e64 s[6:7], v0, v1
	v_cndmask_b32_e32 v7, v7, v6, vcc
                                        ; kill: killed $vgpr12 killed $vgpr13
	v_cndmask_b32_e64 v9, 0, 1, vcc
	v_cndmask_b32_e64 v0, 0, 1, s[6:7]
	s_mov_b64 s[46:47], -1
                                        ; kill: killed $vgpr7
	s_waitcnt vmcnt(0) lgkmcnt(0)
	buffer_store_dword v21, off, s[0:3], 0 offset:4
	buffer_store_dword v20, off, s[0:3], 0
	buffer_store_dword v23, off, s[0:3], 0 offset:12
	buffer_store_dword v22, off, s[0:3], 0 offset:8
	;; [unrolled: 1-line block ×6, first 2 shown]
	flat_load_dwordx4 v[28:31], v[16:17]
	flat_load_dwordx4 v[32:35], v[16:17] offset:16
	s_waitcnt vmcnt(0) lgkmcnt(0)
	buffer_store_dword v29, off, s[0:3], 0 offset:36
	buffer_store_dword v28, off, s[0:3], 0 offset:32
	;; [unrolled: 1-line block ×8, first 2 shown]
	flat_load_dwordx4 v[28:31], v[12:13]
	s_nop 0
	flat_load_dwordx4 v[32:35], v[12:13] offset:16
	buffer_load_dword v39, v3, s[0:3], 0 offen offset:28
	buffer_load_dword v38, v3, s[0:3], 0 offen offset:24
	buffer_load_dword v37, v3, s[0:3], 0 offen offset:20
	buffer_load_dword v36, v3, s[0:3], 0 offen offset:16
	buffer_load_dword v43, v3, s[0:3], 0 offen offset:12
	buffer_load_dword v42, v3, s[0:3], 0 offen offset:8
	buffer_load_dword v41, v3, s[0:3], 0 offen offset:4
	buffer_load_dword v40, v3, s[0:3], 0 offen
	s_waitcnt vmcnt(0) lgkmcnt(0)
	buffer_store_dword v29, off, s[0:3], 0 offset:68
	buffer_store_dword v28, off, s[0:3], 0 offset:64
	;; [unrolled: 1-line block ×8, first 2 shown]
	buffer_load_dword v28, v2, s[0:3], 0 offen offset:16
	buffer_load_dword v29, v2, s[0:3], 0 offen offset:20
	;; [unrolled: 1-line block ×4, first 2 shown]
	buffer_load_dword v32, v2, s[0:3], 0 offen
	buffer_load_dword v33, v2, s[0:3], 0 offen offset:4
	buffer_load_dword v34, v2, s[0:3], 0 offen offset:8
	;; [unrolled: 1-line block ×3, first 2 shown]
	ds_write_b128 v5, v[24:27] offset:16
	ds_write_b128 v5, v[20:23]
	ds_write_b128 v5, v[40:43] offset:8192
	ds_write_b128 v5, v[36:39] offset:8208
	s_waitcnt vmcnt(4)
	ds_write_b128 v5, v[28:31] offset:16400
	s_waitcnt vmcnt(0)
	ds_write_b128 v5, v[32:35] offset:16384
	s_waitcnt lgkmcnt(0)
	s_barrier
	ds_read_b128 v[20:23], v10
	ds_read_b128 v[24:27], v10 offset:16
	ds_read_b128 v[28:31], v10 offset:32
	;; [unrolled: 1-line block ×3, first 2 shown]
	s_waitcnt lgkmcnt(3)
	buffer_store_dword v23, off, s[0:3], 0 offset:12
	buffer_store_dword v22, off, s[0:3], 0 offset:8
	;; [unrolled: 1-line block ×3, first 2 shown]
	buffer_store_dword v20, off, s[0:3], 0
	s_waitcnt lgkmcnt(2)
	buffer_store_dword v27, off, s[0:3], 0 offset:28
	buffer_store_dword v26, off, s[0:3], 0 offset:24
	;; [unrolled: 1-line block ×4, first 2 shown]
	s_waitcnt lgkmcnt(1)
	buffer_store_dword v31, v3, s[0:3], 0 offen offset:12
	v_cndmask_b32_e64 v5, v3, v6, s[6:7]
	buffer_load_dword v12, v7, s[0:3], 0 offen
	buffer_load_dword v13, v7, s[0:3], 0 offen offset:4
	buffer_load_dword v15, v7, s[0:3], 0 offen offset:8
	;; [unrolled: 1-line block ×7, first 2 shown]
	s_nop 0
	buffer_store_dword v30, v3, s[0:3], 0 offen offset:8
	buffer_store_dword v29, v3, s[0:3], 0 offen offset:4
	buffer_store_dword v28, v3, s[0:3], 0 offen
	s_waitcnt lgkmcnt(0)
	buffer_store_dword v35, v3, s[0:3], 0 offen offset:28
	buffer_store_dword v34, v3, s[0:3], 0 offen offset:24
	;; [unrolled: 1-line block ×4, first 2 shown]
	buffer_load_dword v3, v5, s[0:3], 0 offen offset:28
	s_nop 0
	buffer_load_dword v27, v5, s[0:3], 0 offen offset:24
	buffer_load_dword v28, v5, s[0:3], 0 offen offset:20
	;; [unrolled: 1-line block ×6, first 2 shown]
	buffer_load_dword v33, v5, s[0:3], 0 offen
	ds_read_b128 v[20:23], v10 offset:64
	v_cmp_ne_u32_e64 s[6:7], v1, v4
                                        ; kill: killed $vgpr5
	ds_read_b128 v[4:7], v10 offset:80
	buffer_store_byte v9, off, s[0:3], 0 offset:352
	buffer_store_byte v0, off, s[0:3], 0 offset:388
	s_waitcnt lgkmcnt(1)
	buffer_store_dword v23, v2, s[0:3], 0 offen offset:12
	buffer_store_dword v22, v2, s[0:3], 0 offen offset:8
	buffer_store_dword v21, v2, s[0:3], 0 offen offset:4
	buffer_store_dword v20, v2, s[0:3], 0 offen
	s_waitcnt lgkmcnt(0)
	buffer_store_dword v7, v2, s[0:3], 0 offen offset:28
	buffer_store_dword v6, v2, s[0:3], 0 offen offset:24
	;; [unrolled: 1-line block ×4, first 2 shown]
	s_waitcnt vmcnt(25)
	buffer_store_dword v26, off, s[0:3], 0 offset:348
	buffer_store_dword v25, off, s[0:3], 0 offset:344
	;; [unrolled: 1-line block ×8, first 2 shown]
	s_waitcnt vmcnt(25)
	buffer_store_dword v3, v18, s[0:3], 0 offen offset:28
	s_waitcnt vmcnt(25)
	buffer_store_dword v27, v18, s[0:3], 0 offen offset:24
	;; [unrolled: 2-line block ×7, first 2 shown]
	s_waitcnt vmcnt(25)
	buffer_store_dword v33, v18, s[0:3], 0 offen
.LBB2160_36:
	s_and_saveexec_b64 s[8:9], s[46:47]
	s_cbranch_execz .LBB2160_38
; %bb.37:
	v_mov_b32_e32 v0, 0x60
	v_cndmask_b32_e64 v0, v2, v0, s[6:7]
	buffer_load_dword v1, v0, s[0:3], 0 offen offset:12
	buffer_load_dword v2, v0, s[0:3], 0 offen offset:8
	;; [unrolled: 1-line block ×3, first 2 shown]
	buffer_load_dword v4, v0, s[0:3], 0 offen
	buffer_load_dword v5, v0, s[0:3], 0 offen offset:28
	buffer_load_dword v6, v0, s[0:3], 0 offen offset:24
	;; [unrolled: 1-line block ×4, first 2 shown]
                                        ; kill: killed $vgpr0
	v_cndmask_b32_e64 v0, 0, 1, s[6:7]
	s_waitcnt vmcnt(7)
	buffer_store_dword v1, v19, s[0:3], 0 offen offset:12
	s_waitcnt vmcnt(7)
	buffer_store_dword v2, v19, s[0:3], 0 offen offset:8
	;; [unrolled: 2-line block ×3, first 2 shown]
	s_waitcnt vmcnt(7)
	buffer_store_dword v4, v19, s[0:3], 0 offen
	s_waitcnt vmcnt(7)
	buffer_store_dword v5, v19, s[0:3], 0 offen offset:28
	s_waitcnt vmcnt(7)
	buffer_store_dword v6, v19, s[0:3], 0 offen offset:24
	;; [unrolled: 2-line block ×4, first 2 shown]
	buffer_store_byte v0, off, s[0:3], 0 offset:424
.LBB2160_38:
	s_or_b64 exec, exec, s[8:9]
	s_cmp_lg_u32 s10, 0
	s_barrier
	s_cbranch_scc0 .LBB2160_309
; %bb.39:
	buffer_load_dword v0, off, s[0:3], 0 offset:332
	buffer_load_dword v1, off, s[0:3], 0 offset:328
	;; [unrolled: 1-line block ×9, first 2 shown]
	buffer_load_ubyte v10, off, s[0:3], 0 offset:388
	s_waitcnt vmcnt(9)
	buffer_store_dword v0, off, s[0:3], 0 offset:252
	s_waitcnt vmcnt(9)
	buffer_store_dword v1, off, s[0:3], 0 offset:248
	s_waitcnt vmcnt(9)
	buffer_store_dword v2, off, s[0:3], 0 offset:244
	s_waitcnt vmcnt(9)
	buffer_store_dword v3, off, s[0:3], 0 offset:240
	s_waitcnt vmcnt(9)
	buffer_store_dword v4, off, s[0:3], 0 offset:268
	s_waitcnt vmcnt(9)
	buffer_store_dword v5, off, s[0:3], 0 offset:264
	s_waitcnt vmcnt(9)
	buffer_store_dword v6, off, s[0:3], 0 offset:260
	s_waitcnt vmcnt(9)
	buffer_store_dword v7, off, s[0:3], 0 offset:256
	s_waitcnt vmcnt(9)
	buffer_store_dword v9, off, s[0:3], 0 offset:272
	s_waitcnt vmcnt(9)
	v_cmp_ne_u16_e32 vcc, 0, v10
                                        ; implicit-def: $vgpr6_vgpr7
                                        ; implicit-def: $vgpr4_vgpr5
                                        ; implicit-def: $vgpr2_vgpr3
                                        ; implicit-def: $vgpr0_vgpr1
	s_and_saveexec_b64 s[6:7], vcc
	s_xor_b64 s[6:7], exec, s[6:7]
	s_cbranch_execz .LBB2160_41
; %bb.40:
	buffer_load_dword v0, off, s[0:3], 0 offset:356
	buffer_load_dword v1, off, s[0:3], 0 offset:360
	;; [unrolled: 1-line block ×8, first 2 shown]
.LBB2160_41:
	s_andn2_saveexec_b64 s[6:7], s[6:7]
	s_cbranch_execz .LBB2160_47
; %bb.42:
	s_mov_b32 s8, 0
	s_waitcnt vmcnt(7)
	v_mov_b32_e32 v0, 0
	s_waitcnt vmcnt(6)
	v_mov_b32_e32 v1, 0
	s_waitcnt vmcnt(0)
.LBB2160_43:                            ; =>This Inner Loop Header: Depth=1
	v_add_u32_e32 v2, s8, v0
	s_add_i32 s8, s8, 8
	s_cmp_lg_u32 s8, 32
	buffer_store_dword v1, v2, s[0:3], 0 offen offset:4
	buffer_store_dword v1, v2, s[0:3], 0 offen
	s_cbranch_scc1 .LBB2160_43
; %bb.44:
	s_mov_b32 s8, 0
	v_mov_b32_e32 v0, 0xf0
	v_mov_b32_e32 v1, 0x140
	;; [unrolled: 1-line block ×3, first 2 shown]
.LBB2160_45:                            ; =>This Inner Loop Header: Depth=1
	v_add_u32_e32 v3, s8, v0
	v_add_u32_e32 v4, s8, v1
	buffer_load_dword v5, v3, s[0:3], 0 offen offset:4
	buffer_load_dword v6, v4, s[0:3], 0 offen offset:36
	buffer_load_dword v7, v3, s[0:3], 0 offen
	buffer_load_dword v12, v4, s[0:3], 0 offen offset:40
	v_add_u32_e32 v3, s8, v2
	s_add_i32 s8, s8, 8
	s_cmp_lg_u32 s8, 32
	s_waitcnt vmcnt(1)
	v_add_u32_e32 v4, v6, v7
	s_waitcnt vmcnt(0)
	v_add_u32_e32 v5, v12, v5
	buffer_store_dword v5, v3, s[0:3], 0 offen offset:4
	buffer_store_dword v4, v3, s[0:3], 0 offen
	s_cbranch_scc1 .LBB2160_45
; %bb.46:
	buffer_load_dword v0, off, s[0:3], 0
	buffer_load_dword v1, off, s[0:3], 0 offset:4
	buffer_load_dword v2, off, s[0:3], 0 offset:8
	;; [unrolled: 1-line block ×7, first 2 shown]
.LBB2160_47:
	s_or_b64 exec, exec, s[6:7]
	buffer_load_ubyte v12, off, s[0:3], 0 offset:424
	s_waitcnt vmcnt(7)
	buffer_store_dword v1, off, s[0:3], 0 offset:244
	buffer_store_dword v0, off, s[0:3], 0 offset:240
	s_waitcnt vmcnt(7)
	buffer_store_dword v3, off, s[0:3], 0 offset:252
	buffer_store_dword v2, off, s[0:3], 0 offset:248
	;; [unrolled: 3-line block ×4, first 2 shown]
                                        ; implicit-def: $vgpr6_vgpr7
                                        ; implicit-def: $vgpr4_vgpr5
                                        ; implicit-def: $vgpr2_vgpr3
                                        ; implicit-def: $vgpr0_vgpr1
	s_waitcnt vmcnt(8)
	v_cmp_ne_u16_e32 vcc, 0, v12
	s_and_saveexec_b64 s[6:7], vcc
	s_xor_b64 s[6:7], exec, s[6:7]
	s_cbranch_execz .LBB2160_49
; %bb.48:
	buffer_load_dword v0, off, s[0:3], 0 offset:392
	buffer_load_dword v1, off, s[0:3], 0 offset:396
	;; [unrolled: 1-line block ×8, first 2 shown]
.LBB2160_49:
	s_andn2_saveexec_b64 s[6:7], s[6:7]
	s_cbranch_execz .LBB2160_55
; %bb.50:
	s_mov_b32 s8, 0
	s_waitcnt vmcnt(7)
	v_mov_b32_e32 v0, 0
	s_waitcnt vmcnt(6)
	v_mov_b32_e32 v1, 0
	s_waitcnt vmcnt(0)
.LBB2160_51:                            ; =>This Inner Loop Header: Depth=1
	v_add_u32_e32 v2, s8, v0
	s_add_i32 s8, s8, 8
	s_cmp_lg_u32 s8, 32
	buffer_store_dword v1, v2, s[0:3], 0 offen offset:4
	buffer_store_dword v1, v2, s[0:3], 0 offen
	s_cbranch_scc1 .LBB2160_51
; %bb.52:
	s_mov_b32 s8, 0
	v_mov_b32_e32 v0, 0xf0
	v_mov_b32_e32 v1, 0x140
	;; [unrolled: 1-line block ×3, first 2 shown]
.LBB2160_53:                            ; =>This Inner Loop Header: Depth=1
	v_add_u32_e32 v3, s8, v0
	v_add_u32_e32 v4, s8, v1
	buffer_load_dword v5, v3, s[0:3], 0 offen offset:4
	buffer_load_dword v6, v4, s[0:3], 0 offen offset:72
	buffer_load_dword v7, v3, s[0:3], 0 offen
	buffer_load_dword v13, v4, s[0:3], 0 offen offset:76
	v_add_u32_e32 v3, s8, v2
	s_add_i32 s8, s8, 8
	s_cmp_lg_u32 s8, 32
	s_waitcnt vmcnt(1)
	v_add_u32_e32 v4, v6, v7
	s_waitcnt vmcnt(0)
	v_add_u32_e32 v5, v13, v5
	buffer_store_dword v5, v3, s[0:3], 0 offen offset:4
	buffer_store_dword v4, v3, s[0:3], 0 offen
	s_cbranch_scc1 .LBB2160_53
; %bb.54:
	buffer_load_dword v0, off, s[0:3], 0
	buffer_load_dword v1, off, s[0:3], 0 offset:4
	buffer_load_dword v2, off, s[0:3], 0 offset:8
	;; [unrolled: 1-line block ×7, first 2 shown]
.LBB2160_55:
	s_or_b64 exec, exec, s[6:7]
	v_or_b32_e32 v10, v12, v10
	v_or_b32_e32 v9, v10, v9
	v_and_b32_e32 v9, 1, v9
	buffer_store_byte v9, off, s[0:3], 0 offset:272
	buffer_load_dword v10, off, s[0:3], 0 offset:272
	v_mbcnt_lo_u32_b32 v9, -1, 0
	s_waitcnt vmcnt(9)
	v_mov_b32_dpp v12, v0 row_shr:1 row_mask:0xf bank_mask:0xf
	v_mbcnt_hi_u32_b32 v9, -1, v9
	s_waitcnt vmcnt(8)
	buffer_store_dword v1, off, s[0:3], 0 offset:244
	buffer_store_dword v0, off, s[0:3], 0 offset:240
	s_waitcnt vmcnt(8)
	buffer_store_dword v3, off, s[0:3], 0 offset:252
	buffer_store_dword v2, off, s[0:3], 0 offset:248
	;; [unrolled: 3-line block ×4, first 2 shown]
	v_mov_b32_dpp v13, v1 row_shr:1 row_mask:0xf bank_mask:0xf
	v_mov_b32_dpp v15, v2 row_shr:1 row_mask:0xf bank_mask:0xf
	;; [unrolled: 1-line block ×7, first 2 shown]
	buffer_store_dword v12, off, s[0:3], 0
	buffer_store_dword v13, off, s[0:3], 0 offset:4
	buffer_store_dword v15, off, s[0:3], 0 offset:8
	;; [unrolled: 1-line block ×7, first 2 shown]
	v_and_b32_e32 v12, 15, v9
	v_cmp_ne_u32_e32 vcc, 0, v12
	s_waitcnt vmcnt(16)
	v_mov_b32_dpp v13, v10 row_shr:1 row_mask:0xf bank_mask:0xf
	buffer_store_dword v13, off, s[0:3], 0 offset:32
	s_and_saveexec_b64 s[6:7], vcc
	s_xor_b64 s[6:7], exec, s[6:7]
	s_cbranch_execz .LBB2160_63
; %bb.56:
	v_mov_b32_e32 v15, 0
	v_cmp_eq_u16_sdwa s[12:13], v10, v15 src0_sel:BYTE_0 src1_sel:DWORD
	s_and_saveexec_b64 s[8:9], s[12:13]
	s_cbranch_execz .LBB2160_62
; %bb.57:
	s_mov_b32 s11, 0
	v_mov_b32_e32 v0, 0x60
.LBB2160_58:                            ; =>This Inner Loop Header: Depth=1
	v_add_u32_e32 v1, s11, v0
	s_add_i32 s11, s11, 8
	s_cmp_lg_u32 s11, 32
	buffer_store_dword v15, v1, s[0:3], 0 offen offset:4
	buffer_store_dword v15, v1, s[0:3], 0 offen
	s_cbranch_scc1 .LBB2160_58
; %bb.59:
	s_mov_b32 s11, 0
	v_mov_b32_e32 v0, 0
	v_mov_b32_e32 v1, 0xf0
	;; [unrolled: 1-line block ×3, first 2 shown]
.LBB2160_60:                            ; =>This Inner Loop Header: Depth=1
	v_add_u32_e32 v3, s11, v0
	v_add_u32_e32 v4, s11, v1
	buffer_load_dword v5, v3, s[0:3], 0 offen offset:4
	buffer_load_dword v6, v4, s[0:3], 0 offen
	buffer_load_dword v7, v3, s[0:3], 0 offen
	buffer_load_dword v15, v4, s[0:3], 0 offen offset:4
	v_add_u32_e32 v3, s11, v2
	s_add_i32 s11, s11, 8
	s_cmp_lg_u32 s11, 32
	s_waitcnt vmcnt(1)
	v_add_u32_e32 v4, v6, v7
	s_waitcnt vmcnt(0)
	v_add_u32_e32 v5, v15, v5
	buffer_store_dword v5, v3, s[0:3], 0 offen offset:4
	buffer_store_dword v4, v3, s[0:3], 0 offen
	s_cbranch_scc1 .LBB2160_60
; %bb.61:
	buffer_load_dword v0, off, s[0:3], 0 offset:96
	buffer_load_dword v1, off, s[0:3], 0 offset:100
	;; [unrolled: 1-line block ×8, first 2 shown]
.LBB2160_62:
	s_or_b64 exec, exec, s[8:9]
	v_or_b32_e32 v10, v13, v10
	v_and_b32_e32 v10, 1, v10
	buffer_store_byte v10, off, s[0:3], 0 offset:272
	buffer_load_dword v10, off, s[0:3], 0 offset:272
	s_waitcnt vmcnt(8)
	buffer_store_dword v1, off, s[0:3], 0 offset:244
	buffer_store_dword v0, off, s[0:3], 0 offset:240
	s_waitcnt vmcnt(8)
	buffer_store_dword v3, off, s[0:3], 0 offset:252
	buffer_store_dword v2, off, s[0:3], 0 offset:248
	s_waitcnt vmcnt(8)
	buffer_store_dword v5, off, s[0:3], 0 offset:260
	buffer_store_dword v4, off, s[0:3], 0 offset:256
	s_waitcnt vmcnt(8)
	buffer_store_dword v7, off, s[0:3], 0 offset:268
	buffer_store_dword v6, off, s[0:3], 0 offset:264
.LBB2160_63:
	s_or_b64 exec, exec, s[6:7]
	v_mov_b32_dpp v15, v0 row_shr:2 row_mask:0xf bank_mask:0xf
	s_waitcnt vmcnt(8)
	v_mov_b32_dpp v13, v10 row_shr:2 row_mask:0xf bank_mask:0xf
	v_cmp_lt_u32_e32 vcc, 1, v12
	v_mov_b32_dpp v16, v1 row_shr:2 row_mask:0xf bank_mask:0xf
	v_mov_b32_dpp v17, v2 row_shr:2 row_mask:0xf bank_mask:0xf
	;; [unrolled: 1-line block ×7, first 2 shown]
	buffer_store_dword v15, off, s[0:3], 0
	buffer_store_dword v16, off, s[0:3], 0 offset:4
	buffer_store_dword v17, off, s[0:3], 0 offset:8
	;; [unrolled: 1-line block ×8, first 2 shown]
	s_and_saveexec_b64 s[8:9], vcc
	s_cbranch_execz .LBB2160_71
; %bb.64:
	v_mov_b32_e32 v15, 0
	s_mov_b32 s11, 0
	v_cmp_eq_u16_sdwa s[12:13], v10, v15 src0_sel:BYTE_0 src1_sel:DWORD
	s_and_saveexec_b64 s[6:7], s[12:13]
	s_cbranch_execz .LBB2160_70
; %bb.65:
	v_mov_b32_e32 v0, 0x60
.LBB2160_66:                            ; =>This Inner Loop Header: Depth=1
	v_add_u32_e32 v1, s11, v0
	s_add_i32 s11, s11, 8
	s_cmp_lg_u32 s11, 32
	buffer_store_dword v15, v1, s[0:3], 0 offen offset:4
	buffer_store_dword v15, v1, s[0:3], 0 offen
	s_cbranch_scc1 .LBB2160_66
; %bb.67:
	s_mov_b32 s11, 0
	v_mov_b32_e32 v0, 0
	v_mov_b32_e32 v1, 0xf0
	v_mov_b32_e32 v2, 0x60
.LBB2160_68:                            ; =>This Inner Loop Header: Depth=1
	v_add_u32_e32 v3, s11, v0
	v_add_u32_e32 v4, s11, v1
	buffer_load_dword v5, v3, s[0:3], 0 offen offset:4
	buffer_load_dword v6, v4, s[0:3], 0 offen
	buffer_load_dword v7, v3, s[0:3], 0 offen
	buffer_load_dword v15, v4, s[0:3], 0 offen offset:4
	v_add_u32_e32 v3, s11, v2
	s_add_i32 s11, s11, 8
	s_cmp_lg_u32 s11, 32
	s_waitcnt vmcnt(1)
	v_add_u32_e32 v4, v6, v7
	s_waitcnt vmcnt(0)
	v_add_u32_e32 v5, v15, v5
	buffer_store_dword v5, v3, s[0:3], 0 offen offset:4
	buffer_store_dword v4, v3, s[0:3], 0 offen
	s_cbranch_scc1 .LBB2160_68
; %bb.69:
	buffer_load_dword v0, off, s[0:3], 0 offset:96
	buffer_load_dword v1, off, s[0:3], 0 offset:100
	;; [unrolled: 1-line block ×8, first 2 shown]
.LBB2160_70:
	s_or_b64 exec, exec, s[6:7]
	v_and_b32_e32 v10, 1, v10
	v_cmp_eq_u32_e32 vcc, 1, v10
	v_and_b32_e32 v10, 1, v13
	v_cmp_eq_u32_e64 s[6:7], 1, v10
	s_or_b64 s[6:7], vcc, s[6:7]
	v_cndmask_b32_e64 v10, 0, 1, s[6:7]
	buffer_store_byte v10, off, s[0:3], 0 offset:272
	buffer_load_dword v10, off, s[0:3], 0 offset:272
	s_waitcnt vmcnt(8)
	buffer_store_dword v1, off, s[0:3], 0 offset:244
	buffer_store_dword v0, off, s[0:3], 0 offset:240
	s_waitcnt vmcnt(8)
	buffer_store_dword v3, off, s[0:3], 0 offset:252
	buffer_store_dword v2, off, s[0:3], 0 offset:248
	;; [unrolled: 3-line block ×4, first 2 shown]
.LBB2160_71:
	s_or_b64 exec, exec, s[8:9]
	v_mov_b32_dpp v15, v0 row_shr:4 row_mask:0xf bank_mask:0xf
	s_waitcnt vmcnt(8)
	v_mov_b32_dpp v13, v10 row_shr:4 row_mask:0xf bank_mask:0xf
	v_cmp_lt_u32_e32 vcc, 3, v12
	v_mov_b32_dpp v16, v1 row_shr:4 row_mask:0xf bank_mask:0xf
	v_mov_b32_dpp v17, v2 row_shr:4 row_mask:0xf bank_mask:0xf
	v_mov_b32_dpp v20, v3 row_shr:4 row_mask:0xf bank_mask:0xf
	v_mov_b32_dpp v21, v4 row_shr:4 row_mask:0xf bank_mask:0xf
	v_mov_b32_dpp v22, v5 row_shr:4 row_mask:0xf bank_mask:0xf
	v_mov_b32_dpp v23, v6 row_shr:4 row_mask:0xf bank_mask:0xf
	v_mov_b32_dpp v24, v7 row_shr:4 row_mask:0xf bank_mask:0xf
	buffer_store_dword v15, off, s[0:3], 0
	buffer_store_dword v16, off, s[0:3], 0 offset:4
	buffer_store_dword v17, off, s[0:3], 0 offset:8
	;; [unrolled: 1-line block ×8, first 2 shown]
	s_and_saveexec_b64 s[8:9], vcc
	s_cbranch_execz .LBB2160_79
; %bb.72:
	v_mov_b32_e32 v15, 0
	s_mov_b32 s11, 0
	v_cmp_eq_u16_sdwa s[12:13], v10, v15 src0_sel:BYTE_0 src1_sel:DWORD
	s_and_saveexec_b64 s[6:7], s[12:13]
	s_cbranch_execz .LBB2160_78
; %bb.73:
	v_mov_b32_e32 v0, 0x60
.LBB2160_74:                            ; =>This Inner Loop Header: Depth=1
	v_add_u32_e32 v1, s11, v0
	s_add_i32 s11, s11, 8
	s_cmp_lg_u32 s11, 32
	buffer_store_dword v15, v1, s[0:3], 0 offen offset:4
	buffer_store_dword v15, v1, s[0:3], 0 offen
	s_cbranch_scc1 .LBB2160_74
; %bb.75:
	s_mov_b32 s11, 0
	v_mov_b32_e32 v0, 0
	v_mov_b32_e32 v1, 0xf0
	;; [unrolled: 1-line block ×3, first 2 shown]
.LBB2160_76:                            ; =>This Inner Loop Header: Depth=1
	v_add_u32_e32 v3, s11, v0
	v_add_u32_e32 v4, s11, v1
	buffer_load_dword v5, v3, s[0:3], 0 offen offset:4
	buffer_load_dword v6, v4, s[0:3], 0 offen
	buffer_load_dword v7, v3, s[0:3], 0 offen
	buffer_load_dword v15, v4, s[0:3], 0 offen offset:4
	v_add_u32_e32 v3, s11, v2
	s_add_i32 s11, s11, 8
	s_cmp_lg_u32 s11, 32
	s_waitcnt vmcnt(1)
	v_add_u32_e32 v4, v6, v7
	s_waitcnt vmcnt(0)
	v_add_u32_e32 v5, v15, v5
	buffer_store_dword v5, v3, s[0:3], 0 offen offset:4
	buffer_store_dword v4, v3, s[0:3], 0 offen
	s_cbranch_scc1 .LBB2160_76
; %bb.77:
	buffer_load_dword v0, off, s[0:3], 0 offset:96
	buffer_load_dword v1, off, s[0:3], 0 offset:100
	;; [unrolled: 1-line block ×8, first 2 shown]
.LBB2160_78:
	s_or_b64 exec, exec, s[6:7]
	v_and_b32_e32 v10, 1, v10
	v_cmp_eq_u32_e32 vcc, 1, v10
	v_and_b32_e32 v10, 1, v13
	v_cmp_eq_u32_e64 s[6:7], 1, v10
	s_or_b64 s[6:7], vcc, s[6:7]
	v_cndmask_b32_e64 v10, 0, 1, s[6:7]
	buffer_store_byte v10, off, s[0:3], 0 offset:272
	buffer_load_dword v10, off, s[0:3], 0 offset:272
	s_waitcnt vmcnt(8)
	buffer_store_dword v1, off, s[0:3], 0 offset:244
	buffer_store_dword v0, off, s[0:3], 0 offset:240
	s_waitcnt vmcnt(8)
	buffer_store_dword v3, off, s[0:3], 0 offset:252
	buffer_store_dword v2, off, s[0:3], 0 offset:248
	;; [unrolled: 3-line block ×4, first 2 shown]
.LBB2160_79:
	s_or_b64 exec, exec, s[8:9]
	v_mov_b32_dpp v15, v0 row_shr:8 row_mask:0xf bank_mask:0xf
	s_waitcnt vmcnt(8)
	v_mov_b32_dpp v13, v10 row_shr:8 row_mask:0xf bank_mask:0xf
	v_cmp_lt_u32_e32 vcc, 7, v12
	v_mov_b32_dpp v16, v1 row_shr:8 row_mask:0xf bank_mask:0xf
	v_mov_b32_dpp v17, v2 row_shr:8 row_mask:0xf bank_mask:0xf
	;; [unrolled: 1-line block ×7, first 2 shown]
	buffer_store_dword v15, off, s[0:3], 0
	buffer_store_dword v16, off, s[0:3], 0 offset:4
	buffer_store_dword v17, off, s[0:3], 0 offset:8
	;; [unrolled: 1-line block ×8, first 2 shown]
	s_and_saveexec_b64 s[8:9], vcc
	s_cbranch_execz .LBB2160_87
; %bb.80:
	v_mov_b32_e32 v12, 0
	s_mov_b32 s11, 0
	v_cmp_eq_u16_sdwa s[12:13], v10, v12 src0_sel:BYTE_0 src1_sel:DWORD
	s_and_saveexec_b64 s[6:7], s[12:13]
	s_cbranch_execz .LBB2160_86
; %bb.81:
	v_mov_b32_e32 v0, 0x60
.LBB2160_82:                            ; =>This Inner Loop Header: Depth=1
	v_add_u32_e32 v1, s11, v0
	s_add_i32 s11, s11, 8
	s_cmp_lg_u32 s11, 32
	buffer_store_dword v12, v1, s[0:3], 0 offen offset:4
	buffer_store_dword v12, v1, s[0:3], 0 offen
	s_cbranch_scc1 .LBB2160_82
; %bb.83:
	s_mov_b32 s11, 0
	v_mov_b32_e32 v0, 0
	v_mov_b32_e32 v1, 0xf0
	;; [unrolled: 1-line block ×3, first 2 shown]
.LBB2160_84:                            ; =>This Inner Loop Header: Depth=1
	v_add_u32_e32 v3, s11, v0
	v_add_u32_e32 v4, s11, v1
	buffer_load_dword v5, v3, s[0:3], 0 offen offset:4
	buffer_load_dword v6, v4, s[0:3], 0 offen
	buffer_load_dword v7, v3, s[0:3], 0 offen
	buffer_load_dword v12, v4, s[0:3], 0 offen offset:4
	v_add_u32_e32 v3, s11, v2
	s_add_i32 s11, s11, 8
	s_cmp_lg_u32 s11, 32
	s_waitcnt vmcnt(1)
	v_add_u32_e32 v4, v6, v7
	s_waitcnt vmcnt(0)
	v_add_u32_e32 v5, v12, v5
	buffer_store_dword v5, v3, s[0:3], 0 offen offset:4
	buffer_store_dword v4, v3, s[0:3], 0 offen
	s_cbranch_scc1 .LBB2160_84
; %bb.85:
	buffer_load_dword v0, off, s[0:3], 0 offset:96
	buffer_load_dword v1, off, s[0:3], 0 offset:100
	;; [unrolled: 1-line block ×8, first 2 shown]
.LBB2160_86:
	s_or_b64 exec, exec, s[6:7]
	v_and_b32_e32 v10, 1, v10
	v_cmp_eq_u32_e32 vcc, 1, v10
	v_and_b32_e32 v10, 1, v13
	v_cmp_eq_u32_e64 s[6:7], 1, v10
	s_or_b64 s[6:7], vcc, s[6:7]
	v_cndmask_b32_e64 v10, 0, 1, s[6:7]
	buffer_store_byte v10, off, s[0:3], 0 offset:272
	buffer_load_dword v10, off, s[0:3], 0 offset:272
	s_waitcnt vmcnt(8)
	buffer_store_dword v1, off, s[0:3], 0 offset:244
	buffer_store_dword v0, off, s[0:3], 0 offset:240
	s_waitcnt vmcnt(8)
	buffer_store_dword v3, off, s[0:3], 0 offset:252
	buffer_store_dword v2, off, s[0:3], 0 offset:248
	;; [unrolled: 3-line block ×4, first 2 shown]
.LBB2160_87:
	s_or_b64 exec, exec, s[8:9]
	v_mov_b32_dpp v13, v0 row_bcast:15 row_mask:0xf bank_mask:0xf
	v_mov_b32_dpp v15, v1 row_bcast:15 row_mask:0xf bank_mask:0xf
	;; [unrolled: 1-line block ×8, first 2 shown]
	s_waitcnt vmcnt(8)
	v_mov_b32_dpp v12, v10 row_bcast:15 row_mask:0xf bank_mask:0xf
	buffer_store_dword v13, off, s[0:3], 0
	buffer_store_dword v15, off, s[0:3], 0 offset:4
	buffer_store_dword v16, off, s[0:3], 0 offset:8
	;; [unrolled: 1-line block ×8, first 2 shown]
	v_and_b32_e32 v13, 16, v9
	v_cmp_ne_u32_e32 vcc, 0, v13
	s_and_saveexec_b64 s[8:9], vcc
	s_cbranch_execz .LBB2160_95
; %bb.88:
	v_mov_b32_e32 v13, 0
	s_mov_b32 s11, 0
	v_cmp_eq_u16_sdwa s[12:13], v10, v13 src0_sel:BYTE_0 src1_sel:DWORD
	s_and_saveexec_b64 s[6:7], s[12:13]
	s_cbranch_execz .LBB2160_94
; %bb.89:
	v_mov_b32_e32 v0, 0x60
.LBB2160_90:                            ; =>This Inner Loop Header: Depth=1
	v_add_u32_e32 v1, s11, v0
	s_add_i32 s11, s11, 8
	s_cmp_lg_u32 s11, 32
	buffer_store_dword v13, v1, s[0:3], 0 offen offset:4
	buffer_store_dword v13, v1, s[0:3], 0 offen
	s_cbranch_scc1 .LBB2160_90
; %bb.91:
	s_mov_b32 s11, 0
	v_mov_b32_e32 v0, 0
	v_mov_b32_e32 v1, 0xf0
	v_mov_b32_e32 v2, 0x60
.LBB2160_92:                            ; =>This Inner Loop Header: Depth=1
	v_add_u32_e32 v3, s11, v0
	v_add_u32_e32 v4, s11, v1
	buffer_load_dword v5, v3, s[0:3], 0 offen offset:4
	buffer_load_dword v6, v4, s[0:3], 0 offen
	buffer_load_dword v7, v3, s[0:3], 0 offen
	buffer_load_dword v13, v4, s[0:3], 0 offen offset:4
	v_add_u32_e32 v3, s11, v2
	s_add_i32 s11, s11, 8
	s_cmp_lg_u32 s11, 32
	s_waitcnt vmcnt(1)
	v_add_u32_e32 v4, v6, v7
	s_waitcnt vmcnt(0)
	v_add_u32_e32 v5, v13, v5
	buffer_store_dword v5, v3, s[0:3], 0 offen offset:4
	buffer_store_dword v4, v3, s[0:3], 0 offen
	s_cbranch_scc1 .LBB2160_92
; %bb.93:
	buffer_load_dword v0, off, s[0:3], 0 offset:96
	buffer_load_dword v1, off, s[0:3], 0 offset:100
	;; [unrolled: 1-line block ×8, first 2 shown]
.LBB2160_94:
	s_or_b64 exec, exec, s[6:7]
	v_and_b32_e32 v10, 1, v10
	v_cmp_eq_u32_e32 vcc, 1, v10
	v_and_b32_e32 v10, 1, v12
	v_cmp_eq_u32_e64 s[6:7], 1, v10
	s_or_b64 s[6:7], vcc, s[6:7]
	v_cndmask_b32_e64 v10, 0, 1, s[6:7]
	buffer_store_byte v10, off, s[0:3], 0 offset:272
	buffer_load_dword v10, off, s[0:3], 0 offset:272
	s_waitcnt vmcnt(8)
	buffer_store_dword v1, off, s[0:3], 0 offset:244
	buffer_store_dword v0, off, s[0:3], 0 offset:240
	s_waitcnt vmcnt(8)
	buffer_store_dword v3, off, s[0:3], 0 offset:252
	buffer_store_dword v2, off, s[0:3], 0 offset:248
	;; [unrolled: 3-line block ×4, first 2 shown]
.LBB2160_95:
	s_or_b64 exec, exec, s[8:9]
	v_mov_b32_dpp v13, v0 row_bcast:31 row_mask:0xf bank_mask:0xf
	s_waitcnt vmcnt(8)
	v_mov_b32_dpp v12, v10 row_bcast:31 row_mask:0xf bank_mask:0xf
	v_cmp_lt_u32_e32 vcc, 31, v9
	v_mov_b32_dpp v15, v1 row_bcast:31 row_mask:0xf bank_mask:0xf
	v_mov_b32_dpp v16, v2 row_bcast:31 row_mask:0xf bank_mask:0xf
	;; [unrolled: 1-line block ×7, first 2 shown]
	buffer_store_dword v13, off, s[0:3], 0
	buffer_store_dword v15, off, s[0:3], 0 offset:4
	buffer_store_dword v16, off, s[0:3], 0 offset:8
	;; [unrolled: 1-line block ×8, first 2 shown]
	s_and_saveexec_b64 s[8:9], vcc
	s_cbranch_execz .LBB2160_103
; %bb.96:
	v_mov_b32_e32 v13, 0
	s_mov_b32 s11, 0
	v_cmp_eq_u16_sdwa s[12:13], v10, v13 src0_sel:BYTE_0 src1_sel:DWORD
	s_and_saveexec_b64 s[6:7], s[12:13]
	s_cbranch_execz .LBB2160_102
; %bb.97:
	v_mov_b32_e32 v0, 0x60
.LBB2160_98:                            ; =>This Inner Loop Header: Depth=1
	v_add_u32_e32 v1, s11, v0
	s_add_i32 s11, s11, 8
	s_cmp_lg_u32 s11, 32
	buffer_store_dword v13, v1, s[0:3], 0 offen offset:4
	buffer_store_dword v13, v1, s[0:3], 0 offen
	s_cbranch_scc1 .LBB2160_98
; %bb.99:
	s_mov_b32 s11, 0
	v_mov_b32_e32 v0, 0
	v_mov_b32_e32 v1, 0xf0
	;; [unrolled: 1-line block ×3, first 2 shown]
.LBB2160_100:                           ; =>This Inner Loop Header: Depth=1
	v_add_u32_e32 v3, s11, v0
	v_add_u32_e32 v4, s11, v1
	buffer_load_dword v5, v3, s[0:3], 0 offen offset:4
	buffer_load_dword v6, v4, s[0:3], 0 offen
	buffer_load_dword v7, v3, s[0:3], 0 offen
	buffer_load_dword v13, v4, s[0:3], 0 offen offset:4
	v_add_u32_e32 v3, s11, v2
	s_add_i32 s11, s11, 8
	s_cmp_lg_u32 s11, 32
	s_waitcnt vmcnt(1)
	v_add_u32_e32 v4, v6, v7
	s_waitcnt vmcnt(0)
	v_add_u32_e32 v5, v13, v5
	buffer_store_dword v5, v3, s[0:3], 0 offen offset:4
	buffer_store_dword v4, v3, s[0:3], 0 offen
	s_cbranch_scc1 .LBB2160_100
; %bb.101:
	buffer_load_dword v0, off, s[0:3], 0 offset:96
	buffer_load_dword v1, off, s[0:3], 0 offset:100
	;; [unrolled: 1-line block ×8, first 2 shown]
.LBB2160_102:
	s_or_b64 exec, exec, s[6:7]
	v_and_b32_e32 v10, 1, v10
	v_cmp_eq_u32_e32 vcc, 1, v10
	v_and_b32_e32 v10, 1, v12
	v_cmp_eq_u32_e64 s[6:7], 1, v10
	s_or_b64 s[6:7], vcc, s[6:7]
	v_cndmask_b32_e64 v10, 0, 1, s[6:7]
	s_waitcnt vmcnt(6)
	buffer_store_dword v1, off, s[0:3], 0 offset:244
	buffer_store_dword v0, off, s[0:3], 0 offset:240
	s_waitcnt vmcnt(6)
	buffer_store_dword v3, off, s[0:3], 0 offset:252
	buffer_store_dword v2, off, s[0:3], 0 offset:248
	;; [unrolled: 3-line block ×4, first 2 shown]
	buffer_store_byte v10, off, s[0:3], 0 offset:272
.LBB2160_103:
	s_or_b64 exec, exec, s[8:9]
	v_or_b32_e32 v13, 63, v8
	v_lshrrev_b32_e32 v12, 6, v8
	v_cmp_eq_u32_e32 vcc, v13, v8
	s_and_saveexec_b64 s[6:7], vcc
	s_cbranch_execz .LBB2160_105
; %bb.104:
	v_mul_u32_u24_e32 v13, 36, v12
	ds_write2_b32 v13, v0, v1 offset1:1
	ds_write2_b32 v13, v2, v3 offset0:2 offset1:3
	ds_write2_b32 v13, v4, v5 offset0:4 offset1:5
	;; [unrolled: 1-line block ×3, first 2 shown]
	ds_write_b8 v13, v10 offset:32
.LBB2160_105:
	s_or_b64 exec, exec, s[6:7]
	v_cmp_gt_u32_e32 vcc, 4, v8
	s_waitcnt lgkmcnt(0)
	s_barrier
	s_and_saveexec_b64 s[8:9], vcc
	s_cbranch_execz .LBB2160_123
; %bb.106:
	v_mul_u32_u24_e32 v10, 36, v8
	ds_read_b32 v13, v10 offset:32
	ds_read2_b32 v[0:1], v10 offset0:6 offset1:7
	ds_read2_b32 v[2:3], v10 offset0:4 offset1:5
	ds_read2_b32 v[4:5], v10 offset0:2 offset1:3
	ds_read2_b32 v[6:7], v10 offset1:1
	v_and_b32_e32 v15, 3, v9
	s_waitcnt lgkmcnt(4)
	v_mov_b32_dpp v16, v13 row_shr:1 row_mask:0xf bank_mask:0xf
	v_cmp_ne_u32_e32 vcc, 0, v15
	buffer_store_dword v13, off, s[0:3], 0 offset:128
	s_waitcnt lgkmcnt(0)
	v_mov_b32_dpp v17, v6 row_shr:1 row_mask:0xf bank_mask:0xf
	buffer_store_dword v1, off, s[0:3], 0 offset:124
	buffer_store_dword v0, off, s[0:3], 0 offset:120
	;; [unrolled: 1-line block ×8, first 2 shown]
	v_mov_b32_dpp v20, v7 row_shr:1 row_mask:0xf bank_mask:0xf
	v_mov_b32_dpp v21, v4 row_shr:1 row_mask:0xf bank_mask:0xf
	;; [unrolled: 1-line block ×7, first 2 shown]
	buffer_store_dword v17, off, s[0:3], 0
	buffer_store_dword v20, off, s[0:3], 0 offset:4
	buffer_store_dword v21, off, s[0:3], 0 offset:8
	;; [unrolled: 1-line block ×8, first 2 shown]
	s_and_saveexec_b64 s[6:7], vcc
	s_cbranch_execz .LBB2160_114
; %bb.107:
	v_mov_b32_e32 v17, 0
	v_cmp_eq_u16_sdwa s[28:29], v13, v17 src0_sel:BYTE_0 src1_sel:DWORD
	s_and_saveexec_b64 s[12:13], s[28:29]
	s_cbranch_execz .LBB2160_113
; %bb.108:
	s_mov_b32 s11, 0
	v_mov_b32_e32 v0, 0x84
.LBB2160_109:                           ; =>This Inner Loop Header: Depth=1
	v_add_u32_e32 v1, s11, v0
	s_add_i32 s11, s11, 8
	s_cmp_lg_u32 s11, 32
	buffer_store_dword v17, v1, s[0:3], 0 offen offset:4
	buffer_store_dword v17, v1, s[0:3], 0 offen
	s_cbranch_scc1 .LBB2160_109
; %bb.110:
	s_mov_b32 s11, 0
	v_mov_b32_e32 v0, 0
	v_mov_b32_e32 v1, 0x60
	;; [unrolled: 1-line block ×3, first 2 shown]
.LBB2160_111:                           ; =>This Inner Loop Header: Depth=1
	v_add_u32_e32 v3, s11, v0
	v_add_u32_e32 v4, s11, v1
	buffer_load_dword v5, v3, s[0:3], 0 offen offset:4
	buffer_load_dword v6, v4, s[0:3], 0 offen
	buffer_load_dword v7, v3, s[0:3], 0 offen
	buffer_load_dword v17, v4, s[0:3], 0 offen offset:4
	v_add_u32_e32 v3, s11, v2
	s_add_i32 s11, s11, 8
	s_cmp_lg_u32 s11, 32
	s_waitcnt vmcnt(1)
	v_add_u32_e32 v4, v6, v7
	s_waitcnt vmcnt(0)
	v_add_u32_e32 v5, v17, v5
	buffer_store_dword v5, v3, s[0:3], 0 offen offset:4
	buffer_store_dword v4, v3, s[0:3], 0 offen
	s_cbranch_scc1 .LBB2160_111
; %bb.112:
	buffer_load_dword v6, off, s[0:3], 0 offset:132
	buffer_load_dword v7, off, s[0:3], 0 offset:136
	buffer_load_dword v4, off, s[0:3], 0 offset:140
	buffer_load_dword v5, off, s[0:3], 0 offset:144
	buffer_load_dword v2, off, s[0:3], 0 offset:148
	buffer_load_dword v3, off, s[0:3], 0 offset:152
	buffer_load_dword v0, off, s[0:3], 0 offset:156
	buffer_load_dword v1, off, s[0:3], 0 offset:160
.LBB2160_113:
	s_or_b64 exec, exec, s[12:13]
	v_or_b32_e32 v13, v16, v13
	v_and_b32_e32 v13, 1, v13
	buffer_store_byte v13, off, s[0:3], 0 offset:128
	buffer_load_dword v13, off, s[0:3], 0 offset:128
	s_waitcnt vmcnt(8)
	buffer_store_dword v7, off, s[0:3], 0 offset:100
	buffer_store_dword v6, off, s[0:3], 0 offset:96
	s_waitcnt vmcnt(8)
	buffer_store_dword v5, off, s[0:3], 0 offset:108
	buffer_store_dword v4, off, s[0:3], 0 offset:104
	;; [unrolled: 3-line block ×4, first 2 shown]
.LBB2160_114:
	s_or_b64 exec, exec, s[6:7]
	v_mov_b32_dpp v17, v6 row_shr:2 row_mask:0xf bank_mask:0xf
	s_waitcnt vmcnt(8)
	v_mov_b32_dpp v16, v13 row_shr:2 row_mask:0xf bank_mask:0xf
	v_cmp_lt_u32_e32 vcc, 1, v15
	v_mov_b32_dpp v20, v7 row_shr:2 row_mask:0xf bank_mask:0xf
	v_mov_b32_dpp v21, v4 row_shr:2 row_mask:0xf bank_mask:0xf
	;; [unrolled: 1-line block ×7, first 2 shown]
	buffer_store_dword v17, off, s[0:3], 0
	buffer_store_dword v20, off, s[0:3], 0 offset:4
	buffer_store_dword v21, off, s[0:3], 0 offset:8
	;; [unrolled: 1-line block ×8, first 2 shown]
	s_and_saveexec_b64 s[12:13], vcc
	s_cbranch_execz .LBB2160_122
; %bb.115:
	v_mov_b32_e32 v15, 0
	s_mov_b32 s11, 0
	v_cmp_eq_u16_sdwa s[28:29], v13, v15 src0_sel:BYTE_0 src1_sel:DWORD
	s_and_saveexec_b64 s[6:7], s[28:29]
	s_cbranch_execz .LBB2160_121
; %bb.116:
	v_mov_b32_e32 v0, 0x84
.LBB2160_117:                           ; =>This Inner Loop Header: Depth=1
	v_add_u32_e32 v1, s11, v0
	s_add_i32 s11, s11, 8
	s_cmp_lg_u32 s11, 32
	buffer_store_dword v15, v1, s[0:3], 0 offen offset:4
	buffer_store_dword v15, v1, s[0:3], 0 offen
	s_cbranch_scc1 .LBB2160_117
; %bb.118:
	s_mov_b32 s11, 0
	v_mov_b32_e32 v0, 0
	v_mov_b32_e32 v1, 0x60
	;; [unrolled: 1-line block ×3, first 2 shown]
.LBB2160_119:                           ; =>This Inner Loop Header: Depth=1
	v_add_u32_e32 v3, s11, v0
	v_add_u32_e32 v4, s11, v1
	buffer_load_dword v5, v3, s[0:3], 0 offen offset:4
	buffer_load_dword v6, v4, s[0:3], 0 offen
	buffer_load_dword v7, v3, s[0:3], 0 offen
	buffer_load_dword v15, v4, s[0:3], 0 offen offset:4
	v_add_u32_e32 v3, s11, v2
	s_add_i32 s11, s11, 8
	s_cmp_lg_u32 s11, 32
	s_waitcnt vmcnt(1)
	v_add_u32_e32 v4, v6, v7
	s_waitcnt vmcnt(0)
	v_add_u32_e32 v5, v15, v5
	buffer_store_dword v5, v3, s[0:3], 0 offen offset:4
	buffer_store_dword v4, v3, s[0:3], 0 offen
	s_cbranch_scc1 .LBB2160_119
; %bb.120:
	buffer_load_dword v6, off, s[0:3], 0 offset:132
	buffer_load_dword v7, off, s[0:3], 0 offset:136
	;; [unrolled: 1-line block ×8, first 2 shown]
.LBB2160_121:
	s_or_b64 exec, exec, s[6:7]
	v_and_b32_e32 v13, 1, v13
	v_cmp_eq_u32_e32 vcc, 1, v13
	v_and_b32_e32 v13, 1, v16
	v_cmp_eq_u32_e64 s[6:7], 1, v13
	s_or_b64 s[6:7], vcc, s[6:7]
	v_cndmask_b32_e64 v13, 0, 1, s[6:7]
	s_waitcnt vmcnt(6)
	buffer_store_dword v7, off, s[0:3], 0 offset:100
	buffer_store_dword v6, off, s[0:3], 0 offset:96
	s_waitcnt vmcnt(6)
	buffer_store_dword v5, off, s[0:3], 0 offset:108
	buffer_store_dword v4, off, s[0:3], 0 offset:104
	;; [unrolled: 3-line block ×4, first 2 shown]
.LBB2160_122:
	s_or_b64 exec, exec, s[12:13]
	buffer_load_dword v0, off, s[0:3], 0 offset:96
	buffer_load_dword v1, off, s[0:3], 0 offset:100
	;; [unrolled: 1-line block ×8, first 2 shown]
	s_waitcnt vmcnt(4)
	ds_write2_b32 v10, v2, v3 offset0:2 offset1:3
	ds_write2_b32 v10, v0, v1 offset1:1
	s_waitcnt vmcnt(2)
	ds_write2_b32 v10, v4, v5 offset0:6 offset1:7
	s_waitcnt vmcnt(0)
	ds_write2_b32 v10, v6, v7 offset0:4 offset1:5
	ds_write_b8 v10, v13 offset:32
.LBB2160_123:
	s_or_b64 exec, exec, s[8:9]
	v_mov_b32_e32 v0, 0
	s_mov_b32 s6, 0
	v_mov_b32_e32 v1, 0
	s_waitcnt lgkmcnt(0)
	s_barrier
	buffer_store_dword v0, off, s[0:3], 0 offset:28
	buffer_store_dword v0, off, s[0:3], 0 offset:24
	;; [unrolled: 1-line block ×7, first 2 shown]
	buffer_store_dword v0, off, s[0:3], 0
	buffer_store_dword v0, off, s[0:3], 0 offset:32
.LBB2160_124:                           ; =>This Inner Loop Header: Depth=1
	v_add_u32_e32 v2, s6, v1
	s_add_i32 s6, s6, 8
	s_cmp_lg_u32 s6, 32
	buffer_store_dword v0, v2, s[0:3], 0 offen offset:4
	buffer_store_dword v0, v2, s[0:3], 0 offen
	s_cbranch_scc1 .LBB2160_124
; %bb.125:
	v_cmp_gt_u32_e32 vcc, 64, v8
	v_cmp_lt_u32_e64 s[6:7], 63, v8
                                        ; implicit-def: $vgpr0_vgpr1
                                        ; implicit-def: $vgpr2_vgpr3
                                        ; implicit-def: $vgpr4_vgpr5
                                        ; implicit-def: $vgpr6_vgpr7
                                        ; implicit-def: $vgpr10
	s_and_saveexec_b64 s[8:9], s[6:7]
	s_xor_b64 s[8:9], exec, s[8:9]
	s_cbranch_execz .LBB2160_135
; %bb.126:
	buffer_load_ubyte v13, off, s[0:3], 0 offset:272
	v_not_b32_e32 v0, 35
	v_mad_u32_u24 v10, v12, 36, v0
	ds_read2_b32 v[0:1], v10 offset0:2 offset1:3
	ds_read2_b32 v[2:3], v10 offset0:4 offset1:5
	ds_read2_b32 v[4:5], v10 offset1:1
	ds_read2_b32 v[6:7], v10 offset0:6 offset1:7
	s_waitcnt lgkmcnt(3)
	buffer_store_dword v1, off, s[0:3], 0 offset:12
	buffer_store_dword v0, off, s[0:3], 0 offset:8
	s_waitcnt lgkmcnt(1)
	buffer_store_dword v5, off, s[0:3], 0 offset:4
	buffer_store_dword v4, off, s[0:3], 0
	s_waitcnt lgkmcnt(0)
	buffer_store_dword v7, off, s[0:3], 0 offset:28
	ds_read_u8 v10, v10 offset:32
	buffer_store_dword v6, off, s[0:3], 0 offset:24
	buffer_store_dword v3, off, s[0:3], 0 offset:20
	;; [unrolled: 1-line block ×3, first 2 shown]
                                        ; implicit-def: $vgpr0_vgpr1
                                        ; implicit-def: $vgpr2_vgpr3
                                        ; implicit-def: $vgpr4_vgpr5
                                        ; implicit-def: $vgpr6_vgpr7
	s_waitcnt vmcnt(8)
	v_cmp_ne_u16_e64 s[6:7], 0, v13
	s_and_saveexec_b64 s[12:13], s[6:7]
	s_xor_b64 s[6:7], exec, s[12:13]
	s_cbranch_execz .LBB2160_128
; %bb.127:
	buffer_load_dword v0, off, s[0:3], 0 offset:240
	buffer_load_dword v1, off, s[0:3], 0 offset:244
	;; [unrolled: 1-line block ×8, first 2 shown]
.LBB2160_128:
	s_andn2_saveexec_b64 s[6:7], s[6:7]
	s_cbranch_execz .LBB2160_134
; %bb.129:
	s_mov_b32 s11, 0
	s_waitcnt vmcnt(7)
	v_mov_b32_e32 v0, 0x60
	s_waitcnt vmcnt(6)
	v_mov_b32_e32 v1, 0
	s_waitcnt vmcnt(0)
.LBB2160_130:                           ; =>This Inner Loop Header: Depth=1
	v_add_u32_e32 v2, s11, v0
	s_add_i32 s11, s11, 8
	s_cmp_lg_u32 s11, 32
	buffer_store_dword v1, v2, s[0:3], 0 offen offset:4
	buffer_store_dword v1, v2, s[0:3], 0 offen
	s_cbranch_scc1 .LBB2160_130
; %bb.131:
	s_mov_b32 s11, 0
	v_mov_b32_e32 v0, 0
	v_mov_b32_e32 v1, 0xf0
	;; [unrolled: 1-line block ×3, first 2 shown]
.LBB2160_132:                           ; =>This Inner Loop Header: Depth=1
	v_add_u32_e32 v3, s11, v0
	v_add_u32_e32 v4, s11, v1
	buffer_load_dword v5, v3, s[0:3], 0 offen offset:4
	buffer_load_dword v6, v4, s[0:3], 0 offen
	buffer_load_dword v7, v3, s[0:3], 0 offen
	buffer_load_dword v12, v4, s[0:3], 0 offen offset:4
	v_add_u32_e32 v3, s11, v2
	s_add_i32 s11, s11, 8
	s_cmp_lg_u32 s11, 32
	s_waitcnt vmcnt(1)
	v_add_u32_e32 v4, v6, v7
	s_waitcnt vmcnt(0)
	v_add_u32_e32 v5, v12, v5
	buffer_store_dword v5, v3, s[0:3], 0 offen offset:4
	buffer_store_dword v4, v3, s[0:3], 0 offen
	s_cbranch_scc1 .LBB2160_132
; %bb.133:
	buffer_load_dword v0, off, s[0:3], 0 offset:96
	buffer_load_dword v1, off, s[0:3], 0 offset:100
	;; [unrolled: 1-line block ×8, first 2 shown]
.LBB2160_134:
	s_or_b64 exec, exec, s[6:7]
	s_waitcnt lgkmcnt(0)
	v_or_b32_e32 v12, v13, v10
	v_and_b32_e32 v12, 1, v12
	buffer_store_byte v12, off, s[0:3], 0 offset:272
.LBB2160_135:
	s_andn2_saveexec_b64 s[6:7], s[8:9]
	s_cbranch_execz .LBB2160_137
; %bb.136:
	buffer_load_dword v0, off, s[0:3], 0 offset:240
	buffer_load_dword v1, off, s[0:3], 0 offset:244
	;; [unrolled: 1-line block ×8, first 2 shown]
	v_mov_b32_e32 v10, 0
.LBB2160_137:
	s_or_b64 exec, exec, s[6:7]
	buffer_load_dword v12, off, s[0:3], 0 offset:272
	v_add_u32_e32 v13, -1, v9
	v_and_b32_e32 v15, 64, v9
	v_cmp_lt_i32_e64 s[6:7], v13, v15
	v_cndmask_b32_e64 v13, v13, v9, s[6:7]
	v_lshlrev_b32_e32 v13, 2, v13
	s_waitcnt vmcnt(8)
	ds_bpermute_b32 v0, v13, v0
	s_waitcnt vmcnt(7)
	ds_bpermute_b32 v1, v13, v1
	;; [unrolled: 2-line block ×3, first 2 shown]
	ds_bpermute_b32 v2, v13, v2
	s_waitcnt vmcnt(3)
	ds_bpermute_b32 v5, v13, v5
	ds_bpermute_b32 v3, v13, v3
	s_waitcnt vmcnt(2)
	ds_bpermute_b32 v6, v13, v6
	s_waitcnt vmcnt(1)
	ds_bpermute_b32 v7, v13, v7
	s_waitcnt lgkmcnt(7)
	buffer_store_dword v0, off, s[0:3], 0 offset:240
	s_waitcnt lgkmcnt(6)
	buffer_store_dword v1, off, s[0:3], 0 offset:244
	s_waitcnt lgkmcnt(4)
	buffer_store_dword v2, off, s[0:3], 0 offset:248
	s_waitcnt lgkmcnt(2)
	buffer_store_dword v3, off, s[0:3], 0 offset:252
	v_cmp_eq_u32_e64 s[6:7], 0, v9
	s_waitcnt vmcnt(4)
	ds_bpermute_b32 v0, v13, v12
	buffer_store_dword v4, off, s[0:3], 0 offset:256
	buffer_store_dword v5, off, s[0:3], 0 offset:260
	s_waitcnt lgkmcnt(2)
	buffer_store_dword v6, off, s[0:3], 0 offset:264
	s_waitcnt lgkmcnt(1)
	;; [unrolled: 2-line block ×3, first 2 shown]
	buffer_store_byte v0, off, s[0:3], 0 offset:272
	s_and_saveexec_b64 s[8:9], s[6:7]
	s_cbranch_execz .LBB2160_139
; %bb.138:
	buffer_load_dword v0, off, s[0:3], 0 offset:12
	buffer_load_dword v1, off, s[0:3], 0 offset:8
	;; [unrolled: 1-line block ×3, first 2 shown]
	buffer_load_dword v3, off, s[0:3], 0
	buffer_load_dword v4, off, s[0:3], 0 offset:28
	buffer_load_dword v5, off, s[0:3], 0 offset:24
	;; [unrolled: 1-line block ×4, first 2 shown]
	s_waitcnt vmcnt(7)
	buffer_store_dword v0, off, s[0:3], 0 offset:252
	s_waitcnt vmcnt(7)
	buffer_store_dword v1, off, s[0:3], 0 offset:248
	;; [unrolled: 2-line block ×8, first 2 shown]
	buffer_store_byte v10, off, s[0:3], 0 offset:272
.LBB2160_139:
	s_or_b64 exec, exec, s[8:9]
	s_and_saveexec_b64 s[12:13], vcc
	s_cbranch_execz .LBB2160_280
; %bb.140:
	v_mov_b32_e32 v10, 0
	ds_read2_b32 v[4:5], v10 offset0:27 offset1:28
	ds_read2_b32 v[6:7], v10 offset0:29 offset1:30
	;; [unrolled: 1-line block ×4, first 2 shown]
	ds_read_b32 v12, v10 offset:140
	s_waitcnt lgkmcnt(4)
	buffer_store_dword v5, off, s[0:3], 0 offset:208
	buffer_store_dword v4, off, s[0:3], 0 offset:204
	s_waitcnt lgkmcnt(3)
	buffer_store_dword v7, off, s[0:3], 0 offset:216
	buffer_store_dword v6, off, s[0:3], 0 offset:212
	;; [unrolled: 3-line block ×4, first 2 shown]
	s_waitcnt lgkmcnt(0)
	buffer_store_dword v12, off, s[0:3], 0 offset:236
	s_and_saveexec_b64 s[8:9], s[6:7]
	s_cbranch_execz .LBB2160_142
; %bb.141:
	s_add_i32 s11, s10, 64
	s_mul_i32 s28, s11, 36
	s_mul_hi_u32 s29, s11, 36
	s_add_u32 s28, s16, s28
	s_addc_u32 s29, s17, s29
	global_store_dwordx4 v10, v[4:7], s[28:29]
	global_store_dwordx4 v10, v[0:3], s[28:29] offset:16
	global_store_byte v10, v12, s[28:29] offset:32
	v_mov_b32_e32 v0, s11
	v_mov_b32_e32 v1, 1
	s_waitcnt vmcnt(0)
	buffer_wbinvl1_vol
	global_store_byte v0, v1, s[20:21]
.LBB2160_142:
	s_or_b64 exec, exec, s[8:9]
	s_mov_b32 s8, 0
	v_mov_b32_e32 v0, 0xa8
	buffer_store_dword v10, off, s[0:3], 0 offset:196
	buffer_store_dword v10, off, s[0:3], 0 offset:192
	;; [unrolled: 1-line block ×9, first 2 shown]
.LBB2160_143:                           ; =>This Inner Loop Header: Depth=1
	v_add_u32_e32 v1, s8, v0
	s_add_i32 s8, s8, 8
	s_cmp_lg_u32 s8, 32
	buffer_store_dword v10, v1, s[0:3], 0 offen offset:4
	buffer_store_dword v10, v1, s[0:3], 0 offen
	s_cbranch_scc1 .LBB2160_143
; %bb.144:
	s_mov_b32 s8, 0
	v_mov_b32_e32 v0, 0
	v_mov_b32_e32 v1, 0x60
	buffer_store_byte v0, off, s[0:3], 0 offset:200
	buffer_store_dword v0, off, s[0:3], 0 offset:124
	buffer_store_dword v0, off, s[0:3], 0 offset:120
	buffer_store_dword v0, off, s[0:3], 0 offset:116
	buffer_store_dword v0, off, s[0:3], 0 offset:112
	buffer_store_dword v0, off, s[0:3], 0 offset:108
	buffer_store_dword v0, off, s[0:3], 0 offset:104
	buffer_store_dword v0, off, s[0:3], 0 offset:100
	buffer_store_dword v0, off, s[0:3], 0 offset:96
	buffer_store_dword v0, off, s[0:3], 0 offset:128
.LBB2160_145:                           ; =>This Inner Loop Header: Depth=1
	v_add_u32_e32 v2, s8, v1
	s_add_i32 s8, s8, 8
	s_cmp_lg_u32 s8, 32
	buffer_store_dword v0, v2, s[0:3], 0 offen offset:4
	buffer_store_dword v0, v2, s[0:3], 0 offen
	s_cbranch_scc1 .LBB2160_145
; %bb.146:
	v_xad_u32 v10, v9, -1, s10
	v_mov_b32_e32 v0, 0
	buffer_store_byte v0, off, s[0:3], 0 offset:128
	v_add_u32_e32 v0, 64, v10
	global_load_ubyte v15, v0, s[20:21] glc
	s_waitcnt vmcnt(0)
	v_cmp_eq_u16_e32 vcc, 0, v15
	s_and_saveexec_b64 s[8:9], vcc
	s_cbranch_execz .LBB2160_150
; %bb.147:
	v_mov_b32_e32 v1, s21
	v_add_co_u32_e32 v2, vcc, s20, v0
	v_addc_co_u32_e32 v3, vcc, 0, v1, vcc
	s_mov_b64 s[28:29], 0
.LBB2160_148:                           ; =>This Inner Loop Header: Depth=1
	global_load_ubyte v15, v[2:3], off glc
	s_waitcnt vmcnt(0)
	v_cmp_ne_u16_e32 vcc, 0, v15
	s_or_b64 s[28:29], vcc, s[28:29]
	s_andn2_b64 exec, exec, s[28:29]
	s_cbranch_execnz .LBB2160_148
; %bb.149:
	s_or_b64 exec, exec, s[28:29]
.LBB2160_150:
	s_or_b64 exec, exec, s[8:9]
	v_mov_b32_e32 v1, s19
	v_mov_b32_e32 v2, s17
	v_cmp_eq_u16_e32 vcc, 1, v15
	v_cndmask_b32_e32 v3, v1, v2, vcc
	v_mov_b32_e32 v1, s18
	v_mov_b32_e32 v2, s16
	v_cndmask_b32_e32 v2, v1, v2, vcc
	v_mad_u64_u32 v[12:13], s[8:9], v0, 36, v[2:3]
	buffer_wbinvl1_vol
	global_load_dwordx4 v[0:3], v[12:13], off
	global_load_dwordx4 v[4:7], v[12:13], off offset:16
	global_load_ubyte v16, v[12:13], off offset:32
	v_mov_b32_e32 v12, 0
	s_mov_b32 s8, 0
	v_mov_b32_e32 v13, 0
	buffer_store_dword v12, off, s[0:3], 0 offset:32
	s_waitcnt vmcnt(3)
	buffer_store_dword v3, off, s[0:3], 0 offset:108
	buffer_store_dword v2, off, s[0:3], 0 offset:104
	;; [unrolled: 1-line block ×4, first 2 shown]
	s_waitcnt vmcnt(6)
	buffer_store_dword v7, off, s[0:3], 0 offset:124
	buffer_store_dword v6, off, s[0:3], 0 offset:120
	;; [unrolled: 1-line block ×4, first 2 shown]
	s_waitcnt vmcnt(9)
	buffer_store_byte v16, off, s[0:3], 0 offset:128
	buffer_store_dword v1, off, s[0:3], 0 offset:172
	buffer_store_dword v0, off, s[0:3], 0 offset:168
	;; [unrolled: 1-line block ×8, first 2 shown]
	buffer_store_byte v16, off, s[0:3], 0 offset:200
.LBB2160_151:                           ; =>This Inner Loop Header: Depth=1
	v_add_u32_e32 v16, s8, v13
	s_add_i32 s8, s8, 8
	s_cmp_lg_u32 s8, 32
	buffer_store_dword v12, v16, s[0:3], 0 offen offset:4
	buffer_store_dword v12, v16, s[0:3], 0 offen
	s_cbranch_scc1 .LBB2160_151
; %bb.152:
	buffer_load_dword v29, off, s[0:3], 0 offset:200
	v_lshlrev_b64 v[12:13], v9, -1
	v_cmp_eq_u16_e32 vcc, 2, v15
	v_and_b32_e32 v16, 63, v9
	v_and_b32_e32 v17, vcc_hi, v13
	v_and_b32_e32 v20, vcc_lo, v12
	v_cmp_ne_u32_e32 vcc, 63, v16
	v_addc_co_u32_e32 v21, vcc, 0, v9, vcc
	v_or_b32_e32 v22, 0x80000000, v17
	v_lshlrev_b32_e32 v17, 2, v21
	v_ffbl_b32_e32 v21, v22
	v_ffbl_b32_e32 v20, v20
	v_add_u32_e32 v21, 32, v21
	ds_bpermute_b32 v22, v17, v0
	ds_bpermute_b32 v26, v17, v4
	v_min_u32_e32 v30, v20, v21
	ds_bpermute_b32 v23, v17, v1
	ds_bpermute_b32 v27, v17, v5
	;; [unrolled: 1-line block ×6, first 2 shown]
	v_cmp_lt_u32_e32 vcc, v16, v30
	s_waitcnt lgkmcnt(7)
	buffer_store_dword v22, off, s[0:3], 0
	s_waitcnt lgkmcnt(5)
	buffer_store_dword v23, off, s[0:3], 0 offset:4
	s_waitcnt lgkmcnt(3)
	buffer_store_dword v24, off, s[0:3], 0 offset:8
	;; [unrolled: 2-line block ×3, first 2 shown]
	buffer_store_dword v26, off, s[0:3], 0 offset:16
	buffer_store_dword v27, off, s[0:3], 0 offset:20
	;; [unrolled: 1-line block ×3, first 2 shown]
	s_waitcnt lgkmcnt(0)
	buffer_store_dword v31, off, s[0:3], 0 offset:28
	s_waitcnt vmcnt(8)
	ds_bpermute_b32 v20, v17, v29
	s_and_saveexec_b64 s[8:9], vcc
	s_cbranch_execz .LBB2160_160
; %bb.153:
	v_mov_b32_e32 v21, 0
	v_cmp_eq_u16_sdwa s[46:47], v29, v21 src0_sel:BYTE_0 src1_sel:DWORD
	s_and_saveexec_b64 s[28:29], s[46:47]
	s_cbranch_execz .LBB2160_159
; %bb.154:
	s_mov_b32 s11, 0
	v_mov_b32_e32 v0, 0x84
.LBB2160_155:                           ; =>This Inner Loop Header: Depth=1
	v_add_u32_e32 v1, s11, v0
	s_add_i32 s11, s11, 8
	s_cmp_lg_u32 s11, 32
	buffer_store_dword v21, v1, s[0:3], 0 offen offset:4
	buffer_store_dword v21, v1, s[0:3], 0 offen
	s_cbranch_scc1 .LBB2160_155
; %bb.156:
	s_mov_b32 s11, 0
	v_mov_b32_e32 v0, 0
	v_mov_b32_e32 v1, 0xa8
	;; [unrolled: 1-line block ×3, first 2 shown]
.LBB2160_157:                           ; =>This Inner Loop Header: Depth=1
	v_add_u32_e32 v3, s11, v0
	v_add_u32_e32 v4, s11, v1
	buffer_load_dword v5, v3, s[0:3], 0 offen offset:4
	buffer_load_dword v6, v4, s[0:3], 0 offen
	buffer_load_dword v7, v3, s[0:3], 0 offen
	buffer_load_dword v21, v4, s[0:3], 0 offen offset:4
	v_add_u32_e32 v3, s11, v2
	s_add_i32 s11, s11, 8
	s_cmp_lg_u32 s11, 32
	s_waitcnt vmcnt(1)
	v_add_u32_e32 v4, v6, v7
	s_waitcnt vmcnt(0)
	v_add_u32_e32 v5, v21, v5
	buffer_store_dword v5, v3, s[0:3], 0 offen offset:4
	buffer_store_dword v4, v3, s[0:3], 0 offen
	s_cbranch_scc1 .LBB2160_157
; %bb.158:
	buffer_load_dword v0, off, s[0:3], 0 offset:132
	buffer_load_dword v1, off, s[0:3], 0 offset:136
	;; [unrolled: 1-line block ×8, first 2 shown]
.LBB2160_159:
	s_or_b64 exec, exec, s[28:29]
	s_waitcnt lgkmcnt(0)
	v_or_b32_e32 v20, v20, v29
	v_and_b32_e32 v20, 1, v20
	buffer_store_byte v20, off, s[0:3], 0 offset:200
	buffer_load_dword v29, off, s[0:3], 0 offset:200
	s_waitcnt vmcnt(8)
	buffer_store_dword v1, off, s[0:3], 0 offset:172
	buffer_store_dword v0, off, s[0:3], 0 offset:168
	s_waitcnt vmcnt(8)
	buffer_store_dword v3, off, s[0:3], 0 offset:180
	buffer_store_dword v2, off, s[0:3], 0 offset:176
	;; [unrolled: 3-line block ×4, first 2 shown]
.LBB2160_160:
	s_or_b64 exec, exec, s[8:9]
	v_cmp_gt_u32_e32 vcc, 62, v16
	v_cndmask_b32_e64 v21, 0, 1, vcc
	v_lshlrev_b32_e32 v21, 1, v21
	v_add_lshl_u32 v21, v21, v9, 2
	ds_bpermute_b32 v23, v21, v0
	s_waitcnt vmcnt(8)
	ds_bpermute_b32 v22, v21, v29
	ds_bpermute_b32 v24, v21, v1
	;; [unrolled: 1-line block ×3, first 2 shown]
	s_waitcnt lgkmcnt(4)
	v_add_u32_e32 v20, 2, v16
	ds_bpermute_b32 v26, v21, v3
	ds_bpermute_b32 v27, v21, v4
	v_cmp_le_u32_e32 vcc, v20, v30
	ds_bpermute_b32 v28, v21, v5
	ds_bpermute_b32 v31, v21, v6
	;; [unrolled: 1-line block ×3, first 2 shown]
	s_waitcnt lgkmcnt(8)
	buffer_store_dword v23, off, s[0:3], 0
	s_waitcnt lgkmcnt(6)
	buffer_store_dword v24, off, s[0:3], 0 offset:4
	s_waitcnt lgkmcnt(5)
	buffer_store_dword v25, off, s[0:3], 0 offset:8
	;; [unrolled: 2-line block ×7, first 2 shown]
	s_and_saveexec_b64 s[28:29], vcc
	s_cbranch_execz .LBB2160_168
; %bb.161:
	v_mov_b32_e32 v23, 0
	s_mov_b32 s11, 0
	v_cmp_eq_u16_sdwa s[46:47], v29, v23 src0_sel:BYTE_0 src1_sel:DWORD
	s_and_saveexec_b64 s[8:9], s[46:47]
	s_cbranch_execz .LBB2160_167
; %bb.162:
	v_mov_b32_e32 v0, 0x84
.LBB2160_163:                           ; =>This Inner Loop Header: Depth=1
	v_add_u32_e32 v1, s11, v0
	s_add_i32 s11, s11, 8
	s_cmp_lg_u32 s11, 32
	buffer_store_dword v23, v1, s[0:3], 0 offen offset:4
	buffer_store_dword v23, v1, s[0:3], 0 offen
	s_cbranch_scc1 .LBB2160_163
; %bb.164:
	s_mov_b32 s11, 0
	v_mov_b32_e32 v0, 0
	v_mov_b32_e32 v1, 0xa8
	;; [unrolled: 1-line block ×3, first 2 shown]
.LBB2160_165:                           ; =>This Inner Loop Header: Depth=1
	v_add_u32_e32 v3, s11, v0
	v_add_u32_e32 v4, s11, v1
	buffer_load_dword v5, v3, s[0:3], 0 offen offset:4
	buffer_load_dword v6, v4, s[0:3], 0 offen
	buffer_load_dword v7, v3, s[0:3], 0 offen
	buffer_load_dword v23, v4, s[0:3], 0 offen offset:4
	v_add_u32_e32 v3, s11, v2
	s_add_i32 s11, s11, 8
	s_cmp_lg_u32 s11, 32
	s_waitcnt vmcnt(1)
	v_add_u32_e32 v4, v6, v7
	s_waitcnt vmcnt(0)
	v_add_u32_e32 v5, v23, v5
	buffer_store_dword v5, v3, s[0:3], 0 offen offset:4
	buffer_store_dword v4, v3, s[0:3], 0 offen
	s_cbranch_scc1 .LBB2160_165
; %bb.166:
	buffer_load_dword v0, off, s[0:3], 0 offset:132
	buffer_load_dword v1, off, s[0:3], 0 offset:136
	;; [unrolled: 1-line block ×8, first 2 shown]
.LBB2160_167:
	s_or_b64 exec, exec, s[8:9]
	v_and_b32_e32 v23, 1, v29
	v_and_b32_e32 v22, 1, v22
	v_cmp_eq_u32_e32 vcc, 1, v23
	v_cmp_eq_u32_e64 s[8:9], 1, v22
	s_or_b64 s[8:9], vcc, s[8:9]
	v_cndmask_b32_e64 v22, 0, 1, s[8:9]
	buffer_store_byte v22, off, s[0:3], 0 offset:200
	buffer_load_dword v29, off, s[0:3], 0 offset:200
	s_waitcnt vmcnt(8)
	buffer_store_dword v1, off, s[0:3], 0 offset:172
	buffer_store_dword v0, off, s[0:3], 0 offset:168
	s_waitcnt vmcnt(8)
	buffer_store_dword v3, off, s[0:3], 0 offset:180
	buffer_store_dword v2, off, s[0:3], 0 offset:176
	;; [unrolled: 3-line block ×4, first 2 shown]
.LBB2160_168:
	s_or_b64 exec, exec, s[28:29]
	v_cmp_gt_u32_e32 vcc, 60, v16
	v_cndmask_b32_e64 v23, 0, 1, vcc
	v_lshlrev_b32_e32 v23, 2, v23
	v_add_lshl_u32 v23, v23, v9, 2
	ds_bpermute_b32 v25, v23, v0
	s_waitcnt vmcnt(8)
	ds_bpermute_b32 v24, v23, v29
	ds_bpermute_b32 v26, v23, v1
	;; [unrolled: 1-line block ×3, first 2 shown]
	v_add_u32_e32 v22, 4, v16
	ds_bpermute_b32 v28, v23, v3
	ds_bpermute_b32 v31, v23, v4
	v_cmp_le_u32_e32 vcc, v22, v30
	ds_bpermute_b32 v32, v23, v5
	ds_bpermute_b32 v33, v23, v6
	;; [unrolled: 1-line block ×3, first 2 shown]
	s_waitcnt lgkmcnt(8)
	buffer_store_dword v25, off, s[0:3], 0
	s_waitcnt lgkmcnt(6)
	buffer_store_dword v26, off, s[0:3], 0 offset:4
	s_waitcnt lgkmcnt(5)
	buffer_store_dword v27, off, s[0:3], 0 offset:8
	;; [unrolled: 2-line block ×7, first 2 shown]
	s_and_saveexec_b64 s[28:29], vcc
	s_cbranch_execz .LBB2160_176
; %bb.169:
	v_mov_b32_e32 v25, 0
	s_mov_b32 s11, 0
	v_cmp_eq_u16_sdwa s[46:47], v29, v25 src0_sel:BYTE_0 src1_sel:DWORD
	s_and_saveexec_b64 s[8:9], s[46:47]
	s_cbranch_execz .LBB2160_175
; %bb.170:
	v_mov_b32_e32 v0, 0x84
.LBB2160_171:                           ; =>This Inner Loop Header: Depth=1
	v_add_u32_e32 v1, s11, v0
	s_add_i32 s11, s11, 8
	s_cmp_lg_u32 s11, 32
	buffer_store_dword v25, v1, s[0:3], 0 offen offset:4
	buffer_store_dword v25, v1, s[0:3], 0 offen
	s_cbranch_scc1 .LBB2160_171
; %bb.172:
	s_mov_b32 s11, 0
	v_mov_b32_e32 v0, 0
	v_mov_b32_e32 v1, 0xa8
	;; [unrolled: 1-line block ×3, first 2 shown]
.LBB2160_173:                           ; =>This Inner Loop Header: Depth=1
	v_add_u32_e32 v3, s11, v0
	v_add_u32_e32 v4, s11, v1
	buffer_load_dword v5, v3, s[0:3], 0 offen offset:4
	buffer_load_dword v6, v4, s[0:3], 0 offen
	buffer_load_dword v7, v3, s[0:3], 0 offen
	buffer_load_dword v25, v4, s[0:3], 0 offen offset:4
	v_add_u32_e32 v3, s11, v2
	s_add_i32 s11, s11, 8
	s_cmp_lg_u32 s11, 32
	s_waitcnt vmcnt(1)
	v_add_u32_e32 v4, v6, v7
	s_waitcnt vmcnt(0)
	v_add_u32_e32 v5, v25, v5
	buffer_store_dword v5, v3, s[0:3], 0 offen offset:4
	buffer_store_dword v4, v3, s[0:3], 0 offen
	s_cbranch_scc1 .LBB2160_173
; %bb.174:
	buffer_load_dword v0, off, s[0:3], 0 offset:132
	buffer_load_dword v1, off, s[0:3], 0 offset:136
	;; [unrolled: 1-line block ×8, first 2 shown]
.LBB2160_175:
	s_or_b64 exec, exec, s[8:9]
	v_and_b32_e32 v25, 1, v29
	v_and_b32_e32 v24, 1, v24
	v_cmp_eq_u32_e32 vcc, 1, v25
	v_cmp_eq_u32_e64 s[8:9], 1, v24
	s_or_b64 s[8:9], vcc, s[8:9]
	v_cndmask_b32_e64 v24, 0, 1, s[8:9]
	buffer_store_byte v24, off, s[0:3], 0 offset:200
	buffer_load_dword v29, off, s[0:3], 0 offset:200
	s_waitcnt vmcnt(8)
	buffer_store_dword v1, off, s[0:3], 0 offset:172
	buffer_store_dword v0, off, s[0:3], 0 offset:168
	s_waitcnt vmcnt(8)
	buffer_store_dword v3, off, s[0:3], 0 offset:180
	buffer_store_dword v2, off, s[0:3], 0 offset:176
	s_waitcnt vmcnt(8)
	buffer_store_dword v5, off, s[0:3], 0 offset:188
	buffer_store_dword v4, off, s[0:3], 0 offset:184
	s_waitcnt vmcnt(8)
	buffer_store_dword v7, off, s[0:3], 0 offset:196
	buffer_store_dword v6, off, s[0:3], 0 offset:192
.LBB2160_176:
	s_or_b64 exec, exec, s[28:29]
	v_cmp_gt_u32_e32 vcc, 56, v16
	v_cndmask_b32_e64 v25, 0, 1, vcc
	v_lshlrev_b32_e32 v25, 3, v25
	v_add_lshl_u32 v25, v25, v9, 2
	ds_bpermute_b32 v27, v25, v0
	s_waitcnt vmcnt(8)
	ds_bpermute_b32 v26, v25, v29
	ds_bpermute_b32 v28, v25, v1
	ds_bpermute_b32 v31, v25, v2
	v_add_u32_e32 v24, 8, v16
	ds_bpermute_b32 v32, v25, v3
	ds_bpermute_b32 v33, v25, v4
	v_cmp_le_u32_e32 vcc, v24, v30
	ds_bpermute_b32 v34, v25, v5
	ds_bpermute_b32 v35, v25, v6
	;; [unrolled: 1-line block ×3, first 2 shown]
	s_waitcnt lgkmcnt(8)
	buffer_store_dword v27, off, s[0:3], 0
	s_waitcnt lgkmcnt(6)
	buffer_store_dword v28, off, s[0:3], 0 offset:4
	s_waitcnt lgkmcnt(5)
	buffer_store_dword v31, off, s[0:3], 0 offset:8
	;; [unrolled: 2-line block ×7, first 2 shown]
	s_and_saveexec_b64 s[28:29], vcc
	s_cbranch_execz .LBB2160_184
; %bb.177:
	v_mov_b32_e32 v27, 0
	s_mov_b32 s11, 0
	v_cmp_eq_u16_sdwa s[46:47], v29, v27 src0_sel:BYTE_0 src1_sel:DWORD
	s_and_saveexec_b64 s[8:9], s[46:47]
	s_cbranch_execz .LBB2160_183
; %bb.178:
	v_mov_b32_e32 v0, 0x84
.LBB2160_179:                           ; =>This Inner Loop Header: Depth=1
	v_add_u32_e32 v1, s11, v0
	s_add_i32 s11, s11, 8
	s_cmp_lg_u32 s11, 32
	buffer_store_dword v27, v1, s[0:3], 0 offen offset:4
	buffer_store_dword v27, v1, s[0:3], 0 offen
	s_cbranch_scc1 .LBB2160_179
; %bb.180:
	s_mov_b32 s11, 0
	v_mov_b32_e32 v0, 0
	v_mov_b32_e32 v1, 0xa8
	v_mov_b32_e32 v2, 0x84
.LBB2160_181:                           ; =>This Inner Loop Header: Depth=1
	v_add_u32_e32 v3, s11, v0
	v_add_u32_e32 v4, s11, v1
	buffer_load_dword v5, v3, s[0:3], 0 offen offset:4
	buffer_load_dword v6, v4, s[0:3], 0 offen
	buffer_load_dword v7, v3, s[0:3], 0 offen
	buffer_load_dword v27, v4, s[0:3], 0 offen offset:4
	v_add_u32_e32 v3, s11, v2
	s_add_i32 s11, s11, 8
	s_cmp_lg_u32 s11, 32
	s_waitcnt vmcnt(1)
	v_add_u32_e32 v4, v6, v7
	s_waitcnt vmcnt(0)
	v_add_u32_e32 v5, v27, v5
	buffer_store_dword v5, v3, s[0:3], 0 offen offset:4
	buffer_store_dword v4, v3, s[0:3], 0 offen
	s_cbranch_scc1 .LBB2160_181
; %bb.182:
	buffer_load_dword v0, off, s[0:3], 0 offset:132
	buffer_load_dword v1, off, s[0:3], 0 offset:136
	;; [unrolled: 1-line block ×8, first 2 shown]
.LBB2160_183:
	s_or_b64 exec, exec, s[8:9]
	v_and_b32_e32 v27, 1, v29
	v_and_b32_e32 v26, 1, v26
	v_cmp_eq_u32_e32 vcc, 1, v27
	v_cmp_eq_u32_e64 s[8:9], 1, v26
	s_or_b64 s[8:9], vcc, s[8:9]
	v_cndmask_b32_e64 v26, 0, 1, s[8:9]
	buffer_store_byte v26, off, s[0:3], 0 offset:200
	buffer_load_dword v29, off, s[0:3], 0 offset:200
	s_waitcnt vmcnt(8)
	buffer_store_dword v1, off, s[0:3], 0 offset:172
	buffer_store_dword v0, off, s[0:3], 0 offset:168
	s_waitcnt vmcnt(8)
	buffer_store_dword v3, off, s[0:3], 0 offset:180
	buffer_store_dword v2, off, s[0:3], 0 offset:176
	;; [unrolled: 3-line block ×4, first 2 shown]
.LBB2160_184:
	s_or_b64 exec, exec, s[28:29]
	v_cmp_gt_u32_e32 vcc, 48, v16
	v_cndmask_b32_e64 v27, 0, 1, vcc
	v_lshlrev_b32_e32 v27, 4, v27
	v_add_lshl_u32 v27, v27, v9, 2
	ds_bpermute_b32 v31, v27, v0
	s_waitcnt vmcnt(8)
	ds_bpermute_b32 v28, v27, v29
	ds_bpermute_b32 v32, v27, v1
	ds_bpermute_b32 v33, v27, v2
	v_add_u32_e32 v26, 16, v16
	ds_bpermute_b32 v34, v27, v3
	ds_bpermute_b32 v35, v27, v4
	v_cmp_le_u32_e32 vcc, v26, v30
	ds_bpermute_b32 v36, v27, v5
	ds_bpermute_b32 v37, v27, v6
	;; [unrolled: 1-line block ×3, first 2 shown]
	s_waitcnt lgkmcnt(8)
	buffer_store_dword v31, off, s[0:3], 0
	s_waitcnt lgkmcnt(6)
	buffer_store_dword v32, off, s[0:3], 0 offset:4
	s_waitcnt lgkmcnt(5)
	buffer_store_dword v33, off, s[0:3], 0 offset:8
	;; [unrolled: 2-line block ×7, first 2 shown]
	s_and_saveexec_b64 s[28:29], vcc
	s_cbranch_execz .LBB2160_192
; %bb.185:
	v_mov_b32_e32 v31, 0
	s_mov_b32 s11, 0
	v_cmp_eq_u16_sdwa s[46:47], v29, v31 src0_sel:BYTE_0 src1_sel:DWORD
	s_and_saveexec_b64 s[8:9], s[46:47]
	s_cbranch_execz .LBB2160_191
; %bb.186:
	v_mov_b32_e32 v0, 0x84
.LBB2160_187:                           ; =>This Inner Loop Header: Depth=1
	v_add_u32_e32 v1, s11, v0
	s_add_i32 s11, s11, 8
	s_cmp_lg_u32 s11, 32
	buffer_store_dword v31, v1, s[0:3], 0 offen offset:4
	buffer_store_dword v31, v1, s[0:3], 0 offen
	s_cbranch_scc1 .LBB2160_187
; %bb.188:
	s_mov_b32 s11, 0
	v_mov_b32_e32 v0, 0
	v_mov_b32_e32 v1, 0xa8
	v_mov_b32_e32 v2, 0x84
.LBB2160_189:                           ; =>This Inner Loop Header: Depth=1
	v_add_u32_e32 v3, s11, v0
	v_add_u32_e32 v4, s11, v1
	buffer_load_dword v5, v3, s[0:3], 0 offen offset:4
	buffer_load_dword v6, v4, s[0:3], 0 offen
	buffer_load_dword v7, v3, s[0:3], 0 offen
	buffer_load_dword v31, v4, s[0:3], 0 offen offset:4
	v_add_u32_e32 v3, s11, v2
	s_add_i32 s11, s11, 8
	s_cmp_lg_u32 s11, 32
	s_waitcnt vmcnt(1)
	v_add_u32_e32 v4, v6, v7
	s_waitcnt vmcnt(0)
	v_add_u32_e32 v5, v31, v5
	buffer_store_dword v5, v3, s[0:3], 0 offen offset:4
	buffer_store_dword v4, v3, s[0:3], 0 offen
	s_cbranch_scc1 .LBB2160_189
; %bb.190:
	buffer_load_dword v0, off, s[0:3], 0 offset:132
	buffer_load_dword v1, off, s[0:3], 0 offset:136
	;; [unrolled: 1-line block ×8, first 2 shown]
.LBB2160_191:
	s_or_b64 exec, exec, s[8:9]
	v_and_b32_e32 v29, 1, v29
	v_and_b32_e32 v28, 1, v28
	v_cmp_eq_u32_e32 vcc, 1, v29
	v_cmp_eq_u32_e64 s[8:9], 1, v28
	s_or_b64 s[8:9], vcc, s[8:9]
	v_cndmask_b32_e64 v28, 0, 1, s[8:9]
	buffer_store_byte v28, off, s[0:3], 0 offset:200
	buffer_load_dword v29, off, s[0:3], 0 offset:200
	s_waitcnt vmcnt(8)
	buffer_store_dword v1, off, s[0:3], 0 offset:172
	buffer_store_dword v0, off, s[0:3], 0 offset:168
	s_waitcnt vmcnt(8)
	buffer_store_dword v3, off, s[0:3], 0 offset:180
	buffer_store_dword v2, off, s[0:3], 0 offset:176
	;; [unrolled: 3-line block ×4, first 2 shown]
.LBB2160_192:
	s_or_b64 exec, exec, s[28:29]
	v_cmp_gt_u32_e32 vcc, 32, v16
	v_cndmask_b32_e64 v31, 0, 1, vcc
	v_lshlrev_b32_e32 v31, 5, v31
	v_add_lshl_u32 v9, v31, v9, 2
	ds_bpermute_b32 v32, v9, v0
	s_waitcnt vmcnt(8)
	ds_bpermute_b32 v31, v9, v29
	ds_bpermute_b32 v33, v9, v1
	;; [unrolled: 1-line block ×3, first 2 shown]
	v_add_u32_e32 v28, 32, v16
	ds_bpermute_b32 v35, v9, v3
	ds_bpermute_b32 v36, v9, v4
	v_cmp_le_u32_e32 vcc, v28, v30
	ds_bpermute_b32 v37, v9, v5
	ds_bpermute_b32 v38, v9, v6
	;; [unrolled: 1-line block ×3, first 2 shown]
	s_waitcnt lgkmcnt(8)
	buffer_store_dword v32, off, s[0:3], 0
	s_waitcnt lgkmcnt(6)
	buffer_store_dword v33, off, s[0:3], 0 offset:4
	s_waitcnt lgkmcnt(5)
	buffer_store_dword v34, off, s[0:3], 0 offset:8
	;; [unrolled: 2-line block ×7, first 2 shown]
	s_and_saveexec_b64 s[28:29], vcc
	s_cbranch_execz .LBB2160_200
; %bb.193:
	v_mov_b32_e32 v30, 0
	s_mov_b32 s11, 0
	v_cmp_eq_u16_sdwa s[46:47], v29, v30 src0_sel:BYTE_0 src1_sel:DWORD
	s_and_saveexec_b64 s[8:9], s[46:47]
	s_cbranch_execz .LBB2160_199
; %bb.194:
	v_mov_b32_e32 v0, 0x84
.LBB2160_195:                           ; =>This Inner Loop Header: Depth=1
	v_add_u32_e32 v1, s11, v0
	s_add_i32 s11, s11, 8
	s_cmp_lg_u32 s11, 32
	buffer_store_dword v30, v1, s[0:3], 0 offen offset:4
	buffer_store_dword v30, v1, s[0:3], 0 offen
	s_cbranch_scc1 .LBB2160_195
; %bb.196:
	s_mov_b32 s11, 0
	v_mov_b32_e32 v0, 0
	v_mov_b32_e32 v1, 0xa8
	;; [unrolled: 1-line block ×3, first 2 shown]
.LBB2160_197:                           ; =>This Inner Loop Header: Depth=1
	v_add_u32_e32 v3, s11, v0
	v_add_u32_e32 v4, s11, v1
	buffer_load_dword v5, v3, s[0:3], 0 offen offset:4
	buffer_load_dword v6, v4, s[0:3], 0 offen
	buffer_load_dword v7, v3, s[0:3], 0 offen
	buffer_load_dword v30, v4, s[0:3], 0 offen offset:4
	v_add_u32_e32 v3, s11, v2
	s_add_i32 s11, s11, 8
	s_cmp_lg_u32 s11, 32
	s_waitcnt vmcnt(1)
	v_add_u32_e32 v4, v6, v7
	s_waitcnt vmcnt(0)
	v_add_u32_e32 v5, v30, v5
	buffer_store_dword v5, v3, s[0:3], 0 offen offset:4
	buffer_store_dword v4, v3, s[0:3], 0 offen
	s_cbranch_scc1 .LBB2160_197
; %bb.198:
	buffer_load_dword v0, off, s[0:3], 0 offset:132
	buffer_load_dword v1, off, s[0:3], 0 offset:136
	;; [unrolled: 1-line block ×8, first 2 shown]
.LBB2160_199:
	s_or_b64 exec, exec, s[8:9]
	v_and_b32_e32 v29, 1, v29
	v_cmp_eq_u32_e32 vcc, 1, v29
	v_and_b32_e32 v29, 1, v31
	v_cmp_eq_u32_e64 s[8:9], 1, v29
	s_or_b64 s[8:9], vcc, s[8:9]
	v_cndmask_b32_e64 v29, 0, 1, s[8:9]
	s_waitcnt vmcnt(6)
	buffer_store_dword v1, off, s[0:3], 0 offset:172
	buffer_store_dword v0, off, s[0:3], 0 offset:168
	s_waitcnt vmcnt(6)
	buffer_store_dword v3, off, s[0:3], 0 offset:180
	buffer_store_dword v2, off, s[0:3], 0 offset:176
	;; [unrolled: 3-line block ×4, first 2 shown]
	buffer_store_byte v29, off, s[0:3], 0 offset:200
.LBB2160_200:
	s_or_b64 exec, exec, s[28:29]
	buffer_load_dword v0, off, s[0:3], 0 offset:180
	buffer_load_dword v1, off, s[0:3], 0 offset:176
	;; [unrolled: 1-line block ×9, first 2 shown]
	s_lshr_b32 s8, s44, 16
	s_mul_i32 s8, s8, s45
	v_mul_lo_u32 v36, s8, v8
	v_mov_b32_e32 v35, 0x6000
	v_add3_u32 v11, v36, v14, v11
	v_mov_b32_e32 v29, 0
	v_mov_b32_e32 v30, 0x60
	;; [unrolled: 1-line block ×5, first 2 shown]
	v_lshl_add_u32 v11, v11, 5, v35
	v_mov_b32_e32 v14, 2
	s_waitcnt vmcnt(8)
	buffer_store_dword v0, off, s[0:3], 0 offset:144
	s_waitcnt vmcnt(8)
	buffer_store_dword v1, off, s[0:3], 0 offset:140
	;; [unrolled: 2-line block ×9, first 2 shown]
	s_branch .LBB2160_202
.LBB2160_201:                           ;   in Loop: Header=BB2160_202 Depth=1
                                        ; implicit-def: $vgpr10
                                        ; implicit-def: $vgpr15
	s_cbranch_execnz .LBB2160_268
.LBB2160_202:                           ; =>This Loop Header: Depth=1
                                        ;     Child Loop BB2160_204 Depth 2
                                        ;     Child Loop BB2160_207 Depth 2
	;; [unrolled: 1-line block ×17, first 2 shown]
	v_cmp_ne_u16_sdwa s[8:9], v15, v14 src0_sel:BYTE_0 src1_sel:DWORD
	v_cndmask_b32_e64 v0, 0, 1, s[8:9]
	;;#ASMSTART
	;;#ASMEND
	v_cmp_ne_u32_e32 vcc, 0, v0
	s_cmp_lg_u64 vcc, exec
	s_cbranch_scc1 .LBB2160_201
; %bb.203:                              ;   in Loop: Header=BB2160_202 Depth=1
	s_mov_b32 s8, 0
	buffer_store_dword v29, off, s[0:3], 0 offset:124
	buffer_store_dword v29, off, s[0:3], 0 offset:120
	;; [unrolled: 1-line block ×9, first 2 shown]
.LBB2160_204:                           ;   Parent Loop BB2160_202 Depth=1
                                        ; =>  This Inner Loop Header: Depth=2
	v_add_u32_e32 v0, s8, v30
	s_add_i32 s8, s8, 8
	s_cmp_lg_u32 s8, 32
	buffer_store_dword v29, v0, s[0:3], 0 offen offset:4
	buffer_store_dword v29, v0, s[0:3], 0 offen
	s_cbranch_scc1 .LBB2160_204
; %bb.205:                              ;   in Loop: Header=BB2160_202 Depth=1
	buffer_store_byte v29, off, s[0:3], 0 offset:128
	global_load_ubyte v15, v10, s[20:21] glc
	s_waitcnt vmcnt(0)
	v_cmp_eq_u16_e32 vcc, 0, v15
	s_and_saveexec_b64 s[8:9], vcc
	s_cbranch_execz .LBB2160_209
; %bb.206:                              ;   in Loop: Header=BB2160_202 Depth=1
	v_mov_b32_e32 v1, s21
	v_add_co_u32_e32 v0, vcc, s20, v10
	v_addc_co_u32_e32 v1, vcc, 0, v1, vcc
	s_mov_b64 s[28:29], 0
.LBB2160_207:                           ;   Parent Loop BB2160_202 Depth=1
                                        ; =>  This Inner Loop Header: Depth=2
	global_load_ubyte v15, v[0:1], off glc
	s_waitcnt vmcnt(0)
	v_cmp_ne_u16_e32 vcc, 0, v15
	s_or_b64 s[28:29], vcc, s[28:29]
	s_andn2_b64 exec, exec, s[28:29]
	s_cbranch_execnz .LBB2160_207
; %bb.208:                              ;   in Loop: Header=BB2160_202 Depth=1
	s_or_b64 exec, exec, s[28:29]
.LBB2160_209:                           ;   in Loop: Header=BB2160_202 Depth=1
	s_or_b64 exec, exec, s[8:9]
	v_mov_b32_e32 v0, s19
	v_mov_b32_e32 v1, s17
	v_cmp_eq_u16_e32 vcc, 1, v15
	v_cndmask_b32_e32 v1, v0, v1, vcc
	v_mov_b32_e32 v0, s18
	v_mov_b32_e32 v2, s16
	v_cndmask_b32_e32 v0, v0, v2, vcc
	v_mad_u64_u32 v[34:35], s[8:9], v10, 36, v[0:1]
	buffer_wbinvl1_vol
	global_load_dwordx4 v[0:3], v[34:35], off
	global_load_dwordx4 v[4:7], v[34:35], off offset:16
	global_load_ubyte v36, v[34:35], off offset:32
	s_mov_b32 s8, 0
	buffer_store_dword v29, off, s[0:3], 0 offset:32
	s_waitcnt vmcnt(3)
	buffer_store_dword v3, off, s[0:3], 0 offset:108
	buffer_store_dword v2, off, s[0:3], 0 offset:104
	buffer_store_dword v1, off, s[0:3], 0 offset:100
	buffer_store_dword v0, off, s[0:3], 0 offset:96
	s_waitcnt vmcnt(6)
	buffer_store_dword v7, off, s[0:3], 0 offset:124
	buffer_store_dword v6, off, s[0:3], 0 offset:120
	;; [unrolled: 1-line block ×4, first 2 shown]
	s_waitcnt vmcnt(9)
	buffer_store_byte v36, off, s[0:3], 0 offset:128
	buffer_store_dword v1, off, s[0:3], 0 offset:172
	buffer_store_dword v0, off, s[0:3], 0 offset:168
	;; [unrolled: 1-line block ×8, first 2 shown]
	buffer_store_byte v36, off, s[0:3], 0 offset:200
.LBB2160_210:                           ;   Parent Loop BB2160_202 Depth=1
                                        ; =>  This Inner Loop Header: Depth=2
	v_add_u32_e32 v34, s8, v31
	s_add_i32 s8, s8, 8
	s_cmp_lg_u32 s8, 32
	buffer_store_dword v29, v34, s[0:3], 0 offen offset:4
	buffer_store_dword v29, v34, s[0:3], 0 offen
	s_cbranch_scc1 .LBB2160_210
; %bb.211:                              ;   in Loop: Header=BB2160_202 Depth=1
	buffer_load_dword v35, off, s[0:3], 0 offset:200
	ds_bpermute_b32 v36, v17, v0
	ds_bpermute_b32 v37, v17, v1
	;; [unrolled: 1-line block ×3, first 2 shown]
	v_cmp_eq_u16_e32 vcc, 2, v15
	ds_bpermute_b32 v39, v17, v3
	v_and_b32_e32 v34, vcc_hi, v13
	ds_bpermute_b32 v40, v17, v4
	v_or_b32_e32 v34, 0x80000000, v34
	s_waitcnt lgkmcnt(4)
	buffer_store_dword v36, off, s[0:3], 0
	s_waitcnt lgkmcnt(3)
	buffer_store_dword v37, off, s[0:3], 0 offset:4
	s_waitcnt lgkmcnt(2)
	buffer_store_dword v38, off, s[0:3], 0 offset:8
	s_waitcnt lgkmcnt(1)
	buffer_store_dword v39, off, s[0:3], 0 offset:12
	ds_bpermute_b32 v41, v17, v5
	v_and_b32_e32 v44, vcc_lo, v12
	v_ffbl_b32_e32 v34, v34
	ds_bpermute_b32 v42, v17, v6
	v_ffbl_b32_e32 v44, v44
	v_add_u32_e32 v34, 32, v34
	ds_bpermute_b32 v43, v17, v7
	v_min_u32_e32 v34, v44, v34
	v_cmp_lt_u32_e32 vcc, v16, v34
	s_waitcnt lgkmcnt(3)
	buffer_store_dword v40, off, s[0:3], 0 offset:16
	s_waitcnt lgkmcnt(2)
	buffer_store_dword v41, off, s[0:3], 0 offset:20
	;; [unrolled: 2-line block ×4, first 2 shown]
	s_waitcnt vmcnt(8)
	ds_bpermute_b32 v36, v17, v35
	s_and_saveexec_b64 s[8:9], vcc
	s_cbranch_execz .LBB2160_219
; %bb.212:                              ;   in Loop: Header=BB2160_202 Depth=1
	v_cmp_eq_u16_sdwa s[44:45], v35, v29 src0_sel:BYTE_0 src1_sel:DWORD
	s_and_saveexec_b64 s[28:29], s[44:45]
	s_cbranch_execz .LBB2160_218
; %bb.213:                              ;   in Loop: Header=BB2160_202 Depth=1
	s_mov_b32 s11, 0
.LBB2160_214:                           ;   Parent Loop BB2160_202 Depth=1
                                        ; =>  This Inner Loop Header: Depth=2
	v_add_u32_e32 v0, s11, v11
	s_add_i32 s11, s11, 8
	s_cmp_lg_u32 s11, 32
	ds_write2_b32 v0, v29, v29 offset1:1
	s_cbranch_scc1 .LBB2160_214
; %bb.215:                              ;   in Loop: Header=BB2160_202 Depth=1
	s_mov_b32 s11, 0
.LBB2160_216:                           ;   Parent Loop BB2160_202 Depth=1
                                        ; =>  This Inner Loop Header: Depth=2
	v_add_u32_e32 v0, s11, v31
	v_add_u32_e32 v1, s11, v32
	buffer_load_dword v2, v0, s[0:3], 0 offen offset:4
	buffer_load_dword v3, v0, s[0:3], 0 offen
	buffer_load_dword v4, v1, s[0:3], 0 offen offset:4
	buffer_load_dword v5, v1, s[0:3], 0 offen
	v_add_u32_e32 v0, s11, v11
	s_add_i32 s11, s11, 8
	s_cmp_lg_u32 s11, 32
	s_waitcnt vmcnt(1)
	v_add_u32_e32 v1, v4, v2
	s_waitcnt vmcnt(0)
	v_add_u32_e32 v2, v5, v3
	ds_write2_b32 v0, v2, v1 offset1:1
	s_cbranch_scc1 .LBB2160_216
; %bb.217:                              ;   in Loop: Header=BB2160_202 Depth=1
	ds_read2_b32 v[0:1], v11 offset1:1
	ds_read2_b32 v[2:3], v11 offset0:2 offset1:3
	ds_read2_b32 v[4:5], v11 offset0:4 offset1:5
	;; [unrolled: 1-line block ×3, first 2 shown]
.LBB2160_218:                           ;   in Loop: Header=BB2160_202 Depth=1
	s_or_b64 exec, exec, s[28:29]
	s_waitcnt lgkmcnt(0)
	v_or_b32_e32 v35, v36, v35
	v_and_b32_e32 v35, 1, v35
	buffer_store_byte v35, off, s[0:3], 0 offset:200
	buffer_load_dword v35, off, s[0:3], 0 offset:200
	s_nop 0
	buffer_store_dword v1, off, s[0:3], 0 offset:172
	buffer_store_dword v0, off, s[0:3], 0 offset:168
	;; [unrolled: 1-line block ×8, first 2 shown]
.LBB2160_219:                           ;   in Loop: Header=BB2160_202 Depth=1
	s_or_b64 exec, exec, s[8:9]
	ds_bpermute_b32 v37, v21, v0
	s_waitcnt vmcnt(8) lgkmcnt(1)
	ds_bpermute_b32 v36, v21, v35
	ds_bpermute_b32 v38, v21, v1
	ds_bpermute_b32 v39, v21, v2
	ds_bpermute_b32 v40, v21, v3
	ds_bpermute_b32 v41, v21, v4
	v_cmp_le_u32_e32 vcc, v20, v34
	ds_bpermute_b32 v42, v21, v5
	ds_bpermute_b32 v43, v21, v6
	;; [unrolled: 1-line block ×3, first 2 shown]
	s_waitcnt lgkmcnt(8)
	buffer_store_dword v37, off, s[0:3], 0
	s_waitcnt lgkmcnt(6)
	buffer_store_dword v38, off, s[0:3], 0 offset:4
	s_waitcnt lgkmcnt(5)
	buffer_store_dword v39, off, s[0:3], 0 offset:8
	;; [unrolled: 2-line block ×7, first 2 shown]
	s_and_saveexec_b64 s[28:29], vcc
	s_cbranch_execz .LBB2160_227
; %bb.220:                              ;   in Loop: Header=BB2160_202 Depth=1
	v_cmp_eq_u16_sdwa s[44:45], v35, v29 src0_sel:BYTE_0 src1_sel:DWORD
	s_and_saveexec_b64 s[8:9], s[44:45]
	s_cbranch_execz .LBB2160_226
; %bb.221:                              ;   in Loop: Header=BB2160_202 Depth=1
	s_mov_b32 s11, 0
.LBB2160_222:                           ;   Parent Loop BB2160_202 Depth=1
                                        ; =>  This Inner Loop Header: Depth=2
	v_add_u32_e32 v0, s11, v11
	s_add_i32 s11, s11, 8
	s_cmp_lg_u32 s11, 32
	ds_write2_b32 v0, v29, v29 offset1:1
	s_cbranch_scc1 .LBB2160_222
; %bb.223:                              ;   in Loop: Header=BB2160_202 Depth=1
	s_mov_b32 s11, 0
.LBB2160_224:                           ;   Parent Loop BB2160_202 Depth=1
                                        ; =>  This Inner Loop Header: Depth=2
	v_add_u32_e32 v0, s11, v31
	v_add_u32_e32 v1, s11, v32
	buffer_load_dword v2, v0, s[0:3], 0 offen offset:4
	buffer_load_dword v3, v0, s[0:3], 0 offen
	buffer_load_dword v4, v1, s[0:3], 0 offen offset:4
	buffer_load_dword v5, v1, s[0:3], 0 offen
	v_add_u32_e32 v0, s11, v11
	s_add_i32 s11, s11, 8
	s_cmp_lg_u32 s11, 32
	s_waitcnt vmcnt(1)
	v_add_u32_e32 v1, v4, v2
	s_waitcnt vmcnt(0)
	v_add_u32_e32 v2, v5, v3
	ds_write2_b32 v0, v2, v1 offset1:1
	s_cbranch_scc1 .LBB2160_224
; %bb.225:                              ;   in Loop: Header=BB2160_202 Depth=1
	ds_read2_b32 v[0:1], v11 offset1:1
	ds_read2_b32 v[2:3], v11 offset0:2 offset1:3
	ds_read2_b32 v[4:5], v11 offset0:4 offset1:5
	;; [unrolled: 1-line block ×3, first 2 shown]
.LBB2160_226:                           ;   in Loop: Header=BB2160_202 Depth=1
	s_or_b64 exec, exec, s[8:9]
	v_and_b32_e32 v35, 1, v35
	v_cmp_eq_u32_e32 vcc, 1, v35
	v_and_b32_e32 v35, 1, v36
	v_cmp_eq_u32_e64 s[8:9], 1, v35
	s_or_b64 s[8:9], vcc, s[8:9]
	v_cndmask_b32_e64 v35, 0, 1, s[8:9]
	buffer_store_byte v35, off, s[0:3], 0 offset:200
	buffer_load_dword v35, off, s[0:3], 0 offset:200
	s_waitcnt lgkmcnt(3)
	buffer_store_dword v1, off, s[0:3], 0 offset:172
	buffer_store_dword v0, off, s[0:3], 0 offset:168
	s_waitcnt lgkmcnt(2)
	buffer_store_dword v3, off, s[0:3], 0 offset:180
	buffer_store_dword v2, off, s[0:3], 0 offset:176
	;; [unrolled: 3-line block ×4, first 2 shown]
.LBB2160_227:                           ;   in Loop: Header=BB2160_202 Depth=1
	s_or_b64 exec, exec, s[28:29]
	ds_bpermute_b32 v37, v23, v0
	s_waitcnt vmcnt(8)
	ds_bpermute_b32 v36, v23, v35
	ds_bpermute_b32 v38, v23, v1
	;; [unrolled: 1-line block ×5, first 2 shown]
	v_cmp_le_u32_e32 vcc, v22, v34
	ds_bpermute_b32 v42, v23, v5
	ds_bpermute_b32 v43, v23, v6
	;; [unrolled: 1-line block ×3, first 2 shown]
	s_waitcnt lgkmcnt(8)
	buffer_store_dword v37, off, s[0:3], 0
	s_waitcnt lgkmcnt(6)
	buffer_store_dword v38, off, s[0:3], 0 offset:4
	s_waitcnt lgkmcnt(5)
	buffer_store_dword v39, off, s[0:3], 0 offset:8
	;; [unrolled: 2-line block ×7, first 2 shown]
	s_and_saveexec_b64 s[28:29], vcc
	s_cbranch_execz .LBB2160_235
; %bb.228:                              ;   in Loop: Header=BB2160_202 Depth=1
	v_cmp_eq_u16_sdwa s[44:45], v35, v29 src0_sel:BYTE_0 src1_sel:DWORD
	s_and_saveexec_b64 s[8:9], s[44:45]
	s_cbranch_execz .LBB2160_234
; %bb.229:                              ;   in Loop: Header=BB2160_202 Depth=1
	s_mov_b32 s11, 0
.LBB2160_230:                           ;   Parent Loop BB2160_202 Depth=1
                                        ; =>  This Inner Loop Header: Depth=2
	v_add_u32_e32 v0, s11, v11
	s_add_i32 s11, s11, 8
	s_cmp_lg_u32 s11, 32
	ds_write2_b32 v0, v29, v29 offset1:1
	s_cbranch_scc1 .LBB2160_230
; %bb.231:                              ;   in Loop: Header=BB2160_202 Depth=1
	s_mov_b32 s11, 0
.LBB2160_232:                           ;   Parent Loop BB2160_202 Depth=1
                                        ; =>  This Inner Loop Header: Depth=2
	v_add_u32_e32 v0, s11, v31
	v_add_u32_e32 v1, s11, v32
	buffer_load_dword v2, v0, s[0:3], 0 offen offset:4
	buffer_load_dword v3, v0, s[0:3], 0 offen
	buffer_load_dword v4, v1, s[0:3], 0 offen offset:4
	buffer_load_dword v5, v1, s[0:3], 0 offen
	v_add_u32_e32 v0, s11, v11
	s_add_i32 s11, s11, 8
	s_cmp_lg_u32 s11, 32
	s_waitcnt vmcnt(1)
	v_add_u32_e32 v1, v4, v2
	s_waitcnt vmcnt(0)
	v_add_u32_e32 v2, v5, v3
	ds_write2_b32 v0, v2, v1 offset1:1
	s_cbranch_scc1 .LBB2160_232
; %bb.233:                              ;   in Loop: Header=BB2160_202 Depth=1
	ds_read2_b32 v[0:1], v11 offset1:1
	ds_read2_b32 v[2:3], v11 offset0:2 offset1:3
	ds_read2_b32 v[4:5], v11 offset0:4 offset1:5
	;; [unrolled: 1-line block ×3, first 2 shown]
.LBB2160_234:                           ;   in Loop: Header=BB2160_202 Depth=1
	s_or_b64 exec, exec, s[8:9]
	v_and_b32_e32 v35, 1, v35
	v_cmp_eq_u32_e32 vcc, 1, v35
	v_and_b32_e32 v35, 1, v36
	v_cmp_eq_u32_e64 s[8:9], 1, v35
	s_or_b64 s[8:9], vcc, s[8:9]
	v_cndmask_b32_e64 v35, 0, 1, s[8:9]
	buffer_store_byte v35, off, s[0:3], 0 offset:200
	buffer_load_dword v35, off, s[0:3], 0 offset:200
	s_waitcnt lgkmcnt(3)
	buffer_store_dword v1, off, s[0:3], 0 offset:172
	buffer_store_dword v0, off, s[0:3], 0 offset:168
	s_waitcnt lgkmcnt(2)
	buffer_store_dword v3, off, s[0:3], 0 offset:180
	buffer_store_dword v2, off, s[0:3], 0 offset:176
	;; [unrolled: 3-line block ×4, first 2 shown]
.LBB2160_235:                           ;   in Loop: Header=BB2160_202 Depth=1
	s_or_b64 exec, exec, s[28:29]
	ds_bpermute_b32 v37, v25, v0
	s_waitcnt vmcnt(8)
	ds_bpermute_b32 v36, v25, v35
	ds_bpermute_b32 v38, v25, v1
	;; [unrolled: 1-line block ×5, first 2 shown]
	v_cmp_le_u32_e32 vcc, v24, v34
	ds_bpermute_b32 v42, v25, v5
	ds_bpermute_b32 v43, v25, v6
	;; [unrolled: 1-line block ×3, first 2 shown]
	s_waitcnt lgkmcnt(8)
	buffer_store_dword v37, off, s[0:3], 0
	s_waitcnt lgkmcnt(6)
	buffer_store_dword v38, off, s[0:3], 0 offset:4
	s_waitcnt lgkmcnt(5)
	buffer_store_dword v39, off, s[0:3], 0 offset:8
	;; [unrolled: 2-line block ×7, first 2 shown]
	s_and_saveexec_b64 s[28:29], vcc
	s_cbranch_execz .LBB2160_243
; %bb.236:                              ;   in Loop: Header=BB2160_202 Depth=1
	v_cmp_eq_u16_sdwa s[44:45], v35, v29 src0_sel:BYTE_0 src1_sel:DWORD
	s_and_saveexec_b64 s[8:9], s[44:45]
	s_cbranch_execz .LBB2160_242
; %bb.237:                              ;   in Loop: Header=BB2160_202 Depth=1
	s_mov_b32 s11, 0
.LBB2160_238:                           ;   Parent Loop BB2160_202 Depth=1
                                        ; =>  This Inner Loop Header: Depth=2
	v_add_u32_e32 v0, s11, v11
	s_add_i32 s11, s11, 8
	s_cmp_lg_u32 s11, 32
	ds_write2_b32 v0, v29, v29 offset1:1
	s_cbranch_scc1 .LBB2160_238
; %bb.239:                              ;   in Loop: Header=BB2160_202 Depth=1
	s_mov_b32 s11, 0
.LBB2160_240:                           ;   Parent Loop BB2160_202 Depth=1
                                        ; =>  This Inner Loop Header: Depth=2
	v_add_u32_e32 v0, s11, v31
	v_add_u32_e32 v1, s11, v32
	buffer_load_dword v2, v0, s[0:3], 0 offen offset:4
	buffer_load_dword v3, v0, s[0:3], 0 offen
	buffer_load_dword v4, v1, s[0:3], 0 offen offset:4
	buffer_load_dword v5, v1, s[0:3], 0 offen
	v_add_u32_e32 v0, s11, v11
	s_add_i32 s11, s11, 8
	s_cmp_lg_u32 s11, 32
	s_waitcnt vmcnt(1)
	v_add_u32_e32 v1, v4, v2
	s_waitcnt vmcnt(0)
	v_add_u32_e32 v2, v5, v3
	ds_write2_b32 v0, v2, v1 offset1:1
	s_cbranch_scc1 .LBB2160_240
; %bb.241:                              ;   in Loop: Header=BB2160_202 Depth=1
	ds_read2_b32 v[0:1], v11 offset1:1
	ds_read2_b32 v[2:3], v11 offset0:2 offset1:3
	ds_read2_b32 v[4:5], v11 offset0:4 offset1:5
	;; [unrolled: 1-line block ×3, first 2 shown]
.LBB2160_242:                           ;   in Loop: Header=BB2160_202 Depth=1
	s_or_b64 exec, exec, s[8:9]
	v_and_b32_e32 v35, 1, v35
	v_cmp_eq_u32_e32 vcc, 1, v35
	v_and_b32_e32 v35, 1, v36
	v_cmp_eq_u32_e64 s[8:9], 1, v35
	s_or_b64 s[8:9], vcc, s[8:9]
	v_cndmask_b32_e64 v35, 0, 1, s[8:9]
	buffer_store_byte v35, off, s[0:3], 0 offset:200
	buffer_load_dword v35, off, s[0:3], 0 offset:200
	s_waitcnt lgkmcnt(3)
	buffer_store_dword v1, off, s[0:3], 0 offset:172
	buffer_store_dword v0, off, s[0:3], 0 offset:168
	s_waitcnt lgkmcnt(2)
	buffer_store_dword v3, off, s[0:3], 0 offset:180
	buffer_store_dword v2, off, s[0:3], 0 offset:176
	;; [unrolled: 3-line block ×4, first 2 shown]
.LBB2160_243:                           ;   in Loop: Header=BB2160_202 Depth=1
	s_or_b64 exec, exec, s[28:29]
	ds_bpermute_b32 v37, v27, v0
	s_waitcnt vmcnt(8)
	ds_bpermute_b32 v36, v27, v35
	ds_bpermute_b32 v38, v27, v1
	;; [unrolled: 1-line block ×5, first 2 shown]
	v_cmp_le_u32_e32 vcc, v26, v34
	ds_bpermute_b32 v42, v27, v5
	ds_bpermute_b32 v43, v27, v6
	;; [unrolled: 1-line block ×3, first 2 shown]
	s_waitcnt lgkmcnt(8)
	buffer_store_dword v37, off, s[0:3], 0
	s_waitcnt lgkmcnt(6)
	buffer_store_dword v38, off, s[0:3], 0 offset:4
	s_waitcnt lgkmcnt(5)
	buffer_store_dword v39, off, s[0:3], 0 offset:8
	;; [unrolled: 2-line block ×7, first 2 shown]
	s_and_saveexec_b64 s[28:29], vcc
	s_cbranch_execz .LBB2160_251
; %bb.244:                              ;   in Loop: Header=BB2160_202 Depth=1
	v_cmp_eq_u16_sdwa s[44:45], v35, v29 src0_sel:BYTE_0 src1_sel:DWORD
	s_and_saveexec_b64 s[8:9], s[44:45]
	s_cbranch_execz .LBB2160_250
; %bb.245:                              ;   in Loop: Header=BB2160_202 Depth=1
	s_mov_b32 s11, 0
.LBB2160_246:                           ;   Parent Loop BB2160_202 Depth=1
                                        ; =>  This Inner Loop Header: Depth=2
	v_add_u32_e32 v0, s11, v11
	s_add_i32 s11, s11, 8
	s_cmp_lg_u32 s11, 32
	ds_write2_b32 v0, v29, v29 offset1:1
	s_cbranch_scc1 .LBB2160_246
; %bb.247:                              ;   in Loop: Header=BB2160_202 Depth=1
	s_mov_b32 s11, 0
.LBB2160_248:                           ;   Parent Loop BB2160_202 Depth=1
                                        ; =>  This Inner Loop Header: Depth=2
	v_add_u32_e32 v0, s11, v31
	v_add_u32_e32 v1, s11, v32
	buffer_load_dword v2, v0, s[0:3], 0 offen offset:4
	buffer_load_dword v3, v0, s[0:3], 0 offen
	buffer_load_dword v4, v1, s[0:3], 0 offen offset:4
	buffer_load_dword v5, v1, s[0:3], 0 offen
	v_add_u32_e32 v0, s11, v11
	s_add_i32 s11, s11, 8
	s_cmp_lg_u32 s11, 32
	s_waitcnt vmcnt(1)
	v_add_u32_e32 v1, v4, v2
	s_waitcnt vmcnt(0)
	v_add_u32_e32 v2, v5, v3
	ds_write2_b32 v0, v2, v1 offset1:1
	s_cbranch_scc1 .LBB2160_248
; %bb.249:                              ;   in Loop: Header=BB2160_202 Depth=1
	ds_read2_b32 v[0:1], v11 offset1:1
	ds_read2_b32 v[2:3], v11 offset0:2 offset1:3
	ds_read2_b32 v[4:5], v11 offset0:4 offset1:5
	;; [unrolled: 1-line block ×3, first 2 shown]
.LBB2160_250:                           ;   in Loop: Header=BB2160_202 Depth=1
	s_or_b64 exec, exec, s[8:9]
	v_and_b32_e32 v35, 1, v35
	v_cmp_eq_u32_e32 vcc, 1, v35
	v_and_b32_e32 v35, 1, v36
	v_cmp_eq_u32_e64 s[8:9], 1, v35
	s_or_b64 s[8:9], vcc, s[8:9]
	v_cndmask_b32_e64 v35, 0, 1, s[8:9]
	buffer_store_byte v35, off, s[0:3], 0 offset:200
	buffer_load_dword v35, off, s[0:3], 0 offset:200
	s_waitcnt lgkmcnt(3)
	buffer_store_dword v1, off, s[0:3], 0 offset:172
	buffer_store_dword v0, off, s[0:3], 0 offset:168
	s_waitcnt lgkmcnt(2)
	buffer_store_dword v3, off, s[0:3], 0 offset:180
	buffer_store_dword v2, off, s[0:3], 0 offset:176
	;; [unrolled: 3-line block ×4, first 2 shown]
.LBB2160_251:                           ;   in Loop: Header=BB2160_202 Depth=1
	s_or_b64 exec, exec, s[28:29]
	ds_bpermute_b32 v37, v9, v0
	s_waitcnt vmcnt(8)
	ds_bpermute_b32 v36, v9, v35
	ds_bpermute_b32 v38, v9, v1
	;; [unrolled: 1-line block ×4, first 2 shown]
	v_cmp_le_u32_e32 vcc, v28, v34
	v_and_b32_e32 v34, 1, v35
	ds_bpermute_b32 v41, v9, v4
	v_cmp_eq_u32_e64 s[8:9], 1, v34
	ds_bpermute_b32 v42, v9, v5
	ds_bpermute_b32 v43, v9, v6
	;; [unrolled: 1-line block ×3, first 2 shown]
	s_waitcnt lgkmcnt(8)
	buffer_store_dword v37, off, s[0:3], 0
	s_waitcnt lgkmcnt(6)
	buffer_store_dword v38, off, s[0:3], 0 offset:4
	s_waitcnt lgkmcnt(5)
	buffer_store_dword v39, off, s[0:3], 0 offset:8
	;; [unrolled: 2-line block ×7, first 2 shown]
	s_and_saveexec_b64 s[28:29], vcc
	s_cbranch_execz .LBB2160_259
; %bb.252:                              ;   in Loop: Header=BB2160_202 Depth=1
	v_cmp_eq_u16_sdwa s[46:47], v35, v29 src0_sel:BYTE_0 src1_sel:DWORD
	s_and_saveexec_b64 s[44:45], s[46:47]
	s_cbranch_execz .LBB2160_258
; %bb.253:                              ;   in Loop: Header=BB2160_202 Depth=1
	s_mov_b32 s11, 0
.LBB2160_254:                           ;   Parent Loop BB2160_202 Depth=1
                                        ; =>  This Inner Loop Header: Depth=2
	v_add_u32_e32 v0, s11, v11
	s_add_i32 s11, s11, 8
	s_cmp_lg_u32 s11, 32
	ds_write2_b32 v0, v29, v29 offset1:1
	s_cbranch_scc1 .LBB2160_254
; %bb.255:                              ;   in Loop: Header=BB2160_202 Depth=1
	s_mov_b32 s11, 0
.LBB2160_256:                           ;   Parent Loop BB2160_202 Depth=1
                                        ; =>  This Inner Loop Header: Depth=2
	v_add_u32_e32 v0, s11, v31
	v_add_u32_e32 v1, s11, v32
	buffer_load_dword v2, v0, s[0:3], 0 offen offset:4
	buffer_load_dword v3, v0, s[0:3], 0 offen
	buffer_load_dword v4, v1, s[0:3], 0 offen offset:4
	buffer_load_dword v5, v1, s[0:3], 0 offen
	v_add_u32_e32 v0, s11, v11
	s_add_i32 s11, s11, 8
	s_cmp_lg_u32 s11, 32
	s_waitcnt vmcnt(1)
	v_add_u32_e32 v1, v4, v2
	s_waitcnt vmcnt(0)
	v_add_u32_e32 v2, v5, v3
	ds_write2_b32 v0, v2, v1 offset1:1
	s_cbranch_scc1 .LBB2160_256
; %bb.257:                              ;   in Loop: Header=BB2160_202 Depth=1
	ds_read2_b32 v[0:1], v11 offset1:1
	ds_read2_b32 v[2:3], v11 offset0:2 offset1:3
	ds_read2_b32 v[4:5], v11 offset0:4 offset1:5
	;; [unrolled: 1-line block ×3, first 2 shown]
.LBB2160_258:                           ;   in Loop: Header=BB2160_202 Depth=1
	s_or_b64 exec, exec, s[44:45]
	v_and_b32_e32 v34, 1, v36
	v_cmp_eq_u32_e32 vcc, 1, v34
	s_or_b64 s[44:45], s[8:9], vcc
	v_cndmask_b32_e64 v34, 0, 1, s[44:45]
	s_andn2_b64 s[8:9], s[8:9], exec
	s_and_b64 s[44:45], s[44:45], exec
	s_or_b64 s[8:9], s[8:9], s[44:45]
	s_waitcnt lgkmcnt(3)
	buffer_store_dword v1, off, s[0:3], 0 offset:172
	buffer_store_dword v0, off, s[0:3], 0 offset:168
	s_waitcnt lgkmcnt(2)
	buffer_store_dword v3, off, s[0:3], 0 offset:180
	buffer_store_dword v2, off, s[0:3], 0 offset:176
	;; [unrolled: 3-line block ×4, first 2 shown]
	buffer_store_byte v34, off, s[0:3], 0 offset:200
.LBB2160_259:                           ;   in Loop: Header=BB2160_202 Depth=1
	s_or_b64 exec, exec, s[28:29]
	buffer_load_ubyte v34, off, s[0:3], 0 offset:164
                                        ; implicit-def: $vgpr6_vgpr7
                                        ; implicit-def: $vgpr4_vgpr5
                                        ; implicit-def: $vgpr2_vgpr3
                                        ; implicit-def: $vgpr0_vgpr1
	s_waitcnt vmcnt(0)
	v_cmp_ne_u16_e32 vcc, 0, v34
	s_and_saveexec_b64 s[28:29], vcc
	s_xor_b64 s[28:29], exec, s[28:29]
	s_cbranch_execz .LBB2160_261
; %bb.260:                              ;   in Loop: Header=BB2160_202 Depth=1
	buffer_load_dword v0, off, s[0:3], 0 offset:132
	buffer_load_dword v1, off, s[0:3], 0 offset:136
	;; [unrolled: 1-line block ×8, first 2 shown]
.LBB2160_261:                           ;   in Loop: Header=BB2160_202 Depth=1
	s_andn2_saveexec_b64 s[28:29], s[28:29]
	s_cbranch_execz .LBB2160_267
; %bb.262:                              ;   in Loop: Header=BB2160_202 Depth=1
	s_mov_b32 s11, 0
	s_waitcnt vmcnt(0)
.LBB2160_263:                           ;   Parent Loop BB2160_202 Depth=1
                                        ; =>  This Inner Loop Header: Depth=2
	v_add_u32_e32 v0, s11, v31
	s_add_i32 s11, s11, 8
	s_cmp_lg_u32 s11, 32
	buffer_store_dword v29, v0, s[0:3], 0 offen offset:4
	buffer_store_dword v29, v0, s[0:3], 0 offen
	s_cbranch_scc1 .LBB2160_263
; %bb.264:                              ;   in Loop: Header=BB2160_202 Depth=1
	s_mov_b32 s11, 0
.LBB2160_265:                           ;   Parent Loop BB2160_202 Depth=1
                                        ; =>  This Inner Loop Header: Depth=2
	v_add_u32_e32 v0, s11, v32
	v_add_u32_e32 v1, s11, v33
	buffer_load_dword v2, v0, s[0:3], 0 offen offset:4
	buffer_load_dword v3, v1, s[0:3], 0 offen
	buffer_load_dword v4, v0, s[0:3], 0 offen
	buffer_load_dword v5, v1, s[0:3], 0 offen offset:4
	v_add_u32_e32 v0, s11, v31
	s_add_i32 s11, s11, 8
	s_cmp_lg_u32 s11, 32
	s_waitcnt vmcnt(1)
	v_add_u32_e32 v1, v3, v4
	s_waitcnt vmcnt(0)
	v_add_u32_e32 v2, v5, v2
	buffer_store_dword v2, v0, s[0:3], 0 offen offset:4
	buffer_store_dword v1, v0, s[0:3], 0 offen
	s_cbranch_scc1 .LBB2160_265
; %bb.266:                              ;   in Loop: Header=BB2160_202 Depth=1
	buffer_load_dword v0, off, s[0:3], 0
	buffer_load_dword v1, off, s[0:3], 0 offset:4
	buffer_load_dword v2, off, s[0:3], 0 offset:8
	;; [unrolled: 1-line block ×7, first 2 shown]
.LBB2160_267:                           ;   in Loop: Header=BB2160_202 Depth=1
	s_or_b64 exec, exec, s[28:29]
	v_and_b32_e32 v34, 1, v34
	v_cmp_eq_u32_e32 vcc, 1, v34
	s_or_b64 s[8:9], vcc, s[8:9]
	v_subrev_u32_e32 v10, 64, v10
	v_cndmask_b32_e64 v34, 0, 1, s[8:9]
	s_waitcnt vmcnt(6)
	buffer_store_dword v1, off, s[0:3], 0 offset:136
	buffer_store_dword v0, off, s[0:3], 0 offset:132
	s_waitcnt vmcnt(6)
	buffer_store_dword v3, off, s[0:3], 0 offset:144
	buffer_store_dword v2, off, s[0:3], 0 offset:140
	;; [unrolled: 3-line block ×4, first 2 shown]
	buffer_store_byte v34, off, s[0:3], 0 offset:164
	s_branch .LBB2160_202
.LBB2160_268:
	buffer_load_dword v1, off, s[0:3], 0 offset:136
	buffer_load_dword v0, off, s[0:3], 0 offset:132
	;; [unrolled: 1-line block ×9, first 2 shown]
	s_waitcnt vmcnt(8)
	buffer_store_dword v1, off, s[0:3], 0 offset:4
	s_waitcnt vmcnt(8)
	buffer_store_dword v0, off, s[0:3], 0
	s_waitcnt vmcnt(8)
	buffer_store_dword v3, off, s[0:3], 0 offset:12
	s_waitcnt vmcnt(8)
	buffer_store_dword v2, off, s[0:3], 0 offset:8
	;; [unrolled: 2-line block ×7, first 2 shown]
	s_and_saveexec_b64 s[8:9], s[6:7]
	s_cbranch_execz .LBB2160_278
; %bb.269:
	buffer_load_ubyte v10, off, s[0:3], 0 offset:236
                                        ; implicit-def: $vgpr2_vgpr3
                                        ; implicit-def: $vgpr6_vgpr7
	s_waitcnt vmcnt(0)
	v_cmp_ne_u16_e32 vcc, 0, v10
	s_and_saveexec_b64 s[6:7], vcc
	s_xor_b64 s[6:7], exec, s[6:7]
	s_cbranch_execz .LBB2160_271
; %bb.270:
	buffer_load_dword v4, off, s[0:3], 0 offset:204
	buffer_load_dword v5, off, s[0:3], 0 offset:208
	buffer_load_dword v6, off, s[0:3], 0 offset:212
	buffer_load_dword v7, off, s[0:3], 0 offset:216
	buffer_load_dword v0, off, s[0:3], 0 offset:220
	buffer_load_dword v1, off, s[0:3], 0 offset:224
	buffer_load_dword v2, off, s[0:3], 0 offset:228
	buffer_load_dword v3, off, s[0:3], 0 offset:232
.LBB2160_271:
	s_andn2_saveexec_b64 s[6:7], s[6:7]
	s_cbranch_execz .LBB2160_277
; %bb.272:
	s_mov_b32 s11, 0
	s_waitcnt vmcnt(3)
	v_mov_b32_e32 v0, 0x60
	s_waitcnt vmcnt(2)
	v_mov_b32_e32 v1, 0
	s_waitcnt vmcnt(0)
.LBB2160_273:                           ; =>This Inner Loop Header: Depth=1
	v_add_u32_e32 v2, s11, v0
	s_add_i32 s11, s11, 8
	s_cmp_lg_u32 s11, 32
	buffer_store_dword v1, v2, s[0:3], 0 offen offset:4
	buffer_store_dword v1, v2, s[0:3], 0 offen
	s_cbranch_scc1 .LBB2160_273
; %bb.274:
	s_mov_b32 s11, 0
	v_mov_b32_e32 v0, 0
	v_mov_b32_e32 v1, 0xcc
	;; [unrolled: 1-line block ×3, first 2 shown]
.LBB2160_275:                           ; =>This Inner Loop Header: Depth=1
	v_add_u32_e32 v3, s11, v0
	v_add_u32_e32 v4, s11, v1
	buffer_load_dword v5, v3, s[0:3], 0 offen offset:4
	buffer_load_dword v6, v4, s[0:3], 0 offen
	buffer_load_dword v7, v3, s[0:3], 0 offen
	buffer_load_dword v11, v4, s[0:3], 0 offen offset:4
	v_add_u32_e32 v3, s11, v2
	s_add_i32 s11, s11, 8
	s_cmp_lg_u32 s11, 32
	s_waitcnt vmcnt(1)
	v_add_u32_e32 v4, v6, v7
	s_waitcnt vmcnt(0)
	v_add_u32_e32 v5, v11, v5
	buffer_store_dword v5, v3, s[0:3], 0 offen offset:4
	buffer_store_dword v4, v3, s[0:3], 0 offen
	s_cbranch_scc1 .LBB2160_275
; %bb.276:
	buffer_load_dword v4, off, s[0:3], 0 offset:96
	buffer_load_dword v5, off, s[0:3], 0 offset:100
	buffer_load_dword v6, off, s[0:3], 0 offset:104
	buffer_load_dword v7, off, s[0:3], 0 offset:108
	buffer_load_dword v0, off, s[0:3], 0 offset:112
	buffer_load_dword v1, off, s[0:3], 0 offset:116
	buffer_load_dword v2, off, s[0:3], 0 offset:120
	buffer_load_dword v3, off, s[0:3], 0 offset:124
.LBB2160_277:
	s_or_b64 exec, exec, s[6:7]
	s_add_i32 s10, s10, 64
	s_mul_i32 s6, s10, 36
	s_mul_hi_u32 s7, s10, 36
	s_add_u32 s6, s18, s6
	v_or_b32_e32 v9, v10, v9
	s_addc_u32 s7, s19, s7
	v_mov_b32_e32 v10, 0
	v_and_b32_e32 v9, 1, v9
	s_waitcnt vmcnt(4)
	global_store_dwordx4 v10, v[4:7], s[6:7]
	s_waitcnt vmcnt(1)
	global_store_dwordx4 v10, v[0:3], s[6:7] offset:16
	global_store_byte v10, v9, s[6:7] offset:32
	v_mov_b32_e32 v0, s10
	v_mov_b32_e32 v1, 2
	s_waitcnt vmcnt(0)
	buffer_wbinvl1_vol
	global_store_byte v0, v1, s[20:21]
	buffer_load_dword v0, off, s[0:3], 0
	s_nop 0
	buffer_load_dword v1, off, s[0:3], 0 offset:4
	buffer_load_dword v2, off, s[0:3], 0 offset:8
	;; [unrolled: 1-line block ×7, first 2 shown]
	buffer_load_ubyte v9, off, s[0:3], 0 offset:32
.LBB2160_278:
	s_or_b64 exec, exec, s[8:9]
	v_cmp_eq_u32_e32 vcc, 0, v8
	s_and_b64 exec, exec, vcc
	s_cbranch_execz .LBB2160_280
; %bb.279:
	v_mov_b32_e32 v10, 0
	s_waitcnt vmcnt(7)
	ds_write2_b32 v10, v0, v1 offset0:27 offset1:28
	s_waitcnt vmcnt(5)
	ds_write2_b32 v10, v2, v3 offset0:29 offset1:30
	;; [unrolled: 2-line block ×4, first 2 shown]
	s_waitcnt vmcnt(0)
	ds_write_b8 v10, v9 offset:140
.LBB2160_280:
	s_or_b64 exec, exec, s[12:13]
	s_waitcnt lgkmcnt(0)
	s_barrier
	buffer_load_dword v9, off, s[0:3], 0 offset:332
	buffer_load_dword v11, off, s[0:3], 0 offset:328
	;; [unrolled: 1-line block ×9, first 2 shown]
	s_waitcnt vmcnt(11)
	v_mov_b32_e32 v6, 0
	ds_read2_b32 v[0:1], v6 offset0:27 offset1:28
	ds_read_b32 v10, v6 offset:140
	ds_read2_b32 v[2:3], v6 offset0:29 offset1:30
	ds_read2_b32 v[4:5], v6 offset0:31 offset1:32
	s_waitcnt vmcnt(10)
	ds_read2_b32 v[6:7], v6 offset0:33 offset1:34
	v_cmp_ne_u32_e32 vcc, 0, v8
	s_waitcnt lgkmcnt(4)
	buffer_store_dword v1, off, s[0:3], 0 offset:4
	buffer_store_dword v0, off, s[0:3], 0
	s_waitcnt lgkmcnt(2)
	buffer_store_dword v3, off, s[0:3], 0 offset:12
	buffer_store_dword v2, off, s[0:3], 0 offset:8
	s_waitcnt lgkmcnt(1)
	buffer_store_dword v5, off, s[0:3], 0 offset:20
	buffer_store_dword v4, off, s[0:3], 0 offset:16
	;; [unrolled: 3-line block ×3, first 2 shown]
	buffer_store_dword v10, off, s[0:3], 0 offset:32
	buffer_store_dword v3, off, s[0:3], 0 offset:144
	;; [unrolled: 1-line block ×10, first 2 shown]
	s_waitcnt vmcnt(26)
	buffer_store_dword v9, off, s[0:3], 0 offset:108
	s_waitcnt vmcnt(26)
	buffer_store_dword v11, off, s[0:3], 0 offset:104
	;; [unrolled: 2-line block ×9, first 2 shown]
                                        ; implicit-def: $vgpr9
	s_and_saveexec_b64 s[6:7], vcc
	s_xor_b64 s[6:7], exec, s[6:7]
	s_cbranch_execz .LBB2160_290
; %bb.281:
	buffer_load_ubyte v9, off, s[0:3], 0 offset:272
                                        ; implicit-def: $vgpr6_vgpr7
                                        ; implicit-def: $vgpr4_vgpr5
                                        ; implicit-def: $vgpr2_vgpr3
                                        ; implicit-def: $vgpr0_vgpr1
	s_waitcnt vmcnt(0)
	v_cmp_ne_u16_e32 vcc, 0, v9
	s_and_saveexec_b64 s[8:9], vcc
	s_xor_b64 s[8:9], exec, s[8:9]
	s_cbranch_execz .LBB2160_283
; %bb.282:
	buffer_load_dword v0, off, s[0:3], 0 offset:240
	buffer_load_dword v1, off, s[0:3], 0 offset:244
	;; [unrolled: 1-line block ×8, first 2 shown]
.LBB2160_283:
	s_andn2_saveexec_b64 s[8:9], s[8:9]
	s_cbranch_execz .LBB2160_289
; %bb.284:
	s_mov_b32 s10, 0
	s_waitcnt vmcnt(7)
	v_mov_b32_e32 v0, 0xa8
	s_waitcnt vmcnt(6)
	v_mov_b32_e32 v1, 0
	s_waitcnt vmcnt(0)
.LBB2160_285:                           ; =>This Inner Loop Header: Depth=1
	v_add_u32_e32 v2, s10, v0
	s_add_i32 s10, s10, 8
	s_cmp_lg_u32 s10, 32
	buffer_store_dword v1, v2, s[0:3], 0 offen offset:4
	buffer_store_dword v1, v2, s[0:3], 0 offen
	s_cbranch_scc1 .LBB2160_285
; %bb.286:
	s_mov_b32 s10, 0
	v_mov_b32_e32 v0, 0
	v_mov_b32_e32 v1, 0xf0
	;; [unrolled: 1-line block ×3, first 2 shown]
.LBB2160_287:                           ; =>This Inner Loop Header: Depth=1
	v_add_u32_e32 v3, s10, v0
	v_add_u32_e32 v4, s10, v1
	buffer_load_dword v5, v3, s[0:3], 0 offen offset:4
	buffer_load_dword v6, v4, s[0:3], 0 offen
	buffer_load_dword v7, v3, s[0:3], 0 offen
	buffer_load_dword v11, v4, s[0:3], 0 offen offset:4
	v_add_u32_e32 v3, s10, v2
	s_add_i32 s10, s10, 8
	s_cmp_lg_u32 s10, 32
	s_waitcnt vmcnt(1)
	v_add_u32_e32 v4, v6, v7
	s_waitcnt vmcnt(0)
	v_add_u32_e32 v5, v11, v5
	buffer_store_dword v5, v3, s[0:3], 0 offen offset:4
	buffer_store_dword v4, v3, s[0:3], 0 offen
	s_cbranch_scc1 .LBB2160_287
; %bb.288:
	buffer_load_dword v0, off, s[0:3], 0 offset:168
	buffer_load_dword v1, off, s[0:3], 0 offset:172
	;; [unrolled: 1-line block ×8, first 2 shown]
.LBB2160_289:
	s_or_b64 exec, exec, s[8:9]
	v_or_b32_e32 v9, v9, v10
	v_and_b32_e32 v9, 1, v9
	s_waitcnt vmcnt(6)
	buffer_store_dword v1, off, s[0:3], 0 offset:136
	buffer_store_dword v0, off, s[0:3], 0 offset:132
	s_waitcnt vmcnt(6)
	buffer_store_dword v3, off, s[0:3], 0 offset:144
	buffer_store_dword v2, off, s[0:3], 0 offset:140
	;; [unrolled: 3-line block ×4, first 2 shown]
.LBB2160_290:
	s_andn2_saveexec_b64 s[6:7], s[6:7]
	s_cbranch_execz .LBB2160_292
; %bb.291:
	buffer_load_ubyte v9, off, s[0:3], 0 offset:164
.LBB2160_292:
	s_or_b64 exec, exec, s[6:7]
	buffer_load_dword v0, off, s[0:3], 0 offset:144
	buffer_load_dword v1, off, s[0:3], 0 offset:140
	;; [unrolled: 1-line block ×8, first 2 shown]
	buffer_load_ubyte v10, off, s[0:3], 0 offset:128
	s_waitcnt vmcnt(9)
	buffer_store_byte v9, off, s[0:3], 0 offset:352
	s_waitcnt vmcnt(9)
	buffer_store_dword v0, off, s[0:3], 0 offset:332
	s_waitcnt vmcnt(9)
	buffer_store_dword v1, off, s[0:3], 0 offset:328
	;; [unrolled: 2-line block ×8, first 2 shown]
	s_waitcnt vmcnt(9)
	v_cmp_ne_u16_e32 vcc, 0, v10
                                        ; implicit-def: $vgpr6_vgpr7
                                        ; implicit-def: $vgpr4_vgpr5
                                        ; implicit-def: $vgpr2_vgpr3
                                        ; implicit-def: $vgpr0_vgpr1
	s_and_saveexec_b64 s[6:7], vcc
	s_xor_b64 s[6:7], exec, s[6:7]
	s_cbranch_execz .LBB2160_294
; %bb.293:
	buffer_load_dword v0, off, s[0:3], 0 offset:96
	buffer_load_dword v1, off, s[0:3], 0 offset:100
	;; [unrolled: 1-line block ×8, first 2 shown]
.LBB2160_294:
	s_andn2_saveexec_b64 s[6:7], s[6:7]
	s_cbranch_execz .LBB2160_300
; %bb.295:
	s_mov_b32 s8, 0
	s_waitcnt vmcnt(7)
	v_mov_b32_e32 v0, 0xa8
	s_waitcnt vmcnt(6)
	v_mov_b32_e32 v1, 0
	s_waitcnt vmcnt(0)
.LBB2160_296:                           ; =>This Inner Loop Header: Depth=1
	v_add_u32_e32 v2, s8, v0
	s_add_i32 s8, s8, 8
	s_cmp_lg_u32 s8, 32
	buffer_store_dword v1, v2, s[0:3], 0 offen offset:4
	buffer_store_dword v1, v2, s[0:3], 0 offen
	s_cbranch_scc1 .LBB2160_296
; %bb.297:
	s_mov_b32 s8, 0
	v_mov_b32_e32 v0, 0x84
	v_mov_b32_e32 v1, 0x60
	;; [unrolled: 1-line block ×3, first 2 shown]
.LBB2160_298:                           ; =>This Inner Loop Header: Depth=1
	v_add_u32_e32 v3, s8, v0
	v_add_u32_e32 v4, s8, v1
	buffer_load_dword v5, v3, s[0:3], 0 offen offset:4
	buffer_load_dword v6, v4, s[0:3], 0 offen
	buffer_load_dword v7, v3, s[0:3], 0 offen
	buffer_load_dword v11, v4, s[0:3], 0 offen offset:4
	v_add_u32_e32 v3, s8, v2
	s_add_i32 s8, s8, 8
	s_cmp_lg_u32 s8, 32
	s_waitcnt vmcnt(1)
	v_add_u32_e32 v4, v6, v7
	s_waitcnt vmcnt(0)
	v_add_u32_e32 v5, v11, v5
	buffer_store_dword v5, v3, s[0:3], 0 offen offset:4
	buffer_store_dword v4, v3, s[0:3], 0 offen
	s_cbranch_scc1 .LBB2160_298
; %bb.299:
	buffer_load_dword v0, off, s[0:3], 0 offset:168
	buffer_load_dword v1, off, s[0:3], 0 offset:172
	buffer_load_dword v2, off, s[0:3], 0 offset:176
	buffer_load_dword v3, off, s[0:3], 0 offset:180
	buffer_load_dword v4, off, s[0:3], 0 offset:184
	buffer_load_dword v5, off, s[0:3], 0 offset:188
	buffer_load_dword v6, off, s[0:3], 0 offset:192
	buffer_load_dword v7, off, s[0:3], 0 offset:196
.LBB2160_300:
	s_or_b64 exec, exec, s[6:7]
	buffer_load_dword v12, v18, s[0:3], 0 offen offset:12
	buffer_load_dword v13, v18, s[0:3], 0 offen offset:8
	;; [unrolled: 1-line block ×3, first 2 shown]
	buffer_load_dword v15, v18, s[0:3], 0 offen
	buffer_load_dword v16, v18, s[0:3], 0 offen offset:28
	buffer_load_dword v17, v18, s[0:3], 0 offen offset:24
	;; [unrolled: 1-line block ×4, first 2 shown]
	buffer_load_ubyte v11, off, s[0:3], 0 offset:388
	v_or_b32_e32 v9, v10, v9
	s_waitcnt vmcnt(15)
	buffer_store_dword v1, off, s[0:3], 0 offset:136
	buffer_store_dword v0, off, s[0:3], 0 offset:132
	s_waitcnt vmcnt(15)
	buffer_store_dword v3, off, s[0:3], 0 offset:144
	buffer_store_dword v2, off, s[0:3], 0 offset:140
	;; [unrolled: 3-line block ×4, first 2 shown]
	buffer_store_dword v0, v18, s[0:3], 0 offen
	buffer_store_dword v1, v18, s[0:3], 0 offen offset:4
	buffer_store_dword v2, v18, s[0:3], 0 offen offset:8
	;; [unrolled: 1-line block ×7, first 2 shown]
	v_and_b32_e32 v0, 1, v9
	v_cmp_eq_u32_e32 vcc, 1, v0
                                        ; implicit-def: $vgpr6_vgpr7
                                        ; implicit-def: $vgpr2_vgpr3
                                        ; implicit-def: $vgpr4_vgpr5
	buffer_store_byte v0, off, s[0:3], 0 offset:388
	s_waitcnt vmcnt(25)
	buffer_store_dword v12, off, s[0:3], 0 offset:108
	s_waitcnt vmcnt(25)
	buffer_store_dword v13, off, s[0:3], 0 offset:104
	;; [unrolled: 2-line block ×8, first 2 shown]
	s_waitcnt vmcnt(25)
	v_cmp_ne_u16_e64 s[6:7], 0, v11
                                        ; implicit-def: $vgpr0_vgpr1
	s_and_saveexec_b64 s[8:9], s[6:7]
	s_xor_b64 s[6:7], exec, s[8:9]
	s_cbranch_execz .LBB2160_302
; %bb.301:
	buffer_load_dword v0, off, s[0:3], 0 offset:96
	buffer_load_dword v1, off, s[0:3], 0 offset:100
	;; [unrolled: 1-line block ×8, first 2 shown]
.LBB2160_302:
	s_andn2_saveexec_b64 s[6:7], s[6:7]
	s_cbranch_execz .LBB2160_308
; %bb.303:
	s_mov_b32 s8, 0
	s_waitcnt vmcnt(7)
	v_mov_b32_e32 v0, 0xa8
	s_waitcnt vmcnt(6)
	v_mov_b32_e32 v1, 0
	s_waitcnt vmcnt(0)
.LBB2160_304:                           ; =>This Inner Loop Header: Depth=1
	v_add_u32_e32 v2, s8, v0
	s_add_i32 s8, s8, 8
	s_cmp_lg_u32 s8, 32
	buffer_store_dword v1, v2, s[0:3], 0 offen offset:4
	buffer_store_dword v1, v2, s[0:3], 0 offen
	s_cbranch_scc1 .LBB2160_304
; %bb.305:
	s_mov_b32 s8, 0
	v_mov_b32_e32 v0, 0x84
	v_mov_b32_e32 v1, 0x60
	;; [unrolled: 1-line block ×3, first 2 shown]
.LBB2160_306:                           ; =>This Inner Loop Header: Depth=1
	v_add_u32_e32 v3, s8, v0
	v_add_u32_e32 v4, s8, v1
	buffer_load_dword v5, v3, s[0:3], 0 offen offset:4
	buffer_load_dword v6, v4, s[0:3], 0 offen
	buffer_load_dword v7, v3, s[0:3], 0 offen
	buffer_load_dword v9, v4, s[0:3], 0 offen offset:4
	v_add_u32_e32 v3, s8, v2
	s_add_i32 s8, s8, 8
	s_cmp_lg_u32 s8, 32
	s_waitcnt vmcnt(1)
	v_add_u32_e32 v4, v6, v7
	s_waitcnt vmcnt(0)
	v_add_u32_e32 v5, v9, v5
	buffer_store_dword v5, v3, s[0:3], 0 offen offset:4
	buffer_store_dword v4, v3, s[0:3], 0 offen
	s_cbranch_scc1 .LBB2160_306
; %bb.307:
	buffer_load_dword v0, off, s[0:3], 0 offset:168
	buffer_load_dword v1, off, s[0:3], 0 offset:172
	;; [unrolled: 1-line block ×8, first 2 shown]
.LBB2160_308:
	s_or_b64 exec, exec, s[6:7]
	v_and_b32_e32 v9, 1, v11
	v_cmp_eq_u32_e64 s[6:7], 1, v9
	s_or_b64 s[6:7], s[6:7], vcc
	v_cndmask_b32_e64 v9, 0, 1, s[6:7]
	s_waitcnt vmcnt(4)
	buffer_store_dword v5, v19, s[0:3], 0 offen offset:12
	buffer_store_dword v4, v19, s[0:3], 0 offen offset:8
	;; [unrolled: 1-line block ×3, first 2 shown]
	buffer_store_dword v0, v19, s[0:3], 0 offen
	s_waitcnt vmcnt(4)
	buffer_store_dword v7, v19, s[0:3], 0 offen offset:28
	buffer_store_dword v6, v19, s[0:3], 0 offen offset:24
	;; [unrolled: 1-line block ×4, first 2 shown]
	buffer_store_byte v9, off, s[0:3], 0 offset:424
	s_branch .LBB2160_449
.LBB2160_309:
	s_cbranch_execz .LBB2160_449
; %bb.310:
	s_cmp_lg_u64 s[34:35], 0
	s_cselect_b32 s7, s15, 0
	s_cselect_b32 s6, s14, 0
	s_mov_b32 s8, 0
	s_cmp_eq_u64 s[6:7], 0
	v_pk_mov_b32 v[4:5], s[36:37], s[36:37] op_sel:[0,1]
	v_pk_mov_b32 v[6:7], s[38:39], s[38:39] op_sel:[0,1]
	;; [unrolled: 1-line block ×4, first 2 shown]
	s_cbranch_scc1 .LBB2160_312
; %bb.311:
	v_mov_b32_e32 v9, 0
	global_load_dwordx4 v[0:3], v9, s[6:7] offset:16
	global_load_dwordx4 v[4:7], v9, s[6:7]
.LBB2160_312:
	v_mov_b32_e32 v9, 0
	v_mov_b32_e32 v10, 0xf0
	buffer_store_dword v9, off, s[0:3], 0 offset:268
	buffer_store_dword v9, off, s[0:3], 0 offset:264
	;; [unrolled: 1-line block ×9, first 2 shown]
.LBB2160_313:                           ; =>This Inner Loop Header: Depth=1
	v_add_u32_e32 v11, s8, v10
	s_add_i32 s8, s8, 8
	s_cmp_lg_u32 s8, 32
	buffer_store_dword v9, v11, s[0:3], 0 offen offset:4
	buffer_store_dword v9, v11, s[0:3], 0 offen
	s_cbranch_scc1 .LBB2160_313
; %bb.314:
	buffer_load_dword v10, off, s[0:3], 0 offset:332
	buffer_load_dword v11, off, s[0:3], 0 offset:328
	;; [unrolled: 1-line block ×9, first 2 shown]
	buffer_load_ubyte v20, off, s[0:3], 0 offset:388
	v_mov_b32_e32 v21, 0
	s_waitcnt vmcnt(21)
	buffer_store_dword v5, off, s[0:3], 0 offset:208
	buffer_store_dword v4, off, s[0:3], 0 offset:204
	;; [unrolled: 1-line block ×8, first 2 shown]
	buffer_store_byte v21, off, s[0:3], 0 offset:272
	buffer_store_byte v21, off, s[0:3], 0 offset:236
	s_waitcnt vmcnt(19)
	buffer_store_dword v10, off, s[0:3], 0 offset:180
	s_waitcnt vmcnt(19)
	buffer_store_dword v11, off, s[0:3], 0 offset:176
	s_waitcnt vmcnt(19)
	buffer_store_dword v12, off, s[0:3], 0 offset:172
	s_waitcnt vmcnt(19)
	buffer_store_dword v13, off, s[0:3], 0 offset:168
	s_waitcnt vmcnt(19)
	buffer_store_dword v14, off, s[0:3], 0 offset:196
	s_waitcnt vmcnt(19)
	buffer_store_dword v15, off, s[0:3], 0 offset:192
	s_waitcnt vmcnt(19)
	buffer_store_dword v16, off, s[0:3], 0 offset:188
	s_waitcnt vmcnt(19)
	buffer_store_dword v17, off, s[0:3], 0 offset:184
	s_waitcnt vmcnt(19)
	buffer_store_dword v9, off, s[0:3], 0 offset:200
	s_waitcnt vmcnt(19)
	v_cmp_ne_u16_e32 vcc, 0, v20
                                        ; implicit-def: $vgpr16_vgpr17
                                        ; implicit-def: $vgpr14_vgpr15
                                        ; implicit-def: $vgpr12_vgpr13
                                        ; implicit-def: $vgpr10_vgpr11
	s_and_saveexec_b64 s[6:7], vcc
	s_xor_b64 s[6:7], exec, s[6:7]
	s_cbranch_execz .LBB2160_316
; %bb.315:
	buffer_load_dword v10, off, s[0:3], 0 offset:356
	buffer_load_dword v11, off, s[0:3], 0 offset:360
	;; [unrolled: 1-line block ×8, first 2 shown]
.LBB2160_316:
	s_andn2_saveexec_b64 s[6:7], s[6:7]
	s_cbranch_execz .LBB2160_322
; %bb.317:
	s_mov_b32 s8, 0
	s_waitcnt vmcnt(7)
	v_mov_b32_e32 v10, 0
	s_waitcnt vmcnt(6)
	v_mov_b32_e32 v11, 0
	s_waitcnt vmcnt(0)
.LBB2160_318:                           ; =>This Inner Loop Header: Depth=1
	v_add_u32_e32 v12, s8, v10
	s_add_i32 s8, s8, 8
	s_cmp_lg_u32 s8, 32
	buffer_store_dword v11, v12, s[0:3], 0 offen offset:4
	buffer_store_dword v11, v12, s[0:3], 0 offen
	s_cbranch_scc1 .LBB2160_318
; %bb.319:
	s_mov_b32 s8, 0
	v_mov_b32_e32 v10, 0xa8
	v_mov_b32_e32 v11, 0x140
	;; [unrolled: 1-line block ×3, first 2 shown]
.LBB2160_320:                           ; =>This Inner Loop Header: Depth=1
	v_add_u32_e32 v13, s8, v10
	v_add_u32_e32 v14, s8, v11
	buffer_load_dword v15, v13, s[0:3], 0 offen offset:4
	buffer_load_dword v16, v14, s[0:3], 0 offen offset:36
	buffer_load_dword v17, v13, s[0:3], 0 offen
	buffer_load_dword v21, v14, s[0:3], 0 offen offset:40
	v_add_u32_e32 v13, s8, v12
	s_add_i32 s8, s8, 8
	s_cmp_lg_u32 s8, 32
	s_waitcnt vmcnt(1)
	v_add_u32_e32 v14, v16, v17
	s_waitcnt vmcnt(0)
	v_add_u32_e32 v15, v21, v15
	buffer_store_dword v15, v13, s[0:3], 0 offen offset:4
	buffer_store_dword v14, v13, s[0:3], 0 offen
	s_cbranch_scc1 .LBB2160_320
; %bb.321:
	buffer_load_dword v10, off, s[0:3], 0
	buffer_load_dword v11, off, s[0:3], 0 offset:4
	buffer_load_dword v12, off, s[0:3], 0 offset:8
	;; [unrolled: 1-line block ×7, first 2 shown]
.LBB2160_322:
	s_or_b64 exec, exec, s[6:7]
	buffer_load_ubyte v21, off, s[0:3], 0 offset:424
	s_waitcnt vmcnt(7)
	buffer_store_dword v11, off, s[0:3], 0 offset:172
	buffer_store_dword v10, off, s[0:3], 0 offset:168
	s_waitcnt vmcnt(7)
	buffer_store_dword v13, off, s[0:3], 0 offset:180
	buffer_store_dword v12, off, s[0:3], 0 offset:176
	;; [unrolled: 3-line block ×4, first 2 shown]
                                        ; implicit-def: $vgpr16_vgpr17
                                        ; implicit-def: $vgpr14_vgpr15
                                        ; implicit-def: $vgpr12_vgpr13
                                        ; implicit-def: $vgpr10_vgpr11
	s_waitcnt vmcnt(8)
	v_cmp_ne_u16_e32 vcc, 0, v21
	s_and_saveexec_b64 s[6:7], vcc
	s_xor_b64 s[6:7], exec, s[6:7]
	s_cbranch_execz .LBB2160_324
; %bb.323:
	buffer_load_dword v10, off, s[0:3], 0 offset:392
	buffer_load_dword v11, off, s[0:3], 0 offset:396
	;; [unrolled: 1-line block ×8, first 2 shown]
.LBB2160_324:
	s_andn2_saveexec_b64 s[6:7], s[6:7]
	s_cbranch_execz .LBB2160_330
; %bb.325:
	s_mov_b32 s8, 0
	s_waitcnt vmcnt(7)
	v_mov_b32_e32 v10, 0
	s_waitcnt vmcnt(6)
	v_mov_b32_e32 v11, 0
	s_waitcnt vmcnt(0)
.LBB2160_326:                           ; =>This Inner Loop Header: Depth=1
	v_add_u32_e32 v12, s8, v10
	s_add_i32 s8, s8, 8
	s_cmp_lg_u32 s8, 32
	buffer_store_dword v11, v12, s[0:3], 0 offen offset:4
	buffer_store_dword v11, v12, s[0:3], 0 offen
	s_cbranch_scc1 .LBB2160_326
; %bb.327:
	s_mov_b32 s8, 0
	v_mov_b32_e32 v10, 0xa8
	v_mov_b32_e32 v11, 0x140
	;; [unrolled: 1-line block ×3, first 2 shown]
.LBB2160_328:                           ; =>This Inner Loop Header: Depth=1
	v_add_u32_e32 v13, s8, v10
	v_add_u32_e32 v14, s8, v11
	buffer_load_dword v15, v13, s[0:3], 0 offen offset:4
	buffer_load_dword v16, v14, s[0:3], 0 offen offset:72
	buffer_load_dword v17, v13, s[0:3], 0 offen
	buffer_load_dword v22, v14, s[0:3], 0 offen offset:76
	v_add_u32_e32 v13, s8, v12
	s_add_i32 s8, s8, 8
	s_cmp_lg_u32 s8, 32
	s_waitcnt vmcnt(1)
	v_add_u32_e32 v14, v16, v17
	s_waitcnt vmcnt(0)
	v_add_u32_e32 v15, v22, v15
	buffer_store_dword v15, v13, s[0:3], 0 offen offset:4
	buffer_store_dword v14, v13, s[0:3], 0 offen
	s_cbranch_scc1 .LBB2160_328
; %bb.329:
	buffer_load_dword v10, off, s[0:3], 0
	buffer_load_dword v11, off, s[0:3], 0 offset:4
	buffer_load_dword v12, off, s[0:3], 0 offset:8
	;; [unrolled: 1-line block ×7, first 2 shown]
.LBB2160_330:
	s_or_b64 exec, exec, s[6:7]
	v_or_b32_e32 v20, v21, v20
	v_or_b32_e32 v9, v20, v9
	v_and_b32_e32 v9, 1, v9
	buffer_store_byte v9, off, s[0:3], 0 offset:200
	buffer_load_dword v20, off, s[0:3], 0 offset:200
	v_mbcnt_lo_u32_b32 v9, -1, 0
	v_mov_b32_e32 v23, 0
	s_waitcnt vmcnt(9)
	v_mov_b32_dpp v21, v10 row_shr:1 row_mask:0xf bank_mask:0xf
	v_mbcnt_hi_u32_b32 v9, -1, v9
	buffer_store_dword v5, off, s[0:3], 0 offset:136
	buffer_store_dword v4, off, s[0:3], 0 offset:132
	;; [unrolled: 1-line block ×8, first 2 shown]
	s_waitcnt vmcnt(16)
	buffer_store_dword v11, off, s[0:3], 0 offset:172
	buffer_store_dword v10, off, s[0:3], 0 offset:168
	s_waitcnt vmcnt(16)
	buffer_store_dword v13, off, s[0:3], 0 offset:180
	buffer_store_dword v12, off, s[0:3], 0 offset:176
	;; [unrolled: 3-line block ×4, first 2 shown]
	v_mov_b32_dpp v22, v11 row_shr:1 row_mask:0xf bank_mask:0xf
	v_mov_b32_dpp v24, v12 row_shr:1 row_mask:0xf bank_mask:0xf
	;; [unrolled: 1-line block ×7, first 2 shown]
	buffer_store_byte v23, off, s[0:3], 0 offset:164
	buffer_store_dword v21, off, s[0:3], 0
	buffer_store_dword v22, off, s[0:3], 0 offset:4
	buffer_store_dword v24, off, s[0:3], 0 offset:8
	;; [unrolled: 1-line block ×7, first 2 shown]
	v_and_b32_e32 v21, 15, v9
	v_cmp_ne_u32_e32 vcc, 0, v21
	s_waitcnt vmcnt(25)
	v_mov_b32_dpp v22, v20 row_shr:1 row_mask:0xf bank_mask:0xf
	buffer_store_dword v22, off, s[0:3], 0 offset:32
	s_and_saveexec_b64 s[6:7], vcc
	s_xor_b64 s[6:7], exec, s[6:7]
	s_cbranch_execz .LBB2160_338
; %bb.331:
	v_cmp_eq_u16_sdwa s[10:11], v20, v23 src0_sel:BYTE_0 src1_sel:DWORD
	s_and_saveexec_b64 s[8:9], s[10:11]
	s_cbranch_execz .LBB2160_337
; %bb.332:
	s_mov_b32 s10, 0
	v_mov_b32_e32 v10, 0x60
	v_mov_b32_e32 v11, 0
.LBB2160_333:                           ; =>This Inner Loop Header: Depth=1
	v_add_u32_e32 v12, s10, v10
	s_add_i32 s10, s10, 8
	s_cmp_lg_u32 s10, 32
	buffer_store_dword v11, v12, s[0:3], 0 offen offset:4
	buffer_store_dword v11, v12, s[0:3], 0 offen
	s_cbranch_scc1 .LBB2160_333
; %bb.334:
	s_mov_b32 s10, 0
	v_mov_b32_e32 v10, 0
	v_mov_b32_e32 v11, 0xa8
	;; [unrolled: 1-line block ×3, first 2 shown]
.LBB2160_335:                           ; =>This Inner Loop Header: Depth=1
	v_add_u32_e32 v13, s10, v10
	v_add_u32_e32 v14, s10, v11
	buffer_load_dword v15, v13, s[0:3], 0 offen offset:4
	buffer_load_dword v16, v14, s[0:3], 0 offen
	buffer_load_dword v17, v13, s[0:3], 0 offen
	buffer_load_dword v23, v14, s[0:3], 0 offen offset:4
	v_add_u32_e32 v13, s10, v12
	s_add_i32 s10, s10, 8
	s_cmp_lg_u32 s10, 32
	s_waitcnt vmcnt(1)
	v_add_u32_e32 v14, v16, v17
	s_waitcnt vmcnt(0)
	v_add_u32_e32 v15, v23, v15
	buffer_store_dword v15, v13, s[0:3], 0 offen offset:4
	buffer_store_dword v14, v13, s[0:3], 0 offen
	s_cbranch_scc1 .LBB2160_335
; %bb.336:
	buffer_load_dword v10, off, s[0:3], 0 offset:96
	buffer_load_dword v11, off, s[0:3], 0 offset:100
	;; [unrolled: 1-line block ×8, first 2 shown]
.LBB2160_337:
	s_or_b64 exec, exec, s[8:9]
	v_or_b32_e32 v20, v22, v20
	v_and_b32_e32 v20, 1, v20
	buffer_store_byte v20, off, s[0:3], 0 offset:200
	buffer_load_dword v20, off, s[0:3], 0 offset:200
	s_waitcnt vmcnt(8)
	buffer_store_dword v11, off, s[0:3], 0 offset:172
	buffer_store_dword v10, off, s[0:3], 0 offset:168
	s_waitcnt vmcnt(8)
	buffer_store_dword v13, off, s[0:3], 0 offset:180
	buffer_store_dword v12, off, s[0:3], 0 offset:176
	;; [unrolled: 3-line block ×4, first 2 shown]
.LBB2160_338:
	s_or_b64 exec, exec, s[6:7]
	v_mov_b32_dpp v23, v10 row_shr:2 row_mask:0xf bank_mask:0xf
	s_waitcnt vmcnt(8)
	v_mov_b32_dpp v22, v20 row_shr:2 row_mask:0xf bank_mask:0xf
	v_cmp_lt_u32_e32 vcc, 1, v21
	v_mov_b32_dpp v24, v11 row_shr:2 row_mask:0xf bank_mask:0xf
	v_mov_b32_dpp v25, v12 row_shr:2 row_mask:0xf bank_mask:0xf
	;; [unrolled: 1-line block ×7, first 2 shown]
	buffer_store_dword v23, off, s[0:3], 0
	buffer_store_dword v24, off, s[0:3], 0 offset:4
	buffer_store_dword v25, off, s[0:3], 0 offset:8
	;; [unrolled: 1-line block ×8, first 2 shown]
	s_and_saveexec_b64 s[8:9], vcc
	s_cbranch_execz .LBB2160_346
; %bb.339:
	v_mov_b32_e32 v23, 0
	s_mov_b32 s10, 0
	v_cmp_eq_u16_sdwa s[12:13], v20, v23 src0_sel:BYTE_0 src1_sel:DWORD
	s_and_saveexec_b64 s[6:7], s[12:13]
	s_cbranch_execz .LBB2160_345
; %bb.340:
	v_mov_b32_e32 v10, 0x60
.LBB2160_341:                           ; =>This Inner Loop Header: Depth=1
	v_add_u32_e32 v11, s10, v10
	s_add_i32 s10, s10, 8
	s_cmp_lg_u32 s10, 32
	buffer_store_dword v23, v11, s[0:3], 0 offen offset:4
	buffer_store_dword v23, v11, s[0:3], 0 offen
	s_cbranch_scc1 .LBB2160_341
; %bb.342:
	s_mov_b32 s10, 0
	v_mov_b32_e32 v10, 0
	v_mov_b32_e32 v11, 0xa8
	;; [unrolled: 1-line block ×3, first 2 shown]
.LBB2160_343:                           ; =>This Inner Loop Header: Depth=1
	v_add_u32_e32 v13, s10, v10
	v_add_u32_e32 v14, s10, v11
	buffer_load_dword v15, v13, s[0:3], 0 offen offset:4
	buffer_load_dword v16, v14, s[0:3], 0 offen
	buffer_load_dword v17, v13, s[0:3], 0 offen
	buffer_load_dword v23, v14, s[0:3], 0 offen offset:4
	v_add_u32_e32 v13, s10, v12
	s_add_i32 s10, s10, 8
	s_cmp_lg_u32 s10, 32
	s_waitcnt vmcnt(1)
	v_add_u32_e32 v14, v16, v17
	s_waitcnt vmcnt(0)
	v_add_u32_e32 v15, v23, v15
	buffer_store_dword v15, v13, s[0:3], 0 offen offset:4
	buffer_store_dword v14, v13, s[0:3], 0 offen
	s_cbranch_scc1 .LBB2160_343
; %bb.344:
	buffer_load_dword v10, off, s[0:3], 0 offset:96
	buffer_load_dword v11, off, s[0:3], 0 offset:100
	;; [unrolled: 1-line block ×8, first 2 shown]
.LBB2160_345:
	s_or_b64 exec, exec, s[6:7]
	v_and_b32_e32 v20, 1, v20
	v_cmp_eq_u32_e32 vcc, 1, v20
	v_and_b32_e32 v20, 1, v22
	v_cmp_eq_u32_e64 s[6:7], 1, v20
	s_or_b64 s[6:7], vcc, s[6:7]
	v_cndmask_b32_e64 v20, 0, 1, s[6:7]
	buffer_store_byte v20, off, s[0:3], 0 offset:200
	buffer_load_dword v20, off, s[0:3], 0 offset:200
	s_waitcnt vmcnt(8)
	buffer_store_dword v11, off, s[0:3], 0 offset:172
	buffer_store_dword v10, off, s[0:3], 0 offset:168
	s_waitcnt vmcnt(8)
	buffer_store_dword v13, off, s[0:3], 0 offset:180
	buffer_store_dword v12, off, s[0:3], 0 offset:176
	;; [unrolled: 3-line block ×4, first 2 shown]
.LBB2160_346:
	s_or_b64 exec, exec, s[8:9]
	v_mov_b32_dpp v23, v10 row_shr:4 row_mask:0xf bank_mask:0xf
	s_waitcnt vmcnt(8)
	v_mov_b32_dpp v22, v20 row_shr:4 row_mask:0xf bank_mask:0xf
	v_cmp_lt_u32_e32 vcc, 3, v21
	v_mov_b32_dpp v24, v11 row_shr:4 row_mask:0xf bank_mask:0xf
	v_mov_b32_dpp v25, v12 row_shr:4 row_mask:0xf bank_mask:0xf
	;; [unrolled: 1-line block ×7, first 2 shown]
	buffer_store_dword v23, off, s[0:3], 0
	buffer_store_dword v24, off, s[0:3], 0 offset:4
	buffer_store_dword v25, off, s[0:3], 0 offset:8
	;; [unrolled: 1-line block ×8, first 2 shown]
	s_and_saveexec_b64 s[8:9], vcc
	s_cbranch_execz .LBB2160_354
; %bb.347:
	v_mov_b32_e32 v23, 0
	s_mov_b32 s10, 0
	v_cmp_eq_u16_sdwa s[12:13], v20, v23 src0_sel:BYTE_0 src1_sel:DWORD
	s_and_saveexec_b64 s[6:7], s[12:13]
	s_cbranch_execz .LBB2160_353
; %bb.348:
	v_mov_b32_e32 v10, 0x60
.LBB2160_349:                           ; =>This Inner Loop Header: Depth=1
	v_add_u32_e32 v11, s10, v10
	s_add_i32 s10, s10, 8
	s_cmp_lg_u32 s10, 32
	buffer_store_dword v23, v11, s[0:3], 0 offen offset:4
	buffer_store_dword v23, v11, s[0:3], 0 offen
	s_cbranch_scc1 .LBB2160_349
; %bb.350:
	s_mov_b32 s10, 0
	v_mov_b32_e32 v10, 0
	v_mov_b32_e32 v11, 0xa8
	;; [unrolled: 1-line block ×3, first 2 shown]
.LBB2160_351:                           ; =>This Inner Loop Header: Depth=1
	v_add_u32_e32 v13, s10, v10
	v_add_u32_e32 v14, s10, v11
	buffer_load_dword v15, v13, s[0:3], 0 offen offset:4
	buffer_load_dword v16, v14, s[0:3], 0 offen
	buffer_load_dword v17, v13, s[0:3], 0 offen
	buffer_load_dword v23, v14, s[0:3], 0 offen offset:4
	v_add_u32_e32 v13, s10, v12
	s_add_i32 s10, s10, 8
	s_cmp_lg_u32 s10, 32
	s_waitcnt vmcnt(1)
	v_add_u32_e32 v14, v16, v17
	s_waitcnt vmcnt(0)
	v_add_u32_e32 v15, v23, v15
	buffer_store_dword v15, v13, s[0:3], 0 offen offset:4
	buffer_store_dword v14, v13, s[0:3], 0 offen
	s_cbranch_scc1 .LBB2160_351
; %bb.352:
	buffer_load_dword v10, off, s[0:3], 0 offset:96
	buffer_load_dword v11, off, s[0:3], 0 offset:100
	;; [unrolled: 1-line block ×8, first 2 shown]
.LBB2160_353:
	s_or_b64 exec, exec, s[6:7]
	v_and_b32_e32 v20, 1, v20
	v_cmp_eq_u32_e32 vcc, 1, v20
	v_and_b32_e32 v20, 1, v22
	v_cmp_eq_u32_e64 s[6:7], 1, v20
	s_or_b64 s[6:7], vcc, s[6:7]
	v_cndmask_b32_e64 v20, 0, 1, s[6:7]
	buffer_store_byte v20, off, s[0:3], 0 offset:200
	buffer_load_dword v20, off, s[0:3], 0 offset:200
	s_waitcnt vmcnt(8)
	buffer_store_dword v11, off, s[0:3], 0 offset:172
	buffer_store_dword v10, off, s[0:3], 0 offset:168
	s_waitcnt vmcnt(8)
	buffer_store_dword v13, off, s[0:3], 0 offset:180
	buffer_store_dword v12, off, s[0:3], 0 offset:176
	;; [unrolled: 3-line block ×4, first 2 shown]
.LBB2160_354:
	s_or_b64 exec, exec, s[8:9]
	v_mov_b32_dpp v23, v10 row_shr:8 row_mask:0xf bank_mask:0xf
	s_waitcnt vmcnt(8)
	v_mov_b32_dpp v22, v20 row_shr:8 row_mask:0xf bank_mask:0xf
	v_cmp_lt_u32_e32 vcc, 7, v21
	v_mov_b32_dpp v24, v11 row_shr:8 row_mask:0xf bank_mask:0xf
	v_mov_b32_dpp v25, v12 row_shr:8 row_mask:0xf bank_mask:0xf
	;; [unrolled: 1-line block ×7, first 2 shown]
	buffer_store_dword v23, off, s[0:3], 0
	buffer_store_dword v24, off, s[0:3], 0 offset:4
	buffer_store_dword v25, off, s[0:3], 0 offset:8
	;; [unrolled: 1-line block ×8, first 2 shown]
	s_and_saveexec_b64 s[8:9], vcc
	s_cbranch_execz .LBB2160_362
; %bb.355:
	v_mov_b32_e32 v21, 0
	s_mov_b32 s10, 0
	v_cmp_eq_u16_sdwa s[12:13], v20, v21 src0_sel:BYTE_0 src1_sel:DWORD
	s_and_saveexec_b64 s[6:7], s[12:13]
	s_cbranch_execz .LBB2160_361
; %bb.356:
	v_mov_b32_e32 v10, 0x60
.LBB2160_357:                           ; =>This Inner Loop Header: Depth=1
	v_add_u32_e32 v11, s10, v10
	s_add_i32 s10, s10, 8
	s_cmp_lg_u32 s10, 32
	buffer_store_dword v21, v11, s[0:3], 0 offen offset:4
	buffer_store_dword v21, v11, s[0:3], 0 offen
	s_cbranch_scc1 .LBB2160_357
; %bb.358:
	s_mov_b32 s10, 0
	v_mov_b32_e32 v10, 0
	v_mov_b32_e32 v11, 0xa8
	;; [unrolled: 1-line block ×3, first 2 shown]
.LBB2160_359:                           ; =>This Inner Loop Header: Depth=1
	v_add_u32_e32 v13, s10, v10
	v_add_u32_e32 v14, s10, v11
	buffer_load_dword v15, v13, s[0:3], 0 offen offset:4
	buffer_load_dword v16, v14, s[0:3], 0 offen
	buffer_load_dword v17, v13, s[0:3], 0 offen
	buffer_load_dword v21, v14, s[0:3], 0 offen offset:4
	v_add_u32_e32 v13, s10, v12
	s_add_i32 s10, s10, 8
	s_cmp_lg_u32 s10, 32
	s_waitcnt vmcnt(1)
	v_add_u32_e32 v14, v16, v17
	s_waitcnt vmcnt(0)
	v_add_u32_e32 v15, v21, v15
	buffer_store_dword v15, v13, s[0:3], 0 offen offset:4
	buffer_store_dword v14, v13, s[0:3], 0 offen
	s_cbranch_scc1 .LBB2160_359
; %bb.360:
	buffer_load_dword v10, off, s[0:3], 0 offset:96
	buffer_load_dword v11, off, s[0:3], 0 offset:100
	;; [unrolled: 1-line block ×8, first 2 shown]
.LBB2160_361:
	s_or_b64 exec, exec, s[6:7]
	v_and_b32_e32 v20, 1, v20
	v_cmp_eq_u32_e32 vcc, 1, v20
	v_and_b32_e32 v20, 1, v22
	v_cmp_eq_u32_e64 s[6:7], 1, v20
	s_or_b64 s[6:7], vcc, s[6:7]
	v_cndmask_b32_e64 v20, 0, 1, s[6:7]
	buffer_store_byte v20, off, s[0:3], 0 offset:200
	buffer_load_dword v20, off, s[0:3], 0 offset:200
	s_waitcnt vmcnt(8)
	buffer_store_dword v11, off, s[0:3], 0 offset:172
	buffer_store_dword v10, off, s[0:3], 0 offset:168
	s_waitcnt vmcnt(8)
	buffer_store_dword v13, off, s[0:3], 0 offset:180
	buffer_store_dword v12, off, s[0:3], 0 offset:176
	;; [unrolled: 3-line block ×4, first 2 shown]
.LBB2160_362:
	s_or_b64 exec, exec, s[8:9]
	v_mov_b32_dpp v22, v10 row_bcast:15 row_mask:0xf bank_mask:0xf
	v_mov_b32_dpp v23, v11 row_bcast:15 row_mask:0xf bank_mask:0xf
	;; [unrolled: 1-line block ×8, first 2 shown]
	s_waitcnt vmcnt(8)
	v_mov_b32_dpp v21, v20 row_bcast:15 row_mask:0xf bank_mask:0xf
	buffer_store_dword v22, off, s[0:3], 0
	buffer_store_dword v23, off, s[0:3], 0 offset:4
	buffer_store_dword v24, off, s[0:3], 0 offset:8
	;; [unrolled: 1-line block ×8, first 2 shown]
	v_and_b32_e32 v22, 16, v9
	v_cmp_ne_u32_e32 vcc, 0, v22
	s_and_saveexec_b64 s[8:9], vcc
	s_cbranch_execz .LBB2160_370
; %bb.363:
	v_mov_b32_e32 v22, 0
	s_mov_b32 s10, 0
	v_cmp_eq_u16_sdwa s[12:13], v20, v22 src0_sel:BYTE_0 src1_sel:DWORD
	s_and_saveexec_b64 s[6:7], s[12:13]
	s_cbranch_execz .LBB2160_369
; %bb.364:
	v_mov_b32_e32 v10, 0x60
.LBB2160_365:                           ; =>This Inner Loop Header: Depth=1
	v_add_u32_e32 v11, s10, v10
	s_add_i32 s10, s10, 8
	s_cmp_lg_u32 s10, 32
	buffer_store_dword v22, v11, s[0:3], 0 offen offset:4
	buffer_store_dword v22, v11, s[0:3], 0 offen
	s_cbranch_scc1 .LBB2160_365
; %bb.366:
	s_mov_b32 s10, 0
	v_mov_b32_e32 v10, 0
	v_mov_b32_e32 v11, 0xa8
	;; [unrolled: 1-line block ×3, first 2 shown]
.LBB2160_367:                           ; =>This Inner Loop Header: Depth=1
	v_add_u32_e32 v13, s10, v10
	v_add_u32_e32 v14, s10, v11
	buffer_load_dword v15, v13, s[0:3], 0 offen offset:4
	buffer_load_dword v16, v14, s[0:3], 0 offen
	buffer_load_dword v17, v13, s[0:3], 0 offen
	buffer_load_dword v22, v14, s[0:3], 0 offen offset:4
	v_add_u32_e32 v13, s10, v12
	s_add_i32 s10, s10, 8
	s_cmp_lg_u32 s10, 32
	s_waitcnt vmcnt(1)
	v_add_u32_e32 v14, v16, v17
	s_waitcnt vmcnt(0)
	v_add_u32_e32 v15, v22, v15
	buffer_store_dword v15, v13, s[0:3], 0 offen offset:4
	buffer_store_dword v14, v13, s[0:3], 0 offen
	s_cbranch_scc1 .LBB2160_367
; %bb.368:
	buffer_load_dword v10, off, s[0:3], 0 offset:96
	buffer_load_dword v11, off, s[0:3], 0 offset:100
	;; [unrolled: 1-line block ×8, first 2 shown]
.LBB2160_369:
	s_or_b64 exec, exec, s[6:7]
	v_and_b32_e32 v20, 1, v20
	v_cmp_eq_u32_e32 vcc, 1, v20
	v_and_b32_e32 v20, 1, v21
	v_cmp_eq_u32_e64 s[6:7], 1, v20
	s_or_b64 s[6:7], vcc, s[6:7]
	v_cndmask_b32_e64 v20, 0, 1, s[6:7]
	buffer_store_byte v20, off, s[0:3], 0 offset:200
	buffer_load_dword v20, off, s[0:3], 0 offset:200
	s_waitcnt vmcnt(8)
	buffer_store_dword v11, off, s[0:3], 0 offset:172
	buffer_store_dword v10, off, s[0:3], 0 offset:168
	s_waitcnt vmcnt(8)
	buffer_store_dword v13, off, s[0:3], 0 offset:180
	buffer_store_dword v12, off, s[0:3], 0 offset:176
	;; [unrolled: 3-line block ×4, first 2 shown]
.LBB2160_370:
	s_or_b64 exec, exec, s[8:9]
	v_mov_b32_dpp v22, v10 row_bcast:31 row_mask:0xf bank_mask:0xf
	s_waitcnt vmcnt(8)
	v_mov_b32_dpp v21, v20 row_bcast:31 row_mask:0xf bank_mask:0xf
	v_cmp_lt_u32_e32 vcc, 31, v9
	v_mov_b32_dpp v23, v11 row_bcast:31 row_mask:0xf bank_mask:0xf
	v_mov_b32_dpp v24, v12 row_bcast:31 row_mask:0xf bank_mask:0xf
	v_mov_b32_dpp v25, v13 row_bcast:31 row_mask:0xf bank_mask:0xf
	v_mov_b32_dpp v26, v14 row_bcast:31 row_mask:0xf bank_mask:0xf
	v_mov_b32_dpp v27, v15 row_bcast:31 row_mask:0xf bank_mask:0xf
	v_mov_b32_dpp v28, v16 row_bcast:31 row_mask:0xf bank_mask:0xf
	v_mov_b32_dpp v29, v17 row_bcast:31 row_mask:0xf bank_mask:0xf
	buffer_store_dword v22, off, s[0:3], 0
	buffer_store_dword v23, off, s[0:3], 0 offset:4
	buffer_store_dword v24, off, s[0:3], 0 offset:8
	;; [unrolled: 1-line block ×8, first 2 shown]
	s_and_saveexec_b64 s[8:9], vcc
	s_cbranch_execz .LBB2160_378
; %bb.371:
	v_mov_b32_e32 v22, 0
	s_mov_b32 s10, 0
	v_cmp_eq_u16_sdwa s[12:13], v20, v22 src0_sel:BYTE_0 src1_sel:DWORD
	s_and_saveexec_b64 s[6:7], s[12:13]
	s_cbranch_execz .LBB2160_377
; %bb.372:
	v_mov_b32_e32 v10, 0x60
.LBB2160_373:                           ; =>This Inner Loop Header: Depth=1
	v_add_u32_e32 v11, s10, v10
	s_add_i32 s10, s10, 8
	s_cmp_lg_u32 s10, 32
	buffer_store_dword v22, v11, s[0:3], 0 offen offset:4
	buffer_store_dword v22, v11, s[0:3], 0 offen
	s_cbranch_scc1 .LBB2160_373
; %bb.374:
	s_mov_b32 s10, 0
	v_mov_b32_e32 v10, 0
	v_mov_b32_e32 v11, 0xa8
	;; [unrolled: 1-line block ×3, first 2 shown]
.LBB2160_375:                           ; =>This Inner Loop Header: Depth=1
	v_add_u32_e32 v13, s10, v10
	v_add_u32_e32 v14, s10, v11
	buffer_load_dword v15, v13, s[0:3], 0 offen offset:4
	buffer_load_dword v16, v14, s[0:3], 0 offen
	buffer_load_dword v17, v13, s[0:3], 0 offen
	buffer_load_dword v22, v14, s[0:3], 0 offen offset:4
	v_add_u32_e32 v13, s10, v12
	s_add_i32 s10, s10, 8
	s_cmp_lg_u32 s10, 32
	s_waitcnt vmcnt(1)
	v_add_u32_e32 v14, v16, v17
	s_waitcnt vmcnt(0)
	v_add_u32_e32 v15, v22, v15
	buffer_store_dword v15, v13, s[0:3], 0 offen offset:4
	buffer_store_dword v14, v13, s[0:3], 0 offen
	s_cbranch_scc1 .LBB2160_375
; %bb.376:
	buffer_load_dword v10, off, s[0:3], 0 offset:96
	buffer_load_dword v11, off, s[0:3], 0 offset:100
	;; [unrolled: 1-line block ×8, first 2 shown]
.LBB2160_377:
	s_or_b64 exec, exec, s[6:7]
	v_and_b32_e32 v20, 1, v20
	v_cmp_eq_u32_e32 vcc, 1, v20
	v_and_b32_e32 v20, 1, v21
	v_cmp_eq_u32_e64 s[6:7], 1, v20
	s_or_b64 s[6:7], vcc, s[6:7]
	v_cndmask_b32_e64 v20, 0, 1, s[6:7]
	s_waitcnt vmcnt(6)
	buffer_store_dword v11, off, s[0:3], 0 offset:172
	buffer_store_dword v10, off, s[0:3], 0 offset:168
	s_waitcnt vmcnt(6)
	buffer_store_dword v13, off, s[0:3], 0 offset:180
	buffer_store_dword v12, off, s[0:3], 0 offset:176
	;; [unrolled: 3-line block ×4, first 2 shown]
	buffer_store_byte v20, off, s[0:3], 0 offset:200
.LBB2160_378:
	s_or_b64 exec, exec, s[8:9]
	v_or_b32_e32 v22, 63, v8
	v_lshrrev_b32_e32 v21, 6, v8
	v_cmp_eq_u32_e32 vcc, v22, v8
	s_and_saveexec_b64 s[6:7], vcc
	s_cbranch_execz .LBB2160_380
; %bb.379:
	v_mul_u32_u24_e32 v22, 36, v21
	ds_write2_b32 v22, v10, v11 offset1:1
	ds_write2_b32 v22, v12, v13 offset0:2 offset1:3
	ds_write2_b32 v22, v14, v15 offset0:4 offset1:5
	ds_write2_b32 v22, v16, v17 offset0:6 offset1:7
	ds_write_b8 v22, v20 offset:32
.LBB2160_380:
	s_or_b64 exec, exec, s[6:7]
	v_cmp_gt_u32_e32 vcc, 4, v8
	s_waitcnt lgkmcnt(0)
	s_barrier
	s_and_saveexec_b64 s[8:9], vcc
	s_cbranch_execz .LBB2160_398
; %bb.381:
	v_mul_u32_u24_e32 v20, 36, v8
	ds_read_b32 v22, v20 offset:32
	ds_read2_b32 v[10:11], v20 offset0:6 offset1:7
	ds_read2_b32 v[12:13], v20 offset0:4 offset1:5
	;; [unrolled: 1-line block ×3, first 2 shown]
	ds_read2_b32 v[16:17], v20 offset1:1
	v_and_b32_e32 v23, 3, v9
	s_waitcnt lgkmcnt(4)
	v_mov_b32_dpp v24, v22 row_shr:1 row_mask:0xf bank_mask:0xf
	v_cmp_ne_u32_e32 vcc, 0, v23
	buffer_store_dword v22, off, s[0:3], 0 offset:128
	s_waitcnt lgkmcnt(0)
	v_mov_b32_dpp v25, v16 row_shr:1 row_mask:0xf bank_mask:0xf
	buffer_store_dword v11, off, s[0:3], 0 offset:124
	buffer_store_dword v10, off, s[0:3], 0 offset:120
	;; [unrolled: 1-line block ×8, first 2 shown]
	v_mov_b32_dpp v26, v17 row_shr:1 row_mask:0xf bank_mask:0xf
	v_mov_b32_dpp v27, v14 row_shr:1 row_mask:0xf bank_mask:0xf
	;; [unrolled: 1-line block ×7, first 2 shown]
	buffer_store_dword v25, off, s[0:3], 0
	buffer_store_dword v26, off, s[0:3], 0 offset:4
	buffer_store_dword v27, off, s[0:3], 0 offset:8
	buffer_store_dword v28, off, s[0:3], 0 offset:12
	buffer_store_dword v29, off, s[0:3], 0 offset:16
	buffer_store_dword v30, off, s[0:3], 0 offset:20
	buffer_store_dword v31, off, s[0:3], 0 offset:24
	buffer_store_dword v32, off, s[0:3], 0 offset:28
	buffer_store_dword v24, off, s[0:3], 0 offset:32
	s_and_saveexec_b64 s[6:7], vcc
	s_cbranch_execz .LBB2160_389
; %bb.382:
	v_mov_b32_e32 v25, 0
	v_cmp_eq_u16_sdwa s[12:13], v22, v25 src0_sel:BYTE_0 src1_sel:DWORD
	s_and_saveexec_b64 s[10:11], s[12:13]
	s_cbranch_execz .LBB2160_388
; %bb.383:
	s_mov_b32 s12, 0
	v_mov_b32_e32 v10, 0x114
.LBB2160_384:                           ; =>This Inner Loop Header: Depth=1
	v_add_u32_e32 v11, s12, v10
	s_add_i32 s12, s12, 8
	s_cmp_lg_u32 s12, 32
	buffer_store_dword v25, v11, s[0:3], 0 offen offset:4
	buffer_store_dword v25, v11, s[0:3], 0 offen
	s_cbranch_scc1 .LBB2160_384
; %bb.385:
	s_mov_b32 s12, 0
	v_mov_b32_e32 v10, 0
	v_mov_b32_e32 v11, 0x60
	;; [unrolled: 1-line block ×3, first 2 shown]
.LBB2160_386:                           ; =>This Inner Loop Header: Depth=1
	v_add_u32_e32 v13, s12, v10
	v_add_u32_e32 v14, s12, v11
	buffer_load_dword v15, v13, s[0:3], 0 offen offset:4
	buffer_load_dword v16, v14, s[0:3], 0 offen
	buffer_load_dword v17, v13, s[0:3], 0 offen
	buffer_load_dword v25, v14, s[0:3], 0 offen offset:4
	v_add_u32_e32 v13, s12, v12
	s_add_i32 s12, s12, 8
	s_cmp_lg_u32 s12, 32
	s_waitcnt vmcnt(1)
	v_add_u32_e32 v14, v16, v17
	s_waitcnt vmcnt(0)
	v_add_u32_e32 v15, v25, v15
	buffer_store_dword v15, v13, s[0:3], 0 offen offset:4
	buffer_store_dword v14, v13, s[0:3], 0 offen
	s_cbranch_scc1 .LBB2160_386
; %bb.387:
	buffer_load_dword v16, off, s[0:3], 0 offset:276
	buffer_load_dword v17, off, s[0:3], 0 offset:280
	;; [unrolled: 1-line block ×8, first 2 shown]
.LBB2160_388:
	s_or_b64 exec, exec, s[10:11]
	v_or_b32_e32 v22, v24, v22
	v_and_b32_e32 v22, 1, v22
	buffer_store_byte v22, off, s[0:3], 0 offset:128
	buffer_load_dword v22, off, s[0:3], 0 offset:128
	s_waitcnt vmcnt(8)
	buffer_store_dword v17, off, s[0:3], 0 offset:100
	buffer_store_dword v16, off, s[0:3], 0 offset:96
	s_waitcnt vmcnt(8)
	buffer_store_dword v15, off, s[0:3], 0 offset:108
	buffer_store_dword v14, off, s[0:3], 0 offset:104
	;; [unrolled: 3-line block ×4, first 2 shown]
.LBB2160_389:
	s_or_b64 exec, exec, s[6:7]
	v_mov_b32_dpp v25, v16 row_shr:2 row_mask:0xf bank_mask:0xf
	s_waitcnt vmcnt(8)
	v_mov_b32_dpp v24, v22 row_shr:2 row_mask:0xf bank_mask:0xf
	v_cmp_lt_u32_e32 vcc, 1, v23
	v_mov_b32_dpp v26, v17 row_shr:2 row_mask:0xf bank_mask:0xf
	v_mov_b32_dpp v27, v14 row_shr:2 row_mask:0xf bank_mask:0xf
	;; [unrolled: 1-line block ×7, first 2 shown]
	buffer_store_dword v25, off, s[0:3], 0
	buffer_store_dword v26, off, s[0:3], 0 offset:4
	buffer_store_dword v27, off, s[0:3], 0 offset:8
	;; [unrolled: 1-line block ×8, first 2 shown]
	s_and_saveexec_b64 s[10:11], vcc
	s_cbranch_execz .LBB2160_397
; %bb.390:
	v_mov_b32_e32 v23, 0
	s_mov_b32 s12, 0
	v_cmp_eq_u16_sdwa s[14:15], v22, v23 src0_sel:BYTE_0 src1_sel:DWORD
	s_and_saveexec_b64 s[6:7], s[14:15]
	s_cbranch_execz .LBB2160_396
; %bb.391:
	v_mov_b32_e32 v10, 0x114
.LBB2160_392:                           ; =>This Inner Loop Header: Depth=1
	v_add_u32_e32 v11, s12, v10
	s_add_i32 s12, s12, 8
	s_cmp_lg_u32 s12, 32
	buffer_store_dword v23, v11, s[0:3], 0 offen offset:4
	buffer_store_dword v23, v11, s[0:3], 0 offen
	s_cbranch_scc1 .LBB2160_392
; %bb.393:
	s_mov_b32 s12, 0
	v_mov_b32_e32 v10, 0
	v_mov_b32_e32 v11, 0x60
	;; [unrolled: 1-line block ×3, first 2 shown]
.LBB2160_394:                           ; =>This Inner Loop Header: Depth=1
	v_add_u32_e32 v13, s12, v10
	v_add_u32_e32 v14, s12, v11
	buffer_load_dword v15, v13, s[0:3], 0 offen offset:4
	buffer_load_dword v16, v14, s[0:3], 0 offen
	buffer_load_dword v17, v13, s[0:3], 0 offen
	buffer_load_dword v23, v14, s[0:3], 0 offen offset:4
	v_add_u32_e32 v13, s12, v12
	s_add_i32 s12, s12, 8
	s_cmp_lg_u32 s12, 32
	s_waitcnt vmcnt(1)
	v_add_u32_e32 v14, v16, v17
	s_waitcnt vmcnt(0)
	v_add_u32_e32 v15, v23, v15
	buffer_store_dword v15, v13, s[0:3], 0 offen offset:4
	buffer_store_dword v14, v13, s[0:3], 0 offen
	s_cbranch_scc1 .LBB2160_394
; %bb.395:
	buffer_load_dword v16, off, s[0:3], 0 offset:276
	buffer_load_dword v17, off, s[0:3], 0 offset:280
	;; [unrolled: 1-line block ×8, first 2 shown]
.LBB2160_396:
	s_or_b64 exec, exec, s[6:7]
	v_and_b32_e32 v22, 1, v22
	v_cmp_eq_u32_e32 vcc, 1, v22
	v_and_b32_e32 v22, 1, v24
	v_cmp_eq_u32_e64 s[6:7], 1, v22
	s_or_b64 s[6:7], vcc, s[6:7]
	v_cndmask_b32_e64 v22, 0, 1, s[6:7]
	s_waitcnt vmcnt(6)
	buffer_store_dword v17, off, s[0:3], 0 offset:100
	buffer_store_dword v16, off, s[0:3], 0 offset:96
	s_waitcnt vmcnt(6)
	buffer_store_dword v15, off, s[0:3], 0 offset:108
	buffer_store_dword v14, off, s[0:3], 0 offset:104
	;; [unrolled: 3-line block ×4, first 2 shown]
.LBB2160_397:
	s_or_b64 exec, exec, s[10:11]
	buffer_load_dword v10, off, s[0:3], 0 offset:96
	buffer_load_dword v11, off, s[0:3], 0 offset:100
	;; [unrolled: 1-line block ×8, first 2 shown]
	s_waitcnt vmcnt(4)
	ds_write2_b32 v20, v12, v13 offset0:2 offset1:3
	ds_write2_b32 v20, v10, v11 offset1:1
	s_waitcnt vmcnt(2)
	ds_write2_b32 v20, v14, v15 offset0:6 offset1:7
	s_waitcnt vmcnt(0)
	ds_write2_b32 v20, v16, v17 offset0:4 offset1:5
	ds_write_b8 v20, v22 offset:32
.LBB2160_398:
	s_or_b64 exec, exec, s[8:9]
	s_waitcnt lgkmcnt(0)
	s_barrier
	buffer_load_dword v10, off, s[0:3], 0 offset:144
	buffer_load_dword v11, off, s[0:3], 0 offset:140
	buffer_load_dword v12, off, s[0:3], 0 offset:136
	buffer_load_dword v13, off, s[0:3], 0 offset:132
	buffer_load_dword v14, off, s[0:3], 0 offset:160
	buffer_load_dword v15, off, s[0:3], 0 offset:156
	buffer_load_dword v16, off, s[0:3], 0 offset:152
	buffer_load_dword v17, off, s[0:3], 0 offset:148
	buffer_load_dword v20, off, s[0:3], 0 offset:164
	v_cmp_lt_u32_e32 vcc, 63, v8
	s_waitcnt vmcnt(8)
	buffer_store_dword v10, off, s[0:3], 0 offset:12
	s_waitcnt vmcnt(8)
	buffer_store_dword v11, off, s[0:3], 0 offset:8
	;; [unrolled: 2-line block ×3, first 2 shown]
	s_waitcnt vmcnt(8)
	buffer_store_dword v13, off, s[0:3], 0
	s_waitcnt vmcnt(8)
	buffer_store_dword v14, off, s[0:3], 0 offset:28
	s_waitcnt vmcnt(8)
	buffer_store_dword v15, off, s[0:3], 0 offset:24
	;; [unrolled: 2-line block ×5, first 2 shown]
	s_and_saveexec_b64 s[6:7], vcc
	s_cbranch_execz .LBB2160_408
; %bb.399:
	v_not_b32_e32 v10, 35
	v_mad_u32_u24 v21, v21, 36, v10
	ds_read_u8 v20, v21 offset:32
                                        ; implicit-def: $vgpr10_vgpr11
                                        ; implicit-def: $vgpr12_vgpr13
                                        ; implicit-def: $vgpr14_vgpr15
                                        ; implicit-def: $vgpr16_vgpr17
	s_waitcnt lgkmcnt(0)
	v_cmp_ne_u16_e32 vcc, 0, v20
	s_and_saveexec_b64 s[8:9], vcc
	s_xor_b64 s[8:9], exec, s[8:9]
	s_cbranch_execz .LBB2160_401
; %bb.400:
	ds_read2_b32 v[16:17], v21 offset1:1
	ds_read2_b32 v[14:15], v21 offset0:2 offset1:3
	ds_read2_b32 v[12:13], v21 offset0:4 offset1:5
	;; [unrolled: 1-line block ×3, first 2 shown]
                                        ; implicit-def: $vgpr21
.LBB2160_401:
	s_andn2_saveexec_b64 s[8:9], s[8:9]
	s_cbranch_execz .LBB2160_407
; %bb.402:
	s_mov_b32 s10, 0
	s_waitcnt lgkmcnt(0)
	v_mov_b32_e32 v10, 0x60
	v_mov_b32_e32 v11, 0
.LBB2160_403:                           ; =>This Inner Loop Header: Depth=1
	v_add_u32_e32 v12, s10, v10
	s_add_i32 s10, s10, 8
	s_cmp_lg_u32 s10, 32
	buffer_store_dword v11, v12, s[0:3], 0 offen offset:4
	buffer_store_dword v11, v12, s[0:3], 0 offen
	s_cbranch_scc1 .LBB2160_403
; %bb.404:
	s_mov_b32 s10, 0
	v_mov_b32_e32 v10, 0x84
	v_mov_b32_e32 v11, 0x60
.LBB2160_405:                           ; =>This Inner Loop Header: Depth=1
	v_add_u32_e32 v12, s10, v10
	buffer_load_dword v14, v12, s[0:3], 0 offen
	buffer_load_dword v15, v12, s[0:3], 0 offen offset:4
	v_add_u32_e32 v12, s10, v21
	ds_read2_b32 v[12:13], v12 offset1:1
	v_add_u32_e32 v16, s10, v11
	s_add_i32 s10, s10, 8
	s_cmp_lg_u32 s10, 32
	s_waitcnt vmcnt(1) lgkmcnt(0)
	v_add_u32_e32 v12, v12, v14
	s_waitcnt vmcnt(0)
	v_add_u32_e32 v13, v13, v15
	buffer_store_dword v13, v16, s[0:3], 0 offen offset:4
	buffer_store_dword v12, v16, s[0:3], 0 offen
	s_cbranch_scc1 .LBB2160_405
; %bb.406:
	buffer_load_dword v16, off, s[0:3], 0 offset:96
	buffer_load_dword v17, off, s[0:3], 0 offset:100
	;; [unrolled: 1-line block ×8, first 2 shown]
.LBB2160_407:
	s_or_b64 exec, exec, s[8:9]
	buffer_load_ubyte v21, off, s[0:3], 0 offset:164
	s_waitcnt vmcnt(7) lgkmcnt(3)
	buffer_store_dword v17, off, s[0:3], 0 offset:4
	buffer_store_dword v16, off, s[0:3], 0
	s_waitcnt vmcnt(7) lgkmcnt(2)
	buffer_store_dword v15, off, s[0:3], 0 offset:12
	buffer_store_dword v14, off, s[0:3], 0 offset:8
	s_waitcnt vmcnt(7) lgkmcnt(1)
	buffer_store_dword v13, off, s[0:3], 0 offset:20
	buffer_store_dword v12, off, s[0:3], 0 offset:16
	s_waitcnt vmcnt(7) lgkmcnt(0)
	buffer_store_dword v11, off, s[0:3], 0 offset:28
	s_waitcnt vmcnt(7)
	v_or_b32_e32 v11, v20, v21
	v_and_b32_e32 v11, 1, v11
	buffer_store_dword v10, off, s[0:3], 0 offset:24
	buffer_store_byte v11, off, s[0:3], 0 offset:32
.LBB2160_408:
	s_or_b64 exec, exec, s[6:7]
	buffer_load_ubyte v16, off, s[0:3], 0 offset:200
                                        ; implicit-def: $vgpr10_vgpr11
                                        ; implicit-def: $vgpr12_vgpr13
                                        ; implicit-def: $vgpr14_vgpr15
                                        ; implicit-def: $vgpr20
                                        ; implicit-def: $vgpr17
	s_waitcnt vmcnt(0)
	v_cmp_ne_u16_e32 vcc, 0, v16
	s_and_saveexec_b64 s[6:7], vcc
	s_xor_b64 s[6:7], exec, s[6:7]
	s_cbranch_execz .LBB2160_410
; %bb.409:
	buffer_load_dword v17, off, s[0:3], 0 offset:168
	buffer_load_dword v10, off, s[0:3], 0 offset:172
	;; [unrolled: 1-line block ×8, first 2 shown]
.LBB2160_410:
	s_andn2_saveexec_b64 s[6:7], s[6:7]
	s_cbranch_execz .LBB2160_416
; %bb.411:
	s_mov_b32 s8, 0
	s_waitcnt vmcnt(6)
	v_mov_b32_e32 v10, 0x60
	s_waitcnt vmcnt(5)
	v_mov_b32_e32 v11, 0
	s_waitcnt vmcnt(0)
.LBB2160_412:                           ; =>This Inner Loop Header: Depth=1
	v_add_u32_e32 v12, s8, v10
	s_add_i32 s8, s8, 8
	s_cmp_lg_u32 s8, 32
	buffer_store_dword v11, v12, s[0:3], 0 offen offset:4
	buffer_store_dword v11, v12, s[0:3], 0 offen
	s_cbranch_scc1 .LBB2160_412
; %bb.413:
	s_mov_b32 s8, 0
	v_mov_b32_e32 v10, 0
	v_mov_b32_e32 v11, 0xa8
	;; [unrolled: 1-line block ×3, first 2 shown]
.LBB2160_414:                           ; =>This Inner Loop Header: Depth=1
	v_add_u32_e32 v13, s8, v10
	v_add_u32_e32 v14, s8, v11
	buffer_load_dword v15, v13, s[0:3], 0 offen offset:4
	buffer_load_dword v17, v14, s[0:3], 0 offen
	buffer_load_dword v20, v13, s[0:3], 0 offen
	buffer_load_dword v21, v14, s[0:3], 0 offen offset:4
	v_add_u32_e32 v13, s8, v12
	s_add_i32 s8, s8, 8
	s_cmp_lg_u32 s8, 32
	s_waitcnt vmcnt(1)
	v_add_u32_e32 v14, v17, v20
	s_waitcnt vmcnt(0)
	v_add_u32_e32 v15, v21, v15
	buffer_store_dword v15, v13, s[0:3], 0 offen offset:4
	buffer_store_dword v14, v13, s[0:3], 0 offen
	s_cbranch_scc1 .LBB2160_414
; %bb.415:
	buffer_load_dword v17, off, s[0:3], 0 offset:96
	buffer_load_dword v10, off, s[0:3], 0 offset:100
	buffer_load_dword v11, off, s[0:3], 0 offset:104
	buffer_load_dword v12, off, s[0:3], 0 offset:108
	buffer_load_dword v13, off, s[0:3], 0 offset:112
	buffer_load_dword v14, off, s[0:3], 0 offset:116
	buffer_load_dword v15, off, s[0:3], 0 offset:120
	buffer_load_dword v20, off, s[0:3], 0 offset:124
.LBB2160_416:
	s_or_b64 exec, exec, s[6:7]
	buffer_load_ubyte v21, off, s[0:3], 0 offset:32
	v_add_u32_e32 v22, -1, v9
	v_and_b32_e32 v23, 64, v9
	v_cmp_lt_i32_e32 vcc, v22, v23
	v_cndmask_b32_e32 v22, v22, v9, vcc
	v_lshlrev_b32_e32 v22, 2, v22
	s_waitcnt vmcnt(8)
	ds_bpermute_b32 v17, v22, v17
	s_waitcnt vmcnt(7)
	ds_bpermute_b32 v10, v22, v10
	s_waitcnt vmcnt(6)
	ds_bpermute_b32 v11, v22, v11
	s_waitcnt vmcnt(5)
	ds_bpermute_b32 v12, v22, v12
	s_waitcnt vmcnt(4)
	ds_bpermute_b32 v13, v22, v13
	s_waitcnt vmcnt(3)
	ds_bpermute_b32 v14, v22, v14
	s_waitcnt vmcnt(2)
	ds_bpermute_b32 v15, v22, v15
	s_waitcnt vmcnt(1)
	ds_bpermute_b32 v20, v22, v20
	v_cmp_eq_u32_e32 vcc, 0, v9
	s_waitcnt vmcnt(0)
	v_or_b32_e32 v16, v16, v21
	v_and_b32_e32 v16, 1, v16
	buffer_store_byte v16, off, s[0:3], 0 offset:200
	buffer_load_dword v16, off, s[0:3], 0 offset:200
	s_waitcnt lgkmcnt(7)
	buffer_store_dword v17, off, s[0:3], 0 offset:168
	s_waitcnt lgkmcnt(6)
	buffer_store_dword v10, off, s[0:3], 0 offset:172
	;; [unrolled: 2-line block ×8, first 2 shown]
	s_waitcnt vmcnt(8)
	ds_bpermute_b32 v10, v22, v16
	s_and_saveexec_b64 s[6:7], vcc
	s_cbranch_execz .LBB2160_418
; %bb.417:
	buffer_load_dword v9, off, s[0:3], 0 offset:12
	s_waitcnt lgkmcnt(0)
	buffer_load_dword v10, off, s[0:3], 0 offset:8
	buffer_load_dword v11, off, s[0:3], 0 offset:4
	buffer_load_dword v12, off, s[0:3], 0
	buffer_load_dword v13, off, s[0:3], 0 offset:28
	buffer_load_dword v14, off, s[0:3], 0 offset:24
	;; [unrolled: 1-line block ×4, first 2 shown]
	s_waitcnt vmcnt(7)
	buffer_store_dword v9, off, s[0:3], 0 offset:180
	s_waitcnt vmcnt(7)
	buffer_store_dword v10, off, s[0:3], 0 offset:176
	;; [unrolled: 2-line block ×8, first 2 shown]
	v_mov_b32_e32 v10, v21
.LBB2160_418:
	s_or_b64 exec, exec, s[6:7]
	buffer_load_dword v11, off, s[0:3], 0 offset:332
	buffer_load_dword v12, off, s[0:3], 0 offset:328
	;; [unrolled: 1-line block ×9, first 2 shown]
	v_mov_b32_e32 v9, 0
	v_cmp_eq_u32_e64 s[6:7], 0, v8
	v_cmp_ne_u32_e32 vcc, 0, v8
	buffer_store_dword v5, off, s[0:3], 0 offset:100
	buffer_store_dword v4, off, s[0:3], 0 offset:96
	buffer_store_dword v7, off, s[0:3], 0 offset:108
	buffer_store_dword v6, off, s[0:3], 0 offset:104
	buffer_store_dword v1, off, s[0:3], 0 offset:116
	buffer_store_dword v0, off, s[0:3], 0 offset:112
	buffer_store_dword v3, off, s[0:3], 0 offset:124
	buffer_store_dword v2, off, s[0:3], 0 offset:120
	buffer_store_byte v9, off, s[0:3], 0 offset:128
	s_waitcnt vmcnt(17)
	buffer_store_dword v11, off, s[0:3], 0 offset:12
	s_waitcnt vmcnt(17)
	buffer_store_dword v12, off, s[0:3], 0 offset:8
	;; [unrolled: 2-line block ×3, first 2 shown]
	s_waitcnt vmcnt(17)
	buffer_store_dword v14, off, s[0:3], 0
	s_waitcnt vmcnt(17)
	buffer_store_dword v15, off, s[0:3], 0 offset:28
	s_waitcnt vmcnt(17)
	buffer_store_dword v16, off, s[0:3], 0 offset:24
	;; [unrolled: 2-line block ×5, first 2 shown]
	s_and_saveexec_b64 s[8:9], vcc
	s_cbranch_execz .LBB2160_420
; %bb.419:
	buffer_load_dword v0, off, s[0:3], 0 offset:180
	buffer_load_dword v1, off, s[0:3], 0 offset:176
	;; [unrolled: 1-line block ×8, first 2 shown]
	s_waitcnt lgkmcnt(0)
	v_mov_b32_e32 v9, v10
	s_waitcnt vmcnt(7)
	buffer_store_dword v0, off, s[0:3], 0 offset:108
	s_waitcnt vmcnt(7)
	buffer_store_dword v1, off, s[0:3], 0 offset:104
	;; [unrolled: 2-line block ×8, first 2 shown]
.LBB2160_420:
	s_or_b64 exec, exec, s[8:9]
	buffer_load_dword v0, off, s[0:3], 0 offset:108
	buffer_load_dword v1, off, s[0:3], 0 offset:104
	;; [unrolled: 1-line block ×8, first 2 shown]
	s_waitcnt lgkmcnt(0)
	buffer_load_ubyte v10, off, s[0:3], 0 offset:32
	s_nop 0
	buffer_store_byte v9, off, s[0:3], 0 offset:352
	s_waitcnt vmcnt(9)
	buffer_store_dword v0, off, s[0:3], 0 offset:332
	s_waitcnt vmcnt(9)
	buffer_store_dword v1, off, s[0:3], 0 offset:328
	;; [unrolled: 2-line block ×8, first 2 shown]
	s_waitcnt vmcnt(9)
	v_cmp_ne_u16_e32 vcc, 0, v10
                                        ; implicit-def: $vgpr6_vgpr7
                                        ; implicit-def: $vgpr4_vgpr5
                                        ; implicit-def: $vgpr2_vgpr3
                                        ; implicit-def: $vgpr0_vgpr1
	s_and_saveexec_b64 s[8:9], vcc
	s_xor_b64 s[8:9], exec, s[8:9]
	s_cbranch_execz .LBB2160_422
; %bb.421:
	buffer_load_dword v0, off, s[0:3], 0
	buffer_load_dword v1, off, s[0:3], 0 offset:4
	buffer_load_dword v2, off, s[0:3], 0 offset:8
	;; [unrolled: 1-line block ×7, first 2 shown]
.LBB2160_422:
	s_andn2_saveexec_b64 s[8:9], s[8:9]
	s_cbranch_execz .LBB2160_428
; %bb.423:
	s_mov_b32 s10, 0
	s_waitcnt vmcnt(7)
	v_mov_b32_e32 v0, 0x84
	s_waitcnt vmcnt(6)
	v_mov_b32_e32 v1, 0
	s_waitcnt vmcnt(0)
.LBB2160_424:                           ; =>This Inner Loop Header: Depth=1
	v_add_u32_e32 v2, s10, v0
	s_add_i32 s10, s10, 8
	s_cmp_lg_u32 s10, 32
	buffer_store_dword v1, v2, s[0:3], 0 offen offset:4
	buffer_store_dword v1, v2, s[0:3], 0 offen
	s_cbranch_scc1 .LBB2160_424
; %bb.425:
	s_mov_b32 s10, 0
	v_mov_b32_e32 v0, 0x60
	v_mov_b32_e32 v1, 0
	;; [unrolled: 1-line block ×3, first 2 shown]
.LBB2160_426:                           ; =>This Inner Loop Header: Depth=1
	v_add_u32_e32 v3, s10, v0
	v_add_u32_e32 v4, s10, v1
	buffer_load_dword v5, v3, s[0:3], 0 offen offset:4
	buffer_load_dword v6, v4, s[0:3], 0 offen
	buffer_load_dword v7, v3, s[0:3], 0 offen
	buffer_load_dword v11, v4, s[0:3], 0 offen offset:4
	v_add_u32_e32 v3, s10, v2
	s_add_i32 s10, s10, 8
	s_cmp_lg_u32 s10, 32
	s_waitcnt vmcnt(1)
	v_add_u32_e32 v4, v6, v7
	s_waitcnt vmcnt(0)
	v_add_u32_e32 v5, v11, v5
	buffer_store_dword v5, v3, s[0:3], 0 offen offset:4
	buffer_store_dword v4, v3, s[0:3], 0 offen
	s_cbranch_scc1 .LBB2160_426
; %bb.427:
	buffer_load_dword v0, off, s[0:3], 0 offset:132
	buffer_load_dword v1, off, s[0:3], 0 offset:136
	;; [unrolled: 1-line block ×8, first 2 shown]
.LBB2160_428:
	s_or_b64 exec, exec, s[8:9]
	buffer_load_dword v12, v18, s[0:3], 0 offen offset:12
	buffer_load_dword v13, v18, s[0:3], 0 offen offset:8
	buffer_load_dword v14, v18, s[0:3], 0 offen offset:4
	buffer_load_dword v15, v18, s[0:3], 0 offen
	buffer_load_dword v16, v18, s[0:3], 0 offen offset:28
	buffer_load_dword v17, v18, s[0:3], 0 offen offset:24
	;; [unrolled: 1-line block ×4, first 2 shown]
	buffer_load_ubyte v11, off, s[0:3], 0 offset:388
	v_or_b32_e32 v9, v10, v9
	s_waitcnt vmcnt(15)
	buffer_store_dword v1, off, s[0:3], 0 offset:100
	buffer_store_dword v0, off, s[0:3], 0 offset:96
	s_waitcnt vmcnt(15)
	buffer_store_dword v3, off, s[0:3], 0 offset:108
	buffer_store_dword v2, off, s[0:3], 0 offset:104
	;; [unrolled: 3-line block ×4, first 2 shown]
	buffer_store_dword v0, v18, s[0:3], 0 offen
	buffer_store_dword v1, v18, s[0:3], 0 offen offset:4
	buffer_store_dword v2, v18, s[0:3], 0 offen offset:8
	;; [unrolled: 1-line block ×7, first 2 shown]
	v_and_b32_e32 v0, 1, v9
	v_cmp_eq_u32_e32 vcc, 1, v0
                                        ; implicit-def: $vgpr2_vgpr3
                                        ; implicit-def: $vgpr6_vgpr7
                                        ; implicit-def: $vgpr4_vgpr5
	buffer_store_byte v0, off, s[0:3], 0 offset:388
	s_waitcnt vmcnt(25)
	buffer_store_dword v12, off, s[0:3], 0 offset:12
	s_waitcnt vmcnt(25)
	buffer_store_dword v13, off, s[0:3], 0 offset:8
	;; [unrolled: 2-line block ×3, first 2 shown]
	s_waitcnt vmcnt(25)
	buffer_store_dword v15, off, s[0:3], 0
	s_waitcnt vmcnt(25)
	buffer_store_dword v16, off, s[0:3], 0 offset:28
	s_waitcnt vmcnt(25)
	buffer_store_dword v17, off, s[0:3], 0 offset:24
	;; [unrolled: 2-line block ×4, first 2 shown]
	s_waitcnt vmcnt(25)
	v_cmp_ne_u16_e64 s[8:9], 0, v11
                                        ; implicit-def: $vgpr0_vgpr1
	s_and_saveexec_b64 s[10:11], s[8:9]
	s_xor_b64 s[8:9], exec, s[10:11]
	s_cbranch_execz .LBB2160_430
; %bb.429:
	buffer_load_dword v4, off, s[0:3], 0
	buffer_load_dword v5, off, s[0:3], 0 offset:4
	buffer_load_dword v6, off, s[0:3], 0 offset:8
	;; [unrolled: 1-line block ×7, first 2 shown]
.LBB2160_430:
	s_andn2_saveexec_b64 s[8:9], s[8:9]
	s_cbranch_execz .LBB2160_436
; %bb.431:
	s_mov_b32 s10, 0
	s_waitcnt vmcnt(3)
	v_mov_b32_e32 v0, 0x84
	s_waitcnt vmcnt(2)
	v_mov_b32_e32 v1, 0
	s_waitcnt vmcnt(0)
.LBB2160_432:                           ; =>This Inner Loop Header: Depth=1
	v_add_u32_e32 v2, s10, v0
	s_add_i32 s10, s10, 8
	s_cmp_lg_u32 s10, 32
	buffer_store_dword v1, v2, s[0:3], 0 offen offset:4
	buffer_store_dword v1, v2, s[0:3], 0 offen
	s_cbranch_scc1 .LBB2160_432
; %bb.433:
	s_mov_b32 s10, 0
	v_mov_b32_e32 v0, 0x60
	v_mov_b32_e32 v1, 0
	;; [unrolled: 1-line block ×3, first 2 shown]
.LBB2160_434:                           ; =>This Inner Loop Header: Depth=1
	v_add_u32_e32 v3, s10, v0
	v_add_u32_e32 v4, s10, v1
	buffer_load_dword v5, v3, s[0:3], 0 offen offset:4
	buffer_load_dword v6, v4, s[0:3], 0 offen
	buffer_load_dword v7, v3, s[0:3], 0 offen
	buffer_load_dword v9, v4, s[0:3], 0 offen offset:4
	v_add_u32_e32 v3, s10, v2
	s_add_i32 s10, s10, 8
	s_cmp_lg_u32 s10, 32
	s_waitcnt vmcnt(1)
	v_add_u32_e32 v4, v6, v7
	s_waitcnt vmcnt(0)
	v_add_u32_e32 v5, v9, v5
	buffer_store_dword v5, v3, s[0:3], 0 offen offset:4
	buffer_store_dword v4, v3, s[0:3], 0 offen
	s_cbranch_scc1 .LBB2160_434
; %bb.435:
	buffer_load_dword v4, off, s[0:3], 0 offset:132
	buffer_load_dword v5, off, s[0:3], 0 offset:136
	;; [unrolled: 1-line block ×8, first 2 shown]
.LBB2160_436:
	s_or_b64 exec, exec, s[8:9]
	s_waitcnt vmcnt(4)
	buffer_store_dword v7, v19, s[0:3], 0 offen offset:12
	buffer_store_dword v6, v19, s[0:3], 0 offen offset:8
	;; [unrolled: 1-line block ×3, first 2 shown]
	buffer_store_dword v4, v19, s[0:3], 0 offen
	s_waitcnt vmcnt(4)
	buffer_store_dword v3, v19, s[0:3], 0 offen offset:28
	v_mov_b32_e32 v3, 0
	v_and_b32_e32 v9, 1, v11
	ds_read2_b32 v[4:5], v3 offset0:27 offset1:28
	ds_read2_b32 v[6:7], v3 offset0:29 offset1:30
	;; [unrolled: 1-line block ×4, first 2 shown]
	v_cmp_eq_u32_e64 s[8:9], 1, v9
	s_or_b64 s[8:9], s[8:9], vcc
	v_cndmask_b32_e64 v9, 0, 1, s[8:9]
	buffer_store_dword v2, v19, s[0:3], 0 offen offset:24
	buffer_store_dword v1, v19, s[0:3], 0 offen offset:20
	;; [unrolled: 1-line block ×3, first 2 shown]
	buffer_store_byte v9, off, s[0:3], 0 offset:424
	s_waitcnt lgkmcnt(0)
	buffer_store_dword v13, off, s[0:3], 0 offset:268
	buffer_store_dword v12, off, s[0:3], 0 offset:264
	;; [unrolled: 1-line block ×4, first 2 shown]
	ds_read_u8 v9, v3 offset:140
	buffer_store_dword v7, off, s[0:3], 0 offset:252
	buffer_store_dword v6, off, s[0:3], 0 offset:248
	;; [unrolled: 1-line block ×4, first 2 shown]
	s_waitcnt lgkmcnt(0)
	v_cmp_ne_u16_e32 vcc, 0, v9
	s_cbranch_vccz .LBB2160_440
; %bb.437:
	buffer_load_dword v4, off, s[0:3], 0 offset:240
	buffer_load_dword v5, off, s[0:3], 0 offset:244
	;; [unrolled: 1-line block ×8, first 2 shown]
	s_cbranch_execz .LBB2160_441
	s_branch .LBB2160_446
.LBB2160_438:
	v_lshlrev_b64 v[12:13], 5, v[8:9]
	v_mov_b32_e32 v9, s33
	v_add_co_u32_e64 v12, s[8:9], s11, v12
	v_addc_co_u32_e64 v13, s[8:9], v9, v13, s[8:9]
	flat_load_dwordx4 v[20:23], v[12:13]
	flat_load_dwordx4 v[24:27], v[12:13] offset:16
	s_waitcnt vmcnt(0) lgkmcnt(0)
	buffer_store_dword v21, off, s[0:3], 0 offset:4
	buffer_store_dword v20, off, s[0:3], 0
	buffer_store_dword v23, off, s[0:3], 0 offset:12
	buffer_store_dword v22, off, s[0:3], 0 offset:8
	;; [unrolled: 1-line block ×6, first 2 shown]
	s_or_b64 exec, exec, s[12:13]
	s_and_saveexec_b64 s[8:9], s[6:7]
	s_cbranch_execz .LBB2160_25
.LBB2160_439:
	v_lshlrev_b32_e32 v6, 5, v6
	v_mov_b32_e32 v9, s33
	v_add_co_u32_e64 v12, s[6:7], s11, v6
	v_addc_co_u32_e64 v13, s[6:7], 0, v9, s[6:7]
	flat_load_dwordx4 v[20:23], v[12:13]
	flat_load_dwordx4 v[24:27], v[12:13] offset:16
	s_waitcnt vmcnt(0) lgkmcnt(0)
	buffer_store_dword v21, off, s[0:3], 0 offset:36
	buffer_store_dword v20, off, s[0:3], 0 offset:32
	;; [unrolled: 1-line block ×8, first 2 shown]
	s_or_b64 exec, exec, s[8:9]
	v_mul_u32_u24_e32 v6, 3, v8
	s_and_saveexec_b64 s[6:7], vcc
	s_cbranch_execnz .LBB2160_26
	s_branch .LBB2160_27
.LBB2160_440:
                                        ; implicit-def: $vgpr2_vgpr3
                                        ; implicit-def: $vgpr6_vgpr7
.LBB2160_441:
	s_mov_b32 s8, 0
	s_waitcnt vmcnt(3)
	v_mov_b32_e32 v0, 0
	s_waitcnt vmcnt(2)
	v_mov_b32_e32 v1, 0
	s_waitcnt vmcnt(0)
.LBB2160_442:                           ; =>This Inner Loop Header: Depth=1
	v_add_u32_e32 v2, s8, v0
	s_add_i32 s8, s8, 8
	s_cmp_lg_u32 s8, 32
	buffer_store_dword v1, v2, s[0:3], 0 offen offset:4
	buffer_store_dword v1, v2, s[0:3], 0 offen
	s_cbranch_scc1 .LBB2160_442
; %bb.443:
	s_mov_b32 s8, 0
	v_mov_b32_e32 v0, 0xcc
	v_mov_b32_e32 v1, 0xf0
	;; [unrolled: 1-line block ×3, first 2 shown]
.LBB2160_444:                           ; =>This Inner Loop Header: Depth=1
	v_add_u32_e32 v3, s8, v0
	v_add_u32_e32 v4, s8, v1
	buffer_load_dword v5, v3, s[0:3], 0 offen offset:4
	buffer_load_dword v6, v4, s[0:3], 0 offen
	buffer_load_dword v7, v3, s[0:3], 0 offen
	buffer_load_dword v10, v4, s[0:3], 0 offen offset:4
	v_add_u32_e32 v3, s8, v2
	s_add_i32 s8, s8, 8
	s_cmp_lg_u32 s8, 32
	s_waitcnt vmcnt(1)
	v_add_u32_e32 v4, v6, v7
	s_waitcnt vmcnt(0)
	v_add_u32_e32 v5, v10, v5
	buffer_store_dword v5, v3, s[0:3], 0 offen offset:4
	buffer_store_dword v4, v3, s[0:3], 0 offen
	s_cbranch_scc1 .LBB2160_444
; %bb.445:
	buffer_load_dword v4, off, s[0:3], 0
	buffer_load_dword v5, off, s[0:3], 0 offset:4
	buffer_load_dword v6, off, s[0:3], 0 offset:8
	;; [unrolled: 1-line block ×7, first 2 shown]
.LBB2160_446:
	buffer_load_ubyte v10, off, s[0:3], 0 offset:236
	s_waitcnt vmcnt(7)
	buffer_store_dword v5, off, s[0:3], 0 offset:244
	buffer_store_dword v4, off, s[0:3], 0 offset:240
	s_waitcnt vmcnt(7)
	buffer_store_dword v7, off, s[0:3], 0 offset:252
	buffer_store_dword v6, off, s[0:3], 0 offset:248
	;; [unrolled: 3-line block ×3, first 2 shown]
	s_waitcnt vmcnt(7)
	buffer_store_dword v3, off, s[0:3], 0 offset:268
	s_waitcnt vmcnt(7)
	v_or_b32_e32 v9, v9, v10
	v_and_b32_e32 v9, 1, v9
	buffer_store_dword v2, off, s[0:3], 0 offset:264
	buffer_store_byte v9, off, s[0:3], 0 offset:272
	s_and_saveexec_b64 s[8:9], s[6:7]
	s_cbranch_execz .LBB2160_448
; %bb.447:
	v_mov_b32_e32 v10, 0
	global_store_dwordx4 v10, v[4:7], s[18:19] offset:2304
	global_store_dwordx4 v10, v[0:3], s[18:19] offset:2320
	global_store_byte v10, v9, s[18:19] offset:2336
	v_mov_b32_e32 v0, 2
	s_waitcnt vmcnt(0)
	buffer_wbinvl1_vol
	global_store_byte v10, v0, s[20:21] offset:64
.LBB2160_448:
	s_or_b64 exec, exec, s[8:9]
.LBB2160_449:
	s_mov_b32 s6, 0
	v_mov_b32_e32 v0, 0
	v_mov_b32_e32 v1, 0
.LBB2160_450:                           ; =>This Inner Loop Header: Depth=1
	v_add_u32_e32 v2, s6, v0
	s_add_i32 s6, s6, 8
	s_cmp_lg_u32 s6, 32
	buffer_store_dword v1, v2, s[0:3], 0 offen offset:4
	buffer_store_dword v1, v2, s[0:3], 0 offen
	s_cbranch_scc1 .LBB2160_450
; %bb.451:
	s_mov_b32 s6, 32
	v_mov_b32_e32 v0, 0
	v_mov_b32_e32 v1, 0
.LBB2160_452:                           ; =>This Inner Loop Header: Depth=1
	v_add_u32_e32 v2, s6, v0
	s_add_i32 s6, s6, 8
	s_cmp_lg_u32 s6, 64
	buffer_store_dword v1, v2, s[0:3], 0 offen offset:4
	buffer_store_dword v1, v2, s[0:3], 0 offen
	s_cbranch_scc1 .LBB2160_452
; %bb.453:
	s_mov_b32 s6, 64
	v_mov_b32_e32 v0, 0
	v_mov_b32_e32 v1, 0
.LBB2160_454:                           ; =>This Inner Loop Header: Depth=1
	v_add_u32_e32 v2, s6, v0
	s_add_i32 s6, s6, 8
	s_cmpk_lg_i32 s6, 0x60
	buffer_store_dword v1, v2, s[0:3], 0 offen offset:4
	buffer_store_dword v1, v2, s[0:3], 0 offen
	s_cbranch_scc1 .LBB2160_454
; %bb.455:
	s_add_u32 s6, s30, s24
	s_addc_u32 s7, s31, s25
	v_mov_b32_e32 v0, 0
	s_add_u32 s8, s6, s26
	v_add_u32_e32 v2, 64, v0
	v_add_u32_e32 v3, 32, v0
	s_addc_u32 s9, s7, s27
	s_and_b64 vcc, exec, s[4:5]
	s_cbranch_vccz .LBB2160_465
; %bb.456:
	s_add_i32 s23, s23, s22
	v_mul_u32_u24_e32 v0, 3, v8
	v_cmp_gt_u32_e32 vcc, s23, v0
	s_and_saveexec_b64 s[4:5], vcc
	s_cbranch_execz .LBB2160_460
; %bb.457:
	buffer_load_dword v1, off, s[0:3], 0 offset:332
	buffer_load_dword v4, off, s[0:3], 0 offset:328
	;; [unrolled: 1-line block ×8, first 2 shown]
	v_add_u32_e32 v12, 1, v0
	v_cmp_gt_u32_e32 vcc, s23, v12
	s_waitcnt vmcnt(7)
	buffer_store_dword v1, off, s[0:3], 0 offset:12
	s_waitcnt vmcnt(7)
	buffer_store_dword v4, off, s[0:3], 0 offset:8
	;; [unrolled: 2-line block ×3, first 2 shown]
	s_waitcnt vmcnt(7)
	buffer_store_dword v6, off, s[0:3], 0
	s_waitcnt vmcnt(7)
	buffer_store_dword v7, off, s[0:3], 0 offset:28
	s_waitcnt vmcnt(7)
	buffer_store_dword v9, off, s[0:3], 0 offset:24
	;; [unrolled: 2-line block ×4, first 2 shown]
	s_and_b64 exec, exec, vcc
	s_cbranch_execz .LBB2160_460
; %bb.458:
	buffer_load_dword v1, v18, s[0:3], 0 offen offset:12
	buffer_load_dword v4, v18, s[0:3], 0 offen offset:8
	;; [unrolled: 1-line block ×3, first 2 shown]
	buffer_load_dword v6, v18, s[0:3], 0 offen
	buffer_load_dword v7, v18, s[0:3], 0 offen offset:28
	buffer_load_dword v9, v18, s[0:3], 0 offen offset:24
	;; [unrolled: 1-line block ×4, first 2 shown]
	v_add_u32_e32 v12, 2, v0
	v_cmp_gt_u32_e32 vcc, s23, v12
	s_waitcnt vmcnt(7)
	buffer_store_dword v1, v3, s[0:3], 0 offen offset:12
	s_waitcnt vmcnt(7)
	buffer_store_dword v4, v3, s[0:3], 0 offen offset:8
	;; [unrolled: 2-line block ×3, first 2 shown]
	s_waitcnt vmcnt(7)
	buffer_store_dword v6, v3, s[0:3], 0 offen
	s_waitcnt vmcnt(7)
	buffer_store_dword v7, v3, s[0:3], 0 offen offset:28
	s_waitcnt vmcnt(7)
	buffer_store_dword v9, v3, s[0:3], 0 offen offset:24
	;; [unrolled: 2-line block ×4, first 2 shown]
	s_and_b64 exec, exec, vcc
	s_cbranch_execz .LBB2160_460
; %bb.459:
	buffer_load_dword v1, v19, s[0:3], 0 offen offset:12
	buffer_load_dword v4, v19, s[0:3], 0 offen offset:8
	;; [unrolled: 1-line block ×3, first 2 shown]
	buffer_load_dword v6, v19, s[0:3], 0 offen
	buffer_load_dword v7, v19, s[0:3], 0 offen offset:28
	buffer_load_dword v9, v19, s[0:3], 0 offen offset:24
	;; [unrolled: 1-line block ×4, first 2 shown]
	s_waitcnt vmcnt(7)
	buffer_store_dword v1, v2, s[0:3], 0 offen offset:12
	s_waitcnt vmcnt(7)
	buffer_store_dword v4, v2, s[0:3], 0 offen offset:8
	;; [unrolled: 2-line block ×3, first 2 shown]
	s_waitcnt vmcnt(7)
	buffer_store_dword v6, v2, s[0:3], 0 offen
	s_waitcnt vmcnt(7)
	buffer_store_dword v7, v2, s[0:3], 0 offen offset:28
	s_waitcnt vmcnt(7)
	buffer_store_dword v9, v2, s[0:3], 0 offen offset:24
	;; [unrolled: 2-line block ×4, first 2 shown]
.LBB2160_460:
	s_or_b64 exec, exec, s[4:5]
	s_barrier
	buffer_load_dword v10, off, s[0:3], 0
	buffer_load_dword v11, off, s[0:3], 0 offset:4
	buffer_load_dword v12, off, s[0:3], 0 offset:8
	;; [unrolled: 1-line block ×7, first 2 shown]
	buffer_load_dword v20, v3, s[0:3], 0 offen
	buffer_load_dword v21, v3, s[0:3], 0 offen offset:4
	buffer_load_dword v22, v3, s[0:3], 0 offen offset:8
	buffer_load_dword v23, v3, s[0:3], 0 offen offset:12
	buffer_load_dword v24, v3, s[0:3], 0 offen offset:16
	buffer_load_dword v25, v3, s[0:3], 0 offen offset:20
	buffer_load_dword v26, v3, s[0:3], 0 offen offset:24
	buffer_load_dword v27, v3, s[0:3], 0 offen offset:28
	buffer_load_dword v28, v2, s[0:3], 0 offen
	buffer_load_dword v29, v2, s[0:3], 0 offen offset:4
	buffer_load_dword v30, v2, s[0:3], 0 offen offset:8
	;; [unrolled: 1-line block ×7, first 2 shown]
	v_lshlrev_b32_e32 v0, 5, v0
	v_lshlrev_b32_e32 v1, 6, v8
	v_sub_u32_e32 v4, v0, v1
	v_lshlrev_b32_e32 v5, 5, v8
	v_mov_b32_e32 v6, s9
	v_mov_b32_e32 v9, 0
	s_waitcnt vmcnt(20)
	ds_write_b128 v0, v[10:13]
	s_waitcnt vmcnt(16)
	ds_write_b128 v0, v[14:17] offset:16
	s_waitcnt vmcnt(12)
	ds_write_b128 v0, v[20:23] offset:32
	;; [unrolled: 2-line block ×5, first 2 shown]
	s_waitcnt lgkmcnt(0)
	s_barrier
	ds_read_b128 v[10:13], v4 offset:8192
	ds_read_b128 v[14:17], v4 offset:8208
	;; [unrolled: 1-line block ×4, first 2 shown]
	v_add_co_u32_e32 v0, vcc, s8, v5
	v_addc_co_u32_e32 v1, vcc, 0, v6, vcc
	v_cmp_gt_u32_e32 vcc, s23, v8
	s_waitcnt lgkmcnt(3)
	buffer_store_dword v13, v3, s[0:3], 0 offen offset:12
	buffer_store_dword v12, v3, s[0:3], 0 offen offset:8
	;; [unrolled: 1-line block ×3, first 2 shown]
	buffer_store_dword v10, v3, s[0:3], 0 offen
	s_waitcnt lgkmcnt(2)
	buffer_store_dword v17, v3, s[0:3], 0 offen offset:28
	buffer_store_dword v16, v3, s[0:3], 0 offen offset:24
	;; [unrolled: 1-line block ×4, first 2 shown]
	s_waitcnt lgkmcnt(1)
	buffer_store_dword v23, v2, s[0:3], 0 offen offset:12
	buffer_store_dword v22, v2, s[0:3], 0 offen offset:8
	;; [unrolled: 1-line block ×3, first 2 shown]
	buffer_store_dword v20, v2, s[0:3], 0 offen
	s_waitcnt lgkmcnt(0)
	buffer_store_dword v27, v2, s[0:3], 0 offen offset:28
	buffer_store_dword v26, v2, s[0:3], 0 offen offset:24
	;; [unrolled: 1-line block ×4, first 2 shown]
	s_and_saveexec_b64 s[4:5], vcc
	s_cbranch_execz .LBB2160_462
; %bb.461:
	ds_read2_b32 v[10:11], v4 offset0:4 offset1:5
	ds_read2_b32 v[12:13], v4 offset0:6 offset1:7
	;; [unrolled: 1-line block ×3, first 2 shown]
	ds_read2_b32 v[4:5], v4 offset1:1
	s_waitcnt lgkmcnt(0)
	flat_store_dwordx4 v[0:1], v[4:7]
	flat_store_dwordx4 v[0:1], v[10:13] offset:16
.LBB2160_462:
	s_or_b64 exec, exec, s[4:5]
	v_or_b32_e32 v4, 0x100, v8
	v_cmp_gt_u32_e32 vcc, s23, v4
	s_and_saveexec_b64 s[6:7], vcc
	s_cbranch_execz .LBB2160_464
; %bb.463:
	buffer_load_dword v4, v3, s[0:3], 0 offen offset:16
	buffer_load_dword v5, v3, s[0:3], 0 offen offset:20
	;; [unrolled: 1-line block ×4, first 2 shown]
	buffer_load_dword v10, v3, s[0:3], 0 offen
	buffer_load_dword v11, v3, s[0:3], 0 offen offset:4
	buffer_load_dword v12, v3, s[0:3], 0 offen offset:8
	;; [unrolled: 1-line block ×3, first 2 shown]
	v_add_co_u32_e32 v14, vcc, 0x2000, v0
	s_mov_b64 s[4:5], vcc
	v_addc_co_u32_e64 v15, s[4:5], 0, v1, s[4:5]
	s_waitcnt vmcnt(0)
	flat_store_dwordx4 v[14:15], v[4:7] offset:16
	v_addc_co_u32_e32 v15, vcc, 0, v1, vcc
	flat_store_dwordx4 v[14:15], v[10:13]
.LBB2160_464:
	s_or_b64 exec, exec, s[6:7]
	v_or_b32_e32 v0, 0x200, v8
	v_cmp_gt_u32_e64 s[6:7], s23, v0
	s_branch .LBB2160_467
.LBB2160_465:
	s_mov_b64 s[6:7], 0
	s_cbranch_execz .LBB2160_467
; %bb.466:
	buffer_load_dword v0, off, s[0:3], 0 offset:332
	buffer_load_dword v1, off, s[0:3], 0 offset:328
	;; [unrolled: 1-line block ×8, first 2 shown]
	buffer_load_dword v11, v18, s[0:3], 0 offen offset:12
	buffer_load_dword v12, v18, s[0:3], 0 offen offset:8
	;; [unrolled: 1-line block ×3, first 2 shown]
	buffer_load_dword v14, v18, s[0:3], 0 offen
	buffer_load_dword v15, v18, s[0:3], 0 offen offset:28
	buffer_load_dword v16, v18, s[0:3], 0 offen offset:24
	;; [unrolled: 1-line block ×7, first 2 shown]
	buffer_load_dword v24, v19, s[0:3], 0 offen
	buffer_load_dword v25, v19, s[0:3], 0 offen offset:28
	buffer_load_dword v26, v19, s[0:3], 0 offen offset:24
	;; [unrolled: 1-line block ×3, first 2 shown]
                                        ; kill: killed $vgpr18
	buffer_load_dword v18, v19, s[0:3], 0 offen offset:16
	v_mul_u32_u24_e32 v34, 0x60, v8
	v_mov_b32_e32 v30, s9
	s_or_b64 s[6:7], s[6:7], exec
	s_waitcnt vmcnt(0)
	buffer_store_dword v0, off, s[0:3], 0 offset:12
	buffer_store_dword v1, off, s[0:3], 0 offset:8
	;; [unrolled: 1-line block ×3, first 2 shown]
	buffer_store_dword v5, off, s[0:3], 0
	buffer_store_dword v6, off, s[0:3], 0 offset:28
	buffer_store_dword v7, off, s[0:3], 0 offset:24
	;; [unrolled: 1-line block ×4, first 2 shown]
	buffer_store_dword v11, v3, s[0:3], 0 offen offset:12
	buffer_store_dword v12, v3, s[0:3], 0 offen offset:8
	;; [unrolled: 1-line block ×3, first 2 shown]
	buffer_store_dword v14, v3, s[0:3], 0 offen
	buffer_store_dword v15, v3, s[0:3], 0 offen offset:28
	buffer_store_dword v16, v3, s[0:3], 0 offen offset:24
	;; [unrolled: 1-line block ×7, first 2 shown]
	buffer_store_dword v24, v2, s[0:3], 0 offen
	buffer_store_dword v25, v2, s[0:3], 0 offen offset:28
	buffer_store_dword v26, v2, s[0:3], 0 offen offset:24
	;; [unrolled: 1-line block ×4, first 2 shown]
	s_waitcnt lgkmcnt(0)
	s_barrier
	buffer_load_dword v4, off, s[0:3], 0
	buffer_load_dword v5, off, s[0:3], 0 offset:4
	buffer_load_dword v6, off, s[0:3], 0 offset:8
	buffer_load_dword v7, off, s[0:3], 0 offset:12
	buffer_load_dword v10, off, s[0:3], 0 offset:16
	buffer_load_dword v11, off, s[0:3], 0 offset:20
	buffer_load_dword v12, off, s[0:3], 0 offset:24
	buffer_load_dword v13, off, s[0:3], 0 offset:28
	buffer_load_dword v14, v3, s[0:3], 0 offen
	buffer_load_dword v15, v3, s[0:3], 0 offen offset:4
	buffer_load_dword v16, v3, s[0:3], 0 offen offset:8
	;; [unrolled: 1-line block ×7, first 2 shown]
	buffer_load_dword v22, v2, s[0:3], 0 offen
	buffer_load_dword v23, v2, s[0:3], 0 offen offset:4
	buffer_load_dword v24, v2, s[0:3], 0 offen offset:8
	;; [unrolled: 1-line block ×7, first 2 shown]
	v_lshlrev_b32_e32 v0, 6, v8
	v_sub_u32_e32 v35, v34, v0
	v_lshlrev_b32_e32 v1, 5, v8
	v_add_co_u32_e32 v0, vcc, s8, v1
	v_addc_co_u32_e32 v1, vcc, 0, v30, vcc
	v_mov_b32_e32 v9, 0
	v_add_co_u32_e32 v30, vcc, 0x2000, v0
	v_addc_co_u32_e64 v31, s[4:5], 0, v1, vcc
	v_addc_co_u32_e32 v33, vcc, 0, v1, vcc
	v_mov_b32_e32 v32, v30
	s_waitcnt vmcnt(20)
	ds_write_b128 v34, v[4:7]
	s_waitcnt vmcnt(16)
	ds_write_b128 v34, v[10:13] offset:16
	s_waitcnt vmcnt(12)
	ds_write_b128 v34, v[14:17] offset:32
	s_waitcnt vmcnt(8)
	ds_write_b128 v34, v[18:21] offset:48
	s_waitcnt vmcnt(4)
	ds_write_b128 v34, v[22:25] offset:64
	s_waitcnt vmcnt(0)
	ds_write_b128 v34, v[26:29] offset:80
	s_waitcnt lgkmcnt(0)
	s_barrier
	ds_read_b128 v[4:7], v35 offset:8192
	ds_read_b128 v[10:13], v35 offset:8208
	;; [unrolled: 1-line block ×4, first 2 shown]
	ds_read2_b32 v[22:23], v35 offset1:1
	ds_read2_b32 v[28:29], v35 offset0:6 offset1:7
	ds_read2_b32 v[26:27], v35 offset0:4 offset1:5
	;; [unrolled: 1-line block ×3, first 2 shown]
	s_waitcnt lgkmcnt(7)
	buffer_store_dword v7, v3, s[0:3], 0 offen offset:12
	buffer_store_dword v6, v3, s[0:3], 0 offen offset:8
	;; [unrolled: 1-line block ×3, first 2 shown]
	buffer_store_dword v4, v3, s[0:3], 0 offen
	s_waitcnt lgkmcnt(6)
	buffer_store_dword v13, v3, s[0:3], 0 offen offset:28
	buffer_store_dword v12, v3, s[0:3], 0 offen offset:24
	buffer_store_dword v11, v3, s[0:3], 0 offen offset:20
	buffer_store_dword v10, v3, s[0:3], 0 offen offset:16
	s_waitcnt lgkmcnt(5)
	buffer_store_dword v17, v2, s[0:3], 0 offen offset:12
	buffer_store_dword v16, v2, s[0:3], 0 offen offset:8
	;; [unrolled: 1-line block ×3, first 2 shown]
	buffer_store_dword v14, v2, s[0:3], 0 offen
	s_waitcnt lgkmcnt(4)
	buffer_store_dword v21, v2, s[0:3], 0 offen offset:28
	buffer_store_dword v20, v2, s[0:3], 0 offen offset:24
	buffer_store_dword v19, v2, s[0:3], 0 offen offset:20
	buffer_store_dword v18, v2, s[0:3], 0 offen offset:16
	s_waitcnt lgkmcnt(1)
	flat_store_dwordx4 v[0:1], v[26:29] offset:16
	s_waitcnt lgkmcnt(0)
	flat_store_dwordx4 v[0:1], v[22:25]
	flat_store_dwordx4 v[32:33], v[4:7]
	flat_store_dwordx4 v[30:31], v[10:13] offset:16
.LBB2160_467:
	s_and_saveexec_b64 s[4:5], s[6:7]
	s_cbranch_execnz .LBB2160_469
; %bb.468:
	s_endpgm
.LBB2160_469:
	buffer_load_dword v4, v2, s[0:3], 0 offen offset:16
	buffer_load_dword v5, v2, s[0:3], 0 offen offset:20
	;; [unrolled: 1-line block ×4, first 2 shown]
	buffer_load_dword v10, v2, s[0:3], 0 offen
	buffer_load_dword v11, v2, s[0:3], 0 offen offset:4
	buffer_load_dword v12, v2, s[0:3], 0 offen offset:8
	;; [unrolled: 1-line block ×3, first 2 shown]
	v_lshlrev_b64 v[0:1], 5, v[8:9]
	v_mov_b32_e32 v2, s9
	v_add_co_u32_e32 v0, vcc, s8, v0
	v_addc_co_u32_e32 v2, vcc, v2, v1, vcc
	v_add_co_u32_e32 v0, vcc, 0x4000, v0
	v_addc_co_u32_e64 v1, s[4:5], 0, v2, vcc
	s_waitcnt vmcnt(0)
	flat_store_dwordx4 v[0:1], v[4:7] offset:16
	v_addc_co_u32_e32 v1, vcc, 0, v2, vcc
	flat_store_dwordx4 v[0:1], v[10:13]
	s_endpgm
	.section	.rodata,"a",@progbits
	.p2align	6, 0x0
	.amdhsa_kernel _ZN7rocprim17ROCPRIM_400000_NS6detail17trampoline_kernelINS0_14default_configENS1_27scan_by_key_config_selectorIj11FixedVectorIiLj8EEEEZZNS1_16scan_by_key_implILNS1_25lookback_scan_determinismE0ELb1ES3_N6thrust23THRUST_200600_302600_NS6detail15normal_iteratorINSB_10device_ptrIjEEEENSD_INSE_IS6_EEEESI_S6_NSB_4plusIvEENSB_8equal_toIvEES6_EE10hipError_tPvRmT2_T3_T4_T5_mT6_T7_P12ihipStream_tbENKUlT_T0_E_clISt17integral_constantIbLb0EES13_EEDaSY_SZ_EUlSY_E_NS1_11comp_targetILNS1_3genE4ELNS1_11target_archE910ELNS1_3gpuE8ELNS1_3repE0EEENS1_30default_config_static_selectorELNS0_4arch9wavefront6targetE1EEEvT1_
		.amdhsa_group_segment_fixed_size 32768
		.amdhsa_private_segment_fixed_size 432
		.amdhsa_kernarg_size 160
		.amdhsa_user_sgpr_count 10
		.amdhsa_user_sgpr_private_segment_buffer 1
		.amdhsa_user_sgpr_dispatch_ptr 1
		.amdhsa_user_sgpr_queue_ptr 0
		.amdhsa_user_sgpr_kernarg_segment_ptr 1
		.amdhsa_user_sgpr_dispatch_id 0
		.amdhsa_user_sgpr_flat_scratch_init 1
		.amdhsa_user_sgpr_kernarg_preload_length 0
		.amdhsa_user_sgpr_kernarg_preload_offset 0
		.amdhsa_user_sgpr_private_segment_size 0
		.amdhsa_uses_dynamic_stack 0
		.amdhsa_system_sgpr_private_segment_wavefront_offset 1
		.amdhsa_system_sgpr_workgroup_id_x 1
		.amdhsa_system_sgpr_workgroup_id_y 0
		.amdhsa_system_sgpr_workgroup_id_z 0
		.amdhsa_system_sgpr_workgroup_info 0
		.amdhsa_system_vgpr_workitem_id 2
		.amdhsa_next_free_vgpr 45
		.amdhsa_next_free_sgpr 53
		.amdhsa_accum_offset 48
		.amdhsa_reserve_vcc 1
		.amdhsa_reserve_flat_scratch 1
		.amdhsa_float_round_mode_32 0
		.amdhsa_float_round_mode_16_64 0
		.amdhsa_float_denorm_mode_32 3
		.amdhsa_float_denorm_mode_16_64 3
		.amdhsa_dx10_clamp 1
		.amdhsa_ieee_mode 1
		.amdhsa_fp16_overflow 0
		.amdhsa_tg_split 0
		.amdhsa_exception_fp_ieee_invalid_op 0
		.amdhsa_exception_fp_denorm_src 0
		.amdhsa_exception_fp_ieee_div_zero 0
		.amdhsa_exception_fp_ieee_overflow 0
		.amdhsa_exception_fp_ieee_underflow 0
		.amdhsa_exception_fp_ieee_inexact 0
		.amdhsa_exception_int_div_zero 0
	.end_amdhsa_kernel
	.section	.text._ZN7rocprim17ROCPRIM_400000_NS6detail17trampoline_kernelINS0_14default_configENS1_27scan_by_key_config_selectorIj11FixedVectorIiLj8EEEEZZNS1_16scan_by_key_implILNS1_25lookback_scan_determinismE0ELb1ES3_N6thrust23THRUST_200600_302600_NS6detail15normal_iteratorINSB_10device_ptrIjEEEENSD_INSE_IS6_EEEESI_S6_NSB_4plusIvEENSB_8equal_toIvEES6_EE10hipError_tPvRmT2_T3_T4_T5_mT6_T7_P12ihipStream_tbENKUlT_T0_E_clISt17integral_constantIbLb0EES13_EEDaSY_SZ_EUlSY_E_NS1_11comp_targetILNS1_3genE4ELNS1_11target_archE910ELNS1_3gpuE8ELNS1_3repE0EEENS1_30default_config_static_selectorELNS0_4arch9wavefront6targetE1EEEvT1_,"axG",@progbits,_ZN7rocprim17ROCPRIM_400000_NS6detail17trampoline_kernelINS0_14default_configENS1_27scan_by_key_config_selectorIj11FixedVectorIiLj8EEEEZZNS1_16scan_by_key_implILNS1_25lookback_scan_determinismE0ELb1ES3_N6thrust23THRUST_200600_302600_NS6detail15normal_iteratorINSB_10device_ptrIjEEEENSD_INSE_IS6_EEEESI_S6_NSB_4plusIvEENSB_8equal_toIvEES6_EE10hipError_tPvRmT2_T3_T4_T5_mT6_T7_P12ihipStream_tbENKUlT_T0_E_clISt17integral_constantIbLb0EES13_EEDaSY_SZ_EUlSY_E_NS1_11comp_targetILNS1_3genE4ELNS1_11target_archE910ELNS1_3gpuE8ELNS1_3repE0EEENS1_30default_config_static_selectorELNS0_4arch9wavefront6targetE1EEEvT1_,comdat
.Lfunc_end2160:
	.size	_ZN7rocprim17ROCPRIM_400000_NS6detail17trampoline_kernelINS0_14default_configENS1_27scan_by_key_config_selectorIj11FixedVectorIiLj8EEEEZZNS1_16scan_by_key_implILNS1_25lookback_scan_determinismE0ELb1ES3_N6thrust23THRUST_200600_302600_NS6detail15normal_iteratorINSB_10device_ptrIjEEEENSD_INSE_IS6_EEEESI_S6_NSB_4plusIvEENSB_8equal_toIvEES6_EE10hipError_tPvRmT2_T3_T4_T5_mT6_T7_P12ihipStream_tbENKUlT_T0_E_clISt17integral_constantIbLb0EES13_EEDaSY_SZ_EUlSY_E_NS1_11comp_targetILNS1_3genE4ELNS1_11target_archE910ELNS1_3gpuE8ELNS1_3repE0EEENS1_30default_config_static_selectorELNS0_4arch9wavefront6targetE1EEEvT1_, .Lfunc_end2160-_ZN7rocprim17ROCPRIM_400000_NS6detail17trampoline_kernelINS0_14default_configENS1_27scan_by_key_config_selectorIj11FixedVectorIiLj8EEEEZZNS1_16scan_by_key_implILNS1_25lookback_scan_determinismE0ELb1ES3_N6thrust23THRUST_200600_302600_NS6detail15normal_iteratorINSB_10device_ptrIjEEEENSD_INSE_IS6_EEEESI_S6_NSB_4plusIvEENSB_8equal_toIvEES6_EE10hipError_tPvRmT2_T3_T4_T5_mT6_T7_P12ihipStream_tbENKUlT_T0_E_clISt17integral_constantIbLb0EES13_EEDaSY_SZ_EUlSY_E_NS1_11comp_targetILNS1_3genE4ELNS1_11target_archE910ELNS1_3gpuE8ELNS1_3repE0EEENS1_30default_config_static_selectorELNS0_4arch9wavefront6targetE1EEEvT1_
                                        ; -- End function
	.section	.AMDGPU.csdata,"",@progbits
; Kernel info:
; codeLenInByte = 34560
; NumSgprs: 59
; NumVgprs: 45
; NumAgprs: 0
; TotalNumVgprs: 45
; ScratchSize: 432
; MemoryBound: 1
; FloatMode: 240
; IeeeMode: 1
; LDSByteSize: 32768 bytes/workgroup (compile time only)
; SGPRBlocks: 7
; VGPRBlocks: 5
; NumSGPRsForWavesPerEU: 59
; NumVGPRsForWavesPerEU: 45
; AccumOffset: 48
; Occupancy: 2
; WaveLimiterHint : 1
; COMPUTE_PGM_RSRC2:SCRATCH_EN: 1
; COMPUTE_PGM_RSRC2:USER_SGPR: 10
; COMPUTE_PGM_RSRC2:TRAP_HANDLER: 0
; COMPUTE_PGM_RSRC2:TGID_X_EN: 1
; COMPUTE_PGM_RSRC2:TGID_Y_EN: 0
; COMPUTE_PGM_RSRC2:TGID_Z_EN: 0
; COMPUTE_PGM_RSRC2:TIDIG_COMP_CNT: 2
; COMPUTE_PGM_RSRC3_GFX90A:ACCUM_OFFSET: 11
; COMPUTE_PGM_RSRC3_GFX90A:TG_SPLIT: 0
	.section	.text._ZN7rocprim17ROCPRIM_400000_NS6detail17trampoline_kernelINS0_14default_configENS1_27scan_by_key_config_selectorIj11FixedVectorIiLj8EEEEZZNS1_16scan_by_key_implILNS1_25lookback_scan_determinismE0ELb1ES3_N6thrust23THRUST_200600_302600_NS6detail15normal_iteratorINSB_10device_ptrIjEEEENSD_INSE_IS6_EEEESI_S6_NSB_4plusIvEENSB_8equal_toIvEES6_EE10hipError_tPvRmT2_T3_T4_T5_mT6_T7_P12ihipStream_tbENKUlT_T0_E_clISt17integral_constantIbLb0EES13_EEDaSY_SZ_EUlSY_E_NS1_11comp_targetILNS1_3genE3ELNS1_11target_archE908ELNS1_3gpuE7ELNS1_3repE0EEENS1_30default_config_static_selectorELNS0_4arch9wavefront6targetE1EEEvT1_,"axG",@progbits,_ZN7rocprim17ROCPRIM_400000_NS6detail17trampoline_kernelINS0_14default_configENS1_27scan_by_key_config_selectorIj11FixedVectorIiLj8EEEEZZNS1_16scan_by_key_implILNS1_25lookback_scan_determinismE0ELb1ES3_N6thrust23THRUST_200600_302600_NS6detail15normal_iteratorINSB_10device_ptrIjEEEENSD_INSE_IS6_EEEESI_S6_NSB_4plusIvEENSB_8equal_toIvEES6_EE10hipError_tPvRmT2_T3_T4_T5_mT6_T7_P12ihipStream_tbENKUlT_T0_E_clISt17integral_constantIbLb0EES13_EEDaSY_SZ_EUlSY_E_NS1_11comp_targetILNS1_3genE3ELNS1_11target_archE908ELNS1_3gpuE7ELNS1_3repE0EEENS1_30default_config_static_selectorELNS0_4arch9wavefront6targetE1EEEvT1_,comdat
	.protected	_ZN7rocprim17ROCPRIM_400000_NS6detail17trampoline_kernelINS0_14default_configENS1_27scan_by_key_config_selectorIj11FixedVectorIiLj8EEEEZZNS1_16scan_by_key_implILNS1_25lookback_scan_determinismE0ELb1ES3_N6thrust23THRUST_200600_302600_NS6detail15normal_iteratorINSB_10device_ptrIjEEEENSD_INSE_IS6_EEEESI_S6_NSB_4plusIvEENSB_8equal_toIvEES6_EE10hipError_tPvRmT2_T3_T4_T5_mT6_T7_P12ihipStream_tbENKUlT_T0_E_clISt17integral_constantIbLb0EES13_EEDaSY_SZ_EUlSY_E_NS1_11comp_targetILNS1_3genE3ELNS1_11target_archE908ELNS1_3gpuE7ELNS1_3repE0EEENS1_30default_config_static_selectorELNS0_4arch9wavefront6targetE1EEEvT1_ ; -- Begin function _ZN7rocprim17ROCPRIM_400000_NS6detail17trampoline_kernelINS0_14default_configENS1_27scan_by_key_config_selectorIj11FixedVectorIiLj8EEEEZZNS1_16scan_by_key_implILNS1_25lookback_scan_determinismE0ELb1ES3_N6thrust23THRUST_200600_302600_NS6detail15normal_iteratorINSB_10device_ptrIjEEEENSD_INSE_IS6_EEEESI_S6_NSB_4plusIvEENSB_8equal_toIvEES6_EE10hipError_tPvRmT2_T3_T4_T5_mT6_T7_P12ihipStream_tbENKUlT_T0_E_clISt17integral_constantIbLb0EES13_EEDaSY_SZ_EUlSY_E_NS1_11comp_targetILNS1_3genE3ELNS1_11target_archE908ELNS1_3gpuE7ELNS1_3repE0EEENS1_30default_config_static_selectorELNS0_4arch9wavefront6targetE1EEEvT1_
	.globl	_ZN7rocprim17ROCPRIM_400000_NS6detail17trampoline_kernelINS0_14default_configENS1_27scan_by_key_config_selectorIj11FixedVectorIiLj8EEEEZZNS1_16scan_by_key_implILNS1_25lookback_scan_determinismE0ELb1ES3_N6thrust23THRUST_200600_302600_NS6detail15normal_iteratorINSB_10device_ptrIjEEEENSD_INSE_IS6_EEEESI_S6_NSB_4plusIvEENSB_8equal_toIvEES6_EE10hipError_tPvRmT2_T3_T4_T5_mT6_T7_P12ihipStream_tbENKUlT_T0_E_clISt17integral_constantIbLb0EES13_EEDaSY_SZ_EUlSY_E_NS1_11comp_targetILNS1_3genE3ELNS1_11target_archE908ELNS1_3gpuE7ELNS1_3repE0EEENS1_30default_config_static_selectorELNS0_4arch9wavefront6targetE1EEEvT1_
	.p2align	8
	.type	_ZN7rocprim17ROCPRIM_400000_NS6detail17trampoline_kernelINS0_14default_configENS1_27scan_by_key_config_selectorIj11FixedVectorIiLj8EEEEZZNS1_16scan_by_key_implILNS1_25lookback_scan_determinismE0ELb1ES3_N6thrust23THRUST_200600_302600_NS6detail15normal_iteratorINSB_10device_ptrIjEEEENSD_INSE_IS6_EEEESI_S6_NSB_4plusIvEENSB_8equal_toIvEES6_EE10hipError_tPvRmT2_T3_T4_T5_mT6_T7_P12ihipStream_tbENKUlT_T0_E_clISt17integral_constantIbLb0EES13_EEDaSY_SZ_EUlSY_E_NS1_11comp_targetILNS1_3genE3ELNS1_11target_archE908ELNS1_3gpuE7ELNS1_3repE0EEENS1_30default_config_static_selectorELNS0_4arch9wavefront6targetE1EEEvT1_,@function
_ZN7rocprim17ROCPRIM_400000_NS6detail17trampoline_kernelINS0_14default_configENS1_27scan_by_key_config_selectorIj11FixedVectorIiLj8EEEEZZNS1_16scan_by_key_implILNS1_25lookback_scan_determinismE0ELb1ES3_N6thrust23THRUST_200600_302600_NS6detail15normal_iteratorINSB_10device_ptrIjEEEENSD_INSE_IS6_EEEESI_S6_NSB_4plusIvEENSB_8equal_toIvEES6_EE10hipError_tPvRmT2_T3_T4_T5_mT6_T7_P12ihipStream_tbENKUlT_T0_E_clISt17integral_constantIbLb0EES13_EEDaSY_SZ_EUlSY_E_NS1_11comp_targetILNS1_3genE3ELNS1_11target_archE908ELNS1_3gpuE7ELNS1_3repE0EEENS1_30default_config_static_selectorELNS0_4arch9wavefront6targetE1EEEvT1_: ; @_ZN7rocprim17ROCPRIM_400000_NS6detail17trampoline_kernelINS0_14default_configENS1_27scan_by_key_config_selectorIj11FixedVectorIiLj8EEEEZZNS1_16scan_by_key_implILNS1_25lookback_scan_determinismE0ELb1ES3_N6thrust23THRUST_200600_302600_NS6detail15normal_iteratorINSB_10device_ptrIjEEEENSD_INSE_IS6_EEEESI_S6_NSB_4plusIvEENSB_8equal_toIvEES6_EE10hipError_tPvRmT2_T3_T4_T5_mT6_T7_P12ihipStream_tbENKUlT_T0_E_clISt17integral_constantIbLb0EES13_EEDaSY_SZ_EUlSY_E_NS1_11comp_targetILNS1_3genE3ELNS1_11target_archE908ELNS1_3gpuE7ELNS1_3repE0EEENS1_30default_config_static_selectorELNS0_4arch9wavefront6targetE1EEEvT1_
; %bb.0:
	.section	.rodata,"a",@progbits
	.p2align	6, 0x0
	.amdhsa_kernel _ZN7rocprim17ROCPRIM_400000_NS6detail17trampoline_kernelINS0_14default_configENS1_27scan_by_key_config_selectorIj11FixedVectorIiLj8EEEEZZNS1_16scan_by_key_implILNS1_25lookback_scan_determinismE0ELb1ES3_N6thrust23THRUST_200600_302600_NS6detail15normal_iteratorINSB_10device_ptrIjEEEENSD_INSE_IS6_EEEESI_S6_NSB_4plusIvEENSB_8equal_toIvEES6_EE10hipError_tPvRmT2_T3_T4_T5_mT6_T7_P12ihipStream_tbENKUlT_T0_E_clISt17integral_constantIbLb0EES13_EEDaSY_SZ_EUlSY_E_NS1_11comp_targetILNS1_3genE3ELNS1_11target_archE908ELNS1_3gpuE7ELNS1_3repE0EEENS1_30default_config_static_selectorELNS0_4arch9wavefront6targetE1EEEvT1_
		.amdhsa_group_segment_fixed_size 0
		.amdhsa_private_segment_fixed_size 0
		.amdhsa_kernarg_size 160
		.amdhsa_user_sgpr_count 6
		.amdhsa_user_sgpr_private_segment_buffer 1
		.amdhsa_user_sgpr_dispatch_ptr 0
		.amdhsa_user_sgpr_queue_ptr 0
		.amdhsa_user_sgpr_kernarg_segment_ptr 1
		.amdhsa_user_sgpr_dispatch_id 0
		.amdhsa_user_sgpr_flat_scratch_init 0
		.amdhsa_user_sgpr_kernarg_preload_length 0
		.amdhsa_user_sgpr_kernarg_preload_offset 0
		.amdhsa_user_sgpr_private_segment_size 0
		.amdhsa_uses_dynamic_stack 0
		.amdhsa_system_sgpr_private_segment_wavefront_offset 0
		.amdhsa_system_sgpr_workgroup_id_x 1
		.amdhsa_system_sgpr_workgroup_id_y 0
		.amdhsa_system_sgpr_workgroup_id_z 0
		.amdhsa_system_sgpr_workgroup_info 0
		.amdhsa_system_vgpr_workitem_id 0
		.amdhsa_next_free_vgpr 1
		.amdhsa_next_free_sgpr 0
		.amdhsa_accum_offset 4
		.amdhsa_reserve_vcc 0
		.amdhsa_reserve_flat_scratch 0
		.amdhsa_float_round_mode_32 0
		.amdhsa_float_round_mode_16_64 0
		.amdhsa_float_denorm_mode_32 3
		.amdhsa_float_denorm_mode_16_64 3
		.amdhsa_dx10_clamp 1
		.amdhsa_ieee_mode 1
		.amdhsa_fp16_overflow 0
		.amdhsa_tg_split 0
		.amdhsa_exception_fp_ieee_invalid_op 0
		.amdhsa_exception_fp_denorm_src 0
		.amdhsa_exception_fp_ieee_div_zero 0
		.amdhsa_exception_fp_ieee_overflow 0
		.amdhsa_exception_fp_ieee_underflow 0
		.amdhsa_exception_fp_ieee_inexact 0
		.amdhsa_exception_int_div_zero 0
	.end_amdhsa_kernel
	.section	.text._ZN7rocprim17ROCPRIM_400000_NS6detail17trampoline_kernelINS0_14default_configENS1_27scan_by_key_config_selectorIj11FixedVectorIiLj8EEEEZZNS1_16scan_by_key_implILNS1_25lookback_scan_determinismE0ELb1ES3_N6thrust23THRUST_200600_302600_NS6detail15normal_iteratorINSB_10device_ptrIjEEEENSD_INSE_IS6_EEEESI_S6_NSB_4plusIvEENSB_8equal_toIvEES6_EE10hipError_tPvRmT2_T3_T4_T5_mT6_T7_P12ihipStream_tbENKUlT_T0_E_clISt17integral_constantIbLb0EES13_EEDaSY_SZ_EUlSY_E_NS1_11comp_targetILNS1_3genE3ELNS1_11target_archE908ELNS1_3gpuE7ELNS1_3repE0EEENS1_30default_config_static_selectorELNS0_4arch9wavefront6targetE1EEEvT1_,"axG",@progbits,_ZN7rocprim17ROCPRIM_400000_NS6detail17trampoline_kernelINS0_14default_configENS1_27scan_by_key_config_selectorIj11FixedVectorIiLj8EEEEZZNS1_16scan_by_key_implILNS1_25lookback_scan_determinismE0ELb1ES3_N6thrust23THRUST_200600_302600_NS6detail15normal_iteratorINSB_10device_ptrIjEEEENSD_INSE_IS6_EEEESI_S6_NSB_4plusIvEENSB_8equal_toIvEES6_EE10hipError_tPvRmT2_T3_T4_T5_mT6_T7_P12ihipStream_tbENKUlT_T0_E_clISt17integral_constantIbLb0EES13_EEDaSY_SZ_EUlSY_E_NS1_11comp_targetILNS1_3genE3ELNS1_11target_archE908ELNS1_3gpuE7ELNS1_3repE0EEENS1_30default_config_static_selectorELNS0_4arch9wavefront6targetE1EEEvT1_,comdat
.Lfunc_end2161:
	.size	_ZN7rocprim17ROCPRIM_400000_NS6detail17trampoline_kernelINS0_14default_configENS1_27scan_by_key_config_selectorIj11FixedVectorIiLj8EEEEZZNS1_16scan_by_key_implILNS1_25lookback_scan_determinismE0ELb1ES3_N6thrust23THRUST_200600_302600_NS6detail15normal_iteratorINSB_10device_ptrIjEEEENSD_INSE_IS6_EEEESI_S6_NSB_4plusIvEENSB_8equal_toIvEES6_EE10hipError_tPvRmT2_T3_T4_T5_mT6_T7_P12ihipStream_tbENKUlT_T0_E_clISt17integral_constantIbLb0EES13_EEDaSY_SZ_EUlSY_E_NS1_11comp_targetILNS1_3genE3ELNS1_11target_archE908ELNS1_3gpuE7ELNS1_3repE0EEENS1_30default_config_static_selectorELNS0_4arch9wavefront6targetE1EEEvT1_, .Lfunc_end2161-_ZN7rocprim17ROCPRIM_400000_NS6detail17trampoline_kernelINS0_14default_configENS1_27scan_by_key_config_selectorIj11FixedVectorIiLj8EEEEZZNS1_16scan_by_key_implILNS1_25lookback_scan_determinismE0ELb1ES3_N6thrust23THRUST_200600_302600_NS6detail15normal_iteratorINSB_10device_ptrIjEEEENSD_INSE_IS6_EEEESI_S6_NSB_4plusIvEENSB_8equal_toIvEES6_EE10hipError_tPvRmT2_T3_T4_T5_mT6_T7_P12ihipStream_tbENKUlT_T0_E_clISt17integral_constantIbLb0EES13_EEDaSY_SZ_EUlSY_E_NS1_11comp_targetILNS1_3genE3ELNS1_11target_archE908ELNS1_3gpuE7ELNS1_3repE0EEENS1_30default_config_static_selectorELNS0_4arch9wavefront6targetE1EEEvT1_
                                        ; -- End function
	.section	.AMDGPU.csdata,"",@progbits
; Kernel info:
; codeLenInByte = 0
; NumSgprs: 4
; NumVgprs: 0
; NumAgprs: 0
; TotalNumVgprs: 0
; ScratchSize: 0
; MemoryBound: 0
; FloatMode: 240
; IeeeMode: 1
; LDSByteSize: 0 bytes/workgroup (compile time only)
; SGPRBlocks: 0
; VGPRBlocks: 0
; NumSGPRsForWavesPerEU: 4
; NumVGPRsForWavesPerEU: 1
; AccumOffset: 4
; Occupancy: 8
; WaveLimiterHint : 0
; COMPUTE_PGM_RSRC2:SCRATCH_EN: 0
; COMPUTE_PGM_RSRC2:USER_SGPR: 6
; COMPUTE_PGM_RSRC2:TRAP_HANDLER: 0
; COMPUTE_PGM_RSRC2:TGID_X_EN: 1
; COMPUTE_PGM_RSRC2:TGID_Y_EN: 0
; COMPUTE_PGM_RSRC2:TGID_Z_EN: 0
; COMPUTE_PGM_RSRC2:TIDIG_COMP_CNT: 0
; COMPUTE_PGM_RSRC3_GFX90A:ACCUM_OFFSET: 0
; COMPUTE_PGM_RSRC3_GFX90A:TG_SPLIT: 0
	.section	.text._ZN7rocprim17ROCPRIM_400000_NS6detail17trampoline_kernelINS0_14default_configENS1_27scan_by_key_config_selectorIj11FixedVectorIiLj8EEEEZZNS1_16scan_by_key_implILNS1_25lookback_scan_determinismE0ELb1ES3_N6thrust23THRUST_200600_302600_NS6detail15normal_iteratorINSB_10device_ptrIjEEEENSD_INSE_IS6_EEEESI_S6_NSB_4plusIvEENSB_8equal_toIvEES6_EE10hipError_tPvRmT2_T3_T4_T5_mT6_T7_P12ihipStream_tbENKUlT_T0_E_clISt17integral_constantIbLb0EES13_EEDaSY_SZ_EUlSY_E_NS1_11comp_targetILNS1_3genE2ELNS1_11target_archE906ELNS1_3gpuE6ELNS1_3repE0EEENS1_30default_config_static_selectorELNS0_4arch9wavefront6targetE1EEEvT1_,"axG",@progbits,_ZN7rocprim17ROCPRIM_400000_NS6detail17trampoline_kernelINS0_14default_configENS1_27scan_by_key_config_selectorIj11FixedVectorIiLj8EEEEZZNS1_16scan_by_key_implILNS1_25lookback_scan_determinismE0ELb1ES3_N6thrust23THRUST_200600_302600_NS6detail15normal_iteratorINSB_10device_ptrIjEEEENSD_INSE_IS6_EEEESI_S6_NSB_4plusIvEENSB_8equal_toIvEES6_EE10hipError_tPvRmT2_T3_T4_T5_mT6_T7_P12ihipStream_tbENKUlT_T0_E_clISt17integral_constantIbLb0EES13_EEDaSY_SZ_EUlSY_E_NS1_11comp_targetILNS1_3genE2ELNS1_11target_archE906ELNS1_3gpuE6ELNS1_3repE0EEENS1_30default_config_static_selectorELNS0_4arch9wavefront6targetE1EEEvT1_,comdat
	.protected	_ZN7rocprim17ROCPRIM_400000_NS6detail17trampoline_kernelINS0_14default_configENS1_27scan_by_key_config_selectorIj11FixedVectorIiLj8EEEEZZNS1_16scan_by_key_implILNS1_25lookback_scan_determinismE0ELb1ES3_N6thrust23THRUST_200600_302600_NS6detail15normal_iteratorINSB_10device_ptrIjEEEENSD_INSE_IS6_EEEESI_S6_NSB_4plusIvEENSB_8equal_toIvEES6_EE10hipError_tPvRmT2_T3_T4_T5_mT6_T7_P12ihipStream_tbENKUlT_T0_E_clISt17integral_constantIbLb0EES13_EEDaSY_SZ_EUlSY_E_NS1_11comp_targetILNS1_3genE2ELNS1_11target_archE906ELNS1_3gpuE6ELNS1_3repE0EEENS1_30default_config_static_selectorELNS0_4arch9wavefront6targetE1EEEvT1_ ; -- Begin function _ZN7rocprim17ROCPRIM_400000_NS6detail17trampoline_kernelINS0_14default_configENS1_27scan_by_key_config_selectorIj11FixedVectorIiLj8EEEEZZNS1_16scan_by_key_implILNS1_25lookback_scan_determinismE0ELb1ES3_N6thrust23THRUST_200600_302600_NS6detail15normal_iteratorINSB_10device_ptrIjEEEENSD_INSE_IS6_EEEESI_S6_NSB_4plusIvEENSB_8equal_toIvEES6_EE10hipError_tPvRmT2_T3_T4_T5_mT6_T7_P12ihipStream_tbENKUlT_T0_E_clISt17integral_constantIbLb0EES13_EEDaSY_SZ_EUlSY_E_NS1_11comp_targetILNS1_3genE2ELNS1_11target_archE906ELNS1_3gpuE6ELNS1_3repE0EEENS1_30default_config_static_selectorELNS0_4arch9wavefront6targetE1EEEvT1_
	.globl	_ZN7rocprim17ROCPRIM_400000_NS6detail17trampoline_kernelINS0_14default_configENS1_27scan_by_key_config_selectorIj11FixedVectorIiLj8EEEEZZNS1_16scan_by_key_implILNS1_25lookback_scan_determinismE0ELb1ES3_N6thrust23THRUST_200600_302600_NS6detail15normal_iteratorINSB_10device_ptrIjEEEENSD_INSE_IS6_EEEESI_S6_NSB_4plusIvEENSB_8equal_toIvEES6_EE10hipError_tPvRmT2_T3_T4_T5_mT6_T7_P12ihipStream_tbENKUlT_T0_E_clISt17integral_constantIbLb0EES13_EEDaSY_SZ_EUlSY_E_NS1_11comp_targetILNS1_3genE2ELNS1_11target_archE906ELNS1_3gpuE6ELNS1_3repE0EEENS1_30default_config_static_selectorELNS0_4arch9wavefront6targetE1EEEvT1_
	.p2align	8
	.type	_ZN7rocprim17ROCPRIM_400000_NS6detail17trampoline_kernelINS0_14default_configENS1_27scan_by_key_config_selectorIj11FixedVectorIiLj8EEEEZZNS1_16scan_by_key_implILNS1_25lookback_scan_determinismE0ELb1ES3_N6thrust23THRUST_200600_302600_NS6detail15normal_iteratorINSB_10device_ptrIjEEEENSD_INSE_IS6_EEEESI_S6_NSB_4plusIvEENSB_8equal_toIvEES6_EE10hipError_tPvRmT2_T3_T4_T5_mT6_T7_P12ihipStream_tbENKUlT_T0_E_clISt17integral_constantIbLb0EES13_EEDaSY_SZ_EUlSY_E_NS1_11comp_targetILNS1_3genE2ELNS1_11target_archE906ELNS1_3gpuE6ELNS1_3repE0EEENS1_30default_config_static_selectorELNS0_4arch9wavefront6targetE1EEEvT1_,@function
_ZN7rocprim17ROCPRIM_400000_NS6detail17trampoline_kernelINS0_14default_configENS1_27scan_by_key_config_selectorIj11FixedVectorIiLj8EEEEZZNS1_16scan_by_key_implILNS1_25lookback_scan_determinismE0ELb1ES3_N6thrust23THRUST_200600_302600_NS6detail15normal_iteratorINSB_10device_ptrIjEEEENSD_INSE_IS6_EEEESI_S6_NSB_4plusIvEENSB_8equal_toIvEES6_EE10hipError_tPvRmT2_T3_T4_T5_mT6_T7_P12ihipStream_tbENKUlT_T0_E_clISt17integral_constantIbLb0EES13_EEDaSY_SZ_EUlSY_E_NS1_11comp_targetILNS1_3genE2ELNS1_11target_archE906ELNS1_3gpuE6ELNS1_3repE0EEENS1_30default_config_static_selectorELNS0_4arch9wavefront6targetE1EEEvT1_: ; @_ZN7rocprim17ROCPRIM_400000_NS6detail17trampoline_kernelINS0_14default_configENS1_27scan_by_key_config_selectorIj11FixedVectorIiLj8EEEEZZNS1_16scan_by_key_implILNS1_25lookback_scan_determinismE0ELb1ES3_N6thrust23THRUST_200600_302600_NS6detail15normal_iteratorINSB_10device_ptrIjEEEENSD_INSE_IS6_EEEESI_S6_NSB_4plusIvEENSB_8equal_toIvEES6_EE10hipError_tPvRmT2_T3_T4_T5_mT6_T7_P12ihipStream_tbENKUlT_T0_E_clISt17integral_constantIbLb0EES13_EEDaSY_SZ_EUlSY_E_NS1_11comp_targetILNS1_3genE2ELNS1_11target_archE906ELNS1_3gpuE6ELNS1_3repE0EEENS1_30default_config_static_selectorELNS0_4arch9wavefront6targetE1EEEvT1_
; %bb.0:
	.section	.rodata,"a",@progbits
	.p2align	6, 0x0
	.amdhsa_kernel _ZN7rocprim17ROCPRIM_400000_NS6detail17trampoline_kernelINS0_14default_configENS1_27scan_by_key_config_selectorIj11FixedVectorIiLj8EEEEZZNS1_16scan_by_key_implILNS1_25lookback_scan_determinismE0ELb1ES3_N6thrust23THRUST_200600_302600_NS6detail15normal_iteratorINSB_10device_ptrIjEEEENSD_INSE_IS6_EEEESI_S6_NSB_4plusIvEENSB_8equal_toIvEES6_EE10hipError_tPvRmT2_T3_T4_T5_mT6_T7_P12ihipStream_tbENKUlT_T0_E_clISt17integral_constantIbLb0EES13_EEDaSY_SZ_EUlSY_E_NS1_11comp_targetILNS1_3genE2ELNS1_11target_archE906ELNS1_3gpuE6ELNS1_3repE0EEENS1_30default_config_static_selectorELNS0_4arch9wavefront6targetE1EEEvT1_
		.amdhsa_group_segment_fixed_size 0
		.amdhsa_private_segment_fixed_size 0
		.amdhsa_kernarg_size 160
		.amdhsa_user_sgpr_count 6
		.amdhsa_user_sgpr_private_segment_buffer 1
		.amdhsa_user_sgpr_dispatch_ptr 0
		.amdhsa_user_sgpr_queue_ptr 0
		.amdhsa_user_sgpr_kernarg_segment_ptr 1
		.amdhsa_user_sgpr_dispatch_id 0
		.amdhsa_user_sgpr_flat_scratch_init 0
		.amdhsa_user_sgpr_kernarg_preload_length 0
		.amdhsa_user_sgpr_kernarg_preload_offset 0
		.amdhsa_user_sgpr_private_segment_size 0
		.amdhsa_uses_dynamic_stack 0
		.amdhsa_system_sgpr_private_segment_wavefront_offset 0
		.amdhsa_system_sgpr_workgroup_id_x 1
		.amdhsa_system_sgpr_workgroup_id_y 0
		.amdhsa_system_sgpr_workgroup_id_z 0
		.amdhsa_system_sgpr_workgroup_info 0
		.amdhsa_system_vgpr_workitem_id 0
		.amdhsa_next_free_vgpr 1
		.amdhsa_next_free_sgpr 0
		.amdhsa_accum_offset 4
		.amdhsa_reserve_vcc 0
		.amdhsa_reserve_flat_scratch 0
		.amdhsa_float_round_mode_32 0
		.amdhsa_float_round_mode_16_64 0
		.amdhsa_float_denorm_mode_32 3
		.amdhsa_float_denorm_mode_16_64 3
		.amdhsa_dx10_clamp 1
		.amdhsa_ieee_mode 1
		.amdhsa_fp16_overflow 0
		.amdhsa_tg_split 0
		.amdhsa_exception_fp_ieee_invalid_op 0
		.amdhsa_exception_fp_denorm_src 0
		.amdhsa_exception_fp_ieee_div_zero 0
		.amdhsa_exception_fp_ieee_overflow 0
		.amdhsa_exception_fp_ieee_underflow 0
		.amdhsa_exception_fp_ieee_inexact 0
		.amdhsa_exception_int_div_zero 0
	.end_amdhsa_kernel
	.section	.text._ZN7rocprim17ROCPRIM_400000_NS6detail17trampoline_kernelINS0_14default_configENS1_27scan_by_key_config_selectorIj11FixedVectorIiLj8EEEEZZNS1_16scan_by_key_implILNS1_25lookback_scan_determinismE0ELb1ES3_N6thrust23THRUST_200600_302600_NS6detail15normal_iteratorINSB_10device_ptrIjEEEENSD_INSE_IS6_EEEESI_S6_NSB_4plusIvEENSB_8equal_toIvEES6_EE10hipError_tPvRmT2_T3_T4_T5_mT6_T7_P12ihipStream_tbENKUlT_T0_E_clISt17integral_constantIbLb0EES13_EEDaSY_SZ_EUlSY_E_NS1_11comp_targetILNS1_3genE2ELNS1_11target_archE906ELNS1_3gpuE6ELNS1_3repE0EEENS1_30default_config_static_selectorELNS0_4arch9wavefront6targetE1EEEvT1_,"axG",@progbits,_ZN7rocprim17ROCPRIM_400000_NS6detail17trampoline_kernelINS0_14default_configENS1_27scan_by_key_config_selectorIj11FixedVectorIiLj8EEEEZZNS1_16scan_by_key_implILNS1_25lookback_scan_determinismE0ELb1ES3_N6thrust23THRUST_200600_302600_NS6detail15normal_iteratorINSB_10device_ptrIjEEEENSD_INSE_IS6_EEEESI_S6_NSB_4plusIvEENSB_8equal_toIvEES6_EE10hipError_tPvRmT2_T3_T4_T5_mT6_T7_P12ihipStream_tbENKUlT_T0_E_clISt17integral_constantIbLb0EES13_EEDaSY_SZ_EUlSY_E_NS1_11comp_targetILNS1_3genE2ELNS1_11target_archE906ELNS1_3gpuE6ELNS1_3repE0EEENS1_30default_config_static_selectorELNS0_4arch9wavefront6targetE1EEEvT1_,comdat
.Lfunc_end2162:
	.size	_ZN7rocprim17ROCPRIM_400000_NS6detail17trampoline_kernelINS0_14default_configENS1_27scan_by_key_config_selectorIj11FixedVectorIiLj8EEEEZZNS1_16scan_by_key_implILNS1_25lookback_scan_determinismE0ELb1ES3_N6thrust23THRUST_200600_302600_NS6detail15normal_iteratorINSB_10device_ptrIjEEEENSD_INSE_IS6_EEEESI_S6_NSB_4plusIvEENSB_8equal_toIvEES6_EE10hipError_tPvRmT2_T3_T4_T5_mT6_T7_P12ihipStream_tbENKUlT_T0_E_clISt17integral_constantIbLb0EES13_EEDaSY_SZ_EUlSY_E_NS1_11comp_targetILNS1_3genE2ELNS1_11target_archE906ELNS1_3gpuE6ELNS1_3repE0EEENS1_30default_config_static_selectorELNS0_4arch9wavefront6targetE1EEEvT1_, .Lfunc_end2162-_ZN7rocprim17ROCPRIM_400000_NS6detail17trampoline_kernelINS0_14default_configENS1_27scan_by_key_config_selectorIj11FixedVectorIiLj8EEEEZZNS1_16scan_by_key_implILNS1_25lookback_scan_determinismE0ELb1ES3_N6thrust23THRUST_200600_302600_NS6detail15normal_iteratorINSB_10device_ptrIjEEEENSD_INSE_IS6_EEEESI_S6_NSB_4plusIvEENSB_8equal_toIvEES6_EE10hipError_tPvRmT2_T3_T4_T5_mT6_T7_P12ihipStream_tbENKUlT_T0_E_clISt17integral_constantIbLb0EES13_EEDaSY_SZ_EUlSY_E_NS1_11comp_targetILNS1_3genE2ELNS1_11target_archE906ELNS1_3gpuE6ELNS1_3repE0EEENS1_30default_config_static_selectorELNS0_4arch9wavefront6targetE1EEEvT1_
                                        ; -- End function
	.section	.AMDGPU.csdata,"",@progbits
; Kernel info:
; codeLenInByte = 0
; NumSgprs: 4
; NumVgprs: 0
; NumAgprs: 0
; TotalNumVgprs: 0
; ScratchSize: 0
; MemoryBound: 0
; FloatMode: 240
; IeeeMode: 1
; LDSByteSize: 0 bytes/workgroup (compile time only)
; SGPRBlocks: 0
; VGPRBlocks: 0
; NumSGPRsForWavesPerEU: 4
; NumVGPRsForWavesPerEU: 1
; AccumOffset: 4
; Occupancy: 8
; WaveLimiterHint : 0
; COMPUTE_PGM_RSRC2:SCRATCH_EN: 0
; COMPUTE_PGM_RSRC2:USER_SGPR: 6
; COMPUTE_PGM_RSRC2:TRAP_HANDLER: 0
; COMPUTE_PGM_RSRC2:TGID_X_EN: 1
; COMPUTE_PGM_RSRC2:TGID_Y_EN: 0
; COMPUTE_PGM_RSRC2:TGID_Z_EN: 0
; COMPUTE_PGM_RSRC2:TIDIG_COMP_CNT: 0
; COMPUTE_PGM_RSRC3_GFX90A:ACCUM_OFFSET: 0
; COMPUTE_PGM_RSRC3_GFX90A:TG_SPLIT: 0
	.section	.text._ZN7rocprim17ROCPRIM_400000_NS6detail17trampoline_kernelINS0_14default_configENS1_27scan_by_key_config_selectorIj11FixedVectorIiLj8EEEEZZNS1_16scan_by_key_implILNS1_25lookback_scan_determinismE0ELb1ES3_N6thrust23THRUST_200600_302600_NS6detail15normal_iteratorINSB_10device_ptrIjEEEENSD_INSE_IS6_EEEESI_S6_NSB_4plusIvEENSB_8equal_toIvEES6_EE10hipError_tPvRmT2_T3_T4_T5_mT6_T7_P12ihipStream_tbENKUlT_T0_E_clISt17integral_constantIbLb0EES13_EEDaSY_SZ_EUlSY_E_NS1_11comp_targetILNS1_3genE10ELNS1_11target_archE1200ELNS1_3gpuE4ELNS1_3repE0EEENS1_30default_config_static_selectorELNS0_4arch9wavefront6targetE1EEEvT1_,"axG",@progbits,_ZN7rocprim17ROCPRIM_400000_NS6detail17trampoline_kernelINS0_14default_configENS1_27scan_by_key_config_selectorIj11FixedVectorIiLj8EEEEZZNS1_16scan_by_key_implILNS1_25lookback_scan_determinismE0ELb1ES3_N6thrust23THRUST_200600_302600_NS6detail15normal_iteratorINSB_10device_ptrIjEEEENSD_INSE_IS6_EEEESI_S6_NSB_4plusIvEENSB_8equal_toIvEES6_EE10hipError_tPvRmT2_T3_T4_T5_mT6_T7_P12ihipStream_tbENKUlT_T0_E_clISt17integral_constantIbLb0EES13_EEDaSY_SZ_EUlSY_E_NS1_11comp_targetILNS1_3genE10ELNS1_11target_archE1200ELNS1_3gpuE4ELNS1_3repE0EEENS1_30default_config_static_selectorELNS0_4arch9wavefront6targetE1EEEvT1_,comdat
	.protected	_ZN7rocprim17ROCPRIM_400000_NS6detail17trampoline_kernelINS0_14default_configENS1_27scan_by_key_config_selectorIj11FixedVectorIiLj8EEEEZZNS1_16scan_by_key_implILNS1_25lookback_scan_determinismE0ELb1ES3_N6thrust23THRUST_200600_302600_NS6detail15normal_iteratorINSB_10device_ptrIjEEEENSD_INSE_IS6_EEEESI_S6_NSB_4plusIvEENSB_8equal_toIvEES6_EE10hipError_tPvRmT2_T3_T4_T5_mT6_T7_P12ihipStream_tbENKUlT_T0_E_clISt17integral_constantIbLb0EES13_EEDaSY_SZ_EUlSY_E_NS1_11comp_targetILNS1_3genE10ELNS1_11target_archE1200ELNS1_3gpuE4ELNS1_3repE0EEENS1_30default_config_static_selectorELNS0_4arch9wavefront6targetE1EEEvT1_ ; -- Begin function _ZN7rocprim17ROCPRIM_400000_NS6detail17trampoline_kernelINS0_14default_configENS1_27scan_by_key_config_selectorIj11FixedVectorIiLj8EEEEZZNS1_16scan_by_key_implILNS1_25lookback_scan_determinismE0ELb1ES3_N6thrust23THRUST_200600_302600_NS6detail15normal_iteratorINSB_10device_ptrIjEEEENSD_INSE_IS6_EEEESI_S6_NSB_4plusIvEENSB_8equal_toIvEES6_EE10hipError_tPvRmT2_T3_T4_T5_mT6_T7_P12ihipStream_tbENKUlT_T0_E_clISt17integral_constantIbLb0EES13_EEDaSY_SZ_EUlSY_E_NS1_11comp_targetILNS1_3genE10ELNS1_11target_archE1200ELNS1_3gpuE4ELNS1_3repE0EEENS1_30default_config_static_selectorELNS0_4arch9wavefront6targetE1EEEvT1_
	.globl	_ZN7rocprim17ROCPRIM_400000_NS6detail17trampoline_kernelINS0_14default_configENS1_27scan_by_key_config_selectorIj11FixedVectorIiLj8EEEEZZNS1_16scan_by_key_implILNS1_25lookback_scan_determinismE0ELb1ES3_N6thrust23THRUST_200600_302600_NS6detail15normal_iteratorINSB_10device_ptrIjEEEENSD_INSE_IS6_EEEESI_S6_NSB_4plusIvEENSB_8equal_toIvEES6_EE10hipError_tPvRmT2_T3_T4_T5_mT6_T7_P12ihipStream_tbENKUlT_T0_E_clISt17integral_constantIbLb0EES13_EEDaSY_SZ_EUlSY_E_NS1_11comp_targetILNS1_3genE10ELNS1_11target_archE1200ELNS1_3gpuE4ELNS1_3repE0EEENS1_30default_config_static_selectorELNS0_4arch9wavefront6targetE1EEEvT1_
	.p2align	8
	.type	_ZN7rocprim17ROCPRIM_400000_NS6detail17trampoline_kernelINS0_14default_configENS1_27scan_by_key_config_selectorIj11FixedVectorIiLj8EEEEZZNS1_16scan_by_key_implILNS1_25lookback_scan_determinismE0ELb1ES3_N6thrust23THRUST_200600_302600_NS6detail15normal_iteratorINSB_10device_ptrIjEEEENSD_INSE_IS6_EEEESI_S6_NSB_4plusIvEENSB_8equal_toIvEES6_EE10hipError_tPvRmT2_T3_T4_T5_mT6_T7_P12ihipStream_tbENKUlT_T0_E_clISt17integral_constantIbLb0EES13_EEDaSY_SZ_EUlSY_E_NS1_11comp_targetILNS1_3genE10ELNS1_11target_archE1200ELNS1_3gpuE4ELNS1_3repE0EEENS1_30default_config_static_selectorELNS0_4arch9wavefront6targetE1EEEvT1_,@function
_ZN7rocprim17ROCPRIM_400000_NS6detail17trampoline_kernelINS0_14default_configENS1_27scan_by_key_config_selectorIj11FixedVectorIiLj8EEEEZZNS1_16scan_by_key_implILNS1_25lookback_scan_determinismE0ELb1ES3_N6thrust23THRUST_200600_302600_NS6detail15normal_iteratorINSB_10device_ptrIjEEEENSD_INSE_IS6_EEEESI_S6_NSB_4plusIvEENSB_8equal_toIvEES6_EE10hipError_tPvRmT2_T3_T4_T5_mT6_T7_P12ihipStream_tbENKUlT_T0_E_clISt17integral_constantIbLb0EES13_EEDaSY_SZ_EUlSY_E_NS1_11comp_targetILNS1_3genE10ELNS1_11target_archE1200ELNS1_3gpuE4ELNS1_3repE0EEENS1_30default_config_static_selectorELNS0_4arch9wavefront6targetE1EEEvT1_: ; @_ZN7rocprim17ROCPRIM_400000_NS6detail17trampoline_kernelINS0_14default_configENS1_27scan_by_key_config_selectorIj11FixedVectorIiLj8EEEEZZNS1_16scan_by_key_implILNS1_25lookback_scan_determinismE0ELb1ES3_N6thrust23THRUST_200600_302600_NS6detail15normal_iteratorINSB_10device_ptrIjEEEENSD_INSE_IS6_EEEESI_S6_NSB_4plusIvEENSB_8equal_toIvEES6_EE10hipError_tPvRmT2_T3_T4_T5_mT6_T7_P12ihipStream_tbENKUlT_T0_E_clISt17integral_constantIbLb0EES13_EEDaSY_SZ_EUlSY_E_NS1_11comp_targetILNS1_3genE10ELNS1_11target_archE1200ELNS1_3gpuE4ELNS1_3repE0EEENS1_30default_config_static_selectorELNS0_4arch9wavefront6targetE1EEEvT1_
; %bb.0:
	.section	.rodata,"a",@progbits
	.p2align	6, 0x0
	.amdhsa_kernel _ZN7rocprim17ROCPRIM_400000_NS6detail17trampoline_kernelINS0_14default_configENS1_27scan_by_key_config_selectorIj11FixedVectorIiLj8EEEEZZNS1_16scan_by_key_implILNS1_25lookback_scan_determinismE0ELb1ES3_N6thrust23THRUST_200600_302600_NS6detail15normal_iteratorINSB_10device_ptrIjEEEENSD_INSE_IS6_EEEESI_S6_NSB_4plusIvEENSB_8equal_toIvEES6_EE10hipError_tPvRmT2_T3_T4_T5_mT6_T7_P12ihipStream_tbENKUlT_T0_E_clISt17integral_constantIbLb0EES13_EEDaSY_SZ_EUlSY_E_NS1_11comp_targetILNS1_3genE10ELNS1_11target_archE1200ELNS1_3gpuE4ELNS1_3repE0EEENS1_30default_config_static_selectorELNS0_4arch9wavefront6targetE1EEEvT1_
		.amdhsa_group_segment_fixed_size 0
		.amdhsa_private_segment_fixed_size 0
		.amdhsa_kernarg_size 160
		.amdhsa_user_sgpr_count 6
		.amdhsa_user_sgpr_private_segment_buffer 1
		.amdhsa_user_sgpr_dispatch_ptr 0
		.amdhsa_user_sgpr_queue_ptr 0
		.amdhsa_user_sgpr_kernarg_segment_ptr 1
		.amdhsa_user_sgpr_dispatch_id 0
		.amdhsa_user_sgpr_flat_scratch_init 0
		.amdhsa_user_sgpr_kernarg_preload_length 0
		.amdhsa_user_sgpr_kernarg_preload_offset 0
		.amdhsa_user_sgpr_private_segment_size 0
		.amdhsa_uses_dynamic_stack 0
		.amdhsa_system_sgpr_private_segment_wavefront_offset 0
		.amdhsa_system_sgpr_workgroup_id_x 1
		.amdhsa_system_sgpr_workgroup_id_y 0
		.amdhsa_system_sgpr_workgroup_id_z 0
		.amdhsa_system_sgpr_workgroup_info 0
		.amdhsa_system_vgpr_workitem_id 0
		.amdhsa_next_free_vgpr 1
		.amdhsa_next_free_sgpr 0
		.amdhsa_accum_offset 4
		.amdhsa_reserve_vcc 0
		.amdhsa_reserve_flat_scratch 0
		.amdhsa_float_round_mode_32 0
		.amdhsa_float_round_mode_16_64 0
		.amdhsa_float_denorm_mode_32 3
		.amdhsa_float_denorm_mode_16_64 3
		.amdhsa_dx10_clamp 1
		.amdhsa_ieee_mode 1
		.amdhsa_fp16_overflow 0
		.amdhsa_tg_split 0
		.amdhsa_exception_fp_ieee_invalid_op 0
		.amdhsa_exception_fp_denorm_src 0
		.amdhsa_exception_fp_ieee_div_zero 0
		.amdhsa_exception_fp_ieee_overflow 0
		.amdhsa_exception_fp_ieee_underflow 0
		.amdhsa_exception_fp_ieee_inexact 0
		.amdhsa_exception_int_div_zero 0
	.end_amdhsa_kernel
	.section	.text._ZN7rocprim17ROCPRIM_400000_NS6detail17trampoline_kernelINS0_14default_configENS1_27scan_by_key_config_selectorIj11FixedVectorIiLj8EEEEZZNS1_16scan_by_key_implILNS1_25lookback_scan_determinismE0ELb1ES3_N6thrust23THRUST_200600_302600_NS6detail15normal_iteratorINSB_10device_ptrIjEEEENSD_INSE_IS6_EEEESI_S6_NSB_4plusIvEENSB_8equal_toIvEES6_EE10hipError_tPvRmT2_T3_T4_T5_mT6_T7_P12ihipStream_tbENKUlT_T0_E_clISt17integral_constantIbLb0EES13_EEDaSY_SZ_EUlSY_E_NS1_11comp_targetILNS1_3genE10ELNS1_11target_archE1200ELNS1_3gpuE4ELNS1_3repE0EEENS1_30default_config_static_selectorELNS0_4arch9wavefront6targetE1EEEvT1_,"axG",@progbits,_ZN7rocprim17ROCPRIM_400000_NS6detail17trampoline_kernelINS0_14default_configENS1_27scan_by_key_config_selectorIj11FixedVectorIiLj8EEEEZZNS1_16scan_by_key_implILNS1_25lookback_scan_determinismE0ELb1ES3_N6thrust23THRUST_200600_302600_NS6detail15normal_iteratorINSB_10device_ptrIjEEEENSD_INSE_IS6_EEEESI_S6_NSB_4plusIvEENSB_8equal_toIvEES6_EE10hipError_tPvRmT2_T3_T4_T5_mT6_T7_P12ihipStream_tbENKUlT_T0_E_clISt17integral_constantIbLb0EES13_EEDaSY_SZ_EUlSY_E_NS1_11comp_targetILNS1_3genE10ELNS1_11target_archE1200ELNS1_3gpuE4ELNS1_3repE0EEENS1_30default_config_static_selectorELNS0_4arch9wavefront6targetE1EEEvT1_,comdat
.Lfunc_end2163:
	.size	_ZN7rocprim17ROCPRIM_400000_NS6detail17trampoline_kernelINS0_14default_configENS1_27scan_by_key_config_selectorIj11FixedVectorIiLj8EEEEZZNS1_16scan_by_key_implILNS1_25lookback_scan_determinismE0ELb1ES3_N6thrust23THRUST_200600_302600_NS6detail15normal_iteratorINSB_10device_ptrIjEEEENSD_INSE_IS6_EEEESI_S6_NSB_4plusIvEENSB_8equal_toIvEES6_EE10hipError_tPvRmT2_T3_T4_T5_mT6_T7_P12ihipStream_tbENKUlT_T0_E_clISt17integral_constantIbLb0EES13_EEDaSY_SZ_EUlSY_E_NS1_11comp_targetILNS1_3genE10ELNS1_11target_archE1200ELNS1_3gpuE4ELNS1_3repE0EEENS1_30default_config_static_selectorELNS0_4arch9wavefront6targetE1EEEvT1_, .Lfunc_end2163-_ZN7rocprim17ROCPRIM_400000_NS6detail17trampoline_kernelINS0_14default_configENS1_27scan_by_key_config_selectorIj11FixedVectorIiLj8EEEEZZNS1_16scan_by_key_implILNS1_25lookback_scan_determinismE0ELb1ES3_N6thrust23THRUST_200600_302600_NS6detail15normal_iteratorINSB_10device_ptrIjEEEENSD_INSE_IS6_EEEESI_S6_NSB_4plusIvEENSB_8equal_toIvEES6_EE10hipError_tPvRmT2_T3_T4_T5_mT6_T7_P12ihipStream_tbENKUlT_T0_E_clISt17integral_constantIbLb0EES13_EEDaSY_SZ_EUlSY_E_NS1_11comp_targetILNS1_3genE10ELNS1_11target_archE1200ELNS1_3gpuE4ELNS1_3repE0EEENS1_30default_config_static_selectorELNS0_4arch9wavefront6targetE1EEEvT1_
                                        ; -- End function
	.section	.AMDGPU.csdata,"",@progbits
; Kernel info:
; codeLenInByte = 0
; NumSgprs: 4
; NumVgprs: 0
; NumAgprs: 0
; TotalNumVgprs: 0
; ScratchSize: 0
; MemoryBound: 0
; FloatMode: 240
; IeeeMode: 1
; LDSByteSize: 0 bytes/workgroup (compile time only)
; SGPRBlocks: 0
; VGPRBlocks: 0
; NumSGPRsForWavesPerEU: 4
; NumVGPRsForWavesPerEU: 1
; AccumOffset: 4
; Occupancy: 8
; WaveLimiterHint : 0
; COMPUTE_PGM_RSRC2:SCRATCH_EN: 0
; COMPUTE_PGM_RSRC2:USER_SGPR: 6
; COMPUTE_PGM_RSRC2:TRAP_HANDLER: 0
; COMPUTE_PGM_RSRC2:TGID_X_EN: 1
; COMPUTE_PGM_RSRC2:TGID_Y_EN: 0
; COMPUTE_PGM_RSRC2:TGID_Z_EN: 0
; COMPUTE_PGM_RSRC2:TIDIG_COMP_CNT: 0
; COMPUTE_PGM_RSRC3_GFX90A:ACCUM_OFFSET: 0
; COMPUTE_PGM_RSRC3_GFX90A:TG_SPLIT: 0
	.section	.text._ZN7rocprim17ROCPRIM_400000_NS6detail17trampoline_kernelINS0_14default_configENS1_27scan_by_key_config_selectorIj11FixedVectorIiLj8EEEEZZNS1_16scan_by_key_implILNS1_25lookback_scan_determinismE0ELb1ES3_N6thrust23THRUST_200600_302600_NS6detail15normal_iteratorINSB_10device_ptrIjEEEENSD_INSE_IS6_EEEESI_S6_NSB_4plusIvEENSB_8equal_toIvEES6_EE10hipError_tPvRmT2_T3_T4_T5_mT6_T7_P12ihipStream_tbENKUlT_T0_E_clISt17integral_constantIbLb0EES13_EEDaSY_SZ_EUlSY_E_NS1_11comp_targetILNS1_3genE9ELNS1_11target_archE1100ELNS1_3gpuE3ELNS1_3repE0EEENS1_30default_config_static_selectorELNS0_4arch9wavefront6targetE1EEEvT1_,"axG",@progbits,_ZN7rocprim17ROCPRIM_400000_NS6detail17trampoline_kernelINS0_14default_configENS1_27scan_by_key_config_selectorIj11FixedVectorIiLj8EEEEZZNS1_16scan_by_key_implILNS1_25lookback_scan_determinismE0ELb1ES3_N6thrust23THRUST_200600_302600_NS6detail15normal_iteratorINSB_10device_ptrIjEEEENSD_INSE_IS6_EEEESI_S6_NSB_4plusIvEENSB_8equal_toIvEES6_EE10hipError_tPvRmT2_T3_T4_T5_mT6_T7_P12ihipStream_tbENKUlT_T0_E_clISt17integral_constantIbLb0EES13_EEDaSY_SZ_EUlSY_E_NS1_11comp_targetILNS1_3genE9ELNS1_11target_archE1100ELNS1_3gpuE3ELNS1_3repE0EEENS1_30default_config_static_selectorELNS0_4arch9wavefront6targetE1EEEvT1_,comdat
	.protected	_ZN7rocprim17ROCPRIM_400000_NS6detail17trampoline_kernelINS0_14default_configENS1_27scan_by_key_config_selectorIj11FixedVectorIiLj8EEEEZZNS1_16scan_by_key_implILNS1_25lookback_scan_determinismE0ELb1ES3_N6thrust23THRUST_200600_302600_NS6detail15normal_iteratorINSB_10device_ptrIjEEEENSD_INSE_IS6_EEEESI_S6_NSB_4plusIvEENSB_8equal_toIvEES6_EE10hipError_tPvRmT2_T3_T4_T5_mT6_T7_P12ihipStream_tbENKUlT_T0_E_clISt17integral_constantIbLb0EES13_EEDaSY_SZ_EUlSY_E_NS1_11comp_targetILNS1_3genE9ELNS1_11target_archE1100ELNS1_3gpuE3ELNS1_3repE0EEENS1_30default_config_static_selectorELNS0_4arch9wavefront6targetE1EEEvT1_ ; -- Begin function _ZN7rocprim17ROCPRIM_400000_NS6detail17trampoline_kernelINS0_14default_configENS1_27scan_by_key_config_selectorIj11FixedVectorIiLj8EEEEZZNS1_16scan_by_key_implILNS1_25lookback_scan_determinismE0ELb1ES3_N6thrust23THRUST_200600_302600_NS6detail15normal_iteratorINSB_10device_ptrIjEEEENSD_INSE_IS6_EEEESI_S6_NSB_4plusIvEENSB_8equal_toIvEES6_EE10hipError_tPvRmT2_T3_T4_T5_mT6_T7_P12ihipStream_tbENKUlT_T0_E_clISt17integral_constantIbLb0EES13_EEDaSY_SZ_EUlSY_E_NS1_11comp_targetILNS1_3genE9ELNS1_11target_archE1100ELNS1_3gpuE3ELNS1_3repE0EEENS1_30default_config_static_selectorELNS0_4arch9wavefront6targetE1EEEvT1_
	.globl	_ZN7rocprim17ROCPRIM_400000_NS6detail17trampoline_kernelINS0_14default_configENS1_27scan_by_key_config_selectorIj11FixedVectorIiLj8EEEEZZNS1_16scan_by_key_implILNS1_25lookback_scan_determinismE0ELb1ES3_N6thrust23THRUST_200600_302600_NS6detail15normal_iteratorINSB_10device_ptrIjEEEENSD_INSE_IS6_EEEESI_S6_NSB_4plusIvEENSB_8equal_toIvEES6_EE10hipError_tPvRmT2_T3_T4_T5_mT6_T7_P12ihipStream_tbENKUlT_T0_E_clISt17integral_constantIbLb0EES13_EEDaSY_SZ_EUlSY_E_NS1_11comp_targetILNS1_3genE9ELNS1_11target_archE1100ELNS1_3gpuE3ELNS1_3repE0EEENS1_30default_config_static_selectorELNS0_4arch9wavefront6targetE1EEEvT1_
	.p2align	8
	.type	_ZN7rocprim17ROCPRIM_400000_NS6detail17trampoline_kernelINS0_14default_configENS1_27scan_by_key_config_selectorIj11FixedVectorIiLj8EEEEZZNS1_16scan_by_key_implILNS1_25lookback_scan_determinismE0ELb1ES3_N6thrust23THRUST_200600_302600_NS6detail15normal_iteratorINSB_10device_ptrIjEEEENSD_INSE_IS6_EEEESI_S6_NSB_4plusIvEENSB_8equal_toIvEES6_EE10hipError_tPvRmT2_T3_T4_T5_mT6_T7_P12ihipStream_tbENKUlT_T0_E_clISt17integral_constantIbLb0EES13_EEDaSY_SZ_EUlSY_E_NS1_11comp_targetILNS1_3genE9ELNS1_11target_archE1100ELNS1_3gpuE3ELNS1_3repE0EEENS1_30default_config_static_selectorELNS0_4arch9wavefront6targetE1EEEvT1_,@function
_ZN7rocprim17ROCPRIM_400000_NS6detail17trampoline_kernelINS0_14default_configENS1_27scan_by_key_config_selectorIj11FixedVectorIiLj8EEEEZZNS1_16scan_by_key_implILNS1_25lookback_scan_determinismE0ELb1ES3_N6thrust23THRUST_200600_302600_NS6detail15normal_iteratorINSB_10device_ptrIjEEEENSD_INSE_IS6_EEEESI_S6_NSB_4plusIvEENSB_8equal_toIvEES6_EE10hipError_tPvRmT2_T3_T4_T5_mT6_T7_P12ihipStream_tbENKUlT_T0_E_clISt17integral_constantIbLb0EES13_EEDaSY_SZ_EUlSY_E_NS1_11comp_targetILNS1_3genE9ELNS1_11target_archE1100ELNS1_3gpuE3ELNS1_3repE0EEENS1_30default_config_static_selectorELNS0_4arch9wavefront6targetE1EEEvT1_: ; @_ZN7rocprim17ROCPRIM_400000_NS6detail17trampoline_kernelINS0_14default_configENS1_27scan_by_key_config_selectorIj11FixedVectorIiLj8EEEEZZNS1_16scan_by_key_implILNS1_25lookback_scan_determinismE0ELb1ES3_N6thrust23THRUST_200600_302600_NS6detail15normal_iteratorINSB_10device_ptrIjEEEENSD_INSE_IS6_EEEESI_S6_NSB_4plusIvEENSB_8equal_toIvEES6_EE10hipError_tPvRmT2_T3_T4_T5_mT6_T7_P12ihipStream_tbENKUlT_T0_E_clISt17integral_constantIbLb0EES13_EEDaSY_SZ_EUlSY_E_NS1_11comp_targetILNS1_3genE9ELNS1_11target_archE1100ELNS1_3gpuE3ELNS1_3repE0EEENS1_30default_config_static_selectorELNS0_4arch9wavefront6targetE1EEEvT1_
; %bb.0:
	.section	.rodata,"a",@progbits
	.p2align	6, 0x0
	.amdhsa_kernel _ZN7rocprim17ROCPRIM_400000_NS6detail17trampoline_kernelINS0_14default_configENS1_27scan_by_key_config_selectorIj11FixedVectorIiLj8EEEEZZNS1_16scan_by_key_implILNS1_25lookback_scan_determinismE0ELb1ES3_N6thrust23THRUST_200600_302600_NS6detail15normal_iteratorINSB_10device_ptrIjEEEENSD_INSE_IS6_EEEESI_S6_NSB_4plusIvEENSB_8equal_toIvEES6_EE10hipError_tPvRmT2_T3_T4_T5_mT6_T7_P12ihipStream_tbENKUlT_T0_E_clISt17integral_constantIbLb0EES13_EEDaSY_SZ_EUlSY_E_NS1_11comp_targetILNS1_3genE9ELNS1_11target_archE1100ELNS1_3gpuE3ELNS1_3repE0EEENS1_30default_config_static_selectorELNS0_4arch9wavefront6targetE1EEEvT1_
		.amdhsa_group_segment_fixed_size 0
		.amdhsa_private_segment_fixed_size 0
		.amdhsa_kernarg_size 160
		.amdhsa_user_sgpr_count 6
		.amdhsa_user_sgpr_private_segment_buffer 1
		.amdhsa_user_sgpr_dispatch_ptr 0
		.amdhsa_user_sgpr_queue_ptr 0
		.amdhsa_user_sgpr_kernarg_segment_ptr 1
		.amdhsa_user_sgpr_dispatch_id 0
		.amdhsa_user_sgpr_flat_scratch_init 0
		.amdhsa_user_sgpr_kernarg_preload_length 0
		.amdhsa_user_sgpr_kernarg_preload_offset 0
		.amdhsa_user_sgpr_private_segment_size 0
		.amdhsa_uses_dynamic_stack 0
		.amdhsa_system_sgpr_private_segment_wavefront_offset 0
		.amdhsa_system_sgpr_workgroup_id_x 1
		.amdhsa_system_sgpr_workgroup_id_y 0
		.amdhsa_system_sgpr_workgroup_id_z 0
		.amdhsa_system_sgpr_workgroup_info 0
		.amdhsa_system_vgpr_workitem_id 0
		.amdhsa_next_free_vgpr 1
		.amdhsa_next_free_sgpr 0
		.amdhsa_accum_offset 4
		.amdhsa_reserve_vcc 0
		.amdhsa_reserve_flat_scratch 0
		.amdhsa_float_round_mode_32 0
		.amdhsa_float_round_mode_16_64 0
		.amdhsa_float_denorm_mode_32 3
		.amdhsa_float_denorm_mode_16_64 3
		.amdhsa_dx10_clamp 1
		.amdhsa_ieee_mode 1
		.amdhsa_fp16_overflow 0
		.amdhsa_tg_split 0
		.amdhsa_exception_fp_ieee_invalid_op 0
		.amdhsa_exception_fp_denorm_src 0
		.amdhsa_exception_fp_ieee_div_zero 0
		.amdhsa_exception_fp_ieee_overflow 0
		.amdhsa_exception_fp_ieee_underflow 0
		.amdhsa_exception_fp_ieee_inexact 0
		.amdhsa_exception_int_div_zero 0
	.end_amdhsa_kernel
	.section	.text._ZN7rocprim17ROCPRIM_400000_NS6detail17trampoline_kernelINS0_14default_configENS1_27scan_by_key_config_selectorIj11FixedVectorIiLj8EEEEZZNS1_16scan_by_key_implILNS1_25lookback_scan_determinismE0ELb1ES3_N6thrust23THRUST_200600_302600_NS6detail15normal_iteratorINSB_10device_ptrIjEEEENSD_INSE_IS6_EEEESI_S6_NSB_4plusIvEENSB_8equal_toIvEES6_EE10hipError_tPvRmT2_T3_T4_T5_mT6_T7_P12ihipStream_tbENKUlT_T0_E_clISt17integral_constantIbLb0EES13_EEDaSY_SZ_EUlSY_E_NS1_11comp_targetILNS1_3genE9ELNS1_11target_archE1100ELNS1_3gpuE3ELNS1_3repE0EEENS1_30default_config_static_selectorELNS0_4arch9wavefront6targetE1EEEvT1_,"axG",@progbits,_ZN7rocprim17ROCPRIM_400000_NS6detail17trampoline_kernelINS0_14default_configENS1_27scan_by_key_config_selectorIj11FixedVectorIiLj8EEEEZZNS1_16scan_by_key_implILNS1_25lookback_scan_determinismE0ELb1ES3_N6thrust23THRUST_200600_302600_NS6detail15normal_iteratorINSB_10device_ptrIjEEEENSD_INSE_IS6_EEEESI_S6_NSB_4plusIvEENSB_8equal_toIvEES6_EE10hipError_tPvRmT2_T3_T4_T5_mT6_T7_P12ihipStream_tbENKUlT_T0_E_clISt17integral_constantIbLb0EES13_EEDaSY_SZ_EUlSY_E_NS1_11comp_targetILNS1_3genE9ELNS1_11target_archE1100ELNS1_3gpuE3ELNS1_3repE0EEENS1_30default_config_static_selectorELNS0_4arch9wavefront6targetE1EEEvT1_,comdat
.Lfunc_end2164:
	.size	_ZN7rocprim17ROCPRIM_400000_NS6detail17trampoline_kernelINS0_14default_configENS1_27scan_by_key_config_selectorIj11FixedVectorIiLj8EEEEZZNS1_16scan_by_key_implILNS1_25lookback_scan_determinismE0ELb1ES3_N6thrust23THRUST_200600_302600_NS6detail15normal_iteratorINSB_10device_ptrIjEEEENSD_INSE_IS6_EEEESI_S6_NSB_4plusIvEENSB_8equal_toIvEES6_EE10hipError_tPvRmT2_T3_T4_T5_mT6_T7_P12ihipStream_tbENKUlT_T0_E_clISt17integral_constantIbLb0EES13_EEDaSY_SZ_EUlSY_E_NS1_11comp_targetILNS1_3genE9ELNS1_11target_archE1100ELNS1_3gpuE3ELNS1_3repE0EEENS1_30default_config_static_selectorELNS0_4arch9wavefront6targetE1EEEvT1_, .Lfunc_end2164-_ZN7rocprim17ROCPRIM_400000_NS6detail17trampoline_kernelINS0_14default_configENS1_27scan_by_key_config_selectorIj11FixedVectorIiLj8EEEEZZNS1_16scan_by_key_implILNS1_25lookback_scan_determinismE0ELb1ES3_N6thrust23THRUST_200600_302600_NS6detail15normal_iteratorINSB_10device_ptrIjEEEENSD_INSE_IS6_EEEESI_S6_NSB_4plusIvEENSB_8equal_toIvEES6_EE10hipError_tPvRmT2_T3_T4_T5_mT6_T7_P12ihipStream_tbENKUlT_T0_E_clISt17integral_constantIbLb0EES13_EEDaSY_SZ_EUlSY_E_NS1_11comp_targetILNS1_3genE9ELNS1_11target_archE1100ELNS1_3gpuE3ELNS1_3repE0EEENS1_30default_config_static_selectorELNS0_4arch9wavefront6targetE1EEEvT1_
                                        ; -- End function
	.section	.AMDGPU.csdata,"",@progbits
; Kernel info:
; codeLenInByte = 0
; NumSgprs: 4
; NumVgprs: 0
; NumAgprs: 0
; TotalNumVgprs: 0
; ScratchSize: 0
; MemoryBound: 0
; FloatMode: 240
; IeeeMode: 1
; LDSByteSize: 0 bytes/workgroup (compile time only)
; SGPRBlocks: 0
; VGPRBlocks: 0
; NumSGPRsForWavesPerEU: 4
; NumVGPRsForWavesPerEU: 1
; AccumOffset: 4
; Occupancy: 8
; WaveLimiterHint : 0
; COMPUTE_PGM_RSRC2:SCRATCH_EN: 0
; COMPUTE_PGM_RSRC2:USER_SGPR: 6
; COMPUTE_PGM_RSRC2:TRAP_HANDLER: 0
; COMPUTE_PGM_RSRC2:TGID_X_EN: 1
; COMPUTE_PGM_RSRC2:TGID_Y_EN: 0
; COMPUTE_PGM_RSRC2:TGID_Z_EN: 0
; COMPUTE_PGM_RSRC2:TIDIG_COMP_CNT: 0
; COMPUTE_PGM_RSRC3_GFX90A:ACCUM_OFFSET: 0
; COMPUTE_PGM_RSRC3_GFX90A:TG_SPLIT: 0
	.section	.text._ZN7rocprim17ROCPRIM_400000_NS6detail17trampoline_kernelINS0_14default_configENS1_27scan_by_key_config_selectorIj11FixedVectorIiLj8EEEEZZNS1_16scan_by_key_implILNS1_25lookback_scan_determinismE0ELb1ES3_N6thrust23THRUST_200600_302600_NS6detail15normal_iteratorINSB_10device_ptrIjEEEENSD_INSE_IS6_EEEESI_S6_NSB_4plusIvEENSB_8equal_toIvEES6_EE10hipError_tPvRmT2_T3_T4_T5_mT6_T7_P12ihipStream_tbENKUlT_T0_E_clISt17integral_constantIbLb0EES13_EEDaSY_SZ_EUlSY_E_NS1_11comp_targetILNS1_3genE8ELNS1_11target_archE1030ELNS1_3gpuE2ELNS1_3repE0EEENS1_30default_config_static_selectorELNS0_4arch9wavefront6targetE1EEEvT1_,"axG",@progbits,_ZN7rocprim17ROCPRIM_400000_NS6detail17trampoline_kernelINS0_14default_configENS1_27scan_by_key_config_selectorIj11FixedVectorIiLj8EEEEZZNS1_16scan_by_key_implILNS1_25lookback_scan_determinismE0ELb1ES3_N6thrust23THRUST_200600_302600_NS6detail15normal_iteratorINSB_10device_ptrIjEEEENSD_INSE_IS6_EEEESI_S6_NSB_4plusIvEENSB_8equal_toIvEES6_EE10hipError_tPvRmT2_T3_T4_T5_mT6_T7_P12ihipStream_tbENKUlT_T0_E_clISt17integral_constantIbLb0EES13_EEDaSY_SZ_EUlSY_E_NS1_11comp_targetILNS1_3genE8ELNS1_11target_archE1030ELNS1_3gpuE2ELNS1_3repE0EEENS1_30default_config_static_selectorELNS0_4arch9wavefront6targetE1EEEvT1_,comdat
	.protected	_ZN7rocprim17ROCPRIM_400000_NS6detail17trampoline_kernelINS0_14default_configENS1_27scan_by_key_config_selectorIj11FixedVectorIiLj8EEEEZZNS1_16scan_by_key_implILNS1_25lookback_scan_determinismE0ELb1ES3_N6thrust23THRUST_200600_302600_NS6detail15normal_iteratorINSB_10device_ptrIjEEEENSD_INSE_IS6_EEEESI_S6_NSB_4plusIvEENSB_8equal_toIvEES6_EE10hipError_tPvRmT2_T3_T4_T5_mT6_T7_P12ihipStream_tbENKUlT_T0_E_clISt17integral_constantIbLb0EES13_EEDaSY_SZ_EUlSY_E_NS1_11comp_targetILNS1_3genE8ELNS1_11target_archE1030ELNS1_3gpuE2ELNS1_3repE0EEENS1_30default_config_static_selectorELNS0_4arch9wavefront6targetE1EEEvT1_ ; -- Begin function _ZN7rocprim17ROCPRIM_400000_NS6detail17trampoline_kernelINS0_14default_configENS1_27scan_by_key_config_selectorIj11FixedVectorIiLj8EEEEZZNS1_16scan_by_key_implILNS1_25lookback_scan_determinismE0ELb1ES3_N6thrust23THRUST_200600_302600_NS6detail15normal_iteratorINSB_10device_ptrIjEEEENSD_INSE_IS6_EEEESI_S6_NSB_4plusIvEENSB_8equal_toIvEES6_EE10hipError_tPvRmT2_T3_T4_T5_mT6_T7_P12ihipStream_tbENKUlT_T0_E_clISt17integral_constantIbLb0EES13_EEDaSY_SZ_EUlSY_E_NS1_11comp_targetILNS1_3genE8ELNS1_11target_archE1030ELNS1_3gpuE2ELNS1_3repE0EEENS1_30default_config_static_selectorELNS0_4arch9wavefront6targetE1EEEvT1_
	.globl	_ZN7rocprim17ROCPRIM_400000_NS6detail17trampoline_kernelINS0_14default_configENS1_27scan_by_key_config_selectorIj11FixedVectorIiLj8EEEEZZNS1_16scan_by_key_implILNS1_25lookback_scan_determinismE0ELb1ES3_N6thrust23THRUST_200600_302600_NS6detail15normal_iteratorINSB_10device_ptrIjEEEENSD_INSE_IS6_EEEESI_S6_NSB_4plusIvEENSB_8equal_toIvEES6_EE10hipError_tPvRmT2_T3_T4_T5_mT6_T7_P12ihipStream_tbENKUlT_T0_E_clISt17integral_constantIbLb0EES13_EEDaSY_SZ_EUlSY_E_NS1_11comp_targetILNS1_3genE8ELNS1_11target_archE1030ELNS1_3gpuE2ELNS1_3repE0EEENS1_30default_config_static_selectorELNS0_4arch9wavefront6targetE1EEEvT1_
	.p2align	8
	.type	_ZN7rocprim17ROCPRIM_400000_NS6detail17trampoline_kernelINS0_14default_configENS1_27scan_by_key_config_selectorIj11FixedVectorIiLj8EEEEZZNS1_16scan_by_key_implILNS1_25lookback_scan_determinismE0ELb1ES3_N6thrust23THRUST_200600_302600_NS6detail15normal_iteratorINSB_10device_ptrIjEEEENSD_INSE_IS6_EEEESI_S6_NSB_4plusIvEENSB_8equal_toIvEES6_EE10hipError_tPvRmT2_T3_T4_T5_mT6_T7_P12ihipStream_tbENKUlT_T0_E_clISt17integral_constantIbLb0EES13_EEDaSY_SZ_EUlSY_E_NS1_11comp_targetILNS1_3genE8ELNS1_11target_archE1030ELNS1_3gpuE2ELNS1_3repE0EEENS1_30default_config_static_selectorELNS0_4arch9wavefront6targetE1EEEvT1_,@function
_ZN7rocprim17ROCPRIM_400000_NS6detail17trampoline_kernelINS0_14default_configENS1_27scan_by_key_config_selectorIj11FixedVectorIiLj8EEEEZZNS1_16scan_by_key_implILNS1_25lookback_scan_determinismE0ELb1ES3_N6thrust23THRUST_200600_302600_NS6detail15normal_iteratorINSB_10device_ptrIjEEEENSD_INSE_IS6_EEEESI_S6_NSB_4plusIvEENSB_8equal_toIvEES6_EE10hipError_tPvRmT2_T3_T4_T5_mT6_T7_P12ihipStream_tbENKUlT_T0_E_clISt17integral_constantIbLb0EES13_EEDaSY_SZ_EUlSY_E_NS1_11comp_targetILNS1_3genE8ELNS1_11target_archE1030ELNS1_3gpuE2ELNS1_3repE0EEENS1_30default_config_static_selectorELNS0_4arch9wavefront6targetE1EEEvT1_: ; @_ZN7rocprim17ROCPRIM_400000_NS6detail17trampoline_kernelINS0_14default_configENS1_27scan_by_key_config_selectorIj11FixedVectorIiLj8EEEEZZNS1_16scan_by_key_implILNS1_25lookback_scan_determinismE0ELb1ES3_N6thrust23THRUST_200600_302600_NS6detail15normal_iteratorINSB_10device_ptrIjEEEENSD_INSE_IS6_EEEESI_S6_NSB_4plusIvEENSB_8equal_toIvEES6_EE10hipError_tPvRmT2_T3_T4_T5_mT6_T7_P12ihipStream_tbENKUlT_T0_E_clISt17integral_constantIbLb0EES13_EEDaSY_SZ_EUlSY_E_NS1_11comp_targetILNS1_3genE8ELNS1_11target_archE1030ELNS1_3gpuE2ELNS1_3repE0EEENS1_30default_config_static_selectorELNS0_4arch9wavefront6targetE1EEEvT1_
; %bb.0:
	.section	.rodata,"a",@progbits
	.p2align	6, 0x0
	.amdhsa_kernel _ZN7rocprim17ROCPRIM_400000_NS6detail17trampoline_kernelINS0_14default_configENS1_27scan_by_key_config_selectorIj11FixedVectorIiLj8EEEEZZNS1_16scan_by_key_implILNS1_25lookback_scan_determinismE0ELb1ES3_N6thrust23THRUST_200600_302600_NS6detail15normal_iteratorINSB_10device_ptrIjEEEENSD_INSE_IS6_EEEESI_S6_NSB_4plusIvEENSB_8equal_toIvEES6_EE10hipError_tPvRmT2_T3_T4_T5_mT6_T7_P12ihipStream_tbENKUlT_T0_E_clISt17integral_constantIbLb0EES13_EEDaSY_SZ_EUlSY_E_NS1_11comp_targetILNS1_3genE8ELNS1_11target_archE1030ELNS1_3gpuE2ELNS1_3repE0EEENS1_30default_config_static_selectorELNS0_4arch9wavefront6targetE1EEEvT1_
		.amdhsa_group_segment_fixed_size 0
		.amdhsa_private_segment_fixed_size 0
		.amdhsa_kernarg_size 160
		.amdhsa_user_sgpr_count 6
		.amdhsa_user_sgpr_private_segment_buffer 1
		.amdhsa_user_sgpr_dispatch_ptr 0
		.amdhsa_user_sgpr_queue_ptr 0
		.amdhsa_user_sgpr_kernarg_segment_ptr 1
		.amdhsa_user_sgpr_dispatch_id 0
		.amdhsa_user_sgpr_flat_scratch_init 0
		.amdhsa_user_sgpr_kernarg_preload_length 0
		.amdhsa_user_sgpr_kernarg_preload_offset 0
		.amdhsa_user_sgpr_private_segment_size 0
		.amdhsa_uses_dynamic_stack 0
		.amdhsa_system_sgpr_private_segment_wavefront_offset 0
		.amdhsa_system_sgpr_workgroup_id_x 1
		.amdhsa_system_sgpr_workgroup_id_y 0
		.amdhsa_system_sgpr_workgroup_id_z 0
		.amdhsa_system_sgpr_workgroup_info 0
		.amdhsa_system_vgpr_workitem_id 0
		.amdhsa_next_free_vgpr 1
		.amdhsa_next_free_sgpr 0
		.amdhsa_accum_offset 4
		.amdhsa_reserve_vcc 0
		.amdhsa_reserve_flat_scratch 0
		.amdhsa_float_round_mode_32 0
		.amdhsa_float_round_mode_16_64 0
		.amdhsa_float_denorm_mode_32 3
		.amdhsa_float_denorm_mode_16_64 3
		.amdhsa_dx10_clamp 1
		.amdhsa_ieee_mode 1
		.amdhsa_fp16_overflow 0
		.amdhsa_tg_split 0
		.amdhsa_exception_fp_ieee_invalid_op 0
		.amdhsa_exception_fp_denorm_src 0
		.amdhsa_exception_fp_ieee_div_zero 0
		.amdhsa_exception_fp_ieee_overflow 0
		.amdhsa_exception_fp_ieee_underflow 0
		.amdhsa_exception_fp_ieee_inexact 0
		.amdhsa_exception_int_div_zero 0
	.end_amdhsa_kernel
	.section	.text._ZN7rocprim17ROCPRIM_400000_NS6detail17trampoline_kernelINS0_14default_configENS1_27scan_by_key_config_selectorIj11FixedVectorIiLj8EEEEZZNS1_16scan_by_key_implILNS1_25lookback_scan_determinismE0ELb1ES3_N6thrust23THRUST_200600_302600_NS6detail15normal_iteratorINSB_10device_ptrIjEEEENSD_INSE_IS6_EEEESI_S6_NSB_4plusIvEENSB_8equal_toIvEES6_EE10hipError_tPvRmT2_T3_T4_T5_mT6_T7_P12ihipStream_tbENKUlT_T0_E_clISt17integral_constantIbLb0EES13_EEDaSY_SZ_EUlSY_E_NS1_11comp_targetILNS1_3genE8ELNS1_11target_archE1030ELNS1_3gpuE2ELNS1_3repE0EEENS1_30default_config_static_selectorELNS0_4arch9wavefront6targetE1EEEvT1_,"axG",@progbits,_ZN7rocprim17ROCPRIM_400000_NS6detail17trampoline_kernelINS0_14default_configENS1_27scan_by_key_config_selectorIj11FixedVectorIiLj8EEEEZZNS1_16scan_by_key_implILNS1_25lookback_scan_determinismE0ELb1ES3_N6thrust23THRUST_200600_302600_NS6detail15normal_iteratorINSB_10device_ptrIjEEEENSD_INSE_IS6_EEEESI_S6_NSB_4plusIvEENSB_8equal_toIvEES6_EE10hipError_tPvRmT2_T3_T4_T5_mT6_T7_P12ihipStream_tbENKUlT_T0_E_clISt17integral_constantIbLb0EES13_EEDaSY_SZ_EUlSY_E_NS1_11comp_targetILNS1_3genE8ELNS1_11target_archE1030ELNS1_3gpuE2ELNS1_3repE0EEENS1_30default_config_static_selectorELNS0_4arch9wavefront6targetE1EEEvT1_,comdat
.Lfunc_end2165:
	.size	_ZN7rocprim17ROCPRIM_400000_NS6detail17trampoline_kernelINS0_14default_configENS1_27scan_by_key_config_selectorIj11FixedVectorIiLj8EEEEZZNS1_16scan_by_key_implILNS1_25lookback_scan_determinismE0ELb1ES3_N6thrust23THRUST_200600_302600_NS6detail15normal_iteratorINSB_10device_ptrIjEEEENSD_INSE_IS6_EEEESI_S6_NSB_4plusIvEENSB_8equal_toIvEES6_EE10hipError_tPvRmT2_T3_T4_T5_mT6_T7_P12ihipStream_tbENKUlT_T0_E_clISt17integral_constantIbLb0EES13_EEDaSY_SZ_EUlSY_E_NS1_11comp_targetILNS1_3genE8ELNS1_11target_archE1030ELNS1_3gpuE2ELNS1_3repE0EEENS1_30default_config_static_selectorELNS0_4arch9wavefront6targetE1EEEvT1_, .Lfunc_end2165-_ZN7rocprim17ROCPRIM_400000_NS6detail17trampoline_kernelINS0_14default_configENS1_27scan_by_key_config_selectorIj11FixedVectorIiLj8EEEEZZNS1_16scan_by_key_implILNS1_25lookback_scan_determinismE0ELb1ES3_N6thrust23THRUST_200600_302600_NS6detail15normal_iteratorINSB_10device_ptrIjEEEENSD_INSE_IS6_EEEESI_S6_NSB_4plusIvEENSB_8equal_toIvEES6_EE10hipError_tPvRmT2_T3_T4_T5_mT6_T7_P12ihipStream_tbENKUlT_T0_E_clISt17integral_constantIbLb0EES13_EEDaSY_SZ_EUlSY_E_NS1_11comp_targetILNS1_3genE8ELNS1_11target_archE1030ELNS1_3gpuE2ELNS1_3repE0EEENS1_30default_config_static_selectorELNS0_4arch9wavefront6targetE1EEEvT1_
                                        ; -- End function
	.section	.AMDGPU.csdata,"",@progbits
; Kernel info:
; codeLenInByte = 0
; NumSgprs: 4
; NumVgprs: 0
; NumAgprs: 0
; TotalNumVgprs: 0
; ScratchSize: 0
; MemoryBound: 0
; FloatMode: 240
; IeeeMode: 1
; LDSByteSize: 0 bytes/workgroup (compile time only)
; SGPRBlocks: 0
; VGPRBlocks: 0
; NumSGPRsForWavesPerEU: 4
; NumVGPRsForWavesPerEU: 1
; AccumOffset: 4
; Occupancy: 8
; WaveLimiterHint : 0
; COMPUTE_PGM_RSRC2:SCRATCH_EN: 0
; COMPUTE_PGM_RSRC2:USER_SGPR: 6
; COMPUTE_PGM_RSRC2:TRAP_HANDLER: 0
; COMPUTE_PGM_RSRC2:TGID_X_EN: 1
; COMPUTE_PGM_RSRC2:TGID_Y_EN: 0
; COMPUTE_PGM_RSRC2:TGID_Z_EN: 0
; COMPUTE_PGM_RSRC2:TIDIG_COMP_CNT: 0
; COMPUTE_PGM_RSRC3_GFX90A:ACCUM_OFFSET: 0
; COMPUTE_PGM_RSRC3_GFX90A:TG_SPLIT: 0
	.section	.text._ZN7rocprim17ROCPRIM_400000_NS6detail17trampoline_kernelINS0_14default_configENS1_27scan_by_key_config_selectorIj11FixedVectorIiLj8EEEEZZNS1_16scan_by_key_implILNS1_25lookback_scan_determinismE0ELb1ES3_N6thrust23THRUST_200600_302600_NS6detail15normal_iteratorINSB_10device_ptrIjEEEENSD_INSE_IS6_EEEESI_S6_NSB_4plusIvEENSB_8equal_toIvEES6_EE10hipError_tPvRmT2_T3_T4_T5_mT6_T7_P12ihipStream_tbENKUlT_T0_E_clISt17integral_constantIbLb1EES13_EEDaSY_SZ_EUlSY_E_NS1_11comp_targetILNS1_3genE0ELNS1_11target_archE4294967295ELNS1_3gpuE0ELNS1_3repE0EEENS1_30default_config_static_selectorELNS0_4arch9wavefront6targetE1EEEvT1_,"axG",@progbits,_ZN7rocprim17ROCPRIM_400000_NS6detail17trampoline_kernelINS0_14default_configENS1_27scan_by_key_config_selectorIj11FixedVectorIiLj8EEEEZZNS1_16scan_by_key_implILNS1_25lookback_scan_determinismE0ELb1ES3_N6thrust23THRUST_200600_302600_NS6detail15normal_iteratorINSB_10device_ptrIjEEEENSD_INSE_IS6_EEEESI_S6_NSB_4plusIvEENSB_8equal_toIvEES6_EE10hipError_tPvRmT2_T3_T4_T5_mT6_T7_P12ihipStream_tbENKUlT_T0_E_clISt17integral_constantIbLb1EES13_EEDaSY_SZ_EUlSY_E_NS1_11comp_targetILNS1_3genE0ELNS1_11target_archE4294967295ELNS1_3gpuE0ELNS1_3repE0EEENS1_30default_config_static_selectorELNS0_4arch9wavefront6targetE1EEEvT1_,comdat
	.protected	_ZN7rocprim17ROCPRIM_400000_NS6detail17trampoline_kernelINS0_14default_configENS1_27scan_by_key_config_selectorIj11FixedVectorIiLj8EEEEZZNS1_16scan_by_key_implILNS1_25lookback_scan_determinismE0ELb1ES3_N6thrust23THRUST_200600_302600_NS6detail15normal_iteratorINSB_10device_ptrIjEEEENSD_INSE_IS6_EEEESI_S6_NSB_4plusIvEENSB_8equal_toIvEES6_EE10hipError_tPvRmT2_T3_T4_T5_mT6_T7_P12ihipStream_tbENKUlT_T0_E_clISt17integral_constantIbLb1EES13_EEDaSY_SZ_EUlSY_E_NS1_11comp_targetILNS1_3genE0ELNS1_11target_archE4294967295ELNS1_3gpuE0ELNS1_3repE0EEENS1_30default_config_static_selectorELNS0_4arch9wavefront6targetE1EEEvT1_ ; -- Begin function _ZN7rocprim17ROCPRIM_400000_NS6detail17trampoline_kernelINS0_14default_configENS1_27scan_by_key_config_selectorIj11FixedVectorIiLj8EEEEZZNS1_16scan_by_key_implILNS1_25lookback_scan_determinismE0ELb1ES3_N6thrust23THRUST_200600_302600_NS6detail15normal_iteratorINSB_10device_ptrIjEEEENSD_INSE_IS6_EEEESI_S6_NSB_4plusIvEENSB_8equal_toIvEES6_EE10hipError_tPvRmT2_T3_T4_T5_mT6_T7_P12ihipStream_tbENKUlT_T0_E_clISt17integral_constantIbLb1EES13_EEDaSY_SZ_EUlSY_E_NS1_11comp_targetILNS1_3genE0ELNS1_11target_archE4294967295ELNS1_3gpuE0ELNS1_3repE0EEENS1_30default_config_static_selectorELNS0_4arch9wavefront6targetE1EEEvT1_
	.globl	_ZN7rocprim17ROCPRIM_400000_NS6detail17trampoline_kernelINS0_14default_configENS1_27scan_by_key_config_selectorIj11FixedVectorIiLj8EEEEZZNS1_16scan_by_key_implILNS1_25lookback_scan_determinismE0ELb1ES3_N6thrust23THRUST_200600_302600_NS6detail15normal_iteratorINSB_10device_ptrIjEEEENSD_INSE_IS6_EEEESI_S6_NSB_4plusIvEENSB_8equal_toIvEES6_EE10hipError_tPvRmT2_T3_T4_T5_mT6_T7_P12ihipStream_tbENKUlT_T0_E_clISt17integral_constantIbLb1EES13_EEDaSY_SZ_EUlSY_E_NS1_11comp_targetILNS1_3genE0ELNS1_11target_archE4294967295ELNS1_3gpuE0ELNS1_3repE0EEENS1_30default_config_static_selectorELNS0_4arch9wavefront6targetE1EEEvT1_
	.p2align	8
	.type	_ZN7rocprim17ROCPRIM_400000_NS6detail17trampoline_kernelINS0_14default_configENS1_27scan_by_key_config_selectorIj11FixedVectorIiLj8EEEEZZNS1_16scan_by_key_implILNS1_25lookback_scan_determinismE0ELb1ES3_N6thrust23THRUST_200600_302600_NS6detail15normal_iteratorINSB_10device_ptrIjEEEENSD_INSE_IS6_EEEESI_S6_NSB_4plusIvEENSB_8equal_toIvEES6_EE10hipError_tPvRmT2_T3_T4_T5_mT6_T7_P12ihipStream_tbENKUlT_T0_E_clISt17integral_constantIbLb1EES13_EEDaSY_SZ_EUlSY_E_NS1_11comp_targetILNS1_3genE0ELNS1_11target_archE4294967295ELNS1_3gpuE0ELNS1_3repE0EEENS1_30default_config_static_selectorELNS0_4arch9wavefront6targetE1EEEvT1_,@function
_ZN7rocprim17ROCPRIM_400000_NS6detail17trampoline_kernelINS0_14default_configENS1_27scan_by_key_config_selectorIj11FixedVectorIiLj8EEEEZZNS1_16scan_by_key_implILNS1_25lookback_scan_determinismE0ELb1ES3_N6thrust23THRUST_200600_302600_NS6detail15normal_iteratorINSB_10device_ptrIjEEEENSD_INSE_IS6_EEEESI_S6_NSB_4plusIvEENSB_8equal_toIvEES6_EE10hipError_tPvRmT2_T3_T4_T5_mT6_T7_P12ihipStream_tbENKUlT_T0_E_clISt17integral_constantIbLb1EES13_EEDaSY_SZ_EUlSY_E_NS1_11comp_targetILNS1_3genE0ELNS1_11target_archE4294967295ELNS1_3gpuE0ELNS1_3repE0EEENS1_30default_config_static_selectorELNS0_4arch9wavefront6targetE1EEEvT1_: ; @_ZN7rocprim17ROCPRIM_400000_NS6detail17trampoline_kernelINS0_14default_configENS1_27scan_by_key_config_selectorIj11FixedVectorIiLj8EEEEZZNS1_16scan_by_key_implILNS1_25lookback_scan_determinismE0ELb1ES3_N6thrust23THRUST_200600_302600_NS6detail15normal_iteratorINSB_10device_ptrIjEEEENSD_INSE_IS6_EEEESI_S6_NSB_4plusIvEENSB_8equal_toIvEES6_EE10hipError_tPvRmT2_T3_T4_T5_mT6_T7_P12ihipStream_tbENKUlT_T0_E_clISt17integral_constantIbLb1EES13_EEDaSY_SZ_EUlSY_E_NS1_11comp_targetILNS1_3genE0ELNS1_11target_archE4294967295ELNS1_3gpuE0ELNS1_3repE0EEENS1_30default_config_static_selectorELNS0_4arch9wavefront6targetE1EEEvT1_
; %bb.0:
	.section	.rodata,"a",@progbits
	.p2align	6, 0x0
	.amdhsa_kernel _ZN7rocprim17ROCPRIM_400000_NS6detail17trampoline_kernelINS0_14default_configENS1_27scan_by_key_config_selectorIj11FixedVectorIiLj8EEEEZZNS1_16scan_by_key_implILNS1_25lookback_scan_determinismE0ELb1ES3_N6thrust23THRUST_200600_302600_NS6detail15normal_iteratorINSB_10device_ptrIjEEEENSD_INSE_IS6_EEEESI_S6_NSB_4plusIvEENSB_8equal_toIvEES6_EE10hipError_tPvRmT2_T3_T4_T5_mT6_T7_P12ihipStream_tbENKUlT_T0_E_clISt17integral_constantIbLb1EES13_EEDaSY_SZ_EUlSY_E_NS1_11comp_targetILNS1_3genE0ELNS1_11target_archE4294967295ELNS1_3gpuE0ELNS1_3repE0EEENS1_30default_config_static_selectorELNS0_4arch9wavefront6targetE1EEEvT1_
		.amdhsa_group_segment_fixed_size 0
		.amdhsa_private_segment_fixed_size 0
		.amdhsa_kernarg_size 160
		.amdhsa_user_sgpr_count 6
		.amdhsa_user_sgpr_private_segment_buffer 1
		.amdhsa_user_sgpr_dispatch_ptr 0
		.amdhsa_user_sgpr_queue_ptr 0
		.amdhsa_user_sgpr_kernarg_segment_ptr 1
		.amdhsa_user_sgpr_dispatch_id 0
		.amdhsa_user_sgpr_flat_scratch_init 0
		.amdhsa_user_sgpr_kernarg_preload_length 0
		.amdhsa_user_sgpr_kernarg_preload_offset 0
		.amdhsa_user_sgpr_private_segment_size 0
		.amdhsa_uses_dynamic_stack 0
		.amdhsa_system_sgpr_private_segment_wavefront_offset 0
		.amdhsa_system_sgpr_workgroup_id_x 1
		.amdhsa_system_sgpr_workgroup_id_y 0
		.amdhsa_system_sgpr_workgroup_id_z 0
		.amdhsa_system_sgpr_workgroup_info 0
		.amdhsa_system_vgpr_workitem_id 0
		.amdhsa_next_free_vgpr 1
		.amdhsa_next_free_sgpr 0
		.amdhsa_accum_offset 4
		.amdhsa_reserve_vcc 0
		.amdhsa_reserve_flat_scratch 0
		.amdhsa_float_round_mode_32 0
		.amdhsa_float_round_mode_16_64 0
		.amdhsa_float_denorm_mode_32 3
		.amdhsa_float_denorm_mode_16_64 3
		.amdhsa_dx10_clamp 1
		.amdhsa_ieee_mode 1
		.amdhsa_fp16_overflow 0
		.amdhsa_tg_split 0
		.amdhsa_exception_fp_ieee_invalid_op 0
		.amdhsa_exception_fp_denorm_src 0
		.amdhsa_exception_fp_ieee_div_zero 0
		.amdhsa_exception_fp_ieee_overflow 0
		.amdhsa_exception_fp_ieee_underflow 0
		.amdhsa_exception_fp_ieee_inexact 0
		.amdhsa_exception_int_div_zero 0
	.end_amdhsa_kernel
	.section	.text._ZN7rocprim17ROCPRIM_400000_NS6detail17trampoline_kernelINS0_14default_configENS1_27scan_by_key_config_selectorIj11FixedVectorIiLj8EEEEZZNS1_16scan_by_key_implILNS1_25lookback_scan_determinismE0ELb1ES3_N6thrust23THRUST_200600_302600_NS6detail15normal_iteratorINSB_10device_ptrIjEEEENSD_INSE_IS6_EEEESI_S6_NSB_4plusIvEENSB_8equal_toIvEES6_EE10hipError_tPvRmT2_T3_T4_T5_mT6_T7_P12ihipStream_tbENKUlT_T0_E_clISt17integral_constantIbLb1EES13_EEDaSY_SZ_EUlSY_E_NS1_11comp_targetILNS1_3genE0ELNS1_11target_archE4294967295ELNS1_3gpuE0ELNS1_3repE0EEENS1_30default_config_static_selectorELNS0_4arch9wavefront6targetE1EEEvT1_,"axG",@progbits,_ZN7rocprim17ROCPRIM_400000_NS6detail17trampoline_kernelINS0_14default_configENS1_27scan_by_key_config_selectorIj11FixedVectorIiLj8EEEEZZNS1_16scan_by_key_implILNS1_25lookback_scan_determinismE0ELb1ES3_N6thrust23THRUST_200600_302600_NS6detail15normal_iteratorINSB_10device_ptrIjEEEENSD_INSE_IS6_EEEESI_S6_NSB_4plusIvEENSB_8equal_toIvEES6_EE10hipError_tPvRmT2_T3_T4_T5_mT6_T7_P12ihipStream_tbENKUlT_T0_E_clISt17integral_constantIbLb1EES13_EEDaSY_SZ_EUlSY_E_NS1_11comp_targetILNS1_3genE0ELNS1_11target_archE4294967295ELNS1_3gpuE0ELNS1_3repE0EEENS1_30default_config_static_selectorELNS0_4arch9wavefront6targetE1EEEvT1_,comdat
.Lfunc_end2166:
	.size	_ZN7rocprim17ROCPRIM_400000_NS6detail17trampoline_kernelINS0_14default_configENS1_27scan_by_key_config_selectorIj11FixedVectorIiLj8EEEEZZNS1_16scan_by_key_implILNS1_25lookback_scan_determinismE0ELb1ES3_N6thrust23THRUST_200600_302600_NS6detail15normal_iteratorINSB_10device_ptrIjEEEENSD_INSE_IS6_EEEESI_S6_NSB_4plusIvEENSB_8equal_toIvEES6_EE10hipError_tPvRmT2_T3_T4_T5_mT6_T7_P12ihipStream_tbENKUlT_T0_E_clISt17integral_constantIbLb1EES13_EEDaSY_SZ_EUlSY_E_NS1_11comp_targetILNS1_3genE0ELNS1_11target_archE4294967295ELNS1_3gpuE0ELNS1_3repE0EEENS1_30default_config_static_selectorELNS0_4arch9wavefront6targetE1EEEvT1_, .Lfunc_end2166-_ZN7rocprim17ROCPRIM_400000_NS6detail17trampoline_kernelINS0_14default_configENS1_27scan_by_key_config_selectorIj11FixedVectorIiLj8EEEEZZNS1_16scan_by_key_implILNS1_25lookback_scan_determinismE0ELb1ES3_N6thrust23THRUST_200600_302600_NS6detail15normal_iteratorINSB_10device_ptrIjEEEENSD_INSE_IS6_EEEESI_S6_NSB_4plusIvEENSB_8equal_toIvEES6_EE10hipError_tPvRmT2_T3_T4_T5_mT6_T7_P12ihipStream_tbENKUlT_T0_E_clISt17integral_constantIbLb1EES13_EEDaSY_SZ_EUlSY_E_NS1_11comp_targetILNS1_3genE0ELNS1_11target_archE4294967295ELNS1_3gpuE0ELNS1_3repE0EEENS1_30default_config_static_selectorELNS0_4arch9wavefront6targetE1EEEvT1_
                                        ; -- End function
	.section	.AMDGPU.csdata,"",@progbits
; Kernel info:
; codeLenInByte = 0
; NumSgprs: 4
; NumVgprs: 0
; NumAgprs: 0
; TotalNumVgprs: 0
; ScratchSize: 0
; MemoryBound: 0
; FloatMode: 240
; IeeeMode: 1
; LDSByteSize: 0 bytes/workgroup (compile time only)
; SGPRBlocks: 0
; VGPRBlocks: 0
; NumSGPRsForWavesPerEU: 4
; NumVGPRsForWavesPerEU: 1
; AccumOffset: 4
; Occupancy: 8
; WaveLimiterHint : 0
; COMPUTE_PGM_RSRC2:SCRATCH_EN: 0
; COMPUTE_PGM_RSRC2:USER_SGPR: 6
; COMPUTE_PGM_RSRC2:TRAP_HANDLER: 0
; COMPUTE_PGM_RSRC2:TGID_X_EN: 1
; COMPUTE_PGM_RSRC2:TGID_Y_EN: 0
; COMPUTE_PGM_RSRC2:TGID_Z_EN: 0
; COMPUTE_PGM_RSRC2:TIDIG_COMP_CNT: 0
; COMPUTE_PGM_RSRC3_GFX90A:ACCUM_OFFSET: 0
; COMPUTE_PGM_RSRC3_GFX90A:TG_SPLIT: 0
	.section	.text._ZN7rocprim17ROCPRIM_400000_NS6detail17trampoline_kernelINS0_14default_configENS1_27scan_by_key_config_selectorIj11FixedVectorIiLj8EEEEZZNS1_16scan_by_key_implILNS1_25lookback_scan_determinismE0ELb1ES3_N6thrust23THRUST_200600_302600_NS6detail15normal_iteratorINSB_10device_ptrIjEEEENSD_INSE_IS6_EEEESI_S6_NSB_4plusIvEENSB_8equal_toIvEES6_EE10hipError_tPvRmT2_T3_T4_T5_mT6_T7_P12ihipStream_tbENKUlT_T0_E_clISt17integral_constantIbLb1EES13_EEDaSY_SZ_EUlSY_E_NS1_11comp_targetILNS1_3genE10ELNS1_11target_archE1201ELNS1_3gpuE5ELNS1_3repE0EEENS1_30default_config_static_selectorELNS0_4arch9wavefront6targetE1EEEvT1_,"axG",@progbits,_ZN7rocprim17ROCPRIM_400000_NS6detail17trampoline_kernelINS0_14default_configENS1_27scan_by_key_config_selectorIj11FixedVectorIiLj8EEEEZZNS1_16scan_by_key_implILNS1_25lookback_scan_determinismE0ELb1ES3_N6thrust23THRUST_200600_302600_NS6detail15normal_iteratorINSB_10device_ptrIjEEEENSD_INSE_IS6_EEEESI_S6_NSB_4plusIvEENSB_8equal_toIvEES6_EE10hipError_tPvRmT2_T3_T4_T5_mT6_T7_P12ihipStream_tbENKUlT_T0_E_clISt17integral_constantIbLb1EES13_EEDaSY_SZ_EUlSY_E_NS1_11comp_targetILNS1_3genE10ELNS1_11target_archE1201ELNS1_3gpuE5ELNS1_3repE0EEENS1_30default_config_static_selectorELNS0_4arch9wavefront6targetE1EEEvT1_,comdat
	.protected	_ZN7rocprim17ROCPRIM_400000_NS6detail17trampoline_kernelINS0_14default_configENS1_27scan_by_key_config_selectorIj11FixedVectorIiLj8EEEEZZNS1_16scan_by_key_implILNS1_25lookback_scan_determinismE0ELb1ES3_N6thrust23THRUST_200600_302600_NS6detail15normal_iteratorINSB_10device_ptrIjEEEENSD_INSE_IS6_EEEESI_S6_NSB_4plusIvEENSB_8equal_toIvEES6_EE10hipError_tPvRmT2_T3_T4_T5_mT6_T7_P12ihipStream_tbENKUlT_T0_E_clISt17integral_constantIbLb1EES13_EEDaSY_SZ_EUlSY_E_NS1_11comp_targetILNS1_3genE10ELNS1_11target_archE1201ELNS1_3gpuE5ELNS1_3repE0EEENS1_30default_config_static_selectorELNS0_4arch9wavefront6targetE1EEEvT1_ ; -- Begin function _ZN7rocprim17ROCPRIM_400000_NS6detail17trampoline_kernelINS0_14default_configENS1_27scan_by_key_config_selectorIj11FixedVectorIiLj8EEEEZZNS1_16scan_by_key_implILNS1_25lookback_scan_determinismE0ELb1ES3_N6thrust23THRUST_200600_302600_NS6detail15normal_iteratorINSB_10device_ptrIjEEEENSD_INSE_IS6_EEEESI_S6_NSB_4plusIvEENSB_8equal_toIvEES6_EE10hipError_tPvRmT2_T3_T4_T5_mT6_T7_P12ihipStream_tbENKUlT_T0_E_clISt17integral_constantIbLb1EES13_EEDaSY_SZ_EUlSY_E_NS1_11comp_targetILNS1_3genE10ELNS1_11target_archE1201ELNS1_3gpuE5ELNS1_3repE0EEENS1_30default_config_static_selectorELNS0_4arch9wavefront6targetE1EEEvT1_
	.globl	_ZN7rocprim17ROCPRIM_400000_NS6detail17trampoline_kernelINS0_14default_configENS1_27scan_by_key_config_selectorIj11FixedVectorIiLj8EEEEZZNS1_16scan_by_key_implILNS1_25lookback_scan_determinismE0ELb1ES3_N6thrust23THRUST_200600_302600_NS6detail15normal_iteratorINSB_10device_ptrIjEEEENSD_INSE_IS6_EEEESI_S6_NSB_4plusIvEENSB_8equal_toIvEES6_EE10hipError_tPvRmT2_T3_T4_T5_mT6_T7_P12ihipStream_tbENKUlT_T0_E_clISt17integral_constantIbLb1EES13_EEDaSY_SZ_EUlSY_E_NS1_11comp_targetILNS1_3genE10ELNS1_11target_archE1201ELNS1_3gpuE5ELNS1_3repE0EEENS1_30default_config_static_selectorELNS0_4arch9wavefront6targetE1EEEvT1_
	.p2align	8
	.type	_ZN7rocprim17ROCPRIM_400000_NS6detail17trampoline_kernelINS0_14default_configENS1_27scan_by_key_config_selectorIj11FixedVectorIiLj8EEEEZZNS1_16scan_by_key_implILNS1_25lookback_scan_determinismE0ELb1ES3_N6thrust23THRUST_200600_302600_NS6detail15normal_iteratorINSB_10device_ptrIjEEEENSD_INSE_IS6_EEEESI_S6_NSB_4plusIvEENSB_8equal_toIvEES6_EE10hipError_tPvRmT2_T3_T4_T5_mT6_T7_P12ihipStream_tbENKUlT_T0_E_clISt17integral_constantIbLb1EES13_EEDaSY_SZ_EUlSY_E_NS1_11comp_targetILNS1_3genE10ELNS1_11target_archE1201ELNS1_3gpuE5ELNS1_3repE0EEENS1_30default_config_static_selectorELNS0_4arch9wavefront6targetE1EEEvT1_,@function
_ZN7rocprim17ROCPRIM_400000_NS6detail17trampoline_kernelINS0_14default_configENS1_27scan_by_key_config_selectorIj11FixedVectorIiLj8EEEEZZNS1_16scan_by_key_implILNS1_25lookback_scan_determinismE0ELb1ES3_N6thrust23THRUST_200600_302600_NS6detail15normal_iteratorINSB_10device_ptrIjEEEENSD_INSE_IS6_EEEESI_S6_NSB_4plusIvEENSB_8equal_toIvEES6_EE10hipError_tPvRmT2_T3_T4_T5_mT6_T7_P12ihipStream_tbENKUlT_T0_E_clISt17integral_constantIbLb1EES13_EEDaSY_SZ_EUlSY_E_NS1_11comp_targetILNS1_3genE10ELNS1_11target_archE1201ELNS1_3gpuE5ELNS1_3repE0EEENS1_30default_config_static_selectorELNS0_4arch9wavefront6targetE1EEEvT1_: ; @_ZN7rocprim17ROCPRIM_400000_NS6detail17trampoline_kernelINS0_14default_configENS1_27scan_by_key_config_selectorIj11FixedVectorIiLj8EEEEZZNS1_16scan_by_key_implILNS1_25lookback_scan_determinismE0ELb1ES3_N6thrust23THRUST_200600_302600_NS6detail15normal_iteratorINSB_10device_ptrIjEEEENSD_INSE_IS6_EEEESI_S6_NSB_4plusIvEENSB_8equal_toIvEES6_EE10hipError_tPvRmT2_T3_T4_T5_mT6_T7_P12ihipStream_tbENKUlT_T0_E_clISt17integral_constantIbLb1EES13_EEDaSY_SZ_EUlSY_E_NS1_11comp_targetILNS1_3genE10ELNS1_11target_archE1201ELNS1_3gpuE5ELNS1_3repE0EEENS1_30default_config_static_selectorELNS0_4arch9wavefront6targetE1EEEvT1_
; %bb.0:
	.section	.rodata,"a",@progbits
	.p2align	6, 0x0
	.amdhsa_kernel _ZN7rocprim17ROCPRIM_400000_NS6detail17trampoline_kernelINS0_14default_configENS1_27scan_by_key_config_selectorIj11FixedVectorIiLj8EEEEZZNS1_16scan_by_key_implILNS1_25lookback_scan_determinismE0ELb1ES3_N6thrust23THRUST_200600_302600_NS6detail15normal_iteratorINSB_10device_ptrIjEEEENSD_INSE_IS6_EEEESI_S6_NSB_4plusIvEENSB_8equal_toIvEES6_EE10hipError_tPvRmT2_T3_T4_T5_mT6_T7_P12ihipStream_tbENKUlT_T0_E_clISt17integral_constantIbLb1EES13_EEDaSY_SZ_EUlSY_E_NS1_11comp_targetILNS1_3genE10ELNS1_11target_archE1201ELNS1_3gpuE5ELNS1_3repE0EEENS1_30default_config_static_selectorELNS0_4arch9wavefront6targetE1EEEvT1_
		.amdhsa_group_segment_fixed_size 0
		.amdhsa_private_segment_fixed_size 0
		.amdhsa_kernarg_size 160
		.amdhsa_user_sgpr_count 6
		.amdhsa_user_sgpr_private_segment_buffer 1
		.amdhsa_user_sgpr_dispatch_ptr 0
		.amdhsa_user_sgpr_queue_ptr 0
		.amdhsa_user_sgpr_kernarg_segment_ptr 1
		.amdhsa_user_sgpr_dispatch_id 0
		.amdhsa_user_sgpr_flat_scratch_init 0
		.amdhsa_user_sgpr_kernarg_preload_length 0
		.amdhsa_user_sgpr_kernarg_preload_offset 0
		.amdhsa_user_sgpr_private_segment_size 0
		.amdhsa_uses_dynamic_stack 0
		.amdhsa_system_sgpr_private_segment_wavefront_offset 0
		.amdhsa_system_sgpr_workgroup_id_x 1
		.amdhsa_system_sgpr_workgroup_id_y 0
		.amdhsa_system_sgpr_workgroup_id_z 0
		.amdhsa_system_sgpr_workgroup_info 0
		.amdhsa_system_vgpr_workitem_id 0
		.amdhsa_next_free_vgpr 1
		.amdhsa_next_free_sgpr 0
		.amdhsa_accum_offset 4
		.amdhsa_reserve_vcc 0
		.amdhsa_reserve_flat_scratch 0
		.amdhsa_float_round_mode_32 0
		.amdhsa_float_round_mode_16_64 0
		.amdhsa_float_denorm_mode_32 3
		.amdhsa_float_denorm_mode_16_64 3
		.amdhsa_dx10_clamp 1
		.amdhsa_ieee_mode 1
		.amdhsa_fp16_overflow 0
		.amdhsa_tg_split 0
		.amdhsa_exception_fp_ieee_invalid_op 0
		.amdhsa_exception_fp_denorm_src 0
		.amdhsa_exception_fp_ieee_div_zero 0
		.amdhsa_exception_fp_ieee_overflow 0
		.amdhsa_exception_fp_ieee_underflow 0
		.amdhsa_exception_fp_ieee_inexact 0
		.amdhsa_exception_int_div_zero 0
	.end_amdhsa_kernel
	.section	.text._ZN7rocprim17ROCPRIM_400000_NS6detail17trampoline_kernelINS0_14default_configENS1_27scan_by_key_config_selectorIj11FixedVectorIiLj8EEEEZZNS1_16scan_by_key_implILNS1_25lookback_scan_determinismE0ELb1ES3_N6thrust23THRUST_200600_302600_NS6detail15normal_iteratorINSB_10device_ptrIjEEEENSD_INSE_IS6_EEEESI_S6_NSB_4plusIvEENSB_8equal_toIvEES6_EE10hipError_tPvRmT2_T3_T4_T5_mT6_T7_P12ihipStream_tbENKUlT_T0_E_clISt17integral_constantIbLb1EES13_EEDaSY_SZ_EUlSY_E_NS1_11comp_targetILNS1_3genE10ELNS1_11target_archE1201ELNS1_3gpuE5ELNS1_3repE0EEENS1_30default_config_static_selectorELNS0_4arch9wavefront6targetE1EEEvT1_,"axG",@progbits,_ZN7rocprim17ROCPRIM_400000_NS6detail17trampoline_kernelINS0_14default_configENS1_27scan_by_key_config_selectorIj11FixedVectorIiLj8EEEEZZNS1_16scan_by_key_implILNS1_25lookback_scan_determinismE0ELb1ES3_N6thrust23THRUST_200600_302600_NS6detail15normal_iteratorINSB_10device_ptrIjEEEENSD_INSE_IS6_EEEESI_S6_NSB_4plusIvEENSB_8equal_toIvEES6_EE10hipError_tPvRmT2_T3_T4_T5_mT6_T7_P12ihipStream_tbENKUlT_T0_E_clISt17integral_constantIbLb1EES13_EEDaSY_SZ_EUlSY_E_NS1_11comp_targetILNS1_3genE10ELNS1_11target_archE1201ELNS1_3gpuE5ELNS1_3repE0EEENS1_30default_config_static_selectorELNS0_4arch9wavefront6targetE1EEEvT1_,comdat
.Lfunc_end2167:
	.size	_ZN7rocprim17ROCPRIM_400000_NS6detail17trampoline_kernelINS0_14default_configENS1_27scan_by_key_config_selectorIj11FixedVectorIiLj8EEEEZZNS1_16scan_by_key_implILNS1_25lookback_scan_determinismE0ELb1ES3_N6thrust23THRUST_200600_302600_NS6detail15normal_iteratorINSB_10device_ptrIjEEEENSD_INSE_IS6_EEEESI_S6_NSB_4plusIvEENSB_8equal_toIvEES6_EE10hipError_tPvRmT2_T3_T4_T5_mT6_T7_P12ihipStream_tbENKUlT_T0_E_clISt17integral_constantIbLb1EES13_EEDaSY_SZ_EUlSY_E_NS1_11comp_targetILNS1_3genE10ELNS1_11target_archE1201ELNS1_3gpuE5ELNS1_3repE0EEENS1_30default_config_static_selectorELNS0_4arch9wavefront6targetE1EEEvT1_, .Lfunc_end2167-_ZN7rocprim17ROCPRIM_400000_NS6detail17trampoline_kernelINS0_14default_configENS1_27scan_by_key_config_selectorIj11FixedVectorIiLj8EEEEZZNS1_16scan_by_key_implILNS1_25lookback_scan_determinismE0ELb1ES3_N6thrust23THRUST_200600_302600_NS6detail15normal_iteratorINSB_10device_ptrIjEEEENSD_INSE_IS6_EEEESI_S6_NSB_4plusIvEENSB_8equal_toIvEES6_EE10hipError_tPvRmT2_T3_T4_T5_mT6_T7_P12ihipStream_tbENKUlT_T0_E_clISt17integral_constantIbLb1EES13_EEDaSY_SZ_EUlSY_E_NS1_11comp_targetILNS1_3genE10ELNS1_11target_archE1201ELNS1_3gpuE5ELNS1_3repE0EEENS1_30default_config_static_selectorELNS0_4arch9wavefront6targetE1EEEvT1_
                                        ; -- End function
	.section	.AMDGPU.csdata,"",@progbits
; Kernel info:
; codeLenInByte = 0
; NumSgprs: 4
; NumVgprs: 0
; NumAgprs: 0
; TotalNumVgprs: 0
; ScratchSize: 0
; MemoryBound: 0
; FloatMode: 240
; IeeeMode: 1
; LDSByteSize: 0 bytes/workgroup (compile time only)
; SGPRBlocks: 0
; VGPRBlocks: 0
; NumSGPRsForWavesPerEU: 4
; NumVGPRsForWavesPerEU: 1
; AccumOffset: 4
; Occupancy: 8
; WaveLimiterHint : 0
; COMPUTE_PGM_RSRC2:SCRATCH_EN: 0
; COMPUTE_PGM_RSRC2:USER_SGPR: 6
; COMPUTE_PGM_RSRC2:TRAP_HANDLER: 0
; COMPUTE_PGM_RSRC2:TGID_X_EN: 1
; COMPUTE_PGM_RSRC2:TGID_Y_EN: 0
; COMPUTE_PGM_RSRC2:TGID_Z_EN: 0
; COMPUTE_PGM_RSRC2:TIDIG_COMP_CNT: 0
; COMPUTE_PGM_RSRC3_GFX90A:ACCUM_OFFSET: 0
; COMPUTE_PGM_RSRC3_GFX90A:TG_SPLIT: 0
	.section	.text._ZN7rocprim17ROCPRIM_400000_NS6detail17trampoline_kernelINS0_14default_configENS1_27scan_by_key_config_selectorIj11FixedVectorIiLj8EEEEZZNS1_16scan_by_key_implILNS1_25lookback_scan_determinismE0ELb1ES3_N6thrust23THRUST_200600_302600_NS6detail15normal_iteratorINSB_10device_ptrIjEEEENSD_INSE_IS6_EEEESI_S6_NSB_4plusIvEENSB_8equal_toIvEES6_EE10hipError_tPvRmT2_T3_T4_T5_mT6_T7_P12ihipStream_tbENKUlT_T0_E_clISt17integral_constantIbLb1EES13_EEDaSY_SZ_EUlSY_E_NS1_11comp_targetILNS1_3genE5ELNS1_11target_archE942ELNS1_3gpuE9ELNS1_3repE0EEENS1_30default_config_static_selectorELNS0_4arch9wavefront6targetE1EEEvT1_,"axG",@progbits,_ZN7rocprim17ROCPRIM_400000_NS6detail17trampoline_kernelINS0_14default_configENS1_27scan_by_key_config_selectorIj11FixedVectorIiLj8EEEEZZNS1_16scan_by_key_implILNS1_25lookback_scan_determinismE0ELb1ES3_N6thrust23THRUST_200600_302600_NS6detail15normal_iteratorINSB_10device_ptrIjEEEENSD_INSE_IS6_EEEESI_S6_NSB_4plusIvEENSB_8equal_toIvEES6_EE10hipError_tPvRmT2_T3_T4_T5_mT6_T7_P12ihipStream_tbENKUlT_T0_E_clISt17integral_constantIbLb1EES13_EEDaSY_SZ_EUlSY_E_NS1_11comp_targetILNS1_3genE5ELNS1_11target_archE942ELNS1_3gpuE9ELNS1_3repE0EEENS1_30default_config_static_selectorELNS0_4arch9wavefront6targetE1EEEvT1_,comdat
	.protected	_ZN7rocprim17ROCPRIM_400000_NS6detail17trampoline_kernelINS0_14default_configENS1_27scan_by_key_config_selectorIj11FixedVectorIiLj8EEEEZZNS1_16scan_by_key_implILNS1_25lookback_scan_determinismE0ELb1ES3_N6thrust23THRUST_200600_302600_NS6detail15normal_iteratorINSB_10device_ptrIjEEEENSD_INSE_IS6_EEEESI_S6_NSB_4plusIvEENSB_8equal_toIvEES6_EE10hipError_tPvRmT2_T3_T4_T5_mT6_T7_P12ihipStream_tbENKUlT_T0_E_clISt17integral_constantIbLb1EES13_EEDaSY_SZ_EUlSY_E_NS1_11comp_targetILNS1_3genE5ELNS1_11target_archE942ELNS1_3gpuE9ELNS1_3repE0EEENS1_30default_config_static_selectorELNS0_4arch9wavefront6targetE1EEEvT1_ ; -- Begin function _ZN7rocprim17ROCPRIM_400000_NS6detail17trampoline_kernelINS0_14default_configENS1_27scan_by_key_config_selectorIj11FixedVectorIiLj8EEEEZZNS1_16scan_by_key_implILNS1_25lookback_scan_determinismE0ELb1ES3_N6thrust23THRUST_200600_302600_NS6detail15normal_iteratorINSB_10device_ptrIjEEEENSD_INSE_IS6_EEEESI_S6_NSB_4plusIvEENSB_8equal_toIvEES6_EE10hipError_tPvRmT2_T3_T4_T5_mT6_T7_P12ihipStream_tbENKUlT_T0_E_clISt17integral_constantIbLb1EES13_EEDaSY_SZ_EUlSY_E_NS1_11comp_targetILNS1_3genE5ELNS1_11target_archE942ELNS1_3gpuE9ELNS1_3repE0EEENS1_30default_config_static_selectorELNS0_4arch9wavefront6targetE1EEEvT1_
	.globl	_ZN7rocprim17ROCPRIM_400000_NS6detail17trampoline_kernelINS0_14default_configENS1_27scan_by_key_config_selectorIj11FixedVectorIiLj8EEEEZZNS1_16scan_by_key_implILNS1_25lookback_scan_determinismE0ELb1ES3_N6thrust23THRUST_200600_302600_NS6detail15normal_iteratorINSB_10device_ptrIjEEEENSD_INSE_IS6_EEEESI_S6_NSB_4plusIvEENSB_8equal_toIvEES6_EE10hipError_tPvRmT2_T3_T4_T5_mT6_T7_P12ihipStream_tbENKUlT_T0_E_clISt17integral_constantIbLb1EES13_EEDaSY_SZ_EUlSY_E_NS1_11comp_targetILNS1_3genE5ELNS1_11target_archE942ELNS1_3gpuE9ELNS1_3repE0EEENS1_30default_config_static_selectorELNS0_4arch9wavefront6targetE1EEEvT1_
	.p2align	8
	.type	_ZN7rocprim17ROCPRIM_400000_NS6detail17trampoline_kernelINS0_14default_configENS1_27scan_by_key_config_selectorIj11FixedVectorIiLj8EEEEZZNS1_16scan_by_key_implILNS1_25lookback_scan_determinismE0ELb1ES3_N6thrust23THRUST_200600_302600_NS6detail15normal_iteratorINSB_10device_ptrIjEEEENSD_INSE_IS6_EEEESI_S6_NSB_4plusIvEENSB_8equal_toIvEES6_EE10hipError_tPvRmT2_T3_T4_T5_mT6_T7_P12ihipStream_tbENKUlT_T0_E_clISt17integral_constantIbLb1EES13_EEDaSY_SZ_EUlSY_E_NS1_11comp_targetILNS1_3genE5ELNS1_11target_archE942ELNS1_3gpuE9ELNS1_3repE0EEENS1_30default_config_static_selectorELNS0_4arch9wavefront6targetE1EEEvT1_,@function
_ZN7rocprim17ROCPRIM_400000_NS6detail17trampoline_kernelINS0_14default_configENS1_27scan_by_key_config_selectorIj11FixedVectorIiLj8EEEEZZNS1_16scan_by_key_implILNS1_25lookback_scan_determinismE0ELb1ES3_N6thrust23THRUST_200600_302600_NS6detail15normal_iteratorINSB_10device_ptrIjEEEENSD_INSE_IS6_EEEESI_S6_NSB_4plusIvEENSB_8equal_toIvEES6_EE10hipError_tPvRmT2_T3_T4_T5_mT6_T7_P12ihipStream_tbENKUlT_T0_E_clISt17integral_constantIbLb1EES13_EEDaSY_SZ_EUlSY_E_NS1_11comp_targetILNS1_3genE5ELNS1_11target_archE942ELNS1_3gpuE9ELNS1_3repE0EEENS1_30default_config_static_selectorELNS0_4arch9wavefront6targetE1EEEvT1_: ; @_ZN7rocprim17ROCPRIM_400000_NS6detail17trampoline_kernelINS0_14default_configENS1_27scan_by_key_config_selectorIj11FixedVectorIiLj8EEEEZZNS1_16scan_by_key_implILNS1_25lookback_scan_determinismE0ELb1ES3_N6thrust23THRUST_200600_302600_NS6detail15normal_iteratorINSB_10device_ptrIjEEEENSD_INSE_IS6_EEEESI_S6_NSB_4plusIvEENSB_8equal_toIvEES6_EE10hipError_tPvRmT2_T3_T4_T5_mT6_T7_P12ihipStream_tbENKUlT_T0_E_clISt17integral_constantIbLb1EES13_EEDaSY_SZ_EUlSY_E_NS1_11comp_targetILNS1_3genE5ELNS1_11target_archE942ELNS1_3gpuE9ELNS1_3repE0EEENS1_30default_config_static_selectorELNS0_4arch9wavefront6targetE1EEEvT1_
; %bb.0:
	.section	.rodata,"a",@progbits
	.p2align	6, 0x0
	.amdhsa_kernel _ZN7rocprim17ROCPRIM_400000_NS6detail17trampoline_kernelINS0_14default_configENS1_27scan_by_key_config_selectorIj11FixedVectorIiLj8EEEEZZNS1_16scan_by_key_implILNS1_25lookback_scan_determinismE0ELb1ES3_N6thrust23THRUST_200600_302600_NS6detail15normal_iteratorINSB_10device_ptrIjEEEENSD_INSE_IS6_EEEESI_S6_NSB_4plusIvEENSB_8equal_toIvEES6_EE10hipError_tPvRmT2_T3_T4_T5_mT6_T7_P12ihipStream_tbENKUlT_T0_E_clISt17integral_constantIbLb1EES13_EEDaSY_SZ_EUlSY_E_NS1_11comp_targetILNS1_3genE5ELNS1_11target_archE942ELNS1_3gpuE9ELNS1_3repE0EEENS1_30default_config_static_selectorELNS0_4arch9wavefront6targetE1EEEvT1_
		.amdhsa_group_segment_fixed_size 0
		.amdhsa_private_segment_fixed_size 0
		.amdhsa_kernarg_size 160
		.amdhsa_user_sgpr_count 6
		.amdhsa_user_sgpr_private_segment_buffer 1
		.amdhsa_user_sgpr_dispatch_ptr 0
		.amdhsa_user_sgpr_queue_ptr 0
		.amdhsa_user_sgpr_kernarg_segment_ptr 1
		.amdhsa_user_sgpr_dispatch_id 0
		.amdhsa_user_sgpr_flat_scratch_init 0
		.amdhsa_user_sgpr_kernarg_preload_length 0
		.amdhsa_user_sgpr_kernarg_preload_offset 0
		.amdhsa_user_sgpr_private_segment_size 0
		.amdhsa_uses_dynamic_stack 0
		.amdhsa_system_sgpr_private_segment_wavefront_offset 0
		.amdhsa_system_sgpr_workgroup_id_x 1
		.amdhsa_system_sgpr_workgroup_id_y 0
		.amdhsa_system_sgpr_workgroup_id_z 0
		.amdhsa_system_sgpr_workgroup_info 0
		.amdhsa_system_vgpr_workitem_id 0
		.amdhsa_next_free_vgpr 1
		.amdhsa_next_free_sgpr 0
		.amdhsa_accum_offset 4
		.amdhsa_reserve_vcc 0
		.amdhsa_reserve_flat_scratch 0
		.amdhsa_float_round_mode_32 0
		.amdhsa_float_round_mode_16_64 0
		.amdhsa_float_denorm_mode_32 3
		.amdhsa_float_denorm_mode_16_64 3
		.amdhsa_dx10_clamp 1
		.amdhsa_ieee_mode 1
		.amdhsa_fp16_overflow 0
		.amdhsa_tg_split 0
		.amdhsa_exception_fp_ieee_invalid_op 0
		.amdhsa_exception_fp_denorm_src 0
		.amdhsa_exception_fp_ieee_div_zero 0
		.amdhsa_exception_fp_ieee_overflow 0
		.amdhsa_exception_fp_ieee_underflow 0
		.amdhsa_exception_fp_ieee_inexact 0
		.amdhsa_exception_int_div_zero 0
	.end_amdhsa_kernel
	.section	.text._ZN7rocprim17ROCPRIM_400000_NS6detail17trampoline_kernelINS0_14default_configENS1_27scan_by_key_config_selectorIj11FixedVectorIiLj8EEEEZZNS1_16scan_by_key_implILNS1_25lookback_scan_determinismE0ELb1ES3_N6thrust23THRUST_200600_302600_NS6detail15normal_iteratorINSB_10device_ptrIjEEEENSD_INSE_IS6_EEEESI_S6_NSB_4plusIvEENSB_8equal_toIvEES6_EE10hipError_tPvRmT2_T3_T4_T5_mT6_T7_P12ihipStream_tbENKUlT_T0_E_clISt17integral_constantIbLb1EES13_EEDaSY_SZ_EUlSY_E_NS1_11comp_targetILNS1_3genE5ELNS1_11target_archE942ELNS1_3gpuE9ELNS1_3repE0EEENS1_30default_config_static_selectorELNS0_4arch9wavefront6targetE1EEEvT1_,"axG",@progbits,_ZN7rocprim17ROCPRIM_400000_NS6detail17trampoline_kernelINS0_14default_configENS1_27scan_by_key_config_selectorIj11FixedVectorIiLj8EEEEZZNS1_16scan_by_key_implILNS1_25lookback_scan_determinismE0ELb1ES3_N6thrust23THRUST_200600_302600_NS6detail15normal_iteratorINSB_10device_ptrIjEEEENSD_INSE_IS6_EEEESI_S6_NSB_4plusIvEENSB_8equal_toIvEES6_EE10hipError_tPvRmT2_T3_T4_T5_mT6_T7_P12ihipStream_tbENKUlT_T0_E_clISt17integral_constantIbLb1EES13_EEDaSY_SZ_EUlSY_E_NS1_11comp_targetILNS1_3genE5ELNS1_11target_archE942ELNS1_3gpuE9ELNS1_3repE0EEENS1_30default_config_static_selectorELNS0_4arch9wavefront6targetE1EEEvT1_,comdat
.Lfunc_end2168:
	.size	_ZN7rocprim17ROCPRIM_400000_NS6detail17trampoline_kernelINS0_14default_configENS1_27scan_by_key_config_selectorIj11FixedVectorIiLj8EEEEZZNS1_16scan_by_key_implILNS1_25lookback_scan_determinismE0ELb1ES3_N6thrust23THRUST_200600_302600_NS6detail15normal_iteratorINSB_10device_ptrIjEEEENSD_INSE_IS6_EEEESI_S6_NSB_4plusIvEENSB_8equal_toIvEES6_EE10hipError_tPvRmT2_T3_T4_T5_mT6_T7_P12ihipStream_tbENKUlT_T0_E_clISt17integral_constantIbLb1EES13_EEDaSY_SZ_EUlSY_E_NS1_11comp_targetILNS1_3genE5ELNS1_11target_archE942ELNS1_3gpuE9ELNS1_3repE0EEENS1_30default_config_static_selectorELNS0_4arch9wavefront6targetE1EEEvT1_, .Lfunc_end2168-_ZN7rocprim17ROCPRIM_400000_NS6detail17trampoline_kernelINS0_14default_configENS1_27scan_by_key_config_selectorIj11FixedVectorIiLj8EEEEZZNS1_16scan_by_key_implILNS1_25lookback_scan_determinismE0ELb1ES3_N6thrust23THRUST_200600_302600_NS6detail15normal_iteratorINSB_10device_ptrIjEEEENSD_INSE_IS6_EEEESI_S6_NSB_4plusIvEENSB_8equal_toIvEES6_EE10hipError_tPvRmT2_T3_T4_T5_mT6_T7_P12ihipStream_tbENKUlT_T0_E_clISt17integral_constantIbLb1EES13_EEDaSY_SZ_EUlSY_E_NS1_11comp_targetILNS1_3genE5ELNS1_11target_archE942ELNS1_3gpuE9ELNS1_3repE0EEENS1_30default_config_static_selectorELNS0_4arch9wavefront6targetE1EEEvT1_
                                        ; -- End function
	.section	.AMDGPU.csdata,"",@progbits
; Kernel info:
; codeLenInByte = 0
; NumSgprs: 4
; NumVgprs: 0
; NumAgprs: 0
; TotalNumVgprs: 0
; ScratchSize: 0
; MemoryBound: 0
; FloatMode: 240
; IeeeMode: 1
; LDSByteSize: 0 bytes/workgroup (compile time only)
; SGPRBlocks: 0
; VGPRBlocks: 0
; NumSGPRsForWavesPerEU: 4
; NumVGPRsForWavesPerEU: 1
; AccumOffset: 4
; Occupancy: 8
; WaveLimiterHint : 0
; COMPUTE_PGM_RSRC2:SCRATCH_EN: 0
; COMPUTE_PGM_RSRC2:USER_SGPR: 6
; COMPUTE_PGM_RSRC2:TRAP_HANDLER: 0
; COMPUTE_PGM_RSRC2:TGID_X_EN: 1
; COMPUTE_PGM_RSRC2:TGID_Y_EN: 0
; COMPUTE_PGM_RSRC2:TGID_Z_EN: 0
; COMPUTE_PGM_RSRC2:TIDIG_COMP_CNT: 0
; COMPUTE_PGM_RSRC3_GFX90A:ACCUM_OFFSET: 0
; COMPUTE_PGM_RSRC3_GFX90A:TG_SPLIT: 0
	.section	.text._ZN7rocprim17ROCPRIM_400000_NS6detail17trampoline_kernelINS0_14default_configENS1_27scan_by_key_config_selectorIj11FixedVectorIiLj8EEEEZZNS1_16scan_by_key_implILNS1_25lookback_scan_determinismE0ELb1ES3_N6thrust23THRUST_200600_302600_NS6detail15normal_iteratorINSB_10device_ptrIjEEEENSD_INSE_IS6_EEEESI_S6_NSB_4plusIvEENSB_8equal_toIvEES6_EE10hipError_tPvRmT2_T3_T4_T5_mT6_T7_P12ihipStream_tbENKUlT_T0_E_clISt17integral_constantIbLb1EES13_EEDaSY_SZ_EUlSY_E_NS1_11comp_targetILNS1_3genE4ELNS1_11target_archE910ELNS1_3gpuE8ELNS1_3repE0EEENS1_30default_config_static_selectorELNS0_4arch9wavefront6targetE1EEEvT1_,"axG",@progbits,_ZN7rocprim17ROCPRIM_400000_NS6detail17trampoline_kernelINS0_14default_configENS1_27scan_by_key_config_selectorIj11FixedVectorIiLj8EEEEZZNS1_16scan_by_key_implILNS1_25lookback_scan_determinismE0ELb1ES3_N6thrust23THRUST_200600_302600_NS6detail15normal_iteratorINSB_10device_ptrIjEEEENSD_INSE_IS6_EEEESI_S6_NSB_4plusIvEENSB_8equal_toIvEES6_EE10hipError_tPvRmT2_T3_T4_T5_mT6_T7_P12ihipStream_tbENKUlT_T0_E_clISt17integral_constantIbLb1EES13_EEDaSY_SZ_EUlSY_E_NS1_11comp_targetILNS1_3genE4ELNS1_11target_archE910ELNS1_3gpuE8ELNS1_3repE0EEENS1_30default_config_static_selectorELNS0_4arch9wavefront6targetE1EEEvT1_,comdat
	.protected	_ZN7rocprim17ROCPRIM_400000_NS6detail17trampoline_kernelINS0_14default_configENS1_27scan_by_key_config_selectorIj11FixedVectorIiLj8EEEEZZNS1_16scan_by_key_implILNS1_25lookback_scan_determinismE0ELb1ES3_N6thrust23THRUST_200600_302600_NS6detail15normal_iteratorINSB_10device_ptrIjEEEENSD_INSE_IS6_EEEESI_S6_NSB_4plusIvEENSB_8equal_toIvEES6_EE10hipError_tPvRmT2_T3_T4_T5_mT6_T7_P12ihipStream_tbENKUlT_T0_E_clISt17integral_constantIbLb1EES13_EEDaSY_SZ_EUlSY_E_NS1_11comp_targetILNS1_3genE4ELNS1_11target_archE910ELNS1_3gpuE8ELNS1_3repE0EEENS1_30default_config_static_selectorELNS0_4arch9wavefront6targetE1EEEvT1_ ; -- Begin function _ZN7rocprim17ROCPRIM_400000_NS6detail17trampoline_kernelINS0_14default_configENS1_27scan_by_key_config_selectorIj11FixedVectorIiLj8EEEEZZNS1_16scan_by_key_implILNS1_25lookback_scan_determinismE0ELb1ES3_N6thrust23THRUST_200600_302600_NS6detail15normal_iteratorINSB_10device_ptrIjEEEENSD_INSE_IS6_EEEESI_S6_NSB_4plusIvEENSB_8equal_toIvEES6_EE10hipError_tPvRmT2_T3_T4_T5_mT6_T7_P12ihipStream_tbENKUlT_T0_E_clISt17integral_constantIbLb1EES13_EEDaSY_SZ_EUlSY_E_NS1_11comp_targetILNS1_3genE4ELNS1_11target_archE910ELNS1_3gpuE8ELNS1_3repE0EEENS1_30default_config_static_selectorELNS0_4arch9wavefront6targetE1EEEvT1_
	.globl	_ZN7rocprim17ROCPRIM_400000_NS6detail17trampoline_kernelINS0_14default_configENS1_27scan_by_key_config_selectorIj11FixedVectorIiLj8EEEEZZNS1_16scan_by_key_implILNS1_25lookback_scan_determinismE0ELb1ES3_N6thrust23THRUST_200600_302600_NS6detail15normal_iteratorINSB_10device_ptrIjEEEENSD_INSE_IS6_EEEESI_S6_NSB_4plusIvEENSB_8equal_toIvEES6_EE10hipError_tPvRmT2_T3_T4_T5_mT6_T7_P12ihipStream_tbENKUlT_T0_E_clISt17integral_constantIbLb1EES13_EEDaSY_SZ_EUlSY_E_NS1_11comp_targetILNS1_3genE4ELNS1_11target_archE910ELNS1_3gpuE8ELNS1_3repE0EEENS1_30default_config_static_selectorELNS0_4arch9wavefront6targetE1EEEvT1_
	.p2align	8
	.type	_ZN7rocprim17ROCPRIM_400000_NS6detail17trampoline_kernelINS0_14default_configENS1_27scan_by_key_config_selectorIj11FixedVectorIiLj8EEEEZZNS1_16scan_by_key_implILNS1_25lookback_scan_determinismE0ELb1ES3_N6thrust23THRUST_200600_302600_NS6detail15normal_iteratorINSB_10device_ptrIjEEEENSD_INSE_IS6_EEEESI_S6_NSB_4plusIvEENSB_8equal_toIvEES6_EE10hipError_tPvRmT2_T3_T4_T5_mT6_T7_P12ihipStream_tbENKUlT_T0_E_clISt17integral_constantIbLb1EES13_EEDaSY_SZ_EUlSY_E_NS1_11comp_targetILNS1_3genE4ELNS1_11target_archE910ELNS1_3gpuE8ELNS1_3repE0EEENS1_30default_config_static_selectorELNS0_4arch9wavefront6targetE1EEEvT1_,@function
_ZN7rocprim17ROCPRIM_400000_NS6detail17trampoline_kernelINS0_14default_configENS1_27scan_by_key_config_selectorIj11FixedVectorIiLj8EEEEZZNS1_16scan_by_key_implILNS1_25lookback_scan_determinismE0ELb1ES3_N6thrust23THRUST_200600_302600_NS6detail15normal_iteratorINSB_10device_ptrIjEEEENSD_INSE_IS6_EEEESI_S6_NSB_4plusIvEENSB_8equal_toIvEES6_EE10hipError_tPvRmT2_T3_T4_T5_mT6_T7_P12ihipStream_tbENKUlT_T0_E_clISt17integral_constantIbLb1EES13_EEDaSY_SZ_EUlSY_E_NS1_11comp_targetILNS1_3genE4ELNS1_11target_archE910ELNS1_3gpuE8ELNS1_3repE0EEENS1_30default_config_static_selectorELNS0_4arch9wavefront6targetE1EEEvT1_: ; @_ZN7rocprim17ROCPRIM_400000_NS6detail17trampoline_kernelINS0_14default_configENS1_27scan_by_key_config_selectorIj11FixedVectorIiLj8EEEEZZNS1_16scan_by_key_implILNS1_25lookback_scan_determinismE0ELb1ES3_N6thrust23THRUST_200600_302600_NS6detail15normal_iteratorINSB_10device_ptrIjEEEENSD_INSE_IS6_EEEESI_S6_NSB_4plusIvEENSB_8equal_toIvEES6_EE10hipError_tPvRmT2_T3_T4_T5_mT6_T7_P12ihipStream_tbENKUlT_T0_E_clISt17integral_constantIbLb1EES13_EEDaSY_SZ_EUlSY_E_NS1_11comp_targetILNS1_3genE4ELNS1_11target_archE910ELNS1_3gpuE8ELNS1_3repE0EEENS1_30default_config_static_selectorELNS0_4arch9wavefront6targetE1EEEvT1_
; %bb.0:
	s_load_dwordx2 s[46:47], s[6:7], 0x68
	s_load_dwordx8 s[20:27], s[6:7], 0x48
	s_add_u32 flat_scratch_lo, s8, s11
	s_addc_u32 flat_scratch_hi, s9, 0
	s_add_u32 s0, s0, s11
	v_and_b32_e32 v10, 0x3ff, v0
	s_addc_u32 s1, s1, 0
	v_cmp_ne_u32_e64 s[8:9], 0, v10
	v_cmp_eq_u32_e64 s[10:11], 0, v10
	s_and_saveexec_b64 s[12:13], s[10:11]
	s_cbranch_execz .LBB2169_4
; %bb.1:
	s_mov_b64 s[16:17], exec
	v_mbcnt_lo_u32_b32 v1, s16, 0
	v_mbcnt_hi_u32_b32 v1, s17, v1
	v_cmp_eq_u32_e32 vcc, 0, v1
                                        ; implicit-def: $vgpr2
	s_and_saveexec_b64 s[14:15], vcc
	s_cbranch_execz .LBB2169_3
; %bb.2:
	s_load_dwordx2 s[18:19], s[6:7], 0x98
	s_bcnt1_i32_b64 s16, s[16:17]
	v_mov_b32_e32 v2, 0
	v_mov_b32_e32 v3, s16
	s_waitcnt lgkmcnt(0)
	global_atomic_add v2, v2, v3, s[18:19] glc
.LBB2169_3:
	s_or_b64 exec, exec, s[14:15]
	s_waitcnt vmcnt(0)
	v_readfirstlane_b32 s14, v2
	v_add_u32_e32 v1, s14, v1
	v_mov_b32_e32 v2, 0
	ds_write_b32 v2, v1
.LBB2169_4:
	s_or_b64 exec, exec, s[12:13]
	s_load_dwordx8 s[12:19], s[6:7], 0x0
	s_load_dwordx8 s[36:43], s[6:7], 0x20
	s_waitcnt lgkmcnt(0)
	s_load_dword s27, s[6:7], 0x70
	s_load_dwordx4 s[28:31], s[6:7], 0x78
	v_mov_b32_e32 v1, 0
	s_waitcnt lgkmcnt(0)
	s_barrier
	ds_read_b32 v2, v1
	s_mov_b32 s6, 0
	s_waitcnt lgkmcnt(0)
	s_barrier
	v_readfirstlane_b32 s33, v2
	v_mov_b32_e32 v2, 0x140
	s_barrier
	buffer_store_dword v1, off, s[0:3], 0 offset:348
	buffer_store_dword v1, off, s[0:3], 0 offset:344
	;; [unrolled: 1-line block ×9, first 2 shown]
.LBB2169_5:                             ; =>This Inner Loop Header: Depth=1
	v_add_u32_e32 v3, s6, v2
	s_add_i32 s6, s6, 8
	s_cmp_lg_u32 s6, 32
	buffer_store_dword v1, v3, s[0:3], 0 offen offset:4
	buffer_store_dword v1, v3, s[0:3], 0 offen
	s_cbranch_scc1 .LBB2169_5
; %bb.6:
	v_mov_b32_e32 v2, 0x140
	v_mov_b32_e32 v1, 0
	s_mov_b32 s6, 36
	v_add_u32_e32 v18, 36, v2
	buffer_store_byte v1, off, s[0:3], 0 offset:352
	buffer_store_dword v1, off, s[0:3], 0 offset:368
	buffer_store_dword v1, off, s[0:3], 0 offset:364
	;; [unrolled: 1-line block ×9, first 2 shown]
.LBB2169_7:                             ; =>This Inner Loop Header: Depth=1
	v_add_u32_e32 v3, s6, v2
	s_add_i32 s6, s6, 8
	s_cmpk_lg_i32 s6, 0x44
	buffer_store_dword v1, v3, s[0:3], 0 offen offset:4
	buffer_store_dword v1, v3, s[0:3], 0 offen
	s_cbranch_scc1 .LBB2169_7
; %bb.8:
	v_mov_b32_e32 v2, 0x140
	v_mov_b32_e32 v1, 0
	s_movk_i32 s6, 0x48
	v_add_u32_e32 v19, 0x48, v2
	buffer_store_byte v1, off, s[0:3], 0 offset:388
	buffer_store_dword v1, off, s[0:3], 0 offset:404
	buffer_store_dword v1, off, s[0:3], 0 offset:400
	;; [unrolled: 1-line block ×9, first 2 shown]
.LBB2169_9:                             ; =>This Inner Loop Header: Depth=1
	v_add_u32_e32 v3, s6, v2
	s_add_i32 s6, s6, 8
	s_cmpk_lg_i32 s6, 0x68
	buffer_store_dword v1, v3, s[0:3], 0 offen offset:4
	buffer_store_dword v1, v3, s[0:3], 0 offen
	s_cbranch_scc1 .LBB2169_9
; %bb.10:
	v_mov_b32_e32 v2, s37
	buffer_store_dword v2, off, s[0:3], 0 offset:100
	v_mov_b32_e32 v2, s36
	buffer_store_dword v2, off, s[0:3], 0 offset:96
	;; [unrolled: 2-line block ×7, first 2 shown]
	v_mov_b32_e32 v2, s42
	s_mov_b32 s6, 0
	v_mov_b32_e32 v1, 0
	buffer_store_dword v2, off, s[0:3], 0 offset:120
	v_mov_b32_e32 v2, 0
	buffer_store_byte v1, off, s[0:3], 0 offset:424
.LBB2169_11:                            ; =>This Inner Loop Header: Depth=1
	v_add_u32_e32 v3, s6, v2
	s_add_i32 s6, s6, 8
	s_cmp_lg_u32 s6, 32
	buffer_store_dword v1, v3, s[0:3], 0 offen offset:4
	buffer_store_dword v1, v3, s[0:3], 0 offen
	s_cbranch_scc1 .LBB2169_11
; %bb.12:
	s_mov_b32 s6, 32
	v_mov_b32_e32 v1, 0
	v_mov_b32_e32 v2, 0
.LBB2169_13:                            ; =>This Inner Loop Header: Depth=1
	v_add_u32_e32 v3, s6, v1
	s_add_i32 s6, s6, 8
	s_cmp_lg_u32 s6, 64
	buffer_store_dword v2, v3, s[0:3], 0 offen offset:4
	buffer_store_dword v2, v3, s[0:3], 0 offen
	s_cbranch_scc1 .LBB2169_13
; %bb.14:
	s_mov_b32 s6, 64
	v_mov_b32_e32 v1, 0
	v_mov_b32_e32 v2, 0
.LBB2169_15:                            ; =>This Inner Loop Header: Depth=1
	v_add_u32_e32 v3, s6, v1
	s_add_i32 s6, s6, 8
	s_cmpk_lg_i32 s6, 0x60
	buffer_store_dword v2, v3, s[0:3], 0 offen offset:4
	buffer_store_dword v2, v3, s[0:3], 0 offen
	s_cbranch_scc1 .LBB2169_15
; %bb.16:
	s_lshl_b64 s[6:7], s[14:15], 2
	s_add_u32 s44, s12, s6
	s_addc_u32 s45, s13, s7
	s_lshl_b64 s[34:35], s[14:15], 5
	s_add_u32 s14, s16, s34
	s_mul_i32 s6, s47, s27
	s_mul_hi_u32 s7, s46, s27
	s_addc_u32 s15, s17, s35
	s_add_i32 s16, s7, s6
	s_mul_i32 s6, s33, 0x300
	s_mov_b32 s7, 0
	s_lshl_b64 s[12:13], s[6:7], 2
	s_add_u32 s48, s44, s12
	s_addc_u32 s49, s45, s13
	s_lshl_b64 s[44:45], s[6:7], 5
	s_add_u32 s54, s14, s44
	s_mul_i32 s17, s46, s27
	s_addc_u32 s55, s15, s45
	s_add_u32 s6, s17, s33
	s_addc_u32 s7, s16, 0
	s_add_u32 s12, s28, -1
	v_mov_b32_e32 v2, 0
	s_addc_u32 s13, s29, -1
	v_add_u32_e32 v1, 64, v2
	v_add_u32_e32 v4, 32, v2
	v_pk_mov_b32 v[2:3], s[12:13], s[12:13] op_sel:[0,1]
	v_cmp_ge_u64_e64 s[6:7], s[6:7], v[2:3]
	s_mov_b64 s[14:15], -1
	s_and_b64 vcc, exec, s[6:7]
	s_mul_i32 s27, s12, 0xfffffd00
	s_cbranch_vccz .LBB2169_36
; %bb.17:
	v_pk_mov_b32 v[2:3], s[48:49], s[48:49] op_sel:[0,1]
	flat_load_dword v3, v[2:3]
	s_add_i32 s56, s27, s26
	v_cmp_gt_u32_e64 s[14:15], s56, v10
	s_waitcnt vmcnt(0) lgkmcnt(0)
	v_mov_b32_e32 v2, v3
	s_and_saveexec_b64 s[12:13], s[14:15]
	s_cbranch_execz .LBB2169_19
; %bb.18:
	v_lshlrev_b32_e32 v2, 2, v10
	v_mov_b32_e32 v5, s49
	v_add_co_u32_e32 v6, vcc, s48, v2
	v_addc_co_u32_e32 v7, vcc, 0, v5, vcc
	flat_load_dword v2, v[6:7]
.LBB2169_19:
	s_or_b64 exec, exec, s[12:13]
	v_or_b32_e32 v7, 0x100, v10
	v_cmp_gt_u32_e64 s[12:13], s56, v7
	v_mov_b32_e32 v5, v3
	s_and_saveexec_b64 s[16:17], s[12:13]
	s_cbranch_execz .LBB2169_21
; %bb.20:
	v_lshlrev_b32_e32 v5, 2, v10
	v_mov_b32_e32 v6, s49
	v_add_co_u32_e32 v8, vcc, s48, v5
	v_addc_co_u32_e32 v9, vcc, 0, v6, vcc
	flat_load_dword v5, v[8:9] offset:1024
.LBB2169_21:
	s_or_b64 exec, exec, s[16:17]
	v_or_b32_e32 v9, 0x200, v10
	v_cmp_gt_u32_e32 vcc, s56, v9
	v_cmp_le_u32_e64 s[16:17], s56, v9
	s_and_saveexec_b64 s[28:29], s[16:17]
	s_xor_b64 s[16:17], exec, s[28:29]
; %bb.22:
	v_mov_b32_e32 v11, 0
; %bb.23:
	s_andn2_saveexec_b64 s[28:29], s[16:17]
	s_cbranch_execz .LBB2169_25
; %bb.24:
	v_lshlrev_b32_e32 v3, 2, v10
	v_mov_b32_e32 v6, s49
	v_add_co_u32_e64 v12, s[16:17], s48, v3
	v_addc_co_u32_e64 v13, s[16:17], 0, v6, s[16:17]
	flat_load_dword v3, v[12:13] offset:2048
	v_mov_b32_e32 v11, 0
.LBB2169_25:
	s_or_b64 exec, exec, s[28:29]
	v_lshlrev_b32_e32 v8, 2, v10
	s_waitcnt vmcnt(0) lgkmcnt(0)
	ds_write2st64_b32 v8, v2, v5 offset1:4
	ds_write_b32 v8, v3 offset:2048
	v_pk_mov_b32 v[2:3], s[48:49], s[48:49] op_sel:[0,1]
	s_waitcnt lgkmcnt(0)
	s_barrier
	flat_load_dword v5, v[2:3]
	v_lshl_add_u32 v2, v10, 3, v8
	ds_read_b32 v6, v2
	ds_read2_b32 v[2:3], v2 offset0:1 offset1:2
	s_movk_i32 s16, 0xff
	v_cmp_ne_u32_e64 s[16:17], s16, v10
	s_waitcnt lgkmcnt(0)
	ds_write_b32 v8, v6 offset:4096
	s_waitcnt lgkmcnt(0)
	s_barrier
	s_and_saveexec_b64 s[28:29], s[16:17]
	s_cbranch_execz .LBB2169_27
; %bb.26:
	s_waitcnt vmcnt(0)
	ds_read_b32 v5, v8 offset:4100
.LBB2169_27:
	s_or_b64 exec, exec, s[28:29]
	s_waitcnt lgkmcnt(0)
	s_barrier
	s_and_saveexec_b64 s[16:17], s[14:15]
	s_cbranch_execnz .LBB2169_446
; %bb.28:
	s_or_b64 exec, exec, s[16:17]
	s_and_saveexec_b64 s[14:15], s[12:13]
	s_cbranch_execnz .LBB2169_447
.LBB2169_29:
	s_or_b64 exec, exec, s[14:15]
	v_mul_u32_u24_e32 v7, 3, v10
	s_and_saveexec_b64 s[12:13], vcc
	s_cbranch_execz .LBB2169_31
.LBB2169_30:
	v_lshlrev_b32_e32 v9, 5, v9
	v_mov_b32_e32 v11, s55
	v_add_co_u32_e32 v16, vcc, s54, v9
	v_addc_co_u32_e32 v17, vcc, 0, v11, vcc
	flat_load_dwordx4 v[12:15], v[16:17]
	flat_load_dwordx4 v[20:23], v[16:17] offset:16
                                        ; kill: killed $vgpr16 killed $vgpr17
	s_waitcnt vmcnt(0) lgkmcnt(0)
	buffer_store_dword v13, off, s[0:3], 0 offset:68
	buffer_store_dword v12, off, s[0:3], 0 offset:64
	;; [unrolled: 1-line block ×8, first 2 shown]
.LBB2169_31:
	s_or_b64 exec, exec, s[12:13]
	buffer_load_dword v12, off, s[0:3], 0
	buffer_load_dword v13, off, s[0:3], 0 offset:4
	buffer_load_dword v14, off, s[0:3], 0 offset:8
	;; [unrolled: 1-line block ×7, first 2 shown]
	buffer_load_dword v24, v4, s[0:3], 0 offen
	buffer_load_dword v25, v4, s[0:3], 0 offen offset:4
	buffer_load_dword v26, v4, s[0:3], 0 offen offset:8
	;; [unrolled: 1-line block ×7, first 2 shown]
	buffer_load_dword v32, v1, s[0:3], 0 offen
	buffer_load_dword v33, v1, s[0:3], 0 offen offset:4
	buffer_load_dword v34, v1, s[0:3], 0 offen offset:8
	;; [unrolled: 1-line block ×7, first 2 shown]
	v_mad_u32_u24 v8, v10, 28, v8
	v_lshl_add_u32 v9, v10, 6, v8
	v_cmp_gt_u32_e32 vcc, s56, v7
	s_mov_b64 s[14:15], 0
	s_mov_b64 s[28:29], 0
                                        ; implicit-def: $sgpr12_sgpr13
	s_waitcnt vmcnt(0)
	ds_write_b128 v8, v[12:15]
	ds_write_b128 v8, v[20:23] offset:16
	ds_write_b128 v8, v[24:27] offset:8192
	;; [unrolled: 1-line block ×5, first 2 shown]
	s_waitcnt lgkmcnt(0)
	s_barrier
	ds_read_b128 v[12:15], v9
	ds_read_b128 v[20:23], v9 offset:16
	ds_read_b128 v[24:27], v9 offset:32
	ds_read_b128 v[28:31], v9 offset:48
	ds_read_b128 v[32:35], v9 offset:64
	ds_read_b128 v[36:39], v9 offset:80
	s_waitcnt lgkmcnt(5)
	buffer_store_dword v15, off, s[0:3], 0 offset:12
	buffer_store_dword v14, off, s[0:3], 0 offset:8
	;; [unrolled: 1-line block ×3, first 2 shown]
	buffer_store_dword v12, off, s[0:3], 0
	s_waitcnt lgkmcnt(4)
	buffer_store_dword v23, off, s[0:3], 0 offset:28
	buffer_store_dword v22, off, s[0:3], 0 offset:24
	;; [unrolled: 1-line block ×4, first 2 shown]
	s_waitcnt lgkmcnt(3)
	buffer_store_dword v27, v4, s[0:3], 0 offen offset:12
	buffer_store_dword v26, v4, s[0:3], 0 offen offset:8
	;; [unrolled: 1-line block ×3, first 2 shown]
	buffer_store_dword v24, v4, s[0:3], 0 offen
	s_waitcnt lgkmcnt(2)
	buffer_store_dword v31, v4, s[0:3], 0 offen offset:28
	buffer_store_dword v30, v4, s[0:3], 0 offen offset:24
	;; [unrolled: 1-line block ×4, first 2 shown]
	s_waitcnt lgkmcnt(1)
	buffer_store_dword v35, v1, s[0:3], 0 offen offset:12
	buffer_store_dword v34, v1, s[0:3], 0 offen offset:8
	;; [unrolled: 1-line block ×3, first 2 shown]
	buffer_store_dword v32, v1, s[0:3], 0 offen
	s_waitcnt lgkmcnt(0)
	buffer_store_dword v39, v1, s[0:3], 0 offen offset:28
	buffer_store_dword v38, v1, s[0:3], 0 offen offset:24
	;; [unrolled: 1-line block ×4, first 2 shown]
	s_and_saveexec_b64 s[16:17], vcc
	s_cbranch_execz .LBB2169_35
; %bb.32:
	v_cmp_ne_u32_e32 vcc, v6, v2
	v_mov_b32_e32 v6, 0x60
	v_mov_b32_e32 v9, 0
	v_cndmask_b32_e32 v9, v9, v6, vcc
	buffer_load_dword v11, v9, s[0:3], 0 offen offset:12
	buffer_load_dword v12, v9, s[0:3], 0 offen offset:8
	;; [unrolled: 1-line block ×3, first 2 shown]
	buffer_load_dword v14, v9, s[0:3], 0 offen
	buffer_load_dword v15, v9, s[0:3], 0 offen offset:28
	buffer_load_dword v16, v9, s[0:3], 0 offen offset:24
	;; [unrolled: 1-line block ×4, first 2 shown]
                                        ; kill: killed $vgpr9
	v_add_u32_e32 v9, 1, v7
	v_cndmask_b32_e64 v8, 0, 1, vcc
	v_cmp_gt_u32_e32 vcc, s56, v9
	s_mov_b64 s[52:53], 0
	buffer_store_byte v8, off, s[0:3], 0 offset:352
                                        ; implicit-def: $sgpr50_sgpr51
	s_waitcnt vmcnt(8)
	buffer_store_dword v11, off, s[0:3], 0 offset:332
	s_waitcnt vmcnt(8)
	buffer_store_dword v12, off, s[0:3], 0 offset:328
	s_waitcnt vmcnt(8)
	buffer_store_dword v13, off, s[0:3], 0 offset:324
	s_waitcnt vmcnt(8)
	buffer_store_dword v14, off, s[0:3], 0 offset:320
	s_waitcnt vmcnt(8)
	buffer_store_dword v15, off, s[0:3], 0 offset:348
	s_waitcnt vmcnt(8)
	buffer_store_dword v16, off, s[0:3], 0 offset:344
	s_waitcnt vmcnt(8)
	buffer_store_dword v17, off, s[0:3], 0 offset:340
	s_waitcnt vmcnt(8)
	buffer_store_dword v20, off, s[0:3], 0 offset:336
	s_and_saveexec_b64 s[12:13], vcc
	s_xor_b64 s[28:29], exec, s[12:13]
	s_cbranch_execz .LBB2169_34
; %bb.33:
	v_cmp_ne_u32_e32 vcc, v2, v3
	v_cndmask_b32_e32 v6, v4, v6, vcc
	buffer_load_dword v8, v6, s[0:3], 0 offen offset:12
	buffer_load_dword v9, v6, s[0:3], 0 offen offset:8
	;; [unrolled: 1-line block ×3, first 2 shown]
	buffer_load_dword v12, v6, s[0:3], 0 offen
	buffer_load_dword v13, v6, s[0:3], 0 offen offset:28
	buffer_load_dword v14, v6, s[0:3], 0 offen offset:24
	;; [unrolled: 1-line block ×4, first 2 shown]
	v_cndmask_b32_e64 v2, 0, 1, vcc
	v_cmp_ne_u32_e32 vcc, v3, v5
	v_add_u32_e32 v3, 2, v7
	v_cmp_gt_u32_e64 s[12:13], s56, v3
                                        ; kill: killed $vgpr6
	buffer_store_byte v2, off, s[0:3], 0 offset:388
	s_and_b64 s[50:51], vcc, exec
	s_and_b64 s[52:53], s[12:13], exec
	s_waitcnt vmcnt(8)
	buffer_store_dword v8, v18, s[0:3], 0 offen offset:12
	s_waitcnt vmcnt(8)
	buffer_store_dword v9, v18, s[0:3], 0 offen offset:8
	;; [unrolled: 2-line block ×3, first 2 shown]
	s_waitcnt vmcnt(8)
	buffer_store_dword v12, v18, s[0:3], 0 offen
	s_waitcnt vmcnt(8)
	buffer_store_dword v13, v18, s[0:3], 0 offen offset:28
	s_waitcnt vmcnt(8)
	buffer_store_dword v14, v18, s[0:3], 0 offen offset:24
	;; [unrolled: 2-line block ×4, first 2 shown]
.LBB2169_34:
	s_or_b64 exec, exec, s[28:29]
	s_and_b64 s[12:13], s[50:51], exec
	s_and_b64 s[28:29], s[52:53], exec
.LBB2169_35:
	s_or_b64 exec, exec, s[16:17]
	s_and_b64 vcc, exec, s[14:15]
	s_cbranch_vccnz .LBB2169_37
	s_branch .LBB2169_40
.LBB2169_36:
	s_mov_b64 s[28:29], 0
                                        ; implicit-def: $sgpr12_sgpr13
	s_and_b64 vcc, exec, s[14:15]
	s_cbranch_vccz .LBB2169_40
.LBB2169_37:
	v_lshlrev_b32_e32 v6, 2, v10
	v_mov_b32_e32 v3, s49
	v_add_co_u32_e32 v2, vcc, s48, v6
	v_addc_co_u32_e32 v3, vcc, 0, v3, vcc
	flat_load_dword v5, v[2:3]
	flat_load_dword v7, v[2:3] offset:1024
	flat_load_dword v8, v[2:3] offset:2048
	v_pk_mov_b32 v[2:3], s[48:49], s[48:49] op_sel:[0,1]
	s_movk_i32 s12, 0xff
	v_cmp_ne_u32_e32 vcc, s12, v10
	s_waitcnt vmcnt(0) lgkmcnt(0)
	ds_write2st64_b32 v6, v5, v7 offset1:4
	ds_write_b32 v6, v8 offset:2048
	s_waitcnt lgkmcnt(0)
	s_barrier
	flat_load_dword v5, v[2:3] offset:3072
	v_lshl_add_u32 v2, v10, 3, v6
	ds_read_b32 v7, v2
	ds_read2_b32 v[2:3], v2 offset0:1 offset1:2
	s_waitcnt lgkmcnt(0)
	ds_write_b32 v6, v7 offset:4096
	s_waitcnt lgkmcnt(0)
	s_barrier
	s_and_saveexec_b64 s[12:13], vcc
	s_cbranch_execz .LBB2169_39
; %bb.38:
	s_waitcnt vmcnt(0)
	ds_read_b32 v5, v6 offset:4100
.LBB2169_39:
	s_or_b64 exec, exec, s[12:13]
	v_lshlrev_b32_e32 v8, 5, v10
	v_mov_b32_e32 v9, s55
	v_add_co_u32_e32 v8, vcc, s54, v8
	v_addc_co_u32_e32 v9, vcc, 0, v9, vcc
	s_waitcnt lgkmcnt(0)
	s_barrier
	flat_load_dwordx4 v[12:15], v[8:9]
	flat_load_dwordx4 v[20:23], v[8:9] offset:16
	s_movk_i32 s12, 0x2000
	v_add_co_u32_e32 v16, vcc, s12, v8
	v_addc_co_u32_e32 v17, vcc, 0, v9, vcc
	s_movk_i32 s12, 0x4000
	v_add_co_u32_e32 v8, vcc, s12, v8
	v_addc_co_u32_e32 v9, vcc, 0, v9, vcc
	v_cmp_ne_u32_e32 vcc, v7, v2
	v_cmp_ne_u32_e64 s[12:13], v2, v3
	v_mad_u32_u24 v2, v10, 28, v6
	v_mov_b32_e32 v6, 0
	v_lshl_add_u32 v40, v10, 6, v2
                                        ; kill: killed $vgpr8 killed $vgpr9
	v_cndmask_b32_e64 v11, 0, 1, vcc
	s_mov_b64 s[28:29], -1
	s_waitcnt vmcnt(0) lgkmcnt(0)
	buffer_store_dword v13, off, s[0:3], 0 offset:4
	buffer_store_dword v12, off, s[0:3], 0
	buffer_store_dword v15, off, s[0:3], 0 offset:12
	buffer_store_dword v14, off, s[0:3], 0 offset:8
	;; [unrolled: 1-line block ×6, first 2 shown]
	flat_load_dwordx4 v[24:27], v[16:17]
	flat_load_dwordx4 v[28:31], v[16:17] offset:16
	v_mov_b32_e32 v17, 0x60
	v_cndmask_b32_e32 v41, v6, v17, vcc
	v_cndmask_b32_e64 v16, 0, 1, s[12:13]
                                        ; kill: killed $vgpr41
	s_waitcnt vmcnt(0) lgkmcnt(0)
	buffer_store_dword v25, off, s[0:3], 0 offset:36
	buffer_store_dword v24, off, s[0:3], 0 offset:32
	;; [unrolled: 1-line block ×8, first 2 shown]
	flat_load_dwordx4 v[24:27], v[8:9]
	s_nop 0
	flat_load_dwordx4 v[28:31], v[8:9] offset:16
	buffer_load_dword v35, v4, s[0:3], 0 offen offset:28
	buffer_load_dword v34, v4, s[0:3], 0 offen offset:24
	;; [unrolled: 1-line block ×7, first 2 shown]
	buffer_load_dword v36, v4, s[0:3], 0 offen
	s_waitcnt vmcnt(0) lgkmcnt(0)
	buffer_store_dword v25, off, s[0:3], 0 offset:68
	buffer_store_dword v24, off, s[0:3], 0 offset:64
	;; [unrolled: 1-line block ×8, first 2 shown]
	buffer_load_dword v24, v1, s[0:3], 0 offen offset:16
	buffer_load_dword v25, v1, s[0:3], 0 offen offset:20
	;; [unrolled: 1-line block ×4, first 2 shown]
	buffer_load_dword v28, v1, s[0:3], 0 offen
	buffer_load_dword v29, v1, s[0:3], 0 offen offset:4
	buffer_load_dword v30, v1, s[0:3], 0 offen offset:8
	;; [unrolled: 1-line block ×3, first 2 shown]
	ds_write_b128 v2, v[20:23] offset:16
	ds_write_b128 v2, v[12:15]
	ds_write_b128 v2, v[36:39] offset:8192
	ds_write_b128 v2, v[32:35] offset:8208
	s_waitcnt vmcnt(4)
	ds_write_b128 v2, v[24:27] offset:16400
	s_waitcnt vmcnt(0)
	ds_write_b128 v2, v[28:31] offset:16384
	s_waitcnt lgkmcnt(0)
	s_barrier
	ds_read_b128 v[6:9], v40
	ds_read_b128 v[12:15], v40 offset:16
	ds_read_b128 v[20:23], v40 offset:32
	ds_read_b128 v[24:27], v40 offset:48
	s_waitcnt lgkmcnt(3)
	buffer_store_dword v9, off, s[0:3], 0 offset:12
	buffer_store_dword v8, off, s[0:3], 0 offset:8
	;; [unrolled: 1-line block ×3, first 2 shown]
	buffer_store_dword v6, off, s[0:3], 0
	s_waitcnt lgkmcnt(2)
	buffer_store_dword v15, off, s[0:3], 0 offset:28
	buffer_store_dword v14, off, s[0:3], 0 offset:24
	;; [unrolled: 1-line block ×4, first 2 shown]
	s_waitcnt lgkmcnt(1)
	buffer_store_dword v23, v4, s[0:3], 0 offen offset:12
	v_cndmask_b32_e64 v2, v4, v17, s[12:13]
	buffer_load_dword v12, v41, s[0:3], 0 offen
	buffer_load_dword v13, v41, s[0:3], 0 offen offset:4
	buffer_load_dword v14, v41, s[0:3], 0 offen offset:8
	buffer_load_dword v15, v41, s[0:3], 0 offen offset:12
	buffer_load_dword v17, v41, s[0:3], 0 offen offset:16
	buffer_load_dword v23, v41, s[0:3], 0 offen offset:20
	buffer_load_dword v28, v41, s[0:3], 0 offen offset:24
	buffer_load_dword v29, v41, s[0:3], 0 offen offset:28
	s_nop 0
	buffer_store_dword v22, v4, s[0:3], 0 offen offset:8
	buffer_store_dword v21, v4, s[0:3], 0 offen offset:4
	buffer_store_dword v20, v4, s[0:3], 0 offen
	s_waitcnt lgkmcnt(0)
	buffer_store_dword v27, v4, s[0:3], 0 offen offset:28
	buffer_store_dword v26, v4, s[0:3], 0 offen offset:24
	;; [unrolled: 1-line block ×4, first 2 shown]
	buffer_load_dword v20, v2, s[0:3], 0 offen offset:28
	buffer_load_dword v21, v2, s[0:3], 0 offen offset:24
	;; [unrolled: 1-line block ×3, first 2 shown]
	s_nop 0
	buffer_load_dword v24, v2, s[0:3], 0 offen offset:16
	buffer_load_dword v25, v2, s[0:3], 0 offen offset:12
	;; [unrolled: 1-line block ×4, first 2 shown]
	buffer_load_dword v30, v2, s[0:3], 0 offen
	ds_read_b128 v[6:9], v40 offset:64
	v_cmp_ne_u32_e64 s[12:13], v3, v5
                                        ; kill: killed $vgpr2
	ds_read_b128 v[2:5], v40 offset:80
	buffer_store_byte v11, off, s[0:3], 0 offset:352
	buffer_store_byte v16, off, s[0:3], 0 offset:388
	s_waitcnt lgkmcnt(1)
	buffer_store_dword v9, v1, s[0:3], 0 offen offset:12
	buffer_store_dword v8, v1, s[0:3], 0 offen offset:8
	;; [unrolled: 1-line block ×3, first 2 shown]
	buffer_store_dword v6, v1, s[0:3], 0 offen
	s_waitcnt lgkmcnt(0)
	buffer_store_dword v5, v1, s[0:3], 0 offen offset:28
	buffer_store_dword v4, v1, s[0:3], 0 offen offset:24
	;; [unrolled: 1-line block ×4, first 2 shown]
	s_waitcnt vmcnt(25)
	buffer_store_dword v29, off, s[0:3], 0 offset:348
	buffer_store_dword v28, off, s[0:3], 0 offset:344
	;; [unrolled: 1-line block ×8, first 2 shown]
	s_waitcnt vmcnt(25)
	buffer_store_dword v20, v18, s[0:3], 0 offen offset:28
	s_waitcnt vmcnt(25)
	buffer_store_dword v21, v18, s[0:3], 0 offen offset:24
	;; [unrolled: 2-line block ×7, first 2 shown]
	s_waitcnt vmcnt(25)
	buffer_store_dword v30, v18, s[0:3], 0 offen
.LBB2169_40:
	s_and_saveexec_b64 s[14:15], s[28:29]
	s_cbranch_execz .LBB2169_42
; %bb.41:
	v_mov_b32_e32 v2, 0x60
	v_cndmask_b32_e64 v1, v1, v2, s[12:13]
	buffer_load_dword v2, v1, s[0:3], 0 offen offset:12
	buffer_load_dword v3, v1, s[0:3], 0 offen offset:8
	;; [unrolled: 1-line block ×3, first 2 shown]
	buffer_load_dword v5, v1, s[0:3], 0 offen
	buffer_load_dword v6, v1, s[0:3], 0 offen offset:28
	buffer_load_dword v7, v1, s[0:3], 0 offen offset:24
	;; [unrolled: 1-line block ×4, first 2 shown]
                                        ; kill: killed $vgpr1
	v_cndmask_b32_e64 v1, 0, 1, s[12:13]
	s_waitcnt vmcnt(7)
	buffer_store_dword v2, v19, s[0:3], 0 offen offset:12
	s_waitcnt vmcnt(7)
	buffer_store_dword v3, v19, s[0:3], 0 offen offset:8
	;; [unrolled: 2-line block ×3, first 2 shown]
	s_waitcnt vmcnt(7)
	buffer_store_dword v5, v19, s[0:3], 0 offen
	s_waitcnt vmcnt(7)
	buffer_store_dword v6, v19, s[0:3], 0 offen offset:28
	s_waitcnt vmcnt(7)
	buffer_store_dword v7, v19, s[0:3], 0 offen offset:24
	;; [unrolled: 2-line block ×4, first 2 shown]
	buffer_store_byte v1, off, s[0:3], 0 offset:424
.LBB2169_42:
	s_or_b64 exec, exec, s[14:15]
	s_cmp_lg_u32 s33, 0
	s_barrier
	s_cbranch_scc0 .LBB2169_317
; %bb.43:
	buffer_load_dword v2, off, s[0:3], 0 offset:332
	buffer_load_dword v3, off, s[0:3], 0 offset:328
	;; [unrolled: 1-line block ×9, first 2 shown]
	buffer_load_ubyte v11, off, s[0:3], 0 offset:388
	s_waitcnt vmcnt(9)
	buffer_store_dword v2, off, s[0:3], 0 offset:252
	s_waitcnt vmcnt(9)
	buffer_store_dword v3, off, s[0:3], 0 offset:248
	;; [unrolled: 2-line block ×9, first 2 shown]
	s_waitcnt vmcnt(9)
	v_cmp_ne_u16_e32 vcc, 0, v11
                                        ; implicit-def: $vgpr8_vgpr9
                                        ; implicit-def: $vgpr6_vgpr7
                                        ; implicit-def: $vgpr4_vgpr5
                                        ; implicit-def: $vgpr2_vgpr3
	s_and_saveexec_b64 s[12:13], vcc
	s_xor_b64 s[12:13], exec, s[12:13]
	s_cbranch_execz .LBB2169_45
; %bb.44:
	buffer_load_dword v2, off, s[0:3], 0 offset:356
	buffer_load_dword v3, off, s[0:3], 0 offset:360
	;; [unrolled: 1-line block ×8, first 2 shown]
.LBB2169_45:
	s_andn2_saveexec_b64 s[12:13], s[12:13]
	s_cbranch_execz .LBB2169_51
; %bb.46:
	s_mov_b32 s14, 0
	s_waitcnt vmcnt(7)
	v_mov_b32_e32 v2, 0
	s_waitcnt vmcnt(6)
	v_mov_b32_e32 v3, 0
	s_waitcnt vmcnt(0)
.LBB2169_47:                            ; =>This Inner Loop Header: Depth=1
	v_add_u32_e32 v4, s14, v2
	s_add_i32 s14, s14, 8
	s_cmp_lg_u32 s14, 32
	buffer_store_dword v3, v4, s[0:3], 0 offen offset:4
	buffer_store_dword v3, v4, s[0:3], 0 offen
	s_cbranch_scc1 .LBB2169_47
; %bb.48:
	s_mov_b32 s14, 0
	v_mov_b32_e32 v2, 0xf0
	v_mov_b32_e32 v3, 0x140
	;; [unrolled: 1-line block ×3, first 2 shown]
.LBB2169_49:                            ; =>This Inner Loop Header: Depth=1
	v_add_u32_e32 v5, s14, v2
	v_add_u32_e32 v6, s14, v3
	buffer_load_dword v7, v5, s[0:3], 0 offen offset:4
	buffer_load_dword v8, v6, s[0:3], 0 offen offset:36
	buffer_load_dword v9, v5, s[0:3], 0 offen
	buffer_load_dword v12, v6, s[0:3], 0 offen offset:40
	v_add_u32_e32 v5, s14, v4
	s_add_i32 s14, s14, 8
	s_cmp_lg_u32 s14, 32
	s_waitcnt vmcnt(1)
	v_add_u32_e32 v6, v8, v9
	s_waitcnt vmcnt(0)
	v_add_u32_e32 v7, v12, v7
	buffer_store_dword v7, v5, s[0:3], 0 offen offset:4
	buffer_store_dword v6, v5, s[0:3], 0 offen
	s_cbranch_scc1 .LBB2169_49
; %bb.50:
	buffer_load_dword v2, off, s[0:3], 0
	buffer_load_dword v3, off, s[0:3], 0 offset:4
	buffer_load_dword v4, off, s[0:3], 0 offset:8
	;; [unrolled: 1-line block ×7, first 2 shown]
.LBB2169_51:
	s_or_b64 exec, exec, s[12:13]
	buffer_load_ubyte v12, off, s[0:3], 0 offset:424
	s_waitcnt vmcnt(7)
	buffer_store_dword v3, off, s[0:3], 0 offset:244
	buffer_store_dword v2, off, s[0:3], 0 offset:240
	s_waitcnt vmcnt(7)
	buffer_store_dword v5, off, s[0:3], 0 offset:252
	buffer_store_dword v4, off, s[0:3], 0 offset:248
	;; [unrolled: 3-line block ×4, first 2 shown]
                                        ; implicit-def: $vgpr8_vgpr9
                                        ; implicit-def: $vgpr6_vgpr7
                                        ; implicit-def: $vgpr4_vgpr5
                                        ; implicit-def: $vgpr2_vgpr3
	s_waitcnt vmcnt(8)
	v_cmp_ne_u16_e32 vcc, 0, v12
	s_and_saveexec_b64 s[12:13], vcc
	s_xor_b64 s[12:13], exec, s[12:13]
	s_cbranch_execz .LBB2169_53
; %bb.52:
	buffer_load_dword v2, off, s[0:3], 0 offset:392
	buffer_load_dword v3, off, s[0:3], 0 offset:396
	;; [unrolled: 1-line block ×8, first 2 shown]
.LBB2169_53:
	s_andn2_saveexec_b64 s[12:13], s[12:13]
	s_cbranch_execz .LBB2169_59
; %bb.54:
	s_mov_b32 s14, 0
	s_waitcnt vmcnt(7)
	v_mov_b32_e32 v2, 0
	s_waitcnt vmcnt(6)
	v_mov_b32_e32 v3, 0
	s_waitcnt vmcnt(0)
.LBB2169_55:                            ; =>This Inner Loop Header: Depth=1
	v_add_u32_e32 v4, s14, v2
	s_add_i32 s14, s14, 8
	s_cmp_lg_u32 s14, 32
	buffer_store_dword v3, v4, s[0:3], 0 offen offset:4
	buffer_store_dword v3, v4, s[0:3], 0 offen
	s_cbranch_scc1 .LBB2169_55
; %bb.56:
	s_mov_b32 s14, 0
	v_mov_b32_e32 v2, 0xf0
	v_mov_b32_e32 v3, 0x140
	v_mov_b32_e32 v4, 0
.LBB2169_57:                            ; =>This Inner Loop Header: Depth=1
	v_add_u32_e32 v5, s14, v2
	v_add_u32_e32 v6, s14, v3
	buffer_load_dword v7, v5, s[0:3], 0 offen offset:4
	buffer_load_dword v8, v6, s[0:3], 0 offen offset:72
	buffer_load_dword v9, v5, s[0:3], 0 offen
	buffer_load_dword v13, v6, s[0:3], 0 offen offset:76
	v_add_u32_e32 v5, s14, v4
	s_add_i32 s14, s14, 8
	s_cmp_lg_u32 s14, 32
	s_waitcnt vmcnt(1)
	v_add_u32_e32 v6, v8, v9
	s_waitcnt vmcnt(0)
	v_add_u32_e32 v7, v13, v7
	buffer_store_dword v7, v5, s[0:3], 0 offen offset:4
	buffer_store_dword v6, v5, s[0:3], 0 offen
	s_cbranch_scc1 .LBB2169_57
; %bb.58:
	buffer_load_dword v2, off, s[0:3], 0
	buffer_load_dword v3, off, s[0:3], 0 offset:4
	buffer_load_dword v4, off, s[0:3], 0 offset:8
	;; [unrolled: 1-line block ×7, first 2 shown]
.LBB2169_59:
	s_or_b64 exec, exec, s[12:13]
	v_or_b32_e32 v11, v12, v11
	v_or_b32_e32 v1, v11, v1
	v_and_b32_e32 v1, 1, v1
	buffer_store_byte v1, off, s[0:3], 0 offset:272
	buffer_load_dword v11, off, s[0:3], 0 offset:272
	v_mbcnt_lo_u32_b32 v1, -1, 0
	s_waitcnt vmcnt(9)
	v_mov_b32_dpp v12, v2 row_shr:1 row_mask:0xf bank_mask:0xf
	v_mbcnt_hi_u32_b32 v1, -1, v1
	s_waitcnt vmcnt(8)
	buffer_store_dword v3, off, s[0:3], 0 offset:244
	buffer_store_dword v2, off, s[0:3], 0 offset:240
	s_waitcnt vmcnt(8)
	buffer_store_dword v5, off, s[0:3], 0 offset:252
	buffer_store_dword v4, off, s[0:3], 0 offset:248
	;; [unrolled: 3-line block ×4, first 2 shown]
	v_mov_b32_dpp v13, v3 row_shr:1 row_mask:0xf bank_mask:0xf
	v_mov_b32_dpp v14, v4 row_shr:1 row_mask:0xf bank_mask:0xf
	;; [unrolled: 1-line block ×7, first 2 shown]
	buffer_store_dword v12, off, s[0:3], 0
	buffer_store_dword v13, off, s[0:3], 0 offset:4
	buffer_store_dword v14, off, s[0:3], 0 offset:8
	;; [unrolled: 1-line block ×7, first 2 shown]
	v_and_b32_e32 v12, 15, v1
	v_cmp_ne_u32_e32 vcc, 0, v12
	s_waitcnt vmcnt(16)
	v_mov_b32_dpp v13, v11 row_shr:1 row_mask:0xf bank_mask:0xf
	buffer_store_dword v13, off, s[0:3], 0 offset:32
	s_and_saveexec_b64 s[12:13], vcc
	s_xor_b64 s[12:13], exec, s[12:13]
	s_cbranch_execz .LBB2169_67
; %bb.60:
	v_mov_b32_e32 v14, 0
	v_cmp_eq_u16_sdwa s[16:17], v11, v14 src0_sel:BYTE_0 src1_sel:DWORD
	s_and_saveexec_b64 s[14:15], s[16:17]
	s_cbranch_execz .LBB2169_66
; %bb.61:
	s_mov_b32 s16, 0
	v_mov_b32_e32 v2, 0x60
.LBB2169_62:                            ; =>This Inner Loop Header: Depth=1
	v_add_u32_e32 v3, s16, v2
	s_add_i32 s16, s16, 8
	s_cmp_lg_u32 s16, 32
	buffer_store_dword v14, v3, s[0:3], 0 offen offset:4
	buffer_store_dword v14, v3, s[0:3], 0 offen
	s_cbranch_scc1 .LBB2169_62
; %bb.63:
	s_mov_b32 s16, 0
	v_mov_b32_e32 v2, 0
	v_mov_b32_e32 v3, 0xf0
	;; [unrolled: 1-line block ×3, first 2 shown]
.LBB2169_64:                            ; =>This Inner Loop Header: Depth=1
	v_add_u32_e32 v5, s16, v2
	v_add_u32_e32 v6, s16, v3
	buffer_load_dword v7, v5, s[0:3], 0 offen offset:4
	buffer_load_dword v8, v6, s[0:3], 0 offen
	buffer_load_dword v9, v5, s[0:3], 0 offen
	buffer_load_dword v14, v6, s[0:3], 0 offen offset:4
	v_add_u32_e32 v5, s16, v4
	s_add_i32 s16, s16, 8
	s_cmp_lg_u32 s16, 32
	s_waitcnt vmcnt(1)
	v_add_u32_e32 v6, v8, v9
	s_waitcnt vmcnt(0)
	v_add_u32_e32 v7, v14, v7
	buffer_store_dword v7, v5, s[0:3], 0 offen offset:4
	buffer_store_dword v6, v5, s[0:3], 0 offen
	s_cbranch_scc1 .LBB2169_64
; %bb.65:
	buffer_load_dword v2, off, s[0:3], 0 offset:96
	buffer_load_dword v3, off, s[0:3], 0 offset:100
	;; [unrolled: 1-line block ×8, first 2 shown]
.LBB2169_66:
	s_or_b64 exec, exec, s[14:15]
	v_or_b32_e32 v11, v13, v11
	v_and_b32_e32 v11, 1, v11
	buffer_store_byte v11, off, s[0:3], 0 offset:272
	buffer_load_dword v11, off, s[0:3], 0 offset:272
	s_waitcnt vmcnt(8)
	buffer_store_dword v3, off, s[0:3], 0 offset:244
	buffer_store_dword v2, off, s[0:3], 0 offset:240
	s_waitcnt vmcnt(8)
	buffer_store_dword v5, off, s[0:3], 0 offset:252
	buffer_store_dword v4, off, s[0:3], 0 offset:248
	;; [unrolled: 3-line block ×4, first 2 shown]
.LBB2169_67:
	s_or_b64 exec, exec, s[12:13]
	v_mov_b32_dpp v14, v2 row_shr:2 row_mask:0xf bank_mask:0xf
	s_waitcnt vmcnt(8)
	v_mov_b32_dpp v13, v11 row_shr:2 row_mask:0xf bank_mask:0xf
	v_cmp_lt_u32_e32 vcc, 1, v12
	v_mov_b32_dpp v15, v3 row_shr:2 row_mask:0xf bank_mask:0xf
	v_mov_b32_dpp v16, v4 row_shr:2 row_mask:0xf bank_mask:0xf
	;; [unrolled: 1-line block ×7, first 2 shown]
	buffer_store_dword v14, off, s[0:3], 0
	buffer_store_dword v15, off, s[0:3], 0 offset:4
	buffer_store_dword v16, off, s[0:3], 0 offset:8
	;; [unrolled: 1-line block ×8, first 2 shown]
	s_and_saveexec_b64 s[14:15], vcc
	s_cbranch_execz .LBB2169_75
; %bb.68:
	v_mov_b32_e32 v14, 0
	s_mov_b32 s16, 0
	v_cmp_eq_u16_sdwa s[28:29], v11, v14 src0_sel:BYTE_0 src1_sel:DWORD
	s_and_saveexec_b64 s[12:13], s[28:29]
	s_cbranch_execz .LBB2169_74
; %bb.69:
	v_mov_b32_e32 v2, 0x60
.LBB2169_70:                            ; =>This Inner Loop Header: Depth=1
	v_add_u32_e32 v3, s16, v2
	s_add_i32 s16, s16, 8
	s_cmp_lg_u32 s16, 32
	buffer_store_dword v14, v3, s[0:3], 0 offen offset:4
	buffer_store_dword v14, v3, s[0:3], 0 offen
	s_cbranch_scc1 .LBB2169_70
; %bb.71:
	s_mov_b32 s16, 0
	v_mov_b32_e32 v2, 0
	v_mov_b32_e32 v3, 0xf0
	;; [unrolled: 1-line block ×3, first 2 shown]
.LBB2169_72:                            ; =>This Inner Loop Header: Depth=1
	v_add_u32_e32 v5, s16, v2
	v_add_u32_e32 v6, s16, v3
	buffer_load_dword v7, v5, s[0:3], 0 offen offset:4
	buffer_load_dword v8, v6, s[0:3], 0 offen
	buffer_load_dword v9, v5, s[0:3], 0 offen
	buffer_load_dword v14, v6, s[0:3], 0 offen offset:4
	v_add_u32_e32 v5, s16, v4
	s_add_i32 s16, s16, 8
	s_cmp_lg_u32 s16, 32
	s_waitcnt vmcnt(1)
	v_add_u32_e32 v6, v8, v9
	s_waitcnt vmcnt(0)
	v_add_u32_e32 v7, v14, v7
	buffer_store_dword v7, v5, s[0:3], 0 offen offset:4
	buffer_store_dword v6, v5, s[0:3], 0 offen
	s_cbranch_scc1 .LBB2169_72
; %bb.73:
	buffer_load_dword v2, off, s[0:3], 0 offset:96
	buffer_load_dword v3, off, s[0:3], 0 offset:100
	;; [unrolled: 1-line block ×8, first 2 shown]
.LBB2169_74:
	s_or_b64 exec, exec, s[12:13]
	v_and_b32_e32 v11, 1, v11
	v_cmp_eq_u32_e32 vcc, 1, v11
	v_and_b32_e32 v11, 1, v13
	v_cmp_eq_u32_e64 s[12:13], 1, v11
	s_or_b64 s[12:13], vcc, s[12:13]
	v_cndmask_b32_e64 v11, 0, 1, s[12:13]
	buffer_store_byte v11, off, s[0:3], 0 offset:272
	buffer_load_dword v11, off, s[0:3], 0 offset:272
	s_waitcnt vmcnt(8)
	buffer_store_dword v3, off, s[0:3], 0 offset:244
	buffer_store_dword v2, off, s[0:3], 0 offset:240
	s_waitcnt vmcnt(8)
	buffer_store_dword v5, off, s[0:3], 0 offset:252
	buffer_store_dword v4, off, s[0:3], 0 offset:248
	;; [unrolled: 3-line block ×4, first 2 shown]
.LBB2169_75:
	s_or_b64 exec, exec, s[14:15]
	v_mov_b32_dpp v14, v2 row_shr:4 row_mask:0xf bank_mask:0xf
	s_waitcnt vmcnt(8)
	v_mov_b32_dpp v13, v11 row_shr:4 row_mask:0xf bank_mask:0xf
	v_cmp_lt_u32_e32 vcc, 3, v12
	v_mov_b32_dpp v15, v3 row_shr:4 row_mask:0xf bank_mask:0xf
	v_mov_b32_dpp v16, v4 row_shr:4 row_mask:0xf bank_mask:0xf
	;; [unrolled: 1-line block ×7, first 2 shown]
	buffer_store_dword v14, off, s[0:3], 0
	buffer_store_dword v15, off, s[0:3], 0 offset:4
	buffer_store_dword v16, off, s[0:3], 0 offset:8
	buffer_store_dword v17, off, s[0:3], 0 offset:12
	buffer_store_dword v20, off, s[0:3], 0 offset:16
	buffer_store_dword v21, off, s[0:3], 0 offset:20
	buffer_store_dword v22, off, s[0:3], 0 offset:24
	buffer_store_dword v23, off, s[0:3], 0 offset:28
	buffer_store_dword v13, off, s[0:3], 0 offset:32
	s_and_saveexec_b64 s[14:15], vcc
	s_cbranch_execz .LBB2169_83
; %bb.76:
	v_mov_b32_e32 v14, 0
	s_mov_b32 s16, 0
	v_cmp_eq_u16_sdwa s[28:29], v11, v14 src0_sel:BYTE_0 src1_sel:DWORD
	s_and_saveexec_b64 s[12:13], s[28:29]
	s_cbranch_execz .LBB2169_82
; %bb.77:
	v_mov_b32_e32 v2, 0x60
.LBB2169_78:                            ; =>This Inner Loop Header: Depth=1
	v_add_u32_e32 v3, s16, v2
	s_add_i32 s16, s16, 8
	s_cmp_lg_u32 s16, 32
	buffer_store_dword v14, v3, s[0:3], 0 offen offset:4
	buffer_store_dword v14, v3, s[0:3], 0 offen
	s_cbranch_scc1 .LBB2169_78
; %bb.79:
	s_mov_b32 s16, 0
	v_mov_b32_e32 v2, 0
	v_mov_b32_e32 v3, 0xf0
	v_mov_b32_e32 v4, 0x60
.LBB2169_80:                            ; =>This Inner Loop Header: Depth=1
	v_add_u32_e32 v5, s16, v2
	v_add_u32_e32 v6, s16, v3
	buffer_load_dword v7, v5, s[0:3], 0 offen offset:4
	buffer_load_dword v8, v6, s[0:3], 0 offen
	buffer_load_dword v9, v5, s[0:3], 0 offen
	buffer_load_dword v14, v6, s[0:3], 0 offen offset:4
	v_add_u32_e32 v5, s16, v4
	s_add_i32 s16, s16, 8
	s_cmp_lg_u32 s16, 32
	s_waitcnt vmcnt(1)
	v_add_u32_e32 v6, v8, v9
	s_waitcnt vmcnt(0)
	v_add_u32_e32 v7, v14, v7
	buffer_store_dword v7, v5, s[0:3], 0 offen offset:4
	buffer_store_dword v6, v5, s[0:3], 0 offen
	s_cbranch_scc1 .LBB2169_80
; %bb.81:
	buffer_load_dword v2, off, s[0:3], 0 offset:96
	buffer_load_dword v3, off, s[0:3], 0 offset:100
	;; [unrolled: 1-line block ×8, first 2 shown]
.LBB2169_82:
	s_or_b64 exec, exec, s[12:13]
	v_and_b32_e32 v11, 1, v11
	v_cmp_eq_u32_e32 vcc, 1, v11
	v_and_b32_e32 v11, 1, v13
	v_cmp_eq_u32_e64 s[12:13], 1, v11
	s_or_b64 s[12:13], vcc, s[12:13]
	v_cndmask_b32_e64 v11, 0, 1, s[12:13]
	buffer_store_byte v11, off, s[0:3], 0 offset:272
	buffer_load_dword v11, off, s[0:3], 0 offset:272
	s_waitcnt vmcnt(8)
	buffer_store_dword v3, off, s[0:3], 0 offset:244
	buffer_store_dword v2, off, s[0:3], 0 offset:240
	s_waitcnt vmcnt(8)
	buffer_store_dword v5, off, s[0:3], 0 offset:252
	buffer_store_dword v4, off, s[0:3], 0 offset:248
	;; [unrolled: 3-line block ×4, first 2 shown]
.LBB2169_83:
	s_or_b64 exec, exec, s[14:15]
	v_mov_b32_dpp v14, v2 row_shr:8 row_mask:0xf bank_mask:0xf
	s_waitcnt vmcnt(8)
	v_mov_b32_dpp v13, v11 row_shr:8 row_mask:0xf bank_mask:0xf
	v_cmp_lt_u32_e32 vcc, 7, v12
	v_mov_b32_dpp v15, v3 row_shr:8 row_mask:0xf bank_mask:0xf
	v_mov_b32_dpp v16, v4 row_shr:8 row_mask:0xf bank_mask:0xf
	;; [unrolled: 1-line block ×7, first 2 shown]
	buffer_store_dword v14, off, s[0:3], 0
	buffer_store_dword v15, off, s[0:3], 0 offset:4
	buffer_store_dword v16, off, s[0:3], 0 offset:8
	;; [unrolled: 1-line block ×8, first 2 shown]
	s_and_saveexec_b64 s[14:15], vcc
	s_cbranch_execz .LBB2169_91
; %bb.84:
	v_mov_b32_e32 v12, 0
	s_mov_b32 s16, 0
	v_cmp_eq_u16_sdwa s[28:29], v11, v12 src0_sel:BYTE_0 src1_sel:DWORD
	s_and_saveexec_b64 s[12:13], s[28:29]
	s_cbranch_execz .LBB2169_90
; %bb.85:
	v_mov_b32_e32 v2, 0x60
.LBB2169_86:                            ; =>This Inner Loop Header: Depth=1
	v_add_u32_e32 v3, s16, v2
	s_add_i32 s16, s16, 8
	s_cmp_lg_u32 s16, 32
	buffer_store_dword v12, v3, s[0:3], 0 offen offset:4
	buffer_store_dword v12, v3, s[0:3], 0 offen
	s_cbranch_scc1 .LBB2169_86
; %bb.87:
	s_mov_b32 s16, 0
	v_mov_b32_e32 v2, 0
	v_mov_b32_e32 v3, 0xf0
	;; [unrolled: 1-line block ×3, first 2 shown]
.LBB2169_88:                            ; =>This Inner Loop Header: Depth=1
	v_add_u32_e32 v5, s16, v2
	v_add_u32_e32 v6, s16, v3
	buffer_load_dword v7, v5, s[0:3], 0 offen offset:4
	buffer_load_dword v8, v6, s[0:3], 0 offen
	buffer_load_dword v9, v5, s[0:3], 0 offen
	buffer_load_dword v12, v6, s[0:3], 0 offen offset:4
	v_add_u32_e32 v5, s16, v4
	s_add_i32 s16, s16, 8
	s_cmp_lg_u32 s16, 32
	s_waitcnt vmcnt(1)
	v_add_u32_e32 v6, v8, v9
	s_waitcnt vmcnt(0)
	v_add_u32_e32 v7, v12, v7
	buffer_store_dword v7, v5, s[0:3], 0 offen offset:4
	buffer_store_dword v6, v5, s[0:3], 0 offen
	s_cbranch_scc1 .LBB2169_88
; %bb.89:
	buffer_load_dword v2, off, s[0:3], 0 offset:96
	buffer_load_dword v3, off, s[0:3], 0 offset:100
	;; [unrolled: 1-line block ×8, first 2 shown]
.LBB2169_90:
	s_or_b64 exec, exec, s[12:13]
	v_and_b32_e32 v11, 1, v11
	v_cmp_eq_u32_e32 vcc, 1, v11
	v_and_b32_e32 v11, 1, v13
	v_cmp_eq_u32_e64 s[12:13], 1, v11
	s_or_b64 s[12:13], vcc, s[12:13]
	v_cndmask_b32_e64 v11, 0, 1, s[12:13]
	buffer_store_byte v11, off, s[0:3], 0 offset:272
	buffer_load_dword v11, off, s[0:3], 0 offset:272
	s_waitcnt vmcnt(8)
	buffer_store_dword v3, off, s[0:3], 0 offset:244
	buffer_store_dword v2, off, s[0:3], 0 offset:240
	s_waitcnt vmcnt(8)
	buffer_store_dword v5, off, s[0:3], 0 offset:252
	buffer_store_dword v4, off, s[0:3], 0 offset:248
	;; [unrolled: 3-line block ×4, first 2 shown]
.LBB2169_91:
	s_or_b64 exec, exec, s[14:15]
	v_mov_b32_dpp v13, v2 row_bcast:15 row_mask:0xf bank_mask:0xf
	v_mov_b32_dpp v14, v3 row_bcast:15 row_mask:0xf bank_mask:0xf
	;; [unrolled: 1-line block ×8, first 2 shown]
	s_waitcnt vmcnt(8)
	v_mov_b32_dpp v12, v11 row_bcast:15 row_mask:0xf bank_mask:0xf
	buffer_store_dword v13, off, s[0:3], 0
	buffer_store_dword v14, off, s[0:3], 0 offset:4
	buffer_store_dword v15, off, s[0:3], 0 offset:8
	;; [unrolled: 1-line block ×8, first 2 shown]
	v_and_b32_e32 v13, 16, v1
	v_cmp_ne_u32_e32 vcc, 0, v13
	s_and_saveexec_b64 s[14:15], vcc
	s_cbranch_execz .LBB2169_99
; %bb.92:
	v_mov_b32_e32 v13, 0
	s_mov_b32 s16, 0
	v_cmp_eq_u16_sdwa s[28:29], v11, v13 src0_sel:BYTE_0 src1_sel:DWORD
	s_and_saveexec_b64 s[12:13], s[28:29]
	s_cbranch_execz .LBB2169_98
; %bb.93:
	v_mov_b32_e32 v2, 0x60
.LBB2169_94:                            ; =>This Inner Loop Header: Depth=1
	v_add_u32_e32 v3, s16, v2
	s_add_i32 s16, s16, 8
	s_cmp_lg_u32 s16, 32
	buffer_store_dword v13, v3, s[0:3], 0 offen offset:4
	buffer_store_dword v13, v3, s[0:3], 0 offen
	s_cbranch_scc1 .LBB2169_94
; %bb.95:
	s_mov_b32 s16, 0
	v_mov_b32_e32 v2, 0
	v_mov_b32_e32 v3, 0xf0
	;; [unrolled: 1-line block ×3, first 2 shown]
.LBB2169_96:                            ; =>This Inner Loop Header: Depth=1
	v_add_u32_e32 v5, s16, v2
	v_add_u32_e32 v6, s16, v3
	buffer_load_dword v7, v5, s[0:3], 0 offen offset:4
	buffer_load_dword v8, v6, s[0:3], 0 offen
	buffer_load_dword v9, v5, s[0:3], 0 offen
	buffer_load_dword v13, v6, s[0:3], 0 offen offset:4
	v_add_u32_e32 v5, s16, v4
	s_add_i32 s16, s16, 8
	s_cmp_lg_u32 s16, 32
	s_waitcnt vmcnt(1)
	v_add_u32_e32 v6, v8, v9
	s_waitcnt vmcnt(0)
	v_add_u32_e32 v7, v13, v7
	buffer_store_dword v7, v5, s[0:3], 0 offen offset:4
	buffer_store_dword v6, v5, s[0:3], 0 offen
	s_cbranch_scc1 .LBB2169_96
; %bb.97:
	buffer_load_dword v2, off, s[0:3], 0 offset:96
	buffer_load_dword v3, off, s[0:3], 0 offset:100
	buffer_load_dword v4, off, s[0:3], 0 offset:104
	buffer_load_dword v5, off, s[0:3], 0 offset:108
	buffer_load_dword v6, off, s[0:3], 0 offset:112
	buffer_load_dword v7, off, s[0:3], 0 offset:116
	buffer_load_dword v8, off, s[0:3], 0 offset:120
	buffer_load_dword v9, off, s[0:3], 0 offset:124
.LBB2169_98:
	s_or_b64 exec, exec, s[12:13]
	v_and_b32_e32 v11, 1, v11
	v_cmp_eq_u32_e32 vcc, 1, v11
	v_and_b32_e32 v11, 1, v12
	v_cmp_eq_u32_e64 s[12:13], 1, v11
	s_or_b64 s[12:13], vcc, s[12:13]
	v_cndmask_b32_e64 v11, 0, 1, s[12:13]
	buffer_store_byte v11, off, s[0:3], 0 offset:272
	buffer_load_dword v11, off, s[0:3], 0 offset:272
	s_waitcnt vmcnt(8)
	buffer_store_dword v3, off, s[0:3], 0 offset:244
	buffer_store_dword v2, off, s[0:3], 0 offset:240
	s_waitcnt vmcnt(8)
	buffer_store_dword v5, off, s[0:3], 0 offset:252
	buffer_store_dword v4, off, s[0:3], 0 offset:248
	;; [unrolled: 3-line block ×4, first 2 shown]
.LBB2169_99:
	s_or_b64 exec, exec, s[14:15]
	v_mov_b32_dpp v13, v2 row_bcast:31 row_mask:0xf bank_mask:0xf
	s_waitcnt vmcnt(8)
	v_mov_b32_dpp v12, v11 row_bcast:31 row_mask:0xf bank_mask:0xf
	v_cmp_lt_u32_e32 vcc, 31, v1
	v_mov_b32_dpp v14, v3 row_bcast:31 row_mask:0xf bank_mask:0xf
	v_mov_b32_dpp v15, v4 row_bcast:31 row_mask:0xf bank_mask:0xf
	;; [unrolled: 1-line block ×7, first 2 shown]
	buffer_store_dword v13, off, s[0:3], 0
	buffer_store_dword v14, off, s[0:3], 0 offset:4
	buffer_store_dword v15, off, s[0:3], 0 offset:8
	buffer_store_dword v16, off, s[0:3], 0 offset:12
	buffer_store_dword v17, off, s[0:3], 0 offset:16
	buffer_store_dword v20, off, s[0:3], 0 offset:20
	buffer_store_dword v21, off, s[0:3], 0 offset:24
	buffer_store_dword v22, off, s[0:3], 0 offset:28
	buffer_store_dword v12, off, s[0:3], 0 offset:32
	s_and_saveexec_b64 s[14:15], vcc
	s_cbranch_execz .LBB2169_107
; %bb.100:
	v_mov_b32_e32 v13, 0
	s_mov_b32 s16, 0
	v_cmp_eq_u16_sdwa s[28:29], v11, v13 src0_sel:BYTE_0 src1_sel:DWORD
	s_and_saveexec_b64 s[12:13], s[28:29]
	s_cbranch_execz .LBB2169_106
; %bb.101:
	v_mov_b32_e32 v2, 0x60
.LBB2169_102:                           ; =>This Inner Loop Header: Depth=1
	v_add_u32_e32 v3, s16, v2
	s_add_i32 s16, s16, 8
	s_cmp_lg_u32 s16, 32
	buffer_store_dword v13, v3, s[0:3], 0 offen offset:4
	buffer_store_dword v13, v3, s[0:3], 0 offen
	s_cbranch_scc1 .LBB2169_102
; %bb.103:
	s_mov_b32 s16, 0
	v_mov_b32_e32 v2, 0
	v_mov_b32_e32 v3, 0xf0
	;; [unrolled: 1-line block ×3, first 2 shown]
.LBB2169_104:                           ; =>This Inner Loop Header: Depth=1
	v_add_u32_e32 v5, s16, v2
	v_add_u32_e32 v6, s16, v3
	buffer_load_dword v7, v5, s[0:3], 0 offen offset:4
	buffer_load_dword v8, v6, s[0:3], 0 offen
	buffer_load_dword v9, v5, s[0:3], 0 offen
	buffer_load_dword v13, v6, s[0:3], 0 offen offset:4
	v_add_u32_e32 v5, s16, v4
	s_add_i32 s16, s16, 8
	s_cmp_lg_u32 s16, 32
	s_waitcnt vmcnt(1)
	v_add_u32_e32 v6, v8, v9
	s_waitcnt vmcnt(0)
	v_add_u32_e32 v7, v13, v7
	buffer_store_dword v7, v5, s[0:3], 0 offen offset:4
	buffer_store_dword v6, v5, s[0:3], 0 offen
	s_cbranch_scc1 .LBB2169_104
; %bb.105:
	buffer_load_dword v2, off, s[0:3], 0 offset:96
	buffer_load_dword v3, off, s[0:3], 0 offset:100
	;; [unrolled: 1-line block ×8, first 2 shown]
.LBB2169_106:
	s_or_b64 exec, exec, s[12:13]
	v_and_b32_e32 v11, 1, v11
	v_cmp_eq_u32_e32 vcc, 1, v11
	v_and_b32_e32 v11, 1, v12
	v_cmp_eq_u32_e64 s[12:13], 1, v11
	s_or_b64 s[12:13], vcc, s[12:13]
	v_cndmask_b32_e64 v11, 0, 1, s[12:13]
	s_waitcnt vmcnt(6)
	buffer_store_dword v3, off, s[0:3], 0 offset:244
	buffer_store_dword v2, off, s[0:3], 0 offset:240
	s_waitcnt vmcnt(6)
	buffer_store_dword v5, off, s[0:3], 0 offset:252
	buffer_store_dword v4, off, s[0:3], 0 offset:248
	;; [unrolled: 3-line block ×4, first 2 shown]
	buffer_store_byte v11, off, s[0:3], 0 offset:272
.LBB2169_107:
	s_or_b64 exec, exec, s[14:15]
	v_or_b32_e32 v13, 63, v10
	v_lshrrev_b32_e32 v12, 6, v10
	v_cmp_eq_u32_e32 vcc, v13, v10
	s_and_saveexec_b64 s[12:13], vcc
	s_cbranch_execz .LBB2169_109
; %bb.108:
	v_mul_u32_u24_e32 v13, 36, v12
	ds_write2_b32 v13, v2, v3 offset1:1
	ds_write2_b32 v13, v4, v5 offset0:2 offset1:3
	ds_write2_b32 v13, v6, v7 offset0:4 offset1:5
	;; [unrolled: 1-line block ×3, first 2 shown]
	ds_write_b8 v13, v11 offset:32
.LBB2169_109:
	s_or_b64 exec, exec, s[12:13]
	v_cmp_gt_u32_e32 vcc, 4, v10
	s_waitcnt lgkmcnt(0)
	s_barrier
	s_and_saveexec_b64 s[14:15], vcc
	s_cbranch_execz .LBB2169_127
; %bb.110:
	v_mul_u32_u24_e32 v11, 36, v10
	ds_read_b32 v13, v11 offset:32
	ds_read2_b32 v[2:3], v11 offset0:6 offset1:7
	ds_read2_b32 v[4:5], v11 offset0:4 offset1:5
	;; [unrolled: 1-line block ×3, first 2 shown]
	ds_read2_b32 v[8:9], v11 offset1:1
	v_and_b32_e32 v14, 3, v1
	s_waitcnt lgkmcnt(4)
	v_mov_b32_dpp v15, v13 row_shr:1 row_mask:0xf bank_mask:0xf
	v_cmp_ne_u32_e32 vcc, 0, v14
	buffer_store_dword v13, off, s[0:3], 0 offset:128
	s_waitcnt lgkmcnt(0)
	v_mov_b32_dpp v16, v8 row_shr:1 row_mask:0xf bank_mask:0xf
	buffer_store_dword v3, off, s[0:3], 0 offset:124
	buffer_store_dword v2, off, s[0:3], 0 offset:120
	;; [unrolled: 1-line block ×8, first 2 shown]
	v_mov_b32_dpp v17, v9 row_shr:1 row_mask:0xf bank_mask:0xf
	v_mov_b32_dpp v20, v6 row_shr:1 row_mask:0xf bank_mask:0xf
	;; [unrolled: 1-line block ×7, first 2 shown]
	buffer_store_dword v16, off, s[0:3], 0
	buffer_store_dword v17, off, s[0:3], 0 offset:4
	buffer_store_dword v20, off, s[0:3], 0 offset:8
	;; [unrolled: 1-line block ×8, first 2 shown]
	s_and_saveexec_b64 s[12:13], vcc
	s_cbranch_execz .LBB2169_118
; %bb.111:
	v_mov_b32_e32 v16, 0
	v_cmp_eq_u16_sdwa s[28:29], v13, v16 src0_sel:BYTE_0 src1_sel:DWORD
	s_and_saveexec_b64 s[16:17], s[28:29]
	s_cbranch_execz .LBB2169_117
; %bb.112:
	s_mov_b32 s28, 0
	v_mov_b32_e32 v2, 0x84
.LBB2169_113:                           ; =>This Inner Loop Header: Depth=1
	v_add_u32_e32 v3, s28, v2
	s_add_i32 s28, s28, 8
	s_cmp_lg_u32 s28, 32
	buffer_store_dword v16, v3, s[0:3], 0 offen offset:4
	buffer_store_dword v16, v3, s[0:3], 0 offen
	s_cbranch_scc1 .LBB2169_113
; %bb.114:
	s_mov_b32 s28, 0
	v_mov_b32_e32 v2, 0
	v_mov_b32_e32 v3, 0x60
	;; [unrolled: 1-line block ×3, first 2 shown]
.LBB2169_115:                           ; =>This Inner Loop Header: Depth=1
	v_add_u32_e32 v5, s28, v2
	v_add_u32_e32 v6, s28, v3
	buffer_load_dword v7, v5, s[0:3], 0 offen offset:4
	buffer_load_dword v8, v6, s[0:3], 0 offen
	buffer_load_dword v9, v5, s[0:3], 0 offen
	buffer_load_dword v16, v6, s[0:3], 0 offen offset:4
	v_add_u32_e32 v5, s28, v4
	s_add_i32 s28, s28, 8
	s_cmp_lg_u32 s28, 32
	s_waitcnt vmcnt(1)
	v_add_u32_e32 v6, v8, v9
	s_waitcnt vmcnt(0)
	v_add_u32_e32 v7, v16, v7
	buffer_store_dword v7, v5, s[0:3], 0 offen offset:4
	buffer_store_dword v6, v5, s[0:3], 0 offen
	s_cbranch_scc1 .LBB2169_115
; %bb.116:
	buffer_load_dword v8, off, s[0:3], 0 offset:132
	buffer_load_dword v9, off, s[0:3], 0 offset:136
	;; [unrolled: 1-line block ×8, first 2 shown]
.LBB2169_117:
	s_or_b64 exec, exec, s[16:17]
	v_or_b32_e32 v13, v15, v13
	v_and_b32_e32 v13, 1, v13
	buffer_store_byte v13, off, s[0:3], 0 offset:128
	buffer_load_dword v13, off, s[0:3], 0 offset:128
	s_waitcnt vmcnt(8)
	buffer_store_dword v9, off, s[0:3], 0 offset:100
	buffer_store_dword v8, off, s[0:3], 0 offset:96
	s_waitcnt vmcnt(8)
	buffer_store_dword v7, off, s[0:3], 0 offset:108
	buffer_store_dword v6, off, s[0:3], 0 offset:104
	;; [unrolled: 3-line block ×4, first 2 shown]
.LBB2169_118:
	s_or_b64 exec, exec, s[12:13]
	v_mov_b32_dpp v16, v8 row_shr:2 row_mask:0xf bank_mask:0xf
	s_waitcnt vmcnt(8)
	v_mov_b32_dpp v15, v13 row_shr:2 row_mask:0xf bank_mask:0xf
	v_cmp_lt_u32_e32 vcc, 1, v14
	v_mov_b32_dpp v17, v9 row_shr:2 row_mask:0xf bank_mask:0xf
	v_mov_b32_dpp v20, v6 row_shr:2 row_mask:0xf bank_mask:0xf
	;; [unrolled: 1-line block ×7, first 2 shown]
	buffer_store_dword v16, off, s[0:3], 0
	buffer_store_dword v17, off, s[0:3], 0 offset:4
	buffer_store_dword v20, off, s[0:3], 0 offset:8
	;; [unrolled: 1-line block ×8, first 2 shown]
	s_and_saveexec_b64 s[16:17], vcc
	s_cbranch_execz .LBB2169_126
; %bb.119:
	v_mov_b32_e32 v14, 0
	s_mov_b32 s28, 0
	v_cmp_eq_u16_sdwa s[48:49], v13, v14 src0_sel:BYTE_0 src1_sel:DWORD
	s_and_saveexec_b64 s[12:13], s[48:49]
	s_cbranch_execz .LBB2169_125
; %bb.120:
	v_mov_b32_e32 v2, 0x84
.LBB2169_121:                           ; =>This Inner Loop Header: Depth=1
	v_add_u32_e32 v3, s28, v2
	s_add_i32 s28, s28, 8
	s_cmp_lg_u32 s28, 32
	buffer_store_dword v14, v3, s[0:3], 0 offen offset:4
	buffer_store_dword v14, v3, s[0:3], 0 offen
	s_cbranch_scc1 .LBB2169_121
; %bb.122:
	s_mov_b32 s28, 0
	v_mov_b32_e32 v2, 0
	v_mov_b32_e32 v3, 0x60
	;; [unrolled: 1-line block ×3, first 2 shown]
.LBB2169_123:                           ; =>This Inner Loop Header: Depth=1
	v_add_u32_e32 v5, s28, v2
	v_add_u32_e32 v6, s28, v3
	buffer_load_dword v7, v5, s[0:3], 0 offen offset:4
	buffer_load_dword v8, v6, s[0:3], 0 offen
	buffer_load_dword v9, v5, s[0:3], 0 offen
	buffer_load_dword v14, v6, s[0:3], 0 offen offset:4
	v_add_u32_e32 v5, s28, v4
	s_add_i32 s28, s28, 8
	s_cmp_lg_u32 s28, 32
	s_waitcnt vmcnt(1)
	v_add_u32_e32 v6, v8, v9
	s_waitcnt vmcnt(0)
	v_add_u32_e32 v7, v14, v7
	buffer_store_dword v7, v5, s[0:3], 0 offen offset:4
	buffer_store_dword v6, v5, s[0:3], 0 offen
	s_cbranch_scc1 .LBB2169_123
; %bb.124:
	buffer_load_dword v8, off, s[0:3], 0 offset:132
	buffer_load_dword v9, off, s[0:3], 0 offset:136
	;; [unrolled: 1-line block ×8, first 2 shown]
.LBB2169_125:
	s_or_b64 exec, exec, s[12:13]
	v_and_b32_e32 v13, 1, v13
	v_cmp_eq_u32_e32 vcc, 1, v13
	v_and_b32_e32 v13, 1, v15
	v_cmp_eq_u32_e64 s[12:13], 1, v13
	s_or_b64 s[12:13], vcc, s[12:13]
	v_cndmask_b32_e64 v13, 0, 1, s[12:13]
	s_waitcnt vmcnt(6)
	buffer_store_dword v9, off, s[0:3], 0 offset:100
	buffer_store_dword v8, off, s[0:3], 0 offset:96
	s_waitcnt vmcnt(6)
	buffer_store_dword v7, off, s[0:3], 0 offset:108
	buffer_store_dword v6, off, s[0:3], 0 offset:104
	;; [unrolled: 3-line block ×4, first 2 shown]
.LBB2169_126:
	s_or_b64 exec, exec, s[16:17]
	buffer_load_dword v2, off, s[0:3], 0 offset:96
	buffer_load_dword v3, off, s[0:3], 0 offset:100
	;; [unrolled: 1-line block ×8, first 2 shown]
	s_waitcnt vmcnt(4)
	ds_write2_b32 v11, v4, v5 offset0:2 offset1:3
	ds_write2_b32 v11, v2, v3 offset1:1
	s_waitcnt vmcnt(2)
	ds_write2_b32 v11, v6, v7 offset0:6 offset1:7
	s_waitcnt vmcnt(0)
	ds_write2_b32 v11, v8, v9 offset0:4 offset1:5
	ds_write_b8 v11, v13 offset:32
.LBB2169_127:
	s_or_b64 exec, exec, s[14:15]
	v_mov_b32_e32 v2, 0
	s_mov_b32 s12, 0
	v_mov_b32_e32 v3, 0
	s_waitcnt lgkmcnt(0)
	s_barrier
	buffer_store_dword v2, off, s[0:3], 0 offset:28
	buffer_store_dword v2, off, s[0:3], 0 offset:24
	;; [unrolled: 1-line block ×7, first 2 shown]
	buffer_store_dword v2, off, s[0:3], 0
	buffer_store_dword v2, off, s[0:3], 0 offset:32
.LBB2169_128:                           ; =>This Inner Loop Header: Depth=1
	v_add_u32_e32 v4, s12, v3
	s_add_i32 s12, s12, 8
	s_cmp_lg_u32 s12, 32
	buffer_store_dword v2, v4, s[0:3], 0 offen offset:4
	buffer_store_dword v2, v4, s[0:3], 0 offen
	s_cbranch_scc1 .LBB2169_128
; %bb.129:
	v_cmp_gt_u32_e32 vcc, 64, v10
	v_cmp_lt_u32_e64 s[12:13], 63, v10
                                        ; implicit-def: $vgpr2_vgpr3
                                        ; implicit-def: $vgpr4_vgpr5
                                        ; implicit-def: $vgpr6_vgpr7
                                        ; implicit-def: $vgpr8_vgpr9
                                        ; implicit-def: $vgpr11
	s_and_saveexec_b64 s[14:15], s[12:13]
	s_xor_b64 s[14:15], exec, s[14:15]
	s_cbranch_execz .LBB2169_139
; %bb.130:
	buffer_load_ubyte v13, off, s[0:3], 0 offset:272
	v_not_b32_e32 v2, 35
	v_mad_u32_u24 v11, v12, 36, v2
	ds_read2_b32 v[2:3], v11 offset0:2 offset1:3
	ds_read2_b32 v[4:5], v11 offset0:4 offset1:5
	ds_read2_b32 v[6:7], v11 offset1:1
	ds_read2_b32 v[8:9], v11 offset0:6 offset1:7
	s_waitcnt lgkmcnt(3)
	buffer_store_dword v3, off, s[0:3], 0 offset:12
	buffer_store_dword v2, off, s[0:3], 0 offset:8
	s_waitcnt lgkmcnt(1)
	buffer_store_dword v7, off, s[0:3], 0 offset:4
	buffer_store_dword v6, off, s[0:3], 0
	s_waitcnt lgkmcnt(0)
	buffer_store_dword v9, off, s[0:3], 0 offset:28
	ds_read_u8 v11, v11 offset:32
	buffer_store_dword v8, off, s[0:3], 0 offset:24
	buffer_store_dword v5, off, s[0:3], 0 offset:20
	;; [unrolled: 1-line block ×3, first 2 shown]
                                        ; implicit-def: $vgpr2_vgpr3
                                        ; implicit-def: $vgpr4_vgpr5
                                        ; implicit-def: $vgpr6_vgpr7
                                        ; implicit-def: $vgpr8_vgpr9
	s_waitcnt vmcnt(8)
	v_cmp_ne_u16_e64 s[12:13], 0, v13
	s_and_saveexec_b64 s[16:17], s[12:13]
	s_xor_b64 s[12:13], exec, s[16:17]
	s_cbranch_execz .LBB2169_132
; %bb.131:
	buffer_load_dword v2, off, s[0:3], 0 offset:240
	buffer_load_dword v3, off, s[0:3], 0 offset:244
	;; [unrolled: 1-line block ×8, first 2 shown]
.LBB2169_132:
	s_andn2_saveexec_b64 s[12:13], s[12:13]
	s_cbranch_execz .LBB2169_138
; %bb.133:
	s_mov_b32 s16, 0
	s_waitcnt vmcnt(7)
	v_mov_b32_e32 v2, 0x60
	s_waitcnt vmcnt(6)
	v_mov_b32_e32 v3, 0
	s_waitcnt vmcnt(0)
.LBB2169_134:                           ; =>This Inner Loop Header: Depth=1
	v_add_u32_e32 v4, s16, v2
	s_add_i32 s16, s16, 8
	s_cmp_lg_u32 s16, 32
	buffer_store_dword v3, v4, s[0:3], 0 offen offset:4
	buffer_store_dword v3, v4, s[0:3], 0 offen
	s_cbranch_scc1 .LBB2169_134
; %bb.135:
	s_mov_b32 s16, 0
	v_mov_b32_e32 v2, 0
	v_mov_b32_e32 v3, 0xf0
	;; [unrolled: 1-line block ×3, first 2 shown]
.LBB2169_136:                           ; =>This Inner Loop Header: Depth=1
	v_add_u32_e32 v5, s16, v2
	v_add_u32_e32 v6, s16, v3
	buffer_load_dword v7, v5, s[0:3], 0 offen offset:4
	buffer_load_dword v8, v6, s[0:3], 0 offen
	buffer_load_dword v9, v5, s[0:3], 0 offen
	buffer_load_dword v12, v6, s[0:3], 0 offen offset:4
	v_add_u32_e32 v5, s16, v4
	s_add_i32 s16, s16, 8
	s_cmp_lg_u32 s16, 32
	s_waitcnt vmcnt(1)
	v_add_u32_e32 v6, v8, v9
	s_waitcnt vmcnt(0)
	v_add_u32_e32 v7, v12, v7
	buffer_store_dword v7, v5, s[0:3], 0 offen offset:4
	buffer_store_dword v6, v5, s[0:3], 0 offen
	s_cbranch_scc1 .LBB2169_136
; %bb.137:
	buffer_load_dword v2, off, s[0:3], 0 offset:96
	buffer_load_dword v3, off, s[0:3], 0 offset:100
	;; [unrolled: 1-line block ×8, first 2 shown]
.LBB2169_138:
	s_or_b64 exec, exec, s[12:13]
	s_waitcnt lgkmcnt(0)
	v_or_b32_e32 v12, v13, v11
	v_and_b32_e32 v12, 1, v12
	buffer_store_byte v12, off, s[0:3], 0 offset:272
.LBB2169_139:
	s_andn2_saveexec_b64 s[12:13], s[14:15]
	s_cbranch_execz .LBB2169_141
; %bb.140:
	buffer_load_dword v2, off, s[0:3], 0 offset:240
	buffer_load_dword v3, off, s[0:3], 0 offset:244
	buffer_load_dword v4, off, s[0:3], 0 offset:248
	buffer_load_dword v5, off, s[0:3], 0 offset:252
	buffer_load_dword v6, off, s[0:3], 0 offset:256
	buffer_load_dword v7, off, s[0:3], 0 offset:260
	buffer_load_dword v8, off, s[0:3], 0 offset:264
	buffer_load_dword v9, off, s[0:3], 0 offset:268
	v_mov_b32_e32 v11, 0
.LBB2169_141:
	s_or_b64 exec, exec, s[12:13]
	buffer_load_dword v12, off, s[0:3], 0 offset:272
	v_add_u32_e32 v13, -1, v1
	v_and_b32_e32 v14, 64, v1
	v_cmp_lt_i32_e64 s[12:13], v13, v14
	v_cndmask_b32_e64 v13, v13, v1, s[12:13]
	v_lshlrev_b32_e32 v13, 2, v13
	s_waitcnt vmcnt(8)
	ds_bpermute_b32 v2, v13, v2
	s_waitcnt vmcnt(7)
	ds_bpermute_b32 v3, v13, v3
	;; [unrolled: 2-line block ×3, first 2 shown]
	ds_bpermute_b32 v4, v13, v4
	s_waitcnt vmcnt(3)
	ds_bpermute_b32 v7, v13, v7
	ds_bpermute_b32 v5, v13, v5
	s_waitcnt vmcnt(2)
	ds_bpermute_b32 v8, v13, v8
	s_waitcnt vmcnt(1)
	ds_bpermute_b32 v9, v13, v9
	s_waitcnt lgkmcnt(7)
	buffer_store_dword v2, off, s[0:3], 0 offset:240
	s_waitcnt lgkmcnt(6)
	buffer_store_dword v3, off, s[0:3], 0 offset:244
	;; [unrolled: 2-line block ×4, first 2 shown]
	v_cmp_eq_u32_e64 s[12:13], 0, v1
	s_waitcnt vmcnt(4)
	ds_bpermute_b32 v2, v13, v12
	buffer_store_dword v6, off, s[0:3], 0 offset:256
	buffer_store_dword v7, off, s[0:3], 0 offset:260
	s_waitcnt lgkmcnt(2)
	buffer_store_dword v8, off, s[0:3], 0 offset:264
	s_waitcnt lgkmcnt(1)
	;; [unrolled: 2-line block ×3, first 2 shown]
	buffer_store_byte v2, off, s[0:3], 0 offset:272
	s_and_saveexec_b64 s[14:15], s[12:13]
	s_cbranch_execz .LBB2169_143
; %bb.142:
	buffer_load_dword v2, off, s[0:3], 0 offset:12
	buffer_load_dword v3, off, s[0:3], 0 offset:8
	;; [unrolled: 1-line block ×3, first 2 shown]
	buffer_load_dword v5, off, s[0:3], 0
	buffer_load_dword v6, off, s[0:3], 0 offset:28
	buffer_load_dword v7, off, s[0:3], 0 offset:24
	;; [unrolled: 1-line block ×4, first 2 shown]
	s_waitcnt vmcnt(7)
	buffer_store_dword v2, off, s[0:3], 0 offset:252
	s_waitcnt vmcnt(7)
	buffer_store_dword v3, off, s[0:3], 0 offset:248
	;; [unrolled: 2-line block ×8, first 2 shown]
	buffer_store_byte v11, off, s[0:3], 0 offset:272
.LBB2169_143:
	s_or_b64 exec, exec, s[14:15]
	s_and_saveexec_b64 s[16:17], vcc
	s_cbranch_execz .LBB2169_288
; %bb.144:
	v_mov_b32_e32 v11, 0
	ds_read2_b32 v[6:7], v11 offset0:27 offset1:28
	ds_read2_b32 v[8:9], v11 offset0:29 offset1:30
	ds_read2_b32 v[2:3], v11 offset0:31 offset1:32
	ds_read2_b32 v[4:5], v11 offset0:33 offset1:34
	ds_read_b32 v12, v11 offset:140
	s_waitcnt lgkmcnt(4)
	buffer_store_dword v7, off, s[0:3], 0 offset:208
	buffer_store_dword v6, off, s[0:3], 0 offset:204
	s_waitcnt lgkmcnt(3)
	buffer_store_dword v9, off, s[0:3], 0 offset:216
	buffer_store_dword v8, off, s[0:3], 0 offset:212
	;; [unrolled: 3-line block ×4, first 2 shown]
	s_waitcnt lgkmcnt(0)
	buffer_store_dword v12, off, s[0:3], 0 offset:236
	s_and_saveexec_b64 s[14:15], s[12:13]
	s_cbranch_execz .LBB2169_146
; %bb.145:
	s_add_i32 s48, s33, 64
	s_mul_i32 s28, s48, 36
	s_mul_hi_u32 s29, s48, 36
	s_add_u32 s28, s20, s28
	s_addc_u32 s29, s21, s29
	global_store_dwordx4 v11, v[6:9], s[28:29]
	global_store_dwordx4 v11, v[2:5], s[28:29] offset:16
	global_store_byte v11, v12, s[28:29] offset:32
	v_mov_b32_e32 v2, s48
	v_mov_b32_e32 v3, 1
	s_waitcnt vmcnt(0)
	buffer_wbinvl1_vol
	global_store_byte v2, v3, s[24:25]
.LBB2169_146:
	s_or_b64 exec, exec, s[14:15]
	s_mov_b32 s14, 0
	v_mov_b32_e32 v2, 0xa8
	buffer_store_dword v11, off, s[0:3], 0 offset:196
	buffer_store_dword v11, off, s[0:3], 0 offset:192
	buffer_store_dword v11, off, s[0:3], 0 offset:188
	buffer_store_dword v11, off, s[0:3], 0 offset:184
	buffer_store_dword v11, off, s[0:3], 0 offset:180
	buffer_store_dword v11, off, s[0:3], 0 offset:176
	buffer_store_dword v11, off, s[0:3], 0 offset:172
	buffer_store_dword v11, off, s[0:3], 0 offset:168
	buffer_store_dword v11, off, s[0:3], 0 offset:200
.LBB2169_147:                           ; =>This Inner Loop Header: Depth=1
	v_add_u32_e32 v3, s14, v2
	s_add_i32 s14, s14, 8
	s_cmp_lg_u32 s14, 32
	buffer_store_dword v11, v3, s[0:3], 0 offen offset:4
	buffer_store_dword v11, v3, s[0:3], 0 offen
	s_cbranch_scc1 .LBB2169_147
; %bb.148:
	s_mov_b32 s14, 0
	v_mov_b32_e32 v2, 0
	v_mov_b32_e32 v3, 0x60
	buffer_store_byte v2, off, s[0:3], 0 offset:200
	buffer_store_dword v2, off, s[0:3], 0 offset:124
	buffer_store_dword v2, off, s[0:3], 0 offset:120
	;; [unrolled: 1-line block ×9, first 2 shown]
.LBB2169_149:                           ; =>This Inner Loop Header: Depth=1
	v_add_u32_e32 v4, s14, v3
	s_add_i32 s14, s14, 8
	s_cmp_lg_u32 s14, 32
	buffer_store_dword v2, v4, s[0:3], 0 offen offset:4
	buffer_store_dword v2, v4, s[0:3], 0 offen
	s_cbranch_scc1 .LBB2169_149
; %bb.150:
	v_xad_u32 v12, v1, -1, s33
	v_mov_b32_e32 v2, 0
	buffer_store_byte v2, off, s[0:3], 0 offset:128
	v_add_u32_e32 v2, 64, v12
	global_load_ubyte v11, v2, s[24:25] glc
	s_waitcnt vmcnt(0)
	v_cmp_eq_u16_e32 vcc, 0, v11
	s_and_saveexec_b64 s[14:15], vcc
	s_cbranch_execz .LBB2169_156
; %bb.151:
	v_mov_b32_e32 v3, s25
	v_add_co_u32_e32 v4, vcc, s24, v2
	v_addc_co_u32_e32 v5, vcc, 0, v3, vcc
	s_mov_b32 s48, 1
	s_mov_b64 s[28:29], 0
.LBB2169_152:                           ; =>This Loop Header: Depth=1
                                        ;     Child Loop BB2169_153 Depth 2
	s_max_u32 s49, s48, 1
.LBB2169_153:                           ;   Parent Loop BB2169_152 Depth=1
                                        ; =>  This Inner Loop Header: Depth=2
	s_add_i32 s49, s49, -1
	s_cmp_eq_u32 s49, 0
	s_sleep 1
	s_cbranch_scc0 .LBB2169_153
; %bb.154:                              ;   in Loop: Header=BB2169_152 Depth=1
	global_load_ubyte v11, v[4:5], off glc
	s_cmp_lt_u32 s48, 32
	s_cselect_b64 s[50:51], -1, 0
	s_cmp_lg_u64 s[50:51], 0
	s_addc_u32 s48, s48, 0
	s_waitcnt vmcnt(0)
	v_cmp_ne_u16_e32 vcc, 0, v11
	s_or_b64 s[28:29], vcc, s[28:29]
	s_andn2_b64 exec, exec, s[28:29]
	s_cbranch_execnz .LBB2169_152
; %bb.155:
	s_or_b64 exec, exec, s[28:29]
.LBB2169_156:
	s_or_b64 exec, exec, s[14:15]
	v_mov_b32_e32 v3, s23
	v_mov_b32_e32 v4, s21
	v_cmp_eq_u16_e32 vcc, 1, v11
	v_cndmask_b32_e32 v5, v3, v4, vcc
	v_mov_b32_e32 v3, s22
	v_mov_b32_e32 v4, s20
	v_cndmask_b32_e32 v4, v3, v4, vcc
	v_mad_u64_u32 v[14:15], s[14:15], v2, 36, v[4:5]
	buffer_wbinvl1_vol
	global_load_dwordx4 v[2:5], v[14:15], off
	global_load_dwordx4 v[6:9], v[14:15], off offset:16
	global_load_ubyte v16, v[14:15], off offset:32
	v_mov_b32_e32 v13, 0
	s_mov_b32 s14, 0
	v_mov_b32_e32 v14, 0
	buffer_store_dword v13, off, s[0:3], 0 offset:32
	s_waitcnt vmcnt(3)
	buffer_store_dword v5, off, s[0:3], 0 offset:108
	buffer_store_dword v4, off, s[0:3], 0 offset:104
	;; [unrolled: 1-line block ×4, first 2 shown]
	s_waitcnt vmcnt(6)
	buffer_store_dword v9, off, s[0:3], 0 offset:124
	buffer_store_dword v8, off, s[0:3], 0 offset:120
	;; [unrolled: 1-line block ×4, first 2 shown]
	s_waitcnt vmcnt(9)
	buffer_store_byte v16, off, s[0:3], 0 offset:128
	buffer_store_dword v3, off, s[0:3], 0 offset:172
	buffer_store_dword v2, off, s[0:3], 0 offset:168
	;; [unrolled: 1-line block ×8, first 2 shown]
	buffer_store_byte v16, off, s[0:3], 0 offset:200
.LBB2169_157:                           ; =>This Inner Loop Header: Depth=1
	v_add_u32_e32 v15, s14, v14
	s_add_i32 s14, s14, 8
	s_cmp_lg_u32 s14, 32
	buffer_store_dword v13, v15, s[0:3], 0 offen offset:4
	buffer_store_dword v13, v15, s[0:3], 0 offen
	s_cbranch_scc1 .LBB2169_157
; %bb.158:
	buffer_load_dword v29, off, s[0:3], 0 offset:200
	v_lshlrev_b64 v[14:15], v1, -1
	v_cmp_eq_u16_e32 vcc, 2, v11
	v_and_b32_e32 v13, 63, v1
	v_and_b32_e32 v16, vcc_hi, v15
	v_and_b32_e32 v17, vcc_lo, v14
	v_cmp_ne_u32_e32 vcc, 63, v13
	v_addc_co_u32_e32 v20, vcc, 0, v1, vcc
	v_or_b32_e32 v21, 0x80000000, v16
	v_lshlrev_b32_e32 v16, 2, v20
	v_ffbl_b32_e32 v20, v21
	v_ffbl_b32_e32 v17, v17
	v_add_u32_e32 v20, 32, v20
	ds_bpermute_b32 v21, v16, v2
	ds_bpermute_b32 v25, v16, v6
	v_min_u32_e32 v30, v17, v20
	ds_bpermute_b32 v22, v16, v3
	ds_bpermute_b32 v26, v16, v7
	;; [unrolled: 1-line block ×6, first 2 shown]
	v_cmp_lt_u32_e32 vcc, v13, v30
	s_waitcnt lgkmcnt(7)
	buffer_store_dword v21, off, s[0:3], 0
	s_waitcnt lgkmcnt(5)
	buffer_store_dword v22, off, s[0:3], 0 offset:4
	s_waitcnt lgkmcnt(3)
	buffer_store_dword v23, off, s[0:3], 0 offset:8
	;; [unrolled: 2-line block ×3, first 2 shown]
	buffer_store_dword v25, off, s[0:3], 0 offset:16
	buffer_store_dword v26, off, s[0:3], 0 offset:20
	;; [unrolled: 1-line block ×3, first 2 shown]
	s_waitcnt lgkmcnt(0)
	buffer_store_dword v28, off, s[0:3], 0 offset:28
	s_waitcnt vmcnt(8)
	ds_bpermute_b32 v17, v16, v29
	s_and_saveexec_b64 s[14:15], vcc
	s_cbranch_execz .LBB2169_166
; %bb.159:
	v_mov_b32_e32 v20, 0
	v_cmp_eq_u16_sdwa s[48:49], v29, v20 src0_sel:BYTE_0 src1_sel:DWORD
	s_and_saveexec_b64 s[28:29], s[48:49]
	s_cbranch_execz .LBB2169_165
; %bb.160:
	s_mov_b32 s48, 0
	v_mov_b32_e32 v2, 0x84
.LBB2169_161:                           ; =>This Inner Loop Header: Depth=1
	v_add_u32_e32 v3, s48, v2
	s_add_i32 s48, s48, 8
	s_cmp_lg_u32 s48, 32
	buffer_store_dword v20, v3, s[0:3], 0 offen offset:4
	buffer_store_dword v20, v3, s[0:3], 0 offen
	s_cbranch_scc1 .LBB2169_161
; %bb.162:
	s_mov_b32 s48, 0
	v_mov_b32_e32 v2, 0
	v_mov_b32_e32 v3, 0xa8
	;; [unrolled: 1-line block ×3, first 2 shown]
.LBB2169_163:                           ; =>This Inner Loop Header: Depth=1
	v_add_u32_e32 v5, s48, v2
	v_add_u32_e32 v6, s48, v3
	buffer_load_dword v7, v5, s[0:3], 0 offen offset:4
	buffer_load_dword v8, v6, s[0:3], 0 offen
	buffer_load_dword v9, v5, s[0:3], 0 offen
	buffer_load_dword v20, v6, s[0:3], 0 offen offset:4
	v_add_u32_e32 v5, s48, v4
	s_add_i32 s48, s48, 8
	s_cmp_lg_u32 s48, 32
	s_waitcnt vmcnt(1)
	v_add_u32_e32 v6, v8, v9
	s_waitcnt vmcnt(0)
	v_add_u32_e32 v7, v20, v7
	buffer_store_dword v7, v5, s[0:3], 0 offen offset:4
	buffer_store_dword v6, v5, s[0:3], 0 offen
	s_cbranch_scc1 .LBB2169_163
; %bb.164:
	buffer_load_dword v2, off, s[0:3], 0 offset:132
	buffer_load_dword v3, off, s[0:3], 0 offset:136
	;; [unrolled: 1-line block ×8, first 2 shown]
.LBB2169_165:
	s_or_b64 exec, exec, s[28:29]
	s_waitcnt lgkmcnt(0)
	v_or_b32_e32 v17, v17, v29
	v_and_b32_e32 v17, 1, v17
	buffer_store_byte v17, off, s[0:3], 0 offset:200
	buffer_load_dword v29, off, s[0:3], 0 offset:200
	s_waitcnt vmcnt(8)
	buffer_store_dword v3, off, s[0:3], 0 offset:172
	buffer_store_dword v2, off, s[0:3], 0 offset:168
	s_waitcnt vmcnt(8)
	buffer_store_dword v5, off, s[0:3], 0 offset:180
	buffer_store_dword v4, off, s[0:3], 0 offset:176
	;; [unrolled: 3-line block ×4, first 2 shown]
.LBB2169_166:
	s_or_b64 exec, exec, s[14:15]
	v_cmp_gt_u32_e32 vcc, 62, v13
	v_cndmask_b32_e64 v20, 0, 1, vcc
	v_lshlrev_b32_e32 v20, 1, v20
	v_add_lshl_u32 v20, v20, v1, 2
	ds_bpermute_b32 v22, v20, v2
	s_waitcnt vmcnt(8)
	ds_bpermute_b32 v21, v20, v29
	ds_bpermute_b32 v23, v20, v3
	;; [unrolled: 1-line block ×3, first 2 shown]
	s_waitcnt lgkmcnt(4)
	v_add_u32_e32 v17, 2, v13
	ds_bpermute_b32 v25, v20, v5
	ds_bpermute_b32 v26, v20, v6
	v_cmp_le_u32_e32 vcc, v17, v30
	ds_bpermute_b32 v27, v20, v7
	ds_bpermute_b32 v28, v20, v8
	;; [unrolled: 1-line block ×3, first 2 shown]
	s_waitcnt lgkmcnt(8)
	buffer_store_dword v22, off, s[0:3], 0
	s_waitcnt lgkmcnt(6)
	buffer_store_dword v23, off, s[0:3], 0 offset:4
	s_waitcnt lgkmcnt(5)
	buffer_store_dword v24, off, s[0:3], 0 offset:8
	;; [unrolled: 2-line block ×7, first 2 shown]
	s_and_saveexec_b64 s[28:29], vcc
	s_cbranch_execz .LBB2169_174
; %bb.167:
	v_mov_b32_e32 v22, 0
	s_mov_b32 s48, 0
	v_cmp_eq_u16_sdwa s[50:51], v29, v22 src0_sel:BYTE_0 src1_sel:DWORD
	s_and_saveexec_b64 s[14:15], s[50:51]
	s_cbranch_execz .LBB2169_173
; %bb.168:
	v_mov_b32_e32 v2, 0x84
.LBB2169_169:                           ; =>This Inner Loop Header: Depth=1
	v_add_u32_e32 v3, s48, v2
	s_add_i32 s48, s48, 8
	s_cmp_lg_u32 s48, 32
	buffer_store_dword v22, v3, s[0:3], 0 offen offset:4
	buffer_store_dword v22, v3, s[0:3], 0 offen
	s_cbranch_scc1 .LBB2169_169
; %bb.170:
	s_mov_b32 s48, 0
	v_mov_b32_e32 v2, 0
	v_mov_b32_e32 v3, 0xa8
	;; [unrolled: 1-line block ×3, first 2 shown]
.LBB2169_171:                           ; =>This Inner Loop Header: Depth=1
	v_add_u32_e32 v5, s48, v2
	v_add_u32_e32 v6, s48, v3
	buffer_load_dword v7, v5, s[0:3], 0 offen offset:4
	buffer_load_dword v8, v6, s[0:3], 0 offen
	buffer_load_dword v9, v5, s[0:3], 0 offen
	buffer_load_dword v22, v6, s[0:3], 0 offen offset:4
	v_add_u32_e32 v5, s48, v4
	s_add_i32 s48, s48, 8
	s_cmp_lg_u32 s48, 32
	s_waitcnt vmcnt(1)
	v_add_u32_e32 v6, v8, v9
	s_waitcnt vmcnt(0)
	v_add_u32_e32 v7, v22, v7
	buffer_store_dword v7, v5, s[0:3], 0 offen offset:4
	buffer_store_dword v6, v5, s[0:3], 0 offen
	s_cbranch_scc1 .LBB2169_171
; %bb.172:
	buffer_load_dword v2, off, s[0:3], 0 offset:132
	buffer_load_dword v3, off, s[0:3], 0 offset:136
	;; [unrolled: 1-line block ×8, first 2 shown]
.LBB2169_173:
	s_or_b64 exec, exec, s[14:15]
	v_and_b32_e32 v22, 1, v29
	v_and_b32_e32 v21, 1, v21
	v_cmp_eq_u32_e32 vcc, 1, v22
	v_cmp_eq_u32_e64 s[14:15], 1, v21
	s_or_b64 s[14:15], vcc, s[14:15]
	v_cndmask_b32_e64 v21, 0, 1, s[14:15]
	buffer_store_byte v21, off, s[0:3], 0 offset:200
	buffer_load_dword v29, off, s[0:3], 0 offset:200
	s_waitcnt vmcnt(8)
	buffer_store_dword v3, off, s[0:3], 0 offset:172
	buffer_store_dword v2, off, s[0:3], 0 offset:168
	s_waitcnt vmcnt(8)
	buffer_store_dword v5, off, s[0:3], 0 offset:180
	buffer_store_dword v4, off, s[0:3], 0 offset:176
	s_waitcnt vmcnt(8)
	buffer_store_dword v7, off, s[0:3], 0 offset:188
	buffer_store_dword v6, off, s[0:3], 0 offset:184
	s_waitcnt vmcnt(8)
	buffer_store_dword v9, off, s[0:3], 0 offset:196
	buffer_store_dword v8, off, s[0:3], 0 offset:192
.LBB2169_174:
	s_or_b64 exec, exec, s[28:29]
	v_cmp_gt_u32_e32 vcc, 60, v13
	v_cndmask_b32_e64 v22, 0, 1, vcc
	v_lshlrev_b32_e32 v22, 2, v22
	v_add_lshl_u32 v22, v22, v1, 2
	ds_bpermute_b32 v24, v22, v2
	s_waitcnt vmcnt(8)
	ds_bpermute_b32 v23, v22, v29
	ds_bpermute_b32 v25, v22, v3
	;; [unrolled: 1-line block ×3, first 2 shown]
	v_add_u32_e32 v21, 4, v13
	ds_bpermute_b32 v27, v22, v5
	ds_bpermute_b32 v28, v22, v6
	v_cmp_le_u32_e32 vcc, v21, v30
	ds_bpermute_b32 v31, v22, v7
	ds_bpermute_b32 v32, v22, v8
	;; [unrolled: 1-line block ×3, first 2 shown]
	s_waitcnt lgkmcnt(8)
	buffer_store_dword v24, off, s[0:3], 0
	s_waitcnt lgkmcnt(6)
	buffer_store_dword v25, off, s[0:3], 0 offset:4
	s_waitcnt lgkmcnt(5)
	buffer_store_dword v26, off, s[0:3], 0 offset:8
	;; [unrolled: 2-line block ×7, first 2 shown]
	s_and_saveexec_b64 s[28:29], vcc
	s_cbranch_execz .LBB2169_182
; %bb.175:
	v_mov_b32_e32 v24, 0
	s_mov_b32 s48, 0
	v_cmp_eq_u16_sdwa s[50:51], v29, v24 src0_sel:BYTE_0 src1_sel:DWORD
	s_and_saveexec_b64 s[14:15], s[50:51]
	s_cbranch_execz .LBB2169_181
; %bb.176:
	v_mov_b32_e32 v2, 0x84
.LBB2169_177:                           ; =>This Inner Loop Header: Depth=1
	v_add_u32_e32 v3, s48, v2
	s_add_i32 s48, s48, 8
	s_cmp_lg_u32 s48, 32
	buffer_store_dword v24, v3, s[0:3], 0 offen offset:4
	buffer_store_dword v24, v3, s[0:3], 0 offen
	s_cbranch_scc1 .LBB2169_177
; %bb.178:
	s_mov_b32 s48, 0
	v_mov_b32_e32 v2, 0
	v_mov_b32_e32 v3, 0xa8
	;; [unrolled: 1-line block ×3, first 2 shown]
.LBB2169_179:                           ; =>This Inner Loop Header: Depth=1
	v_add_u32_e32 v5, s48, v2
	v_add_u32_e32 v6, s48, v3
	buffer_load_dword v7, v5, s[0:3], 0 offen offset:4
	buffer_load_dword v8, v6, s[0:3], 0 offen
	buffer_load_dword v9, v5, s[0:3], 0 offen
	buffer_load_dword v24, v6, s[0:3], 0 offen offset:4
	v_add_u32_e32 v5, s48, v4
	s_add_i32 s48, s48, 8
	s_cmp_lg_u32 s48, 32
	s_waitcnt vmcnt(1)
	v_add_u32_e32 v6, v8, v9
	s_waitcnt vmcnt(0)
	v_add_u32_e32 v7, v24, v7
	buffer_store_dword v7, v5, s[0:3], 0 offen offset:4
	buffer_store_dword v6, v5, s[0:3], 0 offen
	s_cbranch_scc1 .LBB2169_179
; %bb.180:
	buffer_load_dword v2, off, s[0:3], 0 offset:132
	buffer_load_dword v3, off, s[0:3], 0 offset:136
	;; [unrolled: 1-line block ×8, first 2 shown]
.LBB2169_181:
	s_or_b64 exec, exec, s[14:15]
	v_and_b32_e32 v24, 1, v29
	v_and_b32_e32 v23, 1, v23
	v_cmp_eq_u32_e32 vcc, 1, v24
	v_cmp_eq_u32_e64 s[14:15], 1, v23
	s_or_b64 s[14:15], vcc, s[14:15]
	v_cndmask_b32_e64 v23, 0, 1, s[14:15]
	buffer_store_byte v23, off, s[0:3], 0 offset:200
	buffer_load_dword v29, off, s[0:3], 0 offset:200
	s_waitcnt vmcnt(8)
	buffer_store_dword v3, off, s[0:3], 0 offset:172
	buffer_store_dword v2, off, s[0:3], 0 offset:168
	s_waitcnt vmcnt(8)
	buffer_store_dword v5, off, s[0:3], 0 offset:180
	buffer_store_dword v4, off, s[0:3], 0 offset:176
	;; [unrolled: 3-line block ×4, first 2 shown]
.LBB2169_182:
	s_or_b64 exec, exec, s[28:29]
	v_cmp_gt_u32_e32 vcc, 56, v13
	v_cndmask_b32_e64 v24, 0, 1, vcc
	v_lshlrev_b32_e32 v24, 3, v24
	v_add_lshl_u32 v24, v24, v1, 2
	ds_bpermute_b32 v26, v24, v2
	s_waitcnt vmcnt(8)
	ds_bpermute_b32 v25, v24, v29
	ds_bpermute_b32 v27, v24, v3
	ds_bpermute_b32 v28, v24, v4
	v_add_u32_e32 v23, 8, v13
	ds_bpermute_b32 v31, v24, v5
	ds_bpermute_b32 v32, v24, v6
	v_cmp_le_u32_e32 vcc, v23, v30
	ds_bpermute_b32 v33, v24, v7
	ds_bpermute_b32 v34, v24, v8
	;; [unrolled: 1-line block ×3, first 2 shown]
	s_waitcnt lgkmcnt(8)
	buffer_store_dword v26, off, s[0:3], 0
	s_waitcnt lgkmcnt(6)
	buffer_store_dword v27, off, s[0:3], 0 offset:4
	s_waitcnt lgkmcnt(5)
	buffer_store_dword v28, off, s[0:3], 0 offset:8
	;; [unrolled: 2-line block ×7, first 2 shown]
	s_and_saveexec_b64 s[28:29], vcc
	s_cbranch_execz .LBB2169_190
; %bb.183:
	v_mov_b32_e32 v26, 0
	s_mov_b32 s48, 0
	v_cmp_eq_u16_sdwa s[50:51], v29, v26 src0_sel:BYTE_0 src1_sel:DWORD
	s_and_saveexec_b64 s[14:15], s[50:51]
	s_cbranch_execz .LBB2169_189
; %bb.184:
	v_mov_b32_e32 v2, 0x84
.LBB2169_185:                           ; =>This Inner Loop Header: Depth=1
	v_add_u32_e32 v3, s48, v2
	s_add_i32 s48, s48, 8
	s_cmp_lg_u32 s48, 32
	buffer_store_dword v26, v3, s[0:3], 0 offen offset:4
	buffer_store_dword v26, v3, s[0:3], 0 offen
	s_cbranch_scc1 .LBB2169_185
; %bb.186:
	s_mov_b32 s48, 0
	v_mov_b32_e32 v2, 0
	v_mov_b32_e32 v3, 0xa8
	;; [unrolled: 1-line block ×3, first 2 shown]
.LBB2169_187:                           ; =>This Inner Loop Header: Depth=1
	v_add_u32_e32 v5, s48, v2
	v_add_u32_e32 v6, s48, v3
	buffer_load_dword v7, v5, s[0:3], 0 offen offset:4
	buffer_load_dword v8, v6, s[0:3], 0 offen
	buffer_load_dword v9, v5, s[0:3], 0 offen
	buffer_load_dword v26, v6, s[0:3], 0 offen offset:4
	v_add_u32_e32 v5, s48, v4
	s_add_i32 s48, s48, 8
	s_cmp_lg_u32 s48, 32
	s_waitcnt vmcnt(1)
	v_add_u32_e32 v6, v8, v9
	s_waitcnt vmcnt(0)
	v_add_u32_e32 v7, v26, v7
	buffer_store_dword v7, v5, s[0:3], 0 offen offset:4
	buffer_store_dword v6, v5, s[0:3], 0 offen
	s_cbranch_scc1 .LBB2169_187
; %bb.188:
	buffer_load_dword v2, off, s[0:3], 0 offset:132
	buffer_load_dword v3, off, s[0:3], 0 offset:136
	;; [unrolled: 1-line block ×8, first 2 shown]
.LBB2169_189:
	s_or_b64 exec, exec, s[14:15]
	v_and_b32_e32 v26, 1, v29
	v_and_b32_e32 v25, 1, v25
	v_cmp_eq_u32_e32 vcc, 1, v26
	v_cmp_eq_u32_e64 s[14:15], 1, v25
	s_or_b64 s[14:15], vcc, s[14:15]
	v_cndmask_b32_e64 v25, 0, 1, s[14:15]
	buffer_store_byte v25, off, s[0:3], 0 offset:200
	buffer_load_dword v29, off, s[0:3], 0 offset:200
	s_waitcnt vmcnt(8)
	buffer_store_dword v3, off, s[0:3], 0 offset:172
	buffer_store_dword v2, off, s[0:3], 0 offset:168
	s_waitcnt vmcnt(8)
	buffer_store_dword v5, off, s[0:3], 0 offset:180
	buffer_store_dword v4, off, s[0:3], 0 offset:176
	;; [unrolled: 3-line block ×4, first 2 shown]
.LBB2169_190:
	s_or_b64 exec, exec, s[28:29]
	v_cmp_gt_u32_e32 vcc, 48, v13
	v_cndmask_b32_e64 v26, 0, 1, vcc
	v_lshlrev_b32_e32 v26, 4, v26
	v_add_lshl_u32 v26, v26, v1, 2
	ds_bpermute_b32 v28, v26, v2
	s_waitcnt vmcnt(8)
	ds_bpermute_b32 v27, v26, v29
	ds_bpermute_b32 v31, v26, v3
	;; [unrolled: 1-line block ×3, first 2 shown]
	v_add_u32_e32 v25, 16, v13
	ds_bpermute_b32 v33, v26, v5
	ds_bpermute_b32 v34, v26, v6
	v_cmp_le_u32_e32 vcc, v25, v30
	ds_bpermute_b32 v35, v26, v7
	ds_bpermute_b32 v36, v26, v8
	;; [unrolled: 1-line block ×3, first 2 shown]
	s_waitcnt lgkmcnt(8)
	buffer_store_dword v28, off, s[0:3], 0
	s_waitcnt lgkmcnt(6)
	buffer_store_dword v31, off, s[0:3], 0 offset:4
	s_waitcnt lgkmcnt(5)
	buffer_store_dword v32, off, s[0:3], 0 offset:8
	;; [unrolled: 2-line block ×7, first 2 shown]
	s_and_saveexec_b64 s[28:29], vcc
	s_cbranch_execz .LBB2169_198
; %bb.191:
	v_mov_b32_e32 v28, 0
	s_mov_b32 s48, 0
	v_cmp_eq_u16_sdwa s[50:51], v29, v28 src0_sel:BYTE_0 src1_sel:DWORD
	s_and_saveexec_b64 s[14:15], s[50:51]
	s_cbranch_execz .LBB2169_197
; %bb.192:
	v_mov_b32_e32 v2, 0x84
.LBB2169_193:                           ; =>This Inner Loop Header: Depth=1
	v_add_u32_e32 v3, s48, v2
	s_add_i32 s48, s48, 8
	s_cmp_lg_u32 s48, 32
	buffer_store_dword v28, v3, s[0:3], 0 offen offset:4
	buffer_store_dword v28, v3, s[0:3], 0 offen
	s_cbranch_scc1 .LBB2169_193
; %bb.194:
	s_mov_b32 s48, 0
	v_mov_b32_e32 v2, 0
	v_mov_b32_e32 v3, 0xa8
	;; [unrolled: 1-line block ×3, first 2 shown]
.LBB2169_195:                           ; =>This Inner Loop Header: Depth=1
	v_add_u32_e32 v5, s48, v2
	v_add_u32_e32 v6, s48, v3
	buffer_load_dword v7, v5, s[0:3], 0 offen offset:4
	buffer_load_dword v8, v6, s[0:3], 0 offen
	buffer_load_dword v9, v5, s[0:3], 0 offen
	buffer_load_dword v28, v6, s[0:3], 0 offen offset:4
	v_add_u32_e32 v5, s48, v4
	s_add_i32 s48, s48, 8
	s_cmp_lg_u32 s48, 32
	s_waitcnt vmcnt(1)
	v_add_u32_e32 v6, v8, v9
	s_waitcnt vmcnt(0)
	v_add_u32_e32 v7, v28, v7
	buffer_store_dword v7, v5, s[0:3], 0 offen offset:4
	buffer_store_dword v6, v5, s[0:3], 0 offen
	s_cbranch_scc1 .LBB2169_195
; %bb.196:
	buffer_load_dword v2, off, s[0:3], 0 offset:132
	buffer_load_dword v3, off, s[0:3], 0 offset:136
	;; [unrolled: 1-line block ×8, first 2 shown]
.LBB2169_197:
	s_or_b64 exec, exec, s[14:15]
	v_and_b32_e32 v28, 1, v29
	v_and_b32_e32 v27, 1, v27
	v_cmp_eq_u32_e32 vcc, 1, v28
	v_cmp_eq_u32_e64 s[14:15], 1, v27
	s_or_b64 s[14:15], vcc, s[14:15]
	v_cndmask_b32_e64 v27, 0, 1, s[14:15]
	buffer_store_byte v27, off, s[0:3], 0 offset:200
	buffer_load_dword v29, off, s[0:3], 0 offset:200
	s_waitcnt vmcnt(8)
	buffer_store_dword v3, off, s[0:3], 0 offset:172
	buffer_store_dword v2, off, s[0:3], 0 offset:168
	s_waitcnt vmcnt(8)
	buffer_store_dword v5, off, s[0:3], 0 offset:180
	buffer_store_dword v4, off, s[0:3], 0 offset:176
	;; [unrolled: 3-line block ×4, first 2 shown]
.LBB2169_198:
	s_or_b64 exec, exec, s[28:29]
	v_cmp_gt_u32_e32 vcc, 32, v13
	v_cndmask_b32_e64 v28, 0, 1, vcc
	v_lshlrev_b32_e32 v28, 5, v28
	v_add_lshl_u32 v28, v28, v1, 2
	ds_bpermute_b32 v31, v28, v2
	s_waitcnt vmcnt(8)
	ds_bpermute_b32 v1, v28, v29
	ds_bpermute_b32 v32, v28, v3
	;; [unrolled: 1-line block ×3, first 2 shown]
	v_add_u32_e32 v27, 32, v13
	ds_bpermute_b32 v34, v28, v5
	ds_bpermute_b32 v35, v28, v6
	v_cmp_le_u32_e32 vcc, v27, v30
	ds_bpermute_b32 v36, v28, v7
	ds_bpermute_b32 v37, v28, v8
	;; [unrolled: 1-line block ×3, first 2 shown]
	s_waitcnt lgkmcnt(8)
	buffer_store_dword v31, off, s[0:3], 0
	s_waitcnt lgkmcnt(6)
	buffer_store_dword v32, off, s[0:3], 0 offset:4
	s_waitcnt lgkmcnt(5)
	buffer_store_dword v33, off, s[0:3], 0 offset:8
	;; [unrolled: 2-line block ×7, first 2 shown]
	s_and_saveexec_b64 s[28:29], vcc
	s_cbranch_execz .LBB2169_206
; %bb.199:
	v_mov_b32_e32 v30, 0
	s_mov_b32 s48, 0
	v_cmp_eq_u16_sdwa s[50:51], v29, v30 src0_sel:BYTE_0 src1_sel:DWORD
	s_and_saveexec_b64 s[14:15], s[50:51]
	s_cbranch_execz .LBB2169_205
; %bb.200:
	v_mov_b32_e32 v2, 0x84
.LBB2169_201:                           ; =>This Inner Loop Header: Depth=1
	v_add_u32_e32 v3, s48, v2
	s_add_i32 s48, s48, 8
	s_cmp_lg_u32 s48, 32
	buffer_store_dword v30, v3, s[0:3], 0 offen offset:4
	buffer_store_dword v30, v3, s[0:3], 0 offen
	s_cbranch_scc1 .LBB2169_201
; %bb.202:
	s_mov_b32 s48, 0
	v_mov_b32_e32 v2, 0
	v_mov_b32_e32 v3, 0xa8
	;; [unrolled: 1-line block ×3, first 2 shown]
.LBB2169_203:                           ; =>This Inner Loop Header: Depth=1
	v_add_u32_e32 v5, s48, v2
	v_add_u32_e32 v6, s48, v3
	buffer_load_dword v7, v5, s[0:3], 0 offen offset:4
	buffer_load_dword v8, v6, s[0:3], 0 offen
	buffer_load_dword v9, v5, s[0:3], 0 offen
	buffer_load_dword v30, v6, s[0:3], 0 offen offset:4
	v_add_u32_e32 v5, s48, v4
	s_add_i32 s48, s48, 8
	s_cmp_lg_u32 s48, 32
	s_waitcnt vmcnt(1)
	v_add_u32_e32 v6, v8, v9
	s_waitcnt vmcnt(0)
	v_add_u32_e32 v7, v30, v7
	buffer_store_dword v7, v5, s[0:3], 0 offen offset:4
	buffer_store_dword v6, v5, s[0:3], 0 offen
	s_cbranch_scc1 .LBB2169_203
; %bb.204:
	buffer_load_dword v2, off, s[0:3], 0 offset:132
	buffer_load_dword v3, off, s[0:3], 0 offset:136
	;; [unrolled: 1-line block ×8, first 2 shown]
.LBB2169_205:
	s_or_b64 exec, exec, s[14:15]
	v_and_b32_e32 v29, 1, v29
	v_and_b32_e32 v1, 1, v1
	v_cmp_eq_u32_e32 vcc, 1, v29
	v_cmp_eq_u32_e64 s[14:15], 1, v1
	s_or_b64 s[14:15], vcc, s[14:15]
	v_cndmask_b32_e64 v1, 0, 1, s[14:15]
	s_waitcnt vmcnt(6)
	buffer_store_dword v3, off, s[0:3], 0 offset:172
	buffer_store_dword v2, off, s[0:3], 0 offset:168
	s_waitcnt vmcnt(6)
	buffer_store_dword v5, off, s[0:3], 0 offset:180
	buffer_store_dword v4, off, s[0:3], 0 offset:176
	s_waitcnt vmcnt(6)
	buffer_store_dword v7, off, s[0:3], 0 offset:188
	buffer_store_dword v6, off, s[0:3], 0 offset:184
	s_waitcnt vmcnt(6)
	buffer_store_dword v9, off, s[0:3], 0 offset:196
	buffer_store_dword v8, off, s[0:3], 0 offset:192
	buffer_store_byte v1, off, s[0:3], 0 offset:200
.LBB2169_206:
	s_or_b64 exec, exec, s[28:29]
	buffer_load_dword v1, off, s[0:3], 0 offset:180
	buffer_load_dword v2, off, s[0:3], 0 offset:176
	buffer_load_dword v3, off, s[0:3], 0 offset:172
	buffer_load_dword v4, off, s[0:3], 0 offset:168
	buffer_load_dword v5, off, s[0:3], 0 offset:196
	buffer_load_dword v6, off, s[0:3], 0 offset:192
	buffer_load_dword v7, off, s[0:3], 0 offset:188
	buffer_load_dword v33, off, s[0:3], 0 offset:184
	buffer_load_dword v34, off, s[0:3], 0 offset:200
	s_load_dwordx2 s[4:5], s[4:5], 0x4
	v_bfe_u32 v32, v0, 10, 10
	v_bfe_u32 v0, v0, 20, 10
	v_mov_b32_e32 v35, 0x6000
	v_mov_b32_e32 v8, 0
	s_waitcnt lgkmcnt(0)
	s_lshr_b32 s4, s4, 16
	s_mul_i32 s4, s4, s5
	v_mul_u32_u24_e32 v32, s5, v32
	v_mul_lo_u32 v36, s4, v10
	v_add3_u32 v0, v36, v32, v0
	v_mov_b32_e32 v9, 0x60
	v_mov_b32_e32 v29, 0
	;; [unrolled: 1-line block ×4, first 2 shown]
	v_lshl_add_u32 v32, v0, 5, v35
	s_waitcnt vmcnt(8)
	buffer_store_dword v1, off, s[0:3], 0 offset:144
	s_waitcnt vmcnt(8)
	buffer_store_dword v2, off, s[0:3], 0 offset:140
	;; [unrolled: 2-line block ×9, first 2 shown]
	v_mov_b32_e32 v33, 2
	s_branch .LBB2169_208
.LBB2169_207:                           ;   in Loop: Header=BB2169_208 Depth=1
                                        ; implicit-def: $vgpr12
                                        ; implicit-def: $vgpr11
	s_cbranch_execnz .LBB2169_276
.LBB2169_208:                           ; =>This Loop Header: Depth=1
                                        ;     Child Loop BB2169_210 Depth 2
                                        ;     Child Loop BB2169_213 Depth 2
                                        ;       Child Loop BB2169_214 Depth 3
                                        ;     Child Loop BB2169_218 Depth 2
                                        ;     Child Loop BB2169_222 Depth 2
	;; [unrolled: 1-line block ×15, first 2 shown]
	v_cmp_ne_u16_sdwa s[4:5], v11, v33 src0_sel:BYTE_0 src1_sel:DWORD
	v_cndmask_b32_e64 v0, 0, 1, s[4:5]
	;;#ASMSTART
	;;#ASMEND
	v_cmp_ne_u32_e32 vcc, 0, v0
	s_cmp_lg_u64 vcc, exec
	s_cbranch_scc1 .LBB2169_207
; %bb.209:                              ;   in Loop: Header=BB2169_208 Depth=1
	s_mov_b32 s4, 0
	buffer_store_dword v8, off, s[0:3], 0 offset:124
	buffer_store_dword v8, off, s[0:3], 0 offset:120
	buffer_store_dword v8, off, s[0:3], 0 offset:116
	buffer_store_dword v8, off, s[0:3], 0 offset:112
	buffer_store_dword v8, off, s[0:3], 0 offset:108
	buffer_store_dword v8, off, s[0:3], 0 offset:104
	buffer_store_dword v8, off, s[0:3], 0 offset:100
	buffer_store_dword v8, off, s[0:3], 0 offset:96
	buffer_store_dword v8, off, s[0:3], 0 offset:128
.LBB2169_210:                           ;   Parent Loop BB2169_208 Depth=1
                                        ; =>  This Inner Loop Header: Depth=2
	v_add_u32_e32 v0, s4, v9
	s_add_i32 s4, s4, 8
	s_cmp_lg_u32 s4, 32
	buffer_store_dword v8, v0, s[0:3], 0 offen offset:4
	buffer_store_dword v8, v0, s[0:3], 0 offen
	s_cbranch_scc1 .LBB2169_210
; %bb.211:                              ;   in Loop: Header=BB2169_208 Depth=1
	buffer_store_byte v8, off, s[0:3], 0 offset:128
	global_load_ubyte v11, v12, s[24:25] glc
	s_waitcnt vmcnt(0)
	v_cmp_eq_u16_e32 vcc, 0, v11
	s_and_saveexec_b64 s[4:5], vcc
	s_cbranch_execz .LBB2169_217
; %bb.212:                              ;   in Loop: Header=BB2169_208 Depth=1
	v_mov_b32_e32 v1, s25
	v_add_co_u32_e32 v0, vcc, s24, v12
	v_addc_co_u32_e32 v1, vcc, 0, v1, vcc
	s_mov_b32 s28, 1
	s_mov_b64 s[14:15], 0
.LBB2169_213:                           ;   Parent Loop BB2169_208 Depth=1
                                        ; =>  This Loop Header: Depth=2
                                        ;       Child Loop BB2169_214 Depth 3
	s_max_u32 s29, s28, 1
.LBB2169_214:                           ;   Parent Loop BB2169_208 Depth=1
                                        ;     Parent Loop BB2169_213 Depth=2
                                        ; =>    This Inner Loop Header: Depth=3
	s_add_i32 s29, s29, -1
	s_cmp_eq_u32 s29, 0
	s_sleep 1
	s_cbranch_scc0 .LBB2169_214
; %bb.215:                              ;   in Loop: Header=BB2169_213 Depth=2
	global_load_ubyte v11, v[0:1], off glc
	s_cmp_lt_u32 s28, 32
	s_cselect_b64 s[48:49], -1, 0
	s_cmp_lg_u64 s[48:49], 0
	s_addc_u32 s28, s28, 0
	s_waitcnt vmcnt(0)
	v_cmp_ne_u16_e32 vcc, 0, v11
	s_or_b64 s[14:15], vcc, s[14:15]
	s_andn2_b64 exec, exec, s[14:15]
	s_cbranch_execnz .LBB2169_213
; %bb.216:                              ;   in Loop: Header=BB2169_208 Depth=1
	s_or_b64 exec, exec, s[14:15]
.LBB2169_217:                           ;   in Loop: Header=BB2169_208 Depth=1
	s_or_b64 exec, exec, s[4:5]
	v_mov_b32_e32 v0, s23
	v_mov_b32_e32 v1, s21
	v_cmp_eq_u16_e32 vcc, 1, v11
	v_cndmask_b32_e32 v1, v0, v1, vcc
	v_mov_b32_e32 v0, s22
	v_mov_b32_e32 v2, s20
	v_cndmask_b32_e32 v0, v0, v2, vcc
	v_mad_u64_u32 v[34:35], s[4:5], v12, 36, v[0:1]
	buffer_wbinvl1_vol
	global_load_dwordx4 v[0:3], v[34:35], off
	global_load_dwordx4 v[4:7], v[34:35], off offset:16
	global_load_ubyte v36, v[34:35], off offset:32
	s_mov_b32 s4, 0
	buffer_store_dword v8, off, s[0:3], 0 offset:32
	s_waitcnt vmcnt(3)
	buffer_store_dword v3, off, s[0:3], 0 offset:108
	buffer_store_dword v2, off, s[0:3], 0 offset:104
	buffer_store_dword v1, off, s[0:3], 0 offset:100
	buffer_store_dword v0, off, s[0:3], 0 offset:96
	s_waitcnt vmcnt(6)
	buffer_store_dword v7, off, s[0:3], 0 offset:124
	buffer_store_dword v6, off, s[0:3], 0 offset:120
	;; [unrolled: 1-line block ×4, first 2 shown]
	s_waitcnt vmcnt(9)
	buffer_store_byte v36, off, s[0:3], 0 offset:128
	buffer_store_dword v1, off, s[0:3], 0 offset:172
	buffer_store_dword v0, off, s[0:3], 0 offset:168
	;; [unrolled: 1-line block ×8, first 2 shown]
	buffer_store_byte v36, off, s[0:3], 0 offset:200
.LBB2169_218:                           ;   Parent Loop BB2169_208 Depth=1
                                        ; =>  This Inner Loop Header: Depth=2
	v_add_u32_e32 v34, s4, v29
	s_add_i32 s4, s4, 8
	s_cmp_lg_u32 s4, 32
	buffer_store_dword v8, v34, s[0:3], 0 offen offset:4
	buffer_store_dword v8, v34, s[0:3], 0 offen
	s_cbranch_scc1 .LBB2169_218
; %bb.219:                              ;   in Loop: Header=BB2169_208 Depth=1
	buffer_load_dword v35, off, s[0:3], 0 offset:200
	ds_bpermute_b32 v36, v16, v0
	ds_bpermute_b32 v37, v16, v1
	;; [unrolled: 1-line block ×3, first 2 shown]
	v_cmp_eq_u16_e32 vcc, 2, v11
	ds_bpermute_b32 v39, v16, v3
	v_and_b32_e32 v34, vcc_hi, v15
	ds_bpermute_b32 v40, v16, v4
	v_or_b32_e32 v34, 0x80000000, v34
	s_waitcnt lgkmcnt(4)
	buffer_store_dword v36, off, s[0:3], 0
	s_waitcnt lgkmcnt(3)
	buffer_store_dword v37, off, s[0:3], 0 offset:4
	s_waitcnt lgkmcnt(2)
	buffer_store_dword v38, off, s[0:3], 0 offset:8
	;; [unrolled: 2-line block ×3, first 2 shown]
	ds_bpermute_b32 v41, v16, v5
	v_and_b32_e32 v44, vcc_lo, v14
	v_ffbl_b32_e32 v34, v34
	ds_bpermute_b32 v42, v16, v6
	v_ffbl_b32_e32 v44, v44
	v_add_u32_e32 v34, 32, v34
	ds_bpermute_b32 v43, v16, v7
	v_min_u32_e32 v34, v44, v34
	v_cmp_lt_u32_e32 vcc, v13, v34
	s_waitcnt lgkmcnt(3)
	buffer_store_dword v40, off, s[0:3], 0 offset:16
	s_waitcnt lgkmcnt(2)
	buffer_store_dword v41, off, s[0:3], 0 offset:20
	;; [unrolled: 2-line block ×4, first 2 shown]
	s_waitcnt vmcnt(8)
	ds_bpermute_b32 v36, v16, v35
	s_and_saveexec_b64 s[4:5], vcc
	s_cbranch_execz .LBB2169_227
; %bb.220:                              ;   in Loop: Header=BB2169_208 Depth=1
	v_cmp_eq_u16_sdwa s[28:29], v35, v8 src0_sel:BYTE_0 src1_sel:DWORD
	s_and_saveexec_b64 s[14:15], s[28:29]
	s_cbranch_execz .LBB2169_226
; %bb.221:                              ;   in Loop: Header=BB2169_208 Depth=1
	s_mov_b32 s28, 0
.LBB2169_222:                           ;   Parent Loop BB2169_208 Depth=1
                                        ; =>  This Inner Loop Header: Depth=2
	v_add_u32_e32 v0, s28, v32
	s_add_i32 s28, s28, 8
	s_cmp_lg_u32 s28, 32
	ds_write2_b32 v0, v8, v8 offset1:1
	s_cbranch_scc1 .LBB2169_222
; %bb.223:                              ;   in Loop: Header=BB2169_208 Depth=1
	s_mov_b32 s28, 0
.LBB2169_224:                           ;   Parent Loop BB2169_208 Depth=1
                                        ; =>  This Inner Loop Header: Depth=2
	v_add_u32_e32 v0, s28, v29
	v_add_u32_e32 v1, s28, v30
	buffer_load_dword v2, v0, s[0:3], 0 offen offset:4
	buffer_load_dword v3, v0, s[0:3], 0 offen
	buffer_load_dword v4, v1, s[0:3], 0 offen offset:4
	buffer_load_dword v5, v1, s[0:3], 0 offen
	v_add_u32_e32 v0, s28, v32
	s_add_i32 s28, s28, 8
	s_cmp_lg_u32 s28, 32
	s_waitcnt vmcnt(1)
	v_add_u32_e32 v1, v4, v2
	s_waitcnt vmcnt(0)
	v_add_u32_e32 v2, v5, v3
	ds_write2_b32 v0, v2, v1 offset1:1
	s_cbranch_scc1 .LBB2169_224
; %bb.225:                              ;   in Loop: Header=BB2169_208 Depth=1
	ds_read2_b32 v[0:1], v32 offset1:1
	ds_read2_b32 v[2:3], v32 offset0:2 offset1:3
	ds_read2_b32 v[4:5], v32 offset0:4 offset1:5
	;; [unrolled: 1-line block ×3, first 2 shown]
.LBB2169_226:                           ;   in Loop: Header=BB2169_208 Depth=1
	s_or_b64 exec, exec, s[14:15]
	s_waitcnt lgkmcnt(0)
	v_or_b32_e32 v35, v36, v35
	v_and_b32_e32 v35, 1, v35
	buffer_store_byte v35, off, s[0:3], 0 offset:200
	buffer_load_dword v35, off, s[0:3], 0 offset:200
	s_nop 0
	buffer_store_dword v1, off, s[0:3], 0 offset:172
	buffer_store_dword v0, off, s[0:3], 0 offset:168
	;; [unrolled: 1-line block ×8, first 2 shown]
.LBB2169_227:                           ;   in Loop: Header=BB2169_208 Depth=1
	s_or_b64 exec, exec, s[4:5]
	ds_bpermute_b32 v37, v20, v0
	s_waitcnt vmcnt(8) lgkmcnt(1)
	ds_bpermute_b32 v36, v20, v35
	ds_bpermute_b32 v38, v20, v1
	;; [unrolled: 1-line block ×5, first 2 shown]
	v_cmp_le_u32_e32 vcc, v17, v34
	ds_bpermute_b32 v42, v20, v5
	ds_bpermute_b32 v43, v20, v6
	ds_bpermute_b32 v44, v20, v7
	s_waitcnt lgkmcnt(8)
	buffer_store_dword v37, off, s[0:3], 0
	s_waitcnt lgkmcnt(6)
	buffer_store_dword v38, off, s[0:3], 0 offset:4
	s_waitcnt lgkmcnt(5)
	buffer_store_dword v39, off, s[0:3], 0 offset:8
	s_waitcnt lgkmcnt(4)
	buffer_store_dword v40, off, s[0:3], 0 offset:12
	s_waitcnt lgkmcnt(3)
	buffer_store_dword v41, off, s[0:3], 0 offset:16
	s_waitcnt lgkmcnt(2)
	buffer_store_dword v42, off, s[0:3], 0 offset:20
	s_waitcnt lgkmcnt(1)
	buffer_store_dword v43, off, s[0:3], 0 offset:24
	s_waitcnt lgkmcnt(0)
	buffer_store_dword v44, off, s[0:3], 0 offset:28
	s_and_saveexec_b64 s[14:15], vcc
	s_cbranch_execz .LBB2169_235
; %bb.228:                              ;   in Loop: Header=BB2169_208 Depth=1
	v_cmp_eq_u16_sdwa s[28:29], v35, v8 src0_sel:BYTE_0 src1_sel:DWORD
	s_and_saveexec_b64 s[4:5], s[28:29]
	s_cbranch_execz .LBB2169_234
; %bb.229:                              ;   in Loop: Header=BB2169_208 Depth=1
	s_mov_b32 s28, 0
.LBB2169_230:                           ;   Parent Loop BB2169_208 Depth=1
                                        ; =>  This Inner Loop Header: Depth=2
	v_add_u32_e32 v0, s28, v32
	s_add_i32 s28, s28, 8
	s_cmp_lg_u32 s28, 32
	ds_write2_b32 v0, v8, v8 offset1:1
	s_cbranch_scc1 .LBB2169_230
; %bb.231:                              ;   in Loop: Header=BB2169_208 Depth=1
	s_mov_b32 s28, 0
.LBB2169_232:                           ;   Parent Loop BB2169_208 Depth=1
                                        ; =>  This Inner Loop Header: Depth=2
	v_add_u32_e32 v0, s28, v29
	v_add_u32_e32 v1, s28, v30
	buffer_load_dword v2, v0, s[0:3], 0 offen offset:4
	buffer_load_dword v3, v0, s[0:3], 0 offen
	buffer_load_dword v4, v1, s[0:3], 0 offen offset:4
	buffer_load_dword v5, v1, s[0:3], 0 offen
	v_add_u32_e32 v0, s28, v32
	s_add_i32 s28, s28, 8
	s_cmp_lg_u32 s28, 32
	s_waitcnt vmcnt(1)
	v_add_u32_e32 v1, v4, v2
	s_waitcnt vmcnt(0)
	v_add_u32_e32 v2, v5, v3
	ds_write2_b32 v0, v2, v1 offset1:1
	s_cbranch_scc1 .LBB2169_232
; %bb.233:                              ;   in Loop: Header=BB2169_208 Depth=1
	ds_read2_b32 v[0:1], v32 offset1:1
	ds_read2_b32 v[2:3], v32 offset0:2 offset1:3
	ds_read2_b32 v[4:5], v32 offset0:4 offset1:5
	;; [unrolled: 1-line block ×3, first 2 shown]
.LBB2169_234:                           ;   in Loop: Header=BB2169_208 Depth=1
	s_or_b64 exec, exec, s[4:5]
	v_and_b32_e32 v35, 1, v35
	v_cmp_eq_u32_e32 vcc, 1, v35
	v_and_b32_e32 v35, 1, v36
	v_cmp_eq_u32_e64 s[4:5], 1, v35
	s_or_b64 s[4:5], vcc, s[4:5]
	v_cndmask_b32_e64 v35, 0, 1, s[4:5]
	buffer_store_byte v35, off, s[0:3], 0 offset:200
	buffer_load_dword v35, off, s[0:3], 0 offset:200
	s_waitcnt lgkmcnt(3)
	buffer_store_dword v1, off, s[0:3], 0 offset:172
	buffer_store_dword v0, off, s[0:3], 0 offset:168
	s_waitcnt lgkmcnt(2)
	buffer_store_dword v3, off, s[0:3], 0 offset:180
	buffer_store_dword v2, off, s[0:3], 0 offset:176
	;; [unrolled: 3-line block ×4, first 2 shown]
.LBB2169_235:                           ;   in Loop: Header=BB2169_208 Depth=1
	s_or_b64 exec, exec, s[14:15]
	ds_bpermute_b32 v37, v22, v0
	s_waitcnt vmcnt(8)
	ds_bpermute_b32 v36, v22, v35
	ds_bpermute_b32 v38, v22, v1
	;; [unrolled: 1-line block ×5, first 2 shown]
	v_cmp_le_u32_e32 vcc, v21, v34
	ds_bpermute_b32 v42, v22, v5
	ds_bpermute_b32 v43, v22, v6
	ds_bpermute_b32 v44, v22, v7
	s_waitcnt lgkmcnt(8)
	buffer_store_dword v37, off, s[0:3], 0
	s_waitcnt lgkmcnt(6)
	buffer_store_dword v38, off, s[0:3], 0 offset:4
	s_waitcnt lgkmcnt(5)
	buffer_store_dword v39, off, s[0:3], 0 offset:8
	;; [unrolled: 2-line block ×7, first 2 shown]
	s_and_saveexec_b64 s[14:15], vcc
	s_cbranch_execz .LBB2169_243
; %bb.236:                              ;   in Loop: Header=BB2169_208 Depth=1
	v_cmp_eq_u16_sdwa s[28:29], v35, v8 src0_sel:BYTE_0 src1_sel:DWORD
	s_and_saveexec_b64 s[4:5], s[28:29]
	s_cbranch_execz .LBB2169_242
; %bb.237:                              ;   in Loop: Header=BB2169_208 Depth=1
	s_mov_b32 s28, 0
.LBB2169_238:                           ;   Parent Loop BB2169_208 Depth=1
                                        ; =>  This Inner Loop Header: Depth=2
	v_add_u32_e32 v0, s28, v32
	s_add_i32 s28, s28, 8
	s_cmp_lg_u32 s28, 32
	ds_write2_b32 v0, v8, v8 offset1:1
	s_cbranch_scc1 .LBB2169_238
; %bb.239:                              ;   in Loop: Header=BB2169_208 Depth=1
	s_mov_b32 s28, 0
.LBB2169_240:                           ;   Parent Loop BB2169_208 Depth=1
                                        ; =>  This Inner Loop Header: Depth=2
	v_add_u32_e32 v0, s28, v29
	v_add_u32_e32 v1, s28, v30
	buffer_load_dword v2, v0, s[0:3], 0 offen offset:4
	buffer_load_dword v3, v0, s[0:3], 0 offen
	buffer_load_dword v4, v1, s[0:3], 0 offen offset:4
	buffer_load_dword v5, v1, s[0:3], 0 offen
	v_add_u32_e32 v0, s28, v32
	s_add_i32 s28, s28, 8
	s_cmp_lg_u32 s28, 32
	s_waitcnt vmcnt(1)
	v_add_u32_e32 v1, v4, v2
	s_waitcnt vmcnt(0)
	v_add_u32_e32 v2, v5, v3
	ds_write2_b32 v0, v2, v1 offset1:1
	s_cbranch_scc1 .LBB2169_240
; %bb.241:                              ;   in Loop: Header=BB2169_208 Depth=1
	ds_read2_b32 v[0:1], v32 offset1:1
	ds_read2_b32 v[2:3], v32 offset0:2 offset1:3
	ds_read2_b32 v[4:5], v32 offset0:4 offset1:5
	;; [unrolled: 1-line block ×3, first 2 shown]
.LBB2169_242:                           ;   in Loop: Header=BB2169_208 Depth=1
	s_or_b64 exec, exec, s[4:5]
	v_and_b32_e32 v35, 1, v35
	v_cmp_eq_u32_e32 vcc, 1, v35
	v_and_b32_e32 v35, 1, v36
	v_cmp_eq_u32_e64 s[4:5], 1, v35
	s_or_b64 s[4:5], vcc, s[4:5]
	v_cndmask_b32_e64 v35, 0, 1, s[4:5]
	buffer_store_byte v35, off, s[0:3], 0 offset:200
	buffer_load_dword v35, off, s[0:3], 0 offset:200
	s_waitcnt lgkmcnt(3)
	buffer_store_dword v1, off, s[0:3], 0 offset:172
	buffer_store_dword v0, off, s[0:3], 0 offset:168
	s_waitcnt lgkmcnt(2)
	buffer_store_dword v3, off, s[0:3], 0 offset:180
	buffer_store_dword v2, off, s[0:3], 0 offset:176
	;; [unrolled: 3-line block ×4, first 2 shown]
.LBB2169_243:                           ;   in Loop: Header=BB2169_208 Depth=1
	s_or_b64 exec, exec, s[14:15]
	ds_bpermute_b32 v37, v24, v0
	s_waitcnt vmcnt(8)
	ds_bpermute_b32 v36, v24, v35
	ds_bpermute_b32 v38, v24, v1
	;; [unrolled: 1-line block ×5, first 2 shown]
	v_cmp_le_u32_e32 vcc, v23, v34
	ds_bpermute_b32 v42, v24, v5
	ds_bpermute_b32 v43, v24, v6
	;; [unrolled: 1-line block ×3, first 2 shown]
	s_waitcnt lgkmcnt(8)
	buffer_store_dword v37, off, s[0:3], 0
	s_waitcnt lgkmcnt(6)
	buffer_store_dword v38, off, s[0:3], 0 offset:4
	s_waitcnt lgkmcnt(5)
	buffer_store_dword v39, off, s[0:3], 0 offset:8
	;; [unrolled: 2-line block ×7, first 2 shown]
	s_and_saveexec_b64 s[14:15], vcc
	s_cbranch_execz .LBB2169_251
; %bb.244:                              ;   in Loop: Header=BB2169_208 Depth=1
	v_cmp_eq_u16_sdwa s[28:29], v35, v8 src0_sel:BYTE_0 src1_sel:DWORD
	s_and_saveexec_b64 s[4:5], s[28:29]
	s_cbranch_execz .LBB2169_250
; %bb.245:                              ;   in Loop: Header=BB2169_208 Depth=1
	s_mov_b32 s28, 0
.LBB2169_246:                           ;   Parent Loop BB2169_208 Depth=1
                                        ; =>  This Inner Loop Header: Depth=2
	v_add_u32_e32 v0, s28, v32
	s_add_i32 s28, s28, 8
	s_cmp_lg_u32 s28, 32
	ds_write2_b32 v0, v8, v8 offset1:1
	s_cbranch_scc1 .LBB2169_246
; %bb.247:                              ;   in Loop: Header=BB2169_208 Depth=1
	s_mov_b32 s28, 0
.LBB2169_248:                           ;   Parent Loop BB2169_208 Depth=1
                                        ; =>  This Inner Loop Header: Depth=2
	v_add_u32_e32 v0, s28, v29
	v_add_u32_e32 v1, s28, v30
	buffer_load_dword v2, v0, s[0:3], 0 offen offset:4
	buffer_load_dword v3, v0, s[0:3], 0 offen
	buffer_load_dword v4, v1, s[0:3], 0 offen offset:4
	buffer_load_dword v5, v1, s[0:3], 0 offen
	v_add_u32_e32 v0, s28, v32
	s_add_i32 s28, s28, 8
	s_cmp_lg_u32 s28, 32
	s_waitcnt vmcnt(1)
	v_add_u32_e32 v1, v4, v2
	s_waitcnt vmcnt(0)
	v_add_u32_e32 v2, v5, v3
	ds_write2_b32 v0, v2, v1 offset1:1
	s_cbranch_scc1 .LBB2169_248
; %bb.249:                              ;   in Loop: Header=BB2169_208 Depth=1
	ds_read2_b32 v[0:1], v32 offset1:1
	ds_read2_b32 v[2:3], v32 offset0:2 offset1:3
	ds_read2_b32 v[4:5], v32 offset0:4 offset1:5
	;; [unrolled: 1-line block ×3, first 2 shown]
.LBB2169_250:                           ;   in Loop: Header=BB2169_208 Depth=1
	s_or_b64 exec, exec, s[4:5]
	v_and_b32_e32 v35, 1, v35
	v_cmp_eq_u32_e32 vcc, 1, v35
	v_and_b32_e32 v35, 1, v36
	v_cmp_eq_u32_e64 s[4:5], 1, v35
	s_or_b64 s[4:5], vcc, s[4:5]
	v_cndmask_b32_e64 v35, 0, 1, s[4:5]
	buffer_store_byte v35, off, s[0:3], 0 offset:200
	buffer_load_dword v35, off, s[0:3], 0 offset:200
	s_waitcnt lgkmcnt(3)
	buffer_store_dword v1, off, s[0:3], 0 offset:172
	buffer_store_dword v0, off, s[0:3], 0 offset:168
	s_waitcnt lgkmcnt(2)
	buffer_store_dword v3, off, s[0:3], 0 offset:180
	buffer_store_dword v2, off, s[0:3], 0 offset:176
	s_waitcnt lgkmcnt(1)
	buffer_store_dword v5, off, s[0:3], 0 offset:188
	buffer_store_dword v4, off, s[0:3], 0 offset:184
	s_waitcnt lgkmcnt(0)
	buffer_store_dword v7, off, s[0:3], 0 offset:196
	buffer_store_dword v6, off, s[0:3], 0 offset:192
.LBB2169_251:                           ;   in Loop: Header=BB2169_208 Depth=1
	s_or_b64 exec, exec, s[14:15]
	ds_bpermute_b32 v37, v26, v0
	s_waitcnt vmcnt(8)
	ds_bpermute_b32 v36, v26, v35
	ds_bpermute_b32 v38, v26, v1
	;; [unrolled: 1-line block ×5, first 2 shown]
	v_cmp_le_u32_e32 vcc, v25, v34
	ds_bpermute_b32 v42, v26, v5
	ds_bpermute_b32 v43, v26, v6
	;; [unrolled: 1-line block ×3, first 2 shown]
	s_waitcnt lgkmcnt(8)
	buffer_store_dword v37, off, s[0:3], 0
	s_waitcnt lgkmcnt(6)
	buffer_store_dword v38, off, s[0:3], 0 offset:4
	s_waitcnt lgkmcnt(5)
	buffer_store_dword v39, off, s[0:3], 0 offset:8
	;; [unrolled: 2-line block ×7, first 2 shown]
	s_and_saveexec_b64 s[14:15], vcc
	s_cbranch_execz .LBB2169_259
; %bb.252:                              ;   in Loop: Header=BB2169_208 Depth=1
	v_cmp_eq_u16_sdwa s[28:29], v35, v8 src0_sel:BYTE_0 src1_sel:DWORD
	s_and_saveexec_b64 s[4:5], s[28:29]
	s_cbranch_execz .LBB2169_258
; %bb.253:                              ;   in Loop: Header=BB2169_208 Depth=1
	s_mov_b32 s28, 0
.LBB2169_254:                           ;   Parent Loop BB2169_208 Depth=1
                                        ; =>  This Inner Loop Header: Depth=2
	v_add_u32_e32 v0, s28, v32
	s_add_i32 s28, s28, 8
	s_cmp_lg_u32 s28, 32
	ds_write2_b32 v0, v8, v8 offset1:1
	s_cbranch_scc1 .LBB2169_254
; %bb.255:                              ;   in Loop: Header=BB2169_208 Depth=1
	s_mov_b32 s28, 0
.LBB2169_256:                           ;   Parent Loop BB2169_208 Depth=1
                                        ; =>  This Inner Loop Header: Depth=2
	v_add_u32_e32 v0, s28, v29
	v_add_u32_e32 v1, s28, v30
	buffer_load_dword v2, v0, s[0:3], 0 offen offset:4
	buffer_load_dword v3, v0, s[0:3], 0 offen
	buffer_load_dword v4, v1, s[0:3], 0 offen offset:4
	buffer_load_dword v5, v1, s[0:3], 0 offen
	v_add_u32_e32 v0, s28, v32
	s_add_i32 s28, s28, 8
	s_cmp_lg_u32 s28, 32
	s_waitcnt vmcnt(1)
	v_add_u32_e32 v1, v4, v2
	s_waitcnt vmcnt(0)
	v_add_u32_e32 v2, v5, v3
	ds_write2_b32 v0, v2, v1 offset1:1
	s_cbranch_scc1 .LBB2169_256
; %bb.257:                              ;   in Loop: Header=BB2169_208 Depth=1
	ds_read2_b32 v[0:1], v32 offset1:1
	ds_read2_b32 v[2:3], v32 offset0:2 offset1:3
	ds_read2_b32 v[4:5], v32 offset0:4 offset1:5
	;; [unrolled: 1-line block ×3, first 2 shown]
.LBB2169_258:                           ;   in Loop: Header=BB2169_208 Depth=1
	s_or_b64 exec, exec, s[4:5]
	v_and_b32_e32 v35, 1, v35
	v_cmp_eq_u32_e32 vcc, 1, v35
	v_and_b32_e32 v35, 1, v36
	v_cmp_eq_u32_e64 s[4:5], 1, v35
	s_or_b64 s[4:5], vcc, s[4:5]
	v_cndmask_b32_e64 v35, 0, 1, s[4:5]
	buffer_store_byte v35, off, s[0:3], 0 offset:200
	buffer_load_dword v35, off, s[0:3], 0 offset:200
	s_waitcnt lgkmcnt(3)
	buffer_store_dword v1, off, s[0:3], 0 offset:172
	buffer_store_dword v0, off, s[0:3], 0 offset:168
	s_waitcnt lgkmcnt(2)
	buffer_store_dword v3, off, s[0:3], 0 offset:180
	buffer_store_dword v2, off, s[0:3], 0 offset:176
	;; [unrolled: 3-line block ×4, first 2 shown]
.LBB2169_259:                           ;   in Loop: Header=BB2169_208 Depth=1
	s_or_b64 exec, exec, s[14:15]
	ds_bpermute_b32 v37, v28, v0
	s_waitcnt vmcnt(8)
	ds_bpermute_b32 v36, v28, v35
	ds_bpermute_b32 v38, v28, v1
	;; [unrolled: 1-line block ×4, first 2 shown]
	v_cmp_le_u32_e32 vcc, v27, v34
	v_and_b32_e32 v34, 1, v35
	ds_bpermute_b32 v41, v28, v4
	v_cmp_eq_u32_e64 s[4:5], 1, v34
	ds_bpermute_b32 v42, v28, v5
	ds_bpermute_b32 v43, v28, v6
	;; [unrolled: 1-line block ×3, first 2 shown]
	s_waitcnt lgkmcnt(8)
	buffer_store_dword v37, off, s[0:3], 0
	s_waitcnt lgkmcnt(6)
	buffer_store_dword v38, off, s[0:3], 0 offset:4
	s_waitcnt lgkmcnt(5)
	buffer_store_dword v39, off, s[0:3], 0 offset:8
	;; [unrolled: 2-line block ×7, first 2 shown]
	s_and_saveexec_b64 s[14:15], vcc
	s_cbranch_execz .LBB2169_267
; %bb.260:                              ;   in Loop: Header=BB2169_208 Depth=1
	v_cmp_eq_u16_sdwa s[48:49], v35, v8 src0_sel:BYTE_0 src1_sel:DWORD
	s_and_saveexec_b64 s[28:29], s[48:49]
	s_cbranch_execz .LBB2169_266
; %bb.261:                              ;   in Loop: Header=BB2169_208 Depth=1
	s_mov_b32 s48, 0
.LBB2169_262:                           ;   Parent Loop BB2169_208 Depth=1
                                        ; =>  This Inner Loop Header: Depth=2
	v_add_u32_e32 v0, s48, v32
	s_add_i32 s48, s48, 8
	s_cmp_lg_u32 s48, 32
	ds_write2_b32 v0, v8, v8 offset1:1
	s_cbranch_scc1 .LBB2169_262
; %bb.263:                              ;   in Loop: Header=BB2169_208 Depth=1
	s_mov_b32 s48, 0
.LBB2169_264:                           ;   Parent Loop BB2169_208 Depth=1
                                        ; =>  This Inner Loop Header: Depth=2
	v_add_u32_e32 v0, s48, v29
	v_add_u32_e32 v1, s48, v30
	buffer_load_dword v2, v0, s[0:3], 0 offen offset:4
	buffer_load_dword v3, v0, s[0:3], 0 offen
	buffer_load_dword v4, v1, s[0:3], 0 offen offset:4
	buffer_load_dword v5, v1, s[0:3], 0 offen
	v_add_u32_e32 v0, s48, v32
	s_add_i32 s48, s48, 8
	s_cmp_lg_u32 s48, 32
	s_waitcnt vmcnt(1)
	v_add_u32_e32 v1, v4, v2
	s_waitcnt vmcnt(0)
	v_add_u32_e32 v2, v5, v3
	ds_write2_b32 v0, v2, v1 offset1:1
	s_cbranch_scc1 .LBB2169_264
; %bb.265:                              ;   in Loop: Header=BB2169_208 Depth=1
	ds_read2_b32 v[0:1], v32 offset1:1
	ds_read2_b32 v[2:3], v32 offset0:2 offset1:3
	ds_read2_b32 v[4:5], v32 offset0:4 offset1:5
	;; [unrolled: 1-line block ×3, first 2 shown]
.LBB2169_266:                           ;   in Loop: Header=BB2169_208 Depth=1
	s_or_b64 exec, exec, s[28:29]
	v_and_b32_e32 v34, 1, v36
	v_cmp_eq_u32_e32 vcc, 1, v34
	s_or_b64 s[28:29], s[4:5], vcc
	v_cndmask_b32_e64 v34, 0, 1, s[28:29]
	s_andn2_b64 s[4:5], s[4:5], exec
	s_and_b64 s[28:29], s[28:29], exec
	s_or_b64 s[4:5], s[4:5], s[28:29]
	s_waitcnt lgkmcnt(3)
	buffer_store_dword v1, off, s[0:3], 0 offset:172
	buffer_store_dword v0, off, s[0:3], 0 offset:168
	s_waitcnt lgkmcnt(2)
	buffer_store_dword v3, off, s[0:3], 0 offset:180
	buffer_store_dword v2, off, s[0:3], 0 offset:176
	;; [unrolled: 3-line block ×4, first 2 shown]
	buffer_store_byte v34, off, s[0:3], 0 offset:200
.LBB2169_267:                           ;   in Loop: Header=BB2169_208 Depth=1
	s_or_b64 exec, exec, s[14:15]
	buffer_load_ubyte v34, off, s[0:3], 0 offset:164
                                        ; implicit-def: $vgpr6_vgpr7
                                        ; implicit-def: $vgpr4_vgpr5
                                        ; implicit-def: $vgpr2_vgpr3
                                        ; implicit-def: $vgpr0_vgpr1
	s_waitcnt vmcnt(0)
	v_cmp_ne_u16_e32 vcc, 0, v34
	s_and_saveexec_b64 s[14:15], vcc
	s_xor_b64 s[14:15], exec, s[14:15]
	s_cbranch_execz .LBB2169_269
; %bb.268:                              ;   in Loop: Header=BB2169_208 Depth=1
	buffer_load_dword v0, off, s[0:3], 0 offset:132
	buffer_load_dword v1, off, s[0:3], 0 offset:136
	;; [unrolled: 1-line block ×8, first 2 shown]
.LBB2169_269:                           ;   in Loop: Header=BB2169_208 Depth=1
	s_andn2_saveexec_b64 s[14:15], s[14:15]
	s_cbranch_execz .LBB2169_275
; %bb.270:                              ;   in Loop: Header=BB2169_208 Depth=1
	s_mov_b32 s28, 0
	s_waitcnt vmcnt(0)
.LBB2169_271:                           ;   Parent Loop BB2169_208 Depth=1
                                        ; =>  This Inner Loop Header: Depth=2
	v_add_u32_e32 v0, s28, v29
	s_add_i32 s28, s28, 8
	s_cmp_lg_u32 s28, 32
	buffer_store_dword v8, v0, s[0:3], 0 offen offset:4
	buffer_store_dword v8, v0, s[0:3], 0 offen
	s_cbranch_scc1 .LBB2169_271
; %bb.272:                              ;   in Loop: Header=BB2169_208 Depth=1
	s_mov_b32 s28, 0
.LBB2169_273:                           ;   Parent Loop BB2169_208 Depth=1
                                        ; =>  This Inner Loop Header: Depth=2
	v_add_u32_e32 v0, s28, v30
	v_add_u32_e32 v1, s28, v31
	buffer_load_dword v2, v0, s[0:3], 0 offen offset:4
	buffer_load_dword v3, v1, s[0:3], 0 offen
	buffer_load_dword v4, v0, s[0:3], 0 offen
	buffer_load_dword v5, v1, s[0:3], 0 offen offset:4
	v_add_u32_e32 v0, s28, v29
	s_add_i32 s28, s28, 8
	s_cmp_lg_u32 s28, 32
	s_waitcnt vmcnt(1)
	v_add_u32_e32 v1, v3, v4
	s_waitcnt vmcnt(0)
	v_add_u32_e32 v2, v5, v2
	buffer_store_dword v2, v0, s[0:3], 0 offen offset:4
	buffer_store_dword v1, v0, s[0:3], 0 offen
	s_cbranch_scc1 .LBB2169_273
; %bb.274:                              ;   in Loop: Header=BB2169_208 Depth=1
	buffer_load_dword v0, off, s[0:3], 0
	buffer_load_dword v1, off, s[0:3], 0 offset:4
	buffer_load_dword v2, off, s[0:3], 0 offset:8
	;; [unrolled: 1-line block ×7, first 2 shown]
.LBB2169_275:                           ;   in Loop: Header=BB2169_208 Depth=1
	s_or_b64 exec, exec, s[14:15]
	v_and_b32_e32 v34, 1, v34
	v_cmp_eq_u32_e32 vcc, 1, v34
	s_or_b64 s[4:5], vcc, s[4:5]
	v_subrev_u32_e32 v12, 64, v12
	v_cndmask_b32_e64 v34, 0, 1, s[4:5]
	s_waitcnt vmcnt(6)
	buffer_store_dword v1, off, s[0:3], 0 offset:136
	buffer_store_dword v0, off, s[0:3], 0 offset:132
	s_waitcnt vmcnt(6)
	buffer_store_dword v3, off, s[0:3], 0 offset:144
	buffer_store_dword v2, off, s[0:3], 0 offset:140
	;; [unrolled: 3-line block ×4, first 2 shown]
	buffer_store_byte v34, off, s[0:3], 0 offset:164
	s_branch .LBB2169_208
.LBB2169_276:
	buffer_load_dword v1, off, s[0:3], 0 offset:136
	buffer_load_dword v0, off, s[0:3], 0 offset:132
	;; [unrolled: 1-line block ×9, first 2 shown]
	s_waitcnt vmcnt(8)
	buffer_store_dword v1, off, s[0:3], 0 offset:4
	s_waitcnt vmcnt(8)
	buffer_store_dword v0, off, s[0:3], 0
	s_waitcnt vmcnt(8)
	buffer_store_dword v3, off, s[0:3], 0 offset:12
	s_waitcnt vmcnt(8)
	buffer_store_dword v2, off, s[0:3], 0 offset:8
	s_waitcnt vmcnt(8)
	buffer_store_dword v5, off, s[0:3], 0 offset:20
	s_waitcnt vmcnt(8)
	buffer_store_dword v4, off, s[0:3], 0 offset:16
	s_waitcnt vmcnt(8)
	buffer_store_dword v7, off, s[0:3], 0 offset:28
	s_waitcnt vmcnt(8)
	buffer_store_dword v6, off, s[0:3], 0 offset:24
	s_waitcnt vmcnt(8)
	buffer_store_dword v8, off, s[0:3], 0 offset:32
	s_and_saveexec_b64 s[4:5], s[12:13]
	s_cbranch_execz .LBB2169_286
; %bb.277:
	buffer_load_ubyte v9, off, s[0:3], 0 offset:236
                                        ; implicit-def: $vgpr2_vgpr3
                                        ; implicit-def: $vgpr6_vgpr7
	s_waitcnt vmcnt(0)
	v_cmp_ne_u16_e32 vcc, 0, v9
	s_and_saveexec_b64 s[12:13], vcc
	s_xor_b64 s[12:13], exec, s[12:13]
	s_cbranch_execz .LBB2169_279
; %bb.278:
	buffer_load_dword v4, off, s[0:3], 0 offset:204
	buffer_load_dword v5, off, s[0:3], 0 offset:208
	buffer_load_dword v6, off, s[0:3], 0 offset:212
	buffer_load_dword v7, off, s[0:3], 0 offset:216
	buffer_load_dword v0, off, s[0:3], 0 offset:220
	buffer_load_dword v1, off, s[0:3], 0 offset:224
	buffer_load_dword v2, off, s[0:3], 0 offset:228
	buffer_load_dword v3, off, s[0:3], 0 offset:232
.LBB2169_279:
	s_andn2_saveexec_b64 s[12:13], s[12:13]
	s_cbranch_execz .LBB2169_285
; %bb.280:
	s_mov_b32 s14, 0
	s_waitcnt vmcnt(3)
	v_mov_b32_e32 v0, 0x60
	s_waitcnt vmcnt(2)
	v_mov_b32_e32 v1, 0
	s_waitcnt vmcnt(0)
.LBB2169_281:                           ; =>This Inner Loop Header: Depth=1
	v_add_u32_e32 v2, s14, v0
	s_add_i32 s14, s14, 8
	s_cmp_lg_u32 s14, 32
	buffer_store_dword v1, v2, s[0:3], 0 offen offset:4
	buffer_store_dword v1, v2, s[0:3], 0 offen
	s_cbranch_scc1 .LBB2169_281
; %bb.282:
	s_mov_b32 s14, 0
	v_mov_b32_e32 v0, 0
	v_mov_b32_e32 v1, 0xcc
	;; [unrolled: 1-line block ×3, first 2 shown]
.LBB2169_283:                           ; =>This Inner Loop Header: Depth=1
	v_add_u32_e32 v3, s14, v0
	v_add_u32_e32 v4, s14, v1
	buffer_load_dword v5, v3, s[0:3], 0 offen offset:4
	buffer_load_dword v6, v4, s[0:3], 0 offen
	buffer_load_dword v7, v3, s[0:3], 0 offen
	buffer_load_dword v11, v4, s[0:3], 0 offen offset:4
	v_add_u32_e32 v3, s14, v2
	s_add_i32 s14, s14, 8
	s_cmp_lg_u32 s14, 32
	s_waitcnt vmcnt(1)
	v_add_u32_e32 v4, v6, v7
	s_waitcnt vmcnt(0)
	v_add_u32_e32 v5, v11, v5
	buffer_store_dword v5, v3, s[0:3], 0 offen offset:4
	buffer_store_dword v4, v3, s[0:3], 0 offen
	s_cbranch_scc1 .LBB2169_283
; %bb.284:
	buffer_load_dword v4, off, s[0:3], 0 offset:96
	buffer_load_dword v5, off, s[0:3], 0 offset:100
	;; [unrolled: 1-line block ×8, first 2 shown]
.LBB2169_285:
	s_or_b64 exec, exec, s[12:13]
	s_add_i32 s14, s33, 64
	s_mul_i32 s12, s14, 36
	s_mul_hi_u32 s13, s14, 36
	s_add_u32 s12, s22, s12
	v_or_b32_e32 v8, v9, v8
	s_addc_u32 s13, s23, s13
	v_mov_b32_e32 v9, 0
	v_and_b32_e32 v8, 1, v8
	s_waitcnt vmcnt(4)
	global_store_dwordx4 v9, v[4:7], s[12:13]
	s_waitcnt vmcnt(1)
	global_store_dwordx4 v9, v[0:3], s[12:13] offset:16
	global_store_byte v9, v8, s[12:13] offset:32
	v_mov_b32_e32 v0, s14
	v_mov_b32_e32 v1, 2
	s_waitcnt vmcnt(0)
	buffer_wbinvl1_vol
	global_store_byte v0, v1, s[24:25]
	buffer_load_dword v0, off, s[0:3], 0
	s_nop 0
	buffer_load_dword v1, off, s[0:3], 0 offset:4
	buffer_load_dword v2, off, s[0:3], 0 offset:8
	;; [unrolled: 1-line block ×7, first 2 shown]
	buffer_load_ubyte v8, off, s[0:3], 0 offset:32
.LBB2169_286:
	s_or_b64 exec, exec, s[4:5]
	s_and_b64 exec, exec, s[10:11]
	s_cbranch_execz .LBB2169_288
; %bb.287:
	v_mov_b32_e32 v9, 0
	s_waitcnt vmcnt(7)
	ds_write2_b32 v9, v0, v1 offset0:27 offset1:28
	s_waitcnt vmcnt(5)
	ds_write2_b32 v9, v2, v3 offset0:29 offset1:30
	s_waitcnt vmcnt(3)
	ds_write2_b32 v9, v4, v5 offset0:31 offset1:32
	s_waitcnt vmcnt(1)
	ds_write2_b32 v9, v6, v7 offset0:33 offset1:34
	s_waitcnt vmcnt(0)
	ds_write_b8 v9, v8 offset:140
.LBB2169_288:
	s_or_b64 exec, exec, s[16:17]
	s_waitcnt lgkmcnt(0)
	s_barrier
	buffer_load_dword v8, off, s[0:3], 0 offset:332
	buffer_load_dword v11, off, s[0:3], 0 offset:328
	buffer_load_dword v12, off, s[0:3], 0 offset:324
	buffer_load_dword v13, off, s[0:3], 0 offset:320
	buffer_load_dword v14, off, s[0:3], 0 offset:348
	buffer_load_dword v15, off, s[0:3], 0 offset:344
	buffer_load_dword v16, off, s[0:3], 0 offset:340
	buffer_load_dword v17, off, s[0:3], 0 offset:336
	buffer_load_dword v20, off, s[0:3], 0 offset:352
	s_waitcnt vmcnt(11)
	v_mov_b32_e32 v6, 0
	ds_read2_b32 v[0:1], v6 offset0:27 offset1:28
	ds_read_b32 v9, v6 offset:140
	ds_read2_b32 v[2:3], v6 offset0:29 offset1:30
	ds_read2_b32 v[4:5], v6 offset0:31 offset1:32
	s_waitcnt vmcnt(10)
	ds_read2_b32 v[6:7], v6 offset0:33 offset1:34
	s_waitcnt lgkmcnt(4)
	buffer_store_dword v1, off, s[0:3], 0 offset:4
	buffer_store_dword v0, off, s[0:3], 0
	s_waitcnt lgkmcnt(2)
	buffer_store_dword v3, off, s[0:3], 0 offset:12
	buffer_store_dword v2, off, s[0:3], 0 offset:8
	s_waitcnt lgkmcnt(1)
	buffer_store_dword v5, off, s[0:3], 0 offset:20
	buffer_store_dword v4, off, s[0:3], 0 offset:16
	;; [unrolled: 3-line block ×3, first 2 shown]
	buffer_store_dword v9, off, s[0:3], 0 offset:32
	buffer_store_dword v3, off, s[0:3], 0 offset:144
	;; [unrolled: 1-line block ×9, first 2 shown]
	s_waitcnt vmcnt(25)
	buffer_store_dword v8, off, s[0:3], 0 offset:108
	s_waitcnt vmcnt(25)
	buffer_store_dword v11, off, s[0:3], 0 offset:104
	;; [unrolled: 2-line block ×9, first 2 shown]
	buffer_store_dword v9, off, s[0:3], 0 offset:164
                                        ; implicit-def: $vgpr8
	s_and_saveexec_b64 s[4:5], s[8:9]
	s_xor_b64 s[4:5], exec, s[4:5]
	s_cbranch_execz .LBB2169_298
; %bb.289:
	buffer_load_ubyte v8, off, s[0:3], 0 offset:272
                                        ; implicit-def: $vgpr6_vgpr7
                                        ; implicit-def: $vgpr4_vgpr5
                                        ; implicit-def: $vgpr2_vgpr3
                                        ; implicit-def: $vgpr0_vgpr1
	s_waitcnt vmcnt(0)
	v_cmp_ne_u16_e32 vcc, 0, v8
	s_and_saveexec_b64 s[12:13], vcc
	s_xor_b64 s[12:13], exec, s[12:13]
	s_cbranch_execz .LBB2169_291
; %bb.290:
	buffer_load_dword v0, off, s[0:3], 0 offset:240
	buffer_load_dword v1, off, s[0:3], 0 offset:244
	;; [unrolled: 1-line block ×8, first 2 shown]
.LBB2169_291:
	s_andn2_saveexec_b64 s[12:13], s[12:13]
	s_cbranch_execz .LBB2169_297
; %bb.292:
	s_mov_b32 s14, 0
	s_waitcnt vmcnt(7)
	v_mov_b32_e32 v0, 0xa8
	s_waitcnt vmcnt(6)
	v_mov_b32_e32 v1, 0
	s_waitcnt vmcnt(0)
.LBB2169_293:                           ; =>This Inner Loop Header: Depth=1
	v_add_u32_e32 v2, s14, v0
	s_add_i32 s14, s14, 8
	s_cmp_lg_u32 s14, 32
	buffer_store_dword v1, v2, s[0:3], 0 offen offset:4
	buffer_store_dword v1, v2, s[0:3], 0 offen
	s_cbranch_scc1 .LBB2169_293
; %bb.294:
	s_mov_b32 s14, 0
	v_mov_b32_e32 v0, 0
	v_mov_b32_e32 v1, 0xf0
	;; [unrolled: 1-line block ×3, first 2 shown]
.LBB2169_295:                           ; =>This Inner Loop Header: Depth=1
	v_add_u32_e32 v3, s14, v0
	v_add_u32_e32 v4, s14, v1
	buffer_load_dword v5, v3, s[0:3], 0 offen offset:4
	buffer_load_dword v6, v4, s[0:3], 0 offen
	buffer_load_dword v7, v3, s[0:3], 0 offen
	buffer_load_dword v11, v4, s[0:3], 0 offen offset:4
	v_add_u32_e32 v3, s14, v2
	s_add_i32 s14, s14, 8
	s_cmp_lg_u32 s14, 32
	s_waitcnt vmcnt(1)
	v_add_u32_e32 v4, v6, v7
	s_waitcnt vmcnt(0)
	v_add_u32_e32 v5, v11, v5
	buffer_store_dword v5, v3, s[0:3], 0 offen offset:4
	buffer_store_dword v4, v3, s[0:3], 0 offen
	s_cbranch_scc1 .LBB2169_295
; %bb.296:
	buffer_load_dword v0, off, s[0:3], 0 offset:168
	buffer_load_dword v1, off, s[0:3], 0 offset:172
	;; [unrolled: 1-line block ×8, first 2 shown]
.LBB2169_297:
	s_or_b64 exec, exec, s[12:13]
	v_or_b32_e32 v8, v8, v9
	v_and_b32_e32 v8, 1, v8
	s_waitcnt vmcnt(6)
	buffer_store_dword v1, off, s[0:3], 0 offset:136
	buffer_store_dword v0, off, s[0:3], 0 offset:132
	s_waitcnt vmcnt(6)
	buffer_store_dword v3, off, s[0:3], 0 offset:144
	buffer_store_dword v2, off, s[0:3], 0 offset:140
	;; [unrolled: 3-line block ×4, first 2 shown]
.LBB2169_298:
	s_andn2_saveexec_b64 s[4:5], s[4:5]
	s_cbranch_execz .LBB2169_300
; %bb.299:
	buffer_load_ubyte v8, off, s[0:3], 0 offset:164
.LBB2169_300:
	s_or_b64 exec, exec, s[4:5]
	buffer_load_dword v0, off, s[0:3], 0 offset:144
	buffer_load_dword v1, off, s[0:3], 0 offset:140
	;; [unrolled: 1-line block ×8, first 2 shown]
	buffer_load_ubyte v9, off, s[0:3], 0 offset:128
	s_waitcnt vmcnt(9)
	buffer_store_byte v8, off, s[0:3], 0 offset:352
	s_waitcnt vmcnt(9)
	buffer_store_dword v0, off, s[0:3], 0 offset:332
	s_waitcnt vmcnt(9)
	buffer_store_dword v1, off, s[0:3], 0 offset:328
	;; [unrolled: 2-line block ×8, first 2 shown]
	s_waitcnt vmcnt(9)
	v_cmp_ne_u16_e32 vcc, 0, v9
                                        ; implicit-def: $vgpr6_vgpr7
                                        ; implicit-def: $vgpr4_vgpr5
                                        ; implicit-def: $vgpr2_vgpr3
                                        ; implicit-def: $vgpr0_vgpr1
	s_and_saveexec_b64 s[4:5], vcc
	s_xor_b64 s[4:5], exec, s[4:5]
	s_cbranch_execz .LBB2169_302
; %bb.301:
	buffer_load_dword v0, off, s[0:3], 0 offset:96
	buffer_load_dword v1, off, s[0:3], 0 offset:100
	;; [unrolled: 1-line block ×8, first 2 shown]
.LBB2169_302:
	s_andn2_saveexec_b64 s[4:5], s[4:5]
	s_cbranch_execz .LBB2169_308
; %bb.303:
	s_mov_b32 s12, 0
	s_waitcnt vmcnt(7)
	v_mov_b32_e32 v0, 0xa8
	s_waitcnt vmcnt(6)
	v_mov_b32_e32 v1, 0
	s_waitcnt vmcnt(0)
.LBB2169_304:                           ; =>This Inner Loop Header: Depth=1
	v_add_u32_e32 v2, s12, v0
	s_add_i32 s12, s12, 8
	s_cmp_lg_u32 s12, 32
	buffer_store_dword v1, v2, s[0:3], 0 offen offset:4
	buffer_store_dword v1, v2, s[0:3], 0 offen
	s_cbranch_scc1 .LBB2169_304
; %bb.305:
	s_mov_b32 s12, 0
	v_mov_b32_e32 v0, 0x84
	v_mov_b32_e32 v1, 0x60
	;; [unrolled: 1-line block ×3, first 2 shown]
.LBB2169_306:                           ; =>This Inner Loop Header: Depth=1
	v_add_u32_e32 v3, s12, v0
	v_add_u32_e32 v4, s12, v1
	buffer_load_dword v5, v3, s[0:3], 0 offen offset:4
	buffer_load_dword v6, v4, s[0:3], 0 offen
	buffer_load_dword v7, v3, s[0:3], 0 offen
	buffer_load_dword v11, v4, s[0:3], 0 offen offset:4
	v_add_u32_e32 v3, s12, v2
	s_add_i32 s12, s12, 8
	s_cmp_lg_u32 s12, 32
	s_waitcnt vmcnt(1)
	v_add_u32_e32 v4, v6, v7
	s_waitcnt vmcnt(0)
	v_add_u32_e32 v5, v11, v5
	buffer_store_dword v5, v3, s[0:3], 0 offen offset:4
	buffer_store_dword v4, v3, s[0:3], 0 offen
	s_cbranch_scc1 .LBB2169_306
; %bb.307:
	buffer_load_dword v0, off, s[0:3], 0 offset:168
	buffer_load_dword v1, off, s[0:3], 0 offset:172
	;; [unrolled: 1-line block ×8, first 2 shown]
.LBB2169_308:
	s_or_b64 exec, exec, s[4:5]
	buffer_load_dword v12, v18, s[0:3], 0 offen offset:12
	buffer_load_dword v13, v18, s[0:3], 0 offen offset:8
	;; [unrolled: 1-line block ×3, first 2 shown]
	buffer_load_dword v15, v18, s[0:3], 0 offen
	buffer_load_dword v16, v18, s[0:3], 0 offen offset:28
	buffer_load_dword v17, v18, s[0:3], 0 offen offset:24
	;; [unrolled: 1-line block ×4, first 2 shown]
	buffer_load_ubyte v11, off, s[0:3], 0 offset:388
	v_or_b32_e32 v8, v9, v8
	s_waitcnt vmcnt(15)
	buffer_store_dword v1, off, s[0:3], 0 offset:136
	buffer_store_dword v0, off, s[0:3], 0 offset:132
	s_waitcnt vmcnt(15)
	buffer_store_dword v3, off, s[0:3], 0 offset:144
	buffer_store_dword v2, off, s[0:3], 0 offset:140
	;; [unrolled: 3-line block ×4, first 2 shown]
	buffer_store_dword v0, v18, s[0:3], 0 offen
	buffer_store_dword v1, v18, s[0:3], 0 offen offset:4
	buffer_store_dword v2, v18, s[0:3], 0 offen offset:8
	;; [unrolled: 1-line block ×7, first 2 shown]
	v_and_b32_e32 v0, 1, v8
	v_cmp_eq_u32_e32 vcc, 1, v0
                                        ; implicit-def: $vgpr6_vgpr7
                                        ; implicit-def: $vgpr2_vgpr3
                                        ; implicit-def: $vgpr4_vgpr5
	buffer_store_byte v0, off, s[0:3], 0 offset:388
	s_waitcnt vmcnt(25)
	buffer_store_dword v12, off, s[0:3], 0 offset:108
	s_waitcnt vmcnt(25)
	buffer_store_dword v13, off, s[0:3], 0 offset:104
	;; [unrolled: 2-line block ×8, first 2 shown]
	s_waitcnt vmcnt(25)
	v_cmp_ne_u16_e64 s[4:5], 0, v11
                                        ; implicit-def: $vgpr0_vgpr1
	s_and_saveexec_b64 s[12:13], s[4:5]
	s_xor_b64 s[4:5], exec, s[12:13]
	s_cbranch_execz .LBB2169_310
; %bb.309:
	buffer_load_dword v0, off, s[0:3], 0 offset:96
	buffer_load_dword v1, off, s[0:3], 0 offset:100
	;; [unrolled: 1-line block ×8, first 2 shown]
.LBB2169_310:
	s_andn2_saveexec_b64 s[4:5], s[4:5]
	s_cbranch_execz .LBB2169_316
; %bb.311:
	s_mov_b32 s12, 0
	s_waitcnt vmcnt(7)
	v_mov_b32_e32 v0, 0xa8
	s_waitcnt vmcnt(6)
	v_mov_b32_e32 v1, 0
	s_waitcnt vmcnt(0)
.LBB2169_312:                           ; =>This Inner Loop Header: Depth=1
	v_add_u32_e32 v2, s12, v0
	s_add_i32 s12, s12, 8
	s_cmp_lg_u32 s12, 32
	buffer_store_dword v1, v2, s[0:3], 0 offen offset:4
	buffer_store_dword v1, v2, s[0:3], 0 offen
	s_cbranch_scc1 .LBB2169_312
; %bb.313:
	s_mov_b32 s12, 0
	v_mov_b32_e32 v0, 0x84
	v_mov_b32_e32 v1, 0x60
	;; [unrolled: 1-line block ×3, first 2 shown]
.LBB2169_314:                           ; =>This Inner Loop Header: Depth=1
	v_add_u32_e32 v3, s12, v0
	v_add_u32_e32 v4, s12, v1
	buffer_load_dword v5, v3, s[0:3], 0 offen offset:4
	buffer_load_dword v6, v4, s[0:3], 0 offen
	buffer_load_dword v7, v3, s[0:3], 0 offen
	buffer_load_dword v8, v4, s[0:3], 0 offen offset:4
	v_add_u32_e32 v3, s12, v2
	s_add_i32 s12, s12, 8
	s_cmp_lg_u32 s12, 32
	s_waitcnt vmcnt(1)
	v_add_u32_e32 v4, v6, v7
	s_waitcnt vmcnt(0)
	v_add_u32_e32 v5, v8, v5
	buffer_store_dword v5, v3, s[0:3], 0 offen offset:4
	buffer_store_dword v4, v3, s[0:3], 0 offen
	s_cbranch_scc1 .LBB2169_314
; %bb.315:
	buffer_load_dword v0, off, s[0:3], 0 offset:168
	buffer_load_dword v1, off, s[0:3], 0 offset:172
	;; [unrolled: 1-line block ×8, first 2 shown]
.LBB2169_316:
	s_or_b64 exec, exec, s[4:5]
	v_and_b32_e32 v8, 1, v11
	v_cmp_eq_u32_e64 s[4:5], 1, v8
	s_or_b64 s[4:5], s[4:5], vcc
	v_cndmask_b32_e64 v8, 0, 1, s[4:5]
	s_waitcnt vmcnt(4)
	buffer_store_dword v5, v19, s[0:3], 0 offen offset:12
	buffer_store_dword v4, v19, s[0:3], 0 offen offset:8
	;; [unrolled: 1-line block ×3, first 2 shown]
	buffer_store_dword v0, v19, s[0:3], 0 offen
	s_waitcnt vmcnt(4)
	buffer_store_dword v7, v19, s[0:3], 0 offen offset:28
	buffer_store_dword v6, v19, s[0:3], 0 offen offset:24
	;; [unrolled: 1-line block ×4, first 2 shown]
	buffer_store_byte v8, off, s[0:3], 0 offset:424
	s_branch .LBB2169_457
.LBB2169_317:
	s_cbranch_execz .LBB2169_457
; %bb.318:
	s_cmp_lg_u64 s[46:47], 0
	s_cselect_b32 s5, s31, 0
	s_cselect_b32 s4, s30, 0
	s_mov_b32 s12, 0
	s_cmp_eq_u64 s[4:5], 0
	v_pk_mov_b32 v[4:5], s[36:37], s[36:37] op_sel:[0,1]
	v_pk_mov_b32 v[6:7], s[38:39], s[38:39] op_sel:[0,1]
	;; [unrolled: 1-line block ×4, first 2 shown]
	s_cbranch_scc1 .LBB2169_320
; %bb.319:
	v_mov_b32_e32 v8, 0
	global_load_dwordx4 v[0:3], v8, s[4:5] offset:16
	global_load_dwordx4 v[4:7], v8, s[4:5]
.LBB2169_320:
	v_mov_b32_e32 v8, 0
	v_mov_b32_e32 v9, 0xf0
	buffer_store_dword v8, off, s[0:3], 0 offset:268
	buffer_store_dword v8, off, s[0:3], 0 offset:264
	;; [unrolled: 1-line block ×9, first 2 shown]
.LBB2169_321:                           ; =>This Inner Loop Header: Depth=1
	v_add_u32_e32 v11, s12, v9
	s_add_i32 s12, s12, 8
	s_cmp_lg_u32 s12, 32
	buffer_store_dword v8, v11, s[0:3], 0 offen offset:4
	buffer_store_dword v8, v11, s[0:3], 0 offen
	s_cbranch_scc1 .LBB2169_321
; %bb.322:
	buffer_load_dword v8, off, s[0:3], 0 offset:332
	buffer_load_dword v9, off, s[0:3], 0 offset:328
	;; [unrolled: 1-line block ×9, first 2 shown]
	buffer_load_ubyte v20, off, s[0:3], 0 offset:388
	v_mov_b32_e32 v21, 0
	s_waitcnt vmcnt(21)
	buffer_store_dword v5, off, s[0:3], 0 offset:208
	buffer_store_dword v4, off, s[0:3], 0 offset:204
	;; [unrolled: 1-line block ×8, first 2 shown]
	buffer_store_byte v21, off, s[0:3], 0 offset:272
	buffer_store_byte v21, off, s[0:3], 0 offset:236
	s_waitcnt vmcnt(19)
	buffer_store_dword v8, off, s[0:3], 0 offset:180
	s_waitcnt vmcnt(19)
	buffer_store_dword v9, off, s[0:3], 0 offset:176
	s_waitcnt vmcnt(19)
	buffer_store_dword v12, off, s[0:3], 0 offset:172
	s_waitcnt vmcnt(19)
	buffer_store_dword v13, off, s[0:3], 0 offset:168
	s_waitcnt vmcnt(19)
	buffer_store_dword v14, off, s[0:3], 0 offset:196
	s_waitcnt vmcnt(19)
	buffer_store_dword v15, off, s[0:3], 0 offset:192
	s_waitcnt vmcnt(19)
	buffer_store_dword v16, off, s[0:3], 0 offset:188
	s_waitcnt vmcnt(19)
	buffer_store_dword v17, off, s[0:3], 0 offset:184
	s_waitcnt vmcnt(19)
	buffer_store_dword v11, off, s[0:3], 0 offset:200
	s_waitcnt vmcnt(19)
	v_cmp_ne_u16_e32 vcc, 0, v20
                                        ; implicit-def: $vgpr16_vgpr17
                                        ; implicit-def: $vgpr14_vgpr15
                                        ; implicit-def: $vgpr12_vgpr13
                                        ; implicit-def: $vgpr8_vgpr9
	s_and_saveexec_b64 s[4:5], vcc
	s_xor_b64 s[4:5], exec, s[4:5]
	s_cbranch_execz .LBB2169_324
; %bb.323:
	buffer_load_dword v8, off, s[0:3], 0 offset:356
	buffer_load_dword v9, off, s[0:3], 0 offset:360
	;; [unrolled: 1-line block ×8, first 2 shown]
.LBB2169_324:
	s_andn2_saveexec_b64 s[4:5], s[4:5]
	s_cbranch_execz .LBB2169_330
; %bb.325:
	s_mov_b32 s12, 0
	s_waitcnt vmcnt(7)
	v_mov_b32_e32 v8, 0
	s_waitcnt vmcnt(6)
	v_mov_b32_e32 v9, 0
	s_waitcnt vmcnt(0)
.LBB2169_326:                           ; =>This Inner Loop Header: Depth=1
	v_add_u32_e32 v12, s12, v8
	s_add_i32 s12, s12, 8
	s_cmp_lg_u32 s12, 32
	buffer_store_dword v9, v12, s[0:3], 0 offen offset:4
	buffer_store_dword v9, v12, s[0:3], 0 offen
	s_cbranch_scc1 .LBB2169_326
; %bb.327:
	s_mov_b32 s12, 0
	v_mov_b32_e32 v8, 0xa8
	v_mov_b32_e32 v9, 0x140
	;; [unrolled: 1-line block ×3, first 2 shown]
.LBB2169_328:                           ; =>This Inner Loop Header: Depth=1
	v_add_u32_e32 v13, s12, v8
	v_add_u32_e32 v14, s12, v9
	buffer_load_dword v15, v13, s[0:3], 0 offen offset:4
	buffer_load_dword v16, v14, s[0:3], 0 offen offset:36
	buffer_load_dword v17, v13, s[0:3], 0 offen
	buffer_load_dword v21, v14, s[0:3], 0 offen offset:40
	v_add_u32_e32 v13, s12, v12
	s_add_i32 s12, s12, 8
	s_cmp_lg_u32 s12, 32
	s_waitcnt vmcnt(1)
	v_add_u32_e32 v14, v16, v17
	s_waitcnt vmcnt(0)
	v_add_u32_e32 v15, v21, v15
	buffer_store_dword v15, v13, s[0:3], 0 offen offset:4
	buffer_store_dword v14, v13, s[0:3], 0 offen
	s_cbranch_scc1 .LBB2169_328
; %bb.329:
	buffer_load_dword v8, off, s[0:3], 0
	buffer_load_dword v9, off, s[0:3], 0 offset:4
	buffer_load_dword v12, off, s[0:3], 0 offset:8
	;; [unrolled: 1-line block ×7, first 2 shown]
.LBB2169_330:
	s_or_b64 exec, exec, s[4:5]
	buffer_load_ubyte v21, off, s[0:3], 0 offset:424
	s_waitcnt vmcnt(7)
	buffer_store_dword v9, off, s[0:3], 0 offset:172
	buffer_store_dword v8, off, s[0:3], 0 offset:168
	s_waitcnt vmcnt(7)
	buffer_store_dword v13, off, s[0:3], 0 offset:180
	buffer_store_dword v12, off, s[0:3], 0 offset:176
	;; [unrolled: 3-line block ×4, first 2 shown]
                                        ; implicit-def: $vgpr16_vgpr17
                                        ; implicit-def: $vgpr14_vgpr15
                                        ; implicit-def: $vgpr12_vgpr13
                                        ; implicit-def: $vgpr8_vgpr9
	s_waitcnt vmcnt(8)
	v_cmp_ne_u16_e32 vcc, 0, v21
	s_and_saveexec_b64 s[4:5], vcc
	s_xor_b64 s[4:5], exec, s[4:5]
	s_cbranch_execz .LBB2169_332
; %bb.331:
	buffer_load_dword v8, off, s[0:3], 0 offset:392
	buffer_load_dword v9, off, s[0:3], 0 offset:396
	;; [unrolled: 1-line block ×8, first 2 shown]
.LBB2169_332:
	s_andn2_saveexec_b64 s[4:5], s[4:5]
	s_cbranch_execz .LBB2169_338
; %bb.333:
	s_mov_b32 s12, 0
	s_waitcnt vmcnt(7)
	v_mov_b32_e32 v8, 0
	s_waitcnt vmcnt(6)
	v_mov_b32_e32 v9, 0
	s_waitcnt vmcnt(0)
.LBB2169_334:                           ; =>This Inner Loop Header: Depth=1
	v_add_u32_e32 v12, s12, v8
	s_add_i32 s12, s12, 8
	s_cmp_lg_u32 s12, 32
	buffer_store_dword v9, v12, s[0:3], 0 offen offset:4
	buffer_store_dword v9, v12, s[0:3], 0 offen
	s_cbranch_scc1 .LBB2169_334
; %bb.335:
	s_mov_b32 s12, 0
	v_mov_b32_e32 v8, 0xa8
	v_mov_b32_e32 v9, 0x140
	;; [unrolled: 1-line block ×3, first 2 shown]
.LBB2169_336:                           ; =>This Inner Loop Header: Depth=1
	v_add_u32_e32 v13, s12, v8
	v_add_u32_e32 v14, s12, v9
	buffer_load_dword v15, v13, s[0:3], 0 offen offset:4
	buffer_load_dword v16, v14, s[0:3], 0 offen offset:72
	buffer_load_dword v17, v13, s[0:3], 0 offen
	buffer_load_dword v22, v14, s[0:3], 0 offen offset:76
	v_add_u32_e32 v13, s12, v12
	s_add_i32 s12, s12, 8
	s_cmp_lg_u32 s12, 32
	s_waitcnt vmcnt(1)
	v_add_u32_e32 v14, v16, v17
	s_waitcnt vmcnt(0)
	v_add_u32_e32 v15, v22, v15
	buffer_store_dword v15, v13, s[0:3], 0 offen offset:4
	buffer_store_dword v14, v13, s[0:3], 0 offen
	s_cbranch_scc1 .LBB2169_336
; %bb.337:
	buffer_load_dword v8, off, s[0:3], 0
	buffer_load_dword v9, off, s[0:3], 0 offset:4
	buffer_load_dword v12, off, s[0:3], 0 offset:8
	;; [unrolled: 1-line block ×7, first 2 shown]
.LBB2169_338:
	s_or_b64 exec, exec, s[4:5]
	v_or_b32_e32 v20, v21, v20
	v_or_b32_e32 v11, v20, v11
	v_and_b32_e32 v11, 1, v11
	buffer_store_byte v11, off, s[0:3], 0 offset:200
	buffer_load_dword v20, off, s[0:3], 0 offset:200
	v_mbcnt_lo_u32_b32 v11, -1, 0
	v_mov_b32_e32 v23, 0
	s_waitcnt vmcnt(9)
	v_mov_b32_dpp v21, v8 row_shr:1 row_mask:0xf bank_mask:0xf
	v_mbcnt_hi_u32_b32 v11, -1, v11
	buffer_store_dword v5, off, s[0:3], 0 offset:136
	buffer_store_dword v4, off, s[0:3], 0 offset:132
	;; [unrolled: 1-line block ×8, first 2 shown]
	s_waitcnt vmcnt(16)
	buffer_store_dword v9, off, s[0:3], 0 offset:172
	buffer_store_dword v8, off, s[0:3], 0 offset:168
	s_waitcnt vmcnt(16)
	buffer_store_dword v13, off, s[0:3], 0 offset:180
	buffer_store_dword v12, off, s[0:3], 0 offset:176
	;; [unrolled: 3-line block ×4, first 2 shown]
	v_mov_b32_dpp v22, v9 row_shr:1 row_mask:0xf bank_mask:0xf
	v_mov_b32_dpp v24, v12 row_shr:1 row_mask:0xf bank_mask:0xf
	;; [unrolled: 1-line block ×7, first 2 shown]
	buffer_store_byte v23, off, s[0:3], 0 offset:164
	buffer_store_dword v21, off, s[0:3], 0
	buffer_store_dword v22, off, s[0:3], 0 offset:4
	buffer_store_dword v24, off, s[0:3], 0 offset:8
	;; [unrolled: 1-line block ×7, first 2 shown]
	v_and_b32_e32 v21, 15, v11
	v_cmp_ne_u32_e32 vcc, 0, v21
	s_waitcnt vmcnt(25)
	v_mov_b32_dpp v22, v20 row_shr:1 row_mask:0xf bank_mask:0xf
	buffer_store_dword v22, off, s[0:3], 0 offset:32
	s_and_saveexec_b64 s[4:5], vcc
	s_xor_b64 s[4:5], exec, s[4:5]
	s_cbranch_execz .LBB2169_346
; %bb.339:
	v_cmp_eq_u16_sdwa s[14:15], v20, v23 src0_sel:BYTE_0 src1_sel:DWORD
	s_and_saveexec_b64 s[12:13], s[14:15]
	s_cbranch_execz .LBB2169_345
; %bb.340:
	s_mov_b32 s14, 0
	v_mov_b32_e32 v8, 0x60
	v_mov_b32_e32 v9, 0
.LBB2169_341:                           ; =>This Inner Loop Header: Depth=1
	v_add_u32_e32 v12, s14, v8
	s_add_i32 s14, s14, 8
	s_cmp_lg_u32 s14, 32
	buffer_store_dword v9, v12, s[0:3], 0 offen offset:4
	buffer_store_dword v9, v12, s[0:3], 0 offen
	s_cbranch_scc1 .LBB2169_341
; %bb.342:
	s_mov_b32 s14, 0
	v_mov_b32_e32 v8, 0
	v_mov_b32_e32 v9, 0xa8
	;; [unrolled: 1-line block ×3, first 2 shown]
.LBB2169_343:                           ; =>This Inner Loop Header: Depth=1
	v_add_u32_e32 v13, s14, v8
	v_add_u32_e32 v14, s14, v9
	buffer_load_dword v15, v13, s[0:3], 0 offen offset:4
	buffer_load_dword v16, v14, s[0:3], 0 offen
	buffer_load_dword v17, v13, s[0:3], 0 offen
	buffer_load_dword v23, v14, s[0:3], 0 offen offset:4
	v_add_u32_e32 v13, s14, v12
	s_add_i32 s14, s14, 8
	s_cmp_lg_u32 s14, 32
	s_waitcnt vmcnt(1)
	v_add_u32_e32 v14, v16, v17
	s_waitcnt vmcnt(0)
	v_add_u32_e32 v15, v23, v15
	buffer_store_dword v15, v13, s[0:3], 0 offen offset:4
	buffer_store_dword v14, v13, s[0:3], 0 offen
	s_cbranch_scc1 .LBB2169_343
; %bb.344:
	buffer_load_dword v8, off, s[0:3], 0 offset:96
	buffer_load_dword v9, off, s[0:3], 0 offset:100
	;; [unrolled: 1-line block ×8, first 2 shown]
.LBB2169_345:
	s_or_b64 exec, exec, s[12:13]
	v_or_b32_e32 v20, v22, v20
	v_and_b32_e32 v20, 1, v20
	buffer_store_byte v20, off, s[0:3], 0 offset:200
	buffer_load_dword v20, off, s[0:3], 0 offset:200
	s_waitcnt vmcnt(8)
	buffer_store_dword v9, off, s[0:3], 0 offset:172
	buffer_store_dword v8, off, s[0:3], 0 offset:168
	s_waitcnt vmcnt(8)
	buffer_store_dword v13, off, s[0:3], 0 offset:180
	buffer_store_dword v12, off, s[0:3], 0 offset:176
	;; [unrolled: 3-line block ×4, first 2 shown]
.LBB2169_346:
	s_or_b64 exec, exec, s[4:5]
	v_mov_b32_dpp v23, v8 row_shr:2 row_mask:0xf bank_mask:0xf
	s_waitcnt vmcnt(8)
	v_mov_b32_dpp v22, v20 row_shr:2 row_mask:0xf bank_mask:0xf
	v_cmp_lt_u32_e32 vcc, 1, v21
	v_mov_b32_dpp v24, v9 row_shr:2 row_mask:0xf bank_mask:0xf
	v_mov_b32_dpp v25, v12 row_shr:2 row_mask:0xf bank_mask:0xf
	;; [unrolled: 1-line block ×7, first 2 shown]
	buffer_store_dword v23, off, s[0:3], 0
	buffer_store_dword v24, off, s[0:3], 0 offset:4
	buffer_store_dword v25, off, s[0:3], 0 offset:8
	;; [unrolled: 1-line block ×8, first 2 shown]
	s_and_saveexec_b64 s[12:13], vcc
	s_cbranch_execz .LBB2169_354
; %bb.347:
	v_mov_b32_e32 v23, 0
	s_mov_b32 s14, 0
	v_cmp_eq_u16_sdwa s[16:17], v20, v23 src0_sel:BYTE_0 src1_sel:DWORD
	s_and_saveexec_b64 s[4:5], s[16:17]
	s_cbranch_execz .LBB2169_353
; %bb.348:
	v_mov_b32_e32 v8, 0x60
.LBB2169_349:                           ; =>This Inner Loop Header: Depth=1
	v_add_u32_e32 v9, s14, v8
	s_add_i32 s14, s14, 8
	s_cmp_lg_u32 s14, 32
	buffer_store_dword v23, v9, s[0:3], 0 offen offset:4
	buffer_store_dword v23, v9, s[0:3], 0 offen
	s_cbranch_scc1 .LBB2169_349
; %bb.350:
	s_mov_b32 s14, 0
	v_mov_b32_e32 v8, 0
	v_mov_b32_e32 v9, 0xa8
	;; [unrolled: 1-line block ×3, first 2 shown]
.LBB2169_351:                           ; =>This Inner Loop Header: Depth=1
	v_add_u32_e32 v13, s14, v8
	v_add_u32_e32 v14, s14, v9
	buffer_load_dword v15, v13, s[0:3], 0 offen offset:4
	buffer_load_dword v16, v14, s[0:3], 0 offen
	buffer_load_dword v17, v13, s[0:3], 0 offen
	buffer_load_dword v23, v14, s[0:3], 0 offen offset:4
	v_add_u32_e32 v13, s14, v12
	s_add_i32 s14, s14, 8
	s_cmp_lg_u32 s14, 32
	s_waitcnt vmcnt(1)
	v_add_u32_e32 v14, v16, v17
	s_waitcnt vmcnt(0)
	v_add_u32_e32 v15, v23, v15
	buffer_store_dword v15, v13, s[0:3], 0 offen offset:4
	buffer_store_dword v14, v13, s[0:3], 0 offen
	s_cbranch_scc1 .LBB2169_351
; %bb.352:
	buffer_load_dword v8, off, s[0:3], 0 offset:96
	buffer_load_dword v9, off, s[0:3], 0 offset:100
	;; [unrolled: 1-line block ×8, first 2 shown]
.LBB2169_353:
	s_or_b64 exec, exec, s[4:5]
	v_and_b32_e32 v20, 1, v20
	v_cmp_eq_u32_e32 vcc, 1, v20
	v_and_b32_e32 v20, 1, v22
	v_cmp_eq_u32_e64 s[4:5], 1, v20
	s_or_b64 s[4:5], vcc, s[4:5]
	v_cndmask_b32_e64 v20, 0, 1, s[4:5]
	buffer_store_byte v20, off, s[0:3], 0 offset:200
	buffer_load_dword v20, off, s[0:3], 0 offset:200
	s_waitcnt vmcnt(8)
	buffer_store_dword v9, off, s[0:3], 0 offset:172
	buffer_store_dword v8, off, s[0:3], 0 offset:168
	s_waitcnt vmcnt(8)
	buffer_store_dword v13, off, s[0:3], 0 offset:180
	buffer_store_dword v12, off, s[0:3], 0 offset:176
	;; [unrolled: 3-line block ×4, first 2 shown]
.LBB2169_354:
	s_or_b64 exec, exec, s[12:13]
	v_mov_b32_dpp v23, v8 row_shr:4 row_mask:0xf bank_mask:0xf
	s_waitcnt vmcnt(8)
	v_mov_b32_dpp v22, v20 row_shr:4 row_mask:0xf bank_mask:0xf
	v_cmp_lt_u32_e32 vcc, 3, v21
	v_mov_b32_dpp v24, v9 row_shr:4 row_mask:0xf bank_mask:0xf
	v_mov_b32_dpp v25, v12 row_shr:4 row_mask:0xf bank_mask:0xf
	;; [unrolled: 1-line block ×7, first 2 shown]
	buffer_store_dword v23, off, s[0:3], 0
	buffer_store_dword v24, off, s[0:3], 0 offset:4
	buffer_store_dword v25, off, s[0:3], 0 offset:8
	;; [unrolled: 1-line block ×8, first 2 shown]
	s_and_saveexec_b64 s[12:13], vcc
	s_cbranch_execz .LBB2169_362
; %bb.355:
	v_mov_b32_e32 v23, 0
	s_mov_b32 s14, 0
	v_cmp_eq_u16_sdwa s[16:17], v20, v23 src0_sel:BYTE_0 src1_sel:DWORD
	s_and_saveexec_b64 s[4:5], s[16:17]
	s_cbranch_execz .LBB2169_361
; %bb.356:
	v_mov_b32_e32 v8, 0x60
.LBB2169_357:                           ; =>This Inner Loop Header: Depth=1
	v_add_u32_e32 v9, s14, v8
	s_add_i32 s14, s14, 8
	s_cmp_lg_u32 s14, 32
	buffer_store_dword v23, v9, s[0:3], 0 offen offset:4
	buffer_store_dword v23, v9, s[0:3], 0 offen
	s_cbranch_scc1 .LBB2169_357
; %bb.358:
	s_mov_b32 s14, 0
	v_mov_b32_e32 v8, 0
	v_mov_b32_e32 v9, 0xa8
	;; [unrolled: 1-line block ×3, first 2 shown]
.LBB2169_359:                           ; =>This Inner Loop Header: Depth=1
	v_add_u32_e32 v13, s14, v8
	v_add_u32_e32 v14, s14, v9
	buffer_load_dword v15, v13, s[0:3], 0 offen offset:4
	buffer_load_dword v16, v14, s[0:3], 0 offen
	buffer_load_dword v17, v13, s[0:3], 0 offen
	buffer_load_dword v23, v14, s[0:3], 0 offen offset:4
	v_add_u32_e32 v13, s14, v12
	s_add_i32 s14, s14, 8
	s_cmp_lg_u32 s14, 32
	s_waitcnt vmcnt(1)
	v_add_u32_e32 v14, v16, v17
	s_waitcnt vmcnt(0)
	v_add_u32_e32 v15, v23, v15
	buffer_store_dword v15, v13, s[0:3], 0 offen offset:4
	buffer_store_dword v14, v13, s[0:3], 0 offen
	s_cbranch_scc1 .LBB2169_359
; %bb.360:
	buffer_load_dword v8, off, s[0:3], 0 offset:96
	buffer_load_dword v9, off, s[0:3], 0 offset:100
	buffer_load_dword v12, off, s[0:3], 0 offset:104
	buffer_load_dword v13, off, s[0:3], 0 offset:108
	buffer_load_dword v14, off, s[0:3], 0 offset:112
	buffer_load_dword v15, off, s[0:3], 0 offset:116
	buffer_load_dword v16, off, s[0:3], 0 offset:120
	buffer_load_dword v17, off, s[0:3], 0 offset:124
.LBB2169_361:
	s_or_b64 exec, exec, s[4:5]
	v_and_b32_e32 v20, 1, v20
	v_cmp_eq_u32_e32 vcc, 1, v20
	v_and_b32_e32 v20, 1, v22
	v_cmp_eq_u32_e64 s[4:5], 1, v20
	s_or_b64 s[4:5], vcc, s[4:5]
	v_cndmask_b32_e64 v20, 0, 1, s[4:5]
	buffer_store_byte v20, off, s[0:3], 0 offset:200
	buffer_load_dword v20, off, s[0:3], 0 offset:200
	s_waitcnt vmcnt(8)
	buffer_store_dword v9, off, s[0:3], 0 offset:172
	buffer_store_dword v8, off, s[0:3], 0 offset:168
	s_waitcnt vmcnt(8)
	buffer_store_dword v13, off, s[0:3], 0 offset:180
	buffer_store_dword v12, off, s[0:3], 0 offset:176
	;; [unrolled: 3-line block ×4, first 2 shown]
.LBB2169_362:
	s_or_b64 exec, exec, s[12:13]
	v_mov_b32_dpp v23, v8 row_shr:8 row_mask:0xf bank_mask:0xf
	s_waitcnt vmcnt(8)
	v_mov_b32_dpp v22, v20 row_shr:8 row_mask:0xf bank_mask:0xf
	v_cmp_lt_u32_e32 vcc, 7, v21
	v_mov_b32_dpp v24, v9 row_shr:8 row_mask:0xf bank_mask:0xf
	v_mov_b32_dpp v25, v12 row_shr:8 row_mask:0xf bank_mask:0xf
	;; [unrolled: 1-line block ×7, first 2 shown]
	buffer_store_dword v23, off, s[0:3], 0
	buffer_store_dword v24, off, s[0:3], 0 offset:4
	buffer_store_dword v25, off, s[0:3], 0 offset:8
	;; [unrolled: 1-line block ×8, first 2 shown]
	s_and_saveexec_b64 s[12:13], vcc
	s_cbranch_execz .LBB2169_370
; %bb.363:
	v_mov_b32_e32 v21, 0
	s_mov_b32 s14, 0
	v_cmp_eq_u16_sdwa s[16:17], v20, v21 src0_sel:BYTE_0 src1_sel:DWORD
	s_and_saveexec_b64 s[4:5], s[16:17]
	s_cbranch_execz .LBB2169_369
; %bb.364:
	v_mov_b32_e32 v8, 0x60
.LBB2169_365:                           ; =>This Inner Loop Header: Depth=1
	v_add_u32_e32 v9, s14, v8
	s_add_i32 s14, s14, 8
	s_cmp_lg_u32 s14, 32
	buffer_store_dword v21, v9, s[0:3], 0 offen offset:4
	buffer_store_dword v21, v9, s[0:3], 0 offen
	s_cbranch_scc1 .LBB2169_365
; %bb.366:
	s_mov_b32 s14, 0
	v_mov_b32_e32 v8, 0
	v_mov_b32_e32 v9, 0xa8
	;; [unrolled: 1-line block ×3, first 2 shown]
.LBB2169_367:                           ; =>This Inner Loop Header: Depth=1
	v_add_u32_e32 v13, s14, v8
	v_add_u32_e32 v14, s14, v9
	buffer_load_dword v15, v13, s[0:3], 0 offen offset:4
	buffer_load_dword v16, v14, s[0:3], 0 offen
	buffer_load_dword v17, v13, s[0:3], 0 offen
	buffer_load_dword v21, v14, s[0:3], 0 offen offset:4
	v_add_u32_e32 v13, s14, v12
	s_add_i32 s14, s14, 8
	s_cmp_lg_u32 s14, 32
	s_waitcnt vmcnt(1)
	v_add_u32_e32 v14, v16, v17
	s_waitcnt vmcnt(0)
	v_add_u32_e32 v15, v21, v15
	buffer_store_dword v15, v13, s[0:3], 0 offen offset:4
	buffer_store_dword v14, v13, s[0:3], 0 offen
	s_cbranch_scc1 .LBB2169_367
; %bb.368:
	buffer_load_dword v8, off, s[0:3], 0 offset:96
	buffer_load_dword v9, off, s[0:3], 0 offset:100
	buffer_load_dword v12, off, s[0:3], 0 offset:104
	buffer_load_dword v13, off, s[0:3], 0 offset:108
	buffer_load_dword v14, off, s[0:3], 0 offset:112
	buffer_load_dword v15, off, s[0:3], 0 offset:116
	buffer_load_dword v16, off, s[0:3], 0 offset:120
	buffer_load_dword v17, off, s[0:3], 0 offset:124
.LBB2169_369:
	s_or_b64 exec, exec, s[4:5]
	v_and_b32_e32 v20, 1, v20
	v_cmp_eq_u32_e32 vcc, 1, v20
	v_and_b32_e32 v20, 1, v22
	v_cmp_eq_u32_e64 s[4:5], 1, v20
	s_or_b64 s[4:5], vcc, s[4:5]
	v_cndmask_b32_e64 v20, 0, 1, s[4:5]
	buffer_store_byte v20, off, s[0:3], 0 offset:200
	buffer_load_dword v20, off, s[0:3], 0 offset:200
	s_waitcnt vmcnt(8)
	buffer_store_dword v9, off, s[0:3], 0 offset:172
	buffer_store_dword v8, off, s[0:3], 0 offset:168
	s_waitcnt vmcnt(8)
	buffer_store_dword v13, off, s[0:3], 0 offset:180
	buffer_store_dword v12, off, s[0:3], 0 offset:176
	;; [unrolled: 3-line block ×4, first 2 shown]
.LBB2169_370:
	s_or_b64 exec, exec, s[12:13]
	v_mov_b32_dpp v22, v8 row_bcast:15 row_mask:0xf bank_mask:0xf
	v_mov_b32_dpp v23, v9 row_bcast:15 row_mask:0xf bank_mask:0xf
	;; [unrolled: 1-line block ×8, first 2 shown]
	s_waitcnt vmcnt(8)
	v_mov_b32_dpp v21, v20 row_bcast:15 row_mask:0xf bank_mask:0xf
	buffer_store_dword v22, off, s[0:3], 0
	buffer_store_dword v23, off, s[0:3], 0 offset:4
	buffer_store_dword v24, off, s[0:3], 0 offset:8
	;; [unrolled: 1-line block ×8, first 2 shown]
	v_and_b32_e32 v22, 16, v11
	v_cmp_ne_u32_e32 vcc, 0, v22
	s_and_saveexec_b64 s[12:13], vcc
	s_cbranch_execz .LBB2169_378
; %bb.371:
	v_mov_b32_e32 v22, 0
	s_mov_b32 s14, 0
	v_cmp_eq_u16_sdwa s[16:17], v20, v22 src0_sel:BYTE_0 src1_sel:DWORD
	s_and_saveexec_b64 s[4:5], s[16:17]
	s_cbranch_execz .LBB2169_377
; %bb.372:
	v_mov_b32_e32 v8, 0x60
.LBB2169_373:                           ; =>This Inner Loop Header: Depth=1
	v_add_u32_e32 v9, s14, v8
	s_add_i32 s14, s14, 8
	s_cmp_lg_u32 s14, 32
	buffer_store_dword v22, v9, s[0:3], 0 offen offset:4
	buffer_store_dword v22, v9, s[0:3], 0 offen
	s_cbranch_scc1 .LBB2169_373
; %bb.374:
	s_mov_b32 s14, 0
	v_mov_b32_e32 v8, 0
	v_mov_b32_e32 v9, 0xa8
	;; [unrolled: 1-line block ×3, first 2 shown]
.LBB2169_375:                           ; =>This Inner Loop Header: Depth=1
	v_add_u32_e32 v13, s14, v8
	v_add_u32_e32 v14, s14, v9
	buffer_load_dword v15, v13, s[0:3], 0 offen offset:4
	buffer_load_dword v16, v14, s[0:3], 0 offen
	buffer_load_dword v17, v13, s[0:3], 0 offen
	buffer_load_dword v22, v14, s[0:3], 0 offen offset:4
	v_add_u32_e32 v13, s14, v12
	s_add_i32 s14, s14, 8
	s_cmp_lg_u32 s14, 32
	s_waitcnt vmcnt(1)
	v_add_u32_e32 v14, v16, v17
	s_waitcnt vmcnt(0)
	v_add_u32_e32 v15, v22, v15
	buffer_store_dword v15, v13, s[0:3], 0 offen offset:4
	buffer_store_dword v14, v13, s[0:3], 0 offen
	s_cbranch_scc1 .LBB2169_375
; %bb.376:
	buffer_load_dword v8, off, s[0:3], 0 offset:96
	buffer_load_dword v9, off, s[0:3], 0 offset:100
	;; [unrolled: 1-line block ×8, first 2 shown]
.LBB2169_377:
	s_or_b64 exec, exec, s[4:5]
	v_and_b32_e32 v20, 1, v20
	v_cmp_eq_u32_e32 vcc, 1, v20
	v_and_b32_e32 v20, 1, v21
	v_cmp_eq_u32_e64 s[4:5], 1, v20
	s_or_b64 s[4:5], vcc, s[4:5]
	v_cndmask_b32_e64 v20, 0, 1, s[4:5]
	buffer_store_byte v20, off, s[0:3], 0 offset:200
	buffer_load_dword v20, off, s[0:3], 0 offset:200
	s_waitcnt vmcnt(8)
	buffer_store_dword v9, off, s[0:3], 0 offset:172
	buffer_store_dword v8, off, s[0:3], 0 offset:168
	s_waitcnt vmcnt(8)
	buffer_store_dword v13, off, s[0:3], 0 offset:180
	buffer_store_dword v12, off, s[0:3], 0 offset:176
	;; [unrolled: 3-line block ×4, first 2 shown]
.LBB2169_378:
	s_or_b64 exec, exec, s[12:13]
	v_mov_b32_dpp v22, v8 row_bcast:31 row_mask:0xf bank_mask:0xf
	s_waitcnt vmcnt(8)
	v_mov_b32_dpp v21, v20 row_bcast:31 row_mask:0xf bank_mask:0xf
	v_cmp_lt_u32_e32 vcc, 31, v11
	v_mov_b32_dpp v23, v9 row_bcast:31 row_mask:0xf bank_mask:0xf
	v_mov_b32_dpp v24, v12 row_bcast:31 row_mask:0xf bank_mask:0xf
	;; [unrolled: 1-line block ×7, first 2 shown]
	buffer_store_dword v22, off, s[0:3], 0
	buffer_store_dword v23, off, s[0:3], 0 offset:4
	buffer_store_dword v24, off, s[0:3], 0 offset:8
	;; [unrolled: 1-line block ×8, first 2 shown]
	s_and_saveexec_b64 s[12:13], vcc
	s_cbranch_execz .LBB2169_386
; %bb.379:
	v_mov_b32_e32 v22, 0
	s_mov_b32 s14, 0
	v_cmp_eq_u16_sdwa s[16:17], v20, v22 src0_sel:BYTE_0 src1_sel:DWORD
	s_and_saveexec_b64 s[4:5], s[16:17]
	s_cbranch_execz .LBB2169_385
; %bb.380:
	v_mov_b32_e32 v8, 0x60
.LBB2169_381:                           ; =>This Inner Loop Header: Depth=1
	v_add_u32_e32 v9, s14, v8
	s_add_i32 s14, s14, 8
	s_cmp_lg_u32 s14, 32
	buffer_store_dword v22, v9, s[0:3], 0 offen offset:4
	buffer_store_dword v22, v9, s[0:3], 0 offen
	s_cbranch_scc1 .LBB2169_381
; %bb.382:
	s_mov_b32 s14, 0
	v_mov_b32_e32 v8, 0
	v_mov_b32_e32 v9, 0xa8
	;; [unrolled: 1-line block ×3, first 2 shown]
.LBB2169_383:                           ; =>This Inner Loop Header: Depth=1
	v_add_u32_e32 v13, s14, v8
	v_add_u32_e32 v14, s14, v9
	buffer_load_dword v15, v13, s[0:3], 0 offen offset:4
	buffer_load_dword v16, v14, s[0:3], 0 offen
	buffer_load_dword v17, v13, s[0:3], 0 offen
	buffer_load_dword v22, v14, s[0:3], 0 offen offset:4
	v_add_u32_e32 v13, s14, v12
	s_add_i32 s14, s14, 8
	s_cmp_lg_u32 s14, 32
	s_waitcnt vmcnt(1)
	v_add_u32_e32 v14, v16, v17
	s_waitcnt vmcnt(0)
	v_add_u32_e32 v15, v22, v15
	buffer_store_dword v15, v13, s[0:3], 0 offen offset:4
	buffer_store_dword v14, v13, s[0:3], 0 offen
	s_cbranch_scc1 .LBB2169_383
; %bb.384:
	buffer_load_dword v8, off, s[0:3], 0 offset:96
	buffer_load_dword v9, off, s[0:3], 0 offset:100
	;; [unrolled: 1-line block ×8, first 2 shown]
.LBB2169_385:
	s_or_b64 exec, exec, s[4:5]
	v_and_b32_e32 v20, 1, v20
	v_cmp_eq_u32_e32 vcc, 1, v20
	v_and_b32_e32 v20, 1, v21
	v_cmp_eq_u32_e64 s[4:5], 1, v20
	s_or_b64 s[4:5], vcc, s[4:5]
	v_cndmask_b32_e64 v20, 0, 1, s[4:5]
	s_waitcnt vmcnt(6)
	buffer_store_dword v9, off, s[0:3], 0 offset:172
	buffer_store_dword v8, off, s[0:3], 0 offset:168
	s_waitcnt vmcnt(6)
	buffer_store_dword v13, off, s[0:3], 0 offset:180
	buffer_store_dword v12, off, s[0:3], 0 offset:176
	;; [unrolled: 3-line block ×4, first 2 shown]
	buffer_store_byte v20, off, s[0:3], 0 offset:200
.LBB2169_386:
	s_or_b64 exec, exec, s[12:13]
	v_or_b32_e32 v22, 63, v10
	v_lshrrev_b32_e32 v21, 6, v10
	v_cmp_eq_u32_e32 vcc, v22, v10
	s_and_saveexec_b64 s[4:5], vcc
	s_cbranch_execz .LBB2169_388
; %bb.387:
	v_mul_u32_u24_e32 v22, 36, v21
	ds_write2_b32 v22, v8, v9 offset1:1
	ds_write2_b32 v22, v12, v13 offset0:2 offset1:3
	ds_write2_b32 v22, v14, v15 offset0:4 offset1:5
	ds_write2_b32 v22, v16, v17 offset0:6 offset1:7
	ds_write_b8 v22, v20 offset:32
.LBB2169_388:
	s_or_b64 exec, exec, s[4:5]
	v_cmp_gt_u32_e32 vcc, 4, v10
	s_waitcnt lgkmcnt(0)
	s_barrier
	s_and_saveexec_b64 s[12:13], vcc
	s_cbranch_execz .LBB2169_406
; %bb.389:
	v_mul_u32_u24_e32 v20, 36, v10
	ds_read_b32 v22, v20 offset:32
	ds_read2_b32 v[8:9], v20 offset0:6 offset1:7
	ds_read2_b32 v[12:13], v20 offset0:4 offset1:5
	;; [unrolled: 1-line block ×3, first 2 shown]
	ds_read2_b32 v[16:17], v20 offset1:1
	v_and_b32_e32 v23, 3, v11
	s_waitcnt lgkmcnt(4)
	v_mov_b32_dpp v24, v22 row_shr:1 row_mask:0xf bank_mask:0xf
	v_cmp_ne_u32_e32 vcc, 0, v23
	buffer_store_dword v22, off, s[0:3], 0 offset:128
	s_waitcnt lgkmcnt(0)
	v_mov_b32_dpp v25, v16 row_shr:1 row_mask:0xf bank_mask:0xf
	buffer_store_dword v9, off, s[0:3], 0 offset:124
	buffer_store_dword v8, off, s[0:3], 0 offset:120
	;; [unrolled: 1-line block ×8, first 2 shown]
	v_mov_b32_dpp v26, v17 row_shr:1 row_mask:0xf bank_mask:0xf
	v_mov_b32_dpp v27, v14 row_shr:1 row_mask:0xf bank_mask:0xf
	v_mov_b32_dpp v28, v15 row_shr:1 row_mask:0xf bank_mask:0xf
	v_mov_b32_dpp v29, v12 row_shr:1 row_mask:0xf bank_mask:0xf
	v_mov_b32_dpp v30, v13 row_shr:1 row_mask:0xf bank_mask:0xf
	v_mov_b32_dpp v31, v8 row_shr:1 row_mask:0xf bank_mask:0xf
	v_mov_b32_dpp v32, v9 row_shr:1 row_mask:0xf bank_mask:0xf
	buffer_store_dword v25, off, s[0:3], 0
	buffer_store_dword v26, off, s[0:3], 0 offset:4
	buffer_store_dword v27, off, s[0:3], 0 offset:8
	;; [unrolled: 1-line block ×8, first 2 shown]
	s_and_saveexec_b64 s[4:5], vcc
	s_cbranch_execz .LBB2169_397
; %bb.390:
	v_mov_b32_e32 v25, 0
	v_cmp_eq_u16_sdwa s[16:17], v22, v25 src0_sel:BYTE_0 src1_sel:DWORD
	s_and_saveexec_b64 s[14:15], s[16:17]
	s_cbranch_execz .LBB2169_396
; %bb.391:
	s_mov_b32 s16, 0
	v_mov_b32_e32 v8, 0x114
.LBB2169_392:                           ; =>This Inner Loop Header: Depth=1
	v_add_u32_e32 v9, s16, v8
	s_add_i32 s16, s16, 8
	s_cmp_lg_u32 s16, 32
	buffer_store_dword v25, v9, s[0:3], 0 offen offset:4
	buffer_store_dword v25, v9, s[0:3], 0 offen
	s_cbranch_scc1 .LBB2169_392
; %bb.393:
	s_mov_b32 s16, 0
	v_mov_b32_e32 v8, 0
	v_mov_b32_e32 v9, 0x60
	;; [unrolled: 1-line block ×3, first 2 shown]
.LBB2169_394:                           ; =>This Inner Loop Header: Depth=1
	v_add_u32_e32 v13, s16, v8
	v_add_u32_e32 v14, s16, v9
	buffer_load_dword v15, v13, s[0:3], 0 offen offset:4
	buffer_load_dword v16, v14, s[0:3], 0 offen
	buffer_load_dword v17, v13, s[0:3], 0 offen
	buffer_load_dword v25, v14, s[0:3], 0 offen offset:4
	v_add_u32_e32 v13, s16, v12
	s_add_i32 s16, s16, 8
	s_cmp_lg_u32 s16, 32
	s_waitcnt vmcnt(1)
	v_add_u32_e32 v14, v16, v17
	s_waitcnt vmcnt(0)
	v_add_u32_e32 v15, v25, v15
	buffer_store_dword v15, v13, s[0:3], 0 offen offset:4
	buffer_store_dword v14, v13, s[0:3], 0 offen
	s_cbranch_scc1 .LBB2169_394
; %bb.395:
	buffer_load_dword v16, off, s[0:3], 0 offset:276
	buffer_load_dword v17, off, s[0:3], 0 offset:280
	;; [unrolled: 1-line block ×8, first 2 shown]
.LBB2169_396:
	s_or_b64 exec, exec, s[14:15]
	v_or_b32_e32 v22, v24, v22
	v_and_b32_e32 v22, 1, v22
	buffer_store_byte v22, off, s[0:3], 0 offset:128
	buffer_load_dword v22, off, s[0:3], 0 offset:128
	s_waitcnt vmcnt(8)
	buffer_store_dword v17, off, s[0:3], 0 offset:100
	buffer_store_dword v16, off, s[0:3], 0 offset:96
	s_waitcnt vmcnt(8)
	buffer_store_dword v15, off, s[0:3], 0 offset:108
	buffer_store_dword v14, off, s[0:3], 0 offset:104
	;; [unrolled: 3-line block ×4, first 2 shown]
.LBB2169_397:
	s_or_b64 exec, exec, s[4:5]
	v_mov_b32_dpp v25, v16 row_shr:2 row_mask:0xf bank_mask:0xf
	s_waitcnt vmcnt(8)
	v_mov_b32_dpp v24, v22 row_shr:2 row_mask:0xf bank_mask:0xf
	v_cmp_lt_u32_e32 vcc, 1, v23
	v_mov_b32_dpp v26, v17 row_shr:2 row_mask:0xf bank_mask:0xf
	v_mov_b32_dpp v27, v14 row_shr:2 row_mask:0xf bank_mask:0xf
	;; [unrolled: 1-line block ×7, first 2 shown]
	buffer_store_dword v25, off, s[0:3], 0
	buffer_store_dword v26, off, s[0:3], 0 offset:4
	buffer_store_dword v27, off, s[0:3], 0 offset:8
	;; [unrolled: 1-line block ×8, first 2 shown]
	s_and_saveexec_b64 s[14:15], vcc
	s_cbranch_execz .LBB2169_405
; %bb.398:
	v_mov_b32_e32 v23, 0
	s_mov_b32 s16, 0
	v_cmp_eq_u16_sdwa s[20:21], v22, v23 src0_sel:BYTE_0 src1_sel:DWORD
	s_and_saveexec_b64 s[4:5], s[20:21]
	s_cbranch_execz .LBB2169_404
; %bb.399:
	v_mov_b32_e32 v8, 0x114
.LBB2169_400:                           ; =>This Inner Loop Header: Depth=1
	v_add_u32_e32 v9, s16, v8
	s_add_i32 s16, s16, 8
	s_cmp_lg_u32 s16, 32
	buffer_store_dword v23, v9, s[0:3], 0 offen offset:4
	buffer_store_dword v23, v9, s[0:3], 0 offen
	s_cbranch_scc1 .LBB2169_400
; %bb.401:
	s_mov_b32 s16, 0
	v_mov_b32_e32 v8, 0
	v_mov_b32_e32 v9, 0x60
	;; [unrolled: 1-line block ×3, first 2 shown]
.LBB2169_402:                           ; =>This Inner Loop Header: Depth=1
	v_add_u32_e32 v13, s16, v8
	v_add_u32_e32 v14, s16, v9
	buffer_load_dword v15, v13, s[0:3], 0 offen offset:4
	buffer_load_dword v16, v14, s[0:3], 0 offen
	buffer_load_dword v17, v13, s[0:3], 0 offen
	buffer_load_dword v23, v14, s[0:3], 0 offen offset:4
	v_add_u32_e32 v13, s16, v12
	s_add_i32 s16, s16, 8
	s_cmp_lg_u32 s16, 32
	s_waitcnt vmcnt(1)
	v_add_u32_e32 v14, v16, v17
	s_waitcnt vmcnt(0)
	v_add_u32_e32 v15, v23, v15
	buffer_store_dword v15, v13, s[0:3], 0 offen offset:4
	buffer_store_dword v14, v13, s[0:3], 0 offen
	s_cbranch_scc1 .LBB2169_402
; %bb.403:
	buffer_load_dword v16, off, s[0:3], 0 offset:276
	buffer_load_dword v17, off, s[0:3], 0 offset:280
	;; [unrolled: 1-line block ×8, first 2 shown]
.LBB2169_404:
	s_or_b64 exec, exec, s[4:5]
	v_and_b32_e32 v22, 1, v22
	v_cmp_eq_u32_e32 vcc, 1, v22
	v_and_b32_e32 v22, 1, v24
	v_cmp_eq_u32_e64 s[4:5], 1, v22
	s_or_b64 s[4:5], vcc, s[4:5]
	v_cndmask_b32_e64 v22, 0, 1, s[4:5]
	s_waitcnt vmcnt(6)
	buffer_store_dword v17, off, s[0:3], 0 offset:100
	buffer_store_dword v16, off, s[0:3], 0 offset:96
	s_waitcnt vmcnt(6)
	buffer_store_dword v15, off, s[0:3], 0 offset:108
	buffer_store_dword v14, off, s[0:3], 0 offset:104
	;; [unrolled: 3-line block ×4, first 2 shown]
.LBB2169_405:
	s_or_b64 exec, exec, s[14:15]
	buffer_load_dword v8, off, s[0:3], 0 offset:96
	buffer_load_dword v9, off, s[0:3], 0 offset:100
	;; [unrolled: 1-line block ×8, first 2 shown]
	s_waitcnt vmcnt(4)
	ds_write2_b32 v20, v12, v13 offset0:2 offset1:3
	ds_write2_b32 v20, v8, v9 offset1:1
	s_waitcnt vmcnt(2)
	ds_write2_b32 v20, v14, v15 offset0:6 offset1:7
	s_waitcnt vmcnt(0)
	ds_write2_b32 v20, v16, v17 offset0:4 offset1:5
	ds_write_b8 v20, v22 offset:32
.LBB2169_406:
	s_or_b64 exec, exec, s[12:13]
	s_waitcnt lgkmcnt(0)
	s_barrier
	buffer_load_dword v8, off, s[0:3], 0 offset:144
	buffer_load_dword v9, off, s[0:3], 0 offset:140
	buffer_load_dword v12, off, s[0:3], 0 offset:136
	buffer_load_dword v13, off, s[0:3], 0 offset:132
	buffer_load_dword v14, off, s[0:3], 0 offset:160
	buffer_load_dword v15, off, s[0:3], 0 offset:156
	buffer_load_dword v16, off, s[0:3], 0 offset:152
	buffer_load_dword v17, off, s[0:3], 0 offset:148
	buffer_load_dword v20, off, s[0:3], 0 offset:164
	v_cmp_lt_u32_e32 vcc, 63, v10
	s_waitcnt vmcnt(8)
	buffer_store_dword v8, off, s[0:3], 0 offset:12
	s_waitcnt vmcnt(8)
	buffer_store_dword v9, off, s[0:3], 0 offset:8
	;; [unrolled: 2-line block ×3, first 2 shown]
	s_waitcnt vmcnt(8)
	buffer_store_dword v13, off, s[0:3], 0
	s_waitcnt vmcnt(8)
	buffer_store_dword v14, off, s[0:3], 0 offset:28
	s_waitcnt vmcnt(8)
	buffer_store_dword v15, off, s[0:3], 0 offset:24
	;; [unrolled: 2-line block ×5, first 2 shown]
	s_and_saveexec_b64 s[4:5], vcc
	s_cbranch_execz .LBB2169_416
; %bb.407:
	v_not_b32_e32 v8, 35
	v_mad_u32_u24 v21, v21, 36, v8
	ds_read_u8 v20, v21 offset:32
                                        ; implicit-def: $vgpr8_vgpr9
                                        ; implicit-def: $vgpr12_vgpr13
                                        ; implicit-def: $vgpr14_vgpr15
                                        ; implicit-def: $vgpr16_vgpr17
	s_waitcnt lgkmcnt(0)
	v_cmp_ne_u16_e32 vcc, 0, v20
	s_and_saveexec_b64 s[12:13], vcc
	s_xor_b64 s[12:13], exec, s[12:13]
	s_cbranch_execz .LBB2169_409
; %bb.408:
	ds_read2_b32 v[16:17], v21 offset1:1
	ds_read2_b32 v[14:15], v21 offset0:2 offset1:3
	ds_read2_b32 v[12:13], v21 offset0:4 offset1:5
	ds_read2_b32 v[8:9], v21 offset0:6 offset1:7
                                        ; implicit-def: $vgpr21
.LBB2169_409:
	s_andn2_saveexec_b64 s[12:13], s[12:13]
	s_cbranch_execz .LBB2169_415
; %bb.410:
	s_mov_b32 s14, 0
	s_waitcnt lgkmcnt(0)
	v_mov_b32_e32 v8, 0x60
	v_mov_b32_e32 v9, 0
.LBB2169_411:                           ; =>This Inner Loop Header: Depth=1
	v_add_u32_e32 v12, s14, v8
	s_add_i32 s14, s14, 8
	s_cmp_lg_u32 s14, 32
	buffer_store_dword v9, v12, s[0:3], 0 offen offset:4
	buffer_store_dword v9, v12, s[0:3], 0 offen
	s_cbranch_scc1 .LBB2169_411
; %bb.412:
	s_mov_b32 s14, 0
	v_mov_b32_e32 v8, 0x84
	v_mov_b32_e32 v9, 0x60
.LBB2169_413:                           ; =>This Inner Loop Header: Depth=1
	v_add_u32_e32 v12, s14, v8
	buffer_load_dword v14, v12, s[0:3], 0 offen
	buffer_load_dword v15, v12, s[0:3], 0 offen offset:4
	v_add_u32_e32 v12, s14, v21
	ds_read2_b32 v[12:13], v12 offset1:1
	v_add_u32_e32 v16, s14, v9
	s_add_i32 s14, s14, 8
	s_cmp_lg_u32 s14, 32
	s_waitcnt vmcnt(1) lgkmcnt(0)
	v_add_u32_e32 v12, v12, v14
	s_waitcnt vmcnt(0)
	v_add_u32_e32 v13, v13, v15
	buffer_store_dword v13, v16, s[0:3], 0 offen offset:4
	buffer_store_dword v12, v16, s[0:3], 0 offen
	s_cbranch_scc1 .LBB2169_413
; %bb.414:
	buffer_load_dword v16, off, s[0:3], 0 offset:96
	buffer_load_dword v17, off, s[0:3], 0 offset:100
	;; [unrolled: 1-line block ×8, first 2 shown]
.LBB2169_415:
	s_or_b64 exec, exec, s[12:13]
	buffer_load_ubyte v21, off, s[0:3], 0 offset:164
	s_waitcnt vmcnt(7) lgkmcnt(3)
	buffer_store_dword v17, off, s[0:3], 0 offset:4
	buffer_store_dword v16, off, s[0:3], 0
	s_waitcnt vmcnt(7) lgkmcnt(2)
	buffer_store_dword v15, off, s[0:3], 0 offset:12
	buffer_store_dword v14, off, s[0:3], 0 offset:8
	s_waitcnt vmcnt(7) lgkmcnt(1)
	buffer_store_dword v13, off, s[0:3], 0 offset:20
	buffer_store_dword v12, off, s[0:3], 0 offset:16
	s_waitcnt vmcnt(7) lgkmcnt(0)
	buffer_store_dword v9, off, s[0:3], 0 offset:28
	s_waitcnt vmcnt(7)
	v_or_b32_e32 v9, v20, v21
	v_and_b32_e32 v9, 1, v9
	buffer_store_dword v8, off, s[0:3], 0 offset:24
	buffer_store_byte v9, off, s[0:3], 0 offset:32
.LBB2169_416:
	s_or_b64 exec, exec, s[4:5]
	buffer_load_ubyte v16, off, s[0:3], 0 offset:200
                                        ; implicit-def: $vgpr8_vgpr9
                                        ; implicit-def: $vgpr12_vgpr13
                                        ; implicit-def: $vgpr14_vgpr15
                                        ; implicit-def: $vgpr20
                                        ; implicit-def: $vgpr17
	s_waitcnt vmcnt(0)
	v_cmp_ne_u16_e32 vcc, 0, v16
	s_and_saveexec_b64 s[4:5], vcc
	s_xor_b64 s[4:5], exec, s[4:5]
	s_cbranch_execz .LBB2169_418
; %bb.417:
	buffer_load_dword v17, off, s[0:3], 0 offset:168
	buffer_load_dword v8, off, s[0:3], 0 offset:172
	;; [unrolled: 1-line block ×8, first 2 shown]
.LBB2169_418:
	s_andn2_saveexec_b64 s[4:5], s[4:5]
	s_cbranch_execz .LBB2169_424
; %bb.419:
	s_mov_b32 s12, 0
	s_waitcnt vmcnt(6)
	v_mov_b32_e32 v8, 0x60
	s_waitcnt vmcnt(5)
	v_mov_b32_e32 v9, 0
	s_waitcnt vmcnt(0)
.LBB2169_420:                           ; =>This Inner Loop Header: Depth=1
	v_add_u32_e32 v12, s12, v8
	s_add_i32 s12, s12, 8
	s_cmp_lg_u32 s12, 32
	buffer_store_dword v9, v12, s[0:3], 0 offen offset:4
	buffer_store_dword v9, v12, s[0:3], 0 offen
	s_cbranch_scc1 .LBB2169_420
; %bb.421:
	s_mov_b32 s12, 0
	v_mov_b32_e32 v8, 0
	v_mov_b32_e32 v9, 0xa8
	;; [unrolled: 1-line block ×3, first 2 shown]
.LBB2169_422:                           ; =>This Inner Loop Header: Depth=1
	v_add_u32_e32 v13, s12, v8
	v_add_u32_e32 v14, s12, v9
	buffer_load_dword v15, v13, s[0:3], 0 offen offset:4
	buffer_load_dword v17, v14, s[0:3], 0 offen
	buffer_load_dword v20, v13, s[0:3], 0 offen
	buffer_load_dword v21, v14, s[0:3], 0 offen offset:4
	v_add_u32_e32 v13, s12, v12
	s_add_i32 s12, s12, 8
	s_cmp_lg_u32 s12, 32
	s_waitcnt vmcnt(1)
	v_add_u32_e32 v14, v17, v20
	s_waitcnt vmcnt(0)
	v_add_u32_e32 v15, v21, v15
	buffer_store_dword v15, v13, s[0:3], 0 offen offset:4
	buffer_store_dword v14, v13, s[0:3], 0 offen
	s_cbranch_scc1 .LBB2169_422
; %bb.423:
	buffer_load_dword v17, off, s[0:3], 0 offset:96
	buffer_load_dword v8, off, s[0:3], 0 offset:100
	;; [unrolled: 1-line block ×8, first 2 shown]
.LBB2169_424:
	s_or_b64 exec, exec, s[4:5]
	buffer_load_ubyte v21, off, s[0:3], 0 offset:32
	v_add_u32_e32 v22, -1, v11
	v_and_b32_e32 v23, 64, v11
	v_cmp_lt_i32_e32 vcc, v22, v23
	v_cndmask_b32_e32 v22, v22, v11, vcc
	v_lshlrev_b32_e32 v22, 2, v22
	s_waitcnt vmcnt(8)
	ds_bpermute_b32 v17, v22, v17
	s_waitcnt vmcnt(7)
	ds_bpermute_b32 v8, v22, v8
	;; [unrolled: 2-line block ×8, first 2 shown]
	v_cmp_eq_u32_e32 vcc, 0, v11
	s_waitcnt vmcnt(0)
	v_or_b32_e32 v16, v16, v21
	v_and_b32_e32 v16, 1, v16
	buffer_store_byte v16, off, s[0:3], 0 offset:200
	buffer_load_dword v16, off, s[0:3], 0 offset:200
	s_waitcnt lgkmcnt(7)
	buffer_store_dword v17, off, s[0:3], 0 offset:168
	s_waitcnt lgkmcnt(6)
	buffer_store_dword v8, off, s[0:3], 0 offset:172
	;; [unrolled: 2-line block ×8, first 2 shown]
	s_waitcnt vmcnt(8)
	ds_bpermute_b32 v9, v22, v16
	s_and_saveexec_b64 s[4:5], vcc
	s_cbranch_execz .LBB2169_426
; %bb.425:
	buffer_load_dword v8, off, s[0:3], 0 offset:12
	s_waitcnt lgkmcnt(0)
	buffer_load_dword v9, off, s[0:3], 0 offset:8
	buffer_load_dword v11, off, s[0:3], 0 offset:4
	buffer_load_dword v12, off, s[0:3], 0
	buffer_load_dword v13, off, s[0:3], 0 offset:28
	buffer_load_dword v14, off, s[0:3], 0 offset:24
	;; [unrolled: 1-line block ×4, first 2 shown]
	s_waitcnt vmcnt(7)
	buffer_store_dword v8, off, s[0:3], 0 offset:180
	s_waitcnt vmcnt(7)
	buffer_store_dword v9, off, s[0:3], 0 offset:176
	;; [unrolled: 2-line block ×8, first 2 shown]
	v_mov_b32_e32 v9, v21
.LBB2169_426:
	s_or_b64 exec, exec, s[4:5]
	buffer_load_dword v11, off, s[0:3], 0 offset:332
	buffer_load_dword v12, off, s[0:3], 0 offset:328
	;; [unrolled: 1-line block ×9, first 2 shown]
	v_mov_b32_e32 v8, 0
	buffer_store_dword v5, off, s[0:3], 0 offset:100
	buffer_store_dword v4, off, s[0:3], 0 offset:96
	buffer_store_dword v7, off, s[0:3], 0 offset:108
	buffer_store_dword v6, off, s[0:3], 0 offset:104
	buffer_store_dword v1, off, s[0:3], 0 offset:116
	buffer_store_dword v0, off, s[0:3], 0 offset:112
	buffer_store_dword v3, off, s[0:3], 0 offset:124
	buffer_store_dword v2, off, s[0:3], 0 offset:120
	s_waitcnt vmcnt(16)
	buffer_store_dword v11, off, s[0:3], 0 offset:12
	s_waitcnt vmcnt(16)
	buffer_store_dword v12, off, s[0:3], 0 offset:8
	;; [unrolled: 2-line block ×3, first 2 shown]
	s_waitcnt vmcnt(16)
	buffer_store_dword v14, off, s[0:3], 0
	s_waitcnt vmcnt(16)
	buffer_store_dword v15, off, s[0:3], 0 offset:28
	s_waitcnt vmcnt(16)
	buffer_store_dword v16, off, s[0:3], 0 offset:24
	;; [unrolled: 2-line block ×5, first 2 shown]
	buffer_store_byte v8, off, s[0:3], 0 offset:128
	s_and_saveexec_b64 s[4:5], s[8:9]
	s_cbranch_execz .LBB2169_428
; %bb.427:
	buffer_load_dword v0, off, s[0:3], 0 offset:180
	buffer_load_dword v1, off, s[0:3], 0 offset:176
	;; [unrolled: 1-line block ×8, first 2 shown]
	s_waitcnt lgkmcnt(0)
	v_mov_b32_e32 v8, v9
	s_waitcnt vmcnt(7)
	buffer_store_dword v0, off, s[0:3], 0 offset:108
	s_waitcnt vmcnt(7)
	buffer_store_dword v1, off, s[0:3], 0 offset:104
	;; [unrolled: 2-line block ×8, first 2 shown]
.LBB2169_428:
	s_or_b64 exec, exec, s[4:5]
	buffer_load_dword v0, off, s[0:3], 0 offset:108
	buffer_load_dword v1, off, s[0:3], 0 offset:104
	buffer_load_dword v2, off, s[0:3], 0 offset:100
	buffer_load_dword v3, off, s[0:3], 0 offset:96
	buffer_load_dword v4, off, s[0:3], 0 offset:124
	buffer_load_dword v5, off, s[0:3], 0 offset:120
	buffer_load_dword v6, off, s[0:3], 0 offset:116
	buffer_load_dword v7, off, s[0:3], 0 offset:112
	s_waitcnt lgkmcnt(0)
	buffer_load_ubyte v9, off, s[0:3], 0 offset:32
	s_nop 0
	buffer_store_byte v8, off, s[0:3], 0 offset:352
	s_waitcnt vmcnt(9)
	buffer_store_dword v0, off, s[0:3], 0 offset:332
	s_waitcnt vmcnt(9)
	buffer_store_dword v1, off, s[0:3], 0 offset:328
	;; [unrolled: 2-line block ×8, first 2 shown]
	s_waitcnt vmcnt(9)
	v_cmp_ne_u16_e32 vcc, 0, v9
                                        ; implicit-def: $vgpr6_vgpr7
                                        ; implicit-def: $vgpr4_vgpr5
                                        ; implicit-def: $vgpr2_vgpr3
                                        ; implicit-def: $vgpr0_vgpr1
	s_and_saveexec_b64 s[4:5], vcc
	s_xor_b64 s[4:5], exec, s[4:5]
	s_cbranch_execz .LBB2169_430
; %bb.429:
	buffer_load_dword v0, off, s[0:3], 0
	buffer_load_dword v1, off, s[0:3], 0 offset:4
	buffer_load_dword v2, off, s[0:3], 0 offset:8
	;; [unrolled: 1-line block ×7, first 2 shown]
.LBB2169_430:
	s_andn2_saveexec_b64 s[4:5], s[4:5]
	s_cbranch_execz .LBB2169_436
; %bb.431:
	s_mov_b32 s8, 0
	s_waitcnt vmcnt(7)
	v_mov_b32_e32 v0, 0x84
	s_waitcnt vmcnt(6)
	v_mov_b32_e32 v1, 0
	s_waitcnt vmcnt(0)
.LBB2169_432:                           ; =>This Inner Loop Header: Depth=1
	v_add_u32_e32 v2, s8, v0
	s_add_i32 s8, s8, 8
	s_cmp_lg_u32 s8, 32
	buffer_store_dword v1, v2, s[0:3], 0 offen offset:4
	buffer_store_dword v1, v2, s[0:3], 0 offen
	s_cbranch_scc1 .LBB2169_432
; %bb.433:
	s_mov_b32 s8, 0
	v_mov_b32_e32 v0, 0x60
	v_mov_b32_e32 v1, 0
	;; [unrolled: 1-line block ×3, first 2 shown]
.LBB2169_434:                           ; =>This Inner Loop Header: Depth=1
	v_add_u32_e32 v3, s8, v0
	v_add_u32_e32 v4, s8, v1
	buffer_load_dword v5, v3, s[0:3], 0 offen offset:4
	buffer_load_dword v6, v4, s[0:3], 0 offen
	buffer_load_dword v7, v3, s[0:3], 0 offen
	buffer_load_dword v11, v4, s[0:3], 0 offen offset:4
	v_add_u32_e32 v3, s8, v2
	s_add_i32 s8, s8, 8
	s_cmp_lg_u32 s8, 32
	s_waitcnt vmcnt(1)
	v_add_u32_e32 v4, v6, v7
	s_waitcnt vmcnt(0)
	v_add_u32_e32 v5, v11, v5
	buffer_store_dword v5, v3, s[0:3], 0 offen offset:4
	buffer_store_dword v4, v3, s[0:3], 0 offen
	s_cbranch_scc1 .LBB2169_434
; %bb.435:
	buffer_load_dword v0, off, s[0:3], 0 offset:132
	buffer_load_dword v1, off, s[0:3], 0 offset:136
	;; [unrolled: 1-line block ×8, first 2 shown]
.LBB2169_436:
	s_or_b64 exec, exec, s[4:5]
	buffer_load_dword v12, v18, s[0:3], 0 offen offset:12
	buffer_load_dword v13, v18, s[0:3], 0 offen offset:8
	;; [unrolled: 1-line block ×3, first 2 shown]
	buffer_load_dword v15, v18, s[0:3], 0 offen
	buffer_load_dword v16, v18, s[0:3], 0 offen offset:28
	buffer_load_dword v17, v18, s[0:3], 0 offen offset:24
	;; [unrolled: 1-line block ×4, first 2 shown]
	buffer_load_ubyte v11, off, s[0:3], 0 offset:388
	v_or_b32_e32 v8, v9, v8
	s_waitcnt vmcnt(15)
	buffer_store_dword v1, off, s[0:3], 0 offset:100
	buffer_store_dword v0, off, s[0:3], 0 offset:96
	s_waitcnt vmcnt(15)
	buffer_store_dword v3, off, s[0:3], 0 offset:108
	buffer_store_dword v2, off, s[0:3], 0 offset:104
	;; [unrolled: 3-line block ×4, first 2 shown]
	buffer_store_dword v0, v18, s[0:3], 0 offen
	buffer_store_dword v1, v18, s[0:3], 0 offen offset:4
	buffer_store_dword v2, v18, s[0:3], 0 offen offset:8
	;; [unrolled: 1-line block ×7, first 2 shown]
	v_and_b32_e32 v0, 1, v8
	v_cmp_eq_u32_e32 vcc, 1, v0
                                        ; implicit-def: $vgpr2_vgpr3
                                        ; implicit-def: $vgpr6_vgpr7
                                        ; implicit-def: $vgpr4_vgpr5
	buffer_store_byte v0, off, s[0:3], 0 offset:388
	s_waitcnt vmcnt(25)
	buffer_store_dword v12, off, s[0:3], 0 offset:12
	s_waitcnt vmcnt(25)
	buffer_store_dword v13, off, s[0:3], 0 offset:8
	;; [unrolled: 2-line block ×3, first 2 shown]
	s_waitcnt vmcnt(25)
	buffer_store_dword v15, off, s[0:3], 0
	s_waitcnt vmcnt(25)
	buffer_store_dword v16, off, s[0:3], 0 offset:28
	s_waitcnt vmcnt(25)
	buffer_store_dword v17, off, s[0:3], 0 offset:24
	;; [unrolled: 2-line block ×4, first 2 shown]
	s_waitcnt vmcnt(25)
	v_cmp_ne_u16_e64 s[4:5], 0, v11
                                        ; implicit-def: $vgpr0_vgpr1
	s_and_saveexec_b64 s[8:9], s[4:5]
	s_xor_b64 s[4:5], exec, s[8:9]
	s_cbranch_execz .LBB2169_438
; %bb.437:
	buffer_load_dword v4, off, s[0:3], 0
	buffer_load_dword v5, off, s[0:3], 0 offset:4
	buffer_load_dword v6, off, s[0:3], 0 offset:8
	;; [unrolled: 1-line block ×7, first 2 shown]
.LBB2169_438:
	s_andn2_saveexec_b64 s[4:5], s[4:5]
	s_cbranch_execz .LBB2169_444
; %bb.439:
	s_mov_b32 s8, 0
	s_waitcnt vmcnt(3)
	v_mov_b32_e32 v0, 0x84
	s_waitcnt vmcnt(2)
	v_mov_b32_e32 v1, 0
	s_waitcnt vmcnt(0)
.LBB2169_440:                           ; =>This Inner Loop Header: Depth=1
	v_add_u32_e32 v2, s8, v0
	s_add_i32 s8, s8, 8
	s_cmp_lg_u32 s8, 32
	buffer_store_dword v1, v2, s[0:3], 0 offen offset:4
	buffer_store_dword v1, v2, s[0:3], 0 offen
	s_cbranch_scc1 .LBB2169_440
; %bb.441:
	s_mov_b32 s8, 0
	v_mov_b32_e32 v0, 0x60
	v_mov_b32_e32 v1, 0
	;; [unrolled: 1-line block ×3, first 2 shown]
.LBB2169_442:                           ; =>This Inner Loop Header: Depth=1
	v_add_u32_e32 v3, s8, v0
	v_add_u32_e32 v4, s8, v1
	buffer_load_dword v5, v3, s[0:3], 0 offen offset:4
	buffer_load_dword v6, v4, s[0:3], 0 offen
	buffer_load_dword v7, v3, s[0:3], 0 offen
	buffer_load_dword v8, v4, s[0:3], 0 offen offset:4
	v_add_u32_e32 v3, s8, v2
	s_add_i32 s8, s8, 8
	s_cmp_lg_u32 s8, 32
	s_waitcnt vmcnt(1)
	v_add_u32_e32 v4, v6, v7
	s_waitcnt vmcnt(0)
	v_add_u32_e32 v5, v8, v5
	buffer_store_dword v5, v3, s[0:3], 0 offen offset:4
	buffer_store_dword v4, v3, s[0:3], 0 offen
	s_cbranch_scc1 .LBB2169_442
; %bb.443:
	buffer_load_dword v4, off, s[0:3], 0 offset:132
	buffer_load_dword v5, off, s[0:3], 0 offset:136
	;; [unrolled: 1-line block ×8, first 2 shown]
.LBB2169_444:
	s_or_b64 exec, exec, s[4:5]
	v_and_b32_e32 v8, 1, v11
	s_waitcnt vmcnt(4)
	buffer_store_dword v7, v19, s[0:3], 0 offen offset:12
	buffer_store_dword v6, v19, s[0:3], 0 offen offset:8
	;; [unrolled: 1-line block ×3, first 2 shown]
	buffer_store_dword v4, v19, s[0:3], 0 offen
	s_waitcnt vmcnt(4)
	buffer_store_dword v3, v19, s[0:3], 0 offen offset:28
	v_mov_b32_e32 v3, 0
	v_cmp_eq_u32_e64 s[4:5], 1, v8
	ds_read2_b32 v[4:5], v3 offset0:27 offset1:28
	ds_read2_b32 v[6:7], v3 offset0:29 offset1:30
	;; [unrolled: 1-line block ×4, first 2 shown]
	s_or_b64 s[4:5], s[4:5], vcc
	v_cndmask_b32_e64 v11, 0, 1, s[4:5]
	buffer_store_dword v2, v19, s[0:3], 0 offen offset:24
	buffer_store_dword v1, v19, s[0:3], 0 offen offset:20
	;; [unrolled: 1-line block ×3, first 2 shown]
	buffer_store_byte v11, off, s[0:3], 0 offset:424
	s_waitcnt lgkmcnt(0)
	buffer_store_dword v13, off, s[0:3], 0 offset:268
	buffer_store_dword v12, off, s[0:3], 0 offset:264
	;; [unrolled: 1-line block ×4, first 2 shown]
	ds_read_u8 v8, v3 offset:140
	buffer_store_dword v7, off, s[0:3], 0 offset:252
	buffer_store_dword v6, off, s[0:3], 0 offset:248
	;; [unrolled: 1-line block ×4, first 2 shown]
	s_waitcnt lgkmcnt(0)
	v_cmp_ne_u16_e32 vcc, 0, v8
	s_cbranch_vccz .LBB2169_448
; %bb.445:
	buffer_load_dword v4, off, s[0:3], 0 offset:240
	buffer_load_dword v5, off, s[0:3], 0 offset:244
	;; [unrolled: 1-line block ×8, first 2 shown]
	s_cbranch_execz .LBB2169_449
	s_branch .LBB2169_454
.LBB2169_446:
	v_lshlrev_b64 v[12:13], 5, v[10:11]
	v_mov_b32_e32 v11, s55
	v_add_co_u32_e64 v16, s[14:15], s54, v12
	v_addc_co_u32_e64 v17, s[14:15], v11, v13, s[14:15]
	flat_load_dwordx4 v[12:15], v[16:17]
	flat_load_dwordx4 v[20:23], v[16:17] offset:16
                                        ; kill: killed $vgpr16 killed $vgpr17
	s_waitcnt vmcnt(0) lgkmcnt(0)
	buffer_store_dword v13, off, s[0:3], 0 offset:4
	buffer_store_dword v12, off, s[0:3], 0
	buffer_store_dword v15, off, s[0:3], 0 offset:12
	buffer_store_dword v14, off, s[0:3], 0 offset:8
	;; [unrolled: 1-line block ×6, first 2 shown]
	s_or_b64 exec, exec, s[16:17]
	s_and_saveexec_b64 s[14:15], s[12:13]
	s_cbranch_execz .LBB2169_29
.LBB2169_447:
	v_lshlrev_b32_e32 v7, 5, v7
	v_mov_b32_e32 v11, s55
	v_add_co_u32_e64 v16, s[12:13], s54, v7
	v_addc_co_u32_e64 v17, s[12:13], 0, v11, s[12:13]
	flat_load_dwordx4 v[12:15], v[16:17]
	flat_load_dwordx4 v[20:23], v[16:17] offset:16
                                        ; kill: killed $vgpr16 killed $vgpr17
	s_waitcnt vmcnt(0) lgkmcnt(0)
	buffer_store_dword v13, off, s[0:3], 0 offset:36
	buffer_store_dword v12, off, s[0:3], 0 offset:32
	;; [unrolled: 1-line block ×8, first 2 shown]
	s_or_b64 exec, exec, s[14:15]
	v_mul_u32_u24_e32 v7, 3, v10
	s_and_saveexec_b64 s[12:13], vcc
	s_cbranch_execnz .LBB2169_30
	s_branch .LBB2169_31
.LBB2169_448:
                                        ; implicit-def: $vgpr2_vgpr3
                                        ; implicit-def: $vgpr6_vgpr7
.LBB2169_449:
	s_mov_b32 s4, 0
	s_waitcnt vmcnt(3)
	v_mov_b32_e32 v0, 0
	s_waitcnt vmcnt(2)
	v_mov_b32_e32 v1, 0
	s_waitcnt vmcnt(0)
.LBB2169_450:                           ; =>This Inner Loop Header: Depth=1
	v_add_u32_e32 v2, s4, v0
	s_add_i32 s4, s4, 8
	s_cmp_lg_u32 s4, 32
	buffer_store_dword v1, v2, s[0:3], 0 offen offset:4
	buffer_store_dword v1, v2, s[0:3], 0 offen
	s_cbranch_scc1 .LBB2169_450
; %bb.451:
	s_mov_b32 s4, 0
	v_mov_b32_e32 v0, 0xcc
	v_mov_b32_e32 v1, 0xf0
	;; [unrolled: 1-line block ×3, first 2 shown]
.LBB2169_452:                           ; =>This Inner Loop Header: Depth=1
	v_add_u32_e32 v3, s4, v0
	v_add_u32_e32 v4, s4, v1
	buffer_load_dword v5, v3, s[0:3], 0 offen offset:4
	buffer_load_dword v6, v4, s[0:3], 0 offen
	buffer_load_dword v7, v3, s[0:3], 0 offen
	buffer_load_dword v9, v4, s[0:3], 0 offen offset:4
	v_add_u32_e32 v3, s4, v2
	s_add_i32 s4, s4, 8
	s_cmp_lg_u32 s4, 32
	s_waitcnt vmcnt(1)
	v_add_u32_e32 v4, v6, v7
	s_waitcnt vmcnt(0)
	v_add_u32_e32 v5, v9, v5
	buffer_store_dword v5, v3, s[0:3], 0 offen offset:4
	buffer_store_dword v4, v3, s[0:3], 0 offen
	s_cbranch_scc1 .LBB2169_452
; %bb.453:
	buffer_load_dword v4, off, s[0:3], 0
	buffer_load_dword v5, off, s[0:3], 0 offset:4
	buffer_load_dword v6, off, s[0:3], 0 offset:8
	;; [unrolled: 1-line block ×7, first 2 shown]
.LBB2169_454:
	buffer_load_ubyte v9, off, s[0:3], 0 offset:236
	s_waitcnt vmcnt(7)
	buffer_store_dword v5, off, s[0:3], 0 offset:244
	buffer_store_dword v4, off, s[0:3], 0 offset:240
	s_waitcnt vmcnt(7)
	buffer_store_dword v7, off, s[0:3], 0 offset:252
	buffer_store_dword v6, off, s[0:3], 0 offset:248
	;; [unrolled: 3-line block ×3, first 2 shown]
	s_waitcnt vmcnt(7)
	buffer_store_dword v3, off, s[0:3], 0 offset:268
	s_waitcnt vmcnt(7)
	v_or_b32_e32 v8, v8, v9
	v_and_b32_e32 v8, 1, v8
	buffer_store_dword v2, off, s[0:3], 0 offset:264
	buffer_store_byte v8, off, s[0:3], 0 offset:272
	s_and_saveexec_b64 s[4:5], s[10:11]
	s_cbranch_execz .LBB2169_456
; %bb.455:
	v_mov_b32_e32 v9, 0
	global_store_dwordx4 v9, v[4:7], s[22:23] offset:2304
	global_store_dwordx4 v9, v[0:3], s[22:23] offset:2320
	global_store_byte v9, v8, s[22:23] offset:2336
	v_mov_b32_e32 v0, 2
	s_waitcnt vmcnt(0)
	buffer_wbinvl1_vol
	global_store_byte v9, v0, s[24:25] offset:64
.LBB2169_456:
	s_or_b64 exec, exec, s[4:5]
.LBB2169_457:
	s_mov_b32 s4, 0
	v_mov_b32_e32 v0, 0
	v_mov_b32_e32 v1, 0
.LBB2169_458:                           ; =>This Inner Loop Header: Depth=1
	v_add_u32_e32 v2, s4, v0
	s_add_i32 s4, s4, 8
	s_cmp_lg_u32 s4, 32
	buffer_store_dword v1, v2, s[0:3], 0 offen offset:4
	buffer_store_dword v1, v2, s[0:3], 0 offen
	s_cbranch_scc1 .LBB2169_458
; %bb.459:
	s_mov_b32 s4, 32
	v_mov_b32_e32 v0, 0
	v_mov_b32_e32 v1, 0
.LBB2169_460:                           ; =>This Inner Loop Header: Depth=1
	v_add_u32_e32 v2, s4, v0
	s_add_i32 s4, s4, 8
	s_cmp_lg_u32 s4, 64
	buffer_store_dword v1, v2, s[0:3], 0 offen offset:4
	buffer_store_dword v1, v2, s[0:3], 0 offen
	s_cbranch_scc1 .LBB2169_460
; %bb.461:
	s_mov_b32 s4, 64
	v_mov_b32_e32 v0, 0
	v_mov_b32_e32 v1, 0
.LBB2169_462:                           ; =>This Inner Loop Header: Depth=1
	v_add_u32_e32 v2, s4, v0
	s_add_i32 s4, s4, 8
	s_cmpk_lg_i32 s4, 0x60
	buffer_store_dword v1, v2, s[0:3], 0 offen offset:4
	buffer_store_dword v1, v2, s[0:3], 0 offen
	s_cbranch_scc1 .LBB2169_462
; %bb.463:
	s_add_u32 s4, s18, s34
	s_addc_u32 s5, s19, s35
	v_mov_b32_e32 v0, 0
	s_add_u32 s8, s4, s44
	v_add_u32_e32 v2, 64, v0
	v_add_u32_e32 v3, 32, v0
	s_addc_u32 s9, s5, s45
	s_and_b64 vcc, exec, s[6:7]
	s_cbranch_vccz .LBB2169_473
; %bb.464:
	s_add_i32 s27, s27, s26
	v_mul_u32_u24_e32 v0, 3, v10
	v_cmp_gt_u32_e32 vcc, s27, v0
	s_and_saveexec_b64 s[4:5], vcc
	s_cbranch_execz .LBB2169_468
; %bb.465:
	buffer_load_dword v1, off, s[0:3], 0 offset:332
	buffer_load_dword v4, off, s[0:3], 0 offset:328
	;; [unrolled: 1-line block ×8, first 2 shown]
	v_add_u32_e32 v12, 1, v0
	v_cmp_gt_u32_e32 vcc, s27, v12
	s_waitcnt vmcnt(7)
	buffer_store_dword v1, off, s[0:3], 0 offset:12
	s_waitcnt vmcnt(7)
	buffer_store_dword v4, off, s[0:3], 0 offset:8
	;; [unrolled: 2-line block ×3, first 2 shown]
	s_waitcnt vmcnt(7)
	buffer_store_dword v6, off, s[0:3], 0
	s_waitcnt vmcnt(7)
	buffer_store_dword v7, off, s[0:3], 0 offset:28
	s_waitcnt vmcnt(7)
	buffer_store_dword v8, off, s[0:3], 0 offset:24
	;; [unrolled: 2-line block ×4, first 2 shown]
	s_and_b64 exec, exec, vcc
	s_cbranch_execz .LBB2169_468
; %bb.466:
	buffer_load_dword v1, v18, s[0:3], 0 offen offset:12
	buffer_load_dword v4, v18, s[0:3], 0 offen offset:8
	;; [unrolled: 1-line block ×3, first 2 shown]
	buffer_load_dword v6, v18, s[0:3], 0 offen
	buffer_load_dword v7, v18, s[0:3], 0 offen offset:28
	buffer_load_dword v8, v18, s[0:3], 0 offen offset:24
	;; [unrolled: 1-line block ×4, first 2 shown]
	v_add_u32_e32 v12, 2, v0
	v_cmp_gt_u32_e32 vcc, s27, v12
	s_waitcnt vmcnt(7)
	buffer_store_dword v1, v3, s[0:3], 0 offen offset:12
	s_waitcnt vmcnt(7)
	buffer_store_dword v4, v3, s[0:3], 0 offen offset:8
	;; [unrolled: 2-line block ×3, first 2 shown]
	s_waitcnt vmcnt(7)
	buffer_store_dword v6, v3, s[0:3], 0 offen
	s_waitcnt vmcnt(7)
	buffer_store_dword v7, v3, s[0:3], 0 offen offset:28
	s_waitcnt vmcnt(7)
	buffer_store_dword v8, v3, s[0:3], 0 offen offset:24
	;; [unrolled: 2-line block ×4, first 2 shown]
	s_and_b64 exec, exec, vcc
	s_cbranch_execz .LBB2169_468
; %bb.467:
	buffer_load_dword v1, v19, s[0:3], 0 offen offset:12
	buffer_load_dword v4, v19, s[0:3], 0 offen offset:8
	;; [unrolled: 1-line block ×3, first 2 shown]
	buffer_load_dword v6, v19, s[0:3], 0 offen
	buffer_load_dword v7, v19, s[0:3], 0 offen offset:28
	buffer_load_dword v8, v19, s[0:3], 0 offen offset:24
	;; [unrolled: 1-line block ×4, first 2 shown]
	s_waitcnt vmcnt(7)
	buffer_store_dword v1, v2, s[0:3], 0 offen offset:12
	s_waitcnt vmcnt(7)
	buffer_store_dword v4, v2, s[0:3], 0 offen offset:8
	s_waitcnt vmcnt(7)
	buffer_store_dword v5, v2, s[0:3], 0 offen offset:4
	s_waitcnt vmcnt(7)
	buffer_store_dword v6, v2, s[0:3], 0 offen
	s_waitcnt vmcnt(7)
	buffer_store_dword v7, v2, s[0:3], 0 offen offset:28
	s_waitcnt vmcnt(7)
	buffer_store_dword v8, v2, s[0:3], 0 offen offset:24
	;; [unrolled: 2-line block ×4, first 2 shown]
.LBB2169_468:
	s_or_b64 exec, exec, s[4:5]
	s_barrier
	buffer_load_dword v6, off, s[0:3], 0
	buffer_load_dword v7, off, s[0:3], 0 offset:4
	buffer_load_dword v8, off, s[0:3], 0 offset:8
	;; [unrolled: 1-line block ×7, first 2 shown]
	buffer_load_dword v20, v3, s[0:3], 0 offen
	buffer_load_dword v21, v3, s[0:3], 0 offen offset:4
	buffer_load_dword v22, v3, s[0:3], 0 offen offset:8
	;; [unrolled: 1-line block ×7, first 2 shown]
	buffer_load_dword v28, v2, s[0:3], 0 offen
	buffer_load_dword v29, v2, s[0:3], 0 offen offset:4
	buffer_load_dword v30, v2, s[0:3], 0 offen offset:8
	;; [unrolled: 1-line block ×7, first 2 shown]
	v_lshlrev_b32_e32 v0, 5, v0
	v_lshlrev_b32_e32 v1, 6, v10
	v_sub_u32_e32 v4, v0, v1
	v_lshlrev_b32_e32 v5, 5, v10
	v_mov_b32_e32 v16, s9
	v_mov_b32_e32 v11, 0
	s_waitcnt vmcnt(20)
	ds_write_b128 v0, v[6:9]
	s_waitcnt vmcnt(16)
	ds_write_b128 v0, v[12:15] offset:16
	s_waitcnt vmcnt(12)
	ds_write_b128 v0, v[20:23] offset:32
	s_waitcnt vmcnt(8)
	ds_write_b128 v0, v[24:27] offset:48
	s_waitcnt vmcnt(4)
	ds_write_b128 v0, v[28:31] offset:64
	s_waitcnt vmcnt(0)
	ds_write_b128 v0, v[32:35] offset:80
	s_waitcnt lgkmcnt(0)
	s_barrier
	ds_read_b128 v[6:9], v4 offset:8192
	ds_read_b128 v[12:15], v4 offset:8208
	;; [unrolled: 1-line block ×4, first 2 shown]
	v_add_co_u32_e32 v0, vcc, s8, v5
	v_addc_co_u32_e32 v1, vcc, 0, v16, vcc
	v_cmp_gt_u32_e32 vcc, s27, v10
	s_waitcnt lgkmcnt(3)
	buffer_store_dword v9, v3, s[0:3], 0 offen offset:12
	buffer_store_dword v8, v3, s[0:3], 0 offen offset:8
	;; [unrolled: 1-line block ×3, first 2 shown]
	buffer_store_dword v6, v3, s[0:3], 0 offen
	s_waitcnt lgkmcnt(2)
	buffer_store_dword v15, v3, s[0:3], 0 offen offset:28
	buffer_store_dword v14, v3, s[0:3], 0 offen offset:24
	;; [unrolled: 1-line block ×4, first 2 shown]
	s_waitcnt lgkmcnt(1)
	buffer_store_dword v23, v2, s[0:3], 0 offen offset:12
	buffer_store_dword v22, v2, s[0:3], 0 offen offset:8
	;; [unrolled: 1-line block ×3, first 2 shown]
	buffer_store_dword v20, v2, s[0:3], 0 offen
	s_waitcnt lgkmcnt(0)
	buffer_store_dword v27, v2, s[0:3], 0 offen offset:28
	buffer_store_dword v26, v2, s[0:3], 0 offen offset:24
	;; [unrolled: 1-line block ×4, first 2 shown]
	s_and_saveexec_b64 s[4:5], vcc
	s_cbranch_execz .LBB2169_470
; %bb.469:
	ds_read2_b32 v[6:7], v4 offset0:4 offset1:5
	ds_read2_b32 v[8:9], v4 offset0:6 offset1:7
	;; [unrolled: 1-line block ×3, first 2 shown]
	ds_read2_b32 v[12:13], v4 offset1:1
	s_waitcnt lgkmcnt(0)
	flat_store_dwordx4 v[0:1], v[12:15]
	flat_store_dwordx4 v[0:1], v[6:9] offset:16
.LBB2169_470:
	s_or_b64 exec, exec, s[4:5]
	v_or_b32_e32 v4, 0x100, v10
	v_cmp_gt_u32_e32 vcc, s27, v4
	s_and_saveexec_b64 s[6:7], vcc
	s_cbranch_execz .LBB2169_472
; %bb.471:
	buffer_load_dword v4, v3, s[0:3], 0 offen offset:16
	buffer_load_dword v5, v3, s[0:3], 0 offen offset:20
	;; [unrolled: 1-line block ×4, first 2 shown]
	buffer_load_dword v12, v3, s[0:3], 0 offen
	buffer_load_dword v13, v3, s[0:3], 0 offen offset:4
	buffer_load_dword v14, v3, s[0:3], 0 offen offset:8
	;; [unrolled: 1-line block ×3, first 2 shown]
	v_add_co_u32_e32 v8, vcc, 0x2000, v0
	s_mov_b64 s[4:5], vcc
	v_addc_co_u32_e64 v9, s[4:5], 0, v1, s[4:5]
	s_waitcnt vmcnt(0)
	flat_store_dwordx4 v[8:9], v[4:7] offset:16
	v_addc_co_u32_e32 v9, vcc, 0, v1, vcc
	flat_store_dwordx4 v[8:9], v[12:15]
.LBB2169_472:
	s_or_b64 exec, exec, s[6:7]
	v_or_b32_e32 v0, 0x200, v10
	v_cmp_gt_u32_e64 s[6:7], s27, v0
	s_branch .LBB2169_475
.LBB2169_473:
	s_mov_b64 s[6:7], 0
	s_cbranch_execz .LBB2169_475
; %bb.474:
	buffer_load_dword v0, off, s[0:3], 0 offset:332
	buffer_load_dword v1, off, s[0:3], 0 offset:328
	;; [unrolled: 1-line block ×8, first 2 shown]
	buffer_load_dword v11, v18, s[0:3], 0 offen offset:12
	buffer_load_dword v12, v18, s[0:3], 0 offen offset:8
	;; [unrolled: 1-line block ×3, first 2 shown]
	buffer_load_dword v14, v18, s[0:3], 0 offen
	buffer_load_dword v15, v18, s[0:3], 0 offen offset:28
	buffer_load_dword v16, v18, s[0:3], 0 offen offset:24
	;; [unrolled: 1-line block ×7, first 2 shown]
	buffer_load_dword v24, v19, s[0:3], 0 offen
	buffer_load_dword v25, v19, s[0:3], 0 offen offset:28
	buffer_load_dword v26, v19, s[0:3], 0 offen offset:24
	;; [unrolled: 1-line block ×3, first 2 shown]
                                        ; kill: killed $vgpr18
	buffer_load_dword v18, v19, s[0:3], 0 offen offset:16
	v_mul_u32_u24_e32 v34, 0x60, v10
	s_or_b64 s[6:7], s[6:7], exec
	s_waitcnt vmcnt(0)
	buffer_store_dword v0, off, s[0:3], 0 offset:12
	buffer_store_dword v1, off, s[0:3], 0 offset:8
	;; [unrolled: 1-line block ×3, first 2 shown]
	buffer_store_dword v5, off, s[0:3], 0
	buffer_store_dword v6, off, s[0:3], 0 offset:28
	buffer_store_dword v7, off, s[0:3], 0 offset:24
	;; [unrolled: 1-line block ×4, first 2 shown]
	buffer_store_dword v11, v3, s[0:3], 0 offen offset:12
	buffer_store_dword v12, v3, s[0:3], 0 offen offset:8
	;; [unrolled: 1-line block ×3, first 2 shown]
	buffer_store_dword v14, v3, s[0:3], 0 offen
	buffer_store_dword v15, v3, s[0:3], 0 offen offset:28
	buffer_store_dword v16, v3, s[0:3], 0 offen offset:24
	;; [unrolled: 1-line block ×7, first 2 shown]
	buffer_store_dword v24, v2, s[0:3], 0 offen
	buffer_store_dword v25, v2, s[0:3], 0 offen offset:28
	buffer_store_dword v26, v2, s[0:3], 0 offen offset:24
	;; [unrolled: 1-line block ×4, first 2 shown]
	s_waitcnt lgkmcnt(0)
	s_barrier
	buffer_load_dword v4, off, s[0:3], 0
	buffer_load_dword v5, off, s[0:3], 0 offset:4
	buffer_load_dword v6, off, s[0:3], 0 offset:8
	;; [unrolled: 1-line block ×7, first 2 shown]
	buffer_load_dword v16, v3, s[0:3], 0 offen
	buffer_load_dword v17, v3, s[0:3], 0 offen offset:4
	buffer_load_dword v18, v3, s[0:3], 0 offen offset:8
	;; [unrolled: 1-line block ×7, first 2 shown]
	buffer_load_dword v24, v2, s[0:3], 0 offen
	buffer_load_dword v25, v2, s[0:3], 0 offen offset:4
	buffer_load_dword v26, v2, s[0:3], 0 offen offset:8
	;; [unrolled: 1-line block ×7, first 2 shown]
	v_lshlrev_b32_e32 v0, 6, v10
	v_sub_u32_e32 v35, v34, v0
	v_lshlrev_b32_e32 v1, 5, v10
	v_mov_b32_e32 v8, s9
	v_add_co_u32_e32 v0, vcc, s8, v1
	v_addc_co_u32_e32 v1, vcc, 0, v8, vcc
	v_mov_b32_e32 v11, 0
	v_add_co_u32_e32 v8, vcc, 0x2000, v0
	v_addc_co_u32_e64 v9, s[4:5], 0, v1, vcc
	v_addc_co_u32_e32 v33, vcc, 0, v1, vcc
	v_mov_b32_e32 v32, v8
	s_waitcnt vmcnt(20)
	ds_write_b128 v34, v[4:7]
	s_waitcnt vmcnt(16)
	ds_write_b128 v34, v[12:15] offset:16
	s_waitcnt vmcnt(12)
	ds_write_b128 v34, v[16:19] offset:32
	;; [unrolled: 2-line block ×5, first 2 shown]
	s_waitcnt lgkmcnt(0)
	s_barrier
	ds_read_b128 v[4:7], v35 offset:8192
	ds_read_b128 v[12:15], v35 offset:8208
	;; [unrolled: 1-line block ×4, first 2 shown]
	ds_read2_b32 v[24:25], v35 offset1:1
	ds_read2_b32 v[30:31], v35 offset0:6 offset1:7
	ds_read2_b32 v[28:29], v35 offset0:4 offset1:5
	;; [unrolled: 1-line block ×3, first 2 shown]
	s_waitcnt lgkmcnt(7)
	buffer_store_dword v7, v3, s[0:3], 0 offen offset:12
	buffer_store_dword v6, v3, s[0:3], 0 offen offset:8
	buffer_store_dword v5, v3, s[0:3], 0 offen offset:4
	buffer_store_dword v4, v3, s[0:3], 0 offen
	s_waitcnt lgkmcnt(6)
	buffer_store_dword v15, v3, s[0:3], 0 offen offset:28
	buffer_store_dword v14, v3, s[0:3], 0 offen offset:24
	;; [unrolled: 1-line block ×4, first 2 shown]
	s_waitcnt lgkmcnt(5)
	buffer_store_dword v19, v2, s[0:3], 0 offen offset:12
	buffer_store_dword v18, v2, s[0:3], 0 offen offset:8
	buffer_store_dword v17, v2, s[0:3], 0 offen offset:4
	buffer_store_dword v16, v2, s[0:3], 0 offen
	s_waitcnt lgkmcnt(4)
	buffer_store_dword v23, v2, s[0:3], 0 offen offset:28
	buffer_store_dword v22, v2, s[0:3], 0 offen offset:24
	buffer_store_dword v21, v2, s[0:3], 0 offen offset:20
	buffer_store_dword v20, v2, s[0:3], 0 offen offset:16
	s_waitcnt lgkmcnt(1)
	flat_store_dwordx4 v[0:1], v[28:31] offset:16
	s_waitcnt lgkmcnt(0)
	flat_store_dwordx4 v[0:1], v[24:27]
	flat_store_dwordx4 v[32:33], v[4:7]
	flat_store_dwordx4 v[8:9], v[12:15] offset:16
.LBB2169_475:
	s_and_saveexec_b64 s[4:5], s[6:7]
	s_cbranch_execnz .LBB2169_477
; %bb.476:
	s_endpgm
.LBB2169_477:
	buffer_load_dword v4, v2, s[0:3], 0 offen offset:16
	buffer_load_dword v5, v2, s[0:3], 0 offen offset:20
	buffer_load_dword v6, v2, s[0:3], 0 offen offset:24
	buffer_load_dword v7, v2, s[0:3], 0 offen offset:28
	buffer_load_dword v12, v2, s[0:3], 0 offen
	buffer_load_dword v13, v2, s[0:3], 0 offen offset:4
	buffer_load_dword v14, v2, s[0:3], 0 offen offset:8
	;; [unrolled: 1-line block ×3, first 2 shown]
	v_lshlrev_b64 v[0:1], 5, v[10:11]
	v_mov_b32_e32 v2, s9
	v_add_co_u32_e32 v0, vcc, s8, v0
	v_addc_co_u32_e32 v2, vcc, v2, v1, vcc
	v_add_co_u32_e32 v0, vcc, 0x4000, v0
	v_addc_co_u32_e64 v1, s[4:5], 0, v2, vcc
	s_waitcnt vmcnt(0)
	flat_store_dwordx4 v[0:1], v[4:7] offset:16
	v_addc_co_u32_e32 v1, vcc, 0, v2, vcc
	flat_store_dwordx4 v[0:1], v[12:15]
	s_endpgm
	.section	.rodata,"a",@progbits
	.p2align	6, 0x0
	.amdhsa_kernel _ZN7rocprim17ROCPRIM_400000_NS6detail17trampoline_kernelINS0_14default_configENS1_27scan_by_key_config_selectorIj11FixedVectorIiLj8EEEEZZNS1_16scan_by_key_implILNS1_25lookback_scan_determinismE0ELb1ES3_N6thrust23THRUST_200600_302600_NS6detail15normal_iteratorINSB_10device_ptrIjEEEENSD_INSE_IS6_EEEESI_S6_NSB_4plusIvEENSB_8equal_toIvEES6_EE10hipError_tPvRmT2_T3_T4_T5_mT6_T7_P12ihipStream_tbENKUlT_T0_E_clISt17integral_constantIbLb1EES13_EEDaSY_SZ_EUlSY_E_NS1_11comp_targetILNS1_3genE4ELNS1_11target_archE910ELNS1_3gpuE8ELNS1_3repE0EEENS1_30default_config_static_selectorELNS0_4arch9wavefront6targetE1EEEvT1_
		.amdhsa_group_segment_fixed_size 32768
		.amdhsa_private_segment_fixed_size 432
		.amdhsa_kernarg_size 160
		.amdhsa_user_sgpr_count 10
		.amdhsa_user_sgpr_private_segment_buffer 1
		.amdhsa_user_sgpr_dispatch_ptr 1
		.amdhsa_user_sgpr_queue_ptr 0
		.amdhsa_user_sgpr_kernarg_segment_ptr 1
		.amdhsa_user_sgpr_dispatch_id 0
		.amdhsa_user_sgpr_flat_scratch_init 1
		.amdhsa_user_sgpr_kernarg_preload_length 0
		.amdhsa_user_sgpr_kernarg_preload_offset 0
		.amdhsa_user_sgpr_private_segment_size 0
		.amdhsa_uses_dynamic_stack 0
		.amdhsa_system_sgpr_private_segment_wavefront_offset 1
		.amdhsa_system_sgpr_workgroup_id_x 1
		.amdhsa_system_sgpr_workgroup_id_y 0
		.amdhsa_system_sgpr_workgroup_id_z 0
		.amdhsa_system_sgpr_workgroup_info 0
		.amdhsa_system_vgpr_workitem_id 2
		.amdhsa_next_free_vgpr 45
		.amdhsa_next_free_sgpr 57
		.amdhsa_accum_offset 48
		.amdhsa_reserve_vcc 1
		.amdhsa_reserve_flat_scratch 1
		.amdhsa_float_round_mode_32 0
		.amdhsa_float_round_mode_16_64 0
		.amdhsa_float_denorm_mode_32 3
		.amdhsa_float_denorm_mode_16_64 3
		.amdhsa_dx10_clamp 1
		.amdhsa_ieee_mode 1
		.amdhsa_fp16_overflow 0
		.amdhsa_tg_split 0
		.amdhsa_exception_fp_ieee_invalid_op 0
		.amdhsa_exception_fp_denorm_src 0
		.amdhsa_exception_fp_ieee_div_zero 0
		.amdhsa_exception_fp_ieee_overflow 0
		.amdhsa_exception_fp_ieee_underflow 0
		.amdhsa_exception_fp_ieee_inexact 0
		.amdhsa_exception_int_div_zero 0
	.end_amdhsa_kernel
	.section	.text._ZN7rocprim17ROCPRIM_400000_NS6detail17trampoline_kernelINS0_14default_configENS1_27scan_by_key_config_selectorIj11FixedVectorIiLj8EEEEZZNS1_16scan_by_key_implILNS1_25lookback_scan_determinismE0ELb1ES3_N6thrust23THRUST_200600_302600_NS6detail15normal_iteratorINSB_10device_ptrIjEEEENSD_INSE_IS6_EEEESI_S6_NSB_4plusIvEENSB_8equal_toIvEES6_EE10hipError_tPvRmT2_T3_T4_T5_mT6_T7_P12ihipStream_tbENKUlT_T0_E_clISt17integral_constantIbLb1EES13_EEDaSY_SZ_EUlSY_E_NS1_11comp_targetILNS1_3genE4ELNS1_11target_archE910ELNS1_3gpuE8ELNS1_3repE0EEENS1_30default_config_static_selectorELNS0_4arch9wavefront6targetE1EEEvT1_,"axG",@progbits,_ZN7rocprim17ROCPRIM_400000_NS6detail17trampoline_kernelINS0_14default_configENS1_27scan_by_key_config_selectorIj11FixedVectorIiLj8EEEEZZNS1_16scan_by_key_implILNS1_25lookback_scan_determinismE0ELb1ES3_N6thrust23THRUST_200600_302600_NS6detail15normal_iteratorINSB_10device_ptrIjEEEENSD_INSE_IS6_EEEESI_S6_NSB_4plusIvEENSB_8equal_toIvEES6_EE10hipError_tPvRmT2_T3_T4_T5_mT6_T7_P12ihipStream_tbENKUlT_T0_E_clISt17integral_constantIbLb1EES13_EEDaSY_SZ_EUlSY_E_NS1_11comp_targetILNS1_3genE4ELNS1_11target_archE910ELNS1_3gpuE8ELNS1_3repE0EEENS1_30default_config_static_selectorELNS0_4arch9wavefront6targetE1EEEvT1_,comdat
.Lfunc_end2169:
	.size	_ZN7rocprim17ROCPRIM_400000_NS6detail17trampoline_kernelINS0_14default_configENS1_27scan_by_key_config_selectorIj11FixedVectorIiLj8EEEEZZNS1_16scan_by_key_implILNS1_25lookback_scan_determinismE0ELb1ES3_N6thrust23THRUST_200600_302600_NS6detail15normal_iteratorINSB_10device_ptrIjEEEENSD_INSE_IS6_EEEESI_S6_NSB_4plusIvEENSB_8equal_toIvEES6_EE10hipError_tPvRmT2_T3_T4_T5_mT6_T7_P12ihipStream_tbENKUlT_T0_E_clISt17integral_constantIbLb1EES13_EEDaSY_SZ_EUlSY_E_NS1_11comp_targetILNS1_3genE4ELNS1_11target_archE910ELNS1_3gpuE8ELNS1_3repE0EEENS1_30default_config_static_selectorELNS0_4arch9wavefront6targetE1EEEvT1_, .Lfunc_end2169-_ZN7rocprim17ROCPRIM_400000_NS6detail17trampoline_kernelINS0_14default_configENS1_27scan_by_key_config_selectorIj11FixedVectorIiLj8EEEEZZNS1_16scan_by_key_implILNS1_25lookback_scan_determinismE0ELb1ES3_N6thrust23THRUST_200600_302600_NS6detail15normal_iteratorINSB_10device_ptrIjEEEENSD_INSE_IS6_EEEESI_S6_NSB_4plusIvEENSB_8equal_toIvEES6_EE10hipError_tPvRmT2_T3_T4_T5_mT6_T7_P12ihipStream_tbENKUlT_T0_E_clISt17integral_constantIbLb1EES13_EEDaSY_SZ_EUlSY_E_NS1_11comp_targetILNS1_3genE4ELNS1_11target_archE910ELNS1_3gpuE8ELNS1_3repE0EEENS1_30default_config_static_selectorELNS0_4arch9wavefront6targetE1EEEvT1_
                                        ; -- End function
	.section	.AMDGPU.csdata,"",@progbits
; Kernel info:
; codeLenInByte = 34768
; NumSgprs: 63
; NumVgprs: 45
; NumAgprs: 0
; TotalNumVgprs: 45
; ScratchSize: 432
; MemoryBound: 1
; FloatMode: 240
; IeeeMode: 1
; LDSByteSize: 32768 bytes/workgroup (compile time only)
; SGPRBlocks: 7
; VGPRBlocks: 5
; NumSGPRsForWavesPerEU: 63
; NumVGPRsForWavesPerEU: 45
; AccumOffset: 48
; Occupancy: 2
; WaveLimiterHint : 1
; COMPUTE_PGM_RSRC2:SCRATCH_EN: 1
; COMPUTE_PGM_RSRC2:USER_SGPR: 10
; COMPUTE_PGM_RSRC2:TRAP_HANDLER: 0
; COMPUTE_PGM_RSRC2:TGID_X_EN: 1
; COMPUTE_PGM_RSRC2:TGID_Y_EN: 0
; COMPUTE_PGM_RSRC2:TGID_Z_EN: 0
; COMPUTE_PGM_RSRC2:TIDIG_COMP_CNT: 2
; COMPUTE_PGM_RSRC3_GFX90A:ACCUM_OFFSET: 11
; COMPUTE_PGM_RSRC3_GFX90A:TG_SPLIT: 0
	.section	.text._ZN7rocprim17ROCPRIM_400000_NS6detail17trampoline_kernelINS0_14default_configENS1_27scan_by_key_config_selectorIj11FixedVectorIiLj8EEEEZZNS1_16scan_by_key_implILNS1_25lookback_scan_determinismE0ELb1ES3_N6thrust23THRUST_200600_302600_NS6detail15normal_iteratorINSB_10device_ptrIjEEEENSD_INSE_IS6_EEEESI_S6_NSB_4plusIvEENSB_8equal_toIvEES6_EE10hipError_tPvRmT2_T3_T4_T5_mT6_T7_P12ihipStream_tbENKUlT_T0_E_clISt17integral_constantIbLb1EES13_EEDaSY_SZ_EUlSY_E_NS1_11comp_targetILNS1_3genE3ELNS1_11target_archE908ELNS1_3gpuE7ELNS1_3repE0EEENS1_30default_config_static_selectorELNS0_4arch9wavefront6targetE1EEEvT1_,"axG",@progbits,_ZN7rocprim17ROCPRIM_400000_NS6detail17trampoline_kernelINS0_14default_configENS1_27scan_by_key_config_selectorIj11FixedVectorIiLj8EEEEZZNS1_16scan_by_key_implILNS1_25lookback_scan_determinismE0ELb1ES3_N6thrust23THRUST_200600_302600_NS6detail15normal_iteratorINSB_10device_ptrIjEEEENSD_INSE_IS6_EEEESI_S6_NSB_4plusIvEENSB_8equal_toIvEES6_EE10hipError_tPvRmT2_T3_T4_T5_mT6_T7_P12ihipStream_tbENKUlT_T0_E_clISt17integral_constantIbLb1EES13_EEDaSY_SZ_EUlSY_E_NS1_11comp_targetILNS1_3genE3ELNS1_11target_archE908ELNS1_3gpuE7ELNS1_3repE0EEENS1_30default_config_static_selectorELNS0_4arch9wavefront6targetE1EEEvT1_,comdat
	.protected	_ZN7rocprim17ROCPRIM_400000_NS6detail17trampoline_kernelINS0_14default_configENS1_27scan_by_key_config_selectorIj11FixedVectorIiLj8EEEEZZNS1_16scan_by_key_implILNS1_25lookback_scan_determinismE0ELb1ES3_N6thrust23THRUST_200600_302600_NS6detail15normal_iteratorINSB_10device_ptrIjEEEENSD_INSE_IS6_EEEESI_S6_NSB_4plusIvEENSB_8equal_toIvEES6_EE10hipError_tPvRmT2_T3_T4_T5_mT6_T7_P12ihipStream_tbENKUlT_T0_E_clISt17integral_constantIbLb1EES13_EEDaSY_SZ_EUlSY_E_NS1_11comp_targetILNS1_3genE3ELNS1_11target_archE908ELNS1_3gpuE7ELNS1_3repE0EEENS1_30default_config_static_selectorELNS0_4arch9wavefront6targetE1EEEvT1_ ; -- Begin function _ZN7rocprim17ROCPRIM_400000_NS6detail17trampoline_kernelINS0_14default_configENS1_27scan_by_key_config_selectorIj11FixedVectorIiLj8EEEEZZNS1_16scan_by_key_implILNS1_25lookback_scan_determinismE0ELb1ES3_N6thrust23THRUST_200600_302600_NS6detail15normal_iteratorINSB_10device_ptrIjEEEENSD_INSE_IS6_EEEESI_S6_NSB_4plusIvEENSB_8equal_toIvEES6_EE10hipError_tPvRmT2_T3_T4_T5_mT6_T7_P12ihipStream_tbENKUlT_T0_E_clISt17integral_constantIbLb1EES13_EEDaSY_SZ_EUlSY_E_NS1_11comp_targetILNS1_3genE3ELNS1_11target_archE908ELNS1_3gpuE7ELNS1_3repE0EEENS1_30default_config_static_selectorELNS0_4arch9wavefront6targetE1EEEvT1_
	.globl	_ZN7rocprim17ROCPRIM_400000_NS6detail17trampoline_kernelINS0_14default_configENS1_27scan_by_key_config_selectorIj11FixedVectorIiLj8EEEEZZNS1_16scan_by_key_implILNS1_25lookback_scan_determinismE0ELb1ES3_N6thrust23THRUST_200600_302600_NS6detail15normal_iteratorINSB_10device_ptrIjEEEENSD_INSE_IS6_EEEESI_S6_NSB_4plusIvEENSB_8equal_toIvEES6_EE10hipError_tPvRmT2_T3_T4_T5_mT6_T7_P12ihipStream_tbENKUlT_T0_E_clISt17integral_constantIbLb1EES13_EEDaSY_SZ_EUlSY_E_NS1_11comp_targetILNS1_3genE3ELNS1_11target_archE908ELNS1_3gpuE7ELNS1_3repE0EEENS1_30default_config_static_selectorELNS0_4arch9wavefront6targetE1EEEvT1_
	.p2align	8
	.type	_ZN7rocprim17ROCPRIM_400000_NS6detail17trampoline_kernelINS0_14default_configENS1_27scan_by_key_config_selectorIj11FixedVectorIiLj8EEEEZZNS1_16scan_by_key_implILNS1_25lookback_scan_determinismE0ELb1ES3_N6thrust23THRUST_200600_302600_NS6detail15normal_iteratorINSB_10device_ptrIjEEEENSD_INSE_IS6_EEEESI_S6_NSB_4plusIvEENSB_8equal_toIvEES6_EE10hipError_tPvRmT2_T3_T4_T5_mT6_T7_P12ihipStream_tbENKUlT_T0_E_clISt17integral_constantIbLb1EES13_EEDaSY_SZ_EUlSY_E_NS1_11comp_targetILNS1_3genE3ELNS1_11target_archE908ELNS1_3gpuE7ELNS1_3repE0EEENS1_30default_config_static_selectorELNS0_4arch9wavefront6targetE1EEEvT1_,@function
_ZN7rocprim17ROCPRIM_400000_NS6detail17trampoline_kernelINS0_14default_configENS1_27scan_by_key_config_selectorIj11FixedVectorIiLj8EEEEZZNS1_16scan_by_key_implILNS1_25lookback_scan_determinismE0ELb1ES3_N6thrust23THRUST_200600_302600_NS6detail15normal_iteratorINSB_10device_ptrIjEEEENSD_INSE_IS6_EEEESI_S6_NSB_4plusIvEENSB_8equal_toIvEES6_EE10hipError_tPvRmT2_T3_T4_T5_mT6_T7_P12ihipStream_tbENKUlT_T0_E_clISt17integral_constantIbLb1EES13_EEDaSY_SZ_EUlSY_E_NS1_11comp_targetILNS1_3genE3ELNS1_11target_archE908ELNS1_3gpuE7ELNS1_3repE0EEENS1_30default_config_static_selectorELNS0_4arch9wavefront6targetE1EEEvT1_: ; @_ZN7rocprim17ROCPRIM_400000_NS6detail17trampoline_kernelINS0_14default_configENS1_27scan_by_key_config_selectorIj11FixedVectorIiLj8EEEEZZNS1_16scan_by_key_implILNS1_25lookback_scan_determinismE0ELb1ES3_N6thrust23THRUST_200600_302600_NS6detail15normal_iteratorINSB_10device_ptrIjEEEENSD_INSE_IS6_EEEESI_S6_NSB_4plusIvEENSB_8equal_toIvEES6_EE10hipError_tPvRmT2_T3_T4_T5_mT6_T7_P12ihipStream_tbENKUlT_T0_E_clISt17integral_constantIbLb1EES13_EEDaSY_SZ_EUlSY_E_NS1_11comp_targetILNS1_3genE3ELNS1_11target_archE908ELNS1_3gpuE7ELNS1_3repE0EEENS1_30default_config_static_selectorELNS0_4arch9wavefront6targetE1EEEvT1_
; %bb.0:
	.section	.rodata,"a",@progbits
	.p2align	6, 0x0
	.amdhsa_kernel _ZN7rocprim17ROCPRIM_400000_NS6detail17trampoline_kernelINS0_14default_configENS1_27scan_by_key_config_selectorIj11FixedVectorIiLj8EEEEZZNS1_16scan_by_key_implILNS1_25lookback_scan_determinismE0ELb1ES3_N6thrust23THRUST_200600_302600_NS6detail15normal_iteratorINSB_10device_ptrIjEEEENSD_INSE_IS6_EEEESI_S6_NSB_4plusIvEENSB_8equal_toIvEES6_EE10hipError_tPvRmT2_T3_T4_T5_mT6_T7_P12ihipStream_tbENKUlT_T0_E_clISt17integral_constantIbLb1EES13_EEDaSY_SZ_EUlSY_E_NS1_11comp_targetILNS1_3genE3ELNS1_11target_archE908ELNS1_3gpuE7ELNS1_3repE0EEENS1_30default_config_static_selectorELNS0_4arch9wavefront6targetE1EEEvT1_
		.amdhsa_group_segment_fixed_size 0
		.amdhsa_private_segment_fixed_size 0
		.amdhsa_kernarg_size 160
		.amdhsa_user_sgpr_count 6
		.amdhsa_user_sgpr_private_segment_buffer 1
		.amdhsa_user_sgpr_dispatch_ptr 0
		.amdhsa_user_sgpr_queue_ptr 0
		.amdhsa_user_sgpr_kernarg_segment_ptr 1
		.amdhsa_user_sgpr_dispatch_id 0
		.amdhsa_user_sgpr_flat_scratch_init 0
		.amdhsa_user_sgpr_kernarg_preload_length 0
		.amdhsa_user_sgpr_kernarg_preload_offset 0
		.amdhsa_user_sgpr_private_segment_size 0
		.amdhsa_uses_dynamic_stack 0
		.amdhsa_system_sgpr_private_segment_wavefront_offset 0
		.amdhsa_system_sgpr_workgroup_id_x 1
		.amdhsa_system_sgpr_workgroup_id_y 0
		.amdhsa_system_sgpr_workgroup_id_z 0
		.amdhsa_system_sgpr_workgroup_info 0
		.amdhsa_system_vgpr_workitem_id 0
		.amdhsa_next_free_vgpr 1
		.amdhsa_next_free_sgpr 0
		.amdhsa_accum_offset 4
		.amdhsa_reserve_vcc 0
		.amdhsa_reserve_flat_scratch 0
		.amdhsa_float_round_mode_32 0
		.amdhsa_float_round_mode_16_64 0
		.amdhsa_float_denorm_mode_32 3
		.amdhsa_float_denorm_mode_16_64 3
		.amdhsa_dx10_clamp 1
		.amdhsa_ieee_mode 1
		.amdhsa_fp16_overflow 0
		.amdhsa_tg_split 0
		.amdhsa_exception_fp_ieee_invalid_op 0
		.amdhsa_exception_fp_denorm_src 0
		.amdhsa_exception_fp_ieee_div_zero 0
		.amdhsa_exception_fp_ieee_overflow 0
		.amdhsa_exception_fp_ieee_underflow 0
		.amdhsa_exception_fp_ieee_inexact 0
		.amdhsa_exception_int_div_zero 0
	.end_amdhsa_kernel
	.section	.text._ZN7rocprim17ROCPRIM_400000_NS6detail17trampoline_kernelINS0_14default_configENS1_27scan_by_key_config_selectorIj11FixedVectorIiLj8EEEEZZNS1_16scan_by_key_implILNS1_25lookback_scan_determinismE0ELb1ES3_N6thrust23THRUST_200600_302600_NS6detail15normal_iteratorINSB_10device_ptrIjEEEENSD_INSE_IS6_EEEESI_S6_NSB_4plusIvEENSB_8equal_toIvEES6_EE10hipError_tPvRmT2_T3_T4_T5_mT6_T7_P12ihipStream_tbENKUlT_T0_E_clISt17integral_constantIbLb1EES13_EEDaSY_SZ_EUlSY_E_NS1_11comp_targetILNS1_3genE3ELNS1_11target_archE908ELNS1_3gpuE7ELNS1_3repE0EEENS1_30default_config_static_selectorELNS0_4arch9wavefront6targetE1EEEvT1_,"axG",@progbits,_ZN7rocprim17ROCPRIM_400000_NS6detail17trampoline_kernelINS0_14default_configENS1_27scan_by_key_config_selectorIj11FixedVectorIiLj8EEEEZZNS1_16scan_by_key_implILNS1_25lookback_scan_determinismE0ELb1ES3_N6thrust23THRUST_200600_302600_NS6detail15normal_iteratorINSB_10device_ptrIjEEEENSD_INSE_IS6_EEEESI_S6_NSB_4plusIvEENSB_8equal_toIvEES6_EE10hipError_tPvRmT2_T3_T4_T5_mT6_T7_P12ihipStream_tbENKUlT_T0_E_clISt17integral_constantIbLb1EES13_EEDaSY_SZ_EUlSY_E_NS1_11comp_targetILNS1_3genE3ELNS1_11target_archE908ELNS1_3gpuE7ELNS1_3repE0EEENS1_30default_config_static_selectorELNS0_4arch9wavefront6targetE1EEEvT1_,comdat
.Lfunc_end2170:
	.size	_ZN7rocprim17ROCPRIM_400000_NS6detail17trampoline_kernelINS0_14default_configENS1_27scan_by_key_config_selectorIj11FixedVectorIiLj8EEEEZZNS1_16scan_by_key_implILNS1_25lookback_scan_determinismE0ELb1ES3_N6thrust23THRUST_200600_302600_NS6detail15normal_iteratorINSB_10device_ptrIjEEEENSD_INSE_IS6_EEEESI_S6_NSB_4plusIvEENSB_8equal_toIvEES6_EE10hipError_tPvRmT2_T3_T4_T5_mT6_T7_P12ihipStream_tbENKUlT_T0_E_clISt17integral_constantIbLb1EES13_EEDaSY_SZ_EUlSY_E_NS1_11comp_targetILNS1_3genE3ELNS1_11target_archE908ELNS1_3gpuE7ELNS1_3repE0EEENS1_30default_config_static_selectorELNS0_4arch9wavefront6targetE1EEEvT1_, .Lfunc_end2170-_ZN7rocprim17ROCPRIM_400000_NS6detail17trampoline_kernelINS0_14default_configENS1_27scan_by_key_config_selectorIj11FixedVectorIiLj8EEEEZZNS1_16scan_by_key_implILNS1_25lookback_scan_determinismE0ELb1ES3_N6thrust23THRUST_200600_302600_NS6detail15normal_iteratorINSB_10device_ptrIjEEEENSD_INSE_IS6_EEEESI_S6_NSB_4plusIvEENSB_8equal_toIvEES6_EE10hipError_tPvRmT2_T3_T4_T5_mT6_T7_P12ihipStream_tbENKUlT_T0_E_clISt17integral_constantIbLb1EES13_EEDaSY_SZ_EUlSY_E_NS1_11comp_targetILNS1_3genE3ELNS1_11target_archE908ELNS1_3gpuE7ELNS1_3repE0EEENS1_30default_config_static_selectorELNS0_4arch9wavefront6targetE1EEEvT1_
                                        ; -- End function
	.section	.AMDGPU.csdata,"",@progbits
; Kernel info:
; codeLenInByte = 0
; NumSgprs: 4
; NumVgprs: 0
; NumAgprs: 0
; TotalNumVgprs: 0
; ScratchSize: 0
; MemoryBound: 0
; FloatMode: 240
; IeeeMode: 1
; LDSByteSize: 0 bytes/workgroup (compile time only)
; SGPRBlocks: 0
; VGPRBlocks: 0
; NumSGPRsForWavesPerEU: 4
; NumVGPRsForWavesPerEU: 1
; AccumOffset: 4
; Occupancy: 8
; WaveLimiterHint : 0
; COMPUTE_PGM_RSRC2:SCRATCH_EN: 0
; COMPUTE_PGM_RSRC2:USER_SGPR: 6
; COMPUTE_PGM_RSRC2:TRAP_HANDLER: 0
; COMPUTE_PGM_RSRC2:TGID_X_EN: 1
; COMPUTE_PGM_RSRC2:TGID_Y_EN: 0
; COMPUTE_PGM_RSRC2:TGID_Z_EN: 0
; COMPUTE_PGM_RSRC2:TIDIG_COMP_CNT: 0
; COMPUTE_PGM_RSRC3_GFX90A:ACCUM_OFFSET: 0
; COMPUTE_PGM_RSRC3_GFX90A:TG_SPLIT: 0
	.section	.text._ZN7rocprim17ROCPRIM_400000_NS6detail17trampoline_kernelINS0_14default_configENS1_27scan_by_key_config_selectorIj11FixedVectorIiLj8EEEEZZNS1_16scan_by_key_implILNS1_25lookback_scan_determinismE0ELb1ES3_N6thrust23THRUST_200600_302600_NS6detail15normal_iteratorINSB_10device_ptrIjEEEENSD_INSE_IS6_EEEESI_S6_NSB_4plusIvEENSB_8equal_toIvEES6_EE10hipError_tPvRmT2_T3_T4_T5_mT6_T7_P12ihipStream_tbENKUlT_T0_E_clISt17integral_constantIbLb1EES13_EEDaSY_SZ_EUlSY_E_NS1_11comp_targetILNS1_3genE2ELNS1_11target_archE906ELNS1_3gpuE6ELNS1_3repE0EEENS1_30default_config_static_selectorELNS0_4arch9wavefront6targetE1EEEvT1_,"axG",@progbits,_ZN7rocprim17ROCPRIM_400000_NS6detail17trampoline_kernelINS0_14default_configENS1_27scan_by_key_config_selectorIj11FixedVectorIiLj8EEEEZZNS1_16scan_by_key_implILNS1_25lookback_scan_determinismE0ELb1ES3_N6thrust23THRUST_200600_302600_NS6detail15normal_iteratorINSB_10device_ptrIjEEEENSD_INSE_IS6_EEEESI_S6_NSB_4plusIvEENSB_8equal_toIvEES6_EE10hipError_tPvRmT2_T3_T4_T5_mT6_T7_P12ihipStream_tbENKUlT_T0_E_clISt17integral_constantIbLb1EES13_EEDaSY_SZ_EUlSY_E_NS1_11comp_targetILNS1_3genE2ELNS1_11target_archE906ELNS1_3gpuE6ELNS1_3repE0EEENS1_30default_config_static_selectorELNS0_4arch9wavefront6targetE1EEEvT1_,comdat
	.protected	_ZN7rocprim17ROCPRIM_400000_NS6detail17trampoline_kernelINS0_14default_configENS1_27scan_by_key_config_selectorIj11FixedVectorIiLj8EEEEZZNS1_16scan_by_key_implILNS1_25lookback_scan_determinismE0ELb1ES3_N6thrust23THRUST_200600_302600_NS6detail15normal_iteratorINSB_10device_ptrIjEEEENSD_INSE_IS6_EEEESI_S6_NSB_4plusIvEENSB_8equal_toIvEES6_EE10hipError_tPvRmT2_T3_T4_T5_mT6_T7_P12ihipStream_tbENKUlT_T0_E_clISt17integral_constantIbLb1EES13_EEDaSY_SZ_EUlSY_E_NS1_11comp_targetILNS1_3genE2ELNS1_11target_archE906ELNS1_3gpuE6ELNS1_3repE0EEENS1_30default_config_static_selectorELNS0_4arch9wavefront6targetE1EEEvT1_ ; -- Begin function _ZN7rocprim17ROCPRIM_400000_NS6detail17trampoline_kernelINS0_14default_configENS1_27scan_by_key_config_selectorIj11FixedVectorIiLj8EEEEZZNS1_16scan_by_key_implILNS1_25lookback_scan_determinismE0ELb1ES3_N6thrust23THRUST_200600_302600_NS6detail15normal_iteratorINSB_10device_ptrIjEEEENSD_INSE_IS6_EEEESI_S6_NSB_4plusIvEENSB_8equal_toIvEES6_EE10hipError_tPvRmT2_T3_T4_T5_mT6_T7_P12ihipStream_tbENKUlT_T0_E_clISt17integral_constantIbLb1EES13_EEDaSY_SZ_EUlSY_E_NS1_11comp_targetILNS1_3genE2ELNS1_11target_archE906ELNS1_3gpuE6ELNS1_3repE0EEENS1_30default_config_static_selectorELNS0_4arch9wavefront6targetE1EEEvT1_
	.globl	_ZN7rocprim17ROCPRIM_400000_NS6detail17trampoline_kernelINS0_14default_configENS1_27scan_by_key_config_selectorIj11FixedVectorIiLj8EEEEZZNS1_16scan_by_key_implILNS1_25lookback_scan_determinismE0ELb1ES3_N6thrust23THRUST_200600_302600_NS6detail15normal_iteratorINSB_10device_ptrIjEEEENSD_INSE_IS6_EEEESI_S6_NSB_4plusIvEENSB_8equal_toIvEES6_EE10hipError_tPvRmT2_T3_T4_T5_mT6_T7_P12ihipStream_tbENKUlT_T0_E_clISt17integral_constantIbLb1EES13_EEDaSY_SZ_EUlSY_E_NS1_11comp_targetILNS1_3genE2ELNS1_11target_archE906ELNS1_3gpuE6ELNS1_3repE0EEENS1_30default_config_static_selectorELNS0_4arch9wavefront6targetE1EEEvT1_
	.p2align	8
	.type	_ZN7rocprim17ROCPRIM_400000_NS6detail17trampoline_kernelINS0_14default_configENS1_27scan_by_key_config_selectorIj11FixedVectorIiLj8EEEEZZNS1_16scan_by_key_implILNS1_25lookback_scan_determinismE0ELb1ES3_N6thrust23THRUST_200600_302600_NS6detail15normal_iteratorINSB_10device_ptrIjEEEENSD_INSE_IS6_EEEESI_S6_NSB_4plusIvEENSB_8equal_toIvEES6_EE10hipError_tPvRmT2_T3_T4_T5_mT6_T7_P12ihipStream_tbENKUlT_T0_E_clISt17integral_constantIbLb1EES13_EEDaSY_SZ_EUlSY_E_NS1_11comp_targetILNS1_3genE2ELNS1_11target_archE906ELNS1_3gpuE6ELNS1_3repE0EEENS1_30default_config_static_selectorELNS0_4arch9wavefront6targetE1EEEvT1_,@function
_ZN7rocprim17ROCPRIM_400000_NS6detail17trampoline_kernelINS0_14default_configENS1_27scan_by_key_config_selectorIj11FixedVectorIiLj8EEEEZZNS1_16scan_by_key_implILNS1_25lookback_scan_determinismE0ELb1ES3_N6thrust23THRUST_200600_302600_NS6detail15normal_iteratorINSB_10device_ptrIjEEEENSD_INSE_IS6_EEEESI_S6_NSB_4plusIvEENSB_8equal_toIvEES6_EE10hipError_tPvRmT2_T3_T4_T5_mT6_T7_P12ihipStream_tbENKUlT_T0_E_clISt17integral_constantIbLb1EES13_EEDaSY_SZ_EUlSY_E_NS1_11comp_targetILNS1_3genE2ELNS1_11target_archE906ELNS1_3gpuE6ELNS1_3repE0EEENS1_30default_config_static_selectorELNS0_4arch9wavefront6targetE1EEEvT1_: ; @_ZN7rocprim17ROCPRIM_400000_NS6detail17trampoline_kernelINS0_14default_configENS1_27scan_by_key_config_selectorIj11FixedVectorIiLj8EEEEZZNS1_16scan_by_key_implILNS1_25lookback_scan_determinismE0ELb1ES3_N6thrust23THRUST_200600_302600_NS6detail15normal_iteratorINSB_10device_ptrIjEEEENSD_INSE_IS6_EEEESI_S6_NSB_4plusIvEENSB_8equal_toIvEES6_EE10hipError_tPvRmT2_T3_T4_T5_mT6_T7_P12ihipStream_tbENKUlT_T0_E_clISt17integral_constantIbLb1EES13_EEDaSY_SZ_EUlSY_E_NS1_11comp_targetILNS1_3genE2ELNS1_11target_archE906ELNS1_3gpuE6ELNS1_3repE0EEENS1_30default_config_static_selectorELNS0_4arch9wavefront6targetE1EEEvT1_
; %bb.0:
	.section	.rodata,"a",@progbits
	.p2align	6, 0x0
	.amdhsa_kernel _ZN7rocprim17ROCPRIM_400000_NS6detail17trampoline_kernelINS0_14default_configENS1_27scan_by_key_config_selectorIj11FixedVectorIiLj8EEEEZZNS1_16scan_by_key_implILNS1_25lookback_scan_determinismE0ELb1ES3_N6thrust23THRUST_200600_302600_NS6detail15normal_iteratorINSB_10device_ptrIjEEEENSD_INSE_IS6_EEEESI_S6_NSB_4plusIvEENSB_8equal_toIvEES6_EE10hipError_tPvRmT2_T3_T4_T5_mT6_T7_P12ihipStream_tbENKUlT_T0_E_clISt17integral_constantIbLb1EES13_EEDaSY_SZ_EUlSY_E_NS1_11comp_targetILNS1_3genE2ELNS1_11target_archE906ELNS1_3gpuE6ELNS1_3repE0EEENS1_30default_config_static_selectorELNS0_4arch9wavefront6targetE1EEEvT1_
		.amdhsa_group_segment_fixed_size 0
		.amdhsa_private_segment_fixed_size 0
		.amdhsa_kernarg_size 160
		.amdhsa_user_sgpr_count 6
		.amdhsa_user_sgpr_private_segment_buffer 1
		.amdhsa_user_sgpr_dispatch_ptr 0
		.amdhsa_user_sgpr_queue_ptr 0
		.amdhsa_user_sgpr_kernarg_segment_ptr 1
		.amdhsa_user_sgpr_dispatch_id 0
		.amdhsa_user_sgpr_flat_scratch_init 0
		.amdhsa_user_sgpr_kernarg_preload_length 0
		.amdhsa_user_sgpr_kernarg_preload_offset 0
		.amdhsa_user_sgpr_private_segment_size 0
		.amdhsa_uses_dynamic_stack 0
		.amdhsa_system_sgpr_private_segment_wavefront_offset 0
		.amdhsa_system_sgpr_workgroup_id_x 1
		.amdhsa_system_sgpr_workgroup_id_y 0
		.amdhsa_system_sgpr_workgroup_id_z 0
		.amdhsa_system_sgpr_workgroup_info 0
		.amdhsa_system_vgpr_workitem_id 0
		.amdhsa_next_free_vgpr 1
		.amdhsa_next_free_sgpr 0
		.amdhsa_accum_offset 4
		.amdhsa_reserve_vcc 0
		.amdhsa_reserve_flat_scratch 0
		.amdhsa_float_round_mode_32 0
		.amdhsa_float_round_mode_16_64 0
		.amdhsa_float_denorm_mode_32 3
		.amdhsa_float_denorm_mode_16_64 3
		.amdhsa_dx10_clamp 1
		.amdhsa_ieee_mode 1
		.amdhsa_fp16_overflow 0
		.amdhsa_tg_split 0
		.amdhsa_exception_fp_ieee_invalid_op 0
		.amdhsa_exception_fp_denorm_src 0
		.amdhsa_exception_fp_ieee_div_zero 0
		.amdhsa_exception_fp_ieee_overflow 0
		.amdhsa_exception_fp_ieee_underflow 0
		.amdhsa_exception_fp_ieee_inexact 0
		.amdhsa_exception_int_div_zero 0
	.end_amdhsa_kernel
	.section	.text._ZN7rocprim17ROCPRIM_400000_NS6detail17trampoline_kernelINS0_14default_configENS1_27scan_by_key_config_selectorIj11FixedVectorIiLj8EEEEZZNS1_16scan_by_key_implILNS1_25lookback_scan_determinismE0ELb1ES3_N6thrust23THRUST_200600_302600_NS6detail15normal_iteratorINSB_10device_ptrIjEEEENSD_INSE_IS6_EEEESI_S6_NSB_4plusIvEENSB_8equal_toIvEES6_EE10hipError_tPvRmT2_T3_T4_T5_mT6_T7_P12ihipStream_tbENKUlT_T0_E_clISt17integral_constantIbLb1EES13_EEDaSY_SZ_EUlSY_E_NS1_11comp_targetILNS1_3genE2ELNS1_11target_archE906ELNS1_3gpuE6ELNS1_3repE0EEENS1_30default_config_static_selectorELNS0_4arch9wavefront6targetE1EEEvT1_,"axG",@progbits,_ZN7rocprim17ROCPRIM_400000_NS6detail17trampoline_kernelINS0_14default_configENS1_27scan_by_key_config_selectorIj11FixedVectorIiLj8EEEEZZNS1_16scan_by_key_implILNS1_25lookback_scan_determinismE0ELb1ES3_N6thrust23THRUST_200600_302600_NS6detail15normal_iteratorINSB_10device_ptrIjEEEENSD_INSE_IS6_EEEESI_S6_NSB_4plusIvEENSB_8equal_toIvEES6_EE10hipError_tPvRmT2_T3_T4_T5_mT6_T7_P12ihipStream_tbENKUlT_T0_E_clISt17integral_constantIbLb1EES13_EEDaSY_SZ_EUlSY_E_NS1_11comp_targetILNS1_3genE2ELNS1_11target_archE906ELNS1_3gpuE6ELNS1_3repE0EEENS1_30default_config_static_selectorELNS0_4arch9wavefront6targetE1EEEvT1_,comdat
.Lfunc_end2171:
	.size	_ZN7rocprim17ROCPRIM_400000_NS6detail17trampoline_kernelINS0_14default_configENS1_27scan_by_key_config_selectorIj11FixedVectorIiLj8EEEEZZNS1_16scan_by_key_implILNS1_25lookback_scan_determinismE0ELb1ES3_N6thrust23THRUST_200600_302600_NS6detail15normal_iteratorINSB_10device_ptrIjEEEENSD_INSE_IS6_EEEESI_S6_NSB_4plusIvEENSB_8equal_toIvEES6_EE10hipError_tPvRmT2_T3_T4_T5_mT6_T7_P12ihipStream_tbENKUlT_T0_E_clISt17integral_constantIbLb1EES13_EEDaSY_SZ_EUlSY_E_NS1_11comp_targetILNS1_3genE2ELNS1_11target_archE906ELNS1_3gpuE6ELNS1_3repE0EEENS1_30default_config_static_selectorELNS0_4arch9wavefront6targetE1EEEvT1_, .Lfunc_end2171-_ZN7rocprim17ROCPRIM_400000_NS6detail17trampoline_kernelINS0_14default_configENS1_27scan_by_key_config_selectorIj11FixedVectorIiLj8EEEEZZNS1_16scan_by_key_implILNS1_25lookback_scan_determinismE0ELb1ES3_N6thrust23THRUST_200600_302600_NS6detail15normal_iteratorINSB_10device_ptrIjEEEENSD_INSE_IS6_EEEESI_S6_NSB_4plusIvEENSB_8equal_toIvEES6_EE10hipError_tPvRmT2_T3_T4_T5_mT6_T7_P12ihipStream_tbENKUlT_T0_E_clISt17integral_constantIbLb1EES13_EEDaSY_SZ_EUlSY_E_NS1_11comp_targetILNS1_3genE2ELNS1_11target_archE906ELNS1_3gpuE6ELNS1_3repE0EEENS1_30default_config_static_selectorELNS0_4arch9wavefront6targetE1EEEvT1_
                                        ; -- End function
	.section	.AMDGPU.csdata,"",@progbits
; Kernel info:
; codeLenInByte = 0
; NumSgprs: 4
; NumVgprs: 0
; NumAgprs: 0
; TotalNumVgprs: 0
; ScratchSize: 0
; MemoryBound: 0
; FloatMode: 240
; IeeeMode: 1
; LDSByteSize: 0 bytes/workgroup (compile time only)
; SGPRBlocks: 0
; VGPRBlocks: 0
; NumSGPRsForWavesPerEU: 4
; NumVGPRsForWavesPerEU: 1
; AccumOffset: 4
; Occupancy: 8
; WaveLimiterHint : 0
; COMPUTE_PGM_RSRC2:SCRATCH_EN: 0
; COMPUTE_PGM_RSRC2:USER_SGPR: 6
; COMPUTE_PGM_RSRC2:TRAP_HANDLER: 0
; COMPUTE_PGM_RSRC2:TGID_X_EN: 1
; COMPUTE_PGM_RSRC2:TGID_Y_EN: 0
; COMPUTE_PGM_RSRC2:TGID_Z_EN: 0
; COMPUTE_PGM_RSRC2:TIDIG_COMP_CNT: 0
; COMPUTE_PGM_RSRC3_GFX90A:ACCUM_OFFSET: 0
; COMPUTE_PGM_RSRC3_GFX90A:TG_SPLIT: 0
	.section	.text._ZN7rocprim17ROCPRIM_400000_NS6detail17trampoline_kernelINS0_14default_configENS1_27scan_by_key_config_selectorIj11FixedVectorIiLj8EEEEZZNS1_16scan_by_key_implILNS1_25lookback_scan_determinismE0ELb1ES3_N6thrust23THRUST_200600_302600_NS6detail15normal_iteratorINSB_10device_ptrIjEEEENSD_INSE_IS6_EEEESI_S6_NSB_4plusIvEENSB_8equal_toIvEES6_EE10hipError_tPvRmT2_T3_T4_T5_mT6_T7_P12ihipStream_tbENKUlT_T0_E_clISt17integral_constantIbLb1EES13_EEDaSY_SZ_EUlSY_E_NS1_11comp_targetILNS1_3genE10ELNS1_11target_archE1200ELNS1_3gpuE4ELNS1_3repE0EEENS1_30default_config_static_selectorELNS0_4arch9wavefront6targetE1EEEvT1_,"axG",@progbits,_ZN7rocprim17ROCPRIM_400000_NS6detail17trampoline_kernelINS0_14default_configENS1_27scan_by_key_config_selectorIj11FixedVectorIiLj8EEEEZZNS1_16scan_by_key_implILNS1_25lookback_scan_determinismE0ELb1ES3_N6thrust23THRUST_200600_302600_NS6detail15normal_iteratorINSB_10device_ptrIjEEEENSD_INSE_IS6_EEEESI_S6_NSB_4plusIvEENSB_8equal_toIvEES6_EE10hipError_tPvRmT2_T3_T4_T5_mT6_T7_P12ihipStream_tbENKUlT_T0_E_clISt17integral_constantIbLb1EES13_EEDaSY_SZ_EUlSY_E_NS1_11comp_targetILNS1_3genE10ELNS1_11target_archE1200ELNS1_3gpuE4ELNS1_3repE0EEENS1_30default_config_static_selectorELNS0_4arch9wavefront6targetE1EEEvT1_,comdat
	.protected	_ZN7rocprim17ROCPRIM_400000_NS6detail17trampoline_kernelINS0_14default_configENS1_27scan_by_key_config_selectorIj11FixedVectorIiLj8EEEEZZNS1_16scan_by_key_implILNS1_25lookback_scan_determinismE0ELb1ES3_N6thrust23THRUST_200600_302600_NS6detail15normal_iteratorINSB_10device_ptrIjEEEENSD_INSE_IS6_EEEESI_S6_NSB_4plusIvEENSB_8equal_toIvEES6_EE10hipError_tPvRmT2_T3_T4_T5_mT6_T7_P12ihipStream_tbENKUlT_T0_E_clISt17integral_constantIbLb1EES13_EEDaSY_SZ_EUlSY_E_NS1_11comp_targetILNS1_3genE10ELNS1_11target_archE1200ELNS1_3gpuE4ELNS1_3repE0EEENS1_30default_config_static_selectorELNS0_4arch9wavefront6targetE1EEEvT1_ ; -- Begin function _ZN7rocprim17ROCPRIM_400000_NS6detail17trampoline_kernelINS0_14default_configENS1_27scan_by_key_config_selectorIj11FixedVectorIiLj8EEEEZZNS1_16scan_by_key_implILNS1_25lookback_scan_determinismE0ELb1ES3_N6thrust23THRUST_200600_302600_NS6detail15normal_iteratorINSB_10device_ptrIjEEEENSD_INSE_IS6_EEEESI_S6_NSB_4plusIvEENSB_8equal_toIvEES6_EE10hipError_tPvRmT2_T3_T4_T5_mT6_T7_P12ihipStream_tbENKUlT_T0_E_clISt17integral_constantIbLb1EES13_EEDaSY_SZ_EUlSY_E_NS1_11comp_targetILNS1_3genE10ELNS1_11target_archE1200ELNS1_3gpuE4ELNS1_3repE0EEENS1_30default_config_static_selectorELNS0_4arch9wavefront6targetE1EEEvT1_
	.globl	_ZN7rocprim17ROCPRIM_400000_NS6detail17trampoline_kernelINS0_14default_configENS1_27scan_by_key_config_selectorIj11FixedVectorIiLj8EEEEZZNS1_16scan_by_key_implILNS1_25lookback_scan_determinismE0ELb1ES3_N6thrust23THRUST_200600_302600_NS6detail15normal_iteratorINSB_10device_ptrIjEEEENSD_INSE_IS6_EEEESI_S6_NSB_4plusIvEENSB_8equal_toIvEES6_EE10hipError_tPvRmT2_T3_T4_T5_mT6_T7_P12ihipStream_tbENKUlT_T0_E_clISt17integral_constantIbLb1EES13_EEDaSY_SZ_EUlSY_E_NS1_11comp_targetILNS1_3genE10ELNS1_11target_archE1200ELNS1_3gpuE4ELNS1_3repE0EEENS1_30default_config_static_selectorELNS0_4arch9wavefront6targetE1EEEvT1_
	.p2align	8
	.type	_ZN7rocprim17ROCPRIM_400000_NS6detail17trampoline_kernelINS0_14default_configENS1_27scan_by_key_config_selectorIj11FixedVectorIiLj8EEEEZZNS1_16scan_by_key_implILNS1_25lookback_scan_determinismE0ELb1ES3_N6thrust23THRUST_200600_302600_NS6detail15normal_iteratorINSB_10device_ptrIjEEEENSD_INSE_IS6_EEEESI_S6_NSB_4plusIvEENSB_8equal_toIvEES6_EE10hipError_tPvRmT2_T3_T4_T5_mT6_T7_P12ihipStream_tbENKUlT_T0_E_clISt17integral_constantIbLb1EES13_EEDaSY_SZ_EUlSY_E_NS1_11comp_targetILNS1_3genE10ELNS1_11target_archE1200ELNS1_3gpuE4ELNS1_3repE0EEENS1_30default_config_static_selectorELNS0_4arch9wavefront6targetE1EEEvT1_,@function
_ZN7rocprim17ROCPRIM_400000_NS6detail17trampoline_kernelINS0_14default_configENS1_27scan_by_key_config_selectorIj11FixedVectorIiLj8EEEEZZNS1_16scan_by_key_implILNS1_25lookback_scan_determinismE0ELb1ES3_N6thrust23THRUST_200600_302600_NS6detail15normal_iteratorINSB_10device_ptrIjEEEENSD_INSE_IS6_EEEESI_S6_NSB_4plusIvEENSB_8equal_toIvEES6_EE10hipError_tPvRmT2_T3_T4_T5_mT6_T7_P12ihipStream_tbENKUlT_T0_E_clISt17integral_constantIbLb1EES13_EEDaSY_SZ_EUlSY_E_NS1_11comp_targetILNS1_3genE10ELNS1_11target_archE1200ELNS1_3gpuE4ELNS1_3repE0EEENS1_30default_config_static_selectorELNS0_4arch9wavefront6targetE1EEEvT1_: ; @_ZN7rocprim17ROCPRIM_400000_NS6detail17trampoline_kernelINS0_14default_configENS1_27scan_by_key_config_selectorIj11FixedVectorIiLj8EEEEZZNS1_16scan_by_key_implILNS1_25lookback_scan_determinismE0ELb1ES3_N6thrust23THRUST_200600_302600_NS6detail15normal_iteratorINSB_10device_ptrIjEEEENSD_INSE_IS6_EEEESI_S6_NSB_4plusIvEENSB_8equal_toIvEES6_EE10hipError_tPvRmT2_T3_T4_T5_mT6_T7_P12ihipStream_tbENKUlT_T0_E_clISt17integral_constantIbLb1EES13_EEDaSY_SZ_EUlSY_E_NS1_11comp_targetILNS1_3genE10ELNS1_11target_archE1200ELNS1_3gpuE4ELNS1_3repE0EEENS1_30default_config_static_selectorELNS0_4arch9wavefront6targetE1EEEvT1_
; %bb.0:
	.section	.rodata,"a",@progbits
	.p2align	6, 0x0
	.amdhsa_kernel _ZN7rocprim17ROCPRIM_400000_NS6detail17trampoline_kernelINS0_14default_configENS1_27scan_by_key_config_selectorIj11FixedVectorIiLj8EEEEZZNS1_16scan_by_key_implILNS1_25lookback_scan_determinismE0ELb1ES3_N6thrust23THRUST_200600_302600_NS6detail15normal_iteratorINSB_10device_ptrIjEEEENSD_INSE_IS6_EEEESI_S6_NSB_4plusIvEENSB_8equal_toIvEES6_EE10hipError_tPvRmT2_T3_T4_T5_mT6_T7_P12ihipStream_tbENKUlT_T0_E_clISt17integral_constantIbLb1EES13_EEDaSY_SZ_EUlSY_E_NS1_11comp_targetILNS1_3genE10ELNS1_11target_archE1200ELNS1_3gpuE4ELNS1_3repE0EEENS1_30default_config_static_selectorELNS0_4arch9wavefront6targetE1EEEvT1_
		.amdhsa_group_segment_fixed_size 0
		.amdhsa_private_segment_fixed_size 0
		.amdhsa_kernarg_size 160
		.amdhsa_user_sgpr_count 6
		.amdhsa_user_sgpr_private_segment_buffer 1
		.amdhsa_user_sgpr_dispatch_ptr 0
		.amdhsa_user_sgpr_queue_ptr 0
		.amdhsa_user_sgpr_kernarg_segment_ptr 1
		.amdhsa_user_sgpr_dispatch_id 0
		.amdhsa_user_sgpr_flat_scratch_init 0
		.amdhsa_user_sgpr_kernarg_preload_length 0
		.amdhsa_user_sgpr_kernarg_preload_offset 0
		.amdhsa_user_sgpr_private_segment_size 0
		.amdhsa_uses_dynamic_stack 0
		.amdhsa_system_sgpr_private_segment_wavefront_offset 0
		.amdhsa_system_sgpr_workgroup_id_x 1
		.amdhsa_system_sgpr_workgroup_id_y 0
		.amdhsa_system_sgpr_workgroup_id_z 0
		.amdhsa_system_sgpr_workgroup_info 0
		.amdhsa_system_vgpr_workitem_id 0
		.amdhsa_next_free_vgpr 1
		.amdhsa_next_free_sgpr 0
		.amdhsa_accum_offset 4
		.amdhsa_reserve_vcc 0
		.amdhsa_reserve_flat_scratch 0
		.amdhsa_float_round_mode_32 0
		.amdhsa_float_round_mode_16_64 0
		.amdhsa_float_denorm_mode_32 3
		.amdhsa_float_denorm_mode_16_64 3
		.amdhsa_dx10_clamp 1
		.amdhsa_ieee_mode 1
		.amdhsa_fp16_overflow 0
		.amdhsa_tg_split 0
		.amdhsa_exception_fp_ieee_invalid_op 0
		.amdhsa_exception_fp_denorm_src 0
		.amdhsa_exception_fp_ieee_div_zero 0
		.amdhsa_exception_fp_ieee_overflow 0
		.amdhsa_exception_fp_ieee_underflow 0
		.amdhsa_exception_fp_ieee_inexact 0
		.amdhsa_exception_int_div_zero 0
	.end_amdhsa_kernel
	.section	.text._ZN7rocprim17ROCPRIM_400000_NS6detail17trampoline_kernelINS0_14default_configENS1_27scan_by_key_config_selectorIj11FixedVectorIiLj8EEEEZZNS1_16scan_by_key_implILNS1_25lookback_scan_determinismE0ELb1ES3_N6thrust23THRUST_200600_302600_NS6detail15normal_iteratorINSB_10device_ptrIjEEEENSD_INSE_IS6_EEEESI_S6_NSB_4plusIvEENSB_8equal_toIvEES6_EE10hipError_tPvRmT2_T3_T4_T5_mT6_T7_P12ihipStream_tbENKUlT_T0_E_clISt17integral_constantIbLb1EES13_EEDaSY_SZ_EUlSY_E_NS1_11comp_targetILNS1_3genE10ELNS1_11target_archE1200ELNS1_3gpuE4ELNS1_3repE0EEENS1_30default_config_static_selectorELNS0_4arch9wavefront6targetE1EEEvT1_,"axG",@progbits,_ZN7rocprim17ROCPRIM_400000_NS6detail17trampoline_kernelINS0_14default_configENS1_27scan_by_key_config_selectorIj11FixedVectorIiLj8EEEEZZNS1_16scan_by_key_implILNS1_25lookback_scan_determinismE0ELb1ES3_N6thrust23THRUST_200600_302600_NS6detail15normal_iteratorINSB_10device_ptrIjEEEENSD_INSE_IS6_EEEESI_S6_NSB_4plusIvEENSB_8equal_toIvEES6_EE10hipError_tPvRmT2_T3_T4_T5_mT6_T7_P12ihipStream_tbENKUlT_T0_E_clISt17integral_constantIbLb1EES13_EEDaSY_SZ_EUlSY_E_NS1_11comp_targetILNS1_3genE10ELNS1_11target_archE1200ELNS1_3gpuE4ELNS1_3repE0EEENS1_30default_config_static_selectorELNS0_4arch9wavefront6targetE1EEEvT1_,comdat
.Lfunc_end2172:
	.size	_ZN7rocprim17ROCPRIM_400000_NS6detail17trampoline_kernelINS0_14default_configENS1_27scan_by_key_config_selectorIj11FixedVectorIiLj8EEEEZZNS1_16scan_by_key_implILNS1_25lookback_scan_determinismE0ELb1ES3_N6thrust23THRUST_200600_302600_NS6detail15normal_iteratorINSB_10device_ptrIjEEEENSD_INSE_IS6_EEEESI_S6_NSB_4plusIvEENSB_8equal_toIvEES6_EE10hipError_tPvRmT2_T3_T4_T5_mT6_T7_P12ihipStream_tbENKUlT_T0_E_clISt17integral_constantIbLb1EES13_EEDaSY_SZ_EUlSY_E_NS1_11comp_targetILNS1_3genE10ELNS1_11target_archE1200ELNS1_3gpuE4ELNS1_3repE0EEENS1_30default_config_static_selectorELNS0_4arch9wavefront6targetE1EEEvT1_, .Lfunc_end2172-_ZN7rocprim17ROCPRIM_400000_NS6detail17trampoline_kernelINS0_14default_configENS1_27scan_by_key_config_selectorIj11FixedVectorIiLj8EEEEZZNS1_16scan_by_key_implILNS1_25lookback_scan_determinismE0ELb1ES3_N6thrust23THRUST_200600_302600_NS6detail15normal_iteratorINSB_10device_ptrIjEEEENSD_INSE_IS6_EEEESI_S6_NSB_4plusIvEENSB_8equal_toIvEES6_EE10hipError_tPvRmT2_T3_T4_T5_mT6_T7_P12ihipStream_tbENKUlT_T0_E_clISt17integral_constantIbLb1EES13_EEDaSY_SZ_EUlSY_E_NS1_11comp_targetILNS1_3genE10ELNS1_11target_archE1200ELNS1_3gpuE4ELNS1_3repE0EEENS1_30default_config_static_selectorELNS0_4arch9wavefront6targetE1EEEvT1_
                                        ; -- End function
	.section	.AMDGPU.csdata,"",@progbits
; Kernel info:
; codeLenInByte = 0
; NumSgprs: 4
; NumVgprs: 0
; NumAgprs: 0
; TotalNumVgprs: 0
; ScratchSize: 0
; MemoryBound: 0
; FloatMode: 240
; IeeeMode: 1
; LDSByteSize: 0 bytes/workgroup (compile time only)
; SGPRBlocks: 0
; VGPRBlocks: 0
; NumSGPRsForWavesPerEU: 4
; NumVGPRsForWavesPerEU: 1
; AccumOffset: 4
; Occupancy: 8
; WaveLimiterHint : 0
; COMPUTE_PGM_RSRC2:SCRATCH_EN: 0
; COMPUTE_PGM_RSRC2:USER_SGPR: 6
; COMPUTE_PGM_RSRC2:TRAP_HANDLER: 0
; COMPUTE_PGM_RSRC2:TGID_X_EN: 1
; COMPUTE_PGM_RSRC2:TGID_Y_EN: 0
; COMPUTE_PGM_RSRC2:TGID_Z_EN: 0
; COMPUTE_PGM_RSRC2:TIDIG_COMP_CNT: 0
; COMPUTE_PGM_RSRC3_GFX90A:ACCUM_OFFSET: 0
; COMPUTE_PGM_RSRC3_GFX90A:TG_SPLIT: 0
	.section	.text._ZN7rocprim17ROCPRIM_400000_NS6detail17trampoline_kernelINS0_14default_configENS1_27scan_by_key_config_selectorIj11FixedVectorIiLj8EEEEZZNS1_16scan_by_key_implILNS1_25lookback_scan_determinismE0ELb1ES3_N6thrust23THRUST_200600_302600_NS6detail15normal_iteratorINSB_10device_ptrIjEEEENSD_INSE_IS6_EEEESI_S6_NSB_4plusIvEENSB_8equal_toIvEES6_EE10hipError_tPvRmT2_T3_T4_T5_mT6_T7_P12ihipStream_tbENKUlT_T0_E_clISt17integral_constantIbLb1EES13_EEDaSY_SZ_EUlSY_E_NS1_11comp_targetILNS1_3genE9ELNS1_11target_archE1100ELNS1_3gpuE3ELNS1_3repE0EEENS1_30default_config_static_selectorELNS0_4arch9wavefront6targetE1EEEvT1_,"axG",@progbits,_ZN7rocprim17ROCPRIM_400000_NS6detail17trampoline_kernelINS0_14default_configENS1_27scan_by_key_config_selectorIj11FixedVectorIiLj8EEEEZZNS1_16scan_by_key_implILNS1_25lookback_scan_determinismE0ELb1ES3_N6thrust23THRUST_200600_302600_NS6detail15normal_iteratorINSB_10device_ptrIjEEEENSD_INSE_IS6_EEEESI_S6_NSB_4plusIvEENSB_8equal_toIvEES6_EE10hipError_tPvRmT2_T3_T4_T5_mT6_T7_P12ihipStream_tbENKUlT_T0_E_clISt17integral_constantIbLb1EES13_EEDaSY_SZ_EUlSY_E_NS1_11comp_targetILNS1_3genE9ELNS1_11target_archE1100ELNS1_3gpuE3ELNS1_3repE0EEENS1_30default_config_static_selectorELNS0_4arch9wavefront6targetE1EEEvT1_,comdat
	.protected	_ZN7rocprim17ROCPRIM_400000_NS6detail17trampoline_kernelINS0_14default_configENS1_27scan_by_key_config_selectorIj11FixedVectorIiLj8EEEEZZNS1_16scan_by_key_implILNS1_25lookback_scan_determinismE0ELb1ES3_N6thrust23THRUST_200600_302600_NS6detail15normal_iteratorINSB_10device_ptrIjEEEENSD_INSE_IS6_EEEESI_S6_NSB_4plusIvEENSB_8equal_toIvEES6_EE10hipError_tPvRmT2_T3_T4_T5_mT6_T7_P12ihipStream_tbENKUlT_T0_E_clISt17integral_constantIbLb1EES13_EEDaSY_SZ_EUlSY_E_NS1_11comp_targetILNS1_3genE9ELNS1_11target_archE1100ELNS1_3gpuE3ELNS1_3repE0EEENS1_30default_config_static_selectorELNS0_4arch9wavefront6targetE1EEEvT1_ ; -- Begin function _ZN7rocprim17ROCPRIM_400000_NS6detail17trampoline_kernelINS0_14default_configENS1_27scan_by_key_config_selectorIj11FixedVectorIiLj8EEEEZZNS1_16scan_by_key_implILNS1_25lookback_scan_determinismE0ELb1ES3_N6thrust23THRUST_200600_302600_NS6detail15normal_iteratorINSB_10device_ptrIjEEEENSD_INSE_IS6_EEEESI_S6_NSB_4plusIvEENSB_8equal_toIvEES6_EE10hipError_tPvRmT2_T3_T4_T5_mT6_T7_P12ihipStream_tbENKUlT_T0_E_clISt17integral_constantIbLb1EES13_EEDaSY_SZ_EUlSY_E_NS1_11comp_targetILNS1_3genE9ELNS1_11target_archE1100ELNS1_3gpuE3ELNS1_3repE0EEENS1_30default_config_static_selectorELNS0_4arch9wavefront6targetE1EEEvT1_
	.globl	_ZN7rocprim17ROCPRIM_400000_NS6detail17trampoline_kernelINS0_14default_configENS1_27scan_by_key_config_selectorIj11FixedVectorIiLj8EEEEZZNS1_16scan_by_key_implILNS1_25lookback_scan_determinismE0ELb1ES3_N6thrust23THRUST_200600_302600_NS6detail15normal_iteratorINSB_10device_ptrIjEEEENSD_INSE_IS6_EEEESI_S6_NSB_4plusIvEENSB_8equal_toIvEES6_EE10hipError_tPvRmT2_T3_T4_T5_mT6_T7_P12ihipStream_tbENKUlT_T0_E_clISt17integral_constantIbLb1EES13_EEDaSY_SZ_EUlSY_E_NS1_11comp_targetILNS1_3genE9ELNS1_11target_archE1100ELNS1_3gpuE3ELNS1_3repE0EEENS1_30default_config_static_selectorELNS0_4arch9wavefront6targetE1EEEvT1_
	.p2align	8
	.type	_ZN7rocprim17ROCPRIM_400000_NS6detail17trampoline_kernelINS0_14default_configENS1_27scan_by_key_config_selectorIj11FixedVectorIiLj8EEEEZZNS1_16scan_by_key_implILNS1_25lookback_scan_determinismE0ELb1ES3_N6thrust23THRUST_200600_302600_NS6detail15normal_iteratorINSB_10device_ptrIjEEEENSD_INSE_IS6_EEEESI_S6_NSB_4plusIvEENSB_8equal_toIvEES6_EE10hipError_tPvRmT2_T3_T4_T5_mT6_T7_P12ihipStream_tbENKUlT_T0_E_clISt17integral_constantIbLb1EES13_EEDaSY_SZ_EUlSY_E_NS1_11comp_targetILNS1_3genE9ELNS1_11target_archE1100ELNS1_3gpuE3ELNS1_3repE0EEENS1_30default_config_static_selectorELNS0_4arch9wavefront6targetE1EEEvT1_,@function
_ZN7rocprim17ROCPRIM_400000_NS6detail17trampoline_kernelINS0_14default_configENS1_27scan_by_key_config_selectorIj11FixedVectorIiLj8EEEEZZNS1_16scan_by_key_implILNS1_25lookback_scan_determinismE0ELb1ES3_N6thrust23THRUST_200600_302600_NS6detail15normal_iteratorINSB_10device_ptrIjEEEENSD_INSE_IS6_EEEESI_S6_NSB_4plusIvEENSB_8equal_toIvEES6_EE10hipError_tPvRmT2_T3_T4_T5_mT6_T7_P12ihipStream_tbENKUlT_T0_E_clISt17integral_constantIbLb1EES13_EEDaSY_SZ_EUlSY_E_NS1_11comp_targetILNS1_3genE9ELNS1_11target_archE1100ELNS1_3gpuE3ELNS1_3repE0EEENS1_30default_config_static_selectorELNS0_4arch9wavefront6targetE1EEEvT1_: ; @_ZN7rocprim17ROCPRIM_400000_NS6detail17trampoline_kernelINS0_14default_configENS1_27scan_by_key_config_selectorIj11FixedVectorIiLj8EEEEZZNS1_16scan_by_key_implILNS1_25lookback_scan_determinismE0ELb1ES3_N6thrust23THRUST_200600_302600_NS6detail15normal_iteratorINSB_10device_ptrIjEEEENSD_INSE_IS6_EEEESI_S6_NSB_4plusIvEENSB_8equal_toIvEES6_EE10hipError_tPvRmT2_T3_T4_T5_mT6_T7_P12ihipStream_tbENKUlT_T0_E_clISt17integral_constantIbLb1EES13_EEDaSY_SZ_EUlSY_E_NS1_11comp_targetILNS1_3genE9ELNS1_11target_archE1100ELNS1_3gpuE3ELNS1_3repE0EEENS1_30default_config_static_selectorELNS0_4arch9wavefront6targetE1EEEvT1_
; %bb.0:
	.section	.rodata,"a",@progbits
	.p2align	6, 0x0
	.amdhsa_kernel _ZN7rocprim17ROCPRIM_400000_NS6detail17trampoline_kernelINS0_14default_configENS1_27scan_by_key_config_selectorIj11FixedVectorIiLj8EEEEZZNS1_16scan_by_key_implILNS1_25lookback_scan_determinismE0ELb1ES3_N6thrust23THRUST_200600_302600_NS6detail15normal_iteratorINSB_10device_ptrIjEEEENSD_INSE_IS6_EEEESI_S6_NSB_4plusIvEENSB_8equal_toIvEES6_EE10hipError_tPvRmT2_T3_T4_T5_mT6_T7_P12ihipStream_tbENKUlT_T0_E_clISt17integral_constantIbLb1EES13_EEDaSY_SZ_EUlSY_E_NS1_11comp_targetILNS1_3genE9ELNS1_11target_archE1100ELNS1_3gpuE3ELNS1_3repE0EEENS1_30default_config_static_selectorELNS0_4arch9wavefront6targetE1EEEvT1_
		.amdhsa_group_segment_fixed_size 0
		.amdhsa_private_segment_fixed_size 0
		.amdhsa_kernarg_size 160
		.amdhsa_user_sgpr_count 6
		.amdhsa_user_sgpr_private_segment_buffer 1
		.amdhsa_user_sgpr_dispatch_ptr 0
		.amdhsa_user_sgpr_queue_ptr 0
		.amdhsa_user_sgpr_kernarg_segment_ptr 1
		.amdhsa_user_sgpr_dispatch_id 0
		.amdhsa_user_sgpr_flat_scratch_init 0
		.amdhsa_user_sgpr_kernarg_preload_length 0
		.amdhsa_user_sgpr_kernarg_preload_offset 0
		.amdhsa_user_sgpr_private_segment_size 0
		.amdhsa_uses_dynamic_stack 0
		.amdhsa_system_sgpr_private_segment_wavefront_offset 0
		.amdhsa_system_sgpr_workgroup_id_x 1
		.amdhsa_system_sgpr_workgroup_id_y 0
		.amdhsa_system_sgpr_workgroup_id_z 0
		.amdhsa_system_sgpr_workgroup_info 0
		.amdhsa_system_vgpr_workitem_id 0
		.amdhsa_next_free_vgpr 1
		.amdhsa_next_free_sgpr 0
		.amdhsa_accum_offset 4
		.amdhsa_reserve_vcc 0
		.amdhsa_reserve_flat_scratch 0
		.amdhsa_float_round_mode_32 0
		.amdhsa_float_round_mode_16_64 0
		.amdhsa_float_denorm_mode_32 3
		.amdhsa_float_denorm_mode_16_64 3
		.amdhsa_dx10_clamp 1
		.amdhsa_ieee_mode 1
		.amdhsa_fp16_overflow 0
		.amdhsa_tg_split 0
		.amdhsa_exception_fp_ieee_invalid_op 0
		.amdhsa_exception_fp_denorm_src 0
		.amdhsa_exception_fp_ieee_div_zero 0
		.amdhsa_exception_fp_ieee_overflow 0
		.amdhsa_exception_fp_ieee_underflow 0
		.amdhsa_exception_fp_ieee_inexact 0
		.amdhsa_exception_int_div_zero 0
	.end_amdhsa_kernel
	.section	.text._ZN7rocprim17ROCPRIM_400000_NS6detail17trampoline_kernelINS0_14default_configENS1_27scan_by_key_config_selectorIj11FixedVectorIiLj8EEEEZZNS1_16scan_by_key_implILNS1_25lookback_scan_determinismE0ELb1ES3_N6thrust23THRUST_200600_302600_NS6detail15normal_iteratorINSB_10device_ptrIjEEEENSD_INSE_IS6_EEEESI_S6_NSB_4plusIvEENSB_8equal_toIvEES6_EE10hipError_tPvRmT2_T3_T4_T5_mT6_T7_P12ihipStream_tbENKUlT_T0_E_clISt17integral_constantIbLb1EES13_EEDaSY_SZ_EUlSY_E_NS1_11comp_targetILNS1_3genE9ELNS1_11target_archE1100ELNS1_3gpuE3ELNS1_3repE0EEENS1_30default_config_static_selectorELNS0_4arch9wavefront6targetE1EEEvT1_,"axG",@progbits,_ZN7rocprim17ROCPRIM_400000_NS6detail17trampoline_kernelINS0_14default_configENS1_27scan_by_key_config_selectorIj11FixedVectorIiLj8EEEEZZNS1_16scan_by_key_implILNS1_25lookback_scan_determinismE0ELb1ES3_N6thrust23THRUST_200600_302600_NS6detail15normal_iteratorINSB_10device_ptrIjEEEENSD_INSE_IS6_EEEESI_S6_NSB_4plusIvEENSB_8equal_toIvEES6_EE10hipError_tPvRmT2_T3_T4_T5_mT6_T7_P12ihipStream_tbENKUlT_T0_E_clISt17integral_constantIbLb1EES13_EEDaSY_SZ_EUlSY_E_NS1_11comp_targetILNS1_3genE9ELNS1_11target_archE1100ELNS1_3gpuE3ELNS1_3repE0EEENS1_30default_config_static_selectorELNS0_4arch9wavefront6targetE1EEEvT1_,comdat
.Lfunc_end2173:
	.size	_ZN7rocprim17ROCPRIM_400000_NS6detail17trampoline_kernelINS0_14default_configENS1_27scan_by_key_config_selectorIj11FixedVectorIiLj8EEEEZZNS1_16scan_by_key_implILNS1_25lookback_scan_determinismE0ELb1ES3_N6thrust23THRUST_200600_302600_NS6detail15normal_iteratorINSB_10device_ptrIjEEEENSD_INSE_IS6_EEEESI_S6_NSB_4plusIvEENSB_8equal_toIvEES6_EE10hipError_tPvRmT2_T3_T4_T5_mT6_T7_P12ihipStream_tbENKUlT_T0_E_clISt17integral_constantIbLb1EES13_EEDaSY_SZ_EUlSY_E_NS1_11comp_targetILNS1_3genE9ELNS1_11target_archE1100ELNS1_3gpuE3ELNS1_3repE0EEENS1_30default_config_static_selectorELNS0_4arch9wavefront6targetE1EEEvT1_, .Lfunc_end2173-_ZN7rocprim17ROCPRIM_400000_NS6detail17trampoline_kernelINS0_14default_configENS1_27scan_by_key_config_selectorIj11FixedVectorIiLj8EEEEZZNS1_16scan_by_key_implILNS1_25lookback_scan_determinismE0ELb1ES3_N6thrust23THRUST_200600_302600_NS6detail15normal_iteratorINSB_10device_ptrIjEEEENSD_INSE_IS6_EEEESI_S6_NSB_4plusIvEENSB_8equal_toIvEES6_EE10hipError_tPvRmT2_T3_T4_T5_mT6_T7_P12ihipStream_tbENKUlT_T0_E_clISt17integral_constantIbLb1EES13_EEDaSY_SZ_EUlSY_E_NS1_11comp_targetILNS1_3genE9ELNS1_11target_archE1100ELNS1_3gpuE3ELNS1_3repE0EEENS1_30default_config_static_selectorELNS0_4arch9wavefront6targetE1EEEvT1_
                                        ; -- End function
	.section	.AMDGPU.csdata,"",@progbits
; Kernel info:
; codeLenInByte = 0
; NumSgprs: 4
; NumVgprs: 0
; NumAgprs: 0
; TotalNumVgprs: 0
; ScratchSize: 0
; MemoryBound: 0
; FloatMode: 240
; IeeeMode: 1
; LDSByteSize: 0 bytes/workgroup (compile time only)
; SGPRBlocks: 0
; VGPRBlocks: 0
; NumSGPRsForWavesPerEU: 4
; NumVGPRsForWavesPerEU: 1
; AccumOffset: 4
; Occupancy: 8
; WaveLimiterHint : 0
; COMPUTE_PGM_RSRC2:SCRATCH_EN: 0
; COMPUTE_PGM_RSRC2:USER_SGPR: 6
; COMPUTE_PGM_RSRC2:TRAP_HANDLER: 0
; COMPUTE_PGM_RSRC2:TGID_X_EN: 1
; COMPUTE_PGM_RSRC2:TGID_Y_EN: 0
; COMPUTE_PGM_RSRC2:TGID_Z_EN: 0
; COMPUTE_PGM_RSRC2:TIDIG_COMP_CNT: 0
; COMPUTE_PGM_RSRC3_GFX90A:ACCUM_OFFSET: 0
; COMPUTE_PGM_RSRC3_GFX90A:TG_SPLIT: 0
	.section	.text._ZN7rocprim17ROCPRIM_400000_NS6detail17trampoline_kernelINS0_14default_configENS1_27scan_by_key_config_selectorIj11FixedVectorIiLj8EEEEZZNS1_16scan_by_key_implILNS1_25lookback_scan_determinismE0ELb1ES3_N6thrust23THRUST_200600_302600_NS6detail15normal_iteratorINSB_10device_ptrIjEEEENSD_INSE_IS6_EEEESI_S6_NSB_4plusIvEENSB_8equal_toIvEES6_EE10hipError_tPvRmT2_T3_T4_T5_mT6_T7_P12ihipStream_tbENKUlT_T0_E_clISt17integral_constantIbLb1EES13_EEDaSY_SZ_EUlSY_E_NS1_11comp_targetILNS1_3genE8ELNS1_11target_archE1030ELNS1_3gpuE2ELNS1_3repE0EEENS1_30default_config_static_selectorELNS0_4arch9wavefront6targetE1EEEvT1_,"axG",@progbits,_ZN7rocprim17ROCPRIM_400000_NS6detail17trampoline_kernelINS0_14default_configENS1_27scan_by_key_config_selectorIj11FixedVectorIiLj8EEEEZZNS1_16scan_by_key_implILNS1_25lookback_scan_determinismE0ELb1ES3_N6thrust23THRUST_200600_302600_NS6detail15normal_iteratorINSB_10device_ptrIjEEEENSD_INSE_IS6_EEEESI_S6_NSB_4plusIvEENSB_8equal_toIvEES6_EE10hipError_tPvRmT2_T3_T4_T5_mT6_T7_P12ihipStream_tbENKUlT_T0_E_clISt17integral_constantIbLb1EES13_EEDaSY_SZ_EUlSY_E_NS1_11comp_targetILNS1_3genE8ELNS1_11target_archE1030ELNS1_3gpuE2ELNS1_3repE0EEENS1_30default_config_static_selectorELNS0_4arch9wavefront6targetE1EEEvT1_,comdat
	.protected	_ZN7rocprim17ROCPRIM_400000_NS6detail17trampoline_kernelINS0_14default_configENS1_27scan_by_key_config_selectorIj11FixedVectorIiLj8EEEEZZNS1_16scan_by_key_implILNS1_25lookback_scan_determinismE0ELb1ES3_N6thrust23THRUST_200600_302600_NS6detail15normal_iteratorINSB_10device_ptrIjEEEENSD_INSE_IS6_EEEESI_S6_NSB_4plusIvEENSB_8equal_toIvEES6_EE10hipError_tPvRmT2_T3_T4_T5_mT6_T7_P12ihipStream_tbENKUlT_T0_E_clISt17integral_constantIbLb1EES13_EEDaSY_SZ_EUlSY_E_NS1_11comp_targetILNS1_3genE8ELNS1_11target_archE1030ELNS1_3gpuE2ELNS1_3repE0EEENS1_30default_config_static_selectorELNS0_4arch9wavefront6targetE1EEEvT1_ ; -- Begin function _ZN7rocprim17ROCPRIM_400000_NS6detail17trampoline_kernelINS0_14default_configENS1_27scan_by_key_config_selectorIj11FixedVectorIiLj8EEEEZZNS1_16scan_by_key_implILNS1_25lookback_scan_determinismE0ELb1ES3_N6thrust23THRUST_200600_302600_NS6detail15normal_iteratorINSB_10device_ptrIjEEEENSD_INSE_IS6_EEEESI_S6_NSB_4plusIvEENSB_8equal_toIvEES6_EE10hipError_tPvRmT2_T3_T4_T5_mT6_T7_P12ihipStream_tbENKUlT_T0_E_clISt17integral_constantIbLb1EES13_EEDaSY_SZ_EUlSY_E_NS1_11comp_targetILNS1_3genE8ELNS1_11target_archE1030ELNS1_3gpuE2ELNS1_3repE0EEENS1_30default_config_static_selectorELNS0_4arch9wavefront6targetE1EEEvT1_
	.globl	_ZN7rocprim17ROCPRIM_400000_NS6detail17trampoline_kernelINS0_14default_configENS1_27scan_by_key_config_selectorIj11FixedVectorIiLj8EEEEZZNS1_16scan_by_key_implILNS1_25lookback_scan_determinismE0ELb1ES3_N6thrust23THRUST_200600_302600_NS6detail15normal_iteratorINSB_10device_ptrIjEEEENSD_INSE_IS6_EEEESI_S6_NSB_4plusIvEENSB_8equal_toIvEES6_EE10hipError_tPvRmT2_T3_T4_T5_mT6_T7_P12ihipStream_tbENKUlT_T0_E_clISt17integral_constantIbLb1EES13_EEDaSY_SZ_EUlSY_E_NS1_11comp_targetILNS1_3genE8ELNS1_11target_archE1030ELNS1_3gpuE2ELNS1_3repE0EEENS1_30default_config_static_selectorELNS0_4arch9wavefront6targetE1EEEvT1_
	.p2align	8
	.type	_ZN7rocprim17ROCPRIM_400000_NS6detail17trampoline_kernelINS0_14default_configENS1_27scan_by_key_config_selectorIj11FixedVectorIiLj8EEEEZZNS1_16scan_by_key_implILNS1_25lookback_scan_determinismE0ELb1ES3_N6thrust23THRUST_200600_302600_NS6detail15normal_iteratorINSB_10device_ptrIjEEEENSD_INSE_IS6_EEEESI_S6_NSB_4plusIvEENSB_8equal_toIvEES6_EE10hipError_tPvRmT2_T3_T4_T5_mT6_T7_P12ihipStream_tbENKUlT_T0_E_clISt17integral_constantIbLb1EES13_EEDaSY_SZ_EUlSY_E_NS1_11comp_targetILNS1_3genE8ELNS1_11target_archE1030ELNS1_3gpuE2ELNS1_3repE0EEENS1_30default_config_static_selectorELNS0_4arch9wavefront6targetE1EEEvT1_,@function
_ZN7rocprim17ROCPRIM_400000_NS6detail17trampoline_kernelINS0_14default_configENS1_27scan_by_key_config_selectorIj11FixedVectorIiLj8EEEEZZNS1_16scan_by_key_implILNS1_25lookback_scan_determinismE0ELb1ES3_N6thrust23THRUST_200600_302600_NS6detail15normal_iteratorINSB_10device_ptrIjEEEENSD_INSE_IS6_EEEESI_S6_NSB_4plusIvEENSB_8equal_toIvEES6_EE10hipError_tPvRmT2_T3_T4_T5_mT6_T7_P12ihipStream_tbENKUlT_T0_E_clISt17integral_constantIbLb1EES13_EEDaSY_SZ_EUlSY_E_NS1_11comp_targetILNS1_3genE8ELNS1_11target_archE1030ELNS1_3gpuE2ELNS1_3repE0EEENS1_30default_config_static_selectorELNS0_4arch9wavefront6targetE1EEEvT1_: ; @_ZN7rocprim17ROCPRIM_400000_NS6detail17trampoline_kernelINS0_14default_configENS1_27scan_by_key_config_selectorIj11FixedVectorIiLj8EEEEZZNS1_16scan_by_key_implILNS1_25lookback_scan_determinismE0ELb1ES3_N6thrust23THRUST_200600_302600_NS6detail15normal_iteratorINSB_10device_ptrIjEEEENSD_INSE_IS6_EEEESI_S6_NSB_4plusIvEENSB_8equal_toIvEES6_EE10hipError_tPvRmT2_T3_T4_T5_mT6_T7_P12ihipStream_tbENKUlT_T0_E_clISt17integral_constantIbLb1EES13_EEDaSY_SZ_EUlSY_E_NS1_11comp_targetILNS1_3genE8ELNS1_11target_archE1030ELNS1_3gpuE2ELNS1_3repE0EEENS1_30default_config_static_selectorELNS0_4arch9wavefront6targetE1EEEvT1_
; %bb.0:
	.section	.rodata,"a",@progbits
	.p2align	6, 0x0
	.amdhsa_kernel _ZN7rocprim17ROCPRIM_400000_NS6detail17trampoline_kernelINS0_14default_configENS1_27scan_by_key_config_selectorIj11FixedVectorIiLj8EEEEZZNS1_16scan_by_key_implILNS1_25lookback_scan_determinismE0ELb1ES3_N6thrust23THRUST_200600_302600_NS6detail15normal_iteratorINSB_10device_ptrIjEEEENSD_INSE_IS6_EEEESI_S6_NSB_4plusIvEENSB_8equal_toIvEES6_EE10hipError_tPvRmT2_T3_T4_T5_mT6_T7_P12ihipStream_tbENKUlT_T0_E_clISt17integral_constantIbLb1EES13_EEDaSY_SZ_EUlSY_E_NS1_11comp_targetILNS1_3genE8ELNS1_11target_archE1030ELNS1_3gpuE2ELNS1_3repE0EEENS1_30default_config_static_selectorELNS0_4arch9wavefront6targetE1EEEvT1_
		.amdhsa_group_segment_fixed_size 0
		.amdhsa_private_segment_fixed_size 0
		.amdhsa_kernarg_size 160
		.amdhsa_user_sgpr_count 6
		.amdhsa_user_sgpr_private_segment_buffer 1
		.amdhsa_user_sgpr_dispatch_ptr 0
		.amdhsa_user_sgpr_queue_ptr 0
		.amdhsa_user_sgpr_kernarg_segment_ptr 1
		.amdhsa_user_sgpr_dispatch_id 0
		.amdhsa_user_sgpr_flat_scratch_init 0
		.amdhsa_user_sgpr_kernarg_preload_length 0
		.amdhsa_user_sgpr_kernarg_preload_offset 0
		.amdhsa_user_sgpr_private_segment_size 0
		.amdhsa_uses_dynamic_stack 0
		.amdhsa_system_sgpr_private_segment_wavefront_offset 0
		.amdhsa_system_sgpr_workgroup_id_x 1
		.amdhsa_system_sgpr_workgroup_id_y 0
		.amdhsa_system_sgpr_workgroup_id_z 0
		.amdhsa_system_sgpr_workgroup_info 0
		.amdhsa_system_vgpr_workitem_id 0
		.amdhsa_next_free_vgpr 1
		.amdhsa_next_free_sgpr 0
		.amdhsa_accum_offset 4
		.amdhsa_reserve_vcc 0
		.amdhsa_reserve_flat_scratch 0
		.amdhsa_float_round_mode_32 0
		.amdhsa_float_round_mode_16_64 0
		.amdhsa_float_denorm_mode_32 3
		.amdhsa_float_denorm_mode_16_64 3
		.amdhsa_dx10_clamp 1
		.amdhsa_ieee_mode 1
		.amdhsa_fp16_overflow 0
		.amdhsa_tg_split 0
		.amdhsa_exception_fp_ieee_invalid_op 0
		.amdhsa_exception_fp_denorm_src 0
		.amdhsa_exception_fp_ieee_div_zero 0
		.amdhsa_exception_fp_ieee_overflow 0
		.amdhsa_exception_fp_ieee_underflow 0
		.amdhsa_exception_fp_ieee_inexact 0
		.amdhsa_exception_int_div_zero 0
	.end_amdhsa_kernel
	.section	.text._ZN7rocprim17ROCPRIM_400000_NS6detail17trampoline_kernelINS0_14default_configENS1_27scan_by_key_config_selectorIj11FixedVectorIiLj8EEEEZZNS1_16scan_by_key_implILNS1_25lookback_scan_determinismE0ELb1ES3_N6thrust23THRUST_200600_302600_NS6detail15normal_iteratorINSB_10device_ptrIjEEEENSD_INSE_IS6_EEEESI_S6_NSB_4plusIvEENSB_8equal_toIvEES6_EE10hipError_tPvRmT2_T3_T4_T5_mT6_T7_P12ihipStream_tbENKUlT_T0_E_clISt17integral_constantIbLb1EES13_EEDaSY_SZ_EUlSY_E_NS1_11comp_targetILNS1_3genE8ELNS1_11target_archE1030ELNS1_3gpuE2ELNS1_3repE0EEENS1_30default_config_static_selectorELNS0_4arch9wavefront6targetE1EEEvT1_,"axG",@progbits,_ZN7rocprim17ROCPRIM_400000_NS6detail17trampoline_kernelINS0_14default_configENS1_27scan_by_key_config_selectorIj11FixedVectorIiLj8EEEEZZNS1_16scan_by_key_implILNS1_25lookback_scan_determinismE0ELb1ES3_N6thrust23THRUST_200600_302600_NS6detail15normal_iteratorINSB_10device_ptrIjEEEENSD_INSE_IS6_EEEESI_S6_NSB_4plusIvEENSB_8equal_toIvEES6_EE10hipError_tPvRmT2_T3_T4_T5_mT6_T7_P12ihipStream_tbENKUlT_T0_E_clISt17integral_constantIbLb1EES13_EEDaSY_SZ_EUlSY_E_NS1_11comp_targetILNS1_3genE8ELNS1_11target_archE1030ELNS1_3gpuE2ELNS1_3repE0EEENS1_30default_config_static_selectorELNS0_4arch9wavefront6targetE1EEEvT1_,comdat
.Lfunc_end2174:
	.size	_ZN7rocprim17ROCPRIM_400000_NS6detail17trampoline_kernelINS0_14default_configENS1_27scan_by_key_config_selectorIj11FixedVectorIiLj8EEEEZZNS1_16scan_by_key_implILNS1_25lookback_scan_determinismE0ELb1ES3_N6thrust23THRUST_200600_302600_NS6detail15normal_iteratorINSB_10device_ptrIjEEEENSD_INSE_IS6_EEEESI_S6_NSB_4plusIvEENSB_8equal_toIvEES6_EE10hipError_tPvRmT2_T3_T4_T5_mT6_T7_P12ihipStream_tbENKUlT_T0_E_clISt17integral_constantIbLb1EES13_EEDaSY_SZ_EUlSY_E_NS1_11comp_targetILNS1_3genE8ELNS1_11target_archE1030ELNS1_3gpuE2ELNS1_3repE0EEENS1_30default_config_static_selectorELNS0_4arch9wavefront6targetE1EEEvT1_, .Lfunc_end2174-_ZN7rocprim17ROCPRIM_400000_NS6detail17trampoline_kernelINS0_14default_configENS1_27scan_by_key_config_selectorIj11FixedVectorIiLj8EEEEZZNS1_16scan_by_key_implILNS1_25lookback_scan_determinismE0ELb1ES3_N6thrust23THRUST_200600_302600_NS6detail15normal_iteratorINSB_10device_ptrIjEEEENSD_INSE_IS6_EEEESI_S6_NSB_4plusIvEENSB_8equal_toIvEES6_EE10hipError_tPvRmT2_T3_T4_T5_mT6_T7_P12ihipStream_tbENKUlT_T0_E_clISt17integral_constantIbLb1EES13_EEDaSY_SZ_EUlSY_E_NS1_11comp_targetILNS1_3genE8ELNS1_11target_archE1030ELNS1_3gpuE2ELNS1_3repE0EEENS1_30default_config_static_selectorELNS0_4arch9wavefront6targetE1EEEvT1_
                                        ; -- End function
	.section	.AMDGPU.csdata,"",@progbits
; Kernel info:
; codeLenInByte = 0
; NumSgprs: 4
; NumVgprs: 0
; NumAgprs: 0
; TotalNumVgprs: 0
; ScratchSize: 0
; MemoryBound: 0
; FloatMode: 240
; IeeeMode: 1
; LDSByteSize: 0 bytes/workgroup (compile time only)
; SGPRBlocks: 0
; VGPRBlocks: 0
; NumSGPRsForWavesPerEU: 4
; NumVGPRsForWavesPerEU: 1
; AccumOffset: 4
; Occupancy: 8
; WaveLimiterHint : 0
; COMPUTE_PGM_RSRC2:SCRATCH_EN: 0
; COMPUTE_PGM_RSRC2:USER_SGPR: 6
; COMPUTE_PGM_RSRC2:TRAP_HANDLER: 0
; COMPUTE_PGM_RSRC2:TGID_X_EN: 1
; COMPUTE_PGM_RSRC2:TGID_Y_EN: 0
; COMPUTE_PGM_RSRC2:TGID_Z_EN: 0
; COMPUTE_PGM_RSRC2:TIDIG_COMP_CNT: 0
; COMPUTE_PGM_RSRC3_GFX90A:ACCUM_OFFSET: 0
; COMPUTE_PGM_RSRC3_GFX90A:TG_SPLIT: 0
	.section	.text._ZN7rocprim17ROCPRIM_400000_NS6detail17trampoline_kernelINS0_14default_configENS1_27scan_by_key_config_selectorIj11FixedVectorIiLj8EEEEZZNS1_16scan_by_key_implILNS1_25lookback_scan_determinismE0ELb1ES3_N6thrust23THRUST_200600_302600_NS6detail15normal_iteratorINSB_10device_ptrIjEEEENSD_INSE_IS6_EEEESI_S6_NSB_4plusIvEENSB_8equal_toIvEES6_EE10hipError_tPvRmT2_T3_T4_T5_mT6_T7_P12ihipStream_tbENKUlT_T0_E_clISt17integral_constantIbLb1EES12_IbLb0EEEEDaSY_SZ_EUlSY_E_NS1_11comp_targetILNS1_3genE0ELNS1_11target_archE4294967295ELNS1_3gpuE0ELNS1_3repE0EEENS1_30default_config_static_selectorELNS0_4arch9wavefront6targetE1EEEvT1_,"axG",@progbits,_ZN7rocprim17ROCPRIM_400000_NS6detail17trampoline_kernelINS0_14default_configENS1_27scan_by_key_config_selectorIj11FixedVectorIiLj8EEEEZZNS1_16scan_by_key_implILNS1_25lookback_scan_determinismE0ELb1ES3_N6thrust23THRUST_200600_302600_NS6detail15normal_iteratorINSB_10device_ptrIjEEEENSD_INSE_IS6_EEEESI_S6_NSB_4plusIvEENSB_8equal_toIvEES6_EE10hipError_tPvRmT2_T3_T4_T5_mT6_T7_P12ihipStream_tbENKUlT_T0_E_clISt17integral_constantIbLb1EES12_IbLb0EEEEDaSY_SZ_EUlSY_E_NS1_11comp_targetILNS1_3genE0ELNS1_11target_archE4294967295ELNS1_3gpuE0ELNS1_3repE0EEENS1_30default_config_static_selectorELNS0_4arch9wavefront6targetE1EEEvT1_,comdat
	.protected	_ZN7rocprim17ROCPRIM_400000_NS6detail17trampoline_kernelINS0_14default_configENS1_27scan_by_key_config_selectorIj11FixedVectorIiLj8EEEEZZNS1_16scan_by_key_implILNS1_25lookback_scan_determinismE0ELb1ES3_N6thrust23THRUST_200600_302600_NS6detail15normal_iteratorINSB_10device_ptrIjEEEENSD_INSE_IS6_EEEESI_S6_NSB_4plusIvEENSB_8equal_toIvEES6_EE10hipError_tPvRmT2_T3_T4_T5_mT6_T7_P12ihipStream_tbENKUlT_T0_E_clISt17integral_constantIbLb1EES12_IbLb0EEEEDaSY_SZ_EUlSY_E_NS1_11comp_targetILNS1_3genE0ELNS1_11target_archE4294967295ELNS1_3gpuE0ELNS1_3repE0EEENS1_30default_config_static_selectorELNS0_4arch9wavefront6targetE1EEEvT1_ ; -- Begin function _ZN7rocprim17ROCPRIM_400000_NS6detail17trampoline_kernelINS0_14default_configENS1_27scan_by_key_config_selectorIj11FixedVectorIiLj8EEEEZZNS1_16scan_by_key_implILNS1_25lookback_scan_determinismE0ELb1ES3_N6thrust23THRUST_200600_302600_NS6detail15normal_iteratorINSB_10device_ptrIjEEEENSD_INSE_IS6_EEEESI_S6_NSB_4plusIvEENSB_8equal_toIvEES6_EE10hipError_tPvRmT2_T3_T4_T5_mT6_T7_P12ihipStream_tbENKUlT_T0_E_clISt17integral_constantIbLb1EES12_IbLb0EEEEDaSY_SZ_EUlSY_E_NS1_11comp_targetILNS1_3genE0ELNS1_11target_archE4294967295ELNS1_3gpuE0ELNS1_3repE0EEENS1_30default_config_static_selectorELNS0_4arch9wavefront6targetE1EEEvT1_
	.globl	_ZN7rocprim17ROCPRIM_400000_NS6detail17trampoline_kernelINS0_14default_configENS1_27scan_by_key_config_selectorIj11FixedVectorIiLj8EEEEZZNS1_16scan_by_key_implILNS1_25lookback_scan_determinismE0ELb1ES3_N6thrust23THRUST_200600_302600_NS6detail15normal_iteratorINSB_10device_ptrIjEEEENSD_INSE_IS6_EEEESI_S6_NSB_4plusIvEENSB_8equal_toIvEES6_EE10hipError_tPvRmT2_T3_T4_T5_mT6_T7_P12ihipStream_tbENKUlT_T0_E_clISt17integral_constantIbLb1EES12_IbLb0EEEEDaSY_SZ_EUlSY_E_NS1_11comp_targetILNS1_3genE0ELNS1_11target_archE4294967295ELNS1_3gpuE0ELNS1_3repE0EEENS1_30default_config_static_selectorELNS0_4arch9wavefront6targetE1EEEvT1_
	.p2align	8
	.type	_ZN7rocprim17ROCPRIM_400000_NS6detail17trampoline_kernelINS0_14default_configENS1_27scan_by_key_config_selectorIj11FixedVectorIiLj8EEEEZZNS1_16scan_by_key_implILNS1_25lookback_scan_determinismE0ELb1ES3_N6thrust23THRUST_200600_302600_NS6detail15normal_iteratorINSB_10device_ptrIjEEEENSD_INSE_IS6_EEEESI_S6_NSB_4plusIvEENSB_8equal_toIvEES6_EE10hipError_tPvRmT2_T3_T4_T5_mT6_T7_P12ihipStream_tbENKUlT_T0_E_clISt17integral_constantIbLb1EES12_IbLb0EEEEDaSY_SZ_EUlSY_E_NS1_11comp_targetILNS1_3genE0ELNS1_11target_archE4294967295ELNS1_3gpuE0ELNS1_3repE0EEENS1_30default_config_static_selectorELNS0_4arch9wavefront6targetE1EEEvT1_,@function
_ZN7rocprim17ROCPRIM_400000_NS6detail17trampoline_kernelINS0_14default_configENS1_27scan_by_key_config_selectorIj11FixedVectorIiLj8EEEEZZNS1_16scan_by_key_implILNS1_25lookback_scan_determinismE0ELb1ES3_N6thrust23THRUST_200600_302600_NS6detail15normal_iteratorINSB_10device_ptrIjEEEENSD_INSE_IS6_EEEESI_S6_NSB_4plusIvEENSB_8equal_toIvEES6_EE10hipError_tPvRmT2_T3_T4_T5_mT6_T7_P12ihipStream_tbENKUlT_T0_E_clISt17integral_constantIbLb1EES12_IbLb0EEEEDaSY_SZ_EUlSY_E_NS1_11comp_targetILNS1_3genE0ELNS1_11target_archE4294967295ELNS1_3gpuE0ELNS1_3repE0EEENS1_30default_config_static_selectorELNS0_4arch9wavefront6targetE1EEEvT1_: ; @_ZN7rocprim17ROCPRIM_400000_NS6detail17trampoline_kernelINS0_14default_configENS1_27scan_by_key_config_selectorIj11FixedVectorIiLj8EEEEZZNS1_16scan_by_key_implILNS1_25lookback_scan_determinismE0ELb1ES3_N6thrust23THRUST_200600_302600_NS6detail15normal_iteratorINSB_10device_ptrIjEEEENSD_INSE_IS6_EEEESI_S6_NSB_4plusIvEENSB_8equal_toIvEES6_EE10hipError_tPvRmT2_T3_T4_T5_mT6_T7_P12ihipStream_tbENKUlT_T0_E_clISt17integral_constantIbLb1EES12_IbLb0EEEEDaSY_SZ_EUlSY_E_NS1_11comp_targetILNS1_3genE0ELNS1_11target_archE4294967295ELNS1_3gpuE0ELNS1_3repE0EEENS1_30default_config_static_selectorELNS0_4arch9wavefront6targetE1EEEvT1_
; %bb.0:
	.section	.rodata,"a",@progbits
	.p2align	6, 0x0
	.amdhsa_kernel _ZN7rocprim17ROCPRIM_400000_NS6detail17trampoline_kernelINS0_14default_configENS1_27scan_by_key_config_selectorIj11FixedVectorIiLj8EEEEZZNS1_16scan_by_key_implILNS1_25lookback_scan_determinismE0ELb1ES3_N6thrust23THRUST_200600_302600_NS6detail15normal_iteratorINSB_10device_ptrIjEEEENSD_INSE_IS6_EEEESI_S6_NSB_4plusIvEENSB_8equal_toIvEES6_EE10hipError_tPvRmT2_T3_T4_T5_mT6_T7_P12ihipStream_tbENKUlT_T0_E_clISt17integral_constantIbLb1EES12_IbLb0EEEEDaSY_SZ_EUlSY_E_NS1_11comp_targetILNS1_3genE0ELNS1_11target_archE4294967295ELNS1_3gpuE0ELNS1_3repE0EEENS1_30default_config_static_selectorELNS0_4arch9wavefront6targetE1EEEvT1_
		.amdhsa_group_segment_fixed_size 0
		.amdhsa_private_segment_fixed_size 0
		.amdhsa_kernarg_size 160
		.amdhsa_user_sgpr_count 6
		.amdhsa_user_sgpr_private_segment_buffer 1
		.amdhsa_user_sgpr_dispatch_ptr 0
		.amdhsa_user_sgpr_queue_ptr 0
		.amdhsa_user_sgpr_kernarg_segment_ptr 1
		.amdhsa_user_sgpr_dispatch_id 0
		.amdhsa_user_sgpr_flat_scratch_init 0
		.amdhsa_user_sgpr_kernarg_preload_length 0
		.amdhsa_user_sgpr_kernarg_preload_offset 0
		.amdhsa_user_sgpr_private_segment_size 0
		.amdhsa_uses_dynamic_stack 0
		.amdhsa_system_sgpr_private_segment_wavefront_offset 0
		.amdhsa_system_sgpr_workgroup_id_x 1
		.amdhsa_system_sgpr_workgroup_id_y 0
		.amdhsa_system_sgpr_workgroup_id_z 0
		.amdhsa_system_sgpr_workgroup_info 0
		.amdhsa_system_vgpr_workitem_id 0
		.amdhsa_next_free_vgpr 1
		.amdhsa_next_free_sgpr 0
		.amdhsa_accum_offset 4
		.amdhsa_reserve_vcc 0
		.amdhsa_reserve_flat_scratch 0
		.amdhsa_float_round_mode_32 0
		.amdhsa_float_round_mode_16_64 0
		.amdhsa_float_denorm_mode_32 3
		.amdhsa_float_denorm_mode_16_64 3
		.amdhsa_dx10_clamp 1
		.amdhsa_ieee_mode 1
		.amdhsa_fp16_overflow 0
		.amdhsa_tg_split 0
		.amdhsa_exception_fp_ieee_invalid_op 0
		.amdhsa_exception_fp_denorm_src 0
		.amdhsa_exception_fp_ieee_div_zero 0
		.amdhsa_exception_fp_ieee_overflow 0
		.amdhsa_exception_fp_ieee_underflow 0
		.amdhsa_exception_fp_ieee_inexact 0
		.amdhsa_exception_int_div_zero 0
	.end_amdhsa_kernel
	.section	.text._ZN7rocprim17ROCPRIM_400000_NS6detail17trampoline_kernelINS0_14default_configENS1_27scan_by_key_config_selectorIj11FixedVectorIiLj8EEEEZZNS1_16scan_by_key_implILNS1_25lookback_scan_determinismE0ELb1ES3_N6thrust23THRUST_200600_302600_NS6detail15normal_iteratorINSB_10device_ptrIjEEEENSD_INSE_IS6_EEEESI_S6_NSB_4plusIvEENSB_8equal_toIvEES6_EE10hipError_tPvRmT2_T3_T4_T5_mT6_T7_P12ihipStream_tbENKUlT_T0_E_clISt17integral_constantIbLb1EES12_IbLb0EEEEDaSY_SZ_EUlSY_E_NS1_11comp_targetILNS1_3genE0ELNS1_11target_archE4294967295ELNS1_3gpuE0ELNS1_3repE0EEENS1_30default_config_static_selectorELNS0_4arch9wavefront6targetE1EEEvT1_,"axG",@progbits,_ZN7rocprim17ROCPRIM_400000_NS6detail17trampoline_kernelINS0_14default_configENS1_27scan_by_key_config_selectorIj11FixedVectorIiLj8EEEEZZNS1_16scan_by_key_implILNS1_25lookback_scan_determinismE0ELb1ES3_N6thrust23THRUST_200600_302600_NS6detail15normal_iteratorINSB_10device_ptrIjEEEENSD_INSE_IS6_EEEESI_S6_NSB_4plusIvEENSB_8equal_toIvEES6_EE10hipError_tPvRmT2_T3_T4_T5_mT6_T7_P12ihipStream_tbENKUlT_T0_E_clISt17integral_constantIbLb1EES12_IbLb0EEEEDaSY_SZ_EUlSY_E_NS1_11comp_targetILNS1_3genE0ELNS1_11target_archE4294967295ELNS1_3gpuE0ELNS1_3repE0EEENS1_30default_config_static_selectorELNS0_4arch9wavefront6targetE1EEEvT1_,comdat
.Lfunc_end2175:
	.size	_ZN7rocprim17ROCPRIM_400000_NS6detail17trampoline_kernelINS0_14default_configENS1_27scan_by_key_config_selectorIj11FixedVectorIiLj8EEEEZZNS1_16scan_by_key_implILNS1_25lookback_scan_determinismE0ELb1ES3_N6thrust23THRUST_200600_302600_NS6detail15normal_iteratorINSB_10device_ptrIjEEEENSD_INSE_IS6_EEEESI_S6_NSB_4plusIvEENSB_8equal_toIvEES6_EE10hipError_tPvRmT2_T3_T4_T5_mT6_T7_P12ihipStream_tbENKUlT_T0_E_clISt17integral_constantIbLb1EES12_IbLb0EEEEDaSY_SZ_EUlSY_E_NS1_11comp_targetILNS1_3genE0ELNS1_11target_archE4294967295ELNS1_3gpuE0ELNS1_3repE0EEENS1_30default_config_static_selectorELNS0_4arch9wavefront6targetE1EEEvT1_, .Lfunc_end2175-_ZN7rocprim17ROCPRIM_400000_NS6detail17trampoline_kernelINS0_14default_configENS1_27scan_by_key_config_selectorIj11FixedVectorIiLj8EEEEZZNS1_16scan_by_key_implILNS1_25lookback_scan_determinismE0ELb1ES3_N6thrust23THRUST_200600_302600_NS6detail15normal_iteratorINSB_10device_ptrIjEEEENSD_INSE_IS6_EEEESI_S6_NSB_4plusIvEENSB_8equal_toIvEES6_EE10hipError_tPvRmT2_T3_T4_T5_mT6_T7_P12ihipStream_tbENKUlT_T0_E_clISt17integral_constantIbLb1EES12_IbLb0EEEEDaSY_SZ_EUlSY_E_NS1_11comp_targetILNS1_3genE0ELNS1_11target_archE4294967295ELNS1_3gpuE0ELNS1_3repE0EEENS1_30default_config_static_selectorELNS0_4arch9wavefront6targetE1EEEvT1_
                                        ; -- End function
	.section	.AMDGPU.csdata,"",@progbits
; Kernel info:
; codeLenInByte = 0
; NumSgprs: 4
; NumVgprs: 0
; NumAgprs: 0
; TotalNumVgprs: 0
; ScratchSize: 0
; MemoryBound: 0
; FloatMode: 240
; IeeeMode: 1
; LDSByteSize: 0 bytes/workgroup (compile time only)
; SGPRBlocks: 0
; VGPRBlocks: 0
; NumSGPRsForWavesPerEU: 4
; NumVGPRsForWavesPerEU: 1
; AccumOffset: 4
; Occupancy: 8
; WaveLimiterHint : 0
; COMPUTE_PGM_RSRC2:SCRATCH_EN: 0
; COMPUTE_PGM_RSRC2:USER_SGPR: 6
; COMPUTE_PGM_RSRC2:TRAP_HANDLER: 0
; COMPUTE_PGM_RSRC2:TGID_X_EN: 1
; COMPUTE_PGM_RSRC2:TGID_Y_EN: 0
; COMPUTE_PGM_RSRC2:TGID_Z_EN: 0
; COMPUTE_PGM_RSRC2:TIDIG_COMP_CNT: 0
; COMPUTE_PGM_RSRC3_GFX90A:ACCUM_OFFSET: 0
; COMPUTE_PGM_RSRC3_GFX90A:TG_SPLIT: 0
	.section	.text._ZN7rocprim17ROCPRIM_400000_NS6detail17trampoline_kernelINS0_14default_configENS1_27scan_by_key_config_selectorIj11FixedVectorIiLj8EEEEZZNS1_16scan_by_key_implILNS1_25lookback_scan_determinismE0ELb1ES3_N6thrust23THRUST_200600_302600_NS6detail15normal_iteratorINSB_10device_ptrIjEEEENSD_INSE_IS6_EEEESI_S6_NSB_4plusIvEENSB_8equal_toIvEES6_EE10hipError_tPvRmT2_T3_T4_T5_mT6_T7_P12ihipStream_tbENKUlT_T0_E_clISt17integral_constantIbLb1EES12_IbLb0EEEEDaSY_SZ_EUlSY_E_NS1_11comp_targetILNS1_3genE10ELNS1_11target_archE1201ELNS1_3gpuE5ELNS1_3repE0EEENS1_30default_config_static_selectorELNS0_4arch9wavefront6targetE1EEEvT1_,"axG",@progbits,_ZN7rocprim17ROCPRIM_400000_NS6detail17trampoline_kernelINS0_14default_configENS1_27scan_by_key_config_selectorIj11FixedVectorIiLj8EEEEZZNS1_16scan_by_key_implILNS1_25lookback_scan_determinismE0ELb1ES3_N6thrust23THRUST_200600_302600_NS6detail15normal_iteratorINSB_10device_ptrIjEEEENSD_INSE_IS6_EEEESI_S6_NSB_4plusIvEENSB_8equal_toIvEES6_EE10hipError_tPvRmT2_T3_T4_T5_mT6_T7_P12ihipStream_tbENKUlT_T0_E_clISt17integral_constantIbLb1EES12_IbLb0EEEEDaSY_SZ_EUlSY_E_NS1_11comp_targetILNS1_3genE10ELNS1_11target_archE1201ELNS1_3gpuE5ELNS1_3repE0EEENS1_30default_config_static_selectorELNS0_4arch9wavefront6targetE1EEEvT1_,comdat
	.protected	_ZN7rocprim17ROCPRIM_400000_NS6detail17trampoline_kernelINS0_14default_configENS1_27scan_by_key_config_selectorIj11FixedVectorIiLj8EEEEZZNS1_16scan_by_key_implILNS1_25lookback_scan_determinismE0ELb1ES3_N6thrust23THRUST_200600_302600_NS6detail15normal_iteratorINSB_10device_ptrIjEEEENSD_INSE_IS6_EEEESI_S6_NSB_4plusIvEENSB_8equal_toIvEES6_EE10hipError_tPvRmT2_T3_T4_T5_mT6_T7_P12ihipStream_tbENKUlT_T0_E_clISt17integral_constantIbLb1EES12_IbLb0EEEEDaSY_SZ_EUlSY_E_NS1_11comp_targetILNS1_3genE10ELNS1_11target_archE1201ELNS1_3gpuE5ELNS1_3repE0EEENS1_30default_config_static_selectorELNS0_4arch9wavefront6targetE1EEEvT1_ ; -- Begin function _ZN7rocprim17ROCPRIM_400000_NS6detail17trampoline_kernelINS0_14default_configENS1_27scan_by_key_config_selectorIj11FixedVectorIiLj8EEEEZZNS1_16scan_by_key_implILNS1_25lookback_scan_determinismE0ELb1ES3_N6thrust23THRUST_200600_302600_NS6detail15normal_iteratorINSB_10device_ptrIjEEEENSD_INSE_IS6_EEEESI_S6_NSB_4plusIvEENSB_8equal_toIvEES6_EE10hipError_tPvRmT2_T3_T4_T5_mT6_T7_P12ihipStream_tbENKUlT_T0_E_clISt17integral_constantIbLb1EES12_IbLb0EEEEDaSY_SZ_EUlSY_E_NS1_11comp_targetILNS1_3genE10ELNS1_11target_archE1201ELNS1_3gpuE5ELNS1_3repE0EEENS1_30default_config_static_selectorELNS0_4arch9wavefront6targetE1EEEvT1_
	.globl	_ZN7rocprim17ROCPRIM_400000_NS6detail17trampoline_kernelINS0_14default_configENS1_27scan_by_key_config_selectorIj11FixedVectorIiLj8EEEEZZNS1_16scan_by_key_implILNS1_25lookback_scan_determinismE0ELb1ES3_N6thrust23THRUST_200600_302600_NS6detail15normal_iteratorINSB_10device_ptrIjEEEENSD_INSE_IS6_EEEESI_S6_NSB_4plusIvEENSB_8equal_toIvEES6_EE10hipError_tPvRmT2_T3_T4_T5_mT6_T7_P12ihipStream_tbENKUlT_T0_E_clISt17integral_constantIbLb1EES12_IbLb0EEEEDaSY_SZ_EUlSY_E_NS1_11comp_targetILNS1_3genE10ELNS1_11target_archE1201ELNS1_3gpuE5ELNS1_3repE0EEENS1_30default_config_static_selectorELNS0_4arch9wavefront6targetE1EEEvT1_
	.p2align	8
	.type	_ZN7rocprim17ROCPRIM_400000_NS6detail17trampoline_kernelINS0_14default_configENS1_27scan_by_key_config_selectorIj11FixedVectorIiLj8EEEEZZNS1_16scan_by_key_implILNS1_25lookback_scan_determinismE0ELb1ES3_N6thrust23THRUST_200600_302600_NS6detail15normal_iteratorINSB_10device_ptrIjEEEENSD_INSE_IS6_EEEESI_S6_NSB_4plusIvEENSB_8equal_toIvEES6_EE10hipError_tPvRmT2_T3_T4_T5_mT6_T7_P12ihipStream_tbENKUlT_T0_E_clISt17integral_constantIbLb1EES12_IbLb0EEEEDaSY_SZ_EUlSY_E_NS1_11comp_targetILNS1_3genE10ELNS1_11target_archE1201ELNS1_3gpuE5ELNS1_3repE0EEENS1_30default_config_static_selectorELNS0_4arch9wavefront6targetE1EEEvT1_,@function
_ZN7rocprim17ROCPRIM_400000_NS6detail17trampoline_kernelINS0_14default_configENS1_27scan_by_key_config_selectorIj11FixedVectorIiLj8EEEEZZNS1_16scan_by_key_implILNS1_25lookback_scan_determinismE0ELb1ES3_N6thrust23THRUST_200600_302600_NS6detail15normal_iteratorINSB_10device_ptrIjEEEENSD_INSE_IS6_EEEESI_S6_NSB_4plusIvEENSB_8equal_toIvEES6_EE10hipError_tPvRmT2_T3_T4_T5_mT6_T7_P12ihipStream_tbENKUlT_T0_E_clISt17integral_constantIbLb1EES12_IbLb0EEEEDaSY_SZ_EUlSY_E_NS1_11comp_targetILNS1_3genE10ELNS1_11target_archE1201ELNS1_3gpuE5ELNS1_3repE0EEENS1_30default_config_static_selectorELNS0_4arch9wavefront6targetE1EEEvT1_: ; @_ZN7rocprim17ROCPRIM_400000_NS6detail17trampoline_kernelINS0_14default_configENS1_27scan_by_key_config_selectorIj11FixedVectorIiLj8EEEEZZNS1_16scan_by_key_implILNS1_25lookback_scan_determinismE0ELb1ES3_N6thrust23THRUST_200600_302600_NS6detail15normal_iteratorINSB_10device_ptrIjEEEENSD_INSE_IS6_EEEESI_S6_NSB_4plusIvEENSB_8equal_toIvEES6_EE10hipError_tPvRmT2_T3_T4_T5_mT6_T7_P12ihipStream_tbENKUlT_T0_E_clISt17integral_constantIbLb1EES12_IbLb0EEEEDaSY_SZ_EUlSY_E_NS1_11comp_targetILNS1_3genE10ELNS1_11target_archE1201ELNS1_3gpuE5ELNS1_3repE0EEENS1_30default_config_static_selectorELNS0_4arch9wavefront6targetE1EEEvT1_
; %bb.0:
	.section	.rodata,"a",@progbits
	.p2align	6, 0x0
	.amdhsa_kernel _ZN7rocprim17ROCPRIM_400000_NS6detail17trampoline_kernelINS0_14default_configENS1_27scan_by_key_config_selectorIj11FixedVectorIiLj8EEEEZZNS1_16scan_by_key_implILNS1_25lookback_scan_determinismE0ELb1ES3_N6thrust23THRUST_200600_302600_NS6detail15normal_iteratorINSB_10device_ptrIjEEEENSD_INSE_IS6_EEEESI_S6_NSB_4plusIvEENSB_8equal_toIvEES6_EE10hipError_tPvRmT2_T3_T4_T5_mT6_T7_P12ihipStream_tbENKUlT_T0_E_clISt17integral_constantIbLb1EES12_IbLb0EEEEDaSY_SZ_EUlSY_E_NS1_11comp_targetILNS1_3genE10ELNS1_11target_archE1201ELNS1_3gpuE5ELNS1_3repE0EEENS1_30default_config_static_selectorELNS0_4arch9wavefront6targetE1EEEvT1_
		.amdhsa_group_segment_fixed_size 0
		.amdhsa_private_segment_fixed_size 0
		.amdhsa_kernarg_size 160
		.amdhsa_user_sgpr_count 6
		.amdhsa_user_sgpr_private_segment_buffer 1
		.amdhsa_user_sgpr_dispatch_ptr 0
		.amdhsa_user_sgpr_queue_ptr 0
		.amdhsa_user_sgpr_kernarg_segment_ptr 1
		.amdhsa_user_sgpr_dispatch_id 0
		.amdhsa_user_sgpr_flat_scratch_init 0
		.amdhsa_user_sgpr_kernarg_preload_length 0
		.amdhsa_user_sgpr_kernarg_preload_offset 0
		.amdhsa_user_sgpr_private_segment_size 0
		.amdhsa_uses_dynamic_stack 0
		.amdhsa_system_sgpr_private_segment_wavefront_offset 0
		.amdhsa_system_sgpr_workgroup_id_x 1
		.amdhsa_system_sgpr_workgroup_id_y 0
		.amdhsa_system_sgpr_workgroup_id_z 0
		.amdhsa_system_sgpr_workgroup_info 0
		.amdhsa_system_vgpr_workitem_id 0
		.amdhsa_next_free_vgpr 1
		.amdhsa_next_free_sgpr 0
		.amdhsa_accum_offset 4
		.amdhsa_reserve_vcc 0
		.amdhsa_reserve_flat_scratch 0
		.amdhsa_float_round_mode_32 0
		.amdhsa_float_round_mode_16_64 0
		.amdhsa_float_denorm_mode_32 3
		.amdhsa_float_denorm_mode_16_64 3
		.amdhsa_dx10_clamp 1
		.amdhsa_ieee_mode 1
		.amdhsa_fp16_overflow 0
		.amdhsa_tg_split 0
		.amdhsa_exception_fp_ieee_invalid_op 0
		.amdhsa_exception_fp_denorm_src 0
		.amdhsa_exception_fp_ieee_div_zero 0
		.amdhsa_exception_fp_ieee_overflow 0
		.amdhsa_exception_fp_ieee_underflow 0
		.amdhsa_exception_fp_ieee_inexact 0
		.amdhsa_exception_int_div_zero 0
	.end_amdhsa_kernel
	.section	.text._ZN7rocprim17ROCPRIM_400000_NS6detail17trampoline_kernelINS0_14default_configENS1_27scan_by_key_config_selectorIj11FixedVectorIiLj8EEEEZZNS1_16scan_by_key_implILNS1_25lookback_scan_determinismE0ELb1ES3_N6thrust23THRUST_200600_302600_NS6detail15normal_iteratorINSB_10device_ptrIjEEEENSD_INSE_IS6_EEEESI_S6_NSB_4plusIvEENSB_8equal_toIvEES6_EE10hipError_tPvRmT2_T3_T4_T5_mT6_T7_P12ihipStream_tbENKUlT_T0_E_clISt17integral_constantIbLb1EES12_IbLb0EEEEDaSY_SZ_EUlSY_E_NS1_11comp_targetILNS1_3genE10ELNS1_11target_archE1201ELNS1_3gpuE5ELNS1_3repE0EEENS1_30default_config_static_selectorELNS0_4arch9wavefront6targetE1EEEvT1_,"axG",@progbits,_ZN7rocprim17ROCPRIM_400000_NS6detail17trampoline_kernelINS0_14default_configENS1_27scan_by_key_config_selectorIj11FixedVectorIiLj8EEEEZZNS1_16scan_by_key_implILNS1_25lookback_scan_determinismE0ELb1ES3_N6thrust23THRUST_200600_302600_NS6detail15normal_iteratorINSB_10device_ptrIjEEEENSD_INSE_IS6_EEEESI_S6_NSB_4plusIvEENSB_8equal_toIvEES6_EE10hipError_tPvRmT2_T3_T4_T5_mT6_T7_P12ihipStream_tbENKUlT_T0_E_clISt17integral_constantIbLb1EES12_IbLb0EEEEDaSY_SZ_EUlSY_E_NS1_11comp_targetILNS1_3genE10ELNS1_11target_archE1201ELNS1_3gpuE5ELNS1_3repE0EEENS1_30default_config_static_selectorELNS0_4arch9wavefront6targetE1EEEvT1_,comdat
.Lfunc_end2176:
	.size	_ZN7rocprim17ROCPRIM_400000_NS6detail17trampoline_kernelINS0_14default_configENS1_27scan_by_key_config_selectorIj11FixedVectorIiLj8EEEEZZNS1_16scan_by_key_implILNS1_25lookback_scan_determinismE0ELb1ES3_N6thrust23THRUST_200600_302600_NS6detail15normal_iteratorINSB_10device_ptrIjEEEENSD_INSE_IS6_EEEESI_S6_NSB_4plusIvEENSB_8equal_toIvEES6_EE10hipError_tPvRmT2_T3_T4_T5_mT6_T7_P12ihipStream_tbENKUlT_T0_E_clISt17integral_constantIbLb1EES12_IbLb0EEEEDaSY_SZ_EUlSY_E_NS1_11comp_targetILNS1_3genE10ELNS1_11target_archE1201ELNS1_3gpuE5ELNS1_3repE0EEENS1_30default_config_static_selectorELNS0_4arch9wavefront6targetE1EEEvT1_, .Lfunc_end2176-_ZN7rocprim17ROCPRIM_400000_NS6detail17trampoline_kernelINS0_14default_configENS1_27scan_by_key_config_selectorIj11FixedVectorIiLj8EEEEZZNS1_16scan_by_key_implILNS1_25lookback_scan_determinismE0ELb1ES3_N6thrust23THRUST_200600_302600_NS6detail15normal_iteratorINSB_10device_ptrIjEEEENSD_INSE_IS6_EEEESI_S6_NSB_4plusIvEENSB_8equal_toIvEES6_EE10hipError_tPvRmT2_T3_T4_T5_mT6_T7_P12ihipStream_tbENKUlT_T0_E_clISt17integral_constantIbLb1EES12_IbLb0EEEEDaSY_SZ_EUlSY_E_NS1_11comp_targetILNS1_3genE10ELNS1_11target_archE1201ELNS1_3gpuE5ELNS1_3repE0EEENS1_30default_config_static_selectorELNS0_4arch9wavefront6targetE1EEEvT1_
                                        ; -- End function
	.section	.AMDGPU.csdata,"",@progbits
; Kernel info:
; codeLenInByte = 0
; NumSgprs: 4
; NumVgprs: 0
; NumAgprs: 0
; TotalNumVgprs: 0
; ScratchSize: 0
; MemoryBound: 0
; FloatMode: 240
; IeeeMode: 1
; LDSByteSize: 0 bytes/workgroup (compile time only)
; SGPRBlocks: 0
; VGPRBlocks: 0
; NumSGPRsForWavesPerEU: 4
; NumVGPRsForWavesPerEU: 1
; AccumOffset: 4
; Occupancy: 8
; WaveLimiterHint : 0
; COMPUTE_PGM_RSRC2:SCRATCH_EN: 0
; COMPUTE_PGM_RSRC2:USER_SGPR: 6
; COMPUTE_PGM_RSRC2:TRAP_HANDLER: 0
; COMPUTE_PGM_RSRC2:TGID_X_EN: 1
; COMPUTE_PGM_RSRC2:TGID_Y_EN: 0
; COMPUTE_PGM_RSRC2:TGID_Z_EN: 0
; COMPUTE_PGM_RSRC2:TIDIG_COMP_CNT: 0
; COMPUTE_PGM_RSRC3_GFX90A:ACCUM_OFFSET: 0
; COMPUTE_PGM_RSRC3_GFX90A:TG_SPLIT: 0
	.section	.text._ZN7rocprim17ROCPRIM_400000_NS6detail17trampoline_kernelINS0_14default_configENS1_27scan_by_key_config_selectorIj11FixedVectorIiLj8EEEEZZNS1_16scan_by_key_implILNS1_25lookback_scan_determinismE0ELb1ES3_N6thrust23THRUST_200600_302600_NS6detail15normal_iteratorINSB_10device_ptrIjEEEENSD_INSE_IS6_EEEESI_S6_NSB_4plusIvEENSB_8equal_toIvEES6_EE10hipError_tPvRmT2_T3_T4_T5_mT6_T7_P12ihipStream_tbENKUlT_T0_E_clISt17integral_constantIbLb1EES12_IbLb0EEEEDaSY_SZ_EUlSY_E_NS1_11comp_targetILNS1_3genE5ELNS1_11target_archE942ELNS1_3gpuE9ELNS1_3repE0EEENS1_30default_config_static_selectorELNS0_4arch9wavefront6targetE1EEEvT1_,"axG",@progbits,_ZN7rocprim17ROCPRIM_400000_NS6detail17trampoline_kernelINS0_14default_configENS1_27scan_by_key_config_selectorIj11FixedVectorIiLj8EEEEZZNS1_16scan_by_key_implILNS1_25lookback_scan_determinismE0ELb1ES3_N6thrust23THRUST_200600_302600_NS6detail15normal_iteratorINSB_10device_ptrIjEEEENSD_INSE_IS6_EEEESI_S6_NSB_4plusIvEENSB_8equal_toIvEES6_EE10hipError_tPvRmT2_T3_T4_T5_mT6_T7_P12ihipStream_tbENKUlT_T0_E_clISt17integral_constantIbLb1EES12_IbLb0EEEEDaSY_SZ_EUlSY_E_NS1_11comp_targetILNS1_3genE5ELNS1_11target_archE942ELNS1_3gpuE9ELNS1_3repE0EEENS1_30default_config_static_selectorELNS0_4arch9wavefront6targetE1EEEvT1_,comdat
	.protected	_ZN7rocprim17ROCPRIM_400000_NS6detail17trampoline_kernelINS0_14default_configENS1_27scan_by_key_config_selectorIj11FixedVectorIiLj8EEEEZZNS1_16scan_by_key_implILNS1_25lookback_scan_determinismE0ELb1ES3_N6thrust23THRUST_200600_302600_NS6detail15normal_iteratorINSB_10device_ptrIjEEEENSD_INSE_IS6_EEEESI_S6_NSB_4plusIvEENSB_8equal_toIvEES6_EE10hipError_tPvRmT2_T3_T4_T5_mT6_T7_P12ihipStream_tbENKUlT_T0_E_clISt17integral_constantIbLb1EES12_IbLb0EEEEDaSY_SZ_EUlSY_E_NS1_11comp_targetILNS1_3genE5ELNS1_11target_archE942ELNS1_3gpuE9ELNS1_3repE0EEENS1_30default_config_static_selectorELNS0_4arch9wavefront6targetE1EEEvT1_ ; -- Begin function _ZN7rocprim17ROCPRIM_400000_NS6detail17trampoline_kernelINS0_14default_configENS1_27scan_by_key_config_selectorIj11FixedVectorIiLj8EEEEZZNS1_16scan_by_key_implILNS1_25lookback_scan_determinismE0ELb1ES3_N6thrust23THRUST_200600_302600_NS6detail15normal_iteratorINSB_10device_ptrIjEEEENSD_INSE_IS6_EEEESI_S6_NSB_4plusIvEENSB_8equal_toIvEES6_EE10hipError_tPvRmT2_T3_T4_T5_mT6_T7_P12ihipStream_tbENKUlT_T0_E_clISt17integral_constantIbLb1EES12_IbLb0EEEEDaSY_SZ_EUlSY_E_NS1_11comp_targetILNS1_3genE5ELNS1_11target_archE942ELNS1_3gpuE9ELNS1_3repE0EEENS1_30default_config_static_selectorELNS0_4arch9wavefront6targetE1EEEvT1_
	.globl	_ZN7rocprim17ROCPRIM_400000_NS6detail17trampoline_kernelINS0_14default_configENS1_27scan_by_key_config_selectorIj11FixedVectorIiLj8EEEEZZNS1_16scan_by_key_implILNS1_25lookback_scan_determinismE0ELb1ES3_N6thrust23THRUST_200600_302600_NS6detail15normal_iteratorINSB_10device_ptrIjEEEENSD_INSE_IS6_EEEESI_S6_NSB_4plusIvEENSB_8equal_toIvEES6_EE10hipError_tPvRmT2_T3_T4_T5_mT6_T7_P12ihipStream_tbENKUlT_T0_E_clISt17integral_constantIbLb1EES12_IbLb0EEEEDaSY_SZ_EUlSY_E_NS1_11comp_targetILNS1_3genE5ELNS1_11target_archE942ELNS1_3gpuE9ELNS1_3repE0EEENS1_30default_config_static_selectorELNS0_4arch9wavefront6targetE1EEEvT1_
	.p2align	8
	.type	_ZN7rocprim17ROCPRIM_400000_NS6detail17trampoline_kernelINS0_14default_configENS1_27scan_by_key_config_selectorIj11FixedVectorIiLj8EEEEZZNS1_16scan_by_key_implILNS1_25lookback_scan_determinismE0ELb1ES3_N6thrust23THRUST_200600_302600_NS6detail15normal_iteratorINSB_10device_ptrIjEEEENSD_INSE_IS6_EEEESI_S6_NSB_4plusIvEENSB_8equal_toIvEES6_EE10hipError_tPvRmT2_T3_T4_T5_mT6_T7_P12ihipStream_tbENKUlT_T0_E_clISt17integral_constantIbLb1EES12_IbLb0EEEEDaSY_SZ_EUlSY_E_NS1_11comp_targetILNS1_3genE5ELNS1_11target_archE942ELNS1_3gpuE9ELNS1_3repE0EEENS1_30default_config_static_selectorELNS0_4arch9wavefront6targetE1EEEvT1_,@function
_ZN7rocprim17ROCPRIM_400000_NS6detail17trampoline_kernelINS0_14default_configENS1_27scan_by_key_config_selectorIj11FixedVectorIiLj8EEEEZZNS1_16scan_by_key_implILNS1_25lookback_scan_determinismE0ELb1ES3_N6thrust23THRUST_200600_302600_NS6detail15normal_iteratorINSB_10device_ptrIjEEEENSD_INSE_IS6_EEEESI_S6_NSB_4plusIvEENSB_8equal_toIvEES6_EE10hipError_tPvRmT2_T3_T4_T5_mT6_T7_P12ihipStream_tbENKUlT_T0_E_clISt17integral_constantIbLb1EES12_IbLb0EEEEDaSY_SZ_EUlSY_E_NS1_11comp_targetILNS1_3genE5ELNS1_11target_archE942ELNS1_3gpuE9ELNS1_3repE0EEENS1_30default_config_static_selectorELNS0_4arch9wavefront6targetE1EEEvT1_: ; @_ZN7rocprim17ROCPRIM_400000_NS6detail17trampoline_kernelINS0_14default_configENS1_27scan_by_key_config_selectorIj11FixedVectorIiLj8EEEEZZNS1_16scan_by_key_implILNS1_25lookback_scan_determinismE0ELb1ES3_N6thrust23THRUST_200600_302600_NS6detail15normal_iteratorINSB_10device_ptrIjEEEENSD_INSE_IS6_EEEESI_S6_NSB_4plusIvEENSB_8equal_toIvEES6_EE10hipError_tPvRmT2_T3_T4_T5_mT6_T7_P12ihipStream_tbENKUlT_T0_E_clISt17integral_constantIbLb1EES12_IbLb0EEEEDaSY_SZ_EUlSY_E_NS1_11comp_targetILNS1_3genE5ELNS1_11target_archE942ELNS1_3gpuE9ELNS1_3repE0EEENS1_30default_config_static_selectorELNS0_4arch9wavefront6targetE1EEEvT1_
; %bb.0:
	.section	.rodata,"a",@progbits
	.p2align	6, 0x0
	.amdhsa_kernel _ZN7rocprim17ROCPRIM_400000_NS6detail17trampoline_kernelINS0_14default_configENS1_27scan_by_key_config_selectorIj11FixedVectorIiLj8EEEEZZNS1_16scan_by_key_implILNS1_25lookback_scan_determinismE0ELb1ES3_N6thrust23THRUST_200600_302600_NS6detail15normal_iteratorINSB_10device_ptrIjEEEENSD_INSE_IS6_EEEESI_S6_NSB_4plusIvEENSB_8equal_toIvEES6_EE10hipError_tPvRmT2_T3_T4_T5_mT6_T7_P12ihipStream_tbENKUlT_T0_E_clISt17integral_constantIbLb1EES12_IbLb0EEEEDaSY_SZ_EUlSY_E_NS1_11comp_targetILNS1_3genE5ELNS1_11target_archE942ELNS1_3gpuE9ELNS1_3repE0EEENS1_30default_config_static_selectorELNS0_4arch9wavefront6targetE1EEEvT1_
		.amdhsa_group_segment_fixed_size 0
		.amdhsa_private_segment_fixed_size 0
		.amdhsa_kernarg_size 160
		.amdhsa_user_sgpr_count 6
		.amdhsa_user_sgpr_private_segment_buffer 1
		.amdhsa_user_sgpr_dispatch_ptr 0
		.amdhsa_user_sgpr_queue_ptr 0
		.amdhsa_user_sgpr_kernarg_segment_ptr 1
		.amdhsa_user_sgpr_dispatch_id 0
		.amdhsa_user_sgpr_flat_scratch_init 0
		.amdhsa_user_sgpr_kernarg_preload_length 0
		.amdhsa_user_sgpr_kernarg_preload_offset 0
		.amdhsa_user_sgpr_private_segment_size 0
		.amdhsa_uses_dynamic_stack 0
		.amdhsa_system_sgpr_private_segment_wavefront_offset 0
		.amdhsa_system_sgpr_workgroup_id_x 1
		.amdhsa_system_sgpr_workgroup_id_y 0
		.amdhsa_system_sgpr_workgroup_id_z 0
		.amdhsa_system_sgpr_workgroup_info 0
		.amdhsa_system_vgpr_workitem_id 0
		.amdhsa_next_free_vgpr 1
		.amdhsa_next_free_sgpr 0
		.amdhsa_accum_offset 4
		.amdhsa_reserve_vcc 0
		.amdhsa_reserve_flat_scratch 0
		.amdhsa_float_round_mode_32 0
		.amdhsa_float_round_mode_16_64 0
		.amdhsa_float_denorm_mode_32 3
		.amdhsa_float_denorm_mode_16_64 3
		.amdhsa_dx10_clamp 1
		.amdhsa_ieee_mode 1
		.amdhsa_fp16_overflow 0
		.amdhsa_tg_split 0
		.amdhsa_exception_fp_ieee_invalid_op 0
		.amdhsa_exception_fp_denorm_src 0
		.amdhsa_exception_fp_ieee_div_zero 0
		.amdhsa_exception_fp_ieee_overflow 0
		.amdhsa_exception_fp_ieee_underflow 0
		.amdhsa_exception_fp_ieee_inexact 0
		.amdhsa_exception_int_div_zero 0
	.end_amdhsa_kernel
	.section	.text._ZN7rocprim17ROCPRIM_400000_NS6detail17trampoline_kernelINS0_14default_configENS1_27scan_by_key_config_selectorIj11FixedVectorIiLj8EEEEZZNS1_16scan_by_key_implILNS1_25lookback_scan_determinismE0ELb1ES3_N6thrust23THRUST_200600_302600_NS6detail15normal_iteratorINSB_10device_ptrIjEEEENSD_INSE_IS6_EEEESI_S6_NSB_4plusIvEENSB_8equal_toIvEES6_EE10hipError_tPvRmT2_T3_T4_T5_mT6_T7_P12ihipStream_tbENKUlT_T0_E_clISt17integral_constantIbLb1EES12_IbLb0EEEEDaSY_SZ_EUlSY_E_NS1_11comp_targetILNS1_3genE5ELNS1_11target_archE942ELNS1_3gpuE9ELNS1_3repE0EEENS1_30default_config_static_selectorELNS0_4arch9wavefront6targetE1EEEvT1_,"axG",@progbits,_ZN7rocprim17ROCPRIM_400000_NS6detail17trampoline_kernelINS0_14default_configENS1_27scan_by_key_config_selectorIj11FixedVectorIiLj8EEEEZZNS1_16scan_by_key_implILNS1_25lookback_scan_determinismE0ELb1ES3_N6thrust23THRUST_200600_302600_NS6detail15normal_iteratorINSB_10device_ptrIjEEEENSD_INSE_IS6_EEEESI_S6_NSB_4plusIvEENSB_8equal_toIvEES6_EE10hipError_tPvRmT2_T3_T4_T5_mT6_T7_P12ihipStream_tbENKUlT_T0_E_clISt17integral_constantIbLb1EES12_IbLb0EEEEDaSY_SZ_EUlSY_E_NS1_11comp_targetILNS1_3genE5ELNS1_11target_archE942ELNS1_3gpuE9ELNS1_3repE0EEENS1_30default_config_static_selectorELNS0_4arch9wavefront6targetE1EEEvT1_,comdat
.Lfunc_end2177:
	.size	_ZN7rocprim17ROCPRIM_400000_NS6detail17trampoline_kernelINS0_14default_configENS1_27scan_by_key_config_selectorIj11FixedVectorIiLj8EEEEZZNS1_16scan_by_key_implILNS1_25lookback_scan_determinismE0ELb1ES3_N6thrust23THRUST_200600_302600_NS6detail15normal_iteratorINSB_10device_ptrIjEEEENSD_INSE_IS6_EEEESI_S6_NSB_4plusIvEENSB_8equal_toIvEES6_EE10hipError_tPvRmT2_T3_T4_T5_mT6_T7_P12ihipStream_tbENKUlT_T0_E_clISt17integral_constantIbLb1EES12_IbLb0EEEEDaSY_SZ_EUlSY_E_NS1_11comp_targetILNS1_3genE5ELNS1_11target_archE942ELNS1_3gpuE9ELNS1_3repE0EEENS1_30default_config_static_selectorELNS0_4arch9wavefront6targetE1EEEvT1_, .Lfunc_end2177-_ZN7rocprim17ROCPRIM_400000_NS6detail17trampoline_kernelINS0_14default_configENS1_27scan_by_key_config_selectorIj11FixedVectorIiLj8EEEEZZNS1_16scan_by_key_implILNS1_25lookback_scan_determinismE0ELb1ES3_N6thrust23THRUST_200600_302600_NS6detail15normal_iteratorINSB_10device_ptrIjEEEENSD_INSE_IS6_EEEESI_S6_NSB_4plusIvEENSB_8equal_toIvEES6_EE10hipError_tPvRmT2_T3_T4_T5_mT6_T7_P12ihipStream_tbENKUlT_T0_E_clISt17integral_constantIbLb1EES12_IbLb0EEEEDaSY_SZ_EUlSY_E_NS1_11comp_targetILNS1_3genE5ELNS1_11target_archE942ELNS1_3gpuE9ELNS1_3repE0EEENS1_30default_config_static_selectorELNS0_4arch9wavefront6targetE1EEEvT1_
                                        ; -- End function
	.section	.AMDGPU.csdata,"",@progbits
; Kernel info:
; codeLenInByte = 0
; NumSgprs: 4
; NumVgprs: 0
; NumAgprs: 0
; TotalNumVgprs: 0
; ScratchSize: 0
; MemoryBound: 0
; FloatMode: 240
; IeeeMode: 1
; LDSByteSize: 0 bytes/workgroup (compile time only)
; SGPRBlocks: 0
; VGPRBlocks: 0
; NumSGPRsForWavesPerEU: 4
; NumVGPRsForWavesPerEU: 1
; AccumOffset: 4
; Occupancy: 8
; WaveLimiterHint : 0
; COMPUTE_PGM_RSRC2:SCRATCH_EN: 0
; COMPUTE_PGM_RSRC2:USER_SGPR: 6
; COMPUTE_PGM_RSRC2:TRAP_HANDLER: 0
; COMPUTE_PGM_RSRC2:TGID_X_EN: 1
; COMPUTE_PGM_RSRC2:TGID_Y_EN: 0
; COMPUTE_PGM_RSRC2:TGID_Z_EN: 0
; COMPUTE_PGM_RSRC2:TIDIG_COMP_CNT: 0
; COMPUTE_PGM_RSRC3_GFX90A:ACCUM_OFFSET: 0
; COMPUTE_PGM_RSRC3_GFX90A:TG_SPLIT: 0
	.section	.text._ZN7rocprim17ROCPRIM_400000_NS6detail17trampoline_kernelINS0_14default_configENS1_27scan_by_key_config_selectorIj11FixedVectorIiLj8EEEEZZNS1_16scan_by_key_implILNS1_25lookback_scan_determinismE0ELb1ES3_N6thrust23THRUST_200600_302600_NS6detail15normal_iteratorINSB_10device_ptrIjEEEENSD_INSE_IS6_EEEESI_S6_NSB_4plusIvEENSB_8equal_toIvEES6_EE10hipError_tPvRmT2_T3_T4_T5_mT6_T7_P12ihipStream_tbENKUlT_T0_E_clISt17integral_constantIbLb1EES12_IbLb0EEEEDaSY_SZ_EUlSY_E_NS1_11comp_targetILNS1_3genE4ELNS1_11target_archE910ELNS1_3gpuE8ELNS1_3repE0EEENS1_30default_config_static_selectorELNS0_4arch9wavefront6targetE1EEEvT1_,"axG",@progbits,_ZN7rocprim17ROCPRIM_400000_NS6detail17trampoline_kernelINS0_14default_configENS1_27scan_by_key_config_selectorIj11FixedVectorIiLj8EEEEZZNS1_16scan_by_key_implILNS1_25lookback_scan_determinismE0ELb1ES3_N6thrust23THRUST_200600_302600_NS6detail15normal_iteratorINSB_10device_ptrIjEEEENSD_INSE_IS6_EEEESI_S6_NSB_4plusIvEENSB_8equal_toIvEES6_EE10hipError_tPvRmT2_T3_T4_T5_mT6_T7_P12ihipStream_tbENKUlT_T0_E_clISt17integral_constantIbLb1EES12_IbLb0EEEEDaSY_SZ_EUlSY_E_NS1_11comp_targetILNS1_3genE4ELNS1_11target_archE910ELNS1_3gpuE8ELNS1_3repE0EEENS1_30default_config_static_selectorELNS0_4arch9wavefront6targetE1EEEvT1_,comdat
	.protected	_ZN7rocprim17ROCPRIM_400000_NS6detail17trampoline_kernelINS0_14default_configENS1_27scan_by_key_config_selectorIj11FixedVectorIiLj8EEEEZZNS1_16scan_by_key_implILNS1_25lookback_scan_determinismE0ELb1ES3_N6thrust23THRUST_200600_302600_NS6detail15normal_iteratorINSB_10device_ptrIjEEEENSD_INSE_IS6_EEEESI_S6_NSB_4plusIvEENSB_8equal_toIvEES6_EE10hipError_tPvRmT2_T3_T4_T5_mT6_T7_P12ihipStream_tbENKUlT_T0_E_clISt17integral_constantIbLb1EES12_IbLb0EEEEDaSY_SZ_EUlSY_E_NS1_11comp_targetILNS1_3genE4ELNS1_11target_archE910ELNS1_3gpuE8ELNS1_3repE0EEENS1_30default_config_static_selectorELNS0_4arch9wavefront6targetE1EEEvT1_ ; -- Begin function _ZN7rocprim17ROCPRIM_400000_NS6detail17trampoline_kernelINS0_14default_configENS1_27scan_by_key_config_selectorIj11FixedVectorIiLj8EEEEZZNS1_16scan_by_key_implILNS1_25lookback_scan_determinismE0ELb1ES3_N6thrust23THRUST_200600_302600_NS6detail15normal_iteratorINSB_10device_ptrIjEEEENSD_INSE_IS6_EEEESI_S6_NSB_4plusIvEENSB_8equal_toIvEES6_EE10hipError_tPvRmT2_T3_T4_T5_mT6_T7_P12ihipStream_tbENKUlT_T0_E_clISt17integral_constantIbLb1EES12_IbLb0EEEEDaSY_SZ_EUlSY_E_NS1_11comp_targetILNS1_3genE4ELNS1_11target_archE910ELNS1_3gpuE8ELNS1_3repE0EEENS1_30default_config_static_selectorELNS0_4arch9wavefront6targetE1EEEvT1_
	.globl	_ZN7rocprim17ROCPRIM_400000_NS6detail17trampoline_kernelINS0_14default_configENS1_27scan_by_key_config_selectorIj11FixedVectorIiLj8EEEEZZNS1_16scan_by_key_implILNS1_25lookback_scan_determinismE0ELb1ES3_N6thrust23THRUST_200600_302600_NS6detail15normal_iteratorINSB_10device_ptrIjEEEENSD_INSE_IS6_EEEESI_S6_NSB_4plusIvEENSB_8equal_toIvEES6_EE10hipError_tPvRmT2_T3_T4_T5_mT6_T7_P12ihipStream_tbENKUlT_T0_E_clISt17integral_constantIbLb1EES12_IbLb0EEEEDaSY_SZ_EUlSY_E_NS1_11comp_targetILNS1_3genE4ELNS1_11target_archE910ELNS1_3gpuE8ELNS1_3repE0EEENS1_30default_config_static_selectorELNS0_4arch9wavefront6targetE1EEEvT1_
	.p2align	8
	.type	_ZN7rocprim17ROCPRIM_400000_NS6detail17trampoline_kernelINS0_14default_configENS1_27scan_by_key_config_selectorIj11FixedVectorIiLj8EEEEZZNS1_16scan_by_key_implILNS1_25lookback_scan_determinismE0ELb1ES3_N6thrust23THRUST_200600_302600_NS6detail15normal_iteratorINSB_10device_ptrIjEEEENSD_INSE_IS6_EEEESI_S6_NSB_4plusIvEENSB_8equal_toIvEES6_EE10hipError_tPvRmT2_T3_T4_T5_mT6_T7_P12ihipStream_tbENKUlT_T0_E_clISt17integral_constantIbLb1EES12_IbLb0EEEEDaSY_SZ_EUlSY_E_NS1_11comp_targetILNS1_3genE4ELNS1_11target_archE910ELNS1_3gpuE8ELNS1_3repE0EEENS1_30default_config_static_selectorELNS0_4arch9wavefront6targetE1EEEvT1_,@function
_ZN7rocprim17ROCPRIM_400000_NS6detail17trampoline_kernelINS0_14default_configENS1_27scan_by_key_config_selectorIj11FixedVectorIiLj8EEEEZZNS1_16scan_by_key_implILNS1_25lookback_scan_determinismE0ELb1ES3_N6thrust23THRUST_200600_302600_NS6detail15normal_iteratorINSB_10device_ptrIjEEEENSD_INSE_IS6_EEEESI_S6_NSB_4plusIvEENSB_8equal_toIvEES6_EE10hipError_tPvRmT2_T3_T4_T5_mT6_T7_P12ihipStream_tbENKUlT_T0_E_clISt17integral_constantIbLb1EES12_IbLb0EEEEDaSY_SZ_EUlSY_E_NS1_11comp_targetILNS1_3genE4ELNS1_11target_archE910ELNS1_3gpuE8ELNS1_3repE0EEENS1_30default_config_static_selectorELNS0_4arch9wavefront6targetE1EEEvT1_: ; @_ZN7rocprim17ROCPRIM_400000_NS6detail17trampoline_kernelINS0_14default_configENS1_27scan_by_key_config_selectorIj11FixedVectorIiLj8EEEEZZNS1_16scan_by_key_implILNS1_25lookback_scan_determinismE0ELb1ES3_N6thrust23THRUST_200600_302600_NS6detail15normal_iteratorINSB_10device_ptrIjEEEENSD_INSE_IS6_EEEESI_S6_NSB_4plusIvEENSB_8equal_toIvEES6_EE10hipError_tPvRmT2_T3_T4_T5_mT6_T7_P12ihipStream_tbENKUlT_T0_E_clISt17integral_constantIbLb1EES12_IbLb0EEEEDaSY_SZ_EUlSY_E_NS1_11comp_targetILNS1_3genE4ELNS1_11target_archE910ELNS1_3gpuE8ELNS1_3repE0EEENS1_30default_config_static_selectorELNS0_4arch9wavefront6targetE1EEEvT1_
; %bb.0:
	s_load_dwordx2 s[44:45], s[4:5], 0x4
	s_load_dwordx8 s[24:31], s[6:7], 0x0
	s_load_dwordx8 s[36:43], s[6:7], 0x20
	;; [unrolled: 1-line block ×3, first 2 shown]
	s_load_dwordx2 s[34:35], s[6:7], 0x68
	s_nop 0
	s_load_dword s4, s[6:7], 0x70
	s_load_dwordx4 s[12:15], s[6:7], 0x78
	s_add_u32 flat_scratch_lo, s8, s11
	s_addc_u32 flat_scratch_hi, s9, 0
	s_add_u32 s0, s0, s11
	v_and_b32_e32 v8, 0x3ff, v0
	v_bfe_u32 v11, v0, 20, 10
	v_bfe_u32 v0, v0, 10, 10
	s_addc_u32 s1, s1, 0
	s_waitcnt lgkmcnt(0)
	v_mul_u32_u24_e32 v14, s45, v0
	v_mov_b32_e32 v0, 0
	s_mov_b32 s5, 0
	v_mov_b32_e32 v1, 0x140
	s_barrier
	buffer_store_dword v0, off, s[0:3], 0 offset:348
	buffer_store_dword v0, off, s[0:3], 0 offset:344
	;; [unrolled: 1-line block ×9, first 2 shown]
.LBB2178_1:                             ; =>This Inner Loop Header: Depth=1
	v_add_u32_e32 v2, s5, v1
	s_add_i32 s5, s5, 8
	s_cmp_lg_u32 s5, 32
	buffer_store_dword v0, v2, s[0:3], 0 offen offset:4
	buffer_store_dword v0, v2, s[0:3], 0 offen
	s_cbranch_scc1 .LBB2178_1
; %bb.2:
	v_mov_b32_e32 v1, 0x140
	v_mov_b32_e32 v0, 0
	s_mov_b32 s5, 36
	v_add_u32_e32 v18, 36, v1
	buffer_store_byte v0, off, s[0:3], 0 offset:352
	buffer_store_dword v0, off, s[0:3], 0 offset:368
	buffer_store_dword v0, off, s[0:3], 0 offset:364
	;; [unrolled: 1-line block ×9, first 2 shown]
.LBB2178_3:                             ; =>This Inner Loop Header: Depth=1
	v_add_u32_e32 v2, s5, v1
	s_add_i32 s5, s5, 8
	s_cmpk_lg_i32 s5, 0x44
	buffer_store_dword v0, v2, s[0:3], 0 offen offset:4
	buffer_store_dword v0, v2, s[0:3], 0 offen
	s_cbranch_scc1 .LBB2178_3
; %bb.4:
	v_mov_b32_e32 v1, 0x140
	v_mov_b32_e32 v0, 0
	s_movk_i32 s5, 0x48
	v_add_u32_e32 v19, 0x48, v1
	buffer_store_byte v0, off, s[0:3], 0 offset:388
	buffer_store_dword v0, off, s[0:3], 0 offset:404
	buffer_store_dword v0, off, s[0:3], 0 offset:400
	;; [unrolled: 1-line block ×9, first 2 shown]
.LBB2178_5:                             ; =>This Inner Loop Header: Depth=1
	v_add_u32_e32 v2, s5, v1
	s_add_i32 s5, s5, 8
	s_cmpk_lg_i32 s5, 0x68
	buffer_store_dword v0, v2, s[0:3], 0 offen offset:4
	buffer_store_dword v0, v2, s[0:3], 0 offen
	s_cbranch_scc1 .LBB2178_5
; %bb.6:
	v_mov_b32_e32 v1, s37
	buffer_store_dword v1, off, s[0:3], 0 offset:100
	v_mov_b32_e32 v1, s36
	buffer_store_dword v1, off, s[0:3], 0 offset:96
	;; [unrolled: 2-line block ×7, first 2 shown]
	v_mov_b32_e32 v1, s42
	s_mov_b32 s5, 0
	v_mov_b32_e32 v0, 0
	buffer_store_dword v1, off, s[0:3], 0 offset:120
	v_mov_b32_e32 v1, 0
	buffer_store_byte v0, off, s[0:3], 0 offset:424
.LBB2178_7:                             ; =>This Inner Loop Header: Depth=1
	v_add_u32_e32 v2, s5, v1
	s_add_i32 s5, s5, 8
	s_cmp_lg_u32 s5, 32
	buffer_store_dword v0, v2, s[0:3], 0 offen offset:4
	buffer_store_dword v0, v2, s[0:3], 0 offen
	s_cbranch_scc1 .LBB2178_7
; %bb.8:
	s_mov_b32 s5, 32
	v_mov_b32_e32 v0, 0
	v_mov_b32_e32 v1, 0
.LBB2178_9:                             ; =>This Inner Loop Header: Depth=1
	v_add_u32_e32 v2, s5, v0
	s_add_i32 s5, s5, 8
	s_cmp_lg_u32 s5, 64
	buffer_store_dword v1, v2, s[0:3], 0 offen offset:4
	buffer_store_dword v1, v2, s[0:3], 0 offen
	s_cbranch_scc1 .LBB2178_9
; %bb.10:
	s_mov_b32 s5, 64
	v_mov_b32_e32 v0, 0
	v_mov_b32_e32 v1, 0
.LBB2178_11:                            ; =>This Inner Loop Header: Depth=1
	v_add_u32_e32 v2, s5, v0
	s_add_i32 s5, s5, 8
	s_cmpk_lg_i32 s5, 0x60
	buffer_store_dword v1, v2, s[0:3], 0 offen offset:4
	buffer_store_dword v1, v2, s[0:3], 0 offen
	s_cbranch_scc1 .LBB2178_11
; %bb.12:
	s_lshl_b64 s[6:7], s[26:27], 2
	s_add_u32 s8, s24, s6
	s_addc_u32 s9, s25, s7
	s_lshl_b64 s[24:25], s[26:27], 5
	s_add_u32 s11, s28, s24
	s_mul_i32 s5, s35, s4
	s_mul_hi_u32 s7, s34, s4
	s_addc_u32 s23, s29, s25
	s_mul_i32 s6, s10, 0x300
	s_add_i32 s46, s7, s5
	s_mov_b32 s7, 0
	s_mul_i32 s47, s34, s4
	s_lshl_b64 s[4:5], s[6:7], 2
	s_add_u32 s28, s8, s4
	s_addc_u32 s29, s9, s5
	s_lshl_b64 s[26:27], s[6:7], 5
	s_add_u32 s11, s11, s26
	s_addc_u32 s33, s23, s27
	s_add_u32 s4, s47, s10
	s_addc_u32 s5, s46, 0
	s_add_u32 s6, s12, -1
	v_mov_b32_e32 v0, 0
	s_addc_u32 s7, s13, -1
	v_add_u32_e32 v2, 64, v0
	v_add_u32_e32 v3, 32, v0
	v_pk_mov_b32 v[0:1], s[6:7], s[6:7] op_sel:[0,1]
	v_cmp_ge_u64_e64 s[4:5], s[4:5], v[0:1]
	s_mov_b64 s[8:9], -1
	s_and_b64 vcc, exec, s[4:5]
	s_mul_i32 s23, s6, 0xfffffd00
	s_cbranch_vccz .LBB2178_32
; %bb.13:
	v_pk_mov_b32 v[0:1], s[28:29], s[28:29] op_sel:[0,1]
	flat_load_dword v1, v[0:1]
	s_add_i32 s52, s23, s22
	v_cmp_gt_u32_e64 s[8:9], s52, v8
	s_waitcnt vmcnt(0) lgkmcnt(0)
	v_mov_b32_e32 v0, v1
	s_and_saveexec_b64 s[6:7], s[8:9]
	s_cbranch_execz .LBB2178_15
; %bb.14:
	v_lshlrev_b32_e32 v0, 2, v8
	v_mov_b32_e32 v5, s29
	v_add_co_u32_e32 v4, vcc, s28, v0
	v_addc_co_u32_e32 v5, vcc, 0, v5, vcc
	flat_load_dword v0, v[4:5]
.LBB2178_15:
	s_or_b64 exec, exec, s[6:7]
	v_or_b32_e32 v6, 0x100, v8
	v_cmp_gt_u32_e64 s[6:7], s52, v6
	v_mov_b32_e32 v4, v1
	s_and_saveexec_b64 s[12:13], s[6:7]
	s_cbranch_execz .LBB2178_17
; %bb.16:
	v_lshlrev_b32_e32 v4, 2, v8
	v_mov_b32_e32 v5, s29
	v_add_co_u32_e32 v4, vcc, s28, v4
	v_addc_co_u32_e32 v5, vcc, 0, v5, vcc
	flat_load_dword v4, v[4:5] offset:1024
.LBB2178_17:
	s_or_b64 exec, exec, s[12:13]
	v_or_b32_e32 v10, 0x200, v8
	v_cmp_gt_u32_e32 vcc, s52, v10
	v_cmp_le_u32_e64 s[12:13], s52, v10
	s_and_saveexec_b64 s[46:47], s[12:13]
	s_xor_b64 s[12:13], exec, s[46:47]
; %bb.18:
	v_mov_b32_e32 v9, 0
; %bb.19:
	s_andn2_saveexec_b64 s[46:47], s[12:13]
	s_cbranch_execz .LBB2178_21
; %bb.20:
	v_lshlrev_b32_e32 v1, 2, v8
	v_mov_b32_e32 v5, s29
	v_add_co_u32_e64 v12, s[12:13], s28, v1
	v_addc_co_u32_e64 v13, s[12:13], 0, v5, s[12:13]
	flat_load_dword v1, v[12:13] offset:2048
	v_mov_b32_e32 v9, 0
.LBB2178_21:
	s_or_b64 exec, exec, s[46:47]
	v_lshlrev_b32_e32 v7, 2, v8
	s_waitcnt vmcnt(0) lgkmcnt(0)
	ds_write2st64_b32 v7, v0, v4 offset1:4
	ds_write_b32 v7, v1 offset:2048
	v_pk_mov_b32 v[0:1], s[28:29], s[28:29] op_sel:[0,1]
	s_waitcnt lgkmcnt(0)
	s_barrier
	flat_load_dword v4, v[0:1]
	v_lshl_add_u32 v0, v8, 3, v7
	ds_read_b32 v5, v0
	ds_read2_b32 v[0:1], v0 offset0:1 offset1:2
	s_movk_i32 s12, 0xff
	v_cmp_ne_u32_e64 s[12:13], s12, v8
	s_waitcnt lgkmcnt(0)
	ds_write_b32 v7, v5 offset:4096
	s_waitcnt lgkmcnt(0)
	s_barrier
	s_and_saveexec_b64 s[46:47], s[12:13]
	s_cbranch_execz .LBB2178_23
; %bb.22:
	s_waitcnt vmcnt(0)
	ds_read_b32 v4, v7 offset:4100
.LBB2178_23:
	s_or_b64 exec, exec, s[46:47]
	s_waitcnt lgkmcnt(0)
	s_barrier
	s_and_saveexec_b64 s[12:13], s[8:9]
	s_cbranch_execnz .LBB2178_442
; %bb.24:
	s_or_b64 exec, exec, s[12:13]
	s_and_saveexec_b64 s[8:9], s[6:7]
	s_cbranch_execnz .LBB2178_443
.LBB2178_25:
	s_or_b64 exec, exec, s[8:9]
	v_mul_u32_u24_e32 v6, 3, v8
	s_and_saveexec_b64 s[6:7], vcc
	s_cbranch_execz .LBB2178_27
.LBB2178_26:
	v_lshlrev_b32_e32 v9, 5, v10
	v_mov_b32_e32 v10, s33
	v_add_co_u32_e32 v12, vcc, s11, v9
	v_addc_co_u32_e32 v13, vcc, 0, v10, vcc
	flat_load_dwordx4 v[20:23], v[12:13]
	flat_load_dwordx4 v[24:27], v[12:13] offset:16
	s_waitcnt vmcnt(0) lgkmcnt(0)
	buffer_store_dword v21, off, s[0:3], 0 offset:68
	buffer_store_dword v20, off, s[0:3], 0 offset:64
	;; [unrolled: 1-line block ×8, first 2 shown]
.LBB2178_27:
	s_or_b64 exec, exec, s[6:7]
	buffer_load_dword v20, off, s[0:3], 0
	buffer_load_dword v21, off, s[0:3], 0 offset:4
	buffer_load_dword v22, off, s[0:3], 0 offset:8
	;; [unrolled: 1-line block ×7, first 2 shown]
	buffer_load_dword v28, v3, s[0:3], 0 offen
	buffer_load_dword v29, v3, s[0:3], 0 offen offset:4
	buffer_load_dword v30, v3, s[0:3], 0 offen offset:8
	;; [unrolled: 1-line block ×7, first 2 shown]
	buffer_load_dword v36, v2, s[0:3], 0 offen
	buffer_load_dword v37, v2, s[0:3], 0 offen offset:4
	buffer_load_dword v38, v2, s[0:3], 0 offen offset:8
	;; [unrolled: 1-line block ×7, first 2 shown]
	v_mad_u32_u24 v7, v8, 28, v7
	v_lshl_add_u32 v9, v8, 6, v7
	v_cmp_gt_u32_e32 vcc, s52, v6
	s_mov_b64 s[8:9], 0
	s_mov_b64 s[46:47], 0
                                        ; implicit-def: $sgpr6_sgpr7
	s_waitcnt vmcnt(0)
	ds_write_b128 v7, v[20:23]
	ds_write_b128 v7, v[24:27] offset:16
	ds_write_b128 v7, v[28:31] offset:8192
	;; [unrolled: 1-line block ×5, first 2 shown]
	s_waitcnt lgkmcnt(0)
	s_barrier
	ds_read_b128 v[20:23], v9
	ds_read_b128 v[24:27], v9 offset:16
	ds_read_b128 v[28:31], v9 offset:32
	;; [unrolled: 1-line block ×5, first 2 shown]
	s_waitcnt lgkmcnt(5)
	buffer_store_dword v23, off, s[0:3], 0 offset:12
	buffer_store_dword v22, off, s[0:3], 0 offset:8
	;; [unrolled: 1-line block ×3, first 2 shown]
	buffer_store_dword v20, off, s[0:3], 0
	s_waitcnt lgkmcnt(4)
	buffer_store_dword v27, off, s[0:3], 0 offset:28
	buffer_store_dword v26, off, s[0:3], 0 offset:24
	;; [unrolled: 1-line block ×4, first 2 shown]
	s_waitcnt lgkmcnt(3)
	buffer_store_dword v31, v3, s[0:3], 0 offen offset:12
	buffer_store_dword v30, v3, s[0:3], 0 offen offset:8
	;; [unrolled: 1-line block ×3, first 2 shown]
	buffer_store_dword v28, v3, s[0:3], 0 offen
	s_waitcnt lgkmcnt(2)
	buffer_store_dword v35, v3, s[0:3], 0 offen offset:28
	buffer_store_dword v34, v3, s[0:3], 0 offen offset:24
	;; [unrolled: 1-line block ×4, first 2 shown]
	s_waitcnt lgkmcnt(1)
	buffer_store_dword v39, v2, s[0:3], 0 offen offset:12
	buffer_store_dword v38, v2, s[0:3], 0 offen offset:8
	;; [unrolled: 1-line block ×3, first 2 shown]
	buffer_store_dword v36, v2, s[0:3], 0 offen
	s_waitcnt lgkmcnt(0)
	buffer_store_dword v43, v2, s[0:3], 0 offen offset:28
	buffer_store_dword v42, v2, s[0:3], 0 offen offset:24
	;; [unrolled: 1-line block ×4, first 2 shown]
	s_and_saveexec_b64 s[12:13], vcc
	s_cbranch_execz .LBB2178_31
; %bb.28:
	v_cmp_ne_u32_e32 vcc, v5, v0
	v_mov_b32_e32 v5, 0x60
	v_mov_b32_e32 v9, 0
	v_cndmask_b32_e32 v9, v9, v5, vcc
	buffer_load_dword v10, v9, s[0:3], 0 offen offset:12
	buffer_load_dword v12, v9, s[0:3], 0 offen offset:8
	;; [unrolled: 1-line block ×3, first 2 shown]
	buffer_load_dword v15, v9, s[0:3], 0 offen
	buffer_load_dword v16, v9, s[0:3], 0 offen offset:28
	buffer_load_dword v17, v9, s[0:3], 0 offen offset:24
	;; [unrolled: 1-line block ×4, first 2 shown]
	v_add_u32_e32 v9, 1, v6
	v_cndmask_b32_e64 v7, 0, 1, vcc
	v_cmp_gt_u32_e32 vcc, s52, v9
	s_mov_b64 s[50:51], 0
	buffer_store_byte v7, off, s[0:3], 0 offset:352
                                        ; implicit-def: $sgpr48_sgpr49
	s_waitcnt vmcnt(8)
	buffer_store_dword v10, off, s[0:3], 0 offset:332
	s_waitcnt vmcnt(8)
	buffer_store_dword v12, off, s[0:3], 0 offset:328
	;; [unrolled: 2-line block ×8, first 2 shown]
	s_and_saveexec_b64 s[6:7], vcc
	s_xor_b64 s[46:47], exec, s[6:7]
	s_cbranch_execz .LBB2178_30
; %bb.29:
	v_cmp_ne_u32_e32 vcc, v0, v1
	v_cndmask_b32_e32 v5, v3, v5, vcc
	buffer_load_dword v7, v5, s[0:3], 0 offen offset:12
	buffer_load_dword v9, v5, s[0:3], 0 offen offset:8
	;; [unrolled: 1-line block ×3, first 2 shown]
	buffer_load_dword v12, v5, s[0:3], 0 offen
	buffer_load_dword v13, v5, s[0:3], 0 offen offset:28
	buffer_load_dword v15, v5, s[0:3], 0 offen offset:24
	;; [unrolled: 1-line block ×4, first 2 shown]
	v_cndmask_b32_e64 v0, 0, 1, vcc
	v_cmp_ne_u32_e32 vcc, v1, v4
	v_add_u32_e32 v1, 2, v6
	v_cmp_gt_u32_e64 s[6:7], s52, v1
	buffer_store_byte v0, off, s[0:3], 0 offset:388
	s_and_b64 s[48:49], vcc, exec
	s_and_b64 s[50:51], s[6:7], exec
	s_waitcnt vmcnt(8)
	buffer_store_dword v7, v18, s[0:3], 0 offen offset:12
	s_waitcnt vmcnt(8)
	buffer_store_dword v9, v18, s[0:3], 0 offen offset:8
	;; [unrolled: 2-line block ×3, first 2 shown]
	s_waitcnt vmcnt(8)
	buffer_store_dword v12, v18, s[0:3], 0 offen
	s_waitcnt vmcnt(8)
	buffer_store_dword v13, v18, s[0:3], 0 offen offset:28
	s_waitcnt vmcnt(8)
	buffer_store_dword v15, v18, s[0:3], 0 offen offset:24
	;; [unrolled: 2-line block ×4, first 2 shown]
.LBB2178_30:
	s_or_b64 exec, exec, s[46:47]
	s_and_b64 s[6:7], s[48:49], exec
	s_and_b64 s[46:47], s[50:51], exec
.LBB2178_31:
	s_or_b64 exec, exec, s[12:13]
	s_and_b64 vcc, exec, s[8:9]
	s_cbranch_vccnz .LBB2178_33
	s_branch .LBB2178_36
.LBB2178_32:
	s_mov_b64 s[46:47], 0
                                        ; implicit-def: $sgpr6_sgpr7
	s_and_b64 vcc, exec, s[8:9]
	s_cbranch_vccz .LBB2178_36
.LBB2178_33:
	v_lshlrev_b32_e32 v5, 2, v8
	v_mov_b32_e32 v1, s29
	v_add_co_u32_e32 v0, vcc, s28, v5
	v_addc_co_u32_e32 v1, vcc, 0, v1, vcc
	flat_load_dword v4, v[0:1]
	flat_load_dword v6, v[0:1] offset:1024
	flat_load_dword v7, v[0:1] offset:2048
	v_pk_mov_b32 v[0:1], s[28:29], s[28:29] op_sel:[0,1]
	s_movk_i32 s6, 0xff
	v_cmp_ne_u32_e32 vcc, s6, v8
	s_waitcnt vmcnt(0) lgkmcnt(0)
	ds_write2st64_b32 v5, v4, v6 offset1:4
	ds_write_b32 v5, v7 offset:2048
	s_waitcnt lgkmcnt(0)
	s_barrier
	flat_load_dword v4, v[0:1] offset:3072
	v_lshl_add_u32 v0, v8, 3, v5
	ds_read_b32 v6, v0
	ds_read2_b32 v[0:1], v0 offset0:1 offset1:2
	s_waitcnt lgkmcnt(0)
	ds_write_b32 v5, v6 offset:4096
	s_waitcnt lgkmcnt(0)
	s_barrier
	s_and_saveexec_b64 s[6:7], vcc
	s_cbranch_execz .LBB2178_35
; %bb.34:
	s_waitcnt vmcnt(0)
	ds_read_b32 v4, v5 offset:4100
.LBB2178_35:
	s_or_b64 exec, exec, s[6:7]
	v_lshlrev_b32_e32 v7, 5, v8
	v_mov_b32_e32 v9, s33
	v_add_co_u32_e32 v12, vcc, s11, v7
	v_addc_co_u32_e32 v13, vcc, 0, v9, vcc
	s_waitcnt lgkmcnt(0)
	s_barrier
	flat_load_dwordx4 v[20:23], v[12:13]
	flat_load_dwordx4 v[24:27], v[12:13] offset:16
	s_movk_i32 s6, 0x2000
	v_add_co_u32_e32 v16, vcc, s6, v12
	v_addc_co_u32_e32 v17, vcc, 0, v13, vcc
	s_movk_i32 s6, 0x4000
	v_add_co_u32_e32 v12, vcc, s6, v12
	v_addc_co_u32_e32 v13, vcc, 0, v13, vcc
	v_mad_u32_u24 v5, v8, 28, v5
	v_lshl_add_u32 v10, v8, 6, v5
	v_cmp_ne_u32_e32 vcc, v6, v0
	v_mov_b32_e32 v6, 0x60
	v_mov_b32_e32 v7, 0
	v_cmp_ne_u32_e64 s[6:7], v0, v1
	v_cndmask_b32_e32 v7, v7, v6, vcc
                                        ; kill: killed $vgpr12 killed $vgpr13
	v_cndmask_b32_e64 v9, 0, 1, vcc
	v_cndmask_b32_e64 v0, 0, 1, s[6:7]
	s_mov_b64 s[46:47], -1
                                        ; kill: killed $vgpr7
	s_waitcnt vmcnt(0) lgkmcnt(0)
	buffer_store_dword v21, off, s[0:3], 0 offset:4
	buffer_store_dword v20, off, s[0:3], 0
	buffer_store_dword v23, off, s[0:3], 0 offset:12
	buffer_store_dword v22, off, s[0:3], 0 offset:8
	;; [unrolled: 1-line block ×6, first 2 shown]
	flat_load_dwordx4 v[28:31], v[16:17]
	flat_load_dwordx4 v[32:35], v[16:17] offset:16
	s_waitcnt vmcnt(0) lgkmcnt(0)
	buffer_store_dword v29, off, s[0:3], 0 offset:36
	buffer_store_dword v28, off, s[0:3], 0 offset:32
	;; [unrolled: 1-line block ×8, first 2 shown]
	flat_load_dwordx4 v[28:31], v[12:13]
	s_nop 0
	flat_load_dwordx4 v[32:35], v[12:13] offset:16
	buffer_load_dword v39, v3, s[0:3], 0 offen offset:28
	buffer_load_dword v38, v3, s[0:3], 0 offen offset:24
	;; [unrolled: 1-line block ×7, first 2 shown]
	buffer_load_dword v40, v3, s[0:3], 0 offen
	s_waitcnt vmcnt(0) lgkmcnt(0)
	buffer_store_dword v29, off, s[0:3], 0 offset:68
	buffer_store_dword v28, off, s[0:3], 0 offset:64
	buffer_store_dword v31, off, s[0:3], 0 offset:76
	buffer_store_dword v30, off, s[0:3], 0 offset:72
	buffer_store_dword v33, off, s[0:3], 0 offset:84
	buffer_store_dword v32, off, s[0:3], 0 offset:80
	buffer_store_dword v35, off, s[0:3], 0 offset:92
	buffer_store_dword v34, off, s[0:3], 0 offset:88
	buffer_load_dword v28, v2, s[0:3], 0 offen offset:16
	buffer_load_dword v29, v2, s[0:3], 0 offen offset:20
	;; [unrolled: 1-line block ×4, first 2 shown]
	buffer_load_dword v32, v2, s[0:3], 0 offen
	buffer_load_dword v33, v2, s[0:3], 0 offen offset:4
	buffer_load_dword v34, v2, s[0:3], 0 offen offset:8
	;; [unrolled: 1-line block ×3, first 2 shown]
	ds_write_b128 v5, v[24:27] offset:16
	ds_write_b128 v5, v[20:23]
	ds_write_b128 v5, v[40:43] offset:8192
	ds_write_b128 v5, v[36:39] offset:8208
	s_waitcnt vmcnt(4)
	ds_write_b128 v5, v[28:31] offset:16400
	s_waitcnt vmcnt(0)
	ds_write_b128 v5, v[32:35] offset:16384
	s_waitcnt lgkmcnt(0)
	s_barrier
	ds_read_b128 v[20:23], v10
	ds_read_b128 v[24:27], v10 offset:16
	ds_read_b128 v[28:31], v10 offset:32
	;; [unrolled: 1-line block ×3, first 2 shown]
	s_waitcnt lgkmcnt(3)
	buffer_store_dword v23, off, s[0:3], 0 offset:12
	buffer_store_dword v22, off, s[0:3], 0 offset:8
	;; [unrolled: 1-line block ×3, first 2 shown]
	buffer_store_dword v20, off, s[0:3], 0
	s_waitcnt lgkmcnt(2)
	buffer_store_dword v27, off, s[0:3], 0 offset:28
	buffer_store_dword v26, off, s[0:3], 0 offset:24
	buffer_store_dword v25, off, s[0:3], 0 offset:20
	buffer_store_dword v24, off, s[0:3], 0 offset:16
	s_waitcnt lgkmcnt(1)
	buffer_store_dword v31, v3, s[0:3], 0 offen offset:12
	v_cndmask_b32_e64 v5, v3, v6, s[6:7]
	buffer_load_dword v12, v7, s[0:3], 0 offen
	buffer_load_dword v13, v7, s[0:3], 0 offen offset:4
	buffer_load_dword v15, v7, s[0:3], 0 offen offset:8
	buffer_load_dword v16, v7, s[0:3], 0 offen offset:12
	buffer_load_dword v17, v7, s[0:3], 0 offen offset:16
	buffer_load_dword v24, v7, s[0:3], 0 offen offset:20
	buffer_load_dword v25, v7, s[0:3], 0 offen offset:24
	buffer_load_dword v26, v7, s[0:3], 0 offen offset:28
	s_nop 0
	buffer_store_dword v30, v3, s[0:3], 0 offen offset:8
	buffer_store_dword v29, v3, s[0:3], 0 offen offset:4
	buffer_store_dword v28, v3, s[0:3], 0 offen
	s_waitcnt lgkmcnt(0)
	buffer_store_dword v35, v3, s[0:3], 0 offen offset:28
	buffer_store_dword v34, v3, s[0:3], 0 offen offset:24
	;; [unrolled: 1-line block ×4, first 2 shown]
	buffer_load_dword v3, v5, s[0:3], 0 offen offset:28
	s_nop 0
	buffer_load_dword v27, v5, s[0:3], 0 offen offset:24
	buffer_load_dword v28, v5, s[0:3], 0 offen offset:20
	;; [unrolled: 1-line block ×6, first 2 shown]
	buffer_load_dword v33, v5, s[0:3], 0 offen
	ds_read_b128 v[20:23], v10 offset:64
	v_cmp_ne_u32_e64 s[6:7], v1, v4
                                        ; kill: killed $vgpr5
	ds_read_b128 v[4:7], v10 offset:80
	buffer_store_byte v9, off, s[0:3], 0 offset:352
	buffer_store_byte v0, off, s[0:3], 0 offset:388
	s_waitcnt lgkmcnt(1)
	buffer_store_dword v23, v2, s[0:3], 0 offen offset:12
	buffer_store_dword v22, v2, s[0:3], 0 offen offset:8
	;; [unrolled: 1-line block ×3, first 2 shown]
	buffer_store_dword v20, v2, s[0:3], 0 offen
	s_waitcnt lgkmcnt(0)
	buffer_store_dword v7, v2, s[0:3], 0 offen offset:28
	buffer_store_dword v6, v2, s[0:3], 0 offen offset:24
	;; [unrolled: 1-line block ×4, first 2 shown]
	s_waitcnt vmcnt(25)
	buffer_store_dword v26, off, s[0:3], 0 offset:348
	buffer_store_dword v25, off, s[0:3], 0 offset:344
	;; [unrolled: 1-line block ×8, first 2 shown]
	s_waitcnt vmcnt(25)
	buffer_store_dword v3, v18, s[0:3], 0 offen offset:28
	s_waitcnt vmcnt(25)
	buffer_store_dword v27, v18, s[0:3], 0 offen offset:24
	;; [unrolled: 2-line block ×7, first 2 shown]
	s_waitcnt vmcnt(25)
	buffer_store_dword v33, v18, s[0:3], 0 offen
.LBB2178_36:
	s_and_saveexec_b64 s[8:9], s[46:47]
	s_cbranch_execz .LBB2178_38
; %bb.37:
	v_mov_b32_e32 v0, 0x60
	v_cndmask_b32_e64 v0, v2, v0, s[6:7]
	buffer_load_dword v1, v0, s[0:3], 0 offen offset:12
	buffer_load_dword v2, v0, s[0:3], 0 offen offset:8
	;; [unrolled: 1-line block ×3, first 2 shown]
	buffer_load_dword v4, v0, s[0:3], 0 offen
	buffer_load_dword v5, v0, s[0:3], 0 offen offset:28
	buffer_load_dword v6, v0, s[0:3], 0 offen offset:24
	;; [unrolled: 1-line block ×4, first 2 shown]
                                        ; kill: killed $vgpr0
	v_cndmask_b32_e64 v0, 0, 1, s[6:7]
	s_waitcnt vmcnt(7)
	buffer_store_dword v1, v19, s[0:3], 0 offen offset:12
	s_waitcnt vmcnt(7)
	buffer_store_dword v2, v19, s[0:3], 0 offen offset:8
	;; [unrolled: 2-line block ×3, first 2 shown]
	s_waitcnt vmcnt(7)
	buffer_store_dword v4, v19, s[0:3], 0 offen
	s_waitcnt vmcnt(7)
	buffer_store_dword v5, v19, s[0:3], 0 offen offset:28
	s_waitcnt vmcnt(7)
	buffer_store_dword v6, v19, s[0:3], 0 offen offset:24
	s_waitcnt vmcnt(7)
	buffer_store_dword v7, v19, s[0:3], 0 offen offset:20
	s_waitcnt vmcnt(7)
	buffer_store_dword v9, v19, s[0:3], 0 offen offset:16
	buffer_store_byte v0, off, s[0:3], 0 offset:424
.LBB2178_38:
	s_or_b64 exec, exec, s[8:9]
	s_cmp_lg_u32 s10, 0
	s_barrier
	s_cbranch_scc0 .LBB2178_313
; %bb.39:
	buffer_load_dword v0, off, s[0:3], 0 offset:332
	buffer_load_dword v1, off, s[0:3], 0 offset:328
	;; [unrolled: 1-line block ×9, first 2 shown]
	buffer_load_ubyte v10, off, s[0:3], 0 offset:388
	s_waitcnt vmcnt(9)
	buffer_store_dword v0, off, s[0:3], 0 offset:252
	s_waitcnt vmcnt(9)
	buffer_store_dword v1, off, s[0:3], 0 offset:248
	;; [unrolled: 2-line block ×9, first 2 shown]
	s_waitcnt vmcnt(9)
	v_cmp_ne_u16_e32 vcc, 0, v10
                                        ; implicit-def: $vgpr6_vgpr7
                                        ; implicit-def: $vgpr4_vgpr5
                                        ; implicit-def: $vgpr2_vgpr3
                                        ; implicit-def: $vgpr0_vgpr1
	s_and_saveexec_b64 s[6:7], vcc
	s_xor_b64 s[6:7], exec, s[6:7]
	s_cbranch_execz .LBB2178_41
; %bb.40:
	buffer_load_dword v0, off, s[0:3], 0 offset:356
	buffer_load_dword v1, off, s[0:3], 0 offset:360
	;; [unrolled: 1-line block ×8, first 2 shown]
.LBB2178_41:
	s_andn2_saveexec_b64 s[6:7], s[6:7]
	s_cbranch_execz .LBB2178_47
; %bb.42:
	s_mov_b32 s8, 0
	s_waitcnt vmcnt(7)
	v_mov_b32_e32 v0, 0
	s_waitcnt vmcnt(6)
	v_mov_b32_e32 v1, 0
	s_waitcnt vmcnt(0)
.LBB2178_43:                            ; =>This Inner Loop Header: Depth=1
	v_add_u32_e32 v2, s8, v0
	s_add_i32 s8, s8, 8
	s_cmp_lg_u32 s8, 32
	buffer_store_dword v1, v2, s[0:3], 0 offen offset:4
	buffer_store_dword v1, v2, s[0:3], 0 offen
	s_cbranch_scc1 .LBB2178_43
; %bb.44:
	s_mov_b32 s8, 0
	v_mov_b32_e32 v0, 0xf0
	v_mov_b32_e32 v1, 0x140
	;; [unrolled: 1-line block ×3, first 2 shown]
.LBB2178_45:                            ; =>This Inner Loop Header: Depth=1
	v_add_u32_e32 v3, s8, v0
	v_add_u32_e32 v4, s8, v1
	buffer_load_dword v5, v3, s[0:3], 0 offen offset:4
	buffer_load_dword v6, v4, s[0:3], 0 offen offset:36
	buffer_load_dword v7, v3, s[0:3], 0 offen
	buffer_load_dword v12, v4, s[0:3], 0 offen offset:40
	v_add_u32_e32 v3, s8, v2
	s_add_i32 s8, s8, 8
	s_cmp_lg_u32 s8, 32
	s_waitcnt vmcnt(1)
	v_add_u32_e32 v4, v6, v7
	s_waitcnt vmcnt(0)
	v_add_u32_e32 v5, v12, v5
	buffer_store_dword v5, v3, s[0:3], 0 offen offset:4
	buffer_store_dword v4, v3, s[0:3], 0 offen
	s_cbranch_scc1 .LBB2178_45
; %bb.46:
	buffer_load_dword v0, off, s[0:3], 0
	buffer_load_dword v1, off, s[0:3], 0 offset:4
	buffer_load_dword v2, off, s[0:3], 0 offset:8
	;; [unrolled: 1-line block ×7, first 2 shown]
.LBB2178_47:
	s_or_b64 exec, exec, s[6:7]
	buffer_load_ubyte v12, off, s[0:3], 0 offset:424
	s_waitcnt vmcnt(7)
	buffer_store_dword v1, off, s[0:3], 0 offset:244
	buffer_store_dword v0, off, s[0:3], 0 offset:240
	s_waitcnt vmcnt(7)
	buffer_store_dword v3, off, s[0:3], 0 offset:252
	buffer_store_dword v2, off, s[0:3], 0 offset:248
	s_waitcnt vmcnt(7)
	buffer_store_dword v5, off, s[0:3], 0 offset:260
	buffer_store_dword v4, off, s[0:3], 0 offset:256
	s_waitcnt vmcnt(7)
	buffer_store_dword v7, off, s[0:3], 0 offset:268
	buffer_store_dword v6, off, s[0:3], 0 offset:264
                                        ; implicit-def: $vgpr6_vgpr7
                                        ; implicit-def: $vgpr4_vgpr5
                                        ; implicit-def: $vgpr2_vgpr3
                                        ; implicit-def: $vgpr0_vgpr1
	s_waitcnt vmcnt(8)
	v_cmp_ne_u16_e32 vcc, 0, v12
	s_and_saveexec_b64 s[6:7], vcc
	s_xor_b64 s[6:7], exec, s[6:7]
	s_cbranch_execz .LBB2178_49
; %bb.48:
	buffer_load_dword v0, off, s[0:3], 0 offset:392
	buffer_load_dword v1, off, s[0:3], 0 offset:396
	;; [unrolled: 1-line block ×8, first 2 shown]
.LBB2178_49:
	s_andn2_saveexec_b64 s[6:7], s[6:7]
	s_cbranch_execz .LBB2178_55
; %bb.50:
	s_mov_b32 s8, 0
	s_waitcnt vmcnt(7)
	v_mov_b32_e32 v0, 0
	s_waitcnt vmcnt(6)
	v_mov_b32_e32 v1, 0
	s_waitcnt vmcnt(0)
.LBB2178_51:                            ; =>This Inner Loop Header: Depth=1
	v_add_u32_e32 v2, s8, v0
	s_add_i32 s8, s8, 8
	s_cmp_lg_u32 s8, 32
	buffer_store_dword v1, v2, s[0:3], 0 offen offset:4
	buffer_store_dword v1, v2, s[0:3], 0 offen
	s_cbranch_scc1 .LBB2178_51
; %bb.52:
	s_mov_b32 s8, 0
	v_mov_b32_e32 v0, 0xf0
	v_mov_b32_e32 v1, 0x140
	;; [unrolled: 1-line block ×3, first 2 shown]
.LBB2178_53:                            ; =>This Inner Loop Header: Depth=1
	v_add_u32_e32 v3, s8, v0
	v_add_u32_e32 v4, s8, v1
	buffer_load_dword v5, v3, s[0:3], 0 offen offset:4
	buffer_load_dword v6, v4, s[0:3], 0 offen offset:72
	buffer_load_dword v7, v3, s[0:3], 0 offen
	buffer_load_dword v13, v4, s[0:3], 0 offen offset:76
	v_add_u32_e32 v3, s8, v2
	s_add_i32 s8, s8, 8
	s_cmp_lg_u32 s8, 32
	s_waitcnt vmcnt(1)
	v_add_u32_e32 v4, v6, v7
	s_waitcnt vmcnt(0)
	v_add_u32_e32 v5, v13, v5
	buffer_store_dword v5, v3, s[0:3], 0 offen offset:4
	buffer_store_dword v4, v3, s[0:3], 0 offen
	s_cbranch_scc1 .LBB2178_53
; %bb.54:
	buffer_load_dword v0, off, s[0:3], 0
	buffer_load_dword v1, off, s[0:3], 0 offset:4
	buffer_load_dword v2, off, s[0:3], 0 offset:8
	;; [unrolled: 1-line block ×7, first 2 shown]
.LBB2178_55:
	s_or_b64 exec, exec, s[6:7]
	v_or_b32_e32 v10, v12, v10
	v_or_b32_e32 v9, v10, v9
	v_and_b32_e32 v9, 1, v9
	buffer_store_byte v9, off, s[0:3], 0 offset:272
	buffer_load_dword v10, off, s[0:3], 0 offset:272
	v_mbcnt_lo_u32_b32 v9, -1, 0
	s_waitcnt vmcnt(9)
	v_mov_b32_dpp v12, v0 row_shr:1 row_mask:0xf bank_mask:0xf
	v_mbcnt_hi_u32_b32 v9, -1, v9
	s_waitcnt vmcnt(8)
	buffer_store_dword v1, off, s[0:3], 0 offset:244
	buffer_store_dword v0, off, s[0:3], 0 offset:240
	s_waitcnt vmcnt(8)
	buffer_store_dword v3, off, s[0:3], 0 offset:252
	buffer_store_dword v2, off, s[0:3], 0 offset:248
	;; [unrolled: 3-line block ×4, first 2 shown]
	v_mov_b32_dpp v13, v1 row_shr:1 row_mask:0xf bank_mask:0xf
	v_mov_b32_dpp v15, v2 row_shr:1 row_mask:0xf bank_mask:0xf
	;; [unrolled: 1-line block ×7, first 2 shown]
	buffer_store_dword v12, off, s[0:3], 0
	buffer_store_dword v13, off, s[0:3], 0 offset:4
	buffer_store_dword v15, off, s[0:3], 0 offset:8
	;; [unrolled: 1-line block ×7, first 2 shown]
	v_and_b32_e32 v12, 15, v9
	v_cmp_ne_u32_e32 vcc, 0, v12
	s_waitcnt vmcnt(16)
	v_mov_b32_dpp v13, v10 row_shr:1 row_mask:0xf bank_mask:0xf
	buffer_store_dword v13, off, s[0:3], 0 offset:32
	s_and_saveexec_b64 s[6:7], vcc
	s_xor_b64 s[6:7], exec, s[6:7]
	s_cbranch_execz .LBB2178_63
; %bb.56:
	v_mov_b32_e32 v15, 0
	v_cmp_eq_u16_sdwa s[12:13], v10, v15 src0_sel:BYTE_0 src1_sel:DWORD
	s_and_saveexec_b64 s[8:9], s[12:13]
	s_cbranch_execz .LBB2178_62
; %bb.57:
	s_mov_b32 s11, 0
	v_mov_b32_e32 v0, 0x60
.LBB2178_58:                            ; =>This Inner Loop Header: Depth=1
	v_add_u32_e32 v1, s11, v0
	s_add_i32 s11, s11, 8
	s_cmp_lg_u32 s11, 32
	buffer_store_dword v15, v1, s[0:3], 0 offen offset:4
	buffer_store_dword v15, v1, s[0:3], 0 offen
	s_cbranch_scc1 .LBB2178_58
; %bb.59:
	s_mov_b32 s11, 0
	v_mov_b32_e32 v0, 0
	v_mov_b32_e32 v1, 0xf0
	;; [unrolled: 1-line block ×3, first 2 shown]
.LBB2178_60:                            ; =>This Inner Loop Header: Depth=1
	v_add_u32_e32 v3, s11, v0
	v_add_u32_e32 v4, s11, v1
	buffer_load_dword v5, v3, s[0:3], 0 offen offset:4
	buffer_load_dword v6, v4, s[0:3], 0 offen
	buffer_load_dword v7, v3, s[0:3], 0 offen
	buffer_load_dword v15, v4, s[0:3], 0 offen offset:4
	v_add_u32_e32 v3, s11, v2
	s_add_i32 s11, s11, 8
	s_cmp_lg_u32 s11, 32
	s_waitcnt vmcnt(1)
	v_add_u32_e32 v4, v6, v7
	s_waitcnt vmcnt(0)
	v_add_u32_e32 v5, v15, v5
	buffer_store_dword v5, v3, s[0:3], 0 offen offset:4
	buffer_store_dword v4, v3, s[0:3], 0 offen
	s_cbranch_scc1 .LBB2178_60
; %bb.61:
	buffer_load_dword v0, off, s[0:3], 0 offset:96
	buffer_load_dword v1, off, s[0:3], 0 offset:100
	;; [unrolled: 1-line block ×8, first 2 shown]
.LBB2178_62:
	s_or_b64 exec, exec, s[8:9]
	v_or_b32_e32 v10, v13, v10
	v_and_b32_e32 v10, 1, v10
	buffer_store_byte v10, off, s[0:3], 0 offset:272
	buffer_load_dword v10, off, s[0:3], 0 offset:272
	s_waitcnt vmcnt(8)
	buffer_store_dword v1, off, s[0:3], 0 offset:244
	buffer_store_dword v0, off, s[0:3], 0 offset:240
	s_waitcnt vmcnt(8)
	buffer_store_dword v3, off, s[0:3], 0 offset:252
	buffer_store_dword v2, off, s[0:3], 0 offset:248
	;; [unrolled: 3-line block ×4, first 2 shown]
.LBB2178_63:
	s_or_b64 exec, exec, s[6:7]
	v_mov_b32_dpp v15, v0 row_shr:2 row_mask:0xf bank_mask:0xf
	s_waitcnt vmcnt(8)
	v_mov_b32_dpp v13, v10 row_shr:2 row_mask:0xf bank_mask:0xf
	v_cmp_lt_u32_e32 vcc, 1, v12
	v_mov_b32_dpp v16, v1 row_shr:2 row_mask:0xf bank_mask:0xf
	v_mov_b32_dpp v17, v2 row_shr:2 row_mask:0xf bank_mask:0xf
	;; [unrolled: 1-line block ×7, first 2 shown]
	buffer_store_dword v15, off, s[0:3], 0
	buffer_store_dword v16, off, s[0:3], 0 offset:4
	buffer_store_dword v17, off, s[0:3], 0 offset:8
	buffer_store_dword v20, off, s[0:3], 0 offset:12
	buffer_store_dword v21, off, s[0:3], 0 offset:16
	buffer_store_dword v22, off, s[0:3], 0 offset:20
	buffer_store_dword v23, off, s[0:3], 0 offset:24
	buffer_store_dword v24, off, s[0:3], 0 offset:28
	buffer_store_dword v13, off, s[0:3], 0 offset:32
	s_and_saveexec_b64 s[8:9], vcc
	s_cbranch_execz .LBB2178_71
; %bb.64:
	v_mov_b32_e32 v15, 0
	s_mov_b32 s11, 0
	v_cmp_eq_u16_sdwa s[12:13], v10, v15 src0_sel:BYTE_0 src1_sel:DWORD
	s_and_saveexec_b64 s[6:7], s[12:13]
	s_cbranch_execz .LBB2178_70
; %bb.65:
	v_mov_b32_e32 v0, 0x60
.LBB2178_66:                            ; =>This Inner Loop Header: Depth=1
	v_add_u32_e32 v1, s11, v0
	s_add_i32 s11, s11, 8
	s_cmp_lg_u32 s11, 32
	buffer_store_dword v15, v1, s[0:3], 0 offen offset:4
	buffer_store_dword v15, v1, s[0:3], 0 offen
	s_cbranch_scc1 .LBB2178_66
; %bb.67:
	s_mov_b32 s11, 0
	v_mov_b32_e32 v0, 0
	v_mov_b32_e32 v1, 0xf0
	;; [unrolled: 1-line block ×3, first 2 shown]
.LBB2178_68:                            ; =>This Inner Loop Header: Depth=1
	v_add_u32_e32 v3, s11, v0
	v_add_u32_e32 v4, s11, v1
	buffer_load_dword v5, v3, s[0:3], 0 offen offset:4
	buffer_load_dword v6, v4, s[0:3], 0 offen
	buffer_load_dword v7, v3, s[0:3], 0 offen
	buffer_load_dword v15, v4, s[0:3], 0 offen offset:4
	v_add_u32_e32 v3, s11, v2
	s_add_i32 s11, s11, 8
	s_cmp_lg_u32 s11, 32
	s_waitcnt vmcnt(1)
	v_add_u32_e32 v4, v6, v7
	s_waitcnt vmcnt(0)
	v_add_u32_e32 v5, v15, v5
	buffer_store_dword v5, v3, s[0:3], 0 offen offset:4
	buffer_store_dword v4, v3, s[0:3], 0 offen
	s_cbranch_scc1 .LBB2178_68
; %bb.69:
	buffer_load_dword v0, off, s[0:3], 0 offset:96
	buffer_load_dword v1, off, s[0:3], 0 offset:100
	;; [unrolled: 1-line block ×8, first 2 shown]
.LBB2178_70:
	s_or_b64 exec, exec, s[6:7]
	v_and_b32_e32 v10, 1, v10
	v_cmp_eq_u32_e32 vcc, 1, v10
	v_and_b32_e32 v10, 1, v13
	v_cmp_eq_u32_e64 s[6:7], 1, v10
	s_or_b64 s[6:7], vcc, s[6:7]
	v_cndmask_b32_e64 v10, 0, 1, s[6:7]
	buffer_store_byte v10, off, s[0:3], 0 offset:272
	buffer_load_dword v10, off, s[0:3], 0 offset:272
	s_waitcnt vmcnt(8)
	buffer_store_dword v1, off, s[0:3], 0 offset:244
	buffer_store_dword v0, off, s[0:3], 0 offset:240
	s_waitcnt vmcnt(8)
	buffer_store_dword v3, off, s[0:3], 0 offset:252
	buffer_store_dword v2, off, s[0:3], 0 offset:248
	s_waitcnt vmcnt(8)
	buffer_store_dword v5, off, s[0:3], 0 offset:260
	buffer_store_dword v4, off, s[0:3], 0 offset:256
	s_waitcnt vmcnt(8)
	buffer_store_dword v7, off, s[0:3], 0 offset:268
	buffer_store_dword v6, off, s[0:3], 0 offset:264
.LBB2178_71:
	s_or_b64 exec, exec, s[8:9]
	v_mov_b32_dpp v15, v0 row_shr:4 row_mask:0xf bank_mask:0xf
	s_waitcnt vmcnt(8)
	v_mov_b32_dpp v13, v10 row_shr:4 row_mask:0xf bank_mask:0xf
	v_cmp_lt_u32_e32 vcc, 3, v12
	v_mov_b32_dpp v16, v1 row_shr:4 row_mask:0xf bank_mask:0xf
	v_mov_b32_dpp v17, v2 row_shr:4 row_mask:0xf bank_mask:0xf
	;; [unrolled: 1-line block ×7, first 2 shown]
	buffer_store_dword v15, off, s[0:3], 0
	buffer_store_dword v16, off, s[0:3], 0 offset:4
	buffer_store_dword v17, off, s[0:3], 0 offset:8
	;; [unrolled: 1-line block ×8, first 2 shown]
	s_and_saveexec_b64 s[8:9], vcc
	s_cbranch_execz .LBB2178_79
; %bb.72:
	v_mov_b32_e32 v15, 0
	s_mov_b32 s11, 0
	v_cmp_eq_u16_sdwa s[12:13], v10, v15 src0_sel:BYTE_0 src1_sel:DWORD
	s_and_saveexec_b64 s[6:7], s[12:13]
	s_cbranch_execz .LBB2178_78
; %bb.73:
	v_mov_b32_e32 v0, 0x60
.LBB2178_74:                            ; =>This Inner Loop Header: Depth=1
	v_add_u32_e32 v1, s11, v0
	s_add_i32 s11, s11, 8
	s_cmp_lg_u32 s11, 32
	buffer_store_dword v15, v1, s[0:3], 0 offen offset:4
	buffer_store_dword v15, v1, s[0:3], 0 offen
	s_cbranch_scc1 .LBB2178_74
; %bb.75:
	s_mov_b32 s11, 0
	v_mov_b32_e32 v0, 0
	v_mov_b32_e32 v1, 0xf0
	;; [unrolled: 1-line block ×3, first 2 shown]
.LBB2178_76:                            ; =>This Inner Loop Header: Depth=1
	v_add_u32_e32 v3, s11, v0
	v_add_u32_e32 v4, s11, v1
	buffer_load_dword v5, v3, s[0:3], 0 offen offset:4
	buffer_load_dword v6, v4, s[0:3], 0 offen
	buffer_load_dword v7, v3, s[0:3], 0 offen
	buffer_load_dword v15, v4, s[0:3], 0 offen offset:4
	v_add_u32_e32 v3, s11, v2
	s_add_i32 s11, s11, 8
	s_cmp_lg_u32 s11, 32
	s_waitcnt vmcnt(1)
	v_add_u32_e32 v4, v6, v7
	s_waitcnt vmcnt(0)
	v_add_u32_e32 v5, v15, v5
	buffer_store_dword v5, v3, s[0:3], 0 offen offset:4
	buffer_store_dword v4, v3, s[0:3], 0 offen
	s_cbranch_scc1 .LBB2178_76
; %bb.77:
	buffer_load_dword v0, off, s[0:3], 0 offset:96
	buffer_load_dword v1, off, s[0:3], 0 offset:100
	;; [unrolled: 1-line block ×8, first 2 shown]
.LBB2178_78:
	s_or_b64 exec, exec, s[6:7]
	v_and_b32_e32 v10, 1, v10
	v_cmp_eq_u32_e32 vcc, 1, v10
	v_and_b32_e32 v10, 1, v13
	v_cmp_eq_u32_e64 s[6:7], 1, v10
	s_or_b64 s[6:7], vcc, s[6:7]
	v_cndmask_b32_e64 v10, 0, 1, s[6:7]
	buffer_store_byte v10, off, s[0:3], 0 offset:272
	buffer_load_dword v10, off, s[0:3], 0 offset:272
	s_waitcnt vmcnt(8)
	buffer_store_dword v1, off, s[0:3], 0 offset:244
	buffer_store_dword v0, off, s[0:3], 0 offset:240
	s_waitcnt vmcnt(8)
	buffer_store_dword v3, off, s[0:3], 0 offset:252
	buffer_store_dword v2, off, s[0:3], 0 offset:248
	s_waitcnt vmcnt(8)
	buffer_store_dword v5, off, s[0:3], 0 offset:260
	buffer_store_dword v4, off, s[0:3], 0 offset:256
	s_waitcnt vmcnt(8)
	buffer_store_dword v7, off, s[0:3], 0 offset:268
	buffer_store_dword v6, off, s[0:3], 0 offset:264
.LBB2178_79:
	s_or_b64 exec, exec, s[8:9]
	v_mov_b32_dpp v15, v0 row_shr:8 row_mask:0xf bank_mask:0xf
	s_waitcnt vmcnt(8)
	v_mov_b32_dpp v13, v10 row_shr:8 row_mask:0xf bank_mask:0xf
	v_cmp_lt_u32_e32 vcc, 7, v12
	v_mov_b32_dpp v16, v1 row_shr:8 row_mask:0xf bank_mask:0xf
	v_mov_b32_dpp v17, v2 row_shr:8 row_mask:0xf bank_mask:0xf
	;; [unrolled: 1-line block ×7, first 2 shown]
	buffer_store_dword v15, off, s[0:3], 0
	buffer_store_dword v16, off, s[0:3], 0 offset:4
	buffer_store_dword v17, off, s[0:3], 0 offset:8
	;; [unrolled: 1-line block ×8, first 2 shown]
	s_and_saveexec_b64 s[8:9], vcc
	s_cbranch_execz .LBB2178_87
; %bb.80:
	v_mov_b32_e32 v12, 0
	s_mov_b32 s11, 0
	v_cmp_eq_u16_sdwa s[12:13], v10, v12 src0_sel:BYTE_0 src1_sel:DWORD
	s_and_saveexec_b64 s[6:7], s[12:13]
	s_cbranch_execz .LBB2178_86
; %bb.81:
	v_mov_b32_e32 v0, 0x60
.LBB2178_82:                            ; =>This Inner Loop Header: Depth=1
	v_add_u32_e32 v1, s11, v0
	s_add_i32 s11, s11, 8
	s_cmp_lg_u32 s11, 32
	buffer_store_dword v12, v1, s[0:3], 0 offen offset:4
	buffer_store_dword v12, v1, s[0:3], 0 offen
	s_cbranch_scc1 .LBB2178_82
; %bb.83:
	s_mov_b32 s11, 0
	v_mov_b32_e32 v0, 0
	v_mov_b32_e32 v1, 0xf0
	;; [unrolled: 1-line block ×3, first 2 shown]
.LBB2178_84:                            ; =>This Inner Loop Header: Depth=1
	v_add_u32_e32 v3, s11, v0
	v_add_u32_e32 v4, s11, v1
	buffer_load_dword v5, v3, s[0:3], 0 offen offset:4
	buffer_load_dword v6, v4, s[0:3], 0 offen
	buffer_load_dword v7, v3, s[0:3], 0 offen
	buffer_load_dword v12, v4, s[0:3], 0 offen offset:4
	v_add_u32_e32 v3, s11, v2
	s_add_i32 s11, s11, 8
	s_cmp_lg_u32 s11, 32
	s_waitcnt vmcnt(1)
	v_add_u32_e32 v4, v6, v7
	s_waitcnt vmcnt(0)
	v_add_u32_e32 v5, v12, v5
	buffer_store_dword v5, v3, s[0:3], 0 offen offset:4
	buffer_store_dword v4, v3, s[0:3], 0 offen
	s_cbranch_scc1 .LBB2178_84
; %bb.85:
	buffer_load_dword v0, off, s[0:3], 0 offset:96
	buffer_load_dword v1, off, s[0:3], 0 offset:100
	;; [unrolled: 1-line block ×8, first 2 shown]
.LBB2178_86:
	s_or_b64 exec, exec, s[6:7]
	v_and_b32_e32 v10, 1, v10
	v_cmp_eq_u32_e32 vcc, 1, v10
	v_and_b32_e32 v10, 1, v13
	v_cmp_eq_u32_e64 s[6:7], 1, v10
	s_or_b64 s[6:7], vcc, s[6:7]
	v_cndmask_b32_e64 v10, 0, 1, s[6:7]
	buffer_store_byte v10, off, s[0:3], 0 offset:272
	buffer_load_dword v10, off, s[0:3], 0 offset:272
	s_waitcnt vmcnt(8)
	buffer_store_dword v1, off, s[0:3], 0 offset:244
	buffer_store_dword v0, off, s[0:3], 0 offset:240
	s_waitcnt vmcnt(8)
	buffer_store_dword v3, off, s[0:3], 0 offset:252
	buffer_store_dword v2, off, s[0:3], 0 offset:248
	;; [unrolled: 3-line block ×4, first 2 shown]
.LBB2178_87:
	s_or_b64 exec, exec, s[8:9]
	v_mov_b32_dpp v13, v0 row_bcast:15 row_mask:0xf bank_mask:0xf
	v_mov_b32_dpp v15, v1 row_bcast:15 row_mask:0xf bank_mask:0xf
	;; [unrolled: 1-line block ×8, first 2 shown]
	s_waitcnt vmcnt(8)
	v_mov_b32_dpp v12, v10 row_bcast:15 row_mask:0xf bank_mask:0xf
	buffer_store_dword v13, off, s[0:3], 0
	buffer_store_dword v15, off, s[0:3], 0 offset:4
	buffer_store_dword v16, off, s[0:3], 0 offset:8
	;; [unrolled: 1-line block ×8, first 2 shown]
	v_and_b32_e32 v13, 16, v9
	v_cmp_ne_u32_e32 vcc, 0, v13
	s_and_saveexec_b64 s[8:9], vcc
	s_cbranch_execz .LBB2178_95
; %bb.88:
	v_mov_b32_e32 v13, 0
	s_mov_b32 s11, 0
	v_cmp_eq_u16_sdwa s[12:13], v10, v13 src0_sel:BYTE_0 src1_sel:DWORD
	s_and_saveexec_b64 s[6:7], s[12:13]
	s_cbranch_execz .LBB2178_94
; %bb.89:
	v_mov_b32_e32 v0, 0x60
.LBB2178_90:                            ; =>This Inner Loop Header: Depth=1
	v_add_u32_e32 v1, s11, v0
	s_add_i32 s11, s11, 8
	s_cmp_lg_u32 s11, 32
	buffer_store_dword v13, v1, s[0:3], 0 offen offset:4
	buffer_store_dword v13, v1, s[0:3], 0 offen
	s_cbranch_scc1 .LBB2178_90
; %bb.91:
	s_mov_b32 s11, 0
	v_mov_b32_e32 v0, 0
	v_mov_b32_e32 v1, 0xf0
	;; [unrolled: 1-line block ×3, first 2 shown]
.LBB2178_92:                            ; =>This Inner Loop Header: Depth=1
	v_add_u32_e32 v3, s11, v0
	v_add_u32_e32 v4, s11, v1
	buffer_load_dword v5, v3, s[0:3], 0 offen offset:4
	buffer_load_dword v6, v4, s[0:3], 0 offen
	buffer_load_dword v7, v3, s[0:3], 0 offen
	buffer_load_dword v13, v4, s[0:3], 0 offen offset:4
	v_add_u32_e32 v3, s11, v2
	s_add_i32 s11, s11, 8
	s_cmp_lg_u32 s11, 32
	s_waitcnt vmcnt(1)
	v_add_u32_e32 v4, v6, v7
	s_waitcnt vmcnt(0)
	v_add_u32_e32 v5, v13, v5
	buffer_store_dword v5, v3, s[0:3], 0 offen offset:4
	buffer_store_dword v4, v3, s[0:3], 0 offen
	s_cbranch_scc1 .LBB2178_92
; %bb.93:
	buffer_load_dword v0, off, s[0:3], 0 offset:96
	buffer_load_dword v1, off, s[0:3], 0 offset:100
	;; [unrolled: 1-line block ×8, first 2 shown]
.LBB2178_94:
	s_or_b64 exec, exec, s[6:7]
	v_and_b32_e32 v10, 1, v10
	v_cmp_eq_u32_e32 vcc, 1, v10
	v_and_b32_e32 v10, 1, v12
	v_cmp_eq_u32_e64 s[6:7], 1, v10
	s_or_b64 s[6:7], vcc, s[6:7]
	v_cndmask_b32_e64 v10, 0, 1, s[6:7]
	buffer_store_byte v10, off, s[0:3], 0 offset:272
	buffer_load_dword v10, off, s[0:3], 0 offset:272
	s_waitcnt vmcnt(8)
	buffer_store_dword v1, off, s[0:3], 0 offset:244
	buffer_store_dword v0, off, s[0:3], 0 offset:240
	s_waitcnt vmcnt(8)
	buffer_store_dword v3, off, s[0:3], 0 offset:252
	buffer_store_dword v2, off, s[0:3], 0 offset:248
	;; [unrolled: 3-line block ×4, first 2 shown]
.LBB2178_95:
	s_or_b64 exec, exec, s[8:9]
	v_mov_b32_dpp v13, v0 row_bcast:31 row_mask:0xf bank_mask:0xf
	s_waitcnt vmcnt(8)
	v_mov_b32_dpp v12, v10 row_bcast:31 row_mask:0xf bank_mask:0xf
	v_cmp_lt_u32_e32 vcc, 31, v9
	v_mov_b32_dpp v15, v1 row_bcast:31 row_mask:0xf bank_mask:0xf
	v_mov_b32_dpp v16, v2 row_bcast:31 row_mask:0xf bank_mask:0xf
	;; [unrolled: 1-line block ×7, first 2 shown]
	buffer_store_dword v13, off, s[0:3], 0
	buffer_store_dword v15, off, s[0:3], 0 offset:4
	buffer_store_dword v16, off, s[0:3], 0 offset:8
	;; [unrolled: 1-line block ×8, first 2 shown]
	s_and_saveexec_b64 s[8:9], vcc
	s_cbranch_execz .LBB2178_103
; %bb.96:
	v_mov_b32_e32 v13, 0
	s_mov_b32 s11, 0
	v_cmp_eq_u16_sdwa s[12:13], v10, v13 src0_sel:BYTE_0 src1_sel:DWORD
	s_and_saveexec_b64 s[6:7], s[12:13]
	s_cbranch_execz .LBB2178_102
; %bb.97:
	v_mov_b32_e32 v0, 0x60
.LBB2178_98:                            ; =>This Inner Loop Header: Depth=1
	v_add_u32_e32 v1, s11, v0
	s_add_i32 s11, s11, 8
	s_cmp_lg_u32 s11, 32
	buffer_store_dword v13, v1, s[0:3], 0 offen offset:4
	buffer_store_dword v13, v1, s[0:3], 0 offen
	s_cbranch_scc1 .LBB2178_98
; %bb.99:
	s_mov_b32 s11, 0
	v_mov_b32_e32 v0, 0
	v_mov_b32_e32 v1, 0xf0
	;; [unrolled: 1-line block ×3, first 2 shown]
.LBB2178_100:                           ; =>This Inner Loop Header: Depth=1
	v_add_u32_e32 v3, s11, v0
	v_add_u32_e32 v4, s11, v1
	buffer_load_dword v5, v3, s[0:3], 0 offen offset:4
	buffer_load_dword v6, v4, s[0:3], 0 offen
	buffer_load_dword v7, v3, s[0:3], 0 offen
	buffer_load_dword v13, v4, s[0:3], 0 offen offset:4
	v_add_u32_e32 v3, s11, v2
	s_add_i32 s11, s11, 8
	s_cmp_lg_u32 s11, 32
	s_waitcnt vmcnt(1)
	v_add_u32_e32 v4, v6, v7
	s_waitcnt vmcnt(0)
	v_add_u32_e32 v5, v13, v5
	buffer_store_dword v5, v3, s[0:3], 0 offen offset:4
	buffer_store_dword v4, v3, s[0:3], 0 offen
	s_cbranch_scc1 .LBB2178_100
; %bb.101:
	buffer_load_dword v0, off, s[0:3], 0 offset:96
	buffer_load_dword v1, off, s[0:3], 0 offset:100
	;; [unrolled: 1-line block ×8, first 2 shown]
.LBB2178_102:
	s_or_b64 exec, exec, s[6:7]
	v_and_b32_e32 v10, 1, v10
	v_cmp_eq_u32_e32 vcc, 1, v10
	v_and_b32_e32 v10, 1, v12
	v_cmp_eq_u32_e64 s[6:7], 1, v10
	s_or_b64 s[6:7], vcc, s[6:7]
	v_cndmask_b32_e64 v10, 0, 1, s[6:7]
	s_waitcnt vmcnt(6)
	buffer_store_dword v1, off, s[0:3], 0 offset:244
	buffer_store_dword v0, off, s[0:3], 0 offset:240
	s_waitcnt vmcnt(6)
	buffer_store_dword v3, off, s[0:3], 0 offset:252
	buffer_store_dword v2, off, s[0:3], 0 offset:248
	s_waitcnt vmcnt(6)
	buffer_store_dword v5, off, s[0:3], 0 offset:260
	buffer_store_dword v4, off, s[0:3], 0 offset:256
	s_waitcnt vmcnt(6)
	buffer_store_dword v7, off, s[0:3], 0 offset:268
	buffer_store_dword v6, off, s[0:3], 0 offset:264
	buffer_store_byte v10, off, s[0:3], 0 offset:272
.LBB2178_103:
	s_or_b64 exec, exec, s[8:9]
	v_or_b32_e32 v13, 63, v8
	v_lshrrev_b32_e32 v12, 6, v8
	v_cmp_eq_u32_e32 vcc, v13, v8
	s_and_saveexec_b64 s[6:7], vcc
	s_cbranch_execz .LBB2178_105
; %bb.104:
	v_mul_u32_u24_e32 v13, 36, v12
	ds_write2_b32 v13, v0, v1 offset1:1
	ds_write2_b32 v13, v2, v3 offset0:2 offset1:3
	ds_write2_b32 v13, v4, v5 offset0:4 offset1:5
	;; [unrolled: 1-line block ×3, first 2 shown]
	ds_write_b8 v13, v10 offset:32
.LBB2178_105:
	s_or_b64 exec, exec, s[6:7]
	v_cmp_gt_u32_e32 vcc, 4, v8
	s_waitcnt lgkmcnt(0)
	s_barrier
	s_and_saveexec_b64 s[8:9], vcc
	s_cbranch_execz .LBB2178_123
; %bb.106:
	v_mul_u32_u24_e32 v10, 36, v8
	ds_read_b32 v13, v10 offset:32
	ds_read2_b32 v[0:1], v10 offset0:6 offset1:7
	ds_read2_b32 v[2:3], v10 offset0:4 offset1:5
	;; [unrolled: 1-line block ×3, first 2 shown]
	ds_read2_b32 v[6:7], v10 offset1:1
	v_and_b32_e32 v15, 3, v9
	s_waitcnt lgkmcnt(4)
	v_mov_b32_dpp v16, v13 row_shr:1 row_mask:0xf bank_mask:0xf
	v_cmp_ne_u32_e32 vcc, 0, v15
	buffer_store_dword v13, off, s[0:3], 0 offset:128
	s_waitcnt lgkmcnt(0)
	v_mov_b32_dpp v17, v6 row_shr:1 row_mask:0xf bank_mask:0xf
	buffer_store_dword v1, off, s[0:3], 0 offset:124
	buffer_store_dword v0, off, s[0:3], 0 offset:120
	;; [unrolled: 1-line block ×8, first 2 shown]
	v_mov_b32_dpp v20, v7 row_shr:1 row_mask:0xf bank_mask:0xf
	v_mov_b32_dpp v21, v4 row_shr:1 row_mask:0xf bank_mask:0xf
	;; [unrolled: 1-line block ×7, first 2 shown]
	buffer_store_dword v17, off, s[0:3], 0
	buffer_store_dword v20, off, s[0:3], 0 offset:4
	buffer_store_dword v21, off, s[0:3], 0 offset:8
	;; [unrolled: 1-line block ×8, first 2 shown]
	s_and_saveexec_b64 s[6:7], vcc
	s_cbranch_execz .LBB2178_114
; %bb.107:
	v_mov_b32_e32 v17, 0
	v_cmp_eq_u16_sdwa s[28:29], v13, v17 src0_sel:BYTE_0 src1_sel:DWORD
	s_and_saveexec_b64 s[12:13], s[28:29]
	s_cbranch_execz .LBB2178_113
; %bb.108:
	s_mov_b32 s11, 0
	v_mov_b32_e32 v0, 0x84
.LBB2178_109:                           ; =>This Inner Loop Header: Depth=1
	v_add_u32_e32 v1, s11, v0
	s_add_i32 s11, s11, 8
	s_cmp_lg_u32 s11, 32
	buffer_store_dword v17, v1, s[0:3], 0 offen offset:4
	buffer_store_dword v17, v1, s[0:3], 0 offen
	s_cbranch_scc1 .LBB2178_109
; %bb.110:
	s_mov_b32 s11, 0
	v_mov_b32_e32 v0, 0
	v_mov_b32_e32 v1, 0x60
	;; [unrolled: 1-line block ×3, first 2 shown]
.LBB2178_111:                           ; =>This Inner Loop Header: Depth=1
	v_add_u32_e32 v3, s11, v0
	v_add_u32_e32 v4, s11, v1
	buffer_load_dword v5, v3, s[0:3], 0 offen offset:4
	buffer_load_dword v6, v4, s[0:3], 0 offen
	buffer_load_dword v7, v3, s[0:3], 0 offen
	buffer_load_dword v17, v4, s[0:3], 0 offen offset:4
	v_add_u32_e32 v3, s11, v2
	s_add_i32 s11, s11, 8
	s_cmp_lg_u32 s11, 32
	s_waitcnt vmcnt(1)
	v_add_u32_e32 v4, v6, v7
	s_waitcnt vmcnt(0)
	v_add_u32_e32 v5, v17, v5
	buffer_store_dword v5, v3, s[0:3], 0 offen offset:4
	buffer_store_dword v4, v3, s[0:3], 0 offen
	s_cbranch_scc1 .LBB2178_111
; %bb.112:
	buffer_load_dword v6, off, s[0:3], 0 offset:132
	buffer_load_dword v7, off, s[0:3], 0 offset:136
	;; [unrolled: 1-line block ×8, first 2 shown]
.LBB2178_113:
	s_or_b64 exec, exec, s[12:13]
	v_or_b32_e32 v13, v16, v13
	v_and_b32_e32 v13, 1, v13
	buffer_store_byte v13, off, s[0:3], 0 offset:128
	buffer_load_dword v13, off, s[0:3], 0 offset:128
	s_waitcnt vmcnt(8)
	buffer_store_dword v7, off, s[0:3], 0 offset:100
	buffer_store_dword v6, off, s[0:3], 0 offset:96
	s_waitcnt vmcnt(8)
	buffer_store_dword v5, off, s[0:3], 0 offset:108
	buffer_store_dword v4, off, s[0:3], 0 offset:104
	;; [unrolled: 3-line block ×4, first 2 shown]
.LBB2178_114:
	s_or_b64 exec, exec, s[6:7]
	v_mov_b32_dpp v17, v6 row_shr:2 row_mask:0xf bank_mask:0xf
	s_waitcnt vmcnt(8)
	v_mov_b32_dpp v16, v13 row_shr:2 row_mask:0xf bank_mask:0xf
	v_cmp_lt_u32_e32 vcc, 1, v15
	v_mov_b32_dpp v20, v7 row_shr:2 row_mask:0xf bank_mask:0xf
	v_mov_b32_dpp v21, v4 row_shr:2 row_mask:0xf bank_mask:0xf
	v_mov_b32_dpp v22, v5 row_shr:2 row_mask:0xf bank_mask:0xf
	v_mov_b32_dpp v23, v2 row_shr:2 row_mask:0xf bank_mask:0xf
	v_mov_b32_dpp v24, v3 row_shr:2 row_mask:0xf bank_mask:0xf
	v_mov_b32_dpp v25, v0 row_shr:2 row_mask:0xf bank_mask:0xf
	v_mov_b32_dpp v26, v1 row_shr:2 row_mask:0xf bank_mask:0xf
	buffer_store_dword v17, off, s[0:3], 0
	buffer_store_dword v20, off, s[0:3], 0 offset:4
	buffer_store_dword v21, off, s[0:3], 0 offset:8
	;; [unrolled: 1-line block ×8, first 2 shown]
	s_and_saveexec_b64 s[12:13], vcc
	s_cbranch_execz .LBB2178_122
; %bb.115:
	v_mov_b32_e32 v15, 0
	s_mov_b32 s11, 0
	v_cmp_eq_u16_sdwa s[28:29], v13, v15 src0_sel:BYTE_0 src1_sel:DWORD
	s_and_saveexec_b64 s[6:7], s[28:29]
	s_cbranch_execz .LBB2178_121
; %bb.116:
	v_mov_b32_e32 v0, 0x84
.LBB2178_117:                           ; =>This Inner Loop Header: Depth=1
	v_add_u32_e32 v1, s11, v0
	s_add_i32 s11, s11, 8
	s_cmp_lg_u32 s11, 32
	buffer_store_dword v15, v1, s[0:3], 0 offen offset:4
	buffer_store_dword v15, v1, s[0:3], 0 offen
	s_cbranch_scc1 .LBB2178_117
; %bb.118:
	s_mov_b32 s11, 0
	v_mov_b32_e32 v0, 0
	v_mov_b32_e32 v1, 0x60
	;; [unrolled: 1-line block ×3, first 2 shown]
.LBB2178_119:                           ; =>This Inner Loop Header: Depth=1
	v_add_u32_e32 v3, s11, v0
	v_add_u32_e32 v4, s11, v1
	buffer_load_dword v5, v3, s[0:3], 0 offen offset:4
	buffer_load_dword v6, v4, s[0:3], 0 offen
	buffer_load_dword v7, v3, s[0:3], 0 offen
	buffer_load_dword v15, v4, s[0:3], 0 offen offset:4
	v_add_u32_e32 v3, s11, v2
	s_add_i32 s11, s11, 8
	s_cmp_lg_u32 s11, 32
	s_waitcnt vmcnt(1)
	v_add_u32_e32 v4, v6, v7
	s_waitcnt vmcnt(0)
	v_add_u32_e32 v5, v15, v5
	buffer_store_dword v5, v3, s[0:3], 0 offen offset:4
	buffer_store_dword v4, v3, s[0:3], 0 offen
	s_cbranch_scc1 .LBB2178_119
; %bb.120:
	buffer_load_dword v6, off, s[0:3], 0 offset:132
	buffer_load_dword v7, off, s[0:3], 0 offset:136
	;; [unrolled: 1-line block ×8, first 2 shown]
.LBB2178_121:
	s_or_b64 exec, exec, s[6:7]
	v_and_b32_e32 v13, 1, v13
	v_cmp_eq_u32_e32 vcc, 1, v13
	v_and_b32_e32 v13, 1, v16
	v_cmp_eq_u32_e64 s[6:7], 1, v13
	s_or_b64 s[6:7], vcc, s[6:7]
	v_cndmask_b32_e64 v13, 0, 1, s[6:7]
	s_waitcnt vmcnt(6)
	buffer_store_dword v7, off, s[0:3], 0 offset:100
	buffer_store_dword v6, off, s[0:3], 0 offset:96
	s_waitcnt vmcnt(6)
	buffer_store_dword v5, off, s[0:3], 0 offset:108
	buffer_store_dword v4, off, s[0:3], 0 offset:104
	;; [unrolled: 3-line block ×4, first 2 shown]
.LBB2178_122:
	s_or_b64 exec, exec, s[12:13]
	buffer_load_dword v0, off, s[0:3], 0 offset:96
	buffer_load_dword v1, off, s[0:3], 0 offset:100
	;; [unrolled: 1-line block ×8, first 2 shown]
	s_waitcnt vmcnt(4)
	ds_write2_b32 v10, v2, v3 offset0:2 offset1:3
	ds_write2_b32 v10, v0, v1 offset1:1
	s_waitcnt vmcnt(2)
	ds_write2_b32 v10, v4, v5 offset0:6 offset1:7
	s_waitcnt vmcnt(0)
	ds_write2_b32 v10, v6, v7 offset0:4 offset1:5
	ds_write_b8 v10, v13 offset:32
.LBB2178_123:
	s_or_b64 exec, exec, s[8:9]
	v_mov_b32_e32 v0, 0
	s_mov_b32 s6, 0
	v_mov_b32_e32 v1, 0
	s_waitcnt lgkmcnt(0)
	s_barrier
	buffer_store_dword v0, off, s[0:3], 0 offset:28
	buffer_store_dword v0, off, s[0:3], 0 offset:24
	;; [unrolled: 1-line block ×7, first 2 shown]
	buffer_store_dword v0, off, s[0:3], 0
	buffer_store_dword v0, off, s[0:3], 0 offset:32
.LBB2178_124:                           ; =>This Inner Loop Header: Depth=1
	v_add_u32_e32 v2, s6, v1
	s_add_i32 s6, s6, 8
	s_cmp_lg_u32 s6, 32
	buffer_store_dword v0, v2, s[0:3], 0 offen offset:4
	buffer_store_dword v0, v2, s[0:3], 0 offen
	s_cbranch_scc1 .LBB2178_124
; %bb.125:
	v_cmp_gt_u32_e32 vcc, 64, v8
	v_cmp_lt_u32_e64 s[6:7], 63, v8
                                        ; implicit-def: $vgpr0_vgpr1
                                        ; implicit-def: $vgpr2_vgpr3
                                        ; implicit-def: $vgpr4_vgpr5
                                        ; implicit-def: $vgpr6_vgpr7
                                        ; implicit-def: $vgpr10
	s_and_saveexec_b64 s[8:9], s[6:7]
	s_xor_b64 s[8:9], exec, s[8:9]
	s_cbranch_execz .LBB2178_135
; %bb.126:
	buffer_load_ubyte v13, off, s[0:3], 0 offset:272
	v_not_b32_e32 v0, 35
	v_mad_u32_u24 v10, v12, 36, v0
	ds_read2_b32 v[0:1], v10 offset0:2 offset1:3
	ds_read2_b32 v[2:3], v10 offset0:4 offset1:5
	ds_read2_b32 v[4:5], v10 offset1:1
	ds_read2_b32 v[6:7], v10 offset0:6 offset1:7
	s_waitcnt lgkmcnt(3)
	buffer_store_dword v1, off, s[0:3], 0 offset:12
	buffer_store_dword v0, off, s[0:3], 0 offset:8
	s_waitcnt lgkmcnt(1)
	buffer_store_dword v5, off, s[0:3], 0 offset:4
	buffer_store_dword v4, off, s[0:3], 0
	s_waitcnt lgkmcnt(0)
	buffer_store_dword v7, off, s[0:3], 0 offset:28
	ds_read_u8 v10, v10 offset:32
	buffer_store_dword v6, off, s[0:3], 0 offset:24
	buffer_store_dword v3, off, s[0:3], 0 offset:20
	;; [unrolled: 1-line block ×3, first 2 shown]
                                        ; implicit-def: $vgpr0_vgpr1
                                        ; implicit-def: $vgpr2_vgpr3
                                        ; implicit-def: $vgpr4_vgpr5
                                        ; implicit-def: $vgpr6_vgpr7
	s_waitcnt vmcnt(8)
	v_cmp_ne_u16_e64 s[6:7], 0, v13
	s_and_saveexec_b64 s[12:13], s[6:7]
	s_xor_b64 s[6:7], exec, s[12:13]
	s_cbranch_execz .LBB2178_128
; %bb.127:
	buffer_load_dword v0, off, s[0:3], 0 offset:240
	buffer_load_dword v1, off, s[0:3], 0 offset:244
	;; [unrolled: 1-line block ×8, first 2 shown]
.LBB2178_128:
	s_andn2_saveexec_b64 s[6:7], s[6:7]
	s_cbranch_execz .LBB2178_134
; %bb.129:
	s_mov_b32 s11, 0
	s_waitcnt vmcnt(7)
	v_mov_b32_e32 v0, 0x60
	s_waitcnt vmcnt(6)
	v_mov_b32_e32 v1, 0
	s_waitcnt vmcnt(0)
.LBB2178_130:                           ; =>This Inner Loop Header: Depth=1
	v_add_u32_e32 v2, s11, v0
	s_add_i32 s11, s11, 8
	s_cmp_lg_u32 s11, 32
	buffer_store_dword v1, v2, s[0:3], 0 offen offset:4
	buffer_store_dword v1, v2, s[0:3], 0 offen
	s_cbranch_scc1 .LBB2178_130
; %bb.131:
	s_mov_b32 s11, 0
	v_mov_b32_e32 v0, 0
	v_mov_b32_e32 v1, 0xf0
	;; [unrolled: 1-line block ×3, first 2 shown]
.LBB2178_132:                           ; =>This Inner Loop Header: Depth=1
	v_add_u32_e32 v3, s11, v0
	v_add_u32_e32 v4, s11, v1
	buffer_load_dword v5, v3, s[0:3], 0 offen offset:4
	buffer_load_dword v6, v4, s[0:3], 0 offen
	buffer_load_dword v7, v3, s[0:3], 0 offen
	buffer_load_dword v12, v4, s[0:3], 0 offen offset:4
	v_add_u32_e32 v3, s11, v2
	s_add_i32 s11, s11, 8
	s_cmp_lg_u32 s11, 32
	s_waitcnt vmcnt(1)
	v_add_u32_e32 v4, v6, v7
	s_waitcnt vmcnt(0)
	v_add_u32_e32 v5, v12, v5
	buffer_store_dword v5, v3, s[0:3], 0 offen offset:4
	buffer_store_dword v4, v3, s[0:3], 0 offen
	s_cbranch_scc1 .LBB2178_132
; %bb.133:
	buffer_load_dword v0, off, s[0:3], 0 offset:96
	buffer_load_dword v1, off, s[0:3], 0 offset:100
	buffer_load_dword v2, off, s[0:3], 0 offset:104
	buffer_load_dword v3, off, s[0:3], 0 offset:108
	buffer_load_dword v4, off, s[0:3], 0 offset:112
	buffer_load_dword v5, off, s[0:3], 0 offset:116
	buffer_load_dword v6, off, s[0:3], 0 offset:120
	buffer_load_dword v7, off, s[0:3], 0 offset:124
.LBB2178_134:
	s_or_b64 exec, exec, s[6:7]
	s_waitcnt lgkmcnt(0)
	v_or_b32_e32 v12, v13, v10
	v_and_b32_e32 v12, 1, v12
	buffer_store_byte v12, off, s[0:3], 0 offset:272
.LBB2178_135:
	s_andn2_saveexec_b64 s[6:7], s[8:9]
	s_cbranch_execz .LBB2178_137
; %bb.136:
	buffer_load_dword v0, off, s[0:3], 0 offset:240
	buffer_load_dword v1, off, s[0:3], 0 offset:244
	;; [unrolled: 1-line block ×8, first 2 shown]
	v_mov_b32_e32 v10, 0
.LBB2178_137:
	s_or_b64 exec, exec, s[6:7]
	buffer_load_dword v12, off, s[0:3], 0 offset:272
	v_add_u32_e32 v13, -1, v9
	v_and_b32_e32 v15, 64, v9
	v_cmp_lt_i32_e64 s[6:7], v13, v15
	v_cndmask_b32_e64 v13, v13, v9, s[6:7]
	v_lshlrev_b32_e32 v13, 2, v13
	s_waitcnt vmcnt(8)
	ds_bpermute_b32 v0, v13, v0
	s_waitcnt vmcnt(7)
	ds_bpermute_b32 v1, v13, v1
	;; [unrolled: 2-line block ×3, first 2 shown]
	ds_bpermute_b32 v2, v13, v2
	s_waitcnt vmcnt(3)
	ds_bpermute_b32 v5, v13, v5
	ds_bpermute_b32 v3, v13, v3
	s_waitcnt vmcnt(2)
	ds_bpermute_b32 v6, v13, v6
	s_waitcnt vmcnt(1)
	ds_bpermute_b32 v7, v13, v7
	s_waitcnt lgkmcnt(7)
	buffer_store_dword v0, off, s[0:3], 0 offset:240
	s_waitcnt lgkmcnt(6)
	buffer_store_dword v1, off, s[0:3], 0 offset:244
	s_waitcnt lgkmcnt(4)
	buffer_store_dword v2, off, s[0:3], 0 offset:248
	s_waitcnt lgkmcnt(2)
	buffer_store_dword v3, off, s[0:3], 0 offset:252
	v_cmp_eq_u32_e64 s[6:7], 0, v9
	s_waitcnt vmcnt(4)
	ds_bpermute_b32 v0, v13, v12
	buffer_store_dword v4, off, s[0:3], 0 offset:256
	buffer_store_dword v5, off, s[0:3], 0 offset:260
	s_waitcnt lgkmcnt(2)
	buffer_store_dword v6, off, s[0:3], 0 offset:264
	s_waitcnt lgkmcnt(1)
	;; [unrolled: 2-line block ×3, first 2 shown]
	buffer_store_byte v0, off, s[0:3], 0 offset:272
	s_and_saveexec_b64 s[8:9], s[6:7]
	s_cbranch_execz .LBB2178_139
; %bb.138:
	buffer_load_dword v0, off, s[0:3], 0 offset:12
	buffer_load_dword v1, off, s[0:3], 0 offset:8
	;; [unrolled: 1-line block ×3, first 2 shown]
	buffer_load_dword v3, off, s[0:3], 0
	buffer_load_dword v4, off, s[0:3], 0 offset:28
	buffer_load_dword v5, off, s[0:3], 0 offset:24
	;; [unrolled: 1-line block ×4, first 2 shown]
	s_waitcnt vmcnt(7)
	buffer_store_dword v0, off, s[0:3], 0 offset:252
	s_waitcnt vmcnt(7)
	buffer_store_dword v1, off, s[0:3], 0 offset:248
	;; [unrolled: 2-line block ×8, first 2 shown]
	buffer_store_byte v10, off, s[0:3], 0 offset:272
.LBB2178_139:
	s_or_b64 exec, exec, s[8:9]
	s_and_saveexec_b64 s[12:13], vcc
	s_cbranch_execz .LBB2178_284
; %bb.140:
	v_mov_b32_e32 v10, 0
	ds_read2_b32 v[4:5], v10 offset0:27 offset1:28
	ds_read2_b32 v[6:7], v10 offset0:29 offset1:30
	;; [unrolled: 1-line block ×4, first 2 shown]
	ds_read_b32 v12, v10 offset:140
	s_waitcnt lgkmcnt(4)
	buffer_store_dword v5, off, s[0:3], 0 offset:208
	buffer_store_dword v4, off, s[0:3], 0 offset:204
	s_waitcnt lgkmcnt(3)
	buffer_store_dword v7, off, s[0:3], 0 offset:216
	buffer_store_dword v6, off, s[0:3], 0 offset:212
	;; [unrolled: 3-line block ×4, first 2 shown]
	s_waitcnt lgkmcnt(0)
	buffer_store_dword v12, off, s[0:3], 0 offset:236
	s_and_saveexec_b64 s[8:9], s[6:7]
	s_cbranch_execz .LBB2178_142
; %bb.141:
	s_add_i32 s11, s10, 64
	s_mul_i32 s28, s11, 36
	s_mul_hi_u32 s29, s11, 36
	s_add_u32 s28, s16, s28
	s_addc_u32 s29, s17, s29
	global_store_dwordx4 v10, v[4:7], s[28:29]
	global_store_dwordx4 v10, v[0:3], s[28:29] offset:16
	global_store_byte v10, v12, s[28:29] offset:32
	v_mov_b32_e32 v0, s11
	v_mov_b32_e32 v1, 1
	s_waitcnt vmcnt(0)
	buffer_wbinvl1_vol
	global_store_byte v0, v1, s[20:21]
.LBB2178_142:
	s_or_b64 exec, exec, s[8:9]
	s_mov_b32 s8, 0
	v_mov_b32_e32 v0, 0xa8
	buffer_store_dword v10, off, s[0:3], 0 offset:196
	buffer_store_dword v10, off, s[0:3], 0 offset:192
	buffer_store_dword v10, off, s[0:3], 0 offset:188
	buffer_store_dword v10, off, s[0:3], 0 offset:184
	buffer_store_dword v10, off, s[0:3], 0 offset:180
	buffer_store_dword v10, off, s[0:3], 0 offset:176
	buffer_store_dword v10, off, s[0:3], 0 offset:172
	buffer_store_dword v10, off, s[0:3], 0 offset:168
	buffer_store_dword v10, off, s[0:3], 0 offset:200
.LBB2178_143:                           ; =>This Inner Loop Header: Depth=1
	v_add_u32_e32 v1, s8, v0
	s_add_i32 s8, s8, 8
	s_cmp_lg_u32 s8, 32
	buffer_store_dword v10, v1, s[0:3], 0 offen offset:4
	buffer_store_dword v10, v1, s[0:3], 0 offen
	s_cbranch_scc1 .LBB2178_143
; %bb.144:
	s_mov_b32 s8, 0
	v_mov_b32_e32 v0, 0
	v_mov_b32_e32 v1, 0x60
	buffer_store_byte v0, off, s[0:3], 0 offset:200
	buffer_store_dword v0, off, s[0:3], 0 offset:124
	buffer_store_dword v0, off, s[0:3], 0 offset:120
	;; [unrolled: 1-line block ×9, first 2 shown]
.LBB2178_145:                           ; =>This Inner Loop Header: Depth=1
	v_add_u32_e32 v2, s8, v1
	s_add_i32 s8, s8, 8
	s_cmp_lg_u32 s8, 32
	buffer_store_dword v0, v2, s[0:3], 0 offen offset:4
	buffer_store_dword v0, v2, s[0:3], 0 offen
	s_cbranch_scc1 .LBB2178_145
; %bb.146:
	v_xad_u32 v10, v9, -1, s10
	v_mov_b32_e32 v0, 0
	buffer_store_byte v0, off, s[0:3], 0 offset:128
	v_add_u32_e32 v0, 64, v10
	global_load_ubyte v15, v0, s[20:21] glc
	s_waitcnt vmcnt(0)
	v_cmp_eq_u16_e32 vcc, 0, v15
	s_and_saveexec_b64 s[8:9], vcc
	s_cbranch_execz .LBB2178_152
; %bb.147:
	v_mov_b32_e32 v1, s21
	v_add_co_u32_e32 v2, vcc, s20, v0
	v_addc_co_u32_e32 v3, vcc, 0, v1, vcc
	s_mov_b32 s11, 1
	s_mov_b64 s[28:29], 0
.LBB2178_148:                           ; =>This Loop Header: Depth=1
                                        ;     Child Loop BB2178_149 Depth 2
	s_max_u32 s33, s11, 1
.LBB2178_149:                           ;   Parent Loop BB2178_148 Depth=1
                                        ; =>  This Inner Loop Header: Depth=2
	s_add_i32 s33, s33, -1
	s_cmp_eq_u32 s33, 0
	s_sleep 1
	s_cbranch_scc0 .LBB2178_149
; %bb.150:                              ;   in Loop: Header=BB2178_148 Depth=1
	global_load_ubyte v15, v[2:3], off glc
	s_cmp_lt_u32 s11, 32
	s_cselect_b64 s[46:47], -1, 0
	s_cmp_lg_u64 s[46:47], 0
	s_addc_u32 s11, s11, 0
	s_waitcnt vmcnt(0)
	v_cmp_ne_u16_e32 vcc, 0, v15
	s_or_b64 s[28:29], vcc, s[28:29]
	s_andn2_b64 exec, exec, s[28:29]
	s_cbranch_execnz .LBB2178_148
; %bb.151:
	s_or_b64 exec, exec, s[28:29]
.LBB2178_152:
	s_or_b64 exec, exec, s[8:9]
	v_mov_b32_e32 v1, s19
	v_mov_b32_e32 v2, s17
	v_cmp_eq_u16_e32 vcc, 1, v15
	v_cndmask_b32_e32 v3, v1, v2, vcc
	v_mov_b32_e32 v1, s18
	v_mov_b32_e32 v2, s16
	v_cndmask_b32_e32 v2, v1, v2, vcc
	v_mad_u64_u32 v[12:13], s[8:9], v0, 36, v[2:3]
	buffer_wbinvl1_vol
	global_load_dwordx4 v[0:3], v[12:13], off
	global_load_dwordx4 v[4:7], v[12:13], off offset:16
	global_load_ubyte v16, v[12:13], off offset:32
	v_mov_b32_e32 v12, 0
	s_mov_b32 s8, 0
	v_mov_b32_e32 v13, 0
	buffer_store_dword v12, off, s[0:3], 0 offset:32
	s_waitcnt vmcnt(3)
	buffer_store_dword v3, off, s[0:3], 0 offset:108
	buffer_store_dword v2, off, s[0:3], 0 offset:104
	;; [unrolled: 1-line block ×4, first 2 shown]
	s_waitcnt vmcnt(6)
	buffer_store_dword v7, off, s[0:3], 0 offset:124
	buffer_store_dword v6, off, s[0:3], 0 offset:120
	;; [unrolled: 1-line block ×4, first 2 shown]
	s_waitcnt vmcnt(9)
	buffer_store_byte v16, off, s[0:3], 0 offset:128
	buffer_store_dword v1, off, s[0:3], 0 offset:172
	buffer_store_dword v0, off, s[0:3], 0 offset:168
	;; [unrolled: 1-line block ×8, first 2 shown]
	buffer_store_byte v16, off, s[0:3], 0 offset:200
.LBB2178_153:                           ; =>This Inner Loop Header: Depth=1
	v_add_u32_e32 v16, s8, v13
	s_add_i32 s8, s8, 8
	s_cmp_lg_u32 s8, 32
	buffer_store_dword v12, v16, s[0:3], 0 offen offset:4
	buffer_store_dword v12, v16, s[0:3], 0 offen
	s_cbranch_scc1 .LBB2178_153
; %bb.154:
	buffer_load_dword v29, off, s[0:3], 0 offset:200
	v_lshlrev_b64 v[12:13], v9, -1
	v_cmp_eq_u16_e32 vcc, 2, v15
	v_and_b32_e32 v16, 63, v9
	v_and_b32_e32 v17, vcc_hi, v13
	v_and_b32_e32 v20, vcc_lo, v12
	v_cmp_ne_u32_e32 vcc, 63, v16
	v_addc_co_u32_e32 v21, vcc, 0, v9, vcc
	v_or_b32_e32 v22, 0x80000000, v17
	v_lshlrev_b32_e32 v17, 2, v21
	v_ffbl_b32_e32 v21, v22
	v_ffbl_b32_e32 v20, v20
	v_add_u32_e32 v21, 32, v21
	ds_bpermute_b32 v22, v17, v0
	ds_bpermute_b32 v26, v17, v4
	v_min_u32_e32 v30, v20, v21
	ds_bpermute_b32 v23, v17, v1
	ds_bpermute_b32 v27, v17, v5
	;; [unrolled: 1-line block ×6, first 2 shown]
	v_cmp_lt_u32_e32 vcc, v16, v30
	s_waitcnt lgkmcnt(7)
	buffer_store_dword v22, off, s[0:3], 0
	s_waitcnt lgkmcnt(5)
	buffer_store_dword v23, off, s[0:3], 0 offset:4
	s_waitcnt lgkmcnt(3)
	buffer_store_dword v24, off, s[0:3], 0 offset:8
	;; [unrolled: 2-line block ×3, first 2 shown]
	buffer_store_dword v26, off, s[0:3], 0 offset:16
	buffer_store_dword v27, off, s[0:3], 0 offset:20
	;; [unrolled: 1-line block ×3, first 2 shown]
	s_waitcnt lgkmcnt(0)
	buffer_store_dword v31, off, s[0:3], 0 offset:28
	s_waitcnt vmcnt(8)
	ds_bpermute_b32 v20, v17, v29
	s_and_saveexec_b64 s[8:9], vcc
	s_cbranch_execz .LBB2178_162
; %bb.155:
	v_mov_b32_e32 v21, 0
	v_cmp_eq_u16_sdwa s[46:47], v29, v21 src0_sel:BYTE_0 src1_sel:DWORD
	s_and_saveexec_b64 s[28:29], s[46:47]
	s_cbranch_execz .LBB2178_161
; %bb.156:
	s_mov_b32 s11, 0
	v_mov_b32_e32 v0, 0x84
.LBB2178_157:                           ; =>This Inner Loop Header: Depth=1
	v_add_u32_e32 v1, s11, v0
	s_add_i32 s11, s11, 8
	s_cmp_lg_u32 s11, 32
	buffer_store_dword v21, v1, s[0:3], 0 offen offset:4
	buffer_store_dword v21, v1, s[0:3], 0 offen
	s_cbranch_scc1 .LBB2178_157
; %bb.158:
	s_mov_b32 s11, 0
	v_mov_b32_e32 v0, 0
	v_mov_b32_e32 v1, 0xa8
	;; [unrolled: 1-line block ×3, first 2 shown]
.LBB2178_159:                           ; =>This Inner Loop Header: Depth=1
	v_add_u32_e32 v3, s11, v0
	v_add_u32_e32 v4, s11, v1
	buffer_load_dword v5, v3, s[0:3], 0 offen offset:4
	buffer_load_dword v6, v4, s[0:3], 0 offen
	buffer_load_dword v7, v3, s[0:3], 0 offen
	buffer_load_dword v21, v4, s[0:3], 0 offen offset:4
	v_add_u32_e32 v3, s11, v2
	s_add_i32 s11, s11, 8
	s_cmp_lg_u32 s11, 32
	s_waitcnt vmcnt(1)
	v_add_u32_e32 v4, v6, v7
	s_waitcnt vmcnt(0)
	v_add_u32_e32 v5, v21, v5
	buffer_store_dword v5, v3, s[0:3], 0 offen offset:4
	buffer_store_dword v4, v3, s[0:3], 0 offen
	s_cbranch_scc1 .LBB2178_159
; %bb.160:
	buffer_load_dword v0, off, s[0:3], 0 offset:132
	buffer_load_dword v1, off, s[0:3], 0 offset:136
	;; [unrolled: 1-line block ×8, first 2 shown]
.LBB2178_161:
	s_or_b64 exec, exec, s[28:29]
	s_waitcnt lgkmcnt(0)
	v_or_b32_e32 v20, v20, v29
	v_and_b32_e32 v20, 1, v20
	buffer_store_byte v20, off, s[0:3], 0 offset:200
	buffer_load_dword v29, off, s[0:3], 0 offset:200
	s_waitcnt vmcnt(8)
	buffer_store_dword v1, off, s[0:3], 0 offset:172
	buffer_store_dword v0, off, s[0:3], 0 offset:168
	s_waitcnt vmcnt(8)
	buffer_store_dword v3, off, s[0:3], 0 offset:180
	buffer_store_dword v2, off, s[0:3], 0 offset:176
	;; [unrolled: 3-line block ×4, first 2 shown]
.LBB2178_162:
	s_or_b64 exec, exec, s[8:9]
	v_cmp_gt_u32_e32 vcc, 62, v16
	v_cndmask_b32_e64 v21, 0, 1, vcc
	v_lshlrev_b32_e32 v21, 1, v21
	v_add_lshl_u32 v21, v21, v9, 2
	ds_bpermute_b32 v23, v21, v0
	s_waitcnt vmcnt(8)
	ds_bpermute_b32 v22, v21, v29
	ds_bpermute_b32 v24, v21, v1
	ds_bpermute_b32 v25, v21, v2
	s_waitcnt lgkmcnt(4)
	v_add_u32_e32 v20, 2, v16
	ds_bpermute_b32 v26, v21, v3
	ds_bpermute_b32 v27, v21, v4
	v_cmp_le_u32_e32 vcc, v20, v30
	ds_bpermute_b32 v28, v21, v5
	ds_bpermute_b32 v31, v21, v6
	;; [unrolled: 1-line block ×3, first 2 shown]
	s_waitcnt lgkmcnt(8)
	buffer_store_dword v23, off, s[0:3], 0
	s_waitcnt lgkmcnt(6)
	buffer_store_dword v24, off, s[0:3], 0 offset:4
	s_waitcnt lgkmcnt(5)
	buffer_store_dword v25, off, s[0:3], 0 offset:8
	s_waitcnt lgkmcnt(4)
	buffer_store_dword v26, off, s[0:3], 0 offset:12
	s_waitcnt lgkmcnt(3)
	buffer_store_dword v27, off, s[0:3], 0 offset:16
	s_waitcnt lgkmcnt(2)
	buffer_store_dword v28, off, s[0:3], 0 offset:20
	s_waitcnt lgkmcnt(1)
	buffer_store_dword v31, off, s[0:3], 0 offset:24
	s_waitcnt lgkmcnt(0)
	buffer_store_dword v32, off, s[0:3], 0 offset:28
	s_and_saveexec_b64 s[28:29], vcc
	s_cbranch_execz .LBB2178_170
; %bb.163:
	v_mov_b32_e32 v23, 0
	s_mov_b32 s11, 0
	v_cmp_eq_u16_sdwa s[46:47], v29, v23 src0_sel:BYTE_0 src1_sel:DWORD
	s_and_saveexec_b64 s[8:9], s[46:47]
	s_cbranch_execz .LBB2178_169
; %bb.164:
	v_mov_b32_e32 v0, 0x84
.LBB2178_165:                           ; =>This Inner Loop Header: Depth=1
	v_add_u32_e32 v1, s11, v0
	s_add_i32 s11, s11, 8
	s_cmp_lg_u32 s11, 32
	buffer_store_dword v23, v1, s[0:3], 0 offen offset:4
	buffer_store_dword v23, v1, s[0:3], 0 offen
	s_cbranch_scc1 .LBB2178_165
; %bb.166:
	s_mov_b32 s11, 0
	v_mov_b32_e32 v0, 0
	v_mov_b32_e32 v1, 0xa8
	;; [unrolled: 1-line block ×3, first 2 shown]
.LBB2178_167:                           ; =>This Inner Loop Header: Depth=1
	v_add_u32_e32 v3, s11, v0
	v_add_u32_e32 v4, s11, v1
	buffer_load_dword v5, v3, s[0:3], 0 offen offset:4
	buffer_load_dword v6, v4, s[0:3], 0 offen
	buffer_load_dword v7, v3, s[0:3], 0 offen
	buffer_load_dword v23, v4, s[0:3], 0 offen offset:4
	v_add_u32_e32 v3, s11, v2
	s_add_i32 s11, s11, 8
	s_cmp_lg_u32 s11, 32
	s_waitcnt vmcnt(1)
	v_add_u32_e32 v4, v6, v7
	s_waitcnt vmcnt(0)
	v_add_u32_e32 v5, v23, v5
	buffer_store_dword v5, v3, s[0:3], 0 offen offset:4
	buffer_store_dword v4, v3, s[0:3], 0 offen
	s_cbranch_scc1 .LBB2178_167
; %bb.168:
	buffer_load_dword v0, off, s[0:3], 0 offset:132
	buffer_load_dword v1, off, s[0:3], 0 offset:136
	buffer_load_dword v2, off, s[0:3], 0 offset:140
	buffer_load_dword v3, off, s[0:3], 0 offset:144
	buffer_load_dword v4, off, s[0:3], 0 offset:148
	buffer_load_dword v5, off, s[0:3], 0 offset:152
	buffer_load_dword v6, off, s[0:3], 0 offset:156
	buffer_load_dword v7, off, s[0:3], 0 offset:160
.LBB2178_169:
	s_or_b64 exec, exec, s[8:9]
	v_and_b32_e32 v23, 1, v29
	v_and_b32_e32 v22, 1, v22
	v_cmp_eq_u32_e32 vcc, 1, v23
	v_cmp_eq_u32_e64 s[8:9], 1, v22
	s_or_b64 s[8:9], vcc, s[8:9]
	v_cndmask_b32_e64 v22, 0, 1, s[8:9]
	buffer_store_byte v22, off, s[0:3], 0 offset:200
	buffer_load_dword v29, off, s[0:3], 0 offset:200
	s_waitcnt vmcnt(8)
	buffer_store_dword v1, off, s[0:3], 0 offset:172
	buffer_store_dword v0, off, s[0:3], 0 offset:168
	s_waitcnt vmcnt(8)
	buffer_store_dword v3, off, s[0:3], 0 offset:180
	buffer_store_dword v2, off, s[0:3], 0 offset:176
	;; [unrolled: 3-line block ×4, first 2 shown]
.LBB2178_170:
	s_or_b64 exec, exec, s[28:29]
	v_cmp_gt_u32_e32 vcc, 60, v16
	v_cndmask_b32_e64 v23, 0, 1, vcc
	v_lshlrev_b32_e32 v23, 2, v23
	v_add_lshl_u32 v23, v23, v9, 2
	ds_bpermute_b32 v25, v23, v0
	s_waitcnt vmcnt(8)
	ds_bpermute_b32 v24, v23, v29
	ds_bpermute_b32 v26, v23, v1
	;; [unrolled: 1-line block ×3, first 2 shown]
	v_add_u32_e32 v22, 4, v16
	ds_bpermute_b32 v28, v23, v3
	ds_bpermute_b32 v31, v23, v4
	v_cmp_le_u32_e32 vcc, v22, v30
	ds_bpermute_b32 v32, v23, v5
	ds_bpermute_b32 v33, v23, v6
	;; [unrolled: 1-line block ×3, first 2 shown]
	s_waitcnt lgkmcnt(8)
	buffer_store_dword v25, off, s[0:3], 0
	s_waitcnt lgkmcnt(6)
	buffer_store_dword v26, off, s[0:3], 0 offset:4
	s_waitcnt lgkmcnt(5)
	buffer_store_dword v27, off, s[0:3], 0 offset:8
	;; [unrolled: 2-line block ×7, first 2 shown]
	s_and_saveexec_b64 s[28:29], vcc
	s_cbranch_execz .LBB2178_178
; %bb.171:
	v_mov_b32_e32 v25, 0
	s_mov_b32 s11, 0
	v_cmp_eq_u16_sdwa s[46:47], v29, v25 src0_sel:BYTE_0 src1_sel:DWORD
	s_and_saveexec_b64 s[8:9], s[46:47]
	s_cbranch_execz .LBB2178_177
; %bb.172:
	v_mov_b32_e32 v0, 0x84
.LBB2178_173:                           ; =>This Inner Loop Header: Depth=1
	v_add_u32_e32 v1, s11, v0
	s_add_i32 s11, s11, 8
	s_cmp_lg_u32 s11, 32
	buffer_store_dword v25, v1, s[0:3], 0 offen offset:4
	buffer_store_dword v25, v1, s[0:3], 0 offen
	s_cbranch_scc1 .LBB2178_173
; %bb.174:
	s_mov_b32 s11, 0
	v_mov_b32_e32 v0, 0
	v_mov_b32_e32 v1, 0xa8
	;; [unrolled: 1-line block ×3, first 2 shown]
.LBB2178_175:                           ; =>This Inner Loop Header: Depth=1
	v_add_u32_e32 v3, s11, v0
	v_add_u32_e32 v4, s11, v1
	buffer_load_dword v5, v3, s[0:3], 0 offen offset:4
	buffer_load_dword v6, v4, s[0:3], 0 offen
	buffer_load_dword v7, v3, s[0:3], 0 offen
	buffer_load_dword v25, v4, s[0:3], 0 offen offset:4
	v_add_u32_e32 v3, s11, v2
	s_add_i32 s11, s11, 8
	s_cmp_lg_u32 s11, 32
	s_waitcnt vmcnt(1)
	v_add_u32_e32 v4, v6, v7
	s_waitcnt vmcnt(0)
	v_add_u32_e32 v5, v25, v5
	buffer_store_dword v5, v3, s[0:3], 0 offen offset:4
	buffer_store_dword v4, v3, s[0:3], 0 offen
	s_cbranch_scc1 .LBB2178_175
; %bb.176:
	buffer_load_dword v0, off, s[0:3], 0 offset:132
	buffer_load_dword v1, off, s[0:3], 0 offset:136
	;; [unrolled: 1-line block ×8, first 2 shown]
.LBB2178_177:
	s_or_b64 exec, exec, s[8:9]
	v_and_b32_e32 v25, 1, v29
	v_and_b32_e32 v24, 1, v24
	v_cmp_eq_u32_e32 vcc, 1, v25
	v_cmp_eq_u32_e64 s[8:9], 1, v24
	s_or_b64 s[8:9], vcc, s[8:9]
	v_cndmask_b32_e64 v24, 0, 1, s[8:9]
	buffer_store_byte v24, off, s[0:3], 0 offset:200
	buffer_load_dword v29, off, s[0:3], 0 offset:200
	s_waitcnt vmcnt(8)
	buffer_store_dword v1, off, s[0:3], 0 offset:172
	buffer_store_dword v0, off, s[0:3], 0 offset:168
	s_waitcnt vmcnt(8)
	buffer_store_dword v3, off, s[0:3], 0 offset:180
	buffer_store_dword v2, off, s[0:3], 0 offset:176
	;; [unrolled: 3-line block ×4, first 2 shown]
.LBB2178_178:
	s_or_b64 exec, exec, s[28:29]
	v_cmp_gt_u32_e32 vcc, 56, v16
	v_cndmask_b32_e64 v25, 0, 1, vcc
	v_lshlrev_b32_e32 v25, 3, v25
	v_add_lshl_u32 v25, v25, v9, 2
	ds_bpermute_b32 v27, v25, v0
	s_waitcnt vmcnt(8)
	ds_bpermute_b32 v26, v25, v29
	ds_bpermute_b32 v28, v25, v1
	;; [unrolled: 1-line block ×3, first 2 shown]
	v_add_u32_e32 v24, 8, v16
	ds_bpermute_b32 v32, v25, v3
	ds_bpermute_b32 v33, v25, v4
	v_cmp_le_u32_e32 vcc, v24, v30
	ds_bpermute_b32 v34, v25, v5
	ds_bpermute_b32 v35, v25, v6
	;; [unrolled: 1-line block ×3, first 2 shown]
	s_waitcnt lgkmcnt(8)
	buffer_store_dword v27, off, s[0:3], 0
	s_waitcnt lgkmcnt(6)
	buffer_store_dword v28, off, s[0:3], 0 offset:4
	s_waitcnt lgkmcnt(5)
	buffer_store_dword v31, off, s[0:3], 0 offset:8
	;; [unrolled: 2-line block ×7, first 2 shown]
	s_and_saveexec_b64 s[28:29], vcc
	s_cbranch_execz .LBB2178_186
; %bb.179:
	v_mov_b32_e32 v27, 0
	s_mov_b32 s11, 0
	v_cmp_eq_u16_sdwa s[46:47], v29, v27 src0_sel:BYTE_0 src1_sel:DWORD
	s_and_saveexec_b64 s[8:9], s[46:47]
	s_cbranch_execz .LBB2178_185
; %bb.180:
	v_mov_b32_e32 v0, 0x84
.LBB2178_181:                           ; =>This Inner Loop Header: Depth=1
	v_add_u32_e32 v1, s11, v0
	s_add_i32 s11, s11, 8
	s_cmp_lg_u32 s11, 32
	buffer_store_dword v27, v1, s[0:3], 0 offen offset:4
	buffer_store_dword v27, v1, s[0:3], 0 offen
	s_cbranch_scc1 .LBB2178_181
; %bb.182:
	s_mov_b32 s11, 0
	v_mov_b32_e32 v0, 0
	v_mov_b32_e32 v1, 0xa8
	;; [unrolled: 1-line block ×3, first 2 shown]
.LBB2178_183:                           ; =>This Inner Loop Header: Depth=1
	v_add_u32_e32 v3, s11, v0
	v_add_u32_e32 v4, s11, v1
	buffer_load_dword v5, v3, s[0:3], 0 offen offset:4
	buffer_load_dword v6, v4, s[0:3], 0 offen
	buffer_load_dword v7, v3, s[0:3], 0 offen
	buffer_load_dword v27, v4, s[0:3], 0 offen offset:4
	v_add_u32_e32 v3, s11, v2
	s_add_i32 s11, s11, 8
	s_cmp_lg_u32 s11, 32
	s_waitcnt vmcnt(1)
	v_add_u32_e32 v4, v6, v7
	s_waitcnt vmcnt(0)
	v_add_u32_e32 v5, v27, v5
	buffer_store_dword v5, v3, s[0:3], 0 offen offset:4
	buffer_store_dword v4, v3, s[0:3], 0 offen
	s_cbranch_scc1 .LBB2178_183
; %bb.184:
	buffer_load_dword v0, off, s[0:3], 0 offset:132
	buffer_load_dword v1, off, s[0:3], 0 offset:136
	;; [unrolled: 1-line block ×8, first 2 shown]
.LBB2178_185:
	s_or_b64 exec, exec, s[8:9]
	v_and_b32_e32 v27, 1, v29
	v_and_b32_e32 v26, 1, v26
	v_cmp_eq_u32_e32 vcc, 1, v27
	v_cmp_eq_u32_e64 s[8:9], 1, v26
	s_or_b64 s[8:9], vcc, s[8:9]
	v_cndmask_b32_e64 v26, 0, 1, s[8:9]
	buffer_store_byte v26, off, s[0:3], 0 offset:200
	buffer_load_dword v29, off, s[0:3], 0 offset:200
	s_waitcnt vmcnt(8)
	buffer_store_dword v1, off, s[0:3], 0 offset:172
	buffer_store_dword v0, off, s[0:3], 0 offset:168
	s_waitcnt vmcnt(8)
	buffer_store_dword v3, off, s[0:3], 0 offset:180
	buffer_store_dword v2, off, s[0:3], 0 offset:176
	;; [unrolled: 3-line block ×4, first 2 shown]
.LBB2178_186:
	s_or_b64 exec, exec, s[28:29]
	v_cmp_gt_u32_e32 vcc, 48, v16
	v_cndmask_b32_e64 v27, 0, 1, vcc
	v_lshlrev_b32_e32 v27, 4, v27
	v_add_lshl_u32 v27, v27, v9, 2
	ds_bpermute_b32 v31, v27, v0
	s_waitcnt vmcnt(8)
	ds_bpermute_b32 v28, v27, v29
	ds_bpermute_b32 v32, v27, v1
	;; [unrolled: 1-line block ×3, first 2 shown]
	v_add_u32_e32 v26, 16, v16
	ds_bpermute_b32 v34, v27, v3
	ds_bpermute_b32 v35, v27, v4
	v_cmp_le_u32_e32 vcc, v26, v30
	ds_bpermute_b32 v36, v27, v5
	ds_bpermute_b32 v37, v27, v6
	ds_bpermute_b32 v38, v27, v7
	s_waitcnt lgkmcnt(8)
	buffer_store_dword v31, off, s[0:3], 0
	s_waitcnt lgkmcnt(6)
	buffer_store_dword v32, off, s[0:3], 0 offset:4
	s_waitcnt lgkmcnt(5)
	buffer_store_dword v33, off, s[0:3], 0 offset:8
	;; [unrolled: 2-line block ×7, first 2 shown]
	s_and_saveexec_b64 s[28:29], vcc
	s_cbranch_execz .LBB2178_194
; %bb.187:
	v_mov_b32_e32 v31, 0
	s_mov_b32 s11, 0
	v_cmp_eq_u16_sdwa s[46:47], v29, v31 src0_sel:BYTE_0 src1_sel:DWORD
	s_and_saveexec_b64 s[8:9], s[46:47]
	s_cbranch_execz .LBB2178_193
; %bb.188:
	v_mov_b32_e32 v0, 0x84
.LBB2178_189:                           ; =>This Inner Loop Header: Depth=1
	v_add_u32_e32 v1, s11, v0
	s_add_i32 s11, s11, 8
	s_cmp_lg_u32 s11, 32
	buffer_store_dword v31, v1, s[0:3], 0 offen offset:4
	buffer_store_dword v31, v1, s[0:3], 0 offen
	s_cbranch_scc1 .LBB2178_189
; %bb.190:
	s_mov_b32 s11, 0
	v_mov_b32_e32 v0, 0
	v_mov_b32_e32 v1, 0xa8
	;; [unrolled: 1-line block ×3, first 2 shown]
.LBB2178_191:                           ; =>This Inner Loop Header: Depth=1
	v_add_u32_e32 v3, s11, v0
	v_add_u32_e32 v4, s11, v1
	buffer_load_dword v5, v3, s[0:3], 0 offen offset:4
	buffer_load_dword v6, v4, s[0:3], 0 offen
	buffer_load_dword v7, v3, s[0:3], 0 offen
	buffer_load_dword v31, v4, s[0:3], 0 offen offset:4
	v_add_u32_e32 v3, s11, v2
	s_add_i32 s11, s11, 8
	s_cmp_lg_u32 s11, 32
	s_waitcnt vmcnt(1)
	v_add_u32_e32 v4, v6, v7
	s_waitcnt vmcnt(0)
	v_add_u32_e32 v5, v31, v5
	buffer_store_dword v5, v3, s[0:3], 0 offen offset:4
	buffer_store_dword v4, v3, s[0:3], 0 offen
	s_cbranch_scc1 .LBB2178_191
; %bb.192:
	buffer_load_dword v0, off, s[0:3], 0 offset:132
	buffer_load_dword v1, off, s[0:3], 0 offset:136
	;; [unrolled: 1-line block ×8, first 2 shown]
.LBB2178_193:
	s_or_b64 exec, exec, s[8:9]
	v_and_b32_e32 v29, 1, v29
	v_and_b32_e32 v28, 1, v28
	v_cmp_eq_u32_e32 vcc, 1, v29
	v_cmp_eq_u32_e64 s[8:9], 1, v28
	s_or_b64 s[8:9], vcc, s[8:9]
	v_cndmask_b32_e64 v28, 0, 1, s[8:9]
	buffer_store_byte v28, off, s[0:3], 0 offset:200
	buffer_load_dword v29, off, s[0:3], 0 offset:200
	s_waitcnt vmcnt(8)
	buffer_store_dword v1, off, s[0:3], 0 offset:172
	buffer_store_dword v0, off, s[0:3], 0 offset:168
	s_waitcnt vmcnt(8)
	buffer_store_dword v3, off, s[0:3], 0 offset:180
	buffer_store_dword v2, off, s[0:3], 0 offset:176
	s_waitcnt vmcnt(8)
	buffer_store_dword v5, off, s[0:3], 0 offset:188
	buffer_store_dword v4, off, s[0:3], 0 offset:184
	s_waitcnt vmcnt(8)
	buffer_store_dword v7, off, s[0:3], 0 offset:196
	buffer_store_dword v6, off, s[0:3], 0 offset:192
.LBB2178_194:
	s_or_b64 exec, exec, s[28:29]
	v_cmp_gt_u32_e32 vcc, 32, v16
	v_cndmask_b32_e64 v31, 0, 1, vcc
	v_lshlrev_b32_e32 v31, 5, v31
	v_add_lshl_u32 v9, v31, v9, 2
	ds_bpermute_b32 v32, v9, v0
	s_waitcnt vmcnt(8)
	ds_bpermute_b32 v31, v9, v29
	ds_bpermute_b32 v33, v9, v1
	;; [unrolled: 1-line block ×3, first 2 shown]
	v_add_u32_e32 v28, 32, v16
	ds_bpermute_b32 v35, v9, v3
	ds_bpermute_b32 v36, v9, v4
	v_cmp_le_u32_e32 vcc, v28, v30
	ds_bpermute_b32 v37, v9, v5
	ds_bpermute_b32 v38, v9, v6
	;; [unrolled: 1-line block ×3, first 2 shown]
	s_waitcnt lgkmcnt(8)
	buffer_store_dword v32, off, s[0:3], 0
	s_waitcnt lgkmcnt(6)
	buffer_store_dword v33, off, s[0:3], 0 offset:4
	s_waitcnt lgkmcnt(5)
	buffer_store_dword v34, off, s[0:3], 0 offset:8
	;; [unrolled: 2-line block ×7, first 2 shown]
	s_and_saveexec_b64 s[28:29], vcc
	s_cbranch_execz .LBB2178_202
; %bb.195:
	v_mov_b32_e32 v30, 0
	s_mov_b32 s11, 0
	v_cmp_eq_u16_sdwa s[46:47], v29, v30 src0_sel:BYTE_0 src1_sel:DWORD
	s_and_saveexec_b64 s[8:9], s[46:47]
	s_cbranch_execz .LBB2178_201
; %bb.196:
	v_mov_b32_e32 v0, 0x84
.LBB2178_197:                           ; =>This Inner Loop Header: Depth=1
	v_add_u32_e32 v1, s11, v0
	s_add_i32 s11, s11, 8
	s_cmp_lg_u32 s11, 32
	buffer_store_dword v30, v1, s[0:3], 0 offen offset:4
	buffer_store_dword v30, v1, s[0:3], 0 offen
	s_cbranch_scc1 .LBB2178_197
; %bb.198:
	s_mov_b32 s11, 0
	v_mov_b32_e32 v0, 0
	v_mov_b32_e32 v1, 0xa8
	;; [unrolled: 1-line block ×3, first 2 shown]
.LBB2178_199:                           ; =>This Inner Loop Header: Depth=1
	v_add_u32_e32 v3, s11, v0
	v_add_u32_e32 v4, s11, v1
	buffer_load_dword v5, v3, s[0:3], 0 offen offset:4
	buffer_load_dword v6, v4, s[0:3], 0 offen
	buffer_load_dword v7, v3, s[0:3], 0 offen
	buffer_load_dword v30, v4, s[0:3], 0 offen offset:4
	v_add_u32_e32 v3, s11, v2
	s_add_i32 s11, s11, 8
	s_cmp_lg_u32 s11, 32
	s_waitcnt vmcnt(1)
	v_add_u32_e32 v4, v6, v7
	s_waitcnt vmcnt(0)
	v_add_u32_e32 v5, v30, v5
	buffer_store_dword v5, v3, s[0:3], 0 offen offset:4
	buffer_store_dword v4, v3, s[0:3], 0 offen
	s_cbranch_scc1 .LBB2178_199
; %bb.200:
	buffer_load_dword v0, off, s[0:3], 0 offset:132
	buffer_load_dword v1, off, s[0:3], 0 offset:136
	;; [unrolled: 1-line block ×8, first 2 shown]
.LBB2178_201:
	s_or_b64 exec, exec, s[8:9]
	v_and_b32_e32 v29, 1, v29
	v_cmp_eq_u32_e32 vcc, 1, v29
	v_and_b32_e32 v29, 1, v31
	v_cmp_eq_u32_e64 s[8:9], 1, v29
	s_or_b64 s[8:9], vcc, s[8:9]
	v_cndmask_b32_e64 v29, 0, 1, s[8:9]
	s_waitcnt vmcnt(6)
	buffer_store_dword v1, off, s[0:3], 0 offset:172
	buffer_store_dword v0, off, s[0:3], 0 offset:168
	s_waitcnt vmcnt(6)
	buffer_store_dword v3, off, s[0:3], 0 offset:180
	buffer_store_dword v2, off, s[0:3], 0 offset:176
	;; [unrolled: 3-line block ×4, first 2 shown]
	buffer_store_byte v29, off, s[0:3], 0 offset:200
.LBB2178_202:
	s_or_b64 exec, exec, s[28:29]
	buffer_load_dword v0, off, s[0:3], 0 offset:180
	buffer_load_dword v1, off, s[0:3], 0 offset:176
	;; [unrolled: 1-line block ×9, first 2 shown]
	s_lshr_b32 s8, s44, 16
	s_mul_i32 s8, s8, s45
	v_mul_lo_u32 v36, s8, v8
	v_mov_b32_e32 v35, 0x6000
	v_add3_u32 v11, v36, v14, v11
	v_mov_b32_e32 v29, 0
	v_mov_b32_e32 v30, 0x60
	;; [unrolled: 1-line block ×5, first 2 shown]
	v_lshl_add_u32 v11, v11, 5, v35
	v_mov_b32_e32 v14, 2
	s_waitcnt vmcnt(8)
	buffer_store_dword v0, off, s[0:3], 0 offset:144
	s_waitcnt vmcnt(8)
	buffer_store_dword v1, off, s[0:3], 0 offset:140
	;; [unrolled: 2-line block ×9, first 2 shown]
	s_branch .LBB2178_204
.LBB2178_203:                           ;   in Loop: Header=BB2178_204 Depth=1
                                        ; implicit-def: $vgpr10
                                        ; implicit-def: $vgpr15
	s_cbranch_execnz .LBB2178_272
.LBB2178_204:                           ; =>This Loop Header: Depth=1
                                        ;     Child Loop BB2178_206 Depth 2
                                        ;     Child Loop BB2178_209 Depth 2
                                        ;       Child Loop BB2178_210 Depth 3
                                        ;     Child Loop BB2178_214 Depth 2
                                        ;     Child Loop BB2178_218 Depth 2
	;; [unrolled: 1-line block ×15, first 2 shown]
	v_cmp_ne_u16_sdwa s[8:9], v15, v14 src0_sel:BYTE_0 src1_sel:DWORD
	v_cndmask_b32_e64 v0, 0, 1, s[8:9]
	;;#ASMSTART
	;;#ASMEND
	v_cmp_ne_u32_e32 vcc, 0, v0
	s_cmp_lg_u64 vcc, exec
	s_cbranch_scc1 .LBB2178_203
; %bb.205:                              ;   in Loop: Header=BB2178_204 Depth=1
	s_mov_b32 s8, 0
	buffer_store_dword v29, off, s[0:3], 0 offset:124
	buffer_store_dword v29, off, s[0:3], 0 offset:120
	;; [unrolled: 1-line block ×9, first 2 shown]
.LBB2178_206:                           ;   Parent Loop BB2178_204 Depth=1
                                        ; =>  This Inner Loop Header: Depth=2
	v_add_u32_e32 v0, s8, v30
	s_add_i32 s8, s8, 8
	s_cmp_lg_u32 s8, 32
	buffer_store_dword v29, v0, s[0:3], 0 offen offset:4
	buffer_store_dword v29, v0, s[0:3], 0 offen
	s_cbranch_scc1 .LBB2178_206
; %bb.207:                              ;   in Loop: Header=BB2178_204 Depth=1
	buffer_store_byte v29, off, s[0:3], 0 offset:128
	global_load_ubyte v15, v10, s[20:21] glc
	s_waitcnt vmcnt(0)
	v_cmp_eq_u16_e32 vcc, 0, v15
	s_and_saveexec_b64 s[8:9], vcc
	s_cbranch_execz .LBB2178_213
; %bb.208:                              ;   in Loop: Header=BB2178_204 Depth=1
	v_mov_b32_e32 v1, s21
	v_add_co_u32_e32 v0, vcc, s20, v10
	v_addc_co_u32_e32 v1, vcc, 0, v1, vcc
	s_mov_b32 s11, 1
	s_mov_b64 s[28:29], 0
.LBB2178_209:                           ;   Parent Loop BB2178_204 Depth=1
                                        ; =>  This Loop Header: Depth=2
                                        ;       Child Loop BB2178_210 Depth 3
	s_max_u32 s33, s11, 1
.LBB2178_210:                           ;   Parent Loop BB2178_204 Depth=1
                                        ;     Parent Loop BB2178_209 Depth=2
                                        ; =>    This Inner Loop Header: Depth=3
	s_add_i32 s33, s33, -1
	s_cmp_eq_u32 s33, 0
	s_sleep 1
	s_cbranch_scc0 .LBB2178_210
; %bb.211:                              ;   in Loop: Header=BB2178_209 Depth=2
	global_load_ubyte v15, v[0:1], off glc
	s_cmp_lt_u32 s11, 32
	s_cselect_b64 s[44:45], -1, 0
	s_cmp_lg_u64 s[44:45], 0
	s_addc_u32 s11, s11, 0
	s_waitcnt vmcnt(0)
	v_cmp_ne_u16_e32 vcc, 0, v15
	s_or_b64 s[28:29], vcc, s[28:29]
	s_andn2_b64 exec, exec, s[28:29]
	s_cbranch_execnz .LBB2178_209
; %bb.212:                              ;   in Loop: Header=BB2178_204 Depth=1
	s_or_b64 exec, exec, s[28:29]
.LBB2178_213:                           ;   in Loop: Header=BB2178_204 Depth=1
	s_or_b64 exec, exec, s[8:9]
	v_mov_b32_e32 v0, s19
	v_mov_b32_e32 v1, s17
	v_cmp_eq_u16_e32 vcc, 1, v15
	v_cndmask_b32_e32 v1, v0, v1, vcc
	v_mov_b32_e32 v0, s18
	v_mov_b32_e32 v2, s16
	v_cndmask_b32_e32 v0, v0, v2, vcc
	v_mad_u64_u32 v[34:35], s[8:9], v10, 36, v[0:1]
	buffer_wbinvl1_vol
	global_load_dwordx4 v[0:3], v[34:35], off
	global_load_dwordx4 v[4:7], v[34:35], off offset:16
	global_load_ubyte v36, v[34:35], off offset:32
	s_mov_b32 s8, 0
	buffer_store_dword v29, off, s[0:3], 0 offset:32
	s_waitcnt vmcnt(3)
	buffer_store_dword v3, off, s[0:3], 0 offset:108
	buffer_store_dword v2, off, s[0:3], 0 offset:104
	;; [unrolled: 1-line block ×4, first 2 shown]
	s_waitcnt vmcnt(6)
	buffer_store_dword v7, off, s[0:3], 0 offset:124
	buffer_store_dword v6, off, s[0:3], 0 offset:120
	;; [unrolled: 1-line block ×4, first 2 shown]
	s_waitcnt vmcnt(9)
	buffer_store_byte v36, off, s[0:3], 0 offset:128
	buffer_store_dword v1, off, s[0:3], 0 offset:172
	buffer_store_dword v0, off, s[0:3], 0 offset:168
	;; [unrolled: 1-line block ×8, first 2 shown]
	buffer_store_byte v36, off, s[0:3], 0 offset:200
.LBB2178_214:                           ;   Parent Loop BB2178_204 Depth=1
                                        ; =>  This Inner Loop Header: Depth=2
	v_add_u32_e32 v34, s8, v31
	s_add_i32 s8, s8, 8
	s_cmp_lg_u32 s8, 32
	buffer_store_dword v29, v34, s[0:3], 0 offen offset:4
	buffer_store_dword v29, v34, s[0:3], 0 offen
	s_cbranch_scc1 .LBB2178_214
; %bb.215:                              ;   in Loop: Header=BB2178_204 Depth=1
	buffer_load_dword v35, off, s[0:3], 0 offset:200
	ds_bpermute_b32 v36, v17, v0
	ds_bpermute_b32 v37, v17, v1
	;; [unrolled: 1-line block ×3, first 2 shown]
	v_cmp_eq_u16_e32 vcc, 2, v15
	ds_bpermute_b32 v39, v17, v3
	v_and_b32_e32 v34, vcc_hi, v13
	ds_bpermute_b32 v40, v17, v4
	v_or_b32_e32 v34, 0x80000000, v34
	s_waitcnt lgkmcnt(4)
	buffer_store_dword v36, off, s[0:3], 0
	s_waitcnt lgkmcnt(3)
	buffer_store_dword v37, off, s[0:3], 0 offset:4
	s_waitcnt lgkmcnt(2)
	buffer_store_dword v38, off, s[0:3], 0 offset:8
	;; [unrolled: 2-line block ×3, first 2 shown]
	ds_bpermute_b32 v41, v17, v5
	v_and_b32_e32 v44, vcc_lo, v12
	v_ffbl_b32_e32 v34, v34
	ds_bpermute_b32 v42, v17, v6
	v_ffbl_b32_e32 v44, v44
	v_add_u32_e32 v34, 32, v34
	ds_bpermute_b32 v43, v17, v7
	v_min_u32_e32 v34, v44, v34
	v_cmp_lt_u32_e32 vcc, v16, v34
	s_waitcnt lgkmcnt(3)
	buffer_store_dword v40, off, s[0:3], 0 offset:16
	s_waitcnt lgkmcnt(2)
	buffer_store_dword v41, off, s[0:3], 0 offset:20
	;; [unrolled: 2-line block ×4, first 2 shown]
	s_waitcnt vmcnt(8)
	ds_bpermute_b32 v36, v17, v35
	s_and_saveexec_b64 s[8:9], vcc
	s_cbranch_execz .LBB2178_223
; %bb.216:                              ;   in Loop: Header=BB2178_204 Depth=1
	v_cmp_eq_u16_sdwa s[44:45], v35, v29 src0_sel:BYTE_0 src1_sel:DWORD
	s_and_saveexec_b64 s[28:29], s[44:45]
	s_cbranch_execz .LBB2178_222
; %bb.217:                              ;   in Loop: Header=BB2178_204 Depth=1
	s_mov_b32 s11, 0
.LBB2178_218:                           ;   Parent Loop BB2178_204 Depth=1
                                        ; =>  This Inner Loop Header: Depth=2
	v_add_u32_e32 v0, s11, v11
	s_add_i32 s11, s11, 8
	s_cmp_lg_u32 s11, 32
	ds_write2_b32 v0, v29, v29 offset1:1
	s_cbranch_scc1 .LBB2178_218
; %bb.219:                              ;   in Loop: Header=BB2178_204 Depth=1
	s_mov_b32 s11, 0
.LBB2178_220:                           ;   Parent Loop BB2178_204 Depth=1
                                        ; =>  This Inner Loop Header: Depth=2
	v_add_u32_e32 v0, s11, v31
	v_add_u32_e32 v1, s11, v32
	buffer_load_dword v2, v0, s[0:3], 0 offen offset:4
	buffer_load_dword v3, v0, s[0:3], 0 offen
	buffer_load_dword v4, v1, s[0:3], 0 offen offset:4
	buffer_load_dword v5, v1, s[0:3], 0 offen
	v_add_u32_e32 v0, s11, v11
	s_add_i32 s11, s11, 8
	s_cmp_lg_u32 s11, 32
	s_waitcnt vmcnt(1)
	v_add_u32_e32 v1, v4, v2
	s_waitcnt vmcnt(0)
	v_add_u32_e32 v2, v5, v3
	ds_write2_b32 v0, v2, v1 offset1:1
	s_cbranch_scc1 .LBB2178_220
; %bb.221:                              ;   in Loop: Header=BB2178_204 Depth=1
	ds_read2_b32 v[0:1], v11 offset1:1
	ds_read2_b32 v[2:3], v11 offset0:2 offset1:3
	ds_read2_b32 v[4:5], v11 offset0:4 offset1:5
	;; [unrolled: 1-line block ×3, first 2 shown]
.LBB2178_222:                           ;   in Loop: Header=BB2178_204 Depth=1
	s_or_b64 exec, exec, s[28:29]
	s_waitcnt lgkmcnt(0)
	v_or_b32_e32 v35, v36, v35
	v_and_b32_e32 v35, 1, v35
	buffer_store_byte v35, off, s[0:3], 0 offset:200
	buffer_load_dword v35, off, s[0:3], 0 offset:200
	s_nop 0
	buffer_store_dword v1, off, s[0:3], 0 offset:172
	buffer_store_dword v0, off, s[0:3], 0 offset:168
	;; [unrolled: 1-line block ×8, first 2 shown]
.LBB2178_223:                           ;   in Loop: Header=BB2178_204 Depth=1
	s_or_b64 exec, exec, s[8:9]
	ds_bpermute_b32 v37, v21, v0
	s_waitcnt vmcnt(8) lgkmcnt(1)
	ds_bpermute_b32 v36, v21, v35
	ds_bpermute_b32 v38, v21, v1
	;; [unrolled: 1-line block ×5, first 2 shown]
	v_cmp_le_u32_e32 vcc, v20, v34
	ds_bpermute_b32 v42, v21, v5
	ds_bpermute_b32 v43, v21, v6
	;; [unrolled: 1-line block ×3, first 2 shown]
	s_waitcnt lgkmcnt(8)
	buffer_store_dword v37, off, s[0:3], 0
	s_waitcnt lgkmcnt(6)
	buffer_store_dword v38, off, s[0:3], 0 offset:4
	s_waitcnt lgkmcnt(5)
	buffer_store_dword v39, off, s[0:3], 0 offset:8
	;; [unrolled: 2-line block ×7, first 2 shown]
	s_and_saveexec_b64 s[28:29], vcc
	s_cbranch_execz .LBB2178_231
; %bb.224:                              ;   in Loop: Header=BB2178_204 Depth=1
	v_cmp_eq_u16_sdwa s[44:45], v35, v29 src0_sel:BYTE_0 src1_sel:DWORD
	s_and_saveexec_b64 s[8:9], s[44:45]
	s_cbranch_execz .LBB2178_230
; %bb.225:                              ;   in Loop: Header=BB2178_204 Depth=1
	s_mov_b32 s11, 0
.LBB2178_226:                           ;   Parent Loop BB2178_204 Depth=1
                                        ; =>  This Inner Loop Header: Depth=2
	v_add_u32_e32 v0, s11, v11
	s_add_i32 s11, s11, 8
	s_cmp_lg_u32 s11, 32
	ds_write2_b32 v0, v29, v29 offset1:1
	s_cbranch_scc1 .LBB2178_226
; %bb.227:                              ;   in Loop: Header=BB2178_204 Depth=1
	s_mov_b32 s11, 0
.LBB2178_228:                           ;   Parent Loop BB2178_204 Depth=1
                                        ; =>  This Inner Loop Header: Depth=2
	v_add_u32_e32 v0, s11, v31
	v_add_u32_e32 v1, s11, v32
	buffer_load_dword v2, v0, s[0:3], 0 offen offset:4
	buffer_load_dword v3, v0, s[0:3], 0 offen
	buffer_load_dword v4, v1, s[0:3], 0 offen offset:4
	buffer_load_dword v5, v1, s[0:3], 0 offen
	v_add_u32_e32 v0, s11, v11
	s_add_i32 s11, s11, 8
	s_cmp_lg_u32 s11, 32
	s_waitcnt vmcnt(1)
	v_add_u32_e32 v1, v4, v2
	s_waitcnt vmcnt(0)
	v_add_u32_e32 v2, v5, v3
	ds_write2_b32 v0, v2, v1 offset1:1
	s_cbranch_scc1 .LBB2178_228
; %bb.229:                              ;   in Loop: Header=BB2178_204 Depth=1
	ds_read2_b32 v[0:1], v11 offset1:1
	ds_read2_b32 v[2:3], v11 offset0:2 offset1:3
	ds_read2_b32 v[4:5], v11 offset0:4 offset1:5
	;; [unrolled: 1-line block ×3, first 2 shown]
.LBB2178_230:                           ;   in Loop: Header=BB2178_204 Depth=1
	s_or_b64 exec, exec, s[8:9]
	v_and_b32_e32 v35, 1, v35
	v_cmp_eq_u32_e32 vcc, 1, v35
	v_and_b32_e32 v35, 1, v36
	v_cmp_eq_u32_e64 s[8:9], 1, v35
	s_or_b64 s[8:9], vcc, s[8:9]
	v_cndmask_b32_e64 v35, 0, 1, s[8:9]
	buffer_store_byte v35, off, s[0:3], 0 offset:200
	buffer_load_dword v35, off, s[0:3], 0 offset:200
	s_waitcnt lgkmcnt(3)
	buffer_store_dword v1, off, s[0:3], 0 offset:172
	buffer_store_dword v0, off, s[0:3], 0 offset:168
	s_waitcnt lgkmcnt(2)
	buffer_store_dword v3, off, s[0:3], 0 offset:180
	buffer_store_dword v2, off, s[0:3], 0 offset:176
	;; [unrolled: 3-line block ×4, first 2 shown]
.LBB2178_231:                           ;   in Loop: Header=BB2178_204 Depth=1
	s_or_b64 exec, exec, s[28:29]
	ds_bpermute_b32 v37, v23, v0
	s_waitcnt vmcnt(8)
	ds_bpermute_b32 v36, v23, v35
	ds_bpermute_b32 v38, v23, v1
	;; [unrolled: 1-line block ×5, first 2 shown]
	v_cmp_le_u32_e32 vcc, v22, v34
	ds_bpermute_b32 v42, v23, v5
	ds_bpermute_b32 v43, v23, v6
	;; [unrolled: 1-line block ×3, first 2 shown]
	s_waitcnt lgkmcnt(8)
	buffer_store_dword v37, off, s[0:3], 0
	s_waitcnt lgkmcnt(6)
	buffer_store_dword v38, off, s[0:3], 0 offset:4
	s_waitcnt lgkmcnt(5)
	buffer_store_dword v39, off, s[0:3], 0 offset:8
	;; [unrolled: 2-line block ×7, first 2 shown]
	s_and_saveexec_b64 s[28:29], vcc
	s_cbranch_execz .LBB2178_239
; %bb.232:                              ;   in Loop: Header=BB2178_204 Depth=1
	v_cmp_eq_u16_sdwa s[44:45], v35, v29 src0_sel:BYTE_0 src1_sel:DWORD
	s_and_saveexec_b64 s[8:9], s[44:45]
	s_cbranch_execz .LBB2178_238
; %bb.233:                              ;   in Loop: Header=BB2178_204 Depth=1
	s_mov_b32 s11, 0
.LBB2178_234:                           ;   Parent Loop BB2178_204 Depth=1
                                        ; =>  This Inner Loop Header: Depth=2
	v_add_u32_e32 v0, s11, v11
	s_add_i32 s11, s11, 8
	s_cmp_lg_u32 s11, 32
	ds_write2_b32 v0, v29, v29 offset1:1
	s_cbranch_scc1 .LBB2178_234
; %bb.235:                              ;   in Loop: Header=BB2178_204 Depth=1
	s_mov_b32 s11, 0
.LBB2178_236:                           ;   Parent Loop BB2178_204 Depth=1
                                        ; =>  This Inner Loop Header: Depth=2
	v_add_u32_e32 v0, s11, v31
	v_add_u32_e32 v1, s11, v32
	buffer_load_dword v2, v0, s[0:3], 0 offen offset:4
	buffer_load_dword v3, v0, s[0:3], 0 offen
	buffer_load_dword v4, v1, s[0:3], 0 offen offset:4
	buffer_load_dword v5, v1, s[0:3], 0 offen
	v_add_u32_e32 v0, s11, v11
	s_add_i32 s11, s11, 8
	s_cmp_lg_u32 s11, 32
	s_waitcnt vmcnt(1)
	v_add_u32_e32 v1, v4, v2
	s_waitcnt vmcnt(0)
	v_add_u32_e32 v2, v5, v3
	ds_write2_b32 v0, v2, v1 offset1:1
	s_cbranch_scc1 .LBB2178_236
; %bb.237:                              ;   in Loop: Header=BB2178_204 Depth=1
	ds_read2_b32 v[0:1], v11 offset1:1
	ds_read2_b32 v[2:3], v11 offset0:2 offset1:3
	ds_read2_b32 v[4:5], v11 offset0:4 offset1:5
	;; [unrolled: 1-line block ×3, first 2 shown]
.LBB2178_238:                           ;   in Loop: Header=BB2178_204 Depth=1
	s_or_b64 exec, exec, s[8:9]
	v_and_b32_e32 v35, 1, v35
	v_cmp_eq_u32_e32 vcc, 1, v35
	v_and_b32_e32 v35, 1, v36
	v_cmp_eq_u32_e64 s[8:9], 1, v35
	s_or_b64 s[8:9], vcc, s[8:9]
	v_cndmask_b32_e64 v35, 0, 1, s[8:9]
	buffer_store_byte v35, off, s[0:3], 0 offset:200
	buffer_load_dword v35, off, s[0:3], 0 offset:200
	s_waitcnt lgkmcnt(3)
	buffer_store_dword v1, off, s[0:3], 0 offset:172
	buffer_store_dword v0, off, s[0:3], 0 offset:168
	s_waitcnt lgkmcnt(2)
	buffer_store_dword v3, off, s[0:3], 0 offset:180
	buffer_store_dword v2, off, s[0:3], 0 offset:176
	;; [unrolled: 3-line block ×4, first 2 shown]
.LBB2178_239:                           ;   in Loop: Header=BB2178_204 Depth=1
	s_or_b64 exec, exec, s[28:29]
	ds_bpermute_b32 v37, v25, v0
	s_waitcnt vmcnt(8)
	ds_bpermute_b32 v36, v25, v35
	ds_bpermute_b32 v38, v25, v1
	;; [unrolled: 1-line block ×5, first 2 shown]
	v_cmp_le_u32_e32 vcc, v24, v34
	ds_bpermute_b32 v42, v25, v5
	ds_bpermute_b32 v43, v25, v6
	;; [unrolled: 1-line block ×3, first 2 shown]
	s_waitcnt lgkmcnt(8)
	buffer_store_dword v37, off, s[0:3], 0
	s_waitcnt lgkmcnt(6)
	buffer_store_dword v38, off, s[0:3], 0 offset:4
	s_waitcnt lgkmcnt(5)
	buffer_store_dword v39, off, s[0:3], 0 offset:8
	;; [unrolled: 2-line block ×7, first 2 shown]
	s_and_saveexec_b64 s[28:29], vcc
	s_cbranch_execz .LBB2178_247
; %bb.240:                              ;   in Loop: Header=BB2178_204 Depth=1
	v_cmp_eq_u16_sdwa s[44:45], v35, v29 src0_sel:BYTE_0 src1_sel:DWORD
	s_and_saveexec_b64 s[8:9], s[44:45]
	s_cbranch_execz .LBB2178_246
; %bb.241:                              ;   in Loop: Header=BB2178_204 Depth=1
	s_mov_b32 s11, 0
.LBB2178_242:                           ;   Parent Loop BB2178_204 Depth=1
                                        ; =>  This Inner Loop Header: Depth=2
	v_add_u32_e32 v0, s11, v11
	s_add_i32 s11, s11, 8
	s_cmp_lg_u32 s11, 32
	ds_write2_b32 v0, v29, v29 offset1:1
	s_cbranch_scc1 .LBB2178_242
; %bb.243:                              ;   in Loop: Header=BB2178_204 Depth=1
	s_mov_b32 s11, 0
.LBB2178_244:                           ;   Parent Loop BB2178_204 Depth=1
                                        ; =>  This Inner Loop Header: Depth=2
	v_add_u32_e32 v0, s11, v31
	v_add_u32_e32 v1, s11, v32
	buffer_load_dword v2, v0, s[0:3], 0 offen offset:4
	buffer_load_dword v3, v0, s[0:3], 0 offen
	buffer_load_dword v4, v1, s[0:3], 0 offen offset:4
	buffer_load_dword v5, v1, s[0:3], 0 offen
	v_add_u32_e32 v0, s11, v11
	s_add_i32 s11, s11, 8
	s_cmp_lg_u32 s11, 32
	s_waitcnt vmcnt(1)
	v_add_u32_e32 v1, v4, v2
	s_waitcnt vmcnt(0)
	v_add_u32_e32 v2, v5, v3
	ds_write2_b32 v0, v2, v1 offset1:1
	s_cbranch_scc1 .LBB2178_244
; %bb.245:                              ;   in Loop: Header=BB2178_204 Depth=1
	ds_read2_b32 v[0:1], v11 offset1:1
	ds_read2_b32 v[2:3], v11 offset0:2 offset1:3
	ds_read2_b32 v[4:5], v11 offset0:4 offset1:5
	;; [unrolled: 1-line block ×3, first 2 shown]
.LBB2178_246:                           ;   in Loop: Header=BB2178_204 Depth=1
	s_or_b64 exec, exec, s[8:9]
	v_and_b32_e32 v35, 1, v35
	v_cmp_eq_u32_e32 vcc, 1, v35
	v_and_b32_e32 v35, 1, v36
	v_cmp_eq_u32_e64 s[8:9], 1, v35
	s_or_b64 s[8:9], vcc, s[8:9]
	v_cndmask_b32_e64 v35, 0, 1, s[8:9]
	buffer_store_byte v35, off, s[0:3], 0 offset:200
	buffer_load_dword v35, off, s[0:3], 0 offset:200
	s_waitcnt lgkmcnt(3)
	buffer_store_dword v1, off, s[0:3], 0 offset:172
	buffer_store_dword v0, off, s[0:3], 0 offset:168
	s_waitcnt lgkmcnt(2)
	buffer_store_dword v3, off, s[0:3], 0 offset:180
	buffer_store_dword v2, off, s[0:3], 0 offset:176
	;; [unrolled: 3-line block ×4, first 2 shown]
.LBB2178_247:                           ;   in Loop: Header=BB2178_204 Depth=1
	s_or_b64 exec, exec, s[28:29]
	ds_bpermute_b32 v37, v27, v0
	s_waitcnt vmcnt(8)
	ds_bpermute_b32 v36, v27, v35
	ds_bpermute_b32 v38, v27, v1
	;; [unrolled: 1-line block ×5, first 2 shown]
	v_cmp_le_u32_e32 vcc, v26, v34
	ds_bpermute_b32 v42, v27, v5
	ds_bpermute_b32 v43, v27, v6
	;; [unrolled: 1-line block ×3, first 2 shown]
	s_waitcnt lgkmcnt(8)
	buffer_store_dword v37, off, s[0:3], 0
	s_waitcnt lgkmcnt(6)
	buffer_store_dword v38, off, s[0:3], 0 offset:4
	s_waitcnt lgkmcnt(5)
	buffer_store_dword v39, off, s[0:3], 0 offset:8
	s_waitcnt lgkmcnt(4)
	buffer_store_dword v40, off, s[0:3], 0 offset:12
	s_waitcnt lgkmcnt(3)
	buffer_store_dword v41, off, s[0:3], 0 offset:16
	s_waitcnt lgkmcnt(2)
	buffer_store_dword v42, off, s[0:3], 0 offset:20
	s_waitcnt lgkmcnt(1)
	buffer_store_dword v43, off, s[0:3], 0 offset:24
	s_waitcnt lgkmcnt(0)
	buffer_store_dword v44, off, s[0:3], 0 offset:28
	s_and_saveexec_b64 s[28:29], vcc
	s_cbranch_execz .LBB2178_255
; %bb.248:                              ;   in Loop: Header=BB2178_204 Depth=1
	v_cmp_eq_u16_sdwa s[44:45], v35, v29 src0_sel:BYTE_0 src1_sel:DWORD
	s_and_saveexec_b64 s[8:9], s[44:45]
	s_cbranch_execz .LBB2178_254
; %bb.249:                              ;   in Loop: Header=BB2178_204 Depth=1
	s_mov_b32 s11, 0
.LBB2178_250:                           ;   Parent Loop BB2178_204 Depth=1
                                        ; =>  This Inner Loop Header: Depth=2
	v_add_u32_e32 v0, s11, v11
	s_add_i32 s11, s11, 8
	s_cmp_lg_u32 s11, 32
	ds_write2_b32 v0, v29, v29 offset1:1
	s_cbranch_scc1 .LBB2178_250
; %bb.251:                              ;   in Loop: Header=BB2178_204 Depth=1
	s_mov_b32 s11, 0
.LBB2178_252:                           ;   Parent Loop BB2178_204 Depth=1
                                        ; =>  This Inner Loop Header: Depth=2
	v_add_u32_e32 v0, s11, v31
	v_add_u32_e32 v1, s11, v32
	buffer_load_dword v2, v0, s[0:3], 0 offen offset:4
	buffer_load_dword v3, v0, s[0:3], 0 offen
	buffer_load_dword v4, v1, s[0:3], 0 offen offset:4
	buffer_load_dword v5, v1, s[0:3], 0 offen
	v_add_u32_e32 v0, s11, v11
	s_add_i32 s11, s11, 8
	s_cmp_lg_u32 s11, 32
	s_waitcnt vmcnt(1)
	v_add_u32_e32 v1, v4, v2
	s_waitcnt vmcnt(0)
	v_add_u32_e32 v2, v5, v3
	ds_write2_b32 v0, v2, v1 offset1:1
	s_cbranch_scc1 .LBB2178_252
; %bb.253:                              ;   in Loop: Header=BB2178_204 Depth=1
	ds_read2_b32 v[0:1], v11 offset1:1
	ds_read2_b32 v[2:3], v11 offset0:2 offset1:3
	ds_read2_b32 v[4:5], v11 offset0:4 offset1:5
	ds_read2_b32 v[6:7], v11 offset0:6 offset1:7
.LBB2178_254:                           ;   in Loop: Header=BB2178_204 Depth=1
	s_or_b64 exec, exec, s[8:9]
	v_and_b32_e32 v35, 1, v35
	v_cmp_eq_u32_e32 vcc, 1, v35
	v_and_b32_e32 v35, 1, v36
	v_cmp_eq_u32_e64 s[8:9], 1, v35
	s_or_b64 s[8:9], vcc, s[8:9]
	v_cndmask_b32_e64 v35, 0, 1, s[8:9]
	buffer_store_byte v35, off, s[0:3], 0 offset:200
	buffer_load_dword v35, off, s[0:3], 0 offset:200
	s_waitcnt lgkmcnt(3)
	buffer_store_dword v1, off, s[0:3], 0 offset:172
	buffer_store_dword v0, off, s[0:3], 0 offset:168
	s_waitcnt lgkmcnt(2)
	buffer_store_dword v3, off, s[0:3], 0 offset:180
	buffer_store_dword v2, off, s[0:3], 0 offset:176
	;; [unrolled: 3-line block ×4, first 2 shown]
.LBB2178_255:                           ;   in Loop: Header=BB2178_204 Depth=1
	s_or_b64 exec, exec, s[28:29]
	ds_bpermute_b32 v37, v9, v0
	s_waitcnt vmcnt(8)
	ds_bpermute_b32 v36, v9, v35
	ds_bpermute_b32 v38, v9, v1
	;; [unrolled: 1-line block ×4, first 2 shown]
	v_cmp_le_u32_e32 vcc, v28, v34
	v_and_b32_e32 v34, 1, v35
	ds_bpermute_b32 v41, v9, v4
	v_cmp_eq_u32_e64 s[8:9], 1, v34
	ds_bpermute_b32 v42, v9, v5
	ds_bpermute_b32 v43, v9, v6
	;; [unrolled: 1-line block ×3, first 2 shown]
	s_waitcnt lgkmcnt(8)
	buffer_store_dword v37, off, s[0:3], 0
	s_waitcnt lgkmcnt(6)
	buffer_store_dword v38, off, s[0:3], 0 offset:4
	s_waitcnt lgkmcnt(5)
	buffer_store_dword v39, off, s[0:3], 0 offset:8
	;; [unrolled: 2-line block ×7, first 2 shown]
	s_and_saveexec_b64 s[28:29], vcc
	s_cbranch_execz .LBB2178_263
; %bb.256:                              ;   in Loop: Header=BB2178_204 Depth=1
	v_cmp_eq_u16_sdwa s[46:47], v35, v29 src0_sel:BYTE_0 src1_sel:DWORD
	s_and_saveexec_b64 s[44:45], s[46:47]
	s_cbranch_execz .LBB2178_262
; %bb.257:                              ;   in Loop: Header=BB2178_204 Depth=1
	s_mov_b32 s11, 0
.LBB2178_258:                           ;   Parent Loop BB2178_204 Depth=1
                                        ; =>  This Inner Loop Header: Depth=2
	v_add_u32_e32 v0, s11, v11
	s_add_i32 s11, s11, 8
	s_cmp_lg_u32 s11, 32
	ds_write2_b32 v0, v29, v29 offset1:1
	s_cbranch_scc1 .LBB2178_258
; %bb.259:                              ;   in Loop: Header=BB2178_204 Depth=1
	s_mov_b32 s11, 0
.LBB2178_260:                           ;   Parent Loop BB2178_204 Depth=1
                                        ; =>  This Inner Loop Header: Depth=2
	v_add_u32_e32 v0, s11, v31
	v_add_u32_e32 v1, s11, v32
	buffer_load_dword v2, v0, s[0:3], 0 offen offset:4
	buffer_load_dword v3, v0, s[0:3], 0 offen
	buffer_load_dword v4, v1, s[0:3], 0 offen offset:4
	buffer_load_dword v5, v1, s[0:3], 0 offen
	v_add_u32_e32 v0, s11, v11
	s_add_i32 s11, s11, 8
	s_cmp_lg_u32 s11, 32
	s_waitcnt vmcnt(1)
	v_add_u32_e32 v1, v4, v2
	s_waitcnt vmcnt(0)
	v_add_u32_e32 v2, v5, v3
	ds_write2_b32 v0, v2, v1 offset1:1
	s_cbranch_scc1 .LBB2178_260
; %bb.261:                              ;   in Loop: Header=BB2178_204 Depth=1
	ds_read2_b32 v[0:1], v11 offset1:1
	ds_read2_b32 v[2:3], v11 offset0:2 offset1:3
	ds_read2_b32 v[4:5], v11 offset0:4 offset1:5
	;; [unrolled: 1-line block ×3, first 2 shown]
.LBB2178_262:                           ;   in Loop: Header=BB2178_204 Depth=1
	s_or_b64 exec, exec, s[44:45]
	v_and_b32_e32 v34, 1, v36
	v_cmp_eq_u32_e32 vcc, 1, v34
	s_or_b64 s[44:45], s[8:9], vcc
	v_cndmask_b32_e64 v34, 0, 1, s[44:45]
	s_andn2_b64 s[8:9], s[8:9], exec
	s_and_b64 s[44:45], s[44:45], exec
	s_or_b64 s[8:9], s[8:9], s[44:45]
	s_waitcnt lgkmcnt(3)
	buffer_store_dword v1, off, s[0:3], 0 offset:172
	buffer_store_dword v0, off, s[0:3], 0 offset:168
	s_waitcnt lgkmcnt(2)
	buffer_store_dword v3, off, s[0:3], 0 offset:180
	buffer_store_dword v2, off, s[0:3], 0 offset:176
	;; [unrolled: 3-line block ×4, first 2 shown]
	buffer_store_byte v34, off, s[0:3], 0 offset:200
.LBB2178_263:                           ;   in Loop: Header=BB2178_204 Depth=1
	s_or_b64 exec, exec, s[28:29]
	buffer_load_ubyte v34, off, s[0:3], 0 offset:164
                                        ; implicit-def: $vgpr6_vgpr7
                                        ; implicit-def: $vgpr4_vgpr5
                                        ; implicit-def: $vgpr2_vgpr3
                                        ; implicit-def: $vgpr0_vgpr1
	s_waitcnt vmcnt(0)
	v_cmp_ne_u16_e32 vcc, 0, v34
	s_and_saveexec_b64 s[28:29], vcc
	s_xor_b64 s[28:29], exec, s[28:29]
	s_cbranch_execz .LBB2178_265
; %bb.264:                              ;   in Loop: Header=BB2178_204 Depth=1
	buffer_load_dword v0, off, s[0:3], 0 offset:132
	buffer_load_dword v1, off, s[0:3], 0 offset:136
	buffer_load_dword v2, off, s[0:3], 0 offset:140
	buffer_load_dword v3, off, s[0:3], 0 offset:144
	buffer_load_dword v4, off, s[0:3], 0 offset:148
	buffer_load_dword v5, off, s[0:3], 0 offset:152
	buffer_load_dword v6, off, s[0:3], 0 offset:156
	buffer_load_dword v7, off, s[0:3], 0 offset:160
.LBB2178_265:                           ;   in Loop: Header=BB2178_204 Depth=1
	s_andn2_saveexec_b64 s[28:29], s[28:29]
	s_cbranch_execz .LBB2178_271
; %bb.266:                              ;   in Loop: Header=BB2178_204 Depth=1
	s_mov_b32 s11, 0
	s_waitcnt vmcnt(0)
.LBB2178_267:                           ;   Parent Loop BB2178_204 Depth=1
                                        ; =>  This Inner Loop Header: Depth=2
	v_add_u32_e32 v0, s11, v31
	s_add_i32 s11, s11, 8
	s_cmp_lg_u32 s11, 32
	buffer_store_dword v29, v0, s[0:3], 0 offen offset:4
	buffer_store_dword v29, v0, s[0:3], 0 offen
	s_cbranch_scc1 .LBB2178_267
; %bb.268:                              ;   in Loop: Header=BB2178_204 Depth=1
	s_mov_b32 s11, 0
.LBB2178_269:                           ;   Parent Loop BB2178_204 Depth=1
                                        ; =>  This Inner Loop Header: Depth=2
	v_add_u32_e32 v0, s11, v32
	v_add_u32_e32 v1, s11, v33
	buffer_load_dword v2, v0, s[0:3], 0 offen offset:4
	buffer_load_dword v3, v1, s[0:3], 0 offen
	buffer_load_dword v4, v0, s[0:3], 0 offen
	buffer_load_dword v5, v1, s[0:3], 0 offen offset:4
	v_add_u32_e32 v0, s11, v31
	s_add_i32 s11, s11, 8
	s_cmp_lg_u32 s11, 32
	s_waitcnt vmcnt(1)
	v_add_u32_e32 v1, v3, v4
	s_waitcnt vmcnt(0)
	v_add_u32_e32 v2, v5, v2
	buffer_store_dword v2, v0, s[0:3], 0 offen offset:4
	buffer_store_dword v1, v0, s[0:3], 0 offen
	s_cbranch_scc1 .LBB2178_269
; %bb.270:                              ;   in Loop: Header=BB2178_204 Depth=1
	buffer_load_dword v0, off, s[0:3], 0
	buffer_load_dword v1, off, s[0:3], 0 offset:4
	buffer_load_dword v2, off, s[0:3], 0 offset:8
	buffer_load_dword v3, off, s[0:3], 0 offset:12
	buffer_load_dword v4, off, s[0:3], 0 offset:16
	buffer_load_dword v5, off, s[0:3], 0 offset:20
	buffer_load_dword v6, off, s[0:3], 0 offset:24
	buffer_load_dword v7, off, s[0:3], 0 offset:28
.LBB2178_271:                           ;   in Loop: Header=BB2178_204 Depth=1
	s_or_b64 exec, exec, s[28:29]
	v_and_b32_e32 v34, 1, v34
	v_cmp_eq_u32_e32 vcc, 1, v34
	s_or_b64 s[8:9], vcc, s[8:9]
	v_subrev_u32_e32 v10, 64, v10
	v_cndmask_b32_e64 v34, 0, 1, s[8:9]
	s_waitcnt vmcnt(6)
	buffer_store_dword v1, off, s[0:3], 0 offset:136
	buffer_store_dword v0, off, s[0:3], 0 offset:132
	s_waitcnt vmcnt(6)
	buffer_store_dword v3, off, s[0:3], 0 offset:144
	buffer_store_dword v2, off, s[0:3], 0 offset:140
	;; [unrolled: 3-line block ×4, first 2 shown]
	buffer_store_byte v34, off, s[0:3], 0 offset:164
	s_branch .LBB2178_204
.LBB2178_272:
	buffer_load_dword v1, off, s[0:3], 0 offset:136
	buffer_load_dword v0, off, s[0:3], 0 offset:132
	;; [unrolled: 1-line block ×9, first 2 shown]
	s_waitcnt vmcnt(8)
	buffer_store_dword v1, off, s[0:3], 0 offset:4
	s_waitcnt vmcnt(8)
	buffer_store_dword v0, off, s[0:3], 0
	s_waitcnt vmcnt(8)
	buffer_store_dword v3, off, s[0:3], 0 offset:12
	s_waitcnt vmcnt(8)
	buffer_store_dword v2, off, s[0:3], 0 offset:8
	;; [unrolled: 2-line block ×7, first 2 shown]
	s_and_saveexec_b64 s[8:9], s[6:7]
	s_cbranch_execz .LBB2178_282
; %bb.273:
	buffer_load_ubyte v10, off, s[0:3], 0 offset:236
                                        ; implicit-def: $vgpr2_vgpr3
                                        ; implicit-def: $vgpr6_vgpr7
	s_waitcnt vmcnt(0)
	v_cmp_ne_u16_e32 vcc, 0, v10
	s_and_saveexec_b64 s[6:7], vcc
	s_xor_b64 s[6:7], exec, s[6:7]
	s_cbranch_execz .LBB2178_275
; %bb.274:
	buffer_load_dword v4, off, s[0:3], 0 offset:204
	buffer_load_dword v5, off, s[0:3], 0 offset:208
	buffer_load_dword v6, off, s[0:3], 0 offset:212
	buffer_load_dword v7, off, s[0:3], 0 offset:216
	buffer_load_dword v0, off, s[0:3], 0 offset:220
	buffer_load_dword v1, off, s[0:3], 0 offset:224
	buffer_load_dword v2, off, s[0:3], 0 offset:228
	buffer_load_dword v3, off, s[0:3], 0 offset:232
.LBB2178_275:
	s_andn2_saveexec_b64 s[6:7], s[6:7]
	s_cbranch_execz .LBB2178_281
; %bb.276:
	s_mov_b32 s11, 0
	s_waitcnt vmcnt(3)
	v_mov_b32_e32 v0, 0x60
	s_waitcnt vmcnt(2)
	v_mov_b32_e32 v1, 0
	s_waitcnt vmcnt(0)
.LBB2178_277:                           ; =>This Inner Loop Header: Depth=1
	v_add_u32_e32 v2, s11, v0
	s_add_i32 s11, s11, 8
	s_cmp_lg_u32 s11, 32
	buffer_store_dword v1, v2, s[0:3], 0 offen offset:4
	buffer_store_dword v1, v2, s[0:3], 0 offen
	s_cbranch_scc1 .LBB2178_277
; %bb.278:
	s_mov_b32 s11, 0
	v_mov_b32_e32 v0, 0
	v_mov_b32_e32 v1, 0xcc
	;; [unrolled: 1-line block ×3, first 2 shown]
.LBB2178_279:                           ; =>This Inner Loop Header: Depth=1
	v_add_u32_e32 v3, s11, v0
	v_add_u32_e32 v4, s11, v1
	buffer_load_dword v5, v3, s[0:3], 0 offen offset:4
	buffer_load_dword v6, v4, s[0:3], 0 offen
	buffer_load_dword v7, v3, s[0:3], 0 offen
	buffer_load_dword v11, v4, s[0:3], 0 offen offset:4
	v_add_u32_e32 v3, s11, v2
	s_add_i32 s11, s11, 8
	s_cmp_lg_u32 s11, 32
	s_waitcnt vmcnt(1)
	v_add_u32_e32 v4, v6, v7
	s_waitcnt vmcnt(0)
	v_add_u32_e32 v5, v11, v5
	buffer_store_dword v5, v3, s[0:3], 0 offen offset:4
	buffer_store_dword v4, v3, s[0:3], 0 offen
	s_cbranch_scc1 .LBB2178_279
; %bb.280:
	buffer_load_dword v4, off, s[0:3], 0 offset:96
	buffer_load_dword v5, off, s[0:3], 0 offset:100
	;; [unrolled: 1-line block ×8, first 2 shown]
.LBB2178_281:
	s_or_b64 exec, exec, s[6:7]
	s_add_i32 s10, s10, 64
	s_mul_i32 s6, s10, 36
	s_mul_hi_u32 s7, s10, 36
	s_add_u32 s6, s18, s6
	v_or_b32_e32 v9, v10, v9
	s_addc_u32 s7, s19, s7
	v_mov_b32_e32 v10, 0
	v_and_b32_e32 v9, 1, v9
	s_waitcnt vmcnt(4)
	global_store_dwordx4 v10, v[4:7], s[6:7]
	s_waitcnt vmcnt(1)
	global_store_dwordx4 v10, v[0:3], s[6:7] offset:16
	global_store_byte v10, v9, s[6:7] offset:32
	v_mov_b32_e32 v0, s10
	v_mov_b32_e32 v1, 2
	s_waitcnt vmcnt(0)
	buffer_wbinvl1_vol
	global_store_byte v0, v1, s[20:21]
	buffer_load_dword v0, off, s[0:3], 0
	s_nop 0
	buffer_load_dword v1, off, s[0:3], 0 offset:4
	buffer_load_dword v2, off, s[0:3], 0 offset:8
	;; [unrolled: 1-line block ×7, first 2 shown]
	buffer_load_ubyte v9, off, s[0:3], 0 offset:32
.LBB2178_282:
	s_or_b64 exec, exec, s[8:9]
	v_cmp_eq_u32_e32 vcc, 0, v8
	s_and_b64 exec, exec, vcc
	s_cbranch_execz .LBB2178_284
; %bb.283:
	v_mov_b32_e32 v10, 0
	s_waitcnt vmcnt(7)
	ds_write2_b32 v10, v0, v1 offset0:27 offset1:28
	s_waitcnt vmcnt(5)
	ds_write2_b32 v10, v2, v3 offset0:29 offset1:30
	;; [unrolled: 2-line block ×4, first 2 shown]
	s_waitcnt vmcnt(0)
	ds_write_b8 v10, v9 offset:140
.LBB2178_284:
	s_or_b64 exec, exec, s[12:13]
	s_waitcnt lgkmcnt(0)
	s_barrier
	buffer_load_dword v9, off, s[0:3], 0 offset:332
	buffer_load_dword v11, off, s[0:3], 0 offset:328
	;; [unrolled: 1-line block ×9, first 2 shown]
	s_waitcnt vmcnt(11)
	v_mov_b32_e32 v6, 0
	ds_read2_b32 v[0:1], v6 offset0:27 offset1:28
	ds_read_b32 v10, v6 offset:140
	ds_read2_b32 v[2:3], v6 offset0:29 offset1:30
	ds_read2_b32 v[4:5], v6 offset0:31 offset1:32
	s_waitcnt vmcnt(10)
	ds_read2_b32 v[6:7], v6 offset0:33 offset1:34
	v_cmp_ne_u32_e32 vcc, 0, v8
	s_waitcnt lgkmcnt(4)
	buffer_store_dword v1, off, s[0:3], 0 offset:4
	buffer_store_dword v0, off, s[0:3], 0
	s_waitcnt lgkmcnt(2)
	buffer_store_dword v3, off, s[0:3], 0 offset:12
	buffer_store_dword v2, off, s[0:3], 0 offset:8
	s_waitcnt lgkmcnt(1)
	buffer_store_dword v5, off, s[0:3], 0 offset:20
	buffer_store_dword v4, off, s[0:3], 0 offset:16
	;; [unrolled: 3-line block ×3, first 2 shown]
	buffer_store_dword v10, off, s[0:3], 0 offset:32
	buffer_store_dword v3, off, s[0:3], 0 offset:144
	;; [unrolled: 1-line block ×10, first 2 shown]
	s_waitcnt vmcnt(26)
	buffer_store_dword v9, off, s[0:3], 0 offset:108
	s_waitcnt vmcnt(26)
	buffer_store_dword v11, off, s[0:3], 0 offset:104
	;; [unrolled: 2-line block ×9, first 2 shown]
                                        ; implicit-def: $vgpr9
	s_and_saveexec_b64 s[6:7], vcc
	s_xor_b64 s[6:7], exec, s[6:7]
	s_cbranch_execz .LBB2178_294
; %bb.285:
	buffer_load_ubyte v9, off, s[0:3], 0 offset:272
                                        ; implicit-def: $vgpr6_vgpr7
                                        ; implicit-def: $vgpr4_vgpr5
                                        ; implicit-def: $vgpr2_vgpr3
                                        ; implicit-def: $vgpr0_vgpr1
	s_waitcnt vmcnt(0)
	v_cmp_ne_u16_e32 vcc, 0, v9
	s_and_saveexec_b64 s[8:9], vcc
	s_xor_b64 s[8:9], exec, s[8:9]
	s_cbranch_execz .LBB2178_287
; %bb.286:
	buffer_load_dword v0, off, s[0:3], 0 offset:240
	buffer_load_dword v1, off, s[0:3], 0 offset:244
	;; [unrolled: 1-line block ×8, first 2 shown]
.LBB2178_287:
	s_andn2_saveexec_b64 s[8:9], s[8:9]
	s_cbranch_execz .LBB2178_293
; %bb.288:
	s_mov_b32 s10, 0
	s_waitcnt vmcnt(7)
	v_mov_b32_e32 v0, 0xa8
	s_waitcnt vmcnt(6)
	v_mov_b32_e32 v1, 0
	s_waitcnt vmcnt(0)
.LBB2178_289:                           ; =>This Inner Loop Header: Depth=1
	v_add_u32_e32 v2, s10, v0
	s_add_i32 s10, s10, 8
	s_cmp_lg_u32 s10, 32
	buffer_store_dword v1, v2, s[0:3], 0 offen offset:4
	buffer_store_dword v1, v2, s[0:3], 0 offen
	s_cbranch_scc1 .LBB2178_289
; %bb.290:
	s_mov_b32 s10, 0
	v_mov_b32_e32 v0, 0
	v_mov_b32_e32 v1, 0xf0
	;; [unrolled: 1-line block ×3, first 2 shown]
.LBB2178_291:                           ; =>This Inner Loop Header: Depth=1
	v_add_u32_e32 v3, s10, v0
	v_add_u32_e32 v4, s10, v1
	buffer_load_dword v5, v3, s[0:3], 0 offen offset:4
	buffer_load_dword v6, v4, s[0:3], 0 offen
	buffer_load_dword v7, v3, s[0:3], 0 offen
	buffer_load_dword v11, v4, s[0:3], 0 offen offset:4
	v_add_u32_e32 v3, s10, v2
	s_add_i32 s10, s10, 8
	s_cmp_lg_u32 s10, 32
	s_waitcnt vmcnt(1)
	v_add_u32_e32 v4, v6, v7
	s_waitcnt vmcnt(0)
	v_add_u32_e32 v5, v11, v5
	buffer_store_dword v5, v3, s[0:3], 0 offen offset:4
	buffer_store_dword v4, v3, s[0:3], 0 offen
	s_cbranch_scc1 .LBB2178_291
; %bb.292:
	buffer_load_dword v0, off, s[0:3], 0 offset:168
	buffer_load_dword v1, off, s[0:3], 0 offset:172
	;; [unrolled: 1-line block ×8, first 2 shown]
.LBB2178_293:
	s_or_b64 exec, exec, s[8:9]
	v_or_b32_e32 v9, v9, v10
	v_and_b32_e32 v9, 1, v9
	s_waitcnt vmcnt(6)
	buffer_store_dword v1, off, s[0:3], 0 offset:136
	buffer_store_dword v0, off, s[0:3], 0 offset:132
	s_waitcnt vmcnt(6)
	buffer_store_dword v3, off, s[0:3], 0 offset:144
	buffer_store_dword v2, off, s[0:3], 0 offset:140
	;; [unrolled: 3-line block ×4, first 2 shown]
.LBB2178_294:
	s_andn2_saveexec_b64 s[6:7], s[6:7]
	s_cbranch_execz .LBB2178_296
; %bb.295:
	buffer_load_ubyte v9, off, s[0:3], 0 offset:164
.LBB2178_296:
	s_or_b64 exec, exec, s[6:7]
	buffer_load_dword v0, off, s[0:3], 0 offset:144
	buffer_load_dword v1, off, s[0:3], 0 offset:140
	buffer_load_dword v2, off, s[0:3], 0 offset:136
	buffer_load_dword v3, off, s[0:3], 0 offset:132
	buffer_load_dword v4, off, s[0:3], 0 offset:160
	buffer_load_dword v5, off, s[0:3], 0 offset:156
	buffer_load_dword v6, off, s[0:3], 0 offset:152
	buffer_load_dword v7, off, s[0:3], 0 offset:148
	buffer_load_ubyte v10, off, s[0:3], 0 offset:128
	s_waitcnt vmcnt(9)
	buffer_store_byte v9, off, s[0:3], 0 offset:352
	s_waitcnt vmcnt(9)
	buffer_store_dword v0, off, s[0:3], 0 offset:332
	s_waitcnt vmcnt(9)
	buffer_store_dword v1, off, s[0:3], 0 offset:328
	;; [unrolled: 2-line block ×8, first 2 shown]
	s_waitcnt vmcnt(9)
	v_cmp_ne_u16_e32 vcc, 0, v10
                                        ; implicit-def: $vgpr6_vgpr7
                                        ; implicit-def: $vgpr4_vgpr5
                                        ; implicit-def: $vgpr2_vgpr3
                                        ; implicit-def: $vgpr0_vgpr1
	s_and_saveexec_b64 s[6:7], vcc
	s_xor_b64 s[6:7], exec, s[6:7]
	s_cbranch_execz .LBB2178_298
; %bb.297:
	buffer_load_dword v0, off, s[0:3], 0 offset:96
	buffer_load_dword v1, off, s[0:3], 0 offset:100
	;; [unrolled: 1-line block ×8, first 2 shown]
.LBB2178_298:
	s_andn2_saveexec_b64 s[6:7], s[6:7]
	s_cbranch_execz .LBB2178_304
; %bb.299:
	s_mov_b32 s8, 0
	s_waitcnt vmcnt(7)
	v_mov_b32_e32 v0, 0xa8
	s_waitcnt vmcnt(6)
	v_mov_b32_e32 v1, 0
	s_waitcnt vmcnt(0)
.LBB2178_300:                           ; =>This Inner Loop Header: Depth=1
	v_add_u32_e32 v2, s8, v0
	s_add_i32 s8, s8, 8
	s_cmp_lg_u32 s8, 32
	buffer_store_dword v1, v2, s[0:3], 0 offen offset:4
	buffer_store_dword v1, v2, s[0:3], 0 offen
	s_cbranch_scc1 .LBB2178_300
; %bb.301:
	s_mov_b32 s8, 0
	v_mov_b32_e32 v0, 0x84
	v_mov_b32_e32 v1, 0x60
	;; [unrolled: 1-line block ×3, first 2 shown]
.LBB2178_302:                           ; =>This Inner Loop Header: Depth=1
	v_add_u32_e32 v3, s8, v0
	v_add_u32_e32 v4, s8, v1
	buffer_load_dword v5, v3, s[0:3], 0 offen offset:4
	buffer_load_dword v6, v4, s[0:3], 0 offen
	buffer_load_dword v7, v3, s[0:3], 0 offen
	buffer_load_dword v11, v4, s[0:3], 0 offen offset:4
	v_add_u32_e32 v3, s8, v2
	s_add_i32 s8, s8, 8
	s_cmp_lg_u32 s8, 32
	s_waitcnt vmcnt(1)
	v_add_u32_e32 v4, v6, v7
	s_waitcnt vmcnt(0)
	v_add_u32_e32 v5, v11, v5
	buffer_store_dword v5, v3, s[0:3], 0 offen offset:4
	buffer_store_dword v4, v3, s[0:3], 0 offen
	s_cbranch_scc1 .LBB2178_302
; %bb.303:
	buffer_load_dword v0, off, s[0:3], 0 offset:168
	buffer_load_dword v1, off, s[0:3], 0 offset:172
	;; [unrolled: 1-line block ×8, first 2 shown]
.LBB2178_304:
	s_or_b64 exec, exec, s[6:7]
	buffer_load_dword v12, v18, s[0:3], 0 offen offset:12
	buffer_load_dword v13, v18, s[0:3], 0 offen offset:8
	buffer_load_dword v14, v18, s[0:3], 0 offen offset:4
	buffer_load_dword v15, v18, s[0:3], 0 offen
	buffer_load_dword v16, v18, s[0:3], 0 offen offset:28
	buffer_load_dword v17, v18, s[0:3], 0 offen offset:24
	;; [unrolled: 1-line block ×4, first 2 shown]
	buffer_load_ubyte v11, off, s[0:3], 0 offset:388
	v_or_b32_e32 v9, v10, v9
	s_waitcnt vmcnt(15)
	buffer_store_dword v1, off, s[0:3], 0 offset:136
	buffer_store_dword v0, off, s[0:3], 0 offset:132
	s_waitcnt vmcnt(15)
	buffer_store_dword v3, off, s[0:3], 0 offset:144
	buffer_store_dword v2, off, s[0:3], 0 offset:140
	;; [unrolled: 3-line block ×4, first 2 shown]
	buffer_store_dword v0, v18, s[0:3], 0 offen
	buffer_store_dword v1, v18, s[0:3], 0 offen offset:4
	buffer_store_dword v2, v18, s[0:3], 0 offen offset:8
	buffer_store_dword v3, v18, s[0:3], 0 offen offset:12
	buffer_store_dword v4, v18, s[0:3], 0 offen offset:16
	buffer_store_dword v5, v18, s[0:3], 0 offen offset:20
	buffer_store_dword v6, v18, s[0:3], 0 offen offset:24
	buffer_store_dword v7, v18, s[0:3], 0 offen offset:28
	v_and_b32_e32 v0, 1, v9
	v_cmp_eq_u32_e32 vcc, 1, v0
                                        ; implicit-def: $vgpr6_vgpr7
                                        ; implicit-def: $vgpr2_vgpr3
                                        ; implicit-def: $vgpr4_vgpr5
	buffer_store_byte v0, off, s[0:3], 0 offset:388
	s_waitcnt vmcnt(25)
	buffer_store_dword v12, off, s[0:3], 0 offset:108
	s_waitcnt vmcnt(25)
	buffer_store_dword v13, off, s[0:3], 0 offset:104
	;; [unrolled: 2-line block ×8, first 2 shown]
	s_waitcnt vmcnt(25)
	v_cmp_ne_u16_e64 s[6:7], 0, v11
                                        ; implicit-def: $vgpr0_vgpr1
	s_and_saveexec_b64 s[8:9], s[6:7]
	s_xor_b64 s[6:7], exec, s[8:9]
	s_cbranch_execz .LBB2178_306
; %bb.305:
	buffer_load_dword v0, off, s[0:3], 0 offset:96
	buffer_load_dword v1, off, s[0:3], 0 offset:100
	;; [unrolled: 1-line block ×8, first 2 shown]
.LBB2178_306:
	s_andn2_saveexec_b64 s[6:7], s[6:7]
	s_cbranch_execz .LBB2178_312
; %bb.307:
	s_mov_b32 s8, 0
	s_waitcnt vmcnt(7)
	v_mov_b32_e32 v0, 0xa8
	s_waitcnt vmcnt(6)
	v_mov_b32_e32 v1, 0
	s_waitcnt vmcnt(0)
.LBB2178_308:                           ; =>This Inner Loop Header: Depth=1
	v_add_u32_e32 v2, s8, v0
	s_add_i32 s8, s8, 8
	s_cmp_lg_u32 s8, 32
	buffer_store_dword v1, v2, s[0:3], 0 offen offset:4
	buffer_store_dword v1, v2, s[0:3], 0 offen
	s_cbranch_scc1 .LBB2178_308
; %bb.309:
	s_mov_b32 s8, 0
	v_mov_b32_e32 v0, 0x84
	v_mov_b32_e32 v1, 0x60
	;; [unrolled: 1-line block ×3, first 2 shown]
.LBB2178_310:                           ; =>This Inner Loop Header: Depth=1
	v_add_u32_e32 v3, s8, v0
	v_add_u32_e32 v4, s8, v1
	buffer_load_dword v5, v3, s[0:3], 0 offen offset:4
	buffer_load_dword v6, v4, s[0:3], 0 offen
	buffer_load_dword v7, v3, s[0:3], 0 offen
	buffer_load_dword v9, v4, s[0:3], 0 offen offset:4
	v_add_u32_e32 v3, s8, v2
	s_add_i32 s8, s8, 8
	s_cmp_lg_u32 s8, 32
	s_waitcnt vmcnt(1)
	v_add_u32_e32 v4, v6, v7
	s_waitcnt vmcnt(0)
	v_add_u32_e32 v5, v9, v5
	buffer_store_dword v5, v3, s[0:3], 0 offen offset:4
	buffer_store_dword v4, v3, s[0:3], 0 offen
	s_cbranch_scc1 .LBB2178_310
; %bb.311:
	buffer_load_dword v0, off, s[0:3], 0 offset:168
	buffer_load_dword v1, off, s[0:3], 0 offset:172
	;; [unrolled: 1-line block ×8, first 2 shown]
.LBB2178_312:
	s_or_b64 exec, exec, s[6:7]
	v_and_b32_e32 v9, 1, v11
	v_cmp_eq_u32_e64 s[6:7], 1, v9
	s_or_b64 s[6:7], s[6:7], vcc
	v_cndmask_b32_e64 v9, 0, 1, s[6:7]
	s_waitcnt vmcnt(4)
	buffer_store_dword v5, v19, s[0:3], 0 offen offset:12
	buffer_store_dword v4, v19, s[0:3], 0 offen offset:8
	;; [unrolled: 1-line block ×3, first 2 shown]
	buffer_store_dword v0, v19, s[0:3], 0 offen
	s_waitcnt vmcnt(4)
	buffer_store_dword v7, v19, s[0:3], 0 offen offset:28
	buffer_store_dword v6, v19, s[0:3], 0 offen offset:24
	;; [unrolled: 1-line block ×4, first 2 shown]
	buffer_store_byte v9, off, s[0:3], 0 offset:424
	s_branch .LBB2178_453
.LBB2178_313:
	s_cbranch_execz .LBB2178_453
; %bb.314:
	s_cmp_lg_u64 s[34:35], 0
	s_cselect_b32 s7, s15, 0
	s_cselect_b32 s6, s14, 0
	s_mov_b32 s8, 0
	s_cmp_eq_u64 s[6:7], 0
	v_pk_mov_b32 v[4:5], s[36:37], s[36:37] op_sel:[0,1]
	v_pk_mov_b32 v[6:7], s[38:39], s[38:39] op_sel:[0,1]
	;; [unrolled: 1-line block ×4, first 2 shown]
	s_cbranch_scc1 .LBB2178_316
; %bb.315:
	v_mov_b32_e32 v9, 0
	global_load_dwordx4 v[0:3], v9, s[6:7] offset:16
	global_load_dwordx4 v[4:7], v9, s[6:7]
.LBB2178_316:
	v_mov_b32_e32 v9, 0
	v_mov_b32_e32 v10, 0xf0
	buffer_store_dword v9, off, s[0:3], 0 offset:268
	buffer_store_dword v9, off, s[0:3], 0 offset:264
	;; [unrolled: 1-line block ×9, first 2 shown]
.LBB2178_317:                           ; =>This Inner Loop Header: Depth=1
	v_add_u32_e32 v11, s8, v10
	s_add_i32 s8, s8, 8
	s_cmp_lg_u32 s8, 32
	buffer_store_dword v9, v11, s[0:3], 0 offen offset:4
	buffer_store_dword v9, v11, s[0:3], 0 offen
	s_cbranch_scc1 .LBB2178_317
; %bb.318:
	buffer_load_dword v10, off, s[0:3], 0 offset:332
	buffer_load_dword v11, off, s[0:3], 0 offset:328
	;; [unrolled: 1-line block ×9, first 2 shown]
	buffer_load_ubyte v20, off, s[0:3], 0 offset:388
	v_mov_b32_e32 v21, 0
	s_waitcnt vmcnt(21)
	buffer_store_dword v5, off, s[0:3], 0 offset:208
	buffer_store_dword v4, off, s[0:3], 0 offset:204
	;; [unrolled: 1-line block ×8, first 2 shown]
	buffer_store_byte v21, off, s[0:3], 0 offset:272
	buffer_store_byte v21, off, s[0:3], 0 offset:236
	s_waitcnt vmcnt(19)
	buffer_store_dword v10, off, s[0:3], 0 offset:180
	s_waitcnt vmcnt(19)
	buffer_store_dword v11, off, s[0:3], 0 offset:176
	;; [unrolled: 2-line block ×9, first 2 shown]
	s_waitcnt vmcnt(19)
	v_cmp_ne_u16_e32 vcc, 0, v20
                                        ; implicit-def: $vgpr16_vgpr17
                                        ; implicit-def: $vgpr14_vgpr15
                                        ; implicit-def: $vgpr12_vgpr13
                                        ; implicit-def: $vgpr10_vgpr11
	s_and_saveexec_b64 s[6:7], vcc
	s_xor_b64 s[6:7], exec, s[6:7]
	s_cbranch_execz .LBB2178_320
; %bb.319:
	buffer_load_dword v10, off, s[0:3], 0 offset:356
	buffer_load_dword v11, off, s[0:3], 0 offset:360
	;; [unrolled: 1-line block ×8, first 2 shown]
.LBB2178_320:
	s_andn2_saveexec_b64 s[6:7], s[6:7]
	s_cbranch_execz .LBB2178_326
; %bb.321:
	s_mov_b32 s8, 0
	s_waitcnt vmcnt(7)
	v_mov_b32_e32 v10, 0
	s_waitcnt vmcnt(6)
	v_mov_b32_e32 v11, 0
	s_waitcnt vmcnt(0)
.LBB2178_322:                           ; =>This Inner Loop Header: Depth=1
	v_add_u32_e32 v12, s8, v10
	s_add_i32 s8, s8, 8
	s_cmp_lg_u32 s8, 32
	buffer_store_dword v11, v12, s[0:3], 0 offen offset:4
	buffer_store_dword v11, v12, s[0:3], 0 offen
	s_cbranch_scc1 .LBB2178_322
; %bb.323:
	s_mov_b32 s8, 0
	v_mov_b32_e32 v10, 0xa8
	v_mov_b32_e32 v11, 0x140
	;; [unrolled: 1-line block ×3, first 2 shown]
.LBB2178_324:                           ; =>This Inner Loop Header: Depth=1
	v_add_u32_e32 v13, s8, v10
	v_add_u32_e32 v14, s8, v11
	buffer_load_dword v15, v13, s[0:3], 0 offen offset:4
	buffer_load_dword v16, v14, s[0:3], 0 offen offset:36
	buffer_load_dword v17, v13, s[0:3], 0 offen
	buffer_load_dword v21, v14, s[0:3], 0 offen offset:40
	v_add_u32_e32 v13, s8, v12
	s_add_i32 s8, s8, 8
	s_cmp_lg_u32 s8, 32
	s_waitcnt vmcnt(1)
	v_add_u32_e32 v14, v16, v17
	s_waitcnt vmcnt(0)
	v_add_u32_e32 v15, v21, v15
	buffer_store_dword v15, v13, s[0:3], 0 offen offset:4
	buffer_store_dword v14, v13, s[0:3], 0 offen
	s_cbranch_scc1 .LBB2178_324
; %bb.325:
	buffer_load_dword v10, off, s[0:3], 0
	buffer_load_dword v11, off, s[0:3], 0 offset:4
	buffer_load_dword v12, off, s[0:3], 0 offset:8
	buffer_load_dword v13, off, s[0:3], 0 offset:12
	buffer_load_dword v14, off, s[0:3], 0 offset:16
	buffer_load_dword v15, off, s[0:3], 0 offset:20
	buffer_load_dword v16, off, s[0:3], 0 offset:24
	buffer_load_dword v17, off, s[0:3], 0 offset:28
.LBB2178_326:
	s_or_b64 exec, exec, s[6:7]
	buffer_load_ubyte v21, off, s[0:3], 0 offset:424
	s_waitcnt vmcnt(7)
	buffer_store_dword v11, off, s[0:3], 0 offset:172
	buffer_store_dword v10, off, s[0:3], 0 offset:168
	s_waitcnt vmcnt(7)
	buffer_store_dword v13, off, s[0:3], 0 offset:180
	buffer_store_dword v12, off, s[0:3], 0 offset:176
	;; [unrolled: 3-line block ×4, first 2 shown]
                                        ; implicit-def: $vgpr16_vgpr17
                                        ; implicit-def: $vgpr14_vgpr15
                                        ; implicit-def: $vgpr12_vgpr13
                                        ; implicit-def: $vgpr10_vgpr11
	s_waitcnt vmcnt(8)
	v_cmp_ne_u16_e32 vcc, 0, v21
	s_and_saveexec_b64 s[6:7], vcc
	s_xor_b64 s[6:7], exec, s[6:7]
	s_cbranch_execz .LBB2178_328
; %bb.327:
	buffer_load_dword v10, off, s[0:3], 0 offset:392
	buffer_load_dword v11, off, s[0:3], 0 offset:396
	;; [unrolled: 1-line block ×8, first 2 shown]
.LBB2178_328:
	s_andn2_saveexec_b64 s[6:7], s[6:7]
	s_cbranch_execz .LBB2178_334
; %bb.329:
	s_mov_b32 s8, 0
	s_waitcnt vmcnt(7)
	v_mov_b32_e32 v10, 0
	s_waitcnt vmcnt(6)
	v_mov_b32_e32 v11, 0
	s_waitcnt vmcnt(0)
.LBB2178_330:                           ; =>This Inner Loop Header: Depth=1
	v_add_u32_e32 v12, s8, v10
	s_add_i32 s8, s8, 8
	s_cmp_lg_u32 s8, 32
	buffer_store_dword v11, v12, s[0:3], 0 offen offset:4
	buffer_store_dword v11, v12, s[0:3], 0 offen
	s_cbranch_scc1 .LBB2178_330
; %bb.331:
	s_mov_b32 s8, 0
	v_mov_b32_e32 v10, 0xa8
	v_mov_b32_e32 v11, 0x140
	;; [unrolled: 1-line block ×3, first 2 shown]
.LBB2178_332:                           ; =>This Inner Loop Header: Depth=1
	v_add_u32_e32 v13, s8, v10
	v_add_u32_e32 v14, s8, v11
	buffer_load_dword v15, v13, s[0:3], 0 offen offset:4
	buffer_load_dword v16, v14, s[0:3], 0 offen offset:72
	buffer_load_dword v17, v13, s[0:3], 0 offen
	buffer_load_dword v22, v14, s[0:3], 0 offen offset:76
	v_add_u32_e32 v13, s8, v12
	s_add_i32 s8, s8, 8
	s_cmp_lg_u32 s8, 32
	s_waitcnt vmcnt(1)
	v_add_u32_e32 v14, v16, v17
	s_waitcnt vmcnt(0)
	v_add_u32_e32 v15, v22, v15
	buffer_store_dword v15, v13, s[0:3], 0 offen offset:4
	buffer_store_dword v14, v13, s[0:3], 0 offen
	s_cbranch_scc1 .LBB2178_332
; %bb.333:
	buffer_load_dword v10, off, s[0:3], 0
	buffer_load_dword v11, off, s[0:3], 0 offset:4
	buffer_load_dword v12, off, s[0:3], 0 offset:8
	;; [unrolled: 1-line block ×7, first 2 shown]
.LBB2178_334:
	s_or_b64 exec, exec, s[6:7]
	v_or_b32_e32 v20, v21, v20
	v_or_b32_e32 v9, v20, v9
	v_and_b32_e32 v9, 1, v9
	buffer_store_byte v9, off, s[0:3], 0 offset:200
	buffer_load_dword v20, off, s[0:3], 0 offset:200
	v_mbcnt_lo_u32_b32 v9, -1, 0
	v_mov_b32_e32 v23, 0
	s_waitcnt vmcnt(9)
	v_mov_b32_dpp v21, v10 row_shr:1 row_mask:0xf bank_mask:0xf
	v_mbcnt_hi_u32_b32 v9, -1, v9
	buffer_store_dword v5, off, s[0:3], 0 offset:136
	buffer_store_dword v4, off, s[0:3], 0 offset:132
	;; [unrolled: 1-line block ×8, first 2 shown]
	s_waitcnt vmcnt(16)
	buffer_store_dword v11, off, s[0:3], 0 offset:172
	buffer_store_dword v10, off, s[0:3], 0 offset:168
	s_waitcnt vmcnt(16)
	buffer_store_dword v13, off, s[0:3], 0 offset:180
	buffer_store_dword v12, off, s[0:3], 0 offset:176
	;; [unrolled: 3-line block ×4, first 2 shown]
	v_mov_b32_dpp v22, v11 row_shr:1 row_mask:0xf bank_mask:0xf
	v_mov_b32_dpp v24, v12 row_shr:1 row_mask:0xf bank_mask:0xf
	;; [unrolled: 1-line block ×7, first 2 shown]
	buffer_store_byte v23, off, s[0:3], 0 offset:164
	buffer_store_dword v21, off, s[0:3], 0
	buffer_store_dword v22, off, s[0:3], 0 offset:4
	buffer_store_dword v24, off, s[0:3], 0 offset:8
	buffer_store_dword v25, off, s[0:3], 0 offset:12
	buffer_store_dword v26, off, s[0:3], 0 offset:16
	buffer_store_dword v27, off, s[0:3], 0 offset:20
	buffer_store_dword v28, off, s[0:3], 0 offset:24
	buffer_store_dword v29, off, s[0:3], 0 offset:28
	v_and_b32_e32 v21, 15, v9
	v_cmp_ne_u32_e32 vcc, 0, v21
	s_waitcnt vmcnt(25)
	v_mov_b32_dpp v22, v20 row_shr:1 row_mask:0xf bank_mask:0xf
	buffer_store_dword v22, off, s[0:3], 0 offset:32
	s_and_saveexec_b64 s[6:7], vcc
	s_xor_b64 s[6:7], exec, s[6:7]
	s_cbranch_execz .LBB2178_342
; %bb.335:
	v_cmp_eq_u16_sdwa s[10:11], v20, v23 src0_sel:BYTE_0 src1_sel:DWORD
	s_and_saveexec_b64 s[8:9], s[10:11]
	s_cbranch_execz .LBB2178_341
; %bb.336:
	s_mov_b32 s10, 0
	v_mov_b32_e32 v10, 0x60
	v_mov_b32_e32 v11, 0
.LBB2178_337:                           ; =>This Inner Loop Header: Depth=1
	v_add_u32_e32 v12, s10, v10
	s_add_i32 s10, s10, 8
	s_cmp_lg_u32 s10, 32
	buffer_store_dword v11, v12, s[0:3], 0 offen offset:4
	buffer_store_dword v11, v12, s[0:3], 0 offen
	s_cbranch_scc1 .LBB2178_337
; %bb.338:
	s_mov_b32 s10, 0
	v_mov_b32_e32 v10, 0
	v_mov_b32_e32 v11, 0xa8
	;; [unrolled: 1-line block ×3, first 2 shown]
.LBB2178_339:                           ; =>This Inner Loop Header: Depth=1
	v_add_u32_e32 v13, s10, v10
	v_add_u32_e32 v14, s10, v11
	buffer_load_dword v15, v13, s[0:3], 0 offen offset:4
	buffer_load_dword v16, v14, s[0:3], 0 offen
	buffer_load_dword v17, v13, s[0:3], 0 offen
	buffer_load_dword v23, v14, s[0:3], 0 offen offset:4
	v_add_u32_e32 v13, s10, v12
	s_add_i32 s10, s10, 8
	s_cmp_lg_u32 s10, 32
	s_waitcnt vmcnt(1)
	v_add_u32_e32 v14, v16, v17
	s_waitcnt vmcnt(0)
	v_add_u32_e32 v15, v23, v15
	buffer_store_dword v15, v13, s[0:3], 0 offen offset:4
	buffer_store_dword v14, v13, s[0:3], 0 offen
	s_cbranch_scc1 .LBB2178_339
; %bb.340:
	buffer_load_dword v10, off, s[0:3], 0 offset:96
	buffer_load_dword v11, off, s[0:3], 0 offset:100
	;; [unrolled: 1-line block ×8, first 2 shown]
.LBB2178_341:
	s_or_b64 exec, exec, s[8:9]
	v_or_b32_e32 v20, v22, v20
	v_and_b32_e32 v20, 1, v20
	buffer_store_byte v20, off, s[0:3], 0 offset:200
	buffer_load_dword v20, off, s[0:3], 0 offset:200
	s_waitcnt vmcnt(8)
	buffer_store_dword v11, off, s[0:3], 0 offset:172
	buffer_store_dword v10, off, s[0:3], 0 offset:168
	s_waitcnt vmcnt(8)
	buffer_store_dword v13, off, s[0:3], 0 offset:180
	buffer_store_dword v12, off, s[0:3], 0 offset:176
	;; [unrolled: 3-line block ×4, first 2 shown]
.LBB2178_342:
	s_or_b64 exec, exec, s[6:7]
	v_mov_b32_dpp v23, v10 row_shr:2 row_mask:0xf bank_mask:0xf
	s_waitcnt vmcnt(8)
	v_mov_b32_dpp v22, v20 row_shr:2 row_mask:0xf bank_mask:0xf
	v_cmp_lt_u32_e32 vcc, 1, v21
	v_mov_b32_dpp v24, v11 row_shr:2 row_mask:0xf bank_mask:0xf
	v_mov_b32_dpp v25, v12 row_shr:2 row_mask:0xf bank_mask:0xf
	;; [unrolled: 1-line block ×7, first 2 shown]
	buffer_store_dword v23, off, s[0:3], 0
	buffer_store_dword v24, off, s[0:3], 0 offset:4
	buffer_store_dword v25, off, s[0:3], 0 offset:8
	;; [unrolled: 1-line block ×8, first 2 shown]
	s_and_saveexec_b64 s[8:9], vcc
	s_cbranch_execz .LBB2178_350
; %bb.343:
	v_mov_b32_e32 v23, 0
	s_mov_b32 s10, 0
	v_cmp_eq_u16_sdwa s[12:13], v20, v23 src0_sel:BYTE_0 src1_sel:DWORD
	s_and_saveexec_b64 s[6:7], s[12:13]
	s_cbranch_execz .LBB2178_349
; %bb.344:
	v_mov_b32_e32 v10, 0x60
.LBB2178_345:                           ; =>This Inner Loop Header: Depth=1
	v_add_u32_e32 v11, s10, v10
	s_add_i32 s10, s10, 8
	s_cmp_lg_u32 s10, 32
	buffer_store_dword v23, v11, s[0:3], 0 offen offset:4
	buffer_store_dword v23, v11, s[0:3], 0 offen
	s_cbranch_scc1 .LBB2178_345
; %bb.346:
	s_mov_b32 s10, 0
	v_mov_b32_e32 v10, 0
	v_mov_b32_e32 v11, 0xa8
	;; [unrolled: 1-line block ×3, first 2 shown]
.LBB2178_347:                           ; =>This Inner Loop Header: Depth=1
	v_add_u32_e32 v13, s10, v10
	v_add_u32_e32 v14, s10, v11
	buffer_load_dword v15, v13, s[0:3], 0 offen offset:4
	buffer_load_dword v16, v14, s[0:3], 0 offen
	buffer_load_dword v17, v13, s[0:3], 0 offen
	buffer_load_dword v23, v14, s[0:3], 0 offen offset:4
	v_add_u32_e32 v13, s10, v12
	s_add_i32 s10, s10, 8
	s_cmp_lg_u32 s10, 32
	s_waitcnt vmcnt(1)
	v_add_u32_e32 v14, v16, v17
	s_waitcnt vmcnt(0)
	v_add_u32_e32 v15, v23, v15
	buffer_store_dword v15, v13, s[0:3], 0 offen offset:4
	buffer_store_dword v14, v13, s[0:3], 0 offen
	s_cbranch_scc1 .LBB2178_347
; %bb.348:
	buffer_load_dword v10, off, s[0:3], 0 offset:96
	buffer_load_dword v11, off, s[0:3], 0 offset:100
	;; [unrolled: 1-line block ×8, first 2 shown]
.LBB2178_349:
	s_or_b64 exec, exec, s[6:7]
	v_and_b32_e32 v20, 1, v20
	v_cmp_eq_u32_e32 vcc, 1, v20
	v_and_b32_e32 v20, 1, v22
	v_cmp_eq_u32_e64 s[6:7], 1, v20
	s_or_b64 s[6:7], vcc, s[6:7]
	v_cndmask_b32_e64 v20, 0, 1, s[6:7]
	buffer_store_byte v20, off, s[0:3], 0 offset:200
	buffer_load_dword v20, off, s[0:3], 0 offset:200
	s_waitcnt vmcnt(8)
	buffer_store_dword v11, off, s[0:3], 0 offset:172
	buffer_store_dword v10, off, s[0:3], 0 offset:168
	s_waitcnt vmcnt(8)
	buffer_store_dword v13, off, s[0:3], 0 offset:180
	buffer_store_dword v12, off, s[0:3], 0 offset:176
	;; [unrolled: 3-line block ×4, first 2 shown]
.LBB2178_350:
	s_or_b64 exec, exec, s[8:9]
	v_mov_b32_dpp v23, v10 row_shr:4 row_mask:0xf bank_mask:0xf
	s_waitcnt vmcnt(8)
	v_mov_b32_dpp v22, v20 row_shr:4 row_mask:0xf bank_mask:0xf
	v_cmp_lt_u32_e32 vcc, 3, v21
	v_mov_b32_dpp v24, v11 row_shr:4 row_mask:0xf bank_mask:0xf
	v_mov_b32_dpp v25, v12 row_shr:4 row_mask:0xf bank_mask:0xf
	;; [unrolled: 1-line block ×7, first 2 shown]
	buffer_store_dword v23, off, s[0:3], 0
	buffer_store_dword v24, off, s[0:3], 0 offset:4
	buffer_store_dword v25, off, s[0:3], 0 offset:8
	;; [unrolled: 1-line block ×8, first 2 shown]
	s_and_saveexec_b64 s[8:9], vcc
	s_cbranch_execz .LBB2178_358
; %bb.351:
	v_mov_b32_e32 v23, 0
	s_mov_b32 s10, 0
	v_cmp_eq_u16_sdwa s[12:13], v20, v23 src0_sel:BYTE_0 src1_sel:DWORD
	s_and_saveexec_b64 s[6:7], s[12:13]
	s_cbranch_execz .LBB2178_357
; %bb.352:
	v_mov_b32_e32 v10, 0x60
.LBB2178_353:                           ; =>This Inner Loop Header: Depth=1
	v_add_u32_e32 v11, s10, v10
	s_add_i32 s10, s10, 8
	s_cmp_lg_u32 s10, 32
	buffer_store_dword v23, v11, s[0:3], 0 offen offset:4
	buffer_store_dword v23, v11, s[0:3], 0 offen
	s_cbranch_scc1 .LBB2178_353
; %bb.354:
	s_mov_b32 s10, 0
	v_mov_b32_e32 v10, 0
	v_mov_b32_e32 v11, 0xa8
	;; [unrolled: 1-line block ×3, first 2 shown]
.LBB2178_355:                           ; =>This Inner Loop Header: Depth=1
	v_add_u32_e32 v13, s10, v10
	v_add_u32_e32 v14, s10, v11
	buffer_load_dword v15, v13, s[0:3], 0 offen offset:4
	buffer_load_dword v16, v14, s[0:3], 0 offen
	buffer_load_dword v17, v13, s[0:3], 0 offen
	buffer_load_dword v23, v14, s[0:3], 0 offen offset:4
	v_add_u32_e32 v13, s10, v12
	s_add_i32 s10, s10, 8
	s_cmp_lg_u32 s10, 32
	s_waitcnt vmcnt(1)
	v_add_u32_e32 v14, v16, v17
	s_waitcnt vmcnt(0)
	v_add_u32_e32 v15, v23, v15
	buffer_store_dword v15, v13, s[0:3], 0 offen offset:4
	buffer_store_dword v14, v13, s[0:3], 0 offen
	s_cbranch_scc1 .LBB2178_355
; %bb.356:
	buffer_load_dword v10, off, s[0:3], 0 offset:96
	buffer_load_dword v11, off, s[0:3], 0 offset:100
	;; [unrolled: 1-line block ×8, first 2 shown]
.LBB2178_357:
	s_or_b64 exec, exec, s[6:7]
	v_and_b32_e32 v20, 1, v20
	v_cmp_eq_u32_e32 vcc, 1, v20
	v_and_b32_e32 v20, 1, v22
	v_cmp_eq_u32_e64 s[6:7], 1, v20
	s_or_b64 s[6:7], vcc, s[6:7]
	v_cndmask_b32_e64 v20, 0, 1, s[6:7]
	buffer_store_byte v20, off, s[0:3], 0 offset:200
	buffer_load_dword v20, off, s[0:3], 0 offset:200
	s_waitcnt vmcnt(8)
	buffer_store_dword v11, off, s[0:3], 0 offset:172
	buffer_store_dword v10, off, s[0:3], 0 offset:168
	s_waitcnt vmcnt(8)
	buffer_store_dword v13, off, s[0:3], 0 offset:180
	buffer_store_dword v12, off, s[0:3], 0 offset:176
	;; [unrolled: 3-line block ×4, first 2 shown]
.LBB2178_358:
	s_or_b64 exec, exec, s[8:9]
	v_mov_b32_dpp v23, v10 row_shr:8 row_mask:0xf bank_mask:0xf
	s_waitcnt vmcnt(8)
	v_mov_b32_dpp v22, v20 row_shr:8 row_mask:0xf bank_mask:0xf
	v_cmp_lt_u32_e32 vcc, 7, v21
	v_mov_b32_dpp v24, v11 row_shr:8 row_mask:0xf bank_mask:0xf
	v_mov_b32_dpp v25, v12 row_shr:8 row_mask:0xf bank_mask:0xf
	v_mov_b32_dpp v26, v13 row_shr:8 row_mask:0xf bank_mask:0xf
	v_mov_b32_dpp v27, v14 row_shr:8 row_mask:0xf bank_mask:0xf
	v_mov_b32_dpp v28, v15 row_shr:8 row_mask:0xf bank_mask:0xf
	v_mov_b32_dpp v29, v16 row_shr:8 row_mask:0xf bank_mask:0xf
	v_mov_b32_dpp v30, v17 row_shr:8 row_mask:0xf bank_mask:0xf
	buffer_store_dword v23, off, s[0:3], 0
	buffer_store_dword v24, off, s[0:3], 0 offset:4
	buffer_store_dword v25, off, s[0:3], 0 offset:8
	;; [unrolled: 1-line block ×8, first 2 shown]
	s_and_saveexec_b64 s[8:9], vcc
	s_cbranch_execz .LBB2178_366
; %bb.359:
	v_mov_b32_e32 v21, 0
	s_mov_b32 s10, 0
	v_cmp_eq_u16_sdwa s[12:13], v20, v21 src0_sel:BYTE_0 src1_sel:DWORD
	s_and_saveexec_b64 s[6:7], s[12:13]
	s_cbranch_execz .LBB2178_365
; %bb.360:
	v_mov_b32_e32 v10, 0x60
.LBB2178_361:                           ; =>This Inner Loop Header: Depth=1
	v_add_u32_e32 v11, s10, v10
	s_add_i32 s10, s10, 8
	s_cmp_lg_u32 s10, 32
	buffer_store_dword v21, v11, s[0:3], 0 offen offset:4
	buffer_store_dword v21, v11, s[0:3], 0 offen
	s_cbranch_scc1 .LBB2178_361
; %bb.362:
	s_mov_b32 s10, 0
	v_mov_b32_e32 v10, 0
	v_mov_b32_e32 v11, 0xa8
	;; [unrolled: 1-line block ×3, first 2 shown]
.LBB2178_363:                           ; =>This Inner Loop Header: Depth=1
	v_add_u32_e32 v13, s10, v10
	v_add_u32_e32 v14, s10, v11
	buffer_load_dword v15, v13, s[0:3], 0 offen offset:4
	buffer_load_dword v16, v14, s[0:3], 0 offen
	buffer_load_dword v17, v13, s[0:3], 0 offen
	buffer_load_dword v21, v14, s[0:3], 0 offen offset:4
	v_add_u32_e32 v13, s10, v12
	s_add_i32 s10, s10, 8
	s_cmp_lg_u32 s10, 32
	s_waitcnt vmcnt(1)
	v_add_u32_e32 v14, v16, v17
	s_waitcnt vmcnt(0)
	v_add_u32_e32 v15, v21, v15
	buffer_store_dword v15, v13, s[0:3], 0 offen offset:4
	buffer_store_dword v14, v13, s[0:3], 0 offen
	s_cbranch_scc1 .LBB2178_363
; %bb.364:
	buffer_load_dword v10, off, s[0:3], 0 offset:96
	buffer_load_dword v11, off, s[0:3], 0 offset:100
	;; [unrolled: 1-line block ×8, first 2 shown]
.LBB2178_365:
	s_or_b64 exec, exec, s[6:7]
	v_and_b32_e32 v20, 1, v20
	v_cmp_eq_u32_e32 vcc, 1, v20
	v_and_b32_e32 v20, 1, v22
	v_cmp_eq_u32_e64 s[6:7], 1, v20
	s_or_b64 s[6:7], vcc, s[6:7]
	v_cndmask_b32_e64 v20, 0, 1, s[6:7]
	buffer_store_byte v20, off, s[0:3], 0 offset:200
	buffer_load_dword v20, off, s[0:3], 0 offset:200
	s_waitcnt vmcnt(8)
	buffer_store_dword v11, off, s[0:3], 0 offset:172
	buffer_store_dword v10, off, s[0:3], 0 offset:168
	s_waitcnt vmcnt(8)
	buffer_store_dword v13, off, s[0:3], 0 offset:180
	buffer_store_dword v12, off, s[0:3], 0 offset:176
	;; [unrolled: 3-line block ×4, first 2 shown]
.LBB2178_366:
	s_or_b64 exec, exec, s[8:9]
	v_mov_b32_dpp v22, v10 row_bcast:15 row_mask:0xf bank_mask:0xf
	v_mov_b32_dpp v23, v11 row_bcast:15 row_mask:0xf bank_mask:0xf
	;; [unrolled: 1-line block ×8, first 2 shown]
	s_waitcnt vmcnt(8)
	v_mov_b32_dpp v21, v20 row_bcast:15 row_mask:0xf bank_mask:0xf
	buffer_store_dword v22, off, s[0:3], 0
	buffer_store_dword v23, off, s[0:3], 0 offset:4
	buffer_store_dword v24, off, s[0:3], 0 offset:8
	;; [unrolled: 1-line block ×8, first 2 shown]
	v_and_b32_e32 v22, 16, v9
	v_cmp_ne_u32_e32 vcc, 0, v22
	s_and_saveexec_b64 s[8:9], vcc
	s_cbranch_execz .LBB2178_374
; %bb.367:
	v_mov_b32_e32 v22, 0
	s_mov_b32 s10, 0
	v_cmp_eq_u16_sdwa s[12:13], v20, v22 src0_sel:BYTE_0 src1_sel:DWORD
	s_and_saveexec_b64 s[6:7], s[12:13]
	s_cbranch_execz .LBB2178_373
; %bb.368:
	v_mov_b32_e32 v10, 0x60
.LBB2178_369:                           ; =>This Inner Loop Header: Depth=1
	v_add_u32_e32 v11, s10, v10
	s_add_i32 s10, s10, 8
	s_cmp_lg_u32 s10, 32
	buffer_store_dword v22, v11, s[0:3], 0 offen offset:4
	buffer_store_dword v22, v11, s[0:3], 0 offen
	s_cbranch_scc1 .LBB2178_369
; %bb.370:
	s_mov_b32 s10, 0
	v_mov_b32_e32 v10, 0
	v_mov_b32_e32 v11, 0xa8
	;; [unrolled: 1-line block ×3, first 2 shown]
.LBB2178_371:                           ; =>This Inner Loop Header: Depth=1
	v_add_u32_e32 v13, s10, v10
	v_add_u32_e32 v14, s10, v11
	buffer_load_dword v15, v13, s[0:3], 0 offen offset:4
	buffer_load_dword v16, v14, s[0:3], 0 offen
	buffer_load_dword v17, v13, s[0:3], 0 offen
	buffer_load_dword v22, v14, s[0:3], 0 offen offset:4
	v_add_u32_e32 v13, s10, v12
	s_add_i32 s10, s10, 8
	s_cmp_lg_u32 s10, 32
	s_waitcnt vmcnt(1)
	v_add_u32_e32 v14, v16, v17
	s_waitcnt vmcnt(0)
	v_add_u32_e32 v15, v22, v15
	buffer_store_dword v15, v13, s[0:3], 0 offen offset:4
	buffer_store_dword v14, v13, s[0:3], 0 offen
	s_cbranch_scc1 .LBB2178_371
; %bb.372:
	buffer_load_dword v10, off, s[0:3], 0 offset:96
	buffer_load_dword v11, off, s[0:3], 0 offset:100
	;; [unrolled: 1-line block ×8, first 2 shown]
.LBB2178_373:
	s_or_b64 exec, exec, s[6:7]
	v_and_b32_e32 v20, 1, v20
	v_cmp_eq_u32_e32 vcc, 1, v20
	v_and_b32_e32 v20, 1, v21
	v_cmp_eq_u32_e64 s[6:7], 1, v20
	s_or_b64 s[6:7], vcc, s[6:7]
	v_cndmask_b32_e64 v20, 0, 1, s[6:7]
	buffer_store_byte v20, off, s[0:3], 0 offset:200
	buffer_load_dword v20, off, s[0:3], 0 offset:200
	s_waitcnt vmcnt(8)
	buffer_store_dword v11, off, s[0:3], 0 offset:172
	buffer_store_dword v10, off, s[0:3], 0 offset:168
	s_waitcnt vmcnt(8)
	buffer_store_dword v13, off, s[0:3], 0 offset:180
	buffer_store_dword v12, off, s[0:3], 0 offset:176
	;; [unrolled: 3-line block ×4, first 2 shown]
.LBB2178_374:
	s_or_b64 exec, exec, s[8:9]
	v_mov_b32_dpp v22, v10 row_bcast:31 row_mask:0xf bank_mask:0xf
	s_waitcnt vmcnt(8)
	v_mov_b32_dpp v21, v20 row_bcast:31 row_mask:0xf bank_mask:0xf
	v_cmp_lt_u32_e32 vcc, 31, v9
	v_mov_b32_dpp v23, v11 row_bcast:31 row_mask:0xf bank_mask:0xf
	v_mov_b32_dpp v24, v12 row_bcast:31 row_mask:0xf bank_mask:0xf
	;; [unrolled: 1-line block ×7, first 2 shown]
	buffer_store_dword v22, off, s[0:3], 0
	buffer_store_dword v23, off, s[0:3], 0 offset:4
	buffer_store_dword v24, off, s[0:3], 0 offset:8
	;; [unrolled: 1-line block ×8, first 2 shown]
	s_and_saveexec_b64 s[8:9], vcc
	s_cbranch_execz .LBB2178_382
; %bb.375:
	v_mov_b32_e32 v22, 0
	s_mov_b32 s10, 0
	v_cmp_eq_u16_sdwa s[12:13], v20, v22 src0_sel:BYTE_0 src1_sel:DWORD
	s_and_saveexec_b64 s[6:7], s[12:13]
	s_cbranch_execz .LBB2178_381
; %bb.376:
	v_mov_b32_e32 v10, 0x60
.LBB2178_377:                           ; =>This Inner Loop Header: Depth=1
	v_add_u32_e32 v11, s10, v10
	s_add_i32 s10, s10, 8
	s_cmp_lg_u32 s10, 32
	buffer_store_dword v22, v11, s[0:3], 0 offen offset:4
	buffer_store_dword v22, v11, s[0:3], 0 offen
	s_cbranch_scc1 .LBB2178_377
; %bb.378:
	s_mov_b32 s10, 0
	v_mov_b32_e32 v10, 0
	v_mov_b32_e32 v11, 0xa8
	;; [unrolled: 1-line block ×3, first 2 shown]
.LBB2178_379:                           ; =>This Inner Loop Header: Depth=1
	v_add_u32_e32 v13, s10, v10
	v_add_u32_e32 v14, s10, v11
	buffer_load_dword v15, v13, s[0:3], 0 offen offset:4
	buffer_load_dword v16, v14, s[0:3], 0 offen
	buffer_load_dword v17, v13, s[0:3], 0 offen
	buffer_load_dword v22, v14, s[0:3], 0 offen offset:4
	v_add_u32_e32 v13, s10, v12
	s_add_i32 s10, s10, 8
	s_cmp_lg_u32 s10, 32
	s_waitcnt vmcnt(1)
	v_add_u32_e32 v14, v16, v17
	s_waitcnt vmcnt(0)
	v_add_u32_e32 v15, v22, v15
	buffer_store_dword v15, v13, s[0:3], 0 offen offset:4
	buffer_store_dword v14, v13, s[0:3], 0 offen
	s_cbranch_scc1 .LBB2178_379
; %bb.380:
	buffer_load_dword v10, off, s[0:3], 0 offset:96
	buffer_load_dword v11, off, s[0:3], 0 offset:100
	;; [unrolled: 1-line block ×8, first 2 shown]
.LBB2178_381:
	s_or_b64 exec, exec, s[6:7]
	v_and_b32_e32 v20, 1, v20
	v_cmp_eq_u32_e32 vcc, 1, v20
	v_and_b32_e32 v20, 1, v21
	v_cmp_eq_u32_e64 s[6:7], 1, v20
	s_or_b64 s[6:7], vcc, s[6:7]
	v_cndmask_b32_e64 v20, 0, 1, s[6:7]
	s_waitcnt vmcnt(6)
	buffer_store_dword v11, off, s[0:3], 0 offset:172
	buffer_store_dword v10, off, s[0:3], 0 offset:168
	s_waitcnt vmcnt(6)
	buffer_store_dword v13, off, s[0:3], 0 offset:180
	buffer_store_dword v12, off, s[0:3], 0 offset:176
	;; [unrolled: 3-line block ×4, first 2 shown]
	buffer_store_byte v20, off, s[0:3], 0 offset:200
.LBB2178_382:
	s_or_b64 exec, exec, s[8:9]
	v_or_b32_e32 v22, 63, v8
	v_lshrrev_b32_e32 v21, 6, v8
	v_cmp_eq_u32_e32 vcc, v22, v8
	s_and_saveexec_b64 s[6:7], vcc
	s_cbranch_execz .LBB2178_384
; %bb.383:
	v_mul_u32_u24_e32 v22, 36, v21
	ds_write2_b32 v22, v10, v11 offset1:1
	ds_write2_b32 v22, v12, v13 offset0:2 offset1:3
	ds_write2_b32 v22, v14, v15 offset0:4 offset1:5
	;; [unrolled: 1-line block ×3, first 2 shown]
	ds_write_b8 v22, v20 offset:32
.LBB2178_384:
	s_or_b64 exec, exec, s[6:7]
	v_cmp_gt_u32_e32 vcc, 4, v8
	s_waitcnt lgkmcnt(0)
	s_barrier
	s_and_saveexec_b64 s[8:9], vcc
	s_cbranch_execz .LBB2178_402
; %bb.385:
	v_mul_u32_u24_e32 v20, 36, v8
	ds_read_b32 v22, v20 offset:32
	ds_read2_b32 v[10:11], v20 offset0:6 offset1:7
	ds_read2_b32 v[12:13], v20 offset0:4 offset1:5
	;; [unrolled: 1-line block ×3, first 2 shown]
	ds_read2_b32 v[16:17], v20 offset1:1
	v_and_b32_e32 v23, 3, v9
	s_waitcnt lgkmcnt(4)
	v_mov_b32_dpp v24, v22 row_shr:1 row_mask:0xf bank_mask:0xf
	v_cmp_ne_u32_e32 vcc, 0, v23
	buffer_store_dword v22, off, s[0:3], 0 offset:128
	s_waitcnt lgkmcnt(0)
	v_mov_b32_dpp v25, v16 row_shr:1 row_mask:0xf bank_mask:0xf
	buffer_store_dword v11, off, s[0:3], 0 offset:124
	buffer_store_dword v10, off, s[0:3], 0 offset:120
	;; [unrolled: 1-line block ×8, first 2 shown]
	v_mov_b32_dpp v26, v17 row_shr:1 row_mask:0xf bank_mask:0xf
	v_mov_b32_dpp v27, v14 row_shr:1 row_mask:0xf bank_mask:0xf
	;; [unrolled: 1-line block ×7, first 2 shown]
	buffer_store_dword v25, off, s[0:3], 0
	buffer_store_dword v26, off, s[0:3], 0 offset:4
	buffer_store_dword v27, off, s[0:3], 0 offset:8
	;; [unrolled: 1-line block ×8, first 2 shown]
	s_and_saveexec_b64 s[6:7], vcc
	s_cbranch_execz .LBB2178_393
; %bb.386:
	v_mov_b32_e32 v25, 0
	v_cmp_eq_u16_sdwa s[12:13], v22, v25 src0_sel:BYTE_0 src1_sel:DWORD
	s_and_saveexec_b64 s[10:11], s[12:13]
	s_cbranch_execz .LBB2178_392
; %bb.387:
	s_mov_b32 s12, 0
	v_mov_b32_e32 v10, 0x114
.LBB2178_388:                           ; =>This Inner Loop Header: Depth=1
	v_add_u32_e32 v11, s12, v10
	s_add_i32 s12, s12, 8
	s_cmp_lg_u32 s12, 32
	buffer_store_dword v25, v11, s[0:3], 0 offen offset:4
	buffer_store_dword v25, v11, s[0:3], 0 offen
	s_cbranch_scc1 .LBB2178_388
; %bb.389:
	s_mov_b32 s12, 0
	v_mov_b32_e32 v10, 0
	v_mov_b32_e32 v11, 0x60
	;; [unrolled: 1-line block ×3, first 2 shown]
.LBB2178_390:                           ; =>This Inner Loop Header: Depth=1
	v_add_u32_e32 v13, s12, v10
	v_add_u32_e32 v14, s12, v11
	buffer_load_dword v15, v13, s[0:3], 0 offen offset:4
	buffer_load_dword v16, v14, s[0:3], 0 offen
	buffer_load_dword v17, v13, s[0:3], 0 offen
	buffer_load_dword v25, v14, s[0:3], 0 offen offset:4
	v_add_u32_e32 v13, s12, v12
	s_add_i32 s12, s12, 8
	s_cmp_lg_u32 s12, 32
	s_waitcnt vmcnt(1)
	v_add_u32_e32 v14, v16, v17
	s_waitcnt vmcnt(0)
	v_add_u32_e32 v15, v25, v15
	buffer_store_dword v15, v13, s[0:3], 0 offen offset:4
	buffer_store_dword v14, v13, s[0:3], 0 offen
	s_cbranch_scc1 .LBB2178_390
; %bb.391:
	buffer_load_dword v16, off, s[0:3], 0 offset:276
	buffer_load_dword v17, off, s[0:3], 0 offset:280
	;; [unrolled: 1-line block ×8, first 2 shown]
.LBB2178_392:
	s_or_b64 exec, exec, s[10:11]
	v_or_b32_e32 v22, v24, v22
	v_and_b32_e32 v22, 1, v22
	buffer_store_byte v22, off, s[0:3], 0 offset:128
	buffer_load_dword v22, off, s[0:3], 0 offset:128
	s_waitcnt vmcnt(8)
	buffer_store_dword v17, off, s[0:3], 0 offset:100
	buffer_store_dword v16, off, s[0:3], 0 offset:96
	s_waitcnt vmcnt(8)
	buffer_store_dword v15, off, s[0:3], 0 offset:108
	buffer_store_dword v14, off, s[0:3], 0 offset:104
	;; [unrolled: 3-line block ×4, first 2 shown]
.LBB2178_393:
	s_or_b64 exec, exec, s[6:7]
	v_mov_b32_dpp v25, v16 row_shr:2 row_mask:0xf bank_mask:0xf
	s_waitcnt vmcnt(8)
	v_mov_b32_dpp v24, v22 row_shr:2 row_mask:0xf bank_mask:0xf
	v_cmp_lt_u32_e32 vcc, 1, v23
	v_mov_b32_dpp v26, v17 row_shr:2 row_mask:0xf bank_mask:0xf
	v_mov_b32_dpp v27, v14 row_shr:2 row_mask:0xf bank_mask:0xf
	;; [unrolled: 1-line block ×7, first 2 shown]
	buffer_store_dword v25, off, s[0:3], 0
	buffer_store_dword v26, off, s[0:3], 0 offset:4
	buffer_store_dword v27, off, s[0:3], 0 offset:8
	buffer_store_dword v28, off, s[0:3], 0 offset:12
	buffer_store_dword v29, off, s[0:3], 0 offset:16
	buffer_store_dword v30, off, s[0:3], 0 offset:20
	buffer_store_dword v31, off, s[0:3], 0 offset:24
	buffer_store_dword v32, off, s[0:3], 0 offset:28
	buffer_store_dword v24, off, s[0:3], 0 offset:32
	s_and_saveexec_b64 s[10:11], vcc
	s_cbranch_execz .LBB2178_401
; %bb.394:
	v_mov_b32_e32 v23, 0
	s_mov_b32 s12, 0
	v_cmp_eq_u16_sdwa s[14:15], v22, v23 src0_sel:BYTE_0 src1_sel:DWORD
	s_and_saveexec_b64 s[6:7], s[14:15]
	s_cbranch_execz .LBB2178_400
; %bb.395:
	v_mov_b32_e32 v10, 0x114
.LBB2178_396:                           ; =>This Inner Loop Header: Depth=1
	v_add_u32_e32 v11, s12, v10
	s_add_i32 s12, s12, 8
	s_cmp_lg_u32 s12, 32
	buffer_store_dword v23, v11, s[0:3], 0 offen offset:4
	buffer_store_dword v23, v11, s[0:3], 0 offen
	s_cbranch_scc1 .LBB2178_396
; %bb.397:
	s_mov_b32 s12, 0
	v_mov_b32_e32 v10, 0
	v_mov_b32_e32 v11, 0x60
	;; [unrolled: 1-line block ×3, first 2 shown]
.LBB2178_398:                           ; =>This Inner Loop Header: Depth=1
	v_add_u32_e32 v13, s12, v10
	v_add_u32_e32 v14, s12, v11
	buffer_load_dword v15, v13, s[0:3], 0 offen offset:4
	buffer_load_dword v16, v14, s[0:3], 0 offen
	buffer_load_dword v17, v13, s[0:3], 0 offen
	buffer_load_dword v23, v14, s[0:3], 0 offen offset:4
	v_add_u32_e32 v13, s12, v12
	s_add_i32 s12, s12, 8
	s_cmp_lg_u32 s12, 32
	s_waitcnt vmcnt(1)
	v_add_u32_e32 v14, v16, v17
	s_waitcnt vmcnt(0)
	v_add_u32_e32 v15, v23, v15
	buffer_store_dword v15, v13, s[0:3], 0 offen offset:4
	buffer_store_dword v14, v13, s[0:3], 0 offen
	s_cbranch_scc1 .LBB2178_398
; %bb.399:
	buffer_load_dword v16, off, s[0:3], 0 offset:276
	buffer_load_dword v17, off, s[0:3], 0 offset:280
	buffer_load_dword v14, off, s[0:3], 0 offset:284
	buffer_load_dword v15, off, s[0:3], 0 offset:288
	buffer_load_dword v12, off, s[0:3], 0 offset:292
	buffer_load_dword v13, off, s[0:3], 0 offset:296
	buffer_load_dword v10, off, s[0:3], 0 offset:300
	buffer_load_dword v11, off, s[0:3], 0 offset:304
.LBB2178_400:
	s_or_b64 exec, exec, s[6:7]
	v_and_b32_e32 v22, 1, v22
	v_cmp_eq_u32_e32 vcc, 1, v22
	v_and_b32_e32 v22, 1, v24
	v_cmp_eq_u32_e64 s[6:7], 1, v22
	s_or_b64 s[6:7], vcc, s[6:7]
	v_cndmask_b32_e64 v22, 0, 1, s[6:7]
	s_waitcnt vmcnt(6)
	buffer_store_dword v17, off, s[0:3], 0 offset:100
	buffer_store_dword v16, off, s[0:3], 0 offset:96
	s_waitcnt vmcnt(6)
	buffer_store_dword v15, off, s[0:3], 0 offset:108
	buffer_store_dword v14, off, s[0:3], 0 offset:104
	;; [unrolled: 3-line block ×4, first 2 shown]
.LBB2178_401:
	s_or_b64 exec, exec, s[10:11]
	buffer_load_dword v10, off, s[0:3], 0 offset:96
	buffer_load_dword v11, off, s[0:3], 0 offset:100
	;; [unrolled: 1-line block ×8, first 2 shown]
	s_waitcnt vmcnt(4)
	ds_write2_b32 v20, v12, v13 offset0:2 offset1:3
	ds_write2_b32 v20, v10, v11 offset1:1
	s_waitcnt vmcnt(2)
	ds_write2_b32 v20, v14, v15 offset0:6 offset1:7
	s_waitcnt vmcnt(0)
	ds_write2_b32 v20, v16, v17 offset0:4 offset1:5
	ds_write_b8 v20, v22 offset:32
.LBB2178_402:
	s_or_b64 exec, exec, s[8:9]
	s_waitcnt lgkmcnt(0)
	s_barrier
	buffer_load_dword v10, off, s[0:3], 0 offset:144
	buffer_load_dword v11, off, s[0:3], 0 offset:140
	;; [unrolled: 1-line block ×9, first 2 shown]
	v_cmp_lt_u32_e32 vcc, 63, v8
	s_waitcnt vmcnt(8)
	buffer_store_dword v10, off, s[0:3], 0 offset:12
	s_waitcnt vmcnt(8)
	buffer_store_dword v11, off, s[0:3], 0 offset:8
	;; [unrolled: 2-line block ×3, first 2 shown]
	s_waitcnt vmcnt(8)
	buffer_store_dword v13, off, s[0:3], 0
	s_waitcnt vmcnt(8)
	buffer_store_dword v14, off, s[0:3], 0 offset:28
	s_waitcnt vmcnt(8)
	buffer_store_dword v15, off, s[0:3], 0 offset:24
	;; [unrolled: 2-line block ×5, first 2 shown]
	s_and_saveexec_b64 s[6:7], vcc
	s_cbranch_execz .LBB2178_412
; %bb.403:
	v_not_b32_e32 v10, 35
	v_mad_u32_u24 v21, v21, 36, v10
	ds_read_u8 v20, v21 offset:32
                                        ; implicit-def: $vgpr10_vgpr11
                                        ; implicit-def: $vgpr12_vgpr13
                                        ; implicit-def: $vgpr14_vgpr15
                                        ; implicit-def: $vgpr16_vgpr17
	s_waitcnt lgkmcnt(0)
	v_cmp_ne_u16_e32 vcc, 0, v20
	s_and_saveexec_b64 s[8:9], vcc
	s_xor_b64 s[8:9], exec, s[8:9]
	s_cbranch_execz .LBB2178_405
; %bb.404:
	ds_read2_b32 v[16:17], v21 offset1:1
	ds_read2_b32 v[14:15], v21 offset0:2 offset1:3
	ds_read2_b32 v[12:13], v21 offset0:4 offset1:5
	;; [unrolled: 1-line block ×3, first 2 shown]
                                        ; implicit-def: $vgpr21
.LBB2178_405:
	s_andn2_saveexec_b64 s[8:9], s[8:9]
	s_cbranch_execz .LBB2178_411
; %bb.406:
	s_mov_b32 s10, 0
	s_waitcnt lgkmcnt(0)
	v_mov_b32_e32 v10, 0x60
	v_mov_b32_e32 v11, 0
.LBB2178_407:                           ; =>This Inner Loop Header: Depth=1
	v_add_u32_e32 v12, s10, v10
	s_add_i32 s10, s10, 8
	s_cmp_lg_u32 s10, 32
	buffer_store_dword v11, v12, s[0:3], 0 offen offset:4
	buffer_store_dword v11, v12, s[0:3], 0 offen
	s_cbranch_scc1 .LBB2178_407
; %bb.408:
	s_mov_b32 s10, 0
	v_mov_b32_e32 v10, 0x84
	v_mov_b32_e32 v11, 0x60
.LBB2178_409:                           ; =>This Inner Loop Header: Depth=1
	v_add_u32_e32 v12, s10, v10
	buffer_load_dword v14, v12, s[0:3], 0 offen
	buffer_load_dword v15, v12, s[0:3], 0 offen offset:4
	v_add_u32_e32 v12, s10, v21
	ds_read2_b32 v[12:13], v12 offset1:1
	v_add_u32_e32 v16, s10, v11
	s_add_i32 s10, s10, 8
	s_cmp_lg_u32 s10, 32
	s_waitcnt vmcnt(1) lgkmcnt(0)
	v_add_u32_e32 v12, v12, v14
	s_waitcnt vmcnt(0)
	v_add_u32_e32 v13, v13, v15
	buffer_store_dword v13, v16, s[0:3], 0 offen offset:4
	buffer_store_dword v12, v16, s[0:3], 0 offen
	s_cbranch_scc1 .LBB2178_409
; %bb.410:
	buffer_load_dword v16, off, s[0:3], 0 offset:96
	buffer_load_dword v17, off, s[0:3], 0 offset:100
	;; [unrolled: 1-line block ×8, first 2 shown]
.LBB2178_411:
	s_or_b64 exec, exec, s[8:9]
	buffer_load_ubyte v21, off, s[0:3], 0 offset:164
	s_waitcnt vmcnt(7) lgkmcnt(3)
	buffer_store_dword v17, off, s[0:3], 0 offset:4
	buffer_store_dword v16, off, s[0:3], 0
	s_waitcnt vmcnt(7) lgkmcnt(2)
	buffer_store_dword v15, off, s[0:3], 0 offset:12
	buffer_store_dword v14, off, s[0:3], 0 offset:8
	s_waitcnt vmcnt(7) lgkmcnt(1)
	buffer_store_dword v13, off, s[0:3], 0 offset:20
	buffer_store_dword v12, off, s[0:3], 0 offset:16
	s_waitcnt vmcnt(7) lgkmcnt(0)
	buffer_store_dword v11, off, s[0:3], 0 offset:28
	s_waitcnt vmcnt(7)
	v_or_b32_e32 v11, v20, v21
	v_and_b32_e32 v11, 1, v11
	buffer_store_dword v10, off, s[0:3], 0 offset:24
	buffer_store_byte v11, off, s[0:3], 0 offset:32
.LBB2178_412:
	s_or_b64 exec, exec, s[6:7]
	buffer_load_ubyte v16, off, s[0:3], 0 offset:200
                                        ; implicit-def: $vgpr10_vgpr11
                                        ; implicit-def: $vgpr12_vgpr13
                                        ; implicit-def: $vgpr14_vgpr15
                                        ; implicit-def: $vgpr20
                                        ; implicit-def: $vgpr17
	s_waitcnt vmcnt(0)
	v_cmp_ne_u16_e32 vcc, 0, v16
	s_and_saveexec_b64 s[6:7], vcc
	s_xor_b64 s[6:7], exec, s[6:7]
	s_cbranch_execz .LBB2178_414
; %bb.413:
	buffer_load_dword v17, off, s[0:3], 0 offset:168
	buffer_load_dword v10, off, s[0:3], 0 offset:172
	;; [unrolled: 1-line block ×8, first 2 shown]
.LBB2178_414:
	s_andn2_saveexec_b64 s[6:7], s[6:7]
	s_cbranch_execz .LBB2178_420
; %bb.415:
	s_mov_b32 s8, 0
	s_waitcnt vmcnt(6)
	v_mov_b32_e32 v10, 0x60
	s_waitcnt vmcnt(5)
	v_mov_b32_e32 v11, 0
	s_waitcnt vmcnt(0)
.LBB2178_416:                           ; =>This Inner Loop Header: Depth=1
	v_add_u32_e32 v12, s8, v10
	s_add_i32 s8, s8, 8
	s_cmp_lg_u32 s8, 32
	buffer_store_dword v11, v12, s[0:3], 0 offen offset:4
	buffer_store_dword v11, v12, s[0:3], 0 offen
	s_cbranch_scc1 .LBB2178_416
; %bb.417:
	s_mov_b32 s8, 0
	v_mov_b32_e32 v10, 0
	v_mov_b32_e32 v11, 0xa8
	;; [unrolled: 1-line block ×3, first 2 shown]
.LBB2178_418:                           ; =>This Inner Loop Header: Depth=1
	v_add_u32_e32 v13, s8, v10
	v_add_u32_e32 v14, s8, v11
	buffer_load_dword v15, v13, s[0:3], 0 offen offset:4
	buffer_load_dword v17, v14, s[0:3], 0 offen
	buffer_load_dword v20, v13, s[0:3], 0 offen
	buffer_load_dword v21, v14, s[0:3], 0 offen offset:4
	v_add_u32_e32 v13, s8, v12
	s_add_i32 s8, s8, 8
	s_cmp_lg_u32 s8, 32
	s_waitcnt vmcnt(1)
	v_add_u32_e32 v14, v17, v20
	s_waitcnt vmcnt(0)
	v_add_u32_e32 v15, v21, v15
	buffer_store_dword v15, v13, s[0:3], 0 offen offset:4
	buffer_store_dword v14, v13, s[0:3], 0 offen
	s_cbranch_scc1 .LBB2178_418
; %bb.419:
	buffer_load_dword v17, off, s[0:3], 0 offset:96
	buffer_load_dword v10, off, s[0:3], 0 offset:100
	;; [unrolled: 1-line block ×8, first 2 shown]
.LBB2178_420:
	s_or_b64 exec, exec, s[6:7]
	buffer_load_ubyte v21, off, s[0:3], 0 offset:32
	v_add_u32_e32 v22, -1, v9
	v_and_b32_e32 v23, 64, v9
	v_cmp_lt_i32_e32 vcc, v22, v23
	v_cndmask_b32_e32 v22, v22, v9, vcc
	v_lshlrev_b32_e32 v22, 2, v22
	s_waitcnt vmcnt(8)
	ds_bpermute_b32 v17, v22, v17
	s_waitcnt vmcnt(7)
	ds_bpermute_b32 v10, v22, v10
	;; [unrolled: 2-line block ×8, first 2 shown]
	v_cmp_eq_u32_e32 vcc, 0, v9
	s_waitcnt vmcnt(0)
	v_or_b32_e32 v16, v16, v21
	v_and_b32_e32 v16, 1, v16
	buffer_store_byte v16, off, s[0:3], 0 offset:200
	buffer_load_dword v16, off, s[0:3], 0 offset:200
	s_waitcnt lgkmcnt(7)
	buffer_store_dword v17, off, s[0:3], 0 offset:168
	s_waitcnt lgkmcnt(6)
	buffer_store_dword v10, off, s[0:3], 0 offset:172
	;; [unrolled: 2-line block ×8, first 2 shown]
	s_waitcnt vmcnt(8)
	ds_bpermute_b32 v10, v22, v16
	s_and_saveexec_b64 s[6:7], vcc
	s_cbranch_execz .LBB2178_422
; %bb.421:
	buffer_load_dword v9, off, s[0:3], 0 offset:12
	s_waitcnt lgkmcnt(0)
	buffer_load_dword v10, off, s[0:3], 0 offset:8
	buffer_load_dword v11, off, s[0:3], 0 offset:4
	buffer_load_dword v12, off, s[0:3], 0
	buffer_load_dword v13, off, s[0:3], 0 offset:28
	buffer_load_dword v14, off, s[0:3], 0 offset:24
	;; [unrolled: 1-line block ×4, first 2 shown]
	s_waitcnt vmcnt(7)
	buffer_store_dword v9, off, s[0:3], 0 offset:180
	s_waitcnt vmcnt(7)
	buffer_store_dword v10, off, s[0:3], 0 offset:176
	;; [unrolled: 2-line block ×8, first 2 shown]
	v_mov_b32_e32 v10, v21
.LBB2178_422:
	s_or_b64 exec, exec, s[6:7]
	buffer_load_dword v11, off, s[0:3], 0 offset:332
	buffer_load_dword v12, off, s[0:3], 0 offset:328
	;; [unrolled: 1-line block ×9, first 2 shown]
	v_mov_b32_e32 v9, 0
	v_cmp_eq_u32_e64 s[6:7], 0, v8
	v_cmp_ne_u32_e32 vcc, 0, v8
	buffer_store_dword v5, off, s[0:3], 0 offset:100
	buffer_store_dword v4, off, s[0:3], 0 offset:96
	;; [unrolled: 1-line block ×8, first 2 shown]
	buffer_store_byte v9, off, s[0:3], 0 offset:128
	s_waitcnt vmcnt(17)
	buffer_store_dword v11, off, s[0:3], 0 offset:12
	s_waitcnt vmcnt(17)
	buffer_store_dword v12, off, s[0:3], 0 offset:8
	;; [unrolled: 2-line block ×3, first 2 shown]
	s_waitcnt vmcnt(17)
	buffer_store_dword v14, off, s[0:3], 0
	s_waitcnt vmcnt(17)
	buffer_store_dword v15, off, s[0:3], 0 offset:28
	s_waitcnt vmcnt(17)
	buffer_store_dword v16, off, s[0:3], 0 offset:24
	;; [unrolled: 2-line block ×5, first 2 shown]
	s_and_saveexec_b64 s[8:9], vcc
	s_cbranch_execz .LBB2178_424
; %bb.423:
	buffer_load_dword v0, off, s[0:3], 0 offset:180
	buffer_load_dword v1, off, s[0:3], 0 offset:176
	;; [unrolled: 1-line block ×8, first 2 shown]
	s_waitcnt lgkmcnt(0)
	v_mov_b32_e32 v9, v10
	s_waitcnt vmcnt(7)
	buffer_store_dword v0, off, s[0:3], 0 offset:108
	s_waitcnt vmcnt(7)
	buffer_store_dword v1, off, s[0:3], 0 offset:104
	;; [unrolled: 2-line block ×8, first 2 shown]
.LBB2178_424:
	s_or_b64 exec, exec, s[8:9]
	buffer_load_dword v0, off, s[0:3], 0 offset:108
	buffer_load_dword v1, off, s[0:3], 0 offset:104
	;; [unrolled: 1-line block ×8, first 2 shown]
	s_waitcnt lgkmcnt(0)
	buffer_load_ubyte v10, off, s[0:3], 0 offset:32
	s_nop 0
	buffer_store_byte v9, off, s[0:3], 0 offset:352
	s_waitcnt vmcnt(9)
	buffer_store_dword v0, off, s[0:3], 0 offset:332
	s_waitcnt vmcnt(9)
	buffer_store_dword v1, off, s[0:3], 0 offset:328
	;; [unrolled: 2-line block ×8, first 2 shown]
	s_waitcnt vmcnt(9)
	v_cmp_ne_u16_e32 vcc, 0, v10
                                        ; implicit-def: $vgpr6_vgpr7
                                        ; implicit-def: $vgpr4_vgpr5
                                        ; implicit-def: $vgpr2_vgpr3
                                        ; implicit-def: $vgpr0_vgpr1
	s_and_saveexec_b64 s[8:9], vcc
	s_xor_b64 s[8:9], exec, s[8:9]
	s_cbranch_execz .LBB2178_426
; %bb.425:
	buffer_load_dword v0, off, s[0:3], 0
	buffer_load_dword v1, off, s[0:3], 0 offset:4
	buffer_load_dword v2, off, s[0:3], 0 offset:8
	;; [unrolled: 1-line block ×7, first 2 shown]
.LBB2178_426:
	s_andn2_saveexec_b64 s[8:9], s[8:9]
	s_cbranch_execz .LBB2178_432
; %bb.427:
	s_mov_b32 s10, 0
	s_waitcnt vmcnt(7)
	v_mov_b32_e32 v0, 0x84
	s_waitcnt vmcnt(6)
	v_mov_b32_e32 v1, 0
	s_waitcnt vmcnt(0)
.LBB2178_428:                           ; =>This Inner Loop Header: Depth=1
	v_add_u32_e32 v2, s10, v0
	s_add_i32 s10, s10, 8
	s_cmp_lg_u32 s10, 32
	buffer_store_dword v1, v2, s[0:3], 0 offen offset:4
	buffer_store_dword v1, v2, s[0:3], 0 offen
	s_cbranch_scc1 .LBB2178_428
; %bb.429:
	s_mov_b32 s10, 0
	v_mov_b32_e32 v0, 0x60
	v_mov_b32_e32 v1, 0
	v_mov_b32_e32 v2, 0x84
.LBB2178_430:                           ; =>This Inner Loop Header: Depth=1
	v_add_u32_e32 v3, s10, v0
	v_add_u32_e32 v4, s10, v1
	buffer_load_dword v5, v3, s[0:3], 0 offen offset:4
	buffer_load_dword v6, v4, s[0:3], 0 offen
	buffer_load_dword v7, v3, s[0:3], 0 offen
	buffer_load_dword v11, v4, s[0:3], 0 offen offset:4
	v_add_u32_e32 v3, s10, v2
	s_add_i32 s10, s10, 8
	s_cmp_lg_u32 s10, 32
	s_waitcnt vmcnt(1)
	v_add_u32_e32 v4, v6, v7
	s_waitcnt vmcnt(0)
	v_add_u32_e32 v5, v11, v5
	buffer_store_dword v5, v3, s[0:3], 0 offen offset:4
	buffer_store_dword v4, v3, s[0:3], 0 offen
	s_cbranch_scc1 .LBB2178_430
; %bb.431:
	buffer_load_dword v0, off, s[0:3], 0 offset:132
	buffer_load_dword v1, off, s[0:3], 0 offset:136
	buffer_load_dword v2, off, s[0:3], 0 offset:140
	buffer_load_dword v3, off, s[0:3], 0 offset:144
	buffer_load_dword v4, off, s[0:3], 0 offset:148
	buffer_load_dword v5, off, s[0:3], 0 offset:152
	buffer_load_dword v6, off, s[0:3], 0 offset:156
	buffer_load_dword v7, off, s[0:3], 0 offset:160
.LBB2178_432:
	s_or_b64 exec, exec, s[8:9]
	buffer_load_dword v12, v18, s[0:3], 0 offen offset:12
	buffer_load_dword v13, v18, s[0:3], 0 offen offset:8
	;; [unrolled: 1-line block ×3, first 2 shown]
	buffer_load_dword v15, v18, s[0:3], 0 offen
	buffer_load_dword v16, v18, s[0:3], 0 offen offset:28
	buffer_load_dword v17, v18, s[0:3], 0 offen offset:24
	;; [unrolled: 1-line block ×4, first 2 shown]
	buffer_load_ubyte v11, off, s[0:3], 0 offset:388
	v_or_b32_e32 v9, v10, v9
	s_waitcnt vmcnt(15)
	buffer_store_dword v1, off, s[0:3], 0 offset:100
	buffer_store_dword v0, off, s[0:3], 0 offset:96
	s_waitcnt vmcnt(15)
	buffer_store_dword v3, off, s[0:3], 0 offset:108
	buffer_store_dword v2, off, s[0:3], 0 offset:104
	;; [unrolled: 3-line block ×4, first 2 shown]
	buffer_store_dword v0, v18, s[0:3], 0 offen
	buffer_store_dword v1, v18, s[0:3], 0 offen offset:4
	buffer_store_dword v2, v18, s[0:3], 0 offen offset:8
	;; [unrolled: 1-line block ×7, first 2 shown]
	v_and_b32_e32 v0, 1, v9
	v_cmp_eq_u32_e32 vcc, 1, v0
                                        ; implicit-def: $vgpr2_vgpr3
                                        ; implicit-def: $vgpr6_vgpr7
                                        ; implicit-def: $vgpr4_vgpr5
	buffer_store_byte v0, off, s[0:3], 0 offset:388
	s_waitcnt vmcnt(25)
	buffer_store_dword v12, off, s[0:3], 0 offset:12
	s_waitcnt vmcnt(25)
	buffer_store_dword v13, off, s[0:3], 0 offset:8
	;; [unrolled: 2-line block ×3, first 2 shown]
	s_waitcnt vmcnt(25)
	buffer_store_dword v15, off, s[0:3], 0
	s_waitcnt vmcnt(25)
	buffer_store_dword v16, off, s[0:3], 0 offset:28
	s_waitcnt vmcnt(25)
	buffer_store_dword v17, off, s[0:3], 0 offset:24
	s_waitcnt vmcnt(25)
	buffer_store_dword v20, off, s[0:3], 0 offset:20
	s_waitcnt vmcnt(25)
	buffer_store_dword v21, off, s[0:3], 0 offset:16
	s_waitcnt vmcnt(25)
	v_cmp_ne_u16_e64 s[8:9], 0, v11
                                        ; implicit-def: $vgpr0_vgpr1
	s_and_saveexec_b64 s[10:11], s[8:9]
	s_xor_b64 s[8:9], exec, s[10:11]
	s_cbranch_execz .LBB2178_434
; %bb.433:
	buffer_load_dword v4, off, s[0:3], 0
	buffer_load_dword v5, off, s[0:3], 0 offset:4
	buffer_load_dword v6, off, s[0:3], 0 offset:8
	;; [unrolled: 1-line block ×7, first 2 shown]
.LBB2178_434:
	s_andn2_saveexec_b64 s[8:9], s[8:9]
	s_cbranch_execz .LBB2178_440
; %bb.435:
	s_mov_b32 s10, 0
	s_waitcnt vmcnt(3)
	v_mov_b32_e32 v0, 0x84
	s_waitcnt vmcnt(2)
	v_mov_b32_e32 v1, 0
	s_waitcnt vmcnt(0)
.LBB2178_436:                           ; =>This Inner Loop Header: Depth=1
	v_add_u32_e32 v2, s10, v0
	s_add_i32 s10, s10, 8
	s_cmp_lg_u32 s10, 32
	buffer_store_dword v1, v2, s[0:3], 0 offen offset:4
	buffer_store_dword v1, v2, s[0:3], 0 offen
	s_cbranch_scc1 .LBB2178_436
; %bb.437:
	s_mov_b32 s10, 0
	v_mov_b32_e32 v0, 0x60
	v_mov_b32_e32 v1, 0
	;; [unrolled: 1-line block ×3, first 2 shown]
.LBB2178_438:                           ; =>This Inner Loop Header: Depth=1
	v_add_u32_e32 v3, s10, v0
	v_add_u32_e32 v4, s10, v1
	buffer_load_dword v5, v3, s[0:3], 0 offen offset:4
	buffer_load_dword v6, v4, s[0:3], 0 offen
	buffer_load_dword v7, v3, s[0:3], 0 offen
	buffer_load_dword v9, v4, s[0:3], 0 offen offset:4
	v_add_u32_e32 v3, s10, v2
	s_add_i32 s10, s10, 8
	s_cmp_lg_u32 s10, 32
	s_waitcnt vmcnt(1)
	v_add_u32_e32 v4, v6, v7
	s_waitcnt vmcnt(0)
	v_add_u32_e32 v5, v9, v5
	buffer_store_dword v5, v3, s[0:3], 0 offen offset:4
	buffer_store_dword v4, v3, s[0:3], 0 offen
	s_cbranch_scc1 .LBB2178_438
; %bb.439:
	buffer_load_dword v4, off, s[0:3], 0 offset:132
	buffer_load_dword v5, off, s[0:3], 0 offset:136
	;; [unrolled: 1-line block ×8, first 2 shown]
.LBB2178_440:
	s_or_b64 exec, exec, s[8:9]
	s_waitcnt vmcnt(4)
	buffer_store_dword v7, v19, s[0:3], 0 offen offset:12
	buffer_store_dword v6, v19, s[0:3], 0 offen offset:8
	;; [unrolled: 1-line block ×3, first 2 shown]
	buffer_store_dword v4, v19, s[0:3], 0 offen
	s_waitcnt vmcnt(4)
	buffer_store_dword v3, v19, s[0:3], 0 offen offset:28
	v_mov_b32_e32 v3, 0
	v_and_b32_e32 v9, 1, v11
	ds_read2_b32 v[4:5], v3 offset0:27 offset1:28
	ds_read2_b32 v[6:7], v3 offset0:29 offset1:30
	;; [unrolled: 1-line block ×4, first 2 shown]
	v_cmp_eq_u32_e64 s[8:9], 1, v9
	s_or_b64 s[8:9], s[8:9], vcc
	v_cndmask_b32_e64 v9, 0, 1, s[8:9]
	buffer_store_dword v2, v19, s[0:3], 0 offen offset:24
	buffer_store_dword v1, v19, s[0:3], 0 offen offset:20
	;; [unrolled: 1-line block ×3, first 2 shown]
	buffer_store_byte v9, off, s[0:3], 0 offset:424
	s_waitcnt lgkmcnt(0)
	buffer_store_dword v13, off, s[0:3], 0 offset:268
	buffer_store_dword v12, off, s[0:3], 0 offset:264
	;; [unrolled: 1-line block ×4, first 2 shown]
	ds_read_u8 v9, v3 offset:140
	buffer_store_dword v7, off, s[0:3], 0 offset:252
	buffer_store_dword v6, off, s[0:3], 0 offset:248
	;; [unrolled: 1-line block ×4, first 2 shown]
	s_waitcnt lgkmcnt(0)
	v_cmp_ne_u16_e32 vcc, 0, v9
	s_cbranch_vccz .LBB2178_444
; %bb.441:
	buffer_load_dword v4, off, s[0:3], 0 offset:240
	buffer_load_dword v5, off, s[0:3], 0 offset:244
	;; [unrolled: 1-line block ×8, first 2 shown]
	s_cbranch_execz .LBB2178_445
	s_branch .LBB2178_450
.LBB2178_442:
	v_lshlrev_b64 v[12:13], 5, v[8:9]
	v_mov_b32_e32 v9, s33
	v_add_co_u32_e64 v12, s[8:9], s11, v12
	v_addc_co_u32_e64 v13, s[8:9], v9, v13, s[8:9]
	flat_load_dwordx4 v[20:23], v[12:13]
	flat_load_dwordx4 v[24:27], v[12:13] offset:16
	s_waitcnt vmcnt(0) lgkmcnt(0)
	buffer_store_dword v21, off, s[0:3], 0 offset:4
	buffer_store_dword v20, off, s[0:3], 0
	buffer_store_dword v23, off, s[0:3], 0 offset:12
	buffer_store_dword v22, off, s[0:3], 0 offset:8
	;; [unrolled: 1-line block ×6, first 2 shown]
	s_or_b64 exec, exec, s[12:13]
	s_and_saveexec_b64 s[8:9], s[6:7]
	s_cbranch_execz .LBB2178_25
.LBB2178_443:
	v_lshlrev_b32_e32 v6, 5, v6
	v_mov_b32_e32 v9, s33
	v_add_co_u32_e64 v12, s[6:7], s11, v6
	v_addc_co_u32_e64 v13, s[6:7], 0, v9, s[6:7]
	flat_load_dwordx4 v[20:23], v[12:13]
	flat_load_dwordx4 v[24:27], v[12:13] offset:16
	s_waitcnt vmcnt(0) lgkmcnt(0)
	buffer_store_dword v21, off, s[0:3], 0 offset:36
	buffer_store_dword v20, off, s[0:3], 0 offset:32
	;; [unrolled: 1-line block ×8, first 2 shown]
	s_or_b64 exec, exec, s[8:9]
	v_mul_u32_u24_e32 v6, 3, v8
	s_and_saveexec_b64 s[6:7], vcc
	s_cbranch_execnz .LBB2178_26
	s_branch .LBB2178_27
.LBB2178_444:
                                        ; implicit-def: $vgpr2_vgpr3
                                        ; implicit-def: $vgpr6_vgpr7
.LBB2178_445:
	s_mov_b32 s8, 0
	s_waitcnt vmcnt(3)
	v_mov_b32_e32 v0, 0
	s_waitcnt vmcnt(2)
	v_mov_b32_e32 v1, 0
	s_waitcnt vmcnt(0)
.LBB2178_446:                           ; =>This Inner Loop Header: Depth=1
	v_add_u32_e32 v2, s8, v0
	s_add_i32 s8, s8, 8
	s_cmp_lg_u32 s8, 32
	buffer_store_dword v1, v2, s[0:3], 0 offen offset:4
	buffer_store_dword v1, v2, s[0:3], 0 offen
	s_cbranch_scc1 .LBB2178_446
; %bb.447:
	s_mov_b32 s8, 0
	v_mov_b32_e32 v0, 0xcc
	v_mov_b32_e32 v1, 0xf0
	;; [unrolled: 1-line block ×3, first 2 shown]
.LBB2178_448:                           ; =>This Inner Loop Header: Depth=1
	v_add_u32_e32 v3, s8, v0
	v_add_u32_e32 v4, s8, v1
	buffer_load_dword v5, v3, s[0:3], 0 offen offset:4
	buffer_load_dword v6, v4, s[0:3], 0 offen
	buffer_load_dword v7, v3, s[0:3], 0 offen
	buffer_load_dword v10, v4, s[0:3], 0 offen offset:4
	v_add_u32_e32 v3, s8, v2
	s_add_i32 s8, s8, 8
	s_cmp_lg_u32 s8, 32
	s_waitcnt vmcnt(1)
	v_add_u32_e32 v4, v6, v7
	s_waitcnt vmcnt(0)
	v_add_u32_e32 v5, v10, v5
	buffer_store_dword v5, v3, s[0:3], 0 offen offset:4
	buffer_store_dword v4, v3, s[0:3], 0 offen
	s_cbranch_scc1 .LBB2178_448
; %bb.449:
	buffer_load_dword v4, off, s[0:3], 0
	buffer_load_dword v5, off, s[0:3], 0 offset:4
	buffer_load_dword v6, off, s[0:3], 0 offset:8
	;; [unrolled: 1-line block ×7, first 2 shown]
.LBB2178_450:
	buffer_load_ubyte v10, off, s[0:3], 0 offset:236
	s_waitcnt vmcnt(7)
	buffer_store_dword v5, off, s[0:3], 0 offset:244
	buffer_store_dword v4, off, s[0:3], 0 offset:240
	s_waitcnt vmcnt(7)
	buffer_store_dword v7, off, s[0:3], 0 offset:252
	buffer_store_dword v6, off, s[0:3], 0 offset:248
	;; [unrolled: 3-line block ×3, first 2 shown]
	s_waitcnt vmcnt(7)
	buffer_store_dword v3, off, s[0:3], 0 offset:268
	s_waitcnt vmcnt(7)
	v_or_b32_e32 v9, v9, v10
	v_and_b32_e32 v9, 1, v9
	buffer_store_dword v2, off, s[0:3], 0 offset:264
	buffer_store_byte v9, off, s[0:3], 0 offset:272
	s_and_saveexec_b64 s[8:9], s[6:7]
	s_cbranch_execz .LBB2178_452
; %bb.451:
	v_mov_b32_e32 v10, 0
	global_store_dwordx4 v10, v[4:7], s[18:19] offset:2304
	global_store_dwordx4 v10, v[0:3], s[18:19] offset:2320
	global_store_byte v10, v9, s[18:19] offset:2336
	v_mov_b32_e32 v0, 2
	s_waitcnt vmcnt(0)
	buffer_wbinvl1_vol
	global_store_byte v10, v0, s[20:21] offset:64
.LBB2178_452:
	s_or_b64 exec, exec, s[8:9]
.LBB2178_453:
	s_mov_b32 s6, 0
	v_mov_b32_e32 v0, 0
	v_mov_b32_e32 v1, 0
.LBB2178_454:                           ; =>This Inner Loop Header: Depth=1
	v_add_u32_e32 v2, s6, v0
	s_add_i32 s6, s6, 8
	s_cmp_lg_u32 s6, 32
	buffer_store_dword v1, v2, s[0:3], 0 offen offset:4
	buffer_store_dword v1, v2, s[0:3], 0 offen
	s_cbranch_scc1 .LBB2178_454
; %bb.455:
	s_mov_b32 s6, 32
	v_mov_b32_e32 v0, 0
	v_mov_b32_e32 v1, 0
.LBB2178_456:                           ; =>This Inner Loop Header: Depth=1
	v_add_u32_e32 v2, s6, v0
	s_add_i32 s6, s6, 8
	s_cmp_lg_u32 s6, 64
	buffer_store_dword v1, v2, s[0:3], 0 offen offset:4
	buffer_store_dword v1, v2, s[0:3], 0 offen
	s_cbranch_scc1 .LBB2178_456
; %bb.457:
	s_mov_b32 s6, 64
	v_mov_b32_e32 v0, 0
	v_mov_b32_e32 v1, 0
.LBB2178_458:                           ; =>This Inner Loop Header: Depth=1
	v_add_u32_e32 v2, s6, v0
	s_add_i32 s6, s6, 8
	s_cmpk_lg_i32 s6, 0x60
	buffer_store_dword v1, v2, s[0:3], 0 offen offset:4
	buffer_store_dword v1, v2, s[0:3], 0 offen
	s_cbranch_scc1 .LBB2178_458
; %bb.459:
	s_add_u32 s6, s30, s24
	s_addc_u32 s7, s31, s25
	v_mov_b32_e32 v0, 0
	s_add_u32 s8, s6, s26
	v_add_u32_e32 v2, 64, v0
	v_add_u32_e32 v3, 32, v0
	s_addc_u32 s9, s7, s27
	s_and_b64 vcc, exec, s[4:5]
	s_cbranch_vccz .LBB2178_469
; %bb.460:
	s_add_i32 s23, s23, s22
	v_mul_u32_u24_e32 v0, 3, v8
	v_cmp_gt_u32_e32 vcc, s23, v0
	s_and_saveexec_b64 s[4:5], vcc
	s_cbranch_execz .LBB2178_464
; %bb.461:
	buffer_load_dword v1, off, s[0:3], 0 offset:332
	buffer_load_dword v4, off, s[0:3], 0 offset:328
	;; [unrolled: 1-line block ×8, first 2 shown]
	v_add_u32_e32 v12, 1, v0
	v_cmp_gt_u32_e32 vcc, s23, v12
	s_waitcnt vmcnt(7)
	buffer_store_dword v1, off, s[0:3], 0 offset:12
	s_waitcnt vmcnt(7)
	buffer_store_dword v4, off, s[0:3], 0 offset:8
	;; [unrolled: 2-line block ×3, first 2 shown]
	s_waitcnt vmcnt(7)
	buffer_store_dword v6, off, s[0:3], 0
	s_waitcnt vmcnt(7)
	buffer_store_dword v7, off, s[0:3], 0 offset:28
	s_waitcnt vmcnt(7)
	buffer_store_dword v9, off, s[0:3], 0 offset:24
	;; [unrolled: 2-line block ×4, first 2 shown]
	s_and_b64 exec, exec, vcc
	s_cbranch_execz .LBB2178_464
; %bb.462:
	buffer_load_dword v1, v18, s[0:3], 0 offen offset:12
	buffer_load_dword v4, v18, s[0:3], 0 offen offset:8
	;; [unrolled: 1-line block ×3, first 2 shown]
	buffer_load_dword v6, v18, s[0:3], 0 offen
	buffer_load_dword v7, v18, s[0:3], 0 offen offset:28
	buffer_load_dword v9, v18, s[0:3], 0 offen offset:24
	;; [unrolled: 1-line block ×4, first 2 shown]
	v_add_u32_e32 v12, 2, v0
	v_cmp_gt_u32_e32 vcc, s23, v12
	s_waitcnt vmcnt(7)
	buffer_store_dword v1, v3, s[0:3], 0 offen offset:12
	s_waitcnt vmcnt(7)
	buffer_store_dword v4, v3, s[0:3], 0 offen offset:8
	;; [unrolled: 2-line block ×3, first 2 shown]
	s_waitcnt vmcnt(7)
	buffer_store_dword v6, v3, s[0:3], 0 offen
	s_waitcnt vmcnt(7)
	buffer_store_dword v7, v3, s[0:3], 0 offen offset:28
	s_waitcnt vmcnt(7)
	buffer_store_dword v9, v3, s[0:3], 0 offen offset:24
	s_waitcnt vmcnt(7)
	buffer_store_dword v10, v3, s[0:3], 0 offen offset:20
	s_waitcnt vmcnt(7)
	buffer_store_dword v11, v3, s[0:3], 0 offen offset:16
	s_and_b64 exec, exec, vcc
	s_cbranch_execz .LBB2178_464
; %bb.463:
	buffer_load_dword v1, v19, s[0:3], 0 offen offset:12
	buffer_load_dword v4, v19, s[0:3], 0 offen offset:8
	;; [unrolled: 1-line block ×3, first 2 shown]
	buffer_load_dword v6, v19, s[0:3], 0 offen
	buffer_load_dword v7, v19, s[0:3], 0 offen offset:28
	buffer_load_dword v9, v19, s[0:3], 0 offen offset:24
	buffer_load_dword v10, v19, s[0:3], 0 offen offset:20
	buffer_load_dword v11, v19, s[0:3], 0 offen offset:16
	s_waitcnt vmcnt(7)
	buffer_store_dword v1, v2, s[0:3], 0 offen offset:12
	s_waitcnt vmcnt(7)
	buffer_store_dword v4, v2, s[0:3], 0 offen offset:8
	;; [unrolled: 2-line block ×3, first 2 shown]
	s_waitcnt vmcnt(7)
	buffer_store_dword v6, v2, s[0:3], 0 offen
	s_waitcnt vmcnt(7)
	buffer_store_dword v7, v2, s[0:3], 0 offen offset:28
	s_waitcnt vmcnt(7)
	buffer_store_dword v9, v2, s[0:3], 0 offen offset:24
	;; [unrolled: 2-line block ×4, first 2 shown]
.LBB2178_464:
	s_or_b64 exec, exec, s[4:5]
	s_barrier
	buffer_load_dword v10, off, s[0:3], 0
	buffer_load_dword v11, off, s[0:3], 0 offset:4
	buffer_load_dword v12, off, s[0:3], 0 offset:8
	;; [unrolled: 1-line block ×7, first 2 shown]
	buffer_load_dword v20, v3, s[0:3], 0 offen
	buffer_load_dword v21, v3, s[0:3], 0 offen offset:4
	buffer_load_dword v22, v3, s[0:3], 0 offen offset:8
	;; [unrolled: 1-line block ×7, first 2 shown]
	buffer_load_dword v28, v2, s[0:3], 0 offen
	buffer_load_dword v29, v2, s[0:3], 0 offen offset:4
	buffer_load_dword v30, v2, s[0:3], 0 offen offset:8
	;; [unrolled: 1-line block ×7, first 2 shown]
	v_lshlrev_b32_e32 v0, 5, v0
	v_lshlrev_b32_e32 v1, 6, v8
	v_sub_u32_e32 v4, v0, v1
	v_lshlrev_b32_e32 v5, 5, v8
	v_mov_b32_e32 v6, s9
	v_mov_b32_e32 v9, 0
	s_waitcnt vmcnt(20)
	ds_write_b128 v0, v[10:13]
	s_waitcnt vmcnt(16)
	ds_write_b128 v0, v[14:17] offset:16
	s_waitcnt vmcnt(12)
	ds_write_b128 v0, v[20:23] offset:32
	;; [unrolled: 2-line block ×5, first 2 shown]
	s_waitcnt lgkmcnt(0)
	s_barrier
	ds_read_b128 v[10:13], v4 offset:8192
	ds_read_b128 v[14:17], v4 offset:8208
	;; [unrolled: 1-line block ×4, first 2 shown]
	v_add_co_u32_e32 v0, vcc, s8, v5
	v_addc_co_u32_e32 v1, vcc, 0, v6, vcc
	v_cmp_gt_u32_e32 vcc, s23, v8
	s_waitcnt lgkmcnt(3)
	buffer_store_dword v13, v3, s[0:3], 0 offen offset:12
	buffer_store_dword v12, v3, s[0:3], 0 offen offset:8
	;; [unrolled: 1-line block ×3, first 2 shown]
	buffer_store_dword v10, v3, s[0:3], 0 offen
	s_waitcnt lgkmcnt(2)
	buffer_store_dword v17, v3, s[0:3], 0 offen offset:28
	buffer_store_dword v16, v3, s[0:3], 0 offen offset:24
	buffer_store_dword v15, v3, s[0:3], 0 offen offset:20
	buffer_store_dword v14, v3, s[0:3], 0 offen offset:16
	s_waitcnt lgkmcnt(1)
	buffer_store_dword v23, v2, s[0:3], 0 offen offset:12
	buffer_store_dword v22, v2, s[0:3], 0 offen offset:8
	;; [unrolled: 1-line block ×3, first 2 shown]
	buffer_store_dword v20, v2, s[0:3], 0 offen
	s_waitcnt lgkmcnt(0)
	buffer_store_dword v27, v2, s[0:3], 0 offen offset:28
	buffer_store_dword v26, v2, s[0:3], 0 offen offset:24
	;; [unrolled: 1-line block ×4, first 2 shown]
	s_and_saveexec_b64 s[4:5], vcc
	s_cbranch_execz .LBB2178_466
; %bb.465:
	ds_read2_b32 v[10:11], v4 offset0:4 offset1:5
	ds_read2_b32 v[12:13], v4 offset0:6 offset1:7
	;; [unrolled: 1-line block ×3, first 2 shown]
	ds_read2_b32 v[4:5], v4 offset1:1
	s_waitcnt lgkmcnt(0)
	flat_store_dwordx4 v[0:1], v[4:7]
	flat_store_dwordx4 v[0:1], v[10:13] offset:16
.LBB2178_466:
	s_or_b64 exec, exec, s[4:5]
	v_or_b32_e32 v4, 0x100, v8
	v_cmp_gt_u32_e32 vcc, s23, v4
	s_and_saveexec_b64 s[6:7], vcc
	s_cbranch_execz .LBB2178_468
; %bb.467:
	buffer_load_dword v4, v3, s[0:3], 0 offen offset:16
	buffer_load_dword v5, v3, s[0:3], 0 offen offset:20
	;; [unrolled: 1-line block ×4, first 2 shown]
	buffer_load_dword v10, v3, s[0:3], 0 offen
	buffer_load_dword v11, v3, s[0:3], 0 offen offset:4
	buffer_load_dword v12, v3, s[0:3], 0 offen offset:8
	;; [unrolled: 1-line block ×3, first 2 shown]
	v_add_co_u32_e32 v14, vcc, 0x2000, v0
	s_mov_b64 s[4:5], vcc
	v_addc_co_u32_e64 v15, s[4:5], 0, v1, s[4:5]
	s_waitcnt vmcnt(0)
	flat_store_dwordx4 v[14:15], v[4:7] offset:16
	v_addc_co_u32_e32 v15, vcc, 0, v1, vcc
	flat_store_dwordx4 v[14:15], v[10:13]
.LBB2178_468:
	s_or_b64 exec, exec, s[6:7]
	v_or_b32_e32 v0, 0x200, v8
	v_cmp_gt_u32_e64 s[6:7], s23, v0
	s_branch .LBB2178_471
.LBB2178_469:
	s_mov_b64 s[6:7], 0
	s_cbranch_execz .LBB2178_471
; %bb.470:
	buffer_load_dword v0, off, s[0:3], 0 offset:332
	buffer_load_dword v1, off, s[0:3], 0 offset:328
	;; [unrolled: 1-line block ×8, first 2 shown]
	buffer_load_dword v11, v18, s[0:3], 0 offen offset:12
	buffer_load_dword v12, v18, s[0:3], 0 offen offset:8
	;; [unrolled: 1-line block ×3, first 2 shown]
	buffer_load_dword v14, v18, s[0:3], 0 offen
	buffer_load_dword v15, v18, s[0:3], 0 offen offset:28
	buffer_load_dword v16, v18, s[0:3], 0 offen offset:24
	;; [unrolled: 1-line block ×7, first 2 shown]
	buffer_load_dword v24, v19, s[0:3], 0 offen
	buffer_load_dword v25, v19, s[0:3], 0 offen offset:28
	buffer_load_dword v26, v19, s[0:3], 0 offen offset:24
	;; [unrolled: 1-line block ×3, first 2 shown]
                                        ; kill: killed $vgpr18
	buffer_load_dword v18, v19, s[0:3], 0 offen offset:16
	v_mul_u32_u24_e32 v34, 0x60, v8
	v_mov_b32_e32 v30, s9
	s_or_b64 s[6:7], s[6:7], exec
	s_waitcnt vmcnt(0)
	buffer_store_dword v0, off, s[0:3], 0 offset:12
	buffer_store_dword v1, off, s[0:3], 0 offset:8
	buffer_store_dword v4, off, s[0:3], 0 offset:4
	buffer_store_dword v5, off, s[0:3], 0
	buffer_store_dword v6, off, s[0:3], 0 offset:28
	buffer_store_dword v7, off, s[0:3], 0 offset:24
	buffer_store_dword v9, off, s[0:3], 0 offset:20
	buffer_store_dword v10, off, s[0:3], 0 offset:16
	buffer_store_dword v11, v3, s[0:3], 0 offen offset:12
	buffer_store_dword v12, v3, s[0:3], 0 offen offset:8
	;; [unrolled: 1-line block ×3, first 2 shown]
	buffer_store_dword v14, v3, s[0:3], 0 offen
	buffer_store_dword v15, v3, s[0:3], 0 offen offset:28
	buffer_store_dword v16, v3, s[0:3], 0 offen offset:24
	;; [unrolled: 1-line block ×7, first 2 shown]
	buffer_store_dword v24, v2, s[0:3], 0 offen
	buffer_store_dword v25, v2, s[0:3], 0 offen offset:28
	buffer_store_dword v26, v2, s[0:3], 0 offen offset:24
	;; [unrolled: 1-line block ×4, first 2 shown]
	s_waitcnt lgkmcnt(0)
	s_barrier
	buffer_load_dword v4, off, s[0:3], 0
	buffer_load_dword v5, off, s[0:3], 0 offset:4
	buffer_load_dword v6, off, s[0:3], 0 offset:8
	;; [unrolled: 1-line block ×7, first 2 shown]
	buffer_load_dword v14, v3, s[0:3], 0 offen
	buffer_load_dword v15, v3, s[0:3], 0 offen offset:4
	buffer_load_dword v16, v3, s[0:3], 0 offen offset:8
	;; [unrolled: 1-line block ×7, first 2 shown]
	buffer_load_dword v22, v2, s[0:3], 0 offen
	buffer_load_dword v23, v2, s[0:3], 0 offen offset:4
	buffer_load_dword v24, v2, s[0:3], 0 offen offset:8
	;; [unrolled: 1-line block ×7, first 2 shown]
	v_lshlrev_b32_e32 v0, 6, v8
	v_sub_u32_e32 v35, v34, v0
	v_lshlrev_b32_e32 v1, 5, v8
	v_add_co_u32_e32 v0, vcc, s8, v1
	v_addc_co_u32_e32 v1, vcc, 0, v30, vcc
	v_mov_b32_e32 v9, 0
	v_add_co_u32_e32 v30, vcc, 0x2000, v0
	v_addc_co_u32_e64 v31, s[4:5], 0, v1, vcc
	v_addc_co_u32_e32 v33, vcc, 0, v1, vcc
	v_mov_b32_e32 v32, v30
	s_waitcnt vmcnt(20)
	ds_write_b128 v34, v[4:7]
	s_waitcnt vmcnt(16)
	ds_write_b128 v34, v[10:13] offset:16
	s_waitcnt vmcnt(12)
	ds_write_b128 v34, v[14:17] offset:32
	;; [unrolled: 2-line block ×5, first 2 shown]
	s_waitcnt lgkmcnt(0)
	s_barrier
	ds_read_b128 v[4:7], v35 offset:8192
	ds_read_b128 v[10:13], v35 offset:8208
	;; [unrolled: 1-line block ×4, first 2 shown]
	ds_read2_b32 v[22:23], v35 offset1:1
	ds_read2_b32 v[28:29], v35 offset0:6 offset1:7
	ds_read2_b32 v[26:27], v35 offset0:4 offset1:5
	;; [unrolled: 1-line block ×3, first 2 shown]
	s_waitcnt lgkmcnt(7)
	buffer_store_dword v7, v3, s[0:3], 0 offen offset:12
	buffer_store_dword v6, v3, s[0:3], 0 offen offset:8
	buffer_store_dword v5, v3, s[0:3], 0 offen offset:4
	buffer_store_dword v4, v3, s[0:3], 0 offen
	s_waitcnt lgkmcnt(6)
	buffer_store_dword v13, v3, s[0:3], 0 offen offset:28
	buffer_store_dword v12, v3, s[0:3], 0 offen offset:24
	buffer_store_dword v11, v3, s[0:3], 0 offen offset:20
	buffer_store_dword v10, v3, s[0:3], 0 offen offset:16
	s_waitcnt lgkmcnt(5)
	buffer_store_dword v17, v2, s[0:3], 0 offen offset:12
	buffer_store_dword v16, v2, s[0:3], 0 offen offset:8
	;; [unrolled: 1-line block ×3, first 2 shown]
	buffer_store_dword v14, v2, s[0:3], 0 offen
	s_waitcnt lgkmcnt(4)
	buffer_store_dword v21, v2, s[0:3], 0 offen offset:28
	buffer_store_dword v20, v2, s[0:3], 0 offen offset:24
	;; [unrolled: 1-line block ×4, first 2 shown]
	s_waitcnt lgkmcnt(1)
	flat_store_dwordx4 v[0:1], v[26:29] offset:16
	s_waitcnt lgkmcnt(0)
	flat_store_dwordx4 v[0:1], v[22:25]
	flat_store_dwordx4 v[32:33], v[4:7]
	flat_store_dwordx4 v[30:31], v[10:13] offset:16
.LBB2178_471:
	s_and_saveexec_b64 s[4:5], s[6:7]
	s_cbranch_execnz .LBB2178_473
; %bb.472:
	s_endpgm
.LBB2178_473:
	buffer_load_dword v4, v2, s[0:3], 0 offen offset:16
	buffer_load_dword v5, v2, s[0:3], 0 offen offset:20
	;; [unrolled: 1-line block ×4, first 2 shown]
	buffer_load_dword v10, v2, s[0:3], 0 offen
	buffer_load_dword v11, v2, s[0:3], 0 offen offset:4
	buffer_load_dword v12, v2, s[0:3], 0 offen offset:8
	;; [unrolled: 1-line block ×3, first 2 shown]
	v_lshlrev_b64 v[0:1], 5, v[8:9]
	v_mov_b32_e32 v2, s9
	v_add_co_u32_e32 v0, vcc, s8, v0
	v_addc_co_u32_e32 v2, vcc, v2, v1, vcc
	v_add_co_u32_e32 v0, vcc, 0x4000, v0
	v_addc_co_u32_e64 v1, s[4:5], 0, v2, vcc
	s_waitcnt vmcnt(0)
	flat_store_dwordx4 v[0:1], v[4:7] offset:16
	v_addc_co_u32_e32 v1, vcc, 0, v2, vcc
	flat_store_dwordx4 v[0:1], v[10:13]
	s_endpgm
	.section	.rodata,"a",@progbits
	.p2align	6, 0x0
	.amdhsa_kernel _ZN7rocprim17ROCPRIM_400000_NS6detail17trampoline_kernelINS0_14default_configENS1_27scan_by_key_config_selectorIj11FixedVectorIiLj8EEEEZZNS1_16scan_by_key_implILNS1_25lookback_scan_determinismE0ELb1ES3_N6thrust23THRUST_200600_302600_NS6detail15normal_iteratorINSB_10device_ptrIjEEEENSD_INSE_IS6_EEEESI_S6_NSB_4plusIvEENSB_8equal_toIvEES6_EE10hipError_tPvRmT2_T3_T4_T5_mT6_T7_P12ihipStream_tbENKUlT_T0_E_clISt17integral_constantIbLb1EES12_IbLb0EEEEDaSY_SZ_EUlSY_E_NS1_11comp_targetILNS1_3genE4ELNS1_11target_archE910ELNS1_3gpuE8ELNS1_3repE0EEENS1_30default_config_static_selectorELNS0_4arch9wavefront6targetE1EEEvT1_
		.amdhsa_group_segment_fixed_size 32768
		.amdhsa_private_segment_fixed_size 432
		.amdhsa_kernarg_size 160
		.amdhsa_user_sgpr_count 10
		.amdhsa_user_sgpr_private_segment_buffer 1
		.amdhsa_user_sgpr_dispatch_ptr 1
		.amdhsa_user_sgpr_queue_ptr 0
		.amdhsa_user_sgpr_kernarg_segment_ptr 1
		.amdhsa_user_sgpr_dispatch_id 0
		.amdhsa_user_sgpr_flat_scratch_init 1
		.amdhsa_user_sgpr_kernarg_preload_length 0
		.amdhsa_user_sgpr_kernarg_preload_offset 0
		.amdhsa_user_sgpr_private_segment_size 0
		.amdhsa_uses_dynamic_stack 0
		.amdhsa_system_sgpr_private_segment_wavefront_offset 1
		.amdhsa_system_sgpr_workgroup_id_x 1
		.amdhsa_system_sgpr_workgroup_id_y 0
		.amdhsa_system_sgpr_workgroup_id_z 0
		.amdhsa_system_sgpr_workgroup_info 0
		.amdhsa_system_vgpr_workitem_id 2
		.amdhsa_next_free_vgpr 45
		.amdhsa_next_free_sgpr 53
		.amdhsa_accum_offset 48
		.amdhsa_reserve_vcc 1
		.amdhsa_reserve_flat_scratch 1
		.amdhsa_float_round_mode_32 0
		.amdhsa_float_round_mode_16_64 0
		.amdhsa_float_denorm_mode_32 3
		.amdhsa_float_denorm_mode_16_64 3
		.amdhsa_dx10_clamp 1
		.amdhsa_ieee_mode 1
		.amdhsa_fp16_overflow 0
		.amdhsa_tg_split 0
		.amdhsa_exception_fp_ieee_invalid_op 0
		.amdhsa_exception_fp_denorm_src 0
		.amdhsa_exception_fp_ieee_div_zero 0
		.amdhsa_exception_fp_ieee_overflow 0
		.amdhsa_exception_fp_ieee_underflow 0
		.amdhsa_exception_fp_ieee_inexact 0
		.amdhsa_exception_int_div_zero 0
	.end_amdhsa_kernel
	.section	.text._ZN7rocprim17ROCPRIM_400000_NS6detail17trampoline_kernelINS0_14default_configENS1_27scan_by_key_config_selectorIj11FixedVectorIiLj8EEEEZZNS1_16scan_by_key_implILNS1_25lookback_scan_determinismE0ELb1ES3_N6thrust23THRUST_200600_302600_NS6detail15normal_iteratorINSB_10device_ptrIjEEEENSD_INSE_IS6_EEEESI_S6_NSB_4plusIvEENSB_8equal_toIvEES6_EE10hipError_tPvRmT2_T3_T4_T5_mT6_T7_P12ihipStream_tbENKUlT_T0_E_clISt17integral_constantIbLb1EES12_IbLb0EEEEDaSY_SZ_EUlSY_E_NS1_11comp_targetILNS1_3genE4ELNS1_11target_archE910ELNS1_3gpuE8ELNS1_3repE0EEENS1_30default_config_static_selectorELNS0_4arch9wavefront6targetE1EEEvT1_,"axG",@progbits,_ZN7rocprim17ROCPRIM_400000_NS6detail17trampoline_kernelINS0_14default_configENS1_27scan_by_key_config_selectorIj11FixedVectorIiLj8EEEEZZNS1_16scan_by_key_implILNS1_25lookback_scan_determinismE0ELb1ES3_N6thrust23THRUST_200600_302600_NS6detail15normal_iteratorINSB_10device_ptrIjEEEENSD_INSE_IS6_EEEESI_S6_NSB_4plusIvEENSB_8equal_toIvEES6_EE10hipError_tPvRmT2_T3_T4_T5_mT6_T7_P12ihipStream_tbENKUlT_T0_E_clISt17integral_constantIbLb1EES12_IbLb0EEEEDaSY_SZ_EUlSY_E_NS1_11comp_targetILNS1_3genE4ELNS1_11target_archE910ELNS1_3gpuE8ELNS1_3repE0EEENS1_30default_config_static_selectorELNS0_4arch9wavefront6targetE1EEEvT1_,comdat
.Lfunc_end2178:
	.size	_ZN7rocprim17ROCPRIM_400000_NS6detail17trampoline_kernelINS0_14default_configENS1_27scan_by_key_config_selectorIj11FixedVectorIiLj8EEEEZZNS1_16scan_by_key_implILNS1_25lookback_scan_determinismE0ELb1ES3_N6thrust23THRUST_200600_302600_NS6detail15normal_iteratorINSB_10device_ptrIjEEEENSD_INSE_IS6_EEEESI_S6_NSB_4plusIvEENSB_8equal_toIvEES6_EE10hipError_tPvRmT2_T3_T4_T5_mT6_T7_P12ihipStream_tbENKUlT_T0_E_clISt17integral_constantIbLb1EES12_IbLb0EEEEDaSY_SZ_EUlSY_E_NS1_11comp_targetILNS1_3genE4ELNS1_11target_archE910ELNS1_3gpuE8ELNS1_3repE0EEENS1_30default_config_static_selectorELNS0_4arch9wavefront6targetE1EEEvT1_, .Lfunc_end2178-_ZN7rocprim17ROCPRIM_400000_NS6detail17trampoline_kernelINS0_14default_configENS1_27scan_by_key_config_selectorIj11FixedVectorIiLj8EEEEZZNS1_16scan_by_key_implILNS1_25lookback_scan_determinismE0ELb1ES3_N6thrust23THRUST_200600_302600_NS6detail15normal_iteratorINSB_10device_ptrIjEEEENSD_INSE_IS6_EEEESI_S6_NSB_4plusIvEENSB_8equal_toIvEES6_EE10hipError_tPvRmT2_T3_T4_T5_mT6_T7_P12ihipStream_tbENKUlT_T0_E_clISt17integral_constantIbLb1EES12_IbLb0EEEEDaSY_SZ_EUlSY_E_NS1_11comp_targetILNS1_3genE4ELNS1_11target_archE910ELNS1_3gpuE8ELNS1_3repE0EEENS1_30default_config_static_selectorELNS0_4arch9wavefront6targetE1EEEvT1_
                                        ; -- End function
	.section	.AMDGPU.csdata,"",@progbits
; Kernel info:
; codeLenInByte = 34640
; NumSgprs: 59
; NumVgprs: 45
; NumAgprs: 0
; TotalNumVgprs: 45
; ScratchSize: 432
; MemoryBound: 1
; FloatMode: 240
; IeeeMode: 1
; LDSByteSize: 32768 bytes/workgroup (compile time only)
; SGPRBlocks: 7
; VGPRBlocks: 5
; NumSGPRsForWavesPerEU: 59
; NumVGPRsForWavesPerEU: 45
; AccumOffset: 48
; Occupancy: 2
; WaveLimiterHint : 1
; COMPUTE_PGM_RSRC2:SCRATCH_EN: 1
; COMPUTE_PGM_RSRC2:USER_SGPR: 10
; COMPUTE_PGM_RSRC2:TRAP_HANDLER: 0
; COMPUTE_PGM_RSRC2:TGID_X_EN: 1
; COMPUTE_PGM_RSRC2:TGID_Y_EN: 0
; COMPUTE_PGM_RSRC2:TGID_Z_EN: 0
; COMPUTE_PGM_RSRC2:TIDIG_COMP_CNT: 2
; COMPUTE_PGM_RSRC3_GFX90A:ACCUM_OFFSET: 11
; COMPUTE_PGM_RSRC3_GFX90A:TG_SPLIT: 0
	.section	.text._ZN7rocprim17ROCPRIM_400000_NS6detail17trampoline_kernelINS0_14default_configENS1_27scan_by_key_config_selectorIj11FixedVectorIiLj8EEEEZZNS1_16scan_by_key_implILNS1_25lookback_scan_determinismE0ELb1ES3_N6thrust23THRUST_200600_302600_NS6detail15normal_iteratorINSB_10device_ptrIjEEEENSD_INSE_IS6_EEEESI_S6_NSB_4plusIvEENSB_8equal_toIvEES6_EE10hipError_tPvRmT2_T3_T4_T5_mT6_T7_P12ihipStream_tbENKUlT_T0_E_clISt17integral_constantIbLb1EES12_IbLb0EEEEDaSY_SZ_EUlSY_E_NS1_11comp_targetILNS1_3genE3ELNS1_11target_archE908ELNS1_3gpuE7ELNS1_3repE0EEENS1_30default_config_static_selectorELNS0_4arch9wavefront6targetE1EEEvT1_,"axG",@progbits,_ZN7rocprim17ROCPRIM_400000_NS6detail17trampoline_kernelINS0_14default_configENS1_27scan_by_key_config_selectorIj11FixedVectorIiLj8EEEEZZNS1_16scan_by_key_implILNS1_25lookback_scan_determinismE0ELb1ES3_N6thrust23THRUST_200600_302600_NS6detail15normal_iteratorINSB_10device_ptrIjEEEENSD_INSE_IS6_EEEESI_S6_NSB_4plusIvEENSB_8equal_toIvEES6_EE10hipError_tPvRmT2_T3_T4_T5_mT6_T7_P12ihipStream_tbENKUlT_T0_E_clISt17integral_constantIbLb1EES12_IbLb0EEEEDaSY_SZ_EUlSY_E_NS1_11comp_targetILNS1_3genE3ELNS1_11target_archE908ELNS1_3gpuE7ELNS1_3repE0EEENS1_30default_config_static_selectorELNS0_4arch9wavefront6targetE1EEEvT1_,comdat
	.protected	_ZN7rocprim17ROCPRIM_400000_NS6detail17trampoline_kernelINS0_14default_configENS1_27scan_by_key_config_selectorIj11FixedVectorIiLj8EEEEZZNS1_16scan_by_key_implILNS1_25lookback_scan_determinismE0ELb1ES3_N6thrust23THRUST_200600_302600_NS6detail15normal_iteratorINSB_10device_ptrIjEEEENSD_INSE_IS6_EEEESI_S6_NSB_4plusIvEENSB_8equal_toIvEES6_EE10hipError_tPvRmT2_T3_T4_T5_mT6_T7_P12ihipStream_tbENKUlT_T0_E_clISt17integral_constantIbLb1EES12_IbLb0EEEEDaSY_SZ_EUlSY_E_NS1_11comp_targetILNS1_3genE3ELNS1_11target_archE908ELNS1_3gpuE7ELNS1_3repE0EEENS1_30default_config_static_selectorELNS0_4arch9wavefront6targetE1EEEvT1_ ; -- Begin function _ZN7rocprim17ROCPRIM_400000_NS6detail17trampoline_kernelINS0_14default_configENS1_27scan_by_key_config_selectorIj11FixedVectorIiLj8EEEEZZNS1_16scan_by_key_implILNS1_25lookback_scan_determinismE0ELb1ES3_N6thrust23THRUST_200600_302600_NS6detail15normal_iteratorINSB_10device_ptrIjEEEENSD_INSE_IS6_EEEESI_S6_NSB_4plusIvEENSB_8equal_toIvEES6_EE10hipError_tPvRmT2_T3_T4_T5_mT6_T7_P12ihipStream_tbENKUlT_T0_E_clISt17integral_constantIbLb1EES12_IbLb0EEEEDaSY_SZ_EUlSY_E_NS1_11comp_targetILNS1_3genE3ELNS1_11target_archE908ELNS1_3gpuE7ELNS1_3repE0EEENS1_30default_config_static_selectorELNS0_4arch9wavefront6targetE1EEEvT1_
	.globl	_ZN7rocprim17ROCPRIM_400000_NS6detail17trampoline_kernelINS0_14default_configENS1_27scan_by_key_config_selectorIj11FixedVectorIiLj8EEEEZZNS1_16scan_by_key_implILNS1_25lookback_scan_determinismE0ELb1ES3_N6thrust23THRUST_200600_302600_NS6detail15normal_iteratorINSB_10device_ptrIjEEEENSD_INSE_IS6_EEEESI_S6_NSB_4plusIvEENSB_8equal_toIvEES6_EE10hipError_tPvRmT2_T3_T4_T5_mT6_T7_P12ihipStream_tbENKUlT_T0_E_clISt17integral_constantIbLb1EES12_IbLb0EEEEDaSY_SZ_EUlSY_E_NS1_11comp_targetILNS1_3genE3ELNS1_11target_archE908ELNS1_3gpuE7ELNS1_3repE0EEENS1_30default_config_static_selectorELNS0_4arch9wavefront6targetE1EEEvT1_
	.p2align	8
	.type	_ZN7rocprim17ROCPRIM_400000_NS6detail17trampoline_kernelINS0_14default_configENS1_27scan_by_key_config_selectorIj11FixedVectorIiLj8EEEEZZNS1_16scan_by_key_implILNS1_25lookback_scan_determinismE0ELb1ES3_N6thrust23THRUST_200600_302600_NS6detail15normal_iteratorINSB_10device_ptrIjEEEENSD_INSE_IS6_EEEESI_S6_NSB_4plusIvEENSB_8equal_toIvEES6_EE10hipError_tPvRmT2_T3_T4_T5_mT6_T7_P12ihipStream_tbENKUlT_T0_E_clISt17integral_constantIbLb1EES12_IbLb0EEEEDaSY_SZ_EUlSY_E_NS1_11comp_targetILNS1_3genE3ELNS1_11target_archE908ELNS1_3gpuE7ELNS1_3repE0EEENS1_30default_config_static_selectorELNS0_4arch9wavefront6targetE1EEEvT1_,@function
_ZN7rocprim17ROCPRIM_400000_NS6detail17trampoline_kernelINS0_14default_configENS1_27scan_by_key_config_selectorIj11FixedVectorIiLj8EEEEZZNS1_16scan_by_key_implILNS1_25lookback_scan_determinismE0ELb1ES3_N6thrust23THRUST_200600_302600_NS6detail15normal_iteratorINSB_10device_ptrIjEEEENSD_INSE_IS6_EEEESI_S6_NSB_4plusIvEENSB_8equal_toIvEES6_EE10hipError_tPvRmT2_T3_T4_T5_mT6_T7_P12ihipStream_tbENKUlT_T0_E_clISt17integral_constantIbLb1EES12_IbLb0EEEEDaSY_SZ_EUlSY_E_NS1_11comp_targetILNS1_3genE3ELNS1_11target_archE908ELNS1_3gpuE7ELNS1_3repE0EEENS1_30default_config_static_selectorELNS0_4arch9wavefront6targetE1EEEvT1_: ; @_ZN7rocprim17ROCPRIM_400000_NS6detail17trampoline_kernelINS0_14default_configENS1_27scan_by_key_config_selectorIj11FixedVectorIiLj8EEEEZZNS1_16scan_by_key_implILNS1_25lookback_scan_determinismE0ELb1ES3_N6thrust23THRUST_200600_302600_NS6detail15normal_iteratorINSB_10device_ptrIjEEEENSD_INSE_IS6_EEEESI_S6_NSB_4plusIvEENSB_8equal_toIvEES6_EE10hipError_tPvRmT2_T3_T4_T5_mT6_T7_P12ihipStream_tbENKUlT_T0_E_clISt17integral_constantIbLb1EES12_IbLb0EEEEDaSY_SZ_EUlSY_E_NS1_11comp_targetILNS1_3genE3ELNS1_11target_archE908ELNS1_3gpuE7ELNS1_3repE0EEENS1_30default_config_static_selectorELNS0_4arch9wavefront6targetE1EEEvT1_
; %bb.0:
	.section	.rodata,"a",@progbits
	.p2align	6, 0x0
	.amdhsa_kernel _ZN7rocprim17ROCPRIM_400000_NS6detail17trampoline_kernelINS0_14default_configENS1_27scan_by_key_config_selectorIj11FixedVectorIiLj8EEEEZZNS1_16scan_by_key_implILNS1_25lookback_scan_determinismE0ELb1ES3_N6thrust23THRUST_200600_302600_NS6detail15normal_iteratorINSB_10device_ptrIjEEEENSD_INSE_IS6_EEEESI_S6_NSB_4plusIvEENSB_8equal_toIvEES6_EE10hipError_tPvRmT2_T3_T4_T5_mT6_T7_P12ihipStream_tbENKUlT_T0_E_clISt17integral_constantIbLb1EES12_IbLb0EEEEDaSY_SZ_EUlSY_E_NS1_11comp_targetILNS1_3genE3ELNS1_11target_archE908ELNS1_3gpuE7ELNS1_3repE0EEENS1_30default_config_static_selectorELNS0_4arch9wavefront6targetE1EEEvT1_
		.amdhsa_group_segment_fixed_size 0
		.amdhsa_private_segment_fixed_size 0
		.amdhsa_kernarg_size 160
		.amdhsa_user_sgpr_count 6
		.amdhsa_user_sgpr_private_segment_buffer 1
		.amdhsa_user_sgpr_dispatch_ptr 0
		.amdhsa_user_sgpr_queue_ptr 0
		.amdhsa_user_sgpr_kernarg_segment_ptr 1
		.amdhsa_user_sgpr_dispatch_id 0
		.amdhsa_user_sgpr_flat_scratch_init 0
		.amdhsa_user_sgpr_kernarg_preload_length 0
		.amdhsa_user_sgpr_kernarg_preload_offset 0
		.amdhsa_user_sgpr_private_segment_size 0
		.amdhsa_uses_dynamic_stack 0
		.amdhsa_system_sgpr_private_segment_wavefront_offset 0
		.amdhsa_system_sgpr_workgroup_id_x 1
		.amdhsa_system_sgpr_workgroup_id_y 0
		.amdhsa_system_sgpr_workgroup_id_z 0
		.amdhsa_system_sgpr_workgroup_info 0
		.amdhsa_system_vgpr_workitem_id 0
		.amdhsa_next_free_vgpr 1
		.amdhsa_next_free_sgpr 0
		.amdhsa_accum_offset 4
		.amdhsa_reserve_vcc 0
		.amdhsa_reserve_flat_scratch 0
		.amdhsa_float_round_mode_32 0
		.amdhsa_float_round_mode_16_64 0
		.amdhsa_float_denorm_mode_32 3
		.amdhsa_float_denorm_mode_16_64 3
		.amdhsa_dx10_clamp 1
		.amdhsa_ieee_mode 1
		.amdhsa_fp16_overflow 0
		.amdhsa_tg_split 0
		.amdhsa_exception_fp_ieee_invalid_op 0
		.amdhsa_exception_fp_denorm_src 0
		.amdhsa_exception_fp_ieee_div_zero 0
		.amdhsa_exception_fp_ieee_overflow 0
		.amdhsa_exception_fp_ieee_underflow 0
		.amdhsa_exception_fp_ieee_inexact 0
		.amdhsa_exception_int_div_zero 0
	.end_amdhsa_kernel
	.section	.text._ZN7rocprim17ROCPRIM_400000_NS6detail17trampoline_kernelINS0_14default_configENS1_27scan_by_key_config_selectorIj11FixedVectorIiLj8EEEEZZNS1_16scan_by_key_implILNS1_25lookback_scan_determinismE0ELb1ES3_N6thrust23THRUST_200600_302600_NS6detail15normal_iteratorINSB_10device_ptrIjEEEENSD_INSE_IS6_EEEESI_S6_NSB_4plusIvEENSB_8equal_toIvEES6_EE10hipError_tPvRmT2_T3_T4_T5_mT6_T7_P12ihipStream_tbENKUlT_T0_E_clISt17integral_constantIbLb1EES12_IbLb0EEEEDaSY_SZ_EUlSY_E_NS1_11comp_targetILNS1_3genE3ELNS1_11target_archE908ELNS1_3gpuE7ELNS1_3repE0EEENS1_30default_config_static_selectorELNS0_4arch9wavefront6targetE1EEEvT1_,"axG",@progbits,_ZN7rocprim17ROCPRIM_400000_NS6detail17trampoline_kernelINS0_14default_configENS1_27scan_by_key_config_selectorIj11FixedVectorIiLj8EEEEZZNS1_16scan_by_key_implILNS1_25lookback_scan_determinismE0ELb1ES3_N6thrust23THRUST_200600_302600_NS6detail15normal_iteratorINSB_10device_ptrIjEEEENSD_INSE_IS6_EEEESI_S6_NSB_4plusIvEENSB_8equal_toIvEES6_EE10hipError_tPvRmT2_T3_T4_T5_mT6_T7_P12ihipStream_tbENKUlT_T0_E_clISt17integral_constantIbLb1EES12_IbLb0EEEEDaSY_SZ_EUlSY_E_NS1_11comp_targetILNS1_3genE3ELNS1_11target_archE908ELNS1_3gpuE7ELNS1_3repE0EEENS1_30default_config_static_selectorELNS0_4arch9wavefront6targetE1EEEvT1_,comdat
.Lfunc_end2179:
	.size	_ZN7rocprim17ROCPRIM_400000_NS6detail17trampoline_kernelINS0_14default_configENS1_27scan_by_key_config_selectorIj11FixedVectorIiLj8EEEEZZNS1_16scan_by_key_implILNS1_25lookback_scan_determinismE0ELb1ES3_N6thrust23THRUST_200600_302600_NS6detail15normal_iteratorINSB_10device_ptrIjEEEENSD_INSE_IS6_EEEESI_S6_NSB_4plusIvEENSB_8equal_toIvEES6_EE10hipError_tPvRmT2_T3_T4_T5_mT6_T7_P12ihipStream_tbENKUlT_T0_E_clISt17integral_constantIbLb1EES12_IbLb0EEEEDaSY_SZ_EUlSY_E_NS1_11comp_targetILNS1_3genE3ELNS1_11target_archE908ELNS1_3gpuE7ELNS1_3repE0EEENS1_30default_config_static_selectorELNS0_4arch9wavefront6targetE1EEEvT1_, .Lfunc_end2179-_ZN7rocprim17ROCPRIM_400000_NS6detail17trampoline_kernelINS0_14default_configENS1_27scan_by_key_config_selectorIj11FixedVectorIiLj8EEEEZZNS1_16scan_by_key_implILNS1_25lookback_scan_determinismE0ELb1ES3_N6thrust23THRUST_200600_302600_NS6detail15normal_iteratorINSB_10device_ptrIjEEEENSD_INSE_IS6_EEEESI_S6_NSB_4plusIvEENSB_8equal_toIvEES6_EE10hipError_tPvRmT2_T3_T4_T5_mT6_T7_P12ihipStream_tbENKUlT_T0_E_clISt17integral_constantIbLb1EES12_IbLb0EEEEDaSY_SZ_EUlSY_E_NS1_11comp_targetILNS1_3genE3ELNS1_11target_archE908ELNS1_3gpuE7ELNS1_3repE0EEENS1_30default_config_static_selectorELNS0_4arch9wavefront6targetE1EEEvT1_
                                        ; -- End function
	.section	.AMDGPU.csdata,"",@progbits
; Kernel info:
; codeLenInByte = 0
; NumSgprs: 4
; NumVgprs: 0
; NumAgprs: 0
; TotalNumVgprs: 0
; ScratchSize: 0
; MemoryBound: 0
; FloatMode: 240
; IeeeMode: 1
; LDSByteSize: 0 bytes/workgroup (compile time only)
; SGPRBlocks: 0
; VGPRBlocks: 0
; NumSGPRsForWavesPerEU: 4
; NumVGPRsForWavesPerEU: 1
; AccumOffset: 4
; Occupancy: 8
; WaveLimiterHint : 0
; COMPUTE_PGM_RSRC2:SCRATCH_EN: 0
; COMPUTE_PGM_RSRC2:USER_SGPR: 6
; COMPUTE_PGM_RSRC2:TRAP_HANDLER: 0
; COMPUTE_PGM_RSRC2:TGID_X_EN: 1
; COMPUTE_PGM_RSRC2:TGID_Y_EN: 0
; COMPUTE_PGM_RSRC2:TGID_Z_EN: 0
; COMPUTE_PGM_RSRC2:TIDIG_COMP_CNT: 0
; COMPUTE_PGM_RSRC3_GFX90A:ACCUM_OFFSET: 0
; COMPUTE_PGM_RSRC3_GFX90A:TG_SPLIT: 0
	.section	.text._ZN7rocprim17ROCPRIM_400000_NS6detail17trampoline_kernelINS0_14default_configENS1_27scan_by_key_config_selectorIj11FixedVectorIiLj8EEEEZZNS1_16scan_by_key_implILNS1_25lookback_scan_determinismE0ELb1ES3_N6thrust23THRUST_200600_302600_NS6detail15normal_iteratorINSB_10device_ptrIjEEEENSD_INSE_IS6_EEEESI_S6_NSB_4plusIvEENSB_8equal_toIvEES6_EE10hipError_tPvRmT2_T3_T4_T5_mT6_T7_P12ihipStream_tbENKUlT_T0_E_clISt17integral_constantIbLb1EES12_IbLb0EEEEDaSY_SZ_EUlSY_E_NS1_11comp_targetILNS1_3genE2ELNS1_11target_archE906ELNS1_3gpuE6ELNS1_3repE0EEENS1_30default_config_static_selectorELNS0_4arch9wavefront6targetE1EEEvT1_,"axG",@progbits,_ZN7rocprim17ROCPRIM_400000_NS6detail17trampoline_kernelINS0_14default_configENS1_27scan_by_key_config_selectorIj11FixedVectorIiLj8EEEEZZNS1_16scan_by_key_implILNS1_25lookback_scan_determinismE0ELb1ES3_N6thrust23THRUST_200600_302600_NS6detail15normal_iteratorINSB_10device_ptrIjEEEENSD_INSE_IS6_EEEESI_S6_NSB_4plusIvEENSB_8equal_toIvEES6_EE10hipError_tPvRmT2_T3_T4_T5_mT6_T7_P12ihipStream_tbENKUlT_T0_E_clISt17integral_constantIbLb1EES12_IbLb0EEEEDaSY_SZ_EUlSY_E_NS1_11comp_targetILNS1_3genE2ELNS1_11target_archE906ELNS1_3gpuE6ELNS1_3repE0EEENS1_30default_config_static_selectorELNS0_4arch9wavefront6targetE1EEEvT1_,comdat
	.protected	_ZN7rocprim17ROCPRIM_400000_NS6detail17trampoline_kernelINS0_14default_configENS1_27scan_by_key_config_selectorIj11FixedVectorIiLj8EEEEZZNS1_16scan_by_key_implILNS1_25lookback_scan_determinismE0ELb1ES3_N6thrust23THRUST_200600_302600_NS6detail15normal_iteratorINSB_10device_ptrIjEEEENSD_INSE_IS6_EEEESI_S6_NSB_4plusIvEENSB_8equal_toIvEES6_EE10hipError_tPvRmT2_T3_T4_T5_mT6_T7_P12ihipStream_tbENKUlT_T0_E_clISt17integral_constantIbLb1EES12_IbLb0EEEEDaSY_SZ_EUlSY_E_NS1_11comp_targetILNS1_3genE2ELNS1_11target_archE906ELNS1_3gpuE6ELNS1_3repE0EEENS1_30default_config_static_selectorELNS0_4arch9wavefront6targetE1EEEvT1_ ; -- Begin function _ZN7rocprim17ROCPRIM_400000_NS6detail17trampoline_kernelINS0_14default_configENS1_27scan_by_key_config_selectorIj11FixedVectorIiLj8EEEEZZNS1_16scan_by_key_implILNS1_25lookback_scan_determinismE0ELb1ES3_N6thrust23THRUST_200600_302600_NS6detail15normal_iteratorINSB_10device_ptrIjEEEENSD_INSE_IS6_EEEESI_S6_NSB_4plusIvEENSB_8equal_toIvEES6_EE10hipError_tPvRmT2_T3_T4_T5_mT6_T7_P12ihipStream_tbENKUlT_T0_E_clISt17integral_constantIbLb1EES12_IbLb0EEEEDaSY_SZ_EUlSY_E_NS1_11comp_targetILNS1_3genE2ELNS1_11target_archE906ELNS1_3gpuE6ELNS1_3repE0EEENS1_30default_config_static_selectorELNS0_4arch9wavefront6targetE1EEEvT1_
	.globl	_ZN7rocprim17ROCPRIM_400000_NS6detail17trampoline_kernelINS0_14default_configENS1_27scan_by_key_config_selectorIj11FixedVectorIiLj8EEEEZZNS1_16scan_by_key_implILNS1_25lookback_scan_determinismE0ELb1ES3_N6thrust23THRUST_200600_302600_NS6detail15normal_iteratorINSB_10device_ptrIjEEEENSD_INSE_IS6_EEEESI_S6_NSB_4plusIvEENSB_8equal_toIvEES6_EE10hipError_tPvRmT2_T3_T4_T5_mT6_T7_P12ihipStream_tbENKUlT_T0_E_clISt17integral_constantIbLb1EES12_IbLb0EEEEDaSY_SZ_EUlSY_E_NS1_11comp_targetILNS1_3genE2ELNS1_11target_archE906ELNS1_3gpuE6ELNS1_3repE0EEENS1_30default_config_static_selectorELNS0_4arch9wavefront6targetE1EEEvT1_
	.p2align	8
	.type	_ZN7rocprim17ROCPRIM_400000_NS6detail17trampoline_kernelINS0_14default_configENS1_27scan_by_key_config_selectorIj11FixedVectorIiLj8EEEEZZNS1_16scan_by_key_implILNS1_25lookback_scan_determinismE0ELb1ES3_N6thrust23THRUST_200600_302600_NS6detail15normal_iteratorINSB_10device_ptrIjEEEENSD_INSE_IS6_EEEESI_S6_NSB_4plusIvEENSB_8equal_toIvEES6_EE10hipError_tPvRmT2_T3_T4_T5_mT6_T7_P12ihipStream_tbENKUlT_T0_E_clISt17integral_constantIbLb1EES12_IbLb0EEEEDaSY_SZ_EUlSY_E_NS1_11comp_targetILNS1_3genE2ELNS1_11target_archE906ELNS1_3gpuE6ELNS1_3repE0EEENS1_30default_config_static_selectorELNS0_4arch9wavefront6targetE1EEEvT1_,@function
_ZN7rocprim17ROCPRIM_400000_NS6detail17trampoline_kernelINS0_14default_configENS1_27scan_by_key_config_selectorIj11FixedVectorIiLj8EEEEZZNS1_16scan_by_key_implILNS1_25lookback_scan_determinismE0ELb1ES3_N6thrust23THRUST_200600_302600_NS6detail15normal_iteratorINSB_10device_ptrIjEEEENSD_INSE_IS6_EEEESI_S6_NSB_4plusIvEENSB_8equal_toIvEES6_EE10hipError_tPvRmT2_T3_T4_T5_mT6_T7_P12ihipStream_tbENKUlT_T0_E_clISt17integral_constantIbLb1EES12_IbLb0EEEEDaSY_SZ_EUlSY_E_NS1_11comp_targetILNS1_3genE2ELNS1_11target_archE906ELNS1_3gpuE6ELNS1_3repE0EEENS1_30default_config_static_selectorELNS0_4arch9wavefront6targetE1EEEvT1_: ; @_ZN7rocprim17ROCPRIM_400000_NS6detail17trampoline_kernelINS0_14default_configENS1_27scan_by_key_config_selectorIj11FixedVectorIiLj8EEEEZZNS1_16scan_by_key_implILNS1_25lookback_scan_determinismE0ELb1ES3_N6thrust23THRUST_200600_302600_NS6detail15normal_iteratorINSB_10device_ptrIjEEEENSD_INSE_IS6_EEEESI_S6_NSB_4plusIvEENSB_8equal_toIvEES6_EE10hipError_tPvRmT2_T3_T4_T5_mT6_T7_P12ihipStream_tbENKUlT_T0_E_clISt17integral_constantIbLb1EES12_IbLb0EEEEDaSY_SZ_EUlSY_E_NS1_11comp_targetILNS1_3genE2ELNS1_11target_archE906ELNS1_3gpuE6ELNS1_3repE0EEENS1_30default_config_static_selectorELNS0_4arch9wavefront6targetE1EEEvT1_
; %bb.0:
	.section	.rodata,"a",@progbits
	.p2align	6, 0x0
	.amdhsa_kernel _ZN7rocprim17ROCPRIM_400000_NS6detail17trampoline_kernelINS0_14default_configENS1_27scan_by_key_config_selectorIj11FixedVectorIiLj8EEEEZZNS1_16scan_by_key_implILNS1_25lookback_scan_determinismE0ELb1ES3_N6thrust23THRUST_200600_302600_NS6detail15normal_iteratorINSB_10device_ptrIjEEEENSD_INSE_IS6_EEEESI_S6_NSB_4plusIvEENSB_8equal_toIvEES6_EE10hipError_tPvRmT2_T3_T4_T5_mT6_T7_P12ihipStream_tbENKUlT_T0_E_clISt17integral_constantIbLb1EES12_IbLb0EEEEDaSY_SZ_EUlSY_E_NS1_11comp_targetILNS1_3genE2ELNS1_11target_archE906ELNS1_3gpuE6ELNS1_3repE0EEENS1_30default_config_static_selectorELNS0_4arch9wavefront6targetE1EEEvT1_
		.amdhsa_group_segment_fixed_size 0
		.amdhsa_private_segment_fixed_size 0
		.amdhsa_kernarg_size 160
		.amdhsa_user_sgpr_count 6
		.amdhsa_user_sgpr_private_segment_buffer 1
		.amdhsa_user_sgpr_dispatch_ptr 0
		.amdhsa_user_sgpr_queue_ptr 0
		.amdhsa_user_sgpr_kernarg_segment_ptr 1
		.amdhsa_user_sgpr_dispatch_id 0
		.amdhsa_user_sgpr_flat_scratch_init 0
		.amdhsa_user_sgpr_kernarg_preload_length 0
		.amdhsa_user_sgpr_kernarg_preload_offset 0
		.amdhsa_user_sgpr_private_segment_size 0
		.amdhsa_uses_dynamic_stack 0
		.amdhsa_system_sgpr_private_segment_wavefront_offset 0
		.amdhsa_system_sgpr_workgroup_id_x 1
		.amdhsa_system_sgpr_workgroup_id_y 0
		.amdhsa_system_sgpr_workgroup_id_z 0
		.amdhsa_system_sgpr_workgroup_info 0
		.amdhsa_system_vgpr_workitem_id 0
		.amdhsa_next_free_vgpr 1
		.amdhsa_next_free_sgpr 0
		.amdhsa_accum_offset 4
		.amdhsa_reserve_vcc 0
		.amdhsa_reserve_flat_scratch 0
		.amdhsa_float_round_mode_32 0
		.amdhsa_float_round_mode_16_64 0
		.amdhsa_float_denorm_mode_32 3
		.amdhsa_float_denorm_mode_16_64 3
		.amdhsa_dx10_clamp 1
		.amdhsa_ieee_mode 1
		.amdhsa_fp16_overflow 0
		.amdhsa_tg_split 0
		.amdhsa_exception_fp_ieee_invalid_op 0
		.amdhsa_exception_fp_denorm_src 0
		.amdhsa_exception_fp_ieee_div_zero 0
		.amdhsa_exception_fp_ieee_overflow 0
		.amdhsa_exception_fp_ieee_underflow 0
		.amdhsa_exception_fp_ieee_inexact 0
		.amdhsa_exception_int_div_zero 0
	.end_amdhsa_kernel
	.section	.text._ZN7rocprim17ROCPRIM_400000_NS6detail17trampoline_kernelINS0_14default_configENS1_27scan_by_key_config_selectorIj11FixedVectorIiLj8EEEEZZNS1_16scan_by_key_implILNS1_25lookback_scan_determinismE0ELb1ES3_N6thrust23THRUST_200600_302600_NS6detail15normal_iteratorINSB_10device_ptrIjEEEENSD_INSE_IS6_EEEESI_S6_NSB_4plusIvEENSB_8equal_toIvEES6_EE10hipError_tPvRmT2_T3_T4_T5_mT6_T7_P12ihipStream_tbENKUlT_T0_E_clISt17integral_constantIbLb1EES12_IbLb0EEEEDaSY_SZ_EUlSY_E_NS1_11comp_targetILNS1_3genE2ELNS1_11target_archE906ELNS1_3gpuE6ELNS1_3repE0EEENS1_30default_config_static_selectorELNS0_4arch9wavefront6targetE1EEEvT1_,"axG",@progbits,_ZN7rocprim17ROCPRIM_400000_NS6detail17trampoline_kernelINS0_14default_configENS1_27scan_by_key_config_selectorIj11FixedVectorIiLj8EEEEZZNS1_16scan_by_key_implILNS1_25lookback_scan_determinismE0ELb1ES3_N6thrust23THRUST_200600_302600_NS6detail15normal_iteratorINSB_10device_ptrIjEEEENSD_INSE_IS6_EEEESI_S6_NSB_4plusIvEENSB_8equal_toIvEES6_EE10hipError_tPvRmT2_T3_T4_T5_mT6_T7_P12ihipStream_tbENKUlT_T0_E_clISt17integral_constantIbLb1EES12_IbLb0EEEEDaSY_SZ_EUlSY_E_NS1_11comp_targetILNS1_3genE2ELNS1_11target_archE906ELNS1_3gpuE6ELNS1_3repE0EEENS1_30default_config_static_selectorELNS0_4arch9wavefront6targetE1EEEvT1_,comdat
.Lfunc_end2180:
	.size	_ZN7rocprim17ROCPRIM_400000_NS6detail17trampoline_kernelINS0_14default_configENS1_27scan_by_key_config_selectorIj11FixedVectorIiLj8EEEEZZNS1_16scan_by_key_implILNS1_25lookback_scan_determinismE0ELb1ES3_N6thrust23THRUST_200600_302600_NS6detail15normal_iteratorINSB_10device_ptrIjEEEENSD_INSE_IS6_EEEESI_S6_NSB_4plusIvEENSB_8equal_toIvEES6_EE10hipError_tPvRmT2_T3_T4_T5_mT6_T7_P12ihipStream_tbENKUlT_T0_E_clISt17integral_constantIbLb1EES12_IbLb0EEEEDaSY_SZ_EUlSY_E_NS1_11comp_targetILNS1_3genE2ELNS1_11target_archE906ELNS1_3gpuE6ELNS1_3repE0EEENS1_30default_config_static_selectorELNS0_4arch9wavefront6targetE1EEEvT1_, .Lfunc_end2180-_ZN7rocprim17ROCPRIM_400000_NS6detail17trampoline_kernelINS0_14default_configENS1_27scan_by_key_config_selectorIj11FixedVectorIiLj8EEEEZZNS1_16scan_by_key_implILNS1_25lookback_scan_determinismE0ELb1ES3_N6thrust23THRUST_200600_302600_NS6detail15normal_iteratorINSB_10device_ptrIjEEEENSD_INSE_IS6_EEEESI_S6_NSB_4plusIvEENSB_8equal_toIvEES6_EE10hipError_tPvRmT2_T3_T4_T5_mT6_T7_P12ihipStream_tbENKUlT_T0_E_clISt17integral_constantIbLb1EES12_IbLb0EEEEDaSY_SZ_EUlSY_E_NS1_11comp_targetILNS1_3genE2ELNS1_11target_archE906ELNS1_3gpuE6ELNS1_3repE0EEENS1_30default_config_static_selectorELNS0_4arch9wavefront6targetE1EEEvT1_
                                        ; -- End function
	.section	.AMDGPU.csdata,"",@progbits
; Kernel info:
; codeLenInByte = 0
; NumSgprs: 4
; NumVgprs: 0
; NumAgprs: 0
; TotalNumVgprs: 0
; ScratchSize: 0
; MemoryBound: 0
; FloatMode: 240
; IeeeMode: 1
; LDSByteSize: 0 bytes/workgroup (compile time only)
; SGPRBlocks: 0
; VGPRBlocks: 0
; NumSGPRsForWavesPerEU: 4
; NumVGPRsForWavesPerEU: 1
; AccumOffset: 4
; Occupancy: 8
; WaveLimiterHint : 0
; COMPUTE_PGM_RSRC2:SCRATCH_EN: 0
; COMPUTE_PGM_RSRC2:USER_SGPR: 6
; COMPUTE_PGM_RSRC2:TRAP_HANDLER: 0
; COMPUTE_PGM_RSRC2:TGID_X_EN: 1
; COMPUTE_PGM_RSRC2:TGID_Y_EN: 0
; COMPUTE_PGM_RSRC2:TGID_Z_EN: 0
; COMPUTE_PGM_RSRC2:TIDIG_COMP_CNT: 0
; COMPUTE_PGM_RSRC3_GFX90A:ACCUM_OFFSET: 0
; COMPUTE_PGM_RSRC3_GFX90A:TG_SPLIT: 0
	.section	.text._ZN7rocprim17ROCPRIM_400000_NS6detail17trampoline_kernelINS0_14default_configENS1_27scan_by_key_config_selectorIj11FixedVectorIiLj8EEEEZZNS1_16scan_by_key_implILNS1_25lookback_scan_determinismE0ELb1ES3_N6thrust23THRUST_200600_302600_NS6detail15normal_iteratorINSB_10device_ptrIjEEEENSD_INSE_IS6_EEEESI_S6_NSB_4plusIvEENSB_8equal_toIvEES6_EE10hipError_tPvRmT2_T3_T4_T5_mT6_T7_P12ihipStream_tbENKUlT_T0_E_clISt17integral_constantIbLb1EES12_IbLb0EEEEDaSY_SZ_EUlSY_E_NS1_11comp_targetILNS1_3genE10ELNS1_11target_archE1200ELNS1_3gpuE4ELNS1_3repE0EEENS1_30default_config_static_selectorELNS0_4arch9wavefront6targetE1EEEvT1_,"axG",@progbits,_ZN7rocprim17ROCPRIM_400000_NS6detail17trampoline_kernelINS0_14default_configENS1_27scan_by_key_config_selectorIj11FixedVectorIiLj8EEEEZZNS1_16scan_by_key_implILNS1_25lookback_scan_determinismE0ELb1ES3_N6thrust23THRUST_200600_302600_NS6detail15normal_iteratorINSB_10device_ptrIjEEEENSD_INSE_IS6_EEEESI_S6_NSB_4plusIvEENSB_8equal_toIvEES6_EE10hipError_tPvRmT2_T3_T4_T5_mT6_T7_P12ihipStream_tbENKUlT_T0_E_clISt17integral_constantIbLb1EES12_IbLb0EEEEDaSY_SZ_EUlSY_E_NS1_11comp_targetILNS1_3genE10ELNS1_11target_archE1200ELNS1_3gpuE4ELNS1_3repE0EEENS1_30default_config_static_selectorELNS0_4arch9wavefront6targetE1EEEvT1_,comdat
	.protected	_ZN7rocprim17ROCPRIM_400000_NS6detail17trampoline_kernelINS0_14default_configENS1_27scan_by_key_config_selectorIj11FixedVectorIiLj8EEEEZZNS1_16scan_by_key_implILNS1_25lookback_scan_determinismE0ELb1ES3_N6thrust23THRUST_200600_302600_NS6detail15normal_iteratorINSB_10device_ptrIjEEEENSD_INSE_IS6_EEEESI_S6_NSB_4plusIvEENSB_8equal_toIvEES6_EE10hipError_tPvRmT2_T3_T4_T5_mT6_T7_P12ihipStream_tbENKUlT_T0_E_clISt17integral_constantIbLb1EES12_IbLb0EEEEDaSY_SZ_EUlSY_E_NS1_11comp_targetILNS1_3genE10ELNS1_11target_archE1200ELNS1_3gpuE4ELNS1_3repE0EEENS1_30default_config_static_selectorELNS0_4arch9wavefront6targetE1EEEvT1_ ; -- Begin function _ZN7rocprim17ROCPRIM_400000_NS6detail17trampoline_kernelINS0_14default_configENS1_27scan_by_key_config_selectorIj11FixedVectorIiLj8EEEEZZNS1_16scan_by_key_implILNS1_25lookback_scan_determinismE0ELb1ES3_N6thrust23THRUST_200600_302600_NS6detail15normal_iteratorINSB_10device_ptrIjEEEENSD_INSE_IS6_EEEESI_S6_NSB_4plusIvEENSB_8equal_toIvEES6_EE10hipError_tPvRmT2_T3_T4_T5_mT6_T7_P12ihipStream_tbENKUlT_T0_E_clISt17integral_constantIbLb1EES12_IbLb0EEEEDaSY_SZ_EUlSY_E_NS1_11comp_targetILNS1_3genE10ELNS1_11target_archE1200ELNS1_3gpuE4ELNS1_3repE0EEENS1_30default_config_static_selectorELNS0_4arch9wavefront6targetE1EEEvT1_
	.globl	_ZN7rocprim17ROCPRIM_400000_NS6detail17trampoline_kernelINS0_14default_configENS1_27scan_by_key_config_selectorIj11FixedVectorIiLj8EEEEZZNS1_16scan_by_key_implILNS1_25lookback_scan_determinismE0ELb1ES3_N6thrust23THRUST_200600_302600_NS6detail15normal_iteratorINSB_10device_ptrIjEEEENSD_INSE_IS6_EEEESI_S6_NSB_4plusIvEENSB_8equal_toIvEES6_EE10hipError_tPvRmT2_T3_T4_T5_mT6_T7_P12ihipStream_tbENKUlT_T0_E_clISt17integral_constantIbLb1EES12_IbLb0EEEEDaSY_SZ_EUlSY_E_NS1_11comp_targetILNS1_3genE10ELNS1_11target_archE1200ELNS1_3gpuE4ELNS1_3repE0EEENS1_30default_config_static_selectorELNS0_4arch9wavefront6targetE1EEEvT1_
	.p2align	8
	.type	_ZN7rocprim17ROCPRIM_400000_NS6detail17trampoline_kernelINS0_14default_configENS1_27scan_by_key_config_selectorIj11FixedVectorIiLj8EEEEZZNS1_16scan_by_key_implILNS1_25lookback_scan_determinismE0ELb1ES3_N6thrust23THRUST_200600_302600_NS6detail15normal_iteratorINSB_10device_ptrIjEEEENSD_INSE_IS6_EEEESI_S6_NSB_4plusIvEENSB_8equal_toIvEES6_EE10hipError_tPvRmT2_T3_T4_T5_mT6_T7_P12ihipStream_tbENKUlT_T0_E_clISt17integral_constantIbLb1EES12_IbLb0EEEEDaSY_SZ_EUlSY_E_NS1_11comp_targetILNS1_3genE10ELNS1_11target_archE1200ELNS1_3gpuE4ELNS1_3repE0EEENS1_30default_config_static_selectorELNS0_4arch9wavefront6targetE1EEEvT1_,@function
_ZN7rocprim17ROCPRIM_400000_NS6detail17trampoline_kernelINS0_14default_configENS1_27scan_by_key_config_selectorIj11FixedVectorIiLj8EEEEZZNS1_16scan_by_key_implILNS1_25lookback_scan_determinismE0ELb1ES3_N6thrust23THRUST_200600_302600_NS6detail15normal_iteratorINSB_10device_ptrIjEEEENSD_INSE_IS6_EEEESI_S6_NSB_4plusIvEENSB_8equal_toIvEES6_EE10hipError_tPvRmT2_T3_T4_T5_mT6_T7_P12ihipStream_tbENKUlT_T0_E_clISt17integral_constantIbLb1EES12_IbLb0EEEEDaSY_SZ_EUlSY_E_NS1_11comp_targetILNS1_3genE10ELNS1_11target_archE1200ELNS1_3gpuE4ELNS1_3repE0EEENS1_30default_config_static_selectorELNS0_4arch9wavefront6targetE1EEEvT1_: ; @_ZN7rocprim17ROCPRIM_400000_NS6detail17trampoline_kernelINS0_14default_configENS1_27scan_by_key_config_selectorIj11FixedVectorIiLj8EEEEZZNS1_16scan_by_key_implILNS1_25lookback_scan_determinismE0ELb1ES3_N6thrust23THRUST_200600_302600_NS6detail15normal_iteratorINSB_10device_ptrIjEEEENSD_INSE_IS6_EEEESI_S6_NSB_4plusIvEENSB_8equal_toIvEES6_EE10hipError_tPvRmT2_T3_T4_T5_mT6_T7_P12ihipStream_tbENKUlT_T0_E_clISt17integral_constantIbLb1EES12_IbLb0EEEEDaSY_SZ_EUlSY_E_NS1_11comp_targetILNS1_3genE10ELNS1_11target_archE1200ELNS1_3gpuE4ELNS1_3repE0EEENS1_30default_config_static_selectorELNS0_4arch9wavefront6targetE1EEEvT1_
; %bb.0:
	.section	.rodata,"a",@progbits
	.p2align	6, 0x0
	.amdhsa_kernel _ZN7rocprim17ROCPRIM_400000_NS6detail17trampoline_kernelINS0_14default_configENS1_27scan_by_key_config_selectorIj11FixedVectorIiLj8EEEEZZNS1_16scan_by_key_implILNS1_25lookback_scan_determinismE0ELb1ES3_N6thrust23THRUST_200600_302600_NS6detail15normal_iteratorINSB_10device_ptrIjEEEENSD_INSE_IS6_EEEESI_S6_NSB_4plusIvEENSB_8equal_toIvEES6_EE10hipError_tPvRmT2_T3_T4_T5_mT6_T7_P12ihipStream_tbENKUlT_T0_E_clISt17integral_constantIbLb1EES12_IbLb0EEEEDaSY_SZ_EUlSY_E_NS1_11comp_targetILNS1_3genE10ELNS1_11target_archE1200ELNS1_3gpuE4ELNS1_3repE0EEENS1_30default_config_static_selectorELNS0_4arch9wavefront6targetE1EEEvT1_
		.amdhsa_group_segment_fixed_size 0
		.amdhsa_private_segment_fixed_size 0
		.amdhsa_kernarg_size 160
		.amdhsa_user_sgpr_count 6
		.amdhsa_user_sgpr_private_segment_buffer 1
		.amdhsa_user_sgpr_dispatch_ptr 0
		.amdhsa_user_sgpr_queue_ptr 0
		.amdhsa_user_sgpr_kernarg_segment_ptr 1
		.amdhsa_user_sgpr_dispatch_id 0
		.amdhsa_user_sgpr_flat_scratch_init 0
		.amdhsa_user_sgpr_kernarg_preload_length 0
		.amdhsa_user_sgpr_kernarg_preload_offset 0
		.amdhsa_user_sgpr_private_segment_size 0
		.amdhsa_uses_dynamic_stack 0
		.amdhsa_system_sgpr_private_segment_wavefront_offset 0
		.amdhsa_system_sgpr_workgroup_id_x 1
		.amdhsa_system_sgpr_workgroup_id_y 0
		.amdhsa_system_sgpr_workgroup_id_z 0
		.amdhsa_system_sgpr_workgroup_info 0
		.amdhsa_system_vgpr_workitem_id 0
		.amdhsa_next_free_vgpr 1
		.amdhsa_next_free_sgpr 0
		.amdhsa_accum_offset 4
		.amdhsa_reserve_vcc 0
		.amdhsa_reserve_flat_scratch 0
		.amdhsa_float_round_mode_32 0
		.amdhsa_float_round_mode_16_64 0
		.amdhsa_float_denorm_mode_32 3
		.amdhsa_float_denorm_mode_16_64 3
		.amdhsa_dx10_clamp 1
		.amdhsa_ieee_mode 1
		.amdhsa_fp16_overflow 0
		.amdhsa_tg_split 0
		.amdhsa_exception_fp_ieee_invalid_op 0
		.amdhsa_exception_fp_denorm_src 0
		.amdhsa_exception_fp_ieee_div_zero 0
		.amdhsa_exception_fp_ieee_overflow 0
		.amdhsa_exception_fp_ieee_underflow 0
		.amdhsa_exception_fp_ieee_inexact 0
		.amdhsa_exception_int_div_zero 0
	.end_amdhsa_kernel
	.section	.text._ZN7rocprim17ROCPRIM_400000_NS6detail17trampoline_kernelINS0_14default_configENS1_27scan_by_key_config_selectorIj11FixedVectorIiLj8EEEEZZNS1_16scan_by_key_implILNS1_25lookback_scan_determinismE0ELb1ES3_N6thrust23THRUST_200600_302600_NS6detail15normal_iteratorINSB_10device_ptrIjEEEENSD_INSE_IS6_EEEESI_S6_NSB_4plusIvEENSB_8equal_toIvEES6_EE10hipError_tPvRmT2_T3_T4_T5_mT6_T7_P12ihipStream_tbENKUlT_T0_E_clISt17integral_constantIbLb1EES12_IbLb0EEEEDaSY_SZ_EUlSY_E_NS1_11comp_targetILNS1_3genE10ELNS1_11target_archE1200ELNS1_3gpuE4ELNS1_3repE0EEENS1_30default_config_static_selectorELNS0_4arch9wavefront6targetE1EEEvT1_,"axG",@progbits,_ZN7rocprim17ROCPRIM_400000_NS6detail17trampoline_kernelINS0_14default_configENS1_27scan_by_key_config_selectorIj11FixedVectorIiLj8EEEEZZNS1_16scan_by_key_implILNS1_25lookback_scan_determinismE0ELb1ES3_N6thrust23THRUST_200600_302600_NS6detail15normal_iteratorINSB_10device_ptrIjEEEENSD_INSE_IS6_EEEESI_S6_NSB_4plusIvEENSB_8equal_toIvEES6_EE10hipError_tPvRmT2_T3_T4_T5_mT6_T7_P12ihipStream_tbENKUlT_T0_E_clISt17integral_constantIbLb1EES12_IbLb0EEEEDaSY_SZ_EUlSY_E_NS1_11comp_targetILNS1_3genE10ELNS1_11target_archE1200ELNS1_3gpuE4ELNS1_3repE0EEENS1_30default_config_static_selectorELNS0_4arch9wavefront6targetE1EEEvT1_,comdat
.Lfunc_end2181:
	.size	_ZN7rocprim17ROCPRIM_400000_NS6detail17trampoline_kernelINS0_14default_configENS1_27scan_by_key_config_selectorIj11FixedVectorIiLj8EEEEZZNS1_16scan_by_key_implILNS1_25lookback_scan_determinismE0ELb1ES3_N6thrust23THRUST_200600_302600_NS6detail15normal_iteratorINSB_10device_ptrIjEEEENSD_INSE_IS6_EEEESI_S6_NSB_4plusIvEENSB_8equal_toIvEES6_EE10hipError_tPvRmT2_T3_T4_T5_mT6_T7_P12ihipStream_tbENKUlT_T0_E_clISt17integral_constantIbLb1EES12_IbLb0EEEEDaSY_SZ_EUlSY_E_NS1_11comp_targetILNS1_3genE10ELNS1_11target_archE1200ELNS1_3gpuE4ELNS1_3repE0EEENS1_30default_config_static_selectorELNS0_4arch9wavefront6targetE1EEEvT1_, .Lfunc_end2181-_ZN7rocprim17ROCPRIM_400000_NS6detail17trampoline_kernelINS0_14default_configENS1_27scan_by_key_config_selectorIj11FixedVectorIiLj8EEEEZZNS1_16scan_by_key_implILNS1_25lookback_scan_determinismE0ELb1ES3_N6thrust23THRUST_200600_302600_NS6detail15normal_iteratorINSB_10device_ptrIjEEEENSD_INSE_IS6_EEEESI_S6_NSB_4plusIvEENSB_8equal_toIvEES6_EE10hipError_tPvRmT2_T3_T4_T5_mT6_T7_P12ihipStream_tbENKUlT_T0_E_clISt17integral_constantIbLb1EES12_IbLb0EEEEDaSY_SZ_EUlSY_E_NS1_11comp_targetILNS1_3genE10ELNS1_11target_archE1200ELNS1_3gpuE4ELNS1_3repE0EEENS1_30default_config_static_selectorELNS0_4arch9wavefront6targetE1EEEvT1_
                                        ; -- End function
	.section	.AMDGPU.csdata,"",@progbits
; Kernel info:
; codeLenInByte = 0
; NumSgprs: 4
; NumVgprs: 0
; NumAgprs: 0
; TotalNumVgprs: 0
; ScratchSize: 0
; MemoryBound: 0
; FloatMode: 240
; IeeeMode: 1
; LDSByteSize: 0 bytes/workgroup (compile time only)
; SGPRBlocks: 0
; VGPRBlocks: 0
; NumSGPRsForWavesPerEU: 4
; NumVGPRsForWavesPerEU: 1
; AccumOffset: 4
; Occupancy: 8
; WaveLimiterHint : 0
; COMPUTE_PGM_RSRC2:SCRATCH_EN: 0
; COMPUTE_PGM_RSRC2:USER_SGPR: 6
; COMPUTE_PGM_RSRC2:TRAP_HANDLER: 0
; COMPUTE_PGM_RSRC2:TGID_X_EN: 1
; COMPUTE_PGM_RSRC2:TGID_Y_EN: 0
; COMPUTE_PGM_RSRC2:TGID_Z_EN: 0
; COMPUTE_PGM_RSRC2:TIDIG_COMP_CNT: 0
; COMPUTE_PGM_RSRC3_GFX90A:ACCUM_OFFSET: 0
; COMPUTE_PGM_RSRC3_GFX90A:TG_SPLIT: 0
	.section	.text._ZN7rocprim17ROCPRIM_400000_NS6detail17trampoline_kernelINS0_14default_configENS1_27scan_by_key_config_selectorIj11FixedVectorIiLj8EEEEZZNS1_16scan_by_key_implILNS1_25lookback_scan_determinismE0ELb1ES3_N6thrust23THRUST_200600_302600_NS6detail15normal_iteratorINSB_10device_ptrIjEEEENSD_INSE_IS6_EEEESI_S6_NSB_4plusIvEENSB_8equal_toIvEES6_EE10hipError_tPvRmT2_T3_T4_T5_mT6_T7_P12ihipStream_tbENKUlT_T0_E_clISt17integral_constantIbLb1EES12_IbLb0EEEEDaSY_SZ_EUlSY_E_NS1_11comp_targetILNS1_3genE9ELNS1_11target_archE1100ELNS1_3gpuE3ELNS1_3repE0EEENS1_30default_config_static_selectorELNS0_4arch9wavefront6targetE1EEEvT1_,"axG",@progbits,_ZN7rocprim17ROCPRIM_400000_NS6detail17trampoline_kernelINS0_14default_configENS1_27scan_by_key_config_selectorIj11FixedVectorIiLj8EEEEZZNS1_16scan_by_key_implILNS1_25lookback_scan_determinismE0ELb1ES3_N6thrust23THRUST_200600_302600_NS6detail15normal_iteratorINSB_10device_ptrIjEEEENSD_INSE_IS6_EEEESI_S6_NSB_4plusIvEENSB_8equal_toIvEES6_EE10hipError_tPvRmT2_T3_T4_T5_mT6_T7_P12ihipStream_tbENKUlT_T0_E_clISt17integral_constantIbLb1EES12_IbLb0EEEEDaSY_SZ_EUlSY_E_NS1_11comp_targetILNS1_3genE9ELNS1_11target_archE1100ELNS1_3gpuE3ELNS1_3repE0EEENS1_30default_config_static_selectorELNS0_4arch9wavefront6targetE1EEEvT1_,comdat
	.protected	_ZN7rocprim17ROCPRIM_400000_NS6detail17trampoline_kernelINS0_14default_configENS1_27scan_by_key_config_selectorIj11FixedVectorIiLj8EEEEZZNS1_16scan_by_key_implILNS1_25lookback_scan_determinismE0ELb1ES3_N6thrust23THRUST_200600_302600_NS6detail15normal_iteratorINSB_10device_ptrIjEEEENSD_INSE_IS6_EEEESI_S6_NSB_4plusIvEENSB_8equal_toIvEES6_EE10hipError_tPvRmT2_T3_T4_T5_mT6_T7_P12ihipStream_tbENKUlT_T0_E_clISt17integral_constantIbLb1EES12_IbLb0EEEEDaSY_SZ_EUlSY_E_NS1_11comp_targetILNS1_3genE9ELNS1_11target_archE1100ELNS1_3gpuE3ELNS1_3repE0EEENS1_30default_config_static_selectorELNS0_4arch9wavefront6targetE1EEEvT1_ ; -- Begin function _ZN7rocprim17ROCPRIM_400000_NS6detail17trampoline_kernelINS0_14default_configENS1_27scan_by_key_config_selectorIj11FixedVectorIiLj8EEEEZZNS1_16scan_by_key_implILNS1_25lookback_scan_determinismE0ELb1ES3_N6thrust23THRUST_200600_302600_NS6detail15normal_iteratorINSB_10device_ptrIjEEEENSD_INSE_IS6_EEEESI_S6_NSB_4plusIvEENSB_8equal_toIvEES6_EE10hipError_tPvRmT2_T3_T4_T5_mT6_T7_P12ihipStream_tbENKUlT_T0_E_clISt17integral_constantIbLb1EES12_IbLb0EEEEDaSY_SZ_EUlSY_E_NS1_11comp_targetILNS1_3genE9ELNS1_11target_archE1100ELNS1_3gpuE3ELNS1_3repE0EEENS1_30default_config_static_selectorELNS0_4arch9wavefront6targetE1EEEvT1_
	.globl	_ZN7rocprim17ROCPRIM_400000_NS6detail17trampoline_kernelINS0_14default_configENS1_27scan_by_key_config_selectorIj11FixedVectorIiLj8EEEEZZNS1_16scan_by_key_implILNS1_25lookback_scan_determinismE0ELb1ES3_N6thrust23THRUST_200600_302600_NS6detail15normal_iteratorINSB_10device_ptrIjEEEENSD_INSE_IS6_EEEESI_S6_NSB_4plusIvEENSB_8equal_toIvEES6_EE10hipError_tPvRmT2_T3_T4_T5_mT6_T7_P12ihipStream_tbENKUlT_T0_E_clISt17integral_constantIbLb1EES12_IbLb0EEEEDaSY_SZ_EUlSY_E_NS1_11comp_targetILNS1_3genE9ELNS1_11target_archE1100ELNS1_3gpuE3ELNS1_3repE0EEENS1_30default_config_static_selectorELNS0_4arch9wavefront6targetE1EEEvT1_
	.p2align	8
	.type	_ZN7rocprim17ROCPRIM_400000_NS6detail17trampoline_kernelINS0_14default_configENS1_27scan_by_key_config_selectorIj11FixedVectorIiLj8EEEEZZNS1_16scan_by_key_implILNS1_25lookback_scan_determinismE0ELb1ES3_N6thrust23THRUST_200600_302600_NS6detail15normal_iteratorINSB_10device_ptrIjEEEENSD_INSE_IS6_EEEESI_S6_NSB_4plusIvEENSB_8equal_toIvEES6_EE10hipError_tPvRmT2_T3_T4_T5_mT6_T7_P12ihipStream_tbENKUlT_T0_E_clISt17integral_constantIbLb1EES12_IbLb0EEEEDaSY_SZ_EUlSY_E_NS1_11comp_targetILNS1_3genE9ELNS1_11target_archE1100ELNS1_3gpuE3ELNS1_3repE0EEENS1_30default_config_static_selectorELNS0_4arch9wavefront6targetE1EEEvT1_,@function
_ZN7rocprim17ROCPRIM_400000_NS6detail17trampoline_kernelINS0_14default_configENS1_27scan_by_key_config_selectorIj11FixedVectorIiLj8EEEEZZNS1_16scan_by_key_implILNS1_25lookback_scan_determinismE0ELb1ES3_N6thrust23THRUST_200600_302600_NS6detail15normal_iteratorINSB_10device_ptrIjEEEENSD_INSE_IS6_EEEESI_S6_NSB_4plusIvEENSB_8equal_toIvEES6_EE10hipError_tPvRmT2_T3_T4_T5_mT6_T7_P12ihipStream_tbENKUlT_T0_E_clISt17integral_constantIbLb1EES12_IbLb0EEEEDaSY_SZ_EUlSY_E_NS1_11comp_targetILNS1_3genE9ELNS1_11target_archE1100ELNS1_3gpuE3ELNS1_3repE0EEENS1_30default_config_static_selectorELNS0_4arch9wavefront6targetE1EEEvT1_: ; @_ZN7rocprim17ROCPRIM_400000_NS6detail17trampoline_kernelINS0_14default_configENS1_27scan_by_key_config_selectorIj11FixedVectorIiLj8EEEEZZNS1_16scan_by_key_implILNS1_25lookback_scan_determinismE0ELb1ES3_N6thrust23THRUST_200600_302600_NS6detail15normal_iteratorINSB_10device_ptrIjEEEENSD_INSE_IS6_EEEESI_S6_NSB_4plusIvEENSB_8equal_toIvEES6_EE10hipError_tPvRmT2_T3_T4_T5_mT6_T7_P12ihipStream_tbENKUlT_T0_E_clISt17integral_constantIbLb1EES12_IbLb0EEEEDaSY_SZ_EUlSY_E_NS1_11comp_targetILNS1_3genE9ELNS1_11target_archE1100ELNS1_3gpuE3ELNS1_3repE0EEENS1_30default_config_static_selectorELNS0_4arch9wavefront6targetE1EEEvT1_
; %bb.0:
	.section	.rodata,"a",@progbits
	.p2align	6, 0x0
	.amdhsa_kernel _ZN7rocprim17ROCPRIM_400000_NS6detail17trampoline_kernelINS0_14default_configENS1_27scan_by_key_config_selectorIj11FixedVectorIiLj8EEEEZZNS1_16scan_by_key_implILNS1_25lookback_scan_determinismE0ELb1ES3_N6thrust23THRUST_200600_302600_NS6detail15normal_iteratorINSB_10device_ptrIjEEEENSD_INSE_IS6_EEEESI_S6_NSB_4plusIvEENSB_8equal_toIvEES6_EE10hipError_tPvRmT2_T3_T4_T5_mT6_T7_P12ihipStream_tbENKUlT_T0_E_clISt17integral_constantIbLb1EES12_IbLb0EEEEDaSY_SZ_EUlSY_E_NS1_11comp_targetILNS1_3genE9ELNS1_11target_archE1100ELNS1_3gpuE3ELNS1_3repE0EEENS1_30default_config_static_selectorELNS0_4arch9wavefront6targetE1EEEvT1_
		.amdhsa_group_segment_fixed_size 0
		.amdhsa_private_segment_fixed_size 0
		.amdhsa_kernarg_size 160
		.amdhsa_user_sgpr_count 6
		.amdhsa_user_sgpr_private_segment_buffer 1
		.amdhsa_user_sgpr_dispatch_ptr 0
		.amdhsa_user_sgpr_queue_ptr 0
		.amdhsa_user_sgpr_kernarg_segment_ptr 1
		.amdhsa_user_sgpr_dispatch_id 0
		.amdhsa_user_sgpr_flat_scratch_init 0
		.amdhsa_user_sgpr_kernarg_preload_length 0
		.amdhsa_user_sgpr_kernarg_preload_offset 0
		.amdhsa_user_sgpr_private_segment_size 0
		.amdhsa_uses_dynamic_stack 0
		.amdhsa_system_sgpr_private_segment_wavefront_offset 0
		.amdhsa_system_sgpr_workgroup_id_x 1
		.amdhsa_system_sgpr_workgroup_id_y 0
		.amdhsa_system_sgpr_workgroup_id_z 0
		.amdhsa_system_sgpr_workgroup_info 0
		.amdhsa_system_vgpr_workitem_id 0
		.amdhsa_next_free_vgpr 1
		.amdhsa_next_free_sgpr 0
		.amdhsa_accum_offset 4
		.amdhsa_reserve_vcc 0
		.amdhsa_reserve_flat_scratch 0
		.amdhsa_float_round_mode_32 0
		.amdhsa_float_round_mode_16_64 0
		.amdhsa_float_denorm_mode_32 3
		.amdhsa_float_denorm_mode_16_64 3
		.amdhsa_dx10_clamp 1
		.amdhsa_ieee_mode 1
		.amdhsa_fp16_overflow 0
		.amdhsa_tg_split 0
		.amdhsa_exception_fp_ieee_invalid_op 0
		.amdhsa_exception_fp_denorm_src 0
		.amdhsa_exception_fp_ieee_div_zero 0
		.amdhsa_exception_fp_ieee_overflow 0
		.amdhsa_exception_fp_ieee_underflow 0
		.amdhsa_exception_fp_ieee_inexact 0
		.amdhsa_exception_int_div_zero 0
	.end_amdhsa_kernel
	.section	.text._ZN7rocprim17ROCPRIM_400000_NS6detail17trampoline_kernelINS0_14default_configENS1_27scan_by_key_config_selectorIj11FixedVectorIiLj8EEEEZZNS1_16scan_by_key_implILNS1_25lookback_scan_determinismE0ELb1ES3_N6thrust23THRUST_200600_302600_NS6detail15normal_iteratorINSB_10device_ptrIjEEEENSD_INSE_IS6_EEEESI_S6_NSB_4plusIvEENSB_8equal_toIvEES6_EE10hipError_tPvRmT2_T3_T4_T5_mT6_T7_P12ihipStream_tbENKUlT_T0_E_clISt17integral_constantIbLb1EES12_IbLb0EEEEDaSY_SZ_EUlSY_E_NS1_11comp_targetILNS1_3genE9ELNS1_11target_archE1100ELNS1_3gpuE3ELNS1_3repE0EEENS1_30default_config_static_selectorELNS0_4arch9wavefront6targetE1EEEvT1_,"axG",@progbits,_ZN7rocprim17ROCPRIM_400000_NS6detail17trampoline_kernelINS0_14default_configENS1_27scan_by_key_config_selectorIj11FixedVectorIiLj8EEEEZZNS1_16scan_by_key_implILNS1_25lookback_scan_determinismE0ELb1ES3_N6thrust23THRUST_200600_302600_NS6detail15normal_iteratorINSB_10device_ptrIjEEEENSD_INSE_IS6_EEEESI_S6_NSB_4plusIvEENSB_8equal_toIvEES6_EE10hipError_tPvRmT2_T3_T4_T5_mT6_T7_P12ihipStream_tbENKUlT_T0_E_clISt17integral_constantIbLb1EES12_IbLb0EEEEDaSY_SZ_EUlSY_E_NS1_11comp_targetILNS1_3genE9ELNS1_11target_archE1100ELNS1_3gpuE3ELNS1_3repE0EEENS1_30default_config_static_selectorELNS0_4arch9wavefront6targetE1EEEvT1_,comdat
.Lfunc_end2182:
	.size	_ZN7rocprim17ROCPRIM_400000_NS6detail17trampoline_kernelINS0_14default_configENS1_27scan_by_key_config_selectorIj11FixedVectorIiLj8EEEEZZNS1_16scan_by_key_implILNS1_25lookback_scan_determinismE0ELb1ES3_N6thrust23THRUST_200600_302600_NS6detail15normal_iteratorINSB_10device_ptrIjEEEENSD_INSE_IS6_EEEESI_S6_NSB_4plusIvEENSB_8equal_toIvEES6_EE10hipError_tPvRmT2_T3_T4_T5_mT6_T7_P12ihipStream_tbENKUlT_T0_E_clISt17integral_constantIbLb1EES12_IbLb0EEEEDaSY_SZ_EUlSY_E_NS1_11comp_targetILNS1_3genE9ELNS1_11target_archE1100ELNS1_3gpuE3ELNS1_3repE0EEENS1_30default_config_static_selectorELNS0_4arch9wavefront6targetE1EEEvT1_, .Lfunc_end2182-_ZN7rocprim17ROCPRIM_400000_NS6detail17trampoline_kernelINS0_14default_configENS1_27scan_by_key_config_selectorIj11FixedVectorIiLj8EEEEZZNS1_16scan_by_key_implILNS1_25lookback_scan_determinismE0ELb1ES3_N6thrust23THRUST_200600_302600_NS6detail15normal_iteratorINSB_10device_ptrIjEEEENSD_INSE_IS6_EEEESI_S6_NSB_4plusIvEENSB_8equal_toIvEES6_EE10hipError_tPvRmT2_T3_T4_T5_mT6_T7_P12ihipStream_tbENKUlT_T0_E_clISt17integral_constantIbLb1EES12_IbLb0EEEEDaSY_SZ_EUlSY_E_NS1_11comp_targetILNS1_3genE9ELNS1_11target_archE1100ELNS1_3gpuE3ELNS1_3repE0EEENS1_30default_config_static_selectorELNS0_4arch9wavefront6targetE1EEEvT1_
                                        ; -- End function
	.section	.AMDGPU.csdata,"",@progbits
; Kernel info:
; codeLenInByte = 0
; NumSgprs: 4
; NumVgprs: 0
; NumAgprs: 0
; TotalNumVgprs: 0
; ScratchSize: 0
; MemoryBound: 0
; FloatMode: 240
; IeeeMode: 1
; LDSByteSize: 0 bytes/workgroup (compile time only)
; SGPRBlocks: 0
; VGPRBlocks: 0
; NumSGPRsForWavesPerEU: 4
; NumVGPRsForWavesPerEU: 1
; AccumOffset: 4
; Occupancy: 8
; WaveLimiterHint : 0
; COMPUTE_PGM_RSRC2:SCRATCH_EN: 0
; COMPUTE_PGM_RSRC2:USER_SGPR: 6
; COMPUTE_PGM_RSRC2:TRAP_HANDLER: 0
; COMPUTE_PGM_RSRC2:TGID_X_EN: 1
; COMPUTE_PGM_RSRC2:TGID_Y_EN: 0
; COMPUTE_PGM_RSRC2:TGID_Z_EN: 0
; COMPUTE_PGM_RSRC2:TIDIG_COMP_CNT: 0
; COMPUTE_PGM_RSRC3_GFX90A:ACCUM_OFFSET: 0
; COMPUTE_PGM_RSRC3_GFX90A:TG_SPLIT: 0
	.section	.text._ZN7rocprim17ROCPRIM_400000_NS6detail17trampoline_kernelINS0_14default_configENS1_27scan_by_key_config_selectorIj11FixedVectorIiLj8EEEEZZNS1_16scan_by_key_implILNS1_25lookback_scan_determinismE0ELb1ES3_N6thrust23THRUST_200600_302600_NS6detail15normal_iteratorINSB_10device_ptrIjEEEENSD_INSE_IS6_EEEESI_S6_NSB_4plusIvEENSB_8equal_toIvEES6_EE10hipError_tPvRmT2_T3_T4_T5_mT6_T7_P12ihipStream_tbENKUlT_T0_E_clISt17integral_constantIbLb1EES12_IbLb0EEEEDaSY_SZ_EUlSY_E_NS1_11comp_targetILNS1_3genE8ELNS1_11target_archE1030ELNS1_3gpuE2ELNS1_3repE0EEENS1_30default_config_static_selectorELNS0_4arch9wavefront6targetE1EEEvT1_,"axG",@progbits,_ZN7rocprim17ROCPRIM_400000_NS6detail17trampoline_kernelINS0_14default_configENS1_27scan_by_key_config_selectorIj11FixedVectorIiLj8EEEEZZNS1_16scan_by_key_implILNS1_25lookback_scan_determinismE0ELb1ES3_N6thrust23THRUST_200600_302600_NS6detail15normal_iteratorINSB_10device_ptrIjEEEENSD_INSE_IS6_EEEESI_S6_NSB_4plusIvEENSB_8equal_toIvEES6_EE10hipError_tPvRmT2_T3_T4_T5_mT6_T7_P12ihipStream_tbENKUlT_T0_E_clISt17integral_constantIbLb1EES12_IbLb0EEEEDaSY_SZ_EUlSY_E_NS1_11comp_targetILNS1_3genE8ELNS1_11target_archE1030ELNS1_3gpuE2ELNS1_3repE0EEENS1_30default_config_static_selectorELNS0_4arch9wavefront6targetE1EEEvT1_,comdat
	.protected	_ZN7rocprim17ROCPRIM_400000_NS6detail17trampoline_kernelINS0_14default_configENS1_27scan_by_key_config_selectorIj11FixedVectorIiLj8EEEEZZNS1_16scan_by_key_implILNS1_25lookback_scan_determinismE0ELb1ES3_N6thrust23THRUST_200600_302600_NS6detail15normal_iteratorINSB_10device_ptrIjEEEENSD_INSE_IS6_EEEESI_S6_NSB_4plusIvEENSB_8equal_toIvEES6_EE10hipError_tPvRmT2_T3_T4_T5_mT6_T7_P12ihipStream_tbENKUlT_T0_E_clISt17integral_constantIbLb1EES12_IbLb0EEEEDaSY_SZ_EUlSY_E_NS1_11comp_targetILNS1_3genE8ELNS1_11target_archE1030ELNS1_3gpuE2ELNS1_3repE0EEENS1_30default_config_static_selectorELNS0_4arch9wavefront6targetE1EEEvT1_ ; -- Begin function _ZN7rocprim17ROCPRIM_400000_NS6detail17trampoline_kernelINS0_14default_configENS1_27scan_by_key_config_selectorIj11FixedVectorIiLj8EEEEZZNS1_16scan_by_key_implILNS1_25lookback_scan_determinismE0ELb1ES3_N6thrust23THRUST_200600_302600_NS6detail15normal_iteratorINSB_10device_ptrIjEEEENSD_INSE_IS6_EEEESI_S6_NSB_4plusIvEENSB_8equal_toIvEES6_EE10hipError_tPvRmT2_T3_T4_T5_mT6_T7_P12ihipStream_tbENKUlT_T0_E_clISt17integral_constantIbLb1EES12_IbLb0EEEEDaSY_SZ_EUlSY_E_NS1_11comp_targetILNS1_3genE8ELNS1_11target_archE1030ELNS1_3gpuE2ELNS1_3repE0EEENS1_30default_config_static_selectorELNS0_4arch9wavefront6targetE1EEEvT1_
	.globl	_ZN7rocprim17ROCPRIM_400000_NS6detail17trampoline_kernelINS0_14default_configENS1_27scan_by_key_config_selectorIj11FixedVectorIiLj8EEEEZZNS1_16scan_by_key_implILNS1_25lookback_scan_determinismE0ELb1ES3_N6thrust23THRUST_200600_302600_NS6detail15normal_iteratorINSB_10device_ptrIjEEEENSD_INSE_IS6_EEEESI_S6_NSB_4plusIvEENSB_8equal_toIvEES6_EE10hipError_tPvRmT2_T3_T4_T5_mT6_T7_P12ihipStream_tbENKUlT_T0_E_clISt17integral_constantIbLb1EES12_IbLb0EEEEDaSY_SZ_EUlSY_E_NS1_11comp_targetILNS1_3genE8ELNS1_11target_archE1030ELNS1_3gpuE2ELNS1_3repE0EEENS1_30default_config_static_selectorELNS0_4arch9wavefront6targetE1EEEvT1_
	.p2align	8
	.type	_ZN7rocprim17ROCPRIM_400000_NS6detail17trampoline_kernelINS0_14default_configENS1_27scan_by_key_config_selectorIj11FixedVectorIiLj8EEEEZZNS1_16scan_by_key_implILNS1_25lookback_scan_determinismE0ELb1ES3_N6thrust23THRUST_200600_302600_NS6detail15normal_iteratorINSB_10device_ptrIjEEEENSD_INSE_IS6_EEEESI_S6_NSB_4plusIvEENSB_8equal_toIvEES6_EE10hipError_tPvRmT2_T3_T4_T5_mT6_T7_P12ihipStream_tbENKUlT_T0_E_clISt17integral_constantIbLb1EES12_IbLb0EEEEDaSY_SZ_EUlSY_E_NS1_11comp_targetILNS1_3genE8ELNS1_11target_archE1030ELNS1_3gpuE2ELNS1_3repE0EEENS1_30default_config_static_selectorELNS0_4arch9wavefront6targetE1EEEvT1_,@function
_ZN7rocprim17ROCPRIM_400000_NS6detail17trampoline_kernelINS0_14default_configENS1_27scan_by_key_config_selectorIj11FixedVectorIiLj8EEEEZZNS1_16scan_by_key_implILNS1_25lookback_scan_determinismE0ELb1ES3_N6thrust23THRUST_200600_302600_NS6detail15normal_iteratorINSB_10device_ptrIjEEEENSD_INSE_IS6_EEEESI_S6_NSB_4plusIvEENSB_8equal_toIvEES6_EE10hipError_tPvRmT2_T3_T4_T5_mT6_T7_P12ihipStream_tbENKUlT_T0_E_clISt17integral_constantIbLb1EES12_IbLb0EEEEDaSY_SZ_EUlSY_E_NS1_11comp_targetILNS1_3genE8ELNS1_11target_archE1030ELNS1_3gpuE2ELNS1_3repE0EEENS1_30default_config_static_selectorELNS0_4arch9wavefront6targetE1EEEvT1_: ; @_ZN7rocprim17ROCPRIM_400000_NS6detail17trampoline_kernelINS0_14default_configENS1_27scan_by_key_config_selectorIj11FixedVectorIiLj8EEEEZZNS1_16scan_by_key_implILNS1_25lookback_scan_determinismE0ELb1ES3_N6thrust23THRUST_200600_302600_NS6detail15normal_iteratorINSB_10device_ptrIjEEEENSD_INSE_IS6_EEEESI_S6_NSB_4plusIvEENSB_8equal_toIvEES6_EE10hipError_tPvRmT2_T3_T4_T5_mT6_T7_P12ihipStream_tbENKUlT_T0_E_clISt17integral_constantIbLb1EES12_IbLb0EEEEDaSY_SZ_EUlSY_E_NS1_11comp_targetILNS1_3genE8ELNS1_11target_archE1030ELNS1_3gpuE2ELNS1_3repE0EEENS1_30default_config_static_selectorELNS0_4arch9wavefront6targetE1EEEvT1_
; %bb.0:
	.section	.rodata,"a",@progbits
	.p2align	6, 0x0
	.amdhsa_kernel _ZN7rocprim17ROCPRIM_400000_NS6detail17trampoline_kernelINS0_14default_configENS1_27scan_by_key_config_selectorIj11FixedVectorIiLj8EEEEZZNS1_16scan_by_key_implILNS1_25lookback_scan_determinismE0ELb1ES3_N6thrust23THRUST_200600_302600_NS6detail15normal_iteratorINSB_10device_ptrIjEEEENSD_INSE_IS6_EEEESI_S6_NSB_4plusIvEENSB_8equal_toIvEES6_EE10hipError_tPvRmT2_T3_T4_T5_mT6_T7_P12ihipStream_tbENKUlT_T0_E_clISt17integral_constantIbLb1EES12_IbLb0EEEEDaSY_SZ_EUlSY_E_NS1_11comp_targetILNS1_3genE8ELNS1_11target_archE1030ELNS1_3gpuE2ELNS1_3repE0EEENS1_30default_config_static_selectorELNS0_4arch9wavefront6targetE1EEEvT1_
		.amdhsa_group_segment_fixed_size 0
		.amdhsa_private_segment_fixed_size 0
		.amdhsa_kernarg_size 160
		.amdhsa_user_sgpr_count 6
		.amdhsa_user_sgpr_private_segment_buffer 1
		.amdhsa_user_sgpr_dispatch_ptr 0
		.amdhsa_user_sgpr_queue_ptr 0
		.amdhsa_user_sgpr_kernarg_segment_ptr 1
		.amdhsa_user_sgpr_dispatch_id 0
		.amdhsa_user_sgpr_flat_scratch_init 0
		.amdhsa_user_sgpr_kernarg_preload_length 0
		.amdhsa_user_sgpr_kernarg_preload_offset 0
		.amdhsa_user_sgpr_private_segment_size 0
		.amdhsa_uses_dynamic_stack 0
		.amdhsa_system_sgpr_private_segment_wavefront_offset 0
		.amdhsa_system_sgpr_workgroup_id_x 1
		.amdhsa_system_sgpr_workgroup_id_y 0
		.amdhsa_system_sgpr_workgroup_id_z 0
		.amdhsa_system_sgpr_workgroup_info 0
		.amdhsa_system_vgpr_workitem_id 0
		.amdhsa_next_free_vgpr 1
		.amdhsa_next_free_sgpr 0
		.amdhsa_accum_offset 4
		.amdhsa_reserve_vcc 0
		.amdhsa_reserve_flat_scratch 0
		.amdhsa_float_round_mode_32 0
		.amdhsa_float_round_mode_16_64 0
		.amdhsa_float_denorm_mode_32 3
		.amdhsa_float_denorm_mode_16_64 3
		.amdhsa_dx10_clamp 1
		.amdhsa_ieee_mode 1
		.amdhsa_fp16_overflow 0
		.amdhsa_tg_split 0
		.amdhsa_exception_fp_ieee_invalid_op 0
		.amdhsa_exception_fp_denorm_src 0
		.amdhsa_exception_fp_ieee_div_zero 0
		.amdhsa_exception_fp_ieee_overflow 0
		.amdhsa_exception_fp_ieee_underflow 0
		.amdhsa_exception_fp_ieee_inexact 0
		.amdhsa_exception_int_div_zero 0
	.end_amdhsa_kernel
	.section	.text._ZN7rocprim17ROCPRIM_400000_NS6detail17trampoline_kernelINS0_14default_configENS1_27scan_by_key_config_selectorIj11FixedVectorIiLj8EEEEZZNS1_16scan_by_key_implILNS1_25lookback_scan_determinismE0ELb1ES3_N6thrust23THRUST_200600_302600_NS6detail15normal_iteratorINSB_10device_ptrIjEEEENSD_INSE_IS6_EEEESI_S6_NSB_4plusIvEENSB_8equal_toIvEES6_EE10hipError_tPvRmT2_T3_T4_T5_mT6_T7_P12ihipStream_tbENKUlT_T0_E_clISt17integral_constantIbLb1EES12_IbLb0EEEEDaSY_SZ_EUlSY_E_NS1_11comp_targetILNS1_3genE8ELNS1_11target_archE1030ELNS1_3gpuE2ELNS1_3repE0EEENS1_30default_config_static_selectorELNS0_4arch9wavefront6targetE1EEEvT1_,"axG",@progbits,_ZN7rocprim17ROCPRIM_400000_NS6detail17trampoline_kernelINS0_14default_configENS1_27scan_by_key_config_selectorIj11FixedVectorIiLj8EEEEZZNS1_16scan_by_key_implILNS1_25lookback_scan_determinismE0ELb1ES3_N6thrust23THRUST_200600_302600_NS6detail15normal_iteratorINSB_10device_ptrIjEEEENSD_INSE_IS6_EEEESI_S6_NSB_4plusIvEENSB_8equal_toIvEES6_EE10hipError_tPvRmT2_T3_T4_T5_mT6_T7_P12ihipStream_tbENKUlT_T0_E_clISt17integral_constantIbLb1EES12_IbLb0EEEEDaSY_SZ_EUlSY_E_NS1_11comp_targetILNS1_3genE8ELNS1_11target_archE1030ELNS1_3gpuE2ELNS1_3repE0EEENS1_30default_config_static_selectorELNS0_4arch9wavefront6targetE1EEEvT1_,comdat
.Lfunc_end2183:
	.size	_ZN7rocprim17ROCPRIM_400000_NS6detail17trampoline_kernelINS0_14default_configENS1_27scan_by_key_config_selectorIj11FixedVectorIiLj8EEEEZZNS1_16scan_by_key_implILNS1_25lookback_scan_determinismE0ELb1ES3_N6thrust23THRUST_200600_302600_NS6detail15normal_iteratorINSB_10device_ptrIjEEEENSD_INSE_IS6_EEEESI_S6_NSB_4plusIvEENSB_8equal_toIvEES6_EE10hipError_tPvRmT2_T3_T4_T5_mT6_T7_P12ihipStream_tbENKUlT_T0_E_clISt17integral_constantIbLb1EES12_IbLb0EEEEDaSY_SZ_EUlSY_E_NS1_11comp_targetILNS1_3genE8ELNS1_11target_archE1030ELNS1_3gpuE2ELNS1_3repE0EEENS1_30default_config_static_selectorELNS0_4arch9wavefront6targetE1EEEvT1_, .Lfunc_end2183-_ZN7rocprim17ROCPRIM_400000_NS6detail17trampoline_kernelINS0_14default_configENS1_27scan_by_key_config_selectorIj11FixedVectorIiLj8EEEEZZNS1_16scan_by_key_implILNS1_25lookback_scan_determinismE0ELb1ES3_N6thrust23THRUST_200600_302600_NS6detail15normal_iteratorINSB_10device_ptrIjEEEENSD_INSE_IS6_EEEESI_S6_NSB_4plusIvEENSB_8equal_toIvEES6_EE10hipError_tPvRmT2_T3_T4_T5_mT6_T7_P12ihipStream_tbENKUlT_T0_E_clISt17integral_constantIbLb1EES12_IbLb0EEEEDaSY_SZ_EUlSY_E_NS1_11comp_targetILNS1_3genE8ELNS1_11target_archE1030ELNS1_3gpuE2ELNS1_3repE0EEENS1_30default_config_static_selectorELNS0_4arch9wavefront6targetE1EEEvT1_
                                        ; -- End function
	.section	.AMDGPU.csdata,"",@progbits
; Kernel info:
; codeLenInByte = 0
; NumSgprs: 4
; NumVgprs: 0
; NumAgprs: 0
; TotalNumVgprs: 0
; ScratchSize: 0
; MemoryBound: 0
; FloatMode: 240
; IeeeMode: 1
; LDSByteSize: 0 bytes/workgroup (compile time only)
; SGPRBlocks: 0
; VGPRBlocks: 0
; NumSGPRsForWavesPerEU: 4
; NumVGPRsForWavesPerEU: 1
; AccumOffset: 4
; Occupancy: 8
; WaveLimiterHint : 0
; COMPUTE_PGM_RSRC2:SCRATCH_EN: 0
; COMPUTE_PGM_RSRC2:USER_SGPR: 6
; COMPUTE_PGM_RSRC2:TRAP_HANDLER: 0
; COMPUTE_PGM_RSRC2:TGID_X_EN: 1
; COMPUTE_PGM_RSRC2:TGID_Y_EN: 0
; COMPUTE_PGM_RSRC2:TGID_Z_EN: 0
; COMPUTE_PGM_RSRC2:TIDIG_COMP_CNT: 0
; COMPUTE_PGM_RSRC3_GFX90A:ACCUM_OFFSET: 0
; COMPUTE_PGM_RSRC3_GFX90A:TG_SPLIT: 0
	.section	.text._ZN7rocprim17ROCPRIM_400000_NS6detail17trampoline_kernelINS0_14default_configENS1_27scan_by_key_config_selectorIj11FixedVectorIiLj8EEEEZZNS1_16scan_by_key_implILNS1_25lookback_scan_determinismE0ELb1ES3_N6thrust23THRUST_200600_302600_NS6detail15normal_iteratorINSB_10device_ptrIjEEEENSD_INSE_IS6_EEEESI_S6_NSB_4plusIvEENSB_8equal_toIvEES6_EE10hipError_tPvRmT2_T3_T4_T5_mT6_T7_P12ihipStream_tbENKUlT_T0_E_clISt17integral_constantIbLb0EES12_IbLb1EEEEDaSY_SZ_EUlSY_E_NS1_11comp_targetILNS1_3genE0ELNS1_11target_archE4294967295ELNS1_3gpuE0ELNS1_3repE0EEENS1_30default_config_static_selectorELNS0_4arch9wavefront6targetE1EEEvT1_,"axG",@progbits,_ZN7rocprim17ROCPRIM_400000_NS6detail17trampoline_kernelINS0_14default_configENS1_27scan_by_key_config_selectorIj11FixedVectorIiLj8EEEEZZNS1_16scan_by_key_implILNS1_25lookback_scan_determinismE0ELb1ES3_N6thrust23THRUST_200600_302600_NS6detail15normal_iteratorINSB_10device_ptrIjEEEENSD_INSE_IS6_EEEESI_S6_NSB_4plusIvEENSB_8equal_toIvEES6_EE10hipError_tPvRmT2_T3_T4_T5_mT6_T7_P12ihipStream_tbENKUlT_T0_E_clISt17integral_constantIbLb0EES12_IbLb1EEEEDaSY_SZ_EUlSY_E_NS1_11comp_targetILNS1_3genE0ELNS1_11target_archE4294967295ELNS1_3gpuE0ELNS1_3repE0EEENS1_30default_config_static_selectorELNS0_4arch9wavefront6targetE1EEEvT1_,comdat
	.protected	_ZN7rocprim17ROCPRIM_400000_NS6detail17trampoline_kernelINS0_14default_configENS1_27scan_by_key_config_selectorIj11FixedVectorIiLj8EEEEZZNS1_16scan_by_key_implILNS1_25lookback_scan_determinismE0ELb1ES3_N6thrust23THRUST_200600_302600_NS6detail15normal_iteratorINSB_10device_ptrIjEEEENSD_INSE_IS6_EEEESI_S6_NSB_4plusIvEENSB_8equal_toIvEES6_EE10hipError_tPvRmT2_T3_T4_T5_mT6_T7_P12ihipStream_tbENKUlT_T0_E_clISt17integral_constantIbLb0EES12_IbLb1EEEEDaSY_SZ_EUlSY_E_NS1_11comp_targetILNS1_3genE0ELNS1_11target_archE4294967295ELNS1_3gpuE0ELNS1_3repE0EEENS1_30default_config_static_selectorELNS0_4arch9wavefront6targetE1EEEvT1_ ; -- Begin function _ZN7rocprim17ROCPRIM_400000_NS6detail17trampoline_kernelINS0_14default_configENS1_27scan_by_key_config_selectorIj11FixedVectorIiLj8EEEEZZNS1_16scan_by_key_implILNS1_25lookback_scan_determinismE0ELb1ES3_N6thrust23THRUST_200600_302600_NS6detail15normal_iteratorINSB_10device_ptrIjEEEENSD_INSE_IS6_EEEESI_S6_NSB_4plusIvEENSB_8equal_toIvEES6_EE10hipError_tPvRmT2_T3_T4_T5_mT6_T7_P12ihipStream_tbENKUlT_T0_E_clISt17integral_constantIbLb0EES12_IbLb1EEEEDaSY_SZ_EUlSY_E_NS1_11comp_targetILNS1_3genE0ELNS1_11target_archE4294967295ELNS1_3gpuE0ELNS1_3repE0EEENS1_30default_config_static_selectorELNS0_4arch9wavefront6targetE1EEEvT1_
	.globl	_ZN7rocprim17ROCPRIM_400000_NS6detail17trampoline_kernelINS0_14default_configENS1_27scan_by_key_config_selectorIj11FixedVectorIiLj8EEEEZZNS1_16scan_by_key_implILNS1_25lookback_scan_determinismE0ELb1ES3_N6thrust23THRUST_200600_302600_NS6detail15normal_iteratorINSB_10device_ptrIjEEEENSD_INSE_IS6_EEEESI_S6_NSB_4plusIvEENSB_8equal_toIvEES6_EE10hipError_tPvRmT2_T3_T4_T5_mT6_T7_P12ihipStream_tbENKUlT_T0_E_clISt17integral_constantIbLb0EES12_IbLb1EEEEDaSY_SZ_EUlSY_E_NS1_11comp_targetILNS1_3genE0ELNS1_11target_archE4294967295ELNS1_3gpuE0ELNS1_3repE0EEENS1_30default_config_static_selectorELNS0_4arch9wavefront6targetE1EEEvT1_
	.p2align	8
	.type	_ZN7rocprim17ROCPRIM_400000_NS6detail17trampoline_kernelINS0_14default_configENS1_27scan_by_key_config_selectorIj11FixedVectorIiLj8EEEEZZNS1_16scan_by_key_implILNS1_25lookback_scan_determinismE0ELb1ES3_N6thrust23THRUST_200600_302600_NS6detail15normal_iteratorINSB_10device_ptrIjEEEENSD_INSE_IS6_EEEESI_S6_NSB_4plusIvEENSB_8equal_toIvEES6_EE10hipError_tPvRmT2_T3_T4_T5_mT6_T7_P12ihipStream_tbENKUlT_T0_E_clISt17integral_constantIbLb0EES12_IbLb1EEEEDaSY_SZ_EUlSY_E_NS1_11comp_targetILNS1_3genE0ELNS1_11target_archE4294967295ELNS1_3gpuE0ELNS1_3repE0EEENS1_30default_config_static_selectorELNS0_4arch9wavefront6targetE1EEEvT1_,@function
_ZN7rocprim17ROCPRIM_400000_NS6detail17trampoline_kernelINS0_14default_configENS1_27scan_by_key_config_selectorIj11FixedVectorIiLj8EEEEZZNS1_16scan_by_key_implILNS1_25lookback_scan_determinismE0ELb1ES3_N6thrust23THRUST_200600_302600_NS6detail15normal_iteratorINSB_10device_ptrIjEEEENSD_INSE_IS6_EEEESI_S6_NSB_4plusIvEENSB_8equal_toIvEES6_EE10hipError_tPvRmT2_T3_T4_T5_mT6_T7_P12ihipStream_tbENKUlT_T0_E_clISt17integral_constantIbLb0EES12_IbLb1EEEEDaSY_SZ_EUlSY_E_NS1_11comp_targetILNS1_3genE0ELNS1_11target_archE4294967295ELNS1_3gpuE0ELNS1_3repE0EEENS1_30default_config_static_selectorELNS0_4arch9wavefront6targetE1EEEvT1_: ; @_ZN7rocprim17ROCPRIM_400000_NS6detail17trampoline_kernelINS0_14default_configENS1_27scan_by_key_config_selectorIj11FixedVectorIiLj8EEEEZZNS1_16scan_by_key_implILNS1_25lookback_scan_determinismE0ELb1ES3_N6thrust23THRUST_200600_302600_NS6detail15normal_iteratorINSB_10device_ptrIjEEEENSD_INSE_IS6_EEEESI_S6_NSB_4plusIvEENSB_8equal_toIvEES6_EE10hipError_tPvRmT2_T3_T4_T5_mT6_T7_P12ihipStream_tbENKUlT_T0_E_clISt17integral_constantIbLb0EES12_IbLb1EEEEDaSY_SZ_EUlSY_E_NS1_11comp_targetILNS1_3genE0ELNS1_11target_archE4294967295ELNS1_3gpuE0ELNS1_3repE0EEENS1_30default_config_static_selectorELNS0_4arch9wavefront6targetE1EEEvT1_
; %bb.0:
	.section	.rodata,"a",@progbits
	.p2align	6, 0x0
	.amdhsa_kernel _ZN7rocprim17ROCPRIM_400000_NS6detail17trampoline_kernelINS0_14default_configENS1_27scan_by_key_config_selectorIj11FixedVectorIiLj8EEEEZZNS1_16scan_by_key_implILNS1_25lookback_scan_determinismE0ELb1ES3_N6thrust23THRUST_200600_302600_NS6detail15normal_iteratorINSB_10device_ptrIjEEEENSD_INSE_IS6_EEEESI_S6_NSB_4plusIvEENSB_8equal_toIvEES6_EE10hipError_tPvRmT2_T3_T4_T5_mT6_T7_P12ihipStream_tbENKUlT_T0_E_clISt17integral_constantIbLb0EES12_IbLb1EEEEDaSY_SZ_EUlSY_E_NS1_11comp_targetILNS1_3genE0ELNS1_11target_archE4294967295ELNS1_3gpuE0ELNS1_3repE0EEENS1_30default_config_static_selectorELNS0_4arch9wavefront6targetE1EEEvT1_
		.amdhsa_group_segment_fixed_size 0
		.amdhsa_private_segment_fixed_size 0
		.amdhsa_kernarg_size 160
		.amdhsa_user_sgpr_count 6
		.amdhsa_user_sgpr_private_segment_buffer 1
		.amdhsa_user_sgpr_dispatch_ptr 0
		.amdhsa_user_sgpr_queue_ptr 0
		.amdhsa_user_sgpr_kernarg_segment_ptr 1
		.amdhsa_user_sgpr_dispatch_id 0
		.amdhsa_user_sgpr_flat_scratch_init 0
		.amdhsa_user_sgpr_kernarg_preload_length 0
		.amdhsa_user_sgpr_kernarg_preload_offset 0
		.amdhsa_user_sgpr_private_segment_size 0
		.amdhsa_uses_dynamic_stack 0
		.amdhsa_system_sgpr_private_segment_wavefront_offset 0
		.amdhsa_system_sgpr_workgroup_id_x 1
		.amdhsa_system_sgpr_workgroup_id_y 0
		.amdhsa_system_sgpr_workgroup_id_z 0
		.amdhsa_system_sgpr_workgroup_info 0
		.amdhsa_system_vgpr_workitem_id 0
		.amdhsa_next_free_vgpr 1
		.amdhsa_next_free_sgpr 0
		.amdhsa_accum_offset 4
		.amdhsa_reserve_vcc 0
		.amdhsa_reserve_flat_scratch 0
		.amdhsa_float_round_mode_32 0
		.amdhsa_float_round_mode_16_64 0
		.amdhsa_float_denorm_mode_32 3
		.amdhsa_float_denorm_mode_16_64 3
		.amdhsa_dx10_clamp 1
		.amdhsa_ieee_mode 1
		.amdhsa_fp16_overflow 0
		.amdhsa_tg_split 0
		.amdhsa_exception_fp_ieee_invalid_op 0
		.amdhsa_exception_fp_denorm_src 0
		.amdhsa_exception_fp_ieee_div_zero 0
		.amdhsa_exception_fp_ieee_overflow 0
		.amdhsa_exception_fp_ieee_underflow 0
		.amdhsa_exception_fp_ieee_inexact 0
		.amdhsa_exception_int_div_zero 0
	.end_amdhsa_kernel
	.section	.text._ZN7rocprim17ROCPRIM_400000_NS6detail17trampoline_kernelINS0_14default_configENS1_27scan_by_key_config_selectorIj11FixedVectorIiLj8EEEEZZNS1_16scan_by_key_implILNS1_25lookback_scan_determinismE0ELb1ES3_N6thrust23THRUST_200600_302600_NS6detail15normal_iteratorINSB_10device_ptrIjEEEENSD_INSE_IS6_EEEESI_S6_NSB_4plusIvEENSB_8equal_toIvEES6_EE10hipError_tPvRmT2_T3_T4_T5_mT6_T7_P12ihipStream_tbENKUlT_T0_E_clISt17integral_constantIbLb0EES12_IbLb1EEEEDaSY_SZ_EUlSY_E_NS1_11comp_targetILNS1_3genE0ELNS1_11target_archE4294967295ELNS1_3gpuE0ELNS1_3repE0EEENS1_30default_config_static_selectorELNS0_4arch9wavefront6targetE1EEEvT1_,"axG",@progbits,_ZN7rocprim17ROCPRIM_400000_NS6detail17trampoline_kernelINS0_14default_configENS1_27scan_by_key_config_selectorIj11FixedVectorIiLj8EEEEZZNS1_16scan_by_key_implILNS1_25lookback_scan_determinismE0ELb1ES3_N6thrust23THRUST_200600_302600_NS6detail15normal_iteratorINSB_10device_ptrIjEEEENSD_INSE_IS6_EEEESI_S6_NSB_4plusIvEENSB_8equal_toIvEES6_EE10hipError_tPvRmT2_T3_T4_T5_mT6_T7_P12ihipStream_tbENKUlT_T0_E_clISt17integral_constantIbLb0EES12_IbLb1EEEEDaSY_SZ_EUlSY_E_NS1_11comp_targetILNS1_3genE0ELNS1_11target_archE4294967295ELNS1_3gpuE0ELNS1_3repE0EEENS1_30default_config_static_selectorELNS0_4arch9wavefront6targetE1EEEvT1_,comdat
.Lfunc_end2184:
	.size	_ZN7rocprim17ROCPRIM_400000_NS6detail17trampoline_kernelINS0_14default_configENS1_27scan_by_key_config_selectorIj11FixedVectorIiLj8EEEEZZNS1_16scan_by_key_implILNS1_25lookback_scan_determinismE0ELb1ES3_N6thrust23THRUST_200600_302600_NS6detail15normal_iteratorINSB_10device_ptrIjEEEENSD_INSE_IS6_EEEESI_S6_NSB_4plusIvEENSB_8equal_toIvEES6_EE10hipError_tPvRmT2_T3_T4_T5_mT6_T7_P12ihipStream_tbENKUlT_T0_E_clISt17integral_constantIbLb0EES12_IbLb1EEEEDaSY_SZ_EUlSY_E_NS1_11comp_targetILNS1_3genE0ELNS1_11target_archE4294967295ELNS1_3gpuE0ELNS1_3repE0EEENS1_30default_config_static_selectorELNS0_4arch9wavefront6targetE1EEEvT1_, .Lfunc_end2184-_ZN7rocprim17ROCPRIM_400000_NS6detail17trampoline_kernelINS0_14default_configENS1_27scan_by_key_config_selectorIj11FixedVectorIiLj8EEEEZZNS1_16scan_by_key_implILNS1_25lookback_scan_determinismE0ELb1ES3_N6thrust23THRUST_200600_302600_NS6detail15normal_iteratorINSB_10device_ptrIjEEEENSD_INSE_IS6_EEEESI_S6_NSB_4plusIvEENSB_8equal_toIvEES6_EE10hipError_tPvRmT2_T3_T4_T5_mT6_T7_P12ihipStream_tbENKUlT_T0_E_clISt17integral_constantIbLb0EES12_IbLb1EEEEDaSY_SZ_EUlSY_E_NS1_11comp_targetILNS1_3genE0ELNS1_11target_archE4294967295ELNS1_3gpuE0ELNS1_3repE0EEENS1_30default_config_static_selectorELNS0_4arch9wavefront6targetE1EEEvT1_
                                        ; -- End function
	.section	.AMDGPU.csdata,"",@progbits
; Kernel info:
; codeLenInByte = 0
; NumSgprs: 4
; NumVgprs: 0
; NumAgprs: 0
; TotalNumVgprs: 0
; ScratchSize: 0
; MemoryBound: 0
; FloatMode: 240
; IeeeMode: 1
; LDSByteSize: 0 bytes/workgroup (compile time only)
; SGPRBlocks: 0
; VGPRBlocks: 0
; NumSGPRsForWavesPerEU: 4
; NumVGPRsForWavesPerEU: 1
; AccumOffset: 4
; Occupancy: 8
; WaveLimiterHint : 0
; COMPUTE_PGM_RSRC2:SCRATCH_EN: 0
; COMPUTE_PGM_RSRC2:USER_SGPR: 6
; COMPUTE_PGM_RSRC2:TRAP_HANDLER: 0
; COMPUTE_PGM_RSRC2:TGID_X_EN: 1
; COMPUTE_PGM_RSRC2:TGID_Y_EN: 0
; COMPUTE_PGM_RSRC2:TGID_Z_EN: 0
; COMPUTE_PGM_RSRC2:TIDIG_COMP_CNT: 0
; COMPUTE_PGM_RSRC3_GFX90A:ACCUM_OFFSET: 0
; COMPUTE_PGM_RSRC3_GFX90A:TG_SPLIT: 0
	.section	.text._ZN7rocprim17ROCPRIM_400000_NS6detail17trampoline_kernelINS0_14default_configENS1_27scan_by_key_config_selectorIj11FixedVectorIiLj8EEEEZZNS1_16scan_by_key_implILNS1_25lookback_scan_determinismE0ELb1ES3_N6thrust23THRUST_200600_302600_NS6detail15normal_iteratorINSB_10device_ptrIjEEEENSD_INSE_IS6_EEEESI_S6_NSB_4plusIvEENSB_8equal_toIvEES6_EE10hipError_tPvRmT2_T3_T4_T5_mT6_T7_P12ihipStream_tbENKUlT_T0_E_clISt17integral_constantIbLb0EES12_IbLb1EEEEDaSY_SZ_EUlSY_E_NS1_11comp_targetILNS1_3genE10ELNS1_11target_archE1201ELNS1_3gpuE5ELNS1_3repE0EEENS1_30default_config_static_selectorELNS0_4arch9wavefront6targetE1EEEvT1_,"axG",@progbits,_ZN7rocprim17ROCPRIM_400000_NS6detail17trampoline_kernelINS0_14default_configENS1_27scan_by_key_config_selectorIj11FixedVectorIiLj8EEEEZZNS1_16scan_by_key_implILNS1_25lookback_scan_determinismE0ELb1ES3_N6thrust23THRUST_200600_302600_NS6detail15normal_iteratorINSB_10device_ptrIjEEEENSD_INSE_IS6_EEEESI_S6_NSB_4plusIvEENSB_8equal_toIvEES6_EE10hipError_tPvRmT2_T3_T4_T5_mT6_T7_P12ihipStream_tbENKUlT_T0_E_clISt17integral_constantIbLb0EES12_IbLb1EEEEDaSY_SZ_EUlSY_E_NS1_11comp_targetILNS1_3genE10ELNS1_11target_archE1201ELNS1_3gpuE5ELNS1_3repE0EEENS1_30default_config_static_selectorELNS0_4arch9wavefront6targetE1EEEvT1_,comdat
	.protected	_ZN7rocprim17ROCPRIM_400000_NS6detail17trampoline_kernelINS0_14default_configENS1_27scan_by_key_config_selectorIj11FixedVectorIiLj8EEEEZZNS1_16scan_by_key_implILNS1_25lookback_scan_determinismE0ELb1ES3_N6thrust23THRUST_200600_302600_NS6detail15normal_iteratorINSB_10device_ptrIjEEEENSD_INSE_IS6_EEEESI_S6_NSB_4plusIvEENSB_8equal_toIvEES6_EE10hipError_tPvRmT2_T3_T4_T5_mT6_T7_P12ihipStream_tbENKUlT_T0_E_clISt17integral_constantIbLb0EES12_IbLb1EEEEDaSY_SZ_EUlSY_E_NS1_11comp_targetILNS1_3genE10ELNS1_11target_archE1201ELNS1_3gpuE5ELNS1_3repE0EEENS1_30default_config_static_selectorELNS0_4arch9wavefront6targetE1EEEvT1_ ; -- Begin function _ZN7rocprim17ROCPRIM_400000_NS6detail17trampoline_kernelINS0_14default_configENS1_27scan_by_key_config_selectorIj11FixedVectorIiLj8EEEEZZNS1_16scan_by_key_implILNS1_25lookback_scan_determinismE0ELb1ES3_N6thrust23THRUST_200600_302600_NS6detail15normal_iteratorINSB_10device_ptrIjEEEENSD_INSE_IS6_EEEESI_S6_NSB_4plusIvEENSB_8equal_toIvEES6_EE10hipError_tPvRmT2_T3_T4_T5_mT6_T7_P12ihipStream_tbENKUlT_T0_E_clISt17integral_constantIbLb0EES12_IbLb1EEEEDaSY_SZ_EUlSY_E_NS1_11comp_targetILNS1_3genE10ELNS1_11target_archE1201ELNS1_3gpuE5ELNS1_3repE0EEENS1_30default_config_static_selectorELNS0_4arch9wavefront6targetE1EEEvT1_
	.globl	_ZN7rocprim17ROCPRIM_400000_NS6detail17trampoline_kernelINS0_14default_configENS1_27scan_by_key_config_selectorIj11FixedVectorIiLj8EEEEZZNS1_16scan_by_key_implILNS1_25lookback_scan_determinismE0ELb1ES3_N6thrust23THRUST_200600_302600_NS6detail15normal_iteratorINSB_10device_ptrIjEEEENSD_INSE_IS6_EEEESI_S6_NSB_4plusIvEENSB_8equal_toIvEES6_EE10hipError_tPvRmT2_T3_T4_T5_mT6_T7_P12ihipStream_tbENKUlT_T0_E_clISt17integral_constantIbLb0EES12_IbLb1EEEEDaSY_SZ_EUlSY_E_NS1_11comp_targetILNS1_3genE10ELNS1_11target_archE1201ELNS1_3gpuE5ELNS1_3repE0EEENS1_30default_config_static_selectorELNS0_4arch9wavefront6targetE1EEEvT1_
	.p2align	8
	.type	_ZN7rocprim17ROCPRIM_400000_NS6detail17trampoline_kernelINS0_14default_configENS1_27scan_by_key_config_selectorIj11FixedVectorIiLj8EEEEZZNS1_16scan_by_key_implILNS1_25lookback_scan_determinismE0ELb1ES3_N6thrust23THRUST_200600_302600_NS6detail15normal_iteratorINSB_10device_ptrIjEEEENSD_INSE_IS6_EEEESI_S6_NSB_4plusIvEENSB_8equal_toIvEES6_EE10hipError_tPvRmT2_T3_T4_T5_mT6_T7_P12ihipStream_tbENKUlT_T0_E_clISt17integral_constantIbLb0EES12_IbLb1EEEEDaSY_SZ_EUlSY_E_NS1_11comp_targetILNS1_3genE10ELNS1_11target_archE1201ELNS1_3gpuE5ELNS1_3repE0EEENS1_30default_config_static_selectorELNS0_4arch9wavefront6targetE1EEEvT1_,@function
_ZN7rocprim17ROCPRIM_400000_NS6detail17trampoline_kernelINS0_14default_configENS1_27scan_by_key_config_selectorIj11FixedVectorIiLj8EEEEZZNS1_16scan_by_key_implILNS1_25lookback_scan_determinismE0ELb1ES3_N6thrust23THRUST_200600_302600_NS6detail15normal_iteratorINSB_10device_ptrIjEEEENSD_INSE_IS6_EEEESI_S6_NSB_4plusIvEENSB_8equal_toIvEES6_EE10hipError_tPvRmT2_T3_T4_T5_mT6_T7_P12ihipStream_tbENKUlT_T0_E_clISt17integral_constantIbLb0EES12_IbLb1EEEEDaSY_SZ_EUlSY_E_NS1_11comp_targetILNS1_3genE10ELNS1_11target_archE1201ELNS1_3gpuE5ELNS1_3repE0EEENS1_30default_config_static_selectorELNS0_4arch9wavefront6targetE1EEEvT1_: ; @_ZN7rocprim17ROCPRIM_400000_NS6detail17trampoline_kernelINS0_14default_configENS1_27scan_by_key_config_selectorIj11FixedVectorIiLj8EEEEZZNS1_16scan_by_key_implILNS1_25lookback_scan_determinismE0ELb1ES3_N6thrust23THRUST_200600_302600_NS6detail15normal_iteratorINSB_10device_ptrIjEEEENSD_INSE_IS6_EEEESI_S6_NSB_4plusIvEENSB_8equal_toIvEES6_EE10hipError_tPvRmT2_T3_T4_T5_mT6_T7_P12ihipStream_tbENKUlT_T0_E_clISt17integral_constantIbLb0EES12_IbLb1EEEEDaSY_SZ_EUlSY_E_NS1_11comp_targetILNS1_3genE10ELNS1_11target_archE1201ELNS1_3gpuE5ELNS1_3repE0EEENS1_30default_config_static_selectorELNS0_4arch9wavefront6targetE1EEEvT1_
; %bb.0:
	.section	.rodata,"a",@progbits
	.p2align	6, 0x0
	.amdhsa_kernel _ZN7rocprim17ROCPRIM_400000_NS6detail17trampoline_kernelINS0_14default_configENS1_27scan_by_key_config_selectorIj11FixedVectorIiLj8EEEEZZNS1_16scan_by_key_implILNS1_25lookback_scan_determinismE0ELb1ES3_N6thrust23THRUST_200600_302600_NS6detail15normal_iteratorINSB_10device_ptrIjEEEENSD_INSE_IS6_EEEESI_S6_NSB_4plusIvEENSB_8equal_toIvEES6_EE10hipError_tPvRmT2_T3_T4_T5_mT6_T7_P12ihipStream_tbENKUlT_T0_E_clISt17integral_constantIbLb0EES12_IbLb1EEEEDaSY_SZ_EUlSY_E_NS1_11comp_targetILNS1_3genE10ELNS1_11target_archE1201ELNS1_3gpuE5ELNS1_3repE0EEENS1_30default_config_static_selectorELNS0_4arch9wavefront6targetE1EEEvT1_
		.amdhsa_group_segment_fixed_size 0
		.amdhsa_private_segment_fixed_size 0
		.amdhsa_kernarg_size 160
		.amdhsa_user_sgpr_count 6
		.amdhsa_user_sgpr_private_segment_buffer 1
		.amdhsa_user_sgpr_dispatch_ptr 0
		.amdhsa_user_sgpr_queue_ptr 0
		.amdhsa_user_sgpr_kernarg_segment_ptr 1
		.amdhsa_user_sgpr_dispatch_id 0
		.amdhsa_user_sgpr_flat_scratch_init 0
		.amdhsa_user_sgpr_kernarg_preload_length 0
		.amdhsa_user_sgpr_kernarg_preload_offset 0
		.amdhsa_user_sgpr_private_segment_size 0
		.amdhsa_uses_dynamic_stack 0
		.amdhsa_system_sgpr_private_segment_wavefront_offset 0
		.amdhsa_system_sgpr_workgroup_id_x 1
		.amdhsa_system_sgpr_workgroup_id_y 0
		.amdhsa_system_sgpr_workgroup_id_z 0
		.amdhsa_system_sgpr_workgroup_info 0
		.amdhsa_system_vgpr_workitem_id 0
		.amdhsa_next_free_vgpr 1
		.amdhsa_next_free_sgpr 0
		.amdhsa_accum_offset 4
		.amdhsa_reserve_vcc 0
		.amdhsa_reserve_flat_scratch 0
		.amdhsa_float_round_mode_32 0
		.amdhsa_float_round_mode_16_64 0
		.amdhsa_float_denorm_mode_32 3
		.amdhsa_float_denorm_mode_16_64 3
		.amdhsa_dx10_clamp 1
		.amdhsa_ieee_mode 1
		.amdhsa_fp16_overflow 0
		.amdhsa_tg_split 0
		.amdhsa_exception_fp_ieee_invalid_op 0
		.amdhsa_exception_fp_denorm_src 0
		.amdhsa_exception_fp_ieee_div_zero 0
		.amdhsa_exception_fp_ieee_overflow 0
		.amdhsa_exception_fp_ieee_underflow 0
		.amdhsa_exception_fp_ieee_inexact 0
		.amdhsa_exception_int_div_zero 0
	.end_amdhsa_kernel
	.section	.text._ZN7rocprim17ROCPRIM_400000_NS6detail17trampoline_kernelINS0_14default_configENS1_27scan_by_key_config_selectorIj11FixedVectorIiLj8EEEEZZNS1_16scan_by_key_implILNS1_25lookback_scan_determinismE0ELb1ES3_N6thrust23THRUST_200600_302600_NS6detail15normal_iteratorINSB_10device_ptrIjEEEENSD_INSE_IS6_EEEESI_S6_NSB_4plusIvEENSB_8equal_toIvEES6_EE10hipError_tPvRmT2_T3_T4_T5_mT6_T7_P12ihipStream_tbENKUlT_T0_E_clISt17integral_constantIbLb0EES12_IbLb1EEEEDaSY_SZ_EUlSY_E_NS1_11comp_targetILNS1_3genE10ELNS1_11target_archE1201ELNS1_3gpuE5ELNS1_3repE0EEENS1_30default_config_static_selectorELNS0_4arch9wavefront6targetE1EEEvT1_,"axG",@progbits,_ZN7rocprim17ROCPRIM_400000_NS6detail17trampoline_kernelINS0_14default_configENS1_27scan_by_key_config_selectorIj11FixedVectorIiLj8EEEEZZNS1_16scan_by_key_implILNS1_25lookback_scan_determinismE0ELb1ES3_N6thrust23THRUST_200600_302600_NS6detail15normal_iteratorINSB_10device_ptrIjEEEENSD_INSE_IS6_EEEESI_S6_NSB_4plusIvEENSB_8equal_toIvEES6_EE10hipError_tPvRmT2_T3_T4_T5_mT6_T7_P12ihipStream_tbENKUlT_T0_E_clISt17integral_constantIbLb0EES12_IbLb1EEEEDaSY_SZ_EUlSY_E_NS1_11comp_targetILNS1_3genE10ELNS1_11target_archE1201ELNS1_3gpuE5ELNS1_3repE0EEENS1_30default_config_static_selectorELNS0_4arch9wavefront6targetE1EEEvT1_,comdat
.Lfunc_end2185:
	.size	_ZN7rocprim17ROCPRIM_400000_NS6detail17trampoline_kernelINS0_14default_configENS1_27scan_by_key_config_selectorIj11FixedVectorIiLj8EEEEZZNS1_16scan_by_key_implILNS1_25lookback_scan_determinismE0ELb1ES3_N6thrust23THRUST_200600_302600_NS6detail15normal_iteratorINSB_10device_ptrIjEEEENSD_INSE_IS6_EEEESI_S6_NSB_4plusIvEENSB_8equal_toIvEES6_EE10hipError_tPvRmT2_T3_T4_T5_mT6_T7_P12ihipStream_tbENKUlT_T0_E_clISt17integral_constantIbLb0EES12_IbLb1EEEEDaSY_SZ_EUlSY_E_NS1_11comp_targetILNS1_3genE10ELNS1_11target_archE1201ELNS1_3gpuE5ELNS1_3repE0EEENS1_30default_config_static_selectorELNS0_4arch9wavefront6targetE1EEEvT1_, .Lfunc_end2185-_ZN7rocprim17ROCPRIM_400000_NS6detail17trampoline_kernelINS0_14default_configENS1_27scan_by_key_config_selectorIj11FixedVectorIiLj8EEEEZZNS1_16scan_by_key_implILNS1_25lookback_scan_determinismE0ELb1ES3_N6thrust23THRUST_200600_302600_NS6detail15normal_iteratorINSB_10device_ptrIjEEEENSD_INSE_IS6_EEEESI_S6_NSB_4plusIvEENSB_8equal_toIvEES6_EE10hipError_tPvRmT2_T3_T4_T5_mT6_T7_P12ihipStream_tbENKUlT_T0_E_clISt17integral_constantIbLb0EES12_IbLb1EEEEDaSY_SZ_EUlSY_E_NS1_11comp_targetILNS1_3genE10ELNS1_11target_archE1201ELNS1_3gpuE5ELNS1_3repE0EEENS1_30default_config_static_selectorELNS0_4arch9wavefront6targetE1EEEvT1_
                                        ; -- End function
	.section	.AMDGPU.csdata,"",@progbits
; Kernel info:
; codeLenInByte = 0
; NumSgprs: 4
; NumVgprs: 0
; NumAgprs: 0
; TotalNumVgprs: 0
; ScratchSize: 0
; MemoryBound: 0
; FloatMode: 240
; IeeeMode: 1
; LDSByteSize: 0 bytes/workgroup (compile time only)
; SGPRBlocks: 0
; VGPRBlocks: 0
; NumSGPRsForWavesPerEU: 4
; NumVGPRsForWavesPerEU: 1
; AccumOffset: 4
; Occupancy: 8
; WaveLimiterHint : 0
; COMPUTE_PGM_RSRC2:SCRATCH_EN: 0
; COMPUTE_PGM_RSRC2:USER_SGPR: 6
; COMPUTE_PGM_RSRC2:TRAP_HANDLER: 0
; COMPUTE_PGM_RSRC2:TGID_X_EN: 1
; COMPUTE_PGM_RSRC2:TGID_Y_EN: 0
; COMPUTE_PGM_RSRC2:TGID_Z_EN: 0
; COMPUTE_PGM_RSRC2:TIDIG_COMP_CNT: 0
; COMPUTE_PGM_RSRC3_GFX90A:ACCUM_OFFSET: 0
; COMPUTE_PGM_RSRC3_GFX90A:TG_SPLIT: 0
	.section	.text._ZN7rocprim17ROCPRIM_400000_NS6detail17trampoline_kernelINS0_14default_configENS1_27scan_by_key_config_selectorIj11FixedVectorIiLj8EEEEZZNS1_16scan_by_key_implILNS1_25lookback_scan_determinismE0ELb1ES3_N6thrust23THRUST_200600_302600_NS6detail15normal_iteratorINSB_10device_ptrIjEEEENSD_INSE_IS6_EEEESI_S6_NSB_4plusIvEENSB_8equal_toIvEES6_EE10hipError_tPvRmT2_T3_T4_T5_mT6_T7_P12ihipStream_tbENKUlT_T0_E_clISt17integral_constantIbLb0EES12_IbLb1EEEEDaSY_SZ_EUlSY_E_NS1_11comp_targetILNS1_3genE5ELNS1_11target_archE942ELNS1_3gpuE9ELNS1_3repE0EEENS1_30default_config_static_selectorELNS0_4arch9wavefront6targetE1EEEvT1_,"axG",@progbits,_ZN7rocprim17ROCPRIM_400000_NS6detail17trampoline_kernelINS0_14default_configENS1_27scan_by_key_config_selectorIj11FixedVectorIiLj8EEEEZZNS1_16scan_by_key_implILNS1_25lookback_scan_determinismE0ELb1ES3_N6thrust23THRUST_200600_302600_NS6detail15normal_iteratorINSB_10device_ptrIjEEEENSD_INSE_IS6_EEEESI_S6_NSB_4plusIvEENSB_8equal_toIvEES6_EE10hipError_tPvRmT2_T3_T4_T5_mT6_T7_P12ihipStream_tbENKUlT_T0_E_clISt17integral_constantIbLb0EES12_IbLb1EEEEDaSY_SZ_EUlSY_E_NS1_11comp_targetILNS1_3genE5ELNS1_11target_archE942ELNS1_3gpuE9ELNS1_3repE0EEENS1_30default_config_static_selectorELNS0_4arch9wavefront6targetE1EEEvT1_,comdat
	.protected	_ZN7rocprim17ROCPRIM_400000_NS6detail17trampoline_kernelINS0_14default_configENS1_27scan_by_key_config_selectorIj11FixedVectorIiLj8EEEEZZNS1_16scan_by_key_implILNS1_25lookback_scan_determinismE0ELb1ES3_N6thrust23THRUST_200600_302600_NS6detail15normal_iteratorINSB_10device_ptrIjEEEENSD_INSE_IS6_EEEESI_S6_NSB_4plusIvEENSB_8equal_toIvEES6_EE10hipError_tPvRmT2_T3_T4_T5_mT6_T7_P12ihipStream_tbENKUlT_T0_E_clISt17integral_constantIbLb0EES12_IbLb1EEEEDaSY_SZ_EUlSY_E_NS1_11comp_targetILNS1_3genE5ELNS1_11target_archE942ELNS1_3gpuE9ELNS1_3repE0EEENS1_30default_config_static_selectorELNS0_4arch9wavefront6targetE1EEEvT1_ ; -- Begin function _ZN7rocprim17ROCPRIM_400000_NS6detail17trampoline_kernelINS0_14default_configENS1_27scan_by_key_config_selectorIj11FixedVectorIiLj8EEEEZZNS1_16scan_by_key_implILNS1_25lookback_scan_determinismE0ELb1ES3_N6thrust23THRUST_200600_302600_NS6detail15normal_iteratorINSB_10device_ptrIjEEEENSD_INSE_IS6_EEEESI_S6_NSB_4plusIvEENSB_8equal_toIvEES6_EE10hipError_tPvRmT2_T3_T4_T5_mT6_T7_P12ihipStream_tbENKUlT_T0_E_clISt17integral_constantIbLb0EES12_IbLb1EEEEDaSY_SZ_EUlSY_E_NS1_11comp_targetILNS1_3genE5ELNS1_11target_archE942ELNS1_3gpuE9ELNS1_3repE0EEENS1_30default_config_static_selectorELNS0_4arch9wavefront6targetE1EEEvT1_
	.globl	_ZN7rocprim17ROCPRIM_400000_NS6detail17trampoline_kernelINS0_14default_configENS1_27scan_by_key_config_selectorIj11FixedVectorIiLj8EEEEZZNS1_16scan_by_key_implILNS1_25lookback_scan_determinismE0ELb1ES3_N6thrust23THRUST_200600_302600_NS6detail15normal_iteratorINSB_10device_ptrIjEEEENSD_INSE_IS6_EEEESI_S6_NSB_4plusIvEENSB_8equal_toIvEES6_EE10hipError_tPvRmT2_T3_T4_T5_mT6_T7_P12ihipStream_tbENKUlT_T0_E_clISt17integral_constantIbLb0EES12_IbLb1EEEEDaSY_SZ_EUlSY_E_NS1_11comp_targetILNS1_3genE5ELNS1_11target_archE942ELNS1_3gpuE9ELNS1_3repE0EEENS1_30default_config_static_selectorELNS0_4arch9wavefront6targetE1EEEvT1_
	.p2align	8
	.type	_ZN7rocprim17ROCPRIM_400000_NS6detail17trampoline_kernelINS0_14default_configENS1_27scan_by_key_config_selectorIj11FixedVectorIiLj8EEEEZZNS1_16scan_by_key_implILNS1_25lookback_scan_determinismE0ELb1ES3_N6thrust23THRUST_200600_302600_NS6detail15normal_iteratorINSB_10device_ptrIjEEEENSD_INSE_IS6_EEEESI_S6_NSB_4plusIvEENSB_8equal_toIvEES6_EE10hipError_tPvRmT2_T3_T4_T5_mT6_T7_P12ihipStream_tbENKUlT_T0_E_clISt17integral_constantIbLb0EES12_IbLb1EEEEDaSY_SZ_EUlSY_E_NS1_11comp_targetILNS1_3genE5ELNS1_11target_archE942ELNS1_3gpuE9ELNS1_3repE0EEENS1_30default_config_static_selectorELNS0_4arch9wavefront6targetE1EEEvT1_,@function
_ZN7rocprim17ROCPRIM_400000_NS6detail17trampoline_kernelINS0_14default_configENS1_27scan_by_key_config_selectorIj11FixedVectorIiLj8EEEEZZNS1_16scan_by_key_implILNS1_25lookback_scan_determinismE0ELb1ES3_N6thrust23THRUST_200600_302600_NS6detail15normal_iteratorINSB_10device_ptrIjEEEENSD_INSE_IS6_EEEESI_S6_NSB_4plusIvEENSB_8equal_toIvEES6_EE10hipError_tPvRmT2_T3_T4_T5_mT6_T7_P12ihipStream_tbENKUlT_T0_E_clISt17integral_constantIbLb0EES12_IbLb1EEEEDaSY_SZ_EUlSY_E_NS1_11comp_targetILNS1_3genE5ELNS1_11target_archE942ELNS1_3gpuE9ELNS1_3repE0EEENS1_30default_config_static_selectorELNS0_4arch9wavefront6targetE1EEEvT1_: ; @_ZN7rocprim17ROCPRIM_400000_NS6detail17trampoline_kernelINS0_14default_configENS1_27scan_by_key_config_selectorIj11FixedVectorIiLj8EEEEZZNS1_16scan_by_key_implILNS1_25lookback_scan_determinismE0ELb1ES3_N6thrust23THRUST_200600_302600_NS6detail15normal_iteratorINSB_10device_ptrIjEEEENSD_INSE_IS6_EEEESI_S6_NSB_4plusIvEENSB_8equal_toIvEES6_EE10hipError_tPvRmT2_T3_T4_T5_mT6_T7_P12ihipStream_tbENKUlT_T0_E_clISt17integral_constantIbLb0EES12_IbLb1EEEEDaSY_SZ_EUlSY_E_NS1_11comp_targetILNS1_3genE5ELNS1_11target_archE942ELNS1_3gpuE9ELNS1_3repE0EEENS1_30default_config_static_selectorELNS0_4arch9wavefront6targetE1EEEvT1_
; %bb.0:
	.section	.rodata,"a",@progbits
	.p2align	6, 0x0
	.amdhsa_kernel _ZN7rocprim17ROCPRIM_400000_NS6detail17trampoline_kernelINS0_14default_configENS1_27scan_by_key_config_selectorIj11FixedVectorIiLj8EEEEZZNS1_16scan_by_key_implILNS1_25lookback_scan_determinismE0ELb1ES3_N6thrust23THRUST_200600_302600_NS6detail15normal_iteratorINSB_10device_ptrIjEEEENSD_INSE_IS6_EEEESI_S6_NSB_4plusIvEENSB_8equal_toIvEES6_EE10hipError_tPvRmT2_T3_T4_T5_mT6_T7_P12ihipStream_tbENKUlT_T0_E_clISt17integral_constantIbLb0EES12_IbLb1EEEEDaSY_SZ_EUlSY_E_NS1_11comp_targetILNS1_3genE5ELNS1_11target_archE942ELNS1_3gpuE9ELNS1_3repE0EEENS1_30default_config_static_selectorELNS0_4arch9wavefront6targetE1EEEvT1_
		.amdhsa_group_segment_fixed_size 0
		.amdhsa_private_segment_fixed_size 0
		.amdhsa_kernarg_size 160
		.amdhsa_user_sgpr_count 6
		.amdhsa_user_sgpr_private_segment_buffer 1
		.amdhsa_user_sgpr_dispatch_ptr 0
		.amdhsa_user_sgpr_queue_ptr 0
		.amdhsa_user_sgpr_kernarg_segment_ptr 1
		.amdhsa_user_sgpr_dispatch_id 0
		.amdhsa_user_sgpr_flat_scratch_init 0
		.amdhsa_user_sgpr_kernarg_preload_length 0
		.amdhsa_user_sgpr_kernarg_preload_offset 0
		.amdhsa_user_sgpr_private_segment_size 0
		.amdhsa_uses_dynamic_stack 0
		.amdhsa_system_sgpr_private_segment_wavefront_offset 0
		.amdhsa_system_sgpr_workgroup_id_x 1
		.amdhsa_system_sgpr_workgroup_id_y 0
		.amdhsa_system_sgpr_workgroup_id_z 0
		.amdhsa_system_sgpr_workgroup_info 0
		.amdhsa_system_vgpr_workitem_id 0
		.amdhsa_next_free_vgpr 1
		.amdhsa_next_free_sgpr 0
		.amdhsa_accum_offset 4
		.amdhsa_reserve_vcc 0
		.amdhsa_reserve_flat_scratch 0
		.amdhsa_float_round_mode_32 0
		.amdhsa_float_round_mode_16_64 0
		.amdhsa_float_denorm_mode_32 3
		.amdhsa_float_denorm_mode_16_64 3
		.amdhsa_dx10_clamp 1
		.amdhsa_ieee_mode 1
		.amdhsa_fp16_overflow 0
		.amdhsa_tg_split 0
		.amdhsa_exception_fp_ieee_invalid_op 0
		.amdhsa_exception_fp_denorm_src 0
		.amdhsa_exception_fp_ieee_div_zero 0
		.amdhsa_exception_fp_ieee_overflow 0
		.amdhsa_exception_fp_ieee_underflow 0
		.amdhsa_exception_fp_ieee_inexact 0
		.amdhsa_exception_int_div_zero 0
	.end_amdhsa_kernel
	.section	.text._ZN7rocprim17ROCPRIM_400000_NS6detail17trampoline_kernelINS0_14default_configENS1_27scan_by_key_config_selectorIj11FixedVectorIiLj8EEEEZZNS1_16scan_by_key_implILNS1_25lookback_scan_determinismE0ELb1ES3_N6thrust23THRUST_200600_302600_NS6detail15normal_iteratorINSB_10device_ptrIjEEEENSD_INSE_IS6_EEEESI_S6_NSB_4plusIvEENSB_8equal_toIvEES6_EE10hipError_tPvRmT2_T3_T4_T5_mT6_T7_P12ihipStream_tbENKUlT_T0_E_clISt17integral_constantIbLb0EES12_IbLb1EEEEDaSY_SZ_EUlSY_E_NS1_11comp_targetILNS1_3genE5ELNS1_11target_archE942ELNS1_3gpuE9ELNS1_3repE0EEENS1_30default_config_static_selectorELNS0_4arch9wavefront6targetE1EEEvT1_,"axG",@progbits,_ZN7rocprim17ROCPRIM_400000_NS6detail17trampoline_kernelINS0_14default_configENS1_27scan_by_key_config_selectorIj11FixedVectorIiLj8EEEEZZNS1_16scan_by_key_implILNS1_25lookback_scan_determinismE0ELb1ES3_N6thrust23THRUST_200600_302600_NS6detail15normal_iteratorINSB_10device_ptrIjEEEENSD_INSE_IS6_EEEESI_S6_NSB_4plusIvEENSB_8equal_toIvEES6_EE10hipError_tPvRmT2_T3_T4_T5_mT6_T7_P12ihipStream_tbENKUlT_T0_E_clISt17integral_constantIbLb0EES12_IbLb1EEEEDaSY_SZ_EUlSY_E_NS1_11comp_targetILNS1_3genE5ELNS1_11target_archE942ELNS1_3gpuE9ELNS1_3repE0EEENS1_30default_config_static_selectorELNS0_4arch9wavefront6targetE1EEEvT1_,comdat
.Lfunc_end2186:
	.size	_ZN7rocprim17ROCPRIM_400000_NS6detail17trampoline_kernelINS0_14default_configENS1_27scan_by_key_config_selectorIj11FixedVectorIiLj8EEEEZZNS1_16scan_by_key_implILNS1_25lookback_scan_determinismE0ELb1ES3_N6thrust23THRUST_200600_302600_NS6detail15normal_iteratorINSB_10device_ptrIjEEEENSD_INSE_IS6_EEEESI_S6_NSB_4plusIvEENSB_8equal_toIvEES6_EE10hipError_tPvRmT2_T3_T4_T5_mT6_T7_P12ihipStream_tbENKUlT_T0_E_clISt17integral_constantIbLb0EES12_IbLb1EEEEDaSY_SZ_EUlSY_E_NS1_11comp_targetILNS1_3genE5ELNS1_11target_archE942ELNS1_3gpuE9ELNS1_3repE0EEENS1_30default_config_static_selectorELNS0_4arch9wavefront6targetE1EEEvT1_, .Lfunc_end2186-_ZN7rocprim17ROCPRIM_400000_NS6detail17trampoline_kernelINS0_14default_configENS1_27scan_by_key_config_selectorIj11FixedVectorIiLj8EEEEZZNS1_16scan_by_key_implILNS1_25lookback_scan_determinismE0ELb1ES3_N6thrust23THRUST_200600_302600_NS6detail15normal_iteratorINSB_10device_ptrIjEEEENSD_INSE_IS6_EEEESI_S6_NSB_4plusIvEENSB_8equal_toIvEES6_EE10hipError_tPvRmT2_T3_T4_T5_mT6_T7_P12ihipStream_tbENKUlT_T0_E_clISt17integral_constantIbLb0EES12_IbLb1EEEEDaSY_SZ_EUlSY_E_NS1_11comp_targetILNS1_3genE5ELNS1_11target_archE942ELNS1_3gpuE9ELNS1_3repE0EEENS1_30default_config_static_selectorELNS0_4arch9wavefront6targetE1EEEvT1_
                                        ; -- End function
	.section	.AMDGPU.csdata,"",@progbits
; Kernel info:
; codeLenInByte = 0
; NumSgprs: 4
; NumVgprs: 0
; NumAgprs: 0
; TotalNumVgprs: 0
; ScratchSize: 0
; MemoryBound: 0
; FloatMode: 240
; IeeeMode: 1
; LDSByteSize: 0 bytes/workgroup (compile time only)
; SGPRBlocks: 0
; VGPRBlocks: 0
; NumSGPRsForWavesPerEU: 4
; NumVGPRsForWavesPerEU: 1
; AccumOffset: 4
; Occupancy: 8
; WaveLimiterHint : 0
; COMPUTE_PGM_RSRC2:SCRATCH_EN: 0
; COMPUTE_PGM_RSRC2:USER_SGPR: 6
; COMPUTE_PGM_RSRC2:TRAP_HANDLER: 0
; COMPUTE_PGM_RSRC2:TGID_X_EN: 1
; COMPUTE_PGM_RSRC2:TGID_Y_EN: 0
; COMPUTE_PGM_RSRC2:TGID_Z_EN: 0
; COMPUTE_PGM_RSRC2:TIDIG_COMP_CNT: 0
; COMPUTE_PGM_RSRC3_GFX90A:ACCUM_OFFSET: 0
; COMPUTE_PGM_RSRC3_GFX90A:TG_SPLIT: 0
	.section	.text._ZN7rocprim17ROCPRIM_400000_NS6detail17trampoline_kernelINS0_14default_configENS1_27scan_by_key_config_selectorIj11FixedVectorIiLj8EEEEZZNS1_16scan_by_key_implILNS1_25lookback_scan_determinismE0ELb1ES3_N6thrust23THRUST_200600_302600_NS6detail15normal_iteratorINSB_10device_ptrIjEEEENSD_INSE_IS6_EEEESI_S6_NSB_4plusIvEENSB_8equal_toIvEES6_EE10hipError_tPvRmT2_T3_T4_T5_mT6_T7_P12ihipStream_tbENKUlT_T0_E_clISt17integral_constantIbLb0EES12_IbLb1EEEEDaSY_SZ_EUlSY_E_NS1_11comp_targetILNS1_3genE4ELNS1_11target_archE910ELNS1_3gpuE8ELNS1_3repE0EEENS1_30default_config_static_selectorELNS0_4arch9wavefront6targetE1EEEvT1_,"axG",@progbits,_ZN7rocprim17ROCPRIM_400000_NS6detail17trampoline_kernelINS0_14default_configENS1_27scan_by_key_config_selectorIj11FixedVectorIiLj8EEEEZZNS1_16scan_by_key_implILNS1_25lookback_scan_determinismE0ELb1ES3_N6thrust23THRUST_200600_302600_NS6detail15normal_iteratorINSB_10device_ptrIjEEEENSD_INSE_IS6_EEEESI_S6_NSB_4plusIvEENSB_8equal_toIvEES6_EE10hipError_tPvRmT2_T3_T4_T5_mT6_T7_P12ihipStream_tbENKUlT_T0_E_clISt17integral_constantIbLb0EES12_IbLb1EEEEDaSY_SZ_EUlSY_E_NS1_11comp_targetILNS1_3genE4ELNS1_11target_archE910ELNS1_3gpuE8ELNS1_3repE0EEENS1_30default_config_static_selectorELNS0_4arch9wavefront6targetE1EEEvT1_,comdat
	.protected	_ZN7rocprim17ROCPRIM_400000_NS6detail17trampoline_kernelINS0_14default_configENS1_27scan_by_key_config_selectorIj11FixedVectorIiLj8EEEEZZNS1_16scan_by_key_implILNS1_25lookback_scan_determinismE0ELb1ES3_N6thrust23THRUST_200600_302600_NS6detail15normal_iteratorINSB_10device_ptrIjEEEENSD_INSE_IS6_EEEESI_S6_NSB_4plusIvEENSB_8equal_toIvEES6_EE10hipError_tPvRmT2_T3_T4_T5_mT6_T7_P12ihipStream_tbENKUlT_T0_E_clISt17integral_constantIbLb0EES12_IbLb1EEEEDaSY_SZ_EUlSY_E_NS1_11comp_targetILNS1_3genE4ELNS1_11target_archE910ELNS1_3gpuE8ELNS1_3repE0EEENS1_30default_config_static_selectorELNS0_4arch9wavefront6targetE1EEEvT1_ ; -- Begin function _ZN7rocprim17ROCPRIM_400000_NS6detail17trampoline_kernelINS0_14default_configENS1_27scan_by_key_config_selectorIj11FixedVectorIiLj8EEEEZZNS1_16scan_by_key_implILNS1_25lookback_scan_determinismE0ELb1ES3_N6thrust23THRUST_200600_302600_NS6detail15normal_iteratorINSB_10device_ptrIjEEEENSD_INSE_IS6_EEEESI_S6_NSB_4plusIvEENSB_8equal_toIvEES6_EE10hipError_tPvRmT2_T3_T4_T5_mT6_T7_P12ihipStream_tbENKUlT_T0_E_clISt17integral_constantIbLb0EES12_IbLb1EEEEDaSY_SZ_EUlSY_E_NS1_11comp_targetILNS1_3genE4ELNS1_11target_archE910ELNS1_3gpuE8ELNS1_3repE0EEENS1_30default_config_static_selectorELNS0_4arch9wavefront6targetE1EEEvT1_
	.globl	_ZN7rocprim17ROCPRIM_400000_NS6detail17trampoline_kernelINS0_14default_configENS1_27scan_by_key_config_selectorIj11FixedVectorIiLj8EEEEZZNS1_16scan_by_key_implILNS1_25lookback_scan_determinismE0ELb1ES3_N6thrust23THRUST_200600_302600_NS6detail15normal_iteratorINSB_10device_ptrIjEEEENSD_INSE_IS6_EEEESI_S6_NSB_4plusIvEENSB_8equal_toIvEES6_EE10hipError_tPvRmT2_T3_T4_T5_mT6_T7_P12ihipStream_tbENKUlT_T0_E_clISt17integral_constantIbLb0EES12_IbLb1EEEEDaSY_SZ_EUlSY_E_NS1_11comp_targetILNS1_3genE4ELNS1_11target_archE910ELNS1_3gpuE8ELNS1_3repE0EEENS1_30default_config_static_selectorELNS0_4arch9wavefront6targetE1EEEvT1_
	.p2align	8
	.type	_ZN7rocprim17ROCPRIM_400000_NS6detail17trampoline_kernelINS0_14default_configENS1_27scan_by_key_config_selectorIj11FixedVectorIiLj8EEEEZZNS1_16scan_by_key_implILNS1_25lookback_scan_determinismE0ELb1ES3_N6thrust23THRUST_200600_302600_NS6detail15normal_iteratorINSB_10device_ptrIjEEEENSD_INSE_IS6_EEEESI_S6_NSB_4plusIvEENSB_8equal_toIvEES6_EE10hipError_tPvRmT2_T3_T4_T5_mT6_T7_P12ihipStream_tbENKUlT_T0_E_clISt17integral_constantIbLb0EES12_IbLb1EEEEDaSY_SZ_EUlSY_E_NS1_11comp_targetILNS1_3genE4ELNS1_11target_archE910ELNS1_3gpuE8ELNS1_3repE0EEENS1_30default_config_static_selectorELNS0_4arch9wavefront6targetE1EEEvT1_,@function
_ZN7rocprim17ROCPRIM_400000_NS6detail17trampoline_kernelINS0_14default_configENS1_27scan_by_key_config_selectorIj11FixedVectorIiLj8EEEEZZNS1_16scan_by_key_implILNS1_25lookback_scan_determinismE0ELb1ES3_N6thrust23THRUST_200600_302600_NS6detail15normal_iteratorINSB_10device_ptrIjEEEENSD_INSE_IS6_EEEESI_S6_NSB_4plusIvEENSB_8equal_toIvEES6_EE10hipError_tPvRmT2_T3_T4_T5_mT6_T7_P12ihipStream_tbENKUlT_T0_E_clISt17integral_constantIbLb0EES12_IbLb1EEEEDaSY_SZ_EUlSY_E_NS1_11comp_targetILNS1_3genE4ELNS1_11target_archE910ELNS1_3gpuE8ELNS1_3repE0EEENS1_30default_config_static_selectorELNS0_4arch9wavefront6targetE1EEEvT1_: ; @_ZN7rocprim17ROCPRIM_400000_NS6detail17trampoline_kernelINS0_14default_configENS1_27scan_by_key_config_selectorIj11FixedVectorIiLj8EEEEZZNS1_16scan_by_key_implILNS1_25lookback_scan_determinismE0ELb1ES3_N6thrust23THRUST_200600_302600_NS6detail15normal_iteratorINSB_10device_ptrIjEEEENSD_INSE_IS6_EEEESI_S6_NSB_4plusIvEENSB_8equal_toIvEES6_EE10hipError_tPvRmT2_T3_T4_T5_mT6_T7_P12ihipStream_tbENKUlT_T0_E_clISt17integral_constantIbLb0EES12_IbLb1EEEEDaSY_SZ_EUlSY_E_NS1_11comp_targetILNS1_3genE4ELNS1_11target_archE910ELNS1_3gpuE8ELNS1_3repE0EEENS1_30default_config_static_selectorELNS0_4arch9wavefront6targetE1EEEvT1_
; %bb.0:
	s_load_dwordx2 s[46:47], s[6:7], 0x68
	s_load_dwordx8 s[20:27], s[6:7], 0x48
	s_add_u32 flat_scratch_lo, s8, s11
	s_addc_u32 flat_scratch_hi, s9, 0
	s_add_u32 s0, s0, s11
	v_and_b32_e32 v10, 0x3ff, v0
	s_addc_u32 s1, s1, 0
	v_cmp_ne_u32_e64 s[8:9], 0, v10
	v_cmp_eq_u32_e64 s[10:11], 0, v10
	s_and_saveexec_b64 s[12:13], s[10:11]
	s_cbranch_execz .LBB2187_4
; %bb.1:
	s_mov_b64 s[16:17], exec
	v_mbcnt_lo_u32_b32 v1, s16, 0
	v_mbcnt_hi_u32_b32 v1, s17, v1
	v_cmp_eq_u32_e32 vcc, 0, v1
                                        ; implicit-def: $vgpr2
	s_and_saveexec_b64 s[14:15], vcc
	s_cbranch_execz .LBB2187_3
; %bb.2:
	s_load_dwordx2 s[18:19], s[6:7], 0x98
	s_bcnt1_i32_b64 s16, s[16:17]
	v_mov_b32_e32 v2, 0
	v_mov_b32_e32 v3, s16
	s_waitcnt lgkmcnt(0)
	global_atomic_add v2, v2, v3, s[18:19] glc
.LBB2187_3:
	s_or_b64 exec, exec, s[14:15]
	s_waitcnt vmcnt(0)
	v_readfirstlane_b32 s14, v2
	v_add_u32_e32 v1, s14, v1
	v_mov_b32_e32 v2, 0
	ds_write_b32 v2, v1
.LBB2187_4:
	s_or_b64 exec, exec, s[12:13]
	s_load_dwordx8 s[12:19], s[6:7], 0x0
	s_load_dwordx8 s[36:43], s[6:7], 0x20
	s_waitcnt lgkmcnt(0)
	s_load_dword s27, s[6:7], 0x70
	s_load_dwordx4 s[28:31], s[6:7], 0x78
	v_mov_b32_e32 v1, 0
	s_waitcnt lgkmcnt(0)
	s_barrier
	ds_read_b32 v2, v1
	s_mov_b32 s6, 0
	s_waitcnt lgkmcnt(0)
	s_barrier
	v_readfirstlane_b32 s33, v2
	v_mov_b32_e32 v2, 0x140
	s_barrier
	buffer_store_dword v1, off, s[0:3], 0 offset:348
	buffer_store_dword v1, off, s[0:3], 0 offset:344
	;; [unrolled: 1-line block ×9, first 2 shown]
.LBB2187_5:                             ; =>This Inner Loop Header: Depth=1
	v_add_u32_e32 v3, s6, v2
	s_add_i32 s6, s6, 8
	s_cmp_lg_u32 s6, 32
	buffer_store_dword v1, v3, s[0:3], 0 offen offset:4
	buffer_store_dword v1, v3, s[0:3], 0 offen
	s_cbranch_scc1 .LBB2187_5
; %bb.6:
	v_mov_b32_e32 v2, 0x140
	v_mov_b32_e32 v1, 0
	s_mov_b32 s6, 36
	v_add_u32_e32 v18, 36, v2
	buffer_store_byte v1, off, s[0:3], 0 offset:352
	buffer_store_dword v1, off, s[0:3], 0 offset:368
	buffer_store_dword v1, off, s[0:3], 0 offset:364
	;; [unrolled: 1-line block ×9, first 2 shown]
.LBB2187_7:                             ; =>This Inner Loop Header: Depth=1
	v_add_u32_e32 v3, s6, v2
	s_add_i32 s6, s6, 8
	s_cmpk_lg_i32 s6, 0x44
	buffer_store_dword v1, v3, s[0:3], 0 offen offset:4
	buffer_store_dword v1, v3, s[0:3], 0 offen
	s_cbranch_scc1 .LBB2187_7
; %bb.8:
	v_mov_b32_e32 v2, 0x140
	v_mov_b32_e32 v1, 0
	s_movk_i32 s6, 0x48
	v_add_u32_e32 v19, 0x48, v2
	buffer_store_byte v1, off, s[0:3], 0 offset:388
	buffer_store_dword v1, off, s[0:3], 0 offset:404
	buffer_store_dword v1, off, s[0:3], 0 offset:400
	;; [unrolled: 1-line block ×9, first 2 shown]
.LBB2187_9:                             ; =>This Inner Loop Header: Depth=1
	v_add_u32_e32 v3, s6, v2
	s_add_i32 s6, s6, 8
	s_cmpk_lg_i32 s6, 0x68
	buffer_store_dword v1, v3, s[0:3], 0 offen offset:4
	buffer_store_dword v1, v3, s[0:3], 0 offen
	s_cbranch_scc1 .LBB2187_9
; %bb.10:
	v_mov_b32_e32 v2, s37
	buffer_store_dword v2, off, s[0:3], 0 offset:100
	v_mov_b32_e32 v2, s36
	buffer_store_dword v2, off, s[0:3], 0 offset:96
	v_mov_b32_e32 v2, s39
	buffer_store_dword v2, off, s[0:3], 0 offset:108
	v_mov_b32_e32 v2, s38
	buffer_store_dword v2, off, s[0:3], 0 offset:104
	v_mov_b32_e32 v2, s41
	buffer_store_dword v2, off, s[0:3], 0 offset:116
	v_mov_b32_e32 v2, s40
	buffer_store_dword v2, off, s[0:3], 0 offset:112
	v_mov_b32_e32 v2, s43
	buffer_store_dword v2, off, s[0:3], 0 offset:124
	v_mov_b32_e32 v2, s42
	s_mov_b32 s6, 0
	v_mov_b32_e32 v1, 0
	buffer_store_dword v2, off, s[0:3], 0 offset:120
	v_mov_b32_e32 v2, 0
	buffer_store_byte v1, off, s[0:3], 0 offset:424
.LBB2187_11:                            ; =>This Inner Loop Header: Depth=1
	v_add_u32_e32 v3, s6, v2
	s_add_i32 s6, s6, 8
	s_cmp_lg_u32 s6, 32
	buffer_store_dword v1, v3, s[0:3], 0 offen offset:4
	buffer_store_dword v1, v3, s[0:3], 0 offen
	s_cbranch_scc1 .LBB2187_11
; %bb.12:
	s_mov_b32 s6, 32
	v_mov_b32_e32 v1, 0
	v_mov_b32_e32 v2, 0
.LBB2187_13:                            ; =>This Inner Loop Header: Depth=1
	v_add_u32_e32 v3, s6, v1
	s_add_i32 s6, s6, 8
	s_cmp_lg_u32 s6, 64
	buffer_store_dword v2, v3, s[0:3], 0 offen offset:4
	buffer_store_dword v2, v3, s[0:3], 0 offen
	s_cbranch_scc1 .LBB2187_13
; %bb.14:
	s_mov_b32 s6, 64
	v_mov_b32_e32 v1, 0
	v_mov_b32_e32 v2, 0
.LBB2187_15:                            ; =>This Inner Loop Header: Depth=1
	v_add_u32_e32 v3, s6, v1
	s_add_i32 s6, s6, 8
	s_cmpk_lg_i32 s6, 0x60
	buffer_store_dword v2, v3, s[0:3], 0 offen offset:4
	buffer_store_dword v2, v3, s[0:3], 0 offen
	s_cbranch_scc1 .LBB2187_15
; %bb.16:
	s_lshl_b64 s[6:7], s[14:15], 2
	s_add_u32 s44, s12, s6
	s_addc_u32 s45, s13, s7
	s_lshl_b64 s[34:35], s[14:15], 5
	s_add_u32 s14, s16, s34
	s_mul_i32 s6, s47, s27
	s_mul_hi_u32 s7, s46, s27
	s_addc_u32 s15, s17, s35
	s_add_i32 s16, s7, s6
	s_mul_i32 s6, s33, 0x300
	s_mov_b32 s7, 0
	s_lshl_b64 s[12:13], s[6:7], 2
	s_add_u32 s48, s44, s12
	s_addc_u32 s49, s45, s13
	s_lshl_b64 s[44:45], s[6:7], 5
	s_add_u32 s54, s14, s44
	s_mul_i32 s17, s46, s27
	s_addc_u32 s55, s15, s45
	s_add_u32 s6, s17, s33
	s_addc_u32 s7, s16, 0
	s_add_u32 s12, s28, -1
	v_mov_b32_e32 v2, 0
	s_addc_u32 s13, s29, -1
	v_add_u32_e32 v1, 64, v2
	v_add_u32_e32 v4, 32, v2
	v_pk_mov_b32 v[2:3], s[12:13], s[12:13] op_sel:[0,1]
	v_cmp_ge_u64_e64 s[6:7], s[6:7], v[2:3]
	s_mov_b64 s[14:15], -1
	s_and_b64 vcc, exec, s[6:7]
	s_mul_i32 s27, s12, 0xfffffd00
	s_cbranch_vccz .LBB2187_36
; %bb.17:
	v_pk_mov_b32 v[2:3], s[48:49], s[48:49] op_sel:[0,1]
	flat_load_dword v3, v[2:3]
	s_add_i32 s56, s27, s26
	v_cmp_gt_u32_e64 s[14:15], s56, v10
	s_waitcnt vmcnt(0) lgkmcnt(0)
	v_mov_b32_e32 v2, v3
	s_and_saveexec_b64 s[12:13], s[14:15]
	s_cbranch_execz .LBB2187_19
; %bb.18:
	v_lshlrev_b32_e32 v2, 2, v10
	v_mov_b32_e32 v5, s49
	v_add_co_u32_e32 v6, vcc, s48, v2
	v_addc_co_u32_e32 v7, vcc, 0, v5, vcc
	flat_load_dword v2, v[6:7]
.LBB2187_19:
	s_or_b64 exec, exec, s[12:13]
	v_or_b32_e32 v7, 0x100, v10
	v_cmp_gt_u32_e64 s[12:13], s56, v7
	v_mov_b32_e32 v5, v3
	s_and_saveexec_b64 s[16:17], s[12:13]
	s_cbranch_execz .LBB2187_21
; %bb.20:
	v_lshlrev_b32_e32 v5, 2, v10
	v_mov_b32_e32 v6, s49
	v_add_co_u32_e32 v8, vcc, s48, v5
	v_addc_co_u32_e32 v9, vcc, 0, v6, vcc
	flat_load_dword v5, v[8:9] offset:1024
.LBB2187_21:
	s_or_b64 exec, exec, s[16:17]
	v_or_b32_e32 v9, 0x200, v10
	v_cmp_gt_u32_e32 vcc, s56, v9
	v_cmp_le_u32_e64 s[16:17], s56, v9
	s_and_saveexec_b64 s[28:29], s[16:17]
	s_xor_b64 s[16:17], exec, s[28:29]
; %bb.22:
	v_mov_b32_e32 v11, 0
; %bb.23:
	s_andn2_saveexec_b64 s[28:29], s[16:17]
	s_cbranch_execz .LBB2187_25
; %bb.24:
	v_lshlrev_b32_e32 v3, 2, v10
	v_mov_b32_e32 v6, s49
	v_add_co_u32_e64 v12, s[16:17], s48, v3
	v_addc_co_u32_e64 v13, s[16:17], 0, v6, s[16:17]
	flat_load_dword v3, v[12:13] offset:2048
	v_mov_b32_e32 v11, 0
.LBB2187_25:
	s_or_b64 exec, exec, s[28:29]
	v_lshlrev_b32_e32 v8, 2, v10
	s_waitcnt vmcnt(0) lgkmcnt(0)
	ds_write2st64_b32 v8, v2, v5 offset1:4
	ds_write_b32 v8, v3 offset:2048
	v_pk_mov_b32 v[2:3], s[48:49], s[48:49] op_sel:[0,1]
	s_waitcnt lgkmcnt(0)
	s_barrier
	flat_load_dword v5, v[2:3]
	v_lshl_add_u32 v2, v10, 3, v8
	ds_read_b32 v6, v2
	ds_read2_b32 v[2:3], v2 offset0:1 offset1:2
	s_movk_i32 s16, 0xff
	v_cmp_ne_u32_e64 s[16:17], s16, v10
	s_waitcnt lgkmcnt(0)
	ds_write_b32 v8, v6 offset:4096
	s_waitcnt lgkmcnt(0)
	s_barrier
	s_and_saveexec_b64 s[28:29], s[16:17]
	s_cbranch_execz .LBB2187_27
; %bb.26:
	s_waitcnt vmcnt(0)
	ds_read_b32 v5, v8 offset:4100
.LBB2187_27:
	s_or_b64 exec, exec, s[28:29]
	s_waitcnt lgkmcnt(0)
	s_barrier
	s_and_saveexec_b64 s[16:17], s[14:15]
	s_cbranch_execnz .LBB2187_442
; %bb.28:
	s_or_b64 exec, exec, s[16:17]
	s_and_saveexec_b64 s[14:15], s[12:13]
	s_cbranch_execnz .LBB2187_443
.LBB2187_29:
	s_or_b64 exec, exec, s[14:15]
	v_mul_u32_u24_e32 v7, 3, v10
	s_and_saveexec_b64 s[12:13], vcc
	s_cbranch_execz .LBB2187_31
.LBB2187_30:
	v_lshlrev_b32_e32 v9, 5, v9
	v_mov_b32_e32 v11, s55
	v_add_co_u32_e32 v16, vcc, s54, v9
	v_addc_co_u32_e32 v17, vcc, 0, v11, vcc
	flat_load_dwordx4 v[12:15], v[16:17]
	flat_load_dwordx4 v[20:23], v[16:17] offset:16
                                        ; kill: killed $vgpr16 killed $vgpr17
	s_waitcnt vmcnt(0) lgkmcnt(0)
	buffer_store_dword v13, off, s[0:3], 0 offset:68
	buffer_store_dword v12, off, s[0:3], 0 offset:64
	;; [unrolled: 1-line block ×8, first 2 shown]
.LBB2187_31:
	s_or_b64 exec, exec, s[12:13]
	buffer_load_dword v12, off, s[0:3], 0
	buffer_load_dword v13, off, s[0:3], 0 offset:4
	buffer_load_dword v14, off, s[0:3], 0 offset:8
	;; [unrolled: 1-line block ×7, first 2 shown]
	buffer_load_dword v24, v4, s[0:3], 0 offen
	buffer_load_dword v25, v4, s[0:3], 0 offen offset:4
	buffer_load_dword v26, v4, s[0:3], 0 offen offset:8
	;; [unrolled: 1-line block ×7, first 2 shown]
	buffer_load_dword v32, v1, s[0:3], 0 offen
	buffer_load_dword v33, v1, s[0:3], 0 offen offset:4
	buffer_load_dword v34, v1, s[0:3], 0 offen offset:8
	;; [unrolled: 1-line block ×7, first 2 shown]
	v_mad_u32_u24 v8, v10, 28, v8
	v_lshl_add_u32 v9, v10, 6, v8
	v_cmp_gt_u32_e32 vcc, s56, v7
	s_mov_b64 s[14:15], 0
	s_mov_b64 s[28:29], 0
                                        ; implicit-def: $sgpr12_sgpr13
	s_waitcnt vmcnt(0)
	ds_write_b128 v8, v[12:15]
	ds_write_b128 v8, v[20:23] offset:16
	ds_write_b128 v8, v[24:27] offset:8192
	;; [unrolled: 1-line block ×5, first 2 shown]
	s_waitcnt lgkmcnt(0)
	s_barrier
	ds_read_b128 v[12:15], v9
	ds_read_b128 v[20:23], v9 offset:16
	ds_read_b128 v[24:27], v9 offset:32
	;; [unrolled: 1-line block ×5, first 2 shown]
	s_waitcnt lgkmcnt(5)
	buffer_store_dword v15, off, s[0:3], 0 offset:12
	buffer_store_dword v14, off, s[0:3], 0 offset:8
	;; [unrolled: 1-line block ×3, first 2 shown]
	buffer_store_dword v12, off, s[0:3], 0
	s_waitcnt lgkmcnt(4)
	buffer_store_dword v23, off, s[0:3], 0 offset:28
	buffer_store_dword v22, off, s[0:3], 0 offset:24
	;; [unrolled: 1-line block ×4, first 2 shown]
	s_waitcnt lgkmcnt(3)
	buffer_store_dword v27, v4, s[0:3], 0 offen offset:12
	buffer_store_dword v26, v4, s[0:3], 0 offen offset:8
	;; [unrolled: 1-line block ×3, first 2 shown]
	buffer_store_dword v24, v4, s[0:3], 0 offen
	s_waitcnt lgkmcnt(2)
	buffer_store_dword v31, v4, s[0:3], 0 offen offset:28
	buffer_store_dword v30, v4, s[0:3], 0 offen offset:24
	;; [unrolled: 1-line block ×4, first 2 shown]
	s_waitcnt lgkmcnt(1)
	buffer_store_dword v35, v1, s[0:3], 0 offen offset:12
	buffer_store_dword v34, v1, s[0:3], 0 offen offset:8
	;; [unrolled: 1-line block ×3, first 2 shown]
	buffer_store_dword v32, v1, s[0:3], 0 offen
	s_waitcnt lgkmcnt(0)
	buffer_store_dword v39, v1, s[0:3], 0 offen offset:28
	buffer_store_dword v38, v1, s[0:3], 0 offen offset:24
	buffer_store_dword v37, v1, s[0:3], 0 offen offset:20
	buffer_store_dword v36, v1, s[0:3], 0 offen offset:16
	s_and_saveexec_b64 s[16:17], vcc
	s_cbranch_execz .LBB2187_35
; %bb.32:
	v_cmp_ne_u32_e32 vcc, v6, v2
	v_mov_b32_e32 v6, 0x60
	v_mov_b32_e32 v9, 0
	v_cndmask_b32_e32 v9, v9, v6, vcc
	buffer_load_dword v11, v9, s[0:3], 0 offen offset:12
	buffer_load_dword v12, v9, s[0:3], 0 offen offset:8
	;; [unrolled: 1-line block ×3, first 2 shown]
	buffer_load_dword v14, v9, s[0:3], 0 offen
	buffer_load_dword v15, v9, s[0:3], 0 offen offset:28
	buffer_load_dword v16, v9, s[0:3], 0 offen offset:24
	;; [unrolled: 1-line block ×4, first 2 shown]
                                        ; kill: killed $vgpr9
	v_add_u32_e32 v9, 1, v7
	v_cndmask_b32_e64 v8, 0, 1, vcc
	v_cmp_gt_u32_e32 vcc, s56, v9
	s_mov_b64 s[52:53], 0
	buffer_store_byte v8, off, s[0:3], 0 offset:352
                                        ; implicit-def: $sgpr50_sgpr51
	s_waitcnt vmcnt(8)
	buffer_store_dword v11, off, s[0:3], 0 offset:332
	s_waitcnt vmcnt(8)
	buffer_store_dword v12, off, s[0:3], 0 offset:328
	;; [unrolled: 2-line block ×8, first 2 shown]
	s_and_saveexec_b64 s[12:13], vcc
	s_xor_b64 s[28:29], exec, s[12:13]
	s_cbranch_execz .LBB2187_34
; %bb.33:
	v_cmp_ne_u32_e32 vcc, v2, v3
	v_cndmask_b32_e32 v6, v4, v6, vcc
	buffer_load_dword v8, v6, s[0:3], 0 offen offset:12
	buffer_load_dword v9, v6, s[0:3], 0 offen offset:8
	;; [unrolled: 1-line block ×3, first 2 shown]
	buffer_load_dword v12, v6, s[0:3], 0 offen
	buffer_load_dword v13, v6, s[0:3], 0 offen offset:28
	buffer_load_dword v14, v6, s[0:3], 0 offen offset:24
	;; [unrolled: 1-line block ×4, first 2 shown]
	v_cndmask_b32_e64 v2, 0, 1, vcc
	v_cmp_ne_u32_e32 vcc, v3, v5
	v_add_u32_e32 v3, 2, v7
	v_cmp_gt_u32_e64 s[12:13], s56, v3
                                        ; kill: killed $vgpr6
	buffer_store_byte v2, off, s[0:3], 0 offset:388
	s_and_b64 s[50:51], vcc, exec
	s_and_b64 s[52:53], s[12:13], exec
	s_waitcnt vmcnt(8)
	buffer_store_dword v8, v18, s[0:3], 0 offen offset:12
	s_waitcnt vmcnt(8)
	buffer_store_dword v9, v18, s[0:3], 0 offen offset:8
	;; [unrolled: 2-line block ×3, first 2 shown]
	s_waitcnt vmcnt(8)
	buffer_store_dword v12, v18, s[0:3], 0 offen
	s_waitcnt vmcnt(8)
	buffer_store_dword v13, v18, s[0:3], 0 offen offset:28
	s_waitcnt vmcnt(8)
	buffer_store_dword v14, v18, s[0:3], 0 offen offset:24
	;; [unrolled: 2-line block ×4, first 2 shown]
.LBB2187_34:
	s_or_b64 exec, exec, s[28:29]
	s_and_b64 s[12:13], s[50:51], exec
	s_and_b64 s[28:29], s[52:53], exec
.LBB2187_35:
	s_or_b64 exec, exec, s[16:17]
	s_and_b64 vcc, exec, s[14:15]
	s_cbranch_vccnz .LBB2187_37
	s_branch .LBB2187_40
.LBB2187_36:
	s_mov_b64 s[28:29], 0
                                        ; implicit-def: $sgpr12_sgpr13
	s_and_b64 vcc, exec, s[14:15]
	s_cbranch_vccz .LBB2187_40
.LBB2187_37:
	v_lshlrev_b32_e32 v6, 2, v10
	v_mov_b32_e32 v3, s49
	v_add_co_u32_e32 v2, vcc, s48, v6
	v_addc_co_u32_e32 v3, vcc, 0, v3, vcc
	flat_load_dword v5, v[2:3]
	flat_load_dword v7, v[2:3] offset:1024
	flat_load_dword v8, v[2:3] offset:2048
	v_pk_mov_b32 v[2:3], s[48:49], s[48:49] op_sel:[0,1]
	s_movk_i32 s12, 0xff
	v_cmp_ne_u32_e32 vcc, s12, v10
	s_waitcnt vmcnt(0) lgkmcnt(0)
	ds_write2st64_b32 v6, v5, v7 offset1:4
	ds_write_b32 v6, v8 offset:2048
	s_waitcnt lgkmcnt(0)
	s_barrier
	flat_load_dword v5, v[2:3] offset:3072
	v_lshl_add_u32 v2, v10, 3, v6
	ds_read_b32 v7, v2
	ds_read2_b32 v[2:3], v2 offset0:1 offset1:2
	s_waitcnt lgkmcnt(0)
	ds_write_b32 v6, v7 offset:4096
	s_waitcnt lgkmcnt(0)
	s_barrier
	s_and_saveexec_b64 s[12:13], vcc
	s_cbranch_execz .LBB2187_39
; %bb.38:
	s_waitcnt vmcnt(0)
	ds_read_b32 v5, v6 offset:4100
.LBB2187_39:
	s_or_b64 exec, exec, s[12:13]
	v_lshlrev_b32_e32 v8, 5, v10
	v_mov_b32_e32 v9, s55
	v_add_co_u32_e32 v8, vcc, s54, v8
	v_addc_co_u32_e32 v9, vcc, 0, v9, vcc
	s_waitcnt lgkmcnt(0)
	s_barrier
	flat_load_dwordx4 v[12:15], v[8:9]
	flat_load_dwordx4 v[20:23], v[8:9] offset:16
	s_movk_i32 s12, 0x2000
	v_add_co_u32_e32 v16, vcc, s12, v8
	v_addc_co_u32_e32 v17, vcc, 0, v9, vcc
	s_movk_i32 s12, 0x4000
	v_add_co_u32_e32 v8, vcc, s12, v8
	v_addc_co_u32_e32 v9, vcc, 0, v9, vcc
	v_cmp_ne_u32_e32 vcc, v7, v2
	v_cmp_ne_u32_e64 s[12:13], v2, v3
	v_mad_u32_u24 v2, v10, 28, v6
	v_mov_b32_e32 v6, 0
	v_lshl_add_u32 v40, v10, 6, v2
                                        ; kill: killed $vgpr8 killed $vgpr9
	v_cndmask_b32_e64 v11, 0, 1, vcc
	s_mov_b64 s[28:29], -1
	s_waitcnt vmcnt(0) lgkmcnt(0)
	buffer_store_dword v13, off, s[0:3], 0 offset:4
	buffer_store_dword v12, off, s[0:3], 0
	buffer_store_dword v15, off, s[0:3], 0 offset:12
	buffer_store_dword v14, off, s[0:3], 0 offset:8
	;; [unrolled: 1-line block ×6, first 2 shown]
	flat_load_dwordx4 v[24:27], v[16:17]
	flat_load_dwordx4 v[28:31], v[16:17] offset:16
	v_mov_b32_e32 v17, 0x60
	v_cndmask_b32_e32 v41, v6, v17, vcc
	v_cndmask_b32_e64 v16, 0, 1, s[12:13]
                                        ; kill: killed $vgpr41
	s_waitcnt vmcnt(0) lgkmcnt(0)
	buffer_store_dword v25, off, s[0:3], 0 offset:36
	buffer_store_dword v24, off, s[0:3], 0 offset:32
	;; [unrolled: 1-line block ×8, first 2 shown]
	flat_load_dwordx4 v[24:27], v[8:9]
	s_nop 0
	flat_load_dwordx4 v[28:31], v[8:9] offset:16
	buffer_load_dword v35, v4, s[0:3], 0 offen offset:28
	buffer_load_dword v34, v4, s[0:3], 0 offen offset:24
	;; [unrolled: 1-line block ×7, first 2 shown]
	buffer_load_dword v36, v4, s[0:3], 0 offen
	s_waitcnt vmcnt(0) lgkmcnt(0)
	buffer_store_dword v25, off, s[0:3], 0 offset:68
	buffer_store_dword v24, off, s[0:3], 0 offset:64
	;; [unrolled: 1-line block ×8, first 2 shown]
	buffer_load_dword v24, v1, s[0:3], 0 offen offset:16
	buffer_load_dword v25, v1, s[0:3], 0 offen offset:20
	;; [unrolled: 1-line block ×4, first 2 shown]
	buffer_load_dword v28, v1, s[0:3], 0 offen
	buffer_load_dword v29, v1, s[0:3], 0 offen offset:4
	buffer_load_dword v30, v1, s[0:3], 0 offen offset:8
	;; [unrolled: 1-line block ×3, first 2 shown]
	ds_write_b128 v2, v[20:23] offset:16
	ds_write_b128 v2, v[12:15]
	ds_write_b128 v2, v[36:39] offset:8192
	ds_write_b128 v2, v[32:35] offset:8208
	s_waitcnt vmcnt(4)
	ds_write_b128 v2, v[24:27] offset:16400
	s_waitcnt vmcnt(0)
	ds_write_b128 v2, v[28:31] offset:16384
	s_waitcnt lgkmcnt(0)
	s_barrier
	ds_read_b128 v[6:9], v40
	ds_read_b128 v[12:15], v40 offset:16
	ds_read_b128 v[20:23], v40 offset:32
	;; [unrolled: 1-line block ×3, first 2 shown]
	s_waitcnt lgkmcnt(3)
	buffer_store_dword v9, off, s[0:3], 0 offset:12
	buffer_store_dword v8, off, s[0:3], 0 offset:8
	;; [unrolled: 1-line block ×3, first 2 shown]
	buffer_store_dword v6, off, s[0:3], 0
	s_waitcnt lgkmcnt(2)
	buffer_store_dword v15, off, s[0:3], 0 offset:28
	buffer_store_dword v14, off, s[0:3], 0 offset:24
	;; [unrolled: 1-line block ×4, first 2 shown]
	s_waitcnt lgkmcnt(1)
	buffer_store_dword v23, v4, s[0:3], 0 offen offset:12
	v_cndmask_b32_e64 v2, v4, v17, s[12:13]
	buffer_load_dword v12, v41, s[0:3], 0 offen
	buffer_load_dword v13, v41, s[0:3], 0 offen offset:4
	buffer_load_dword v14, v41, s[0:3], 0 offen offset:8
	;; [unrolled: 1-line block ×7, first 2 shown]
	s_nop 0
	buffer_store_dword v22, v4, s[0:3], 0 offen offset:8
	buffer_store_dword v21, v4, s[0:3], 0 offen offset:4
	buffer_store_dword v20, v4, s[0:3], 0 offen
	s_waitcnt lgkmcnt(0)
	buffer_store_dword v27, v4, s[0:3], 0 offen offset:28
	buffer_store_dword v26, v4, s[0:3], 0 offen offset:24
	;; [unrolled: 1-line block ×4, first 2 shown]
	buffer_load_dword v20, v2, s[0:3], 0 offen offset:28
	buffer_load_dword v21, v2, s[0:3], 0 offen offset:24
	;; [unrolled: 1-line block ×3, first 2 shown]
	s_nop 0
	buffer_load_dword v24, v2, s[0:3], 0 offen offset:16
	buffer_load_dword v25, v2, s[0:3], 0 offen offset:12
	;; [unrolled: 1-line block ×4, first 2 shown]
	buffer_load_dword v30, v2, s[0:3], 0 offen
	ds_read_b128 v[6:9], v40 offset:64
	v_cmp_ne_u32_e64 s[12:13], v3, v5
                                        ; kill: killed $vgpr2
	ds_read_b128 v[2:5], v40 offset:80
	buffer_store_byte v11, off, s[0:3], 0 offset:352
	buffer_store_byte v16, off, s[0:3], 0 offset:388
	s_waitcnt lgkmcnt(1)
	buffer_store_dword v9, v1, s[0:3], 0 offen offset:12
	buffer_store_dword v8, v1, s[0:3], 0 offen offset:8
	;; [unrolled: 1-line block ×3, first 2 shown]
	buffer_store_dword v6, v1, s[0:3], 0 offen
	s_waitcnt lgkmcnt(0)
	buffer_store_dword v5, v1, s[0:3], 0 offen offset:28
	buffer_store_dword v4, v1, s[0:3], 0 offen offset:24
	;; [unrolled: 1-line block ×4, first 2 shown]
	s_waitcnt vmcnt(25)
	buffer_store_dword v29, off, s[0:3], 0 offset:348
	buffer_store_dword v28, off, s[0:3], 0 offset:344
	buffer_store_dword v23, off, s[0:3], 0 offset:340
	buffer_store_dword v17, off, s[0:3], 0 offset:336
	buffer_store_dword v15, off, s[0:3], 0 offset:332
	buffer_store_dword v14, off, s[0:3], 0 offset:328
	buffer_store_dword v13, off, s[0:3], 0 offset:324
	buffer_store_dword v12, off, s[0:3], 0 offset:320
	s_waitcnt vmcnt(25)
	buffer_store_dword v20, v18, s[0:3], 0 offen offset:28
	s_waitcnt vmcnt(25)
	buffer_store_dword v21, v18, s[0:3], 0 offen offset:24
	;; [unrolled: 2-line block ×7, first 2 shown]
	s_waitcnt vmcnt(25)
	buffer_store_dword v30, v18, s[0:3], 0 offen
.LBB2187_40:
	s_and_saveexec_b64 s[14:15], s[28:29]
	s_cbranch_execz .LBB2187_42
; %bb.41:
	v_mov_b32_e32 v2, 0x60
	v_cndmask_b32_e64 v1, v1, v2, s[12:13]
	buffer_load_dword v2, v1, s[0:3], 0 offen offset:12
	buffer_load_dword v3, v1, s[0:3], 0 offen offset:8
	;; [unrolled: 1-line block ×3, first 2 shown]
	buffer_load_dword v5, v1, s[0:3], 0 offen
	buffer_load_dword v6, v1, s[0:3], 0 offen offset:28
	buffer_load_dword v7, v1, s[0:3], 0 offen offset:24
	;; [unrolled: 1-line block ×4, first 2 shown]
                                        ; kill: killed $vgpr1
	v_cndmask_b32_e64 v1, 0, 1, s[12:13]
	s_waitcnt vmcnt(7)
	buffer_store_dword v2, v19, s[0:3], 0 offen offset:12
	s_waitcnt vmcnt(7)
	buffer_store_dword v3, v19, s[0:3], 0 offen offset:8
	;; [unrolled: 2-line block ×3, first 2 shown]
	s_waitcnt vmcnt(7)
	buffer_store_dword v5, v19, s[0:3], 0 offen
	s_waitcnt vmcnt(7)
	buffer_store_dword v6, v19, s[0:3], 0 offen offset:28
	s_waitcnt vmcnt(7)
	buffer_store_dword v7, v19, s[0:3], 0 offen offset:24
	;; [unrolled: 2-line block ×4, first 2 shown]
	buffer_store_byte v1, off, s[0:3], 0 offset:424
.LBB2187_42:
	s_or_b64 exec, exec, s[14:15]
	s_cmp_lg_u32 s33, 0
	s_barrier
	s_cbranch_scc0 .LBB2187_313
; %bb.43:
	buffer_load_dword v2, off, s[0:3], 0 offset:332
	buffer_load_dword v3, off, s[0:3], 0 offset:328
	;; [unrolled: 1-line block ×9, first 2 shown]
	buffer_load_ubyte v11, off, s[0:3], 0 offset:388
	s_waitcnt vmcnt(9)
	buffer_store_dword v2, off, s[0:3], 0 offset:252
	s_waitcnt vmcnt(9)
	buffer_store_dword v3, off, s[0:3], 0 offset:248
	;; [unrolled: 2-line block ×9, first 2 shown]
	s_waitcnt vmcnt(9)
	v_cmp_ne_u16_e32 vcc, 0, v11
                                        ; implicit-def: $vgpr8_vgpr9
                                        ; implicit-def: $vgpr6_vgpr7
                                        ; implicit-def: $vgpr4_vgpr5
                                        ; implicit-def: $vgpr2_vgpr3
	s_and_saveexec_b64 s[12:13], vcc
	s_xor_b64 s[12:13], exec, s[12:13]
	s_cbranch_execz .LBB2187_45
; %bb.44:
	buffer_load_dword v2, off, s[0:3], 0 offset:356
	buffer_load_dword v3, off, s[0:3], 0 offset:360
	buffer_load_dword v4, off, s[0:3], 0 offset:364
	buffer_load_dword v5, off, s[0:3], 0 offset:368
	buffer_load_dword v6, off, s[0:3], 0 offset:372
	buffer_load_dword v7, off, s[0:3], 0 offset:376
	buffer_load_dword v8, off, s[0:3], 0 offset:380
	buffer_load_dword v9, off, s[0:3], 0 offset:384
.LBB2187_45:
	s_andn2_saveexec_b64 s[12:13], s[12:13]
	s_cbranch_execz .LBB2187_51
; %bb.46:
	s_mov_b32 s14, 0
	s_waitcnt vmcnt(7)
	v_mov_b32_e32 v2, 0
	s_waitcnt vmcnt(6)
	v_mov_b32_e32 v3, 0
	s_waitcnt vmcnt(0)
.LBB2187_47:                            ; =>This Inner Loop Header: Depth=1
	v_add_u32_e32 v4, s14, v2
	s_add_i32 s14, s14, 8
	s_cmp_lg_u32 s14, 32
	buffer_store_dword v3, v4, s[0:3], 0 offen offset:4
	buffer_store_dword v3, v4, s[0:3], 0 offen
	s_cbranch_scc1 .LBB2187_47
; %bb.48:
	s_mov_b32 s14, 0
	v_mov_b32_e32 v2, 0xf0
	v_mov_b32_e32 v3, 0x140
	;; [unrolled: 1-line block ×3, first 2 shown]
.LBB2187_49:                            ; =>This Inner Loop Header: Depth=1
	v_add_u32_e32 v5, s14, v2
	v_add_u32_e32 v6, s14, v3
	buffer_load_dword v7, v5, s[0:3], 0 offen offset:4
	buffer_load_dword v8, v6, s[0:3], 0 offen offset:36
	buffer_load_dword v9, v5, s[0:3], 0 offen
	buffer_load_dword v12, v6, s[0:3], 0 offen offset:40
	v_add_u32_e32 v5, s14, v4
	s_add_i32 s14, s14, 8
	s_cmp_lg_u32 s14, 32
	s_waitcnt vmcnt(1)
	v_add_u32_e32 v6, v8, v9
	s_waitcnt vmcnt(0)
	v_add_u32_e32 v7, v12, v7
	buffer_store_dword v7, v5, s[0:3], 0 offen offset:4
	buffer_store_dword v6, v5, s[0:3], 0 offen
	s_cbranch_scc1 .LBB2187_49
; %bb.50:
	buffer_load_dword v2, off, s[0:3], 0
	buffer_load_dword v3, off, s[0:3], 0 offset:4
	buffer_load_dword v4, off, s[0:3], 0 offset:8
	;; [unrolled: 1-line block ×7, first 2 shown]
.LBB2187_51:
	s_or_b64 exec, exec, s[12:13]
	buffer_load_ubyte v12, off, s[0:3], 0 offset:424
	s_waitcnt vmcnt(7)
	buffer_store_dword v3, off, s[0:3], 0 offset:244
	buffer_store_dword v2, off, s[0:3], 0 offset:240
	s_waitcnt vmcnt(7)
	buffer_store_dword v5, off, s[0:3], 0 offset:252
	buffer_store_dword v4, off, s[0:3], 0 offset:248
	;; [unrolled: 3-line block ×4, first 2 shown]
                                        ; implicit-def: $vgpr8_vgpr9
                                        ; implicit-def: $vgpr6_vgpr7
                                        ; implicit-def: $vgpr4_vgpr5
                                        ; implicit-def: $vgpr2_vgpr3
	s_waitcnt vmcnt(8)
	v_cmp_ne_u16_e32 vcc, 0, v12
	s_and_saveexec_b64 s[12:13], vcc
	s_xor_b64 s[12:13], exec, s[12:13]
	s_cbranch_execz .LBB2187_53
; %bb.52:
	buffer_load_dword v2, off, s[0:3], 0 offset:392
	buffer_load_dword v3, off, s[0:3], 0 offset:396
	;; [unrolled: 1-line block ×8, first 2 shown]
.LBB2187_53:
	s_andn2_saveexec_b64 s[12:13], s[12:13]
	s_cbranch_execz .LBB2187_59
; %bb.54:
	s_mov_b32 s14, 0
	s_waitcnt vmcnt(7)
	v_mov_b32_e32 v2, 0
	s_waitcnt vmcnt(6)
	v_mov_b32_e32 v3, 0
	s_waitcnt vmcnt(0)
.LBB2187_55:                            ; =>This Inner Loop Header: Depth=1
	v_add_u32_e32 v4, s14, v2
	s_add_i32 s14, s14, 8
	s_cmp_lg_u32 s14, 32
	buffer_store_dword v3, v4, s[0:3], 0 offen offset:4
	buffer_store_dword v3, v4, s[0:3], 0 offen
	s_cbranch_scc1 .LBB2187_55
; %bb.56:
	s_mov_b32 s14, 0
	v_mov_b32_e32 v2, 0xf0
	v_mov_b32_e32 v3, 0x140
	;; [unrolled: 1-line block ×3, first 2 shown]
.LBB2187_57:                            ; =>This Inner Loop Header: Depth=1
	v_add_u32_e32 v5, s14, v2
	v_add_u32_e32 v6, s14, v3
	buffer_load_dword v7, v5, s[0:3], 0 offen offset:4
	buffer_load_dword v8, v6, s[0:3], 0 offen offset:72
	buffer_load_dword v9, v5, s[0:3], 0 offen
	buffer_load_dword v13, v6, s[0:3], 0 offen offset:76
	v_add_u32_e32 v5, s14, v4
	s_add_i32 s14, s14, 8
	s_cmp_lg_u32 s14, 32
	s_waitcnt vmcnt(1)
	v_add_u32_e32 v6, v8, v9
	s_waitcnt vmcnt(0)
	v_add_u32_e32 v7, v13, v7
	buffer_store_dword v7, v5, s[0:3], 0 offen offset:4
	buffer_store_dword v6, v5, s[0:3], 0 offen
	s_cbranch_scc1 .LBB2187_57
; %bb.58:
	buffer_load_dword v2, off, s[0:3], 0
	buffer_load_dword v3, off, s[0:3], 0 offset:4
	buffer_load_dword v4, off, s[0:3], 0 offset:8
	;; [unrolled: 1-line block ×7, first 2 shown]
.LBB2187_59:
	s_or_b64 exec, exec, s[12:13]
	v_or_b32_e32 v11, v12, v11
	v_or_b32_e32 v1, v11, v1
	v_and_b32_e32 v1, 1, v1
	buffer_store_byte v1, off, s[0:3], 0 offset:272
	buffer_load_dword v11, off, s[0:3], 0 offset:272
	v_mbcnt_lo_u32_b32 v1, -1, 0
	s_waitcnt vmcnt(9)
	v_mov_b32_dpp v12, v2 row_shr:1 row_mask:0xf bank_mask:0xf
	v_mbcnt_hi_u32_b32 v1, -1, v1
	s_waitcnt vmcnt(8)
	buffer_store_dword v3, off, s[0:3], 0 offset:244
	buffer_store_dword v2, off, s[0:3], 0 offset:240
	s_waitcnt vmcnt(8)
	buffer_store_dword v5, off, s[0:3], 0 offset:252
	buffer_store_dword v4, off, s[0:3], 0 offset:248
	s_waitcnt vmcnt(8)
	buffer_store_dword v7, off, s[0:3], 0 offset:260
	buffer_store_dword v6, off, s[0:3], 0 offset:256
	s_waitcnt vmcnt(8)
	buffer_store_dword v9, off, s[0:3], 0 offset:268
	buffer_store_dword v8, off, s[0:3], 0 offset:264
	v_mov_b32_dpp v13, v3 row_shr:1 row_mask:0xf bank_mask:0xf
	v_mov_b32_dpp v14, v4 row_shr:1 row_mask:0xf bank_mask:0xf
	;; [unrolled: 1-line block ×7, first 2 shown]
	buffer_store_dword v12, off, s[0:3], 0
	buffer_store_dword v13, off, s[0:3], 0 offset:4
	buffer_store_dword v14, off, s[0:3], 0 offset:8
	;; [unrolled: 1-line block ×7, first 2 shown]
	v_and_b32_e32 v12, 15, v1
	v_cmp_ne_u32_e32 vcc, 0, v12
	s_waitcnt vmcnt(16)
	v_mov_b32_dpp v13, v11 row_shr:1 row_mask:0xf bank_mask:0xf
	buffer_store_dword v13, off, s[0:3], 0 offset:32
	s_and_saveexec_b64 s[12:13], vcc
	s_xor_b64 s[12:13], exec, s[12:13]
	s_cbranch_execz .LBB2187_67
; %bb.60:
	v_mov_b32_e32 v14, 0
	v_cmp_eq_u16_sdwa s[16:17], v11, v14 src0_sel:BYTE_0 src1_sel:DWORD
	s_and_saveexec_b64 s[14:15], s[16:17]
	s_cbranch_execz .LBB2187_66
; %bb.61:
	s_mov_b32 s16, 0
	v_mov_b32_e32 v2, 0x60
.LBB2187_62:                            ; =>This Inner Loop Header: Depth=1
	v_add_u32_e32 v3, s16, v2
	s_add_i32 s16, s16, 8
	s_cmp_lg_u32 s16, 32
	buffer_store_dword v14, v3, s[0:3], 0 offen offset:4
	buffer_store_dword v14, v3, s[0:3], 0 offen
	s_cbranch_scc1 .LBB2187_62
; %bb.63:
	s_mov_b32 s16, 0
	v_mov_b32_e32 v2, 0
	v_mov_b32_e32 v3, 0xf0
	;; [unrolled: 1-line block ×3, first 2 shown]
.LBB2187_64:                            ; =>This Inner Loop Header: Depth=1
	v_add_u32_e32 v5, s16, v2
	v_add_u32_e32 v6, s16, v3
	buffer_load_dword v7, v5, s[0:3], 0 offen offset:4
	buffer_load_dword v8, v6, s[0:3], 0 offen
	buffer_load_dword v9, v5, s[0:3], 0 offen
	buffer_load_dword v14, v6, s[0:3], 0 offen offset:4
	v_add_u32_e32 v5, s16, v4
	s_add_i32 s16, s16, 8
	s_cmp_lg_u32 s16, 32
	s_waitcnt vmcnt(1)
	v_add_u32_e32 v6, v8, v9
	s_waitcnt vmcnt(0)
	v_add_u32_e32 v7, v14, v7
	buffer_store_dword v7, v5, s[0:3], 0 offen offset:4
	buffer_store_dword v6, v5, s[0:3], 0 offen
	s_cbranch_scc1 .LBB2187_64
; %bb.65:
	buffer_load_dword v2, off, s[0:3], 0 offset:96
	buffer_load_dword v3, off, s[0:3], 0 offset:100
	;; [unrolled: 1-line block ×8, first 2 shown]
.LBB2187_66:
	s_or_b64 exec, exec, s[14:15]
	v_or_b32_e32 v11, v13, v11
	v_and_b32_e32 v11, 1, v11
	buffer_store_byte v11, off, s[0:3], 0 offset:272
	buffer_load_dword v11, off, s[0:3], 0 offset:272
	s_waitcnt vmcnt(8)
	buffer_store_dword v3, off, s[0:3], 0 offset:244
	buffer_store_dword v2, off, s[0:3], 0 offset:240
	s_waitcnt vmcnt(8)
	buffer_store_dword v5, off, s[0:3], 0 offset:252
	buffer_store_dword v4, off, s[0:3], 0 offset:248
	s_waitcnt vmcnt(8)
	buffer_store_dword v7, off, s[0:3], 0 offset:260
	buffer_store_dword v6, off, s[0:3], 0 offset:256
	s_waitcnt vmcnt(8)
	buffer_store_dword v9, off, s[0:3], 0 offset:268
	buffer_store_dword v8, off, s[0:3], 0 offset:264
.LBB2187_67:
	s_or_b64 exec, exec, s[12:13]
	v_mov_b32_dpp v14, v2 row_shr:2 row_mask:0xf bank_mask:0xf
	s_waitcnt vmcnt(8)
	v_mov_b32_dpp v13, v11 row_shr:2 row_mask:0xf bank_mask:0xf
	v_cmp_lt_u32_e32 vcc, 1, v12
	v_mov_b32_dpp v15, v3 row_shr:2 row_mask:0xf bank_mask:0xf
	v_mov_b32_dpp v16, v4 row_shr:2 row_mask:0xf bank_mask:0xf
	;; [unrolled: 1-line block ×7, first 2 shown]
	buffer_store_dword v14, off, s[0:3], 0
	buffer_store_dword v15, off, s[0:3], 0 offset:4
	buffer_store_dword v16, off, s[0:3], 0 offset:8
	;; [unrolled: 1-line block ×8, first 2 shown]
	s_and_saveexec_b64 s[14:15], vcc
	s_cbranch_execz .LBB2187_75
; %bb.68:
	v_mov_b32_e32 v14, 0
	s_mov_b32 s16, 0
	v_cmp_eq_u16_sdwa s[28:29], v11, v14 src0_sel:BYTE_0 src1_sel:DWORD
	s_and_saveexec_b64 s[12:13], s[28:29]
	s_cbranch_execz .LBB2187_74
; %bb.69:
	v_mov_b32_e32 v2, 0x60
.LBB2187_70:                            ; =>This Inner Loop Header: Depth=1
	v_add_u32_e32 v3, s16, v2
	s_add_i32 s16, s16, 8
	s_cmp_lg_u32 s16, 32
	buffer_store_dword v14, v3, s[0:3], 0 offen offset:4
	buffer_store_dword v14, v3, s[0:3], 0 offen
	s_cbranch_scc1 .LBB2187_70
; %bb.71:
	s_mov_b32 s16, 0
	v_mov_b32_e32 v2, 0
	v_mov_b32_e32 v3, 0xf0
	;; [unrolled: 1-line block ×3, first 2 shown]
.LBB2187_72:                            ; =>This Inner Loop Header: Depth=1
	v_add_u32_e32 v5, s16, v2
	v_add_u32_e32 v6, s16, v3
	buffer_load_dword v7, v5, s[0:3], 0 offen offset:4
	buffer_load_dword v8, v6, s[0:3], 0 offen
	buffer_load_dword v9, v5, s[0:3], 0 offen
	buffer_load_dword v14, v6, s[0:3], 0 offen offset:4
	v_add_u32_e32 v5, s16, v4
	s_add_i32 s16, s16, 8
	s_cmp_lg_u32 s16, 32
	s_waitcnt vmcnt(1)
	v_add_u32_e32 v6, v8, v9
	s_waitcnt vmcnt(0)
	v_add_u32_e32 v7, v14, v7
	buffer_store_dword v7, v5, s[0:3], 0 offen offset:4
	buffer_store_dword v6, v5, s[0:3], 0 offen
	s_cbranch_scc1 .LBB2187_72
; %bb.73:
	buffer_load_dword v2, off, s[0:3], 0 offset:96
	buffer_load_dword v3, off, s[0:3], 0 offset:100
	;; [unrolled: 1-line block ×8, first 2 shown]
.LBB2187_74:
	s_or_b64 exec, exec, s[12:13]
	v_and_b32_e32 v11, 1, v11
	v_cmp_eq_u32_e32 vcc, 1, v11
	v_and_b32_e32 v11, 1, v13
	v_cmp_eq_u32_e64 s[12:13], 1, v11
	s_or_b64 s[12:13], vcc, s[12:13]
	v_cndmask_b32_e64 v11, 0, 1, s[12:13]
	buffer_store_byte v11, off, s[0:3], 0 offset:272
	buffer_load_dword v11, off, s[0:3], 0 offset:272
	s_waitcnt vmcnt(8)
	buffer_store_dword v3, off, s[0:3], 0 offset:244
	buffer_store_dword v2, off, s[0:3], 0 offset:240
	s_waitcnt vmcnt(8)
	buffer_store_dword v5, off, s[0:3], 0 offset:252
	buffer_store_dword v4, off, s[0:3], 0 offset:248
	;; [unrolled: 3-line block ×4, first 2 shown]
.LBB2187_75:
	s_or_b64 exec, exec, s[14:15]
	v_mov_b32_dpp v14, v2 row_shr:4 row_mask:0xf bank_mask:0xf
	s_waitcnt vmcnt(8)
	v_mov_b32_dpp v13, v11 row_shr:4 row_mask:0xf bank_mask:0xf
	v_cmp_lt_u32_e32 vcc, 3, v12
	v_mov_b32_dpp v15, v3 row_shr:4 row_mask:0xf bank_mask:0xf
	v_mov_b32_dpp v16, v4 row_shr:4 row_mask:0xf bank_mask:0xf
	;; [unrolled: 1-line block ×7, first 2 shown]
	buffer_store_dword v14, off, s[0:3], 0
	buffer_store_dword v15, off, s[0:3], 0 offset:4
	buffer_store_dword v16, off, s[0:3], 0 offset:8
	;; [unrolled: 1-line block ×8, first 2 shown]
	s_and_saveexec_b64 s[14:15], vcc
	s_cbranch_execz .LBB2187_83
; %bb.76:
	v_mov_b32_e32 v14, 0
	s_mov_b32 s16, 0
	v_cmp_eq_u16_sdwa s[28:29], v11, v14 src0_sel:BYTE_0 src1_sel:DWORD
	s_and_saveexec_b64 s[12:13], s[28:29]
	s_cbranch_execz .LBB2187_82
; %bb.77:
	v_mov_b32_e32 v2, 0x60
.LBB2187_78:                            ; =>This Inner Loop Header: Depth=1
	v_add_u32_e32 v3, s16, v2
	s_add_i32 s16, s16, 8
	s_cmp_lg_u32 s16, 32
	buffer_store_dword v14, v3, s[0:3], 0 offen offset:4
	buffer_store_dword v14, v3, s[0:3], 0 offen
	s_cbranch_scc1 .LBB2187_78
; %bb.79:
	s_mov_b32 s16, 0
	v_mov_b32_e32 v2, 0
	v_mov_b32_e32 v3, 0xf0
	v_mov_b32_e32 v4, 0x60
.LBB2187_80:                            ; =>This Inner Loop Header: Depth=1
	v_add_u32_e32 v5, s16, v2
	v_add_u32_e32 v6, s16, v3
	buffer_load_dword v7, v5, s[0:3], 0 offen offset:4
	buffer_load_dword v8, v6, s[0:3], 0 offen
	buffer_load_dword v9, v5, s[0:3], 0 offen
	buffer_load_dword v14, v6, s[0:3], 0 offen offset:4
	v_add_u32_e32 v5, s16, v4
	s_add_i32 s16, s16, 8
	s_cmp_lg_u32 s16, 32
	s_waitcnt vmcnt(1)
	v_add_u32_e32 v6, v8, v9
	s_waitcnt vmcnt(0)
	v_add_u32_e32 v7, v14, v7
	buffer_store_dword v7, v5, s[0:3], 0 offen offset:4
	buffer_store_dword v6, v5, s[0:3], 0 offen
	s_cbranch_scc1 .LBB2187_80
; %bb.81:
	buffer_load_dword v2, off, s[0:3], 0 offset:96
	buffer_load_dword v3, off, s[0:3], 0 offset:100
	;; [unrolled: 1-line block ×8, first 2 shown]
.LBB2187_82:
	s_or_b64 exec, exec, s[12:13]
	v_and_b32_e32 v11, 1, v11
	v_cmp_eq_u32_e32 vcc, 1, v11
	v_and_b32_e32 v11, 1, v13
	v_cmp_eq_u32_e64 s[12:13], 1, v11
	s_or_b64 s[12:13], vcc, s[12:13]
	v_cndmask_b32_e64 v11, 0, 1, s[12:13]
	buffer_store_byte v11, off, s[0:3], 0 offset:272
	buffer_load_dword v11, off, s[0:3], 0 offset:272
	s_waitcnt vmcnt(8)
	buffer_store_dword v3, off, s[0:3], 0 offset:244
	buffer_store_dword v2, off, s[0:3], 0 offset:240
	s_waitcnt vmcnt(8)
	buffer_store_dword v5, off, s[0:3], 0 offset:252
	buffer_store_dword v4, off, s[0:3], 0 offset:248
	;; [unrolled: 3-line block ×4, first 2 shown]
.LBB2187_83:
	s_or_b64 exec, exec, s[14:15]
	v_mov_b32_dpp v14, v2 row_shr:8 row_mask:0xf bank_mask:0xf
	s_waitcnt vmcnt(8)
	v_mov_b32_dpp v13, v11 row_shr:8 row_mask:0xf bank_mask:0xf
	v_cmp_lt_u32_e32 vcc, 7, v12
	v_mov_b32_dpp v15, v3 row_shr:8 row_mask:0xf bank_mask:0xf
	v_mov_b32_dpp v16, v4 row_shr:8 row_mask:0xf bank_mask:0xf
	v_mov_b32_dpp v17, v5 row_shr:8 row_mask:0xf bank_mask:0xf
	v_mov_b32_dpp v20, v6 row_shr:8 row_mask:0xf bank_mask:0xf
	v_mov_b32_dpp v21, v7 row_shr:8 row_mask:0xf bank_mask:0xf
	v_mov_b32_dpp v22, v8 row_shr:8 row_mask:0xf bank_mask:0xf
	v_mov_b32_dpp v23, v9 row_shr:8 row_mask:0xf bank_mask:0xf
	buffer_store_dword v14, off, s[0:3], 0
	buffer_store_dword v15, off, s[0:3], 0 offset:4
	buffer_store_dword v16, off, s[0:3], 0 offset:8
	buffer_store_dword v17, off, s[0:3], 0 offset:12
	buffer_store_dword v20, off, s[0:3], 0 offset:16
	buffer_store_dword v21, off, s[0:3], 0 offset:20
	buffer_store_dword v22, off, s[0:3], 0 offset:24
	buffer_store_dword v23, off, s[0:3], 0 offset:28
	buffer_store_dword v13, off, s[0:3], 0 offset:32
	s_and_saveexec_b64 s[14:15], vcc
	s_cbranch_execz .LBB2187_91
; %bb.84:
	v_mov_b32_e32 v12, 0
	s_mov_b32 s16, 0
	v_cmp_eq_u16_sdwa s[28:29], v11, v12 src0_sel:BYTE_0 src1_sel:DWORD
	s_and_saveexec_b64 s[12:13], s[28:29]
	s_cbranch_execz .LBB2187_90
; %bb.85:
	v_mov_b32_e32 v2, 0x60
.LBB2187_86:                            ; =>This Inner Loop Header: Depth=1
	v_add_u32_e32 v3, s16, v2
	s_add_i32 s16, s16, 8
	s_cmp_lg_u32 s16, 32
	buffer_store_dword v12, v3, s[0:3], 0 offen offset:4
	buffer_store_dword v12, v3, s[0:3], 0 offen
	s_cbranch_scc1 .LBB2187_86
; %bb.87:
	s_mov_b32 s16, 0
	v_mov_b32_e32 v2, 0
	v_mov_b32_e32 v3, 0xf0
	;; [unrolled: 1-line block ×3, first 2 shown]
.LBB2187_88:                            ; =>This Inner Loop Header: Depth=1
	v_add_u32_e32 v5, s16, v2
	v_add_u32_e32 v6, s16, v3
	buffer_load_dword v7, v5, s[0:3], 0 offen offset:4
	buffer_load_dword v8, v6, s[0:3], 0 offen
	buffer_load_dword v9, v5, s[0:3], 0 offen
	buffer_load_dword v12, v6, s[0:3], 0 offen offset:4
	v_add_u32_e32 v5, s16, v4
	s_add_i32 s16, s16, 8
	s_cmp_lg_u32 s16, 32
	s_waitcnt vmcnt(1)
	v_add_u32_e32 v6, v8, v9
	s_waitcnt vmcnt(0)
	v_add_u32_e32 v7, v12, v7
	buffer_store_dword v7, v5, s[0:3], 0 offen offset:4
	buffer_store_dword v6, v5, s[0:3], 0 offen
	s_cbranch_scc1 .LBB2187_88
; %bb.89:
	buffer_load_dword v2, off, s[0:3], 0 offset:96
	buffer_load_dword v3, off, s[0:3], 0 offset:100
	;; [unrolled: 1-line block ×8, first 2 shown]
.LBB2187_90:
	s_or_b64 exec, exec, s[12:13]
	v_and_b32_e32 v11, 1, v11
	v_cmp_eq_u32_e32 vcc, 1, v11
	v_and_b32_e32 v11, 1, v13
	v_cmp_eq_u32_e64 s[12:13], 1, v11
	s_or_b64 s[12:13], vcc, s[12:13]
	v_cndmask_b32_e64 v11, 0, 1, s[12:13]
	buffer_store_byte v11, off, s[0:3], 0 offset:272
	buffer_load_dword v11, off, s[0:3], 0 offset:272
	s_waitcnt vmcnt(8)
	buffer_store_dword v3, off, s[0:3], 0 offset:244
	buffer_store_dword v2, off, s[0:3], 0 offset:240
	s_waitcnt vmcnt(8)
	buffer_store_dword v5, off, s[0:3], 0 offset:252
	buffer_store_dword v4, off, s[0:3], 0 offset:248
	;; [unrolled: 3-line block ×4, first 2 shown]
.LBB2187_91:
	s_or_b64 exec, exec, s[14:15]
	v_mov_b32_dpp v13, v2 row_bcast:15 row_mask:0xf bank_mask:0xf
	v_mov_b32_dpp v14, v3 row_bcast:15 row_mask:0xf bank_mask:0xf
	;; [unrolled: 1-line block ×8, first 2 shown]
	s_waitcnt vmcnt(8)
	v_mov_b32_dpp v12, v11 row_bcast:15 row_mask:0xf bank_mask:0xf
	buffer_store_dword v13, off, s[0:3], 0
	buffer_store_dword v14, off, s[0:3], 0 offset:4
	buffer_store_dword v15, off, s[0:3], 0 offset:8
	;; [unrolled: 1-line block ×8, first 2 shown]
	v_and_b32_e32 v13, 16, v1
	v_cmp_ne_u32_e32 vcc, 0, v13
	s_and_saveexec_b64 s[14:15], vcc
	s_cbranch_execz .LBB2187_99
; %bb.92:
	v_mov_b32_e32 v13, 0
	s_mov_b32 s16, 0
	v_cmp_eq_u16_sdwa s[28:29], v11, v13 src0_sel:BYTE_0 src1_sel:DWORD
	s_and_saveexec_b64 s[12:13], s[28:29]
	s_cbranch_execz .LBB2187_98
; %bb.93:
	v_mov_b32_e32 v2, 0x60
.LBB2187_94:                            ; =>This Inner Loop Header: Depth=1
	v_add_u32_e32 v3, s16, v2
	s_add_i32 s16, s16, 8
	s_cmp_lg_u32 s16, 32
	buffer_store_dword v13, v3, s[0:3], 0 offen offset:4
	buffer_store_dword v13, v3, s[0:3], 0 offen
	s_cbranch_scc1 .LBB2187_94
; %bb.95:
	s_mov_b32 s16, 0
	v_mov_b32_e32 v2, 0
	v_mov_b32_e32 v3, 0xf0
	;; [unrolled: 1-line block ×3, first 2 shown]
.LBB2187_96:                            ; =>This Inner Loop Header: Depth=1
	v_add_u32_e32 v5, s16, v2
	v_add_u32_e32 v6, s16, v3
	buffer_load_dword v7, v5, s[0:3], 0 offen offset:4
	buffer_load_dword v8, v6, s[0:3], 0 offen
	buffer_load_dword v9, v5, s[0:3], 0 offen
	buffer_load_dword v13, v6, s[0:3], 0 offen offset:4
	v_add_u32_e32 v5, s16, v4
	s_add_i32 s16, s16, 8
	s_cmp_lg_u32 s16, 32
	s_waitcnt vmcnt(1)
	v_add_u32_e32 v6, v8, v9
	s_waitcnt vmcnt(0)
	v_add_u32_e32 v7, v13, v7
	buffer_store_dword v7, v5, s[0:3], 0 offen offset:4
	buffer_store_dword v6, v5, s[0:3], 0 offen
	s_cbranch_scc1 .LBB2187_96
; %bb.97:
	buffer_load_dword v2, off, s[0:3], 0 offset:96
	buffer_load_dword v3, off, s[0:3], 0 offset:100
	;; [unrolled: 1-line block ×8, first 2 shown]
.LBB2187_98:
	s_or_b64 exec, exec, s[12:13]
	v_and_b32_e32 v11, 1, v11
	v_cmp_eq_u32_e32 vcc, 1, v11
	v_and_b32_e32 v11, 1, v12
	v_cmp_eq_u32_e64 s[12:13], 1, v11
	s_or_b64 s[12:13], vcc, s[12:13]
	v_cndmask_b32_e64 v11, 0, 1, s[12:13]
	buffer_store_byte v11, off, s[0:3], 0 offset:272
	buffer_load_dword v11, off, s[0:3], 0 offset:272
	s_waitcnt vmcnt(8)
	buffer_store_dword v3, off, s[0:3], 0 offset:244
	buffer_store_dword v2, off, s[0:3], 0 offset:240
	s_waitcnt vmcnt(8)
	buffer_store_dword v5, off, s[0:3], 0 offset:252
	buffer_store_dword v4, off, s[0:3], 0 offset:248
	;; [unrolled: 3-line block ×4, first 2 shown]
.LBB2187_99:
	s_or_b64 exec, exec, s[14:15]
	v_mov_b32_dpp v13, v2 row_bcast:31 row_mask:0xf bank_mask:0xf
	s_waitcnt vmcnt(8)
	v_mov_b32_dpp v12, v11 row_bcast:31 row_mask:0xf bank_mask:0xf
	v_cmp_lt_u32_e32 vcc, 31, v1
	v_mov_b32_dpp v14, v3 row_bcast:31 row_mask:0xf bank_mask:0xf
	v_mov_b32_dpp v15, v4 row_bcast:31 row_mask:0xf bank_mask:0xf
	;; [unrolled: 1-line block ×7, first 2 shown]
	buffer_store_dword v13, off, s[0:3], 0
	buffer_store_dword v14, off, s[0:3], 0 offset:4
	buffer_store_dword v15, off, s[0:3], 0 offset:8
	;; [unrolled: 1-line block ×8, first 2 shown]
	s_and_saveexec_b64 s[14:15], vcc
	s_cbranch_execz .LBB2187_107
; %bb.100:
	v_mov_b32_e32 v13, 0
	s_mov_b32 s16, 0
	v_cmp_eq_u16_sdwa s[28:29], v11, v13 src0_sel:BYTE_0 src1_sel:DWORD
	s_and_saveexec_b64 s[12:13], s[28:29]
	s_cbranch_execz .LBB2187_106
; %bb.101:
	v_mov_b32_e32 v2, 0x60
.LBB2187_102:                           ; =>This Inner Loop Header: Depth=1
	v_add_u32_e32 v3, s16, v2
	s_add_i32 s16, s16, 8
	s_cmp_lg_u32 s16, 32
	buffer_store_dword v13, v3, s[0:3], 0 offen offset:4
	buffer_store_dword v13, v3, s[0:3], 0 offen
	s_cbranch_scc1 .LBB2187_102
; %bb.103:
	s_mov_b32 s16, 0
	v_mov_b32_e32 v2, 0
	v_mov_b32_e32 v3, 0xf0
	;; [unrolled: 1-line block ×3, first 2 shown]
.LBB2187_104:                           ; =>This Inner Loop Header: Depth=1
	v_add_u32_e32 v5, s16, v2
	v_add_u32_e32 v6, s16, v3
	buffer_load_dword v7, v5, s[0:3], 0 offen offset:4
	buffer_load_dword v8, v6, s[0:3], 0 offen
	buffer_load_dword v9, v5, s[0:3], 0 offen
	buffer_load_dword v13, v6, s[0:3], 0 offen offset:4
	v_add_u32_e32 v5, s16, v4
	s_add_i32 s16, s16, 8
	s_cmp_lg_u32 s16, 32
	s_waitcnt vmcnt(1)
	v_add_u32_e32 v6, v8, v9
	s_waitcnt vmcnt(0)
	v_add_u32_e32 v7, v13, v7
	buffer_store_dword v7, v5, s[0:3], 0 offen offset:4
	buffer_store_dword v6, v5, s[0:3], 0 offen
	s_cbranch_scc1 .LBB2187_104
; %bb.105:
	buffer_load_dword v2, off, s[0:3], 0 offset:96
	buffer_load_dword v3, off, s[0:3], 0 offset:100
	;; [unrolled: 1-line block ×8, first 2 shown]
.LBB2187_106:
	s_or_b64 exec, exec, s[12:13]
	v_and_b32_e32 v11, 1, v11
	v_cmp_eq_u32_e32 vcc, 1, v11
	v_and_b32_e32 v11, 1, v12
	v_cmp_eq_u32_e64 s[12:13], 1, v11
	s_or_b64 s[12:13], vcc, s[12:13]
	v_cndmask_b32_e64 v11, 0, 1, s[12:13]
	s_waitcnt vmcnt(6)
	buffer_store_dword v3, off, s[0:3], 0 offset:244
	buffer_store_dword v2, off, s[0:3], 0 offset:240
	s_waitcnt vmcnt(6)
	buffer_store_dword v5, off, s[0:3], 0 offset:252
	buffer_store_dword v4, off, s[0:3], 0 offset:248
	;; [unrolled: 3-line block ×4, first 2 shown]
	buffer_store_byte v11, off, s[0:3], 0 offset:272
.LBB2187_107:
	s_or_b64 exec, exec, s[14:15]
	v_or_b32_e32 v13, 63, v10
	v_lshrrev_b32_e32 v12, 6, v10
	v_cmp_eq_u32_e32 vcc, v13, v10
	s_and_saveexec_b64 s[12:13], vcc
	s_cbranch_execz .LBB2187_109
; %bb.108:
	v_mul_u32_u24_e32 v13, 36, v12
	ds_write2_b32 v13, v2, v3 offset1:1
	ds_write2_b32 v13, v4, v5 offset0:2 offset1:3
	ds_write2_b32 v13, v6, v7 offset0:4 offset1:5
	;; [unrolled: 1-line block ×3, first 2 shown]
	ds_write_b8 v13, v11 offset:32
.LBB2187_109:
	s_or_b64 exec, exec, s[12:13]
	v_cmp_gt_u32_e32 vcc, 4, v10
	s_waitcnt lgkmcnt(0)
	s_barrier
	s_and_saveexec_b64 s[14:15], vcc
	s_cbranch_execz .LBB2187_127
; %bb.110:
	v_mul_u32_u24_e32 v11, 36, v10
	ds_read_b32 v13, v11 offset:32
	ds_read2_b32 v[2:3], v11 offset0:6 offset1:7
	ds_read2_b32 v[4:5], v11 offset0:4 offset1:5
	;; [unrolled: 1-line block ×3, first 2 shown]
	ds_read2_b32 v[8:9], v11 offset1:1
	v_and_b32_e32 v14, 3, v1
	s_waitcnt lgkmcnt(4)
	v_mov_b32_dpp v15, v13 row_shr:1 row_mask:0xf bank_mask:0xf
	v_cmp_ne_u32_e32 vcc, 0, v14
	buffer_store_dword v13, off, s[0:3], 0 offset:128
	s_waitcnt lgkmcnt(0)
	v_mov_b32_dpp v16, v8 row_shr:1 row_mask:0xf bank_mask:0xf
	buffer_store_dword v3, off, s[0:3], 0 offset:124
	buffer_store_dword v2, off, s[0:3], 0 offset:120
	;; [unrolled: 1-line block ×8, first 2 shown]
	v_mov_b32_dpp v17, v9 row_shr:1 row_mask:0xf bank_mask:0xf
	v_mov_b32_dpp v20, v6 row_shr:1 row_mask:0xf bank_mask:0xf
	;; [unrolled: 1-line block ×7, first 2 shown]
	buffer_store_dword v16, off, s[0:3], 0
	buffer_store_dword v17, off, s[0:3], 0 offset:4
	buffer_store_dword v20, off, s[0:3], 0 offset:8
	;; [unrolled: 1-line block ×8, first 2 shown]
	s_and_saveexec_b64 s[12:13], vcc
	s_cbranch_execz .LBB2187_118
; %bb.111:
	v_mov_b32_e32 v16, 0
	v_cmp_eq_u16_sdwa s[28:29], v13, v16 src0_sel:BYTE_0 src1_sel:DWORD
	s_and_saveexec_b64 s[16:17], s[28:29]
	s_cbranch_execz .LBB2187_117
; %bb.112:
	s_mov_b32 s28, 0
	v_mov_b32_e32 v2, 0x84
.LBB2187_113:                           ; =>This Inner Loop Header: Depth=1
	v_add_u32_e32 v3, s28, v2
	s_add_i32 s28, s28, 8
	s_cmp_lg_u32 s28, 32
	buffer_store_dword v16, v3, s[0:3], 0 offen offset:4
	buffer_store_dword v16, v3, s[0:3], 0 offen
	s_cbranch_scc1 .LBB2187_113
; %bb.114:
	s_mov_b32 s28, 0
	v_mov_b32_e32 v2, 0
	v_mov_b32_e32 v3, 0x60
	;; [unrolled: 1-line block ×3, first 2 shown]
.LBB2187_115:                           ; =>This Inner Loop Header: Depth=1
	v_add_u32_e32 v5, s28, v2
	v_add_u32_e32 v6, s28, v3
	buffer_load_dword v7, v5, s[0:3], 0 offen offset:4
	buffer_load_dword v8, v6, s[0:3], 0 offen
	buffer_load_dword v9, v5, s[0:3], 0 offen
	buffer_load_dword v16, v6, s[0:3], 0 offen offset:4
	v_add_u32_e32 v5, s28, v4
	s_add_i32 s28, s28, 8
	s_cmp_lg_u32 s28, 32
	s_waitcnt vmcnt(1)
	v_add_u32_e32 v6, v8, v9
	s_waitcnt vmcnt(0)
	v_add_u32_e32 v7, v16, v7
	buffer_store_dword v7, v5, s[0:3], 0 offen offset:4
	buffer_store_dword v6, v5, s[0:3], 0 offen
	s_cbranch_scc1 .LBB2187_115
; %bb.116:
	buffer_load_dword v8, off, s[0:3], 0 offset:132
	buffer_load_dword v9, off, s[0:3], 0 offset:136
	;; [unrolled: 1-line block ×8, first 2 shown]
.LBB2187_117:
	s_or_b64 exec, exec, s[16:17]
	v_or_b32_e32 v13, v15, v13
	v_and_b32_e32 v13, 1, v13
	buffer_store_byte v13, off, s[0:3], 0 offset:128
	buffer_load_dword v13, off, s[0:3], 0 offset:128
	s_waitcnt vmcnt(8)
	buffer_store_dword v9, off, s[0:3], 0 offset:100
	buffer_store_dword v8, off, s[0:3], 0 offset:96
	s_waitcnt vmcnt(8)
	buffer_store_dword v7, off, s[0:3], 0 offset:108
	buffer_store_dword v6, off, s[0:3], 0 offset:104
	;; [unrolled: 3-line block ×4, first 2 shown]
.LBB2187_118:
	s_or_b64 exec, exec, s[12:13]
	v_mov_b32_dpp v16, v8 row_shr:2 row_mask:0xf bank_mask:0xf
	s_waitcnt vmcnt(8)
	v_mov_b32_dpp v15, v13 row_shr:2 row_mask:0xf bank_mask:0xf
	v_cmp_lt_u32_e32 vcc, 1, v14
	v_mov_b32_dpp v17, v9 row_shr:2 row_mask:0xf bank_mask:0xf
	v_mov_b32_dpp v20, v6 row_shr:2 row_mask:0xf bank_mask:0xf
	;; [unrolled: 1-line block ×7, first 2 shown]
	buffer_store_dword v16, off, s[0:3], 0
	buffer_store_dword v17, off, s[0:3], 0 offset:4
	buffer_store_dword v20, off, s[0:3], 0 offset:8
	;; [unrolled: 1-line block ×8, first 2 shown]
	s_and_saveexec_b64 s[16:17], vcc
	s_cbranch_execz .LBB2187_126
; %bb.119:
	v_mov_b32_e32 v14, 0
	s_mov_b32 s28, 0
	v_cmp_eq_u16_sdwa s[48:49], v13, v14 src0_sel:BYTE_0 src1_sel:DWORD
	s_and_saveexec_b64 s[12:13], s[48:49]
	s_cbranch_execz .LBB2187_125
; %bb.120:
	v_mov_b32_e32 v2, 0x84
.LBB2187_121:                           ; =>This Inner Loop Header: Depth=1
	v_add_u32_e32 v3, s28, v2
	s_add_i32 s28, s28, 8
	s_cmp_lg_u32 s28, 32
	buffer_store_dword v14, v3, s[0:3], 0 offen offset:4
	buffer_store_dword v14, v3, s[0:3], 0 offen
	s_cbranch_scc1 .LBB2187_121
; %bb.122:
	s_mov_b32 s28, 0
	v_mov_b32_e32 v2, 0
	v_mov_b32_e32 v3, 0x60
	;; [unrolled: 1-line block ×3, first 2 shown]
.LBB2187_123:                           ; =>This Inner Loop Header: Depth=1
	v_add_u32_e32 v5, s28, v2
	v_add_u32_e32 v6, s28, v3
	buffer_load_dword v7, v5, s[0:3], 0 offen offset:4
	buffer_load_dword v8, v6, s[0:3], 0 offen
	buffer_load_dword v9, v5, s[0:3], 0 offen
	buffer_load_dword v14, v6, s[0:3], 0 offen offset:4
	v_add_u32_e32 v5, s28, v4
	s_add_i32 s28, s28, 8
	s_cmp_lg_u32 s28, 32
	s_waitcnt vmcnt(1)
	v_add_u32_e32 v6, v8, v9
	s_waitcnt vmcnt(0)
	v_add_u32_e32 v7, v14, v7
	buffer_store_dword v7, v5, s[0:3], 0 offen offset:4
	buffer_store_dword v6, v5, s[0:3], 0 offen
	s_cbranch_scc1 .LBB2187_123
; %bb.124:
	buffer_load_dword v8, off, s[0:3], 0 offset:132
	buffer_load_dword v9, off, s[0:3], 0 offset:136
	buffer_load_dword v6, off, s[0:3], 0 offset:140
	buffer_load_dword v7, off, s[0:3], 0 offset:144
	buffer_load_dword v4, off, s[0:3], 0 offset:148
	buffer_load_dword v5, off, s[0:3], 0 offset:152
	buffer_load_dword v2, off, s[0:3], 0 offset:156
	buffer_load_dword v3, off, s[0:3], 0 offset:160
.LBB2187_125:
	s_or_b64 exec, exec, s[12:13]
	v_and_b32_e32 v13, 1, v13
	v_cmp_eq_u32_e32 vcc, 1, v13
	v_and_b32_e32 v13, 1, v15
	v_cmp_eq_u32_e64 s[12:13], 1, v13
	s_or_b64 s[12:13], vcc, s[12:13]
	v_cndmask_b32_e64 v13, 0, 1, s[12:13]
	s_waitcnt vmcnt(6)
	buffer_store_dword v9, off, s[0:3], 0 offset:100
	buffer_store_dword v8, off, s[0:3], 0 offset:96
	s_waitcnt vmcnt(6)
	buffer_store_dword v7, off, s[0:3], 0 offset:108
	buffer_store_dword v6, off, s[0:3], 0 offset:104
	;; [unrolled: 3-line block ×4, first 2 shown]
.LBB2187_126:
	s_or_b64 exec, exec, s[16:17]
	buffer_load_dword v2, off, s[0:3], 0 offset:96
	buffer_load_dword v3, off, s[0:3], 0 offset:100
	;; [unrolled: 1-line block ×8, first 2 shown]
	s_waitcnt vmcnt(4)
	ds_write2_b32 v11, v4, v5 offset0:2 offset1:3
	ds_write2_b32 v11, v2, v3 offset1:1
	s_waitcnt vmcnt(2)
	ds_write2_b32 v11, v6, v7 offset0:6 offset1:7
	s_waitcnt vmcnt(0)
	ds_write2_b32 v11, v8, v9 offset0:4 offset1:5
	ds_write_b8 v11, v13 offset:32
.LBB2187_127:
	s_or_b64 exec, exec, s[14:15]
	v_mov_b32_e32 v2, 0
	s_mov_b32 s12, 0
	v_mov_b32_e32 v3, 0
	s_waitcnt lgkmcnt(0)
	s_barrier
	buffer_store_dword v2, off, s[0:3], 0 offset:28
	buffer_store_dword v2, off, s[0:3], 0 offset:24
	;; [unrolled: 1-line block ×7, first 2 shown]
	buffer_store_dword v2, off, s[0:3], 0
	buffer_store_dword v2, off, s[0:3], 0 offset:32
.LBB2187_128:                           ; =>This Inner Loop Header: Depth=1
	v_add_u32_e32 v4, s12, v3
	s_add_i32 s12, s12, 8
	s_cmp_lg_u32 s12, 32
	buffer_store_dword v2, v4, s[0:3], 0 offen offset:4
	buffer_store_dword v2, v4, s[0:3], 0 offen
	s_cbranch_scc1 .LBB2187_128
; %bb.129:
	v_cmp_gt_u32_e32 vcc, 64, v10
	v_cmp_lt_u32_e64 s[12:13], 63, v10
                                        ; implicit-def: $vgpr2_vgpr3
                                        ; implicit-def: $vgpr4_vgpr5
                                        ; implicit-def: $vgpr6_vgpr7
                                        ; implicit-def: $vgpr8_vgpr9
                                        ; implicit-def: $vgpr11
	s_and_saveexec_b64 s[14:15], s[12:13]
	s_xor_b64 s[14:15], exec, s[14:15]
	s_cbranch_execz .LBB2187_139
; %bb.130:
	buffer_load_ubyte v13, off, s[0:3], 0 offset:272
	v_not_b32_e32 v2, 35
	v_mad_u32_u24 v11, v12, 36, v2
	ds_read2_b32 v[2:3], v11 offset0:2 offset1:3
	ds_read2_b32 v[4:5], v11 offset0:4 offset1:5
	ds_read2_b32 v[6:7], v11 offset1:1
	ds_read2_b32 v[8:9], v11 offset0:6 offset1:7
	s_waitcnt lgkmcnt(3)
	buffer_store_dword v3, off, s[0:3], 0 offset:12
	buffer_store_dword v2, off, s[0:3], 0 offset:8
	s_waitcnt lgkmcnt(1)
	buffer_store_dword v7, off, s[0:3], 0 offset:4
	buffer_store_dword v6, off, s[0:3], 0
	s_waitcnt lgkmcnt(0)
	buffer_store_dword v9, off, s[0:3], 0 offset:28
	ds_read_u8 v11, v11 offset:32
	buffer_store_dword v8, off, s[0:3], 0 offset:24
	buffer_store_dword v5, off, s[0:3], 0 offset:20
	buffer_store_dword v4, off, s[0:3], 0 offset:16
                                        ; implicit-def: $vgpr2_vgpr3
                                        ; implicit-def: $vgpr4_vgpr5
                                        ; implicit-def: $vgpr6_vgpr7
                                        ; implicit-def: $vgpr8_vgpr9
	s_waitcnt vmcnt(8)
	v_cmp_ne_u16_e64 s[12:13], 0, v13
	s_and_saveexec_b64 s[16:17], s[12:13]
	s_xor_b64 s[12:13], exec, s[16:17]
	s_cbranch_execz .LBB2187_132
; %bb.131:
	buffer_load_dword v2, off, s[0:3], 0 offset:240
	buffer_load_dword v3, off, s[0:3], 0 offset:244
	;; [unrolled: 1-line block ×8, first 2 shown]
.LBB2187_132:
	s_andn2_saveexec_b64 s[12:13], s[12:13]
	s_cbranch_execz .LBB2187_138
; %bb.133:
	s_mov_b32 s16, 0
	s_waitcnt vmcnt(7)
	v_mov_b32_e32 v2, 0x60
	s_waitcnt vmcnt(6)
	v_mov_b32_e32 v3, 0
	s_waitcnt vmcnt(0)
.LBB2187_134:                           ; =>This Inner Loop Header: Depth=1
	v_add_u32_e32 v4, s16, v2
	s_add_i32 s16, s16, 8
	s_cmp_lg_u32 s16, 32
	buffer_store_dword v3, v4, s[0:3], 0 offen offset:4
	buffer_store_dword v3, v4, s[0:3], 0 offen
	s_cbranch_scc1 .LBB2187_134
; %bb.135:
	s_mov_b32 s16, 0
	v_mov_b32_e32 v2, 0
	v_mov_b32_e32 v3, 0xf0
	;; [unrolled: 1-line block ×3, first 2 shown]
.LBB2187_136:                           ; =>This Inner Loop Header: Depth=1
	v_add_u32_e32 v5, s16, v2
	v_add_u32_e32 v6, s16, v3
	buffer_load_dword v7, v5, s[0:3], 0 offen offset:4
	buffer_load_dword v8, v6, s[0:3], 0 offen
	buffer_load_dword v9, v5, s[0:3], 0 offen
	buffer_load_dword v12, v6, s[0:3], 0 offen offset:4
	v_add_u32_e32 v5, s16, v4
	s_add_i32 s16, s16, 8
	s_cmp_lg_u32 s16, 32
	s_waitcnt vmcnt(1)
	v_add_u32_e32 v6, v8, v9
	s_waitcnt vmcnt(0)
	v_add_u32_e32 v7, v12, v7
	buffer_store_dword v7, v5, s[0:3], 0 offen offset:4
	buffer_store_dword v6, v5, s[0:3], 0 offen
	s_cbranch_scc1 .LBB2187_136
; %bb.137:
	buffer_load_dword v2, off, s[0:3], 0 offset:96
	buffer_load_dword v3, off, s[0:3], 0 offset:100
	;; [unrolled: 1-line block ×8, first 2 shown]
.LBB2187_138:
	s_or_b64 exec, exec, s[12:13]
	s_waitcnt lgkmcnt(0)
	v_or_b32_e32 v12, v13, v11
	v_and_b32_e32 v12, 1, v12
	buffer_store_byte v12, off, s[0:3], 0 offset:272
.LBB2187_139:
	s_andn2_saveexec_b64 s[12:13], s[14:15]
	s_cbranch_execz .LBB2187_141
; %bb.140:
	buffer_load_dword v2, off, s[0:3], 0 offset:240
	buffer_load_dword v3, off, s[0:3], 0 offset:244
	;; [unrolled: 1-line block ×8, first 2 shown]
	v_mov_b32_e32 v11, 0
.LBB2187_141:
	s_or_b64 exec, exec, s[12:13]
	buffer_load_dword v12, off, s[0:3], 0 offset:272
	v_add_u32_e32 v13, -1, v1
	v_and_b32_e32 v14, 64, v1
	v_cmp_lt_i32_e64 s[12:13], v13, v14
	v_cndmask_b32_e64 v13, v13, v1, s[12:13]
	v_lshlrev_b32_e32 v13, 2, v13
	s_waitcnt vmcnt(8)
	ds_bpermute_b32 v2, v13, v2
	s_waitcnt vmcnt(7)
	ds_bpermute_b32 v3, v13, v3
	;; [unrolled: 2-line block ×3, first 2 shown]
	ds_bpermute_b32 v4, v13, v4
	s_waitcnt vmcnt(3)
	ds_bpermute_b32 v7, v13, v7
	ds_bpermute_b32 v5, v13, v5
	s_waitcnt vmcnt(2)
	ds_bpermute_b32 v8, v13, v8
	s_waitcnt vmcnt(1)
	ds_bpermute_b32 v9, v13, v9
	s_waitcnt lgkmcnt(7)
	buffer_store_dword v2, off, s[0:3], 0 offset:240
	s_waitcnt lgkmcnt(6)
	buffer_store_dword v3, off, s[0:3], 0 offset:244
	;; [unrolled: 2-line block ×4, first 2 shown]
	v_cmp_eq_u32_e64 s[12:13], 0, v1
	s_waitcnt vmcnt(4)
	ds_bpermute_b32 v2, v13, v12
	buffer_store_dword v6, off, s[0:3], 0 offset:256
	buffer_store_dword v7, off, s[0:3], 0 offset:260
	s_waitcnt lgkmcnt(2)
	buffer_store_dword v8, off, s[0:3], 0 offset:264
	s_waitcnt lgkmcnt(1)
	;; [unrolled: 2-line block ×3, first 2 shown]
	buffer_store_byte v2, off, s[0:3], 0 offset:272
	s_and_saveexec_b64 s[14:15], s[12:13]
	s_cbranch_execz .LBB2187_143
; %bb.142:
	buffer_load_dword v2, off, s[0:3], 0 offset:12
	buffer_load_dword v3, off, s[0:3], 0 offset:8
	;; [unrolled: 1-line block ×3, first 2 shown]
	buffer_load_dword v5, off, s[0:3], 0
	buffer_load_dword v6, off, s[0:3], 0 offset:28
	buffer_load_dword v7, off, s[0:3], 0 offset:24
	;; [unrolled: 1-line block ×4, first 2 shown]
	s_waitcnt vmcnt(7)
	buffer_store_dword v2, off, s[0:3], 0 offset:252
	s_waitcnt vmcnt(7)
	buffer_store_dword v3, off, s[0:3], 0 offset:248
	;; [unrolled: 2-line block ×8, first 2 shown]
	buffer_store_byte v11, off, s[0:3], 0 offset:272
.LBB2187_143:
	s_or_b64 exec, exec, s[14:15]
	s_and_saveexec_b64 s[16:17], vcc
	s_cbranch_execz .LBB2187_284
; %bb.144:
	v_mov_b32_e32 v11, 0
	ds_read2_b32 v[6:7], v11 offset0:27 offset1:28
	ds_read2_b32 v[8:9], v11 offset0:29 offset1:30
	;; [unrolled: 1-line block ×4, first 2 shown]
	ds_read_b32 v12, v11 offset:140
	s_waitcnt lgkmcnt(4)
	buffer_store_dword v7, off, s[0:3], 0 offset:208
	buffer_store_dword v6, off, s[0:3], 0 offset:204
	s_waitcnt lgkmcnt(3)
	buffer_store_dword v9, off, s[0:3], 0 offset:216
	buffer_store_dword v8, off, s[0:3], 0 offset:212
	;; [unrolled: 3-line block ×4, first 2 shown]
	s_waitcnt lgkmcnt(0)
	buffer_store_dword v12, off, s[0:3], 0 offset:236
	s_and_saveexec_b64 s[14:15], s[12:13]
	s_cbranch_execz .LBB2187_146
; %bb.145:
	s_add_i32 s48, s33, 64
	s_mul_i32 s28, s48, 36
	s_mul_hi_u32 s29, s48, 36
	s_add_u32 s28, s20, s28
	s_addc_u32 s29, s21, s29
	global_store_dwordx4 v11, v[6:9], s[28:29]
	global_store_dwordx4 v11, v[2:5], s[28:29] offset:16
	global_store_byte v11, v12, s[28:29] offset:32
	v_mov_b32_e32 v2, s48
	v_mov_b32_e32 v3, 1
	s_waitcnt vmcnt(0)
	buffer_wbinvl1_vol
	global_store_byte v2, v3, s[24:25]
.LBB2187_146:
	s_or_b64 exec, exec, s[14:15]
	s_mov_b32 s14, 0
	v_mov_b32_e32 v2, 0xa8
	buffer_store_dword v11, off, s[0:3], 0 offset:196
	buffer_store_dword v11, off, s[0:3], 0 offset:192
	;; [unrolled: 1-line block ×9, first 2 shown]
.LBB2187_147:                           ; =>This Inner Loop Header: Depth=1
	v_add_u32_e32 v3, s14, v2
	s_add_i32 s14, s14, 8
	s_cmp_lg_u32 s14, 32
	buffer_store_dword v11, v3, s[0:3], 0 offen offset:4
	buffer_store_dword v11, v3, s[0:3], 0 offen
	s_cbranch_scc1 .LBB2187_147
; %bb.148:
	s_mov_b32 s14, 0
	v_mov_b32_e32 v2, 0
	v_mov_b32_e32 v3, 0x60
	buffer_store_byte v2, off, s[0:3], 0 offset:200
	buffer_store_dword v2, off, s[0:3], 0 offset:124
	buffer_store_dword v2, off, s[0:3], 0 offset:120
	;; [unrolled: 1-line block ×9, first 2 shown]
.LBB2187_149:                           ; =>This Inner Loop Header: Depth=1
	v_add_u32_e32 v4, s14, v3
	s_add_i32 s14, s14, 8
	s_cmp_lg_u32 s14, 32
	buffer_store_dword v2, v4, s[0:3], 0 offen offset:4
	buffer_store_dword v2, v4, s[0:3], 0 offen
	s_cbranch_scc1 .LBB2187_149
; %bb.150:
	v_xad_u32 v12, v1, -1, s33
	v_mov_b32_e32 v2, 0
	buffer_store_byte v2, off, s[0:3], 0 offset:128
	v_add_u32_e32 v2, 64, v12
	global_load_ubyte v11, v2, s[24:25] glc
	s_waitcnt vmcnt(0)
	v_cmp_eq_u16_e32 vcc, 0, v11
	s_and_saveexec_b64 s[14:15], vcc
	s_cbranch_execz .LBB2187_154
; %bb.151:
	v_mov_b32_e32 v3, s25
	v_add_co_u32_e32 v4, vcc, s24, v2
	v_addc_co_u32_e32 v5, vcc, 0, v3, vcc
	s_mov_b64 s[28:29], 0
.LBB2187_152:                           ; =>This Inner Loop Header: Depth=1
	global_load_ubyte v11, v[4:5], off glc
	s_waitcnt vmcnt(0)
	v_cmp_ne_u16_e32 vcc, 0, v11
	s_or_b64 s[28:29], vcc, s[28:29]
	s_andn2_b64 exec, exec, s[28:29]
	s_cbranch_execnz .LBB2187_152
; %bb.153:
	s_or_b64 exec, exec, s[28:29]
.LBB2187_154:
	s_or_b64 exec, exec, s[14:15]
	v_mov_b32_e32 v3, s23
	v_mov_b32_e32 v4, s21
	v_cmp_eq_u16_e32 vcc, 1, v11
	v_cndmask_b32_e32 v5, v3, v4, vcc
	v_mov_b32_e32 v3, s22
	v_mov_b32_e32 v4, s20
	v_cndmask_b32_e32 v4, v3, v4, vcc
	v_mad_u64_u32 v[14:15], s[14:15], v2, 36, v[4:5]
	buffer_wbinvl1_vol
	global_load_dwordx4 v[2:5], v[14:15], off
	global_load_dwordx4 v[6:9], v[14:15], off offset:16
	global_load_ubyte v16, v[14:15], off offset:32
	v_mov_b32_e32 v13, 0
	s_mov_b32 s14, 0
	v_mov_b32_e32 v14, 0
	buffer_store_dword v13, off, s[0:3], 0 offset:32
	s_waitcnt vmcnt(3)
	buffer_store_dword v5, off, s[0:3], 0 offset:108
	buffer_store_dword v4, off, s[0:3], 0 offset:104
	;; [unrolled: 1-line block ×4, first 2 shown]
	s_waitcnt vmcnt(6)
	buffer_store_dword v9, off, s[0:3], 0 offset:124
	buffer_store_dword v8, off, s[0:3], 0 offset:120
	;; [unrolled: 1-line block ×4, first 2 shown]
	s_waitcnt vmcnt(9)
	buffer_store_byte v16, off, s[0:3], 0 offset:128
	buffer_store_dword v3, off, s[0:3], 0 offset:172
	buffer_store_dword v2, off, s[0:3], 0 offset:168
	;; [unrolled: 1-line block ×8, first 2 shown]
	buffer_store_byte v16, off, s[0:3], 0 offset:200
.LBB2187_155:                           ; =>This Inner Loop Header: Depth=1
	v_add_u32_e32 v15, s14, v14
	s_add_i32 s14, s14, 8
	s_cmp_lg_u32 s14, 32
	buffer_store_dword v13, v15, s[0:3], 0 offen offset:4
	buffer_store_dword v13, v15, s[0:3], 0 offen
	s_cbranch_scc1 .LBB2187_155
; %bb.156:
	buffer_load_dword v29, off, s[0:3], 0 offset:200
	v_lshlrev_b64 v[14:15], v1, -1
	v_cmp_eq_u16_e32 vcc, 2, v11
	v_and_b32_e32 v13, 63, v1
	v_and_b32_e32 v16, vcc_hi, v15
	v_and_b32_e32 v17, vcc_lo, v14
	v_cmp_ne_u32_e32 vcc, 63, v13
	v_addc_co_u32_e32 v20, vcc, 0, v1, vcc
	v_or_b32_e32 v21, 0x80000000, v16
	v_lshlrev_b32_e32 v16, 2, v20
	v_ffbl_b32_e32 v20, v21
	v_ffbl_b32_e32 v17, v17
	v_add_u32_e32 v20, 32, v20
	ds_bpermute_b32 v21, v16, v2
	ds_bpermute_b32 v25, v16, v6
	v_min_u32_e32 v30, v17, v20
	ds_bpermute_b32 v22, v16, v3
	ds_bpermute_b32 v26, v16, v7
	;; [unrolled: 1-line block ×6, first 2 shown]
	v_cmp_lt_u32_e32 vcc, v13, v30
	s_waitcnt lgkmcnt(7)
	buffer_store_dword v21, off, s[0:3], 0
	s_waitcnt lgkmcnt(5)
	buffer_store_dword v22, off, s[0:3], 0 offset:4
	s_waitcnt lgkmcnt(3)
	buffer_store_dword v23, off, s[0:3], 0 offset:8
	;; [unrolled: 2-line block ×3, first 2 shown]
	buffer_store_dword v25, off, s[0:3], 0 offset:16
	buffer_store_dword v26, off, s[0:3], 0 offset:20
	;; [unrolled: 1-line block ×3, first 2 shown]
	s_waitcnt lgkmcnt(0)
	buffer_store_dword v28, off, s[0:3], 0 offset:28
	s_waitcnt vmcnt(8)
	ds_bpermute_b32 v17, v16, v29
	s_and_saveexec_b64 s[14:15], vcc
	s_cbranch_execz .LBB2187_164
; %bb.157:
	v_mov_b32_e32 v20, 0
	v_cmp_eq_u16_sdwa s[48:49], v29, v20 src0_sel:BYTE_0 src1_sel:DWORD
	s_and_saveexec_b64 s[28:29], s[48:49]
	s_cbranch_execz .LBB2187_163
; %bb.158:
	s_mov_b32 s48, 0
	v_mov_b32_e32 v2, 0x84
.LBB2187_159:                           ; =>This Inner Loop Header: Depth=1
	v_add_u32_e32 v3, s48, v2
	s_add_i32 s48, s48, 8
	s_cmp_lg_u32 s48, 32
	buffer_store_dword v20, v3, s[0:3], 0 offen offset:4
	buffer_store_dword v20, v3, s[0:3], 0 offen
	s_cbranch_scc1 .LBB2187_159
; %bb.160:
	s_mov_b32 s48, 0
	v_mov_b32_e32 v2, 0
	v_mov_b32_e32 v3, 0xa8
	;; [unrolled: 1-line block ×3, first 2 shown]
.LBB2187_161:                           ; =>This Inner Loop Header: Depth=1
	v_add_u32_e32 v5, s48, v2
	v_add_u32_e32 v6, s48, v3
	buffer_load_dword v7, v5, s[0:3], 0 offen offset:4
	buffer_load_dword v8, v6, s[0:3], 0 offen
	buffer_load_dword v9, v5, s[0:3], 0 offen
	buffer_load_dword v20, v6, s[0:3], 0 offen offset:4
	v_add_u32_e32 v5, s48, v4
	s_add_i32 s48, s48, 8
	s_cmp_lg_u32 s48, 32
	s_waitcnt vmcnt(1)
	v_add_u32_e32 v6, v8, v9
	s_waitcnt vmcnt(0)
	v_add_u32_e32 v7, v20, v7
	buffer_store_dword v7, v5, s[0:3], 0 offen offset:4
	buffer_store_dword v6, v5, s[0:3], 0 offen
	s_cbranch_scc1 .LBB2187_161
; %bb.162:
	buffer_load_dword v2, off, s[0:3], 0 offset:132
	buffer_load_dword v3, off, s[0:3], 0 offset:136
	;; [unrolled: 1-line block ×8, first 2 shown]
.LBB2187_163:
	s_or_b64 exec, exec, s[28:29]
	s_waitcnt lgkmcnt(0)
	v_or_b32_e32 v17, v17, v29
	v_and_b32_e32 v17, 1, v17
	buffer_store_byte v17, off, s[0:3], 0 offset:200
	buffer_load_dword v29, off, s[0:3], 0 offset:200
	s_waitcnt vmcnt(8)
	buffer_store_dword v3, off, s[0:3], 0 offset:172
	buffer_store_dword v2, off, s[0:3], 0 offset:168
	s_waitcnt vmcnt(8)
	buffer_store_dword v5, off, s[0:3], 0 offset:180
	buffer_store_dword v4, off, s[0:3], 0 offset:176
	;; [unrolled: 3-line block ×4, first 2 shown]
.LBB2187_164:
	s_or_b64 exec, exec, s[14:15]
	v_cmp_gt_u32_e32 vcc, 62, v13
	v_cndmask_b32_e64 v20, 0, 1, vcc
	v_lshlrev_b32_e32 v20, 1, v20
	v_add_lshl_u32 v20, v20, v1, 2
	ds_bpermute_b32 v22, v20, v2
	s_waitcnt vmcnt(8)
	ds_bpermute_b32 v21, v20, v29
	ds_bpermute_b32 v23, v20, v3
	;; [unrolled: 1-line block ×3, first 2 shown]
	s_waitcnt lgkmcnt(4)
	v_add_u32_e32 v17, 2, v13
	ds_bpermute_b32 v25, v20, v5
	ds_bpermute_b32 v26, v20, v6
	v_cmp_le_u32_e32 vcc, v17, v30
	ds_bpermute_b32 v27, v20, v7
	ds_bpermute_b32 v28, v20, v8
	;; [unrolled: 1-line block ×3, first 2 shown]
	s_waitcnt lgkmcnt(8)
	buffer_store_dword v22, off, s[0:3], 0
	s_waitcnt lgkmcnt(6)
	buffer_store_dword v23, off, s[0:3], 0 offset:4
	s_waitcnt lgkmcnt(5)
	buffer_store_dword v24, off, s[0:3], 0 offset:8
	;; [unrolled: 2-line block ×7, first 2 shown]
	s_and_saveexec_b64 s[28:29], vcc
	s_cbranch_execz .LBB2187_172
; %bb.165:
	v_mov_b32_e32 v22, 0
	s_mov_b32 s48, 0
	v_cmp_eq_u16_sdwa s[50:51], v29, v22 src0_sel:BYTE_0 src1_sel:DWORD
	s_and_saveexec_b64 s[14:15], s[50:51]
	s_cbranch_execz .LBB2187_171
; %bb.166:
	v_mov_b32_e32 v2, 0x84
.LBB2187_167:                           ; =>This Inner Loop Header: Depth=1
	v_add_u32_e32 v3, s48, v2
	s_add_i32 s48, s48, 8
	s_cmp_lg_u32 s48, 32
	buffer_store_dword v22, v3, s[0:3], 0 offen offset:4
	buffer_store_dword v22, v3, s[0:3], 0 offen
	s_cbranch_scc1 .LBB2187_167
; %bb.168:
	s_mov_b32 s48, 0
	v_mov_b32_e32 v2, 0
	v_mov_b32_e32 v3, 0xa8
	;; [unrolled: 1-line block ×3, first 2 shown]
.LBB2187_169:                           ; =>This Inner Loop Header: Depth=1
	v_add_u32_e32 v5, s48, v2
	v_add_u32_e32 v6, s48, v3
	buffer_load_dword v7, v5, s[0:3], 0 offen offset:4
	buffer_load_dword v8, v6, s[0:3], 0 offen
	buffer_load_dword v9, v5, s[0:3], 0 offen
	buffer_load_dword v22, v6, s[0:3], 0 offen offset:4
	v_add_u32_e32 v5, s48, v4
	s_add_i32 s48, s48, 8
	s_cmp_lg_u32 s48, 32
	s_waitcnt vmcnt(1)
	v_add_u32_e32 v6, v8, v9
	s_waitcnt vmcnt(0)
	v_add_u32_e32 v7, v22, v7
	buffer_store_dword v7, v5, s[0:3], 0 offen offset:4
	buffer_store_dword v6, v5, s[0:3], 0 offen
	s_cbranch_scc1 .LBB2187_169
; %bb.170:
	buffer_load_dword v2, off, s[0:3], 0 offset:132
	buffer_load_dword v3, off, s[0:3], 0 offset:136
	;; [unrolled: 1-line block ×8, first 2 shown]
.LBB2187_171:
	s_or_b64 exec, exec, s[14:15]
	v_and_b32_e32 v22, 1, v29
	v_and_b32_e32 v21, 1, v21
	v_cmp_eq_u32_e32 vcc, 1, v22
	v_cmp_eq_u32_e64 s[14:15], 1, v21
	s_or_b64 s[14:15], vcc, s[14:15]
	v_cndmask_b32_e64 v21, 0, 1, s[14:15]
	buffer_store_byte v21, off, s[0:3], 0 offset:200
	buffer_load_dword v29, off, s[0:3], 0 offset:200
	s_waitcnt vmcnt(8)
	buffer_store_dword v3, off, s[0:3], 0 offset:172
	buffer_store_dword v2, off, s[0:3], 0 offset:168
	s_waitcnt vmcnt(8)
	buffer_store_dword v5, off, s[0:3], 0 offset:180
	buffer_store_dword v4, off, s[0:3], 0 offset:176
	;; [unrolled: 3-line block ×4, first 2 shown]
.LBB2187_172:
	s_or_b64 exec, exec, s[28:29]
	v_cmp_gt_u32_e32 vcc, 60, v13
	v_cndmask_b32_e64 v22, 0, 1, vcc
	v_lshlrev_b32_e32 v22, 2, v22
	v_add_lshl_u32 v22, v22, v1, 2
	ds_bpermute_b32 v24, v22, v2
	s_waitcnt vmcnt(8)
	ds_bpermute_b32 v23, v22, v29
	ds_bpermute_b32 v25, v22, v3
	;; [unrolled: 1-line block ×3, first 2 shown]
	v_add_u32_e32 v21, 4, v13
	ds_bpermute_b32 v27, v22, v5
	ds_bpermute_b32 v28, v22, v6
	v_cmp_le_u32_e32 vcc, v21, v30
	ds_bpermute_b32 v31, v22, v7
	ds_bpermute_b32 v32, v22, v8
	ds_bpermute_b32 v33, v22, v9
	s_waitcnt lgkmcnt(8)
	buffer_store_dword v24, off, s[0:3], 0
	s_waitcnt lgkmcnt(6)
	buffer_store_dword v25, off, s[0:3], 0 offset:4
	s_waitcnt lgkmcnt(5)
	buffer_store_dword v26, off, s[0:3], 0 offset:8
	;; [unrolled: 2-line block ×7, first 2 shown]
	s_and_saveexec_b64 s[28:29], vcc
	s_cbranch_execz .LBB2187_180
; %bb.173:
	v_mov_b32_e32 v24, 0
	s_mov_b32 s48, 0
	v_cmp_eq_u16_sdwa s[50:51], v29, v24 src0_sel:BYTE_0 src1_sel:DWORD
	s_and_saveexec_b64 s[14:15], s[50:51]
	s_cbranch_execz .LBB2187_179
; %bb.174:
	v_mov_b32_e32 v2, 0x84
.LBB2187_175:                           ; =>This Inner Loop Header: Depth=1
	v_add_u32_e32 v3, s48, v2
	s_add_i32 s48, s48, 8
	s_cmp_lg_u32 s48, 32
	buffer_store_dword v24, v3, s[0:3], 0 offen offset:4
	buffer_store_dword v24, v3, s[0:3], 0 offen
	s_cbranch_scc1 .LBB2187_175
; %bb.176:
	s_mov_b32 s48, 0
	v_mov_b32_e32 v2, 0
	v_mov_b32_e32 v3, 0xa8
	;; [unrolled: 1-line block ×3, first 2 shown]
.LBB2187_177:                           ; =>This Inner Loop Header: Depth=1
	v_add_u32_e32 v5, s48, v2
	v_add_u32_e32 v6, s48, v3
	buffer_load_dword v7, v5, s[0:3], 0 offen offset:4
	buffer_load_dword v8, v6, s[0:3], 0 offen
	buffer_load_dword v9, v5, s[0:3], 0 offen
	buffer_load_dword v24, v6, s[0:3], 0 offen offset:4
	v_add_u32_e32 v5, s48, v4
	s_add_i32 s48, s48, 8
	s_cmp_lg_u32 s48, 32
	s_waitcnt vmcnt(1)
	v_add_u32_e32 v6, v8, v9
	s_waitcnt vmcnt(0)
	v_add_u32_e32 v7, v24, v7
	buffer_store_dword v7, v5, s[0:3], 0 offen offset:4
	buffer_store_dword v6, v5, s[0:3], 0 offen
	s_cbranch_scc1 .LBB2187_177
; %bb.178:
	buffer_load_dword v2, off, s[0:3], 0 offset:132
	buffer_load_dword v3, off, s[0:3], 0 offset:136
	;; [unrolled: 1-line block ×8, first 2 shown]
.LBB2187_179:
	s_or_b64 exec, exec, s[14:15]
	v_and_b32_e32 v24, 1, v29
	v_and_b32_e32 v23, 1, v23
	v_cmp_eq_u32_e32 vcc, 1, v24
	v_cmp_eq_u32_e64 s[14:15], 1, v23
	s_or_b64 s[14:15], vcc, s[14:15]
	v_cndmask_b32_e64 v23, 0, 1, s[14:15]
	buffer_store_byte v23, off, s[0:3], 0 offset:200
	buffer_load_dword v29, off, s[0:3], 0 offset:200
	s_waitcnt vmcnt(8)
	buffer_store_dword v3, off, s[0:3], 0 offset:172
	buffer_store_dword v2, off, s[0:3], 0 offset:168
	s_waitcnt vmcnt(8)
	buffer_store_dword v5, off, s[0:3], 0 offset:180
	buffer_store_dword v4, off, s[0:3], 0 offset:176
	;; [unrolled: 3-line block ×4, first 2 shown]
.LBB2187_180:
	s_or_b64 exec, exec, s[28:29]
	v_cmp_gt_u32_e32 vcc, 56, v13
	v_cndmask_b32_e64 v24, 0, 1, vcc
	v_lshlrev_b32_e32 v24, 3, v24
	v_add_lshl_u32 v24, v24, v1, 2
	ds_bpermute_b32 v26, v24, v2
	s_waitcnt vmcnt(8)
	ds_bpermute_b32 v25, v24, v29
	ds_bpermute_b32 v27, v24, v3
	;; [unrolled: 1-line block ×3, first 2 shown]
	v_add_u32_e32 v23, 8, v13
	ds_bpermute_b32 v31, v24, v5
	ds_bpermute_b32 v32, v24, v6
	v_cmp_le_u32_e32 vcc, v23, v30
	ds_bpermute_b32 v33, v24, v7
	ds_bpermute_b32 v34, v24, v8
	ds_bpermute_b32 v35, v24, v9
	s_waitcnt lgkmcnt(8)
	buffer_store_dword v26, off, s[0:3], 0
	s_waitcnt lgkmcnt(6)
	buffer_store_dword v27, off, s[0:3], 0 offset:4
	s_waitcnt lgkmcnt(5)
	buffer_store_dword v28, off, s[0:3], 0 offset:8
	;; [unrolled: 2-line block ×7, first 2 shown]
	s_and_saveexec_b64 s[28:29], vcc
	s_cbranch_execz .LBB2187_188
; %bb.181:
	v_mov_b32_e32 v26, 0
	s_mov_b32 s48, 0
	v_cmp_eq_u16_sdwa s[50:51], v29, v26 src0_sel:BYTE_0 src1_sel:DWORD
	s_and_saveexec_b64 s[14:15], s[50:51]
	s_cbranch_execz .LBB2187_187
; %bb.182:
	v_mov_b32_e32 v2, 0x84
.LBB2187_183:                           ; =>This Inner Loop Header: Depth=1
	v_add_u32_e32 v3, s48, v2
	s_add_i32 s48, s48, 8
	s_cmp_lg_u32 s48, 32
	buffer_store_dword v26, v3, s[0:3], 0 offen offset:4
	buffer_store_dword v26, v3, s[0:3], 0 offen
	s_cbranch_scc1 .LBB2187_183
; %bb.184:
	s_mov_b32 s48, 0
	v_mov_b32_e32 v2, 0
	v_mov_b32_e32 v3, 0xa8
	;; [unrolled: 1-line block ×3, first 2 shown]
.LBB2187_185:                           ; =>This Inner Loop Header: Depth=1
	v_add_u32_e32 v5, s48, v2
	v_add_u32_e32 v6, s48, v3
	buffer_load_dword v7, v5, s[0:3], 0 offen offset:4
	buffer_load_dword v8, v6, s[0:3], 0 offen
	buffer_load_dword v9, v5, s[0:3], 0 offen
	buffer_load_dword v26, v6, s[0:3], 0 offen offset:4
	v_add_u32_e32 v5, s48, v4
	s_add_i32 s48, s48, 8
	s_cmp_lg_u32 s48, 32
	s_waitcnt vmcnt(1)
	v_add_u32_e32 v6, v8, v9
	s_waitcnt vmcnt(0)
	v_add_u32_e32 v7, v26, v7
	buffer_store_dword v7, v5, s[0:3], 0 offen offset:4
	buffer_store_dword v6, v5, s[0:3], 0 offen
	s_cbranch_scc1 .LBB2187_185
; %bb.186:
	buffer_load_dword v2, off, s[0:3], 0 offset:132
	buffer_load_dword v3, off, s[0:3], 0 offset:136
	;; [unrolled: 1-line block ×8, first 2 shown]
.LBB2187_187:
	s_or_b64 exec, exec, s[14:15]
	v_and_b32_e32 v26, 1, v29
	v_and_b32_e32 v25, 1, v25
	v_cmp_eq_u32_e32 vcc, 1, v26
	v_cmp_eq_u32_e64 s[14:15], 1, v25
	s_or_b64 s[14:15], vcc, s[14:15]
	v_cndmask_b32_e64 v25, 0, 1, s[14:15]
	buffer_store_byte v25, off, s[0:3], 0 offset:200
	buffer_load_dword v29, off, s[0:3], 0 offset:200
	s_waitcnt vmcnt(8)
	buffer_store_dword v3, off, s[0:3], 0 offset:172
	buffer_store_dword v2, off, s[0:3], 0 offset:168
	s_waitcnt vmcnt(8)
	buffer_store_dword v5, off, s[0:3], 0 offset:180
	buffer_store_dword v4, off, s[0:3], 0 offset:176
	;; [unrolled: 3-line block ×4, first 2 shown]
.LBB2187_188:
	s_or_b64 exec, exec, s[28:29]
	v_cmp_gt_u32_e32 vcc, 48, v13
	v_cndmask_b32_e64 v26, 0, 1, vcc
	v_lshlrev_b32_e32 v26, 4, v26
	v_add_lshl_u32 v26, v26, v1, 2
	ds_bpermute_b32 v28, v26, v2
	s_waitcnt vmcnt(8)
	ds_bpermute_b32 v27, v26, v29
	ds_bpermute_b32 v31, v26, v3
	;; [unrolled: 1-line block ×3, first 2 shown]
	v_add_u32_e32 v25, 16, v13
	ds_bpermute_b32 v33, v26, v5
	ds_bpermute_b32 v34, v26, v6
	v_cmp_le_u32_e32 vcc, v25, v30
	ds_bpermute_b32 v35, v26, v7
	ds_bpermute_b32 v36, v26, v8
	;; [unrolled: 1-line block ×3, first 2 shown]
	s_waitcnt lgkmcnt(8)
	buffer_store_dword v28, off, s[0:3], 0
	s_waitcnt lgkmcnt(6)
	buffer_store_dword v31, off, s[0:3], 0 offset:4
	s_waitcnt lgkmcnt(5)
	buffer_store_dword v32, off, s[0:3], 0 offset:8
	;; [unrolled: 2-line block ×7, first 2 shown]
	s_and_saveexec_b64 s[28:29], vcc
	s_cbranch_execz .LBB2187_196
; %bb.189:
	v_mov_b32_e32 v28, 0
	s_mov_b32 s48, 0
	v_cmp_eq_u16_sdwa s[50:51], v29, v28 src0_sel:BYTE_0 src1_sel:DWORD
	s_and_saveexec_b64 s[14:15], s[50:51]
	s_cbranch_execz .LBB2187_195
; %bb.190:
	v_mov_b32_e32 v2, 0x84
.LBB2187_191:                           ; =>This Inner Loop Header: Depth=1
	v_add_u32_e32 v3, s48, v2
	s_add_i32 s48, s48, 8
	s_cmp_lg_u32 s48, 32
	buffer_store_dword v28, v3, s[0:3], 0 offen offset:4
	buffer_store_dword v28, v3, s[0:3], 0 offen
	s_cbranch_scc1 .LBB2187_191
; %bb.192:
	s_mov_b32 s48, 0
	v_mov_b32_e32 v2, 0
	v_mov_b32_e32 v3, 0xa8
	;; [unrolled: 1-line block ×3, first 2 shown]
.LBB2187_193:                           ; =>This Inner Loop Header: Depth=1
	v_add_u32_e32 v5, s48, v2
	v_add_u32_e32 v6, s48, v3
	buffer_load_dword v7, v5, s[0:3], 0 offen offset:4
	buffer_load_dword v8, v6, s[0:3], 0 offen
	buffer_load_dword v9, v5, s[0:3], 0 offen
	buffer_load_dword v28, v6, s[0:3], 0 offen offset:4
	v_add_u32_e32 v5, s48, v4
	s_add_i32 s48, s48, 8
	s_cmp_lg_u32 s48, 32
	s_waitcnt vmcnt(1)
	v_add_u32_e32 v6, v8, v9
	s_waitcnt vmcnt(0)
	v_add_u32_e32 v7, v28, v7
	buffer_store_dword v7, v5, s[0:3], 0 offen offset:4
	buffer_store_dword v6, v5, s[0:3], 0 offen
	s_cbranch_scc1 .LBB2187_193
; %bb.194:
	buffer_load_dword v2, off, s[0:3], 0 offset:132
	buffer_load_dword v3, off, s[0:3], 0 offset:136
	;; [unrolled: 1-line block ×8, first 2 shown]
.LBB2187_195:
	s_or_b64 exec, exec, s[14:15]
	v_and_b32_e32 v28, 1, v29
	v_and_b32_e32 v27, 1, v27
	v_cmp_eq_u32_e32 vcc, 1, v28
	v_cmp_eq_u32_e64 s[14:15], 1, v27
	s_or_b64 s[14:15], vcc, s[14:15]
	v_cndmask_b32_e64 v27, 0, 1, s[14:15]
	buffer_store_byte v27, off, s[0:3], 0 offset:200
	buffer_load_dword v29, off, s[0:3], 0 offset:200
	s_waitcnt vmcnt(8)
	buffer_store_dword v3, off, s[0:3], 0 offset:172
	buffer_store_dword v2, off, s[0:3], 0 offset:168
	s_waitcnt vmcnt(8)
	buffer_store_dword v5, off, s[0:3], 0 offset:180
	buffer_store_dword v4, off, s[0:3], 0 offset:176
	;; [unrolled: 3-line block ×4, first 2 shown]
.LBB2187_196:
	s_or_b64 exec, exec, s[28:29]
	v_cmp_gt_u32_e32 vcc, 32, v13
	v_cndmask_b32_e64 v28, 0, 1, vcc
	v_lshlrev_b32_e32 v28, 5, v28
	v_add_lshl_u32 v28, v28, v1, 2
	ds_bpermute_b32 v31, v28, v2
	s_waitcnt vmcnt(8)
	ds_bpermute_b32 v1, v28, v29
	ds_bpermute_b32 v32, v28, v3
	;; [unrolled: 1-line block ×3, first 2 shown]
	v_add_u32_e32 v27, 32, v13
	ds_bpermute_b32 v34, v28, v5
	ds_bpermute_b32 v35, v28, v6
	v_cmp_le_u32_e32 vcc, v27, v30
	ds_bpermute_b32 v36, v28, v7
	ds_bpermute_b32 v37, v28, v8
	;; [unrolled: 1-line block ×3, first 2 shown]
	s_waitcnt lgkmcnt(8)
	buffer_store_dword v31, off, s[0:3], 0
	s_waitcnt lgkmcnt(6)
	buffer_store_dword v32, off, s[0:3], 0 offset:4
	s_waitcnt lgkmcnt(5)
	buffer_store_dword v33, off, s[0:3], 0 offset:8
	;; [unrolled: 2-line block ×7, first 2 shown]
	s_and_saveexec_b64 s[28:29], vcc
	s_cbranch_execz .LBB2187_204
; %bb.197:
	v_mov_b32_e32 v30, 0
	s_mov_b32 s48, 0
	v_cmp_eq_u16_sdwa s[50:51], v29, v30 src0_sel:BYTE_0 src1_sel:DWORD
	s_and_saveexec_b64 s[14:15], s[50:51]
	s_cbranch_execz .LBB2187_203
; %bb.198:
	v_mov_b32_e32 v2, 0x84
.LBB2187_199:                           ; =>This Inner Loop Header: Depth=1
	v_add_u32_e32 v3, s48, v2
	s_add_i32 s48, s48, 8
	s_cmp_lg_u32 s48, 32
	buffer_store_dword v30, v3, s[0:3], 0 offen offset:4
	buffer_store_dword v30, v3, s[0:3], 0 offen
	s_cbranch_scc1 .LBB2187_199
; %bb.200:
	s_mov_b32 s48, 0
	v_mov_b32_e32 v2, 0
	v_mov_b32_e32 v3, 0xa8
	;; [unrolled: 1-line block ×3, first 2 shown]
.LBB2187_201:                           ; =>This Inner Loop Header: Depth=1
	v_add_u32_e32 v5, s48, v2
	v_add_u32_e32 v6, s48, v3
	buffer_load_dword v7, v5, s[0:3], 0 offen offset:4
	buffer_load_dword v8, v6, s[0:3], 0 offen
	buffer_load_dword v9, v5, s[0:3], 0 offen
	buffer_load_dword v30, v6, s[0:3], 0 offen offset:4
	v_add_u32_e32 v5, s48, v4
	s_add_i32 s48, s48, 8
	s_cmp_lg_u32 s48, 32
	s_waitcnt vmcnt(1)
	v_add_u32_e32 v6, v8, v9
	s_waitcnt vmcnt(0)
	v_add_u32_e32 v7, v30, v7
	buffer_store_dword v7, v5, s[0:3], 0 offen offset:4
	buffer_store_dword v6, v5, s[0:3], 0 offen
	s_cbranch_scc1 .LBB2187_201
; %bb.202:
	buffer_load_dword v2, off, s[0:3], 0 offset:132
	buffer_load_dword v3, off, s[0:3], 0 offset:136
	;; [unrolled: 1-line block ×8, first 2 shown]
.LBB2187_203:
	s_or_b64 exec, exec, s[14:15]
	v_and_b32_e32 v29, 1, v29
	v_and_b32_e32 v1, 1, v1
	v_cmp_eq_u32_e32 vcc, 1, v29
	v_cmp_eq_u32_e64 s[14:15], 1, v1
	s_or_b64 s[14:15], vcc, s[14:15]
	v_cndmask_b32_e64 v1, 0, 1, s[14:15]
	s_waitcnt vmcnt(6)
	buffer_store_dword v3, off, s[0:3], 0 offset:172
	buffer_store_dword v2, off, s[0:3], 0 offset:168
	s_waitcnt vmcnt(6)
	buffer_store_dword v5, off, s[0:3], 0 offset:180
	buffer_store_dword v4, off, s[0:3], 0 offset:176
	s_waitcnt vmcnt(6)
	buffer_store_dword v7, off, s[0:3], 0 offset:188
	buffer_store_dword v6, off, s[0:3], 0 offset:184
	s_waitcnt vmcnt(6)
	buffer_store_dword v9, off, s[0:3], 0 offset:196
	buffer_store_dword v8, off, s[0:3], 0 offset:192
	buffer_store_byte v1, off, s[0:3], 0 offset:200
.LBB2187_204:
	s_or_b64 exec, exec, s[28:29]
	buffer_load_dword v1, off, s[0:3], 0 offset:180
	buffer_load_dword v2, off, s[0:3], 0 offset:176
	;; [unrolled: 1-line block ×9, first 2 shown]
	s_load_dwordx2 s[4:5], s[4:5], 0x4
	v_bfe_u32 v32, v0, 10, 10
	v_bfe_u32 v0, v0, 20, 10
	v_mov_b32_e32 v35, 0x6000
	v_mov_b32_e32 v8, 0
	s_waitcnt lgkmcnt(0)
	s_lshr_b32 s4, s4, 16
	s_mul_i32 s4, s4, s5
	v_mul_u32_u24_e32 v32, s5, v32
	v_mul_lo_u32 v36, s4, v10
	v_add3_u32 v0, v36, v32, v0
	v_mov_b32_e32 v9, 0x60
	v_mov_b32_e32 v29, 0
	v_mov_b32_e32 v30, 0xa8
	v_mov_b32_e32 v31, 0x84
	v_lshl_add_u32 v32, v0, 5, v35
	s_waitcnt vmcnt(8)
	buffer_store_dword v1, off, s[0:3], 0 offset:144
	s_waitcnt vmcnt(8)
	buffer_store_dword v2, off, s[0:3], 0 offset:140
	;; [unrolled: 2-line block ×9, first 2 shown]
	v_mov_b32_e32 v33, 2
	s_branch .LBB2187_206
.LBB2187_205:                           ;   in Loop: Header=BB2187_206 Depth=1
                                        ; implicit-def: $vgpr12
                                        ; implicit-def: $vgpr11
	s_cbranch_execnz .LBB2187_272
.LBB2187_206:                           ; =>This Loop Header: Depth=1
                                        ;     Child Loop BB2187_208 Depth 2
                                        ;     Child Loop BB2187_211 Depth 2
	;; [unrolled: 1-line block ×17, first 2 shown]
	v_cmp_ne_u16_sdwa s[4:5], v11, v33 src0_sel:BYTE_0 src1_sel:DWORD
	v_cndmask_b32_e64 v0, 0, 1, s[4:5]
	;;#ASMSTART
	;;#ASMEND
	v_cmp_ne_u32_e32 vcc, 0, v0
	s_cmp_lg_u64 vcc, exec
	s_cbranch_scc1 .LBB2187_205
; %bb.207:                              ;   in Loop: Header=BB2187_206 Depth=1
	s_mov_b32 s4, 0
	buffer_store_dword v8, off, s[0:3], 0 offset:124
	buffer_store_dword v8, off, s[0:3], 0 offset:120
	;; [unrolled: 1-line block ×9, first 2 shown]
.LBB2187_208:                           ;   Parent Loop BB2187_206 Depth=1
                                        ; =>  This Inner Loop Header: Depth=2
	v_add_u32_e32 v0, s4, v9
	s_add_i32 s4, s4, 8
	s_cmp_lg_u32 s4, 32
	buffer_store_dword v8, v0, s[0:3], 0 offen offset:4
	buffer_store_dword v8, v0, s[0:3], 0 offen
	s_cbranch_scc1 .LBB2187_208
; %bb.209:                              ;   in Loop: Header=BB2187_206 Depth=1
	buffer_store_byte v8, off, s[0:3], 0 offset:128
	global_load_ubyte v11, v12, s[24:25] glc
	s_waitcnt vmcnt(0)
	v_cmp_eq_u16_e32 vcc, 0, v11
	s_and_saveexec_b64 s[4:5], vcc
	s_cbranch_execz .LBB2187_213
; %bb.210:                              ;   in Loop: Header=BB2187_206 Depth=1
	v_mov_b32_e32 v1, s25
	v_add_co_u32_e32 v0, vcc, s24, v12
	v_addc_co_u32_e32 v1, vcc, 0, v1, vcc
	s_mov_b64 s[14:15], 0
.LBB2187_211:                           ;   Parent Loop BB2187_206 Depth=1
                                        ; =>  This Inner Loop Header: Depth=2
	global_load_ubyte v11, v[0:1], off glc
	s_waitcnt vmcnt(0)
	v_cmp_ne_u16_e32 vcc, 0, v11
	s_or_b64 s[14:15], vcc, s[14:15]
	s_andn2_b64 exec, exec, s[14:15]
	s_cbranch_execnz .LBB2187_211
; %bb.212:                              ;   in Loop: Header=BB2187_206 Depth=1
	s_or_b64 exec, exec, s[14:15]
.LBB2187_213:                           ;   in Loop: Header=BB2187_206 Depth=1
	s_or_b64 exec, exec, s[4:5]
	v_mov_b32_e32 v0, s23
	v_mov_b32_e32 v1, s21
	v_cmp_eq_u16_e32 vcc, 1, v11
	v_cndmask_b32_e32 v1, v0, v1, vcc
	v_mov_b32_e32 v0, s22
	v_mov_b32_e32 v2, s20
	v_cndmask_b32_e32 v0, v0, v2, vcc
	v_mad_u64_u32 v[34:35], s[4:5], v12, 36, v[0:1]
	buffer_wbinvl1_vol
	global_load_dwordx4 v[0:3], v[34:35], off
	global_load_dwordx4 v[4:7], v[34:35], off offset:16
	global_load_ubyte v36, v[34:35], off offset:32
	s_mov_b32 s4, 0
	buffer_store_dword v8, off, s[0:3], 0 offset:32
	s_waitcnt vmcnt(3)
	buffer_store_dword v3, off, s[0:3], 0 offset:108
	buffer_store_dword v2, off, s[0:3], 0 offset:104
	;; [unrolled: 1-line block ×4, first 2 shown]
	s_waitcnt vmcnt(6)
	buffer_store_dword v7, off, s[0:3], 0 offset:124
	buffer_store_dword v6, off, s[0:3], 0 offset:120
	;; [unrolled: 1-line block ×4, first 2 shown]
	s_waitcnt vmcnt(9)
	buffer_store_byte v36, off, s[0:3], 0 offset:128
	buffer_store_dword v1, off, s[0:3], 0 offset:172
	buffer_store_dword v0, off, s[0:3], 0 offset:168
	;; [unrolled: 1-line block ×8, first 2 shown]
	buffer_store_byte v36, off, s[0:3], 0 offset:200
.LBB2187_214:                           ;   Parent Loop BB2187_206 Depth=1
                                        ; =>  This Inner Loop Header: Depth=2
	v_add_u32_e32 v34, s4, v29
	s_add_i32 s4, s4, 8
	s_cmp_lg_u32 s4, 32
	buffer_store_dword v8, v34, s[0:3], 0 offen offset:4
	buffer_store_dword v8, v34, s[0:3], 0 offen
	s_cbranch_scc1 .LBB2187_214
; %bb.215:                              ;   in Loop: Header=BB2187_206 Depth=1
	buffer_load_dword v35, off, s[0:3], 0 offset:200
	ds_bpermute_b32 v36, v16, v0
	ds_bpermute_b32 v37, v16, v1
	ds_bpermute_b32 v38, v16, v2
	v_cmp_eq_u16_e32 vcc, 2, v11
	ds_bpermute_b32 v39, v16, v3
	v_and_b32_e32 v34, vcc_hi, v15
	ds_bpermute_b32 v40, v16, v4
	v_or_b32_e32 v34, 0x80000000, v34
	s_waitcnt lgkmcnt(4)
	buffer_store_dword v36, off, s[0:3], 0
	s_waitcnt lgkmcnt(3)
	buffer_store_dword v37, off, s[0:3], 0 offset:4
	s_waitcnt lgkmcnt(2)
	buffer_store_dword v38, off, s[0:3], 0 offset:8
	;; [unrolled: 2-line block ×3, first 2 shown]
	ds_bpermute_b32 v41, v16, v5
	v_and_b32_e32 v44, vcc_lo, v14
	v_ffbl_b32_e32 v34, v34
	ds_bpermute_b32 v42, v16, v6
	v_ffbl_b32_e32 v44, v44
	v_add_u32_e32 v34, 32, v34
	ds_bpermute_b32 v43, v16, v7
	v_min_u32_e32 v34, v44, v34
	v_cmp_lt_u32_e32 vcc, v13, v34
	s_waitcnt lgkmcnt(3)
	buffer_store_dword v40, off, s[0:3], 0 offset:16
	s_waitcnt lgkmcnt(2)
	buffer_store_dword v41, off, s[0:3], 0 offset:20
	;; [unrolled: 2-line block ×4, first 2 shown]
	s_waitcnt vmcnt(8)
	ds_bpermute_b32 v36, v16, v35
	s_and_saveexec_b64 s[4:5], vcc
	s_cbranch_execz .LBB2187_223
; %bb.216:                              ;   in Loop: Header=BB2187_206 Depth=1
	v_cmp_eq_u16_sdwa s[28:29], v35, v8 src0_sel:BYTE_0 src1_sel:DWORD
	s_and_saveexec_b64 s[14:15], s[28:29]
	s_cbranch_execz .LBB2187_222
; %bb.217:                              ;   in Loop: Header=BB2187_206 Depth=1
	s_mov_b32 s28, 0
.LBB2187_218:                           ;   Parent Loop BB2187_206 Depth=1
                                        ; =>  This Inner Loop Header: Depth=2
	v_add_u32_e32 v0, s28, v32
	s_add_i32 s28, s28, 8
	s_cmp_lg_u32 s28, 32
	ds_write2_b32 v0, v8, v8 offset1:1
	s_cbranch_scc1 .LBB2187_218
; %bb.219:                              ;   in Loop: Header=BB2187_206 Depth=1
	s_mov_b32 s28, 0
.LBB2187_220:                           ;   Parent Loop BB2187_206 Depth=1
                                        ; =>  This Inner Loop Header: Depth=2
	v_add_u32_e32 v0, s28, v29
	v_add_u32_e32 v1, s28, v30
	buffer_load_dword v2, v0, s[0:3], 0 offen offset:4
	buffer_load_dword v3, v0, s[0:3], 0 offen
	buffer_load_dword v4, v1, s[0:3], 0 offen offset:4
	buffer_load_dword v5, v1, s[0:3], 0 offen
	v_add_u32_e32 v0, s28, v32
	s_add_i32 s28, s28, 8
	s_cmp_lg_u32 s28, 32
	s_waitcnt vmcnt(1)
	v_add_u32_e32 v1, v4, v2
	s_waitcnt vmcnt(0)
	v_add_u32_e32 v2, v5, v3
	ds_write2_b32 v0, v2, v1 offset1:1
	s_cbranch_scc1 .LBB2187_220
; %bb.221:                              ;   in Loop: Header=BB2187_206 Depth=1
	ds_read2_b32 v[0:1], v32 offset1:1
	ds_read2_b32 v[2:3], v32 offset0:2 offset1:3
	ds_read2_b32 v[4:5], v32 offset0:4 offset1:5
	;; [unrolled: 1-line block ×3, first 2 shown]
.LBB2187_222:                           ;   in Loop: Header=BB2187_206 Depth=1
	s_or_b64 exec, exec, s[14:15]
	s_waitcnt lgkmcnt(0)
	v_or_b32_e32 v35, v36, v35
	v_and_b32_e32 v35, 1, v35
	buffer_store_byte v35, off, s[0:3], 0 offset:200
	buffer_load_dword v35, off, s[0:3], 0 offset:200
	s_nop 0
	buffer_store_dword v1, off, s[0:3], 0 offset:172
	buffer_store_dword v0, off, s[0:3], 0 offset:168
	;; [unrolled: 1-line block ×8, first 2 shown]
.LBB2187_223:                           ;   in Loop: Header=BB2187_206 Depth=1
	s_or_b64 exec, exec, s[4:5]
	ds_bpermute_b32 v37, v20, v0
	s_waitcnt vmcnt(8) lgkmcnt(1)
	ds_bpermute_b32 v36, v20, v35
	ds_bpermute_b32 v38, v20, v1
	ds_bpermute_b32 v39, v20, v2
	ds_bpermute_b32 v40, v20, v3
	ds_bpermute_b32 v41, v20, v4
	v_cmp_le_u32_e32 vcc, v17, v34
	ds_bpermute_b32 v42, v20, v5
	ds_bpermute_b32 v43, v20, v6
	;; [unrolled: 1-line block ×3, first 2 shown]
	s_waitcnt lgkmcnt(8)
	buffer_store_dword v37, off, s[0:3], 0
	s_waitcnt lgkmcnt(6)
	buffer_store_dword v38, off, s[0:3], 0 offset:4
	s_waitcnt lgkmcnt(5)
	buffer_store_dword v39, off, s[0:3], 0 offset:8
	;; [unrolled: 2-line block ×7, first 2 shown]
	s_and_saveexec_b64 s[14:15], vcc
	s_cbranch_execz .LBB2187_231
; %bb.224:                              ;   in Loop: Header=BB2187_206 Depth=1
	v_cmp_eq_u16_sdwa s[28:29], v35, v8 src0_sel:BYTE_0 src1_sel:DWORD
	s_and_saveexec_b64 s[4:5], s[28:29]
	s_cbranch_execz .LBB2187_230
; %bb.225:                              ;   in Loop: Header=BB2187_206 Depth=1
	s_mov_b32 s28, 0
.LBB2187_226:                           ;   Parent Loop BB2187_206 Depth=1
                                        ; =>  This Inner Loop Header: Depth=2
	v_add_u32_e32 v0, s28, v32
	s_add_i32 s28, s28, 8
	s_cmp_lg_u32 s28, 32
	ds_write2_b32 v0, v8, v8 offset1:1
	s_cbranch_scc1 .LBB2187_226
; %bb.227:                              ;   in Loop: Header=BB2187_206 Depth=1
	s_mov_b32 s28, 0
.LBB2187_228:                           ;   Parent Loop BB2187_206 Depth=1
                                        ; =>  This Inner Loop Header: Depth=2
	v_add_u32_e32 v0, s28, v29
	v_add_u32_e32 v1, s28, v30
	buffer_load_dword v2, v0, s[0:3], 0 offen offset:4
	buffer_load_dword v3, v0, s[0:3], 0 offen
	buffer_load_dword v4, v1, s[0:3], 0 offen offset:4
	buffer_load_dword v5, v1, s[0:3], 0 offen
	v_add_u32_e32 v0, s28, v32
	s_add_i32 s28, s28, 8
	s_cmp_lg_u32 s28, 32
	s_waitcnt vmcnt(1)
	v_add_u32_e32 v1, v4, v2
	s_waitcnt vmcnt(0)
	v_add_u32_e32 v2, v5, v3
	ds_write2_b32 v0, v2, v1 offset1:1
	s_cbranch_scc1 .LBB2187_228
; %bb.229:                              ;   in Loop: Header=BB2187_206 Depth=1
	ds_read2_b32 v[0:1], v32 offset1:1
	ds_read2_b32 v[2:3], v32 offset0:2 offset1:3
	ds_read2_b32 v[4:5], v32 offset0:4 offset1:5
	;; [unrolled: 1-line block ×3, first 2 shown]
.LBB2187_230:                           ;   in Loop: Header=BB2187_206 Depth=1
	s_or_b64 exec, exec, s[4:5]
	v_and_b32_e32 v35, 1, v35
	v_cmp_eq_u32_e32 vcc, 1, v35
	v_and_b32_e32 v35, 1, v36
	v_cmp_eq_u32_e64 s[4:5], 1, v35
	s_or_b64 s[4:5], vcc, s[4:5]
	v_cndmask_b32_e64 v35, 0, 1, s[4:5]
	buffer_store_byte v35, off, s[0:3], 0 offset:200
	buffer_load_dword v35, off, s[0:3], 0 offset:200
	s_waitcnt lgkmcnt(3)
	buffer_store_dword v1, off, s[0:3], 0 offset:172
	buffer_store_dword v0, off, s[0:3], 0 offset:168
	s_waitcnt lgkmcnt(2)
	buffer_store_dword v3, off, s[0:3], 0 offset:180
	buffer_store_dword v2, off, s[0:3], 0 offset:176
	;; [unrolled: 3-line block ×4, first 2 shown]
.LBB2187_231:                           ;   in Loop: Header=BB2187_206 Depth=1
	s_or_b64 exec, exec, s[14:15]
	ds_bpermute_b32 v37, v22, v0
	s_waitcnt vmcnt(8)
	ds_bpermute_b32 v36, v22, v35
	ds_bpermute_b32 v38, v22, v1
	ds_bpermute_b32 v39, v22, v2
	ds_bpermute_b32 v40, v22, v3
	ds_bpermute_b32 v41, v22, v4
	v_cmp_le_u32_e32 vcc, v21, v34
	ds_bpermute_b32 v42, v22, v5
	ds_bpermute_b32 v43, v22, v6
	;; [unrolled: 1-line block ×3, first 2 shown]
	s_waitcnt lgkmcnt(8)
	buffer_store_dword v37, off, s[0:3], 0
	s_waitcnt lgkmcnt(6)
	buffer_store_dword v38, off, s[0:3], 0 offset:4
	s_waitcnt lgkmcnt(5)
	buffer_store_dword v39, off, s[0:3], 0 offset:8
	;; [unrolled: 2-line block ×7, first 2 shown]
	s_and_saveexec_b64 s[14:15], vcc
	s_cbranch_execz .LBB2187_239
; %bb.232:                              ;   in Loop: Header=BB2187_206 Depth=1
	v_cmp_eq_u16_sdwa s[28:29], v35, v8 src0_sel:BYTE_0 src1_sel:DWORD
	s_and_saveexec_b64 s[4:5], s[28:29]
	s_cbranch_execz .LBB2187_238
; %bb.233:                              ;   in Loop: Header=BB2187_206 Depth=1
	s_mov_b32 s28, 0
.LBB2187_234:                           ;   Parent Loop BB2187_206 Depth=1
                                        ; =>  This Inner Loop Header: Depth=2
	v_add_u32_e32 v0, s28, v32
	s_add_i32 s28, s28, 8
	s_cmp_lg_u32 s28, 32
	ds_write2_b32 v0, v8, v8 offset1:1
	s_cbranch_scc1 .LBB2187_234
; %bb.235:                              ;   in Loop: Header=BB2187_206 Depth=1
	s_mov_b32 s28, 0
.LBB2187_236:                           ;   Parent Loop BB2187_206 Depth=1
                                        ; =>  This Inner Loop Header: Depth=2
	v_add_u32_e32 v0, s28, v29
	v_add_u32_e32 v1, s28, v30
	buffer_load_dword v2, v0, s[0:3], 0 offen offset:4
	buffer_load_dword v3, v0, s[0:3], 0 offen
	buffer_load_dword v4, v1, s[0:3], 0 offen offset:4
	buffer_load_dword v5, v1, s[0:3], 0 offen
	v_add_u32_e32 v0, s28, v32
	s_add_i32 s28, s28, 8
	s_cmp_lg_u32 s28, 32
	s_waitcnt vmcnt(1)
	v_add_u32_e32 v1, v4, v2
	s_waitcnt vmcnt(0)
	v_add_u32_e32 v2, v5, v3
	ds_write2_b32 v0, v2, v1 offset1:1
	s_cbranch_scc1 .LBB2187_236
; %bb.237:                              ;   in Loop: Header=BB2187_206 Depth=1
	ds_read2_b32 v[0:1], v32 offset1:1
	ds_read2_b32 v[2:3], v32 offset0:2 offset1:3
	ds_read2_b32 v[4:5], v32 offset0:4 offset1:5
	;; [unrolled: 1-line block ×3, first 2 shown]
.LBB2187_238:                           ;   in Loop: Header=BB2187_206 Depth=1
	s_or_b64 exec, exec, s[4:5]
	v_and_b32_e32 v35, 1, v35
	v_cmp_eq_u32_e32 vcc, 1, v35
	v_and_b32_e32 v35, 1, v36
	v_cmp_eq_u32_e64 s[4:5], 1, v35
	s_or_b64 s[4:5], vcc, s[4:5]
	v_cndmask_b32_e64 v35, 0, 1, s[4:5]
	buffer_store_byte v35, off, s[0:3], 0 offset:200
	buffer_load_dword v35, off, s[0:3], 0 offset:200
	s_waitcnt lgkmcnt(3)
	buffer_store_dword v1, off, s[0:3], 0 offset:172
	buffer_store_dword v0, off, s[0:3], 0 offset:168
	s_waitcnt lgkmcnt(2)
	buffer_store_dword v3, off, s[0:3], 0 offset:180
	buffer_store_dword v2, off, s[0:3], 0 offset:176
	;; [unrolled: 3-line block ×4, first 2 shown]
.LBB2187_239:                           ;   in Loop: Header=BB2187_206 Depth=1
	s_or_b64 exec, exec, s[14:15]
	ds_bpermute_b32 v37, v24, v0
	s_waitcnt vmcnt(8)
	ds_bpermute_b32 v36, v24, v35
	ds_bpermute_b32 v38, v24, v1
	;; [unrolled: 1-line block ×5, first 2 shown]
	v_cmp_le_u32_e32 vcc, v23, v34
	ds_bpermute_b32 v42, v24, v5
	ds_bpermute_b32 v43, v24, v6
	;; [unrolled: 1-line block ×3, first 2 shown]
	s_waitcnt lgkmcnt(8)
	buffer_store_dword v37, off, s[0:3], 0
	s_waitcnt lgkmcnt(6)
	buffer_store_dword v38, off, s[0:3], 0 offset:4
	s_waitcnt lgkmcnt(5)
	buffer_store_dword v39, off, s[0:3], 0 offset:8
	;; [unrolled: 2-line block ×7, first 2 shown]
	s_and_saveexec_b64 s[14:15], vcc
	s_cbranch_execz .LBB2187_247
; %bb.240:                              ;   in Loop: Header=BB2187_206 Depth=1
	v_cmp_eq_u16_sdwa s[28:29], v35, v8 src0_sel:BYTE_0 src1_sel:DWORD
	s_and_saveexec_b64 s[4:5], s[28:29]
	s_cbranch_execz .LBB2187_246
; %bb.241:                              ;   in Loop: Header=BB2187_206 Depth=1
	s_mov_b32 s28, 0
.LBB2187_242:                           ;   Parent Loop BB2187_206 Depth=1
                                        ; =>  This Inner Loop Header: Depth=2
	v_add_u32_e32 v0, s28, v32
	s_add_i32 s28, s28, 8
	s_cmp_lg_u32 s28, 32
	ds_write2_b32 v0, v8, v8 offset1:1
	s_cbranch_scc1 .LBB2187_242
; %bb.243:                              ;   in Loop: Header=BB2187_206 Depth=1
	s_mov_b32 s28, 0
.LBB2187_244:                           ;   Parent Loop BB2187_206 Depth=1
                                        ; =>  This Inner Loop Header: Depth=2
	v_add_u32_e32 v0, s28, v29
	v_add_u32_e32 v1, s28, v30
	buffer_load_dword v2, v0, s[0:3], 0 offen offset:4
	buffer_load_dword v3, v0, s[0:3], 0 offen
	buffer_load_dword v4, v1, s[0:3], 0 offen offset:4
	buffer_load_dword v5, v1, s[0:3], 0 offen
	v_add_u32_e32 v0, s28, v32
	s_add_i32 s28, s28, 8
	s_cmp_lg_u32 s28, 32
	s_waitcnt vmcnt(1)
	v_add_u32_e32 v1, v4, v2
	s_waitcnt vmcnt(0)
	v_add_u32_e32 v2, v5, v3
	ds_write2_b32 v0, v2, v1 offset1:1
	s_cbranch_scc1 .LBB2187_244
; %bb.245:                              ;   in Loop: Header=BB2187_206 Depth=1
	ds_read2_b32 v[0:1], v32 offset1:1
	ds_read2_b32 v[2:3], v32 offset0:2 offset1:3
	ds_read2_b32 v[4:5], v32 offset0:4 offset1:5
	;; [unrolled: 1-line block ×3, first 2 shown]
.LBB2187_246:                           ;   in Loop: Header=BB2187_206 Depth=1
	s_or_b64 exec, exec, s[4:5]
	v_and_b32_e32 v35, 1, v35
	v_cmp_eq_u32_e32 vcc, 1, v35
	v_and_b32_e32 v35, 1, v36
	v_cmp_eq_u32_e64 s[4:5], 1, v35
	s_or_b64 s[4:5], vcc, s[4:5]
	v_cndmask_b32_e64 v35, 0, 1, s[4:5]
	buffer_store_byte v35, off, s[0:3], 0 offset:200
	buffer_load_dword v35, off, s[0:3], 0 offset:200
	s_waitcnt lgkmcnt(3)
	buffer_store_dword v1, off, s[0:3], 0 offset:172
	buffer_store_dword v0, off, s[0:3], 0 offset:168
	s_waitcnt lgkmcnt(2)
	buffer_store_dword v3, off, s[0:3], 0 offset:180
	buffer_store_dword v2, off, s[0:3], 0 offset:176
	;; [unrolled: 3-line block ×4, first 2 shown]
.LBB2187_247:                           ;   in Loop: Header=BB2187_206 Depth=1
	s_or_b64 exec, exec, s[14:15]
	ds_bpermute_b32 v37, v26, v0
	s_waitcnt vmcnt(8)
	ds_bpermute_b32 v36, v26, v35
	ds_bpermute_b32 v38, v26, v1
	ds_bpermute_b32 v39, v26, v2
	ds_bpermute_b32 v40, v26, v3
	ds_bpermute_b32 v41, v26, v4
	v_cmp_le_u32_e32 vcc, v25, v34
	ds_bpermute_b32 v42, v26, v5
	ds_bpermute_b32 v43, v26, v6
	;; [unrolled: 1-line block ×3, first 2 shown]
	s_waitcnt lgkmcnt(8)
	buffer_store_dword v37, off, s[0:3], 0
	s_waitcnt lgkmcnt(6)
	buffer_store_dword v38, off, s[0:3], 0 offset:4
	s_waitcnt lgkmcnt(5)
	buffer_store_dword v39, off, s[0:3], 0 offset:8
	;; [unrolled: 2-line block ×7, first 2 shown]
	s_and_saveexec_b64 s[14:15], vcc
	s_cbranch_execz .LBB2187_255
; %bb.248:                              ;   in Loop: Header=BB2187_206 Depth=1
	v_cmp_eq_u16_sdwa s[28:29], v35, v8 src0_sel:BYTE_0 src1_sel:DWORD
	s_and_saveexec_b64 s[4:5], s[28:29]
	s_cbranch_execz .LBB2187_254
; %bb.249:                              ;   in Loop: Header=BB2187_206 Depth=1
	s_mov_b32 s28, 0
.LBB2187_250:                           ;   Parent Loop BB2187_206 Depth=1
                                        ; =>  This Inner Loop Header: Depth=2
	v_add_u32_e32 v0, s28, v32
	s_add_i32 s28, s28, 8
	s_cmp_lg_u32 s28, 32
	ds_write2_b32 v0, v8, v8 offset1:1
	s_cbranch_scc1 .LBB2187_250
; %bb.251:                              ;   in Loop: Header=BB2187_206 Depth=1
	s_mov_b32 s28, 0
.LBB2187_252:                           ;   Parent Loop BB2187_206 Depth=1
                                        ; =>  This Inner Loop Header: Depth=2
	v_add_u32_e32 v0, s28, v29
	v_add_u32_e32 v1, s28, v30
	buffer_load_dword v2, v0, s[0:3], 0 offen offset:4
	buffer_load_dword v3, v0, s[0:3], 0 offen
	buffer_load_dword v4, v1, s[0:3], 0 offen offset:4
	buffer_load_dword v5, v1, s[0:3], 0 offen
	v_add_u32_e32 v0, s28, v32
	s_add_i32 s28, s28, 8
	s_cmp_lg_u32 s28, 32
	s_waitcnt vmcnt(1)
	v_add_u32_e32 v1, v4, v2
	s_waitcnt vmcnt(0)
	v_add_u32_e32 v2, v5, v3
	ds_write2_b32 v0, v2, v1 offset1:1
	s_cbranch_scc1 .LBB2187_252
; %bb.253:                              ;   in Loop: Header=BB2187_206 Depth=1
	ds_read2_b32 v[0:1], v32 offset1:1
	ds_read2_b32 v[2:3], v32 offset0:2 offset1:3
	ds_read2_b32 v[4:5], v32 offset0:4 offset1:5
	ds_read2_b32 v[6:7], v32 offset0:6 offset1:7
.LBB2187_254:                           ;   in Loop: Header=BB2187_206 Depth=1
	s_or_b64 exec, exec, s[4:5]
	v_and_b32_e32 v35, 1, v35
	v_cmp_eq_u32_e32 vcc, 1, v35
	v_and_b32_e32 v35, 1, v36
	v_cmp_eq_u32_e64 s[4:5], 1, v35
	s_or_b64 s[4:5], vcc, s[4:5]
	v_cndmask_b32_e64 v35, 0, 1, s[4:5]
	buffer_store_byte v35, off, s[0:3], 0 offset:200
	buffer_load_dword v35, off, s[0:3], 0 offset:200
	s_waitcnt lgkmcnt(3)
	buffer_store_dword v1, off, s[0:3], 0 offset:172
	buffer_store_dword v0, off, s[0:3], 0 offset:168
	s_waitcnt lgkmcnt(2)
	buffer_store_dword v3, off, s[0:3], 0 offset:180
	buffer_store_dword v2, off, s[0:3], 0 offset:176
	;; [unrolled: 3-line block ×4, first 2 shown]
.LBB2187_255:                           ;   in Loop: Header=BB2187_206 Depth=1
	s_or_b64 exec, exec, s[14:15]
	ds_bpermute_b32 v37, v28, v0
	s_waitcnt vmcnt(8)
	ds_bpermute_b32 v36, v28, v35
	ds_bpermute_b32 v38, v28, v1
	;; [unrolled: 1-line block ×4, first 2 shown]
	v_cmp_le_u32_e32 vcc, v27, v34
	v_and_b32_e32 v34, 1, v35
	ds_bpermute_b32 v41, v28, v4
	v_cmp_eq_u32_e64 s[4:5], 1, v34
	ds_bpermute_b32 v42, v28, v5
	ds_bpermute_b32 v43, v28, v6
	;; [unrolled: 1-line block ×3, first 2 shown]
	s_waitcnt lgkmcnt(8)
	buffer_store_dword v37, off, s[0:3], 0
	s_waitcnt lgkmcnt(6)
	buffer_store_dword v38, off, s[0:3], 0 offset:4
	s_waitcnt lgkmcnt(5)
	buffer_store_dword v39, off, s[0:3], 0 offset:8
	s_waitcnt lgkmcnt(4)
	buffer_store_dword v40, off, s[0:3], 0 offset:12
	s_waitcnt lgkmcnt(3)
	buffer_store_dword v41, off, s[0:3], 0 offset:16
	s_waitcnt lgkmcnt(2)
	buffer_store_dword v42, off, s[0:3], 0 offset:20
	s_waitcnt lgkmcnt(1)
	buffer_store_dword v43, off, s[0:3], 0 offset:24
	s_waitcnt lgkmcnt(0)
	buffer_store_dword v44, off, s[0:3], 0 offset:28
	s_and_saveexec_b64 s[14:15], vcc
	s_cbranch_execz .LBB2187_263
; %bb.256:                              ;   in Loop: Header=BB2187_206 Depth=1
	v_cmp_eq_u16_sdwa s[48:49], v35, v8 src0_sel:BYTE_0 src1_sel:DWORD
	s_and_saveexec_b64 s[28:29], s[48:49]
	s_cbranch_execz .LBB2187_262
; %bb.257:                              ;   in Loop: Header=BB2187_206 Depth=1
	s_mov_b32 s48, 0
.LBB2187_258:                           ;   Parent Loop BB2187_206 Depth=1
                                        ; =>  This Inner Loop Header: Depth=2
	v_add_u32_e32 v0, s48, v32
	s_add_i32 s48, s48, 8
	s_cmp_lg_u32 s48, 32
	ds_write2_b32 v0, v8, v8 offset1:1
	s_cbranch_scc1 .LBB2187_258
; %bb.259:                              ;   in Loop: Header=BB2187_206 Depth=1
	s_mov_b32 s48, 0
.LBB2187_260:                           ;   Parent Loop BB2187_206 Depth=1
                                        ; =>  This Inner Loop Header: Depth=2
	v_add_u32_e32 v0, s48, v29
	v_add_u32_e32 v1, s48, v30
	buffer_load_dword v2, v0, s[0:3], 0 offen offset:4
	buffer_load_dword v3, v0, s[0:3], 0 offen
	buffer_load_dword v4, v1, s[0:3], 0 offen offset:4
	buffer_load_dword v5, v1, s[0:3], 0 offen
	v_add_u32_e32 v0, s48, v32
	s_add_i32 s48, s48, 8
	s_cmp_lg_u32 s48, 32
	s_waitcnt vmcnt(1)
	v_add_u32_e32 v1, v4, v2
	s_waitcnt vmcnt(0)
	v_add_u32_e32 v2, v5, v3
	ds_write2_b32 v0, v2, v1 offset1:1
	s_cbranch_scc1 .LBB2187_260
; %bb.261:                              ;   in Loop: Header=BB2187_206 Depth=1
	ds_read2_b32 v[0:1], v32 offset1:1
	ds_read2_b32 v[2:3], v32 offset0:2 offset1:3
	ds_read2_b32 v[4:5], v32 offset0:4 offset1:5
	;; [unrolled: 1-line block ×3, first 2 shown]
.LBB2187_262:                           ;   in Loop: Header=BB2187_206 Depth=1
	s_or_b64 exec, exec, s[28:29]
	v_and_b32_e32 v34, 1, v36
	v_cmp_eq_u32_e32 vcc, 1, v34
	s_or_b64 s[28:29], s[4:5], vcc
	v_cndmask_b32_e64 v34, 0, 1, s[28:29]
	s_andn2_b64 s[4:5], s[4:5], exec
	s_and_b64 s[28:29], s[28:29], exec
	s_or_b64 s[4:5], s[4:5], s[28:29]
	s_waitcnt lgkmcnt(3)
	buffer_store_dword v1, off, s[0:3], 0 offset:172
	buffer_store_dword v0, off, s[0:3], 0 offset:168
	s_waitcnt lgkmcnt(2)
	buffer_store_dword v3, off, s[0:3], 0 offset:180
	buffer_store_dword v2, off, s[0:3], 0 offset:176
	;; [unrolled: 3-line block ×4, first 2 shown]
	buffer_store_byte v34, off, s[0:3], 0 offset:200
.LBB2187_263:                           ;   in Loop: Header=BB2187_206 Depth=1
	s_or_b64 exec, exec, s[14:15]
	buffer_load_ubyte v34, off, s[0:3], 0 offset:164
                                        ; implicit-def: $vgpr6_vgpr7
                                        ; implicit-def: $vgpr4_vgpr5
                                        ; implicit-def: $vgpr2_vgpr3
                                        ; implicit-def: $vgpr0_vgpr1
	s_waitcnt vmcnt(0)
	v_cmp_ne_u16_e32 vcc, 0, v34
	s_and_saveexec_b64 s[14:15], vcc
	s_xor_b64 s[14:15], exec, s[14:15]
	s_cbranch_execz .LBB2187_265
; %bb.264:                              ;   in Loop: Header=BB2187_206 Depth=1
	buffer_load_dword v0, off, s[0:3], 0 offset:132
	buffer_load_dword v1, off, s[0:3], 0 offset:136
	buffer_load_dword v2, off, s[0:3], 0 offset:140
	buffer_load_dword v3, off, s[0:3], 0 offset:144
	buffer_load_dword v4, off, s[0:3], 0 offset:148
	buffer_load_dword v5, off, s[0:3], 0 offset:152
	buffer_load_dword v6, off, s[0:3], 0 offset:156
	buffer_load_dword v7, off, s[0:3], 0 offset:160
.LBB2187_265:                           ;   in Loop: Header=BB2187_206 Depth=1
	s_andn2_saveexec_b64 s[14:15], s[14:15]
	s_cbranch_execz .LBB2187_271
; %bb.266:                              ;   in Loop: Header=BB2187_206 Depth=1
	s_mov_b32 s28, 0
	s_waitcnt vmcnt(0)
.LBB2187_267:                           ;   Parent Loop BB2187_206 Depth=1
                                        ; =>  This Inner Loop Header: Depth=2
	v_add_u32_e32 v0, s28, v29
	s_add_i32 s28, s28, 8
	s_cmp_lg_u32 s28, 32
	buffer_store_dword v8, v0, s[0:3], 0 offen offset:4
	buffer_store_dword v8, v0, s[0:3], 0 offen
	s_cbranch_scc1 .LBB2187_267
; %bb.268:                              ;   in Loop: Header=BB2187_206 Depth=1
	s_mov_b32 s28, 0
.LBB2187_269:                           ;   Parent Loop BB2187_206 Depth=1
                                        ; =>  This Inner Loop Header: Depth=2
	v_add_u32_e32 v0, s28, v30
	v_add_u32_e32 v1, s28, v31
	buffer_load_dword v2, v0, s[0:3], 0 offen offset:4
	buffer_load_dword v3, v1, s[0:3], 0 offen
	buffer_load_dword v4, v0, s[0:3], 0 offen
	buffer_load_dword v5, v1, s[0:3], 0 offen offset:4
	v_add_u32_e32 v0, s28, v29
	s_add_i32 s28, s28, 8
	s_cmp_lg_u32 s28, 32
	s_waitcnt vmcnt(1)
	v_add_u32_e32 v1, v3, v4
	s_waitcnt vmcnt(0)
	v_add_u32_e32 v2, v5, v2
	buffer_store_dword v2, v0, s[0:3], 0 offen offset:4
	buffer_store_dword v1, v0, s[0:3], 0 offen
	s_cbranch_scc1 .LBB2187_269
; %bb.270:                              ;   in Loop: Header=BB2187_206 Depth=1
	buffer_load_dword v0, off, s[0:3], 0
	buffer_load_dword v1, off, s[0:3], 0 offset:4
	buffer_load_dword v2, off, s[0:3], 0 offset:8
	;; [unrolled: 1-line block ×7, first 2 shown]
.LBB2187_271:                           ;   in Loop: Header=BB2187_206 Depth=1
	s_or_b64 exec, exec, s[14:15]
	v_and_b32_e32 v34, 1, v34
	v_cmp_eq_u32_e32 vcc, 1, v34
	s_or_b64 s[4:5], vcc, s[4:5]
	v_subrev_u32_e32 v12, 64, v12
	v_cndmask_b32_e64 v34, 0, 1, s[4:5]
	s_waitcnt vmcnt(6)
	buffer_store_dword v1, off, s[0:3], 0 offset:136
	buffer_store_dword v0, off, s[0:3], 0 offset:132
	s_waitcnt vmcnt(6)
	buffer_store_dword v3, off, s[0:3], 0 offset:144
	buffer_store_dword v2, off, s[0:3], 0 offset:140
	;; [unrolled: 3-line block ×4, first 2 shown]
	buffer_store_byte v34, off, s[0:3], 0 offset:164
	s_branch .LBB2187_206
.LBB2187_272:
	buffer_load_dword v1, off, s[0:3], 0 offset:136
	buffer_load_dword v0, off, s[0:3], 0 offset:132
	;; [unrolled: 1-line block ×9, first 2 shown]
	s_waitcnt vmcnt(8)
	buffer_store_dword v1, off, s[0:3], 0 offset:4
	s_waitcnt vmcnt(8)
	buffer_store_dword v0, off, s[0:3], 0
	s_waitcnt vmcnt(8)
	buffer_store_dword v3, off, s[0:3], 0 offset:12
	s_waitcnt vmcnt(8)
	buffer_store_dword v2, off, s[0:3], 0 offset:8
	;; [unrolled: 2-line block ×7, first 2 shown]
	s_and_saveexec_b64 s[4:5], s[12:13]
	s_cbranch_execz .LBB2187_282
; %bb.273:
	buffer_load_ubyte v9, off, s[0:3], 0 offset:236
                                        ; implicit-def: $vgpr2_vgpr3
                                        ; implicit-def: $vgpr6_vgpr7
	s_waitcnt vmcnt(0)
	v_cmp_ne_u16_e32 vcc, 0, v9
	s_and_saveexec_b64 s[12:13], vcc
	s_xor_b64 s[12:13], exec, s[12:13]
	s_cbranch_execz .LBB2187_275
; %bb.274:
	buffer_load_dword v4, off, s[0:3], 0 offset:204
	buffer_load_dword v5, off, s[0:3], 0 offset:208
	;; [unrolled: 1-line block ×8, first 2 shown]
.LBB2187_275:
	s_andn2_saveexec_b64 s[12:13], s[12:13]
	s_cbranch_execz .LBB2187_281
; %bb.276:
	s_mov_b32 s14, 0
	s_waitcnt vmcnt(3)
	v_mov_b32_e32 v0, 0x60
	s_waitcnt vmcnt(2)
	v_mov_b32_e32 v1, 0
	s_waitcnt vmcnt(0)
.LBB2187_277:                           ; =>This Inner Loop Header: Depth=1
	v_add_u32_e32 v2, s14, v0
	s_add_i32 s14, s14, 8
	s_cmp_lg_u32 s14, 32
	buffer_store_dword v1, v2, s[0:3], 0 offen offset:4
	buffer_store_dword v1, v2, s[0:3], 0 offen
	s_cbranch_scc1 .LBB2187_277
; %bb.278:
	s_mov_b32 s14, 0
	v_mov_b32_e32 v0, 0
	v_mov_b32_e32 v1, 0xcc
	;; [unrolled: 1-line block ×3, first 2 shown]
.LBB2187_279:                           ; =>This Inner Loop Header: Depth=1
	v_add_u32_e32 v3, s14, v0
	v_add_u32_e32 v4, s14, v1
	buffer_load_dword v5, v3, s[0:3], 0 offen offset:4
	buffer_load_dword v6, v4, s[0:3], 0 offen
	buffer_load_dword v7, v3, s[0:3], 0 offen
	buffer_load_dword v11, v4, s[0:3], 0 offen offset:4
	v_add_u32_e32 v3, s14, v2
	s_add_i32 s14, s14, 8
	s_cmp_lg_u32 s14, 32
	s_waitcnt vmcnt(1)
	v_add_u32_e32 v4, v6, v7
	s_waitcnt vmcnt(0)
	v_add_u32_e32 v5, v11, v5
	buffer_store_dword v5, v3, s[0:3], 0 offen offset:4
	buffer_store_dword v4, v3, s[0:3], 0 offen
	s_cbranch_scc1 .LBB2187_279
; %bb.280:
	buffer_load_dword v4, off, s[0:3], 0 offset:96
	buffer_load_dword v5, off, s[0:3], 0 offset:100
	;; [unrolled: 1-line block ×8, first 2 shown]
.LBB2187_281:
	s_or_b64 exec, exec, s[12:13]
	s_add_i32 s14, s33, 64
	s_mul_i32 s12, s14, 36
	s_mul_hi_u32 s13, s14, 36
	s_add_u32 s12, s22, s12
	v_or_b32_e32 v8, v9, v8
	s_addc_u32 s13, s23, s13
	v_mov_b32_e32 v9, 0
	v_and_b32_e32 v8, 1, v8
	s_waitcnt vmcnt(4)
	global_store_dwordx4 v9, v[4:7], s[12:13]
	s_waitcnt vmcnt(1)
	global_store_dwordx4 v9, v[0:3], s[12:13] offset:16
	global_store_byte v9, v8, s[12:13] offset:32
	v_mov_b32_e32 v0, s14
	v_mov_b32_e32 v1, 2
	s_waitcnt vmcnt(0)
	buffer_wbinvl1_vol
	global_store_byte v0, v1, s[24:25]
	buffer_load_dword v0, off, s[0:3], 0
	s_nop 0
	buffer_load_dword v1, off, s[0:3], 0 offset:4
	buffer_load_dword v2, off, s[0:3], 0 offset:8
	;; [unrolled: 1-line block ×7, first 2 shown]
	buffer_load_ubyte v8, off, s[0:3], 0 offset:32
.LBB2187_282:
	s_or_b64 exec, exec, s[4:5]
	s_and_b64 exec, exec, s[10:11]
	s_cbranch_execz .LBB2187_284
; %bb.283:
	v_mov_b32_e32 v9, 0
	s_waitcnt vmcnt(7)
	ds_write2_b32 v9, v0, v1 offset0:27 offset1:28
	s_waitcnt vmcnt(5)
	ds_write2_b32 v9, v2, v3 offset0:29 offset1:30
	;; [unrolled: 2-line block ×4, first 2 shown]
	s_waitcnt vmcnt(0)
	ds_write_b8 v9, v8 offset:140
.LBB2187_284:
	s_or_b64 exec, exec, s[16:17]
	s_waitcnt lgkmcnt(0)
	s_barrier
	buffer_load_dword v8, off, s[0:3], 0 offset:332
	buffer_load_dword v11, off, s[0:3], 0 offset:328
	;; [unrolled: 1-line block ×9, first 2 shown]
	s_waitcnt vmcnt(11)
	v_mov_b32_e32 v6, 0
	ds_read2_b32 v[0:1], v6 offset0:27 offset1:28
	ds_read_b32 v9, v6 offset:140
	ds_read2_b32 v[2:3], v6 offset0:29 offset1:30
	ds_read2_b32 v[4:5], v6 offset0:31 offset1:32
	s_waitcnt vmcnt(10)
	ds_read2_b32 v[6:7], v6 offset0:33 offset1:34
	s_waitcnt lgkmcnt(4)
	buffer_store_dword v1, off, s[0:3], 0 offset:4
	buffer_store_dword v0, off, s[0:3], 0
	s_waitcnt lgkmcnt(2)
	buffer_store_dword v3, off, s[0:3], 0 offset:12
	buffer_store_dword v2, off, s[0:3], 0 offset:8
	s_waitcnt lgkmcnt(1)
	buffer_store_dword v5, off, s[0:3], 0 offset:20
	buffer_store_dword v4, off, s[0:3], 0 offset:16
	;; [unrolled: 3-line block ×3, first 2 shown]
	buffer_store_dword v9, off, s[0:3], 0 offset:32
	buffer_store_dword v3, off, s[0:3], 0 offset:144
	;; [unrolled: 1-line block ×9, first 2 shown]
	s_waitcnt vmcnt(25)
	buffer_store_dword v8, off, s[0:3], 0 offset:108
	s_waitcnt vmcnt(25)
	buffer_store_dword v11, off, s[0:3], 0 offset:104
	;; [unrolled: 2-line block ×9, first 2 shown]
	buffer_store_dword v9, off, s[0:3], 0 offset:164
                                        ; implicit-def: $vgpr8
	s_and_saveexec_b64 s[4:5], s[8:9]
	s_xor_b64 s[4:5], exec, s[4:5]
	s_cbranch_execz .LBB2187_294
; %bb.285:
	buffer_load_ubyte v8, off, s[0:3], 0 offset:272
                                        ; implicit-def: $vgpr6_vgpr7
                                        ; implicit-def: $vgpr4_vgpr5
                                        ; implicit-def: $vgpr2_vgpr3
                                        ; implicit-def: $vgpr0_vgpr1
	s_waitcnt vmcnt(0)
	v_cmp_ne_u16_e32 vcc, 0, v8
	s_and_saveexec_b64 s[12:13], vcc
	s_xor_b64 s[12:13], exec, s[12:13]
	s_cbranch_execz .LBB2187_287
; %bb.286:
	buffer_load_dword v0, off, s[0:3], 0 offset:240
	buffer_load_dword v1, off, s[0:3], 0 offset:244
	;; [unrolled: 1-line block ×8, first 2 shown]
.LBB2187_287:
	s_andn2_saveexec_b64 s[12:13], s[12:13]
	s_cbranch_execz .LBB2187_293
; %bb.288:
	s_mov_b32 s14, 0
	s_waitcnt vmcnt(7)
	v_mov_b32_e32 v0, 0xa8
	s_waitcnt vmcnt(6)
	v_mov_b32_e32 v1, 0
	s_waitcnt vmcnt(0)
.LBB2187_289:                           ; =>This Inner Loop Header: Depth=1
	v_add_u32_e32 v2, s14, v0
	s_add_i32 s14, s14, 8
	s_cmp_lg_u32 s14, 32
	buffer_store_dword v1, v2, s[0:3], 0 offen offset:4
	buffer_store_dword v1, v2, s[0:3], 0 offen
	s_cbranch_scc1 .LBB2187_289
; %bb.290:
	s_mov_b32 s14, 0
	v_mov_b32_e32 v0, 0
	v_mov_b32_e32 v1, 0xf0
	;; [unrolled: 1-line block ×3, first 2 shown]
.LBB2187_291:                           ; =>This Inner Loop Header: Depth=1
	v_add_u32_e32 v3, s14, v0
	v_add_u32_e32 v4, s14, v1
	buffer_load_dword v5, v3, s[0:3], 0 offen offset:4
	buffer_load_dword v6, v4, s[0:3], 0 offen
	buffer_load_dword v7, v3, s[0:3], 0 offen
	buffer_load_dword v11, v4, s[0:3], 0 offen offset:4
	v_add_u32_e32 v3, s14, v2
	s_add_i32 s14, s14, 8
	s_cmp_lg_u32 s14, 32
	s_waitcnt vmcnt(1)
	v_add_u32_e32 v4, v6, v7
	s_waitcnt vmcnt(0)
	v_add_u32_e32 v5, v11, v5
	buffer_store_dword v5, v3, s[0:3], 0 offen offset:4
	buffer_store_dword v4, v3, s[0:3], 0 offen
	s_cbranch_scc1 .LBB2187_291
; %bb.292:
	buffer_load_dword v0, off, s[0:3], 0 offset:168
	buffer_load_dword v1, off, s[0:3], 0 offset:172
	;; [unrolled: 1-line block ×8, first 2 shown]
.LBB2187_293:
	s_or_b64 exec, exec, s[12:13]
	v_or_b32_e32 v8, v8, v9
	v_and_b32_e32 v8, 1, v8
	s_waitcnt vmcnt(6)
	buffer_store_dword v1, off, s[0:3], 0 offset:136
	buffer_store_dword v0, off, s[0:3], 0 offset:132
	s_waitcnt vmcnt(6)
	buffer_store_dword v3, off, s[0:3], 0 offset:144
	buffer_store_dword v2, off, s[0:3], 0 offset:140
	;; [unrolled: 3-line block ×4, first 2 shown]
.LBB2187_294:
	s_andn2_saveexec_b64 s[4:5], s[4:5]
	s_cbranch_execz .LBB2187_296
; %bb.295:
	buffer_load_ubyte v8, off, s[0:3], 0 offset:164
.LBB2187_296:
	s_or_b64 exec, exec, s[4:5]
	buffer_load_dword v0, off, s[0:3], 0 offset:144
	buffer_load_dword v1, off, s[0:3], 0 offset:140
	;; [unrolled: 1-line block ×8, first 2 shown]
	buffer_load_ubyte v9, off, s[0:3], 0 offset:128
	s_waitcnt vmcnt(9)
	buffer_store_byte v8, off, s[0:3], 0 offset:352
	s_waitcnt vmcnt(9)
	buffer_store_dword v0, off, s[0:3], 0 offset:332
	s_waitcnt vmcnt(9)
	buffer_store_dword v1, off, s[0:3], 0 offset:328
	;; [unrolled: 2-line block ×8, first 2 shown]
	s_waitcnt vmcnt(9)
	v_cmp_ne_u16_e32 vcc, 0, v9
                                        ; implicit-def: $vgpr6_vgpr7
                                        ; implicit-def: $vgpr4_vgpr5
                                        ; implicit-def: $vgpr2_vgpr3
                                        ; implicit-def: $vgpr0_vgpr1
	s_and_saveexec_b64 s[4:5], vcc
	s_xor_b64 s[4:5], exec, s[4:5]
	s_cbranch_execz .LBB2187_298
; %bb.297:
	buffer_load_dword v0, off, s[0:3], 0 offset:96
	buffer_load_dword v1, off, s[0:3], 0 offset:100
	;; [unrolled: 1-line block ×8, first 2 shown]
.LBB2187_298:
	s_andn2_saveexec_b64 s[4:5], s[4:5]
	s_cbranch_execz .LBB2187_304
; %bb.299:
	s_mov_b32 s12, 0
	s_waitcnt vmcnt(7)
	v_mov_b32_e32 v0, 0xa8
	s_waitcnt vmcnt(6)
	v_mov_b32_e32 v1, 0
	s_waitcnt vmcnt(0)
.LBB2187_300:                           ; =>This Inner Loop Header: Depth=1
	v_add_u32_e32 v2, s12, v0
	s_add_i32 s12, s12, 8
	s_cmp_lg_u32 s12, 32
	buffer_store_dword v1, v2, s[0:3], 0 offen offset:4
	buffer_store_dword v1, v2, s[0:3], 0 offen
	s_cbranch_scc1 .LBB2187_300
; %bb.301:
	s_mov_b32 s12, 0
	v_mov_b32_e32 v0, 0x84
	v_mov_b32_e32 v1, 0x60
	;; [unrolled: 1-line block ×3, first 2 shown]
.LBB2187_302:                           ; =>This Inner Loop Header: Depth=1
	v_add_u32_e32 v3, s12, v0
	v_add_u32_e32 v4, s12, v1
	buffer_load_dword v5, v3, s[0:3], 0 offen offset:4
	buffer_load_dword v6, v4, s[0:3], 0 offen
	buffer_load_dword v7, v3, s[0:3], 0 offen
	buffer_load_dword v11, v4, s[0:3], 0 offen offset:4
	v_add_u32_e32 v3, s12, v2
	s_add_i32 s12, s12, 8
	s_cmp_lg_u32 s12, 32
	s_waitcnt vmcnt(1)
	v_add_u32_e32 v4, v6, v7
	s_waitcnt vmcnt(0)
	v_add_u32_e32 v5, v11, v5
	buffer_store_dword v5, v3, s[0:3], 0 offen offset:4
	buffer_store_dword v4, v3, s[0:3], 0 offen
	s_cbranch_scc1 .LBB2187_302
; %bb.303:
	buffer_load_dword v0, off, s[0:3], 0 offset:168
	buffer_load_dword v1, off, s[0:3], 0 offset:172
	;; [unrolled: 1-line block ×8, first 2 shown]
.LBB2187_304:
	s_or_b64 exec, exec, s[4:5]
	buffer_load_dword v12, v18, s[0:3], 0 offen offset:12
	buffer_load_dword v13, v18, s[0:3], 0 offen offset:8
	;; [unrolled: 1-line block ×3, first 2 shown]
	buffer_load_dword v15, v18, s[0:3], 0 offen
	buffer_load_dword v16, v18, s[0:3], 0 offen offset:28
	buffer_load_dword v17, v18, s[0:3], 0 offen offset:24
	;; [unrolled: 1-line block ×4, first 2 shown]
	buffer_load_ubyte v11, off, s[0:3], 0 offset:388
	v_or_b32_e32 v8, v9, v8
	s_waitcnt vmcnt(15)
	buffer_store_dword v1, off, s[0:3], 0 offset:136
	buffer_store_dword v0, off, s[0:3], 0 offset:132
	s_waitcnt vmcnt(15)
	buffer_store_dword v3, off, s[0:3], 0 offset:144
	buffer_store_dword v2, off, s[0:3], 0 offset:140
	;; [unrolled: 3-line block ×4, first 2 shown]
	buffer_store_dword v0, v18, s[0:3], 0 offen
	buffer_store_dword v1, v18, s[0:3], 0 offen offset:4
	buffer_store_dword v2, v18, s[0:3], 0 offen offset:8
	;; [unrolled: 1-line block ×7, first 2 shown]
	v_and_b32_e32 v0, 1, v8
	v_cmp_eq_u32_e32 vcc, 1, v0
                                        ; implicit-def: $vgpr6_vgpr7
                                        ; implicit-def: $vgpr2_vgpr3
                                        ; implicit-def: $vgpr4_vgpr5
	buffer_store_byte v0, off, s[0:3], 0 offset:388
	s_waitcnt vmcnt(25)
	buffer_store_dword v12, off, s[0:3], 0 offset:108
	s_waitcnt vmcnt(25)
	buffer_store_dword v13, off, s[0:3], 0 offset:104
	;; [unrolled: 2-line block ×8, first 2 shown]
	s_waitcnt vmcnt(25)
	v_cmp_ne_u16_e64 s[4:5], 0, v11
                                        ; implicit-def: $vgpr0_vgpr1
	s_and_saveexec_b64 s[12:13], s[4:5]
	s_xor_b64 s[4:5], exec, s[12:13]
	s_cbranch_execz .LBB2187_306
; %bb.305:
	buffer_load_dword v0, off, s[0:3], 0 offset:96
	buffer_load_dword v1, off, s[0:3], 0 offset:100
	;; [unrolled: 1-line block ×8, first 2 shown]
.LBB2187_306:
	s_andn2_saveexec_b64 s[4:5], s[4:5]
	s_cbranch_execz .LBB2187_312
; %bb.307:
	s_mov_b32 s12, 0
	s_waitcnt vmcnt(7)
	v_mov_b32_e32 v0, 0xa8
	s_waitcnt vmcnt(6)
	v_mov_b32_e32 v1, 0
	s_waitcnt vmcnt(0)
.LBB2187_308:                           ; =>This Inner Loop Header: Depth=1
	v_add_u32_e32 v2, s12, v0
	s_add_i32 s12, s12, 8
	s_cmp_lg_u32 s12, 32
	buffer_store_dword v1, v2, s[0:3], 0 offen offset:4
	buffer_store_dword v1, v2, s[0:3], 0 offen
	s_cbranch_scc1 .LBB2187_308
; %bb.309:
	s_mov_b32 s12, 0
	v_mov_b32_e32 v0, 0x84
	v_mov_b32_e32 v1, 0x60
	;; [unrolled: 1-line block ×3, first 2 shown]
.LBB2187_310:                           ; =>This Inner Loop Header: Depth=1
	v_add_u32_e32 v3, s12, v0
	v_add_u32_e32 v4, s12, v1
	buffer_load_dword v5, v3, s[0:3], 0 offen offset:4
	buffer_load_dword v6, v4, s[0:3], 0 offen
	buffer_load_dword v7, v3, s[0:3], 0 offen
	buffer_load_dword v8, v4, s[0:3], 0 offen offset:4
	v_add_u32_e32 v3, s12, v2
	s_add_i32 s12, s12, 8
	s_cmp_lg_u32 s12, 32
	s_waitcnt vmcnt(1)
	v_add_u32_e32 v4, v6, v7
	s_waitcnt vmcnt(0)
	v_add_u32_e32 v5, v8, v5
	buffer_store_dword v5, v3, s[0:3], 0 offen offset:4
	buffer_store_dword v4, v3, s[0:3], 0 offen
	s_cbranch_scc1 .LBB2187_310
; %bb.311:
	buffer_load_dword v0, off, s[0:3], 0 offset:168
	buffer_load_dword v1, off, s[0:3], 0 offset:172
	;; [unrolled: 1-line block ×8, first 2 shown]
.LBB2187_312:
	s_or_b64 exec, exec, s[4:5]
	v_and_b32_e32 v8, 1, v11
	v_cmp_eq_u32_e64 s[4:5], 1, v8
	s_or_b64 s[4:5], s[4:5], vcc
	v_cndmask_b32_e64 v8, 0, 1, s[4:5]
	s_waitcnt vmcnt(4)
	buffer_store_dword v5, v19, s[0:3], 0 offen offset:12
	buffer_store_dword v4, v19, s[0:3], 0 offen offset:8
	;; [unrolled: 1-line block ×3, first 2 shown]
	buffer_store_dword v0, v19, s[0:3], 0 offen
	s_waitcnt vmcnt(4)
	buffer_store_dword v7, v19, s[0:3], 0 offen offset:28
	buffer_store_dword v6, v19, s[0:3], 0 offen offset:24
	;; [unrolled: 1-line block ×4, first 2 shown]
	buffer_store_byte v8, off, s[0:3], 0 offset:424
	s_branch .LBB2187_453
.LBB2187_313:
	s_cbranch_execz .LBB2187_453
; %bb.314:
	s_cmp_lg_u64 s[46:47], 0
	s_cselect_b32 s5, s31, 0
	s_cselect_b32 s4, s30, 0
	s_mov_b32 s12, 0
	s_cmp_eq_u64 s[4:5], 0
	v_pk_mov_b32 v[4:5], s[36:37], s[36:37] op_sel:[0,1]
	v_pk_mov_b32 v[6:7], s[38:39], s[38:39] op_sel:[0,1]
	;; [unrolled: 1-line block ×4, first 2 shown]
	s_cbranch_scc1 .LBB2187_316
; %bb.315:
	v_mov_b32_e32 v8, 0
	global_load_dwordx4 v[0:3], v8, s[4:5] offset:16
	global_load_dwordx4 v[4:7], v8, s[4:5]
.LBB2187_316:
	v_mov_b32_e32 v8, 0
	v_mov_b32_e32 v9, 0xf0
	buffer_store_dword v8, off, s[0:3], 0 offset:268
	buffer_store_dword v8, off, s[0:3], 0 offset:264
	;; [unrolled: 1-line block ×9, first 2 shown]
.LBB2187_317:                           ; =>This Inner Loop Header: Depth=1
	v_add_u32_e32 v11, s12, v9
	s_add_i32 s12, s12, 8
	s_cmp_lg_u32 s12, 32
	buffer_store_dword v8, v11, s[0:3], 0 offen offset:4
	buffer_store_dword v8, v11, s[0:3], 0 offen
	s_cbranch_scc1 .LBB2187_317
; %bb.318:
	buffer_load_dword v8, off, s[0:3], 0 offset:332
	buffer_load_dword v9, off, s[0:3], 0 offset:328
	;; [unrolled: 1-line block ×9, first 2 shown]
	buffer_load_ubyte v20, off, s[0:3], 0 offset:388
	v_mov_b32_e32 v21, 0
	s_waitcnt vmcnt(21)
	buffer_store_dword v5, off, s[0:3], 0 offset:208
	buffer_store_dword v4, off, s[0:3], 0 offset:204
	;; [unrolled: 1-line block ×8, first 2 shown]
	buffer_store_byte v21, off, s[0:3], 0 offset:272
	buffer_store_byte v21, off, s[0:3], 0 offset:236
	s_waitcnt vmcnt(19)
	buffer_store_dword v8, off, s[0:3], 0 offset:180
	s_waitcnt vmcnt(19)
	buffer_store_dword v9, off, s[0:3], 0 offset:176
	;; [unrolled: 2-line block ×9, first 2 shown]
	s_waitcnt vmcnt(19)
	v_cmp_ne_u16_e32 vcc, 0, v20
                                        ; implicit-def: $vgpr16_vgpr17
                                        ; implicit-def: $vgpr14_vgpr15
                                        ; implicit-def: $vgpr12_vgpr13
                                        ; implicit-def: $vgpr8_vgpr9
	s_and_saveexec_b64 s[4:5], vcc
	s_xor_b64 s[4:5], exec, s[4:5]
	s_cbranch_execz .LBB2187_320
; %bb.319:
	buffer_load_dword v8, off, s[0:3], 0 offset:356
	buffer_load_dword v9, off, s[0:3], 0 offset:360
	;; [unrolled: 1-line block ×8, first 2 shown]
.LBB2187_320:
	s_andn2_saveexec_b64 s[4:5], s[4:5]
	s_cbranch_execz .LBB2187_326
; %bb.321:
	s_mov_b32 s12, 0
	s_waitcnt vmcnt(7)
	v_mov_b32_e32 v8, 0
	s_waitcnt vmcnt(6)
	v_mov_b32_e32 v9, 0
	s_waitcnt vmcnt(0)
.LBB2187_322:                           ; =>This Inner Loop Header: Depth=1
	v_add_u32_e32 v12, s12, v8
	s_add_i32 s12, s12, 8
	s_cmp_lg_u32 s12, 32
	buffer_store_dword v9, v12, s[0:3], 0 offen offset:4
	buffer_store_dword v9, v12, s[0:3], 0 offen
	s_cbranch_scc1 .LBB2187_322
; %bb.323:
	s_mov_b32 s12, 0
	v_mov_b32_e32 v8, 0xa8
	v_mov_b32_e32 v9, 0x140
	;; [unrolled: 1-line block ×3, first 2 shown]
.LBB2187_324:                           ; =>This Inner Loop Header: Depth=1
	v_add_u32_e32 v13, s12, v8
	v_add_u32_e32 v14, s12, v9
	buffer_load_dword v15, v13, s[0:3], 0 offen offset:4
	buffer_load_dword v16, v14, s[0:3], 0 offen offset:36
	buffer_load_dword v17, v13, s[0:3], 0 offen
	buffer_load_dword v21, v14, s[0:3], 0 offen offset:40
	v_add_u32_e32 v13, s12, v12
	s_add_i32 s12, s12, 8
	s_cmp_lg_u32 s12, 32
	s_waitcnt vmcnt(1)
	v_add_u32_e32 v14, v16, v17
	s_waitcnt vmcnt(0)
	v_add_u32_e32 v15, v21, v15
	buffer_store_dword v15, v13, s[0:3], 0 offen offset:4
	buffer_store_dword v14, v13, s[0:3], 0 offen
	s_cbranch_scc1 .LBB2187_324
; %bb.325:
	buffer_load_dword v8, off, s[0:3], 0
	buffer_load_dword v9, off, s[0:3], 0 offset:4
	buffer_load_dword v12, off, s[0:3], 0 offset:8
	;; [unrolled: 1-line block ×7, first 2 shown]
.LBB2187_326:
	s_or_b64 exec, exec, s[4:5]
	buffer_load_ubyte v21, off, s[0:3], 0 offset:424
	s_waitcnt vmcnt(7)
	buffer_store_dword v9, off, s[0:3], 0 offset:172
	buffer_store_dword v8, off, s[0:3], 0 offset:168
	s_waitcnt vmcnt(7)
	buffer_store_dword v13, off, s[0:3], 0 offset:180
	buffer_store_dword v12, off, s[0:3], 0 offset:176
	;; [unrolled: 3-line block ×4, first 2 shown]
                                        ; implicit-def: $vgpr16_vgpr17
                                        ; implicit-def: $vgpr14_vgpr15
                                        ; implicit-def: $vgpr12_vgpr13
                                        ; implicit-def: $vgpr8_vgpr9
	s_waitcnt vmcnt(8)
	v_cmp_ne_u16_e32 vcc, 0, v21
	s_and_saveexec_b64 s[4:5], vcc
	s_xor_b64 s[4:5], exec, s[4:5]
	s_cbranch_execz .LBB2187_328
; %bb.327:
	buffer_load_dword v8, off, s[0:3], 0 offset:392
	buffer_load_dword v9, off, s[0:3], 0 offset:396
	;; [unrolled: 1-line block ×8, first 2 shown]
.LBB2187_328:
	s_andn2_saveexec_b64 s[4:5], s[4:5]
	s_cbranch_execz .LBB2187_334
; %bb.329:
	s_mov_b32 s12, 0
	s_waitcnt vmcnt(7)
	v_mov_b32_e32 v8, 0
	s_waitcnt vmcnt(6)
	v_mov_b32_e32 v9, 0
	s_waitcnt vmcnt(0)
.LBB2187_330:                           ; =>This Inner Loop Header: Depth=1
	v_add_u32_e32 v12, s12, v8
	s_add_i32 s12, s12, 8
	s_cmp_lg_u32 s12, 32
	buffer_store_dword v9, v12, s[0:3], 0 offen offset:4
	buffer_store_dword v9, v12, s[0:3], 0 offen
	s_cbranch_scc1 .LBB2187_330
; %bb.331:
	s_mov_b32 s12, 0
	v_mov_b32_e32 v8, 0xa8
	v_mov_b32_e32 v9, 0x140
	;; [unrolled: 1-line block ×3, first 2 shown]
.LBB2187_332:                           ; =>This Inner Loop Header: Depth=1
	v_add_u32_e32 v13, s12, v8
	v_add_u32_e32 v14, s12, v9
	buffer_load_dword v15, v13, s[0:3], 0 offen offset:4
	buffer_load_dword v16, v14, s[0:3], 0 offen offset:72
	buffer_load_dword v17, v13, s[0:3], 0 offen
	buffer_load_dword v22, v14, s[0:3], 0 offen offset:76
	v_add_u32_e32 v13, s12, v12
	s_add_i32 s12, s12, 8
	s_cmp_lg_u32 s12, 32
	s_waitcnt vmcnt(1)
	v_add_u32_e32 v14, v16, v17
	s_waitcnt vmcnt(0)
	v_add_u32_e32 v15, v22, v15
	buffer_store_dword v15, v13, s[0:3], 0 offen offset:4
	buffer_store_dword v14, v13, s[0:3], 0 offen
	s_cbranch_scc1 .LBB2187_332
; %bb.333:
	buffer_load_dword v8, off, s[0:3], 0
	buffer_load_dword v9, off, s[0:3], 0 offset:4
	buffer_load_dword v12, off, s[0:3], 0 offset:8
	;; [unrolled: 1-line block ×7, first 2 shown]
.LBB2187_334:
	s_or_b64 exec, exec, s[4:5]
	v_or_b32_e32 v20, v21, v20
	v_or_b32_e32 v11, v20, v11
	v_and_b32_e32 v11, 1, v11
	buffer_store_byte v11, off, s[0:3], 0 offset:200
	buffer_load_dword v20, off, s[0:3], 0 offset:200
	v_mbcnt_lo_u32_b32 v11, -1, 0
	v_mov_b32_e32 v23, 0
	s_waitcnt vmcnt(9)
	v_mov_b32_dpp v21, v8 row_shr:1 row_mask:0xf bank_mask:0xf
	v_mbcnt_hi_u32_b32 v11, -1, v11
	buffer_store_dword v5, off, s[0:3], 0 offset:136
	buffer_store_dword v4, off, s[0:3], 0 offset:132
	;; [unrolled: 1-line block ×8, first 2 shown]
	s_waitcnt vmcnt(16)
	buffer_store_dword v9, off, s[0:3], 0 offset:172
	buffer_store_dword v8, off, s[0:3], 0 offset:168
	s_waitcnt vmcnt(16)
	buffer_store_dword v13, off, s[0:3], 0 offset:180
	buffer_store_dword v12, off, s[0:3], 0 offset:176
	s_waitcnt vmcnt(16)
	buffer_store_dword v15, off, s[0:3], 0 offset:188
	buffer_store_dword v14, off, s[0:3], 0 offset:184
	s_waitcnt vmcnt(16)
	buffer_store_dword v17, off, s[0:3], 0 offset:196
	buffer_store_dword v16, off, s[0:3], 0 offset:192
	v_mov_b32_dpp v22, v9 row_shr:1 row_mask:0xf bank_mask:0xf
	v_mov_b32_dpp v24, v12 row_shr:1 row_mask:0xf bank_mask:0xf
	v_mov_b32_dpp v25, v13 row_shr:1 row_mask:0xf bank_mask:0xf
	v_mov_b32_dpp v26, v14 row_shr:1 row_mask:0xf bank_mask:0xf
	v_mov_b32_dpp v27, v15 row_shr:1 row_mask:0xf bank_mask:0xf
	v_mov_b32_dpp v28, v16 row_shr:1 row_mask:0xf bank_mask:0xf
	v_mov_b32_dpp v29, v17 row_shr:1 row_mask:0xf bank_mask:0xf
	buffer_store_byte v23, off, s[0:3], 0 offset:164
	buffer_store_dword v21, off, s[0:3], 0
	buffer_store_dword v22, off, s[0:3], 0 offset:4
	buffer_store_dword v24, off, s[0:3], 0 offset:8
	;; [unrolled: 1-line block ×7, first 2 shown]
	v_and_b32_e32 v21, 15, v11
	v_cmp_ne_u32_e32 vcc, 0, v21
	s_waitcnt vmcnt(25)
	v_mov_b32_dpp v22, v20 row_shr:1 row_mask:0xf bank_mask:0xf
	buffer_store_dword v22, off, s[0:3], 0 offset:32
	s_and_saveexec_b64 s[4:5], vcc
	s_xor_b64 s[4:5], exec, s[4:5]
	s_cbranch_execz .LBB2187_342
; %bb.335:
	v_cmp_eq_u16_sdwa s[14:15], v20, v23 src0_sel:BYTE_0 src1_sel:DWORD
	s_and_saveexec_b64 s[12:13], s[14:15]
	s_cbranch_execz .LBB2187_341
; %bb.336:
	s_mov_b32 s14, 0
	v_mov_b32_e32 v8, 0x60
	v_mov_b32_e32 v9, 0
.LBB2187_337:                           ; =>This Inner Loop Header: Depth=1
	v_add_u32_e32 v12, s14, v8
	s_add_i32 s14, s14, 8
	s_cmp_lg_u32 s14, 32
	buffer_store_dword v9, v12, s[0:3], 0 offen offset:4
	buffer_store_dword v9, v12, s[0:3], 0 offen
	s_cbranch_scc1 .LBB2187_337
; %bb.338:
	s_mov_b32 s14, 0
	v_mov_b32_e32 v8, 0
	v_mov_b32_e32 v9, 0xa8
	;; [unrolled: 1-line block ×3, first 2 shown]
.LBB2187_339:                           ; =>This Inner Loop Header: Depth=1
	v_add_u32_e32 v13, s14, v8
	v_add_u32_e32 v14, s14, v9
	buffer_load_dword v15, v13, s[0:3], 0 offen offset:4
	buffer_load_dword v16, v14, s[0:3], 0 offen
	buffer_load_dword v17, v13, s[0:3], 0 offen
	buffer_load_dword v23, v14, s[0:3], 0 offen offset:4
	v_add_u32_e32 v13, s14, v12
	s_add_i32 s14, s14, 8
	s_cmp_lg_u32 s14, 32
	s_waitcnt vmcnt(1)
	v_add_u32_e32 v14, v16, v17
	s_waitcnt vmcnt(0)
	v_add_u32_e32 v15, v23, v15
	buffer_store_dword v15, v13, s[0:3], 0 offen offset:4
	buffer_store_dword v14, v13, s[0:3], 0 offen
	s_cbranch_scc1 .LBB2187_339
; %bb.340:
	buffer_load_dword v8, off, s[0:3], 0 offset:96
	buffer_load_dword v9, off, s[0:3], 0 offset:100
	;; [unrolled: 1-line block ×8, first 2 shown]
.LBB2187_341:
	s_or_b64 exec, exec, s[12:13]
	v_or_b32_e32 v20, v22, v20
	v_and_b32_e32 v20, 1, v20
	buffer_store_byte v20, off, s[0:3], 0 offset:200
	buffer_load_dword v20, off, s[0:3], 0 offset:200
	s_waitcnt vmcnt(8)
	buffer_store_dword v9, off, s[0:3], 0 offset:172
	buffer_store_dword v8, off, s[0:3], 0 offset:168
	s_waitcnt vmcnt(8)
	buffer_store_dword v13, off, s[0:3], 0 offset:180
	buffer_store_dword v12, off, s[0:3], 0 offset:176
	;; [unrolled: 3-line block ×4, first 2 shown]
.LBB2187_342:
	s_or_b64 exec, exec, s[4:5]
	v_mov_b32_dpp v23, v8 row_shr:2 row_mask:0xf bank_mask:0xf
	s_waitcnt vmcnt(8)
	v_mov_b32_dpp v22, v20 row_shr:2 row_mask:0xf bank_mask:0xf
	v_cmp_lt_u32_e32 vcc, 1, v21
	v_mov_b32_dpp v24, v9 row_shr:2 row_mask:0xf bank_mask:0xf
	v_mov_b32_dpp v25, v12 row_shr:2 row_mask:0xf bank_mask:0xf
	;; [unrolled: 1-line block ×7, first 2 shown]
	buffer_store_dword v23, off, s[0:3], 0
	buffer_store_dword v24, off, s[0:3], 0 offset:4
	buffer_store_dword v25, off, s[0:3], 0 offset:8
	buffer_store_dword v26, off, s[0:3], 0 offset:12
	buffer_store_dword v27, off, s[0:3], 0 offset:16
	buffer_store_dword v28, off, s[0:3], 0 offset:20
	buffer_store_dword v29, off, s[0:3], 0 offset:24
	buffer_store_dword v30, off, s[0:3], 0 offset:28
	buffer_store_dword v22, off, s[0:3], 0 offset:32
	s_and_saveexec_b64 s[12:13], vcc
	s_cbranch_execz .LBB2187_350
; %bb.343:
	v_mov_b32_e32 v23, 0
	s_mov_b32 s14, 0
	v_cmp_eq_u16_sdwa s[16:17], v20, v23 src0_sel:BYTE_0 src1_sel:DWORD
	s_and_saveexec_b64 s[4:5], s[16:17]
	s_cbranch_execz .LBB2187_349
; %bb.344:
	v_mov_b32_e32 v8, 0x60
.LBB2187_345:                           ; =>This Inner Loop Header: Depth=1
	v_add_u32_e32 v9, s14, v8
	s_add_i32 s14, s14, 8
	s_cmp_lg_u32 s14, 32
	buffer_store_dword v23, v9, s[0:3], 0 offen offset:4
	buffer_store_dword v23, v9, s[0:3], 0 offen
	s_cbranch_scc1 .LBB2187_345
; %bb.346:
	s_mov_b32 s14, 0
	v_mov_b32_e32 v8, 0
	v_mov_b32_e32 v9, 0xa8
	;; [unrolled: 1-line block ×3, first 2 shown]
.LBB2187_347:                           ; =>This Inner Loop Header: Depth=1
	v_add_u32_e32 v13, s14, v8
	v_add_u32_e32 v14, s14, v9
	buffer_load_dword v15, v13, s[0:3], 0 offen offset:4
	buffer_load_dword v16, v14, s[0:3], 0 offen
	buffer_load_dword v17, v13, s[0:3], 0 offen
	buffer_load_dword v23, v14, s[0:3], 0 offen offset:4
	v_add_u32_e32 v13, s14, v12
	s_add_i32 s14, s14, 8
	s_cmp_lg_u32 s14, 32
	s_waitcnt vmcnt(1)
	v_add_u32_e32 v14, v16, v17
	s_waitcnt vmcnt(0)
	v_add_u32_e32 v15, v23, v15
	buffer_store_dword v15, v13, s[0:3], 0 offen offset:4
	buffer_store_dword v14, v13, s[0:3], 0 offen
	s_cbranch_scc1 .LBB2187_347
; %bb.348:
	buffer_load_dword v8, off, s[0:3], 0 offset:96
	buffer_load_dword v9, off, s[0:3], 0 offset:100
	;; [unrolled: 1-line block ×8, first 2 shown]
.LBB2187_349:
	s_or_b64 exec, exec, s[4:5]
	v_and_b32_e32 v20, 1, v20
	v_cmp_eq_u32_e32 vcc, 1, v20
	v_and_b32_e32 v20, 1, v22
	v_cmp_eq_u32_e64 s[4:5], 1, v20
	s_or_b64 s[4:5], vcc, s[4:5]
	v_cndmask_b32_e64 v20, 0, 1, s[4:5]
	buffer_store_byte v20, off, s[0:3], 0 offset:200
	buffer_load_dword v20, off, s[0:3], 0 offset:200
	s_waitcnt vmcnt(8)
	buffer_store_dword v9, off, s[0:3], 0 offset:172
	buffer_store_dword v8, off, s[0:3], 0 offset:168
	s_waitcnt vmcnt(8)
	buffer_store_dword v13, off, s[0:3], 0 offset:180
	buffer_store_dword v12, off, s[0:3], 0 offset:176
	;; [unrolled: 3-line block ×4, first 2 shown]
.LBB2187_350:
	s_or_b64 exec, exec, s[12:13]
	v_mov_b32_dpp v23, v8 row_shr:4 row_mask:0xf bank_mask:0xf
	s_waitcnt vmcnt(8)
	v_mov_b32_dpp v22, v20 row_shr:4 row_mask:0xf bank_mask:0xf
	v_cmp_lt_u32_e32 vcc, 3, v21
	v_mov_b32_dpp v24, v9 row_shr:4 row_mask:0xf bank_mask:0xf
	v_mov_b32_dpp v25, v12 row_shr:4 row_mask:0xf bank_mask:0xf
	;; [unrolled: 1-line block ×7, first 2 shown]
	buffer_store_dword v23, off, s[0:3], 0
	buffer_store_dword v24, off, s[0:3], 0 offset:4
	buffer_store_dword v25, off, s[0:3], 0 offset:8
	;; [unrolled: 1-line block ×8, first 2 shown]
	s_and_saveexec_b64 s[12:13], vcc
	s_cbranch_execz .LBB2187_358
; %bb.351:
	v_mov_b32_e32 v23, 0
	s_mov_b32 s14, 0
	v_cmp_eq_u16_sdwa s[16:17], v20, v23 src0_sel:BYTE_0 src1_sel:DWORD
	s_and_saveexec_b64 s[4:5], s[16:17]
	s_cbranch_execz .LBB2187_357
; %bb.352:
	v_mov_b32_e32 v8, 0x60
.LBB2187_353:                           ; =>This Inner Loop Header: Depth=1
	v_add_u32_e32 v9, s14, v8
	s_add_i32 s14, s14, 8
	s_cmp_lg_u32 s14, 32
	buffer_store_dword v23, v9, s[0:3], 0 offen offset:4
	buffer_store_dword v23, v9, s[0:3], 0 offen
	s_cbranch_scc1 .LBB2187_353
; %bb.354:
	s_mov_b32 s14, 0
	v_mov_b32_e32 v8, 0
	v_mov_b32_e32 v9, 0xa8
	;; [unrolled: 1-line block ×3, first 2 shown]
.LBB2187_355:                           ; =>This Inner Loop Header: Depth=1
	v_add_u32_e32 v13, s14, v8
	v_add_u32_e32 v14, s14, v9
	buffer_load_dword v15, v13, s[0:3], 0 offen offset:4
	buffer_load_dword v16, v14, s[0:3], 0 offen
	buffer_load_dword v17, v13, s[0:3], 0 offen
	buffer_load_dword v23, v14, s[0:3], 0 offen offset:4
	v_add_u32_e32 v13, s14, v12
	s_add_i32 s14, s14, 8
	s_cmp_lg_u32 s14, 32
	s_waitcnt vmcnt(1)
	v_add_u32_e32 v14, v16, v17
	s_waitcnt vmcnt(0)
	v_add_u32_e32 v15, v23, v15
	buffer_store_dword v15, v13, s[0:3], 0 offen offset:4
	buffer_store_dword v14, v13, s[0:3], 0 offen
	s_cbranch_scc1 .LBB2187_355
; %bb.356:
	buffer_load_dword v8, off, s[0:3], 0 offset:96
	buffer_load_dword v9, off, s[0:3], 0 offset:100
	;; [unrolled: 1-line block ×8, first 2 shown]
.LBB2187_357:
	s_or_b64 exec, exec, s[4:5]
	v_and_b32_e32 v20, 1, v20
	v_cmp_eq_u32_e32 vcc, 1, v20
	v_and_b32_e32 v20, 1, v22
	v_cmp_eq_u32_e64 s[4:5], 1, v20
	s_or_b64 s[4:5], vcc, s[4:5]
	v_cndmask_b32_e64 v20, 0, 1, s[4:5]
	buffer_store_byte v20, off, s[0:3], 0 offset:200
	buffer_load_dword v20, off, s[0:3], 0 offset:200
	s_waitcnt vmcnt(8)
	buffer_store_dword v9, off, s[0:3], 0 offset:172
	buffer_store_dword v8, off, s[0:3], 0 offset:168
	s_waitcnt vmcnt(8)
	buffer_store_dword v13, off, s[0:3], 0 offset:180
	buffer_store_dword v12, off, s[0:3], 0 offset:176
	;; [unrolled: 3-line block ×4, first 2 shown]
.LBB2187_358:
	s_or_b64 exec, exec, s[12:13]
	v_mov_b32_dpp v23, v8 row_shr:8 row_mask:0xf bank_mask:0xf
	s_waitcnt vmcnt(8)
	v_mov_b32_dpp v22, v20 row_shr:8 row_mask:0xf bank_mask:0xf
	v_cmp_lt_u32_e32 vcc, 7, v21
	v_mov_b32_dpp v24, v9 row_shr:8 row_mask:0xf bank_mask:0xf
	v_mov_b32_dpp v25, v12 row_shr:8 row_mask:0xf bank_mask:0xf
	;; [unrolled: 1-line block ×7, first 2 shown]
	buffer_store_dword v23, off, s[0:3], 0
	buffer_store_dword v24, off, s[0:3], 0 offset:4
	buffer_store_dword v25, off, s[0:3], 0 offset:8
	;; [unrolled: 1-line block ×8, first 2 shown]
	s_and_saveexec_b64 s[12:13], vcc
	s_cbranch_execz .LBB2187_366
; %bb.359:
	v_mov_b32_e32 v21, 0
	s_mov_b32 s14, 0
	v_cmp_eq_u16_sdwa s[16:17], v20, v21 src0_sel:BYTE_0 src1_sel:DWORD
	s_and_saveexec_b64 s[4:5], s[16:17]
	s_cbranch_execz .LBB2187_365
; %bb.360:
	v_mov_b32_e32 v8, 0x60
.LBB2187_361:                           ; =>This Inner Loop Header: Depth=1
	v_add_u32_e32 v9, s14, v8
	s_add_i32 s14, s14, 8
	s_cmp_lg_u32 s14, 32
	buffer_store_dword v21, v9, s[0:3], 0 offen offset:4
	buffer_store_dword v21, v9, s[0:3], 0 offen
	s_cbranch_scc1 .LBB2187_361
; %bb.362:
	s_mov_b32 s14, 0
	v_mov_b32_e32 v8, 0
	v_mov_b32_e32 v9, 0xa8
	;; [unrolled: 1-line block ×3, first 2 shown]
.LBB2187_363:                           ; =>This Inner Loop Header: Depth=1
	v_add_u32_e32 v13, s14, v8
	v_add_u32_e32 v14, s14, v9
	buffer_load_dword v15, v13, s[0:3], 0 offen offset:4
	buffer_load_dword v16, v14, s[0:3], 0 offen
	buffer_load_dword v17, v13, s[0:3], 0 offen
	buffer_load_dword v21, v14, s[0:3], 0 offen offset:4
	v_add_u32_e32 v13, s14, v12
	s_add_i32 s14, s14, 8
	s_cmp_lg_u32 s14, 32
	s_waitcnt vmcnt(1)
	v_add_u32_e32 v14, v16, v17
	s_waitcnt vmcnt(0)
	v_add_u32_e32 v15, v21, v15
	buffer_store_dword v15, v13, s[0:3], 0 offen offset:4
	buffer_store_dword v14, v13, s[0:3], 0 offen
	s_cbranch_scc1 .LBB2187_363
; %bb.364:
	buffer_load_dword v8, off, s[0:3], 0 offset:96
	buffer_load_dword v9, off, s[0:3], 0 offset:100
	;; [unrolled: 1-line block ×8, first 2 shown]
.LBB2187_365:
	s_or_b64 exec, exec, s[4:5]
	v_and_b32_e32 v20, 1, v20
	v_cmp_eq_u32_e32 vcc, 1, v20
	v_and_b32_e32 v20, 1, v22
	v_cmp_eq_u32_e64 s[4:5], 1, v20
	s_or_b64 s[4:5], vcc, s[4:5]
	v_cndmask_b32_e64 v20, 0, 1, s[4:5]
	buffer_store_byte v20, off, s[0:3], 0 offset:200
	buffer_load_dword v20, off, s[0:3], 0 offset:200
	s_waitcnt vmcnt(8)
	buffer_store_dword v9, off, s[0:3], 0 offset:172
	buffer_store_dword v8, off, s[0:3], 0 offset:168
	s_waitcnt vmcnt(8)
	buffer_store_dword v13, off, s[0:3], 0 offset:180
	buffer_store_dword v12, off, s[0:3], 0 offset:176
	;; [unrolled: 3-line block ×4, first 2 shown]
.LBB2187_366:
	s_or_b64 exec, exec, s[12:13]
	v_mov_b32_dpp v22, v8 row_bcast:15 row_mask:0xf bank_mask:0xf
	v_mov_b32_dpp v23, v9 row_bcast:15 row_mask:0xf bank_mask:0xf
	;; [unrolled: 1-line block ×8, first 2 shown]
	s_waitcnt vmcnt(8)
	v_mov_b32_dpp v21, v20 row_bcast:15 row_mask:0xf bank_mask:0xf
	buffer_store_dword v22, off, s[0:3], 0
	buffer_store_dword v23, off, s[0:3], 0 offset:4
	buffer_store_dword v24, off, s[0:3], 0 offset:8
	;; [unrolled: 1-line block ×8, first 2 shown]
	v_and_b32_e32 v22, 16, v11
	v_cmp_ne_u32_e32 vcc, 0, v22
	s_and_saveexec_b64 s[12:13], vcc
	s_cbranch_execz .LBB2187_374
; %bb.367:
	v_mov_b32_e32 v22, 0
	s_mov_b32 s14, 0
	v_cmp_eq_u16_sdwa s[16:17], v20, v22 src0_sel:BYTE_0 src1_sel:DWORD
	s_and_saveexec_b64 s[4:5], s[16:17]
	s_cbranch_execz .LBB2187_373
; %bb.368:
	v_mov_b32_e32 v8, 0x60
.LBB2187_369:                           ; =>This Inner Loop Header: Depth=1
	v_add_u32_e32 v9, s14, v8
	s_add_i32 s14, s14, 8
	s_cmp_lg_u32 s14, 32
	buffer_store_dword v22, v9, s[0:3], 0 offen offset:4
	buffer_store_dword v22, v9, s[0:3], 0 offen
	s_cbranch_scc1 .LBB2187_369
; %bb.370:
	s_mov_b32 s14, 0
	v_mov_b32_e32 v8, 0
	v_mov_b32_e32 v9, 0xa8
	;; [unrolled: 1-line block ×3, first 2 shown]
.LBB2187_371:                           ; =>This Inner Loop Header: Depth=1
	v_add_u32_e32 v13, s14, v8
	v_add_u32_e32 v14, s14, v9
	buffer_load_dword v15, v13, s[0:3], 0 offen offset:4
	buffer_load_dword v16, v14, s[0:3], 0 offen
	buffer_load_dword v17, v13, s[0:3], 0 offen
	buffer_load_dword v22, v14, s[0:3], 0 offen offset:4
	v_add_u32_e32 v13, s14, v12
	s_add_i32 s14, s14, 8
	s_cmp_lg_u32 s14, 32
	s_waitcnt vmcnt(1)
	v_add_u32_e32 v14, v16, v17
	s_waitcnt vmcnt(0)
	v_add_u32_e32 v15, v22, v15
	buffer_store_dword v15, v13, s[0:3], 0 offen offset:4
	buffer_store_dword v14, v13, s[0:3], 0 offen
	s_cbranch_scc1 .LBB2187_371
; %bb.372:
	buffer_load_dword v8, off, s[0:3], 0 offset:96
	buffer_load_dword v9, off, s[0:3], 0 offset:100
	;; [unrolled: 1-line block ×8, first 2 shown]
.LBB2187_373:
	s_or_b64 exec, exec, s[4:5]
	v_and_b32_e32 v20, 1, v20
	v_cmp_eq_u32_e32 vcc, 1, v20
	v_and_b32_e32 v20, 1, v21
	v_cmp_eq_u32_e64 s[4:5], 1, v20
	s_or_b64 s[4:5], vcc, s[4:5]
	v_cndmask_b32_e64 v20, 0, 1, s[4:5]
	buffer_store_byte v20, off, s[0:3], 0 offset:200
	buffer_load_dword v20, off, s[0:3], 0 offset:200
	s_waitcnt vmcnt(8)
	buffer_store_dword v9, off, s[0:3], 0 offset:172
	buffer_store_dword v8, off, s[0:3], 0 offset:168
	s_waitcnt vmcnt(8)
	buffer_store_dword v13, off, s[0:3], 0 offset:180
	buffer_store_dword v12, off, s[0:3], 0 offset:176
	;; [unrolled: 3-line block ×4, first 2 shown]
.LBB2187_374:
	s_or_b64 exec, exec, s[12:13]
	v_mov_b32_dpp v22, v8 row_bcast:31 row_mask:0xf bank_mask:0xf
	s_waitcnt vmcnt(8)
	v_mov_b32_dpp v21, v20 row_bcast:31 row_mask:0xf bank_mask:0xf
	v_cmp_lt_u32_e32 vcc, 31, v11
	v_mov_b32_dpp v23, v9 row_bcast:31 row_mask:0xf bank_mask:0xf
	v_mov_b32_dpp v24, v12 row_bcast:31 row_mask:0xf bank_mask:0xf
	;; [unrolled: 1-line block ×7, first 2 shown]
	buffer_store_dword v22, off, s[0:3], 0
	buffer_store_dword v23, off, s[0:3], 0 offset:4
	buffer_store_dword v24, off, s[0:3], 0 offset:8
	;; [unrolled: 1-line block ×8, first 2 shown]
	s_and_saveexec_b64 s[12:13], vcc
	s_cbranch_execz .LBB2187_382
; %bb.375:
	v_mov_b32_e32 v22, 0
	s_mov_b32 s14, 0
	v_cmp_eq_u16_sdwa s[16:17], v20, v22 src0_sel:BYTE_0 src1_sel:DWORD
	s_and_saveexec_b64 s[4:5], s[16:17]
	s_cbranch_execz .LBB2187_381
; %bb.376:
	v_mov_b32_e32 v8, 0x60
.LBB2187_377:                           ; =>This Inner Loop Header: Depth=1
	v_add_u32_e32 v9, s14, v8
	s_add_i32 s14, s14, 8
	s_cmp_lg_u32 s14, 32
	buffer_store_dword v22, v9, s[0:3], 0 offen offset:4
	buffer_store_dword v22, v9, s[0:3], 0 offen
	s_cbranch_scc1 .LBB2187_377
; %bb.378:
	s_mov_b32 s14, 0
	v_mov_b32_e32 v8, 0
	v_mov_b32_e32 v9, 0xa8
	;; [unrolled: 1-line block ×3, first 2 shown]
.LBB2187_379:                           ; =>This Inner Loop Header: Depth=1
	v_add_u32_e32 v13, s14, v8
	v_add_u32_e32 v14, s14, v9
	buffer_load_dword v15, v13, s[0:3], 0 offen offset:4
	buffer_load_dword v16, v14, s[0:3], 0 offen
	buffer_load_dword v17, v13, s[0:3], 0 offen
	buffer_load_dword v22, v14, s[0:3], 0 offen offset:4
	v_add_u32_e32 v13, s14, v12
	s_add_i32 s14, s14, 8
	s_cmp_lg_u32 s14, 32
	s_waitcnt vmcnt(1)
	v_add_u32_e32 v14, v16, v17
	s_waitcnt vmcnt(0)
	v_add_u32_e32 v15, v22, v15
	buffer_store_dword v15, v13, s[0:3], 0 offen offset:4
	buffer_store_dword v14, v13, s[0:3], 0 offen
	s_cbranch_scc1 .LBB2187_379
; %bb.380:
	buffer_load_dword v8, off, s[0:3], 0 offset:96
	buffer_load_dword v9, off, s[0:3], 0 offset:100
	;; [unrolled: 1-line block ×8, first 2 shown]
.LBB2187_381:
	s_or_b64 exec, exec, s[4:5]
	v_and_b32_e32 v20, 1, v20
	v_cmp_eq_u32_e32 vcc, 1, v20
	v_and_b32_e32 v20, 1, v21
	v_cmp_eq_u32_e64 s[4:5], 1, v20
	s_or_b64 s[4:5], vcc, s[4:5]
	v_cndmask_b32_e64 v20, 0, 1, s[4:5]
	s_waitcnt vmcnt(6)
	buffer_store_dword v9, off, s[0:3], 0 offset:172
	buffer_store_dword v8, off, s[0:3], 0 offset:168
	s_waitcnt vmcnt(6)
	buffer_store_dword v13, off, s[0:3], 0 offset:180
	buffer_store_dword v12, off, s[0:3], 0 offset:176
	;; [unrolled: 3-line block ×4, first 2 shown]
	buffer_store_byte v20, off, s[0:3], 0 offset:200
.LBB2187_382:
	s_or_b64 exec, exec, s[12:13]
	v_or_b32_e32 v22, 63, v10
	v_lshrrev_b32_e32 v21, 6, v10
	v_cmp_eq_u32_e32 vcc, v22, v10
	s_and_saveexec_b64 s[4:5], vcc
	s_cbranch_execz .LBB2187_384
; %bb.383:
	v_mul_u32_u24_e32 v22, 36, v21
	ds_write2_b32 v22, v8, v9 offset1:1
	ds_write2_b32 v22, v12, v13 offset0:2 offset1:3
	ds_write2_b32 v22, v14, v15 offset0:4 offset1:5
	;; [unrolled: 1-line block ×3, first 2 shown]
	ds_write_b8 v22, v20 offset:32
.LBB2187_384:
	s_or_b64 exec, exec, s[4:5]
	v_cmp_gt_u32_e32 vcc, 4, v10
	s_waitcnt lgkmcnt(0)
	s_barrier
	s_and_saveexec_b64 s[12:13], vcc
	s_cbranch_execz .LBB2187_402
; %bb.385:
	v_mul_u32_u24_e32 v20, 36, v10
	ds_read_b32 v22, v20 offset:32
	ds_read2_b32 v[8:9], v20 offset0:6 offset1:7
	ds_read2_b32 v[12:13], v20 offset0:4 offset1:5
	;; [unrolled: 1-line block ×3, first 2 shown]
	ds_read2_b32 v[16:17], v20 offset1:1
	v_and_b32_e32 v23, 3, v11
	s_waitcnt lgkmcnt(4)
	v_mov_b32_dpp v24, v22 row_shr:1 row_mask:0xf bank_mask:0xf
	v_cmp_ne_u32_e32 vcc, 0, v23
	buffer_store_dword v22, off, s[0:3], 0 offset:128
	s_waitcnt lgkmcnt(0)
	v_mov_b32_dpp v25, v16 row_shr:1 row_mask:0xf bank_mask:0xf
	buffer_store_dword v9, off, s[0:3], 0 offset:124
	buffer_store_dword v8, off, s[0:3], 0 offset:120
	;; [unrolled: 1-line block ×8, first 2 shown]
	v_mov_b32_dpp v26, v17 row_shr:1 row_mask:0xf bank_mask:0xf
	v_mov_b32_dpp v27, v14 row_shr:1 row_mask:0xf bank_mask:0xf
	;; [unrolled: 1-line block ×7, first 2 shown]
	buffer_store_dword v25, off, s[0:3], 0
	buffer_store_dword v26, off, s[0:3], 0 offset:4
	buffer_store_dword v27, off, s[0:3], 0 offset:8
	;; [unrolled: 1-line block ×8, first 2 shown]
	s_and_saveexec_b64 s[4:5], vcc
	s_cbranch_execz .LBB2187_393
; %bb.386:
	v_mov_b32_e32 v25, 0
	v_cmp_eq_u16_sdwa s[16:17], v22, v25 src0_sel:BYTE_0 src1_sel:DWORD
	s_and_saveexec_b64 s[14:15], s[16:17]
	s_cbranch_execz .LBB2187_392
; %bb.387:
	s_mov_b32 s16, 0
	v_mov_b32_e32 v8, 0x114
.LBB2187_388:                           ; =>This Inner Loop Header: Depth=1
	v_add_u32_e32 v9, s16, v8
	s_add_i32 s16, s16, 8
	s_cmp_lg_u32 s16, 32
	buffer_store_dword v25, v9, s[0:3], 0 offen offset:4
	buffer_store_dword v25, v9, s[0:3], 0 offen
	s_cbranch_scc1 .LBB2187_388
; %bb.389:
	s_mov_b32 s16, 0
	v_mov_b32_e32 v8, 0
	v_mov_b32_e32 v9, 0x60
	;; [unrolled: 1-line block ×3, first 2 shown]
.LBB2187_390:                           ; =>This Inner Loop Header: Depth=1
	v_add_u32_e32 v13, s16, v8
	v_add_u32_e32 v14, s16, v9
	buffer_load_dword v15, v13, s[0:3], 0 offen offset:4
	buffer_load_dword v16, v14, s[0:3], 0 offen
	buffer_load_dword v17, v13, s[0:3], 0 offen
	buffer_load_dword v25, v14, s[0:3], 0 offen offset:4
	v_add_u32_e32 v13, s16, v12
	s_add_i32 s16, s16, 8
	s_cmp_lg_u32 s16, 32
	s_waitcnt vmcnt(1)
	v_add_u32_e32 v14, v16, v17
	s_waitcnt vmcnt(0)
	v_add_u32_e32 v15, v25, v15
	buffer_store_dword v15, v13, s[0:3], 0 offen offset:4
	buffer_store_dword v14, v13, s[0:3], 0 offen
	s_cbranch_scc1 .LBB2187_390
; %bb.391:
	buffer_load_dword v16, off, s[0:3], 0 offset:276
	buffer_load_dword v17, off, s[0:3], 0 offset:280
	;; [unrolled: 1-line block ×8, first 2 shown]
.LBB2187_392:
	s_or_b64 exec, exec, s[14:15]
	v_or_b32_e32 v22, v24, v22
	v_and_b32_e32 v22, 1, v22
	buffer_store_byte v22, off, s[0:3], 0 offset:128
	buffer_load_dword v22, off, s[0:3], 0 offset:128
	s_waitcnt vmcnt(8)
	buffer_store_dword v17, off, s[0:3], 0 offset:100
	buffer_store_dword v16, off, s[0:3], 0 offset:96
	s_waitcnt vmcnt(8)
	buffer_store_dword v15, off, s[0:3], 0 offset:108
	buffer_store_dword v14, off, s[0:3], 0 offset:104
	s_waitcnt vmcnt(8)
	buffer_store_dword v13, off, s[0:3], 0 offset:116
	buffer_store_dword v12, off, s[0:3], 0 offset:112
	s_waitcnt vmcnt(8)
	buffer_store_dword v9, off, s[0:3], 0 offset:124
	buffer_store_dword v8, off, s[0:3], 0 offset:120
.LBB2187_393:
	s_or_b64 exec, exec, s[4:5]
	v_mov_b32_dpp v25, v16 row_shr:2 row_mask:0xf bank_mask:0xf
	s_waitcnt vmcnt(8)
	v_mov_b32_dpp v24, v22 row_shr:2 row_mask:0xf bank_mask:0xf
	v_cmp_lt_u32_e32 vcc, 1, v23
	v_mov_b32_dpp v26, v17 row_shr:2 row_mask:0xf bank_mask:0xf
	v_mov_b32_dpp v27, v14 row_shr:2 row_mask:0xf bank_mask:0xf
	;; [unrolled: 1-line block ×7, first 2 shown]
	buffer_store_dword v25, off, s[0:3], 0
	buffer_store_dword v26, off, s[0:3], 0 offset:4
	buffer_store_dword v27, off, s[0:3], 0 offset:8
	;; [unrolled: 1-line block ×8, first 2 shown]
	s_and_saveexec_b64 s[14:15], vcc
	s_cbranch_execz .LBB2187_401
; %bb.394:
	v_mov_b32_e32 v23, 0
	s_mov_b32 s16, 0
	v_cmp_eq_u16_sdwa s[20:21], v22, v23 src0_sel:BYTE_0 src1_sel:DWORD
	s_and_saveexec_b64 s[4:5], s[20:21]
	s_cbranch_execz .LBB2187_400
; %bb.395:
	v_mov_b32_e32 v8, 0x114
.LBB2187_396:                           ; =>This Inner Loop Header: Depth=1
	v_add_u32_e32 v9, s16, v8
	s_add_i32 s16, s16, 8
	s_cmp_lg_u32 s16, 32
	buffer_store_dword v23, v9, s[0:3], 0 offen offset:4
	buffer_store_dword v23, v9, s[0:3], 0 offen
	s_cbranch_scc1 .LBB2187_396
; %bb.397:
	s_mov_b32 s16, 0
	v_mov_b32_e32 v8, 0
	v_mov_b32_e32 v9, 0x60
	;; [unrolled: 1-line block ×3, first 2 shown]
.LBB2187_398:                           ; =>This Inner Loop Header: Depth=1
	v_add_u32_e32 v13, s16, v8
	v_add_u32_e32 v14, s16, v9
	buffer_load_dword v15, v13, s[0:3], 0 offen offset:4
	buffer_load_dword v16, v14, s[0:3], 0 offen
	buffer_load_dword v17, v13, s[0:3], 0 offen
	buffer_load_dword v23, v14, s[0:3], 0 offen offset:4
	v_add_u32_e32 v13, s16, v12
	s_add_i32 s16, s16, 8
	s_cmp_lg_u32 s16, 32
	s_waitcnt vmcnt(1)
	v_add_u32_e32 v14, v16, v17
	s_waitcnt vmcnt(0)
	v_add_u32_e32 v15, v23, v15
	buffer_store_dword v15, v13, s[0:3], 0 offen offset:4
	buffer_store_dword v14, v13, s[0:3], 0 offen
	s_cbranch_scc1 .LBB2187_398
; %bb.399:
	buffer_load_dword v16, off, s[0:3], 0 offset:276
	buffer_load_dword v17, off, s[0:3], 0 offset:280
	;; [unrolled: 1-line block ×8, first 2 shown]
.LBB2187_400:
	s_or_b64 exec, exec, s[4:5]
	v_and_b32_e32 v22, 1, v22
	v_cmp_eq_u32_e32 vcc, 1, v22
	v_and_b32_e32 v22, 1, v24
	v_cmp_eq_u32_e64 s[4:5], 1, v22
	s_or_b64 s[4:5], vcc, s[4:5]
	v_cndmask_b32_e64 v22, 0, 1, s[4:5]
	s_waitcnt vmcnt(6)
	buffer_store_dword v17, off, s[0:3], 0 offset:100
	buffer_store_dword v16, off, s[0:3], 0 offset:96
	s_waitcnt vmcnt(6)
	buffer_store_dword v15, off, s[0:3], 0 offset:108
	buffer_store_dword v14, off, s[0:3], 0 offset:104
	;; [unrolled: 3-line block ×4, first 2 shown]
.LBB2187_401:
	s_or_b64 exec, exec, s[14:15]
	buffer_load_dword v8, off, s[0:3], 0 offset:96
	buffer_load_dword v9, off, s[0:3], 0 offset:100
	;; [unrolled: 1-line block ×8, first 2 shown]
	s_waitcnt vmcnt(4)
	ds_write2_b32 v20, v12, v13 offset0:2 offset1:3
	ds_write2_b32 v20, v8, v9 offset1:1
	s_waitcnt vmcnt(2)
	ds_write2_b32 v20, v14, v15 offset0:6 offset1:7
	s_waitcnt vmcnt(0)
	ds_write2_b32 v20, v16, v17 offset0:4 offset1:5
	ds_write_b8 v20, v22 offset:32
.LBB2187_402:
	s_or_b64 exec, exec, s[12:13]
	s_waitcnt lgkmcnt(0)
	s_barrier
	buffer_load_dword v8, off, s[0:3], 0 offset:144
	buffer_load_dword v9, off, s[0:3], 0 offset:140
	;; [unrolled: 1-line block ×9, first 2 shown]
	v_cmp_lt_u32_e32 vcc, 63, v10
	s_waitcnt vmcnt(8)
	buffer_store_dword v8, off, s[0:3], 0 offset:12
	s_waitcnt vmcnt(8)
	buffer_store_dword v9, off, s[0:3], 0 offset:8
	;; [unrolled: 2-line block ×3, first 2 shown]
	s_waitcnt vmcnt(8)
	buffer_store_dword v13, off, s[0:3], 0
	s_waitcnt vmcnt(8)
	buffer_store_dword v14, off, s[0:3], 0 offset:28
	s_waitcnt vmcnt(8)
	buffer_store_dword v15, off, s[0:3], 0 offset:24
	;; [unrolled: 2-line block ×5, first 2 shown]
	s_and_saveexec_b64 s[4:5], vcc
	s_cbranch_execz .LBB2187_412
; %bb.403:
	v_not_b32_e32 v8, 35
	v_mad_u32_u24 v21, v21, 36, v8
	ds_read_u8 v20, v21 offset:32
                                        ; implicit-def: $vgpr8_vgpr9
                                        ; implicit-def: $vgpr12_vgpr13
                                        ; implicit-def: $vgpr14_vgpr15
                                        ; implicit-def: $vgpr16_vgpr17
	s_waitcnt lgkmcnt(0)
	v_cmp_ne_u16_e32 vcc, 0, v20
	s_and_saveexec_b64 s[12:13], vcc
	s_xor_b64 s[12:13], exec, s[12:13]
	s_cbranch_execz .LBB2187_405
; %bb.404:
	ds_read2_b32 v[16:17], v21 offset1:1
	ds_read2_b32 v[14:15], v21 offset0:2 offset1:3
	ds_read2_b32 v[12:13], v21 offset0:4 offset1:5
	;; [unrolled: 1-line block ×3, first 2 shown]
                                        ; implicit-def: $vgpr21
.LBB2187_405:
	s_andn2_saveexec_b64 s[12:13], s[12:13]
	s_cbranch_execz .LBB2187_411
; %bb.406:
	s_mov_b32 s14, 0
	s_waitcnt lgkmcnt(0)
	v_mov_b32_e32 v8, 0x60
	v_mov_b32_e32 v9, 0
.LBB2187_407:                           ; =>This Inner Loop Header: Depth=1
	v_add_u32_e32 v12, s14, v8
	s_add_i32 s14, s14, 8
	s_cmp_lg_u32 s14, 32
	buffer_store_dword v9, v12, s[0:3], 0 offen offset:4
	buffer_store_dword v9, v12, s[0:3], 0 offen
	s_cbranch_scc1 .LBB2187_407
; %bb.408:
	s_mov_b32 s14, 0
	v_mov_b32_e32 v8, 0x84
	v_mov_b32_e32 v9, 0x60
.LBB2187_409:                           ; =>This Inner Loop Header: Depth=1
	v_add_u32_e32 v12, s14, v8
	buffer_load_dword v14, v12, s[0:3], 0 offen
	buffer_load_dword v15, v12, s[0:3], 0 offen offset:4
	v_add_u32_e32 v12, s14, v21
	ds_read2_b32 v[12:13], v12 offset1:1
	v_add_u32_e32 v16, s14, v9
	s_add_i32 s14, s14, 8
	s_cmp_lg_u32 s14, 32
	s_waitcnt vmcnt(1) lgkmcnt(0)
	v_add_u32_e32 v12, v12, v14
	s_waitcnt vmcnt(0)
	v_add_u32_e32 v13, v13, v15
	buffer_store_dword v13, v16, s[0:3], 0 offen offset:4
	buffer_store_dword v12, v16, s[0:3], 0 offen
	s_cbranch_scc1 .LBB2187_409
; %bb.410:
	buffer_load_dword v16, off, s[0:3], 0 offset:96
	buffer_load_dword v17, off, s[0:3], 0 offset:100
	buffer_load_dword v14, off, s[0:3], 0 offset:104
	buffer_load_dword v15, off, s[0:3], 0 offset:108
	buffer_load_dword v12, off, s[0:3], 0 offset:112
	buffer_load_dword v13, off, s[0:3], 0 offset:116
	buffer_load_dword v8, off, s[0:3], 0 offset:120
	buffer_load_dword v9, off, s[0:3], 0 offset:124
.LBB2187_411:
	s_or_b64 exec, exec, s[12:13]
	buffer_load_ubyte v21, off, s[0:3], 0 offset:164
	s_waitcnt vmcnt(7) lgkmcnt(3)
	buffer_store_dword v17, off, s[0:3], 0 offset:4
	buffer_store_dword v16, off, s[0:3], 0
	s_waitcnt vmcnt(7) lgkmcnt(2)
	buffer_store_dword v15, off, s[0:3], 0 offset:12
	buffer_store_dword v14, off, s[0:3], 0 offset:8
	s_waitcnt vmcnt(7) lgkmcnt(1)
	buffer_store_dword v13, off, s[0:3], 0 offset:20
	buffer_store_dword v12, off, s[0:3], 0 offset:16
	s_waitcnt vmcnt(7) lgkmcnt(0)
	buffer_store_dword v9, off, s[0:3], 0 offset:28
	s_waitcnt vmcnt(7)
	v_or_b32_e32 v9, v20, v21
	v_and_b32_e32 v9, 1, v9
	buffer_store_dword v8, off, s[0:3], 0 offset:24
	buffer_store_byte v9, off, s[0:3], 0 offset:32
.LBB2187_412:
	s_or_b64 exec, exec, s[4:5]
	buffer_load_ubyte v16, off, s[0:3], 0 offset:200
                                        ; implicit-def: $vgpr8_vgpr9
                                        ; implicit-def: $vgpr12_vgpr13
                                        ; implicit-def: $vgpr14_vgpr15
                                        ; implicit-def: $vgpr20
                                        ; implicit-def: $vgpr17
	s_waitcnt vmcnt(0)
	v_cmp_ne_u16_e32 vcc, 0, v16
	s_and_saveexec_b64 s[4:5], vcc
	s_xor_b64 s[4:5], exec, s[4:5]
	s_cbranch_execz .LBB2187_414
; %bb.413:
	buffer_load_dword v17, off, s[0:3], 0 offset:168
	buffer_load_dword v8, off, s[0:3], 0 offset:172
	;; [unrolled: 1-line block ×8, first 2 shown]
.LBB2187_414:
	s_andn2_saveexec_b64 s[4:5], s[4:5]
	s_cbranch_execz .LBB2187_420
; %bb.415:
	s_mov_b32 s12, 0
	s_waitcnt vmcnt(6)
	v_mov_b32_e32 v8, 0x60
	s_waitcnt vmcnt(5)
	v_mov_b32_e32 v9, 0
	s_waitcnt vmcnt(0)
.LBB2187_416:                           ; =>This Inner Loop Header: Depth=1
	v_add_u32_e32 v12, s12, v8
	s_add_i32 s12, s12, 8
	s_cmp_lg_u32 s12, 32
	buffer_store_dword v9, v12, s[0:3], 0 offen offset:4
	buffer_store_dword v9, v12, s[0:3], 0 offen
	s_cbranch_scc1 .LBB2187_416
; %bb.417:
	s_mov_b32 s12, 0
	v_mov_b32_e32 v8, 0
	v_mov_b32_e32 v9, 0xa8
	;; [unrolled: 1-line block ×3, first 2 shown]
.LBB2187_418:                           ; =>This Inner Loop Header: Depth=1
	v_add_u32_e32 v13, s12, v8
	v_add_u32_e32 v14, s12, v9
	buffer_load_dword v15, v13, s[0:3], 0 offen offset:4
	buffer_load_dword v17, v14, s[0:3], 0 offen
	buffer_load_dword v20, v13, s[0:3], 0 offen
	buffer_load_dword v21, v14, s[0:3], 0 offen offset:4
	v_add_u32_e32 v13, s12, v12
	s_add_i32 s12, s12, 8
	s_cmp_lg_u32 s12, 32
	s_waitcnt vmcnt(1)
	v_add_u32_e32 v14, v17, v20
	s_waitcnt vmcnt(0)
	v_add_u32_e32 v15, v21, v15
	buffer_store_dword v15, v13, s[0:3], 0 offen offset:4
	buffer_store_dword v14, v13, s[0:3], 0 offen
	s_cbranch_scc1 .LBB2187_418
; %bb.419:
	buffer_load_dword v17, off, s[0:3], 0 offset:96
	buffer_load_dword v8, off, s[0:3], 0 offset:100
	;; [unrolled: 1-line block ×8, first 2 shown]
.LBB2187_420:
	s_or_b64 exec, exec, s[4:5]
	buffer_load_ubyte v21, off, s[0:3], 0 offset:32
	v_add_u32_e32 v22, -1, v11
	v_and_b32_e32 v23, 64, v11
	v_cmp_lt_i32_e32 vcc, v22, v23
	v_cndmask_b32_e32 v22, v22, v11, vcc
	v_lshlrev_b32_e32 v22, 2, v22
	s_waitcnt vmcnt(8)
	ds_bpermute_b32 v17, v22, v17
	s_waitcnt vmcnt(7)
	ds_bpermute_b32 v8, v22, v8
	;; [unrolled: 2-line block ×8, first 2 shown]
	v_cmp_eq_u32_e32 vcc, 0, v11
	s_waitcnt vmcnt(0)
	v_or_b32_e32 v16, v16, v21
	v_and_b32_e32 v16, 1, v16
	buffer_store_byte v16, off, s[0:3], 0 offset:200
	buffer_load_dword v16, off, s[0:3], 0 offset:200
	s_waitcnt lgkmcnt(7)
	buffer_store_dword v17, off, s[0:3], 0 offset:168
	s_waitcnt lgkmcnt(6)
	buffer_store_dword v8, off, s[0:3], 0 offset:172
	;; [unrolled: 2-line block ×8, first 2 shown]
	s_waitcnt vmcnt(8)
	ds_bpermute_b32 v9, v22, v16
	s_and_saveexec_b64 s[4:5], vcc
	s_cbranch_execz .LBB2187_422
; %bb.421:
	buffer_load_dword v8, off, s[0:3], 0 offset:12
	s_waitcnt lgkmcnt(0)
	buffer_load_dword v9, off, s[0:3], 0 offset:8
	buffer_load_dword v11, off, s[0:3], 0 offset:4
	buffer_load_dword v12, off, s[0:3], 0
	buffer_load_dword v13, off, s[0:3], 0 offset:28
	buffer_load_dword v14, off, s[0:3], 0 offset:24
	;; [unrolled: 1-line block ×4, first 2 shown]
	s_waitcnt vmcnt(7)
	buffer_store_dword v8, off, s[0:3], 0 offset:180
	s_waitcnt vmcnt(7)
	buffer_store_dword v9, off, s[0:3], 0 offset:176
	;; [unrolled: 2-line block ×8, first 2 shown]
	v_mov_b32_e32 v9, v21
.LBB2187_422:
	s_or_b64 exec, exec, s[4:5]
	buffer_load_dword v11, off, s[0:3], 0 offset:332
	buffer_load_dword v12, off, s[0:3], 0 offset:328
	;; [unrolled: 1-line block ×9, first 2 shown]
	v_mov_b32_e32 v8, 0
	buffer_store_dword v5, off, s[0:3], 0 offset:100
	buffer_store_dword v4, off, s[0:3], 0 offset:96
	;; [unrolled: 1-line block ×8, first 2 shown]
	s_waitcnt vmcnt(16)
	buffer_store_dword v11, off, s[0:3], 0 offset:12
	s_waitcnt vmcnt(16)
	buffer_store_dword v12, off, s[0:3], 0 offset:8
	;; [unrolled: 2-line block ×3, first 2 shown]
	s_waitcnt vmcnt(16)
	buffer_store_dword v14, off, s[0:3], 0
	s_waitcnt vmcnt(16)
	buffer_store_dword v15, off, s[0:3], 0 offset:28
	s_waitcnt vmcnt(16)
	buffer_store_dword v16, off, s[0:3], 0 offset:24
	;; [unrolled: 2-line block ×5, first 2 shown]
	buffer_store_byte v8, off, s[0:3], 0 offset:128
	s_and_saveexec_b64 s[4:5], s[8:9]
	s_cbranch_execz .LBB2187_424
; %bb.423:
	buffer_load_dword v0, off, s[0:3], 0 offset:180
	buffer_load_dword v1, off, s[0:3], 0 offset:176
	;; [unrolled: 1-line block ×8, first 2 shown]
	s_waitcnt lgkmcnt(0)
	v_mov_b32_e32 v8, v9
	s_waitcnt vmcnt(7)
	buffer_store_dword v0, off, s[0:3], 0 offset:108
	s_waitcnt vmcnt(7)
	buffer_store_dword v1, off, s[0:3], 0 offset:104
	;; [unrolled: 2-line block ×8, first 2 shown]
.LBB2187_424:
	s_or_b64 exec, exec, s[4:5]
	buffer_load_dword v0, off, s[0:3], 0 offset:108
	buffer_load_dword v1, off, s[0:3], 0 offset:104
	;; [unrolled: 1-line block ×8, first 2 shown]
	s_waitcnt lgkmcnt(0)
	buffer_load_ubyte v9, off, s[0:3], 0 offset:32
	s_nop 0
	buffer_store_byte v8, off, s[0:3], 0 offset:352
	s_waitcnt vmcnt(9)
	buffer_store_dword v0, off, s[0:3], 0 offset:332
	s_waitcnt vmcnt(9)
	buffer_store_dword v1, off, s[0:3], 0 offset:328
	;; [unrolled: 2-line block ×8, first 2 shown]
	s_waitcnt vmcnt(9)
	v_cmp_ne_u16_e32 vcc, 0, v9
                                        ; implicit-def: $vgpr6_vgpr7
                                        ; implicit-def: $vgpr4_vgpr5
                                        ; implicit-def: $vgpr2_vgpr3
                                        ; implicit-def: $vgpr0_vgpr1
	s_and_saveexec_b64 s[4:5], vcc
	s_xor_b64 s[4:5], exec, s[4:5]
	s_cbranch_execz .LBB2187_426
; %bb.425:
	buffer_load_dword v0, off, s[0:3], 0
	buffer_load_dword v1, off, s[0:3], 0 offset:4
	buffer_load_dword v2, off, s[0:3], 0 offset:8
	;; [unrolled: 1-line block ×7, first 2 shown]
.LBB2187_426:
	s_andn2_saveexec_b64 s[4:5], s[4:5]
	s_cbranch_execz .LBB2187_432
; %bb.427:
	s_mov_b32 s8, 0
	s_waitcnt vmcnt(7)
	v_mov_b32_e32 v0, 0x84
	s_waitcnt vmcnt(6)
	v_mov_b32_e32 v1, 0
	s_waitcnt vmcnt(0)
.LBB2187_428:                           ; =>This Inner Loop Header: Depth=1
	v_add_u32_e32 v2, s8, v0
	s_add_i32 s8, s8, 8
	s_cmp_lg_u32 s8, 32
	buffer_store_dword v1, v2, s[0:3], 0 offen offset:4
	buffer_store_dword v1, v2, s[0:3], 0 offen
	s_cbranch_scc1 .LBB2187_428
; %bb.429:
	s_mov_b32 s8, 0
	v_mov_b32_e32 v0, 0x60
	v_mov_b32_e32 v1, 0
	;; [unrolled: 1-line block ×3, first 2 shown]
.LBB2187_430:                           ; =>This Inner Loop Header: Depth=1
	v_add_u32_e32 v3, s8, v0
	v_add_u32_e32 v4, s8, v1
	buffer_load_dword v5, v3, s[0:3], 0 offen offset:4
	buffer_load_dword v6, v4, s[0:3], 0 offen
	buffer_load_dword v7, v3, s[0:3], 0 offen
	buffer_load_dword v11, v4, s[0:3], 0 offen offset:4
	v_add_u32_e32 v3, s8, v2
	s_add_i32 s8, s8, 8
	s_cmp_lg_u32 s8, 32
	s_waitcnt vmcnt(1)
	v_add_u32_e32 v4, v6, v7
	s_waitcnt vmcnt(0)
	v_add_u32_e32 v5, v11, v5
	buffer_store_dword v5, v3, s[0:3], 0 offen offset:4
	buffer_store_dword v4, v3, s[0:3], 0 offen
	s_cbranch_scc1 .LBB2187_430
; %bb.431:
	buffer_load_dword v0, off, s[0:3], 0 offset:132
	buffer_load_dword v1, off, s[0:3], 0 offset:136
	;; [unrolled: 1-line block ×8, first 2 shown]
.LBB2187_432:
	s_or_b64 exec, exec, s[4:5]
	buffer_load_dword v12, v18, s[0:3], 0 offen offset:12
	buffer_load_dword v13, v18, s[0:3], 0 offen offset:8
	;; [unrolled: 1-line block ×3, first 2 shown]
	buffer_load_dword v15, v18, s[0:3], 0 offen
	buffer_load_dword v16, v18, s[0:3], 0 offen offset:28
	buffer_load_dword v17, v18, s[0:3], 0 offen offset:24
	;; [unrolled: 1-line block ×4, first 2 shown]
	buffer_load_ubyte v11, off, s[0:3], 0 offset:388
	v_or_b32_e32 v8, v9, v8
	s_waitcnt vmcnt(15)
	buffer_store_dword v1, off, s[0:3], 0 offset:100
	buffer_store_dword v0, off, s[0:3], 0 offset:96
	s_waitcnt vmcnt(15)
	buffer_store_dword v3, off, s[0:3], 0 offset:108
	buffer_store_dword v2, off, s[0:3], 0 offset:104
	;; [unrolled: 3-line block ×4, first 2 shown]
	buffer_store_dword v0, v18, s[0:3], 0 offen
	buffer_store_dword v1, v18, s[0:3], 0 offen offset:4
	buffer_store_dword v2, v18, s[0:3], 0 offen offset:8
	;; [unrolled: 1-line block ×7, first 2 shown]
	v_and_b32_e32 v0, 1, v8
	v_cmp_eq_u32_e32 vcc, 1, v0
                                        ; implicit-def: $vgpr2_vgpr3
                                        ; implicit-def: $vgpr6_vgpr7
                                        ; implicit-def: $vgpr4_vgpr5
	buffer_store_byte v0, off, s[0:3], 0 offset:388
	s_waitcnt vmcnt(25)
	buffer_store_dword v12, off, s[0:3], 0 offset:12
	s_waitcnt vmcnt(25)
	buffer_store_dword v13, off, s[0:3], 0 offset:8
	;; [unrolled: 2-line block ×3, first 2 shown]
	s_waitcnt vmcnt(25)
	buffer_store_dword v15, off, s[0:3], 0
	s_waitcnt vmcnt(25)
	buffer_store_dword v16, off, s[0:3], 0 offset:28
	s_waitcnt vmcnt(25)
	buffer_store_dword v17, off, s[0:3], 0 offset:24
	s_waitcnt vmcnt(25)
	buffer_store_dword v20, off, s[0:3], 0 offset:20
	s_waitcnt vmcnt(25)
	buffer_store_dword v21, off, s[0:3], 0 offset:16
	s_waitcnt vmcnt(25)
	v_cmp_ne_u16_e64 s[4:5], 0, v11
                                        ; implicit-def: $vgpr0_vgpr1
	s_and_saveexec_b64 s[8:9], s[4:5]
	s_xor_b64 s[4:5], exec, s[8:9]
	s_cbranch_execz .LBB2187_434
; %bb.433:
	buffer_load_dword v4, off, s[0:3], 0
	buffer_load_dword v5, off, s[0:3], 0 offset:4
	buffer_load_dword v6, off, s[0:3], 0 offset:8
	;; [unrolled: 1-line block ×7, first 2 shown]
.LBB2187_434:
	s_andn2_saveexec_b64 s[4:5], s[4:5]
	s_cbranch_execz .LBB2187_440
; %bb.435:
	s_mov_b32 s8, 0
	s_waitcnt vmcnt(3)
	v_mov_b32_e32 v0, 0x84
	s_waitcnt vmcnt(2)
	v_mov_b32_e32 v1, 0
	s_waitcnt vmcnt(0)
.LBB2187_436:                           ; =>This Inner Loop Header: Depth=1
	v_add_u32_e32 v2, s8, v0
	s_add_i32 s8, s8, 8
	s_cmp_lg_u32 s8, 32
	buffer_store_dword v1, v2, s[0:3], 0 offen offset:4
	buffer_store_dword v1, v2, s[0:3], 0 offen
	s_cbranch_scc1 .LBB2187_436
; %bb.437:
	s_mov_b32 s8, 0
	v_mov_b32_e32 v0, 0x60
	v_mov_b32_e32 v1, 0
	;; [unrolled: 1-line block ×3, first 2 shown]
.LBB2187_438:                           ; =>This Inner Loop Header: Depth=1
	v_add_u32_e32 v3, s8, v0
	v_add_u32_e32 v4, s8, v1
	buffer_load_dword v5, v3, s[0:3], 0 offen offset:4
	buffer_load_dword v6, v4, s[0:3], 0 offen
	buffer_load_dword v7, v3, s[0:3], 0 offen
	buffer_load_dword v8, v4, s[0:3], 0 offen offset:4
	v_add_u32_e32 v3, s8, v2
	s_add_i32 s8, s8, 8
	s_cmp_lg_u32 s8, 32
	s_waitcnt vmcnt(1)
	v_add_u32_e32 v4, v6, v7
	s_waitcnt vmcnt(0)
	v_add_u32_e32 v5, v8, v5
	buffer_store_dword v5, v3, s[0:3], 0 offen offset:4
	buffer_store_dword v4, v3, s[0:3], 0 offen
	s_cbranch_scc1 .LBB2187_438
; %bb.439:
	buffer_load_dword v4, off, s[0:3], 0 offset:132
	buffer_load_dword v5, off, s[0:3], 0 offset:136
	;; [unrolled: 1-line block ×8, first 2 shown]
.LBB2187_440:
	s_or_b64 exec, exec, s[4:5]
	v_and_b32_e32 v8, 1, v11
	s_waitcnt vmcnt(4)
	buffer_store_dword v7, v19, s[0:3], 0 offen offset:12
	buffer_store_dword v6, v19, s[0:3], 0 offen offset:8
	;; [unrolled: 1-line block ×3, first 2 shown]
	buffer_store_dword v4, v19, s[0:3], 0 offen
	s_waitcnt vmcnt(4)
	buffer_store_dword v3, v19, s[0:3], 0 offen offset:28
	v_mov_b32_e32 v3, 0
	v_cmp_eq_u32_e64 s[4:5], 1, v8
	ds_read2_b32 v[4:5], v3 offset0:27 offset1:28
	ds_read2_b32 v[6:7], v3 offset0:29 offset1:30
	;; [unrolled: 1-line block ×4, first 2 shown]
	s_or_b64 s[4:5], s[4:5], vcc
	v_cndmask_b32_e64 v11, 0, 1, s[4:5]
	buffer_store_dword v2, v19, s[0:3], 0 offen offset:24
	buffer_store_dword v1, v19, s[0:3], 0 offen offset:20
	;; [unrolled: 1-line block ×3, first 2 shown]
	buffer_store_byte v11, off, s[0:3], 0 offset:424
	s_waitcnt lgkmcnt(0)
	buffer_store_dword v13, off, s[0:3], 0 offset:268
	buffer_store_dword v12, off, s[0:3], 0 offset:264
	;; [unrolled: 1-line block ×4, first 2 shown]
	ds_read_u8 v8, v3 offset:140
	buffer_store_dword v7, off, s[0:3], 0 offset:252
	buffer_store_dword v6, off, s[0:3], 0 offset:248
	;; [unrolled: 1-line block ×4, first 2 shown]
	s_waitcnt lgkmcnt(0)
	v_cmp_ne_u16_e32 vcc, 0, v8
	s_cbranch_vccz .LBB2187_444
; %bb.441:
	buffer_load_dword v4, off, s[0:3], 0 offset:240
	buffer_load_dword v5, off, s[0:3], 0 offset:244
	;; [unrolled: 1-line block ×8, first 2 shown]
	s_cbranch_execz .LBB2187_445
	s_branch .LBB2187_450
.LBB2187_442:
	v_lshlrev_b64 v[12:13], 5, v[10:11]
	v_mov_b32_e32 v11, s55
	v_add_co_u32_e64 v16, s[14:15], s54, v12
	v_addc_co_u32_e64 v17, s[14:15], v11, v13, s[14:15]
	flat_load_dwordx4 v[12:15], v[16:17]
	flat_load_dwordx4 v[20:23], v[16:17] offset:16
                                        ; kill: killed $vgpr16 killed $vgpr17
	s_waitcnt vmcnt(0) lgkmcnt(0)
	buffer_store_dword v13, off, s[0:3], 0 offset:4
	buffer_store_dword v12, off, s[0:3], 0
	buffer_store_dword v15, off, s[0:3], 0 offset:12
	buffer_store_dword v14, off, s[0:3], 0 offset:8
	;; [unrolled: 1-line block ×6, first 2 shown]
	s_or_b64 exec, exec, s[16:17]
	s_and_saveexec_b64 s[14:15], s[12:13]
	s_cbranch_execz .LBB2187_29
.LBB2187_443:
	v_lshlrev_b32_e32 v7, 5, v7
	v_mov_b32_e32 v11, s55
	v_add_co_u32_e64 v16, s[12:13], s54, v7
	v_addc_co_u32_e64 v17, s[12:13], 0, v11, s[12:13]
	flat_load_dwordx4 v[12:15], v[16:17]
	flat_load_dwordx4 v[20:23], v[16:17] offset:16
                                        ; kill: killed $vgpr16 killed $vgpr17
	s_waitcnt vmcnt(0) lgkmcnt(0)
	buffer_store_dword v13, off, s[0:3], 0 offset:36
	buffer_store_dword v12, off, s[0:3], 0 offset:32
	;; [unrolled: 1-line block ×8, first 2 shown]
	s_or_b64 exec, exec, s[14:15]
	v_mul_u32_u24_e32 v7, 3, v10
	s_and_saveexec_b64 s[12:13], vcc
	s_cbranch_execnz .LBB2187_30
	s_branch .LBB2187_31
.LBB2187_444:
                                        ; implicit-def: $vgpr2_vgpr3
                                        ; implicit-def: $vgpr6_vgpr7
.LBB2187_445:
	s_mov_b32 s4, 0
	s_waitcnt vmcnt(3)
	v_mov_b32_e32 v0, 0
	s_waitcnt vmcnt(2)
	v_mov_b32_e32 v1, 0
	s_waitcnt vmcnt(0)
.LBB2187_446:                           ; =>This Inner Loop Header: Depth=1
	v_add_u32_e32 v2, s4, v0
	s_add_i32 s4, s4, 8
	s_cmp_lg_u32 s4, 32
	buffer_store_dword v1, v2, s[0:3], 0 offen offset:4
	buffer_store_dword v1, v2, s[0:3], 0 offen
	s_cbranch_scc1 .LBB2187_446
; %bb.447:
	s_mov_b32 s4, 0
	v_mov_b32_e32 v0, 0xcc
	v_mov_b32_e32 v1, 0xf0
	;; [unrolled: 1-line block ×3, first 2 shown]
.LBB2187_448:                           ; =>This Inner Loop Header: Depth=1
	v_add_u32_e32 v3, s4, v0
	v_add_u32_e32 v4, s4, v1
	buffer_load_dword v5, v3, s[0:3], 0 offen offset:4
	buffer_load_dword v6, v4, s[0:3], 0 offen
	buffer_load_dword v7, v3, s[0:3], 0 offen
	buffer_load_dword v9, v4, s[0:3], 0 offen offset:4
	v_add_u32_e32 v3, s4, v2
	s_add_i32 s4, s4, 8
	s_cmp_lg_u32 s4, 32
	s_waitcnt vmcnt(1)
	v_add_u32_e32 v4, v6, v7
	s_waitcnt vmcnt(0)
	v_add_u32_e32 v5, v9, v5
	buffer_store_dword v5, v3, s[0:3], 0 offen offset:4
	buffer_store_dword v4, v3, s[0:3], 0 offen
	s_cbranch_scc1 .LBB2187_448
; %bb.449:
	buffer_load_dword v4, off, s[0:3], 0
	buffer_load_dword v5, off, s[0:3], 0 offset:4
	buffer_load_dword v6, off, s[0:3], 0 offset:8
	;; [unrolled: 1-line block ×7, first 2 shown]
.LBB2187_450:
	buffer_load_ubyte v9, off, s[0:3], 0 offset:236
	s_waitcnt vmcnt(7)
	buffer_store_dword v5, off, s[0:3], 0 offset:244
	buffer_store_dword v4, off, s[0:3], 0 offset:240
	s_waitcnt vmcnt(7)
	buffer_store_dword v7, off, s[0:3], 0 offset:252
	buffer_store_dword v6, off, s[0:3], 0 offset:248
	;; [unrolled: 3-line block ×3, first 2 shown]
	s_waitcnt vmcnt(7)
	buffer_store_dword v3, off, s[0:3], 0 offset:268
	s_waitcnt vmcnt(7)
	v_or_b32_e32 v8, v8, v9
	v_and_b32_e32 v8, 1, v8
	buffer_store_dword v2, off, s[0:3], 0 offset:264
	buffer_store_byte v8, off, s[0:3], 0 offset:272
	s_and_saveexec_b64 s[4:5], s[10:11]
	s_cbranch_execz .LBB2187_452
; %bb.451:
	v_mov_b32_e32 v9, 0
	global_store_dwordx4 v9, v[4:7], s[22:23] offset:2304
	global_store_dwordx4 v9, v[0:3], s[22:23] offset:2320
	global_store_byte v9, v8, s[22:23] offset:2336
	v_mov_b32_e32 v0, 2
	s_waitcnt vmcnt(0)
	buffer_wbinvl1_vol
	global_store_byte v9, v0, s[24:25] offset:64
.LBB2187_452:
	s_or_b64 exec, exec, s[4:5]
.LBB2187_453:
	s_mov_b32 s4, 0
	v_mov_b32_e32 v0, 0
	v_mov_b32_e32 v1, 0
.LBB2187_454:                           ; =>This Inner Loop Header: Depth=1
	v_add_u32_e32 v2, s4, v0
	s_add_i32 s4, s4, 8
	s_cmp_lg_u32 s4, 32
	buffer_store_dword v1, v2, s[0:3], 0 offen offset:4
	buffer_store_dword v1, v2, s[0:3], 0 offen
	s_cbranch_scc1 .LBB2187_454
; %bb.455:
	s_mov_b32 s4, 32
	v_mov_b32_e32 v0, 0
	v_mov_b32_e32 v1, 0
.LBB2187_456:                           ; =>This Inner Loop Header: Depth=1
	v_add_u32_e32 v2, s4, v0
	s_add_i32 s4, s4, 8
	s_cmp_lg_u32 s4, 64
	buffer_store_dword v1, v2, s[0:3], 0 offen offset:4
	buffer_store_dword v1, v2, s[0:3], 0 offen
	s_cbranch_scc1 .LBB2187_456
; %bb.457:
	s_mov_b32 s4, 64
	v_mov_b32_e32 v0, 0
	v_mov_b32_e32 v1, 0
.LBB2187_458:                           ; =>This Inner Loop Header: Depth=1
	v_add_u32_e32 v2, s4, v0
	s_add_i32 s4, s4, 8
	s_cmpk_lg_i32 s4, 0x60
	buffer_store_dword v1, v2, s[0:3], 0 offen offset:4
	buffer_store_dword v1, v2, s[0:3], 0 offen
	s_cbranch_scc1 .LBB2187_458
; %bb.459:
	s_add_u32 s4, s18, s34
	s_addc_u32 s5, s19, s35
	v_mov_b32_e32 v0, 0
	s_add_u32 s8, s4, s44
	v_add_u32_e32 v2, 64, v0
	v_add_u32_e32 v3, 32, v0
	s_addc_u32 s9, s5, s45
	s_and_b64 vcc, exec, s[6:7]
	s_cbranch_vccz .LBB2187_469
; %bb.460:
	s_add_i32 s27, s27, s26
	v_mul_u32_u24_e32 v0, 3, v10
	v_cmp_gt_u32_e32 vcc, s27, v0
	s_and_saveexec_b64 s[4:5], vcc
	s_cbranch_execz .LBB2187_464
; %bb.461:
	buffer_load_dword v1, off, s[0:3], 0 offset:332
	buffer_load_dword v4, off, s[0:3], 0 offset:328
	;; [unrolled: 1-line block ×8, first 2 shown]
	v_add_u32_e32 v12, 1, v0
	v_cmp_gt_u32_e32 vcc, s27, v12
	s_waitcnt vmcnt(7)
	buffer_store_dword v1, off, s[0:3], 0 offset:12
	s_waitcnt vmcnt(7)
	buffer_store_dword v4, off, s[0:3], 0 offset:8
	;; [unrolled: 2-line block ×3, first 2 shown]
	s_waitcnt vmcnt(7)
	buffer_store_dword v6, off, s[0:3], 0
	s_waitcnt vmcnt(7)
	buffer_store_dword v7, off, s[0:3], 0 offset:28
	s_waitcnt vmcnt(7)
	buffer_store_dword v8, off, s[0:3], 0 offset:24
	;; [unrolled: 2-line block ×4, first 2 shown]
	s_and_b64 exec, exec, vcc
	s_cbranch_execz .LBB2187_464
; %bb.462:
	buffer_load_dword v1, v18, s[0:3], 0 offen offset:12
	buffer_load_dword v4, v18, s[0:3], 0 offen offset:8
	;; [unrolled: 1-line block ×3, first 2 shown]
	buffer_load_dword v6, v18, s[0:3], 0 offen
	buffer_load_dword v7, v18, s[0:3], 0 offen offset:28
	buffer_load_dword v8, v18, s[0:3], 0 offen offset:24
	;; [unrolled: 1-line block ×4, first 2 shown]
	v_add_u32_e32 v12, 2, v0
	v_cmp_gt_u32_e32 vcc, s27, v12
	s_waitcnt vmcnt(7)
	buffer_store_dword v1, v3, s[0:3], 0 offen offset:12
	s_waitcnt vmcnt(7)
	buffer_store_dword v4, v3, s[0:3], 0 offen offset:8
	s_waitcnt vmcnt(7)
	buffer_store_dword v5, v3, s[0:3], 0 offen offset:4
	s_waitcnt vmcnt(7)
	buffer_store_dword v6, v3, s[0:3], 0 offen
	s_waitcnt vmcnt(7)
	buffer_store_dword v7, v3, s[0:3], 0 offen offset:28
	s_waitcnt vmcnt(7)
	buffer_store_dword v8, v3, s[0:3], 0 offen offset:24
	;; [unrolled: 2-line block ×4, first 2 shown]
	s_and_b64 exec, exec, vcc
	s_cbranch_execz .LBB2187_464
; %bb.463:
	buffer_load_dword v1, v19, s[0:3], 0 offen offset:12
	buffer_load_dword v4, v19, s[0:3], 0 offen offset:8
	;; [unrolled: 1-line block ×3, first 2 shown]
	buffer_load_dword v6, v19, s[0:3], 0 offen
	buffer_load_dword v7, v19, s[0:3], 0 offen offset:28
	buffer_load_dword v8, v19, s[0:3], 0 offen offset:24
	;; [unrolled: 1-line block ×4, first 2 shown]
	s_waitcnt vmcnt(7)
	buffer_store_dword v1, v2, s[0:3], 0 offen offset:12
	s_waitcnt vmcnt(7)
	buffer_store_dword v4, v2, s[0:3], 0 offen offset:8
	;; [unrolled: 2-line block ×3, first 2 shown]
	s_waitcnt vmcnt(7)
	buffer_store_dword v6, v2, s[0:3], 0 offen
	s_waitcnt vmcnt(7)
	buffer_store_dword v7, v2, s[0:3], 0 offen offset:28
	s_waitcnt vmcnt(7)
	buffer_store_dword v8, v2, s[0:3], 0 offen offset:24
	;; [unrolled: 2-line block ×4, first 2 shown]
.LBB2187_464:
	s_or_b64 exec, exec, s[4:5]
	s_barrier
	buffer_load_dword v6, off, s[0:3], 0
	buffer_load_dword v7, off, s[0:3], 0 offset:4
	buffer_load_dword v8, off, s[0:3], 0 offset:8
	;; [unrolled: 1-line block ×7, first 2 shown]
	buffer_load_dword v20, v3, s[0:3], 0 offen
	buffer_load_dword v21, v3, s[0:3], 0 offen offset:4
	buffer_load_dword v22, v3, s[0:3], 0 offen offset:8
	;; [unrolled: 1-line block ×7, first 2 shown]
	buffer_load_dword v28, v2, s[0:3], 0 offen
	buffer_load_dword v29, v2, s[0:3], 0 offen offset:4
	buffer_load_dword v30, v2, s[0:3], 0 offen offset:8
	;; [unrolled: 1-line block ×7, first 2 shown]
	v_lshlrev_b32_e32 v0, 5, v0
	v_lshlrev_b32_e32 v1, 6, v10
	v_sub_u32_e32 v4, v0, v1
	v_lshlrev_b32_e32 v5, 5, v10
	v_mov_b32_e32 v16, s9
	v_mov_b32_e32 v11, 0
	s_waitcnt vmcnt(20)
	ds_write_b128 v0, v[6:9]
	s_waitcnt vmcnt(16)
	ds_write_b128 v0, v[12:15] offset:16
	s_waitcnt vmcnt(12)
	ds_write_b128 v0, v[20:23] offset:32
	;; [unrolled: 2-line block ×5, first 2 shown]
	s_waitcnt lgkmcnt(0)
	s_barrier
	ds_read_b128 v[6:9], v4 offset:8192
	ds_read_b128 v[12:15], v4 offset:8208
	;; [unrolled: 1-line block ×4, first 2 shown]
	v_add_co_u32_e32 v0, vcc, s8, v5
	v_addc_co_u32_e32 v1, vcc, 0, v16, vcc
	v_cmp_gt_u32_e32 vcc, s27, v10
	s_waitcnt lgkmcnt(3)
	buffer_store_dword v9, v3, s[0:3], 0 offen offset:12
	buffer_store_dword v8, v3, s[0:3], 0 offen offset:8
	;; [unrolled: 1-line block ×3, first 2 shown]
	buffer_store_dword v6, v3, s[0:3], 0 offen
	s_waitcnt lgkmcnt(2)
	buffer_store_dword v15, v3, s[0:3], 0 offen offset:28
	buffer_store_dword v14, v3, s[0:3], 0 offen offset:24
	;; [unrolled: 1-line block ×4, first 2 shown]
	s_waitcnt lgkmcnt(1)
	buffer_store_dword v23, v2, s[0:3], 0 offen offset:12
	buffer_store_dword v22, v2, s[0:3], 0 offen offset:8
	;; [unrolled: 1-line block ×3, first 2 shown]
	buffer_store_dword v20, v2, s[0:3], 0 offen
	s_waitcnt lgkmcnt(0)
	buffer_store_dword v27, v2, s[0:3], 0 offen offset:28
	buffer_store_dword v26, v2, s[0:3], 0 offen offset:24
	;; [unrolled: 1-line block ×4, first 2 shown]
	s_and_saveexec_b64 s[4:5], vcc
	s_cbranch_execz .LBB2187_466
; %bb.465:
	ds_read2_b32 v[6:7], v4 offset0:4 offset1:5
	ds_read2_b32 v[8:9], v4 offset0:6 offset1:7
	;; [unrolled: 1-line block ×3, first 2 shown]
	ds_read2_b32 v[12:13], v4 offset1:1
	s_waitcnt lgkmcnt(0)
	flat_store_dwordx4 v[0:1], v[12:15]
	flat_store_dwordx4 v[0:1], v[6:9] offset:16
.LBB2187_466:
	s_or_b64 exec, exec, s[4:5]
	v_or_b32_e32 v4, 0x100, v10
	v_cmp_gt_u32_e32 vcc, s27, v4
	s_and_saveexec_b64 s[6:7], vcc
	s_cbranch_execz .LBB2187_468
; %bb.467:
	buffer_load_dword v4, v3, s[0:3], 0 offen offset:16
	buffer_load_dword v5, v3, s[0:3], 0 offen offset:20
	;; [unrolled: 1-line block ×4, first 2 shown]
	buffer_load_dword v12, v3, s[0:3], 0 offen
	buffer_load_dword v13, v3, s[0:3], 0 offen offset:4
	buffer_load_dword v14, v3, s[0:3], 0 offen offset:8
	buffer_load_dword v15, v3, s[0:3], 0 offen offset:12
	v_add_co_u32_e32 v8, vcc, 0x2000, v0
	s_mov_b64 s[4:5], vcc
	v_addc_co_u32_e64 v9, s[4:5], 0, v1, s[4:5]
	s_waitcnt vmcnt(0)
	flat_store_dwordx4 v[8:9], v[4:7] offset:16
	v_addc_co_u32_e32 v9, vcc, 0, v1, vcc
	flat_store_dwordx4 v[8:9], v[12:15]
.LBB2187_468:
	s_or_b64 exec, exec, s[6:7]
	v_or_b32_e32 v0, 0x200, v10
	v_cmp_gt_u32_e64 s[6:7], s27, v0
	s_branch .LBB2187_471
.LBB2187_469:
	s_mov_b64 s[6:7], 0
	s_cbranch_execz .LBB2187_471
; %bb.470:
	buffer_load_dword v0, off, s[0:3], 0 offset:332
	buffer_load_dword v1, off, s[0:3], 0 offset:328
	;; [unrolled: 1-line block ×8, first 2 shown]
	buffer_load_dword v11, v18, s[0:3], 0 offen offset:12
	buffer_load_dword v12, v18, s[0:3], 0 offen offset:8
	buffer_load_dword v13, v18, s[0:3], 0 offen offset:4
	buffer_load_dword v14, v18, s[0:3], 0 offen
	buffer_load_dword v15, v18, s[0:3], 0 offen offset:28
	buffer_load_dword v16, v18, s[0:3], 0 offen offset:24
	;; [unrolled: 1-line block ×7, first 2 shown]
	buffer_load_dword v24, v19, s[0:3], 0 offen
	buffer_load_dword v25, v19, s[0:3], 0 offen offset:28
	buffer_load_dword v26, v19, s[0:3], 0 offen offset:24
	;; [unrolled: 1-line block ×3, first 2 shown]
                                        ; kill: killed $vgpr18
	buffer_load_dword v18, v19, s[0:3], 0 offen offset:16
	v_mul_u32_u24_e32 v34, 0x60, v10
	s_or_b64 s[6:7], s[6:7], exec
	s_waitcnt vmcnt(0)
	buffer_store_dword v0, off, s[0:3], 0 offset:12
	buffer_store_dword v1, off, s[0:3], 0 offset:8
	;; [unrolled: 1-line block ×3, first 2 shown]
	buffer_store_dword v5, off, s[0:3], 0
	buffer_store_dword v6, off, s[0:3], 0 offset:28
	buffer_store_dword v7, off, s[0:3], 0 offset:24
	;; [unrolled: 1-line block ×4, first 2 shown]
	buffer_store_dword v11, v3, s[0:3], 0 offen offset:12
	buffer_store_dword v12, v3, s[0:3], 0 offen offset:8
	;; [unrolled: 1-line block ×3, first 2 shown]
	buffer_store_dword v14, v3, s[0:3], 0 offen
	buffer_store_dword v15, v3, s[0:3], 0 offen offset:28
	buffer_store_dword v16, v3, s[0:3], 0 offen offset:24
	;; [unrolled: 1-line block ×7, first 2 shown]
	buffer_store_dword v24, v2, s[0:3], 0 offen
	buffer_store_dword v25, v2, s[0:3], 0 offen offset:28
	buffer_store_dword v26, v2, s[0:3], 0 offen offset:24
	;; [unrolled: 1-line block ×4, first 2 shown]
	s_waitcnt lgkmcnt(0)
	s_barrier
	buffer_load_dword v4, off, s[0:3], 0
	buffer_load_dword v5, off, s[0:3], 0 offset:4
	buffer_load_dword v6, off, s[0:3], 0 offset:8
	;; [unrolled: 1-line block ×7, first 2 shown]
	buffer_load_dword v16, v3, s[0:3], 0 offen
	buffer_load_dword v17, v3, s[0:3], 0 offen offset:4
	buffer_load_dword v18, v3, s[0:3], 0 offen offset:8
	;; [unrolled: 1-line block ×7, first 2 shown]
	buffer_load_dword v24, v2, s[0:3], 0 offen
	buffer_load_dword v25, v2, s[0:3], 0 offen offset:4
	buffer_load_dword v26, v2, s[0:3], 0 offen offset:8
	buffer_load_dword v27, v2, s[0:3], 0 offen offset:12
	buffer_load_dword v28, v2, s[0:3], 0 offen offset:16
	buffer_load_dword v29, v2, s[0:3], 0 offen offset:20
	buffer_load_dword v30, v2, s[0:3], 0 offen offset:24
	buffer_load_dword v31, v2, s[0:3], 0 offen offset:28
	v_lshlrev_b32_e32 v0, 6, v10
	v_sub_u32_e32 v35, v34, v0
	v_lshlrev_b32_e32 v1, 5, v10
	v_mov_b32_e32 v8, s9
	v_add_co_u32_e32 v0, vcc, s8, v1
	v_addc_co_u32_e32 v1, vcc, 0, v8, vcc
	v_mov_b32_e32 v11, 0
	v_add_co_u32_e32 v8, vcc, 0x2000, v0
	v_addc_co_u32_e64 v9, s[4:5], 0, v1, vcc
	v_addc_co_u32_e32 v33, vcc, 0, v1, vcc
	v_mov_b32_e32 v32, v8
	s_waitcnt vmcnt(20)
	ds_write_b128 v34, v[4:7]
	s_waitcnt vmcnt(16)
	ds_write_b128 v34, v[12:15] offset:16
	s_waitcnt vmcnt(12)
	ds_write_b128 v34, v[16:19] offset:32
	;; [unrolled: 2-line block ×5, first 2 shown]
	s_waitcnt lgkmcnt(0)
	s_barrier
	ds_read_b128 v[4:7], v35 offset:8192
	ds_read_b128 v[12:15], v35 offset:8208
	ds_read_b128 v[16:19], v35 offset:16384
	ds_read_b128 v[20:23], v35 offset:16400
	ds_read2_b32 v[24:25], v35 offset1:1
	ds_read2_b32 v[30:31], v35 offset0:6 offset1:7
	ds_read2_b32 v[28:29], v35 offset0:4 offset1:5
	;; [unrolled: 1-line block ×3, first 2 shown]
	s_waitcnt lgkmcnt(7)
	buffer_store_dword v7, v3, s[0:3], 0 offen offset:12
	buffer_store_dword v6, v3, s[0:3], 0 offen offset:8
	;; [unrolled: 1-line block ×3, first 2 shown]
	buffer_store_dword v4, v3, s[0:3], 0 offen
	s_waitcnt lgkmcnt(6)
	buffer_store_dword v15, v3, s[0:3], 0 offen offset:28
	buffer_store_dword v14, v3, s[0:3], 0 offen offset:24
	;; [unrolled: 1-line block ×4, first 2 shown]
	s_waitcnt lgkmcnt(5)
	buffer_store_dword v19, v2, s[0:3], 0 offen offset:12
	buffer_store_dword v18, v2, s[0:3], 0 offen offset:8
	;; [unrolled: 1-line block ×3, first 2 shown]
	buffer_store_dword v16, v2, s[0:3], 0 offen
	s_waitcnt lgkmcnt(4)
	buffer_store_dword v23, v2, s[0:3], 0 offen offset:28
	buffer_store_dword v22, v2, s[0:3], 0 offen offset:24
	;; [unrolled: 1-line block ×4, first 2 shown]
	s_waitcnt lgkmcnt(1)
	flat_store_dwordx4 v[0:1], v[28:31] offset:16
	s_waitcnt lgkmcnt(0)
	flat_store_dwordx4 v[0:1], v[24:27]
	flat_store_dwordx4 v[32:33], v[4:7]
	flat_store_dwordx4 v[8:9], v[12:15] offset:16
.LBB2187_471:
	s_and_saveexec_b64 s[4:5], s[6:7]
	s_cbranch_execnz .LBB2187_473
; %bb.472:
	s_endpgm
.LBB2187_473:
	buffer_load_dword v4, v2, s[0:3], 0 offen offset:16
	buffer_load_dword v5, v2, s[0:3], 0 offen offset:20
	;; [unrolled: 1-line block ×4, first 2 shown]
	buffer_load_dword v12, v2, s[0:3], 0 offen
	buffer_load_dword v13, v2, s[0:3], 0 offen offset:4
	buffer_load_dword v14, v2, s[0:3], 0 offen offset:8
	;; [unrolled: 1-line block ×3, first 2 shown]
	v_lshlrev_b64 v[0:1], 5, v[10:11]
	v_mov_b32_e32 v2, s9
	v_add_co_u32_e32 v0, vcc, s8, v0
	v_addc_co_u32_e32 v2, vcc, v2, v1, vcc
	v_add_co_u32_e32 v0, vcc, 0x4000, v0
	v_addc_co_u32_e64 v1, s[4:5], 0, v2, vcc
	s_waitcnt vmcnt(0)
	flat_store_dwordx4 v[0:1], v[4:7] offset:16
	v_addc_co_u32_e32 v1, vcc, 0, v2, vcc
	flat_store_dwordx4 v[0:1], v[12:15]
	s_endpgm
	.section	.rodata,"a",@progbits
	.p2align	6, 0x0
	.amdhsa_kernel _ZN7rocprim17ROCPRIM_400000_NS6detail17trampoline_kernelINS0_14default_configENS1_27scan_by_key_config_selectorIj11FixedVectorIiLj8EEEEZZNS1_16scan_by_key_implILNS1_25lookback_scan_determinismE0ELb1ES3_N6thrust23THRUST_200600_302600_NS6detail15normal_iteratorINSB_10device_ptrIjEEEENSD_INSE_IS6_EEEESI_S6_NSB_4plusIvEENSB_8equal_toIvEES6_EE10hipError_tPvRmT2_T3_T4_T5_mT6_T7_P12ihipStream_tbENKUlT_T0_E_clISt17integral_constantIbLb0EES12_IbLb1EEEEDaSY_SZ_EUlSY_E_NS1_11comp_targetILNS1_3genE4ELNS1_11target_archE910ELNS1_3gpuE8ELNS1_3repE0EEENS1_30default_config_static_selectorELNS0_4arch9wavefront6targetE1EEEvT1_
		.amdhsa_group_segment_fixed_size 32768
		.amdhsa_private_segment_fixed_size 432
		.amdhsa_kernarg_size 160
		.amdhsa_user_sgpr_count 10
		.amdhsa_user_sgpr_private_segment_buffer 1
		.amdhsa_user_sgpr_dispatch_ptr 1
		.amdhsa_user_sgpr_queue_ptr 0
		.amdhsa_user_sgpr_kernarg_segment_ptr 1
		.amdhsa_user_sgpr_dispatch_id 0
		.amdhsa_user_sgpr_flat_scratch_init 1
		.amdhsa_user_sgpr_kernarg_preload_length 0
		.amdhsa_user_sgpr_kernarg_preload_offset 0
		.amdhsa_user_sgpr_private_segment_size 0
		.amdhsa_uses_dynamic_stack 0
		.amdhsa_system_sgpr_private_segment_wavefront_offset 1
		.amdhsa_system_sgpr_workgroup_id_x 1
		.amdhsa_system_sgpr_workgroup_id_y 0
		.amdhsa_system_sgpr_workgroup_id_z 0
		.amdhsa_system_sgpr_workgroup_info 0
		.amdhsa_system_vgpr_workitem_id 2
		.amdhsa_next_free_vgpr 45
		.amdhsa_next_free_sgpr 57
		.amdhsa_accum_offset 48
		.amdhsa_reserve_vcc 1
		.amdhsa_reserve_flat_scratch 1
		.amdhsa_float_round_mode_32 0
		.amdhsa_float_round_mode_16_64 0
		.amdhsa_float_denorm_mode_32 3
		.amdhsa_float_denorm_mode_16_64 3
		.amdhsa_dx10_clamp 1
		.amdhsa_ieee_mode 1
		.amdhsa_fp16_overflow 0
		.amdhsa_tg_split 0
		.amdhsa_exception_fp_ieee_invalid_op 0
		.amdhsa_exception_fp_denorm_src 0
		.amdhsa_exception_fp_ieee_div_zero 0
		.amdhsa_exception_fp_ieee_overflow 0
		.amdhsa_exception_fp_ieee_underflow 0
		.amdhsa_exception_fp_ieee_inexact 0
		.amdhsa_exception_int_div_zero 0
	.end_amdhsa_kernel
	.section	.text._ZN7rocprim17ROCPRIM_400000_NS6detail17trampoline_kernelINS0_14default_configENS1_27scan_by_key_config_selectorIj11FixedVectorIiLj8EEEEZZNS1_16scan_by_key_implILNS1_25lookback_scan_determinismE0ELb1ES3_N6thrust23THRUST_200600_302600_NS6detail15normal_iteratorINSB_10device_ptrIjEEEENSD_INSE_IS6_EEEESI_S6_NSB_4plusIvEENSB_8equal_toIvEES6_EE10hipError_tPvRmT2_T3_T4_T5_mT6_T7_P12ihipStream_tbENKUlT_T0_E_clISt17integral_constantIbLb0EES12_IbLb1EEEEDaSY_SZ_EUlSY_E_NS1_11comp_targetILNS1_3genE4ELNS1_11target_archE910ELNS1_3gpuE8ELNS1_3repE0EEENS1_30default_config_static_selectorELNS0_4arch9wavefront6targetE1EEEvT1_,"axG",@progbits,_ZN7rocprim17ROCPRIM_400000_NS6detail17trampoline_kernelINS0_14default_configENS1_27scan_by_key_config_selectorIj11FixedVectorIiLj8EEEEZZNS1_16scan_by_key_implILNS1_25lookback_scan_determinismE0ELb1ES3_N6thrust23THRUST_200600_302600_NS6detail15normal_iteratorINSB_10device_ptrIjEEEENSD_INSE_IS6_EEEESI_S6_NSB_4plusIvEENSB_8equal_toIvEES6_EE10hipError_tPvRmT2_T3_T4_T5_mT6_T7_P12ihipStream_tbENKUlT_T0_E_clISt17integral_constantIbLb0EES12_IbLb1EEEEDaSY_SZ_EUlSY_E_NS1_11comp_targetILNS1_3genE4ELNS1_11target_archE910ELNS1_3gpuE8ELNS1_3repE0EEENS1_30default_config_static_selectorELNS0_4arch9wavefront6targetE1EEEvT1_,comdat
.Lfunc_end2187:
	.size	_ZN7rocprim17ROCPRIM_400000_NS6detail17trampoline_kernelINS0_14default_configENS1_27scan_by_key_config_selectorIj11FixedVectorIiLj8EEEEZZNS1_16scan_by_key_implILNS1_25lookback_scan_determinismE0ELb1ES3_N6thrust23THRUST_200600_302600_NS6detail15normal_iteratorINSB_10device_ptrIjEEEENSD_INSE_IS6_EEEESI_S6_NSB_4plusIvEENSB_8equal_toIvEES6_EE10hipError_tPvRmT2_T3_T4_T5_mT6_T7_P12ihipStream_tbENKUlT_T0_E_clISt17integral_constantIbLb0EES12_IbLb1EEEEDaSY_SZ_EUlSY_E_NS1_11comp_targetILNS1_3genE4ELNS1_11target_archE910ELNS1_3gpuE8ELNS1_3repE0EEENS1_30default_config_static_selectorELNS0_4arch9wavefront6targetE1EEEvT1_, .Lfunc_end2187-_ZN7rocprim17ROCPRIM_400000_NS6detail17trampoline_kernelINS0_14default_configENS1_27scan_by_key_config_selectorIj11FixedVectorIiLj8EEEEZZNS1_16scan_by_key_implILNS1_25lookback_scan_determinismE0ELb1ES3_N6thrust23THRUST_200600_302600_NS6detail15normal_iteratorINSB_10device_ptrIjEEEENSD_INSE_IS6_EEEESI_S6_NSB_4plusIvEENSB_8equal_toIvEES6_EE10hipError_tPvRmT2_T3_T4_T5_mT6_T7_P12ihipStream_tbENKUlT_T0_E_clISt17integral_constantIbLb0EES12_IbLb1EEEEDaSY_SZ_EUlSY_E_NS1_11comp_targetILNS1_3genE4ELNS1_11target_archE910ELNS1_3gpuE8ELNS1_3repE0EEENS1_30default_config_static_selectorELNS0_4arch9wavefront6targetE1EEEvT1_
                                        ; -- End function
	.section	.AMDGPU.csdata,"",@progbits
; Kernel info:
; codeLenInByte = 34688
; NumSgprs: 63
; NumVgprs: 45
; NumAgprs: 0
; TotalNumVgprs: 45
; ScratchSize: 432
; MemoryBound: 1
; FloatMode: 240
; IeeeMode: 1
; LDSByteSize: 32768 bytes/workgroup (compile time only)
; SGPRBlocks: 7
; VGPRBlocks: 5
; NumSGPRsForWavesPerEU: 63
; NumVGPRsForWavesPerEU: 45
; AccumOffset: 48
; Occupancy: 2
; WaveLimiterHint : 1
; COMPUTE_PGM_RSRC2:SCRATCH_EN: 1
; COMPUTE_PGM_RSRC2:USER_SGPR: 10
; COMPUTE_PGM_RSRC2:TRAP_HANDLER: 0
; COMPUTE_PGM_RSRC2:TGID_X_EN: 1
; COMPUTE_PGM_RSRC2:TGID_Y_EN: 0
; COMPUTE_PGM_RSRC2:TGID_Z_EN: 0
; COMPUTE_PGM_RSRC2:TIDIG_COMP_CNT: 2
; COMPUTE_PGM_RSRC3_GFX90A:ACCUM_OFFSET: 11
; COMPUTE_PGM_RSRC3_GFX90A:TG_SPLIT: 0
	.section	.text._ZN7rocprim17ROCPRIM_400000_NS6detail17trampoline_kernelINS0_14default_configENS1_27scan_by_key_config_selectorIj11FixedVectorIiLj8EEEEZZNS1_16scan_by_key_implILNS1_25lookback_scan_determinismE0ELb1ES3_N6thrust23THRUST_200600_302600_NS6detail15normal_iteratorINSB_10device_ptrIjEEEENSD_INSE_IS6_EEEESI_S6_NSB_4plusIvEENSB_8equal_toIvEES6_EE10hipError_tPvRmT2_T3_T4_T5_mT6_T7_P12ihipStream_tbENKUlT_T0_E_clISt17integral_constantIbLb0EES12_IbLb1EEEEDaSY_SZ_EUlSY_E_NS1_11comp_targetILNS1_3genE3ELNS1_11target_archE908ELNS1_3gpuE7ELNS1_3repE0EEENS1_30default_config_static_selectorELNS0_4arch9wavefront6targetE1EEEvT1_,"axG",@progbits,_ZN7rocprim17ROCPRIM_400000_NS6detail17trampoline_kernelINS0_14default_configENS1_27scan_by_key_config_selectorIj11FixedVectorIiLj8EEEEZZNS1_16scan_by_key_implILNS1_25lookback_scan_determinismE0ELb1ES3_N6thrust23THRUST_200600_302600_NS6detail15normal_iteratorINSB_10device_ptrIjEEEENSD_INSE_IS6_EEEESI_S6_NSB_4plusIvEENSB_8equal_toIvEES6_EE10hipError_tPvRmT2_T3_T4_T5_mT6_T7_P12ihipStream_tbENKUlT_T0_E_clISt17integral_constantIbLb0EES12_IbLb1EEEEDaSY_SZ_EUlSY_E_NS1_11comp_targetILNS1_3genE3ELNS1_11target_archE908ELNS1_3gpuE7ELNS1_3repE0EEENS1_30default_config_static_selectorELNS0_4arch9wavefront6targetE1EEEvT1_,comdat
	.protected	_ZN7rocprim17ROCPRIM_400000_NS6detail17trampoline_kernelINS0_14default_configENS1_27scan_by_key_config_selectorIj11FixedVectorIiLj8EEEEZZNS1_16scan_by_key_implILNS1_25lookback_scan_determinismE0ELb1ES3_N6thrust23THRUST_200600_302600_NS6detail15normal_iteratorINSB_10device_ptrIjEEEENSD_INSE_IS6_EEEESI_S6_NSB_4plusIvEENSB_8equal_toIvEES6_EE10hipError_tPvRmT2_T3_T4_T5_mT6_T7_P12ihipStream_tbENKUlT_T0_E_clISt17integral_constantIbLb0EES12_IbLb1EEEEDaSY_SZ_EUlSY_E_NS1_11comp_targetILNS1_3genE3ELNS1_11target_archE908ELNS1_3gpuE7ELNS1_3repE0EEENS1_30default_config_static_selectorELNS0_4arch9wavefront6targetE1EEEvT1_ ; -- Begin function _ZN7rocprim17ROCPRIM_400000_NS6detail17trampoline_kernelINS0_14default_configENS1_27scan_by_key_config_selectorIj11FixedVectorIiLj8EEEEZZNS1_16scan_by_key_implILNS1_25lookback_scan_determinismE0ELb1ES3_N6thrust23THRUST_200600_302600_NS6detail15normal_iteratorINSB_10device_ptrIjEEEENSD_INSE_IS6_EEEESI_S6_NSB_4plusIvEENSB_8equal_toIvEES6_EE10hipError_tPvRmT2_T3_T4_T5_mT6_T7_P12ihipStream_tbENKUlT_T0_E_clISt17integral_constantIbLb0EES12_IbLb1EEEEDaSY_SZ_EUlSY_E_NS1_11comp_targetILNS1_3genE3ELNS1_11target_archE908ELNS1_3gpuE7ELNS1_3repE0EEENS1_30default_config_static_selectorELNS0_4arch9wavefront6targetE1EEEvT1_
	.globl	_ZN7rocprim17ROCPRIM_400000_NS6detail17trampoline_kernelINS0_14default_configENS1_27scan_by_key_config_selectorIj11FixedVectorIiLj8EEEEZZNS1_16scan_by_key_implILNS1_25lookback_scan_determinismE0ELb1ES3_N6thrust23THRUST_200600_302600_NS6detail15normal_iteratorINSB_10device_ptrIjEEEENSD_INSE_IS6_EEEESI_S6_NSB_4plusIvEENSB_8equal_toIvEES6_EE10hipError_tPvRmT2_T3_T4_T5_mT6_T7_P12ihipStream_tbENKUlT_T0_E_clISt17integral_constantIbLb0EES12_IbLb1EEEEDaSY_SZ_EUlSY_E_NS1_11comp_targetILNS1_3genE3ELNS1_11target_archE908ELNS1_3gpuE7ELNS1_3repE0EEENS1_30default_config_static_selectorELNS0_4arch9wavefront6targetE1EEEvT1_
	.p2align	8
	.type	_ZN7rocprim17ROCPRIM_400000_NS6detail17trampoline_kernelINS0_14default_configENS1_27scan_by_key_config_selectorIj11FixedVectorIiLj8EEEEZZNS1_16scan_by_key_implILNS1_25lookback_scan_determinismE0ELb1ES3_N6thrust23THRUST_200600_302600_NS6detail15normal_iteratorINSB_10device_ptrIjEEEENSD_INSE_IS6_EEEESI_S6_NSB_4plusIvEENSB_8equal_toIvEES6_EE10hipError_tPvRmT2_T3_T4_T5_mT6_T7_P12ihipStream_tbENKUlT_T0_E_clISt17integral_constantIbLb0EES12_IbLb1EEEEDaSY_SZ_EUlSY_E_NS1_11comp_targetILNS1_3genE3ELNS1_11target_archE908ELNS1_3gpuE7ELNS1_3repE0EEENS1_30default_config_static_selectorELNS0_4arch9wavefront6targetE1EEEvT1_,@function
_ZN7rocprim17ROCPRIM_400000_NS6detail17trampoline_kernelINS0_14default_configENS1_27scan_by_key_config_selectorIj11FixedVectorIiLj8EEEEZZNS1_16scan_by_key_implILNS1_25lookback_scan_determinismE0ELb1ES3_N6thrust23THRUST_200600_302600_NS6detail15normal_iteratorINSB_10device_ptrIjEEEENSD_INSE_IS6_EEEESI_S6_NSB_4plusIvEENSB_8equal_toIvEES6_EE10hipError_tPvRmT2_T3_T4_T5_mT6_T7_P12ihipStream_tbENKUlT_T0_E_clISt17integral_constantIbLb0EES12_IbLb1EEEEDaSY_SZ_EUlSY_E_NS1_11comp_targetILNS1_3genE3ELNS1_11target_archE908ELNS1_3gpuE7ELNS1_3repE0EEENS1_30default_config_static_selectorELNS0_4arch9wavefront6targetE1EEEvT1_: ; @_ZN7rocprim17ROCPRIM_400000_NS6detail17trampoline_kernelINS0_14default_configENS1_27scan_by_key_config_selectorIj11FixedVectorIiLj8EEEEZZNS1_16scan_by_key_implILNS1_25lookback_scan_determinismE0ELb1ES3_N6thrust23THRUST_200600_302600_NS6detail15normal_iteratorINSB_10device_ptrIjEEEENSD_INSE_IS6_EEEESI_S6_NSB_4plusIvEENSB_8equal_toIvEES6_EE10hipError_tPvRmT2_T3_T4_T5_mT6_T7_P12ihipStream_tbENKUlT_T0_E_clISt17integral_constantIbLb0EES12_IbLb1EEEEDaSY_SZ_EUlSY_E_NS1_11comp_targetILNS1_3genE3ELNS1_11target_archE908ELNS1_3gpuE7ELNS1_3repE0EEENS1_30default_config_static_selectorELNS0_4arch9wavefront6targetE1EEEvT1_
; %bb.0:
	.section	.rodata,"a",@progbits
	.p2align	6, 0x0
	.amdhsa_kernel _ZN7rocprim17ROCPRIM_400000_NS6detail17trampoline_kernelINS0_14default_configENS1_27scan_by_key_config_selectorIj11FixedVectorIiLj8EEEEZZNS1_16scan_by_key_implILNS1_25lookback_scan_determinismE0ELb1ES3_N6thrust23THRUST_200600_302600_NS6detail15normal_iteratorINSB_10device_ptrIjEEEENSD_INSE_IS6_EEEESI_S6_NSB_4plusIvEENSB_8equal_toIvEES6_EE10hipError_tPvRmT2_T3_T4_T5_mT6_T7_P12ihipStream_tbENKUlT_T0_E_clISt17integral_constantIbLb0EES12_IbLb1EEEEDaSY_SZ_EUlSY_E_NS1_11comp_targetILNS1_3genE3ELNS1_11target_archE908ELNS1_3gpuE7ELNS1_3repE0EEENS1_30default_config_static_selectorELNS0_4arch9wavefront6targetE1EEEvT1_
		.amdhsa_group_segment_fixed_size 0
		.amdhsa_private_segment_fixed_size 0
		.amdhsa_kernarg_size 160
		.amdhsa_user_sgpr_count 6
		.amdhsa_user_sgpr_private_segment_buffer 1
		.amdhsa_user_sgpr_dispatch_ptr 0
		.amdhsa_user_sgpr_queue_ptr 0
		.amdhsa_user_sgpr_kernarg_segment_ptr 1
		.amdhsa_user_sgpr_dispatch_id 0
		.amdhsa_user_sgpr_flat_scratch_init 0
		.amdhsa_user_sgpr_kernarg_preload_length 0
		.amdhsa_user_sgpr_kernarg_preload_offset 0
		.amdhsa_user_sgpr_private_segment_size 0
		.amdhsa_uses_dynamic_stack 0
		.amdhsa_system_sgpr_private_segment_wavefront_offset 0
		.amdhsa_system_sgpr_workgroup_id_x 1
		.amdhsa_system_sgpr_workgroup_id_y 0
		.amdhsa_system_sgpr_workgroup_id_z 0
		.amdhsa_system_sgpr_workgroup_info 0
		.amdhsa_system_vgpr_workitem_id 0
		.amdhsa_next_free_vgpr 1
		.amdhsa_next_free_sgpr 0
		.amdhsa_accum_offset 4
		.amdhsa_reserve_vcc 0
		.amdhsa_reserve_flat_scratch 0
		.amdhsa_float_round_mode_32 0
		.amdhsa_float_round_mode_16_64 0
		.amdhsa_float_denorm_mode_32 3
		.amdhsa_float_denorm_mode_16_64 3
		.amdhsa_dx10_clamp 1
		.amdhsa_ieee_mode 1
		.amdhsa_fp16_overflow 0
		.amdhsa_tg_split 0
		.amdhsa_exception_fp_ieee_invalid_op 0
		.amdhsa_exception_fp_denorm_src 0
		.amdhsa_exception_fp_ieee_div_zero 0
		.amdhsa_exception_fp_ieee_overflow 0
		.amdhsa_exception_fp_ieee_underflow 0
		.amdhsa_exception_fp_ieee_inexact 0
		.amdhsa_exception_int_div_zero 0
	.end_amdhsa_kernel
	.section	.text._ZN7rocprim17ROCPRIM_400000_NS6detail17trampoline_kernelINS0_14default_configENS1_27scan_by_key_config_selectorIj11FixedVectorIiLj8EEEEZZNS1_16scan_by_key_implILNS1_25lookback_scan_determinismE0ELb1ES3_N6thrust23THRUST_200600_302600_NS6detail15normal_iteratorINSB_10device_ptrIjEEEENSD_INSE_IS6_EEEESI_S6_NSB_4plusIvEENSB_8equal_toIvEES6_EE10hipError_tPvRmT2_T3_T4_T5_mT6_T7_P12ihipStream_tbENKUlT_T0_E_clISt17integral_constantIbLb0EES12_IbLb1EEEEDaSY_SZ_EUlSY_E_NS1_11comp_targetILNS1_3genE3ELNS1_11target_archE908ELNS1_3gpuE7ELNS1_3repE0EEENS1_30default_config_static_selectorELNS0_4arch9wavefront6targetE1EEEvT1_,"axG",@progbits,_ZN7rocprim17ROCPRIM_400000_NS6detail17trampoline_kernelINS0_14default_configENS1_27scan_by_key_config_selectorIj11FixedVectorIiLj8EEEEZZNS1_16scan_by_key_implILNS1_25lookback_scan_determinismE0ELb1ES3_N6thrust23THRUST_200600_302600_NS6detail15normal_iteratorINSB_10device_ptrIjEEEENSD_INSE_IS6_EEEESI_S6_NSB_4plusIvEENSB_8equal_toIvEES6_EE10hipError_tPvRmT2_T3_T4_T5_mT6_T7_P12ihipStream_tbENKUlT_T0_E_clISt17integral_constantIbLb0EES12_IbLb1EEEEDaSY_SZ_EUlSY_E_NS1_11comp_targetILNS1_3genE3ELNS1_11target_archE908ELNS1_3gpuE7ELNS1_3repE0EEENS1_30default_config_static_selectorELNS0_4arch9wavefront6targetE1EEEvT1_,comdat
.Lfunc_end2188:
	.size	_ZN7rocprim17ROCPRIM_400000_NS6detail17trampoline_kernelINS0_14default_configENS1_27scan_by_key_config_selectorIj11FixedVectorIiLj8EEEEZZNS1_16scan_by_key_implILNS1_25lookback_scan_determinismE0ELb1ES3_N6thrust23THRUST_200600_302600_NS6detail15normal_iteratorINSB_10device_ptrIjEEEENSD_INSE_IS6_EEEESI_S6_NSB_4plusIvEENSB_8equal_toIvEES6_EE10hipError_tPvRmT2_T3_T4_T5_mT6_T7_P12ihipStream_tbENKUlT_T0_E_clISt17integral_constantIbLb0EES12_IbLb1EEEEDaSY_SZ_EUlSY_E_NS1_11comp_targetILNS1_3genE3ELNS1_11target_archE908ELNS1_3gpuE7ELNS1_3repE0EEENS1_30default_config_static_selectorELNS0_4arch9wavefront6targetE1EEEvT1_, .Lfunc_end2188-_ZN7rocprim17ROCPRIM_400000_NS6detail17trampoline_kernelINS0_14default_configENS1_27scan_by_key_config_selectorIj11FixedVectorIiLj8EEEEZZNS1_16scan_by_key_implILNS1_25lookback_scan_determinismE0ELb1ES3_N6thrust23THRUST_200600_302600_NS6detail15normal_iteratorINSB_10device_ptrIjEEEENSD_INSE_IS6_EEEESI_S6_NSB_4plusIvEENSB_8equal_toIvEES6_EE10hipError_tPvRmT2_T3_T4_T5_mT6_T7_P12ihipStream_tbENKUlT_T0_E_clISt17integral_constantIbLb0EES12_IbLb1EEEEDaSY_SZ_EUlSY_E_NS1_11comp_targetILNS1_3genE3ELNS1_11target_archE908ELNS1_3gpuE7ELNS1_3repE0EEENS1_30default_config_static_selectorELNS0_4arch9wavefront6targetE1EEEvT1_
                                        ; -- End function
	.section	.AMDGPU.csdata,"",@progbits
; Kernel info:
; codeLenInByte = 0
; NumSgprs: 4
; NumVgprs: 0
; NumAgprs: 0
; TotalNumVgprs: 0
; ScratchSize: 0
; MemoryBound: 0
; FloatMode: 240
; IeeeMode: 1
; LDSByteSize: 0 bytes/workgroup (compile time only)
; SGPRBlocks: 0
; VGPRBlocks: 0
; NumSGPRsForWavesPerEU: 4
; NumVGPRsForWavesPerEU: 1
; AccumOffset: 4
; Occupancy: 8
; WaveLimiterHint : 0
; COMPUTE_PGM_RSRC2:SCRATCH_EN: 0
; COMPUTE_PGM_RSRC2:USER_SGPR: 6
; COMPUTE_PGM_RSRC2:TRAP_HANDLER: 0
; COMPUTE_PGM_RSRC2:TGID_X_EN: 1
; COMPUTE_PGM_RSRC2:TGID_Y_EN: 0
; COMPUTE_PGM_RSRC2:TGID_Z_EN: 0
; COMPUTE_PGM_RSRC2:TIDIG_COMP_CNT: 0
; COMPUTE_PGM_RSRC3_GFX90A:ACCUM_OFFSET: 0
; COMPUTE_PGM_RSRC3_GFX90A:TG_SPLIT: 0
	.section	.text._ZN7rocprim17ROCPRIM_400000_NS6detail17trampoline_kernelINS0_14default_configENS1_27scan_by_key_config_selectorIj11FixedVectorIiLj8EEEEZZNS1_16scan_by_key_implILNS1_25lookback_scan_determinismE0ELb1ES3_N6thrust23THRUST_200600_302600_NS6detail15normal_iteratorINSB_10device_ptrIjEEEENSD_INSE_IS6_EEEESI_S6_NSB_4plusIvEENSB_8equal_toIvEES6_EE10hipError_tPvRmT2_T3_T4_T5_mT6_T7_P12ihipStream_tbENKUlT_T0_E_clISt17integral_constantIbLb0EES12_IbLb1EEEEDaSY_SZ_EUlSY_E_NS1_11comp_targetILNS1_3genE2ELNS1_11target_archE906ELNS1_3gpuE6ELNS1_3repE0EEENS1_30default_config_static_selectorELNS0_4arch9wavefront6targetE1EEEvT1_,"axG",@progbits,_ZN7rocprim17ROCPRIM_400000_NS6detail17trampoline_kernelINS0_14default_configENS1_27scan_by_key_config_selectorIj11FixedVectorIiLj8EEEEZZNS1_16scan_by_key_implILNS1_25lookback_scan_determinismE0ELb1ES3_N6thrust23THRUST_200600_302600_NS6detail15normal_iteratorINSB_10device_ptrIjEEEENSD_INSE_IS6_EEEESI_S6_NSB_4plusIvEENSB_8equal_toIvEES6_EE10hipError_tPvRmT2_T3_T4_T5_mT6_T7_P12ihipStream_tbENKUlT_T0_E_clISt17integral_constantIbLb0EES12_IbLb1EEEEDaSY_SZ_EUlSY_E_NS1_11comp_targetILNS1_3genE2ELNS1_11target_archE906ELNS1_3gpuE6ELNS1_3repE0EEENS1_30default_config_static_selectorELNS0_4arch9wavefront6targetE1EEEvT1_,comdat
	.protected	_ZN7rocprim17ROCPRIM_400000_NS6detail17trampoline_kernelINS0_14default_configENS1_27scan_by_key_config_selectorIj11FixedVectorIiLj8EEEEZZNS1_16scan_by_key_implILNS1_25lookback_scan_determinismE0ELb1ES3_N6thrust23THRUST_200600_302600_NS6detail15normal_iteratorINSB_10device_ptrIjEEEENSD_INSE_IS6_EEEESI_S6_NSB_4plusIvEENSB_8equal_toIvEES6_EE10hipError_tPvRmT2_T3_T4_T5_mT6_T7_P12ihipStream_tbENKUlT_T0_E_clISt17integral_constantIbLb0EES12_IbLb1EEEEDaSY_SZ_EUlSY_E_NS1_11comp_targetILNS1_3genE2ELNS1_11target_archE906ELNS1_3gpuE6ELNS1_3repE0EEENS1_30default_config_static_selectorELNS0_4arch9wavefront6targetE1EEEvT1_ ; -- Begin function _ZN7rocprim17ROCPRIM_400000_NS6detail17trampoline_kernelINS0_14default_configENS1_27scan_by_key_config_selectorIj11FixedVectorIiLj8EEEEZZNS1_16scan_by_key_implILNS1_25lookback_scan_determinismE0ELb1ES3_N6thrust23THRUST_200600_302600_NS6detail15normal_iteratorINSB_10device_ptrIjEEEENSD_INSE_IS6_EEEESI_S6_NSB_4plusIvEENSB_8equal_toIvEES6_EE10hipError_tPvRmT2_T3_T4_T5_mT6_T7_P12ihipStream_tbENKUlT_T0_E_clISt17integral_constantIbLb0EES12_IbLb1EEEEDaSY_SZ_EUlSY_E_NS1_11comp_targetILNS1_3genE2ELNS1_11target_archE906ELNS1_3gpuE6ELNS1_3repE0EEENS1_30default_config_static_selectorELNS0_4arch9wavefront6targetE1EEEvT1_
	.globl	_ZN7rocprim17ROCPRIM_400000_NS6detail17trampoline_kernelINS0_14default_configENS1_27scan_by_key_config_selectorIj11FixedVectorIiLj8EEEEZZNS1_16scan_by_key_implILNS1_25lookback_scan_determinismE0ELb1ES3_N6thrust23THRUST_200600_302600_NS6detail15normal_iteratorINSB_10device_ptrIjEEEENSD_INSE_IS6_EEEESI_S6_NSB_4plusIvEENSB_8equal_toIvEES6_EE10hipError_tPvRmT2_T3_T4_T5_mT6_T7_P12ihipStream_tbENKUlT_T0_E_clISt17integral_constantIbLb0EES12_IbLb1EEEEDaSY_SZ_EUlSY_E_NS1_11comp_targetILNS1_3genE2ELNS1_11target_archE906ELNS1_3gpuE6ELNS1_3repE0EEENS1_30default_config_static_selectorELNS0_4arch9wavefront6targetE1EEEvT1_
	.p2align	8
	.type	_ZN7rocprim17ROCPRIM_400000_NS6detail17trampoline_kernelINS0_14default_configENS1_27scan_by_key_config_selectorIj11FixedVectorIiLj8EEEEZZNS1_16scan_by_key_implILNS1_25lookback_scan_determinismE0ELb1ES3_N6thrust23THRUST_200600_302600_NS6detail15normal_iteratorINSB_10device_ptrIjEEEENSD_INSE_IS6_EEEESI_S6_NSB_4plusIvEENSB_8equal_toIvEES6_EE10hipError_tPvRmT2_T3_T4_T5_mT6_T7_P12ihipStream_tbENKUlT_T0_E_clISt17integral_constantIbLb0EES12_IbLb1EEEEDaSY_SZ_EUlSY_E_NS1_11comp_targetILNS1_3genE2ELNS1_11target_archE906ELNS1_3gpuE6ELNS1_3repE0EEENS1_30default_config_static_selectorELNS0_4arch9wavefront6targetE1EEEvT1_,@function
_ZN7rocprim17ROCPRIM_400000_NS6detail17trampoline_kernelINS0_14default_configENS1_27scan_by_key_config_selectorIj11FixedVectorIiLj8EEEEZZNS1_16scan_by_key_implILNS1_25lookback_scan_determinismE0ELb1ES3_N6thrust23THRUST_200600_302600_NS6detail15normal_iteratorINSB_10device_ptrIjEEEENSD_INSE_IS6_EEEESI_S6_NSB_4plusIvEENSB_8equal_toIvEES6_EE10hipError_tPvRmT2_T3_T4_T5_mT6_T7_P12ihipStream_tbENKUlT_T0_E_clISt17integral_constantIbLb0EES12_IbLb1EEEEDaSY_SZ_EUlSY_E_NS1_11comp_targetILNS1_3genE2ELNS1_11target_archE906ELNS1_3gpuE6ELNS1_3repE0EEENS1_30default_config_static_selectorELNS0_4arch9wavefront6targetE1EEEvT1_: ; @_ZN7rocprim17ROCPRIM_400000_NS6detail17trampoline_kernelINS0_14default_configENS1_27scan_by_key_config_selectorIj11FixedVectorIiLj8EEEEZZNS1_16scan_by_key_implILNS1_25lookback_scan_determinismE0ELb1ES3_N6thrust23THRUST_200600_302600_NS6detail15normal_iteratorINSB_10device_ptrIjEEEENSD_INSE_IS6_EEEESI_S6_NSB_4plusIvEENSB_8equal_toIvEES6_EE10hipError_tPvRmT2_T3_T4_T5_mT6_T7_P12ihipStream_tbENKUlT_T0_E_clISt17integral_constantIbLb0EES12_IbLb1EEEEDaSY_SZ_EUlSY_E_NS1_11comp_targetILNS1_3genE2ELNS1_11target_archE906ELNS1_3gpuE6ELNS1_3repE0EEENS1_30default_config_static_selectorELNS0_4arch9wavefront6targetE1EEEvT1_
; %bb.0:
	.section	.rodata,"a",@progbits
	.p2align	6, 0x0
	.amdhsa_kernel _ZN7rocprim17ROCPRIM_400000_NS6detail17trampoline_kernelINS0_14default_configENS1_27scan_by_key_config_selectorIj11FixedVectorIiLj8EEEEZZNS1_16scan_by_key_implILNS1_25lookback_scan_determinismE0ELb1ES3_N6thrust23THRUST_200600_302600_NS6detail15normal_iteratorINSB_10device_ptrIjEEEENSD_INSE_IS6_EEEESI_S6_NSB_4plusIvEENSB_8equal_toIvEES6_EE10hipError_tPvRmT2_T3_T4_T5_mT6_T7_P12ihipStream_tbENKUlT_T0_E_clISt17integral_constantIbLb0EES12_IbLb1EEEEDaSY_SZ_EUlSY_E_NS1_11comp_targetILNS1_3genE2ELNS1_11target_archE906ELNS1_3gpuE6ELNS1_3repE0EEENS1_30default_config_static_selectorELNS0_4arch9wavefront6targetE1EEEvT1_
		.amdhsa_group_segment_fixed_size 0
		.amdhsa_private_segment_fixed_size 0
		.amdhsa_kernarg_size 160
		.amdhsa_user_sgpr_count 6
		.amdhsa_user_sgpr_private_segment_buffer 1
		.amdhsa_user_sgpr_dispatch_ptr 0
		.amdhsa_user_sgpr_queue_ptr 0
		.amdhsa_user_sgpr_kernarg_segment_ptr 1
		.amdhsa_user_sgpr_dispatch_id 0
		.amdhsa_user_sgpr_flat_scratch_init 0
		.amdhsa_user_sgpr_kernarg_preload_length 0
		.amdhsa_user_sgpr_kernarg_preload_offset 0
		.amdhsa_user_sgpr_private_segment_size 0
		.amdhsa_uses_dynamic_stack 0
		.amdhsa_system_sgpr_private_segment_wavefront_offset 0
		.amdhsa_system_sgpr_workgroup_id_x 1
		.amdhsa_system_sgpr_workgroup_id_y 0
		.amdhsa_system_sgpr_workgroup_id_z 0
		.amdhsa_system_sgpr_workgroup_info 0
		.amdhsa_system_vgpr_workitem_id 0
		.amdhsa_next_free_vgpr 1
		.amdhsa_next_free_sgpr 0
		.amdhsa_accum_offset 4
		.amdhsa_reserve_vcc 0
		.amdhsa_reserve_flat_scratch 0
		.amdhsa_float_round_mode_32 0
		.amdhsa_float_round_mode_16_64 0
		.amdhsa_float_denorm_mode_32 3
		.amdhsa_float_denorm_mode_16_64 3
		.amdhsa_dx10_clamp 1
		.amdhsa_ieee_mode 1
		.amdhsa_fp16_overflow 0
		.amdhsa_tg_split 0
		.amdhsa_exception_fp_ieee_invalid_op 0
		.amdhsa_exception_fp_denorm_src 0
		.amdhsa_exception_fp_ieee_div_zero 0
		.amdhsa_exception_fp_ieee_overflow 0
		.amdhsa_exception_fp_ieee_underflow 0
		.amdhsa_exception_fp_ieee_inexact 0
		.amdhsa_exception_int_div_zero 0
	.end_amdhsa_kernel
	.section	.text._ZN7rocprim17ROCPRIM_400000_NS6detail17trampoline_kernelINS0_14default_configENS1_27scan_by_key_config_selectorIj11FixedVectorIiLj8EEEEZZNS1_16scan_by_key_implILNS1_25lookback_scan_determinismE0ELb1ES3_N6thrust23THRUST_200600_302600_NS6detail15normal_iteratorINSB_10device_ptrIjEEEENSD_INSE_IS6_EEEESI_S6_NSB_4plusIvEENSB_8equal_toIvEES6_EE10hipError_tPvRmT2_T3_T4_T5_mT6_T7_P12ihipStream_tbENKUlT_T0_E_clISt17integral_constantIbLb0EES12_IbLb1EEEEDaSY_SZ_EUlSY_E_NS1_11comp_targetILNS1_3genE2ELNS1_11target_archE906ELNS1_3gpuE6ELNS1_3repE0EEENS1_30default_config_static_selectorELNS0_4arch9wavefront6targetE1EEEvT1_,"axG",@progbits,_ZN7rocprim17ROCPRIM_400000_NS6detail17trampoline_kernelINS0_14default_configENS1_27scan_by_key_config_selectorIj11FixedVectorIiLj8EEEEZZNS1_16scan_by_key_implILNS1_25lookback_scan_determinismE0ELb1ES3_N6thrust23THRUST_200600_302600_NS6detail15normal_iteratorINSB_10device_ptrIjEEEENSD_INSE_IS6_EEEESI_S6_NSB_4plusIvEENSB_8equal_toIvEES6_EE10hipError_tPvRmT2_T3_T4_T5_mT6_T7_P12ihipStream_tbENKUlT_T0_E_clISt17integral_constantIbLb0EES12_IbLb1EEEEDaSY_SZ_EUlSY_E_NS1_11comp_targetILNS1_3genE2ELNS1_11target_archE906ELNS1_3gpuE6ELNS1_3repE0EEENS1_30default_config_static_selectorELNS0_4arch9wavefront6targetE1EEEvT1_,comdat
.Lfunc_end2189:
	.size	_ZN7rocprim17ROCPRIM_400000_NS6detail17trampoline_kernelINS0_14default_configENS1_27scan_by_key_config_selectorIj11FixedVectorIiLj8EEEEZZNS1_16scan_by_key_implILNS1_25lookback_scan_determinismE0ELb1ES3_N6thrust23THRUST_200600_302600_NS6detail15normal_iteratorINSB_10device_ptrIjEEEENSD_INSE_IS6_EEEESI_S6_NSB_4plusIvEENSB_8equal_toIvEES6_EE10hipError_tPvRmT2_T3_T4_T5_mT6_T7_P12ihipStream_tbENKUlT_T0_E_clISt17integral_constantIbLb0EES12_IbLb1EEEEDaSY_SZ_EUlSY_E_NS1_11comp_targetILNS1_3genE2ELNS1_11target_archE906ELNS1_3gpuE6ELNS1_3repE0EEENS1_30default_config_static_selectorELNS0_4arch9wavefront6targetE1EEEvT1_, .Lfunc_end2189-_ZN7rocprim17ROCPRIM_400000_NS6detail17trampoline_kernelINS0_14default_configENS1_27scan_by_key_config_selectorIj11FixedVectorIiLj8EEEEZZNS1_16scan_by_key_implILNS1_25lookback_scan_determinismE0ELb1ES3_N6thrust23THRUST_200600_302600_NS6detail15normal_iteratorINSB_10device_ptrIjEEEENSD_INSE_IS6_EEEESI_S6_NSB_4plusIvEENSB_8equal_toIvEES6_EE10hipError_tPvRmT2_T3_T4_T5_mT6_T7_P12ihipStream_tbENKUlT_T0_E_clISt17integral_constantIbLb0EES12_IbLb1EEEEDaSY_SZ_EUlSY_E_NS1_11comp_targetILNS1_3genE2ELNS1_11target_archE906ELNS1_3gpuE6ELNS1_3repE0EEENS1_30default_config_static_selectorELNS0_4arch9wavefront6targetE1EEEvT1_
                                        ; -- End function
	.section	.AMDGPU.csdata,"",@progbits
; Kernel info:
; codeLenInByte = 0
; NumSgprs: 4
; NumVgprs: 0
; NumAgprs: 0
; TotalNumVgprs: 0
; ScratchSize: 0
; MemoryBound: 0
; FloatMode: 240
; IeeeMode: 1
; LDSByteSize: 0 bytes/workgroup (compile time only)
; SGPRBlocks: 0
; VGPRBlocks: 0
; NumSGPRsForWavesPerEU: 4
; NumVGPRsForWavesPerEU: 1
; AccumOffset: 4
; Occupancy: 8
; WaveLimiterHint : 0
; COMPUTE_PGM_RSRC2:SCRATCH_EN: 0
; COMPUTE_PGM_RSRC2:USER_SGPR: 6
; COMPUTE_PGM_RSRC2:TRAP_HANDLER: 0
; COMPUTE_PGM_RSRC2:TGID_X_EN: 1
; COMPUTE_PGM_RSRC2:TGID_Y_EN: 0
; COMPUTE_PGM_RSRC2:TGID_Z_EN: 0
; COMPUTE_PGM_RSRC2:TIDIG_COMP_CNT: 0
; COMPUTE_PGM_RSRC3_GFX90A:ACCUM_OFFSET: 0
; COMPUTE_PGM_RSRC3_GFX90A:TG_SPLIT: 0
	.section	.text._ZN7rocprim17ROCPRIM_400000_NS6detail17trampoline_kernelINS0_14default_configENS1_27scan_by_key_config_selectorIj11FixedVectorIiLj8EEEEZZNS1_16scan_by_key_implILNS1_25lookback_scan_determinismE0ELb1ES3_N6thrust23THRUST_200600_302600_NS6detail15normal_iteratorINSB_10device_ptrIjEEEENSD_INSE_IS6_EEEESI_S6_NSB_4plusIvEENSB_8equal_toIvEES6_EE10hipError_tPvRmT2_T3_T4_T5_mT6_T7_P12ihipStream_tbENKUlT_T0_E_clISt17integral_constantIbLb0EES12_IbLb1EEEEDaSY_SZ_EUlSY_E_NS1_11comp_targetILNS1_3genE10ELNS1_11target_archE1200ELNS1_3gpuE4ELNS1_3repE0EEENS1_30default_config_static_selectorELNS0_4arch9wavefront6targetE1EEEvT1_,"axG",@progbits,_ZN7rocprim17ROCPRIM_400000_NS6detail17trampoline_kernelINS0_14default_configENS1_27scan_by_key_config_selectorIj11FixedVectorIiLj8EEEEZZNS1_16scan_by_key_implILNS1_25lookback_scan_determinismE0ELb1ES3_N6thrust23THRUST_200600_302600_NS6detail15normal_iteratorINSB_10device_ptrIjEEEENSD_INSE_IS6_EEEESI_S6_NSB_4plusIvEENSB_8equal_toIvEES6_EE10hipError_tPvRmT2_T3_T4_T5_mT6_T7_P12ihipStream_tbENKUlT_T0_E_clISt17integral_constantIbLb0EES12_IbLb1EEEEDaSY_SZ_EUlSY_E_NS1_11comp_targetILNS1_3genE10ELNS1_11target_archE1200ELNS1_3gpuE4ELNS1_3repE0EEENS1_30default_config_static_selectorELNS0_4arch9wavefront6targetE1EEEvT1_,comdat
	.protected	_ZN7rocprim17ROCPRIM_400000_NS6detail17trampoline_kernelINS0_14default_configENS1_27scan_by_key_config_selectorIj11FixedVectorIiLj8EEEEZZNS1_16scan_by_key_implILNS1_25lookback_scan_determinismE0ELb1ES3_N6thrust23THRUST_200600_302600_NS6detail15normal_iteratorINSB_10device_ptrIjEEEENSD_INSE_IS6_EEEESI_S6_NSB_4plusIvEENSB_8equal_toIvEES6_EE10hipError_tPvRmT2_T3_T4_T5_mT6_T7_P12ihipStream_tbENKUlT_T0_E_clISt17integral_constantIbLb0EES12_IbLb1EEEEDaSY_SZ_EUlSY_E_NS1_11comp_targetILNS1_3genE10ELNS1_11target_archE1200ELNS1_3gpuE4ELNS1_3repE0EEENS1_30default_config_static_selectorELNS0_4arch9wavefront6targetE1EEEvT1_ ; -- Begin function _ZN7rocprim17ROCPRIM_400000_NS6detail17trampoline_kernelINS0_14default_configENS1_27scan_by_key_config_selectorIj11FixedVectorIiLj8EEEEZZNS1_16scan_by_key_implILNS1_25lookback_scan_determinismE0ELb1ES3_N6thrust23THRUST_200600_302600_NS6detail15normal_iteratorINSB_10device_ptrIjEEEENSD_INSE_IS6_EEEESI_S6_NSB_4plusIvEENSB_8equal_toIvEES6_EE10hipError_tPvRmT2_T3_T4_T5_mT6_T7_P12ihipStream_tbENKUlT_T0_E_clISt17integral_constantIbLb0EES12_IbLb1EEEEDaSY_SZ_EUlSY_E_NS1_11comp_targetILNS1_3genE10ELNS1_11target_archE1200ELNS1_3gpuE4ELNS1_3repE0EEENS1_30default_config_static_selectorELNS0_4arch9wavefront6targetE1EEEvT1_
	.globl	_ZN7rocprim17ROCPRIM_400000_NS6detail17trampoline_kernelINS0_14default_configENS1_27scan_by_key_config_selectorIj11FixedVectorIiLj8EEEEZZNS1_16scan_by_key_implILNS1_25lookback_scan_determinismE0ELb1ES3_N6thrust23THRUST_200600_302600_NS6detail15normal_iteratorINSB_10device_ptrIjEEEENSD_INSE_IS6_EEEESI_S6_NSB_4plusIvEENSB_8equal_toIvEES6_EE10hipError_tPvRmT2_T3_T4_T5_mT6_T7_P12ihipStream_tbENKUlT_T0_E_clISt17integral_constantIbLb0EES12_IbLb1EEEEDaSY_SZ_EUlSY_E_NS1_11comp_targetILNS1_3genE10ELNS1_11target_archE1200ELNS1_3gpuE4ELNS1_3repE0EEENS1_30default_config_static_selectorELNS0_4arch9wavefront6targetE1EEEvT1_
	.p2align	8
	.type	_ZN7rocprim17ROCPRIM_400000_NS6detail17trampoline_kernelINS0_14default_configENS1_27scan_by_key_config_selectorIj11FixedVectorIiLj8EEEEZZNS1_16scan_by_key_implILNS1_25lookback_scan_determinismE0ELb1ES3_N6thrust23THRUST_200600_302600_NS6detail15normal_iteratorINSB_10device_ptrIjEEEENSD_INSE_IS6_EEEESI_S6_NSB_4plusIvEENSB_8equal_toIvEES6_EE10hipError_tPvRmT2_T3_T4_T5_mT6_T7_P12ihipStream_tbENKUlT_T0_E_clISt17integral_constantIbLb0EES12_IbLb1EEEEDaSY_SZ_EUlSY_E_NS1_11comp_targetILNS1_3genE10ELNS1_11target_archE1200ELNS1_3gpuE4ELNS1_3repE0EEENS1_30default_config_static_selectorELNS0_4arch9wavefront6targetE1EEEvT1_,@function
_ZN7rocprim17ROCPRIM_400000_NS6detail17trampoline_kernelINS0_14default_configENS1_27scan_by_key_config_selectorIj11FixedVectorIiLj8EEEEZZNS1_16scan_by_key_implILNS1_25lookback_scan_determinismE0ELb1ES3_N6thrust23THRUST_200600_302600_NS6detail15normal_iteratorINSB_10device_ptrIjEEEENSD_INSE_IS6_EEEESI_S6_NSB_4plusIvEENSB_8equal_toIvEES6_EE10hipError_tPvRmT2_T3_T4_T5_mT6_T7_P12ihipStream_tbENKUlT_T0_E_clISt17integral_constantIbLb0EES12_IbLb1EEEEDaSY_SZ_EUlSY_E_NS1_11comp_targetILNS1_3genE10ELNS1_11target_archE1200ELNS1_3gpuE4ELNS1_3repE0EEENS1_30default_config_static_selectorELNS0_4arch9wavefront6targetE1EEEvT1_: ; @_ZN7rocprim17ROCPRIM_400000_NS6detail17trampoline_kernelINS0_14default_configENS1_27scan_by_key_config_selectorIj11FixedVectorIiLj8EEEEZZNS1_16scan_by_key_implILNS1_25lookback_scan_determinismE0ELb1ES3_N6thrust23THRUST_200600_302600_NS6detail15normal_iteratorINSB_10device_ptrIjEEEENSD_INSE_IS6_EEEESI_S6_NSB_4plusIvEENSB_8equal_toIvEES6_EE10hipError_tPvRmT2_T3_T4_T5_mT6_T7_P12ihipStream_tbENKUlT_T0_E_clISt17integral_constantIbLb0EES12_IbLb1EEEEDaSY_SZ_EUlSY_E_NS1_11comp_targetILNS1_3genE10ELNS1_11target_archE1200ELNS1_3gpuE4ELNS1_3repE0EEENS1_30default_config_static_selectorELNS0_4arch9wavefront6targetE1EEEvT1_
; %bb.0:
	.section	.rodata,"a",@progbits
	.p2align	6, 0x0
	.amdhsa_kernel _ZN7rocprim17ROCPRIM_400000_NS6detail17trampoline_kernelINS0_14default_configENS1_27scan_by_key_config_selectorIj11FixedVectorIiLj8EEEEZZNS1_16scan_by_key_implILNS1_25lookback_scan_determinismE0ELb1ES3_N6thrust23THRUST_200600_302600_NS6detail15normal_iteratorINSB_10device_ptrIjEEEENSD_INSE_IS6_EEEESI_S6_NSB_4plusIvEENSB_8equal_toIvEES6_EE10hipError_tPvRmT2_T3_T4_T5_mT6_T7_P12ihipStream_tbENKUlT_T0_E_clISt17integral_constantIbLb0EES12_IbLb1EEEEDaSY_SZ_EUlSY_E_NS1_11comp_targetILNS1_3genE10ELNS1_11target_archE1200ELNS1_3gpuE4ELNS1_3repE0EEENS1_30default_config_static_selectorELNS0_4arch9wavefront6targetE1EEEvT1_
		.amdhsa_group_segment_fixed_size 0
		.amdhsa_private_segment_fixed_size 0
		.amdhsa_kernarg_size 160
		.amdhsa_user_sgpr_count 6
		.amdhsa_user_sgpr_private_segment_buffer 1
		.amdhsa_user_sgpr_dispatch_ptr 0
		.amdhsa_user_sgpr_queue_ptr 0
		.amdhsa_user_sgpr_kernarg_segment_ptr 1
		.amdhsa_user_sgpr_dispatch_id 0
		.amdhsa_user_sgpr_flat_scratch_init 0
		.amdhsa_user_sgpr_kernarg_preload_length 0
		.amdhsa_user_sgpr_kernarg_preload_offset 0
		.amdhsa_user_sgpr_private_segment_size 0
		.amdhsa_uses_dynamic_stack 0
		.amdhsa_system_sgpr_private_segment_wavefront_offset 0
		.amdhsa_system_sgpr_workgroup_id_x 1
		.amdhsa_system_sgpr_workgroup_id_y 0
		.amdhsa_system_sgpr_workgroup_id_z 0
		.amdhsa_system_sgpr_workgroup_info 0
		.amdhsa_system_vgpr_workitem_id 0
		.amdhsa_next_free_vgpr 1
		.amdhsa_next_free_sgpr 0
		.amdhsa_accum_offset 4
		.amdhsa_reserve_vcc 0
		.amdhsa_reserve_flat_scratch 0
		.amdhsa_float_round_mode_32 0
		.amdhsa_float_round_mode_16_64 0
		.amdhsa_float_denorm_mode_32 3
		.amdhsa_float_denorm_mode_16_64 3
		.amdhsa_dx10_clamp 1
		.amdhsa_ieee_mode 1
		.amdhsa_fp16_overflow 0
		.amdhsa_tg_split 0
		.amdhsa_exception_fp_ieee_invalid_op 0
		.amdhsa_exception_fp_denorm_src 0
		.amdhsa_exception_fp_ieee_div_zero 0
		.amdhsa_exception_fp_ieee_overflow 0
		.amdhsa_exception_fp_ieee_underflow 0
		.amdhsa_exception_fp_ieee_inexact 0
		.amdhsa_exception_int_div_zero 0
	.end_amdhsa_kernel
	.section	.text._ZN7rocprim17ROCPRIM_400000_NS6detail17trampoline_kernelINS0_14default_configENS1_27scan_by_key_config_selectorIj11FixedVectorIiLj8EEEEZZNS1_16scan_by_key_implILNS1_25lookback_scan_determinismE0ELb1ES3_N6thrust23THRUST_200600_302600_NS6detail15normal_iteratorINSB_10device_ptrIjEEEENSD_INSE_IS6_EEEESI_S6_NSB_4plusIvEENSB_8equal_toIvEES6_EE10hipError_tPvRmT2_T3_T4_T5_mT6_T7_P12ihipStream_tbENKUlT_T0_E_clISt17integral_constantIbLb0EES12_IbLb1EEEEDaSY_SZ_EUlSY_E_NS1_11comp_targetILNS1_3genE10ELNS1_11target_archE1200ELNS1_3gpuE4ELNS1_3repE0EEENS1_30default_config_static_selectorELNS0_4arch9wavefront6targetE1EEEvT1_,"axG",@progbits,_ZN7rocprim17ROCPRIM_400000_NS6detail17trampoline_kernelINS0_14default_configENS1_27scan_by_key_config_selectorIj11FixedVectorIiLj8EEEEZZNS1_16scan_by_key_implILNS1_25lookback_scan_determinismE0ELb1ES3_N6thrust23THRUST_200600_302600_NS6detail15normal_iteratorINSB_10device_ptrIjEEEENSD_INSE_IS6_EEEESI_S6_NSB_4plusIvEENSB_8equal_toIvEES6_EE10hipError_tPvRmT2_T3_T4_T5_mT6_T7_P12ihipStream_tbENKUlT_T0_E_clISt17integral_constantIbLb0EES12_IbLb1EEEEDaSY_SZ_EUlSY_E_NS1_11comp_targetILNS1_3genE10ELNS1_11target_archE1200ELNS1_3gpuE4ELNS1_3repE0EEENS1_30default_config_static_selectorELNS0_4arch9wavefront6targetE1EEEvT1_,comdat
.Lfunc_end2190:
	.size	_ZN7rocprim17ROCPRIM_400000_NS6detail17trampoline_kernelINS0_14default_configENS1_27scan_by_key_config_selectorIj11FixedVectorIiLj8EEEEZZNS1_16scan_by_key_implILNS1_25lookback_scan_determinismE0ELb1ES3_N6thrust23THRUST_200600_302600_NS6detail15normal_iteratorINSB_10device_ptrIjEEEENSD_INSE_IS6_EEEESI_S6_NSB_4plusIvEENSB_8equal_toIvEES6_EE10hipError_tPvRmT2_T3_T4_T5_mT6_T7_P12ihipStream_tbENKUlT_T0_E_clISt17integral_constantIbLb0EES12_IbLb1EEEEDaSY_SZ_EUlSY_E_NS1_11comp_targetILNS1_3genE10ELNS1_11target_archE1200ELNS1_3gpuE4ELNS1_3repE0EEENS1_30default_config_static_selectorELNS0_4arch9wavefront6targetE1EEEvT1_, .Lfunc_end2190-_ZN7rocprim17ROCPRIM_400000_NS6detail17trampoline_kernelINS0_14default_configENS1_27scan_by_key_config_selectorIj11FixedVectorIiLj8EEEEZZNS1_16scan_by_key_implILNS1_25lookback_scan_determinismE0ELb1ES3_N6thrust23THRUST_200600_302600_NS6detail15normal_iteratorINSB_10device_ptrIjEEEENSD_INSE_IS6_EEEESI_S6_NSB_4plusIvEENSB_8equal_toIvEES6_EE10hipError_tPvRmT2_T3_T4_T5_mT6_T7_P12ihipStream_tbENKUlT_T0_E_clISt17integral_constantIbLb0EES12_IbLb1EEEEDaSY_SZ_EUlSY_E_NS1_11comp_targetILNS1_3genE10ELNS1_11target_archE1200ELNS1_3gpuE4ELNS1_3repE0EEENS1_30default_config_static_selectorELNS0_4arch9wavefront6targetE1EEEvT1_
                                        ; -- End function
	.section	.AMDGPU.csdata,"",@progbits
; Kernel info:
; codeLenInByte = 0
; NumSgprs: 4
; NumVgprs: 0
; NumAgprs: 0
; TotalNumVgprs: 0
; ScratchSize: 0
; MemoryBound: 0
; FloatMode: 240
; IeeeMode: 1
; LDSByteSize: 0 bytes/workgroup (compile time only)
; SGPRBlocks: 0
; VGPRBlocks: 0
; NumSGPRsForWavesPerEU: 4
; NumVGPRsForWavesPerEU: 1
; AccumOffset: 4
; Occupancy: 8
; WaveLimiterHint : 0
; COMPUTE_PGM_RSRC2:SCRATCH_EN: 0
; COMPUTE_PGM_RSRC2:USER_SGPR: 6
; COMPUTE_PGM_RSRC2:TRAP_HANDLER: 0
; COMPUTE_PGM_RSRC2:TGID_X_EN: 1
; COMPUTE_PGM_RSRC2:TGID_Y_EN: 0
; COMPUTE_PGM_RSRC2:TGID_Z_EN: 0
; COMPUTE_PGM_RSRC2:TIDIG_COMP_CNT: 0
; COMPUTE_PGM_RSRC3_GFX90A:ACCUM_OFFSET: 0
; COMPUTE_PGM_RSRC3_GFX90A:TG_SPLIT: 0
	.section	.text._ZN7rocprim17ROCPRIM_400000_NS6detail17trampoline_kernelINS0_14default_configENS1_27scan_by_key_config_selectorIj11FixedVectorIiLj8EEEEZZNS1_16scan_by_key_implILNS1_25lookback_scan_determinismE0ELb1ES3_N6thrust23THRUST_200600_302600_NS6detail15normal_iteratorINSB_10device_ptrIjEEEENSD_INSE_IS6_EEEESI_S6_NSB_4plusIvEENSB_8equal_toIvEES6_EE10hipError_tPvRmT2_T3_T4_T5_mT6_T7_P12ihipStream_tbENKUlT_T0_E_clISt17integral_constantIbLb0EES12_IbLb1EEEEDaSY_SZ_EUlSY_E_NS1_11comp_targetILNS1_3genE9ELNS1_11target_archE1100ELNS1_3gpuE3ELNS1_3repE0EEENS1_30default_config_static_selectorELNS0_4arch9wavefront6targetE1EEEvT1_,"axG",@progbits,_ZN7rocprim17ROCPRIM_400000_NS6detail17trampoline_kernelINS0_14default_configENS1_27scan_by_key_config_selectorIj11FixedVectorIiLj8EEEEZZNS1_16scan_by_key_implILNS1_25lookback_scan_determinismE0ELb1ES3_N6thrust23THRUST_200600_302600_NS6detail15normal_iteratorINSB_10device_ptrIjEEEENSD_INSE_IS6_EEEESI_S6_NSB_4plusIvEENSB_8equal_toIvEES6_EE10hipError_tPvRmT2_T3_T4_T5_mT6_T7_P12ihipStream_tbENKUlT_T0_E_clISt17integral_constantIbLb0EES12_IbLb1EEEEDaSY_SZ_EUlSY_E_NS1_11comp_targetILNS1_3genE9ELNS1_11target_archE1100ELNS1_3gpuE3ELNS1_3repE0EEENS1_30default_config_static_selectorELNS0_4arch9wavefront6targetE1EEEvT1_,comdat
	.protected	_ZN7rocprim17ROCPRIM_400000_NS6detail17trampoline_kernelINS0_14default_configENS1_27scan_by_key_config_selectorIj11FixedVectorIiLj8EEEEZZNS1_16scan_by_key_implILNS1_25lookback_scan_determinismE0ELb1ES3_N6thrust23THRUST_200600_302600_NS6detail15normal_iteratorINSB_10device_ptrIjEEEENSD_INSE_IS6_EEEESI_S6_NSB_4plusIvEENSB_8equal_toIvEES6_EE10hipError_tPvRmT2_T3_T4_T5_mT6_T7_P12ihipStream_tbENKUlT_T0_E_clISt17integral_constantIbLb0EES12_IbLb1EEEEDaSY_SZ_EUlSY_E_NS1_11comp_targetILNS1_3genE9ELNS1_11target_archE1100ELNS1_3gpuE3ELNS1_3repE0EEENS1_30default_config_static_selectorELNS0_4arch9wavefront6targetE1EEEvT1_ ; -- Begin function _ZN7rocprim17ROCPRIM_400000_NS6detail17trampoline_kernelINS0_14default_configENS1_27scan_by_key_config_selectorIj11FixedVectorIiLj8EEEEZZNS1_16scan_by_key_implILNS1_25lookback_scan_determinismE0ELb1ES3_N6thrust23THRUST_200600_302600_NS6detail15normal_iteratorINSB_10device_ptrIjEEEENSD_INSE_IS6_EEEESI_S6_NSB_4plusIvEENSB_8equal_toIvEES6_EE10hipError_tPvRmT2_T3_T4_T5_mT6_T7_P12ihipStream_tbENKUlT_T0_E_clISt17integral_constantIbLb0EES12_IbLb1EEEEDaSY_SZ_EUlSY_E_NS1_11comp_targetILNS1_3genE9ELNS1_11target_archE1100ELNS1_3gpuE3ELNS1_3repE0EEENS1_30default_config_static_selectorELNS0_4arch9wavefront6targetE1EEEvT1_
	.globl	_ZN7rocprim17ROCPRIM_400000_NS6detail17trampoline_kernelINS0_14default_configENS1_27scan_by_key_config_selectorIj11FixedVectorIiLj8EEEEZZNS1_16scan_by_key_implILNS1_25lookback_scan_determinismE0ELb1ES3_N6thrust23THRUST_200600_302600_NS6detail15normal_iteratorINSB_10device_ptrIjEEEENSD_INSE_IS6_EEEESI_S6_NSB_4plusIvEENSB_8equal_toIvEES6_EE10hipError_tPvRmT2_T3_T4_T5_mT6_T7_P12ihipStream_tbENKUlT_T0_E_clISt17integral_constantIbLb0EES12_IbLb1EEEEDaSY_SZ_EUlSY_E_NS1_11comp_targetILNS1_3genE9ELNS1_11target_archE1100ELNS1_3gpuE3ELNS1_3repE0EEENS1_30default_config_static_selectorELNS0_4arch9wavefront6targetE1EEEvT1_
	.p2align	8
	.type	_ZN7rocprim17ROCPRIM_400000_NS6detail17trampoline_kernelINS0_14default_configENS1_27scan_by_key_config_selectorIj11FixedVectorIiLj8EEEEZZNS1_16scan_by_key_implILNS1_25lookback_scan_determinismE0ELb1ES3_N6thrust23THRUST_200600_302600_NS6detail15normal_iteratorINSB_10device_ptrIjEEEENSD_INSE_IS6_EEEESI_S6_NSB_4plusIvEENSB_8equal_toIvEES6_EE10hipError_tPvRmT2_T3_T4_T5_mT6_T7_P12ihipStream_tbENKUlT_T0_E_clISt17integral_constantIbLb0EES12_IbLb1EEEEDaSY_SZ_EUlSY_E_NS1_11comp_targetILNS1_3genE9ELNS1_11target_archE1100ELNS1_3gpuE3ELNS1_3repE0EEENS1_30default_config_static_selectorELNS0_4arch9wavefront6targetE1EEEvT1_,@function
_ZN7rocprim17ROCPRIM_400000_NS6detail17trampoline_kernelINS0_14default_configENS1_27scan_by_key_config_selectorIj11FixedVectorIiLj8EEEEZZNS1_16scan_by_key_implILNS1_25lookback_scan_determinismE0ELb1ES3_N6thrust23THRUST_200600_302600_NS6detail15normal_iteratorINSB_10device_ptrIjEEEENSD_INSE_IS6_EEEESI_S6_NSB_4plusIvEENSB_8equal_toIvEES6_EE10hipError_tPvRmT2_T3_T4_T5_mT6_T7_P12ihipStream_tbENKUlT_T0_E_clISt17integral_constantIbLb0EES12_IbLb1EEEEDaSY_SZ_EUlSY_E_NS1_11comp_targetILNS1_3genE9ELNS1_11target_archE1100ELNS1_3gpuE3ELNS1_3repE0EEENS1_30default_config_static_selectorELNS0_4arch9wavefront6targetE1EEEvT1_: ; @_ZN7rocprim17ROCPRIM_400000_NS6detail17trampoline_kernelINS0_14default_configENS1_27scan_by_key_config_selectorIj11FixedVectorIiLj8EEEEZZNS1_16scan_by_key_implILNS1_25lookback_scan_determinismE0ELb1ES3_N6thrust23THRUST_200600_302600_NS6detail15normal_iteratorINSB_10device_ptrIjEEEENSD_INSE_IS6_EEEESI_S6_NSB_4plusIvEENSB_8equal_toIvEES6_EE10hipError_tPvRmT2_T3_T4_T5_mT6_T7_P12ihipStream_tbENKUlT_T0_E_clISt17integral_constantIbLb0EES12_IbLb1EEEEDaSY_SZ_EUlSY_E_NS1_11comp_targetILNS1_3genE9ELNS1_11target_archE1100ELNS1_3gpuE3ELNS1_3repE0EEENS1_30default_config_static_selectorELNS0_4arch9wavefront6targetE1EEEvT1_
; %bb.0:
	.section	.rodata,"a",@progbits
	.p2align	6, 0x0
	.amdhsa_kernel _ZN7rocprim17ROCPRIM_400000_NS6detail17trampoline_kernelINS0_14default_configENS1_27scan_by_key_config_selectorIj11FixedVectorIiLj8EEEEZZNS1_16scan_by_key_implILNS1_25lookback_scan_determinismE0ELb1ES3_N6thrust23THRUST_200600_302600_NS6detail15normal_iteratorINSB_10device_ptrIjEEEENSD_INSE_IS6_EEEESI_S6_NSB_4plusIvEENSB_8equal_toIvEES6_EE10hipError_tPvRmT2_T3_T4_T5_mT6_T7_P12ihipStream_tbENKUlT_T0_E_clISt17integral_constantIbLb0EES12_IbLb1EEEEDaSY_SZ_EUlSY_E_NS1_11comp_targetILNS1_3genE9ELNS1_11target_archE1100ELNS1_3gpuE3ELNS1_3repE0EEENS1_30default_config_static_selectorELNS0_4arch9wavefront6targetE1EEEvT1_
		.amdhsa_group_segment_fixed_size 0
		.amdhsa_private_segment_fixed_size 0
		.amdhsa_kernarg_size 160
		.amdhsa_user_sgpr_count 6
		.amdhsa_user_sgpr_private_segment_buffer 1
		.amdhsa_user_sgpr_dispatch_ptr 0
		.amdhsa_user_sgpr_queue_ptr 0
		.amdhsa_user_sgpr_kernarg_segment_ptr 1
		.amdhsa_user_sgpr_dispatch_id 0
		.amdhsa_user_sgpr_flat_scratch_init 0
		.amdhsa_user_sgpr_kernarg_preload_length 0
		.amdhsa_user_sgpr_kernarg_preload_offset 0
		.amdhsa_user_sgpr_private_segment_size 0
		.amdhsa_uses_dynamic_stack 0
		.amdhsa_system_sgpr_private_segment_wavefront_offset 0
		.amdhsa_system_sgpr_workgroup_id_x 1
		.amdhsa_system_sgpr_workgroup_id_y 0
		.amdhsa_system_sgpr_workgroup_id_z 0
		.amdhsa_system_sgpr_workgroup_info 0
		.amdhsa_system_vgpr_workitem_id 0
		.amdhsa_next_free_vgpr 1
		.amdhsa_next_free_sgpr 0
		.amdhsa_accum_offset 4
		.amdhsa_reserve_vcc 0
		.amdhsa_reserve_flat_scratch 0
		.amdhsa_float_round_mode_32 0
		.amdhsa_float_round_mode_16_64 0
		.amdhsa_float_denorm_mode_32 3
		.amdhsa_float_denorm_mode_16_64 3
		.amdhsa_dx10_clamp 1
		.amdhsa_ieee_mode 1
		.amdhsa_fp16_overflow 0
		.amdhsa_tg_split 0
		.amdhsa_exception_fp_ieee_invalid_op 0
		.amdhsa_exception_fp_denorm_src 0
		.amdhsa_exception_fp_ieee_div_zero 0
		.amdhsa_exception_fp_ieee_overflow 0
		.amdhsa_exception_fp_ieee_underflow 0
		.amdhsa_exception_fp_ieee_inexact 0
		.amdhsa_exception_int_div_zero 0
	.end_amdhsa_kernel
	.section	.text._ZN7rocprim17ROCPRIM_400000_NS6detail17trampoline_kernelINS0_14default_configENS1_27scan_by_key_config_selectorIj11FixedVectorIiLj8EEEEZZNS1_16scan_by_key_implILNS1_25lookback_scan_determinismE0ELb1ES3_N6thrust23THRUST_200600_302600_NS6detail15normal_iteratorINSB_10device_ptrIjEEEENSD_INSE_IS6_EEEESI_S6_NSB_4plusIvEENSB_8equal_toIvEES6_EE10hipError_tPvRmT2_T3_T4_T5_mT6_T7_P12ihipStream_tbENKUlT_T0_E_clISt17integral_constantIbLb0EES12_IbLb1EEEEDaSY_SZ_EUlSY_E_NS1_11comp_targetILNS1_3genE9ELNS1_11target_archE1100ELNS1_3gpuE3ELNS1_3repE0EEENS1_30default_config_static_selectorELNS0_4arch9wavefront6targetE1EEEvT1_,"axG",@progbits,_ZN7rocprim17ROCPRIM_400000_NS6detail17trampoline_kernelINS0_14default_configENS1_27scan_by_key_config_selectorIj11FixedVectorIiLj8EEEEZZNS1_16scan_by_key_implILNS1_25lookback_scan_determinismE0ELb1ES3_N6thrust23THRUST_200600_302600_NS6detail15normal_iteratorINSB_10device_ptrIjEEEENSD_INSE_IS6_EEEESI_S6_NSB_4plusIvEENSB_8equal_toIvEES6_EE10hipError_tPvRmT2_T3_T4_T5_mT6_T7_P12ihipStream_tbENKUlT_T0_E_clISt17integral_constantIbLb0EES12_IbLb1EEEEDaSY_SZ_EUlSY_E_NS1_11comp_targetILNS1_3genE9ELNS1_11target_archE1100ELNS1_3gpuE3ELNS1_3repE0EEENS1_30default_config_static_selectorELNS0_4arch9wavefront6targetE1EEEvT1_,comdat
.Lfunc_end2191:
	.size	_ZN7rocprim17ROCPRIM_400000_NS6detail17trampoline_kernelINS0_14default_configENS1_27scan_by_key_config_selectorIj11FixedVectorIiLj8EEEEZZNS1_16scan_by_key_implILNS1_25lookback_scan_determinismE0ELb1ES3_N6thrust23THRUST_200600_302600_NS6detail15normal_iteratorINSB_10device_ptrIjEEEENSD_INSE_IS6_EEEESI_S6_NSB_4plusIvEENSB_8equal_toIvEES6_EE10hipError_tPvRmT2_T3_T4_T5_mT6_T7_P12ihipStream_tbENKUlT_T0_E_clISt17integral_constantIbLb0EES12_IbLb1EEEEDaSY_SZ_EUlSY_E_NS1_11comp_targetILNS1_3genE9ELNS1_11target_archE1100ELNS1_3gpuE3ELNS1_3repE0EEENS1_30default_config_static_selectorELNS0_4arch9wavefront6targetE1EEEvT1_, .Lfunc_end2191-_ZN7rocprim17ROCPRIM_400000_NS6detail17trampoline_kernelINS0_14default_configENS1_27scan_by_key_config_selectorIj11FixedVectorIiLj8EEEEZZNS1_16scan_by_key_implILNS1_25lookback_scan_determinismE0ELb1ES3_N6thrust23THRUST_200600_302600_NS6detail15normal_iteratorINSB_10device_ptrIjEEEENSD_INSE_IS6_EEEESI_S6_NSB_4plusIvEENSB_8equal_toIvEES6_EE10hipError_tPvRmT2_T3_T4_T5_mT6_T7_P12ihipStream_tbENKUlT_T0_E_clISt17integral_constantIbLb0EES12_IbLb1EEEEDaSY_SZ_EUlSY_E_NS1_11comp_targetILNS1_3genE9ELNS1_11target_archE1100ELNS1_3gpuE3ELNS1_3repE0EEENS1_30default_config_static_selectorELNS0_4arch9wavefront6targetE1EEEvT1_
                                        ; -- End function
	.section	.AMDGPU.csdata,"",@progbits
; Kernel info:
; codeLenInByte = 0
; NumSgprs: 4
; NumVgprs: 0
; NumAgprs: 0
; TotalNumVgprs: 0
; ScratchSize: 0
; MemoryBound: 0
; FloatMode: 240
; IeeeMode: 1
; LDSByteSize: 0 bytes/workgroup (compile time only)
; SGPRBlocks: 0
; VGPRBlocks: 0
; NumSGPRsForWavesPerEU: 4
; NumVGPRsForWavesPerEU: 1
; AccumOffset: 4
; Occupancy: 8
; WaveLimiterHint : 0
; COMPUTE_PGM_RSRC2:SCRATCH_EN: 0
; COMPUTE_PGM_RSRC2:USER_SGPR: 6
; COMPUTE_PGM_RSRC2:TRAP_HANDLER: 0
; COMPUTE_PGM_RSRC2:TGID_X_EN: 1
; COMPUTE_PGM_RSRC2:TGID_Y_EN: 0
; COMPUTE_PGM_RSRC2:TGID_Z_EN: 0
; COMPUTE_PGM_RSRC2:TIDIG_COMP_CNT: 0
; COMPUTE_PGM_RSRC3_GFX90A:ACCUM_OFFSET: 0
; COMPUTE_PGM_RSRC3_GFX90A:TG_SPLIT: 0
	.section	.text._ZN7rocprim17ROCPRIM_400000_NS6detail17trampoline_kernelINS0_14default_configENS1_27scan_by_key_config_selectorIj11FixedVectorIiLj8EEEEZZNS1_16scan_by_key_implILNS1_25lookback_scan_determinismE0ELb1ES3_N6thrust23THRUST_200600_302600_NS6detail15normal_iteratorINSB_10device_ptrIjEEEENSD_INSE_IS6_EEEESI_S6_NSB_4plusIvEENSB_8equal_toIvEES6_EE10hipError_tPvRmT2_T3_T4_T5_mT6_T7_P12ihipStream_tbENKUlT_T0_E_clISt17integral_constantIbLb0EES12_IbLb1EEEEDaSY_SZ_EUlSY_E_NS1_11comp_targetILNS1_3genE8ELNS1_11target_archE1030ELNS1_3gpuE2ELNS1_3repE0EEENS1_30default_config_static_selectorELNS0_4arch9wavefront6targetE1EEEvT1_,"axG",@progbits,_ZN7rocprim17ROCPRIM_400000_NS6detail17trampoline_kernelINS0_14default_configENS1_27scan_by_key_config_selectorIj11FixedVectorIiLj8EEEEZZNS1_16scan_by_key_implILNS1_25lookback_scan_determinismE0ELb1ES3_N6thrust23THRUST_200600_302600_NS6detail15normal_iteratorINSB_10device_ptrIjEEEENSD_INSE_IS6_EEEESI_S6_NSB_4plusIvEENSB_8equal_toIvEES6_EE10hipError_tPvRmT2_T3_T4_T5_mT6_T7_P12ihipStream_tbENKUlT_T0_E_clISt17integral_constantIbLb0EES12_IbLb1EEEEDaSY_SZ_EUlSY_E_NS1_11comp_targetILNS1_3genE8ELNS1_11target_archE1030ELNS1_3gpuE2ELNS1_3repE0EEENS1_30default_config_static_selectorELNS0_4arch9wavefront6targetE1EEEvT1_,comdat
	.protected	_ZN7rocprim17ROCPRIM_400000_NS6detail17trampoline_kernelINS0_14default_configENS1_27scan_by_key_config_selectorIj11FixedVectorIiLj8EEEEZZNS1_16scan_by_key_implILNS1_25lookback_scan_determinismE0ELb1ES3_N6thrust23THRUST_200600_302600_NS6detail15normal_iteratorINSB_10device_ptrIjEEEENSD_INSE_IS6_EEEESI_S6_NSB_4plusIvEENSB_8equal_toIvEES6_EE10hipError_tPvRmT2_T3_T4_T5_mT6_T7_P12ihipStream_tbENKUlT_T0_E_clISt17integral_constantIbLb0EES12_IbLb1EEEEDaSY_SZ_EUlSY_E_NS1_11comp_targetILNS1_3genE8ELNS1_11target_archE1030ELNS1_3gpuE2ELNS1_3repE0EEENS1_30default_config_static_selectorELNS0_4arch9wavefront6targetE1EEEvT1_ ; -- Begin function _ZN7rocprim17ROCPRIM_400000_NS6detail17trampoline_kernelINS0_14default_configENS1_27scan_by_key_config_selectorIj11FixedVectorIiLj8EEEEZZNS1_16scan_by_key_implILNS1_25lookback_scan_determinismE0ELb1ES3_N6thrust23THRUST_200600_302600_NS6detail15normal_iteratorINSB_10device_ptrIjEEEENSD_INSE_IS6_EEEESI_S6_NSB_4plusIvEENSB_8equal_toIvEES6_EE10hipError_tPvRmT2_T3_T4_T5_mT6_T7_P12ihipStream_tbENKUlT_T0_E_clISt17integral_constantIbLb0EES12_IbLb1EEEEDaSY_SZ_EUlSY_E_NS1_11comp_targetILNS1_3genE8ELNS1_11target_archE1030ELNS1_3gpuE2ELNS1_3repE0EEENS1_30default_config_static_selectorELNS0_4arch9wavefront6targetE1EEEvT1_
	.globl	_ZN7rocprim17ROCPRIM_400000_NS6detail17trampoline_kernelINS0_14default_configENS1_27scan_by_key_config_selectorIj11FixedVectorIiLj8EEEEZZNS1_16scan_by_key_implILNS1_25lookback_scan_determinismE0ELb1ES3_N6thrust23THRUST_200600_302600_NS6detail15normal_iteratorINSB_10device_ptrIjEEEENSD_INSE_IS6_EEEESI_S6_NSB_4plusIvEENSB_8equal_toIvEES6_EE10hipError_tPvRmT2_T3_T4_T5_mT6_T7_P12ihipStream_tbENKUlT_T0_E_clISt17integral_constantIbLb0EES12_IbLb1EEEEDaSY_SZ_EUlSY_E_NS1_11comp_targetILNS1_3genE8ELNS1_11target_archE1030ELNS1_3gpuE2ELNS1_3repE0EEENS1_30default_config_static_selectorELNS0_4arch9wavefront6targetE1EEEvT1_
	.p2align	8
	.type	_ZN7rocprim17ROCPRIM_400000_NS6detail17trampoline_kernelINS0_14default_configENS1_27scan_by_key_config_selectorIj11FixedVectorIiLj8EEEEZZNS1_16scan_by_key_implILNS1_25lookback_scan_determinismE0ELb1ES3_N6thrust23THRUST_200600_302600_NS6detail15normal_iteratorINSB_10device_ptrIjEEEENSD_INSE_IS6_EEEESI_S6_NSB_4plusIvEENSB_8equal_toIvEES6_EE10hipError_tPvRmT2_T3_T4_T5_mT6_T7_P12ihipStream_tbENKUlT_T0_E_clISt17integral_constantIbLb0EES12_IbLb1EEEEDaSY_SZ_EUlSY_E_NS1_11comp_targetILNS1_3genE8ELNS1_11target_archE1030ELNS1_3gpuE2ELNS1_3repE0EEENS1_30default_config_static_selectorELNS0_4arch9wavefront6targetE1EEEvT1_,@function
_ZN7rocprim17ROCPRIM_400000_NS6detail17trampoline_kernelINS0_14default_configENS1_27scan_by_key_config_selectorIj11FixedVectorIiLj8EEEEZZNS1_16scan_by_key_implILNS1_25lookback_scan_determinismE0ELb1ES3_N6thrust23THRUST_200600_302600_NS6detail15normal_iteratorINSB_10device_ptrIjEEEENSD_INSE_IS6_EEEESI_S6_NSB_4plusIvEENSB_8equal_toIvEES6_EE10hipError_tPvRmT2_T3_T4_T5_mT6_T7_P12ihipStream_tbENKUlT_T0_E_clISt17integral_constantIbLb0EES12_IbLb1EEEEDaSY_SZ_EUlSY_E_NS1_11comp_targetILNS1_3genE8ELNS1_11target_archE1030ELNS1_3gpuE2ELNS1_3repE0EEENS1_30default_config_static_selectorELNS0_4arch9wavefront6targetE1EEEvT1_: ; @_ZN7rocprim17ROCPRIM_400000_NS6detail17trampoline_kernelINS0_14default_configENS1_27scan_by_key_config_selectorIj11FixedVectorIiLj8EEEEZZNS1_16scan_by_key_implILNS1_25lookback_scan_determinismE0ELb1ES3_N6thrust23THRUST_200600_302600_NS6detail15normal_iteratorINSB_10device_ptrIjEEEENSD_INSE_IS6_EEEESI_S6_NSB_4plusIvEENSB_8equal_toIvEES6_EE10hipError_tPvRmT2_T3_T4_T5_mT6_T7_P12ihipStream_tbENKUlT_T0_E_clISt17integral_constantIbLb0EES12_IbLb1EEEEDaSY_SZ_EUlSY_E_NS1_11comp_targetILNS1_3genE8ELNS1_11target_archE1030ELNS1_3gpuE2ELNS1_3repE0EEENS1_30default_config_static_selectorELNS0_4arch9wavefront6targetE1EEEvT1_
; %bb.0:
	.section	.rodata,"a",@progbits
	.p2align	6, 0x0
	.amdhsa_kernel _ZN7rocprim17ROCPRIM_400000_NS6detail17trampoline_kernelINS0_14default_configENS1_27scan_by_key_config_selectorIj11FixedVectorIiLj8EEEEZZNS1_16scan_by_key_implILNS1_25lookback_scan_determinismE0ELb1ES3_N6thrust23THRUST_200600_302600_NS6detail15normal_iteratorINSB_10device_ptrIjEEEENSD_INSE_IS6_EEEESI_S6_NSB_4plusIvEENSB_8equal_toIvEES6_EE10hipError_tPvRmT2_T3_T4_T5_mT6_T7_P12ihipStream_tbENKUlT_T0_E_clISt17integral_constantIbLb0EES12_IbLb1EEEEDaSY_SZ_EUlSY_E_NS1_11comp_targetILNS1_3genE8ELNS1_11target_archE1030ELNS1_3gpuE2ELNS1_3repE0EEENS1_30default_config_static_selectorELNS0_4arch9wavefront6targetE1EEEvT1_
		.amdhsa_group_segment_fixed_size 0
		.amdhsa_private_segment_fixed_size 0
		.amdhsa_kernarg_size 160
		.amdhsa_user_sgpr_count 6
		.amdhsa_user_sgpr_private_segment_buffer 1
		.amdhsa_user_sgpr_dispatch_ptr 0
		.amdhsa_user_sgpr_queue_ptr 0
		.amdhsa_user_sgpr_kernarg_segment_ptr 1
		.amdhsa_user_sgpr_dispatch_id 0
		.amdhsa_user_sgpr_flat_scratch_init 0
		.amdhsa_user_sgpr_kernarg_preload_length 0
		.amdhsa_user_sgpr_kernarg_preload_offset 0
		.amdhsa_user_sgpr_private_segment_size 0
		.amdhsa_uses_dynamic_stack 0
		.amdhsa_system_sgpr_private_segment_wavefront_offset 0
		.amdhsa_system_sgpr_workgroup_id_x 1
		.amdhsa_system_sgpr_workgroup_id_y 0
		.amdhsa_system_sgpr_workgroup_id_z 0
		.amdhsa_system_sgpr_workgroup_info 0
		.amdhsa_system_vgpr_workitem_id 0
		.amdhsa_next_free_vgpr 1
		.amdhsa_next_free_sgpr 0
		.amdhsa_accum_offset 4
		.amdhsa_reserve_vcc 0
		.amdhsa_reserve_flat_scratch 0
		.amdhsa_float_round_mode_32 0
		.amdhsa_float_round_mode_16_64 0
		.amdhsa_float_denorm_mode_32 3
		.amdhsa_float_denorm_mode_16_64 3
		.amdhsa_dx10_clamp 1
		.amdhsa_ieee_mode 1
		.amdhsa_fp16_overflow 0
		.amdhsa_tg_split 0
		.amdhsa_exception_fp_ieee_invalid_op 0
		.amdhsa_exception_fp_denorm_src 0
		.amdhsa_exception_fp_ieee_div_zero 0
		.amdhsa_exception_fp_ieee_overflow 0
		.amdhsa_exception_fp_ieee_underflow 0
		.amdhsa_exception_fp_ieee_inexact 0
		.amdhsa_exception_int_div_zero 0
	.end_amdhsa_kernel
	.section	.text._ZN7rocprim17ROCPRIM_400000_NS6detail17trampoline_kernelINS0_14default_configENS1_27scan_by_key_config_selectorIj11FixedVectorIiLj8EEEEZZNS1_16scan_by_key_implILNS1_25lookback_scan_determinismE0ELb1ES3_N6thrust23THRUST_200600_302600_NS6detail15normal_iteratorINSB_10device_ptrIjEEEENSD_INSE_IS6_EEEESI_S6_NSB_4plusIvEENSB_8equal_toIvEES6_EE10hipError_tPvRmT2_T3_T4_T5_mT6_T7_P12ihipStream_tbENKUlT_T0_E_clISt17integral_constantIbLb0EES12_IbLb1EEEEDaSY_SZ_EUlSY_E_NS1_11comp_targetILNS1_3genE8ELNS1_11target_archE1030ELNS1_3gpuE2ELNS1_3repE0EEENS1_30default_config_static_selectorELNS0_4arch9wavefront6targetE1EEEvT1_,"axG",@progbits,_ZN7rocprim17ROCPRIM_400000_NS6detail17trampoline_kernelINS0_14default_configENS1_27scan_by_key_config_selectorIj11FixedVectorIiLj8EEEEZZNS1_16scan_by_key_implILNS1_25lookback_scan_determinismE0ELb1ES3_N6thrust23THRUST_200600_302600_NS6detail15normal_iteratorINSB_10device_ptrIjEEEENSD_INSE_IS6_EEEESI_S6_NSB_4plusIvEENSB_8equal_toIvEES6_EE10hipError_tPvRmT2_T3_T4_T5_mT6_T7_P12ihipStream_tbENKUlT_T0_E_clISt17integral_constantIbLb0EES12_IbLb1EEEEDaSY_SZ_EUlSY_E_NS1_11comp_targetILNS1_3genE8ELNS1_11target_archE1030ELNS1_3gpuE2ELNS1_3repE0EEENS1_30default_config_static_selectorELNS0_4arch9wavefront6targetE1EEEvT1_,comdat
.Lfunc_end2192:
	.size	_ZN7rocprim17ROCPRIM_400000_NS6detail17trampoline_kernelINS0_14default_configENS1_27scan_by_key_config_selectorIj11FixedVectorIiLj8EEEEZZNS1_16scan_by_key_implILNS1_25lookback_scan_determinismE0ELb1ES3_N6thrust23THRUST_200600_302600_NS6detail15normal_iteratorINSB_10device_ptrIjEEEENSD_INSE_IS6_EEEESI_S6_NSB_4plusIvEENSB_8equal_toIvEES6_EE10hipError_tPvRmT2_T3_T4_T5_mT6_T7_P12ihipStream_tbENKUlT_T0_E_clISt17integral_constantIbLb0EES12_IbLb1EEEEDaSY_SZ_EUlSY_E_NS1_11comp_targetILNS1_3genE8ELNS1_11target_archE1030ELNS1_3gpuE2ELNS1_3repE0EEENS1_30default_config_static_selectorELNS0_4arch9wavefront6targetE1EEEvT1_, .Lfunc_end2192-_ZN7rocprim17ROCPRIM_400000_NS6detail17trampoline_kernelINS0_14default_configENS1_27scan_by_key_config_selectorIj11FixedVectorIiLj8EEEEZZNS1_16scan_by_key_implILNS1_25lookback_scan_determinismE0ELb1ES3_N6thrust23THRUST_200600_302600_NS6detail15normal_iteratorINSB_10device_ptrIjEEEENSD_INSE_IS6_EEEESI_S6_NSB_4plusIvEENSB_8equal_toIvEES6_EE10hipError_tPvRmT2_T3_T4_T5_mT6_T7_P12ihipStream_tbENKUlT_T0_E_clISt17integral_constantIbLb0EES12_IbLb1EEEEDaSY_SZ_EUlSY_E_NS1_11comp_targetILNS1_3genE8ELNS1_11target_archE1030ELNS1_3gpuE2ELNS1_3repE0EEENS1_30default_config_static_selectorELNS0_4arch9wavefront6targetE1EEEvT1_
                                        ; -- End function
	.section	.AMDGPU.csdata,"",@progbits
; Kernel info:
; codeLenInByte = 0
; NumSgprs: 4
; NumVgprs: 0
; NumAgprs: 0
; TotalNumVgprs: 0
; ScratchSize: 0
; MemoryBound: 0
; FloatMode: 240
; IeeeMode: 1
; LDSByteSize: 0 bytes/workgroup (compile time only)
; SGPRBlocks: 0
; VGPRBlocks: 0
; NumSGPRsForWavesPerEU: 4
; NumVGPRsForWavesPerEU: 1
; AccumOffset: 4
; Occupancy: 8
; WaveLimiterHint : 0
; COMPUTE_PGM_RSRC2:SCRATCH_EN: 0
; COMPUTE_PGM_RSRC2:USER_SGPR: 6
; COMPUTE_PGM_RSRC2:TRAP_HANDLER: 0
; COMPUTE_PGM_RSRC2:TGID_X_EN: 1
; COMPUTE_PGM_RSRC2:TGID_Y_EN: 0
; COMPUTE_PGM_RSRC2:TGID_Z_EN: 0
; COMPUTE_PGM_RSRC2:TIDIG_COMP_CNT: 0
; COMPUTE_PGM_RSRC3_GFX90A:ACCUM_OFFSET: 0
; COMPUTE_PGM_RSRC3_GFX90A:TG_SPLIT: 0
	.section	.text._ZN7rocprim17ROCPRIM_400000_NS6detail30init_device_scan_by_key_kernelINS1_19lookback_scan_stateINS0_5tupleIJibEEELb0ELb1EEEN6thrust23THRUST_200600_302600_NS10device_ptrIiEEjNS1_16block_id_wrapperIjLb0EEEEEvT_jjPNSD_10value_typeET0_PNSt15iterator_traitsISG_E10value_typeEmT1_T2_,"axG",@progbits,_ZN7rocprim17ROCPRIM_400000_NS6detail30init_device_scan_by_key_kernelINS1_19lookback_scan_stateINS0_5tupleIJibEEELb0ELb1EEEN6thrust23THRUST_200600_302600_NS10device_ptrIiEEjNS1_16block_id_wrapperIjLb0EEEEEvT_jjPNSD_10value_typeET0_PNSt15iterator_traitsISG_E10value_typeEmT1_T2_,comdat
	.protected	_ZN7rocprim17ROCPRIM_400000_NS6detail30init_device_scan_by_key_kernelINS1_19lookback_scan_stateINS0_5tupleIJibEEELb0ELb1EEEN6thrust23THRUST_200600_302600_NS10device_ptrIiEEjNS1_16block_id_wrapperIjLb0EEEEEvT_jjPNSD_10value_typeET0_PNSt15iterator_traitsISG_E10value_typeEmT1_T2_ ; -- Begin function _ZN7rocprim17ROCPRIM_400000_NS6detail30init_device_scan_by_key_kernelINS1_19lookback_scan_stateINS0_5tupleIJibEEELb0ELb1EEEN6thrust23THRUST_200600_302600_NS10device_ptrIiEEjNS1_16block_id_wrapperIjLb0EEEEEvT_jjPNSD_10value_typeET0_PNSt15iterator_traitsISG_E10value_typeEmT1_T2_
	.globl	_ZN7rocprim17ROCPRIM_400000_NS6detail30init_device_scan_by_key_kernelINS1_19lookback_scan_stateINS0_5tupleIJibEEELb0ELb1EEEN6thrust23THRUST_200600_302600_NS10device_ptrIiEEjNS1_16block_id_wrapperIjLb0EEEEEvT_jjPNSD_10value_typeET0_PNSt15iterator_traitsISG_E10value_typeEmT1_T2_
	.p2align	8
	.type	_ZN7rocprim17ROCPRIM_400000_NS6detail30init_device_scan_by_key_kernelINS1_19lookback_scan_stateINS0_5tupleIJibEEELb0ELb1EEEN6thrust23THRUST_200600_302600_NS10device_ptrIiEEjNS1_16block_id_wrapperIjLb0EEEEEvT_jjPNSD_10value_typeET0_PNSt15iterator_traitsISG_E10value_typeEmT1_T2_,@function
_ZN7rocprim17ROCPRIM_400000_NS6detail30init_device_scan_by_key_kernelINS1_19lookback_scan_stateINS0_5tupleIJibEEELb0ELb1EEEN6thrust23THRUST_200600_302600_NS10device_ptrIiEEjNS1_16block_id_wrapperIjLb0EEEEEvT_jjPNSD_10value_typeET0_PNSt15iterator_traitsISG_E10value_typeEmT1_T2_: ; @_ZN7rocprim17ROCPRIM_400000_NS6detail30init_device_scan_by_key_kernelINS1_19lookback_scan_stateINS0_5tupleIJibEEELb0ELb1EEEN6thrust23THRUST_200600_302600_NS10device_ptrIiEEjNS1_16block_id_wrapperIjLb0EEEEEvT_jjPNSD_10value_typeET0_PNSt15iterator_traitsISG_E10value_typeEmT1_T2_
; %bb.0:
	s_load_dword s0, s[4:5], 0x44
	s_load_dwordx8 s[8:15], s[4:5], 0x0
	s_load_dword s18, s[4:5], 0x38
	s_waitcnt lgkmcnt(0)
	s_and_b32 s19, s0, 0xffff
	s_mul_i32 s6, s6, s19
	s_cmp_eq_u64 s[12:13], 0
	v_add_u32_e32 v4, s6, v0
	s_cbranch_scc1 .LBB2193_8
; %bb.1:
	s_cmp_lt_u32 s11, s10
	s_cselect_b32 s0, s11, 0
	s_mov_b32 s3, 0
	v_cmp_eq_u32_e32 vcc, s0, v4
	s_and_saveexec_b64 s[0:1], vcc
	s_cbranch_execz .LBB2193_7
; %bb.2:
	s_add_i32 s2, s11, 64
	s_lshl_b64 s[2:3], s[2:3], 4
	s_add_u32 s16, s8, s2
	s_addc_u32 s17, s9, s3
	v_pk_mov_b32 v[0:1], s[16:17], s[16:17] op_sel:[0,1]
	;;#ASMSTART
	global_load_dwordx4 v[0:3], v[0:1] off glc	
s_waitcnt vmcnt(0)
	;;#ASMEND
	v_mov_b32_e32 v7, 0
	v_and_b32_e32 v6, 0xff, v2
	s_mov_b64 s[6:7], 0
	v_cmp_eq_u64_e32 vcc, 0, v[6:7]
	s_and_saveexec_b64 s[2:3], vcc
	s_cbranch_execz .LBB2193_6
; %bb.3:
	v_pk_mov_b32 v[8:9], s[16:17], s[16:17] op_sel:[0,1]
.LBB2193_4:                             ; =>This Inner Loop Header: Depth=1
	;;#ASMSTART
	global_load_dwordx4 v[0:3], v[8:9] off glc	
s_waitcnt vmcnt(0)
	;;#ASMEND
	v_and_b32_e32 v6, 0xff, v2
	v_cmp_ne_u64_e32 vcc, 0, v[6:7]
	s_or_b64 s[6:7], vcc, s[6:7]
	s_andn2_b64 exec, exec, s[6:7]
	s_cbranch_execnz .LBB2193_4
; %bb.5:
	s_or_b64 exec, exec, s[6:7]
.LBB2193_6:
	s_or_b64 exec, exec, s[2:3]
	v_mov_b32_e32 v2, 0
	global_store_dword v2, v0, s[12:13]
	global_store_byte v2, v1, s[12:13] offset:4
.LBB2193_7:
	s_or_b64 exec, exec, s[0:1]
.LBB2193_8:
	v_cmp_gt_u32_e32 vcc, s10, v4
	s_and_saveexec_b64 s[0:1], vcc
	s_cbranch_execz .LBB2193_10
; %bb.9:
	v_add_u32_e32 v0, 64, v4
	v_mov_b32_e32 v1, 0
	v_lshlrev_b64 v[2:3], 4, v[0:1]
	v_mov_b32_e32 v0, s9
	v_add_co_u32_e32 v6, vcc, s8, v2
	v_addc_co_u32_e32 v7, vcc, v0, v3, vcc
	v_mov_b32_e32 v0, v1
	v_mov_b32_e32 v2, v1
	;; [unrolled: 1-line block ×3, first 2 shown]
	global_store_dwordx4 v[6:7], v[0:3], off
.LBB2193_10:
	s_or_b64 exec, exec, s[0:1]
	v_cmp_gt_u32_e32 vcc, 64, v4
	v_mov_b32_e32 v5, 0
	s_and_saveexec_b64 s[0:1], vcc
	s_cbranch_execz .LBB2193_12
; %bb.11:
	v_lshlrev_b64 v[0:1], 4, v[4:5]
	v_mov_b32_e32 v2, s9
	v_add_co_u32_e32 v6, vcc, s8, v0
	v_addc_co_u32_e32 v7, vcc, v2, v1, vcc
	v_mov_b32_e32 v2, 0xff
	v_mov_b32_e32 v0, v5
	;; [unrolled: 1-line block ×4, first 2 shown]
	global_store_dwordx4 v[6:7], v[0:3], off
.LBB2193_12:
	s_or_b64 exec, exec, s[0:1]
	s_load_dwordx2 s[0:1], s[4:5], 0x28
	s_waitcnt lgkmcnt(0)
	v_cmp_gt_u64_e32 vcc, s[0:1], v[4:5]
	s_and_saveexec_b64 s[2:3], vcc
	s_cbranch_execz .LBB2193_15
; %bb.13:
	s_load_dword s10, s[4:5], 0x30
	s_load_dwordx2 s[6:7], s[4:5], 0x20
	s_mov_b32 s5, 0
	s_mov_b32 s3, s5
	s_mul_i32 s2, s18, s19
	s_waitcnt lgkmcnt(0)
	s_add_i32 s4, s10, -1
	s_lshl_b64 s[4:5], s[4:5], 2
	v_mad_u64_u32 v[0:1], s[8:9], s10, v4, 0
	s_add_u32 s4, s14, s4
	v_lshlrev_b64 v[0:1], 2, v[0:1]
	s_addc_u32 s5, s15, s5
	v_mov_b32_e32 v2, s5
	v_add_co_u32_e32 v0, vcc, s4, v0
	v_addc_co_u32_e32 v1, vcc, v2, v1, vcc
	s_mul_hi_u32 s5, s10, s2
	s_mul_i32 s4, s10, s2
	v_lshlrev_b64 v[2:3], 2, v[4:5]
	s_lshl_b64 s[4:5], s[4:5], 2
	v_mov_b32_e32 v6, s7
	v_add_co_u32_e32 v2, vcc, s6, v2
	s_lshl_b64 s[6:7], s[2:3], 2
	v_addc_co_u32_e32 v3, vcc, v6, v3, vcc
	s_mov_b64 s[8:9], 0
	v_mov_b32_e32 v6, s3
	v_mov_b32_e32 v7, s5
	;; [unrolled: 1-line block ×3, first 2 shown]
.LBB2193_14:                            ; =>This Inner Loop Header: Depth=1
	global_load_dword v9, v[0:1], off
	v_add_co_u32_e32 v4, vcc, s2, v4
	v_addc_co_u32_e32 v5, vcc, v5, v6, vcc
	v_add_co_u32_e32 v0, vcc, s4, v0
	v_addc_co_u32_e32 v1, vcc, v1, v7, vcc
	v_cmp_le_u64_e32 vcc, s[0:1], v[4:5]
	s_or_b64 s[8:9], vcc, s[8:9]
	s_waitcnt vmcnt(0)
	global_store_dword v[2:3], v9, off
	v_add_co_u32_e32 v2, vcc, s6, v2
	v_addc_co_u32_e32 v3, vcc, v3, v8, vcc
	s_andn2_b64 exec, exec, s[8:9]
	s_cbranch_execnz .LBB2193_14
.LBB2193_15:
	s_endpgm
	.section	.rodata,"a",@progbits
	.p2align	6, 0x0
	.amdhsa_kernel _ZN7rocprim17ROCPRIM_400000_NS6detail30init_device_scan_by_key_kernelINS1_19lookback_scan_stateINS0_5tupleIJibEEELb0ELb1EEEN6thrust23THRUST_200600_302600_NS10device_ptrIiEEjNS1_16block_id_wrapperIjLb0EEEEEvT_jjPNSD_10value_typeET0_PNSt15iterator_traitsISG_E10value_typeEmT1_T2_
		.amdhsa_group_segment_fixed_size 0
		.amdhsa_private_segment_fixed_size 0
		.amdhsa_kernarg_size 312
		.amdhsa_user_sgpr_count 6
		.amdhsa_user_sgpr_private_segment_buffer 1
		.amdhsa_user_sgpr_dispatch_ptr 0
		.amdhsa_user_sgpr_queue_ptr 0
		.amdhsa_user_sgpr_kernarg_segment_ptr 1
		.amdhsa_user_sgpr_dispatch_id 0
		.amdhsa_user_sgpr_flat_scratch_init 0
		.amdhsa_user_sgpr_kernarg_preload_length 0
		.amdhsa_user_sgpr_kernarg_preload_offset 0
		.amdhsa_user_sgpr_private_segment_size 0
		.amdhsa_uses_dynamic_stack 0
		.amdhsa_system_sgpr_private_segment_wavefront_offset 0
		.amdhsa_system_sgpr_workgroup_id_x 1
		.amdhsa_system_sgpr_workgroup_id_y 0
		.amdhsa_system_sgpr_workgroup_id_z 0
		.amdhsa_system_sgpr_workgroup_info 0
		.amdhsa_system_vgpr_workitem_id 0
		.amdhsa_next_free_vgpr 10
		.amdhsa_next_free_sgpr 20
		.amdhsa_accum_offset 12
		.amdhsa_reserve_vcc 1
		.amdhsa_reserve_flat_scratch 0
		.amdhsa_float_round_mode_32 0
		.amdhsa_float_round_mode_16_64 0
		.amdhsa_float_denorm_mode_32 3
		.amdhsa_float_denorm_mode_16_64 3
		.amdhsa_dx10_clamp 1
		.amdhsa_ieee_mode 1
		.amdhsa_fp16_overflow 0
		.amdhsa_tg_split 0
		.amdhsa_exception_fp_ieee_invalid_op 0
		.amdhsa_exception_fp_denorm_src 0
		.amdhsa_exception_fp_ieee_div_zero 0
		.amdhsa_exception_fp_ieee_overflow 0
		.amdhsa_exception_fp_ieee_underflow 0
		.amdhsa_exception_fp_ieee_inexact 0
		.amdhsa_exception_int_div_zero 0
	.end_amdhsa_kernel
	.section	.text._ZN7rocprim17ROCPRIM_400000_NS6detail30init_device_scan_by_key_kernelINS1_19lookback_scan_stateINS0_5tupleIJibEEELb0ELb1EEEN6thrust23THRUST_200600_302600_NS10device_ptrIiEEjNS1_16block_id_wrapperIjLb0EEEEEvT_jjPNSD_10value_typeET0_PNSt15iterator_traitsISG_E10value_typeEmT1_T2_,"axG",@progbits,_ZN7rocprim17ROCPRIM_400000_NS6detail30init_device_scan_by_key_kernelINS1_19lookback_scan_stateINS0_5tupleIJibEEELb0ELb1EEEN6thrust23THRUST_200600_302600_NS10device_ptrIiEEjNS1_16block_id_wrapperIjLb0EEEEEvT_jjPNSD_10value_typeET0_PNSt15iterator_traitsISG_E10value_typeEmT1_T2_,comdat
.Lfunc_end2193:
	.size	_ZN7rocprim17ROCPRIM_400000_NS6detail30init_device_scan_by_key_kernelINS1_19lookback_scan_stateINS0_5tupleIJibEEELb0ELb1EEEN6thrust23THRUST_200600_302600_NS10device_ptrIiEEjNS1_16block_id_wrapperIjLb0EEEEEvT_jjPNSD_10value_typeET0_PNSt15iterator_traitsISG_E10value_typeEmT1_T2_, .Lfunc_end2193-_ZN7rocprim17ROCPRIM_400000_NS6detail30init_device_scan_by_key_kernelINS1_19lookback_scan_stateINS0_5tupleIJibEEELb0ELb1EEEN6thrust23THRUST_200600_302600_NS10device_ptrIiEEjNS1_16block_id_wrapperIjLb0EEEEEvT_jjPNSD_10value_typeET0_PNSt15iterator_traitsISG_E10value_typeEmT1_T2_
                                        ; -- End function
	.section	.AMDGPU.csdata,"",@progbits
; Kernel info:
; codeLenInByte = 572
; NumSgprs: 24
; NumVgprs: 10
; NumAgprs: 0
; TotalNumVgprs: 10
; ScratchSize: 0
; MemoryBound: 0
; FloatMode: 240
; IeeeMode: 1
; LDSByteSize: 0 bytes/workgroup (compile time only)
; SGPRBlocks: 2
; VGPRBlocks: 1
; NumSGPRsForWavesPerEU: 24
; NumVGPRsForWavesPerEU: 10
; AccumOffset: 12
; Occupancy: 8
; WaveLimiterHint : 0
; COMPUTE_PGM_RSRC2:SCRATCH_EN: 0
; COMPUTE_PGM_RSRC2:USER_SGPR: 6
; COMPUTE_PGM_RSRC2:TRAP_HANDLER: 0
; COMPUTE_PGM_RSRC2:TGID_X_EN: 1
; COMPUTE_PGM_RSRC2:TGID_Y_EN: 0
; COMPUTE_PGM_RSRC2:TGID_Z_EN: 0
; COMPUTE_PGM_RSRC2:TIDIG_COMP_CNT: 0
; COMPUTE_PGM_RSRC3_GFX90A:ACCUM_OFFSET: 2
; COMPUTE_PGM_RSRC3_GFX90A:TG_SPLIT: 0
	.section	.text._ZN7rocprim17ROCPRIM_400000_NS6detail17trampoline_kernelINS0_14default_configENS1_27scan_by_key_config_selectorIiiEEZZNS1_16scan_by_key_implILNS1_25lookback_scan_determinismE0ELb0ES3_N6thrust23THRUST_200600_302600_NS10device_ptrIiEESB_SB_iNS9_4plusIvEENS9_8equal_toIvEEiEE10hipError_tPvRmT2_T3_T4_T5_mT6_T7_P12ihipStream_tbENKUlT_T0_E_clISt17integral_constantIbLb0EESW_EEDaSR_SS_EUlSR_E_NS1_11comp_targetILNS1_3genE0ELNS1_11target_archE4294967295ELNS1_3gpuE0ELNS1_3repE0EEENS1_30default_config_static_selectorELNS0_4arch9wavefront6targetE1EEEvT1_,"axG",@progbits,_ZN7rocprim17ROCPRIM_400000_NS6detail17trampoline_kernelINS0_14default_configENS1_27scan_by_key_config_selectorIiiEEZZNS1_16scan_by_key_implILNS1_25lookback_scan_determinismE0ELb0ES3_N6thrust23THRUST_200600_302600_NS10device_ptrIiEESB_SB_iNS9_4plusIvEENS9_8equal_toIvEEiEE10hipError_tPvRmT2_T3_T4_T5_mT6_T7_P12ihipStream_tbENKUlT_T0_E_clISt17integral_constantIbLb0EESW_EEDaSR_SS_EUlSR_E_NS1_11comp_targetILNS1_3genE0ELNS1_11target_archE4294967295ELNS1_3gpuE0ELNS1_3repE0EEENS1_30default_config_static_selectorELNS0_4arch9wavefront6targetE1EEEvT1_,comdat
	.protected	_ZN7rocprim17ROCPRIM_400000_NS6detail17trampoline_kernelINS0_14default_configENS1_27scan_by_key_config_selectorIiiEEZZNS1_16scan_by_key_implILNS1_25lookback_scan_determinismE0ELb0ES3_N6thrust23THRUST_200600_302600_NS10device_ptrIiEESB_SB_iNS9_4plusIvEENS9_8equal_toIvEEiEE10hipError_tPvRmT2_T3_T4_T5_mT6_T7_P12ihipStream_tbENKUlT_T0_E_clISt17integral_constantIbLb0EESW_EEDaSR_SS_EUlSR_E_NS1_11comp_targetILNS1_3genE0ELNS1_11target_archE4294967295ELNS1_3gpuE0ELNS1_3repE0EEENS1_30default_config_static_selectorELNS0_4arch9wavefront6targetE1EEEvT1_ ; -- Begin function _ZN7rocprim17ROCPRIM_400000_NS6detail17trampoline_kernelINS0_14default_configENS1_27scan_by_key_config_selectorIiiEEZZNS1_16scan_by_key_implILNS1_25lookback_scan_determinismE0ELb0ES3_N6thrust23THRUST_200600_302600_NS10device_ptrIiEESB_SB_iNS9_4plusIvEENS9_8equal_toIvEEiEE10hipError_tPvRmT2_T3_T4_T5_mT6_T7_P12ihipStream_tbENKUlT_T0_E_clISt17integral_constantIbLb0EESW_EEDaSR_SS_EUlSR_E_NS1_11comp_targetILNS1_3genE0ELNS1_11target_archE4294967295ELNS1_3gpuE0ELNS1_3repE0EEENS1_30default_config_static_selectorELNS0_4arch9wavefront6targetE1EEEvT1_
	.globl	_ZN7rocprim17ROCPRIM_400000_NS6detail17trampoline_kernelINS0_14default_configENS1_27scan_by_key_config_selectorIiiEEZZNS1_16scan_by_key_implILNS1_25lookback_scan_determinismE0ELb0ES3_N6thrust23THRUST_200600_302600_NS10device_ptrIiEESB_SB_iNS9_4plusIvEENS9_8equal_toIvEEiEE10hipError_tPvRmT2_T3_T4_T5_mT6_T7_P12ihipStream_tbENKUlT_T0_E_clISt17integral_constantIbLb0EESW_EEDaSR_SS_EUlSR_E_NS1_11comp_targetILNS1_3genE0ELNS1_11target_archE4294967295ELNS1_3gpuE0ELNS1_3repE0EEENS1_30default_config_static_selectorELNS0_4arch9wavefront6targetE1EEEvT1_
	.p2align	8
	.type	_ZN7rocprim17ROCPRIM_400000_NS6detail17trampoline_kernelINS0_14default_configENS1_27scan_by_key_config_selectorIiiEEZZNS1_16scan_by_key_implILNS1_25lookback_scan_determinismE0ELb0ES3_N6thrust23THRUST_200600_302600_NS10device_ptrIiEESB_SB_iNS9_4plusIvEENS9_8equal_toIvEEiEE10hipError_tPvRmT2_T3_T4_T5_mT6_T7_P12ihipStream_tbENKUlT_T0_E_clISt17integral_constantIbLb0EESW_EEDaSR_SS_EUlSR_E_NS1_11comp_targetILNS1_3genE0ELNS1_11target_archE4294967295ELNS1_3gpuE0ELNS1_3repE0EEENS1_30default_config_static_selectorELNS0_4arch9wavefront6targetE1EEEvT1_,@function
_ZN7rocprim17ROCPRIM_400000_NS6detail17trampoline_kernelINS0_14default_configENS1_27scan_by_key_config_selectorIiiEEZZNS1_16scan_by_key_implILNS1_25lookback_scan_determinismE0ELb0ES3_N6thrust23THRUST_200600_302600_NS10device_ptrIiEESB_SB_iNS9_4plusIvEENS9_8equal_toIvEEiEE10hipError_tPvRmT2_T3_T4_T5_mT6_T7_P12ihipStream_tbENKUlT_T0_E_clISt17integral_constantIbLb0EESW_EEDaSR_SS_EUlSR_E_NS1_11comp_targetILNS1_3genE0ELNS1_11target_archE4294967295ELNS1_3gpuE0ELNS1_3repE0EEENS1_30default_config_static_selectorELNS0_4arch9wavefront6targetE1EEEvT1_: ; @_ZN7rocprim17ROCPRIM_400000_NS6detail17trampoline_kernelINS0_14default_configENS1_27scan_by_key_config_selectorIiiEEZZNS1_16scan_by_key_implILNS1_25lookback_scan_determinismE0ELb0ES3_N6thrust23THRUST_200600_302600_NS10device_ptrIiEESB_SB_iNS9_4plusIvEENS9_8equal_toIvEEiEE10hipError_tPvRmT2_T3_T4_T5_mT6_T7_P12ihipStream_tbENKUlT_T0_E_clISt17integral_constantIbLb0EESW_EEDaSR_SS_EUlSR_E_NS1_11comp_targetILNS1_3genE0ELNS1_11target_archE4294967295ELNS1_3gpuE0ELNS1_3repE0EEENS1_30default_config_static_selectorELNS0_4arch9wavefront6targetE1EEEvT1_
; %bb.0:
	.section	.rodata,"a",@progbits
	.p2align	6, 0x0
	.amdhsa_kernel _ZN7rocprim17ROCPRIM_400000_NS6detail17trampoline_kernelINS0_14default_configENS1_27scan_by_key_config_selectorIiiEEZZNS1_16scan_by_key_implILNS1_25lookback_scan_determinismE0ELb0ES3_N6thrust23THRUST_200600_302600_NS10device_ptrIiEESB_SB_iNS9_4plusIvEENS9_8equal_toIvEEiEE10hipError_tPvRmT2_T3_T4_T5_mT6_T7_P12ihipStream_tbENKUlT_T0_E_clISt17integral_constantIbLb0EESW_EEDaSR_SS_EUlSR_E_NS1_11comp_targetILNS1_3genE0ELNS1_11target_archE4294967295ELNS1_3gpuE0ELNS1_3repE0EEENS1_30default_config_static_selectorELNS0_4arch9wavefront6targetE1EEEvT1_
		.amdhsa_group_segment_fixed_size 0
		.amdhsa_private_segment_fixed_size 0
		.amdhsa_kernarg_size 112
		.amdhsa_user_sgpr_count 6
		.amdhsa_user_sgpr_private_segment_buffer 1
		.amdhsa_user_sgpr_dispatch_ptr 0
		.amdhsa_user_sgpr_queue_ptr 0
		.amdhsa_user_sgpr_kernarg_segment_ptr 1
		.amdhsa_user_sgpr_dispatch_id 0
		.amdhsa_user_sgpr_flat_scratch_init 0
		.amdhsa_user_sgpr_kernarg_preload_length 0
		.amdhsa_user_sgpr_kernarg_preload_offset 0
		.amdhsa_user_sgpr_private_segment_size 0
		.amdhsa_uses_dynamic_stack 0
		.amdhsa_system_sgpr_private_segment_wavefront_offset 0
		.amdhsa_system_sgpr_workgroup_id_x 1
		.amdhsa_system_sgpr_workgroup_id_y 0
		.amdhsa_system_sgpr_workgroup_id_z 0
		.amdhsa_system_sgpr_workgroup_info 0
		.amdhsa_system_vgpr_workitem_id 0
		.amdhsa_next_free_vgpr 1
		.amdhsa_next_free_sgpr 0
		.amdhsa_accum_offset 4
		.amdhsa_reserve_vcc 0
		.amdhsa_reserve_flat_scratch 0
		.amdhsa_float_round_mode_32 0
		.amdhsa_float_round_mode_16_64 0
		.amdhsa_float_denorm_mode_32 3
		.amdhsa_float_denorm_mode_16_64 3
		.amdhsa_dx10_clamp 1
		.amdhsa_ieee_mode 1
		.amdhsa_fp16_overflow 0
		.amdhsa_tg_split 0
		.amdhsa_exception_fp_ieee_invalid_op 0
		.amdhsa_exception_fp_denorm_src 0
		.amdhsa_exception_fp_ieee_div_zero 0
		.amdhsa_exception_fp_ieee_overflow 0
		.amdhsa_exception_fp_ieee_underflow 0
		.amdhsa_exception_fp_ieee_inexact 0
		.amdhsa_exception_int_div_zero 0
	.end_amdhsa_kernel
	.section	.text._ZN7rocprim17ROCPRIM_400000_NS6detail17trampoline_kernelINS0_14default_configENS1_27scan_by_key_config_selectorIiiEEZZNS1_16scan_by_key_implILNS1_25lookback_scan_determinismE0ELb0ES3_N6thrust23THRUST_200600_302600_NS10device_ptrIiEESB_SB_iNS9_4plusIvEENS9_8equal_toIvEEiEE10hipError_tPvRmT2_T3_T4_T5_mT6_T7_P12ihipStream_tbENKUlT_T0_E_clISt17integral_constantIbLb0EESW_EEDaSR_SS_EUlSR_E_NS1_11comp_targetILNS1_3genE0ELNS1_11target_archE4294967295ELNS1_3gpuE0ELNS1_3repE0EEENS1_30default_config_static_selectorELNS0_4arch9wavefront6targetE1EEEvT1_,"axG",@progbits,_ZN7rocprim17ROCPRIM_400000_NS6detail17trampoline_kernelINS0_14default_configENS1_27scan_by_key_config_selectorIiiEEZZNS1_16scan_by_key_implILNS1_25lookback_scan_determinismE0ELb0ES3_N6thrust23THRUST_200600_302600_NS10device_ptrIiEESB_SB_iNS9_4plusIvEENS9_8equal_toIvEEiEE10hipError_tPvRmT2_T3_T4_T5_mT6_T7_P12ihipStream_tbENKUlT_T0_E_clISt17integral_constantIbLb0EESW_EEDaSR_SS_EUlSR_E_NS1_11comp_targetILNS1_3genE0ELNS1_11target_archE4294967295ELNS1_3gpuE0ELNS1_3repE0EEENS1_30default_config_static_selectorELNS0_4arch9wavefront6targetE1EEEvT1_,comdat
.Lfunc_end2194:
	.size	_ZN7rocprim17ROCPRIM_400000_NS6detail17trampoline_kernelINS0_14default_configENS1_27scan_by_key_config_selectorIiiEEZZNS1_16scan_by_key_implILNS1_25lookback_scan_determinismE0ELb0ES3_N6thrust23THRUST_200600_302600_NS10device_ptrIiEESB_SB_iNS9_4plusIvEENS9_8equal_toIvEEiEE10hipError_tPvRmT2_T3_T4_T5_mT6_T7_P12ihipStream_tbENKUlT_T0_E_clISt17integral_constantIbLb0EESW_EEDaSR_SS_EUlSR_E_NS1_11comp_targetILNS1_3genE0ELNS1_11target_archE4294967295ELNS1_3gpuE0ELNS1_3repE0EEENS1_30default_config_static_selectorELNS0_4arch9wavefront6targetE1EEEvT1_, .Lfunc_end2194-_ZN7rocprim17ROCPRIM_400000_NS6detail17trampoline_kernelINS0_14default_configENS1_27scan_by_key_config_selectorIiiEEZZNS1_16scan_by_key_implILNS1_25lookback_scan_determinismE0ELb0ES3_N6thrust23THRUST_200600_302600_NS10device_ptrIiEESB_SB_iNS9_4plusIvEENS9_8equal_toIvEEiEE10hipError_tPvRmT2_T3_T4_T5_mT6_T7_P12ihipStream_tbENKUlT_T0_E_clISt17integral_constantIbLb0EESW_EEDaSR_SS_EUlSR_E_NS1_11comp_targetILNS1_3genE0ELNS1_11target_archE4294967295ELNS1_3gpuE0ELNS1_3repE0EEENS1_30default_config_static_selectorELNS0_4arch9wavefront6targetE1EEEvT1_
                                        ; -- End function
	.section	.AMDGPU.csdata,"",@progbits
; Kernel info:
; codeLenInByte = 0
; NumSgprs: 4
; NumVgprs: 0
; NumAgprs: 0
; TotalNumVgprs: 0
; ScratchSize: 0
; MemoryBound: 0
; FloatMode: 240
; IeeeMode: 1
; LDSByteSize: 0 bytes/workgroup (compile time only)
; SGPRBlocks: 0
; VGPRBlocks: 0
; NumSGPRsForWavesPerEU: 4
; NumVGPRsForWavesPerEU: 1
; AccumOffset: 4
; Occupancy: 8
; WaveLimiterHint : 0
; COMPUTE_PGM_RSRC2:SCRATCH_EN: 0
; COMPUTE_PGM_RSRC2:USER_SGPR: 6
; COMPUTE_PGM_RSRC2:TRAP_HANDLER: 0
; COMPUTE_PGM_RSRC2:TGID_X_EN: 1
; COMPUTE_PGM_RSRC2:TGID_Y_EN: 0
; COMPUTE_PGM_RSRC2:TGID_Z_EN: 0
; COMPUTE_PGM_RSRC2:TIDIG_COMP_CNT: 0
; COMPUTE_PGM_RSRC3_GFX90A:ACCUM_OFFSET: 0
; COMPUTE_PGM_RSRC3_GFX90A:TG_SPLIT: 0
	.section	.text._ZN7rocprim17ROCPRIM_400000_NS6detail17trampoline_kernelINS0_14default_configENS1_27scan_by_key_config_selectorIiiEEZZNS1_16scan_by_key_implILNS1_25lookback_scan_determinismE0ELb0ES3_N6thrust23THRUST_200600_302600_NS10device_ptrIiEESB_SB_iNS9_4plusIvEENS9_8equal_toIvEEiEE10hipError_tPvRmT2_T3_T4_T5_mT6_T7_P12ihipStream_tbENKUlT_T0_E_clISt17integral_constantIbLb0EESW_EEDaSR_SS_EUlSR_E_NS1_11comp_targetILNS1_3genE10ELNS1_11target_archE1201ELNS1_3gpuE5ELNS1_3repE0EEENS1_30default_config_static_selectorELNS0_4arch9wavefront6targetE1EEEvT1_,"axG",@progbits,_ZN7rocprim17ROCPRIM_400000_NS6detail17trampoline_kernelINS0_14default_configENS1_27scan_by_key_config_selectorIiiEEZZNS1_16scan_by_key_implILNS1_25lookback_scan_determinismE0ELb0ES3_N6thrust23THRUST_200600_302600_NS10device_ptrIiEESB_SB_iNS9_4plusIvEENS9_8equal_toIvEEiEE10hipError_tPvRmT2_T3_T4_T5_mT6_T7_P12ihipStream_tbENKUlT_T0_E_clISt17integral_constantIbLb0EESW_EEDaSR_SS_EUlSR_E_NS1_11comp_targetILNS1_3genE10ELNS1_11target_archE1201ELNS1_3gpuE5ELNS1_3repE0EEENS1_30default_config_static_selectorELNS0_4arch9wavefront6targetE1EEEvT1_,comdat
	.protected	_ZN7rocprim17ROCPRIM_400000_NS6detail17trampoline_kernelINS0_14default_configENS1_27scan_by_key_config_selectorIiiEEZZNS1_16scan_by_key_implILNS1_25lookback_scan_determinismE0ELb0ES3_N6thrust23THRUST_200600_302600_NS10device_ptrIiEESB_SB_iNS9_4plusIvEENS9_8equal_toIvEEiEE10hipError_tPvRmT2_T3_T4_T5_mT6_T7_P12ihipStream_tbENKUlT_T0_E_clISt17integral_constantIbLb0EESW_EEDaSR_SS_EUlSR_E_NS1_11comp_targetILNS1_3genE10ELNS1_11target_archE1201ELNS1_3gpuE5ELNS1_3repE0EEENS1_30default_config_static_selectorELNS0_4arch9wavefront6targetE1EEEvT1_ ; -- Begin function _ZN7rocprim17ROCPRIM_400000_NS6detail17trampoline_kernelINS0_14default_configENS1_27scan_by_key_config_selectorIiiEEZZNS1_16scan_by_key_implILNS1_25lookback_scan_determinismE0ELb0ES3_N6thrust23THRUST_200600_302600_NS10device_ptrIiEESB_SB_iNS9_4plusIvEENS9_8equal_toIvEEiEE10hipError_tPvRmT2_T3_T4_T5_mT6_T7_P12ihipStream_tbENKUlT_T0_E_clISt17integral_constantIbLb0EESW_EEDaSR_SS_EUlSR_E_NS1_11comp_targetILNS1_3genE10ELNS1_11target_archE1201ELNS1_3gpuE5ELNS1_3repE0EEENS1_30default_config_static_selectorELNS0_4arch9wavefront6targetE1EEEvT1_
	.globl	_ZN7rocprim17ROCPRIM_400000_NS6detail17trampoline_kernelINS0_14default_configENS1_27scan_by_key_config_selectorIiiEEZZNS1_16scan_by_key_implILNS1_25lookback_scan_determinismE0ELb0ES3_N6thrust23THRUST_200600_302600_NS10device_ptrIiEESB_SB_iNS9_4plusIvEENS9_8equal_toIvEEiEE10hipError_tPvRmT2_T3_T4_T5_mT6_T7_P12ihipStream_tbENKUlT_T0_E_clISt17integral_constantIbLb0EESW_EEDaSR_SS_EUlSR_E_NS1_11comp_targetILNS1_3genE10ELNS1_11target_archE1201ELNS1_3gpuE5ELNS1_3repE0EEENS1_30default_config_static_selectorELNS0_4arch9wavefront6targetE1EEEvT1_
	.p2align	8
	.type	_ZN7rocprim17ROCPRIM_400000_NS6detail17trampoline_kernelINS0_14default_configENS1_27scan_by_key_config_selectorIiiEEZZNS1_16scan_by_key_implILNS1_25lookback_scan_determinismE0ELb0ES3_N6thrust23THRUST_200600_302600_NS10device_ptrIiEESB_SB_iNS9_4plusIvEENS9_8equal_toIvEEiEE10hipError_tPvRmT2_T3_T4_T5_mT6_T7_P12ihipStream_tbENKUlT_T0_E_clISt17integral_constantIbLb0EESW_EEDaSR_SS_EUlSR_E_NS1_11comp_targetILNS1_3genE10ELNS1_11target_archE1201ELNS1_3gpuE5ELNS1_3repE0EEENS1_30default_config_static_selectorELNS0_4arch9wavefront6targetE1EEEvT1_,@function
_ZN7rocprim17ROCPRIM_400000_NS6detail17trampoline_kernelINS0_14default_configENS1_27scan_by_key_config_selectorIiiEEZZNS1_16scan_by_key_implILNS1_25lookback_scan_determinismE0ELb0ES3_N6thrust23THRUST_200600_302600_NS10device_ptrIiEESB_SB_iNS9_4plusIvEENS9_8equal_toIvEEiEE10hipError_tPvRmT2_T3_T4_T5_mT6_T7_P12ihipStream_tbENKUlT_T0_E_clISt17integral_constantIbLb0EESW_EEDaSR_SS_EUlSR_E_NS1_11comp_targetILNS1_3genE10ELNS1_11target_archE1201ELNS1_3gpuE5ELNS1_3repE0EEENS1_30default_config_static_selectorELNS0_4arch9wavefront6targetE1EEEvT1_: ; @_ZN7rocprim17ROCPRIM_400000_NS6detail17trampoline_kernelINS0_14default_configENS1_27scan_by_key_config_selectorIiiEEZZNS1_16scan_by_key_implILNS1_25lookback_scan_determinismE0ELb0ES3_N6thrust23THRUST_200600_302600_NS10device_ptrIiEESB_SB_iNS9_4plusIvEENS9_8equal_toIvEEiEE10hipError_tPvRmT2_T3_T4_T5_mT6_T7_P12ihipStream_tbENKUlT_T0_E_clISt17integral_constantIbLb0EESW_EEDaSR_SS_EUlSR_E_NS1_11comp_targetILNS1_3genE10ELNS1_11target_archE1201ELNS1_3gpuE5ELNS1_3repE0EEENS1_30default_config_static_selectorELNS0_4arch9wavefront6targetE1EEEvT1_
; %bb.0:
	.section	.rodata,"a",@progbits
	.p2align	6, 0x0
	.amdhsa_kernel _ZN7rocprim17ROCPRIM_400000_NS6detail17trampoline_kernelINS0_14default_configENS1_27scan_by_key_config_selectorIiiEEZZNS1_16scan_by_key_implILNS1_25lookback_scan_determinismE0ELb0ES3_N6thrust23THRUST_200600_302600_NS10device_ptrIiEESB_SB_iNS9_4plusIvEENS9_8equal_toIvEEiEE10hipError_tPvRmT2_T3_T4_T5_mT6_T7_P12ihipStream_tbENKUlT_T0_E_clISt17integral_constantIbLb0EESW_EEDaSR_SS_EUlSR_E_NS1_11comp_targetILNS1_3genE10ELNS1_11target_archE1201ELNS1_3gpuE5ELNS1_3repE0EEENS1_30default_config_static_selectorELNS0_4arch9wavefront6targetE1EEEvT1_
		.amdhsa_group_segment_fixed_size 0
		.amdhsa_private_segment_fixed_size 0
		.amdhsa_kernarg_size 112
		.amdhsa_user_sgpr_count 6
		.amdhsa_user_sgpr_private_segment_buffer 1
		.amdhsa_user_sgpr_dispatch_ptr 0
		.amdhsa_user_sgpr_queue_ptr 0
		.amdhsa_user_sgpr_kernarg_segment_ptr 1
		.amdhsa_user_sgpr_dispatch_id 0
		.amdhsa_user_sgpr_flat_scratch_init 0
		.amdhsa_user_sgpr_kernarg_preload_length 0
		.amdhsa_user_sgpr_kernarg_preload_offset 0
		.amdhsa_user_sgpr_private_segment_size 0
		.amdhsa_uses_dynamic_stack 0
		.amdhsa_system_sgpr_private_segment_wavefront_offset 0
		.amdhsa_system_sgpr_workgroup_id_x 1
		.amdhsa_system_sgpr_workgroup_id_y 0
		.amdhsa_system_sgpr_workgroup_id_z 0
		.amdhsa_system_sgpr_workgroup_info 0
		.amdhsa_system_vgpr_workitem_id 0
		.amdhsa_next_free_vgpr 1
		.amdhsa_next_free_sgpr 0
		.amdhsa_accum_offset 4
		.amdhsa_reserve_vcc 0
		.amdhsa_reserve_flat_scratch 0
		.amdhsa_float_round_mode_32 0
		.amdhsa_float_round_mode_16_64 0
		.amdhsa_float_denorm_mode_32 3
		.amdhsa_float_denorm_mode_16_64 3
		.amdhsa_dx10_clamp 1
		.amdhsa_ieee_mode 1
		.amdhsa_fp16_overflow 0
		.amdhsa_tg_split 0
		.amdhsa_exception_fp_ieee_invalid_op 0
		.amdhsa_exception_fp_denorm_src 0
		.amdhsa_exception_fp_ieee_div_zero 0
		.amdhsa_exception_fp_ieee_overflow 0
		.amdhsa_exception_fp_ieee_underflow 0
		.amdhsa_exception_fp_ieee_inexact 0
		.amdhsa_exception_int_div_zero 0
	.end_amdhsa_kernel
	.section	.text._ZN7rocprim17ROCPRIM_400000_NS6detail17trampoline_kernelINS0_14default_configENS1_27scan_by_key_config_selectorIiiEEZZNS1_16scan_by_key_implILNS1_25lookback_scan_determinismE0ELb0ES3_N6thrust23THRUST_200600_302600_NS10device_ptrIiEESB_SB_iNS9_4plusIvEENS9_8equal_toIvEEiEE10hipError_tPvRmT2_T3_T4_T5_mT6_T7_P12ihipStream_tbENKUlT_T0_E_clISt17integral_constantIbLb0EESW_EEDaSR_SS_EUlSR_E_NS1_11comp_targetILNS1_3genE10ELNS1_11target_archE1201ELNS1_3gpuE5ELNS1_3repE0EEENS1_30default_config_static_selectorELNS0_4arch9wavefront6targetE1EEEvT1_,"axG",@progbits,_ZN7rocprim17ROCPRIM_400000_NS6detail17trampoline_kernelINS0_14default_configENS1_27scan_by_key_config_selectorIiiEEZZNS1_16scan_by_key_implILNS1_25lookback_scan_determinismE0ELb0ES3_N6thrust23THRUST_200600_302600_NS10device_ptrIiEESB_SB_iNS9_4plusIvEENS9_8equal_toIvEEiEE10hipError_tPvRmT2_T3_T4_T5_mT6_T7_P12ihipStream_tbENKUlT_T0_E_clISt17integral_constantIbLb0EESW_EEDaSR_SS_EUlSR_E_NS1_11comp_targetILNS1_3genE10ELNS1_11target_archE1201ELNS1_3gpuE5ELNS1_3repE0EEENS1_30default_config_static_selectorELNS0_4arch9wavefront6targetE1EEEvT1_,comdat
.Lfunc_end2195:
	.size	_ZN7rocprim17ROCPRIM_400000_NS6detail17trampoline_kernelINS0_14default_configENS1_27scan_by_key_config_selectorIiiEEZZNS1_16scan_by_key_implILNS1_25lookback_scan_determinismE0ELb0ES3_N6thrust23THRUST_200600_302600_NS10device_ptrIiEESB_SB_iNS9_4plusIvEENS9_8equal_toIvEEiEE10hipError_tPvRmT2_T3_T4_T5_mT6_T7_P12ihipStream_tbENKUlT_T0_E_clISt17integral_constantIbLb0EESW_EEDaSR_SS_EUlSR_E_NS1_11comp_targetILNS1_3genE10ELNS1_11target_archE1201ELNS1_3gpuE5ELNS1_3repE0EEENS1_30default_config_static_selectorELNS0_4arch9wavefront6targetE1EEEvT1_, .Lfunc_end2195-_ZN7rocprim17ROCPRIM_400000_NS6detail17trampoline_kernelINS0_14default_configENS1_27scan_by_key_config_selectorIiiEEZZNS1_16scan_by_key_implILNS1_25lookback_scan_determinismE0ELb0ES3_N6thrust23THRUST_200600_302600_NS10device_ptrIiEESB_SB_iNS9_4plusIvEENS9_8equal_toIvEEiEE10hipError_tPvRmT2_T3_T4_T5_mT6_T7_P12ihipStream_tbENKUlT_T0_E_clISt17integral_constantIbLb0EESW_EEDaSR_SS_EUlSR_E_NS1_11comp_targetILNS1_3genE10ELNS1_11target_archE1201ELNS1_3gpuE5ELNS1_3repE0EEENS1_30default_config_static_selectorELNS0_4arch9wavefront6targetE1EEEvT1_
                                        ; -- End function
	.section	.AMDGPU.csdata,"",@progbits
; Kernel info:
; codeLenInByte = 0
; NumSgprs: 4
; NumVgprs: 0
; NumAgprs: 0
; TotalNumVgprs: 0
; ScratchSize: 0
; MemoryBound: 0
; FloatMode: 240
; IeeeMode: 1
; LDSByteSize: 0 bytes/workgroup (compile time only)
; SGPRBlocks: 0
; VGPRBlocks: 0
; NumSGPRsForWavesPerEU: 4
; NumVGPRsForWavesPerEU: 1
; AccumOffset: 4
; Occupancy: 8
; WaveLimiterHint : 0
; COMPUTE_PGM_RSRC2:SCRATCH_EN: 0
; COMPUTE_PGM_RSRC2:USER_SGPR: 6
; COMPUTE_PGM_RSRC2:TRAP_HANDLER: 0
; COMPUTE_PGM_RSRC2:TGID_X_EN: 1
; COMPUTE_PGM_RSRC2:TGID_Y_EN: 0
; COMPUTE_PGM_RSRC2:TGID_Z_EN: 0
; COMPUTE_PGM_RSRC2:TIDIG_COMP_CNT: 0
; COMPUTE_PGM_RSRC3_GFX90A:ACCUM_OFFSET: 0
; COMPUTE_PGM_RSRC3_GFX90A:TG_SPLIT: 0
	.section	.text._ZN7rocprim17ROCPRIM_400000_NS6detail17trampoline_kernelINS0_14default_configENS1_27scan_by_key_config_selectorIiiEEZZNS1_16scan_by_key_implILNS1_25lookback_scan_determinismE0ELb0ES3_N6thrust23THRUST_200600_302600_NS10device_ptrIiEESB_SB_iNS9_4plusIvEENS9_8equal_toIvEEiEE10hipError_tPvRmT2_T3_T4_T5_mT6_T7_P12ihipStream_tbENKUlT_T0_E_clISt17integral_constantIbLb0EESW_EEDaSR_SS_EUlSR_E_NS1_11comp_targetILNS1_3genE5ELNS1_11target_archE942ELNS1_3gpuE9ELNS1_3repE0EEENS1_30default_config_static_selectorELNS0_4arch9wavefront6targetE1EEEvT1_,"axG",@progbits,_ZN7rocprim17ROCPRIM_400000_NS6detail17trampoline_kernelINS0_14default_configENS1_27scan_by_key_config_selectorIiiEEZZNS1_16scan_by_key_implILNS1_25lookback_scan_determinismE0ELb0ES3_N6thrust23THRUST_200600_302600_NS10device_ptrIiEESB_SB_iNS9_4plusIvEENS9_8equal_toIvEEiEE10hipError_tPvRmT2_T3_T4_T5_mT6_T7_P12ihipStream_tbENKUlT_T0_E_clISt17integral_constantIbLb0EESW_EEDaSR_SS_EUlSR_E_NS1_11comp_targetILNS1_3genE5ELNS1_11target_archE942ELNS1_3gpuE9ELNS1_3repE0EEENS1_30default_config_static_selectorELNS0_4arch9wavefront6targetE1EEEvT1_,comdat
	.protected	_ZN7rocprim17ROCPRIM_400000_NS6detail17trampoline_kernelINS0_14default_configENS1_27scan_by_key_config_selectorIiiEEZZNS1_16scan_by_key_implILNS1_25lookback_scan_determinismE0ELb0ES3_N6thrust23THRUST_200600_302600_NS10device_ptrIiEESB_SB_iNS9_4plusIvEENS9_8equal_toIvEEiEE10hipError_tPvRmT2_T3_T4_T5_mT6_T7_P12ihipStream_tbENKUlT_T0_E_clISt17integral_constantIbLb0EESW_EEDaSR_SS_EUlSR_E_NS1_11comp_targetILNS1_3genE5ELNS1_11target_archE942ELNS1_3gpuE9ELNS1_3repE0EEENS1_30default_config_static_selectorELNS0_4arch9wavefront6targetE1EEEvT1_ ; -- Begin function _ZN7rocprim17ROCPRIM_400000_NS6detail17trampoline_kernelINS0_14default_configENS1_27scan_by_key_config_selectorIiiEEZZNS1_16scan_by_key_implILNS1_25lookback_scan_determinismE0ELb0ES3_N6thrust23THRUST_200600_302600_NS10device_ptrIiEESB_SB_iNS9_4plusIvEENS9_8equal_toIvEEiEE10hipError_tPvRmT2_T3_T4_T5_mT6_T7_P12ihipStream_tbENKUlT_T0_E_clISt17integral_constantIbLb0EESW_EEDaSR_SS_EUlSR_E_NS1_11comp_targetILNS1_3genE5ELNS1_11target_archE942ELNS1_3gpuE9ELNS1_3repE0EEENS1_30default_config_static_selectorELNS0_4arch9wavefront6targetE1EEEvT1_
	.globl	_ZN7rocprim17ROCPRIM_400000_NS6detail17trampoline_kernelINS0_14default_configENS1_27scan_by_key_config_selectorIiiEEZZNS1_16scan_by_key_implILNS1_25lookback_scan_determinismE0ELb0ES3_N6thrust23THRUST_200600_302600_NS10device_ptrIiEESB_SB_iNS9_4plusIvEENS9_8equal_toIvEEiEE10hipError_tPvRmT2_T3_T4_T5_mT6_T7_P12ihipStream_tbENKUlT_T0_E_clISt17integral_constantIbLb0EESW_EEDaSR_SS_EUlSR_E_NS1_11comp_targetILNS1_3genE5ELNS1_11target_archE942ELNS1_3gpuE9ELNS1_3repE0EEENS1_30default_config_static_selectorELNS0_4arch9wavefront6targetE1EEEvT1_
	.p2align	8
	.type	_ZN7rocprim17ROCPRIM_400000_NS6detail17trampoline_kernelINS0_14default_configENS1_27scan_by_key_config_selectorIiiEEZZNS1_16scan_by_key_implILNS1_25lookback_scan_determinismE0ELb0ES3_N6thrust23THRUST_200600_302600_NS10device_ptrIiEESB_SB_iNS9_4plusIvEENS9_8equal_toIvEEiEE10hipError_tPvRmT2_T3_T4_T5_mT6_T7_P12ihipStream_tbENKUlT_T0_E_clISt17integral_constantIbLb0EESW_EEDaSR_SS_EUlSR_E_NS1_11comp_targetILNS1_3genE5ELNS1_11target_archE942ELNS1_3gpuE9ELNS1_3repE0EEENS1_30default_config_static_selectorELNS0_4arch9wavefront6targetE1EEEvT1_,@function
_ZN7rocprim17ROCPRIM_400000_NS6detail17trampoline_kernelINS0_14default_configENS1_27scan_by_key_config_selectorIiiEEZZNS1_16scan_by_key_implILNS1_25lookback_scan_determinismE0ELb0ES3_N6thrust23THRUST_200600_302600_NS10device_ptrIiEESB_SB_iNS9_4plusIvEENS9_8equal_toIvEEiEE10hipError_tPvRmT2_T3_T4_T5_mT6_T7_P12ihipStream_tbENKUlT_T0_E_clISt17integral_constantIbLb0EESW_EEDaSR_SS_EUlSR_E_NS1_11comp_targetILNS1_3genE5ELNS1_11target_archE942ELNS1_3gpuE9ELNS1_3repE0EEENS1_30default_config_static_selectorELNS0_4arch9wavefront6targetE1EEEvT1_: ; @_ZN7rocprim17ROCPRIM_400000_NS6detail17trampoline_kernelINS0_14default_configENS1_27scan_by_key_config_selectorIiiEEZZNS1_16scan_by_key_implILNS1_25lookback_scan_determinismE0ELb0ES3_N6thrust23THRUST_200600_302600_NS10device_ptrIiEESB_SB_iNS9_4plusIvEENS9_8equal_toIvEEiEE10hipError_tPvRmT2_T3_T4_T5_mT6_T7_P12ihipStream_tbENKUlT_T0_E_clISt17integral_constantIbLb0EESW_EEDaSR_SS_EUlSR_E_NS1_11comp_targetILNS1_3genE5ELNS1_11target_archE942ELNS1_3gpuE9ELNS1_3repE0EEENS1_30default_config_static_selectorELNS0_4arch9wavefront6targetE1EEEvT1_
; %bb.0:
	.section	.rodata,"a",@progbits
	.p2align	6, 0x0
	.amdhsa_kernel _ZN7rocprim17ROCPRIM_400000_NS6detail17trampoline_kernelINS0_14default_configENS1_27scan_by_key_config_selectorIiiEEZZNS1_16scan_by_key_implILNS1_25lookback_scan_determinismE0ELb0ES3_N6thrust23THRUST_200600_302600_NS10device_ptrIiEESB_SB_iNS9_4plusIvEENS9_8equal_toIvEEiEE10hipError_tPvRmT2_T3_T4_T5_mT6_T7_P12ihipStream_tbENKUlT_T0_E_clISt17integral_constantIbLb0EESW_EEDaSR_SS_EUlSR_E_NS1_11comp_targetILNS1_3genE5ELNS1_11target_archE942ELNS1_3gpuE9ELNS1_3repE0EEENS1_30default_config_static_selectorELNS0_4arch9wavefront6targetE1EEEvT1_
		.amdhsa_group_segment_fixed_size 0
		.amdhsa_private_segment_fixed_size 0
		.amdhsa_kernarg_size 112
		.amdhsa_user_sgpr_count 6
		.amdhsa_user_sgpr_private_segment_buffer 1
		.amdhsa_user_sgpr_dispatch_ptr 0
		.amdhsa_user_sgpr_queue_ptr 0
		.amdhsa_user_sgpr_kernarg_segment_ptr 1
		.amdhsa_user_sgpr_dispatch_id 0
		.amdhsa_user_sgpr_flat_scratch_init 0
		.amdhsa_user_sgpr_kernarg_preload_length 0
		.amdhsa_user_sgpr_kernarg_preload_offset 0
		.amdhsa_user_sgpr_private_segment_size 0
		.amdhsa_uses_dynamic_stack 0
		.amdhsa_system_sgpr_private_segment_wavefront_offset 0
		.amdhsa_system_sgpr_workgroup_id_x 1
		.amdhsa_system_sgpr_workgroup_id_y 0
		.amdhsa_system_sgpr_workgroup_id_z 0
		.amdhsa_system_sgpr_workgroup_info 0
		.amdhsa_system_vgpr_workitem_id 0
		.amdhsa_next_free_vgpr 1
		.amdhsa_next_free_sgpr 0
		.amdhsa_accum_offset 4
		.amdhsa_reserve_vcc 0
		.amdhsa_reserve_flat_scratch 0
		.amdhsa_float_round_mode_32 0
		.amdhsa_float_round_mode_16_64 0
		.amdhsa_float_denorm_mode_32 3
		.amdhsa_float_denorm_mode_16_64 3
		.amdhsa_dx10_clamp 1
		.amdhsa_ieee_mode 1
		.amdhsa_fp16_overflow 0
		.amdhsa_tg_split 0
		.amdhsa_exception_fp_ieee_invalid_op 0
		.amdhsa_exception_fp_denorm_src 0
		.amdhsa_exception_fp_ieee_div_zero 0
		.amdhsa_exception_fp_ieee_overflow 0
		.amdhsa_exception_fp_ieee_underflow 0
		.amdhsa_exception_fp_ieee_inexact 0
		.amdhsa_exception_int_div_zero 0
	.end_amdhsa_kernel
	.section	.text._ZN7rocprim17ROCPRIM_400000_NS6detail17trampoline_kernelINS0_14default_configENS1_27scan_by_key_config_selectorIiiEEZZNS1_16scan_by_key_implILNS1_25lookback_scan_determinismE0ELb0ES3_N6thrust23THRUST_200600_302600_NS10device_ptrIiEESB_SB_iNS9_4plusIvEENS9_8equal_toIvEEiEE10hipError_tPvRmT2_T3_T4_T5_mT6_T7_P12ihipStream_tbENKUlT_T0_E_clISt17integral_constantIbLb0EESW_EEDaSR_SS_EUlSR_E_NS1_11comp_targetILNS1_3genE5ELNS1_11target_archE942ELNS1_3gpuE9ELNS1_3repE0EEENS1_30default_config_static_selectorELNS0_4arch9wavefront6targetE1EEEvT1_,"axG",@progbits,_ZN7rocprim17ROCPRIM_400000_NS6detail17trampoline_kernelINS0_14default_configENS1_27scan_by_key_config_selectorIiiEEZZNS1_16scan_by_key_implILNS1_25lookback_scan_determinismE0ELb0ES3_N6thrust23THRUST_200600_302600_NS10device_ptrIiEESB_SB_iNS9_4plusIvEENS9_8equal_toIvEEiEE10hipError_tPvRmT2_T3_T4_T5_mT6_T7_P12ihipStream_tbENKUlT_T0_E_clISt17integral_constantIbLb0EESW_EEDaSR_SS_EUlSR_E_NS1_11comp_targetILNS1_3genE5ELNS1_11target_archE942ELNS1_3gpuE9ELNS1_3repE0EEENS1_30default_config_static_selectorELNS0_4arch9wavefront6targetE1EEEvT1_,comdat
.Lfunc_end2196:
	.size	_ZN7rocprim17ROCPRIM_400000_NS6detail17trampoline_kernelINS0_14default_configENS1_27scan_by_key_config_selectorIiiEEZZNS1_16scan_by_key_implILNS1_25lookback_scan_determinismE0ELb0ES3_N6thrust23THRUST_200600_302600_NS10device_ptrIiEESB_SB_iNS9_4plusIvEENS9_8equal_toIvEEiEE10hipError_tPvRmT2_T3_T4_T5_mT6_T7_P12ihipStream_tbENKUlT_T0_E_clISt17integral_constantIbLb0EESW_EEDaSR_SS_EUlSR_E_NS1_11comp_targetILNS1_3genE5ELNS1_11target_archE942ELNS1_3gpuE9ELNS1_3repE0EEENS1_30default_config_static_selectorELNS0_4arch9wavefront6targetE1EEEvT1_, .Lfunc_end2196-_ZN7rocprim17ROCPRIM_400000_NS6detail17trampoline_kernelINS0_14default_configENS1_27scan_by_key_config_selectorIiiEEZZNS1_16scan_by_key_implILNS1_25lookback_scan_determinismE0ELb0ES3_N6thrust23THRUST_200600_302600_NS10device_ptrIiEESB_SB_iNS9_4plusIvEENS9_8equal_toIvEEiEE10hipError_tPvRmT2_T3_T4_T5_mT6_T7_P12ihipStream_tbENKUlT_T0_E_clISt17integral_constantIbLb0EESW_EEDaSR_SS_EUlSR_E_NS1_11comp_targetILNS1_3genE5ELNS1_11target_archE942ELNS1_3gpuE9ELNS1_3repE0EEENS1_30default_config_static_selectorELNS0_4arch9wavefront6targetE1EEEvT1_
                                        ; -- End function
	.section	.AMDGPU.csdata,"",@progbits
; Kernel info:
; codeLenInByte = 0
; NumSgprs: 4
; NumVgprs: 0
; NumAgprs: 0
; TotalNumVgprs: 0
; ScratchSize: 0
; MemoryBound: 0
; FloatMode: 240
; IeeeMode: 1
; LDSByteSize: 0 bytes/workgroup (compile time only)
; SGPRBlocks: 0
; VGPRBlocks: 0
; NumSGPRsForWavesPerEU: 4
; NumVGPRsForWavesPerEU: 1
; AccumOffset: 4
; Occupancy: 8
; WaveLimiterHint : 0
; COMPUTE_PGM_RSRC2:SCRATCH_EN: 0
; COMPUTE_PGM_RSRC2:USER_SGPR: 6
; COMPUTE_PGM_RSRC2:TRAP_HANDLER: 0
; COMPUTE_PGM_RSRC2:TGID_X_EN: 1
; COMPUTE_PGM_RSRC2:TGID_Y_EN: 0
; COMPUTE_PGM_RSRC2:TGID_Z_EN: 0
; COMPUTE_PGM_RSRC2:TIDIG_COMP_CNT: 0
; COMPUTE_PGM_RSRC3_GFX90A:ACCUM_OFFSET: 0
; COMPUTE_PGM_RSRC3_GFX90A:TG_SPLIT: 0
	.section	.text._ZN7rocprim17ROCPRIM_400000_NS6detail17trampoline_kernelINS0_14default_configENS1_27scan_by_key_config_selectorIiiEEZZNS1_16scan_by_key_implILNS1_25lookback_scan_determinismE0ELb0ES3_N6thrust23THRUST_200600_302600_NS10device_ptrIiEESB_SB_iNS9_4plusIvEENS9_8equal_toIvEEiEE10hipError_tPvRmT2_T3_T4_T5_mT6_T7_P12ihipStream_tbENKUlT_T0_E_clISt17integral_constantIbLb0EESW_EEDaSR_SS_EUlSR_E_NS1_11comp_targetILNS1_3genE4ELNS1_11target_archE910ELNS1_3gpuE8ELNS1_3repE0EEENS1_30default_config_static_selectorELNS0_4arch9wavefront6targetE1EEEvT1_,"axG",@progbits,_ZN7rocprim17ROCPRIM_400000_NS6detail17trampoline_kernelINS0_14default_configENS1_27scan_by_key_config_selectorIiiEEZZNS1_16scan_by_key_implILNS1_25lookback_scan_determinismE0ELb0ES3_N6thrust23THRUST_200600_302600_NS10device_ptrIiEESB_SB_iNS9_4plusIvEENS9_8equal_toIvEEiEE10hipError_tPvRmT2_T3_T4_T5_mT6_T7_P12ihipStream_tbENKUlT_T0_E_clISt17integral_constantIbLb0EESW_EEDaSR_SS_EUlSR_E_NS1_11comp_targetILNS1_3genE4ELNS1_11target_archE910ELNS1_3gpuE8ELNS1_3repE0EEENS1_30default_config_static_selectorELNS0_4arch9wavefront6targetE1EEEvT1_,comdat
	.protected	_ZN7rocprim17ROCPRIM_400000_NS6detail17trampoline_kernelINS0_14default_configENS1_27scan_by_key_config_selectorIiiEEZZNS1_16scan_by_key_implILNS1_25lookback_scan_determinismE0ELb0ES3_N6thrust23THRUST_200600_302600_NS10device_ptrIiEESB_SB_iNS9_4plusIvEENS9_8equal_toIvEEiEE10hipError_tPvRmT2_T3_T4_T5_mT6_T7_P12ihipStream_tbENKUlT_T0_E_clISt17integral_constantIbLb0EESW_EEDaSR_SS_EUlSR_E_NS1_11comp_targetILNS1_3genE4ELNS1_11target_archE910ELNS1_3gpuE8ELNS1_3repE0EEENS1_30default_config_static_selectorELNS0_4arch9wavefront6targetE1EEEvT1_ ; -- Begin function _ZN7rocprim17ROCPRIM_400000_NS6detail17trampoline_kernelINS0_14default_configENS1_27scan_by_key_config_selectorIiiEEZZNS1_16scan_by_key_implILNS1_25lookback_scan_determinismE0ELb0ES3_N6thrust23THRUST_200600_302600_NS10device_ptrIiEESB_SB_iNS9_4plusIvEENS9_8equal_toIvEEiEE10hipError_tPvRmT2_T3_T4_T5_mT6_T7_P12ihipStream_tbENKUlT_T0_E_clISt17integral_constantIbLb0EESW_EEDaSR_SS_EUlSR_E_NS1_11comp_targetILNS1_3genE4ELNS1_11target_archE910ELNS1_3gpuE8ELNS1_3repE0EEENS1_30default_config_static_selectorELNS0_4arch9wavefront6targetE1EEEvT1_
	.globl	_ZN7rocprim17ROCPRIM_400000_NS6detail17trampoline_kernelINS0_14default_configENS1_27scan_by_key_config_selectorIiiEEZZNS1_16scan_by_key_implILNS1_25lookback_scan_determinismE0ELb0ES3_N6thrust23THRUST_200600_302600_NS10device_ptrIiEESB_SB_iNS9_4plusIvEENS9_8equal_toIvEEiEE10hipError_tPvRmT2_T3_T4_T5_mT6_T7_P12ihipStream_tbENKUlT_T0_E_clISt17integral_constantIbLb0EESW_EEDaSR_SS_EUlSR_E_NS1_11comp_targetILNS1_3genE4ELNS1_11target_archE910ELNS1_3gpuE8ELNS1_3repE0EEENS1_30default_config_static_selectorELNS0_4arch9wavefront6targetE1EEEvT1_
	.p2align	8
	.type	_ZN7rocprim17ROCPRIM_400000_NS6detail17trampoline_kernelINS0_14default_configENS1_27scan_by_key_config_selectorIiiEEZZNS1_16scan_by_key_implILNS1_25lookback_scan_determinismE0ELb0ES3_N6thrust23THRUST_200600_302600_NS10device_ptrIiEESB_SB_iNS9_4plusIvEENS9_8equal_toIvEEiEE10hipError_tPvRmT2_T3_T4_T5_mT6_T7_P12ihipStream_tbENKUlT_T0_E_clISt17integral_constantIbLb0EESW_EEDaSR_SS_EUlSR_E_NS1_11comp_targetILNS1_3genE4ELNS1_11target_archE910ELNS1_3gpuE8ELNS1_3repE0EEENS1_30default_config_static_selectorELNS0_4arch9wavefront6targetE1EEEvT1_,@function
_ZN7rocprim17ROCPRIM_400000_NS6detail17trampoline_kernelINS0_14default_configENS1_27scan_by_key_config_selectorIiiEEZZNS1_16scan_by_key_implILNS1_25lookback_scan_determinismE0ELb0ES3_N6thrust23THRUST_200600_302600_NS10device_ptrIiEESB_SB_iNS9_4plusIvEENS9_8equal_toIvEEiEE10hipError_tPvRmT2_T3_T4_T5_mT6_T7_P12ihipStream_tbENKUlT_T0_E_clISt17integral_constantIbLb0EESW_EEDaSR_SS_EUlSR_E_NS1_11comp_targetILNS1_3genE4ELNS1_11target_archE910ELNS1_3gpuE8ELNS1_3repE0EEENS1_30default_config_static_selectorELNS0_4arch9wavefront6targetE1EEEvT1_: ; @_ZN7rocprim17ROCPRIM_400000_NS6detail17trampoline_kernelINS0_14default_configENS1_27scan_by_key_config_selectorIiiEEZZNS1_16scan_by_key_implILNS1_25lookback_scan_determinismE0ELb0ES3_N6thrust23THRUST_200600_302600_NS10device_ptrIiEESB_SB_iNS9_4plusIvEENS9_8equal_toIvEEiEE10hipError_tPvRmT2_T3_T4_T5_mT6_T7_P12ihipStream_tbENKUlT_T0_E_clISt17integral_constantIbLb0EESW_EEDaSR_SS_EUlSR_E_NS1_11comp_targetILNS1_3genE4ELNS1_11target_archE910ELNS1_3gpuE8ELNS1_3repE0EEENS1_30default_config_static_selectorELNS0_4arch9wavefront6targetE1EEEvT1_
; %bb.0:
	s_load_dwordx8 s[36:43], s[4:5], 0x0
	s_load_dwordx4 s[52:55], s[4:5], 0x28
	s_load_dwordx2 s[56:57], s[4:5], 0x38
	s_load_dword s0, s[4:5], 0x40
	s_load_dwordx8 s[44:51], s[4:5], 0x48
	s_waitcnt lgkmcnt(0)
	s_lshl_b64 s[38:39], s[38:39], 2
	s_add_u32 s2, s36, s38
	s_addc_u32 s3, s37, s39
	s_add_u32 s4, s40, s38
	s_mul_i32 s1, s57, s0
	s_mul_hi_u32 s7, s56, s0
	s_addc_u32 s5, s41, s39
	s_add_i32 s8, s7, s1
	s_mul_i32 s9, s56, s0
	s_cmp_lg_u64 s[48:49], 0
	s_mul_i32 s0, s6, 0xe00
	s_mov_b32 s1, 0
	s_cselect_b64 s[40:41], -1, 0
	s_lshl_b64 s[36:37], s[0:1], 2
	s_add_u32 s34, s2, s36
	s_addc_u32 s35, s3, s37
	s_add_u32 s7, s4, s36
	s_addc_u32 s55, s5, s37
	s_add_u32 s48, s9, s6
	s_addc_u32 s49, s8, 0
	s_add_u32 s2, s44, -1
	s_addc_u32 s3, s45, -1
	v_pk_mov_b32 v[2:3], s[2:3], s[2:3] op_sel:[0,1]
	v_cmp_ge_u64_e64 s[0:1], s[48:49], v[2:3]
	s_mov_b64 s[18:19], 0
	s_mov_b64 s[4:5], -1
	s_and_b64 vcc, exec, s[0:1]
	s_mul_i32 s33, s2, 0xfffff200
	s_barrier
	s_cbranch_vccz .LBB2197_77
; %bb.1:
	v_pk_mov_b32 v[2:3], s[34:35], s[34:35] op_sel:[0,1]
	flat_load_dword v1, v[2:3]
	s_add_i32 s60, s33, s54
	v_cmp_gt_u32_e64 s[2:3], s60, v0
	s_waitcnt vmcnt(0) lgkmcnt(0)
	v_mov_b32_e32 v13, v1
	s_and_saveexec_b64 s[4:5], s[2:3]
	s_cbranch_execz .LBB2197_3
; %bb.2:
	v_lshlrev_b32_e32 v2, 2, v0
	v_mov_b32_e32 v3, s35
	v_add_co_u32_e32 v2, vcc, s34, v2
	v_addc_co_u32_e32 v3, vcc, 0, v3, vcc
	flat_load_dword v13, v[2:3]
.LBB2197_3:
	s_or_b64 exec, exec, s[4:5]
	v_or_b32_e32 v2, 0x100, v0
	v_cmp_gt_u32_e64 s[4:5], s60, v2
	v_mov_b32_e32 v14, v1
	s_and_saveexec_b64 s[8:9], s[4:5]
	s_cbranch_execz .LBB2197_5
; %bb.4:
	v_lshlrev_b32_e32 v2, 2, v0
	v_mov_b32_e32 v3, s35
	v_add_co_u32_e32 v2, vcc, s34, v2
	v_addc_co_u32_e32 v3, vcc, 0, v3, vcc
	flat_load_dword v14, v[2:3] offset:1024
.LBB2197_5:
	s_or_b64 exec, exec, s[8:9]
	v_or_b32_e32 v2, 0x200, v0
	v_cmp_gt_u32_e64 s[30:31], s60, v2
	v_mov_b32_e32 v15, v1
	s_and_saveexec_b64 s[8:9], s[30:31]
	s_cbranch_execz .LBB2197_7
; %bb.6:
	v_lshlrev_b32_e32 v2, 2, v0
	v_mov_b32_e32 v3, s35
	v_add_co_u32_e32 v2, vcc, s34, v2
	v_addc_co_u32_e32 v3, vcc, 0, v3, vcc
	flat_load_dword v15, v[2:3] offset:2048
.LBB2197_7:
	;; [unrolled: 13-line block ×3, first 2 shown]
	s_or_b64 exec, exec, s[10:11]
	v_or_b32_e32 v2, 0x400, v0
	v_cmp_gt_u32_e64 s[10:11], s60, v2
	v_lshlrev_b32_e32 v2, 2, v2
	v_mov_b32_e32 v17, v1
	s_and_saveexec_b64 s[12:13], s[10:11]
	s_cbranch_execz .LBB2197_11
; %bb.10:
	v_mov_b32_e32 v3, s35
	v_add_co_u32_e32 v4, vcc, s34, v2
	v_addc_co_u32_e32 v5, vcc, 0, v3, vcc
	flat_load_dword v17, v[4:5]
.LBB2197_11:
	s_or_b64 exec, exec, s[12:13]
	v_or_b32_e32 v3, 0x500, v0
	v_cmp_gt_u32_e64 s[12:13], s60, v3
	v_lshlrev_b32_e32 v3, 2, v3
	v_mov_b32_e32 v18, v1
	s_and_saveexec_b64 s[14:15], s[12:13]
	s_cbranch_execz .LBB2197_13
; %bb.12:
	v_mov_b32_e32 v5, s35
	v_add_co_u32_e32 v4, vcc, s34, v3
	v_addc_co_u32_e32 v5, vcc, 0, v5, vcc
	flat_load_dword v18, v[4:5]
.LBB2197_13:
	;; [unrolled: 13-line block ×9, first 2 shown]
	s_or_b64 exec, exec, s[28:29]
	v_or_b32_e32 v11, 0xd00, v0
	v_cmp_gt_u32_e64 s[28:29], s60, v11
	v_lshlrev_b32_e32 v11, 2, v11
	s_and_saveexec_b64 s[44:45], s[28:29]
	s_cbranch_execz .LBB2197_29
; %bb.28:
	v_mov_b32_e32 v1, s35
	v_add_co_u32_e32 v26, vcc, s34, v11
	v_addc_co_u32_e32 v27, vcc, 0, v1, vcc
	flat_load_dword v1, v[26:27]
.LBB2197_29:
	s_or_b64 exec, exec, s[44:45]
	v_lshlrev_b32_e32 v12, 2, v0
	s_waitcnt vmcnt(0) lgkmcnt(0)
	ds_write2st64_b32 v12, v13, v14 offset1:4
	ds_write2st64_b32 v12, v15, v16 offset0:8 offset1:12
	ds_write2st64_b32 v12, v17, v18 offset0:16 offset1:20
	ds_write2st64_b32 v12, v19, v20 offset0:24 offset1:28
	ds_write2st64_b32 v12, v21, v22 offset0:32 offset1:36
	ds_write2st64_b32 v12, v23, v24 offset0:40 offset1:44
	ds_write2st64_b32 v12, v25, v1 offset0:48 offset1:52
	v_mad_u32_u24 v1, v0, 52, v12
	s_waitcnt lgkmcnt(0)
	s_barrier
	ds_read2_b64 v[34:37], v1 offset1:1
	ds_read2_b64 v[30:33], v1 offset0:2 offset1:3
	ds_read2_b64 v[26:29], v1 offset0:4 offset1:5
	ds_read_b64 v[40:41], v1 offset:48
	s_cmp_eq_u64 s[48:49], 0
	s_mov_b64 s[44:45], s[34:35]
	s_cbranch_scc1 .LBB2197_33
; %bb.30:
	s_andn2_b64 vcc, exec, s[40:41]
	s_cbranch_vccnz .LBB2197_179
; %bb.31:
	s_lshl_b64 s[44:45], s[48:49], 2
	s_add_u32 s44, s50, s44
	s_addc_u32 s45, s51, s45
	s_add_u32 s44, s44, -4
	s_addc_u32 s45, s45, -1
	s_cbranch_execnz .LBB2197_33
.LBB2197_32:
	s_add_u32 s44, s34, -4
	s_addc_u32 s45, s35, -1
.LBB2197_33:
	v_pk_mov_b32 v[14:15], s[44:45], s[44:45] op_sel:[0,1]
	flat_load_dword v44, v[14:15]
	s_movk_i32 s44, 0xffcc
	v_mad_i32_i24 v13, v0, s44, v1
	v_cmp_ne_u32_e32 vcc, 0, v0
	s_waitcnt lgkmcnt(0)
	ds_write_b32 v13, v41 offset:14336
	s_waitcnt lgkmcnt(0)
	s_barrier
	s_and_saveexec_b64 s[44:45], vcc
	s_cbranch_execz .LBB2197_35
; %bb.34:
	v_mul_i32_i24_e32 v13, 0xffffffcc, v0
	v_add_u32_e32 v13, v1, v13
	s_waitcnt vmcnt(0)
	ds_read_b32 v44, v13 offset:14332
.LBB2197_35:
	s_or_b64 exec, exec, s[44:45]
	s_waitcnt lgkmcnt(0)
	s_barrier
	s_waitcnt lgkmcnt(0)
                                        ; implicit-def: $vgpr13
	s_and_saveexec_b64 s[44:45], s[2:3]
	s_cbranch_execnz .LBB2197_166
; %bb.36:
	s_or_b64 exec, exec, s[44:45]
                                        ; implicit-def: $vgpr14
	s_and_saveexec_b64 s[2:3], s[4:5]
	s_cbranch_execnz .LBB2197_167
.LBB2197_37:
	s_or_b64 exec, exec, s[2:3]
                                        ; implicit-def: $vgpr15
	s_and_saveexec_b64 s[2:3], s[30:31]
	s_cbranch_execnz .LBB2197_168
.LBB2197_38:
	s_or_b64 exec, exec, s[2:3]
                                        ; implicit-def: $vgpr16
	s_and_saveexec_b64 s[2:3], s[8:9]
	s_cbranch_execnz .LBB2197_169
.LBB2197_39:
	s_or_b64 exec, exec, s[2:3]
                                        ; implicit-def: $vgpr17
	s_and_saveexec_b64 s[2:3], s[10:11]
	s_cbranch_execnz .LBB2197_170
.LBB2197_40:
	s_or_b64 exec, exec, s[2:3]
                                        ; implicit-def: $vgpr2
	s_and_saveexec_b64 s[2:3], s[12:13]
	s_cbranch_execnz .LBB2197_171
.LBB2197_41:
	s_or_b64 exec, exec, s[2:3]
                                        ; implicit-def: $vgpr3
	s_and_saveexec_b64 s[2:3], s[14:15]
	s_cbranch_execnz .LBB2197_172
.LBB2197_42:
	s_or_b64 exec, exec, s[2:3]
                                        ; implicit-def: $vgpr4
	s_and_saveexec_b64 s[2:3], s[16:17]
	s_cbranch_execnz .LBB2197_173
.LBB2197_43:
	s_or_b64 exec, exec, s[2:3]
                                        ; implicit-def: $vgpr5
	s_and_saveexec_b64 s[2:3], s[18:19]
	s_cbranch_execnz .LBB2197_174
.LBB2197_44:
	s_or_b64 exec, exec, s[2:3]
                                        ; implicit-def: $vgpr6
	s_and_saveexec_b64 s[2:3], s[20:21]
	s_cbranch_execnz .LBB2197_175
.LBB2197_45:
	s_or_b64 exec, exec, s[2:3]
                                        ; implicit-def: $vgpr7
	s_and_saveexec_b64 s[2:3], s[22:23]
	s_cbranch_execnz .LBB2197_176
.LBB2197_46:
	s_or_b64 exec, exec, s[2:3]
                                        ; implicit-def: $vgpr8
	s_and_saveexec_b64 s[2:3], s[24:25]
	s_cbranch_execnz .LBB2197_177
.LBB2197_47:
	s_or_b64 exec, exec, s[2:3]
                                        ; implicit-def: $vgpr9
	s_and_saveexec_b64 s[2:3], s[26:27]
	s_cbranch_execnz .LBB2197_178
.LBB2197_48:
	s_or_b64 exec, exec, s[2:3]
                                        ; implicit-def: $vgpr10
	s_and_saveexec_b64 s[2:3], s[28:29]
	s_cbranch_execz .LBB2197_50
.LBB2197_49:
	v_mov_b32_e32 v18, s55
	v_add_co_u32_e32 v10, vcc, s7, v11
	v_addc_co_u32_e32 v11, vcc, 0, v18, vcc
	flat_load_dword v10, v[10:11]
.LBB2197_50:
	s_or_b64 exec, exec, s[2:3]
	s_mov_b32 s8, 0
	s_mov_b32 s9, s8
	s_waitcnt vmcnt(0) lgkmcnt(0)
	ds_write2st64_b32 v12, v13, v14 offset1:4
	ds_write2st64_b32 v12, v15, v16 offset0:8 offset1:12
	ds_write2st64_b32 v12, v17, v2 offset0:16 offset1:20
	;; [unrolled: 1-line block ×6, first 2 shown]
	s_mov_b32 s10, s8
	s_mov_b32 s11, s8
	;; [unrolled: 1-line block ×6, first 2 shown]
	v_pk_mov_b32 v[2:3], s[8:9], s[8:9] op_sel:[0,1]
	v_pk_mov_b32 v[8:9], s[14:15], s[14:15] op_sel:[0,1]
	v_mul_u32_u24_e32 v42, 14, v0
	v_pk_mov_b32 v[4:5], s[10:11], s[10:11] op_sel:[0,1]
	v_pk_mov_b32 v[6:7], s[12:13], s[12:13] op_sel:[0,1]
	;; [unrolled: 1-line block ×4, first 2 shown]
	v_cmp_gt_u32_e32 vcc, s60, v42
	s_mov_b64 s[4:5], 0
	v_pk_mov_b32 v[38:39], 0, 0
	s_mov_b64 s[18:19], 0
	v_pk_mov_b32 v[14:15], v[6:7], v[6:7] op_sel:[0,1]
	v_pk_mov_b32 v[12:13], v[4:5], v[4:5] op_sel:[0,1]
	;; [unrolled: 1-line block ×6, first 2 shown]
	s_waitcnt lgkmcnt(0)
	s_barrier
	s_waitcnt lgkmcnt(0)
                                        ; implicit-def: $sgpr2_sgpr3
                                        ; implicit-def: $vgpr43
	s_and_saveexec_b64 s[16:17], vcc
	s_cbranch_execz .LBB2197_76
; %bb.51:
	v_or_b32_e32 v2, 1, v42
	ds_read_b32 v38, v1
	v_cmp_ne_u32_e32 vcc, v44, v34
	v_cndmask_b32_e64 v39, 0, 1, vcc
	v_cmp_gt_u32_e32 vcc, s60, v2
	v_pk_mov_b32 v[2:3], s[8:9], s[8:9] op_sel:[0,1]
	v_pk_mov_b32 v[8:9], s[14:15], s[14:15] op_sel:[0,1]
	;; [unrolled: 1-line block ×6, first 2 shown]
	s_mov_b64 s[20:21], 0
	v_pk_mov_b32 v[14:15], v[6:7], v[6:7] op_sel:[0,1]
	v_pk_mov_b32 v[12:13], v[4:5], v[4:5] op_sel:[0,1]
	;; [unrolled: 1-line block ×6, first 2 shown]
                                        ; implicit-def: $sgpr8_sgpr9
                                        ; implicit-def: $vgpr43
	s_and_saveexec_b64 s[18:19], vcc
	s_cbranch_execz .LBB2197_75
; %bb.52:
	ds_read2_b32 v[44:45], v1 offset0:1 offset1:2
	s_mov_b32 s8, 0
	s_mov_b32 s14, s8
	;; [unrolled: 1-line block ×8, first 2 shown]
	v_pk_mov_b32 v[16:17], s[14:15], s[14:15] op_sel:[0,1]
	v_add_u32_e32 v2, 2, v42
	v_cmp_ne_u32_e32 vcc, v34, v35
	v_mov_b32_e32 v6, 0
	v_pk_mov_b32 v[14:15], s[12:13], s[12:13] op_sel:[0,1]
	v_pk_mov_b32 v[12:13], s[10:11], s[10:11] op_sel:[0,1]
	;; [unrolled: 1-line block ×4, first 2 shown]
	v_cndmask_b32_e64 v3, 0, 1, vcc
	v_cmp_gt_u32_e32 vcc, s60, v2
	s_waitcnt lgkmcnt(0)
	v_mov_b32_e32 v2, v44
	v_mov_b32_e32 v4, v6
	;; [unrolled: 1-line block ×6, first 2 shown]
	s_mov_b64 s[2:3], 0
	v_pk_mov_b32 v[22:23], v[14:15], v[14:15] op_sel:[0,1]
	v_pk_mov_b32 v[20:21], v[12:13], v[12:13] op_sel:[0,1]
	;; [unrolled: 1-line block ×3, first 2 shown]
                                        ; implicit-def: $sgpr22_sgpr23
                                        ; implicit-def: $vgpr43
	s_and_saveexec_b64 s[20:21], vcc
	s_cbranch_execz .LBB2197_74
; %bb.53:
	v_pk_mov_b32 v[16:17], s[14:15], s[14:15] op_sel:[0,1]
	v_add_u32_e32 v2, 3, v42
	v_cmp_ne_u32_e32 vcc, v35, v36
	v_pk_mov_b32 v[14:15], s[12:13], s[12:13] op_sel:[0,1]
	v_pk_mov_b32 v[12:13], s[10:11], s[10:11] op_sel:[0,1]
	;; [unrolled: 1-line block ×4, first 2 shown]
	v_cndmask_b32_e64 v5, 0, 1, vcc
	v_cmp_gt_u32_e32 vcc, s60, v2
	v_mov_b32_e32 v2, v44
	v_mov_b32_e32 v4, v45
	;; [unrolled: 1-line block ×5, first 2 shown]
	v_pk_mov_b32 v[22:23], v[14:15], v[14:15] op_sel:[0,1]
	v_pk_mov_b32 v[20:21], v[12:13], v[12:13] op_sel:[0,1]
	;; [unrolled: 1-line block ×3, first 2 shown]
                                        ; implicit-def: $sgpr8_sgpr9
                                        ; implicit-def: $vgpr43
	s_and_saveexec_b64 s[22:23], vcc
	s_cbranch_execz .LBB2197_73
; %bb.54:
	ds_read2_b32 v[34:35], v1 offset0:3 offset1:4
	s_mov_b32 s8, 0
	s_mov_b32 s14, s8
	;; [unrolled: 1-line block ×8, first 2 shown]
	v_pk_mov_b32 v[16:17], s[14:15], s[14:15] op_sel:[0,1]
	v_add_u32_e32 v6, 4, v42
	v_cmp_ne_u32_e32 vcc, v36, v37
	v_pk_mov_b32 v[14:15], s[12:13], s[12:13] op_sel:[0,1]
	v_pk_mov_b32 v[12:13], s[10:11], s[10:11] op_sel:[0,1]
	;; [unrolled: 1-line block ×4, first 2 shown]
	v_cndmask_b32_e64 v7, 0, 1, vcc
	v_cmp_gt_u32_e32 vcc, s60, v6
	s_waitcnt lgkmcnt(0)
	v_mov_b32_e32 v6, v34
	v_mov_b32_e32 v8, s8
	;; [unrolled: 1-line block ×3, first 2 shown]
	v_pk_mov_b32 v[22:23], v[14:15], v[14:15] op_sel:[0,1]
	v_pk_mov_b32 v[20:21], v[12:13], v[12:13] op_sel:[0,1]
	;; [unrolled: 1-line block ×3, first 2 shown]
                                        ; implicit-def: $sgpr26_sgpr27
                                        ; implicit-def: $vgpr43
	s_and_saveexec_b64 s[24:25], vcc
	s_cbranch_execz .LBB2197_72
; %bb.55:
	v_pk_mov_b32 v[16:17], s[14:15], s[14:15] op_sel:[0,1]
	v_add_u32_e32 v8, 5, v42
	v_cmp_ne_u32_e32 vcc, v37, v30
	v_pk_mov_b32 v[14:15], s[12:13], s[12:13] op_sel:[0,1]
	v_pk_mov_b32 v[12:13], s[10:11], s[10:11] op_sel:[0,1]
	;; [unrolled: 1-line block ×4, first 2 shown]
	v_cndmask_b32_e64 v9, 0, 1, vcc
	v_cmp_gt_u32_e32 vcc, s60, v8
	v_mov_b32_e32 v8, v35
	v_pk_mov_b32 v[22:23], v[14:15], v[14:15] op_sel:[0,1]
	v_pk_mov_b32 v[20:21], v[12:13], v[12:13] op_sel:[0,1]
	;; [unrolled: 1-line block ×3, first 2 shown]
                                        ; implicit-def: $sgpr8_sgpr9
                                        ; implicit-def: $vgpr43
	s_and_saveexec_b64 s[26:27], vcc
	s_cbranch_execz .LBB2197_71
; %bb.56:
	ds_read2_b32 v[34:35], v1 offset0:5 offset1:6
	s_mov_b32 s8, 0
	s_mov_b32 s14, s8
	;; [unrolled: 1-line block ×3, first 2 shown]
	v_add_u32_e32 v10, 6, v42
	v_cmp_ne_u32_e32 vcc, v30, v31
	v_mov_b32_e32 v14, 0
	s_mov_b32 s9, s8
	s_mov_b32 s10, s8
	;; [unrolled: 1-line block ×5, first 2 shown]
	v_pk_mov_b32 v[24:25], s[14:15], s[14:15] op_sel:[0,1]
	v_cndmask_b32_e64 v11, 0, 1, vcc
	v_cmp_gt_u32_e32 vcc, s60, v10
	s_waitcnt lgkmcnt(0)
	v_mov_b32_e32 v10, v34
	v_mov_b32_e32 v12, v14
	;; [unrolled: 1-line block ×6, first 2 shown]
	v_pk_mov_b32 v[22:23], s[12:13], s[12:13] op_sel:[0,1]
	v_pk_mov_b32 v[20:21], s[10:11], s[10:11] op_sel:[0,1]
	;; [unrolled: 1-line block ×3, first 2 shown]
                                        ; implicit-def: $sgpr30_sgpr31
                                        ; implicit-def: $vgpr43
	s_and_saveexec_b64 s[28:29], vcc
	s_cbranch_execz .LBB2197_70
; %bb.57:
	v_add_u32_e32 v10, 7, v42
	v_cmp_ne_u32_e32 vcc, v31, v32
	v_pk_mov_b32 v[24:25], s[14:15], s[14:15] op_sel:[0,1]
	v_cndmask_b32_e64 v13, 0, 1, vcc
	v_cmp_gt_u32_e32 vcc, s60, v10
	v_mov_b32_e32 v10, v34
	v_mov_b32_e32 v12, v35
	;; [unrolled: 1-line block ×5, first 2 shown]
	v_pk_mov_b32 v[22:23], s[12:13], s[12:13] op_sel:[0,1]
	v_pk_mov_b32 v[20:21], s[10:11], s[10:11] op_sel:[0,1]
	;; [unrolled: 1-line block ×3, first 2 shown]
                                        ; implicit-def: $sgpr8_sgpr9
                                        ; implicit-def: $vgpr43
	s_and_saveexec_b64 s[30:31], vcc
	s_cbranch_execz .LBB2197_69
; %bb.58:
	ds_read2_b32 v[30:31], v1 offset0:7 offset1:8
	s_mov_b32 s8, 0
	s_mov_b32 s14, s8
	;; [unrolled: 1-line block ×3, first 2 shown]
	v_add_u32_e32 v14, 8, v42
	v_cmp_ne_u32_e32 vcc, v32, v33
	s_mov_b32 s9, s8
	s_mov_b32 s10, s8
	;; [unrolled: 1-line block ×5, first 2 shown]
	v_pk_mov_b32 v[24:25], s[14:15], s[14:15] op_sel:[0,1]
	v_cndmask_b32_e64 v15, 0, 1, vcc
	v_cmp_gt_u32_e32 vcc, s60, v14
	s_waitcnt lgkmcnt(0)
	v_mov_b32_e32 v14, v30
	v_mov_b32_e32 v16, s8
	v_mov_b32_e32 v17, s8
	v_pk_mov_b32 v[22:23], s[12:13], s[12:13] op_sel:[0,1]
	v_pk_mov_b32 v[20:21], s[10:11], s[10:11] op_sel:[0,1]
	v_pk_mov_b32 v[18:19], s[8:9], s[8:9] op_sel:[0,1]
                                        ; implicit-def: $sgpr58_sgpr59
                                        ; implicit-def: $vgpr43
	s_and_saveexec_b64 s[44:45], vcc
	s_cbranch_execz .LBB2197_68
; %bb.59:
	v_add_u32_e32 v16, 9, v42
	v_cmp_ne_u32_e32 vcc, v33, v26
	v_pk_mov_b32 v[24:25], s[14:15], s[14:15] op_sel:[0,1]
	v_cndmask_b32_e64 v17, 0, 1, vcc
	v_cmp_gt_u32_e32 vcc, s60, v16
	v_mov_b32_e32 v16, v31
	v_pk_mov_b32 v[22:23], s[12:13], s[12:13] op_sel:[0,1]
	v_pk_mov_b32 v[20:21], s[10:11], s[10:11] op_sel:[0,1]
	;; [unrolled: 1-line block ×3, first 2 shown]
                                        ; implicit-def: $sgpr10_sgpr11
                                        ; implicit-def: $vgpr43
	s_and_saveexec_b64 s[8:9], vcc
	s_cbranch_execz .LBB2197_67
; %bb.60:
	ds_read2_b32 v[30:31], v1 offset0:9 offset1:10
	v_add_u32_e32 v18, 10, v42
	v_cmp_ne_u32_e32 vcc, v26, v27
	v_mov_b32_e32 v22, 0
	v_cndmask_b32_e64 v19, 0, 1, vcc
	v_cmp_gt_u32_e32 vcc, s60, v18
	s_waitcnt lgkmcnt(0)
	v_mov_b32_e32 v18, v30
	v_mov_b32_e32 v20, v22
	;; [unrolled: 1-line block ×6, first 2 shown]
                                        ; implicit-def: $sgpr12_sgpr13
                                        ; implicit-def: $vgpr43
	s_and_saveexec_b64 s[10:11], vcc
	s_cbranch_execz .LBB2197_66
; %bb.61:
	v_add_u32_e32 v18, 11, v42
	v_cmp_ne_u32_e32 vcc, v27, v28
	v_cndmask_b32_e64 v21, 0, 1, vcc
	v_cmp_gt_u32_e32 vcc, s60, v18
	s_mov_b32 s58, 0
	v_mov_b32_e32 v18, v30
	v_mov_b32_e32 v20, v31
	;; [unrolled: 1-line block ×5, first 2 shown]
                                        ; implicit-def: $sgpr14_sgpr15
                                        ; implicit-def: $vgpr43
	s_and_saveexec_b64 s[12:13], vcc
	s_cbranch_execz .LBB2197_65
; %bb.62:
	ds_read2_b32 v[26:27], v1 offset0:11 offset1:12
	v_add_u32_e32 v22, 12, v42
	v_cmp_ne_u32_e32 vcc, v28, v29
	v_cndmask_b32_e64 v23, 0, 1, vcc
	v_cmp_gt_u32_e32 vcc, s60, v22
	s_waitcnt lgkmcnt(0)
	v_mov_b32_e32 v22, v26
	v_mov_b32_e32 v24, s58
	v_mov_b32_e32 v25, s58
                                        ; implicit-def: $sgpr14_sgpr15
                                        ; implicit-def: $vgpr43
	s_and_saveexec_b64 s[58:59], vcc
	s_xor_b64 s[58:59], exec, s[58:59]
	s_cbranch_execz .LBB2197_64
; %bb.63:
	ds_read_b32 v43, v1 offset:52
	v_add_u32_e32 v1, 13, v42
	v_cmp_ne_u32_e64 s[2:3], v29, v40
	v_cmp_ne_u32_e32 vcc, v40, v41
	v_cndmask_b32_e64 v25, 0, 1, s[2:3]
	v_cmp_gt_u32_e64 s[2:3], s60, v1
	v_mov_b32_e32 v24, v27
	s_and_b64 s[14:15], vcc, exec
	s_and_b64 s[2:3], s[2:3], exec
.LBB2197_64:
	s_or_b64 exec, exec, s[58:59]
	s_and_b64 s[14:15], s[14:15], exec
	s_and_b64 s[2:3], s[2:3], exec
.LBB2197_65:
	s_or_b64 exec, exec, s[12:13]
	s_and_b64 s[12:13], s[14:15], exec
	s_and_b64 s[2:3], s[2:3], exec
.LBB2197_66:
	s_or_b64 exec, exec, s[10:11]
	s_and_b64 s[10:11], s[12:13], exec
	s_and_b64 s[2:3], s[2:3], exec
.LBB2197_67:
	s_or_b64 exec, exec, s[8:9]
	s_and_b64 s[58:59], s[10:11], exec
	s_and_b64 s[2:3], s[2:3], exec
.LBB2197_68:
	s_or_b64 exec, exec, s[44:45]
	s_and_b64 s[8:9], s[58:59], exec
	s_and_b64 s[2:3], s[2:3], exec
.LBB2197_69:
	s_or_b64 exec, exec, s[30:31]
	s_and_b64 s[30:31], s[8:9], exec
	s_and_b64 s[2:3], s[2:3], exec
.LBB2197_70:
	s_or_b64 exec, exec, s[28:29]
	s_and_b64 s[8:9], s[30:31], exec
	s_and_b64 s[2:3], s[2:3], exec
.LBB2197_71:
	s_or_b64 exec, exec, s[26:27]
	s_and_b64 s[26:27], s[8:9], exec
	s_and_b64 s[2:3], s[2:3], exec
.LBB2197_72:
	s_or_b64 exec, exec, s[24:25]
	s_and_b64 s[8:9], s[26:27], exec
	s_and_b64 s[2:3], s[2:3], exec
.LBB2197_73:
	s_or_b64 exec, exec, s[22:23]
	s_and_b64 s[22:23], s[8:9], exec
	s_and_b64 s[2:3], s[2:3], exec
.LBB2197_74:
	s_or_b64 exec, exec, s[20:21]
	s_and_b64 s[8:9], s[22:23], exec
	s_and_b64 s[20:21], s[2:3], exec
.LBB2197_75:
	s_or_b64 exec, exec, s[18:19]
	s_and_b64 s[2:3], s[8:9], exec
	s_and_b64 s[18:19], s[20:21], exec
.LBB2197_76:
	s_or_b64 exec, exec, s[16:17]
	s_and_b64 vcc, exec, s[4:5]
	v_lshlrev_b32_e32 v50, 2, v0
	s_cbranch_vccnz .LBB2197_78
	s_branch .LBB2197_86
.LBB2197_77:
                                        ; implicit-def: $sgpr2_sgpr3
                                        ; implicit-def: $vgpr2_vgpr3_vgpr4_vgpr5_vgpr6_vgpr7_vgpr8_vgpr9
                                        ; implicit-def: $vgpr10_vgpr11_vgpr12_vgpr13_vgpr14_vgpr15_vgpr16_vgpr17
                                        ; implicit-def: $vgpr18_vgpr19_vgpr20_vgpr21_vgpr22_vgpr23_vgpr24_vgpr25
                                        ; implicit-def: $vgpr43
                                        ; implicit-def: $vgpr38_vgpr39
	s_and_b64 vcc, exec, s[4:5]
	v_lshlrev_b32_e32 v50, 2, v0
	s_cbranch_vccz .LBB2197_86
.LBB2197_78:
	v_mov_b32_e32 v1, s35
	v_add_co_u32_e32 v2, vcc, s34, v50
	v_addc_co_u32_e32 v3, vcc, 0, v1, vcc
	v_add_co_u32_e32 v4, vcc, 0x1000, v2
	v_addc_co_u32_e32 v5, vcc, 0, v3, vcc
	flat_load_dword v6, v[2:3]
	flat_load_dword v7, v[2:3] offset:1024
	flat_load_dword v8, v[2:3] offset:2048
	;; [unrolled: 1-line block ×3, first 2 shown]
	flat_load_dword v10, v[4:5]
	flat_load_dword v11, v[4:5] offset:1024
	flat_load_dword v12, v[4:5] offset:2048
	;; [unrolled: 1-line block ×3, first 2 shown]
	v_add_co_u32_e32 v4, vcc, 0x2000, v2
	v_addc_co_u32_e32 v5, vcc, 0, v3, vcc
	v_add_co_u32_e32 v2, vcc, 0x3000, v2
	v_addc_co_u32_e32 v3, vcc, 0, v3, vcc
	flat_load_dword v14, v[4:5]
	flat_load_dword v15, v[4:5] offset:1024
	flat_load_dword v16, v[4:5] offset:2048
	flat_load_dword v17, v[4:5] offset:3072
	flat_load_dword v18, v[2:3]
	flat_load_dword v19, v[2:3] offset:1024
	v_mad_u32_u24 v1, v0, 52, v50
	s_cmp_eq_u64 s[48:49], 0
	s_waitcnt vmcnt(0) lgkmcnt(0)
	ds_write2st64_b32 v50, v6, v7 offset1:4
	ds_write2st64_b32 v50, v8, v9 offset0:8 offset1:12
	ds_write2st64_b32 v50, v10, v11 offset0:16 offset1:20
	;; [unrolled: 1-line block ×6, first 2 shown]
	s_waitcnt lgkmcnt(0)
	s_barrier
	ds_read2_b64 v[2:5], v1 offset1:1
	ds_read2_b64 v[10:13], v1 offset0:2 offset1:3
	ds_read2_b64 v[18:21], v1 offset0:4 offset1:5
	ds_read_b64 v[6:7], v1 offset:48
	s_cbranch_scc1 .LBB2197_83
; %bb.79:
	s_andn2_b64 vcc, exec, s[40:41]
	s_cbranch_vccnz .LBB2197_180
; %bb.80:
	s_lshl_b64 s[2:3], s[48:49], 2
	s_add_u32 s2, s50, s2
	s_addc_u32 s3, s51, s3
	s_add_u32 s2, s2, -4
	s_addc_u32 s3, s3, -1
	s_cbranch_execnz .LBB2197_82
.LBB2197_81:
	s_add_u32 s2, s34, -4
	s_addc_u32 s3, s35, -1
.LBB2197_82:
	s_mov_b64 s[34:35], s[2:3]
.LBB2197_83:
	v_pk_mov_b32 v[8:9], s[34:35], s[34:35] op_sel:[0,1]
	flat_load_dword v8, v[8:9]
	s_movk_i32 s2, 0xffcc
	v_mad_i32_i24 v9, v0, s2, v1
	v_cmp_ne_u32_e32 vcc, 0, v0
	s_waitcnt lgkmcnt(0)
	ds_write_b32 v9, v7 offset:14336
	s_waitcnt lgkmcnt(0)
	s_barrier
	s_and_saveexec_b64 s[2:3], vcc
	s_cbranch_execz .LBB2197_85
; %bb.84:
	s_waitcnt vmcnt(0)
	v_mul_i32_i24_e32 v8, 0xffffffcc, v0
	v_add_u32_e32 v8, v1, v8
	ds_read_b32 v8, v8 offset:14332
.LBB2197_85:
	s_or_b64 exec, exec, s[2:3]
	v_mov_b32_e32 v9, s55
	v_add_co_u32_e32 v14, vcc, s7, v50
	v_addc_co_u32_e32 v15, vcc, 0, v9, vcc
	s_movk_i32 s2, 0x1000
	v_add_co_u32_e32 v16, vcc, s2, v14
	v_addc_co_u32_e32 v17, vcc, 0, v15, vcc
	s_movk_i32 s2, 0x2000
	s_waitcnt lgkmcnt(0)
	s_barrier
	flat_load_dword v22, v[14:15]
	flat_load_dword v24, v[14:15] offset:1024
	flat_load_dword v26, v[14:15] offset:2048
	;; [unrolled: 1-line block ×3, first 2 shown]
	flat_load_dword v28, v[16:17]
	flat_load_dword v29, v[16:17] offset:1024
	flat_load_dword v30, v[16:17] offset:2048
	;; [unrolled: 1-line block ×3, first 2 shown]
	v_add_co_u32_e32 v16, vcc, s2, v14
	v_addc_co_u32_e32 v17, vcc, 0, v15, vcc
	s_movk_i32 s2, 0x3000
	v_add_co_u32_e32 v14, vcc, s2, v14
	v_addc_co_u32_e32 v15, vcc, 0, v15, vcc
	flat_load_dword v32, v[16:17]
	flat_load_dword v33, v[16:17] offset:1024
	flat_load_dword v34, v[16:17] offset:2048
	;; [unrolled: 1-line block ×3, first 2 shown]
	flat_load_dword v36, v[14:15]
	flat_load_dword v37, v[14:15] offset:1024
	s_waitcnt vmcnt(0)
	v_cmp_ne_u32_e32 vcc, v8, v2
	v_cndmask_b32_e64 v39, 0, 1, vcc
	v_cmp_ne_u32_e32 vcc, v5, v10
	v_cndmask_b32_e64 v9, 0, 1, vcc
	v_cmp_ne_u32_e32 vcc, v4, v5
	v_cmp_ne_u32_e64 s[2:3], v6, v7
	v_cndmask_b32_e64 v7, 0, 1, vcc
	v_cmp_ne_u32_e32 vcc, v3, v4
	v_cndmask_b32_e64 v5, 0, 1, vcc
	v_cmp_ne_u32_e32 vcc, v2, v3
	;; [unrolled: 2-line block ×10, first 2 shown]
	v_cndmask_b32_e64 v19, 0, 1, vcc
	s_mov_b64 s[18:19], -1
                                        ; implicit-def: $sgpr4_sgpr5
	s_waitcnt lgkmcnt(0)
	ds_write2st64_b32 v50, v22, v24 offset1:4
	ds_write2st64_b32 v50, v26, v27 offset0:8 offset1:12
	ds_write2st64_b32 v50, v28, v29 offset0:16 offset1:20
	;; [unrolled: 1-line block ×6, first 2 shown]
	s_waitcnt lgkmcnt(0)
	s_barrier
	ds_read2_b32 v[42:43], v1 offset1:13
	ds_read2_b32 v[26:27], v1 offset0:7 offset1:8
	ds_read2_b32 v[28:29], v1 offset0:5 offset1:6
	;; [unrolled: 1-line block ×6, first 2 shown]
	s_waitcnt lgkmcnt(6)
	v_mov_b32_e32 v38, v42
	s_waitcnt lgkmcnt(4)
	v_mov_b32_e32 v10, v28
	;; [unrolled: 2-line block ×4, first 2 shown]
	v_mov_b32_e32 v4, v33
	v_mov_b32_e32 v8, v31
	;; [unrolled: 1-line block ×5, first 2 shown]
	s_waitcnt lgkmcnt(0)
	v_mov_b32_e32 v18, v36
	v_mov_b32_e32 v20, v37
	;; [unrolled: 1-line block ×4, first 2 shown]
.LBB2197_86:
	v_pk_mov_b32 v[40:41], s[4:5], s[4:5] op_sel:[0,1]
	s_and_saveexec_b64 s[4:5], s[18:19]
	s_cbranch_execz .LBB2197_88
; %bb.87:
	v_cndmask_b32_e64 v41, 0, 1, s[2:3]
	s_waitcnt lgkmcnt(0)
	v_mov_b32_e32 v40, v43
.LBB2197_88:
	s_or_b64 exec, exec, s[4:5]
	s_mov_b32 s26, 0
	s_cmp_lg_u32 s6, 0
	v_mbcnt_lo_u32_b32 v52, -1, 0
	v_lshrrev_b32_e32 v1, 6, v0
	v_or_b32_e32 v51, 63, v0
	s_waitcnt lgkmcnt(0)
	s_barrier
	s_cbranch_scc0 .LBB2197_117
; %bb.89:
	s_mov_b32 s27, 1
	v_cmp_gt_u64_e64 s[2:3], s[26:27], v[2:3]
	v_cndmask_b32_e64 v27, 0, v38, s[2:3]
	v_add_u32_e32 v27, v27, v2
	v_cmp_gt_u64_e64 s[4:5], s[26:27], v[4:5]
	v_cndmask_b32_e64 v27, 0, v27, s[4:5]
	v_add_u32_e32 v27, v27, v4
	;; [unrolled: 3-line block ×13, first 2 shown]
	v_or3_b32 v27, v41, v25, v23
	v_or3_b32 v27, v27, v21, v19
	;; [unrolled: 1-line block ×6, first 2 shown]
	v_mov_b32_e32 v26, 0
	v_and_b32_e32 v27, 1, v27
	v_cmp_eq_u64_e32 vcc, 0, v[26:27]
	v_cndmask_b32_e32 v26, 1, v39, vcc
	v_mbcnt_hi_u32_b32 v46, -1, v52
	v_mov_b32_dpp v29, v28 row_shr:1 row_mask:0xf bank_mask:0xf
	v_mov_b32_dpp v30, v26 row_shr:1 row_mask:0xf bank_mask:0xf
	v_cmp_eq_u32_e32 vcc, 0, v26
	v_and_b32_e32 v31, 1, v26
	v_and_b32_e32 v27, 15, v46
	v_cndmask_b32_e32 v29, 0, v29, vcc
	v_and_b32_e32 v30, 1, v30
	v_cmp_eq_u32_e32 vcc, 1, v31
	v_cndmask_b32_e64 v30, v30, 1, vcc
	v_cmp_eq_u32_e32 vcc, 0, v27
	v_cndmask_b32_e32 v26, v30, v26, vcc
	v_and_b32_e32 v31, 1, v26
	v_cmp_eq_u32_e64 s[28:29], 1, v31
	v_mov_b32_dpp v30, v26 row_shr:2 row_mask:0xf bank_mask:0xf
	v_and_b32_e32 v30, 1, v30
	v_cndmask_b32_e64 v30, v30, 1, s[28:29]
	v_cmp_lt_u32_e64 s[28:29], 1, v27
	v_cndmask_b32_e64 v29, v29, 0, vcc
	v_cmp_eq_u32_e32 vcc, 0, v26
	v_cndmask_b32_e64 v26, v26, v30, s[28:29]
	v_add_u32_e32 v28, v29, v28
	v_and_b32_e32 v31, 1, v26
	v_mov_b32_dpp v30, v26 row_shr:4 row_mask:0xf bank_mask:0xf
	v_mov_b32_dpp v29, v28 row_shr:2 row_mask:0xf bank_mask:0xf
	s_and_b64 vcc, s[28:29], vcc
	v_and_b32_e32 v30, 1, v30
	v_cmp_eq_u32_e64 s[28:29], 1, v31
	v_cndmask_b32_e32 v29, 0, v29, vcc
	v_cndmask_b32_e64 v30, v30, 1, s[28:29]
	v_cmp_lt_u32_e64 s[28:29], 3, v27
	v_add_u32_e32 v28, v29, v28
	v_cmp_eq_u32_e32 vcc, 0, v26
	v_cndmask_b32_e64 v26, v26, v30, s[28:29]
	v_mov_b32_dpp v29, v28 row_shr:4 row_mask:0xf bank_mask:0xf
	s_and_b64 vcc, s[28:29], vcc
	v_mov_b32_dpp v30, v26 row_shr:8 row_mask:0xf bank_mask:0xf
	v_and_b32_e32 v31, 1, v26
	v_cndmask_b32_e32 v29, 0, v29, vcc
	v_and_b32_e32 v30, 1, v30
	v_cmp_eq_u32_e64 s[28:29], 1, v31
	v_add_u32_e32 v28, v29, v28
	v_cmp_eq_u32_e32 vcc, 0, v26
	v_cndmask_b32_e64 v30, v30, 1, s[28:29]
	v_cmp_lt_u32_e64 s[28:29], 7, v27
	v_mov_b32_dpp v29, v28 row_shr:8 row_mask:0xf bank_mask:0xf
	s_and_b64 vcc, s[28:29], vcc
	v_cndmask_b32_e32 v27, 0, v29, vcc
	v_cndmask_b32_e64 v26, v26, v30, s[28:29]
	v_add_u32_e32 v27, v27, v28
	v_cmp_eq_u32_e32 vcc, 0, v26
	v_mov_b32_dpp v29, v26 row_bcast:15 row_mask:0xf bank_mask:0xf
	v_mov_b32_dpp v28, v27 row_bcast:15 row_mask:0xf bank_mask:0xf
	v_and_b32_e32 v32, 1, v26
	v_and_b32_e32 v31, 16, v46
	v_cndmask_b32_e32 v28, 0, v28, vcc
	v_and_b32_e32 v29, 1, v29
	v_cmp_eq_u32_e32 vcc, 1, v32
	v_bfe_i32 v30, v46, 4, 1
	v_cndmask_b32_e64 v29, v29, 1, vcc
	v_cmp_eq_u32_e32 vcc, 0, v31
	v_and_b32_e32 v28, v30, v28
	v_cndmask_b32_e32 v26, v29, v26, vcc
	v_add_u32_e32 v27, v28, v27
	v_and_b32_e32 v30, 1, v26
	v_mov_b32_dpp v28, v26 row_bcast:31 row_mask:0xf bank_mask:0xf
	v_and_b32_e32 v28, 1, v28
	v_cmp_eq_u32_e64 s[28:29], 1, v30
	v_cmp_eq_u32_e32 vcc, 0, v26
	v_cndmask_b32_e64 v28, v28, 1, s[28:29]
	v_cmp_lt_u32_e64 s[28:29], 31, v46
	v_mov_b32_dpp v29, v27 row_bcast:31 row_mask:0xf bank_mask:0xf
	s_and_b64 vcc, s[28:29], vcc
	v_cndmask_b32_e64 v28, v26, v28, s[28:29]
	v_cndmask_b32_e32 v26, 0, v29, vcc
	v_add_u32_e32 v29, v26, v27
	v_cmp_eq_u32_e32 vcc, v51, v0
	s_and_saveexec_b64 s[28:29], vcc
	s_cbranch_execz .LBB2197_91
; %bb.90:
	v_lshlrev_b32_e32 v26, 3, v1
	ds_write_b32 v26, v29
	ds_write_b8 v26, v28 offset:4
.LBB2197_91:
	s_or_b64 exec, exec, s[28:29]
	v_cmp_gt_u32_e32 vcc, 4, v0
	s_waitcnt lgkmcnt(0)
	s_barrier
	s_and_saveexec_b64 s[28:29], vcc
	s_cbranch_execz .LBB2197_95
; %bb.92:
	v_lshlrev_b32_e32 v30, 3, v0
	ds_read_b64 v[26:27], v30
	v_and_b32_e32 v31, 3, v46
	v_cmp_ne_u32_e32 vcc, 0, v31
	s_waitcnt lgkmcnt(0)
	v_mov_b32_dpp v32, v26 row_shr:1 row_mask:0xf bank_mask:0xf
	v_mov_b32_dpp v34, v27 row_shr:1 row_mask:0xf bank_mask:0xf
	v_mov_b32_e32 v33, v27
	s_and_saveexec_b64 s[34:35], vcc
	s_cbranch_execz .LBB2197_94
; %bb.93:
	v_and_b32_e32 v33, 1, v27
	v_and_b32_e32 v34, 1, v34
	v_cmp_eq_u32_e32 vcc, 1, v33
	v_mov_b32_e32 v33, 0
	v_cndmask_b32_e64 v34, v34, 1, vcc
	v_cmp_eq_u16_sdwa vcc, v27, v33 src0_sel:BYTE_0 src1_sel:DWORD
	v_cndmask_b32_e32 v32, 0, v32, vcc
	v_add_u32_e32 v26, v32, v26
	v_and_b32_e32 v32, 0xffff, v34
	s_movk_i32 s7, 0xff00
	v_and_or_b32 v33, v27, s7, v32
	v_mov_b32_e32 v27, v34
.LBB2197_94:
	s_or_b64 exec, exec, s[34:35]
	v_mov_b32_dpp v33, v33 row_shr:2 row_mask:0xf bank_mask:0xf
	v_and_b32_e32 v34, 1, v27
	v_and_b32_e32 v33, 1, v33
	v_cmp_eq_u32_e32 vcc, 1, v34
	v_mov_b32_e32 v34, 0
	v_cndmask_b32_e64 v33, v33, 1, vcc
	v_cmp_eq_u16_sdwa s[34:35], v27, v34 src0_sel:BYTE_0 src1_sel:DWORD
	v_cmp_lt_u32_e32 vcc, 1, v31
	v_mov_b32_dpp v32, v26 row_shr:2 row_mask:0xf bank_mask:0xf
	v_cndmask_b32_e32 v27, v27, v33, vcc
	s_and_b64 vcc, vcc, s[34:35]
	v_cndmask_b32_e32 v31, 0, v32, vcc
	v_add_u32_e32 v26, v31, v26
	ds_write_b32 v30, v26
	ds_write_b8 v30, v27 offset:4
.LBB2197_95:
	s_or_b64 exec, exec, s[28:29]
	v_cmp_gt_u32_e32 vcc, 64, v0
	v_cmp_lt_u32_e64 s[28:29], 63, v0
	v_mov_b32_e32 v42, 0
	v_mov_b32_e32 v43, 0
	s_waitcnt lgkmcnt(0)
	s_barrier
	s_and_saveexec_b64 s[34:35], s[28:29]
	s_cbranch_execz .LBB2197_97
; %bb.96:
	v_lshl_add_u32 v26, v1, 3, -8
	ds_read_b32 v42, v26
	ds_read_u8 v43, v26 offset:4
	v_and_b32_e32 v27, 1, v28
	v_cmp_eq_u32_e64 s[28:29], 0, v28
	s_waitcnt lgkmcnt(1)
	v_cndmask_b32_e64 v26, 0, v42, s[28:29]
	v_cmp_eq_u32_e64 s[28:29], 1, v27
	v_add_u32_e32 v29, v26, v29
	s_waitcnt lgkmcnt(0)
	v_cndmask_b32_e64 v28, v43, 1, s[28:29]
.LBB2197_97:
	s_or_b64 exec, exec, s[34:35]
	v_add_u32_e32 v26, -1, v46
	v_and_b32_e32 v27, 64, v46
	v_cmp_lt_i32_e64 s[28:29], v26, v27
	v_cndmask_b32_e64 v26, v26, v46, s[28:29]
	v_lshlrev_b32_e32 v26, 2, v26
	ds_bpermute_b32 v44, v26, v29
	ds_bpermute_b32 v45, v26, v28
	v_cmp_eq_u32_e64 s[28:29], 0, v46
	s_and_saveexec_b64 s[40:41], vcc
	s_cbranch_execz .LBB2197_116
; %bb.98:
	v_mov_b32_e32 v29, 0
	ds_read_b64 v[26:27], v29 offset:24
	s_waitcnt lgkmcnt(0)
	v_readfirstlane_b32 s7, v27
	s_and_saveexec_b64 s[34:35], s[28:29]
	s_cbranch_execz .LBB2197_100
; %bb.99:
	s_add_i32 s44, s6, 64
	s_mov_b32 s45, 0
	s_lshl_b64 s[48:49], s[44:45], 4
	s_add_u32 s48, s52, s48
	s_addc_u32 s49, s53, s49
	s_and_b32 s51, s7, 0xff000000
	s_mov_b32 s50, s45
	s_and_b32 s59, s7, 0xff0000
	s_mov_b32 s58, s45
	s_or_b64 s[50:51], s[58:59], s[50:51]
	s_and_b32 s59, s7, 0xff00
	s_or_b64 s[50:51], s[50:51], s[58:59]
	s_and_b32 s59, s7, 0xff
	s_or_b64 s[44:45], s[50:51], s[58:59]
	v_mov_b32_e32 v27, s45
	v_mov_b32_e32 v28, 1
	v_pk_mov_b32 v[30:31], s[48:49], s[48:49] op_sel:[0,1]
	;;#ASMSTART
	global_store_dwordx4 v[30:31], v[26:29] off	
s_waitcnt vmcnt(0)
	;;#ASMEND
.LBB2197_100:
	s_or_b64 exec, exec, s[34:35]
	v_xad_u32 v34, v46, -1, s6
	v_add_u32_e32 v28, 64, v34
	v_lshlrev_b64 v[30:31], 4, v[28:29]
	v_mov_b32_e32 v27, s53
	v_add_co_u32_e32 v36, vcc, s52, v30
	v_addc_co_u32_e32 v37, vcc, v27, v31, vcc
	;;#ASMSTART
	global_load_dwordx4 v[30:33], v[36:37] off glc	
s_waitcnt vmcnt(0)
	;;#ASMEND
	v_and_b32_e32 v27, 0xff0000, v30
	v_or_b32_sdwa v27, v30, v27 dst_sel:DWORD dst_unused:UNUSED_PAD src0_sel:WORD_0 src1_sel:DWORD
	v_and_b32_e32 v28, 0xff000000, v30
	v_and_b32_e32 v30, 0xff, v31
	v_or3_b32 v31, 0, 0, v30
	v_or3_b32 v30, v27, v28, 0
	v_cmp_eq_u16_sdwa s[44:45], v32, v29 src0_sel:BYTE_0 src1_sel:DWORD
	s_and_saveexec_b64 s[34:35], s[44:45]
	s_cbranch_execz .LBB2197_104
; %bb.101:
	s_mov_b64 s[44:45], 0
	v_mov_b32_e32 v27, 0
.LBB2197_102:                           ; =>This Inner Loop Header: Depth=1
	;;#ASMSTART
	global_load_dwordx4 v[30:33], v[36:37] off glc	
s_waitcnt vmcnt(0)
	;;#ASMEND
	v_cmp_ne_u16_sdwa s[48:49], v32, v27 src0_sel:BYTE_0 src1_sel:DWORD
	s_or_b64 s[44:45], s[48:49], s[44:45]
	s_andn2_b64 exec, exec, s[44:45]
	s_cbranch_execnz .LBB2197_102
; %bb.103:
	s_or_b64 exec, exec, s[44:45]
	v_and_b32_e32 v31, 0xff, v31
.LBB2197_104:
	s_or_b64 exec, exec, s[34:35]
	v_mov_b32_e32 v27, 2
	v_cmp_eq_u16_sdwa s[34:35], v32, v27 src0_sel:BYTE_0 src1_sel:DWORD
	v_lshlrev_b64 v[28:29], v46, -1
	v_and_b32_e32 v33, s35, v29
	v_or_b32_e32 v33, 0x80000000, v33
	v_and_b32_e32 v35, s34, v28
	v_ffbl_b32_e32 v33, v33
	v_and_b32_e32 v47, 63, v46
	v_add_u32_e32 v33, 32, v33
	v_ffbl_b32_e32 v35, v35
	v_cmp_ne_u32_e32 vcc, 63, v47
	v_min_u32_e32 v33, v35, v33
	v_addc_co_u32_e32 v35, vcc, 0, v46, vcc
	v_lshlrev_b32_e32 v48, 2, v35
	ds_bpermute_b32 v35, v48, v31
	ds_bpermute_b32 v36, v48, v30
	s_mov_b32 s44, 0
	v_and_b32_e32 v37, 1, v31
	s_mov_b32 s45, 1
	s_waitcnt lgkmcnt(1)
	v_and_b32_e32 v35, 1, v35
	v_cmp_eq_u32_e32 vcc, 1, v37
	v_cndmask_b32_e64 v35, v35, 1, vcc
	v_cmp_gt_u64_e32 vcc, s[44:45], v[30:31]
	v_cmp_lt_u32_e64 s[34:35], v47, v33
	s_and_b64 vcc, s[34:35], vcc
	v_and_b32_e32 v37, 0xffff, v35
	v_cndmask_b32_e64 v54, v31, v35, s[34:35]
	s_waitcnt lgkmcnt(0)
	v_cndmask_b32_e32 v35, 0, v36, vcc
	v_cmp_gt_u32_e32 vcc, 62, v47
	v_cndmask_b32_e64 v36, 0, 1, vcc
	v_lshlrev_b32_e32 v36, 1, v36
	v_cndmask_b32_e64 v31, v31, v37, s[34:35]
	v_add_lshl_u32 v49, v36, v46, 2
	ds_bpermute_b32 v36, v49, v31
	v_add_u32_e32 v30, v35, v30
	ds_bpermute_b32 v37, v49, v30
	v_and_b32_e32 v35, 1, v54
	v_cmp_eq_u32_e32 vcc, 1, v35
	s_waitcnt lgkmcnt(1)
	v_and_b32_e32 v36, 1, v36
	v_mov_b32_e32 v35, 0
	v_add_u32_e32 v53, 2, v47
	v_cndmask_b32_e64 v36, v36, 1, vcc
	v_cmp_eq_u16_sdwa vcc, v54, v35 src0_sel:BYTE_0 src1_sel:DWORD
	v_and_b32_e32 v55, 0xffff, v36
	s_waitcnt lgkmcnt(0)
	v_cndmask_b32_e32 v37, 0, v37, vcc
	v_cmp_gt_u32_e32 vcc, v53, v33
	v_cndmask_b32_e32 v36, v36, v54, vcc
	v_cndmask_b32_e64 v37, v37, 0, vcc
	v_cndmask_b32_e32 v31, v55, v31, vcc
	v_cmp_gt_u32_e32 vcc, 60, v47
	v_cndmask_b32_e64 v54, 0, 1, vcc
	v_lshlrev_b32_e32 v54, 2, v54
	v_add_lshl_u32 v54, v54, v46, 2
	ds_bpermute_b32 v56, v54, v31
	v_add_u32_e32 v30, v37, v30
	ds_bpermute_b32 v37, v54, v30
	v_and_b32_e32 v57, 1, v36
	v_cmp_eq_u32_e32 vcc, 1, v57
	s_waitcnt lgkmcnt(1)
	v_and_b32_e32 v56, 1, v56
	v_add_u32_e32 v55, 4, v47
	v_cndmask_b32_e64 v56, v56, 1, vcc
	v_cmp_eq_u16_sdwa vcc, v36, v35 src0_sel:BYTE_0 src1_sel:DWORD
	v_and_b32_e32 v57, 0xffff, v56
	s_waitcnt lgkmcnt(0)
	v_cndmask_b32_e32 v37, 0, v37, vcc
	v_cmp_gt_u32_e32 vcc, v55, v33
	v_cndmask_b32_e32 v36, v56, v36, vcc
	v_cndmask_b32_e64 v37, v37, 0, vcc
	v_cndmask_b32_e32 v31, v57, v31, vcc
	v_cmp_gt_u32_e32 vcc, 56, v47
	v_cndmask_b32_e64 v56, 0, 1, vcc
	v_lshlrev_b32_e32 v56, 3, v56
	v_add_lshl_u32 v56, v56, v46, 2
	ds_bpermute_b32 v58, v56, v31
	v_add_u32_e32 v30, v37, v30
	ds_bpermute_b32 v37, v56, v30
	v_and_b32_e32 v59, 1, v36
	v_cmp_eq_u32_e32 vcc, 1, v59
	s_waitcnt lgkmcnt(1)
	v_and_b32_e32 v58, 1, v58
	;; [unrolled: 21-line block ×4, first 2 shown]
	v_add_u32_e32 v62, 32, v47
	v_cndmask_b32_e64 v31, v31, 1, vcc
	v_cmp_eq_u16_sdwa vcc, v36, v35 src0_sel:BYTE_0 src1_sel:DWORD
	s_waitcnt lgkmcnt(0)
	v_cndmask_b32_e32 v37, 0, v37, vcc
	v_cmp_gt_u32_e32 vcc, v62, v33
	v_cndmask_b32_e64 v33, v37, 0, vcc
	v_cndmask_b32_e32 v31, v31, v36, vcc
	v_add_u32_e32 v30, v33, v30
	s_branch .LBB2197_106
.LBB2197_105:                           ;   in Loop: Header=BB2197_106 Depth=1
	s_or_b64 exec, exec, s[34:35]
	v_cmp_eq_u16_sdwa s[34:35], v32, v27 src0_sel:BYTE_0 src1_sel:DWORD
	v_and_b32_e32 v33, s35, v29
	ds_bpermute_b32 v37, v48, v31
	v_or_b32_e32 v33, 0x80000000, v33
	v_and_b32_e32 v36, s34, v28
	v_ffbl_b32_e32 v33, v33
	v_add_u32_e32 v33, 32, v33
	v_ffbl_b32_e32 v36, v36
	v_min_u32_e32 v33, v36, v33
	ds_bpermute_b32 v36, v48, v30
	v_and_b32_e32 v63, 1, v31
	s_waitcnt lgkmcnt(1)
	v_and_b32_e32 v37, 1, v37
	v_cmp_eq_u32_e32 vcc, 1, v63
	v_cndmask_b32_e64 v37, v37, 1, vcc
	v_cmp_gt_u64_e32 vcc, s[44:45], v[30:31]
	v_and_b32_e32 v63, 0xffff, v37
	v_cmp_lt_u32_e64 s[34:35], v47, v33
	v_cndmask_b32_e64 v37, v31, v37, s[34:35]
	v_cndmask_b32_e64 v31, v31, v63, s[34:35]
	s_and_b64 vcc, s[34:35], vcc
	ds_bpermute_b32 v63, v49, v31
	s_waitcnt lgkmcnt(1)
	v_cndmask_b32_e32 v36, 0, v36, vcc
	v_add_u32_e32 v30, v36, v30
	ds_bpermute_b32 v36, v49, v30
	v_and_b32_e32 v64, 1, v37
	s_waitcnt lgkmcnt(1)
	v_and_b32_e32 v63, 1, v63
	v_cmp_eq_u32_e32 vcc, 1, v64
	v_cndmask_b32_e64 v63, v63, 1, vcc
	v_cmp_eq_u16_sdwa vcc, v37, v35 src0_sel:BYTE_0 src1_sel:DWORD
	v_and_b32_e32 v64, 0xffff, v63
	s_waitcnt lgkmcnt(0)
	v_cndmask_b32_e32 v36, 0, v36, vcc
	v_cmp_gt_u32_e32 vcc, v53, v33
	v_cndmask_b32_e32 v31, v64, v31, vcc
	v_cndmask_b32_e32 v37, v63, v37, vcc
	ds_bpermute_b32 v63, v54, v31
	v_cndmask_b32_e64 v36, v36, 0, vcc
	v_add_u32_e32 v30, v36, v30
	ds_bpermute_b32 v36, v54, v30
	v_and_b32_e32 v64, 1, v37
	s_waitcnt lgkmcnt(1)
	v_and_b32_e32 v63, 1, v63
	v_cmp_eq_u32_e32 vcc, 1, v64
	v_cndmask_b32_e64 v63, v63, 1, vcc
	v_cmp_eq_u16_sdwa vcc, v37, v35 src0_sel:BYTE_0 src1_sel:DWORD
	v_and_b32_e32 v64, 0xffff, v63
	s_waitcnt lgkmcnt(0)
	v_cndmask_b32_e32 v36, 0, v36, vcc
	v_cmp_gt_u32_e32 vcc, v55, v33
	v_cndmask_b32_e32 v31, v64, v31, vcc
	v_cndmask_b32_e32 v37, v63, v37, vcc
	ds_bpermute_b32 v63, v56, v31
	v_cndmask_b32_e64 v36, v36, 0, vcc
	;; [unrolled: 16-line block ×3, first 2 shown]
	v_add_u32_e32 v30, v36, v30
	ds_bpermute_b32 v36, v58, v30
	v_and_b32_e32 v64, 1, v37
	s_waitcnt lgkmcnt(1)
	v_and_b32_e32 v63, 1, v63
	v_cmp_eq_u32_e32 vcc, 1, v64
	v_cndmask_b32_e64 v63, v63, 1, vcc
	v_cmp_eq_u16_sdwa vcc, v37, v35 src0_sel:BYTE_0 src1_sel:DWORD
	v_and_b32_e32 v64, 0xffff, v63
	s_waitcnt lgkmcnt(0)
	v_cndmask_b32_e32 v36, 0, v36, vcc
	v_cmp_gt_u32_e32 vcc, v59, v33
	v_cndmask_b32_e64 v36, v36, 0, vcc
	v_cndmask_b32_e32 v31, v64, v31, vcc
	ds_bpermute_b32 v31, v61, v31
	v_add_u32_e32 v30, v36, v30
	ds_bpermute_b32 v36, v61, v30
	v_cndmask_b32_e32 v37, v63, v37, vcc
	v_and_b32_e32 v63, 1, v37
	v_cmp_eq_u32_e32 vcc, 1, v63
	s_waitcnt lgkmcnt(1)
	v_cndmask_b32_e64 v31, v31, 1, vcc
	v_cmp_eq_u16_sdwa vcc, v37, v35 src0_sel:BYTE_0 src1_sel:DWORD
	s_waitcnt lgkmcnt(0)
	v_cndmask_b32_e32 v36, 0, v36, vcc
	v_cmp_gt_u32_e32 vcc, v62, v33
	v_cndmask_b32_e64 v33, v36, 0, vcc
	v_cndmask_b32_e32 v31, v31, v37, vcc
	v_add_u32_e32 v30, v33, v30
	v_cmp_eq_u16_sdwa vcc, v46, v35 src0_sel:BYTE_0 src1_sel:DWORD
	v_and_b32_e32 v33, 1, v46
	v_cndmask_b32_e32 v30, 0, v30, vcc
	v_and_b32_e32 v31, 1, v31
	v_cmp_eq_u32_e32 vcc, 1, v33
	v_subrev_u32_e32 v34, 64, v34
	v_add_u32_e32 v30, v30, v60
	v_cndmask_b32_e64 v31, v31, 1, vcc
.LBB2197_106:                           ; =>This Loop Header: Depth=1
                                        ;     Child Loop BB2197_109 Depth 2
	v_cmp_ne_u16_sdwa s[34:35], v32, v27 src0_sel:BYTE_0 src1_sel:DWORD
	v_mov_b32_e32 v46, v31
	v_cndmask_b32_e64 v31, 0, 1, s[34:35]
	;;#ASMSTART
	;;#ASMEND
	v_cmp_ne_u32_e32 vcc, 0, v31
	s_cmp_lg_u64 vcc, exec
	v_mov_b32_e32 v60, v30
	s_cbranch_scc1 .LBB2197_111
; %bb.107:                              ;   in Loop: Header=BB2197_106 Depth=1
	v_lshlrev_b64 v[30:31], 4, v[34:35]
	v_mov_b32_e32 v32, s53
	v_add_co_u32_e32 v36, vcc, s52, v30
	v_addc_co_u32_e32 v37, vcc, v32, v31, vcc
	;;#ASMSTART
	global_load_dwordx4 v[30:33], v[36:37] off glc	
s_waitcnt vmcnt(0)
	;;#ASMEND
	v_and_b32_e32 v33, 0xff0000, v30
	v_or_b32_sdwa v33, v30, v33 dst_sel:DWORD dst_unused:UNUSED_PAD src0_sel:WORD_0 src1_sel:DWORD
	v_and_b32_e32 v30, 0xff000000, v30
	v_and_b32_e32 v31, 0xff, v31
	v_or3_b32 v31, 0, 0, v31
	v_or3_b32 v30, v33, v30, 0
	v_cmp_eq_u16_sdwa s[48:49], v32, v35 src0_sel:BYTE_0 src1_sel:DWORD
	s_and_saveexec_b64 s[34:35], s[48:49]
	s_cbranch_execz .LBB2197_105
; %bb.108:                              ;   in Loop: Header=BB2197_106 Depth=1
	s_mov_b64 s[48:49], 0
.LBB2197_109:                           ;   Parent Loop BB2197_106 Depth=1
                                        ; =>  This Inner Loop Header: Depth=2
	;;#ASMSTART
	global_load_dwordx4 v[30:33], v[36:37] off glc	
s_waitcnt vmcnt(0)
	;;#ASMEND
	v_cmp_ne_u16_sdwa s[50:51], v32, v35 src0_sel:BYTE_0 src1_sel:DWORD
	s_or_b64 s[48:49], s[50:51], s[48:49]
	s_andn2_b64 exec, exec, s[48:49]
	s_cbranch_execnz .LBB2197_109
; %bb.110:                              ;   in Loop: Header=BB2197_106 Depth=1
	s_or_b64 exec, exec, s[48:49]
	v_and_b32_e32 v31, 0xff, v31
	s_branch .LBB2197_105
.LBB2197_111:                           ;   in Loop: Header=BB2197_106 Depth=1
                                        ; implicit-def: $vgpr31
                                        ; implicit-def: $vgpr30
                                        ; implicit-def: $vgpr32
	s_cbranch_execz .LBB2197_106
; %bb.112:
	s_and_saveexec_b64 s[34:35], s[28:29]
	s_cbranch_execz .LBB2197_114
; %bb.113:
	s_and_b32 s44, s7, 0xff
	s_cmp_eq_u32 s44, 0
	s_cselect_b64 vcc, -1, 0
	s_bitcmp1_b32 s7, 0
	s_mov_b32 s45, 0
	s_cselect_b64 s[48:49], -1, 0
	s_add_i32 s44, s6, 64
	s_lshl_b64 s[6:7], s[44:45], 4
	v_cndmask_b32_e32 v27, 0, v60, vcc
	s_add_u32 s6, s52, s6
	v_add_u32_e32 v26, v27, v26
	v_and_b32_e32 v27, 1, v46
	s_addc_u32 s7, s53, s7
	v_mov_b32_e32 v29, 0
	v_cndmask_b32_e64 v27, v27, 1, s[48:49]
	v_mov_b32_e32 v28, 2
	v_pk_mov_b32 v[30:31], s[6:7], s[6:7] op_sel:[0,1]
	;;#ASMSTART
	global_store_dwordx4 v[30:31], v[26:29] off	
s_waitcnt vmcnt(0)
	;;#ASMEND
.LBB2197_114:
	s_or_b64 exec, exec, s[34:35]
	v_cmp_eq_u32_e32 vcc, 0, v0
	s_and_b64 exec, exec, vcc
	s_cbranch_execz .LBB2197_116
; %bb.115:
	v_mov_b32_e32 v26, 0
	ds_write_b32 v26, v60 offset:24
	ds_write_b8 v26, v46 offset:28
.LBB2197_116:
	s_or_b64 exec, exec, s[40:41]
	s_mov_b32 s6, 0
	v_mov_b32_e32 v28, 0
	s_mov_b32 s7, 1
	s_waitcnt lgkmcnt(0)
	v_cndmask_b32_e64 v26, v45, v43, s[28:29]
	v_cndmask_b32_e64 v27, v44, v42, s[28:29]
	s_barrier
	ds_read_b32 v29, v28 offset:24
	v_cmp_gt_u64_e32 vcc, s[6:7], v[38:39]
	v_and_b32_e32 v30, 1, v39
	v_cndmask_b32_e32 v27, 0, v27, vcc
	v_and_b32_e32 v26, 1, v26
	v_cmp_eq_u32_e32 vcc, 1, v30
	v_cndmask_b32_e64 v26, v26, 1, vcc
	v_cmp_eq_u32_e32 vcc, 0, v0
	v_cndmask_b32_e32 v26, v26, v39, vcc
	v_cndmask_b32_e64 v27, v27, 0, vcc
	v_cmp_eq_u16_sdwa vcc, v26, v28 src0_sel:BYTE_0 src1_sel:DWORD
	s_waitcnt lgkmcnt(0)
	v_cndmask_b32_e32 v26, 0, v29, vcc
	v_add3_u32 v26, v27, v38, v26
	v_cndmask_b32_e64 v27, 0, v26, s[2:3]
	v_add_u32_e32 v27, v27, v2
	v_cndmask_b32_e64 v28, 0, v27, s[4:5]
	v_add_u32_e32 v42, v28, v4
	;; [unrolled: 2-line block ×13, first 2 shown]
	s_branch .LBB2197_133
.LBB2197_117:
                                        ; implicit-def: $vgpr49
                                        ; implicit-def: $vgpr47
                                        ; implicit-def: $vgpr45
                                        ; implicit-def: $vgpr43
                                        ; implicit-def: $vgpr34_vgpr35_vgpr36_vgpr37
                                        ; implicit-def: $vgpr30_vgpr31_vgpr32_vgpr33
                                        ; implicit-def: $vgpr26_vgpr27_vgpr28_vgpr29
	s_cbranch_execz .LBB2197_133
; %bb.118:
	s_cmp_lg_u64 s[56:57], 0
	s_cselect_b32 s5, s47, 0
	s_cselect_b32 s4, s46, 0
	s_cmp_lg_u64 s[4:5], 0
	s_cselect_b64 s[6:7], -1, 0
	v_cmp_eq_u32_e32 vcc, 0, v0
	s_mov_b32 s28, 0
	v_cmp_ne_u32_e64 s[2:3], 0, v0
	s_and_b64 s[8:9], vcc, s[6:7]
	s_and_saveexec_b64 s[6:7], s[8:9]
	s_cbranch_execz .LBB2197_120
; %bb.119:
	v_mov_b32_e32 v26, 0
	global_load_dword v28, v26, s[4:5]
	global_load_ubyte v29, v26, s[4:5] offset:4
	s_mov_b32 s29, 1
	v_and_b32_e32 v27, 1, v39
	v_cmp_gt_u64_e64 s[4:5], s[28:29], v[38:39]
	s_waitcnt vmcnt(1)
	v_cndmask_b32_e64 v28, 0, v28, s[4:5]
	s_waitcnt vmcnt(0)
	v_and_b32_e32 v29, 1, v29
	v_cmp_eq_u64_e64 s[4:5], 0, v[26:27]
	v_add_u32_e32 v38, v28, v38
	v_cndmask_b32_e64 v39, 1, v29, s[4:5]
.LBB2197_120:
	s_or_b64 exec, exec, s[6:7]
	s_mov_b32 s29, 1
	v_cmp_gt_u64_e64 s[4:5], s[28:29], v[2:3]
	v_cndmask_b32_e64 v26, 0, v38, s[4:5]
	v_add_u32_e32 v27, v26, v2
	v_cmp_gt_u64_e64 s[6:7], s[28:29], v[4:5]
	v_cndmask_b32_e64 v26, 0, v27, s[6:7]
	v_add_u32_e32 v42, v26, v4
	;; [unrolled: 3-line block ×7, first 2 shown]
	v_cmp_gt_u64_e64 s[18:19], s[28:29], v[16:17]
	v_mov_b32_e32 v28, 0
	v_cndmask_b32_e64 v26, 0, v45, s[18:19]
	v_or3_b32 v7, v23, v15, v7
	v_add_u32_e32 v34, v26, v16
	v_cmp_gt_u64_e64 s[20:21], s[28:29], v[18:19]
	v_or3_b32 v9, v25, v17, v9
	v_and_b32_e32 v55, 1, v7
	v_mov_b32_e32 v54, v28
	v_cndmask_b32_e64 v26, 0, v34, s[20:21]
	v_or3_b32 v3, v19, v11, v3
	v_and_b32_e32 v37, 1, v9
	v_mov_b32_e32 v36, v28
	v_cmp_ne_u64_e64 s[34:35], 0, v[54:55]
	v_add_u32_e32 v35, v26, v18
	v_cmp_gt_u64_e64 s[22:23], s[28:29], v[20:21]
	v_or3_b32 v5, v21, v13, v5
	v_and_b32_e32 v29, 1, v3
	v_cndmask_b32_e64 v3, 0, 1, s[34:35]
	v_cmp_ne_u64_e64 s[34:35], 0, v[36:37]
	v_cndmask_b32_e64 v26, 0, v35, s[22:23]
	v_and_b32_e32 v33, 1, v5
	v_mov_b32_e32 v32, v28
	v_cndmask_b32_e64 v5, 0, 1, s[34:35]
	v_add_u32_e32 v46, v26, v20
	v_cmp_gt_u64_e64 s[24:25], s[28:29], v[22:23]
	v_lshlrev_b16_e32 v3, 2, v3
	v_lshlrev_b16_e32 v5, 3, v5
	v_cmp_ne_u64_e64 s[34:35], 0, v[32:33]
	v_cndmask_b32_e64 v26, 0, v46, s[24:25]
	v_or_b32_e32 v3, v5, v3
	v_cndmask_b32_e64 v5, 0, 1, s[34:35]
	v_cmp_ne_u64_e64 s[34:35], 0, v[28:29]
	v_add_u32_e32 v47, v26, v22
	v_cmp_gt_u64_e64 s[26:27], s[28:29], v[24:25]
	v_lshlrev_b16_e32 v5, 1, v5
	v_cndmask_b32_e64 v7, 0, 1, s[34:35]
	v_cndmask_b32_e64 v26, 0, v47, s[26:27]
	v_or_b32_e32 v5, v7, v5
	v_add_u32_e32 v48, v26, v24
	v_cmp_gt_u64_e64 s[28:29], s[28:29], v[40:41]
	v_and_b32_e32 v5, 3, v5
	v_cndmask_b32_e64 v26, 0, v48, s[28:29]
	v_or_b32_e32 v3, v5, v3
	v_add_u32_e32 v49, v26, v40
	v_and_b32_e32 v26, 1, v41
	v_and_b32_e32 v3, 15, v3
	v_cmp_eq_u32_e64 s[30:31], 1, v26
	v_cmp_ne_u16_e64 s[34:35], 0, v3
	s_or_b64 s[30:31], s[30:31], s[34:35]
	v_cndmask_b32_e64 v5, v39, 1, s[30:31]
	v_mbcnt_hi_u32_b32 v3, -1, v52
	v_mov_b32_dpp v9, v49 row_shr:1 row_mask:0xf bank_mask:0xf
	v_mov_b32_dpp v11, v5 row_shr:1 row_mask:0xf bank_mask:0xf
	v_cmp_eq_u32_e64 s[30:31], 0, v5
	v_and_b32_e32 v13, 1, v5
	v_and_b32_e32 v7, 15, v3
	v_cndmask_b32_e64 v9, 0, v9, s[30:31]
	v_and_b32_e32 v11, 1, v11
	v_cmp_eq_u32_e64 s[30:31], 1, v13
	v_cndmask_b32_e64 v11, v11, 1, s[30:31]
	v_cmp_eq_u32_e64 s[30:31], 0, v7
	v_cndmask_b32_e64 v5, v11, v5, s[30:31]
	v_and_b32_e32 v15, 1, v5
	v_cmp_eq_u32_e64 s[34:35], 1, v15
	v_mov_b32_dpp v13, v5 row_shr:2 row_mask:0xf bank_mask:0xf
	v_and_b32_e32 v13, 1, v13
	v_cndmask_b32_e64 v13, v13, 1, s[34:35]
	v_cmp_lt_u32_e64 s[34:35], 1, v7
	v_cndmask_b32_e64 v9, v9, 0, s[30:31]
	v_cmp_eq_u32_e64 s[30:31], 0, v5
	v_cndmask_b32_e64 v5, v5, v13, s[34:35]
	v_add_u32_e32 v9, v49, v9
	v_and_b32_e32 v15, 1, v5
	v_mov_b32_dpp v13, v5 row_shr:4 row_mask:0xf bank_mask:0xf
	v_mov_b32_dpp v11, v9 row_shr:2 row_mask:0xf bank_mask:0xf
	s_and_b64 s[30:31], s[34:35], s[30:31]
	v_and_b32_e32 v13, 1, v13
	v_cmp_eq_u32_e64 s[34:35], 1, v15
	v_cndmask_b32_e64 v11, 0, v11, s[30:31]
	v_cndmask_b32_e64 v13, v13, 1, s[34:35]
	v_cmp_lt_u32_e64 s[34:35], 3, v7
	v_add_u32_e32 v9, v9, v11
	v_cmp_eq_u32_e64 s[30:31], 0, v5
	v_cndmask_b32_e64 v5, v5, v13, s[34:35]
	v_mov_b32_dpp v11, v9 row_shr:4 row_mask:0xf bank_mask:0xf
	s_and_b64 s[30:31], s[34:35], s[30:31]
	v_mov_b32_dpp v13, v5 row_shr:8 row_mask:0xf bank_mask:0xf
	v_and_b32_e32 v15, 1, v5
	v_cndmask_b32_e64 v11, 0, v11, s[30:31]
	v_and_b32_e32 v13, 1, v13
	v_cmp_eq_u32_e64 s[34:35], 1, v15
	v_add_u32_e32 v9, v9, v11
	v_cmp_eq_u32_e64 s[30:31], 0, v5
	v_cndmask_b32_e64 v13, v13, 1, s[34:35]
	v_cmp_lt_u32_e64 s[34:35], 7, v7
	v_mov_b32_dpp v11, v9 row_shr:8 row_mask:0xf bank_mask:0xf
	s_and_b64 s[30:31], s[34:35], s[30:31]
	v_cndmask_b32_e64 v7, 0, v11, s[30:31]
	v_cndmask_b32_e64 v5, v5, v13, s[34:35]
	v_add_u32_e32 v7, v9, v7
	v_cmp_eq_u32_e64 s[30:31], 0, v5
	v_mov_b32_dpp v11, v5 row_bcast:15 row_mask:0xf bank_mask:0xf
	v_mov_b32_dpp v9, v7 row_bcast:15 row_mask:0xf bank_mask:0xf
	v_and_b32_e32 v17, 1, v5
	v_and_b32_e32 v15, 16, v3
	v_cndmask_b32_e64 v9, 0, v9, s[30:31]
	v_and_b32_e32 v11, 1, v11
	v_cmp_eq_u32_e64 s[30:31], 1, v17
	v_bfe_i32 v13, v3, 4, 1
	v_cndmask_b32_e64 v11, v11, 1, s[30:31]
	v_cmp_eq_u32_e64 s[30:31], 0, v15
	v_and_b32_e32 v9, v13, v9
	v_cndmask_b32_e64 v5, v11, v5, s[30:31]
	v_add_u32_e32 v9, v7, v9
	v_and_b32_e32 v13, 1, v5
	v_mov_b32_dpp v7, v5 row_bcast:31 row_mask:0xf bank_mask:0xf
	v_and_b32_e32 v7, 1, v7
	v_cmp_eq_u32_e64 s[34:35], 1, v13
	v_cmp_eq_u32_e64 s[30:31], 0, v5
	v_cndmask_b32_e64 v7, v7, 1, s[34:35]
	v_cmp_lt_u32_e64 s[34:35], 31, v3
	v_mov_b32_dpp v11, v9 row_bcast:31 row_mask:0xf bank_mask:0xf
	s_and_b64 s[30:31], s[34:35], s[30:31]
	v_cndmask_b32_e64 v7, v5, v7, s[34:35]
	v_cndmask_b32_e64 v5, 0, v11, s[30:31]
	v_add_u32_e32 v5, v9, v5
	v_cmp_eq_u32_e64 s[30:31], v51, v0
	s_and_saveexec_b64 s[34:35], s[30:31]
	s_cbranch_execz .LBB2197_122
; %bb.121:
	v_lshlrev_b32_e32 v9, 3, v1
	ds_write_b32 v9, v5
	ds_write_b8 v9, v7 offset:4
.LBB2197_122:
	s_or_b64 exec, exec, s[34:35]
	v_cmp_gt_u32_e64 s[30:31], 4, v0
	s_waitcnt lgkmcnt(0)
	s_barrier
	s_and_saveexec_b64 s[34:35], s[30:31]
	s_cbranch_execz .LBB2197_126
; %bb.123:
	v_lshlrev_b32_e32 v9, 3, v0
	ds_read_b64 v[28:29], v9
	v_and_b32_e32 v11, 3, v3
	v_cmp_ne_u32_e64 s[30:31], 0, v11
	s_waitcnt lgkmcnt(0)
	v_mov_b32_dpp v13, v28 row_shr:1 row_mask:0xf bank_mask:0xf
	v_mov_b32_dpp v17, v29 row_shr:1 row_mask:0xf bank_mask:0xf
	v_mov_b32_e32 v15, v29
	s_and_saveexec_b64 s[40:41], s[30:31]
	s_cbranch_execz .LBB2197_125
; %bb.124:
	v_and_b32_e32 v15, 1, v29
	v_and_b32_e32 v17, 1, v17
	v_cmp_eq_u32_e64 s[30:31], 1, v15
	v_mov_b32_e32 v15, 0
	v_cndmask_b32_e64 v17, v17, 1, s[30:31]
	v_cmp_eq_u16_sdwa s[30:31], v29, v15 src0_sel:BYTE_0 src1_sel:DWORD
	v_cndmask_b32_e64 v13, 0, v13, s[30:31]
	v_add_u32_e32 v28, v13, v28
	v_and_b32_e32 v13, 0xffff, v17
	s_movk_i32 s30, 0xff00
	v_and_or_b32 v15, v29, s30, v13
	v_mov_b32_e32 v29, v17
.LBB2197_125:
	s_or_b64 exec, exec, s[40:41]
	v_mov_b32_dpp v15, v15 row_shr:2 row_mask:0xf bank_mask:0xf
	v_and_b32_e32 v17, 1, v29
	v_and_b32_e32 v15, 1, v15
	v_cmp_eq_u32_e64 s[30:31], 1, v17
	v_mov_b32_e32 v17, 0
	v_cndmask_b32_e64 v15, v15, 1, s[30:31]
	v_cmp_eq_u16_sdwa s[40:41], v29, v17 src0_sel:BYTE_0 src1_sel:DWORD
	v_cmp_lt_u32_e64 s[30:31], 1, v11
	v_mov_b32_dpp v13, v28 row_shr:2 row_mask:0xf bank_mask:0xf
	v_cndmask_b32_e64 v11, v29, v15, s[30:31]
	s_and_b64 s[30:31], s[30:31], s[40:41]
	v_cndmask_b32_e64 v13, 0, v13, s[30:31]
	v_add_u32_e32 v13, v13, v28
	ds_write_b32 v9, v13
	ds_write_b8 v9, v11 offset:4
.LBB2197_126:
	s_or_b64 exec, exec, s[34:35]
	v_cmp_lt_u32_e64 s[30:31], 63, v0
	v_mov_b32_e32 v9, 0
	s_waitcnt lgkmcnt(0)
	s_barrier
	s_and_saveexec_b64 s[34:35], s[30:31]
	s_cbranch_execz .LBB2197_128
; %bb.127:
	v_lshl_add_u32 v1, v1, 3, -8
	ds_read_b32 v9, v1
	v_cmp_eq_u32_e64 s[30:31], 0, v7
	s_waitcnt lgkmcnt(0)
	v_cndmask_b32_e64 v1, 0, v9, s[30:31]
	v_add_u32_e32 v5, v1, v5
.LBB2197_128:
	s_or_b64 exec, exec, s[34:35]
	v_add_u32_e32 v1, -1, v3
	v_and_b32_e32 v7, 64, v3
	v_cmp_lt_i32_e64 s[30:31], v1, v7
	v_cndmask_b32_e64 v1, v1, v3, s[30:31]
	v_lshlrev_b32_e32 v1, 2, v1
	ds_bpermute_b32 v1, v1, v5
	s_and_saveexec_b64 s[30:31], s[2:3]
	s_cbranch_execz .LBB2197_130
; %bb.129:
	v_and_b32_e32 v27, 0xff, v39
	v_mov_b32_e32 v26, 0
	v_cmp_eq_u32_e64 s[2:3], 0, v3
	s_waitcnt lgkmcnt(0)
	v_cndmask_b32_e64 v1, v1, v9, s[2:3]
	v_cmp_eq_u64_e64 s[2:3], 0, v[26:27]
	v_cndmask_b32_e64 v1, 0, v1, s[2:3]
	v_add_u32_e32 v38, v1, v38
	v_cndmask_b32_e64 v1, 0, v38, s[4:5]
	v_add_u32_e32 v27, v1, v2
	;; [unrolled: 2-line block ×14, first 2 shown]
	;;#ASMSTART
	;;#ASMEND
.LBB2197_130:
	s_or_b64 exec, exec, s[30:31]
	s_and_saveexec_b64 s[2:3], vcc
	s_cbranch_execz .LBB2197_132
; %bb.131:
	v_mov_b32_e32 v5, 0
	ds_read_b32 v2, v5 offset:24
	ds_read_u8 v3, v5 offset:28
	s_add_u32 s4, s52, 0x400
	s_addc_u32 s5, s53, 0
	v_mov_b32_e32 v4, 2
	v_pk_mov_b32 v[6:7], s[4:5], s[4:5] op_sel:[0,1]
	s_waitcnt lgkmcnt(0)
	;;#ASMSTART
	global_store_dwordx4 v[6:7], v[2:5] off	
s_waitcnt vmcnt(0)
	;;#ASMEND
.LBB2197_132:
	s_or_b64 exec, exec, s[2:3]
	v_mov_b32_e32 v26, v38
.LBB2197_133:
	s_add_u32 s2, s42, s38
	s_addc_u32 s3, s43, s39
	s_add_u32 s4, s2, s36
	s_waitcnt lgkmcnt(0)
	v_mul_u32_u24_e32 v1, 14, v0
	s_addc_u32 s5, s3, s37
	s_and_b64 vcc, exec, s[0:1]
	v_lshlrev_b32_e32 v2, 2, v1
	s_cbranch_vccz .LBB2197_161
; %bb.134:
	s_movk_i32 s0, 0xffcc
	v_mad_i32_i24 v3, v0, s0, v2
	s_barrier
	ds_write2_b64 v2, v[26:27], v[42:43] offset1:1
	ds_write2_b64 v2, v[30:31], v[44:45] offset0:2 offset1:3
	ds_write2_b64 v2, v[34:35], v[46:47] offset0:4 offset1:5
	ds_write_b64 v2, v[48:49] offset:48
	s_waitcnt lgkmcnt(0)
	s_barrier
	ds_read2st64_b32 v[16:17], v3 offset0:4 offset1:8
	ds_read2st64_b32 v[14:15], v3 offset0:12 offset1:16
	;; [unrolled: 1-line block ×6, first 2 shown]
	ds_read_b32 v3, v3 offset:13312
	v_mov_b32_e32 v7, s5
	v_add_co_u32_e32 v6, vcc, s4, v50
	s_add_i32 s33, s33, s54
	v_addc_co_u32_e32 v7, vcc, 0, v7, vcc
	v_mov_b32_e32 v1, 0
	v_cmp_gt_u32_e32 vcc, s33, v0
	s_and_saveexec_b64 s[0:1], vcc
	s_cbranch_execz .LBB2197_136
; %bb.135:
	v_mul_i32_i24_e32 v18, 0xffffffcc, v0
	v_add_u32_e32 v18, v2, v18
	ds_read_b32 v18, v18
	s_waitcnt lgkmcnt(0)
	flat_store_dword v[6:7], v18
.LBB2197_136:
	s_or_b64 exec, exec, s[0:1]
	v_or_b32_e32 v18, 0x100, v0
	v_cmp_gt_u32_e32 vcc, s33, v18
	s_and_saveexec_b64 s[0:1], vcc
	s_cbranch_execz .LBB2197_138
; %bb.137:
	s_waitcnt lgkmcnt(0)
	flat_store_dword v[6:7], v16 offset:1024
.LBB2197_138:
	s_or_b64 exec, exec, s[0:1]
	s_waitcnt lgkmcnt(0)
	v_or_b32_e32 v16, 0x200, v0
	v_cmp_gt_u32_e32 vcc, s33, v16
	s_and_saveexec_b64 s[0:1], vcc
	s_cbranch_execz .LBB2197_140
; %bb.139:
	flat_store_dword v[6:7], v17 offset:2048
.LBB2197_140:
	s_or_b64 exec, exec, s[0:1]
	v_or_b32_e32 v16, 0x300, v0
	v_cmp_gt_u32_e32 vcc, s33, v16
	s_and_saveexec_b64 s[0:1], vcc
	s_cbranch_execz .LBB2197_142
; %bb.141:
	flat_store_dword v[6:7], v14 offset:3072
.LBB2197_142:
	s_or_b64 exec, exec, s[0:1]
	v_or_b32_e32 v14, 0x400, v0
	v_cmp_gt_u32_e32 vcc, s33, v14
	s_and_saveexec_b64 s[0:1], vcc
	s_cbranch_execz .LBB2197_144
; %bb.143:
	v_add_co_u32_e32 v16, vcc, 0x1000, v6
	v_addc_co_u32_e32 v17, vcc, 0, v7, vcc
	flat_store_dword v[16:17], v15
.LBB2197_144:
	s_or_b64 exec, exec, s[0:1]
	v_or_b32_e32 v14, 0x500, v0
	v_cmp_gt_u32_e32 vcc, s33, v14
	s_and_saveexec_b64 s[0:1], vcc
	s_cbranch_execz .LBB2197_146
; %bb.145:
	v_add_co_u32_e32 v14, vcc, 0x1000, v6
	v_addc_co_u32_e32 v15, vcc, 0, v7, vcc
	flat_store_dword v[14:15], v12 offset:1024
.LBB2197_146:
	s_or_b64 exec, exec, s[0:1]
	v_or_b32_e32 v12, 0x600, v0
	v_cmp_gt_u32_e32 vcc, s33, v12
	s_and_saveexec_b64 s[0:1], vcc
	s_cbranch_execz .LBB2197_148
; %bb.147:
	v_add_co_u32_e32 v14, vcc, 0x1000, v6
	v_addc_co_u32_e32 v15, vcc, 0, v7, vcc
	flat_store_dword v[14:15], v13 offset:2048
.LBB2197_148:
	;; [unrolled: 10-line block ×3, first 2 shown]
	s_or_b64 exec, exec, s[0:1]
	v_or_b32_e32 v10, 0x800, v0
	v_cmp_gt_u32_e32 vcc, s33, v10
	s_and_saveexec_b64 s[0:1], vcc
	s_cbranch_execz .LBB2197_152
; %bb.151:
	v_add_co_u32_e32 v12, vcc, 0x2000, v6
	v_addc_co_u32_e32 v13, vcc, 0, v7, vcc
	flat_store_dword v[12:13], v11
.LBB2197_152:
	s_or_b64 exec, exec, s[0:1]
	v_or_b32_e32 v10, 0x900, v0
	v_cmp_gt_u32_e32 vcc, s33, v10
	s_and_saveexec_b64 s[0:1], vcc
	s_cbranch_execz .LBB2197_154
; %bb.153:
	v_add_co_u32_e32 v10, vcc, 0x2000, v6
	v_addc_co_u32_e32 v11, vcc, 0, v7, vcc
	flat_store_dword v[10:11], v8 offset:1024
.LBB2197_154:
	s_or_b64 exec, exec, s[0:1]
	v_or_b32_e32 v8, 0xa00, v0
	v_cmp_gt_u32_e32 vcc, s33, v8
	s_and_saveexec_b64 s[0:1], vcc
	s_cbranch_execz .LBB2197_156
; %bb.155:
	v_add_co_u32_e32 v10, vcc, 0x2000, v6
	v_addc_co_u32_e32 v11, vcc, 0, v7, vcc
	flat_store_dword v[10:11], v9 offset:2048
.LBB2197_156:
	;; [unrolled: 10-line block ×3, first 2 shown]
	s_or_b64 exec, exec, s[0:1]
	v_or_b32_e32 v4, 0xc00, v0
	v_cmp_gt_u32_e32 vcc, s33, v4
	s_and_saveexec_b64 s[0:1], vcc
	s_cbranch_execz .LBB2197_160
; %bb.159:
	v_add_co_u32_e32 v6, vcc, 0x3000, v6
	v_addc_co_u32_e32 v7, vcc, 0, v7, vcc
	flat_store_dword v[6:7], v5
.LBB2197_160:
	s_or_b64 exec, exec, s[0:1]
	v_or_b32_e32 v4, 0xd00, v0
	v_cmp_gt_u32_e64 s[0:1], s33, v4
	s_branch .LBB2197_163
.LBB2197_161:
	s_mov_b64 s[0:1], 0
                                        ; implicit-def: $vgpr3
	s_cbranch_execz .LBB2197_163
; %bb.162:
	s_movk_i32 s2, 0xffcc
	s_waitcnt lgkmcnt(0)
	s_barrier
	ds_write2_b64 v2, v[26:27], v[42:43] offset1:1
	ds_write2_b64 v2, v[30:31], v[44:45] offset0:2 offset1:3
	ds_write2_b64 v2, v[34:35], v[46:47] offset0:4 offset1:5
	ds_write_b64 v2, v[48:49] offset:48
	v_mad_i32_i24 v2, v0, s2, v2
	v_mov_b32_e32 v17, s5
	v_add_co_u32_e32 v16, vcc, s4, v50
	s_waitcnt lgkmcnt(0)
	s_barrier
	ds_read2st64_b32 v[4:5], v2 offset1:4
	ds_read2st64_b32 v[6:7], v2 offset0:8 offset1:12
	ds_read2st64_b32 v[8:9], v2 offset0:16 offset1:20
	;; [unrolled: 1-line block ×6, first 2 shown]
	v_addc_co_u32_e32 v17, vcc, 0, v17, vcc
	s_movk_i32 s2, 0x1000
	s_waitcnt lgkmcnt(0)
	flat_store_dword v[16:17], v4
	flat_store_dword v[16:17], v5 offset:1024
	flat_store_dword v[16:17], v6 offset:2048
	;; [unrolled: 1-line block ×3, first 2 shown]
	v_add_co_u32_e32 v4, vcc, s2, v16
	v_addc_co_u32_e32 v5, vcc, 0, v17, vcc
	flat_store_dword v[4:5], v8
	flat_store_dword v[4:5], v9 offset:1024
	flat_store_dword v[4:5], v10 offset:2048
	;; [unrolled: 1-line block ×3, first 2 shown]
	v_add_co_u32_e32 v4, vcc, 0x2000, v16
	v_addc_co_u32_e32 v5, vcc, 0, v17, vcc
	flat_store_dword v[4:5], v12
	flat_store_dword v[4:5], v13 offset:1024
	flat_store_dword v[4:5], v14 offset:2048
	;; [unrolled: 1-line block ×3, first 2 shown]
	v_add_co_u32_e32 v4, vcc, 0x3000, v16
	v_mov_b32_e32 v1, 0
	v_addc_co_u32_e32 v5, vcc, 0, v17, vcc
	s_or_b64 s[0:1], s[0:1], exec
	flat_store_dword v[4:5], v2
.LBB2197_163:
	s_and_saveexec_b64 s[2:3], s[0:1]
	s_cbranch_execnz .LBB2197_165
; %bb.164:
	s_endpgm
.LBB2197_165:
	v_lshlrev_b64 v[0:1], 2, v[0:1]
	v_mov_b32_e32 v2, s5
	v_add_co_u32_e32 v0, vcc, s4, v0
	v_addc_co_u32_e32 v1, vcc, v2, v1, vcc
	v_add_co_u32_e32 v0, vcc, 0x3000, v0
	v_addc_co_u32_e32 v1, vcc, 0, v1, vcc
	flat_store_dword v[0:1], v3 offset:1024
	s_endpgm
.LBB2197_166:
	v_mov_b32_e32 v13, s55
	v_add_co_u32_e32 v14, vcc, s7, v12
	v_addc_co_u32_e32 v15, vcc, 0, v13, vcc
	flat_load_dword v13, v[14:15]
	s_or_b64 exec, exec, s[44:45]
                                        ; implicit-def: $vgpr14
	s_and_saveexec_b64 s[2:3], s[4:5]
	s_cbranch_execz .LBB2197_37
.LBB2197_167:
	v_mov_b32_e32 v15, s55
	v_add_co_u32_e32 v14, vcc, s7, v12
	v_addc_co_u32_e32 v15, vcc, 0, v15, vcc
	flat_load_dword v14, v[14:15] offset:1024
	s_or_b64 exec, exec, s[2:3]
                                        ; implicit-def: $vgpr15
	s_and_saveexec_b64 s[2:3], s[30:31]
	s_cbranch_execz .LBB2197_38
.LBB2197_168:
	v_mov_b32_e32 v15, s55
	v_add_co_u32_e32 v16, vcc, s7, v12
	v_addc_co_u32_e32 v17, vcc, 0, v15, vcc
	flat_load_dword v15, v[16:17] offset:2048
	s_or_b64 exec, exec, s[2:3]
                                        ; implicit-def: $vgpr16
	s_and_saveexec_b64 s[2:3], s[8:9]
	s_cbranch_execz .LBB2197_39
.LBB2197_169:
	v_mov_b32_e32 v17, s55
	v_add_co_u32_e32 v16, vcc, s7, v12
	v_addc_co_u32_e32 v17, vcc, 0, v17, vcc
	flat_load_dword v16, v[16:17] offset:3072
	s_or_b64 exec, exec, s[2:3]
                                        ; implicit-def: $vgpr17
	s_and_saveexec_b64 s[2:3], s[10:11]
	s_cbranch_execz .LBB2197_40
.LBB2197_170:
	v_mov_b32_e32 v17, s55
	v_add_co_u32_e32 v18, vcc, s7, v2
	v_addc_co_u32_e32 v19, vcc, 0, v17, vcc
	flat_load_dword v17, v[18:19]
	s_or_b64 exec, exec, s[2:3]
                                        ; implicit-def: $vgpr2
	s_and_saveexec_b64 s[2:3], s[12:13]
	s_cbranch_execz .LBB2197_41
.LBB2197_171:
	v_mov_b32_e32 v18, s55
	v_add_co_u32_e32 v2, vcc, s7, v3
	v_addc_co_u32_e32 v3, vcc, 0, v18, vcc
	flat_load_dword v2, v[2:3]
	s_or_b64 exec, exec, s[2:3]
                                        ; implicit-def: $vgpr3
	s_and_saveexec_b64 s[2:3], s[14:15]
	s_cbranch_execz .LBB2197_42
.LBB2197_172:
	v_mov_b32_e32 v3, s55
	v_add_co_u32_e32 v18, vcc, s7, v4
	v_addc_co_u32_e32 v19, vcc, 0, v3, vcc
	flat_load_dword v3, v[18:19]
	s_or_b64 exec, exec, s[2:3]
                                        ; implicit-def: $vgpr4
	s_and_saveexec_b64 s[2:3], s[16:17]
	s_cbranch_execz .LBB2197_43
.LBB2197_173:
	v_mov_b32_e32 v18, s55
	v_add_co_u32_e32 v4, vcc, s7, v5
	v_addc_co_u32_e32 v5, vcc, 0, v18, vcc
	flat_load_dword v4, v[4:5]
	s_or_b64 exec, exec, s[2:3]
                                        ; implicit-def: $vgpr5
	s_and_saveexec_b64 s[2:3], s[18:19]
	s_cbranch_execz .LBB2197_44
.LBB2197_174:
	v_mov_b32_e32 v5, s55
	v_add_co_u32_e32 v18, vcc, s7, v6
	v_addc_co_u32_e32 v19, vcc, 0, v5, vcc
	flat_load_dword v5, v[18:19]
	s_or_b64 exec, exec, s[2:3]
                                        ; implicit-def: $vgpr6
	s_and_saveexec_b64 s[2:3], s[20:21]
	s_cbranch_execz .LBB2197_45
.LBB2197_175:
	v_mov_b32_e32 v18, s55
	v_add_co_u32_e32 v6, vcc, s7, v7
	v_addc_co_u32_e32 v7, vcc, 0, v18, vcc
	flat_load_dword v6, v[6:7]
	s_or_b64 exec, exec, s[2:3]
                                        ; implicit-def: $vgpr7
	s_and_saveexec_b64 s[2:3], s[22:23]
	s_cbranch_execz .LBB2197_46
.LBB2197_176:
	v_mov_b32_e32 v7, s55
	v_add_co_u32_e32 v18, vcc, s7, v8
	v_addc_co_u32_e32 v19, vcc, 0, v7, vcc
	flat_load_dword v7, v[18:19]
	s_or_b64 exec, exec, s[2:3]
                                        ; implicit-def: $vgpr8
	s_and_saveexec_b64 s[2:3], s[24:25]
	s_cbranch_execz .LBB2197_47
.LBB2197_177:
	v_mov_b32_e32 v18, s55
	v_add_co_u32_e32 v8, vcc, s7, v9
	v_addc_co_u32_e32 v9, vcc, 0, v18, vcc
	flat_load_dword v8, v[8:9]
	s_or_b64 exec, exec, s[2:3]
                                        ; implicit-def: $vgpr9
	s_and_saveexec_b64 s[2:3], s[26:27]
	s_cbranch_execz .LBB2197_48
.LBB2197_178:
	v_mov_b32_e32 v9, s55
	v_add_co_u32_e32 v18, vcc, s7, v10
	v_addc_co_u32_e32 v19, vcc, 0, v9, vcc
	flat_load_dword v9, v[18:19]
	s_or_b64 exec, exec, s[2:3]
                                        ; implicit-def: $vgpr10
	s_and_saveexec_b64 s[2:3], s[28:29]
	s_cbranch_execnz .LBB2197_49
	s_branch .LBB2197_50
.LBB2197_179:
                                        ; implicit-def: $sgpr44_sgpr45
	s_branch .LBB2197_32
.LBB2197_180:
                                        ; implicit-def: $sgpr2_sgpr3
	s_branch .LBB2197_81
	.section	.rodata,"a",@progbits
	.p2align	6, 0x0
	.amdhsa_kernel _ZN7rocprim17ROCPRIM_400000_NS6detail17trampoline_kernelINS0_14default_configENS1_27scan_by_key_config_selectorIiiEEZZNS1_16scan_by_key_implILNS1_25lookback_scan_determinismE0ELb0ES3_N6thrust23THRUST_200600_302600_NS10device_ptrIiEESB_SB_iNS9_4plusIvEENS9_8equal_toIvEEiEE10hipError_tPvRmT2_T3_T4_T5_mT6_T7_P12ihipStream_tbENKUlT_T0_E_clISt17integral_constantIbLb0EESW_EEDaSR_SS_EUlSR_E_NS1_11comp_targetILNS1_3genE4ELNS1_11target_archE910ELNS1_3gpuE8ELNS1_3repE0EEENS1_30default_config_static_selectorELNS0_4arch9wavefront6targetE1EEEvT1_
		.amdhsa_group_segment_fixed_size 16384
		.amdhsa_private_segment_fixed_size 0
		.amdhsa_kernarg_size 112
		.amdhsa_user_sgpr_count 6
		.amdhsa_user_sgpr_private_segment_buffer 1
		.amdhsa_user_sgpr_dispatch_ptr 0
		.amdhsa_user_sgpr_queue_ptr 0
		.amdhsa_user_sgpr_kernarg_segment_ptr 1
		.amdhsa_user_sgpr_dispatch_id 0
		.amdhsa_user_sgpr_flat_scratch_init 0
		.amdhsa_user_sgpr_kernarg_preload_length 0
		.amdhsa_user_sgpr_kernarg_preload_offset 0
		.amdhsa_user_sgpr_private_segment_size 0
		.amdhsa_uses_dynamic_stack 0
		.amdhsa_system_sgpr_private_segment_wavefront_offset 0
		.amdhsa_system_sgpr_workgroup_id_x 1
		.amdhsa_system_sgpr_workgroup_id_y 0
		.amdhsa_system_sgpr_workgroup_id_z 0
		.amdhsa_system_sgpr_workgroup_info 0
		.amdhsa_system_vgpr_workitem_id 0
		.amdhsa_next_free_vgpr 65
		.amdhsa_next_free_sgpr 61
		.amdhsa_accum_offset 68
		.amdhsa_reserve_vcc 1
		.amdhsa_reserve_flat_scratch 0
		.amdhsa_float_round_mode_32 0
		.amdhsa_float_round_mode_16_64 0
		.amdhsa_float_denorm_mode_32 3
		.amdhsa_float_denorm_mode_16_64 3
		.amdhsa_dx10_clamp 1
		.amdhsa_ieee_mode 1
		.amdhsa_fp16_overflow 0
		.amdhsa_tg_split 0
		.amdhsa_exception_fp_ieee_invalid_op 0
		.amdhsa_exception_fp_denorm_src 0
		.amdhsa_exception_fp_ieee_div_zero 0
		.amdhsa_exception_fp_ieee_overflow 0
		.amdhsa_exception_fp_ieee_underflow 0
		.amdhsa_exception_fp_ieee_inexact 0
		.amdhsa_exception_int_div_zero 0
	.end_amdhsa_kernel
	.section	.text._ZN7rocprim17ROCPRIM_400000_NS6detail17trampoline_kernelINS0_14default_configENS1_27scan_by_key_config_selectorIiiEEZZNS1_16scan_by_key_implILNS1_25lookback_scan_determinismE0ELb0ES3_N6thrust23THRUST_200600_302600_NS10device_ptrIiEESB_SB_iNS9_4plusIvEENS9_8equal_toIvEEiEE10hipError_tPvRmT2_T3_T4_T5_mT6_T7_P12ihipStream_tbENKUlT_T0_E_clISt17integral_constantIbLb0EESW_EEDaSR_SS_EUlSR_E_NS1_11comp_targetILNS1_3genE4ELNS1_11target_archE910ELNS1_3gpuE8ELNS1_3repE0EEENS1_30default_config_static_selectorELNS0_4arch9wavefront6targetE1EEEvT1_,"axG",@progbits,_ZN7rocprim17ROCPRIM_400000_NS6detail17trampoline_kernelINS0_14default_configENS1_27scan_by_key_config_selectorIiiEEZZNS1_16scan_by_key_implILNS1_25lookback_scan_determinismE0ELb0ES3_N6thrust23THRUST_200600_302600_NS10device_ptrIiEESB_SB_iNS9_4plusIvEENS9_8equal_toIvEEiEE10hipError_tPvRmT2_T3_T4_T5_mT6_T7_P12ihipStream_tbENKUlT_T0_E_clISt17integral_constantIbLb0EESW_EEDaSR_SS_EUlSR_E_NS1_11comp_targetILNS1_3genE4ELNS1_11target_archE910ELNS1_3gpuE8ELNS1_3repE0EEENS1_30default_config_static_selectorELNS0_4arch9wavefront6targetE1EEEvT1_,comdat
.Lfunc_end2197:
	.size	_ZN7rocprim17ROCPRIM_400000_NS6detail17trampoline_kernelINS0_14default_configENS1_27scan_by_key_config_selectorIiiEEZZNS1_16scan_by_key_implILNS1_25lookback_scan_determinismE0ELb0ES3_N6thrust23THRUST_200600_302600_NS10device_ptrIiEESB_SB_iNS9_4plusIvEENS9_8equal_toIvEEiEE10hipError_tPvRmT2_T3_T4_T5_mT6_T7_P12ihipStream_tbENKUlT_T0_E_clISt17integral_constantIbLb0EESW_EEDaSR_SS_EUlSR_E_NS1_11comp_targetILNS1_3genE4ELNS1_11target_archE910ELNS1_3gpuE8ELNS1_3repE0EEENS1_30default_config_static_selectorELNS0_4arch9wavefront6targetE1EEEvT1_, .Lfunc_end2197-_ZN7rocprim17ROCPRIM_400000_NS6detail17trampoline_kernelINS0_14default_configENS1_27scan_by_key_config_selectorIiiEEZZNS1_16scan_by_key_implILNS1_25lookback_scan_determinismE0ELb0ES3_N6thrust23THRUST_200600_302600_NS10device_ptrIiEESB_SB_iNS9_4plusIvEENS9_8equal_toIvEEiEE10hipError_tPvRmT2_T3_T4_T5_mT6_T7_P12ihipStream_tbENKUlT_T0_E_clISt17integral_constantIbLb0EESW_EEDaSR_SS_EUlSR_E_NS1_11comp_targetILNS1_3genE4ELNS1_11target_archE910ELNS1_3gpuE8ELNS1_3repE0EEENS1_30default_config_static_selectorELNS0_4arch9wavefront6targetE1EEEvT1_
                                        ; -- End function
	.section	.AMDGPU.csdata,"",@progbits
; Kernel info:
; codeLenInByte = 10908
; NumSgprs: 65
; NumVgprs: 65
; NumAgprs: 0
; TotalNumVgprs: 65
; ScratchSize: 0
; MemoryBound: 0
; FloatMode: 240
; IeeeMode: 1
; LDSByteSize: 16384 bytes/workgroup (compile time only)
; SGPRBlocks: 8
; VGPRBlocks: 8
; NumSGPRsForWavesPerEU: 65
; NumVGPRsForWavesPerEU: 65
; AccumOffset: 68
; Occupancy: 4
; WaveLimiterHint : 1
; COMPUTE_PGM_RSRC2:SCRATCH_EN: 0
; COMPUTE_PGM_RSRC2:USER_SGPR: 6
; COMPUTE_PGM_RSRC2:TRAP_HANDLER: 0
; COMPUTE_PGM_RSRC2:TGID_X_EN: 1
; COMPUTE_PGM_RSRC2:TGID_Y_EN: 0
; COMPUTE_PGM_RSRC2:TGID_Z_EN: 0
; COMPUTE_PGM_RSRC2:TIDIG_COMP_CNT: 0
; COMPUTE_PGM_RSRC3_GFX90A:ACCUM_OFFSET: 16
; COMPUTE_PGM_RSRC3_GFX90A:TG_SPLIT: 0
	.section	.text._ZN7rocprim17ROCPRIM_400000_NS6detail17trampoline_kernelINS0_14default_configENS1_27scan_by_key_config_selectorIiiEEZZNS1_16scan_by_key_implILNS1_25lookback_scan_determinismE0ELb0ES3_N6thrust23THRUST_200600_302600_NS10device_ptrIiEESB_SB_iNS9_4plusIvEENS9_8equal_toIvEEiEE10hipError_tPvRmT2_T3_T4_T5_mT6_T7_P12ihipStream_tbENKUlT_T0_E_clISt17integral_constantIbLb0EESW_EEDaSR_SS_EUlSR_E_NS1_11comp_targetILNS1_3genE3ELNS1_11target_archE908ELNS1_3gpuE7ELNS1_3repE0EEENS1_30default_config_static_selectorELNS0_4arch9wavefront6targetE1EEEvT1_,"axG",@progbits,_ZN7rocprim17ROCPRIM_400000_NS6detail17trampoline_kernelINS0_14default_configENS1_27scan_by_key_config_selectorIiiEEZZNS1_16scan_by_key_implILNS1_25lookback_scan_determinismE0ELb0ES3_N6thrust23THRUST_200600_302600_NS10device_ptrIiEESB_SB_iNS9_4plusIvEENS9_8equal_toIvEEiEE10hipError_tPvRmT2_T3_T4_T5_mT6_T7_P12ihipStream_tbENKUlT_T0_E_clISt17integral_constantIbLb0EESW_EEDaSR_SS_EUlSR_E_NS1_11comp_targetILNS1_3genE3ELNS1_11target_archE908ELNS1_3gpuE7ELNS1_3repE0EEENS1_30default_config_static_selectorELNS0_4arch9wavefront6targetE1EEEvT1_,comdat
	.protected	_ZN7rocprim17ROCPRIM_400000_NS6detail17trampoline_kernelINS0_14default_configENS1_27scan_by_key_config_selectorIiiEEZZNS1_16scan_by_key_implILNS1_25lookback_scan_determinismE0ELb0ES3_N6thrust23THRUST_200600_302600_NS10device_ptrIiEESB_SB_iNS9_4plusIvEENS9_8equal_toIvEEiEE10hipError_tPvRmT2_T3_T4_T5_mT6_T7_P12ihipStream_tbENKUlT_T0_E_clISt17integral_constantIbLb0EESW_EEDaSR_SS_EUlSR_E_NS1_11comp_targetILNS1_3genE3ELNS1_11target_archE908ELNS1_3gpuE7ELNS1_3repE0EEENS1_30default_config_static_selectorELNS0_4arch9wavefront6targetE1EEEvT1_ ; -- Begin function _ZN7rocprim17ROCPRIM_400000_NS6detail17trampoline_kernelINS0_14default_configENS1_27scan_by_key_config_selectorIiiEEZZNS1_16scan_by_key_implILNS1_25lookback_scan_determinismE0ELb0ES3_N6thrust23THRUST_200600_302600_NS10device_ptrIiEESB_SB_iNS9_4plusIvEENS9_8equal_toIvEEiEE10hipError_tPvRmT2_T3_T4_T5_mT6_T7_P12ihipStream_tbENKUlT_T0_E_clISt17integral_constantIbLb0EESW_EEDaSR_SS_EUlSR_E_NS1_11comp_targetILNS1_3genE3ELNS1_11target_archE908ELNS1_3gpuE7ELNS1_3repE0EEENS1_30default_config_static_selectorELNS0_4arch9wavefront6targetE1EEEvT1_
	.globl	_ZN7rocprim17ROCPRIM_400000_NS6detail17trampoline_kernelINS0_14default_configENS1_27scan_by_key_config_selectorIiiEEZZNS1_16scan_by_key_implILNS1_25lookback_scan_determinismE0ELb0ES3_N6thrust23THRUST_200600_302600_NS10device_ptrIiEESB_SB_iNS9_4plusIvEENS9_8equal_toIvEEiEE10hipError_tPvRmT2_T3_T4_T5_mT6_T7_P12ihipStream_tbENKUlT_T0_E_clISt17integral_constantIbLb0EESW_EEDaSR_SS_EUlSR_E_NS1_11comp_targetILNS1_3genE3ELNS1_11target_archE908ELNS1_3gpuE7ELNS1_3repE0EEENS1_30default_config_static_selectorELNS0_4arch9wavefront6targetE1EEEvT1_
	.p2align	8
	.type	_ZN7rocprim17ROCPRIM_400000_NS6detail17trampoline_kernelINS0_14default_configENS1_27scan_by_key_config_selectorIiiEEZZNS1_16scan_by_key_implILNS1_25lookback_scan_determinismE0ELb0ES3_N6thrust23THRUST_200600_302600_NS10device_ptrIiEESB_SB_iNS9_4plusIvEENS9_8equal_toIvEEiEE10hipError_tPvRmT2_T3_T4_T5_mT6_T7_P12ihipStream_tbENKUlT_T0_E_clISt17integral_constantIbLb0EESW_EEDaSR_SS_EUlSR_E_NS1_11comp_targetILNS1_3genE3ELNS1_11target_archE908ELNS1_3gpuE7ELNS1_3repE0EEENS1_30default_config_static_selectorELNS0_4arch9wavefront6targetE1EEEvT1_,@function
_ZN7rocprim17ROCPRIM_400000_NS6detail17trampoline_kernelINS0_14default_configENS1_27scan_by_key_config_selectorIiiEEZZNS1_16scan_by_key_implILNS1_25lookback_scan_determinismE0ELb0ES3_N6thrust23THRUST_200600_302600_NS10device_ptrIiEESB_SB_iNS9_4plusIvEENS9_8equal_toIvEEiEE10hipError_tPvRmT2_T3_T4_T5_mT6_T7_P12ihipStream_tbENKUlT_T0_E_clISt17integral_constantIbLb0EESW_EEDaSR_SS_EUlSR_E_NS1_11comp_targetILNS1_3genE3ELNS1_11target_archE908ELNS1_3gpuE7ELNS1_3repE0EEENS1_30default_config_static_selectorELNS0_4arch9wavefront6targetE1EEEvT1_: ; @_ZN7rocprim17ROCPRIM_400000_NS6detail17trampoline_kernelINS0_14default_configENS1_27scan_by_key_config_selectorIiiEEZZNS1_16scan_by_key_implILNS1_25lookback_scan_determinismE0ELb0ES3_N6thrust23THRUST_200600_302600_NS10device_ptrIiEESB_SB_iNS9_4plusIvEENS9_8equal_toIvEEiEE10hipError_tPvRmT2_T3_T4_T5_mT6_T7_P12ihipStream_tbENKUlT_T0_E_clISt17integral_constantIbLb0EESW_EEDaSR_SS_EUlSR_E_NS1_11comp_targetILNS1_3genE3ELNS1_11target_archE908ELNS1_3gpuE7ELNS1_3repE0EEENS1_30default_config_static_selectorELNS0_4arch9wavefront6targetE1EEEvT1_
; %bb.0:
	.section	.rodata,"a",@progbits
	.p2align	6, 0x0
	.amdhsa_kernel _ZN7rocprim17ROCPRIM_400000_NS6detail17trampoline_kernelINS0_14default_configENS1_27scan_by_key_config_selectorIiiEEZZNS1_16scan_by_key_implILNS1_25lookback_scan_determinismE0ELb0ES3_N6thrust23THRUST_200600_302600_NS10device_ptrIiEESB_SB_iNS9_4plusIvEENS9_8equal_toIvEEiEE10hipError_tPvRmT2_T3_T4_T5_mT6_T7_P12ihipStream_tbENKUlT_T0_E_clISt17integral_constantIbLb0EESW_EEDaSR_SS_EUlSR_E_NS1_11comp_targetILNS1_3genE3ELNS1_11target_archE908ELNS1_3gpuE7ELNS1_3repE0EEENS1_30default_config_static_selectorELNS0_4arch9wavefront6targetE1EEEvT1_
		.amdhsa_group_segment_fixed_size 0
		.amdhsa_private_segment_fixed_size 0
		.amdhsa_kernarg_size 112
		.amdhsa_user_sgpr_count 6
		.amdhsa_user_sgpr_private_segment_buffer 1
		.amdhsa_user_sgpr_dispatch_ptr 0
		.amdhsa_user_sgpr_queue_ptr 0
		.amdhsa_user_sgpr_kernarg_segment_ptr 1
		.amdhsa_user_sgpr_dispatch_id 0
		.amdhsa_user_sgpr_flat_scratch_init 0
		.amdhsa_user_sgpr_kernarg_preload_length 0
		.amdhsa_user_sgpr_kernarg_preload_offset 0
		.amdhsa_user_sgpr_private_segment_size 0
		.amdhsa_uses_dynamic_stack 0
		.amdhsa_system_sgpr_private_segment_wavefront_offset 0
		.amdhsa_system_sgpr_workgroup_id_x 1
		.amdhsa_system_sgpr_workgroup_id_y 0
		.amdhsa_system_sgpr_workgroup_id_z 0
		.amdhsa_system_sgpr_workgroup_info 0
		.amdhsa_system_vgpr_workitem_id 0
		.amdhsa_next_free_vgpr 1
		.amdhsa_next_free_sgpr 0
		.amdhsa_accum_offset 4
		.amdhsa_reserve_vcc 0
		.amdhsa_reserve_flat_scratch 0
		.amdhsa_float_round_mode_32 0
		.amdhsa_float_round_mode_16_64 0
		.amdhsa_float_denorm_mode_32 3
		.amdhsa_float_denorm_mode_16_64 3
		.amdhsa_dx10_clamp 1
		.amdhsa_ieee_mode 1
		.amdhsa_fp16_overflow 0
		.amdhsa_tg_split 0
		.amdhsa_exception_fp_ieee_invalid_op 0
		.amdhsa_exception_fp_denorm_src 0
		.amdhsa_exception_fp_ieee_div_zero 0
		.amdhsa_exception_fp_ieee_overflow 0
		.amdhsa_exception_fp_ieee_underflow 0
		.amdhsa_exception_fp_ieee_inexact 0
		.amdhsa_exception_int_div_zero 0
	.end_amdhsa_kernel
	.section	.text._ZN7rocprim17ROCPRIM_400000_NS6detail17trampoline_kernelINS0_14default_configENS1_27scan_by_key_config_selectorIiiEEZZNS1_16scan_by_key_implILNS1_25lookback_scan_determinismE0ELb0ES3_N6thrust23THRUST_200600_302600_NS10device_ptrIiEESB_SB_iNS9_4plusIvEENS9_8equal_toIvEEiEE10hipError_tPvRmT2_T3_T4_T5_mT6_T7_P12ihipStream_tbENKUlT_T0_E_clISt17integral_constantIbLb0EESW_EEDaSR_SS_EUlSR_E_NS1_11comp_targetILNS1_3genE3ELNS1_11target_archE908ELNS1_3gpuE7ELNS1_3repE0EEENS1_30default_config_static_selectorELNS0_4arch9wavefront6targetE1EEEvT1_,"axG",@progbits,_ZN7rocprim17ROCPRIM_400000_NS6detail17trampoline_kernelINS0_14default_configENS1_27scan_by_key_config_selectorIiiEEZZNS1_16scan_by_key_implILNS1_25lookback_scan_determinismE0ELb0ES3_N6thrust23THRUST_200600_302600_NS10device_ptrIiEESB_SB_iNS9_4plusIvEENS9_8equal_toIvEEiEE10hipError_tPvRmT2_T3_T4_T5_mT6_T7_P12ihipStream_tbENKUlT_T0_E_clISt17integral_constantIbLb0EESW_EEDaSR_SS_EUlSR_E_NS1_11comp_targetILNS1_3genE3ELNS1_11target_archE908ELNS1_3gpuE7ELNS1_3repE0EEENS1_30default_config_static_selectorELNS0_4arch9wavefront6targetE1EEEvT1_,comdat
.Lfunc_end2198:
	.size	_ZN7rocprim17ROCPRIM_400000_NS6detail17trampoline_kernelINS0_14default_configENS1_27scan_by_key_config_selectorIiiEEZZNS1_16scan_by_key_implILNS1_25lookback_scan_determinismE0ELb0ES3_N6thrust23THRUST_200600_302600_NS10device_ptrIiEESB_SB_iNS9_4plusIvEENS9_8equal_toIvEEiEE10hipError_tPvRmT2_T3_T4_T5_mT6_T7_P12ihipStream_tbENKUlT_T0_E_clISt17integral_constantIbLb0EESW_EEDaSR_SS_EUlSR_E_NS1_11comp_targetILNS1_3genE3ELNS1_11target_archE908ELNS1_3gpuE7ELNS1_3repE0EEENS1_30default_config_static_selectorELNS0_4arch9wavefront6targetE1EEEvT1_, .Lfunc_end2198-_ZN7rocprim17ROCPRIM_400000_NS6detail17trampoline_kernelINS0_14default_configENS1_27scan_by_key_config_selectorIiiEEZZNS1_16scan_by_key_implILNS1_25lookback_scan_determinismE0ELb0ES3_N6thrust23THRUST_200600_302600_NS10device_ptrIiEESB_SB_iNS9_4plusIvEENS9_8equal_toIvEEiEE10hipError_tPvRmT2_T3_T4_T5_mT6_T7_P12ihipStream_tbENKUlT_T0_E_clISt17integral_constantIbLb0EESW_EEDaSR_SS_EUlSR_E_NS1_11comp_targetILNS1_3genE3ELNS1_11target_archE908ELNS1_3gpuE7ELNS1_3repE0EEENS1_30default_config_static_selectorELNS0_4arch9wavefront6targetE1EEEvT1_
                                        ; -- End function
	.section	.AMDGPU.csdata,"",@progbits
; Kernel info:
; codeLenInByte = 0
; NumSgprs: 4
; NumVgprs: 0
; NumAgprs: 0
; TotalNumVgprs: 0
; ScratchSize: 0
; MemoryBound: 0
; FloatMode: 240
; IeeeMode: 1
; LDSByteSize: 0 bytes/workgroup (compile time only)
; SGPRBlocks: 0
; VGPRBlocks: 0
; NumSGPRsForWavesPerEU: 4
; NumVGPRsForWavesPerEU: 1
; AccumOffset: 4
; Occupancy: 8
; WaveLimiterHint : 0
; COMPUTE_PGM_RSRC2:SCRATCH_EN: 0
; COMPUTE_PGM_RSRC2:USER_SGPR: 6
; COMPUTE_PGM_RSRC2:TRAP_HANDLER: 0
; COMPUTE_PGM_RSRC2:TGID_X_EN: 1
; COMPUTE_PGM_RSRC2:TGID_Y_EN: 0
; COMPUTE_PGM_RSRC2:TGID_Z_EN: 0
; COMPUTE_PGM_RSRC2:TIDIG_COMP_CNT: 0
; COMPUTE_PGM_RSRC3_GFX90A:ACCUM_OFFSET: 0
; COMPUTE_PGM_RSRC3_GFX90A:TG_SPLIT: 0
	.section	.text._ZN7rocprim17ROCPRIM_400000_NS6detail17trampoline_kernelINS0_14default_configENS1_27scan_by_key_config_selectorIiiEEZZNS1_16scan_by_key_implILNS1_25lookback_scan_determinismE0ELb0ES3_N6thrust23THRUST_200600_302600_NS10device_ptrIiEESB_SB_iNS9_4plusIvEENS9_8equal_toIvEEiEE10hipError_tPvRmT2_T3_T4_T5_mT6_T7_P12ihipStream_tbENKUlT_T0_E_clISt17integral_constantIbLb0EESW_EEDaSR_SS_EUlSR_E_NS1_11comp_targetILNS1_3genE2ELNS1_11target_archE906ELNS1_3gpuE6ELNS1_3repE0EEENS1_30default_config_static_selectorELNS0_4arch9wavefront6targetE1EEEvT1_,"axG",@progbits,_ZN7rocprim17ROCPRIM_400000_NS6detail17trampoline_kernelINS0_14default_configENS1_27scan_by_key_config_selectorIiiEEZZNS1_16scan_by_key_implILNS1_25lookback_scan_determinismE0ELb0ES3_N6thrust23THRUST_200600_302600_NS10device_ptrIiEESB_SB_iNS9_4plusIvEENS9_8equal_toIvEEiEE10hipError_tPvRmT2_T3_T4_T5_mT6_T7_P12ihipStream_tbENKUlT_T0_E_clISt17integral_constantIbLb0EESW_EEDaSR_SS_EUlSR_E_NS1_11comp_targetILNS1_3genE2ELNS1_11target_archE906ELNS1_3gpuE6ELNS1_3repE0EEENS1_30default_config_static_selectorELNS0_4arch9wavefront6targetE1EEEvT1_,comdat
	.protected	_ZN7rocprim17ROCPRIM_400000_NS6detail17trampoline_kernelINS0_14default_configENS1_27scan_by_key_config_selectorIiiEEZZNS1_16scan_by_key_implILNS1_25lookback_scan_determinismE0ELb0ES3_N6thrust23THRUST_200600_302600_NS10device_ptrIiEESB_SB_iNS9_4plusIvEENS9_8equal_toIvEEiEE10hipError_tPvRmT2_T3_T4_T5_mT6_T7_P12ihipStream_tbENKUlT_T0_E_clISt17integral_constantIbLb0EESW_EEDaSR_SS_EUlSR_E_NS1_11comp_targetILNS1_3genE2ELNS1_11target_archE906ELNS1_3gpuE6ELNS1_3repE0EEENS1_30default_config_static_selectorELNS0_4arch9wavefront6targetE1EEEvT1_ ; -- Begin function _ZN7rocprim17ROCPRIM_400000_NS6detail17trampoline_kernelINS0_14default_configENS1_27scan_by_key_config_selectorIiiEEZZNS1_16scan_by_key_implILNS1_25lookback_scan_determinismE0ELb0ES3_N6thrust23THRUST_200600_302600_NS10device_ptrIiEESB_SB_iNS9_4plusIvEENS9_8equal_toIvEEiEE10hipError_tPvRmT2_T3_T4_T5_mT6_T7_P12ihipStream_tbENKUlT_T0_E_clISt17integral_constantIbLb0EESW_EEDaSR_SS_EUlSR_E_NS1_11comp_targetILNS1_3genE2ELNS1_11target_archE906ELNS1_3gpuE6ELNS1_3repE0EEENS1_30default_config_static_selectorELNS0_4arch9wavefront6targetE1EEEvT1_
	.globl	_ZN7rocprim17ROCPRIM_400000_NS6detail17trampoline_kernelINS0_14default_configENS1_27scan_by_key_config_selectorIiiEEZZNS1_16scan_by_key_implILNS1_25lookback_scan_determinismE0ELb0ES3_N6thrust23THRUST_200600_302600_NS10device_ptrIiEESB_SB_iNS9_4plusIvEENS9_8equal_toIvEEiEE10hipError_tPvRmT2_T3_T4_T5_mT6_T7_P12ihipStream_tbENKUlT_T0_E_clISt17integral_constantIbLb0EESW_EEDaSR_SS_EUlSR_E_NS1_11comp_targetILNS1_3genE2ELNS1_11target_archE906ELNS1_3gpuE6ELNS1_3repE0EEENS1_30default_config_static_selectorELNS0_4arch9wavefront6targetE1EEEvT1_
	.p2align	8
	.type	_ZN7rocprim17ROCPRIM_400000_NS6detail17trampoline_kernelINS0_14default_configENS1_27scan_by_key_config_selectorIiiEEZZNS1_16scan_by_key_implILNS1_25lookback_scan_determinismE0ELb0ES3_N6thrust23THRUST_200600_302600_NS10device_ptrIiEESB_SB_iNS9_4plusIvEENS9_8equal_toIvEEiEE10hipError_tPvRmT2_T3_T4_T5_mT6_T7_P12ihipStream_tbENKUlT_T0_E_clISt17integral_constantIbLb0EESW_EEDaSR_SS_EUlSR_E_NS1_11comp_targetILNS1_3genE2ELNS1_11target_archE906ELNS1_3gpuE6ELNS1_3repE0EEENS1_30default_config_static_selectorELNS0_4arch9wavefront6targetE1EEEvT1_,@function
_ZN7rocprim17ROCPRIM_400000_NS6detail17trampoline_kernelINS0_14default_configENS1_27scan_by_key_config_selectorIiiEEZZNS1_16scan_by_key_implILNS1_25lookback_scan_determinismE0ELb0ES3_N6thrust23THRUST_200600_302600_NS10device_ptrIiEESB_SB_iNS9_4plusIvEENS9_8equal_toIvEEiEE10hipError_tPvRmT2_T3_T4_T5_mT6_T7_P12ihipStream_tbENKUlT_T0_E_clISt17integral_constantIbLb0EESW_EEDaSR_SS_EUlSR_E_NS1_11comp_targetILNS1_3genE2ELNS1_11target_archE906ELNS1_3gpuE6ELNS1_3repE0EEENS1_30default_config_static_selectorELNS0_4arch9wavefront6targetE1EEEvT1_: ; @_ZN7rocprim17ROCPRIM_400000_NS6detail17trampoline_kernelINS0_14default_configENS1_27scan_by_key_config_selectorIiiEEZZNS1_16scan_by_key_implILNS1_25lookback_scan_determinismE0ELb0ES3_N6thrust23THRUST_200600_302600_NS10device_ptrIiEESB_SB_iNS9_4plusIvEENS9_8equal_toIvEEiEE10hipError_tPvRmT2_T3_T4_T5_mT6_T7_P12ihipStream_tbENKUlT_T0_E_clISt17integral_constantIbLb0EESW_EEDaSR_SS_EUlSR_E_NS1_11comp_targetILNS1_3genE2ELNS1_11target_archE906ELNS1_3gpuE6ELNS1_3repE0EEENS1_30default_config_static_selectorELNS0_4arch9wavefront6targetE1EEEvT1_
; %bb.0:
	.section	.rodata,"a",@progbits
	.p2align	6, 0x0
	.amdhsa_kernel _ZN7rocprim17ROCPRIM_400000_NS6detail17trampoline_kernelINS0_14default_configENS1_27scan_by_key_config_selectorIiiEEZZNS1_16scan_by_key_implILNS1_25lookback_scan_determinismE0ELb0ES3_N6thrust23THRUST_200600_302600_NS10device_ptrIiEESB_SB_iNS9_4plusIvEENS9_8equal_toIvEEiEE10hipError_tPvRmT2_T3_T4_T5_mT6_T7_P12ihipStream_tbENKUlT_T0_E_clISt17integral_constantIbLb0EESW_EEDaSR_SS_EUlSR_E_NS1_11comp_targetILNS1_3genE2ELNS1_11target_archE906ELNS1_3gpuE6ELNS1_3repE0EEENS1_30default_config_static_selectorELNS0_4arch9wavefront6targetE1EEEvT1_
		.amdhsa_group_segment_fixed_size 0
		.amdhsa_private_segment_fixed_size 0
		.amdhsa_kernarg_size 112
		.amdhsa_user_sgpr_count 6
		.amdhsa_user_sgpr_private_segment_buffer 1
		.amdhsa_user_sgpr_dispatch_ptr 0
		.amdhsa_user_sgpr_queue_ptr 0
		.amdhsa_user_sgpr_kernarg_segment_ptr 1
		.amdhsa_user_sgpr_dispatch_id 0
		.amdhsa_user_sgpr_flat_scratch_init 0
		.amdhsa_user_sgpr_kernarg_preload_length 0
		.amdhsa_user_sgpr_kernarg_preload_offset 0
		.amdhsa_user_sgpr_private_segment_size 0
		.amdhsa_uses_dynamic_stack 0
		.amdhsa_system_sgpr_private_segment_wavefront_offset 0
		.amdhsa_system_sgpr_workgroup_id_x 1
		.amdhsa_system_sgpr_workgroup_id_y 0
		.amdhsa_system_sgpr_workgroup_id_z 0
		.amdhsa_system_sgpr_workgroup_info 0
		.amdhsa_system_vgpr_workitem_id 0
		.amdhsa_next_free_vgpr 1
		.amdhsa_next_free_sgpr 0
		.amdhsa_accum_offset 4
		.amdhsa_reserve_vcc 0
		.amdhsa_reserve_flat_scratch 0
		.amdhsa_float_round_mode_32 0
		.amdhsa_float_round_mode_16_64 0
		.amdhsa_float_denorm_mode_32 3
		.amdhsa_float_denorm_mode_16_64 3
		.amdhsa_dx10_clamp 1
		.amdhsa_ieee_mode 1
		.amdhsa_fp16_overflow 0
		.amdhsa_tg_split 0
		.amdhsa_exception_fp_ieee_invalid_op 0
		.amdhsa_exception_fp_denorm_src 0
		.amdhsa_exception_fp_ieee_div_zero 0
		.amdhsa_exception_fp_ieee_overflow 0
		.amdhsa_exception_fp_ieee_underflow 0
		.amdhsa_exception_fp_ieee_inexact 0
		.amdhsa_exception_int_div_zero 0
	.end_amdhsa_kernel
	.section	.text._ZN7rocprim17ROCPRIM_400000_NS6detail17trampoline_kernelINS0_14default_configENS1_27scan_by_key_config_selectorIiiEEZZNS1_16scan_by_key_implILNS1_25lookback_scan_determinismE0ELb0ES3_N6thrust23THRUST_200600_302600_NS10device_ptrIiEESB_SB_iNS9_4plusIvEENS9_8equal_toIvEEiEE10hipError_tPvRmT2_T3_T4_T5_mT6_T7_P12ihipStream_tbENKUlT_T0_E_clISt17integral_constantIbLb0EESW_EEDaSR_SS_EUlSR_E_NS1_11comp_targetILNS1_3genE2ELNS1_11target_archE906ELNS1_3gpuE6ELNS1_3repE0EEENS1_30default_config_static_selectorELNS0_4arch9wavefront6targetE1EEEvT1_,"axG",@progbits,_ZN7rocprim17ROCPRIM_400000_NS6detail17trampoline_kernelINS0_14default_configENS1_27scan_by_key_config_selectorIiiEEZZNS1_16scan_by_key_implILNS1_25lookback_scan_determinismE0ELb0ES3_N6thrust23THRUST_200600_302600_NS10device_ptrIiEESB_SB_iNS9_4plusIvEENS9_8equal_toIvEEiEE10hipError_tPvRmT2_T3_T4_T5_mT6_T7_P12ihipStream_tbENKUlT_T0_E_clISt17integral_constantIbLb0EESW_EEDaSR_SS_EUlSR_E_NS1_11comp_targetILNS1_3genE2ELNS1_11target_archE906ELNS1_3gpuE6ELNS1_3repE0EEENS1_30default_config_static_selectorELNS0_4arch9wavefront6targetE1EEEvT1_,comdat
.Lfunc_end2199:
	.size	_ZN7rocprim17ROCPRIM_400000_NS6detail17trampoline_kernelINS0_14default_configENS1_27scan_by_key_config_selectorIiiEEZZNS1_16scan_by_key_implILNS1_25lookback_scan_determinismE0ELb0ES3_N6thrust23THRUST_200600_302600_NS10device_ptrIiEESB_SB_iNS9_4plusIvEENS9_8equal_toIvEEiEE10hipError_tPvRmT2_T3_T4_T5_mT6_T7_P12ihipStream_tbENKUlT_T0_E_clISt17integral_constantIbLb0EESW_EEDaSR_SS_EUlSR_E_NS1_11comp_targetILNS1_3genE2ELNS1_11target_archE906ELNS1_3gpuE6ELNS1_3repE0EEENS1_30default_config_static_selectorELNS0_4arch9wavefront6targetE1EEEvT1_, .Lfunc_end2199-_ZN7rocprim17ROCPRIM_400000_NS6detail17trampoline_kernelINS0_14default_configENS1_27scan_by_key_config_selectorIiiEEZZNS1_16scan_by_key_implILNS1_25lookback_scan_determinismE0ELb0ES3_N6thrust23THRUST_200600_302600_NS10device_ptrIiEESB_SB_iNS9_4plusIvEENS9_8equal_toIvEEiEE10hipError_tPvRmT2_T3_T4_T5_mT6_T7_P12ihipStream_tbENKUlT_T0_E_clISt17integral_constantIbLb0EESW_EEDaSR_SS_EUlSR_E_NS1_11comp_targetILNS1_3genE2ELNS1_11target_archE906ELNS1_3gpuE6ELNS1_3repE0EEENS1_30default_config_static_selectorELNS0_4arch9wavefront6targetE1EEEvT1_
                                        ; -- End function
	.section	.AMDGPU.csdata,"",@progbits
; Kernel info:
; codeLenInByte = 0
; NumSgprs: 4
; NumVgprs: 0
; NumAgprs: 0
; TotalNumVgprs: 0
; ScratchSize: 0
; MemoryBound: 0
; FloatMode: 240
; IeeeMode: 1
; LDSByteSize: 0 bytes/workgroup (compile time only)
; SGPRBlocks: 0
; VGPRBlocks: 0
; NumSGPRsForWavesPerEU: 4
; NumVGPRsForWavesPerEU: 1
; AccumOffset: 4
; Occupancy: 8
; WaveLimiterHint : 0
; COMPUTE_PGM_RSRC2:SCRATCH_EN: 0
; COMPUTE_PGM_RSRC2:USER_SGPR: 6
; COMPUTE_PGM_RSRC2:TRAP_HANDLER: 0
; COMPUTE_PGM_RSRC2:TGID_X_EN: 1
; COMPUTE_PGM_RSRC2:TGID_Y_EN: 0
; COMPUTE_PGM_RSRC2:TGID_Z_EN: 0
; COMPUTE_PGM_RSRC2:TIDIG_COMP_CNT: 0
; COMPUTE_PGM_RSRC3_GFX90A:ACCUM_OFFSET: 0
; COMPUTE_PGM_RSRC3_GFX90A:TG_SPLIT: 0
	.section	.text._ZN7rocprim17ROCPRIM_400000_NS6detail17trampoline_kernelINS0_14default_configENS1_27scan_by_key_config_selectorIiiEEZZNS1_16scan_by_key_implILNS1_25lookback_scan_determinismE0ELb0ES3_N6thrust23THRUST_200600_302600_NS10device_ptrIiEESB_SB_iNS9_4plusIvEENS9_8equal_toIvEEiEE10hipError_tPvRmT2_T3_T4_T5_mT6_T7_P12ihipStream_tbENKUlT_T0_E_clISt17integral_constantIbLb0EESW_EEDaSR_SS_EUlSR_E_NS1_11comp_targetILNS1_3genE10ELNS1_11target_archE1200ELNS1_3gpuE4ELNS1_3repE0EEENS1_30default_config_static_selectorELNS0_4arch9wavefront6targetE1EEEvT1_,"axG",@progbits,_ZN7rocprim17ROCPRIM_400000_NS6detail17trampoline_kernelINS0_14default_configENS1_27scan_by_key_config_selectorIiiEEZZNS1_16scan_by_key_implILNS1_25lookback_scan_determinismE0ELb0ES3_N6thrust23THRUST_200600_302600_NS10device_ptrIiEESB_SB_iNS9_4plusIvEENS9_8equal_toIvEEiEE10hipError_tPvRmT2_T3_T4_T5_mT6_T7_P12ihipStream_tbENKUlT_T0_E_clISt17integral_constantIbLb0EESW_EEDaSR_SS_EUlSR_E_NS1_11comp_targetILNS1_3genE10ELNS1_11target_archE1200ELNS1_3gpuE4ELNS1_3repE0EEENS1_30default_config_static_selectorELNS0_4arch9wavefront6targetE1EEEvT1_,comdat
	.protected	_ZN7rocprim17ROCPRIM_400000_NS6detail17trampoline_kernelINS0_14default_configENS1_27scan_by_key_config_selectorIiiEEZZNS1_16scan_by_key_implILNS1_25lookback_scan_determinismE0ELb0ES3_N6thrust23THRUST_200600_302600_NS10device_ptrIiEESB_SB_iNS9_4plusIvEENS9_8equal_toIvEEiEE10hipError_tPvRmT2_T3_T4_T5_mT6_T7_P12ihipStream_tbENKUlT_T0_E_clISt17integral_constantIbLb0EESW_EEDaSR_SS_EUlSR_E_NS1_11comp_targetILNS1_3genE10ELNS1_11target_archE1200ELNS1_3gpuE4ELNS1_3repE0EEENS1_30default_config_static_selectorELNS0_4arch9wavefront6targetE1EEEvT1_ ; -- Begin function _ZN7rocprim17ROCPRIM_400000_NS6detail17trampoline_kernelINS0_14default_configENS1_27scan_by_key_config_selectorIiiEEZZNS1_16scan_by_key_implILNS1_25lookback_scan_determinismE0ELb0ES3_N6thrust23THRUST_200600_302600_NS10device_ptrIiEESB_SB_iNS9_4plusIvEENS9_8equal_toIvEEiEE10hipError_tPvRmT2_T3_T4_T5_mT6_T7_P12ihipStream_tbENKUlT_T0_E_clISt17integral_constantIbLb0EESW_EEDaSR_SS_EUlSR_E_NS1_11comp_targetILNS1_3genE10ELNS1_11target_archE1200ELNS1_3gpuE4ELNS1_3repE0EEENS1_30default_config_static_selectorELNS0_4arch9wavefront6targetE1EEEvT1_
	.globl	_ZN7rocprim17ROCPRIM_400000_NS6detail17trampoline_kernelINS0_14default_configENS1_27scan_by_key_config_selectorIiiEEZZNS1_16scan_by_key_implILNS1_25lookback_scan_determinismE0ELb0ES3_N6thrust23THRUST_200600_302600_NS10device_ptrIiEESB_SB_iNS9_4plusIvEENS9_8equal_toIvEEiEE10hipError_tPvRmT2_T3_T4_T5_mT6_T7_P12ihipStream_tbENKUlT_T0_E_clISt17integral_constantIbLb0EESW_EEDaSR_SS_EUlSR_E_NS1_11comp_targetILNS1_3genE10ELNS1_11target_archE1200ELNS1_3gpuE4ELNS1_3repE0EEENS1_30default_config_static_selectorELNS0_4arch9wavefront6targetE1EEEvT1_
	.p2align	8
	.type	_ZN7rocprim17ROCPRIM_400000_NS6detail17trampoline_kernelINS0_14default_configENS1_27scan_by_key_config_selectorIiiEEZZNS1_16scan_by_key_implILNS1_25lookback_scan_determinismE0ELb0ES3_N6thrust23THRUST_200600_302600_NS10device_ptrIiEESB_SB_iNS9_4plusIvEENS9_8equal_toIvEEiEE10hipError_tPvRmT2_T3_T4_T5_mT6_T7_P12ihipStream_tbENKUlT_T0_E_clISt17integral_constantIbLb0EESW_EEDaSR_SS_EUlSR_E_NS1_11comp_targetILNS1_3genE10ELNS1_11target_archE1200ELNS1_3gpuE4ELNS1_3repE0EEENS1_30default_config_static_selectorELNS0_4arch9wavefront6targetE1EEEvT1_,@function
_ZN7rocprim17ROCPRIM_400000_NS6detail17trampoline_kernelINS0_14default_configENS1_27scan_by_key_config_selectorIiiEEZZNS1_16scan_by_key_implILNS1_25lookback_scan_determinismE0ELb0ES3_N6thrust23THRUST_200600_302600_NS10device_ptrIiEESB_SB_iNS9_4plusIvEENS9_8equal_toIvEEiEE10hipError_tPvRmT2_T3_T4_T5_mT6_T7_P12ihipStream_tbENKUlT_T0_E_clISt17integral_constantIbLb0EESW_EEDaSR_SS_EUlSR_E_NS1_11comp_targetILNS1_3genE10ELNS1_11target_archE1200ELNS1_3gpuE4ELNS1_3repE0EEENS1_30default_config_static_selectorELNS0_4arch9wavefront6targetE1EEEvT1_: ; @_ZN7rocprim17ROCPRIM_400000_NS6detail17trampoline_kernelINS0_14default_configENS1_27scan_by_key_config_selectorIiiEEZZNS1_16scan_by_key_implILNS1_25lookback_scan_determinismE0ELb0ES3_N6thrust23THRUST_200600_302600_NS10device_ptrIiEESB_SB_iNS9_4plusIvEENS9_8equal_toIvEEiEE10hipError_tPvRmT2_T3_T4_T5_mT6_T7_P12ihipStream_tbENKUlT_T0_E_clISt17integral_constantIbLb0EESW_EEDaSR_SS_EUlSR_E_NS1_11comp_targetILNS1_3genE10ELNS1_11target_archE1200ELNS1_3gpuE4ELNS1_3repE0EEENS1_30default_config_static_selectorELNS0_4arch9wavefront6targetE1EEEvT1_
; %bb.0:
	.section	.rodata,"a",@progbits
	.p2align	6, 0x0
	.amdhsa_kernel _ZN7rocprim17ROCPRIM_400000_NS6detail17trampoline_kernelINS0_14default_configENS1_27scan_by_key_config_selectorIiiEEZZNS1_16scan_by_key_implILNS1_25lookback_scan_determinismE0ELb0ES3_N6thrust23THRUST_200600_302600_NS10device_ptrIiEESB_SB_iNS9_4plusIvEENS9_8equal_toIvEEiEE10hipError_tPvRmT2_T3_T4_T5_mT6_T7_P12ihipStream_tbENKUlT_T0_E_clISt17integral_constantIbLb0EESW_EEDaSR_SS_EUlSR_E_NS1_11comp_targetILNS1_3genE10ELNS1_11target_archE1200ELNS1_3gpuE4ELNS1_3repE0EEENS1_30default_config_static_selectorELNS0_4arch9wavefront6targetE1EEEvT1_
		.amdhsa_group_segment_fixed_size 0
		.amdhsa_private_segment_fixed_size 0
		.amdhsa_kernarg_size 112
		.amdhsa_user_sgpr_count 6
		.amdhsa_user_sgpr_private_segment_buffer 1
		.amdhsa_user_sgpr_dispatch_ptr 0
		.amdhsa_user_sgpr_queue_ptr 0
		.amdhsa_user_sgpr_kernarg_segment_ptr 1
		.amdhsa_user_sgpr_dispatch_id 0
		.amdhsa_user_sgpr_flat_scratch_init 0
		.amdhsa_user_sgpr_kernarg_preload_length 0
		.amdhsa_user_sgpr_kernarg_preload_offset 0
		.amdhsa_user_sgpr_private_segment_size 0
		.amdhsa_uses_dynamic_stack 0
		.amdhsa_system_sgpr_private_segment_wavefront_offset 0
		.amdhsa_system_sgpr_workgroup_id_x 1
		.amdhsa_system_sgpr_workgroup_id_y 0
		.amdhsa_system_sgpr_workgroup_id_z 0
		.amdhsa_system_sgpr_workgroup_info 0
		.amdhsa_system_vgpr_workitem_id 0
		.amdhsa_next_free_vgpr 1
		.amdhsa_next_free_sgpr 0
		.amdhsa_accum_offset 4
		.amdhsa_reserve_vcc 0
		.amdhsa_reserve_flat_scratch 0
		.amdhsa_float_round_mode_32 0
		.amdhsa_float_round_mode_16_64 0
		.amdhsa_float_denorm_mode_32 3
		.amdhsa_float_denorm_mode_16_64 3
		.amdhsa_dx10_clamp 1
		.amdhsa_ieee_mode 1
		.amdhsa_fp16_overflow 0
		.amdhsa_tg_split 0
		.amdhsa_exception_fp_ieee_invalid_op 0
		.amdhsa_exception_fp_denorm_src 0
		.amdhsa_exception_fp_ieee_div_zero 0
		.amdhsa_exception_fp_ieee_overflow 0
		.amdhsa_exception_fp_ieee_underflow 0
		.amdhsa_exception_fp_ieee_inexact 0
		.amdhsa_exception_int_div_zero 0
	.end_amdhsa_kernel
	.section	.text._ZN7rocprim17ROCPRIM_400000_NS6detail17trampoline_kernelINS0_14default_configENS1_27scan_by_key_config_selectorIiiEEZZNS1_16scan_by_key_implILNS1_25lookback_scan_determinismE0ELb0ES3_N6thrust23THRUST_200600_302600_NS10device_ptrIiEESB_SB_iNS9_4plusIvEENS9_8equal_toIvEEiEE10hipError_tPvRmT2_T3_T4_T5_mT6_T7_P12ihipStream_tbENKUlT_T0_E_clISt17integral_constantIbLb0EESW_EEDaSR_SS_EUlSR_E_NS1_11comp_targetILNS1_3genE10ELNS1_11target_archE1200ELNS1_3gpuE4ELNS1_3repE0EEENS1_30default_config_static_selectorELNS0_4arch9wavefront6targetE1EEEvT1_,"axG",@progbits,_ZN7rocprim17ROCPRIM_400000_NS6detail17trampoline_kernelINS0_14default_configENS1_27scan_by_key_config_selectorIiiEEZZNS1_16scan_by_key_implILNS1_25lookback_scan_determinismE0ELb0ES3_N6thrust23THRUST_200600_302600_NS10device_ptrIiEESB_SB_iNS9_4plusIvEENS9_8equal_toIvEEiEE10hipError_tPvRmT2_T3_T4_T5_mT6_T7_P12ihipStream_tbENKUlT_T0_E_clISt17integral_constantIbLb0EESW_EEDaSR_SS_EUlSR_E_NS1_11comp_targetILNS1_3genE10ELNS1_11target_archE1200ELNS1_3gpuE4ELNS1_3repE0EEENS1_30default_config_static_selectorELNS0_4arch9wavefront6targetE1EEEvT1_,comdat
.Lfunc_end2200:
	.size	_ZN7rocprim17ROCPRIM_400000_NS6detail17trampoline_kernelINS0_14default_configENS1_27scan_by_key_config_selectorIiiEEZZNS1_16scan_by_key_implILNS1_25lookback_scan_determinismE0ELb0ES3_N6thrust23THRUST_200600_302600_NS10device_ptrIiEESB_SB_iNS9_4plusIvEENS9_8equal_toIvEEiEE10hipError_tPvRmT2_T3_T4_T5_mT6_T7_P12ihipStream_tbENKUlT_T0_E_clISt17integral_constantIbLb0EESW_EEDaSR_SS_EUlSR_E_NS1_11comp_targetILNS1_3genE10ELNS1_11target_archE1200ELNS1_3gpuE4ELNS1_3repE0EEENS1_30default_config_static_selectorELNS0_4arch9wavefront6targetE1EEEvT1_, .Lfunc_end2200-_ZN7rocprim17ROCPRIM_400000_NS6detail17trampoline_kernelINS0_14default_configENS1_27scan_by_key_config_selectorIiiEEZZNS1_16scan_by_key_implILNS1_25lookback_scan_determinismE0ELb0ES3_N6thrust23THRUST_200600_302600_NS10device_ptrIiEESB_SB_iNS9_4plusIvEENS9_8equal_toIvEEiEE10hipError_tPvRmT2_T3_T4_T5_mT6_T7_P12ihipStream_tbENKUlT_T0_E_clISt17integral_constantIbLb0EESW_EEDaSR_SS_EUlSR_E_NS1_11comp_targetILNS1_3genE10ELNS1_11target_archE1200ELNS1_3gpuE4ELNS1_3repE0EEENS1_30default_config_static_selectorELNS0_4arch9wavefront6targetE1EEEvT1_
                                        ; -- End function
	.section	.AMDGPU.csdata,"",@progbits
; Kernel info:
; codeLenInByte = 0
; NumSgprs: 4
; NumVgprs: 0
; NumAgprs: 0
; TotalNumVgprs: 0
; ScratchSize: 0
; MemoryBound: 0
; FloatMode: 240
; IeeeMode: 1
; LDSByteSize: 0 bytes/workgroup (compile time only)
; SGPRBlocks: 0
; VGPRBlocks: 0
; NumSGPRsForWavesPerEU: 4
; NumVGPRsForWavesPerEU: 1
; AccumOffset: 4
; Occupancy: 8
; WaveLimiterHint : 0
; COMPUTE_PGM_RSRC2:SCRATCH_EN: 0
; COMPUTE_PGM_RSRC2:USER_SGPR: 6
; COMPUTE_PGM_RSRC2:TRAP_HANDLER: 0
; COMPUTE_PGM_RSRC2:TGID_X_EN: 1
; COMPUTE_PGM_RSRC2:TGID_Y_EN: 0
; COMPUTE_PGM_RSRC2:TGID_Z_EN: 0
; COMPUTE_PGM_RSRC2:TIDIG_COMP_CNT: 0
; COMPUTE_PGM_RSRC3_GFX90A:ACCUM_OFFSET: 0
; COMPUTE_PGM_RSRC3_GFX90A:TG_SPLIT: 0
	.section	.text._ZN7rocprim17ROCPRIM_400000_NS6detail17trampoline_kernelINS0_14default_configENS1_27scan_by_key_config_selectorIiiEEZZNS1_16scan_by_key_implILNS1_25lookback_scan_determinismE0ELb0ES3_N6thrust23THRUST_200600_302600_NS10device_ptrIiEESB_SB_iNS9_4plusIvEENS9_8equal_toIvEEiEE10hipError_tPvRmT2_T3_T4_T5_mT6_T7_P12ihipStream_tbENKUlT_T0_E_clISt17integral_constantIbLb0EESW_EEDaSR_SS_EUlSR_E_NS1_11comp_targetILNS1_3genE9ELNS1_11target_archE1100ELNS1_3gpuE3ELNS1_3repE0EEENS1_30default_config_static_selectorELNS0_4arch9wavefront6targetE1EEEvT1_,"axG",@progbits,_ZN7rocprim17ROCPRIM_400000_NS6detail17trampoline_kernelINS0_14default_configENS1_27scan_by_key_config_selectorIiiEEZZNS1_16scan_by_key_implILNS1_25lookback_scan_determinismE0ELb0ES3_N6thrust23THRUST_200600_302600_NS10device_ptrIiEESB_SB_iNS9_4plusIvEENS9_8equal_toIvEEiEE10hipError_tPvRmT2_T3_T4_T5_mT6_T7_P12ihipStream_tbENKUlT_T0_E_clISt17integral_constantIbLb0EESW_EEDaSR_SS_EUlSR_E_NS1_11comp_targetILNS1_3genE9ELNS1_11target_archE1100ELNS1_3gpuE3ELNS1_3repE0EEENS1_30default_config_static_selectorELNS0_4arch9wavefront6targetE1EEEvT1_,comdat
	.protected	_ZN7rocprim17ROCPRIM_400000_NS6detail17trampoline_kernelINS0_14default_configENS1_27scan_by_key_config_selectorIiiEEZZNS1_16scan_by_key_implILNS1_25lookback_scan_determinismE0ELb0ES3_N6thrust23THRUST_200600_302600_NS10device_ptrIiEESB_SB_iNS9_4plusIvEENS9_8equal_toIvEEiEE10hipError_tPvRmT2_T3_T4_T5_mT6_T7_P12ihipStream_tbENKUlT_T0_E_clISt17integral_constantIbLb0EESW_EEDaSR_SS_EUlSR_E_NS1_11comp_targetILNS1_3genE9ELNS1_11target_archE1100ELNS1_3gpuE3ELNS1_3repE0EEENS1_30default_config_static_selectorELNS0_4arch9wavefront6targetE1EEEvT1_ ; -- Begin function _ZN7rocprim17ROCPRIM_400000_NS6detail17trampoline_kernelINS0_14default_configENS1_27scan_by_key_config_selectorIiiEEZZNS1_16scan_by_key_implILNS1_25lookback_scan_determinismE0ELb0ES3_N6thrust23THRUST_200600_302600_NS10device_ptrIiEESB_SB_iNS9_4plusIvEENS9_8equal_toIvEEiEE10hipError_tPvRmT2_T3_T4_T5_mT6_T7_P12ihipStream_tbENKUlT_T0_E_clISt17integral_constantIbLb0EESW_EEDaSR_SS_EUlSR_E_NS1_11comp_targetILNS1_3genE9ELNS1_11target_archE1100ELNS1_3gpuE3ELNS1_3repE0EEENS1_30default_config_static_selectorELNS0_4arch9wavefront6targetE1EEEvT1_
	.globl	_ZN7rocprim17ROCPRIM_400000_NS6detail17trampoline_kernelINS0_14default_configENS1_27scan_by_key_config_selectorIiiEEZZNS1_16scan_by_key_implILNS1_25lookback_scan_determinismE0ELb0ES3_N6thrust23THRUST_200600_302600_NS10device_ptrIiEESB_SB_iNS9_4plusIvEENS9_8equal_toIvEEiEE10hipError_tPvRmT2_T3_T4_T5_mT6_T7_P12ihipStream_tbENKUlT_T0_E_clISt17integral_constantIbLb0EESW_EEDaSR_SS_EUlSR_E_NS1_11comp_targetILNS1_3genE9ELNS1_11target_archE1100ELNS1_3gpuE3ELNS1_3repE0EEENS1_30default_config_static_selectorELNS0_4arch9wavefront6targetE1EEEvT1_
	.p2align	8
	.type	_ZN7rocprim17ROCPRIM_400000_NS6detail17trampoline_kernelINS0_14default_configENS1_27scan_by_key_config_selectorIiiEEZZNS1_16scan_by_key_implILNS1_25lookback_scan_determinismE0ELb0ES3_N6thrust23THRUST_200600_302600_NS10device_ptrIiEESB_SB_iNS9_4plusIvEENS9_8equal_toIvEEiEE10hipError_tPvRmT2_T3_T4_T5_mT6_T7_P12ihipStream_tbENKUlT_T0_E_clISt17integral_constantIbLb0EESW_EEDaSR_SS_EUlSR_E_NS1_11comp_targetILNS1_3genE9ELNS1_11target_archE1100ELNS1_3gpuE3ELNS1_3repE0EEENS1_30default_config_static_selectorELNS0_4arch9wavefront6targetE1EEEvT1_,@function
_ZN7rocprim17ROCPRIM_400000_NS6detail17trampoline_kernelINS0_14default_configENS1_27scan_by_key_config_selectorIiiEEZZNS1_16scan_by_key_implILNS1_25lookback_scan_determinismE0ELb0ES3_N6thrust23THRUST_200600_302600_NS10device_ptrIiEESB_SB_iNS9_4plusIvEENS9_8equal_toIvEEiEE10hipError_tPvRmT2_T3_T4_T5_mT6_T7_P12ihipStream_tbENKUlT_T0_E_clISt17integral_constantIbLb0EESW_EEDaSR_SS_EUlSR_E_NS1_11comp_targetILNS1_3genE9ELNS1_11target_archE1100ELNS1_3gpuE3ELNS1_3repE0EEENS1_30default_config_static_selectorELNS0_4arch9wavefront6targetE1EEEvT1_: ; @_ZN7rocprim17ROCPRIM_400000_NS6detail17trampoline_kernelINS0_14default_configENS1_27scan_by_key_config_selectorIiiEEZZNS1_16scan_by_key_implILNS1_25lookback_scan_determinismE0ELb0ES3_N6thrust23THRUST_200600_302600_NS10device_ptrIiEESB_SB_iNS9_4plusIvEENS9_8equal_toIvEEiEE10hipError_tPvRmT2_T3_T4_T5_mT6_T7_P12ihipStream_tbENKUlT_T0_E_clISt17integral_constantIbLb0EESW_EEDaSR_SS_EUlSR_E_NS1_11comp_targetILNS1_3genE9ELNS1_11target_archE1100ELNS1_3gpuE3ELNS1_3repE0EEENS1_30default_config_static_selectorELNS0_4arch9wavefront6targetE1EEEvT1_
; %bb.0:
	.section	.rodata,"a",@progbits
	.p2align	6, 0x0
	.amdhsa_kernel _ZN7rocprim17ROCPRIM_400000_NS6detail17trampoline_kernelINS0_14default_configENS1_27scan_by_key_config_selectorIiiEEZZNS1_16scan_by_key_implILNS1_25lookback_scan_determinismE0ELb0ES3_N6thrust23THRUST_200600_302600_NS10device_ptrIiEESB_SB_iNS9_4plusIvEENS9_8equal_toIvEEiEE10hipError_tPvRmT2_T3_T4_T5_mT6_T7_P12ihipStream_tbENKUlT_T0_E_clISt17integral_constantIbLb0EESW_EEDaSR_SS_EUlSR_E_NS1_11comp_targetILNS1_3genE9ELNS1_11target_archE1100ELNS1_3gpuE3ELNS1_3repE0EEENS1_30default_config_static_selectorELNS0_4arch9wavefront6targetE1EEEvT1_
		.amdhsa_group_segment_fixed_size 0
		.amdhsa_private_segment_fixed_size 0
		.amdhsa_kernarg_size 112
		.amdhsa_user_sgpr_count 6
		.amdhsa_user_sgpr_private_segment_buffer 1
		.amdhsa_user_sgpr_dispatch_ptr 0
		.amdhsa_user_sgpr_queue_ptr 0
		.amdhsa_user_sgpr_kernarg_segment_ptr 1
		.amdhsa_user_sgpr_dispatch_id 0
		.amdhsa_user_sgpr_flat_scratch_init 0
		.amdhsa_user_sgpr_kernarg_preload_length 0
		.amdhsa_user_sgpr_kernarg_preload_offset 0
		.amdhsa_user_sgpr_private_segment_size 0
		.amdhsa_uses_dynamic_stack 0
		.amdhsa_system_sgpr_private_segment_wavefront_offset 0
		.amdhsa_system_sgpr_workgroup_id_x 1
		.amdhsa_system_sgpr_workgroup_id_y 0
		.amdhsa_system_sgpr_workgroup_id_z 0
		.amdhsa_system_sgpr_workgroup_info 0
		.amdhsa_system_vgpr_workitem_id 0
		.amdhsa_next_free_vgpr 1
		.amdhsa_next_free_sgpr 0
		.amdhsa_accum_offset 4
		.amdhsa_reserve_vcc 0
		.amdhsa_reserve_flat_scratch 0
		.amdhsa_float_round_mode_32 0
		.amdhsa_float_round_mode_16_64 0
		.amdhsa_float_denorm_mode_32 3
		.amdhsa_float_denorm_mode_16_64 3
		.amdhsa_dx10_clamp 1
		.amdhsa_ieee_mode 1
		.amdhsa_fp16_overflow 0
		.amdhsa_tg_split 0
		.amdhsa_exception_fp_ieee_invalid_op 0
		.amdhsa_exception_fp_denorm_src 0
		.amdhsa_exception_fp_ieee_div_zero 0
		.amdhsa_exception_fp_ieee_overflow 0
		.amdhsa_exception_fp_ieee_underflow 0
		.amdhsa_exception_fp_ieee_inexact 0
		.amdhsa_exception_int_div_zero 0
	.end_amdhsa_kernel
	.section	.text._ZN7rocprim17ROCPRIM_400000_NS6detail17trampoline_kernelINS0_14default_configENS1_27scan_by_key_config_selectorIiiEEZZNS1_16scan_by_key_implILNS1_25lookback_scan_determinismE0ELb0ES3_N6thrust23THRUST_200600_302600_NS10device_ptrIiEESB_SB_iNS9_4plusIvEENS9_8equal_toIvEEiEE10hipError_tPvRmT2_T3_T4_T5_mT6_T7_P12ihipStream_tbENKUlT_T0_E_clISt17integral_constantIbLb0EESW_EEDaSR_SS_EUlSR_E_NS1_11comp_targetILNS1_3genE9ELNS1_11target_archE1100ELNS1_3gpuE3ELNS1_3repE0EEENS1_30default_config_static_selectorELNS0_4arch9wavefront6targetE1EEEvT1_,"axG",@progbits,_ZN7rocprim17ROCPRIM_400000_NS6detail17trampoline_kernelINS0_14default_configENS1_27scan_by_key_config_selectorIiiEEZZNS1_16scan_by_key_implILNS1_25lookback_scan_determinismE0ELb0ES3_N6thrust23THRUST_200600_302600_NS10device_ptrIiEESB_SB_iNS9_4plusIvEENS9_8equal_toIvEEiEE10hipError_tPvRmT2_T3_T4_T5_mT6_T7_P12ihipStream_tbENKUlT_T0_E_clISt17integral_constantIbLb0EESW_EEDaSR_SS_EUlSR_E_NS1_11comp_targetILNS1_3genE9ELNS1_11target_archE1100ELNS1_3gpuE3ELNS1_3repE0EEENS1_30default_config_static_selectorELNS0_4arch9wavefront6targetE1EEEvT1_,comdat
.Lfunc_end2201:
	.size	_ZN7rocprim17ROCPRIM_400000_NS6detail17trampoline_kernelINS0_14default_configENS1_27scan_by_key_config_selectorIiiEEZZNS1_16scan_by_key_implILNS1_25lookback_scan_determinismE0ELb0ES3_N6thrust23THRUST_200600_302600_NS10device_ptrIiEESB_SB_iNS9_4plusIvEENS9_8equal_toIvEEiEE10hipError_tPvRmT2_T3_T4_T5_mT6_T7_P12ihipStream_tbENKUlT_T0_E_clISt17integral_constantIbLb0EESW_EEDaSR_SS_EUlSR_E_NS1_11comp_targetILNS1_3genE9ELNS1_11target_archE1100ELNS1_3gpuE3ELNS1_3repE0EEENS1_30default_config_static_selectorELNS0_4arch9wavefront6targetE1EEEvT1_, .Lfunc_end2201-_ZN7rocprim17ROCPRIM_400000_NS6detail17trampoline_kernelINS0_14default_configENS1_27scan_by_key_config_selectorIiiEEZZNS1_16scan_by_key_implILNS1_25lookback_scan_determinismE0ELb0ES3_N6thrust23THRUST_200600_302600_NS10device_ptrIiEESB_SB_iNS9_4plusIvEENS9_8equal_toIvEEiEE10hipError_tPvRmT2_T3_T4_T5_mT6_T7_P12ihipStream_tbENKUlT_T0_E_clISt17integral_constantIbLb0EESW_EEDaSR_SS_EUlSR_E_NS1_11comp_targetILNS1_3genE9ELNS1_11target_archE1100ELNS1_3gpuE3ELNS1_3repE0EEENS1_30default_config_static_selectorELNS0_4arch9wavefront6targetE1EEEvT1_
                                        ; -- End function
	.section	.AMDGPU.csdata,"",@progbits
; Kernel info:
; codeLenInByte = 0
; NumSgprs: 4
; NumVgprs: 0
; NumAgprs: 0
; TotalNumVgprs: 0
; ScratchSize: 0
; MemoryBound: 0
; FloatMode: 240
; IeeeMode: 1
; LDSByteSize: 0 bytes/workgroup (compile time only)
; SGPRBlocks: 0
; VGPRBlocks: 0
; NumSGPRsForWavesPerEU: 4
; NumVGPRsForWavesPerEU: 1
; AccumOffset: 4
; Occupancy: 8
; WaveLimiterHint : 0
; COMPUTE_PGM_RSRC2:SCRATCH_EN: 0
; COMPUTE_PGM_RSRC2:USER_SGPR: 6
; COMPUTE_PGM_RSRC2:TRAP_HANDLER: 0
; COMPUTE_PGM_RSRC2:TGID_X_EN: 1
; COMPUTE_PGM_RSRC2:TGID_Y_EN: 0
; COMPUTE_PGM_RSRC2:TGID_Z_EN: 0
; COMPUTE_PGM_RSRC2:TIDIG_COMP_CNT: 0
; COMPUTE_PGM_RSRC3_GFX90A:ACCUM_OFFSET: 0
; COMPUTE_PGM_RSRC3_GFX90A:TG_SPLIT: 0
	.section	.text._ZN7rocprim17ROCPRIM_400000_NS6detail17trampoline_kernelINS0_14default_configENS1_27scan_by_key_config_selectorIiiEEZZNS1_16scan_by_key_implILNS1_25lookback_scan_determinismE0ELb0ES3_N6thrust23THRUST_200600_302600_NS10device_ptrIiEESB_SB_iNS9_4plusIvEENS9_8equal_toIvEEiEE10hipError_tPvRmT2_T3_T4_T5_mT6_T7_P12ihipStream_tbENKUlT_T0_E_clISt17integral_constantIbLb0EESW_EEDaSR_SS_EUlSR_E_NS1_11comp_targetILNS1_3genE8ELNS1_11target_archE1030ELNS1_3gpuE2ELNS1_3repE0EEENS1_30default_config_static_selectorELNS0_4arch9wavefront6targetE1EEEvT1_,"axG",@progbits,_ZN7rocprim17ROCPRIM_400000_NS6detail17trampoline_kernelINS0_14default_configENS1_27scan_by_key_config_selectorIiiEEZZNS1_16scan_by_key_implILNS1_25lookback_scan_determinismE0ELb0ES3_N6thrust23THRUST_200600_302600_NS10device_ptrIiEESB_SB_iNS9_4plusIvEENS9_8equal_toIvEEiEE10hipError_tPvRmT2_T3_T4_T5_mT6_T7_P12ihipStream_tbENKUlT_T0_E_clISt17integral_constantIbLb0EESW_EEDaSR_SS_EUlSR_E_NS1_11comp_targetILNS1_3genE8ELNS1_11target_archE1030ELNS1_3gpuE2ELNS1_3repE0EEENS1_30default_config_static_selectorELNS0_4arch9wavefront6targetE1EEEvT1_,comdat
	.protected	_ZN7rocprim17ROCPRIM_400000_NS6detail17trampoline_kernelINS0_14default_configENS1_27scan_by_key_config_selectorIiiEEZZNS1_16scan_by_key_implILNS1_25lookback_scan_determinismE0ELb0ES3_N6thrust23THRUST_200600_302600_NS10device_ptrIiEESB_SB_iNS9_4plusIvEENS9_8equal_toIvEEiEE10hipError_tPvRmT2_T3_T4_T5_mT6_T7_P12ihipStream_tbENKUlT_T0_E_clISt17integral_constantIbLb0EESW_EEDaSR_SS_EUlSR_E_NS1_11comp_targetILNS1_3genE8ELNS1_11target_archE1030ELNS1_3gpuE2ELNS1_3repE0EEENS1_30default_config_static_selectorELNS0_4arch9wavefront6targetE1EEEvT1_ ; -- Begin function _ZN7rocprim17ROCPRIM_400000_NS6detail17trampoline_kernelINS0_14default_configENS1_27scan_by_key_config_selectorIiiEEZZNS1_16scan_by_key_implILNS1_25lookback_scan_determinismE0ELb0ES3_N6thrust23THRUST_200600_302600_NS10device_ptrIiEESB_SB_iNS9_4plusIvEENS9_8equal_toIvEEiEE10hipError_tPvRmT2_T3_T4_T5_mT6_T7_P12ihipStream_tbENKUlT_T0_E_clISt17integral_constantIbLb0EESW_EEDaSR_SS_EUlSR_E_NS1_11comp_targetILNS1_3genE8ELNS1_11target_archE1030ELNS1_3gpuE2ELNS1_3repE0EEENS1_30default_config_static_selectorELNS0_4arch9wavefront6targetE1EEEvT1_
	.globl	_ZN7rocprim17ROCPRIM_400000_NS6detail17trampoline_kernelINS0_14default_configENS1_27scan_by_key_config_selectorIiiEEZZNS1_16scan_by_key_implILNS1_25lookback_scan_determinismE0ELb0ES3_N6thrust23THRUST_200600_302600_NS10device_ptrIiEESB_SB_iNS9_4plusIvEENS9_8equal_toIvEEiEE10hipError_tPvRmT2_T3_T4_T5_mT6_T7_P12ihipStream_tbENKUlT_T0_E_clISt17integral_constantIbLb0EESW_EEDaSR_SS_EUlSR_E_NS1_11comp_targetILNS1_3genE8ELNS1_11target_archE1030ELNS1_3gpuE2ELNS1_3repE0EEENS1_30default_config_static_selectorELNS0_4arch9wavefront6targetE1EEEvT1_
	.p2align	8
	.type	_ZN7rocprim17ROCPRIM_400000_NS6detail17trampoline_kernelINS0_14default_configENS1_27scan_by_key_config_selectorIiiEEZZNS1_16scan_by_key_implILNS1_25lookback_scan_determinismE0ELb0ES3_N6thrust23THRUST_200600_302600_NS10device_ptrIiEESB_SB_iNS9_4plusIvEENS9_8equal_toIvEEiEE10hipError_tPvRmT2_T3_T4_T5_mT6_T7_P12ihipStream_tbENKUlT_T0_E_clISt17integral_constantIbLb0EESW_EEDaSR_SS_EUlSR_E_NS1_11comp_targetILNS1_3genE8ELNS1_11target_archE1030ELNS1_3gpuE2ELNS1_3repE0EEENS1_30default_config_static_selectorELNS0_4arch9wavefront6targetE1EEEvT1_,@function
_ZN7rocprim17ROCPRIM_400000_NS6detail17trampoline_kernelINS0_14default_configENS1_27scan_by_key_config_selectorIiiEEZZNS1_16scan_by_key_implILNS1_25lookback_scan_determinismE0ELb0ES3_N6thrust23THRUST_200600_302600_NS10device_ptrIiEESB_SB_iNS9_4plusIvEENS9_8equal_toIvEEiEE10hipError_tPvRmT2_T3_T4_T5_mT6_T7_P12ihipStream_tbENKUlT_T0_E_clISt17integral_constantIbLb0EESW_EEDaSR_SS_EUlSR_E_NS1_11comp_targetILNS1_3genE8ELNS1_11target_archE1030ELNS1_3gpuE2ELNS1_3repE0EEENS1_30default_config_static_selectorELNS0_4arch9wavefront6targetE1EEEvT1_: ; @_ZN7rocprim17ROCPRIM_400000_NS6detail17trampoline_kernelINS0_14default_configENS1_27scan_by_key_config_selectorIiiEEZZNS1_16scan_by_key_implILNS1_25lookback_scan_determinismE0ELb0ES3_N6thrust23THRUST_200600_302600_NS10device_ptrIiEESB_SB_iNS9_4plusIvEENS9_8equal_toIvEEiEE10hipError_tPvRmT2_T3_T4_T5_mT6_T7_P12ihipStream_tbENKUlT_T0_E_clISt17integral_constantIbLb0EESW_EEDaSR_SS_EUlSR_E_NS1_11comp_targetILNS1_3genE8ELNS1_11target_archE1030ELNS1_3gpuE2ELNS1_3repE0EEENS1_30default_config_static_selectorELNS0_4arch9wavefront6targetE1EEEvT1_
; %bb.0:
	.section	.rodata,"a",@progbits
	.p2align	6, 0x0
	.amdhsa_kernel _ZN7rocprim17ROCPRIM_400000_NS6detail17trampoline_kernelINS0_14default_configENS1_27scan_by_key_config_selectorIiiEEZZNS1_16scan_by_key_implILNS1_25lookback_scan_determinismE0ELb0ES3_N6thrust23THRUST_200600_302600_NS10device_ptrIiEESB_SB_iNS9_4plusIvEENS9_8equal_toIvEEiEE10hipError_tPvRmT2_T3_T4_T5_mT6_T7_P12ihipStream_tbENKUlT_T0_E_clISt17integral_constantIbLb0EESW_EEDaSR_SS_EUlSR_E_NS1_11comp_targetILNS1_3genE8ELNS1_11target_archE1030ELNS1_3gpuE2ELNS1_3repE0EEENS1_30default_config_static_selectorELNS0_4arch9wavefront6targetE1EEEvT1_
		.amdhsa_group_segment_fixed_size 0
		.amdhsa_private_segment_fixed_size 0
		.amdhsa_kernarg_size 112
		.amdhsa_user_sgpr_count 6
		.amdhsa_user_sgpr_private_segment_buffer 1
		.amdhsa_user_sgpr_dispatch_ptr 0
		.amdhsa_user_sgpr_queue_ptr 0
		.amdhsa_user_sgpr_kernarg_segment_ptr 1
		.amdhsa_user_sgpr_dispatch_id 0
		.amdhsa_user_sgpr_flat_scratch_init 0
		.amdhsa_user_sgpr_kernarg_preload_length 0
		.amdhsa_user_sgpr_kernarg_preload_offset 0
		.amdhsa_user_sgpr_private_segment_size 0
		.amdhsa_uses_dynamic_stack 0
		.amdhsa_system_sgpr_private_segment_wavefront_offset 0
		.amdhsa_system_sgpr_workgroup_id_x 1
		.amdhsa_system_sgpr_workgroup_id_y 0
		.amdhsa_system_sgpr_workgroup_id_z 0
		.amdhsa_system_sgpr_workgroup_info 0
		.amdhsa_system_vgpr_workitem_id 0
		.amdhsa_next_free_vgpr 1
		.amdhsa_next_free_sgpr 0
		.amdhsa_accum_offset 4
		.amdhsa_reserve_vcc 0
		.amdhsa_reserve_flat_scratch 0
		.amdhsa_float_round_mode_32 0
		.amdhsa_float_round_mode_16_64 0
		.amdhsa_float_denorm_mode_32 3
		.amdhsa_float_denorm_mode_16_64 3
		.amdhsa_dx10_clamp 1
		.amdhsa_ieee_mode 1
		.amdhsa_fp16_overflow 0
		.amdhsa_tg_split 0
		.amdhsa_exception_fp_ieee_invalid_op 0
		.amdhsa_exception_fp_denorm_src 0
		.amdhsa_exception_fp_ieee_div_zero 0
		.amdhsa_exception_fp_ieee_overflow 0
		.amdhsa_exception_fp_ieee_underflow 0
		.amdhsa_exception_fp_ieee_inexact 0
		.amdhsa_exception_int_div_zero 0
	.end_amdhsa_kernel
	.section	.text._ZN7rocprim17ROCPRIM_400000_NS6detail17trampoline_kernelINS0_14default_configENS1_27scan_by_key_config_selectorIiiEEZZNS1_16scan_by_key_implILNS1_25lookback_scan_determinismE0ELb0ES3_N6thrust23THRUST_200600_302600_NS10device_ptrIiEESB_SB_iNS9_4plusIvEENS9_8equal_toIvEEiEE10hipError_tPvRmT2_T3_T4_T5_mT6_T7_P12ihipStream_tbENKUlT_T0_E_clISt17integral_constantIbLb0EESW_EEDaSR_SS_EUlSR_E_NS1_11comp_targetILNS1_3genE8ELNS1_11target_archE1030ELNS1_3gpuE2ELNS1_3repE0EEENS1_30default_config_static_selectorELNS0_4arch9wavefront6targetE1EEEvT1_,"axG",@progbits,_ZN7rocprim17ROCPRIM_400000_NS6detail17trampoline_kernelINS0_14default_configENS1_27scan_by_key_config_selectorIiiEEZZNS1_16scan_by_key_implILNS1_25lookback_scan_determinismE0ELb0ES3_N6thrust23THRUST_200600_302600_NS10device_ptrIiEESB_SB_iNS9_4plusIvEENS9_8equal_toIvEEiEE10hipError_tPvRmT2_T3_T4_T5_mT6_T7_P12ihipStream_tbENKUlT_T0_E_clISt17integral_constantIbLb0EESW_EEDaSR_SS_EUlSR_E_NS1_11comp_targetILNS1_3genE8ELNS1_11target_archE1030ELNS1_3gpuE2ELNS1_3repE0EEENS1_30default_config_static_selectorELNS0_4arch9wavefront6targetE1EEEvT1_,comdat
.Lfunc_end2202:
	.size	_ZN7rocprim17ROCPRIM_400000_NS6detail17trampoline_kernelINS0_14default_configENS1_27scan_by_key_config_selectorIiiEEZZNS1_16scan_by_key_implILNS1_25lookback_scan_determinismE0ELb0ES3_N6thrust23THRUST_200600_302600_NS10device_ptrIiEESB_SB_iNS9_4plusIvEENS9_8equal_toIvEEiEE10hipError_tPvRmT2_T3_T4_T5_mT6_T7_P12ihipStream_tbENKUlT_T0_E_clISt17integral_constantIbLb0EESW_EEDaSR_SS_EUlSR_E_NS1_11comp_targetILNS1_3genE8ELNS1_11target_archE1030ELNS1_3gpuE2ELNS1_3repE0EEENS1_30default_config_static_selectorELNS0_4arch9wavefront6targetE1EEEvT1_, .Lfunc_end2202-_ZN7rocprim17ROCPRIM_400000_NS6detail17trampoline_kernelINS0_14default_configENS1_27scan_by_key_config_selectorIiiEEZZNS1_16scan_by_key_implILNS1_25lookback_scan_determinismE0ELb0ES3_N6thrust23THRUST_200600_302600_NS10device_ptrIiEESB_SB_iNS9_4plusIvEENS9_8equal_toIvEEiEE10hipError_tPvRmT2_T3_T4_T5_mT6_T7_P12ihipStream_tbENKUlT_T0_E_clISt17integral_constantIbLb0EESW_EEDaSR_SS_EUlSR_E_NS1_11comp_targetILNS1_3genE8ELNS1_11target_archE1030ELNS1_3gpuE2ELNS1_3repE0EEENS1_30default_config_static_selectorELNS0_4arch9wavefront6targetE1EEEvT1_
                                        ; -- End function
	.section	.AMDGPU.csdata,"",@progbits
; Kernel info:
; codeLenInByte = 0
; NumSgprs: 4
; NumVgprs: 0
; NumAgprs: 0
; TotalNumVgprs: 0
; ScratchSize: 0
; MemoryBound: 0
; FloatMode: 240
; IeeeMode: 1
; LDSByteSize: 0 bytes/workgroup (compile time only)
; SGPRBlocks: 0
; VGPRBlocks: 0
; NumSGPRsForWavesPerEU: 4
; NumVGPRsForWavesPerEU: 1
; AccumOffset: 4
; Occupancy: 8
; WaveLimiterHint : 0
; COMPUTE_PGM_RSRC2:SCRATCH_EN: 0
; COMPUTE_PGM_RSRC2:USER_SGPR: 6
; COMPUTE_PGM_RSRC2:TRAP_HANDLER: 0
; COMPUTE_PGM_RSRC2:TGID_X_EN: 1
; COMPUTE_PGM_RSRC2:TGID_Y_EN: 0
; COMPUTE_PGM_RSRC2:TGID_Z_EN: 0
; COMPUTE_PGM_RSRC2:TIDIG_COMP_CNT: 0
; COMPUTE_PGM_RSRC3_GFX90A:ACCUM_OFFSET: 0
; COMPUTE_PGM_RSRC3_GFX90A:TG_SPLIT: 0
	.section	.text._ZN7rocprim17ROCPRIM_400000_NS6detail30init_device_scan_by_key_kernelINS1_19lookback_scan_stateINS0_5tupleIJibEEELb1ELb1EEEN6thrust23THRUST_200600_302600_NS10device_ptrIiEEjNS1_16block_id_wrapperIjLb1EEEEEvT_jjPNSD_10value_typeET0_PNSt15iterator_traitsISG_E10value_typeEmT1_T2_,"axG",@progbits,_ZN7rocprim17ROCPRIM_400000_NS6detail30init_device_scan_by_key_kernelINS1_19lookback_scan_stateINS0_5tupleIJibEEELb1ELb1EEEN6thrust23THRUST_200600_302600_NS10device_ptrIiEEjNS1_16block_id_wrapperIjLb1EEEEEvT_jjPNSD_10value_typeET0_PNSt15iterator_traitsISG_E10value_typeEmT1_T2_,comdat
	.protected	_ZN7rocprim17ROCPRIM_400000_NS6detail30init_device_scan_by_key_kernelINS1_19lookback_scan_stateINS0_5tupleIJibEEELb1ELb1EEEN6thrust23THRUST_200600_302600_NS10device_ptrIiEEjNS1_16block_id_wrapperIjLb1EEEEEvT_jjPNSD_10value_typeET0_PNSt15iterator_traitsISG_E10value_typeEmT1_T2_ ; -- Begin function _ZN7rocprim17ROCPRIM_400000_NS6detail30init_device_scan_by_key_kernelINS1_19lookback_scan_stateINS0_5tupleIJibEEELb1ELb1EEEN6thrust23THRUST_200600_302600_NS10device_ptrIiEEjNS1_16block_id_wrapperIjLb1EEEEEvT_jjPNSD_10value_typeET0_PNSt15iterator_traitsISG_E10value_typeEmT1_T2_
	.globl	_ZN7rocprim17ROCPRIM_400000_NS6detail30init_device_scan_by_key_kernelINS1_19lookback_scan_stateINS0_5tupleIJibEEELb1ELb1EEEN6thrust23THRUST_200600_302600_NS10device_ptrIiEEjNS1_16block_id_wrapperIjLb1EEEEEvT_jjPNSD_10value_typeET0_PNSt15iterator_traitsISG_E10value_typeEmT1_T2_
	.p2align	8
	.type	_ZN7rocprim17ROCPRIM_400000_NS6detail30init_device_scan_by_key_kernelINS1_19lookback_scan_stateINS0_5tupleIJibEEELb1ELb1EEEN6thrust23THRUST_200600_302600_NS10device_ptrIiEEjNS1_16block_id_wrapperIjLb1EEEEEvT_jjPNSD_10value_typeET0_PNSt15iterator_traitsISG_E10value_typeEmT1_T2_,@function
_ZN7rocprim17ROCPRIM_400000_NS6detail30init_device_scan_by_key_kernelINS1_19lookback_scan_stateINS0_5tupleIJibEEELb1ELb1EEEN6thrust23THRUST_200600_302600_NS10device_ptrIiEEjNS1_16block_id_wrapperIjLb1EEEEEvT_jjPNSD_10value_typeET0_PNSt15iterator_traitsISG_E10value_typeEmT1_T2_: ; @_ZN7rocprim17ROCPRIM_400000_NS6detail30init_device_scan_by_key_kernelINS1_19lookback_scan_stateINS0_5tupleIJibEEELb1ELb1EEEN6thrust23THRUST_200600_302600_NS10device_ptrIiEEjNS1_16block_id_wrapperIjLb1EEEEEvT_jjPNSD_10value_typeET0_PNSt15iterator_traitsISG_E10value_typeEmT1_T2_
; %bb.0:
	s_load_dword s0, s[4:5], 0x4c
	s_load_dwordx8 s[8:15], s[4:5], 0x0
	s_load_dword s18, s[4:5], 0x40
	s_waitcnt lgkmcnt(0)
	s_and_b32 s19, s0, 0xffff
	s_mul_i32 s6, s6, s19
	s_cmp_eq_u64 s[12:13], 0
	v_add_u32_e32 v4, s6, v0
	s_cbranch_scc1 .LBB2203_10
; %bb.1:
	s_cmp_lt_u32 s11, s10
	s_cselect_b32 s0, s11, 0
	s_mov_b32 s3, 0
	v_cmp_eq_u32_e32 vcc, s0, v4
	s_and_saveexec_b64 s[0:1], vcc
	s_cbranch_execz .LBB2203_9
; %bb.2:
	s_add_i32 s2, s11, 64
	s_lshl_b64 s[2:3], s[2:3], 4
	s_add_u32 s16, s8, s2
	s_addc_u32 s17, s9, s3
	v_pk_mov_b32 v[0:1], s[16:17], s[16:17] op_sel:[0,1]
	;;#ASMSTART
	global_load_dwordx4 v[0:3], v[0:1] off glc	
s_waitcnt vmcnt(0)
	;;#ASMEND
	v_mov_b32_e32 v7, 0
	v_and_b32_e32 v6, 0xff, v2
	s_mov_b64 s[6:7], 0
	v_cmp_eq_u64_e32 vcc, 0, v[6:7]
	s_and_saveexec_b64 s[2:3], vcc
	s_cbranch_execz .LBB2203_8
; %bb.3:
	s_mov_b32 s11, 1
	v_pk_mov_b32 v[8:9], s[16:17], s[16:17] op_sel:[0,1]
.LBB2203_4:                             ; =>This Loop Header: Depth=1
                                        ;     Child Loop BB2203_5 Depth 2
	s_max_u32 s16, s11, 1
.LBB2203_5:                             ;   Parent Loop BB2203_4 Depth=1
                                        ; =>  This Inner Loop Header: Depth=2
	s_add_i32 s16, s16, -1
	s_cmp_eq_u32 s16, 0
	s_sleep 1
	s_cbranch_scc0 .LBB2203_5
; %bb.6:                                ;   in Loop: Header=BB2203_4 Depth=1
	s_cmp_lt_u32 s11, 32
	s_cselect_b64 s[16:17], -1, 0
	s_cmp_lg_u64 s[16:17], 0
	;;#ASMSTART
	global_load_dwordx4 v[0:3], v[8:9] off glc	
s_waitcnt vmcnt(0)
	;;#ASMEND
	v_and_b32_e32 v6, 0xff, v2
	s_addc_u32 s11, s11, 0
	v_cmp_ne_u64_e32 vcc, 0, v[6:7]
	s_or_b64 s[6:7], vcc, s[6:7]
	s_andn2_b64 exec, exec, s[6:7]
	s_cbranch_execnz .LBB2203_4
; %bb.7:
	s_or_b64 exec, exec, s[6:7]
.LBB2203_8:
	s_or_b64 exec, exec, s[2:3]
	v_mov_b32_e32 v2, 0
	global_store_dword v2, v0, s[12:13]
	global_store_byte v2, v1, s[12:13] offset:4
.LBB2203_9:
	s_or_b64 exec, exec, s[0:1]
.LBB2203_10:
	v_cmp_eq_u32_e32 vcc, 0, v4
	s_and_saveexec_b64 s[0:1], vcc
	s_cbranch_execz .LBB2203_12
; %bb.11:
	s_load_dwordx2 s[2:3], s[4:5], 0x38
	v_mov_b32_e32 v0, 0
	s_waitcnt lgkmcnt(0)
	global_store_dword v0, v0, s[2:3]
.LBB2203_12:
	s_or_b64 exec, exec, s[0:1]
	v_cmp_gt_u32_e32 vcc, s10, v4
	s_and_saveexec_b64 s[0:1], vcc
	s_cbranch_execz .LBB2203_14
; %bb.13:
	v_add_u32_e32 v0, 64, v4
	v_mov_b32_e32 v1, 0
	v_lshlrev_b64 v[2:3], 4, v[0:1]
	v_mov_b32_e32 v0, s9
	v_add_co_u32_e32 v6, vcc, s8, v2
	v_addc_co_u32_e32 v7, vcc, v0, v3, vcc
	v_mov_b32_e32 v0, v1
	v_mov_b32_e32 v2, v1
	;; [unrolled: 1-line block ×3, first 2 shown]
	global_store_dwordx4 v[6:7], v[0:3], off
.LBB2203_14:
	s_or_b64 exec, exec, s[0:1]
	v_cmp_gt_u32_e32 vcc, 64, v4
	v_mov_b32_e32 v5, 0
	s_and_saveexec_b64 s[0:1], vcc
	s_cbranch_execz .LBB2203_16
; %bb.15:
	v_lshlrev_b64 v[0:1], 4, v[4:5]
	v_mov_b32_e32 v2, s9
	v_add_co_u32_e32 v6, vcc, s8, v0
	v_addc_co_u32_e32 v7, vcc, v2, v1, vcc
	v_mov_b32_e32 v2, 0xff
	v_mov_b32_e32 v0, v5
	;; [unrolled: 1-line block ×4, first 2 shown]
	global_store_dwordx4 v[6:7], v[0:3], off
.LBB2203_16:
	s_or_b64 exec, exec, s[0:1]
	s_load_dwordx2 s[0:1], s[4:5], 0x28
	s_waitcnt lgkmcnt(0)
	v_cmp_gt_u64_e32 vcc, s[0:1], v[4:5]
	s_and_saveexec_b64 s[2:3], vcc
	s_cbranch_execz .LBB2203_19
; %bb.17:
	s_load_dword s10, s[4:5], 0x30
	s_load_dwordx2 s[6:7], s[4:5], 0x20
	s_mov_b32 s5, 0
	s_mov_b32 s3, s5
	s_mul_i32 s2, s18, s19
	s_waitcnt lgkmcnt(0)
	s_add_i32 s4, s10, -1
	s_lshl_b64 s[4:5], s[4:5], 2
	v_mad_u64_u32 v[0:1], s[8:9], s10, v4, 0
	s_add_u32 s4, s14, s4
	v_lshlrev_b64 v[0:1], 2, v[0:1]
	s_addc_u32 s5, s15, s5
	v_mov_b32_e32 v2, s5
	v_add_co_u32_e32 v0, vcc, s4, v0
	v_addc_co_u32_e32 v1, vcc, v2, v1, vcc
	s_mul_hi_u32 s5, s10, s2
	s_mul_i32 s4, s10, s2
	v_lshlrev_b64 v[2:3], 2, v[4:5]
	s_lshl_b64 s[4:5], s[4:5], 2
	v_mov_b32_e32 v6, s7
	v_add_co_u32_e32 v2, vcc, s6, v2
	s_lshl_b64 s[6:7], s[2:3], 2
	v_addc_co_u32_e32 v3, vcc, v6, v3, vcc
	s_mov_b64 s[8:9], 0
	v_mov_b32_e32 v6, s3
	v_mov_b32_e32 v7, s5
	;; [unrolled: 1-line block ×3, first 2 shown]
.LBB2203_18:                            ; =>This Inner Loop Header: Depth=1
	global_load_dword v9, v[0:1], off
	v_add_co_u32_e32 v4, vcc, s2, v4
	v_addc_co_u32_e32 v5, vcc, v5, v6, vcc
	v_add_co_u32_e32 v0, vcc, s4, v0
	v_addc_co_u32_e32 v1, vcc, v1, v7, vcc
	v_cmp_le_u64_e32 vcc, s[0:1], v[4:5]
	s_or_b64 s[8:9], vcc, s[8:9]
	s_waitcnt vmcnt(0)
	global_store_dword v[2:3], v9, off
	v_add_co_u32_e32 v2, vcc, s6, v2
	v_addc_co_u32_e32 v3, vcc, v3, v8, vcc
	s_andn2_b64 exec, exec, s[8:9]
	s_cbranch_execnz .LBB2203_18
.LBB2203_19:
	s_endpgm
	.section	.rodata,"a",@progbits
	.p2align	6, 0x0
	.amdhsa_kernel _ZN7rocprim17ROCPRIM_400000_NS6detail30init_device_scan_by_key_kernelINS1_19lookback_scan_stateINS0_5tupleIJibEEELb1ELb1EEEN6thrust23THRUST_200600_302600_NS10device_ptrIiEEjNS1_16block_id_wrapperIjLb1EEEEEvT_jjPNSD_10value_typeET0_PNSt15iterator_traitsISG_E10value_typeEmT1_T2_
		.amdhsa_group_segment_fixed_size 0
		.amdhsa_private_segment_fixed_size 0
		.amdhsa_kernarg_size 320
		.amdhsa_user_sgpr_count 6
		.amdhsa_user_sgpr_private_segment_buffer 1
		.amdhsa_user_sgpr_dispatch_ptr 0
		.amdhsa_user_sgpr_queue_ptr 0
		.amdhsa_user_sgpr_kernarg_segment_ptr 1
		.amdhsa_user_sgpr_dispatch_id 0
		.amdhsa_user_sgpr_flat_scratch_init 0
		.amdhsa_user_sgpr_kernarg_preload_length 0
		.amdhsa_user_sgpr_kernarg_preload_offset 0
		.amdhsa_user_sgpr_private_segment_size 0
		.amdhsa_uses_dynamic_stack 0
		.amdhsa_system_sgpr_private_segment_wavefront_offset 0
		.amdhsa_system_sgpr_workgroup_id_x 1
		.amdhsa_system_sgpr_workgroup_id_y 0
		.amdhsa_system_sgpr_workgroup_id_z 0
		.amdhsa_system_sgpr_workgroup_info 0
		.amdhsa_system_vgpr_workitem_id 0
		.amdhsa_next_free_vgpr 10
		.amdhsa_next_free_sgpr 20
		.amdhsa_accum_offset 12
		.amdhsa_reserve_vcc 1
		.amdhsa_reserve_flat_scratch 0
		.amdhsa_float_round_mode_32 0
		.amdhsa_float_round_mode_16_64 0
		.amdhsa_float_denorm_mode_32 3
		.amdhsa_float_denorm_mode_16_64 3
		.amdhsa_dx10_clamp 1
		.amdhsa_ieee_mode 1
		.amdhsa_fp16_overflow 0
		.amdhsa_tg_split 0
		.amdhsa_exception_fp_ieee_invalid_op 0
		.amdhsa_exception_fp_denorm_src 0
		.amdhsa_exception_fp_ieee_div_zero 0
		.amdhsa_exception_fp_ieee_overflow 0
		.amdhsa_exception_fp_ieee_underflow 0
		.amdhsa_exception_fp_ieee_inexact 0
		.amdhsa_exception_int_div_zero 0
	.end_amdhsa_kernel
	.section	.text._ZN7rocprim17ROCPRIM_400000_NS6detail30init_device_scan_by_key_kernelINS1_19lookback_scan_stateINS0_5tupleIJibEEELb1ELb1EEEN6thrust23THRUST_200600_302600_NS10device_ptrIiEEjNS1_16block_id_wrapperIjLb1EEEEEvT_jjPNSD_10value_typeET0_PNSt15iterator_traitsISG_E10value_typeEmT1_T2_,"axG",@progbits,_ZN7rocprim17ROCPRIM_400000_NS6detail30init_device_scan_by_key_kernelINS1_19lookback_scan_stateINS0_5tupleIJibEEELb1ELb1EEEN6thrust23THRUST_200600_302600_NS10device_ptrIiEEjNS1_16block_id_wrapperIjLb1EEEEEvT_jjPNSD_10value_typeET0_PNSt15iterator_traitsISG_E10value_typeEmT1_T2_,comdat
.Lfunc_end2203:
	.size	_ZN7rocprim17ROCPRIM_400000_NS6detail30init_device_scan_by_key_kernelINS1_19lookback_scan_stateINS0_5tupleIJibEEELb1ELb1EEEN6thrust23THRUST_200600_302600_NS10device_ptrIiEEjNS1_16block_id_wrapperIjLb1EEEEEvT_jjPNSD_10value_typeET0_PNSt15iterator_traitsISG_E10value_typeEmT1_T2_, .Lfunc_end2203-_ZN7rocprim17ROCPRIM_400000_NS6detail30init_device_scan_by_key_kernelINS1_19lookback_scan_stateINS0_5tupleIJibEEELb1ELb1EEEN6thrust23THRUST_200600_302600_NS10device_ptrIiEEjNS1_16block_id_wrapperIjLb1EEEEEvT_jjPNSD_10value_typeET0_PNSt15iterator_traitsISG_E10value_typeEmT1_T2_
                                        ; -- End function
	.section	.AMDGPU.csdata,"",@progbits
; Kernel info:
; codeLenInByte = 652
; NumSgprs: 24
; NumVgprs: 10
; NumAgprs: 0
; TotalNumVgprs: 10
; ScratchSize: 0
; MemoryBound: 0
; FloatMode: 240
; IeeeMode: 1
; LDSByteSize: 0 bytes/workgroup (compile time only)
; SGPRBlocks: 2
; VGPRBlocks: 1
; NumSGPRsForWavesPerEU: 24
; NumVGPRsForWavesPerEU: 10
; AccumOffset: 12
; Occupancy: 8
; WaveLimiterHint : 0
; COMPUTE_PGM_RSRC2:SCRATCH_EN: 0
; COMPUTE_PGM_RSRC2:USER_SGPR: 6
; COMPUTE_PGM_RSRC2:TRAP_HANDLER: 0
; COMPUTE_PGM_RSRC2:TGID_X_EN: 1
; COMPUTE_PGM_RSRC2:TGID_Y_EN: 0
; COMPUTE_PGM_RSRC2:TGID_Z_EN: 0
; COMPUTE_PGM_RSRC2:TIDIG_COMP_CNT: 0
; COMPUTE_PGM_RSRC3_GFX90A:ACCUM_OFFSET: 2
; COMPUTE_PGM_RSRC3_GFX90A:TG_SPLIT: 0
	.section	.text._ZN7rocprim17ROCPRIM_400000_NS6detail17trampoline_kernelINS0_14default_configENS1_27scan_by_key_config_selectorIiiEEZZNS1_16scan_by_key_implILNS1_25lookback_scan_determinismE0ELb0ES3_N6thrust23THRUST_200600_302600_NS10device_ptrIiEESB_SB_iNS9_4plusIvEENS9_8equal_toIvEEiEE10hipError_tPvRmT2_T3_T4_T5_mT6_T7_P12ihipStream_tbENKUlT_T0_E_clISt17integral_constantIbLb1EESW_EEDaSR_SS_EUlSR_E_NS1_11comp_targetILNS1_3genE0ELNS1_11target_archE4294967295ELNS1_3gpuE0ELNS1_3repE0EEENS1_30default_config_static_selectorELNS0_4arch9wavefront6targetE1EEEvT1_,"axG",@progbits,_ZN7rocprim17ROCPRIM_400000_NS6detail17trampoline_kernelINS0_14default_configENS1_27scan_by_key_config_selectorIiiEEZZNS1_16scan_by_key_implILNS1_25lookback_scan_determinismE0ELb0ES3_N6thrust23THRUST_200600_302600_NS10device_ptrIiEESB_SB_iNS9_4plusIvEENS9_8equal_toIvEEiEE10hipError_tPvRmT2_T3_T4_T5_mT6_T7_P12ihipStream_tbENKUlT_T0_E_clISt17integral_constantIbLb1EESW_EEDaSR_SS_EUlSR_E_NS1_11comp_targetILNS1_3genE0ELNS1_11target_archE4294967295ELNS1_3gpuE0ELNS1_3repE0EEENS1_30default_config_static_selectorELNS0_4arch9wavefront6targetE1EEEvT1_,comdat
	.protected	_ZN7rocprim17ROCPRIM_400000_NS6detail17trampoline_kernelINS0_14default_configENS1_27scan_by_key_config_selectorIiiEEZZNS1_16scan_by_key_implILNS1_25lookback_scan_determinismE0ELb0ES3_N6thrust23THRUST_200600_302600_NS10device_ptrIiEESB_SB_iNS9_4plusIvEENS9_8equal_toIvEEiEE10hipError_tPvRmT2_T3_T4_T5_mT6_T7_P12ihipStream_tbENKUlT_T0_E_clISt17integral_constantIbLb1EESW_EEDaSR_SS_EUlSR_E_NS1_11comp_targetILNS1_3genE0ELNS1_11target_archE4294967295ELNS1_3gpuE0ELNS1_3repE0EEENS1_30default_config_static_selectorELNS0_4arch9wavefront6targetE1EEEvT1_ ; -- Begin function _ZN7rocprim17ROCPRIM_400000_NS6detail17trampoline_kernelINS0_14default_configENS1_27scan_by_key_config_selectorIiiEEZZNS1_16scan_by_key_implILNS1_25lookback_scan_determinismE0ELb0ES3_N6thrust23THRUST_200600_302600_NS10device_ptrIiEESB_SB_iNS9_4plusIvEENS9_8equal_toIvEEiEE10hipError_tPvRmT2_T3_T4_T5_mT6_T7_P12ihipStream_tbENKUlT_T0_E_clISt17integral_constantIbLb1EESW_EEDaSR_SS_EUlSR_E_NS1_11comp_targetILNS1_3genE0ELNS1_11target_archE4294967295ELNS1_3gpuE0ELNS1_3repE0EEENS1_30default_config_static_selectorELNS0_4arch9wavefront6targetE1EEEvT1_
	.globl	_ZN7rocprim17ROCPRIM_400000_NS6detail17trampoline_kernelINS0_14default_configENS1_27scan_by_key_config_selectorIiiEEZZNS1_16scan_by_key_implILNS1_25lookback_scan_determinismE0ELb0ES3_N6thrust23THRUST_200600_302600_NS10device_ptrIiEESB_SB_iNS9_4plusIvEENS9_8equal_toIvEEiEE10hipError_tPvRmT2_T3_T4_T5_mT6_T7_P12ihipStream_tbENKUlT_T0_E_clISt17integral_constantIbLb1EESW_EEDaSR_SS_EUlSR_E_NS1_11comp_targetILNS1_3genE0ELNS1_11target_archE4294967295ELNS1_3gpuE0ELNS1_3repE0EEENS1_30default_config_static_selectorELNS0_4arch9wavefront6targetE1EEEvT1_
	.p2align	8
	.type	_ZN7rocprim17ROCPRIM_400000_NS6detail17trampoline_kernelINS0_14default_configENS1_27scan_by_key_config_selectorIiiEEZZNS1_16scan_by_key_implILNS1_25lookback_scan_determinismE0ELb0ES3_N6thrust23THRUST_200600_302600_NS10device_ptrIiEESB_SB_iNS9_4plusIvEENS9_8equal_toIvEEiEE10hipError_tPvRmT2_T3_T4_T5_mT6_T7_P12ihipStream_tbENKUlT_T0_E_clISt17integral_constantIbLb1EESW_EEDaSR_SS_EUlSR_E_NS1_11comp_targetILNS1_3genE0ELNS1_11target_archE4294967295ELNS1_3gpuE0ELNS1_3repE0EEENS1_30default_config_static_selectorELNS0_4arch9wavefront6targetE1EEEvT1_,@function
_ZN7rocprim17ROCPRIM_400000_NS6detail17trampoline_kernelINS0_14default_configENS1_27scan_by_key_config_selectorIiiEEZZNS1_16scan_by_key_implILNS1_25lookback_scan_determinismE0ELb0ES3_N6thrust23THRUST_200600_302600_NS10device_ptrIiEESB_SB_iNS9_4plusIvEENS9_8equal_toIvEEiEE10hipError_tPvRmT2_T3_T4_T5_mT6_T7_P12ihipStream_tbENKUlT_T0_E_clISt17integral_constantIbLb1EESW_EEDaSR_SS_EUlSR_E_NS1_11comp_targetILNS1_3genE0ELNS1_11target_archE4294967295ELNS1_3gpuE0ELNS1_3repE0EEENS1_30default_config_static_selectorELNS0_4arch9wavefront6targetE1EEEvT1_: ; @_ZN7rocprim17ROCPRIM_400000_NS6detail17trampoline_kernelINS0_14default_configENS1_27scan_by_key_config_selectorIiiEEZZNS1_16scan_by_key_implILNS1_25lookback_scan_determinismE0ELb0ES3_N6thrust23THRUST_200600_302600_NS10device_ptrIiEESB_SB_iNS9_4plusIvEENS9_8equal_toIvEEiEE10hipError_tPvRmT2_T3_T4_T5_mT6_T7_P12ihipStream_tbENKUlT_T0_E_clISt17integral_constantIbLb1EESW_EEDaSR_SS_EUlSR_E_NS1_11comp_targetILNS1_3genE0ELNS1_11target_archE4294967295ELNS1_3gpuE0ELNS1_3repE0EEENS1_30default_config_static_selectorELNS0_4arch9wavefront6targetE1EEEvT1_
; %bb.0:
	.section	.rodata,"a",@progbits
	.p2align	6, 0x0
	.amdhsa_kernel _ZN7rocprim17ROCPRIM_400000_NS6detail17trampoline_kernelINS0_14default_configENS1_27scan_by_key_config_selectorIiiEEZZNS1_16scan_by_key_implILNS1_25lookback_scan_determinismE0ELb0ES3_N6thrust23THRUST_200600_302600_NS10device_ptrIiEESB_SB_iNS9_4plusIvEENS9_8equal_toIvEEiEE10hipError_tPvRmT2_T3_T4_T5_mT6_T7_P12ihipStream_tbENKUlT_T0_E_clISt17integral_constantIbLb1EESW_EEDaSR_SS_EUlSR_E_NS1_11comp_targetILNS1_3genE0ELNS1_11target_archE4294967295ELNS1_3gpuE0ELNS1_3repE0EEENS1_30default_config_static_selectorELNS0_4arch9wavefront6targetE1EEEvT1_
		.amdhsa_group_segment_fixed_size 0
		.amdhsa_private_segment_fixed_size 0
		.amdhsa_kernarg_size 112
		.amdhsa_user_sgpr_count 6
		.amdhsa_user_sgpr_private_segment_buffer 1
		.amdhsa_user_sgpr_dispatch_ptr 0
		.amdhsa_user_sgpr_queue_ptr 0
		.amdhsa_user_sgpr_kernarg_segment_ptr 1
		.amdhsa_user_sgpr_dispatch_id 0
		.amdhsa_user_sgpr_flat_scratch_init 0
		.amdhsa_user_sgpr_kernarg_preload_length 0
		.amdhsa_user_sgpr_kernarg_preload_offset 0
		.amdhsa_user_sgpr_private_segment_size 0
		.amdhsa_uses_dynamic_stack 0
		.amdhsa_system_sgpr_private_segment_wavefront_offset 0
		.amdhsa_system_sgpr_workgroup_id_x 1
		.amdhsa_system_sgpr_workgroup_id_y 0
		.amdhsa_system_sgpr_workgroup_id_z 0
		.amdhsa_system_sgpr_workgroup_info 0
		.amdhsa_system_vgpr_workitem_id 0
		.amdhsa_next_free_vgpr 1
		.amdhsa_next_free_sgpr 0
		.amdhsa_accum_offset 4
		.amdhsa_reserve_vcc 0
		.amdhsa_reserve_flat_scratch 0
		.amdhsa_float_round_mode_32 0
		.amdhsa_float_round_mode_16_64 0
		.amdhsa_float_denorm_mode_32 3
		.amdhsa_float_denorm_mode_16_64 3
		.amdhsa_dx10_clamp 1
		.amdhsa_ieee_mode 1
		.amdhsa_fp16_overflow 0
		.amdhsa_tg_split 0
		.amdhsa_exception_fp_ieee_invalid_op 0
		.amdhsa_exception_fp_denorm_src 0
		.amdhsa_exception_fp_ieee_div_zero 0
		.amdhsa_exception_fp_ieee_overflow 0
		.amdhsa_exception_fp_ieee_underflow 0
		.amdhsa_exception_fp_ieee_inexact 0
		.amdhsa_exception_int_div_zero 0
	.end_amdhsa_kernel
	.section	.text._ZN7rocprim17ROCPRIM_400000_NS6detail17trampoline_kernelINS0_14default_configENS1_27scan_by_key_config_selectorIiiEEZZNS1_16scan_by_key_implILNS1_25lookback_scan_determinismE0ELb0ES3_N6thrust23THRUST_200600_302600_NS10device_ptrIiEESB_SB_iNS9_4plusIvEENS9_8equal_toIvEEiEE10hipError_tPvRmT2_T3_T4_T5_mT6_T7_P12ihipStream_tbENKUlT_T0_E_clISt17integral_constantIbLb1EESW_EEDaSR_SS_EUlSR_E_NS1_11comp_targetILNS1_3genE0ELNS1_11target_archE4294967295ELNS1_3gpuE0ELNS1_3repE0EEENS1_30default_config_static_selectorELNS0_4arch9wavefront6targetE1EEEvT1_,"axG",@progbits,_ZN7rocprim17ROCPRIM_400000_NS6detail17trampoline_kernelINS0_14default_configENS1_27scan_by_key_config_selectorIiiEEZZNS1_16scan_by_key_implILNS1_25lookback_scan_determinismE0ELb0ES3_N6thrust23THRUST_200600_302600_NS10device_ptrIiEESB_SB_iNS9_4plusIvEENS9_8equal_toIvEEiEE10hipError_tPvRmT2_T3_T4_T5_mT6_T7_P12ihipStream_tbENKUlT_T0_E_clISt17integral_constantIbLb1EESW_EEDaSR_SS_EUlSR_E_NS1_11comp_targetILNS1_3genE0ELNS1_11target_archE4294967295ELNS1_3gpuE0ELNS1_3repE0EEENS1_30default_config_static_selectorELNS0_4arch9wavefront6targetE1EEEvT1_,comdat
.Lfunc_end2204:
	.size	_ZN7rocprim17ROCPRIM_400000_NS6detail17trampoline_kernelINS0_14default_configENS1_27scan_by_key_config_selectorIiiEEZZNS1_16scan_by_key_implILNS1_25lookback_scan_determinismE0ELb0ES3_N6thrust23THRUST_200600_302600_NS10device_ptrIiEESB_SB_iNS9_4plusIvEENS9_8equal_toIvEEiEE10hipError_tPvRmT2_T3_T4_T5_mT6_T7_P12ihipStream_tbENKUlT_T0_E_clISt17integral_constantIbLb1EESW_EEDaSR_SS_EUlSR_E_NS1_11comp_targetILNS1_3genE0ELNS1_11target_archE4294967295ELNS1_3gpuE0ELNS1_3repE0EEENS1_30default_config_static_selectorELNS0_4arch9wavefront6targetE1EEEvT1_, .Lfunc_end2204-_ZN7rocprim17ROCPRIM_400000_NS6detail17trampoline_kernelINS0_14default_configENS1_27scan_by_key_config_selectorIiiEEZZNS1_16scan_by_key_implILNS1_25lookback_scan_determinismE0ELb0ES3_N6thrust23THRUST_200600_302600_NS10device_ptrIiEESB_SB_iNS9_4plusIvEENS9_8equal_toIvEEiEE10hipError_tPvRmT2_T3_T4_T5_mT6_T7_P12ihipStream_tbENKUlT_T0_E_clISt17integral_constantIbLb1EESW_EEDaSR_SS_EUlSR_E_NS1_11comp_targetILNS1_3genE0ELNS1_11target_archE4294967295ELNS1_3gpuE0ELNS1_3repE0EEENS1_30default_config_static_selectorELNS0_4arch9wavefront6targetE1EEEvT1_
                                        ; -- End function
	.section	.AMDGPU.csdata,"",@progbits
; Kernel info:
; codeLenInByte = 0
; NumSgprs: 4
; NumVgprs: 0
; NumAgprs: 0
; TotalNumVgprs: 0
; ScratchSize: 0
; MemoryBound: 0
; FloatMode: 240
; IeeeMode: 1
; LDSByteSize: 0 bytes/workgroup (compile time only)
; SGPRBlocks: 0
; VGPRBlocks: 0
; NumSGPRsForWavesPerEU: 4
; NumVGPRsForWavesPerEU: 1
; AccumOffset: 4
; Occupancy: 8
; WaveLimiterHint : 0
; COMPUTE_PGM_RSRC2:SCRATCH_EN: 0
; COMPUTE_PGM_RSRC2:USER_SGPR: 6
; COMPUTE_PGM_RSRC2:TRAP_HANDLER: 0
; COMPUTE_PGM_RSRC2:TGID_X_EN: 1
; COMPUTE_PGM_RSRC2:TGID_Y_EN: 0
; COMPUTE_PGM_RSRC2:TGID_Z_EN: 0
; COMPUTE_PGM_RSRC2:TIDIG_COMP_CNT: 0
; COMPUTE_PGM_RSRC3_GFX90A:ACCUM_OFFSET: 0
; COMPUTE_PGM_RSRC3_GFX90A:TG_SPLIT: 0
	.section	.text._ZN7rocprim17ROCPRIM_400000_NS6detail17trampoline_kernelINS0_14default_configENS1_27scan_by_key_config_selectorIiiEEZZNS1_16scan_by_key_implILNS1_25lookback_scan_determinismE0ELb0ES3_N6thrust23THRUST_200600_302600_NS10device_ptrIiEESB_SB_iNS9_4plusIvEENS9_8equal_toIvEEiEE10hipError_tPvRmT2_T3_T4_T5_mT6_T7_P12ihipStream_tbENKUlT_T0_E_clISt17integral_constantIbLb1EESW_EEDaSR_SS_EUlSR_E_NS1_11comp_targetILNS1_3genE10ELNS1_11target_archE1201ELNS1_3gpuE5ELNS1_3repE0EEENS1_30default_config_static_selectorELNS0_4arch9wavefront6targetE1EEEvT1_,"axG",@progbits,_ZN7rocprim17ROCPRIM_400000_NS6detail17trampoline_kernelINS0_14default_configENS1_27scan_by_key_config_selectorIiiEEZZNS1_16scan_by_key_implILNS1_25lookback_scan_determinismE0ELb0ES3_N6thrust23THRUST_200600_302600_NS10device_ptrIiEESB_SB_iNS9_4plusIvEENS9_8equal_toIvEEiEE10hipError_tPvRmT2_T3_T4_T5_mT6_T7_P12ihipStream_tbENKUlT_T0_E_clISt17integral_constantIbLb1EESW_EEDaSR_SS_EUlSR_E_NS1_11comp_targetILNS1_3genE10ELNS1_11target_archE1201ELNS1_3gpuE5ELNS1_3repE0EEENS1_30default_config_static_selectorELNS0_4arch9wavefront6targetE1EEEvT1_,comdat
	.protected	_ZN7rocprim17ROCPRIM_400000_NS6detail17trampoline_kernelINS0_14default_configENS1_27scan_by_key_config_selectorIiiEEZZNS1_16scan_by_key_implILNS1_25lookback_scan_determinismE0ELb0ES3_N6thrust23THRUST_200600_302600_NS10device_ptrIiEESB_SB_iNS9_4plusIvEENS9_8equal_toIvEEiEE10hipError_tPvRmT2_T3_T4_T5_mT6_T7_P12ihipStream_tbENKUlT_T0_E_clISt17integral_constantIbLb1EESW_EEDaSR_SS_EUlSR_E_NS1_11comp_targetILNS1_3genE10ELNS1_11target_archE1201ELNS1_3gpuE5ELNS1_3repE0EEENS1_30default_config_static_selectorELNS0_4arch9wavefront6targetE1EEEvT1_ ; -- Begin function _ZN7rocprim17ROCPRIM_400000_NS6detail17trampoline_kernelINS0_14default_configENS1_27scan_by_key_config_selectorIiiEEZZNS1_16scan_by_key_implILNS1_25lookback_scan_determinismE0ELb0ES3_N6thrust23THRUST_200600_302600_NS10device_ptrIiEESB_SB_iNS9_4plusIvEENS9_8equal_toIvEEiEE10hipError_tPvRmT2_T3_T4_T5_mT6_T7_P12ihipStream_tbENKUlT_T0_E_clISt17integral_constantIbLb1EESW_EEDaSR_SS_EUlSR_E_NS1_11comp_targetILNS1_3genE10ELNS1_11target_archE1201ELNS1_3gpuE5ELNS1_3repE0EEENS1_30default_config_static_selectorELNS0_4arch9wavefront6targetE1EEEvT1_
	.globl	_ZN7rocprim17ROCPRIM_400000_NS6detail17trampoline_kernelINS0_14default_configENS1_27scan_by_key_config_selectorIiiEEZZNS1_16scan_by_key_implILNS1_25lookback_scan_determinismE0ELb0ES3_N6thrust23THRUST_200600_302600_NS10device_ptrIiEESB_SB_iNS9_4plusIvEENS9_8equal_toIvEEiEE10hipError_tPvRmT2_T3_T4_T5_mT6_T7_P12ihipStream_tbENKUlT_T0_E_clISt17integral_constantIbLb1EESW_EEDaSR_SS_EUlSR_E_NS1_11comp_targetILNS1_3genE10ELNS1_11target_archE1201ELNS1_3gpuE5ELNS1_3repE0EEENS1_30default_config_static_selectorELNS0_4arch9wavefront6targetE1EEEvT1_
	.p2align	8
	.type	_ZN7rocprim17ROCPRIM_400000_NS6detail17trampoline_kernelINS0_14default_configENS1_27scan_by_key_config_selectorIiiEEZZNS1_16scan_by_key_implILNS1_25lookback_scan_determinismE0ELb0ES3_N6thrust23THRUST_200600_302600_NS10device_ptrIiEESB_SB_iNS9_4plusIvEENS9_8equal_toIvEEiEE10hipError_tPvRmT2_T3_T4_T5_mT6_T7_P12ihipStream_tbENKUlT_T0_E_clISt17integral_constantIbLb1EESW_EEDaSR_SS_EUlSR_E_NS1_11comp_targetILNS1_3genE10ELNS1_11target_archE1201ELNS1_3gpuE5ELNS1_3repE0EEENS1_30default_config_static_selectorELNS0_4arch9wavefront6targetE1EEEvT1_,@function
_ZN7rocprim17ROCPRIM_400000_NS6detail17trampoline_kernelINS0_14default_configENS1_27scan_by_key_config_selectorIiiEEZZNS1_16scan_by_key_implILNS1_25lookback_scan_determinismE0ELb0ES3_N6thrust23THRUST_200600_302600_NS10device_ptrIiEESB_SB_iNS9_4plusIvEENS9_8equal_toIvEEiEE10hipError_tPvRmT2_T3_T4_T5_mT6_T7_P12ihipStream_tbENKUlT_T0_E_clISt17integral_constantIbLb1EESW_EEDaSR_SS_EUlSR_E_NS1_11comp_targetILNS1_3genE10ELNS1_11target_archE1201ELNS1_3gpuE5ELNS1_3repE0EEENS1_30default_config_static_selectorELNS0_4arch9wavefront6targetE1EEEvT1_: ; @_ZN7rocprim17ROCPRIM_400000_NS6detail17trampoline_kernelINS0_14default_configENS1_27scan_by_key_config_selectorIiiEEZZNS1_16scan_by_key_implILNS1_25lookback_scan_determinismE0ELb0ES3_N6thrust23THRUST_200600_302600_NS10device_ptrIiEESB_SB_iNS9_4plusIvEENS9_8equal_toIvEEiEE10hipError_tPvRmT2_T3_T4_T5_mT6_T7_P12ihipStream_tbENKUlT_T0_E_clISt17integral_constantIbLb1EESW_EEDaSR_SS_EUlSR_E_NS1_11comp_targetILNS1_3genE10ELNS1_11target_archE1201ELNS1_3gpuE5ELNS1_3repE0EEENS1_30default_config_static_selectorELNS0_4arch9wavefront6targetE1EEEvT1_
; %bb.0:
	.section	.rodata,"a",@progbits
	.p2align	6, 0x0
	.amdhsa_kernel _ZN7rocprim17ROCPRIM_400000_NS6detail17trampoline_kernelINS0_14default_configENS1_27scan_by_key_config_selectorIiiEEZZNS1_16scan_by_key_implILNS1_25lookback_scan_determinismE0ELb0ES3_N6thrust23THRUST_200600_302600_NS10device_ptrIiEESB_SB_iNS9_4plusIvEENS9_8equal_toIvEEiEE10hipError_tPvRmT2_T3_T4_T5_mT6_T7_P12ihipStream_tbENKUlT_T0_E_clISt17integral_constantIbLb1EESW_EEDaSR_SS_EUlSR_E_NS1_11comp_targetILNS1_3genE10ELNS1_11target_archE1201ELNS1_3gpuE5ELNS1_3repE0EEENS1_30default_config_static_selectorELNS0_4arch9wavefront6targetE1EEEvT1_
		.amdhsa_group_segment_fixed_size 0
		.amdhsa_private_segment_fixed_size 0
		.amdhsa_kernarg_size 112
		.amdhsa_user_sgpr_count 6
		.amdhsa_user_sgpr_private_segment_buffer 1
		.amdhsa_user_sgpr_dispatch_ptr 0
		.amdhsa_user_sgpr_queue_ptr 0
		.amdhsa_user_sgpr_kernarg_segment_ptr 1
		.amdhsa_user_sgpr_dispatch_id 0
		.amdhsa_user_sgpr_flat_scratch_init 0
		.amdhsa_user_sgpr_kernarg_preload_length 0
		.amdhsa_user_sgpr_kernarg_preload_offset 0
		.amdhsa_user_sgpr_private_segment_size 0
		.amdhsa_uses_dynamic_stack 0
		.amdhsa_system_sgpr_private_segment_wavefront_offset 0
		.amdhsa_system_sgpr_workgroup_id_x 1
		.amdhsa_system_sgpr_workgroup_id_y 0
		.amdhsa_system_sgpr_workgroup_id_z 0
		.amdhsa_system_sgpr_workgroup_info 0
		.amdhsa_system_vgpr_workitem_id 0
		.amdhsa_next_free_vgpr 1
		.amdhsa_next_free_sgpr 0
		.amdhsa_accum_offset 4
		.amdhsa_reserve_vcc 0
		.amdhsa_reserve_flat_scratch 0
		.amdhsa_float_round_mode_32 0
		.amdhsa_float_round_mode_16_64 0
		.amdhsa_float_denorm_mode_32 3
		.amdhsa_float_denorm_mode_16_64 3
		.amdhsa_dx10_clamp 1
		.amdhsa_ieee_mode 1
		.amdhsa_fp16_overflow 0
		.amdhsa_tg_split 0
		.amdhsa_exception_fp_ieee_invalid_op 0
		.amdhsa_exception_fp_denorm_src 0
		.amdhsa_exception_fp_ieee_div_zero 0
		.amdhsa_exception_fp_ieee_overflow 0
		.amdhsa_exception_fp_ieee_underflow 0
		.amdhsa_exception_fp_ieee_inexact 0
		.amdhsa_exception_int_div_zero 0
	.end_amdhsa_kernel
	.section	.text._ZN7rocprim17ROCPRIM_400000_NS6detail17trampoline_kernelINS0_14default_configENS1_27scan_by_key_config_selectorIiiEEZZNS1_16scan_by_key_implILNS1_25lookback_scan_determinismE0ELb0ES3_N6thrust23THRUST_200600_302600_NS10device_ptrIiEESB_SB_iNS9_4plusIvEENS9_8equal_toIvEEiEE10hipError_tPvRmT2_T3_T4_T5_mT6_T7_P12ihipStream_tbENKUlT_T0_E_clISt17integral_constantIbLb1EESW_EEDaSR_SS_EUlSR_E_NS1_11comp_targetILNS1_3genE10ELNS1_11target_archE1201ELNS1_3gpuE5ELNS1_3repE0EEENS1_30default_config_static_selectorELNS0_4arch9wavefront6targetE1EEEvT1_,"axG",@progbits,_ZN7rocprim17ROCPRIM_400000_NS6detail17trampoline_kernelINS0_14default_configENS1_27scan_by_key_config_selectorIiiEEZZNS1_16scan_by_key_implILNS1_25lookback_scan_determinismE0ELb0ES3_N6thrust23THRUST_200600_302600_NS10device_ptrIiEESB_SB_iNS9_4plusIvEENS9_8equal_toIvEEiEE10hipError_tPvRmT2_T3_T4_T5_mT6_T7_P12ihipStream_tbENKUlT_T0_E_clISt17integral_constantIbLb1EESW_EEDaSR_SS_EUlSR_E_NS1_11comp_targetILNS1_3genE10ELNS1_11target_archE1201ELNS1_3gpuE5ELNS1_3repE0EEENS1_30default_config_static_selectorELNS0_4arch9wavefront6targetE1EEEvT1_,comdat
.Lfunc_end2205:
	.size	_ZN7rocprim17ROCPRIM_400000_NS6detail17trampoline_kernelINS0_14default_configENS1_27scan_by_key_config_selectorIiiEEZZNS1_16scan_by_key_implILNS1_25lookback_scan_determinismE0ELb0ES3_N6thrust23THRUST_200600_302600_NS10device_ptrIiEESB_SB_iNS9_4plusIvEENS9_8equal_toIvEEiEE10hipError_tPvRmT2_T3_T4_T5_mT6_T7_P12ihipStream_tbENKUlT_T0_E_clISt17integral_constantIbLb1EESW_EEDaSR_SS_EUlSR_E_NS1_11comp_targetILNS1_3genE10ELNS1_11target_archE1201ELNS1_3gpuE5ELNS1_3repE0EEENS1_30default_config_static_selectorELNS0_4arch9wavefront6targetE1EEEvT1_, .Lfunc_end2205-_ZN7rocprim17ROCPRIM_400000_NS6detail17trampoline_kernelINS0_14default_configENS1_27scan_by_key_config_selectorIiiEEZZNS1_16scan_by_key_implILNS1_25lookback_scan_determinismE0ELb0ES3_N6thrust23THRUST_200600_302600_NS10device_ptrIiEESB_SB_iNS9_4plusIvEENS9_8equal_toIvEEiEE10hipError_tPvRmT2_T3_T4_T5_mT6_T7_P12ihipStream_tbENKUlT_T0_E_clISt17integral_constantIbLb1EESW_EEDaSR_SS_EUlSR_E_NS1_11comp_targetILNS1_3genE10ELNS1_11target_archE1201ELNS1_3gpuE5ELNS1_3repE0EEENS1_30default_config_static_selectorELNS0_4arch9wavefront6targetE1EEEvT1_
                                        ; -- End function
	.section	.AMDGPU.csdata,"",@progbits
; Kernel info:
; codeLenInByte = 0
; NumSgprs: 4
; NumVgprs: 0
; NumAgprs: 0
; TotalNumVgprs: 0
; ScratchSize: 0
; MemoryBound: 0
; FloatMode: 240
; IeeeMode: 1
; LDSByteSize: 0 bytes/workgroup (compile time only)
; SGPRBlocks: 0
; VGPRBlocks: 0
; NumSGPRsForWavesPerEU: 4
; NumVGPRsForWavesPerEU: 1
; AccumOffset: 4
; Occupancy: 8
; WaveLimiterHint : 0
; COMPUTE_PGM_RSRC2:SCRATCH_EN: 0
; COMPUTE_PGM_RSRC2:USER_SGPR: 6
; COMPUTE_PGM_RSRC2:TRAP_HANDLER: 0
; COMPUTE_PGM_RSRC2:TGID_X_EN: 1
; COMPUTE_PGM_RSRC2:TGID_Y_EN: 0
; COMPUTE_PGM_RSRC2:TGID_Z_EN: 0
; COMPUTE_PGM_RSRC2:TIDIG_COMP_CNT: 0
; COMPUTE_PGM_RSRC3_GFX90A:ACCUM_OFFSET: 0
; COMPUTE_PGM_RSRC3_GFX90A:TG_SPLIT: 0
	.section	.text._ZN7rocprim17ROCPRIM_400000_NS6detail17trampoline_kernelINS0_14default_configENS1_27scan_by_key_config_selectorIiiEEZZNS1_16scan_by_key_implILNS1_25lookback_scan_determinismE0ELb0ES3_N6thrust23THRUST_200600_302600_NS10device_ptrIiEESB_SB_iNS9_4plusIvEENS9_8equal_toIvEEiEE10hipError_tPvRmT2_T3_T4_T5_mT6_T7_P12ihipStream_tbENKUlT_T0_E_clISt17integral_constantIbLb1EESW_EEDaSR_SS_EUlSR_E_NS1_11comp_targetILNS1_3genE5ELNS1_11target_archE942ELNS1_3gpuE9ELNS1_3repE0EEENS1_30default_config_static_selectorELNS0_4arch9wavefront6targetE1EEEvT1_,"axG",@progbits,_ZN7rocprim17ROCPRIM_400000_NS6detail17trampoline_kernelINS0_14default_configENS1_27scan_by_key_config_selectorIiiEEZZNS1_16scan_by_key_implILNS1_25lookback_scan_determinismE0ELb0ES3_N6thrust23THRUST_200600_302600_NS10device_ptrIiEESB_SB_iNS9_4plusIvEENS9_8equal_toIvEEiEE10hipError_tPvRmT2_T3_T4_T5_mT6_T7_P12ihipStream_tbENKUlT_T0_E_clISt17integral_constantIbLb1EESW_EEDaSR_SS_EUlSR_E_NS1_11comp_targetILNS1_3genE5ELNS1_11target_archE942ELNS1_3gpuE9ELNS1_3repE0EEENS1_30default_config_static_selectorELNS0_4arch9wavefront6targetE1EEEvT1_,comdat
	.protected	_ZN7rocprim17ROCPRIM_400000_NS6detail17trampoline_kernelINS0_14default_configENS1_27scan_by_key_config_selectorIiiEEZZNS1_16scan_by_key_implILNS1_25lookback_scan_determinismE0ELb0ES3_N6thrust23THRUST_200600_302600_NS10device_ptrIiEESB_SB_iNS9_4plusIvEENS9_8equal_toIvEEiEE10hipError_tPvRmT2_T3_T4_T5_mT6_T7_P12ihipStream_tbENKUlT_T0_E_clISt17integral_constantIbLb1EESW_EEDaSR_SS_EUlSR_E_NS1_11comp_targetILNS1_3genE5ELNS1_11target_archE942ELNS1_3gpuE9ELNS1_3repE0EEENS1_30default_config_static_selectorELNS0_4arch9wavefront6targetE1EEEvT1_ ; -- Begin function _ZN7rocprim17ROCPRIM_400000_NS6detail17trampoline_kernelINS0_14default_configENS1_27scan_by_key_config_selectorIiiEEZZNS1_16scan_by_key_implILNS1_25lookback_scan_determinismE0ELb0ES3_N6thrust23THRUST_200600_302600_NS10device_ptrIiEESB_SB_iNS9_4plusIvEENS9_8equal_toIvEEiEE10hipError_tPvRmT2_T3_T4_T5_mT6_T7_P12ihipStream_tbENKUlT_T0_E_clISt17integral_constantIbLb1EESW_EEDaSR_SS_EUlSR_E_NS1_11comp_targetILNS1_3genE5ELNS1_11target_archE942ELNS1_3gpuE9ELNS1_3repE0EEENS1_30default_config_static_selectorELNS0_4arch9wavefront6targetE1EEEvT1_
	.globl	_ZN7rocprim17ROCPRIM_400000_NS6detail17trampoline_kernelINS0_14default_configENS1_27scan_by_key_config_selectorIiiEEZZNS1_16scan_by_key_implILNS1_25lookback_scan_determinismE0ELb0ES3_N6thrust23THRUST_200600_302600_NS10device_ptrIiEESB_SB_iNS9_4plusIvEENS9_8equal_toIvEEiEE10hipError_tPvRmT2_T3_T4_T5_mT6_T7_P12ihipStream_tbENKUlT_T0_E_clISt17integral_constantIbLb1EESW_EEDaSR_SS_EUlSR_E_NS1_11comp_targetILNS1_3genE5ELNS1_11target_archE942ELNS1_3gpuE9ELNS1_3repE0EEENS1_30default_config_static_selectorELNS0_4arch9wavefront6targetE1EEEvT1_
	.p2align	8
	.type	_ZN7rocprim17ROCPRIM_400000_NS6detail17trampoline_kernelINS0_14default_configENS1_27scan_by_key_config_selectorIiiEEZZNS1_16scan_by_key_implILNS1_25lookback_scan_determinismE0ELb0ES3_N6thrust23THRUST_200600_302600_NS10device_ptrIiEESB_SB_iNS9_4plusIvEENS9_8equal_toIvEEiEE10hipError_tPvRmT2_T3_T4_T5_mT6_T7_P12ihipStream_tbENKUlT_T0_E_clISt17integral_constantIbLb1EESW_EEDaSR_SS_EUlSR_E_NS1_11comp_targetILNS1_3genE5ELNS1_11target_archE942ELNS1_3gpuE9ELNS1_3repE0EEENS1_30default_config_static_selectorELNS0_4arch9wavefront6targetE1EEEvT1_,@function
_ZN7rocprim17ROCPRIM_400000_NS6detail17trampoline_kernelINS0_14default_configENS1_27scan_by_key_config_selectorIiiEEZZNS1_16scan_by_key_implILNS1_25lookback_scan_determinismE0ELb0ES3_N6thrust23THRUST_200600_302600_NS10device_ptrIiEESB_SB_iNS9_4plusIvEENS9_8equal_toIvEEiEE10hipError_tPvRmT2_T3_T4_T5_mT6_T7_P12ihipStream_tbENKUlT_T0_E_clISt17integral_constantIbLb1EESW_EEDaSR_SS_EUlSR_E_NS1_11comp_targetILNS1_3genE5ELNS1_11target_archE942ELNS1_3gpuE9ELNS1_3repE0EEENS1_30default_config_static_selectorELNS0_4arch9wavefront6targetE1EEEvT1_: ; @_ZN7rocprim17ROCPRIM_400000_NS6detail17trampoline_kernelINS0_14default_configENS1_27scan_by_key_config_selectorIiiEEZZNS1_16scan_by_key_implILNS1_25lookback_scan_determinismE0ELb0ES3_N6thrust23THRUST_200600_302600_NS10device_ptrIiEESB_SB_iNS9_4plusIvEENS9_8equal_toIvEEiEE10hipError_tPvRmT2_T3_T4_T5_mT6_T7_P12ihipStream_tbENKUlT_T0_E_clISt17integral_constantIbLb1EESW_EEDaSR_SS_EUlSR_E_NS1_11comp_targetILNS1_3genE5ELNS1_11target_archE942ELNS1_3gpuE9ELNS1_3repE0EEENS1_30default_config_static_selectorELNS0_4arch9wavefront6targetE1EEEvT1_
; %bb.0:
	.section	.rodata,"a",@progbits
	.p2align	6, 0x0
	.amdhsa_kernel _ZN7rocprim17ROCPRIM_400000_NS6detail17trampoline_kernelINS0_14default_configENS1_27scan_by_key_config_selectorIiiEEZZNS1_16scan_by_key_implILNS1_25lookback_scan_determinismE0ELb0ES3_N6thrust23THRUST_200600_302600_NS10device_ptrIiEESB_SB_iNS9_4plusIvEENS9_8equal_toIvEEiEE10hipError_tPvRmT2_T3_T4_T5_mT6_T7_P12ihipStream_tbENKUlT_T0_E_clISt17integral_constantIbLb1EESW_EEDaSR_SS_EUlSR_E_NS1_11comp_targetILNS1_3genE5ELNS1_11target_archE942ELNS1_3gpuE9ELNS1_3repE0EEENS1_30default_config_static_selectorELNS0_4arch9wavefront6targetE1EEEvT1_
		.amdhsa_group_segment_fixed_size 0
		.amdhsa_private_segment_fixed_size 0
		.amdhsa_kernarg_size 112
		.amdhsa_user_sgpr_count 6
		.amdhsa_user_sgpr_private_segment_buffer 1
		.amdhsa_user_sgpr_dispatch_ptr 0
		.amdhsa_user_sgpr_queue_ptr 0
		.amdhsa_user_sgpr_kernarg_segment_ptr 1
		.amdhsa_user_sgpr_dispatch_id 0
		.amdhsa_user_sgpr_flat_scratch_init 0
		.amdhsa_user_sgpr_kernarg_preload_length 0
		.amdhsa_user_sgpr_kernarg_preload_offset 0
		.amdhsa_user_sgpr_private_segment_size 0
		.amdhsa_uses_dynamic_stack 0
		.amdhsa_system_sgpr_private_segment_wavefront_offset 0
		.amdhsa_system_sgpr_workgroup_id_x 1
		.amdhsa_system_sgpr_workgroup_id_y 0
		.amdhsa_system_sgpr_workgroup_id_z 0
		.amdhsa_system_sgpr_workgroup_info 0
		.amdhsa_system_vgpr_workitem_id 0
		.amdhsa_next_free_vgpr 1
		.amdhsa_next_free_sgpr 0
		.amdhsa_accum_offset 4
		.amdhsa_reserve_vcc 0
		.amdhsa_reserve_flat_scratch 0
		.amdhsa_float_round_mode_32 0
		.amdhsa_float_round_mode_16_64 0
		.amdhsa_float_denorm_mode_32 3
		.amdhsa_float_denorm_mode_16_64 3
		.amdhsa_dx10_clamp 1
		.amdhsa_ieee_mode 1
		.amdhsa_fp16_overflow 0
		.amdhsa_tg_split 0
		.amdhsa_exception_fp_ieee_invalid_op 0
		.amdhsa_exception_fp_denorm_src 0
		.amdhsa_exception_fp_ieee_div_zero 0
		.amdhsa_exception_fp_ieee_overflow 0
		.amdhsa_exception_fp_ieee_underflow 0
		.amdhsa_exception_fp_ieee_inexact 0
		.amdhsa_exception_int_div_zero 0
	.end_amdhsa_kernel
	.section	.text._ZN7rocprim17ROCPRIM_400000_NS6detail17trampoline_kernelINS0_14default_configENS1_27scan_by_key_config_selectorIiiEEZZNS1_16scan_by_key_implILNS1_25lookback_scan_determinismE0ELb0ES3_N6thrust23THRUST_200600_302600_NS10device_ptrIiEESB_SB_iNS9_4plusIvEENS9_8equal_toIvEEiEE10hipError_tPvRmT2_T3_T4_T5_mT6_T7_P12ihipStream_tbENKUlT_T0_E_clISt17integral_constantIbLb1EESW_EEDaSR_SS_EUlSR_E_NS1_11comp_targetILNS1_3genE5ELNS1_11target_archE942ELNS1_3gpuE9ELNS1_3repE0EEENS1_30default_config_static_selectorELNS0_4arch9wavefront6targetE1EEEvT1_,"axG",@progbits,_ZN7rocprim17ROCPRIM_400000_NS6detail17trampoline_kernelINS0_14default_configENS1_27scan_by_key_config_selectorIiiEEZZNS1_16scan_by_key_implILNS1_25lookback_scan_determinismE0ELb0ES3_N6thrust23THRUST_200600_302600_NS10device_ptrIiEESB_SB_iNS9_4plusIvEENS9_8equal_toIvEEiEE10hipError_tPvRmT2_T3_T4_T5_mT6_T7_P12ihipStream_tbENKUlT_T0_E_clISt17integral_constantIbLb1EESW_EEDaSR_SS_EUlSR_E_NS1_11comp_targetILNS1_3genE5ELNS1_11target_archE942ELNS1_3gpuE9ELNS1_3repE0EEENS1_30default_config_static_selectorELNS0_4arch9wavefront6targetE1EEEvT1_,comdat
.Lfunc_end2206:
	.size	_ZN7rocprim17ROCPRIM_400000_NS6detail17trampoline_kernelINS0_14default_configENS1_27scan_by_key_config_selectorIiiEEZZNS1_16scan_by_key_implILNS1_25lookback_scan_determinismE0ELb0ES3_N6thrust23THRUST_200600_302600_NS10device_ptrIiEESB_SB_iNS9_4plusIvEENS9_8equal_toIvEEiEE10hipError_tPvRmT2_T3_T4_T5_mT6_T7_P12ihipStream_tbENKUlT_T0_E_clISt17integral_constantIbLb1EESW_EEDaSR_SS_EUlSR_E_NS1_11comp_targetILNS1_3genE5ELNS1_11target_archE942ELNS1_3gpuE9ELNS1_3repE0EEENS1_30default_config_static_selectorELNS0_4arch9wavefront6targetE1EEEvT1_, .Lfunc_end2206-_ZN7rocprim17ROCPRIM_400000_NS6detail17trampoline_kernelINS0_14default_configENS1_27scan_by_key_config_selectorIiiEEZZNS1_16scan_by_key_implILNS1_25lookback_scan_determinismE0ELb0ES3_N6thrust23THRUST_200600_302600_NS10device_ptrIiEESB_SB_iNS9_4plusIvEENS9_8equal_toIvEEiEE10hipError_tPvRmT2_T3_T4_T5_mT6_T7_P12ihipStream_tbENKUlT_T0_E_clISt17integral_constantIbLb1EESW_EEDaSR_SS_EUlSR_E_NS1_11comp_targetILNS1_3genE5ELNS1_11target_archE942ELNS1_3gpuE9ELNS1_3repE0EEENS1_30default_config_static_selectorELNS0_4arch9wavefront6targetE1EEEvT1_
                                        ; -- End function
	.section	.AMDGPU.csdata,"",@progbits
; Kernel info:
; codeLenInByte = 0
; NumSgprs: 4
; NumVgprs: 0
; NumAgprs: 0
; TotalNumVgprs: 0
; ScratchSize: 0
; MemoryBound: 0
; FloatMode: 240
; IeeeMode: 1
; LDSByteSize: 0 bytes/workgroup (compile time only)
; SGPRBlocks: 0
; VGPRBlocks: 0
; NumSGPRsForWavesPerEU: 4
; NumVGPRsForWavesPerEU: 1
; AccumOffset: 4
; Occupancy: 8
; WaveLimiterHint : 0
; COMPUTE_PGM_RSRC2:SCRATCH_EN: 0
; COMPUTE_PGM_RSRC2:USER_SGPR: 6
; COMPUTE_PGM_RSRC2:TRAP_HANDLER: 0
; COMPUTE_PGM_RSRC2:TGID_X_EN: 1
; COMPUTE_PGM_RSRC2:TGID_Y_EN: 0
; COMPUTE_PGM_RSRC2:TGID_Z_EN: 0
; COMPUTE_PGM_RSRC2:TIDIG_COMP_CNT: 0
; COMPUTE_PGM_RSRC3_GFX90A:ACCUM_OFFSET: 0
; COMPUTE_PGM_RSRC3_GFX90A:TG_SPLIT: 0
	.section	.text._ZN7rocprim17ROCPRIM_400000_NS6detail17trampoline_kernelINS0_14default_configENS1_27scan_by_key_config_selectorIiiEEZZNS1_16scan_by_key_implILNS1_25lookback_scan_determinismE0ELb0ES3_N6thrust23THRUST_200600_302600_NS10device_ptrIiEESB_SB_iNS9_4plusIvEENS9_8equal_toIvEEiEE10hipError_tPvRmT2_T3_T4_T5_mT6_T7_P12ihipStream_tbENKUlT_T0_E_clISt17integral_constantIbLb1EESW_EEDaSR_SS_EUlSR_E_NS1_11comp_targetILNS1_3genE4ELNS1_11target_archE910ELNS1_3gpuE8ELNS1_3repE0EEENS1_30default_config_static_selectorELNS0_4arch9wavefront6targetE1EEEvT1_,"axG",@progbits,_ZN7rocprim17ROCPRIM_400000_NS6detail17trampoline_kernelINS0_14default_configENS1_27scan_by_key_config_selectorIiiEEZZNS1_16scan_by_key_implILNS1_25lookback_scan_determinismE0ELb0ES3_N6thrust23THRUST_200600_302600_NS10device_ptrIiEESB_SB_iNS9_4plusIvEENS9_8equal_toIvEEiEE10hipError_tPvRmT2_T3_T4_T5_mT6_T7_P12ihipStream_tbENKUlT_T0_E_clISt17integral_constantIbLb1EESW_EEDaSR_SS_EUlSR_E_NS1_11comp_targetILNS1_3genE4ELNS1_11target_archE910ELNS1_3gpuE8ELNS1_3repE0EEENS1_30default_config_static_selectorELNS0_4arch9wavefront6targetE1EEEvT1_,comdat
	.protected	_ZN7rocprim17ROCPRIM_400000_NS6detail17trampoline_kernelINS0_14default_configENS1_27scan_by_key_config_selectorIiiEEZZNS1_16scan_by_key_implILNS1_25lookback_scan_determinismE0ELb0ES3_N6thrust23THRUST_200600_302600_NS10device_ptrIiEESB_SB_iNS9_4plusIvEENS9_8equal_toIvEEiEE10hipError_tPvRmT2_T3_T4_T5_mT6_T7_P12ihipStream_tbENKUlT_T0_E_clISt17integral_constantIbLb1EESW_EEDaSR_SS_EUlSR_E_NS1_11comp_targetILNS1_3genE4ELNS1_11target_archE910ELNS1_3gpuE8ELNS1_3repE0EEENS1_30default_config_static_selectorELNS0_4arch9wavefront6targetE1EEEvT1_ ; -- Begin function _ZN7rocprim17ROCPRIM_400000_NS6detail17trampoline_kernelINS0_14default_configENS1_27scan_by_key_config_selectorIiiEEZZNS1_16scan_by_key_implILNS1_25lookback_scan_determinismE0ELb0ES3_N6thrust23THRUST_200600_302600_NS10device_ptrIiEESB_SB_iNS9_4plusIvEENS9_8equal_toIvEEiEE10hipError_tPvRmT2_T3_T4_T5_mT6_T7_P12ihipStream_tbENKUlT_T0_E_clISt17integral_constantIbLb1EESW_EEDaSR_SS_EUlSR_E_NS1_11comp_targetILNS1_3genE4ELNS1_11target_archE910ELNS1_3gpuE8ELNS1_3repE0EEENS1_30default_config_static_selectorELNS0_4arch9wavefront6targetE1EEEvT1_
	.globl	_ZN7rocprim17ROCPRIM_400000_NS6detail17trampoline_kernelINS0_14default_configENS1_27scan_by_key_config_selectorIiiEEZZNS1_16scan_by_key_implILNS1_25lookback_scan_determinismE0ELb0ES3_N6thrust23THRUST_200600_302600_NS10device_ptrIiEESB_SB_iNS9_4plusIvEENS9_8equal_toIvEEiEE10hipError_tPvRmT2_T3_T4_T5_mT6_T7_P12ihipStream_tbENKUlT_T0_E_clISt17integral_constantIbLb1EESW_EEDaSR_SS_EUlSR_E_NS1_11comp_targetILNS1_3genE4ELNS1_11target_archE910ELNS1_3gpuE8ELNS1_3repE0EEENS1_30default_config_static_selectorELNS0_4arch9wavefront6targetE1EEEvT1_
	.p2align	8
	.type	_ZN7rocprim17ROCPRIM_400000_NS6detail17trampoline_kernelINS0_14default_configENS1_27scan_by_key_config_selectorIiiEEZZNS1_16scan_by_key_implILNS1_25lookback_scan_determinismE0ELb0ES3_N6thrust23THRUST_200600_302600_NS10device_ptrIiEESB_SB_iNS9_4plusIvEENS9_8equal_toIvEEiEE10hipError_tPvRmT2_T3_T4_T5_mT6_T7_P12ihipStream_tbENKUlT_T0_E_clISt17integral_constantIbLb1EESW_EEDaSR_SS_EUlSR_E_NS1_11comp_targetILNS1_3genE4ELNS1_11target_archE910ELNS1_3gpuE8ELNS1_3repE0EEENS1_30default_config_static_selectorELNS0_4arch9wavefront6targetE1EEEvT1_,@function
_ZN7rocprim17ROCPRIM_400000_NS6detail17trampoline_kernelINS0_14default_configENS1_27scan_by_key_config_selectorIiiEEZZNS1_16scan_by_key_implILNS1_25lookback_scan_determinismE0ELb0ES3_N6thrust23THRUST_200600_302600_NS10device_ptrIiEESB_SB_iNS9_4plusIvEENS9_8equal_toIvEEiEE10hipError_tPvRmT2_T3_T4_T5_mT6_T7_P12ihipStream_tbENKUlT_T0_E_clISt17integral_constantIbLb1EESW_EEDaSR_SS_EUlSR_E_NS1_11comp_targetILNS1_3genE4ELNS1_11target_archE910ELNS1_3gpuE8ELNS1_3repE0EEENS1_30default_config_static_selectorELNS0_4arch9wavefront6targetE1EEEvT1_: ; @_ZN7rocprim17ROCPRIM_400000_NS6detail17trampoline_kernelINS0_14default_configENS1_27scan_by_key_config_selectorIiiEEZZNS1_16scan_by_key_implILNS1_25lookback_scan_determinismE0ELb0ES3_N6thrust23THRUST_200600_302600_NS10device_ptrIiEESB_SB_iNS9_4plusIvEENS9_8equal_toIvEEiEE10hipError_tPvRmT2_T3_T4_T5_mT6_T7_P12ihipStream_tbENKUlT_T0_E_clISt17integral_constantIbLb1EESW_EEDaSR_SS_EUlSR_E_NS1_11comp_targetILNS1_3genE4ELNS1_11target_archE910ELNS1_3gpuE8ELNS1_3repE0EEENS1_30default_config_static_selectorELNS0_4arch9wavefront6targetE1EEEvT1_
; %bb.0:
	s_load_dwordx4 s[56:59], s[4:5], 0x28
	s_load_dwordx2 s[60:61], s[4:5], 0x38
	v_cmp_ne_u32_e64 s[36:37], 0, v0
	v_cmp_eq_u32_e64 s[0:1], 0, v0
	s_and_saveexec_b64 s[2:3], s[0:1]
	s_cbranch_execz .LBB2207_4
; %bb.1:
	s_mov_b64 s[8:9], exec
	v_mbcnt_lo_u32_b32 v1, s8, 0
	v_mbcnt_hi_u32_b32 v1, s9, v1
	v_cmp_eq_u32_e32 vcc, 0, v1
                                        ; implicit-def: $vgpr2
	s_and_saveexec_b64 s[6:7], vcc
	s_cbranch_execz .LBB2207_3
; %bb.2:
	s_load_dwordx2 s[10:11], s[4:5], 0x68
	s_bcnt1_i32_b64 s8, s[8:9]
	v_mov_b32_e32 v2, 0
	v_mov_b32_e32 v3, s8
	s_waitcnt lgkmcnt(0)
	global_atomic_add v2, v2, v3, s[10:11] glc
.LBB2207_3:
	s_or_b64 exec, exec, s[6:7]
	s_waitcnt vmcnt(0)
	v_readfirstlane_b32 s6, v2
	v_add_u32_e32 v1, s6, v1
	v_mov_b32_e32 v2, 0
	ds_write_b32 v2, v1
.LBB2207_4:
	s_or_b64 exec, exec, s[2:3]
	s_load_dwordx8 s[40:47], s[4:5], 0x0
	s_load_dword s2, s[4:5], 0x40
	s_load_dwordx8 s[48:55], s[4:5], 0x48
	v_mov_b32_e32 v1, 0
	s_waitcnt lgkmcnt(0)
	s_barrier
	ds_read_b32 v1, v1
	s_lshl_b64 s[38:39], s[42:43], 2
	s_add_u32 s4, s40, s38
	s_addc_u32 s5, s41, s39
	s_add_u32 s6, s44, s38
	s_mul_i32 s3, s61, s2
	s_mul_hi_u32 s8, s60, s2
	s_addc_u32 s7, s45, s39
	s_add_i32 s8, s8, s3
	s_waitcnt lgkmcnt(0)
	v_readfirstlane_b32 s59, v1
	s_mul_i32 s9, s60, s2
	s_cmp_lg_u64 s[52:53], 0
	s_mov_b32 s3, 0
	s_mul_i32 s2, s59, 0xe00
	s_cselect_b64 s[44:45], -1, 0
	s_lshl_b64 s[40:41], s[2:3], 2
	s_add_u32 s42, s4, s40
	s_addc_u32 s43, s5, s41
	s_add_u32 s62, s6, s40
	s_addc_u32 s63, s7, s41
	;; [unrolled: 2-line block ×3, first 2 shown]
	s_add_u32 s4, s48, -1
	s_addc_u32 s5, s49, -1
	v_pk_mov_b32 v[2:3], s[4:5], s[4:5] op_sel:[0,1]
	v_cmp_ge_u64_e64 s[2:3], s[52:53], v[2:3]
	s_mov_b64 s[18:19], 0
	s_mov_b64 s[12:13], -1
	s_and_b64 vcc, exec, s[2:3]
	s_mul_i32 s33, s4, 0xfffff200
	s_barrier
	s_barrier
	s_cbranch_vccz .LBB2207_81
; %bb.5:
	v_pk_mov_b32 v[2:3], s[42:43], s[42:43] op_sel:[0,1]
	flat_load_dword v1, v[2:3]
	s_add_i32 s64, s33, s58
	v_cmp_gt_u32_e64 s[6:7], s64, v0
	s_waitcnt vmcnt(0) lgkmcnt(0)
	v_mov_b32_e32 v13, v1
	s_and_saveexec_b64 s[4:5], s[6:7]
	s_cbranch_execz .LBB2207_7
; %bb.6:
	v_lshlrev_b32_e32 v2, 2, v0
	v_mov_b32_e32 v3, s43
	v_add_co_u32_e32 v2, vcc, s42, v2
	v_addc_co_u32_e32 v3, vcc, 0, v3, vcc
	flat_load_dword v13, v[2:3]
.LBB2207_7:
	s_or_b64 exec, exec, s[4:5]
	v_or_b32_e32 v2, 0x100, v0
	v_cmp_gt_u32_e64 s[8:9], s64, v2
	v_mov_b32_e32 v14, v1
	s_and_saveexec_b64 s[4:5], s[8:9]
	s_cbranch_execz .LBB2207_9
; %bb.8:
	v_lshlrev_b32_e32 v2, 2, v0
	v_mov_b32_e32 v3, s43
	v_add_co_u32_e32 v2, vcc, s42, v2
	v_addc_co_u32_e32 v3, vcc, 0, v3, vcc
	flat_load_dword v14, v[2:3] offset:1024
.LBB2207_9:
	s_or_b64 exec, exec, s[4:5]
	v_or_b32_e32 v2, 0x200, v0
	v_cmp_gt_u32_e64 s[10:11], s64, v2
	v_mov_b32_e32 v15, v1
	s_and_saveexec_b64 s[4:5], s[10:11]
	s_cbranch_execz .LBB2207_11
; %bb.10:
	v_lshlrev_b32_e32 v2, 2, v0
	v_mov_b32_e32 v3, s43
	v_add_co_u32_e32 v2, vcc, s42, v2
	v_addc_co_u32_e32 v3, vcc, 0, v3, vcc
	flat_load_dword v15, v[2:3] offset:2048
.LBB2207_11:
	;; [unrolled: 13-line block ×3, first 2 shown]
	s_or_b64 exec, exec, s[4:5]
	v_or_b32_e32 v2, 0x400, v0
	v_cmp_gt_u32_e64 s[14:15], s64, v2
	v_mov_b32_e32 v17, v1
	s_and_saveexec_b64 s[4:5], s[14:15]
	s_cbranch_execz .LBB2207_15
; %bb.14:
	v_lshlrev_b32_e32 v3, 2, v2
	v_mov_b32_e32 v5, s43
	v_add_co_u32_e32 v4, vcc, s42, v3
	v_addc_co_u32_e32 v5, vcc, 0, v5, vcc
	flat_load_dword v17, v[4:5]
.LBB2207_15:
	s_or_b64 exec, exec, s[4:5]
	v_or_b32_e32 v3, 0x500, v0
	v_cmp_gt_u32_e64 s[16:17], s64, v3
	v_mov_b32_e32 v18, v1
	s_and_saveexec_b64 s[4:5], s[16:17]
	s_cbranch_execz .LBB2207_17
; %bb.16:
	v_lshlrev_b32_e32 v4, 2, v3
	v_mov_b32_e32 v5, s43
	v_add_co_u32_e32 v4, vcc, s42, v4
	v_addc_co_u32_e32 v5, vcc, 0, v5, vcc
	flat_load_dword v18, v[4:5]
.LBB2207_17:
	;; [unrolled: 13-line block ×9, first 2 shown]
	s_or_b64 exec, exec, s[4:5]
	v_or_b32_e32 v11, 0xd00, v0
	v_cmp_gt_u32_e64 s[34:35], s64, v11
	s_and_saveexec_b64 s[4:5], s[34:35]
	s_cbranch_execz .LBB2207_33
; %bb.32:
	v_lshlrev_b32_e32 v1, 2, v11
	v_mov_b32_e32 v12, s43
	v_add_co_u32_e32 v26, vcc, s42, v1
	v_addc_co_u32_e32 v27, vcc, 0, v12, vcc
	flat_load_dword v1, v[26:27]
.LBB2207_33:
	s_or_b64 exec, exec, s[4:5]
	v_lshlrev_b32_e32 v12, 2, v0
	s_waitcnt vmcnt(0) lgkmcnt(0)
	ds_write2st64_b32 v12, v13, v14 offset1:4
	ds_write2st64_b32 v12, v15, v16 offset0:8 offset1:12
	ds_write2st64_b32 v12, v17, v18 offset0:16 offset1:20
	;; [unrolled: 1-line block ×6, first 2 shown]
	v_mad_u32_u24 v1, v0, 52, v12
	s_waitcnt lgkmcnt(0)
	s_barrier
	ds_read2_b64 v[34:37], v1 offset1:1
	ds_read2_b64 v[30:33], v1 offset0:2 offset1:3
	ds_read2_b64 v[26:29], v1 offset0:4 offset1:5
	ds_read_b64 v[40:41], v1 offset:48
	s_cmp_eq_u64 s[52:53], 0
	s_mov_b64 s[4:5], s[42:43]
	s_cbranch_scc1 .LBB2207_37
; %bb.34:
	s_andn2_b64 vcc, exec, s[44:45]
	s_cbranch_vccnz .LBB2207_187
; %bb.35:
	s_lshl_b64 s[4:5], s[52:53], 2
	s_add_u32 s4, s54, s4
	s_addc_u32 s5, s55, s5
	s_add_u32 s4, s4, -4
	s_addc_u32 s5, s5, -1
	s_cbranch_execnz .LBB2207_37
.LBB2207_36:
	s_add_u32 s4, s42, -4
	s_addc_u32 s5, s43, -1
.LBB2207_37:
	v_pk_mov_b32 v[14:15], s[4:5], s[4:5] op_sel:[0,1]
	flat_load_dword v44, v[14:15]
	s_movk_i32 s4, 0xffcc
	v_mad_i32_i24 v13, v0, s4, v1
	s_waitcnt lgkmcnt(0)
	ds_write_b32 v13, v41 offset:14336
	s_waitcnt lgkmcnt(0)
	s_barrier
	s_and_saveexec_b64 s[4:5], s[36:37]
	s_cbranch_execz .LBB2207_39
; %bb.38:
	v_mul_i32_i24_e32 v13, 0xffffffcc, v0
	v_add_u32_e32 v13, v1, v13
	s_waitcnt vmcnt(0)
	ds_read_b32 v44, v13 offset:14332
.LBB2207_39:
	s_or_b64 exec, exec, s[4:5]
	s_waitcnt lgkmcnt(0)
	s_barrier
	s_waitcnt lgkmcnt(0)
                                        ; implicit-def: $vgpr13
	s_and_saveexec_b64 s[4:5], s[6:7]
	s_cbranch_execnz .LBB2207_174
; %bb.40:
	s_or_b64 exec, exec, s[4:5]
                                        ; implicit-def: $vgpr14
	s_and_saveexec_b64 s[4:5], s[8:9]
	s_cbranch_execnz .LBB2207_175
.LBB2207_41:
	s_or_b64 exec, exec, s[4:5]
                                        ; implicit-def: $vgpr15
	s_and_saveexec_b64 s[4:5], s[10:11]
	s_cbranch_execnz .LBB2207_176
.LBB2207_42:
	s_or_b64 exec, exec, s[4:5]
                                        ; implicit-def: $vgpr16
	s_and_saveexec_b64 s[4:5], s[12:13]
	s_cbranch_execnz .LBB2207_177
.LBB2207_43:
	s_or_b64 exec, exec, s[4:5]
                                        ; implicit-def: $vgpr17
	s_and_saveexec_b64 s[4:5], s[14:15]
	s_cbranch_execnz .LBB2207_178
.LBB2207_44:
	s_or_b64 exec, exec, s[4:5]
                                        ; implicit-def: $vgpr2
	s_and_saveexec_b64 s[4:5], s[16:17]
	s_cbranch_execnz .LBB2207_179
.LBB2207_45:
	s_or_b64 exec, exec, s[4:5]
                                        ; implicit-def: $vgpr3
	s_and_saveexec_b64 s[4:5], s[18:19]
	s_cbranch_execnz .LBB2207_180
.LBB2207_46:
	s_or_b64 exec, exec, s[4:5]
                                        ; implicit-def: $vgpr4
	s_and_saveexec_b64 s[4:5], s[20:21]
	s_cbranch_execnz .LBB2207_181
.LBB2207_47:
	s_or_b64 exec, exec, s[4:5]
                                        ; implicit-def: $vgpr5
	s_and_saveexec_b64 s[4:5], s[22:23]
	s_cbranch_execnz .LBB2207_182
.LBB2207_48:
	s_or_b64 exec, exec, s[4:5]
                                        ; implicit-def: $vgpr6
	s_and_saveexec_b64 s[4:5], s[24:25]
	s_cbranch_execnz .LBB2207_183
.LBB2207_49:
	s_or_b64 exec, exec, s[4:5]
                                        ; implicit-def: $vgpr7
	s_and_saveexec_b64 s[4:5], s[26:27]
	s_cbranch_execnz .LBB2207_184
.LBB2207_50:
	s_or_b64 exec, exec, s[4:5]
                                        ; implicit-def: $vgpr8
	s_and_saveexec_b64 s[4:5], s[28:29]
	s_cbranch_execnz .LBB2207_185
.LBB2207_51:
	s_or_b64 exec, exec, s[4:5]
                                        ; implicit-def: $vgpr9
	s_and_saveexec_b64 s[4:5], s[30:31]
	s_cbranch_execnz .LBB2207_186
.LBB2207_52:
	s_or_b64 exec, exec, s[4:5]
                                        ; implicit-def: $vgpr10
	s_and_saveexec_b64 s[4:5], s[34:35]
	s_cbranch_execz .LBB2207_54
.LBB2207_53:
	v_lshlrev_b32_e32 v10, 2, v11
	v_mov_b32_e32 v11, s63
	v_add_co_u32_e32 v10, vcc, s62, v10
	v_addc_co_u32_e32 v11, vcc, 0, v11, vcc
	flat_load_dword v10, v[10:11]
.LBB2207_54:
	s_or_b64 exec, exec, s[4:5]
	s_mov_b32 s4, 0
	s_mov_b32 s5, s4
	s_waitcnt vmcnt(0) lgkmcnt(0)
	ds_write2st64_b32 v12, v13, v14 offset1:4
	ds_write2st64_b32 v12, v15, v16 offset0:8 offset1:12
	ds_write2st64_b32 v12, v17, v2 offset0:16 offset1:20
	;; [unrolled: 1-line block ×6, first 2 shown]
	s_mov_b32 s6, s4
	s_mov_b32 s7, s4
	;; [unrolled: 1-line block ×6, first 2 shown]
	v_pk_mov_b32 v[2:3], s[4:5], s[4:5] op_sel:[0,1]
	v_pk_mov_b32 v[8:9], s[10:11], s[10:11] op_sel:[0,1]
	v_mul_u32_u24_e32 v42, 14, v0
	v_pk_mov_b32 v[4:5], s[6:7], s[6:7] op_sel:[0,1]
	v_pk_mov_b32 v[6:7], s[8:9], s[8:9] op_sel:[0,1]
	;; [unrolled: 1-line block ×4, first 2 shown]
	v_cmp_gt_u32_e32 vcc, s64, v42
	s_mov_b64 s[12:13], 0
	v_pk_mov_b32 v[38:39], 0, 0
	s_mov_b64 s[18:19], 0
	v_pk_mov_b32 v[14:15], v[6:7], v[6:7] op_sel:[0,1]
	v_pk_mov_b32 v[12:13], v[4:5], v[4:5] op_sel:[0,1]
	;; [unrolled: 1-line block ×6, first 2 shown]
	s_waitcnt lgkmcnt(0)
	s_barrier
	s_waitcnt lgkmcnt(0)
                                        ; implicit-def: $sgpr16_sgpr17
                                        ; implicit-def: $vgpr43
	s_and_saveexec_b64 s[14:15], vcc
	s_cbranch_execz .LBB2207_80
; %bb.55:
	v_or_b32_e32 v2, 1, v42
	ds_read_b32 v38, v1
	v_cmp_ne_u32_e32 vcc, v44, v34
	v_cndmask_b32_e64 v39, 0, 1, vcc
	v_cmp_gt_u32_e32 vcc, s64, v2
	v_pk_mov_b32 v[2:3], s[4:5], s[4:5] op_sel:[0,1]
	v_pk_mov_b32 v[8:9], s[10:11], s[10:11] op_sel:[0,1]
	;; [unrolled: 1-line block ×12, first 2 shown]
                                        ; implicit-def: $sgpr4_sgpr5
                                        ; implicit-def: $vgpr43
	s_and_saveexec_b64 s[16:17], vcc
	s_cbranch_execz .LBB2207_79
; %bb.56:
	ds_read2_b32 v[44:45], v1 offset0:1 offset1:2
	s_mov_b32 s4, 0
	s_mov_b32 s10, s4
	s_mov_b32 s11, s4
	s_mov_b32 s5, s4
	s_mov_b32 s6, s4
	s_mov_b32 s7, s4
	s_mov_b32 s8, s4
	s_mov_b32 s9, s4
	v_pk_mov_b32 v[16:17], s[10:11], s[10:11] op_sel:[0,1]
	v_add_u32_e32 v2, 2, v42
	v_cmp_ne_u32_e32 vcc, v34, v35
	v_mov_b32_e32 v6, 0
	v_pk_mov_b32 v[14:15], s[8:9], s[8:9] op_sel:[0,1]
	v_pk_mov_b32 v[12:13], s[6:7], s[6:7] op_sel:[0,1]
	;; [unrolled: 1-line block ×4, first 2 shown]
	v_cndmask_b32_e64 v3, 0, 1, vcc
	v_cmp_gt_u32_e32 vcc, s64, v2
	s_waitcnt lgkmcnt(0)
	v_mov_b32_e32 v2, v44
	v_mov_b32_e32 v4, v6
	v_mov_b32_e32 v5, v6
	v_mov_b32_e32 v7, v6
	v_mov_b32_e32 v8, v6
	v_mov_b32_e32 v9, v6
	s_mov_b64 s[20:21], 0
	v_pk_mov_b32 v[22:23], v[14:15], v[14:15] op_sel:[0,1]
	v_pk_mov_b32 v[20:21], v[12:13], v[12:13] op_sel:[0,1]
	;; [unrolled: 1-line block ×3, first 2 shown]
                                        ; implicit-def: $sgpr24_sgpr25
                                        ; implicit-def: $vgpr43
	s_and_saveexec_b64 s[18:19], vcc
	s_cbranch_execz .LBB2207_78
; %bb.57:
	v_pk_mov_b32 v[16:17], s[10:11], s[10:11] op_sel:[0,1]
	v_add_u32_e32 v2, 3, v42
	v_cmp_ne_u32_e32 vcc, v35, v36
	v_pk_mov_b32 v[14:15], s[8:9], s[8:9] op_sel:[0,1]
	v_pk_mov_b32 v[12:13], s[6:7], s[6:7] op_sel:[0,1]
	;; [unrolled: 1-line block ×4, first 2 shown]
	v_cndmask_b32_e64 v5, 0, 1, vcc
	v_cmp_gt_u32_e32 vcc, s64, v2
	v_mov_b32_e32 v2, v44
	v_mov_b32_e32 v4, v45
	;; [unrolled: 1-line block ×5, first 2 shown]
	s_mov_b64 s[22:23], 0
	v_pk_mov_b32 v[22:23], v[14:15], v[14:15] op_sel:[0,1]
	v_pk_mov_b32 v[20:21], v[12:13], v[12:13] op_sel:[0,1]
	;; [unrolled: 1-line block ×3, first 2 shown]
                                        ; implicit-def: $sgpr4_sgpr5
                                        ; implicit-def: $vgpr43
	s_and_saveexec_b64 s[20:21], vcc
	s_cbranch_execz .LBB2207_77
; %bb.58:
	ds_read2_b32 v[34:35], v1 offset0:3 offset1:4
	s_mov_b32 s4, 0
	s_mov_b32 s10, s4
	;; [unrolled: 1-line block ×8, first 2 shown]
	v_pk_mov_b32 v[16:17], s[10:11], s[10:11] op_sel:[0,1]
	v_add_u32_e32 v6, 4, v42
	v_cmp_ne_u32_e32 vcc, v36, v37
	v_pk_mov_b32 v[14:15], s[8:9], s[8:9] op_sel:[0,1]
	v_pk_mov_b32 v[12:13], s[6:7], s[6:7] op_sel:[0,1]
	;; [unrolled: 1-line block ×4, first 2 shown]
	v_cndmask_b32_e64 v7, 0, 1, vcc
	v_cmp_gt_u32_e32 vcc, s64, v6
	s_waitcnt lgkmcnt(0)
	v_mov_b32_e32 v6, v34
	v_mov_b32_e32 v8, s4
	;; [unrolled: 1-line block ×3, first 2 shown]
	s_mov_b64 s[24:25], 0
	v_pk_mov_b32 v[22:23], v[14:15], v[14:15] op_sel:[0,1]
	v_pk_mov_b32 v[20:21], v[12:13], v[12:13] op_sel:[0,1]
	;; [unrolled: 1-line block ×3, first 2 shown]
                                        ; implicit-def: $sgpr26_sgpr27
                                        ; implicit-def: $vgpr43
	s_and_saveexec_b64 s[22:23], vcc
	s_cbranch_execz .LBB2207_76
; %bb.59:
	v_pk_mov_b32 v[16:17], s[10:11], s[10:11] op_sel:[0,1]
	v_add_u32_e32 v8, 5, v42
	v_cmp_ne_u32_e32 vcc, v37, v30
	v_pk_mov_b32 v[14:15], s[8:9], s[8:9] op_sel:[0,1]
	v_pk_mov_b32 v[12:13], s[6:7], s[6:7] op_sel:[0,1]
	;; [unrolled: 1-line block ×4, first 2 shown]
	v_cndmask_b32_e64 v9, 0, 1, vcc
	v_cmp_gt_u32_e32 vcc, s64, v8
	v_mov_b32_e32 v8, v35
	s_mov_b64 s[28:29], 0
	v_pk_mov_b32 v[22:23], v[14:15], v[14:15] op_sel:[0,1]
	v_pk_mov_b32 v[20:21], v[12:13], v[12:13] op_sel:[0,1]
	;; [unrolled: 1-line block ×3, first 2 shown]
                                        ; implicit-def: $sgpr4_sgpr5
                                        ; implicit-def: $vgpr43
	s_and_saveexec_b64 s[24:25], vcc
	s_cbranch_execz .LBB2207_75
; %bb.60:
	ds_read2_b32 v[34:35], v1 offset0:5 offset1:6
	s_mov_b32 s4, 0
	s_mov_b32 s10, s4
	s_mov_b32 s11, s4
	v_add_u32_e32 v10, 6, v42
	v_cmp_ne_u32_e32 vcc, v30, v31
	v_mov_b32_e32 v14, 0
	s_mov_b32 s5, s4
	s_mov_b32 s6, s4
	s_mov_b32 s7, s4
	s_mov_b32 s8, s4
	s_mov_b32 s9, s4
	v_pk_mov_b32 v[24:25], s[10:11], s[10:11] op_sel:[0,1]
	v_cndmask_b32_e64 v11, 0, 1, vcc
	v_cmp_gt_u32_e32 vcc, s64, v10
	s_waitcnt lgkmcnt(0)
	v_mov_b32_e32 v10, v34
	v_mov_b32_e32 v12, v14
	;; [unrolled: 1-line block ×6, first 2 shown]
	v_pk_mov_b32 v[22:23], s[8:9], s[8:9] op_sel:[0,1]
	v_pk_mov_b32 v[20:21], s[6:7], s[6:7] op_sel:[0,1]
	;; [unrolled: 1-line block ×3, first 2 shown]
                                        ; implicit-def: $sgpr34_sgpr35
                                        ; implicit-def: $vgpr43
	s_and_saveexec_b64 s[26:27], vcc
	s_cbranch_execz .LBB2207_74
; %bb.61:
	v_add_u32_e32 v10, 7, v42
	v_cmp_ne_u32_e32 vcc, v31, v32
	v_pk_mov_b32 v[24:25], s[10:11], s[10:11] op_sel:[0,1]
	v_cndmask_b32_e64 v13, 0, 1, vcc
	v_cmp_gt_u32_e32 vcc, s64, v10
	v_mov_b32_e32 v10, v34
	v_mov_b32_e32 v12, v35
	;; [unrolled: 1-line block ×5, first 2 shown]
	s_mov_b64 s[30:31], 0
	v_pk_mov_b32 v[22:23], s[8:9], s[8:9] op_sel:[0,1]
	v_pk_mov_b32 v[20:21], s[6:7], s[6:7] op_sel:[0,1]
	;; [unrolled: 1-line block ×3, first 2 shown]
                                        ; implicit-def: $sgpr4_sgpr5
                                        ; implicit-def: $vgpr43
	s_and_saveexec_b64 s[28:29], vcc
	s_cbranch_execz .LBB2207_73
; %bb.62:
	ds_read2_b32 v[30:31], v1 offset0:7 offset1:8
	s_mov_b32 s4, 0
	s_mov_b32 s10, s4
	;; [unrolled: 1-line block ×3, first 2 shown]
	v_add_u32_e32 v14, 8, v42
	v_cmp_ne_u32_e32 vcc, v32, v33
	s_mov_b32 s5, s4
	s_mov_b32 s6, s4
	;; [unrolled: 1-line block ×5, first 2 shown]
	v_pk_mov_b32 v[24:25], s[10:11], s[10:11] op_sel:[0,1]
	v_cndmask_b32_e64 v15, 0, 1, vcc
	v_cmp_gt_u32_e32 vcc, s64, v14
	s_waitcnt lgkmcnt(0)
	v_mov_b32_e32 v14, v30
	v_mov_b32_e32 v16, s4
	v_mov_b32_e32 v17, s4
	s_mov_b64 s[34:35], 0
	v_pk_mov_b32 v[22:23], s[8:9], s[8:9] op_sel:[0,1]
	v_pk_mov_b32 v[20:21], s[6:7], s[6:7] op_sel:[0,1]
	;; [unrolled: 1-line block ×3, first 2 shown]
                                        ; implicit-def: $sgpr48_sgpr49
                                        ; implicit-def: $vgpr43
	s_and_saveexec_b64 s[30:31], vcc
	s_cbranch_execz .LBB2207_72
; %bb.63:
	v_add_u32_e32 v16, 9, v42
	v_cmp_ne_u32_e32 vcc, v33, v26
	v_pk_mov_b32 v[24:25], s[10:11], s[10:11] op_sel:[0,1]
	v_cndmask_b32_e64 v17, 0, 1, vcc
	v_cmp_gt_u32_e32 vcc, s64, v16
	v_mov_b32_e32 v16, v31
	v_pk_mov_b32 v[22:23], s[8:9], s[8:9] op_sel:[0,1]
	v_pk_mov_b32 v[20:21], s[6:7], s[6:7] op_sel:[0,1]
	;; [unrolled: 1-line block ×3, first 2 shown]
                                        ; implicit-def: $sgpr8_sgpr9
                                        ; implicit-def: $vgpr43
	s_and_saveexec_b64 s[6:7], vcc
	s_cbranch_execz .LBB2207_71
; %bb.64:
	ds_read2_b32 v[30:31], v1 offset0:9 offset1:10
	v_add_u32_e32 v18, 10, v42
	v_cmp_ne_u32_e32 vcc, v26, v27
	v_mov_b32_e32 v22, 0
	v_cndmask_b32_e64 v19, 0, 1, vcc
	v_cmp_gt_u32_e32 vcc, s64, v18
	s_waitcnt lgkmcnt(0)
	v_mov_b32_e32 v18, v30
	v_mov_b32_e32 v20, v22
	;; [unrolled: 1-line block ×6, first 2 shown]
	s_mov_b64 s[4:5], 0
                                        ; implicit-def: $sgpr10_sgpr11
                                        ; implicit-def: $vgpr43
	s_and_saveexec_b64 s[8:9], vcc
	s_cbranch_execz .LBB2207_70
; %bb.65:
	v_add_u32_e32 v18, 11, v42
	v_cmp_ne_u32_e32 vcc, v27, v28
	v_cndmask_b32_e64 v21, 0, 1, vcc
	v_cmp_gt_u32_e32 vcc, s64, v18
	s_mov_b32 s48, 0
	v_mov_b32_e32 v18, v30
	v_mov_b32_e32 v20, v31
	;; [unrolled: 1-line block ×5, first 2 shown]
                                        ; implicit-def: $sgpr34_sgpr35
                                        ; implicit-def: $vgpr43
	s_and_saveexec_b64 s[10:11], vcc
	s_cbranch_execz .LBB2207_69
; %bb.66:
	ds_read2_b32 v[26:27], v1 offset0:11 offset1:12
	v_add_u32_e32 v22, 12, v42
	v_cmp_ne_u32_e32 vcc, v28, v29
	v_cndmask_b32_e64 v23, 0, 1, vcc
	v_cmp_gt_u32_e32 vcc, s64, v22
	s_waitcnt lgkmcnt(0)
	v_mov_b32_e32 v22, v26
	v_mov_b32_e32 v24, s48
	;; [unrolled: 1-line block ×3, first 2 shown]
                                        ; implicit-def: $sgpr34_sgpr35
                                        ; implicit-def: $vgpr43
	s_and_saveexec_b64 s[48:49], vcc
	s_xor_b64 s[48:49], exec, s[48:49]
	s_cbranch_execz .LBB2207_68
; %bb.67:
	ds_read_b32 v43, v1 offset:52
	v_add_u32_e32 v1, 13, v42
	v_cmp_ne_u32_e64 s[4:5], v29, v40
	v_cmp_ne_u32_e32 vcc, v40, v41
	v_cndmask_b32_e64 v25, 0, 1, s[4:5]
	v_cmp_gt_u32_e64 s[4:5], s64, v1
	v_mov_b32_e32 v24, v27
	s_and_b64 s[34:35], vcc, exec
	s_and_b64 s[4:5], s[4:5], exec
.LBB2207_68:
	s_or_b64 exec, exec, s[48:49]
	s_and_b64 s[34:35], s[34:35], exec
	s_and_b64 s[4:5], s[4:5], exec
.LBB2207_69:
	s_or_b64 exec, exec, s[10:11]
	s_and_b64 s[10:11], s[34:35], exec
	s_and_b64 s[4:5], s[4:5], exec
.LBB2207_70:
	s_or_b64 exec, exec, s[8:9]
	s_and_b64 s[8:9], s[10:11], exec
	s_and_b64 s[34:35], s[4:5], exec
.LBB2207_71:
	s_or_b64 exec, exec, s[6:7]
	s_and_b64 s[48:49], s[8:9], exec
	s_and_b64 s[34:35], s[34:35], exec
.LBB2207_72:
	s_or_b64 exec, exec, s[30:31]
	s_and_b64 s[4:5], s[48:49], exec
	s_and_b64 s[30:31], s[34:35], exec
.LBB2207_73:
	s_or_b64 exec, exec, s[28:29]
	s_and_b64 s[34:35], s[4:5], exec
	s_and_b64 s[28:29], s[30:31], exec
.LBB2207_74:
	s_or_b64 exec, exec, s[26:27]
	s_and_b64 s[4:5], s[34:35], exec
	s_and_b64 s[28:29], s[28:29], exec
.LBB2207_75:
	s_or_b64 exec, exec, s[24:25]
	s_and_b64 s[26:27], s[4:5], exec
	s_and_b64 s[24:25], s[28:29], exec
.LBB2207_76:
	s_or_b64 exec, exec, s[22:23]
	s_and_b64 s[4:5], s[26:27], exec
	s_and_b64 s[22:23], s[24:25], exec
.LBB2207_77:
	s_or_b64 exec, exec, s[20:21]
	s_and_b64 s[24:25], s[4:5], exec
	s_and_b64 s[20:21], s[22:23], exec
.LBB2207_78:
	s_or_b64 exec, exec, s[18:19]
	s_and_b64 s[4:5], s[24:25], exec
	s_and_b64 s[18:19], s[20:21], exec
.LBB2207_79:
	s_or_b64 exec, exec, s[16:17]
	s_and_b64 s[16:17], s[4:5], exec
	s_and_b64 s[18:19], s[18:19], exec
.LBB2207_80:
	s_or_b64 exec, exec, s[14:15]
	s_and_b64 vcc, exec, s[12:13]
	v_lshlrev_b32_e32 v50, 2, v0
	s_cbranch_vccnz .LBB2207_82
	s_branch .LBB2207_90
.LBB2207_81:
                                        ; implicit-def: $sgpr16_sgpr17
                                        ; implicit-def: $vgpr2_vgpr3_vgpr4_vgpr5_vgpr6_vgpr7_vgpr8_vgpr9
                                        ; implicit-def: $vgpr10_vgpr11_vgpr12_vgpr13_vgpr14_vgpr15_vgpr16_vgpr17
                                        ; implicit-def: $vgpr18_vgpr19_vgpr20_vgpr21_vgpr22_vgpr23_vgpr24_vgpr25
                                        ; implicit-def: $vgpr43
                                        ; implicit-def: $vgpr38_vgpr39
	s_and_b64 vcc, exec, s[12:13]
	v_lshlrev_b32_e32 v50, 2, v0
	s_cbranch_vccz .LBB2207_90
.LBB2207_82:
	v_mov_b32_e32 v1, s43
	v_add_co_u32_e32 v2, vcc, s42, v50
	v_addc_co_u32_e32 v3, vcc, 0, v1, vcc
	v_add_co_u32_e32 v4, vcc, 0x1000, v2
	v_addc_co_u32_e32 v5, vcc, 0, v3, vcc
	flat_load_dword v6, v[2:3]
	flat_load_dword v7, v[2:3] offset:1024
	flat_load_dword v8, v[2:3] offset:2048
	;; [unrolled: 1-line block ×3, first 2 shown]
	flat_load_dword v10, v[4:5]
	flat_load_dword v11, v[4:5] offset:1024
	flat_load_dword v12, v[4:5] offset:2048
	;; [unrolled: 1-line block ×3, first 2 shown]
	v_add_co_u32_e32 v4, vcc, 0x2000, v2
	v_addc_co_u32_e32 v5, vcc, 0, v3, vcc
	v_add_co_u32_e32 v2, vcc, 0x3000, v2
	v_addc_co_u32_e32 v3, vcc, 0, v3, vcc
	flat_load_dword v14, v[4:5]
	flat_load_dword v15, v[4:5] offset:1024
	flat_load_dword v16, v[4:5] offset:2048
	;; [unrolled: 1-line block ×3, first 2 shown]
	flat_load_dword v18, v[2:3]
	flat_load_dword v19, v[2:3] offset:1024
	v_mad_u32_u24 v1, v0, 52, v50
	s_cmp_eq_u64 s[52:53], 0
	s_waitcnt vmcnt(0) lgkmcnt(0)
	ds_write2st64_b32 v50, v6, v7 offset1:4
	ds_write2st64_b32 v50, v8, v9 offset0:8 offset1:12
	ds_write2st64_b32 v50, v10, v11 offset0:16 offset1:20
	;; [unrolled: 1-line block ×6, first 2 shown]
	s_waitcnt lgkmcnt(0)
	s_barrier
	ds_read2_b64 v[2:5], v1 offset1:1
	ds_read2_b64 v[10:13], v1 offset0:2 offset1:3
	ds_read2_b64 v[18:21], v1 offset0:4 offset1:5
	ds_read_b64 v[6:7], v1 offset:48
	s_cbranch_scc1 .LBB2207_87
; %bb.83:
	s_andn2_b64 vcc, exec, s[44:45]
	s_cbranch_vccnz .LBB2207_188
; %bb.84:
	s_lshl_b64 s[4:5], s[52:53], 2
	s_add_u32 s4, s54, s4
	s_addc_u32 s5, s55, s5
	s_add_u32 s4, s4, -4
	s_addc_u32 s5, s5, -1
	s_cbranch_execnz .LBB2207_86
.LBB2207_85:
	s_add_u32 s4, s42, -4
	s_addc_u32 s5, s43, -1
.LBB2207_86:
	s_mov_b64 s[42:43], s[4:5]
.LBB2207_87:
	v_pk_mov_b32 v[8:9], s[42:43], s[42:43] op_sel:[0,1]
	flat_load_dword v8, v[8:9]
	s_movk_i32 s4, 0xffcc
	v_mad_i32_i24 v9, v0, s4, v1
	s_waitcnt lgkmcnt(0)
	ds_write_b32 v9, v7 offset:14336
	s_waitcnt lgkmcnt(0)
	s_barrier
	s_and_saveexec_b64 s[4:5], s[36:37]
	s_cbranch_execz .LBB2207_89
; %bb.88:
	s_waitcnt vmcnt(0)
	v_mul_i32_i24_e32 v8, 0xffffffcc, v0
	v_add_u32_e32 v8, v1, v8
	ds_read_b32 v8, v8 offset:14332
.LBB2207_89:
	s_or_b64 exec, exec, s[4:5]
	v_mov_b32_e32 v9, s63
	v_add_co_u32_e32 v14, vcc, s62, v50
	v_addc_co_u32_e32 v15, vcc, 0, v9, vcc
	s_movk_i32 s4, 0x1000
	v_add_co_u32_e32 v16, vcc, s4, v14
	v_addc_co_u32_e32 v17, vcc, 0, v15, vcc
	s_movk_i32 s4, 0x2000
	s_waitcnt lgkmcnt(0)
	s_barrier
	flat_load_dword v22, v[14:15]
	flat_load_dword v24, v[14:15] offset:1024
	flat_load_dword v26, v[14:15] offset:2048
	;; [unrolled: 1-line block ×3, first 2 shown]
	flat_load_dword v28, v[16:17]
	flat_load_dword v29, v[16:17] offset:1024
	flat_load_dword v30, v[16:17] offset:2048
	flat_load_dword v31, v[16:17] offset:3072
	v_add_co_u32_e32 v16, vcc, s4, v14
	v_addc_co_u32_e32 v17, vcc, 0, v15, vcc
	s_movk_i32 s4, 0x3000
	v_add_co_u32_e32 v14, vcc, s4, v14
	v_addc_co_u32_e32 v15, vcc, 0, v15, vcc
	flat_load_dword v32, v[16:17]
	flat_load_dword v33, v[16:17] offset:1024
	flat_load_dword v34, v[16:17] offset:2048
	;; [unrolled: 1-line block ×3, first 2 shown]
	flat_load_dword v36, v[14:15]
	flat_load_dword v37, v[14:15] offset:1024
	s_waitcnt vmcnt(0)
	v_cmp_ne_u32_e32 vcc, v8, v2
	v_cndmask_b32_e64 v39, 0, 1, vcc
	v_cmp_ne_u32_e32 vcc, v5, v10
	v_cndmask_b32_e64 v9, 0, 1, vcc
	v_cmp_ne_u32_e32 vcc, v4, v5
	v_cmp_ne_u32_e64 s[16:17], v6, v7
	v_cndmask_b32_e64 v7, 0, 1, vcc
	v_cmp_ne_u32_e32 vcc, v3, v4
	v_cndmask_b32_e64 v5, 0, 1, vcc
	v_cmp_ne_u32_e32 vcc, v2, v3
	v_cndmask_b32_e64 v3, 0, 1, vcc
	v_cmp_ne_u32_e32 vcc, v13, v18
	v_cndmask_b32_e64 v17, 0, 1, vcc
	v_cmp_ne_u32_e32 vcc, v12, v13
	v_cndmask_b32_e64 v15, 0, 1, vcc
	v_cmp_ne_u32_e32 vcc, v11, v12
	v_cndmask_b32_e64 v13, 0, 1, vcc
	v_cmp_ne_u32_e32 vcc, v10, v11
	v_cndmask_b32_e64 v11, 0, 1, vcc
	v_cmp_ne_u32_e32 vcc, v21, v6
	v_cndmask_b32_e64 v25, 0, 1, vcc
	v_cmp_ne_u32_e32 vcc, v20, v21
	v_cndmask_b32_e64 v23, 0, 1, vcc
	v_cmp_ne_u32_e32 vcc, v19, v20
	v_cndmask_b32_e64 v21, 0, 1, vcc
	v_cmp_ne_u32_e32 vcc, v18, v19
	v_cndmask_b32_e64 v19, 0, 1, vcc
	s_mov_b64 s[18:19], -1
                                        ; implicit-def: $sgpr12_sgpr13
	s_waitcnt lgkmcnt(0)
	ds_write2st64_b32 v50, v22, v24 offset1:4
	ds_write2st64_b32 v50, v26, v27 offset0:8 offset1:12
	ds_write2st64_b32 v50, v28, v29 offset0:16 offset1:20
	;; [unrolled: 1-line block ×6, first 2 shown]
	s_waitcnt lgkmcnt(0)
	s_barrier
	ds_read2_b32 v[42:43], v1 offset1:13
	ds_read2_b32 v[26:27], v1 offset0:7 offset1:8
	ds_read2_b32 v[28:29], v1 offset0:5 offset1:6
	;; [unrolled: 1-line block ×6, first 2 shown]
	s_waitcnt lgkmcnt(6)
	v_mov_b32_e32 v38, v42
	s_waitcnt lgkmcnt(4)
	v_mov_b32_e32 v10, v28
	s_waitcnt lgkmcnt(3)
	v_mov_b32_e32 v6, v30
	s_waitcnt lgkmcnt(2)
	v_mov_b32_e32 v2, v32
	v_mov_b32_e32 v4, v33
	v_mov_b32_e32 v8, v31
	;; [unrolled: 1-line block ×5, first 2 shown]
	s_waitcnt lgkmcnt(0)
	v_mov_b32_e32 v18, v36
	v_mov_b32_e32 v20, v37
	;; [unrolled: 1-line block ×4, first 2 shown]
.LBB2207_90:
	v_pk_mov_b32 v[40:41], s[12:13], s[12:13] op_sel:[0,1]
	s_and_saveexec_b64 s[4:5], s[18:19]
	s_cbranch_execz .LBB2207_92
; %bb.91:
	v_cndmask_b32_e64 v41, 0, 1, s[16:17]
	s_waitcnt lgkmcnt(0)
	v_mov_b32_e32 v40, v43
.LBB2207_92:
	s_or_b64 exec, exec, s[4:5]
	s_mov_b32 s4, 0
	s_cmp_lg_u32 s59, 0
	v_mbcnt_lo_u32_b32 v52, -1, 0
	v_lshrrev_b32_e32 v1, 6, v0
	v_or_b32_e32 v51, 63, v0
	s_waitcnt lgkmcnt(0)
	s_barrier
	s_cbranch_scc0 .LBB2207_125
; %bb.93:
	s_mov_b32 s5, 1
	v_cmp_gt_u64_e64 s[6:7], s[4:5], v[2:3]
	v_cndmask_b32_e64 v27, 0, v38, s[6:7]
	v_add_u32_e32 v27, v27, v2
	v_cmp_gt_u64_e64 s[8:9], s[4:5], v[4:5]
	v_cndmask_b32_e64 v27, 0, v27, s[8:9]
	v_add_u32_e32 v27, v27, v4
	;; [unrolled: 3-line block ×13, first 2 shown]
	v_or3_b32 v27, v41, v25, v23
	v_or3_b32 v27, v27, v21, v19
	;; [unrolled: 1-line block ×6, first 2 shown]
	v_mov_b32_e32 v26, 0
	v_and_b32_e32 v27, 1, v27
	v_cmp_eq_u64_e32 vcc, 0, v[26:27]
	v_cndmask_b32_e32 v26, 1, v39, vcc
	v_mbcnt_hi_u32_b32 v46, -1, v52
	v_mov_b32_dpp v29, v28 row_shr:1 row_mask:0xf bank_mask:0xf
	v_mov_b32_dpp v30, v26 row_shr:1 row_mask:0xf bank_mask:0xf
	v_cmp_eq_u32_e32 vcc, 0, v26
	v_and_b32_e32 v31, 1, v26
	v_and_b32_e32 v27, 15, v46
	v_cndmask_b32_e32 v29, 0, v29, vcc
	v_and_b32_e32 v30, 1, v30
	v_cmp_eq_u32_e32 vcc, 1, v31
	v_cndmask_b32_e64 v30, v30, 1, vcc
	v_cmp_eq_u32_e32 vcc, 0, v27
	v_cndmask_b32_e32 v26, v30, v26, vcc
	v_and_b32_e32 v31, 1, v26
	v_cmp_eq_u32_e64 s[4:5], 1, v31
	v_mov_b32_dpp v30, v26 row_shr:2 row_mask:0xf bank_mask:0xf
	v_and_b32_e32 v30, 1, v30
	v_cndmask_b32_e64 v30, v30, 1, s[4:5]
	v_cmp_lt_u32_e64 s[4:5], 1, v27
	v_cndmask_b32_e64 v29, v29, 0, vcc
	v_cmp_eq_u32_e32 vcc, 0, v26
	v_cndmask_b32_e64 v26, v26, v30, s[4:5]
	v_add_u32_e32 v28, v29, v28
	v_and_b32_e32 v31, 1, v26
	v_mov_b32_dpp v30, v26 row_shr:4 row_mask:0xf bank_mask:0xf
	v_mov_b32_dpp v29, v28 row_shr:2 row_mask:0xf bank_mask:0xf
	s_and_b64 vcc, s[4:5], vcc
	v_and_b32_e32 v30, 1, v30
	v_cmp_eq_u32_e64 s[4:5], 1, v31
	v_cndmask_b32_e32 v29, 0, v29, vcc
	v_cndmask_b32_e64 v30, v30, 1, s[4:5]
	v_cmp_lt_u32_e64 s[4:5], 3, v27
	v_add_u32_e32 v28, v29, v28
	v_cmp_eq_u32_e32 vcc, 0, v26
	v_cndmask_b32_e64 v26, v26, v30, s[4:5]
	v_mov_b32_dpp v29, v28 row_shr:4 row_mask:0xf bank_mask:0xf
	s_and_b64 vcc, s[4:5], vcc
	v_mov_b32_dpp v30, v26 row_shr:8 row_mask:0xf bank_mask:0xf
	v_and_b32_e32 v31, 1, v26
	v_cndmask_b32_e32 v29, 0, v29, vcc
	v_and_b32_e32 v30, 1, v30
	v_cmp_eq_u32_e64 s[4:5], 1, v31
	v_add_u32_e32 v28, v29, v28
	v_cmp_eq_u32_e32 vcc, 0, v26
	v_cndmask_b32_e64 v30, v30, 1, s[4:5]
	v_cmp_lt_u32_e64 s[4:5], 7, v27
	v_mov_b32_dpp v29, v28 row_shr:8 row_mask:0xf bank_mask:0xf
	s_and_b64 vcc, s[4:5], vcc
	v_cndmask_b32_e32 v27, 0, v29, vcc
	v_cndmask_b32_e64 v26, v26, v30, s[4:5]
	v_add_u32_e32 v27, v27, v28
	v_cmp_eq_u32_e32 vcc, 0, v26
	v_mov_b32_dpp v29, v26 row_bcast:15 row_mask:0xf bank_mask:0xf
	v_mov_b32_dpp v28, v27 row_bcast:15 row_mask:0xf bank_mask:0xf
	v_and_b32_e32 v32, 1, v26
	v_and_b32_e32 v31, 16, v46
	v_cndmask_b32_e32 v28, 0, v28, vcc
	v_and_b32_e32 v29, 1, v29
	v_cmp_eq_u32_e32 vcc, 1, v32
	v_bfe_i32 v30, v46, 4, 1
	v_cndmask_b32_e64 v29, v29, 1, vcc
	v_cmp_eq_u32_e32 vcc, 0, v31
	v_and_b32_e32 v28, v30, v28
	v_cndmask_b32_e32 v26, v29, v26, vcc
	v_add_u32_e32 v27, v28, v27
	v_and_b32_e32 v30, 1, v26
	v_mov_b32_dpp v28, v26 row_bcast:31 row_mask:0xf bank_mask:0xf
	v_and_b32_e32 v28, 1, v28
	v_cmp_eq_u32_e64 s[4:5], 1, v30
	v_cmp_eq_u32_e32 vcc, 0, v26
	v_cndmask_b32_e64 v28, v28, 1, s[4:5]
	v_cmp_lt_u32_e64 s[4:5], 31, v46
	v_mov_b32_dpp v29, v27 row_bcast:31 row_mask:0xf bank_mask:0xf
	s_and_b64 vcc, s[4:5], vcc
	v_cndmask_b32_e64 v28, v26, v28, s[4:5]
	v_cndmask_b32_e32 v26, 0, v29, vcc
	v_add_u32_e32 v29, v26, v27
	v_cmp_eq_u32_e32 vcc, v51, v0
	s_and_saveexec_b64 s[4:5], vcc
	s_cbranch_execz .LBB2207_95
; %bb.94:
	v_lshlrev_b32_e32 v26, 3, v1
	ds_write_b32 v26, v29
	ds_write_b8 v26, v28 offset:4
.LBB2207_95:
	s_or_b64 exec, exec, s[4:5]
	v_cmp_gt_u32_e32 vcc, 4, v0
	s_waitcnt lgkmcnt(0)
	s_barrier
	s_and_saveexec_b64 s[4:5], vcc
	s_cbranch_execz .LBB2207_99
; %bb.96:
	v_lshlrev_b32_e32 v30, 3, v0
	ds_read_b64 v[26:27], v30
	v_and_b32_e32 v31, 3, v46
	v_cmp_ne_u32_e32 vcc, 0, v31
	s_waitcnt lgkmcnt(0)
	v_mov_b32_dpp v32, v26 row_shr:1 row_mask:0xf bank_mask:0xf
	v_mov_b32_dpp v34, v27 row_shr:1 row_mask:0xf bank_mask:0xf
	v_mov_b32_e32 v33, v27
	s_and_saveexec_b64 s[34:35], vcc
	s_cbranch_execz .LBB2207_98
; %bb.97:
	v_and_b32_e32 v33, 1, v27
	v_and_b32_e32 v34, 1, v34
	v_cmp_eq_u32_e32 vcc, 1, v33
	v_mov_b32_e32 v33, 0
	v_cndmask_b32_e64 v34, v34, 1, vcc
	v_cmp_eq_u16_sdwa vcc, v27, v33 src0_sel:BYTE_0 src1_sel:DWORD
	v_cndmask_b32_e32 v32, 0, v32, vcc
	v_add_u32_e32 v26, v32, v26
	v_and_b32_e32 v32, 0xffff, v34
	s_movk_i32 s42, 0xff00
	v_and_or_b32 v33, v27, s42, v32
	v_mov_b32_e32 v27, v34
.LBB2207_98:
	s_or_b64 exec, exec, s[34:35]
	v_mov_b32_dpp v33, v33 row_shr:2 row_mask:0xf bank_mask:0xf
	v_and_b32_e32 v34, 1, v27
	v_and_b32_e32 v33, 1, v33
	v_cmp_eq_u32_e32 vcc, 1, v34
	v_mov_b32_e32 v34, 0
	v_cndmask_b32_e64 v33, v33, 1, vcc
	v_cmp_eq_u16_sdwa s[34:35], v27, v34 src0_sel:BYTE_0 src1_sel:DWORD
	v_cmp_lt_u32_e32 vcc, 1, v31
	v_mov_b32_dpp v32, v26 row_shr:2 row_mask:0xf bank_mask:0xf
	v_cndmask_b32_e32 v27, v27, v33, vcc
	s_and_b64 vcc, vcc, s[34:35]
	v_cndmask_b32_e32 v31, 0, v32, vcc
	v_add_u32_e32 v26, v31, v26
	ds_write_b32 v30, v26
	ds_write_b8 v30, v27 offset:4
.LBB2207_99:
	s_or_b64 exec, exec, s[4:5]
	v_cmp_gt_u32_e32 vcc, 64, v0
	v_cmp_lt_u32_e64 s[4:5], 63, v0
	v_mov_b32_e32 v42, 0
	v_mov_b32_e32 v43, 0
	s_waitcnt lgkmcnt(0)
	s_barrier
	s_and_saveexec_b64 s[34:35], s[4:5]
	s_cbranch_execz .LBB2207_101
; %bb.100:
	v_lshl_add_u32 v26, v1, 3, -8
	ds_read_b32 v42, v26
	ds_read_u8 v43, v26 offset:4
	v_and_b32_e32 v27, 1, v28
	v_cmp_eq_u32_e64 s[4:5], 0, v28
	s_waitcnt lgkmcnt(1)
	v_cndmask_b32_e64 v26, 0, v42, s[4:5]
	v_cmp_eq_u32_e64 s[4:5], 1, v27
	v_add_u32_e32 v29, v26, v29
	s_waitcnt lgkmcnt(0)
	v_cndmask_b32_e64 v28, v43, 1, s[4:5]
.LBB2207_101:
	s_or_b64 exec, exec, s[34:35]
	v_add_u32_e32 v26, -1, v46
	v_and_b32_e32 v27, 64, v46
	v_cmp_lt_i32_e64 s[4:5], v26, v27
	v_cndmask_b32_e64 v26, v26, v46, s[4:5]
	v_lshlrev_b32_e32 v26, 2, v26
	ds_bpermute_b32 v44, v26, v29
	ds_bpermute_b32 v45, v26, v28
	v_cmp_eq_u32_e64 s[34:35], 0, v46
	s_and_saveexec_b64 s[42:43], vcc
	s_cbranch_execz .LBB2207_124
; %bb.102:
	v_mov_b32_e32 v29, 0
	ds_read_b64 v[26:27], v29 offset:24
	s_waitcnt lgkmcnt(0)
	v_readfirstlane_b32 s52, v27
	s_and_saveexec_b64 s[4:5], s[34:35]
	s_cbranch_execz .LBB2207_104
; %bb.103:
	s_add_i32 s44, s59, 64
	s_mov_b32 s45, 0
	s_lshl_b64 s[48:49], s[44:45], 4
	s_add_u32 s48, s56, s48
	s_addc_u32 s49, s57, s49
	s_and_b32 s55, s52, 0xff000000
	s_mov_b32 s54, s45
	s_and_b32 s63, s52, 0xff0000
	s_mov_b32 s62, s45
	s_or_b64 s[54:55], s[62:63], s[54:55]
	s_and_b32 s63, s52, 0xff00
	s_or_b64 s[54:55], s[54:55], s[62:63]
	s_and_b32 s63, s52, 0xff
	s_or_b64 s[44:45], s[54:55], s[62:63]
	v_mov_b32_e32 v27, s45
	v_mov_b32_e32 v28, 1
	v_pk_mov_b32 v[30:31], s[48:49], s[48:49] op_sel:[0,1]
	;;#ASMSTART
	global_store_dwordx4 v[30:31], v[26:29] off	
s_waitcnt vmcnt(0)
	;;#ASMEND
.LBB2207_104:
	s_or_b64 exec, exec, s[4:5]
	v_xad_u32 v34, v46, -1, s59
	v_add_u32_e32 v28, 64, v34
	v_lshlrev_b64 v[30:31], 4, v[28:29]
	v_mov_b32_e32 v27, s57
	v_add_co_u32_e32 v36, vcc, s56, v30
	v_addc_co_u32_e32 v37, vcc, v27, v31, vcc
	;;#ASMSTART
	global_load_dwordx4 v[30:33], v[36:37] off glc	
s_waitcnt vmcnt(0)
	;;#ASMEND
	v_and_b32_e32 v27, 0xff0000, v30
	v_or_b32_sdwa v27, v30, v27 dst_sel:DWORD dst_unused:UNUSED_PAD src0_sel:WORD_0 src1_sel:DWORD
	v_and_b32_e32 v28, 0xff000000, v30
	v_and_b32_e32 v30, 0xff, v31
	v_or3_b32 v31, 0, 0, v30
	v_or3_b32 v30, v27, v28, 0
	v_cmp_eq_u16_sdwa s[44:45], v32, v29 src0_sel:BYTE_0 src1_sel:DWORD
	s_and_saveexec_b64 s[4:5], s[44:45]
	s_cbranch_execz .LBB2207_110
; %bb.105:
	s_mov_b32 s48, 1
	s_mov_b64 s[44:45], 0
	v_mov_b32_e32 v27, 0
.LBB2207_106:                           ; =>This Loop Header: Depth=1
                                        ;     Child Loop BB2207_107 Depth 2
	s_max_u32 s49, s48, 1
.LBB2207_107:                           ;   Parent Loop BB2207_106 Depth=1
                                        ; =>  This Inner Loop Header: Depth=2
	s_add_i32 s49, s49, -1
	s_cmp_eq_u32 s49, 0
	s_sleep 1
	s_cbranch_scc0 .LBB2207_107
; %bb.108:                              ;   in Loop: Header=BB2207_106 Depth=1
	s_cmp_lt_u32 s48, 32
	s_cselect_b64 s[54:55], -1, 0
	s_cmp_lg_u64 s[54:55], 0
	s_addc_u32 s48, s48, 0
	;;#ASMSTART
	global_load_dwordx4 v[30:33], v[36:37] off glc	
s_waitcnt vmcnt(0)
	;;#ASMEND
	v_cmp_ne_u16_sdwa s[54:55], v32, v27 src0_sel:BYTE_0 src1_sel:DWORD
	s_or_b64 s[44:45], s[54:55], s[44:45]
	s_andn2_b64 exec, exec, s[44:45]
	s_cbranch_execnz .LBB2207_106
; %bb.109:
	s_or_b64 exec, exec, s[44:45]
	v_and_b32_e32 v31, 0xff, v31
.LBB2207_110:
	s_or_b64 exec, exec, s[4:5]
	v_mov_b32_e32 v27, 2
	v_cmp_eq_u16_sdwa s[4:5], v32, v27 src0_sel:BYTE_0 src1_sel:DWORD
	v_lshlrev_b64 v[28:29], v46, -1
	v_and_b32_e32 v33, s5, v29
	v_or_b32_e32 v33, 0x80000000, v33
	v_and_b32_e32 v35, s4, v28
	v_ffbl_b32_e32 v33, v33
	v_and_b32_e32 v47, 63, v46
	v_add_u32_e32 v33, 32, v33
	v_ffbl_b32_e32 v35, v35
	v_cmp_ne_u32_e32 vcc, 63, v47
	v_min_u32_e32 v33, v35, v33
	v_addc_co_u32_e32 v35, vcc, 0, v46, vcc
	v_lshlrev_b32_e32 v48, 2, v35
	ds_bpermute_b32 v35, v48, v31
	ds_bpermute_b32 v36, v48, v30
	s_mov_b32 s44, 0
	v_and_b32_e32 v37, 1, v31
	s_mov_b32 s45, 1
	s_waitcnt lgkmcnt(1)
	v_and_b32_e32 v35, 1, v35
	v_cmp_eq_u32_e32 vcc, 1, v37
	v_cndmask_b32_e64 v35, v35, 1, vcc
	v_cmp_gt_u64_e32 vcc, s[44:45], v[30:31]
	v_cmp_lt_u32_e64 s[4:5], v47, v33
	s_and_b64 vcc, s[4:5], vcc
	v_and_b32_e32 v37, 0xffff, v35
	v_cndmask_b32_e64 v54, v31, v35, s[4:5]
	s_waitcnt lgkmcnt(0)
	v_cndmask_b32_e32 v35, 0, v36, vcc
	v_cmp_gt_u32_e32 vcc, 62, v47
	v_cndmask_b32_e64 v36, 0, 1, vcc
	v_lshlrev_b32_e32 v36, 1, v36
	v_cndmask_b32_e64 v31, v31, v37, s[4:5]
	v_add_lshl_u32 v49, v36, v46, 2
	ds_bpermute_b32 v36, v49, v31
	v_add_u32_e32 v30, v35, v30
	ds_bpermute_b32 v37, v49, v30
	v_and_b32_e32 v35, 1, v54
	v_cmp_eq_u32_e32 vcc, 1, v35
	s_waitcnt lgkmcnt(1)
	v_and_b32_e32 v36, 1, v36
	v_mov_b32_e32 v35, 0
	v_add_u32_e32 v53, 2, v47
	v_cndmask_b32_e64 v36, v36, 1, vcc
	v_cmp_eq_u16_sdwa vcc, v54, v35 src0_sel:BYTE_0 src1_sel:DWORD
	v_and_b32_e32 v55, 0xffff, v36
	s_waitcnt lgkmcnt(0)
	v_cndmask_b32_e32 v37, 0, v37, vcc
	v_cmp_gt_u32_e32 vcc, v53, v33
	v_cndmask_b32_e32 v36, v36, v54, vcc
	v_cndmask_b32_e64 v37, v37, 0, vcc
	v_cndmask_b32_e32 v31, v55, v31, vcc
	v_cmp_gt_u32_e32 vcc, 60, v47
	v_cndmask_b32_e64 v54, 0, 1, vcc
	v_lshlrev_b32_e32 v54, 2, v54
	v_add_lshl_u32 v54, v54, v46, 2
	ds_bpermute_b32 v56, v54, v31
	v_add_u32_e32 v30, v37, v30
	ds_bpermute_b32 v37, v54, v30
	v_and_b32_e32 v57, 1, v36
	v_cmp_eq_u32_e32 vcc, 1, v57
	s_waitcnt lgkmcnt(1)
	v_and_b32_e32 v56, 1, v56
	v_add_u32_e32 v55, 4, v47
	v_cndmask_b32_e64 v56, v56, 1, vcc
	v_cmp_eq_u16_sdwa vcc, v36, v35 src0_sel:BYTE_0 src1_sel:DWORD
	v_and_b32_e32 v57, 0xffff, v56
	s_waitcnt lgkmcnt(0)
	v_cndmask_b32_e32 v37, 0, v37, vcc
	v_cmp_gt_u32_e32 vcc, v55, v33
	v_cndmask_b32_e32 v36, v56, v36, vcc
	v_cndmask_b32_e64 v37, v37, 0, vcc
	v_cndmask_b32_e32 v31, v57, v31, vcc
	v_cmp_gt_u32_e32 vcc, 56, v47
	v_cndmask_b32_e64 v56, 0, 1, vcc
	v_lshlrev_b32_e32 v56, 3, v56
	v_add_lshl_u32 v56, v56, v46, 2
	ds_bpermute_b32 v58, v56, v31
	v_add_u32_e32 v30, v37, v30
	ds_bpermute_b32 v37, v56, v30
	v_and_b32_e32 v59, 1, v36
	v_cmp_eq_u32_e32 vcc, 1, v59
	s_waitcnt lgkmcnt(1)
	v_and_b32_e32 v58, 1, v58
	;; [unrolled: 21-line block ×4, first 2 shown]
	v_add_u32_e32 v62, 32, v47
	v_cndmask_b32_e64 v31, v31, 1, vcc
	v_cmp_eq_u16_sdwa vcc, v36, v35 src0_sel:BYTE_0 src1_sel:DWORD
	s_waitcnt lgkmcnt(0)
	v_cndmask_b32_e32 v37, 0, v37, vcc
	v_cmp_gt_u32_e32 vcc, v62, v33
	v_cndmask_b32_e64 v33, v37, 0, vcc
	v_cndmask_b32_e32 v31, v31, v36, vcc
	v_add_u32_e32 v30, v33, v30
	s_branch .LBB2207_112
.LBB2207_111:                           ;   in Loop: Header=BB2207_112 Depth=1
	s_or_b64 exec, exec, s[4:5]
	v_cmp_eq_u16_sdwa s[4:5], v32, v27 src0_sel:BYTE_0 src1_sel:DWORD
	v_and_b32_e32 v33, s5, v29
	ds_bpermute_b32 v37, v48, v31
	v_or_b32_e32 v33, 0x80000000, v33
	v_and_b32_e32 v36, s4, v28
	v_ffbl_b32_e32 v33, v33
	v_add_u32_e32 v33, 32, v33
	v_ffbl_b32_e32 v36, v36
	v_min_u32_e32 v33, v36, v33
	ds_bpermute_b32 v36, v48, v30
	v_and_b32_e32 v63, 1, v31
	s_waitcnt lgkmcnt(1)
	v_and_b32_e32 v37, 1, v37
	v_cmp_eq_u32_e32 vcc, 1, v63
	v_cndmask_b32_e64 v37, v37, 1, vcc
	v_cmp_gt_u64_e32 vcc, s[44:45], v[30:31]
	v_and_b32_e32 v63, 0xffff, v37
	v_cmp_lt_u32_e64 s[4:5], v47, v33
	v_cndmask_b32_e64 v37, v31, v37, s[4:5]
	v_cndmask_b32_e64 v31, v31, v63, s[4:5]
	s_and_b64 vcc, s[4:5], vcc
	ds_bpermute_b32 v63, v49, v31
	s_waitcnt lgkmcnt(1)
	v_cndmask_b32_e32 v36, 0, v36, vcc
	v_add_u32_e32 v30, v36, v30
	ds_bpermute_b32 v36, v49, v30
	v_and_b32_e32 v64, 1, v37
	s_waitcnt lgkmcnt(1)
	v_and_b32_e32 v63, 1, v63
	v_cmp_eq_u32_e32 vcc, 1, v64
	v_cndmask_b32_e64 v63, v63, 1, vcc
	v_cmp_eq_u16_sdwa vcc, v37, v35 src0_sel:BYTE_0 src1_sel:DWORD
	v_and_b32_e32 v64, 0xffff, v63
	s_waitcnt lgkmcnt(0)
	v_cndmask_b32_e32 v36, 0, v36, vcc
	v_cmp_gt_u32_e32 vcc, v53, v33
	v_cndmask_b32_e32 v31, v64, v31, vcc
	v_cndmask_b32_e32 v37, v63, v37, vcc
	ds_bpermute_b32 v63, v54, v31
	v_cndmask_b32_e64 v36, v36, 0, vcc
	v_add_u32_e32 v30, v36, v30
	ds_bpermute_b32 v36, v54, v30
	v_and_b32_e32 v64, 1, v37
	s_waitcnt lgkmcnt(1)
	v_and_b32_e32 v63, 1, v63
	v_cmp_eq_u32_e32 vcc, 1, v64
	v_cndmask_b32_e64 v63, v63, 1, vcc
	v_cmp_eq_u16_sdwa vcc, v37, v35 src0_sel:BYTE_0 src1_sel:DWORD
	v_and_b32_e32 v64, 0xffff, v63
	s_waitcnt lgkmcnt(0)
	v_cndmask_b32_e32 v36, 0, v36, vcc
	v_cmp_gt_u32_e32 vcc, v55, v33
	v_cndmask_b32_e32 v31, v64, v31, vcc
	v_cndmask_b32_e32 v37, v63, v37, vcc
	ds_bpermute_b32 v63, v56, v31
	v_cndmask_b32_e64 v36, v36, 0, vcc
	;; [unrolled: 16-line block ×3, first 2 shown]
	v_add_u32_e32 v30, v36, v30
	ds_bpermute_b32 v36, v58, v30
	v_and_b32_e32 v64, 1, v37
	s_waitcnt lgkmcnt(1)
	v_and_b32_e32 v63, 1, v63
	v_cmp_eq_u32_e32 vcc, 1, v64
	v_cndmask_b32_e64 v63, v63, 1, vcc
	v_cmp_eq_u16_sdwa vcc, v37, v35 src0_sel:BYTE_0 src1_sel:DWORD
	v_and_b32_e32 v64, 0xffff, v63
	s_waitcnt lgkmcnt(0)
	v_cndmask_b32_e32 v36, 0, v36, vcc
	v_cmp_gt_u32_e32 vcc, v59, v33
	v_cndmask_b32_e64 v36, v36, 0, vcc
	v_cndmask_b32_e32 v31, v64, v31, vcc
	ds_bpermute_b32 v31, v61, v31
	v_add_u32_e32 v30, v36, v30
	ds_bpermute_b32 v36, v61, v30
	v_cndmask_b32_e32 v37, v63, v37, vcc
	v_and_b32_e32 v63, 1, v37
	v_cmp_eq_u32_e32 vcc, 1, v63
	s_waitcnt lgkmcnt(1)
	v_cndmask_b32_e64 v31, v31, 1, vcc
	v_cmp_eq_u16_sdwa vcc, v37, v35 src0_sel:BYTE_0 src1_sel:DWORD
	s_waitcnt lgkmcnt(0)
	v_cndmask_b32_e32 v36, 0, v36, vcc
	v_cmp_gt_u32_e32 vcc, v62, v33
	v_cndmask_b32_e64 v33, v36, 0, vcc
	v_cndmask_b32_e32 v31, v31, v37, vcc
	v_add_u32_e32 v30, v33, v30
	v_cmp_eq_u16_sdwa vcc, v46, v35 src0_sel:BYTE_0 src1_sel:DWORD
	v_and_b32_e32 v33, 1, v46
	v_cndmask_b32_e32 v30, 0, v30, vcc
	v_and_b32_e32 v31, 1, v31
	v_cmp_eq_u32_e32 vcc, 1, v33
	v_subrev_u32_e32 v34, 64, v34
	v_add_u32_e32 v30, v30, v60
	v_cndmask_b32_e64 v31, v31, 1, vcc
.LBB2207_112:                           ; =>This Loop Header: Depth=1
                                        ;     Child Loop BB2207_115 Depth 2
                                        ;       Child Loop BB2207_116 Depth 3
	v_cmp_ne_u16_sdwa s[4:5], v32, v27 src0_sel:BYTE_0 src1_sel:DWORD
	v_mov_b32_e32 v46, v31
	v_cndmask_b32_e64 v31, 0, 1, s[4:5]
	;;#ASMSTART
	;;#ASMEND
	v_cmp_ne_u32_e32 vcc, 0, v31
	s_cmp_lg_u64 vcc, exec
	v_mov_b32_e32 v60, v30
	s_cbranch_scc1 .LBB2207_119
; %bb.113:                              ;   in Loop: Header=BB2207_112 Depth=1
	v_lshlrev_b64 v[30:31], 4, v[34:35]
	v_mov_b32_e32 v32, s57
	v_add_co_u32_e32 v36, vcc, s56, v30
	v_addc_co_u32_e32 v37, vcc, v32, v31, vcc
	;;#ASMSTART
	global_load_dwordx4 v[30:33], v[36:37] off glc	
s_waitcnt vmcnt(0)
	;;#ASMEND
	v_and_b32_e32 v33, 0xff0000, v30
	v_or_b32_sdwa v33, v30, v33 dst_sel:DWORD dst_unused:UNUSED_PAD src0_sel:WORD_0 src1_sel:DWORD
	v_and_b32_e32 v30, 0xff000000, v30
	v_and_b32_e32 v31, 0xff, v31
	v_or3_b32 v31, 0, 0, v31
	v_or3_b32 v30, v33, v30, 0
	v_cmp_eq_u16_sdwa s[48:49], v32, v35 src0_sel:BYTE_0 src1_sel:DWORD
	s_and_saveexec_b64 s[4:5], s[48:49]
	s_cbranch_execz .LBB2207_111
; %bb.114:                              ;   in Loop: Header=BB2207_112 Depth=1
	s_mov_b32 s53, 1
	s_mov_b64 s[48:49], 0
.LBB2207_115:                           ;   Parent Loop BB2207_112 Depth=1
                                        ; =>  This Loop Header: Depth=2
                                        ;       Child Loop BB2207_116 Depth 3
	s_max_u32 s54, s53, 1
.LBB2207_116:                           ;   Parent Loop BB2207_112 Depth=1
                                        ;     Parent Loop BB2207_115 Depth=2
                                        ; =>    This Inner Loop Header: Depth=3
	s_add_i32 s54, s54, -1
	s_cmp_eq_u32 s54, 0
	s_sleep 1
	s_cbranch_scc0 .LBB2207_116
; %bb.117:                              ;   in Loop: Header=BB2207_115 Depth=2
	s_cmp_lt_u32 s53, 32
	s_cselect_b64 s[54:55], -1, 0
	s_cmp_lg_u64 s[54:55], 0
	s_addc_u32 s53, s53, 0
	;;#ASMSTART
	global_load_dwordx4 v[30:33], v[36:37] off glc	
s_waitcnt vmcnt(0)
	;;#ASMEND
	v_cmp_ne_u16_sdwa s[54:55], v32, v35 src0_sel:BYTE_0 src1_sel:DWORD
	s_or_b64 s[48:49], s[54:55], s[48:49]
	s_andn2_b64 exec, exec, s[48:49]
	s_cbranch_execnz .LBB2207_115
; %bb.118:                              ;   in Loop: Header=BB2207_112 Depth=1
	s_or_b64 exec, exec, s[48:49]
	v_and_b32_e32 v31, 0xff, v31
	s_branch .LBB2207_111
.LBB2207_119:                           ;   in Loop: Header=BB2207_112 Depth=1
                                        ; implicit-def: $vgpr31
                                        ; implicit-def: $vgpr30
                                        ; implicit-def: $vgpr32
	s_cbranch_execz .LBB2207_112
; %bb.120:
	s_and_saveexec_b64 s[4:5], s[34:35]
	s_cbranch_execz .LBB2207_122
; %bb.121:
	s_and_b32 s44, s52, 0xff
	s_cmp_eq_u32 s44, 0
	s_cselect_b64 vcc, -1, 0
	s_bitcmp1_b32 s52, 0
	s_mov_b32 s45, 0
	s_cselect_b64 s[48:49], -1, 0
	s_add_i32 s44, s59, 64
	s_lshl_b64 s[44:45], s[44:45], 4
	v_cndmask_b32_e32 v27, 0, v60, vcc
	s_add_u32 s44, s56, s44
	v_add_u32_e32 v26, v27, v26
	v_and_b32_e32 v27, 1, v46
	s_addc_u32 s45, s57, s45
	v_mov_b32_e32 v29, 0
	v_cndmask_b32_e64 v27, v27, 1, s[48:49]
	v_mov_b32_e32 v28, 2
	v_pk_mov_b32 v[30:31], s[44:45], s[44:45] op_sel:[0,1]
	;;#ASMSTART
	global_store_dwordx4 v[30:31], v[26:29] off	
s_waitcnt vmcnt(0)
	;;#ASMEND
.LBB2207_122:
	s_or_b64 exec, exec, s[4:5]
	s_and_b64 exec, exec, s[0:1]
	s_cbranch_execz .LBB2207_124
; %bb.123:
	v_mov_b32_e32 v26, 0
	ds_write_b32 v26, v60 offset:24
	ds_write_b8 v26, v46 offset:28
.LBB2207_124:
	s_or_b64 exec, exec, s[42:43]
	s_mov_b32 s4, 0
	v_mov_b32_e32 v28, 0
	s_mov_b32 s5, 1
	s_waitcnt lgkmcnt(0)
	v_cndmask_b32_e64 v26, v45, v43, s[34:35]
	v_cndmask_b32_e64 v27, v44, v42, s[34:35]
	s_barrier
	ds_read_b32 v29, v28 offset:24
	v_cmp_gt_u64_e32 vcc, s[4:5], v[38:39]
	v_and_b32_e32 v30, 1, v39
	v_cndmask_b32_e32 v27, 0, v27, vcc
	v_and_b32_e32 v26, 1, v26
	v_cmp_eq_u32_e32 vcc, 1, v30
	v_cndmask_b32_e64 v26, v26, 1, vcc
	v_cndmask_b32_e64 v26, v26, v39, s[0:1]
	v_cmp_eq_u16_sdwa vcc, v26, v28 src0_sel:BYTE_0 src1_sel:DWORD
	v_cndmask_b32_e64 v27, v27, 0, s[0:1]
	s_waitcnt lgkmcnt(0)
	v_cndmask_b32_e32 v26, 0, v29, vcc
	v_add3_u32 v26, v27, v38, v26
	v_cndmask_b32_e64 v27, 0, v26, s[6:7]
	v_add_u32_e32 v27, v27, v2
	v_cndmask_b32_e64 v28, 0, v27, s[8:9]
	v_add_u32_e32 v42, v28, v4
	;; [unrolled: 2-line block ×13, first 2 shown]
	s_branch .LBB2207_141
.LBB2207_125:
                                        ; implicit-def: $vgpr49
                                        ; implicit-def: $vgpr47
                                        ; implicit-def: $vgpr45
                                        ; implicit-def: $vgpr43
                                        ; implicit-def: $vgpr34_vgpr35_vgpr36_vgpr37
                                        ; implicit-def: $vgpr30_vgpr31_vgpr32_vgpr33
                                        ; implicit-def: $vgpr26_vgpr27_vgpr28_vgpr29
	s_cbranch_execz .LBB2207_141
; %bb.126:
	s_cmp_lg_u64 s[60:61], 0
	s_cselect_b32 s9, s51, 0
	s_cselect_b32 s8, s50, 0
	s_cmp_lg_u64 s[8:9], 0
	s_cselect_b64 s[6:7], -1, 0
	s_mov_b32 s4, 0
	s_and_b64 s[10:11], s[0:1], s[6:7]
	s_and_saveexec_b64 s[6:7], s[10:11]
	s_cbranch_execz .LBB2207_128
; %bb.127:
	v_mov_b32_e32 v26, 0
	global_load_dword v28, v26, s[8:9]
	global_load_ubyte v29, v26, s[8:9] offset:4
	s_mov_b32 s5, 1
	v_and_b32_e32 v27, 1, v39
	v_cmp_gt_u64_e32 vcc, s[4:5], v[38:39]
	s_waitcnt vmcnt(1)
	v_cndmask_b32_e32 v28, 0, v28, vcc
	s_waitcnt vmcnt(0)
	v_and_b32_e32 v29, 1, v29
	v_cmp_eq_u64_e32 vcc, 0, v[26:27]
	v_add_u32_e32 v38, v28, v38
	v_cndmask_b32_e32 v39, 1, v29, vcc
.LBB2207_128:
	s_or_b64 exec, exec, s[6:7]
	s_mov_b32 s5, 1
	v_cmp_gt_u64_e32 vcc, s[4:5], v[2:3]
	v_cndmask_b32_e32 v26, 0, v38, vcc
	v_add_u32_e32 v27, v26, v2
	v_cmp_gt_u64_e64 s[6:7], s[4:5], v[4:5]
	v_cndmask_b32_e64 v26, 0, v27, s[6:7]
	v_add_u32_e32 v42, v26, v4
	v_cmp_gt_u64_e64 s[8:9], s[4:5], v[6:7]
	v_cndmask_b32_e64 v26, 0, v42, s[8:9]
	;; [unrolled: 3-line block ×6, first 2 shown]
	v_add_u32_e32 v45, v26, v14
	v_cmp_gt_u64_e64 s[18:19], s[4:5], v[16:17]
	v_mov_b32_e32 v28, 0
	v_cndmask_b32_e64 v26, 0, v45, s[18:19]
	v_or3_b32 v7, v23, v15, v7
	v_add_u32_e32 v34, v26, v16
	v_cmp_gt_u64_e64 s[20:21], s[4:5], v[18:19]
	v_or3_b32 v9, v25, v17, v9
	v_and_b32_e32 v55, 1, v7
	v_mov_b32_e32 v54, v28
	v_cndmask_b32_e64 v26, 0, v34, s[20:21]
	v_or3_b32 v3, v19, v11, v3
	v_and_b32_e32 v37, 1, v9
	v_mov_b32_e32 v36, v28
	v_cmp_ne_u64_e64 s[30:31], 0, v[54:55]
	v_add_u32_e32 v35, v26, v18
	v_cmp_gt_u64_e64 s[22:23], s[4:5], v[20:21]
	v_or3_b32 v5, v21, v13, v5
	v_and_b32_e32 v29, 1, v3
	v_cndmask_b32_e64 v3, 0, 1, s[30:31]
	v_cmp_ne_u64_e64 s[30:31], 0, v[36:37]
	v_cndmask_b32_e64 v26, 0, v35, s[22:23]
	v_and_b32_e32 v33, 1, v5
	v_mov_b32_e32 v32, v28
	v_cndmask_b32_e64 v5, 0, 1, s[30:31]
	v_add_u32_e32 v46, v26, v20
	v_cmp_gt_u64_e64 s[24:25], s[4:5], v[22:23]
	v_lshlrev_b16_e32 v3, 2, v3
	v_lshlrev_b16_e32 v5, 3, v5
	v_cmp_ne_u64_e64 s[30:31], 0, v[32:33]
	v_cndmask_b32_e64 v26, 0, v46, s[24:25]
	v_or_b32_e32 v3, v5, v3
	v_cndmask_b32_e64 v5, 0, 1, s[30:31]
	v_cmp_ne_u64_e64 s[30:31], 0, v[28:29]
	v_add_u32_e32 v47, v26, v22
	v_cmp_gt_u64_e64 s[26:27], s[4:5], v[24:25]
	v_lshlrev_b16_e32 v5, 1, v5
	v_cndmask_b32_e64 v7, 0, 1, s[30:31]
	v_cndmask_b32_e64 v26, 0, v47, s[26:27]
	v_or_b32_e32 v5, v7, v5
	v_add_u32_e32 v48, v26, v24
	v_cmp_gt_u64_e64 s[28:29], s[4:5], v[40:41]
	v_and_b32_e32 v5, 3, v5
	v_cndmask_b32_e64 v26, 0, v48, s[28:29]
	v_or_b32_e32 v3, v5, v3
	v_add_u32_e32 v49, v26, v40
	v_and_b32_e32 v26, 1, v41
	v_and_b32_e32 v3, 15, v3
	v_cmp_eq_u32_e64 s[4:5], 1, v26
	v_cmp_ne_u16_e64 s[30:31], 0, v3
	s_or_b64 s[4:5], s[4:5], s[30:31]
	v_cndmask_b32_e64 v5, v39, 1, s[4:5]
	v_mbcnt_hi_u32_b32 v3, -1, v52
	v_mov_b32_dpp v9, v49 row_shr:1 row_mask:0xf bank_mask:0xf
	v_mov_b32_dpp v11, v5 row_shr:1 row_mask:0xf bank_mask:0xf
	v_cmp_eq_u32_e64 s[4:5], 0, v5
	v_and_b32_e32 v13, 1, v5
	v_and_b32_e32 v7, 15, v3
	v_cndmask_b32_e64 v9, 0, v9, s[4:5]
	v_and_b32_e32 v11, 1, v11
	v_cmp_eq_u32_e64 s[4:5], 1, v13
	v_cndmask_b32_e64 v11, v11, 1, s[4:5]
	v_cmp_eq_u32_e64 s[4:5], 0, v7
	v_cndmask_b32_e64 v5, v11, v5, s[4:5]
	v_and_b32_e32 v15, 1, v5
	v_cmp_eq_u32_e64 s[30:31], 1, v15
	v_mov_b32_dpp v13, v5 row_shr:2 row_mask:0xf bank_mask:0xf
	v_and_b32_e32 v13, 1, v13
	v_cndmask_b32_e64 v13, v13, 1, s[30:31]
	v_cmp_lt_u32_e64 s[30:31], 1, v7
	v_cndmask_b32_e64 v9, v9, 0, s[4:5]
	v_cmp_eq_u32_e64 s[4:5], 0, v5
	v_cndmask_b32_e64 v5, v5, v13, s[30:31]
	v_add_u32_e32 v9, v49, v9
	v_and_b32_e32 v15, 1, v5
	v_mov_b32_dpp v13, v5 row_shr:4 row_mask:0xf bank_mask:0xf
	v_mov_b32_dpp v11, v9 row_shr:2 row_mask:0xf bank_mask:0xf
	s_and_b64 s[4:5], s[30:31], s[4:5]
	v_and_b32_e32 v13, 1, v13
	v_cmp_eq_u32_e64 s[30:31], 1, v15
	v_cndmask_b32_e64 v11, 0, v11, s[4:5]
	v_cndmask_b32_e64 v13, v13, 1, s[30:31]
	v_cmp_lt_u32_e64 s[30:31], 3, v7
	v_add_u32_e32 v9, v9, v11
	v_cmp_eq_u32_e64 s[4:5], 0, v5
	v_cndmask_b32_e64 v5, v5, v13, s[30:31]
	v_mov_b32_dpp v11, v9 row_shr:4 row_mask:0xf bank_mask:0xf
	s_and_b64 s[4:5], s[30:31], s[4:5]
	v_mov_b32_dpp v13, v5 row_shr:8 row_mask:0xf bank_mask:0xf
	v_and_b32_e32 v15, 1, v5
	v_cndmask_b32_e64 v11, 0, v11, s[4:5]
	v_and_b32_e32 v13, 1, v13
	v_cmp_eq_u32_e64 s[30:31], 1, v15
	v_add_u32_e32 v9, v9, v11
	v_cmp_eq_u32_e64 s[4:5], 0, v5
	v_cndmask_b32_e64 v13, v13, 1, s[30:31]
	v_cmp_lt_u32_e64 s[30:31], 7, v7
	v_mov_b32_dpp v11, v9 row_shr:8 row_mask:0xf bank_mask:0xf
	s_and_b64 s[4:5], s[30:31], s[4:5]
	v_cndmask_b32_e64 v7, 0, v11, s[4:5]
	v_cndmask_b32_e64 v5, v5, v13, s[30:31]
	v_add_u32_e32 v7, v9, v7
	v_cmp_eq_u32_e64 s[4:5], 0, v5
	v_mov_b32_dpp v11, v5 row_bcast:15 row_mask:0xf bank_mask:0xf
	v_mov_b32_dpp v9, v7 row_bcast:15 row_mask:0xf bank_mask:0xf
	v_and_b32_e32 v17, 1, v5
	v_and_b32_e32 v15, 16, v3
	v_cndmask_b32_e64 v9, 0, v9, s[4:5]
	v_and_b32_e32 v11, 1, v11
	v_cmp_eq_u32_e64 s[4:5], 1, v17
	v_bfe_i32 v13, v3, 4, 1
	v_cndmask_b32_e64 v11, v11, 1, s[4:5]
	v_cmp_eq_u32_e64 s[4:5], 0, v15
	v_and_b32_e32 v9, v13, v9
	v_cndmask_b32_e64 v5, v11, v5, s[4:5]
	v_add_u32_e32 v9, v7, v9
	v_and_b32_e32 v13, 1, v5
	v_mov_b32_dpp v7, v5 row_bcast:31 row_mask:0xf bank_mask:0xf
	v_and_b32_e32 v7, 1, v7
	v_cmp_eq_u32_e64 s[30:31], 1, v13
	v_cmp_eq_u32_e64 s[4:5], 0, v5
	v_cndmask_b32_e64 v7, v7, 1, s[30:31]
	v_cmp_lt_u32_e64 s[30:31], 31, v3
	v_mov_b32_dpp v11, v9 row_bcast:31 row_mask:0xf bank_mask:0xf
	s_and_b64 s[4:5], s[30:31], s[4:5]
	v_cndmask_b32_e64 v7, v5, v7, s[30:31]
	v_cndmask_b32_e64 v5, 0, v11, s[4:5]
	v_add_u32_e32 v5, v9, v5
	v_cmp_eq_u32_e64 s[4:5], v51, v0
	s_and_saveexec_b64 s[30:31], s[4:5]
	s_cbranch_execz .LBB2207_130
; %bb.129:
	v_lshlrev_b32_e32 v9, 3, v1
	ds_write_b32 v9, v5
	ds_write_b8 v9, v7 offset:4
.LBB2207_130:
	s_or_b64 exec, exec, s[30:31]
	v_cmp_gt_u32_e64 s[4:5], 4, v0
	s_waitcnt lgkmcnt(0)
	s_barrier
	s_and_saveexec_b64 s[30:31], s[4:5]
	s_cbranch_execz .LBB2207_134
; %bb.131:
	v_lshlrev_b32_e32 v9, 3, v0
	ds_read_b64 v[28:29], v9
	v_and_b32_e32 v11, 3, v3
	v_cmp_ne_u32_e64 s[4:5], 0, v11
	s_waitcnt lgkmcnt(0)
	v_mov_b32_dpp v13, v28 row_shr:1 row_mask:0xf bank_mask:0xf
	v_mov_b32_dpp v17, v29 row_shr:1 row_mask:0xf bank_mask:0xf
	v_mov_b32_e32 v15, v29
	s_and_saveexec_b64 s[34:35], s[4:5]
	s_cbranch_execz .LBB2207_133
; %bb.132:
	v_and_b32_e32 v15, 1, v29
	v_and_b32_e32 v17, 1, v17
	v_cmp_eq_u32_e64 s[4:5], 1, v15
	v_mov_b32_e32 v15, 0
	v_cndmask_b32_e64 v17, v17, 1, s[4:5]
	v_cmp_eq_u16_sdwa s[4:5], v29, v15 src0_sel:BYTE_0 src1_sel:DWORD
	v_cndmask_b32_e64 v13, 0, v13, s[4:5]
	v_add_u32_e32 v28, v13, v28
	v_and_b32_e32 v13, 0xffff, v17
	s_movk_i32 s4, 0xff00
	v_and_or_b32 v15, v29, s4, v13
	v_mov_b32_e32 v29, v17
.LBB2207_133:
	s_or_b64 exec, exec, s[34:35]
	v_mov_b32_dpp v15, v15 row_shr:2 row_mask:0xf bank_mask:0xf
	v_and_b32_e32 v17, 1, v29
	v_and_b32_e32 v15, 1, v15
	v_cmp_eq_u32_e64 s[4:5], 1, v17
	v_mov_b32_e32 v17, 0
	v_cndmask_b32_e64 v15, v15, 1, s[4:5]
	v_cmp_eq_u16_sdwa s[34:35], v29, v17 src0_sel:BYTE_0 src1_sel:DWORD
	v_cmp_lt_u32_e64 s[4:5], 1, v11
	v_mov_b32_dpp v13, v28 row_shr:2 row_mask:0xf bank_mask:0xf
	v_cndmask_b32_e64 v11, v29, v15, s[4:5]
	s_and_b64 s[4:5], s[4:5], s[34:35]
	v_cndmask_b32_e64 v13, 0, v13, s[4:5]
	v_add_u32_e32 v13, v13, v28
	ds_write_b32 v9, v13
	ds_write_b8 v9, v11 offset:4
.LBB2207_134:
	s_or_b64 exec, exec, s[30:31]
	v_cmp_lt_u32_e64 s[4:5], 63, v0
	v_mov_b32_e32 v9, 0
	s_waitcnt lgkmcnt(0)
	s_barrier
	s_and_saveexec_b64 s[30:31], s[4:5]
	s_cbranch_execz .LBB2207_136
; %bb.135:
	v_lshl_add_u32 v1, v1, 3, -8
	ds_read_b32 v9, v1
	v_cmp_eq_u32_e64 s[4:5], 0, v7
	s_waitcnt lgkmcnt(0)
	v_cndmask_b32_e64 v1, 0, v9, s[4:5]
	v_add_u32_e32 v5, v1, v5
.LBB2207_136:
	s_or_b64 exec, exec, s[30:31]
	v_add_u32_e32 v1, -1, v3
	v_and_b32_e32 v7, 64, v3
	v_cmp_lt_i32_e64 s[4:5], v1, v7
	v_cndmask_b32_e64 v1, v1, v3, s[4:5]
	v_lshlrev_b32_e32 v1, 2, v1
	ds_bpermute_b32 v1, v1, v5
	s_and_saveexec_b64 s[30:31], s[36:37]
	s_cbranch_execz .LBB2207_138
; %bb.137:
	v_and_b32_e32 v27, 0xff, v39
	v_mov_b32_e32 v26, 0
	v_cmp_eq_u32_e64 s[4:5], 0, v3
	s_waitcnt lgkmcnt(0)
	v_cndmask_b32_e64 v1, v1, v9, s[4:5]
	v_cmp_eq_u64_e64 s[4:5], 0, v[26:27]
	v_cndmask_b32_e64 v1, 0, v1, s[4:5]
	v_add_u32_e32 v38, v1, v38
	v_cndmask_b32_e32 v1, 0, v38, vcc
	v_add_u32_e32 v27, v1, v2
	v_cndmask_b32_e64 v1, 0, v27, s[6:7]
	v_add_u32_e32 v42, v1, v4
	v_cndmask_b32_e64 v1, 0, v42, s[8:9]
	v_add_u32_e32 v43, v1, v6
	v_cndmask_b32_e64 v1, 0, v43, s[10:11]
	v_add_u32_e32 v30, v1, v8
	v_cndmask_b32_e64 v1, 0, v30, s[12:13]
	v_add_u32_e32 v31, v1, v10
	v_cndmask_b32_e64 v1, 0, v31, s[14:15]
	v_add_u32_e32 v44, v1, v12
	v_cndmask_b32_e64 v1, 0, v44, s[16:17]
	v_add_u32_e32 v45, v1, v14
	v_cndmask_b32_e64 v1, 0, v45, s[18:19]
	v_add_u32_e32 v34, v1, v16
	v_cndmask_b32_e64 v1, 0, v34, s[20:21]
	v_add_u32_e32 v35, v1, v18
	v_cndmask_b32_e64 v1, 0, v35, s[22:23]
	v_add_u32_e32 v46, v1, v20
	v_cndmask_b32_e64 v1, 0, v46, s[24:25]
	v_add_u32_e32 v47, v1, v22
	v_cndmask_b32_e64 v1, 0, v47, s[26:27]
	v_add_u32_e32 v48, v1, v24
	v_cndmask_b32_e64 v1, 0, v48, s[28:29]
	v_add_u32_e32 v49, v1, v40
	;;#ASMSTART
	;;#ASMEND
.LBB2207_138:
	s_or_b64 exec, exec, s[30:31]
	s_and_saveexec_b64 s[4:5], s[0:1]
	s_cbranch_execz .LBB2207_140
; %bb.139:
	v_mov_b32_e32 v5, 0
	ds_read_b32 v2, v5 offset:24
	ds_read_u8 v3, v5 offset:28
	s_add_u32 s0, s56, 0x400
	s_addc_u32 s1, s57, 0
	v_mov_b32_e32 v4, 2
	v_pk_mov_b32 v[6:7], s[0:1], s[0:1] op_sel:[0,1]
	s_waitcnt lgkmcnt(0)
	;;#ASMSTART
	global_store_dwordx4 v[6:7], v[2:5] off	
s_waitcnt vmcnt(0)
	;;#ASMEND
.LBB2207_140:
	s_or_b64 exec, exec, s[4:5]
	v_mov_b32_e32 v26, v38
.LBB2207_141:
	s_add_u32 s0, s46, s38
	s_addc_u32 s1, s47, s39
	s_add_u32 s4, s0, s40
	s_waitcnt lgkmcnt(0)
	v_mul_u32_u24_e32 v1, 14, v0
	s_addc_u32 s5, s1, s41
	s_and_b64 vcc, exec, s[2:3]
	v_lshlrev_b32_e32 v2, 2, v1
	s_cbranch_vccz .LBB2207_169
; %bb.142:
	s_movk_i32 s0, 0xffcc
	v_mad_i32_i24 v3, v0, s0, v2
	s_barrier
	ds_write2_b64 v2, v[26:27], v[42:43] offset1:1
	ds_write2_b64 v2, v[30:31], v[44:45] offset0:2 offset1:3
	ds_write2_b64 v2, v[34:35], v[46:47] offset0:4 offset1:5
	ds_write_b64 v2, v[48:49] offset:48
	s_waitcnt lgkmcnt(0)
	s_barrier
	ds_read2st64_b32 v[16:17], v3 offset0:4 offset1:8
	ds_read2st64_b32 v[14:15], v3 offset0:12 offset1:16
	;; [unrolled: 1-line block ×6, first 2 shown]
	ds_read_b32 v3, v3 offset:13312
	v_mov_b32_e32 v7, s5
	v_add_co_u32_e32 v6, vcc, s4, v50
	s_add_i32 s33, s33, s58
	v_addc_co_u32_e32 v7, vcc, 0, v7, vcc
	v_mov_b32_e32 v1, 0
	v_cmp_gt_u32_e32 vcc, s33, v0
	s_and_saveexec_b64 s[0:1], vcc
	s_cbranch_execz .LBB2207_144
; %bb.143:
	v_mul_i32_i24_e32 v18, 0xffffffcc, v0
	v_add_u32_e32 v18, v2, v18
	ds_read_b32 v18, v18
	s_waitcnt lgkmcnt(0)
	flat_store_dword v[6:7], v18
.LBB2207_144:
	s_or_b64 exec, exec, s[0:1]
	v_or_b32_e32 v18, 0x100, v0
	v_cmp_gt_u32_e32 vcc, s33, v18
	s_and_saveexec_b64 s[0:1], vcc
	s_cbranch_execz .LBB2207_146
; %bb.145:
	s_waitcnt lgkmcnt(0)
	flat_store_dword v[6:7], v16 offset:1024
.LBB2207_146:
	s_or_b64 exec, exec, s[0:1]
	s_waitcnt lgkmcnt(0)
	v_or_b32_e32 v16, 0x200, v0
	v_cmp_gt_u32_e32 vcc, s33, v16
	s_and_saveexec_b64 s[0:1], vcc
	s_cbranch_execz .LBB2207_148
; %bb.147:
	flat_store_dword v[6:7], v17 offset:2048
.LBB2207_148:
	s_or_b64 exec, exec, s[0:1]
	v_or_b32_e32 v16, 0x300, v0
	v_cmp_gt_u32_e32 vcc, s33, v16
	s_and_saveexec_b64 s[0:1], vcc
	s_cbranch_execz .LBB2207_150
; %bb.149:
	flat_store_dword v[6:7], v14 offset:3072
.LBB2207_150:
	s_or_b64 exec, exec, s[0:1]
	v_or_b32_e32 v14, 0x400, v0
	v_cmp_gt_u32_e32 vcc, s33, v14
	s_and_saveexec_b64 s[0:1], vcc
	s_cbranch_execz .LBB2207_152
; %bb.151:
	v_add_co_u32_e32 v16, vcc, 0x1000, v6
	v_addc_co_u32_e32 v17, vcc, 0, v7, vcc
	flat_store_dword v[16:17], v15
.LBB2207_152:
	s_or_b64 exec, exec, s[0:1]
	v_or_b32_e32 v14, 0x500, v0
	v_cmp_gt_u32_e32 vcc, s33, v14
	s_and_saveexec_b64 s[0:1], vcc
	s_cbranch_execz .LBB2207_154
; %bb.153:
	v_add_co_u32_e32 v14, vcc, 0x1000, v6
	v_addc_co_u32_e32 v15, vcc, 0, v7, vcc
	flat_store_dword v[14:15], v12 offset:1024
.LBB2207_154:
	s_or_b64 exec, exec, s[0:1]
	v_or_b32_e32 v12, 0x600, v0
	v_cmp_gt_u32_e32 vcc, s33, v12
	s_and_saveexec_b64 s[0:1], vcc
	s_cbranch_execz .LBB2207_156
; %bb.155:
	v_add_co_u32_e32 v14, vcc, 0x1000, v6
	v_addc_co_u32_e32 v15, vcc, 0, v7, vcc
	flat_store_dword v[14:15], v13 offset:2048
.LBB2207_156:
	;; [unrolled: 10-line block ×3, first 2 shown]
	s_or_b64 exec, exec, s[0:1]
	v_or_b32_e32 v10, 0x800, v0
	v_cmp_gt_u32_e32 vcc, s33, v10
	s_and_saveexec_b64 s[0:1], vcc
	s_cbranch_execz .LBB2207_160
; %bb.159:
	v_add_co_u32_e32 v12, vcc, 0x2000, v6
	v_addc_co_u32_e32 v13, vcc, 0, v7, vcc
	flat_store_dword v[12:13], v11
.LBB2207_160:
	s_or_b64 exec, exec, s[0:1]
	v_or_b32_e32 v10, 0x900, v0
	v_cmp_gt_u32_e32 vcc, s33, v10
	s_and_saveexec_b64 s[0:1], vcc
	s_cbranch_execz .LBB2207_162
; %bb.161:
	v_add_co_u32_e32 v10, vcc, 0x2000, v6
	v_addc_co_u32_e32 v11, vcc, 0, v7, vcc
	flat_store_dword v[10:11], v8 offset:1024
.LBB2207_162:
	s_or_b64 exec, exec, s[0:1]
	v_or_b32_e32 v8, 0xa00, v0
	v_cmp_gt_u32_e32 vcc, s33, v8
	s_and_saveexec_b64 s[0:1], vcc
	s_cbranch_execz .LBB2207_164
; %bb.163:
	v_add_co_u32_e32 v10, vcc, 0x2000, v6
	v_addc_co_u32_e32 v11, vcc, 0, v7, vcc
	flat_store_dword v[10:11], v9 offset:2048
.LBB2207_164:
	;; [unrolled: 10-line block ×3, first 2 shown]
	s_or_b64 exec, exec, s[0:1]
	v_or_b32_e32 v4, 0xc00, v0
	v_cmp_gt_u32_e32 vcc, s33, v4
	s_and_saveexec_b64 s[0:1], vcc
	s_cbranch_execz .LBB2207_168
; %bb.167:
	v_add_co_u32_e32 v6, vcc, 0x3000, v6
	v_addc_co_u32_e32 v7, vcc, 0, v7, vcc
	flat_store_dword v[6:7], v5
.LBB2207_168:
	s_or_b64 exec, exec, s[0:1]
	v_or_b32_e32 v4, 0xd00, v0
	v_cmp_gt_u32_e64 s[0:1], s33, v4
	s_branch .LBB2207_171
.LBB2207_169:
	s_mov_b64 s[0:1], 0
                                        ; implicit-def: $vgpr3
	s_cbranch_execz .LBB2207_171
; %bb.170:
	s_movk_i32 s2, 0xffcc
	s_waitcnt lgkmcnt(0)
	s_barrier
	ds_write2_b64 v2, v[26:27], v[42:43] offset1:1
	ds_write2_b64 v2, v[30:31], v[44:45] offset0:2 offset1:3
	ds_write2_b64 v2, v[34:35], v[46:47] offset0:4 offset1:5
	ds_write_b64 v2, v[48:49] offset:48
	v_mad_i32_i24 v2, v0, s2, v2
	v_mov_b32_e32 v17, s5
	v_add_co_u32_e32 v16, vcc, s4, v50
	s_waitcnt lgkmcnt(0)
	s_barrier
	ds_read2st64_b32 v[4:5], v2 offset1:4
	ds_read2st64_b32 v[6:7], v2 offset0:8 offset1:12
	ds_read2st64_b32 v[8:9], v2 offset0:16 offset1:20
	;; [unrolled: 1-line block ×6, first 2 shown]
	v_addc_co_u32_e32 v17, vcc, 0, v17, vcc
	s_movk_i32 s2, 0x1000
	s_waitcnt lgkmcnt(0)
	flat_store_dword v[16:17], v4
	flat_store_dword v[16:17], v5 offset:1024
	flat_store_dword v[16:17], v6 offset:2048
	;; [unrolled: 1-line block ×3, first 2 shown]
	v_add_co_u32_e32 v4, vcc, s2, v16
	v_addc_co_u32_e32 v5, vcc, 0, v17, vcc
	flat_store_dword v[4:5], v8
	flat_store_dword v[4:5], v9 offset:1024
	flat_store_dword v[4:5], v10 offset:2048
	;; [unrolled: 1-line block ×3, first 2 shown]
	v_add_co_u32_e32 v4, vcc, 0x2000, v16
	v_addc_co_u32_e32 v5, vcc, 0, v17, vcc
	flat_store_dword v[4:5], v12
	flat_store_dword v[4:5], v13 offset:1024
	flat_store_dword v[4:5], v14 offset:2048
	;; [unrolled: 1-line block ×3, first 2 shown]
	v_add_co_u32_e32 v4, vcc, 0x3000, v16
	v_mov_b32_e32 v1, 0
	v_addc_co_u32_e32 v5, vcc, 0, v17, vcc
	s_or_b64 s[0:1], s[0:1], exec
	flat_store_dword v[4:5], v2
.LBB2207_171:
	s_and_saveexec_b64 s[2:3], s[0:1]
	s_cbranch_execnz .LBB2207_173
; %bb.172:
	s_endpgm
.LBB2207_173:
	v_lshlrev_b64 v[0:1], 2, v[0:1]
	v_mov_b32_e32 v2, s5
	v_add_co_u32_e32 v0, vcc, s4, v0
	v_addc_co_u32_e32 v1, vcc, v2, v1, vcc
	v_add_co_u32_e32 v0, vcc, 0x3000, v0
	v_addc_co_u32_e32 v1, vcc, 0, v1, vcc
	flat_store_dword v[0:1], v3 offset:1024
	s_endpgm
.LBB2207_174:
	v_mov_b32_e32 v13, s63
	v_add_co_u32_e32 v14, vcc, s62, v12
	v_addc_co_u32_e32 v15, vcc, 0, v13, vcc
	flat_load_dword v13, v[14:15]
	s_or_b64 exec, exec, s[4:5]
                                        ; implicit-def: $vgpr14
	s_and_saveexec_b64 s[4:5], s[8:9]
	s_cbranch_execz .LBB2207_41
.LBB2207_175:
	v_mov_b32_e32 v15, s63
	v_add_co_u32_e32 v14, vcc, s62, v12
	v_addc_co_u32_e32 v15, vcc, 0, v15, vcc
	flat_load_dword v14, v[14:15] offset:1024
	s_or_b64 exec, exec, s[4:5]
                                        ; implicit-def: $vgpr15
	s_and_saveexec_b64 s[4:5], s[10:11]
	s_cbranch_execz .LBB2207_42
.LBB2207_176:
	v_mov_b32_e32 v15, s63
	v_add_co_u32_e32 v16, vcc, s62, v12
	v_addc_co_u32_e32 v17, vcc, 0, v15, vcc
	flat_load_dword v15, v[16:17] offset:2048
	s_or_b64 exec, exec, s[4:5]
                                        ; implicit-def: $vgpr16
	s_and_saveexec_b64 s[4:5], s[12:13]
	s_cbranch_execz .LBB2207_43
.LBB2207_177:
	v_mov_b32_e32 v17, s63
	v_add_co_u32_e32 v16, vcc, s62, v12
	v_addc_co_u32_e32 v17, vcc, 0, v17, vcc
	flat_load_dword v16, v[16:17] offset:3072
	s_or_b64 exec, exec, s[4:5]
                                        ; implicit-def: $vgpr17
	s_and_saveexec_b64 s[4:5], s[14:15]
	s_cbranch_execz .LBB2207_44
.LBB2207_178:
	v_lshlrev_b32_e32 v2, 2, v2
	v_mov_b32_e32 v17, s63
	v_add_co_u32_e32 v18, vcc, s62, v2
	v_addc_co_u32_e32 v19, vcc, 0, v17, vcc
	flat_load_dword v17, v[18:19]
	s_or_b64 exec, exec, s[4:5]
                                        ; implicit-def: $vgpr2
	s_and_saveexec_b64 s[4:5], s[16:17]
	s_cbranch_execz .LBB2207_45
.LBB2207_179:
	v_lshlrev_b32_e32 v2, 2, v3
	v_mov_b32_e32 v3, s63
	v_add_co_u32_e32 v2, vcc, s62, v2
	v_addc_co_u32_e32 v3, vcc, 0, v3, vcc
	flat_load_dword v2, v[2:3]
	s_or_b64 exec, exec, s[4:5]
                                        ; implicit-def: $vgpr3
	s_and_saveexec_b64 s[4:5], s[18:19]
	s_cbranch_execz .LBB2207_46
.LBB2207_180:
	v_lshlrev_b32_e32 v3, 2, v4
	v_mov_b32_e32 v4, s63
	v_add_co_u32_e32 v18, vcc, s62, v3
	v_addc_co_u32_e32 v19, vcc, 0, v4, vcc
	flat_load_dword v3, v[18:19]
	s_or_b64 exec, exec, s[4:5]
                                        ; implicit-def: $vgpr4
	s_and_saveexec_b64 s[4:5], s[20:21]
	s_cbranch_execz .LBB2207_47
.LBB2207_181:
	v_lshlrev_b32_e32 v4, 2, v5
	v_mov_b32_e32 v5, s63
	v_add_co_u32_e32 v4, vcc, s62, v4
	v_addc_co_u32_e32 v5, vcc, 0, v5, vcc
	flat_load_dword v4, v[4:5]
	s_or_b64 exec, exec, s[4:5]
                                        ; implicit-def: $vgpr5
	s_and_saveexec_b64 s[4:5], s[22:23]
	s_cbranch_execz .LBB2207_48
.LBB2207_182:
	v_lshlrev_b32_e32 v5, 2, v6
	v_mov_b32_e32 v6, s63
	v_add_co_u32_e32 v18, vcc, s62, v5
	v_addc_co_u32_e32 v19, vcc, 0, v6, vcc
	flat_load_dword v5, v[18:19]
	s_or_b64 exec, exec, s[4:5]
                                        ; implicit-def: $vgpr6
	s_and_saveexec_b64 s[4:5], s[24:25]
	s_cbranch_execz .LBB2207_49
.LBB2207_183:
	v_lshlrev_b32_e32 v6, 2, v7
	v_mov_b32_e32 v7, s63
	v_add_co_u32_e32 v6, vcc, s62, v6
	v_addc_co_u32_e32 v7, vcc, 0, v7, vcc
	flat_load_dword v6, v[6:7]
	s_or_b64 exec, exec, s[4:5]
                                        ; implicit-def: $vgpr7
	s_and_saveexec_b64 s[4:5], s[26:27]
	s_cbranch_execz .LBB2207_50
.LBB2207_184:
	v_lshlrev_b32_e32 v7, 2, v8
	v_mov_b32_e32 v8, s63
	v_add_co_u32_e32 v18, vcc, s62, v7
	v_addc_co_u32_e32 v19, vcc, 0, v8, vcc
	flat_load_dword v7, v[18:19]
	s_or_b64 exec, exec, s[4:5]
                                        ; implicit-def: $vgpr8
	s_and_saveexec_b64 s[4:5], s[28:29]
	s_cbranch_execz .LBB2207_51
.LBB2207_185:
	v_lshlrev_b32_e32 v8, 2, v9
	v_mov_b32_e32 v9, s63
	v_add_co_u32_e32 v8, vcc, s62, v8
	v_addc_co_u32_e32 v9, vcc, 0, v9, vcc
	flat_load_dword v8, v[8:9]
	s_or_b64 exec, exec, s[4:5]
                                        ; implicit-def: $vgpr9
	s_and_saveexec_b64 s[4:5], s[30:31]
	s_cbranch_execz .LBB2207_52
.LBB2207_186:
	v_lshlrev_b32_e32 v9, 2, v10
	v_mov_b32_e32 v10, s63
	v_add_co_u32_e32 v18, vcc, s62, v9
	v_addc_co_u32_e32 v19, vcc, 0, v10, vcc
	flat_load_dword v9, v[18:19]
	s_or_b64 exec, exec, s[4:5]
                                        ; implicit-def: $vgpr10
	s_and_saveexec_b64 s[4:5], s[34:35]
	s_cbranch_execnz .LBB2207_53
	s_branch .LBB2207_54
.LBB2207_187:
                                        ; implicit-def: $sgpr4_sgpr5
	s_branch .LBB2207_36
.LBB2207_188:
                                        ; implicit-def: $sgpr4_sgpr5
	s_branch .LBB2207_85
	.section	.rodata,"a",@progbits
	.p2align	6, 0x0
	.amdhsa_kernel _ZN7rocprim17ROCPRIM_400000_NS6detail17trampoline_kernelINS0_14default_configENS1_27scan_by_key_config_selectorIiiEEZZNS1_16scan_by_key_implILNS1_25lookback_scan_determinismE0ELb0ES3_N6thrust23THRUST_200600_302600_NS10device_ptrIiEESB_SB_iNS9_4plusIvEENS9_8equal_toIvEEiEE10hipError_tPvRmT2_T3_T4_T5_mT6_T7_P12ihipStream_tbENKUlT_T0_E_clISt17integral_constantIbLb1EESW_EEDaSR_SS_EUlSR_E_NS1_11comp_targetILNS1_3genE4ELNS1_11target_archE910ELNS1_3gpuE8ELNS1_3repE0EEENS1_30default_config_static_selectorELNS0_4arch9wavefront6targetE1EEEvT1_
		.amdhsa_group_segment_fixed_size 16384
		.amdhsa_private_segment_fixed_size 0
		.amdhsa_kernarg_size 112
		.amdhsa_user_sgpr_count 6
		.amdhsa_user_sgpr_private_segment_buffer 1
		.amdhsa_user_sgpr_dispatch_ptr 0
		.amdhsa_user_sgpr_queue_ptr 0
		.amdhsa_user_sgpr_kernarg_segment_ptr 1
		.amdhsa_user_sgpr_dispatch_id 0
		.amdhsa_user_sgpr_flat_scratch_init 0
		.amdhsa_user_sgpr_kernarg_preload_length 0
		.amdhsa_user_sgpr_kernarg_preload_offset 0
		.amdhsa_user_sgpr_private_segment_size 0
		.amdhsa_uses_dynamic_stack 0
		.amdhsa_system_sgpr_private_segment_wavefront_offset 0
		.amdhsa_system_sgpr_workgroup_id_x 1
		.amdhsa_system_sgpr_workgroup_id_y 0
		.amdhsa_system_sgpr_workgroup_id_z 0
		.amdhsa_system_sgpr_workgroup_info 0
		.amdhsa_system_vgpr_workitem_id 0
		.amdhsa_next_free_vgpr 65
		.amdhsa_next_free_sgpr 65
		.amdhsa_accum_offset 68
		.amdhsa_reserve_vcc 1
		.amdhsa_reserve_flat_scratch 0
		.amdhsa_float_round_mode_32 0
		.amdhsa_float_round_mode_16_64 0
		.amdhsa_float_denorm_mode_32 3
		.amdhsa_float_denorm_mode_16_64 3
		.amdhsa_dx10_clamp 1
		.amdhsa_ieee_mode 1
		.amdhsa_fp16_overflow 0
		.amdhsa_tg_split 0
		.amdhsa_exception_fp_ieee_invalid_op 0
		.amdhsa_exception_fp_denorm_src 0
		.amdhsa_exception_fp_ieee_div_zero 0
		.amdhsa_exception_fp_ieee_overflow 0
		.amdhsa_exception_fp_ieee_underflow 0
		.amdhsa_exception_fp_ieee_inexact 0
		.amdhsa_exception_int_div_zero 0
	.end_amdhsa_kernel
	.section	.text._ZN7rocprim17ROCPRIM_400000_NS6detail17trampoline_kernelINS0_14default_configENS1_27scan_by_key_config_selectorIiiEEZZNS1_16scan_by_key_implILNS1_25lookback_scan_determinismE0ELb0ES3_N6thrust23THRUST_200600_302600_NS10device_ptrIiEESB_SB_iNS9_4plusIvEENS9_8equal_toIvEEiEE10hipError_tPvRmT2_T3_T4_T5_mT6_T7_P12ihipStream_tbENKUlT_T0_E_clISt17integral_constantIbLb1EESW_EEDaSR_SS_EUlSR_E_NS1_11comp_targetILNS1_3genE4ELNS1_11target_archE910ELNS1_3gpuE8ELNS1_3repE0EEENS1_30default_config_static_selectorELNS0_4arch9wavefront6targetE1EEEvT1_,"axG",@progbits,_ZN7rocprim17ROCPRIM_400000_NS6detail17trampoline_kernelINS0_14default_configENS1_27scan_by_key_config_selectorIiiEEZZNS1_16scan_by_key_implILNS1_25lookback_scan_determinismE0ELb0ES3_N6thrust23THRUST_200600_302600_NS10device_ptrIiEESB_SB_iNS9_4plusIvEENS9_8equal_toIvEEiEE10hipError_tPvRmT2_T3_T4_T5_mT6_T7_P12ihipStream_tbENKUlT_T0_E_clISt17integral_constantIbLb1EESW_EEDaSR_SS_EUlSR_E_NS1_11comp_targetILNS1_3genE4ELNS1_11target_archE910ELNS1_3gpuE8ELNS1_3repE0EEENS1_30default_config_static_selectorELNS0_4arch9wavefront6targetE1EEEvT1_,comdat
.Lfunc_end2207:
	.size	_ZN7rocprim17ROCPRIM_400000_NS6detail17trampoline_kernelINS0_14default_configENS1_27scan_by_key_config_selectorIiiEEZZNS1_16scan_by_key_implILNS1_25lookback_scan_determinismE0ELb0ES3_N6thrust23THRUST_200600_302600_NS10device_ptrIiEESB_SB_iNS9_4plusIvEENS9_8equal_toIvEEiEE10hipError_tPvRmT2_T3_T4_T5_mT6_T7_P12ihipStream_tbENKUlT_T0_E_clISt17integral_constantIbLb1EESW_EEDaSR_SS_EUlSR_E_NS1_11comp_targetILNS1_3genE4ELNS1_11target_archE910ELNS1_3gpuE8ELNS1_3repE0EEENS1_30default_config_static_selectorELNS0_4arch9wavefront6targetE1EEEvT1_, .Lfunc_end2207-_ZN7rocprim17ROCPRIM_400000_NS6detail17trampoline_kernelINS0_14default_configENS1_27scan_by_key_config_selectorIiiEEZZNS1_16scan_by_key_implILNS1_25lookback_scan_determinismE0ELb0ES3_N6thrust23THRUST_200600_302600_NS10device_ptrIiEESB_SB_iNS9_4plusIvEENS9_8equal_toIvEEiEE10hipError_tPvRmT2_T3_T4_T5_mT6_T7_P12ihipStream_tbENKUlT_T0_E_clISt17integral_constantIbLb1EESW_EEDaSR_SS_EUlSR_E_NS1_11comp_targetILNS1_3genE4ELNS1_11target_archE910ELNS1_3gpuE8ELNS1_3repE0EEENS1_30default_config_static_selectorELNS0_4arch9wavefront6targetE1EEEvT1_
                                        ; -- End function
	.section	.AMDGPU.csdata,"",@progbits
; Kernel info:
; codeLenInByte = 11144
; NumSgprs: 69
; NumVgprs: 65
; NumAgprs: 0
; TotalNumVgprs: 65
; ScratchSize: 0
; MemoryBound: 0
; FloatMode: 240
; IeeeMode: 1
; LDSByteSize: 16384 bytes/workgroup (compile time only)
; SGPRBlocks: 8
; VGPRBlocks: 8
; NumSGPRsForWavesPerEU: 69
; NumVGPRsForWavesPerEU: 65
; AccumOffset: 68
; Occupancy: 4
; WaveLimiterHint : 1
; COMPUTE_PGM_RSRC2:SCRATCH_EN: 0
; COMPUTE_PGM_RSRC2:USER_SGPR: 6
; COMPUTE_PGM_RSRC2:TRAP_HANDLER: 0
; COMPUTE_PGM_RSRC2:TGID_X_EN: 1
; COMPUTE_PGM_RSRC2:TGID_Y_EN: 0
; COMPUTE_PGM_RSRC2:TGID_Z_EN: 0
; COMPUTE_PGM_RSRC2:TIDIG_COMP_CNT: 0
; COMPUTE_PGM_RSRC3_GFX90A:ACCUM_OFFSET: 16
; COMPUTE_PGM_RSRC3_GFX90A:TG_SPLIT: 0
	.section	.text._ZN7rocprim17ROCPRIM_400000_NS6detail17trampoline_kernelINS0_14default_configENS1_27scan_by_key_config_selectorIiiEEZZNS1_16scan_by_key_implILNS1_25lookback_scan_determinismE0ELb0ES3_N6thrust23THRUST_200600_302600_NS10device_ptrIiEESB_SB_iNS9_4plusIvEENS9_8equal_toIvEEiEE10hipError_tPvRmT2_T3_T4_T5_mT6_T7_P12ihipStream_tbENKUlT_T0_E_clISt17integral_constantIbLb1EESW_EEDaSR_SS_EUlSR_E_NS1_11comp_targetILNS1_3genE3ELNS1_11target_archE908ELNS1_3gpuE7ELNS1_3repE0EEENS1_30default_config_static_selectorELNS0_4arch9wavefront6targetE1EEEvT1_,"axG",@progbits,_ZN7rocprim17ROCPRIM_400000_NS6detail17trampoline_kernelINS0_14default_configENS1_27scan_by_key_config_selectorIiiEEZZNS1_16scan_by_key_implILNS1_25lookback_scan_determinismE0ELb0ES3_N6thrust23THRUST_200600_302600_NS10device_ptrIiEESB_SB_iNS9_4plusIvEENS9_8equal_toIvEEiEE10hipError_tPvRmT2_T3_T4_T5_mT6_T7_P12ihipStream_tbENKUlT_T0_E_clISt17integral_constantIbLb1EESW_EEDaSR_SS_EUlSR_E_NS1_11comp_targetILNS1_3genE3ELNS1_11target_archE908ELNS1_3gpuE7ELNS1_3repE0EEENS1_30default_config_static_selectorELNS0_4arch9wavefront6targetE1EEEvT1_,comdat
	.protected	_ZN7rocprim17ROCPRIM_400000_NS6detail17trampoline_kernelINS0_14default_configENS1_27scan_by_key_config_selectorIiiEEZZNS1_16scan_by_key_implILNS1_25lookback_scan_determinismE0ELb0ES3_N6thrust23THRUST_200600_302600_NS10device_ptrIiEESB_SB_iNS9_4plusIvEENS9_8equal_toIvEEiEE10hipError_tPvRmT2_T3_T4_T5_mT6_T7_P12ihipStream_tbENKUlT_T0_E_clISt17integral_constantIbLb1EESW_EEDaSR_SS_EUlSR_E_NS1_11comp_targetILNS1_3genE3ELNS1_11target_archE908ELNS1_3gpuE7ELNS1_3repE0EEENS1_30default_config_static_selectorELNS0_4arch9wavefront6targetE1EEEvT1_ ; -- Begin function _ZN7rocprim17ROCPRIM_400000_NS6detail17trampoline_kernelINS0_14default_configENS1_27scan_by_key_config_selectorIiiEEZZNS1_16scan_by_key_implILNS1_25lookback_scan_determinismE0ELb0ES3_N6thrust23THRUST_200600_302600_NS10device_ptrIiEESB_SB_iNS9_4plusIvEENS9_8equal_toIvEEiEE10hipError_tPvRmT2_T3_T4_T5_mT6_T7_P12ihipStream_tbENKUlT_T0_E_clISt17integral_constantIbLb1EESW_EEDaSR_SS_EUlSR_E_NS1_11comp_targetILNS1_3genE3ELNS1_11target_archE908ELNS1_3gpuE7ELNS1_3repE0EEENS1_30default_config_static_selectorELNS0_4arch9wavefront6targetE1EEEvT1_
	.globl	_ZN7rocprim17ROCPRIM_400000_NS6detail17trampoline_kernelINS0_14default_configENS1_27scan_by_key_config_selectorIiiEEZZNS1_16scan_by_key_implILNS1_25lookback_scan_determinismE0ELb0ES3_N6thrust23THRUST_200600_302600_NS10device_ptrIiEESB_SB_iNS9_4plusIvEENS9_8equal_toIvEEiEE10hipError_tPvRmT2_T3_T4_T5_mT6_T7_P12ihipStream_tbENKUlT_T0_E_clISt17integral_constantIbLb1EESW_EEDaSR_SS_EUlSR_E_NS1_11comp_targetILNS1_3genE3ELNS1_11target_archE908ELNS1_3gpuE7ELNS1_3repE0EEENS1_30default_config_static_selectorELNS0_4arch9wavefront6targetE1EEEvT1_
	.p2align	8
	.type	_ZN7rocprim17ROCPRIM_400000_NS6detail17trampoline_kernelINS0_14default_configENS1_27scan_by_key_config_selectorIiiEEZZNS1_16scan_by_key_implILNS1_25lookback_scan_determinismE0ELb0ES3_N6thrust23THRUST_200600_302600_NS10device_ptrIiEESB_SB_iNS9_4plusIvEENS9_8equal_toIvEEiEE10hipError_tPvRmT2_T3_T4_T5_mT6_T7_P12ihipStream_tbENKUlT_T0_E_clISt17integral_constantIbLb1EESW_EEDaSR_SS_EUlSR_E_NS1_11comp_targetILNS1_3genE3ELNS1_11target_archE908ELNS1_3gpuE7ELNS1_3repE0EEENS1_30default_config_static_selectorELNS0_4arch9wavefront6targetE1EEEvT1_,@function
_ZN7rocprim17ROCPRIM_400000_NS6detail17trampoline_kernelINS0_14default_configENS1_27scan_by_key_config_selectorIiiEEZZNS1_16scan_by_key_implILNS1_25lookback_scan_determinismE0ELb0ES3_N6thrust23THRUST_200600_302600_NS10device_ptrIiEESB_SB_iNS9_4plusIvEENS9_8equal_toIvEEiEE10hipError_tPvRmT2_T3_T4_T5_mT6_T7_P12ihipStream_tbENKUlT_T0_E_clISt17integral_constantIbLb1EESW_EEDaSR_SS_EUlSR_E_NS1_11comp_targetILNS1_3genE3ELNS1_11target_archE908ELNS1_3gpuE7ELNS1_3repE0EEENS1_30default_config_static_selectorELNS0_4arch9wavefront6targetE1EEEvT1_: ; @_ZN7rocprim17ROCPRIM_400000_NS6detail17trampoline_kernelINS0_14default_configENS1_27scan_by_key_config_selectorIiiEEZZNS1_16scan_by_key_implILNS1_25lookback_scan_determinismE0ELb0ES3_N6thrust23THRUST_200600_302600_NS10device_ptrIiEESB_SB_iNS9_4plusIvEENS9_8equal_toIvEEiEE10hipError_tPvRmT2_T3_T4_T5_mT6_T7_P12ihipStream_tbENKUlT_T0_E_clISt17integral_constantIbLb1EESW_EEDaSR_SS_EUlSR_E_NS1_11comp_targetILNS1_3genE3ELNS1_11target_archE908ELNS1_3gpuE7ELNS1_3repE0EEENS1_30default_config_static_selectorELNS0_4arch9wavefront6targetE1EEEvT1_
; %bb.0:
	.section	.rodata,"a",@progbits
	.p2align	6, 0x0
	.amdhsa_kernel _ZN7rocprim17ROCPRIM_400000_NS6detail17trampoline_kernelINS0_14default_configENS1_27scan_by_key_config_selectorIiiEEZZNS1_16scan_by_key_implILNS1_25lookback_scan_determinismE0ELb0ES3_N6thrust23THRUST_200600_302600_NS10device_ptrIiEESB_SB_iNS9_4plusIvEENS9_8equal_toIvEEiEE10hipError_tPvRmT2_T3_T4_T5_mT6_T7_P12ihipStream_tbENKUlT_T0_E_clISt17integral_constantIbLb1EESW_EEDaSR_SS_EUlSR_E_NS1_11comp_targetILNS1_3genE3ELNS1_11target_archE908ELNS1_3gpuE7ELNS1_3repE0EEENS1_30default_config_static_selectorELNS0_4arch9wavefront6targetE1EEEvT1_
		.amdhsa_group_segment_fixed_size 0
		.amdhsa_private_segment_fixed_size 0
		.amdhsa_kernarg_size 112
		.amdhsa_user_sgpr_count 6
		.amdhsa_user_sgpr_private_segment_buffer 1
		.amdhsa_user_sgpr_dispatch_ptr 0
		.amdhsa_user_sgpr_queue_ptr 0
		.amdhsa_user_sgpr_kernarg_segment_ptr 1
		.amdhsa_user_sgpr_dispatch_id 0
		.amdhsa_user_sgpr_flat_scratch_init 0
		.amdhsa_user_sgpr_kernarg_preload_length 0
		.amdhsa_user_sgpr_kernarg_preload_offset 0
		.amdhsa_user_sgpr_private_segment_size 0
		.amdhsa_uses_dynamic_stack 0
		.amdhsa_system_sgpr_private_segment_wavefront_offset 0
		.amdhsa_system_sgpr_workgroup_id_x 1
		.amdhsa_system_sgpr_workgroup_id_y 0
		.amdhsa_system_sgpr_workgroup_id_z 0
		.amdhsa_system_sgpr_workgroup_info 0
		.amdhsa_system_vgpr_workitem_id 0
		.amdhsa_next_free_vgpr 1
		.amdhsa_next_free_sgpr 0
		.amdhsa_accum_offset 4
		.amdhsa_reserve_vcc 0
		.amdhsa_reserve_flat_scratch 0
		.amdhsa_float_round_mode_32 0
		.amdhsa_float_round_mode_16_64 0
		.amdhsa_float_denorm_mode_32 3
		.amdhsa_float_denorm_mode_16_64 3
		.amdhsa_dx10_clamp 1
		.amdhsa_ieee_mode 1
		.amdhsa_fp16_overflow 0
		.amdhsa_tg_split 0
		.amdhsa_exception_fp_ieee_invalid_op 0
		.amdhsa_exception_fp_denorm_src 0
		.amdhsa_exception_fp_ieee_div_zero 0
		.amdhsa_exception_fp_ieee_overflow 0
		.amdhsa_exception_fp_ieee_underflow 0
		.amdhsa_exception_fp_ieee_inexact 0
		.amdhsa_exception_int_div_zero 0
	.end_amdhsa_kernel
	.section	.text._ZN7rocprim17ROCPRIM_400000_NS6detail17trampoline_kernelINS0_14default_configENS1_27scan_by_key_config_selectorIiiEEZZNS1_16scan_by_key_implILNS1_25lookback_scan_determinismE0ELb0ES3_N6thrust23THRUST_200600_302600_NS10device_ptrIiEESB_SB_iNS9_4plusIvEENS9_8equal_toIvEEiEE10hipError_tPvRmT2_T3_T4_T5_mT6_T7_P12ihipStream_tbENKUlT_T0_E_clISt17integral_constantIbLb1EESW_EEDaSR_SS_EUlSR_E_NS1_11comp_targetILNS1_3genE3ELNS1_11target_archE908ELNS1_3gpuE7ELNS1_3repE0EEENS1_30default_config_static_selectorELNS0_4arch9wavefront6targetE1EEEvT1_,"axG",@progbits,_ZN7rocprim17ROCPRIM_400000_NS6detail17trampoline_kernelINS0_14default_configENS1_27scan_by_key_config_selectorIiiEEZZNS1_16scan_by_key_implILNS1_25lookback_scan_determinismE0ELb0ES3_N6thrust23THRUST_200600_302600_NS10device_ptrIiEESB_SB_iNS9_4plusIvEENS9_8equal_toIvEEiEE10hipError_tPvRmT2_T3_T4_T5_mT6_T7_P12ihipStream_tbENKUlT_T0_E_clISt17integral_constantIbLb1EESW_EEDaSR_SS_EUlSR_E_NS1_11comp_targetILNS1_3genE3ELNS1_11target_archE908ELNS1_3gpuE7ELNS1_3repE0EEENS1_30default_config_static_selectorELNS0_4arch9wavefront6targetE1EEEvT1_,comdat
.Lfunc_end2208:
	.size	_ZN7rocprim17ROCPRIM_400000_NS6detail17trampoline_kernelINS0_14default_configENS1_27scan_by_key_config_selectorIiiEEZZNS1_16scan_by_key_implILNS1_25lookback_scan_determinismE0ELb0ES3_N6thrust23THRUST_200600_302600_NS10device_ptrIiEESB_SB_iNS9_4plusIvEENS9_8equal_toIvEEiEE10hipError_tPvRmT2_T3_T4_T5_mT6_T7_P12ihipStream_tbENKUlT_T0_E_clISt17integral_constantIbLb1EESW_EEDaSR_SS_EUlSR_E_NS1_11comp_targetILNS1_3genE3ELNS1_11target_archE908ELNS1_3gpuE7ELNS1_3repE0EEENS1_30default_config_static_selectorELNS0_4arch9wavefront6targetE1EEEvT1_, .Lfunc_end2208-_ZN7rocprim17ROCPRIM_400000_NS6detail17trampoline_kernelINS0_14default_configENS1_27scan_by_key_config_selectorIiiEEZZNS1_16scan_by_key_implILNS1_25lookback_scan_determinismE0ELb0ES3_N6thrust23THRUST_200600_302600_NS10device_ptrIiEESB_SB_iNS9_4plusIvEENS9_8equal_toIvEEiEE10hipError_tPvRmT2_T3_T4_T5_mT6_T7_P12ihipStream_tbENKUlT_T0_E_clISt17integral_constantIbLb1EESW_EEDaSR_SS_EUlSR_E_NS1_11comp_targetILNS1_3genE3ELNS1_11target_archE908ELNS1_3gpuE7ELNS1_3repE0EEENS1_30default_config_static_selectorELNS0_4arch9wavefront6targetE1EEEvT1_
                                        ; -- End function
	.section	.AMDGPU.csdata,"",@progbits
; Kernel info:
; codeLenInByte = 0
; NumSgprs: 4
; NumVgprs: 0
; NumAgprs: 0
; TotalNumVgprs: 0
; ScratchSize: 0
; MemoryBound: 0
; FloatMode: 240
; IeeeMode: 1
; LDSByteSize: 0 bytes/workgroup (compile time only)
; SGPRBlocks: 0
; VGPRBlocks: 0
; NumSGPRsForWavesPerEU: 4
; NumVGPRsForWavesPerEU: 1
; AccumOffset: 4
; Occupancy: 8
; WaveLimiterHint : 0
; COMPUTE_PGM_RSRC2:SCRATCH_EN: 0
; COMPUTE_PGM_RSRC2:USER_SGPR: 6
; COMPUTE_PGM_RSRC2:TRAP_HANDLER: 0
; COMPUTE_PGM_RSRC2:TGID_X_EN: 1
; COMPUTE_PGM_RSRC2:TGID_Y_EN: 0
; COMPUTE_PGM_RSRC2:TGID_Z_EN: 0
; COMPUTE_PGM_RSRC2:TIDIG_COMP_CNT: 0
; COMPUTE_PGM_RSRC3_GFX90A:ACCUM_OFFSET: 0
; COMPUTE_PGM_RSRC3_GFX90A:TG_SPLIT: 0
	.section	.text._ZN7rocprim17ROCPRIM_400000_NS6detail17trampoline_kernelINS0_14default_configENS1_27scan_by_key_config_selectorIiiEEZZNS1_16scan_by_key_implILNS1_25lookback_scan_determinismE0ELb0ES3_N6thrust23THRUST_200600_302600_NS10device_ptrIiEESB_SB_iNS9_4plusIvEENS9_8equal_toIvEEiEE10hipError_tPvRmT2_T3_T4_T5_mT6_T7_P12ihipStream_tbENKUlT_T0_E_clISt17integral_constantIbLb1EESW_EEDaSR_SS_EUlSR_E_NS1_11comp_targetILNS1_3genE2ELNS1_11target_archE906ELNS1_3gpuE6ELNS1_3repE0EEENS1_30default_config_static_selectorELNS0_4arch9wavefront6targetE1EEEvT1_,"axG",@progbits,_ZN7rocprim17ROCPRIM_400000_NS6detail17trampoline_kernelINS0_14default_configENS1_27scan_by_key_config_selectorIiiEEZZNS1_16scan_by_key_implILNS1_25lookback_scan_determinismE0ELb0ES3_N6thrust23THRUST_200600_302600_NS10device_ptrIiEESB_SB_iNS9_4plusIvEENS9_8equal_toIvEEiEE10hipError_tPvRmT2_T3_T4_T5_mT6_T7_P12ihipStream_tbENKUlT_T0_E_clISt17integral_constantIbLb1EESW_EEDaSR_SS_EUlSR_E_NS1_11comp_targetILNS1_3genE2ELNS1_11target_archE906ELNS1_3gpuE6ELNS1_3repE0EEENS1_30default_config_static_selectorELNS0_4arch9wavefront6targetE1EEEvT1_,comdat
	.protected	_ZN7rocprim17ROCPRIM_400000_NS6detail17trampoline_kernelINS0_14default_configENS1_27scan_by_key_config_selectorIiiEEZZNS1_16scan_by_key_implILNS1_25lookback_scan_determinismE0ELb0ES3_N6thrust23THRUST_200600_302600_NS10device_ptrIiEESB_SB_iNS9_4plusIvEENS9_8equal_toIvEEiEE10hipError_tPvRmT2_T3_T4_T5_mT6_T7_P12ihipStream_tbENKUlT_T0_E_clISt17integral_constantIbLb1EESW_EEDaSR_SS_EUlSR_E_NS1_11comp_targetILNS1_3genE2ELNS1_11target_archE906ELNS1_3gpuE6ELNS1_3repE0EEENS1_30default_config_static_selectorELNS0_4arch9wavefront6targetE1EEEvT1_ ; -- Begin function _ZN7rocprim17ROCPRIM_400000_NS6detail17trampoline_kernelINS0_14default_configENS1_27scan_by_key_config_selectorIiiEEZZNS1_16scan_by_key_implILNS1_25lookback_scan_determinismE0ELb0ES3_N6thrust23THRUST_200600_302600_NS10device_ptrIiEESB_SB_iNS9_4plusIvEENS9_8equal_toIvEEiEE10hipError_tPvRmT2_T3_T4_T5_mT6_T7_P12ihipStream_tbENKUlT_T0_E_clISt17integral_constantIbLb1EESW_EEDaSR_SS_EUlSR_E_NS1_11comp_targetILNS1_3genE2ELNS1_11target_archE906ELNS1_3gpuE6ELNS1_3repE0EEENS1_30default_config_static_selectorELNS0_4arch9wavefront6targetE1EEEvT1_
	.globl	_ZN7rocprim17ROCPRIM_400000_NS6detail17trampoline_kernelINS0_14default_configENS1_27scan_by_key_config_selectorIiiEEZZNS1_16scan_by_key_implILNS1_25lookback_scan_determinismE0ELb0ES3_N6thrust23THRUST_200600_302600_NS10device_ptrIiEESB_SB_iNS9_4plusIvEENS9_8equal_toIvEEiEE10hipError_tPvRmT2_T3_T4_T5_mT6_T7_P12ihipStream_tbENKUlT_T0_E_clISt17integral_constantIbLb1EESW_EEDaSR_SS_EUlSR_E_NS1_11comp_targetILNS1_3genE2ELNS1_11target_archE906ELNS1_3gpuE6ELNS1_3repE0EEENS1_30default_config_static_selectorELNS0_4arch9wavefront6targetE1EEEvT1_
	.p2align	8
	.type	_ZN7rocprim17ROCPRIM_400000_NS6detail17trampoline_kernelINS0_14default_configENS1_27scan_by_key_config_selectorIiiEEZZNS1_16scan_by_key_implILNS1_25lookback_scan_determinismE0ELb0ES3_N6thrust23THRUST_200600_302600_NS10device_ptrIiEESB_SB_iNS9_4plusIvEENS9_8equal_toIvEEiEE10hipError_tPvRmT2_T3_T4_T5_mT6_T7_P12ihipStream_tbENKUlT_T0_E_clISt17integral_constantIbLb1EESW_EEDaSR_SS_EUlSR_E_NS1_11comp_targetILNS1_3genE2ELNS1_11target_archE906ELNS1_3gpuE6ELNS1_3repE0EEENS1_30default_config_static_selectorELNS0_4arch9wavefront6targetE1EEEvT1_,@function
_ZN7rocprim17ROCPRIM_400000_NS6detail17trampoline_kernelINS0_14default_configENS1_27scan_by_key_config_selectorIiiEEZZNS1_16scan_by_key_implILNS1_25lookback_scan_determinismE0ELb0ES3_N6thrust23THRUST_200600_302600_NS10device_ptrIiEESB_SB_iNS9_4plusIvEENS9_8equal_toIvEEiEE10hipError_tPvRmT2_T3_T4_T5_mT6_T7_P12ihipStream_tbENKUlT_T0_E_clISt17integral_constantIbLb1EESW_EEDaSR_SS_EUlSR_E_NS1_11comp_targetILNS1_3genE2ELNS1_11target_archE906ELNS1_3gpuE6ELNS1_3repE0EEENS1_30default_config_static_selectorELNS0_4arch9wavefront6targetE1EEEvT1_: ; @_ZN7rocprim17ROCPRIM_400000_NS6detail17trampoline_kernelINS0_14default_configENS1_27scan_by_key_config_selectorIiiEEZZNS1_16scan_by_key_implILNS1_25lookback_scan_determinismE0ELb0ES3_N6thrust23THRUST_200600_302600_NS10device_ptrIiEESB_SB_iNS9_4plusIvEENS9_8equal_toIvEEiEE10hipError_tPvRmT2_T3_T4_T5_mT6_T7_P12ihipStream_tbENKUlT_T0_E_clISt17integral_constantIbLb1EESW_EEDaSR_SS_EUlSR_E_NS1_11comp_targetILNS1_3genE2ELNS1_11target_archE906ELNS1_3gpuE6ELNS1_3repE0EEENS1_30default_config_static_selectorELNS0_4arch9wavefront6targetE1EEEvT1_
; %bb.0:
	.section	.rodata,"a",@progbits
	.p2align	6, 0x0
	.amdhsa_kernel _ZN7rocprim17ROCPRIM_400000_NS6detail17trampoline_kernelINS0_14default_configENS1_27scan_by_key_config_selectorIiiEEZZNS1_16scan_by_key_implILNS1_25lookback_scan_determinismE0ELb0ES3_N6thrust23THRUST_200600_302600_NS10device_ptrIiEESB_SB_iNS9_4plusIvEENS9_8equal_toIvEEiEE10hipError_tPvRmT2_T3_T4_T5_mT6_T7_P12ihipStream_tbENKUlT_T0_E_clISt17integral_constantIbLb1EESW_EEDaSR_SS_EUlSR_E_NS1_11comp_targetILNS1_3genE2ELNS1_11target_archE906ELNS1_3gpuE6ELNS1_3repE0EEENS1_30default_config_static_selectorELNS0_4arch9wavefront6targetE1EEEvT1_
		.amdhsa_group_segment_fixed_size 0
		.amdhsa_private_segment_fixed_size 0
		.amdhsa_kernarg_size 112
		.amdhsa_user_sgpr_count 6
		.amdhsa_user_sgpr_private_segment_buffer 1
		.amdhsa_user_sgpr_dispatch_ptr 0
		.amdhsa_user_sgpr_queue_ptr 0
		.amdhsa_user_sgpr_kernarg_segment_ptr 1
		.amdhsa_user_sgpr_dispatch_id 0
		.amdhsa_user_sgpr_flat_scratch_init 0
		.amdhsa_user_sgpr_kernarg_preload_length 0
		.amdhsa_user_sgpr_kernarg_preload_offset 0
		.amdhsa_user_sgpr_private_segment_size 0
		.amdhsa_uses_dynamic_stack 0
		.amdhsa_system_sgpr_private_segment_wavefront_offset 0
		.amdhsa_system_sgpr_workgroup_id_x 1
		.amdhsa_system_sgpr_workgroup_id_y 0
		.amdhsa_system_sgpr_workgroup_id_z 0
		.amdhsa_system_sgpr_workgroup_info 0
		.amdhsa_system_vgpr_workitem_id 0
		.amdhsa_next_free_vgpr 1
		.amdhsa_next_free_sgpr 0
		.amdhsa_accum_offset 4
		.amdhsa_reserve_vcc 0
		.amdhsa_reserve_flat_scratch 0
		.amdhsa_float_round_mode_32 0
		.amdhsa_float_round_mode_16_64 0
		.amdhsa_float_denorm_mode_32 3
		.amdhsa_float_denorm_mode_16_64 3
		.amdhsa_dx10_clamp 1
		.amdhsa_ieee_mode 1
		.amdhsa_fp16_overflow 0
		.amdhsa_tg_split 0
		.amdhsa_exception_fp_ieee_invalid_op 0
		.amdhsa_exception_fp_denorm_src 0
		.amdhsa_exception_fp_ieee_div_zero 0
		.amdhsa_exception_fp_ieee_overflow 0
		.amdhsa_exception_fp_ieee_underflow 0
		.amdhsa_exception_fp_ieee_inexact 0
		.amdhsa_exception_int_div_zero 0
	.end_amdhsa_kernel
	.section	.text._ZN7rocprim17ROCPRIM_400000_NS6detail17trampoline_kernelINS0_14default_configENS1_27scan_by_key_config_selectorIiiEEZZNS1_16scan_by_key_implILNS1_25lookback_scan_determinismE0ELb0ES3_N6thrust23THRUST_200600_302600_NS10device_ptrIiEESB_SB_iNS9_4plusIvEENS9_8equal_toIvEEiEE10hipError_tPvRmT2_T3_T4_T5_mT6_T7_P12ihipStream_tbENKUlT_T0_E_clISt17integral_constantIbLb1EESW_EEDaSR_SS_EUlSR_E_NS1_11comp_targetILNS1_3genE2ELNS1_11target_archE906ELNS1_3gpuE6ELNS1_3repE0EEENS1_30default_config_static_selectorELNS0_4arch9wavefront6targetE1EEEvT1_,"axG",@progbits,_ZN7rocprim17ROCPRIM_400000_NS6detail17trampoline_kernelINS0_14default_configENS1_27scan_by_key_config_selectorIiiEEZZNS1_16scan_by_key_implILNS1_25lookback_scan_determinismE0ELb0ES3_N6thrust23THRUST_200600_302600_NS10device_ptrIiEESB_SB_iNS9_4plusIvEENS9_8equal_toIvEEiEE10hipError_tPvRmT2_T3_T4_T5_mT6_T7_P12ihipStream_tbENKUlT_T0_E_clISt17integral_constantIbLb1EESW_EEDaSR_SS_EUlSR_E_NS1_11comp_targetILNS1_3genE2ELNS1_11target_archE906ELNS1_3gpuE6ELNS1_3repE0EEENS1_30default_config_static_selectorELNS0_4arch9wavefront6targetE1EEEvT1_,comdat
.Lfunc_end2209:
	.size	_ZN7rocprim17ROCPRIM_400000_NS6detail17trampoline_kernelINS0_14default_configENS1_27scan_by_key_config_selectorIiiEEZZNS1_16scan_by_key_implILNS1_25lookback_scan_determinismE0ELb0ES3_N6thrust23THRUST_200600_302600_NS10device_ptrIiEESB_SB_iNS9_4plusIvEENS9_8equal_toIvEEiEE10hipError_tPvRmT2_T3_T4_T5_mT6_T7_P12ihipStream_tbENKUlT_T0_E_clISt17integral_constantIbLb1EESW_EEDaSR_SS_EUlSR_E_NS1_11comp_targetILNS1_3genE2ELNS1_11target_archE906ELNS1_3gpuE6ELNS1_3repE0EEENS1_30default_config_static_selectorELNS0_4arch9wavefront6targetE1EEEvT1_, .Lfunc_end2209-_ZN7rocprim17ROCPRIM_400000_NS6detail17trampoline_kernelINS0_14default_configENS1_27scan_by_key_config_selectorIiiEEZZNS1_16scan_by_key_implILNS1_25lookback_scan_determinismE0ELb0ES3_N6thrust23THRUST_200600_302600_NS10device_ptrIiEESB_SB_iNS9_4plusIvEENS9_8equal_toIvEEiEE10hipError_tPvRmT2_T3_T4_T5_mT6_T7_P12ihipStream_tbENKUlT_T0_E_clISt17integral_constantIbLb1EESW_EEDaSR_SS_EUlSR_E_NS1_11comp_targetILNS1_3genE2ELNS1_11target_archE906ELNS1_3gpuE6ELNS1_3repE0EEENS1_30default_config_static_selectorELNS0_4arch9wavefront6targetE1EEEvT1_
                                        ; -- End function
	.section	.AMDGPU.csdata,"",@progbits
; Kernel info:
; codeLenInByte = 0
; NumSgprs: 4
; NumVgprs: 0
; NumAgprs: 0
; TotalNumVgprs: 0
; ScratchSize: 0
; MemoryBound: 0
; FloatMode: 240
; IeeeMode: 1
; LDSByteSize: 0 bytes/workgroup (compile time only)
; SGPRBlocks: 0
; VGPRBlocks: 0
; NumSGPRsForWavesPerEU: 4
; NumVGPRsForWavesPerEU: 1
; AccumOffset: 4
; Occupancy: 8
; WaveLimiterHint : 0
; COMPUTE_PGM_RSRC2:SCRATCH_EN: 0
; COMPUTE_PGM_RSRC2:USER_SGPR: 6
; COMPUTE_PGM_RSRC2:TRAP_HANDLER: 0
; COMPUTE_PGM_RSRC2:TGID_X_EN: 1
; COMPUTE_PGM_RSRC2:TGID_Y_EN: 0
; COMPUTE_PGM_RSRC2:TGID_Z_EN: 0
; COMPUTE_PGM_RSRC2:TIDIG_COMP_CNT: 0
; COMPUTE_PGM_RSRC3_GFX90A:ACCUM_OFFSET: 0
; COMPUTE_PGM_RSRC3_GFX90A:TG_SPLIT: 0
	.section	.text._ZN7rocprim17ROCPRIM_400000_NS6detail17trampoline_kernelINS0_14default_configENS1_27scan_by_key_config_selectorIiiEEZZNS1_16scan_by_key_implILNS1_25lookback_scan_determinismE0ELb0ES3_N6thrust23THRUST_200600_302600_NS10device_ptrIiEESB_SB_iNS9_4plusIvEENS9_8equal_toIvEEiEE10hipError_tPvRmT2_T3_T4_T5_mT6_T7_P12ihipStream_tbENKUlT_T0_E_clISt17integral_constantIbLb1EESW_EEDaSR_SS_EUlSR_E_NS1_11comp_targetILNS1_3genE10ELNS1_11target_archE1200ELNS1_3gpuE4ELNS1_3repE0EEENS1_30default_config_static_selectorELNS0_4arch9wavefront6targetE1EEEvT1_,"axG",@progbits,_ZN7rocprim17ROCPRIM_400000_NS6detail17trampoline_kernelINS0_14default_configENS1_27scan_by_key_config_selectorIiiEEZZNS1_16scan_by_key_implILNS1_25lookback_scan_determinismE0ELb0ES3_N6thrust23THRUST_200600_302600_NS10device_ptrIiEESB_SB_iNS9_4plusIvEENS9_8equal_toIvEEiEE10hipError_tPvRmT2_T3_T4_T5_mT6_T7_P12ihipStream_tbENKUlT_T0_E_clISt17integral_constantIbLb1EESW_EEDaSR_SS_EUlSR_E_NS1_11comp_targetILNS1_3genE10ELNS1_11target_archE1200ELNS1_3gpuE4ELNS1_3repE0EEENS1_30default_config_static_selectorELNS0_4arch9wavefront6targetE1EEEvT1_,comdat
	.protected	_ZN7rocprim17ROCPRIM_400000_NS6detail17trampoline_kernelINS0_14default_configENS1_27scan_by_key_config_selectorIiiEEZZNS1_16scan_by_key_implILNS1_25lookback_scan_determinismE0ELb0ES3_N6thrust23THRUST_200600_302600_NS10device_ptrIiEESB_SB_iNS9_4plusIvEENS9_8equal_toIvEEiEE10hipError_tPvRmT2_T3_T4_T5_mT6_T7_P12ihipStream_tbENKUlT_T0_E_clISt17integral_constantIbLb1EESW_EEDaSR_SS_EUlSR_E_NS1_11comp_targetILNS1_3genE10ELNS1_11target_archE1200ELNS1_3gpuE4ELNS1_3repE0EEENS1_30default_config_static_selectorELNS0_4arch9wavefront6targetE1EEEvT1_ ; -- Begin function _ZN7rocprim17ROCPRIM_400000_NS6detail17trampoline_kernelINS0_14default_configENS1_27scan_by_key_config_selectorIiiEEZZNS1_16scan_by_key_implILNS1_25lookback_scan_determinismE0ELb0ES3_N6thrust23THRUST_200600_302600_NS10device_ptrIiEESB_SB_iNS9_4plusIvEENS9_8equal_toIvEEiEE10hipError_tPvRmT2_T3_T4_T5_mT6_T7_P12ihipStream_tbENKUlT_T0_E_clISt17integral_constantIbLb1EESW_EEDaSR_SS_EUlSR_E_NS1_11comp_targetILNS1_3genE10ELNS1_11target_archE1200ELNS1_3gpuE4ELNS1_3repE0EEENS1_30default_config_static_selectorELNS0_4arch9wavefront6targetE1EEEvT1_
	.globl	_ZN7rocprim17ROCPRIM_400000_NS6detail17trampoline_kernelINS0_14default_configENS1_27scan_by_key_config_selectorIiiEEZZNS1_16scan_by_key_implILNS1_25lookback_scan_determinismE0ELb0ES3_N6thrust23THRUST_200600_302600_NS10device_ptrIiEESB_SB_iNS9_4plusIvEENS9_8equal_toIvEEiEE10hipError_tPvRmT2_T3_T4_T5_mT6_T7_P12ihipStream_tbENKUlT_T0_E_clISt17integral_constantIbLb1EESW_EEDaSR_SS_EUlSR_E_NS1_11comp_targetILNS1_3genE10ELNS1_11target_archE1200ELNS1_3gpuE4ELNS1_3repE0EEENS1_30default_config_static_selectorELNS0_4arch9wavefront6targetE1EEEvT1_
	.p2align	8
	.type	_ZN7rocprim17ROCPRIM_400000_NS6detail17trampoline_kernelINS0_14default_configENS1_27scan_by_key_config_selectorIiiEEZZNS1_16scan_by_key_implILNS1_25lookback_scan_determinismE0ELb0ES3_N6thrust23THRUST_200600_302600_NS10device_ptrIiEESB_SB_iNS9_4plusIvEENS9_8equal_toIvEEiEE10hipError_tPvRmT2_T3_T4_T5_mT6_T7_P12ihipStream_tbENKUlT_T0_E_clISt17integral_constantIbLb1EESW_EEDaSR_SS_EUlSR_E_NS1_11comp_targetILNS1_3genE10ELNS1_11target_archE1200ELNS1_3gpuE4ELNS1_3repE0EEENS1_30default_config_static_selectorELNS0_4arch9wavefront6targetE1EEEvT1_,@function
_ZN7rocprim17ROCPRIM_400000_NS6detail17trampoline_kernelINS0_14default_configENS1_27scan_by_key_config_selectorIiiEEZZNS1_16scan_by_key_implILNS1_25lookback_scan_determinismE0ELb0ES3_N6thrust23THRUST_200600_302600_NS10device_ptrIiEESB_SB_iNS9_4plusIvEENS9_8equal_toIvEEiEE10hipError_tPvRmT2_T3_T4_T5_mT6_T7_P12ihipStream_tbENKUlT_T0_E_clISt17integral_constantIbLb1EESW_EEDaSR_SS_EUlSR_E_NS1_11comp_targetILNS1_3genE10ELNS1_11target_archE1200ELNS1_3gpuE4ELNS1_3repE0EEENS1_30default_config_static_selectorELNS0_4arch9wavefront6targetE1EEEvT1_: ; @_ZN7rocprim17ROCPRIM_400000_NS6detail17trampoline_kernelINS0_14default_configENS1_27scan_by_key_config_selectorIiiEEZZNS1_16scan_by_key_implILNS1_25lookback_scan_determinismE0ELb0ES3_N6thrust23THRUST_200600_302600_NS10device_ptrIiEESB_SB_iNS9_4plusIvEENS9_8equal_toIvEEiEE10hipError_tPvRmT2_T3_T4_T5_mT6_T7_P12ihipStream_tbENKUlT_T0_E_clISt17integral_constantIbLb1EESW_EEDaSR_SS_EUlSR_E_NS1_11comp_targetILNS1_3genE10ELNS1_11target_archE1200ELNS1_3gpuE4ELNS1_3repE0EEENS1_30default_config_static_selectorELNS0_4arch9wavefront6targetE1EEEvT1_
; %bb.0:
	.section	.rodata,"a",@progbits
	.p2align	6, 0x0
	.amdhsa_kernel _ZN7rocprim17ROCPRIM_400000_NS6detail17trampoline_kernelINS0_14default_configENS1_27scan_by_key_config_selectorIiiEEZZNS1_16scan_by_key_implILNS1_25lookback_scan_determinismE0ELb0ES3_N6thrust23THRUST_200600_302600_NS10device_ptrIiEESB_SB_iNS9_4plusIvEENS9_8equal_toIvEEiEE10hipError_tPvRmT2_T3_T4_T5_mT6_T7_P12ihipStream_tbENKUlT_T0_E_clISt17integral_constantIbLb1EESW_EEDaSR_SS_EUlSR_E_NS1_11comp_targetILNS1_3genE10ELNS1_11target_archE1200ELNS1_3gpuE4ELNS1_3repE0EEENS1_30default_config_static_selectorELNS0_4arch9wavefront6targetE1EEEvT1_
		.amdhsa_group_segment_fixed_size 0
		.amdhsa_private_segment_fixed_size 0
		.amdhsa_kernarg_size 112
		.amdhsa_user_sgpr_count 6
		.amdhsa_user_sgpr_private_segment_buffer 1
		.amdhsa_user_sgpr_dispatch_ptr 0
		.amdhsa_user_sgpr_queue_ptr 0
		.amdhsa_user_sgpr_kernarg_segment_ptr 1
		.amdhsa_user_sgpr_dispatch_id 0
		.amdhsa_user_sgpr_flat_scratch_init 0
		.amdhsa_user_sgpr_kernarg_preload_length 0
		.amdhsa_user_sgpr_kernarg_preload_offset 0
		.amdhsa_user_sgpr_private_segment_size 0
		.amdhsa_uses_dynamic_stack 0
		.amdhsa_system_sgpr_private_segment_wavefront_offset 0
		.amdhsa_system_sgpr_workgroup_id_x 1
		.amdhsa_system_sgpr_workgroup_id_y 0
		.amdhsa_system_sgpr_workgroup_id_z 0
		.amdhsa_system_sgpr_workgroup_info 0
		.amdhsa_system_vgpr_workitem_id 0
		.amdhsa_next_free_vgpr 1
		.amdhsa_next_free_sgpr 0
		.amdhsa_accum_offset 4
		.amdhsa_reserve_vcc 0
		.amdhsa_reserve_flat_scratch 0
		.amdhsa_float_round_mode_32 0
		.amdhsa_float_round_mode_16_64 0
		.amdhsa_float_denorm_mode_32 3
		.amdhsa_float_denorm_mode_16_64 3
		.amdhsa_dx10_clamp 1
		.amdhsa_ieee_mode 1
		.amdhsa_fp16_overflow 0
		.amdhsa_tg_split 0
		.amdhsa_exception_fp_ieee_invalid_op 0
		.amdhsa_exception_fp_denorm_src 0
		.amdhsa_exception_fp_ieee_div_zero 0
		.amdhsa_exception_fp_ieee_overflow 0
		.amdhsa_exception_fp_ieee_underflow 0
		.amdhsa_exception_fp_ieee_inexact 0
		.amdhsa_exception_int_div_zero 0
	.end_amdhsa_kernel
	.section	.text._ZN7rocprim17ROCPRIM_400000_NS6detail17trampoline_kernelINS0_14default_configENS1_27scan_by_key_config_selectorIiiEEZZNS1_16scan_by_key_implILNS1_25lookback_scan_determinismE0ELb0ES3_N6thrust23THRUST_200600_302600_NS10device_ptrIiEESB_SB_iNS9_4plusIvEENS9_8equal_toIvEEiEE10hipError_tPvRmT2_T3_T4_T5_mT6_T7_P12ihipStream_tbENKUlT_T0_E_clISt17integral_constantIbLb1EESW_EEDaSR_SS_EUlSR_E_NS1_11comp_targetILNS1_3genE10ELNS1_11target_archE1200ELNS1_3gpuE4ELNS1_3repE0EEENS1_30default_config_static_selectorELNS0_4arch9wavefront6targetE1EEEvT1_,"axG",@progbits,_ZN7rocprim17ROCPRIM_400000_NS6detail17trampoline_kernelINS0_14default_configENS1_27scan_by_key_config_selectorIiiEEZZNS1_16scan_by_key_implILNS1_25lookback_scan_determinismE0ELb0ES3_N6thrust23THRUST_200600_302600_NS10device_ptrIiEESB_SB_iNS9_4plusIvEENS9_8equal_toIvEEiEE10hipError_tPvRmT2_T3_T4_T5_mT6_T7_P12ihipStream_tbENKUlT_T0_E_clISt17integral_constantIbLb1EESW_EEDaSR_SS_EUlSR_E_NS1_11comp_targetILNS1_3genE10ELNS1_11target_archE1200ELNS1_3gpuE4ELNS1_3repE0EEENS1_30default_config_static_selectorELNS0_4arch9wavefront6targetE1EEEvT1_,comdat
.Lfunc_end2210:
	.size	_ZN7rocprim17ROCPRIM_400000_NS6detail17trampoline_kernelINS0_14default_configENS1_27scan_by_key_config_selectorIiiEEZZNS1_16scan_by_key_implILNS1_25lookback_scan_determinismE0ELb0ES3_N6thrust23THRUST_200600_302600_NS10device_ptrIiEESB_SB_iNS9_4plusIvEENS9_8equal_toIvEEiEE10hipError_tPvRmT2_T3_T4_T5_mT6_T7_P12ihipStream_tbENKUlT_T0_E_clISt17integral_constantIbLb1EESW_EEDaSR_SS_EUlSR_E_NS1_11comp_targetILNS1_3genE10ELNS1_11target_archE1200ELNS1_3gpuE4ELNS1_3repE0EEENS1_30default_config_static_selectorELNS0_4arch9wavefront6targetE1EEEvT1_, .Lfunc_end2210-_ZN7rocprim17ROCPRIM_400000_NS6detail17trampoline_kernelINS0_14default_configENS1_27scan_by_key_config_selectorIiiEEZZNS1_16scan_by_key_implILNS1_25lookback_scan_determinismE0ELb0ES3_N6thrust23THRUST_200600_302600_NS10device_ptrIiEESB_SB_iNS9_4plusIvEENS9_8equal_toIvEEiEE10hipError_tPvRmT2_T3_T4_T5_mT6_T7_P12ihipStream_tbENKUlT_T0_E_clISt17integral_constantIbLb1EESW_EEDaSR_SS_EUlSR_E_NS1_11comp_targetILNS1_3genE10ELNS1_11target_archE1200ELNS1_3gpuE4ELNS1_3repE0EEENS1_30default_config_static_selectorELNS0_4arch9wavefront6targetE1EEEvT1_
                                        ; -- End function
	.section	.AMDGPU.csdata,"",@progbits
; Kernel info:
; codeLenInByte = 0
; NumSgprs: 4
; NumVgprs: 0
; NumAgprs: 0
; TotalNumVgprs: 0
; ScratchSize: 0
; MemoryBound: 0
; FloatMode: 240
; IeeeMode: 1
; LDSByteSize: 0 bytes/workgroup (compile time only)
; SGPRBlocks: 0
; VGPRBlocks: 0
; NumSGPRsForWavesPerEU: 4
; NumVGPRsForWavesPerEU: 1
; AccumOffset: 4
; Occupancy: 8
; WaveLimiterHint : 0
; COMPUTE_PGM_RSRC2:SCRATCH_EN: 0
; COMPUTE_PGM_RSRC2:USER_SGPR: 6
; COMPUTE_PGM_RSRC2:TRAP_HANDLER: 0
; COMPUTE_PGM_RSRC2:TGID_X_EN: 1
; COMPUTE_PGM_RSRC2:TGID_Y_EN: 0
; COMPUTE_PGM_RSRC2:TGID_Z_EN: 0
; COMPUTE_PGM_RSRC2:TIDIG_COMP_CNT: 0
; COMPUTE_PGM_RSRC3_GFX90A:ACCUM_OFFSET: 0
; COMPUTE_PGM_RSRC3_GFX90A:TG_SPLIT: 0
	.section	.text._ZN7rocprim17ROCPRIM_400000_NS6detail17trampoline_kernelINS0_14default_configENS1_27scan_by_key_config_selectorIiiEEZZNS1_16scan_by_key_implILNS1_25lookback_scan_determinismE0ELb0ES3_N6thrust23THRUST_200600_302600_NS10device_ptrIiEESB_SB_iNS9_4plusIvEENS9_8equal_toIvEEiEE10hipError_tPvRmT2_T3_T4_T5_mT6_T7_P12ihipStream_tbENKUlT_T0_E_clISt17integral_constantIbLb1EESW_EEDaSR_SS_EUlSR_E_NS1_11comp_targetILNS1_3genE9ELNS1_11target_archE1100ELNS1_3gpuE3ELNS1_3repE0EEENS1_30default_config_static_selectorELNS0_4arch9wavefront6targetE1EEEvT1_,"axG",@progbits,_ZN7rocprim17ROCPRIM_400000_NS6detail17trampoline_kernelINS0_14default_configENS1_27scan_by_key_config_selectorIiiEEZZNS1_16scan_by_key_implILNS1_25lookback_scan_determinismE0ELb0ES3_N6thrust23THRUST_200600_302600_NS10device_ptrIiEESB_SB_iNS9_4plusIvEENS9_8equal_toIvEEiEE10hipError_tPvRmT2_T3_T4_T5_mT6_T7_P12ihipStream_tbENKUlT_T0_E_clISt17integral_constantIbLb1EESW_EEDaSR_SS_EUlSR_E_NS1_11comp_targetILNS1_3genE9ELNS1_11target_archE1100ELNS1_3gpuE3ELNS1_3repE0EEENS1_30default_config_static_selectorELNS0_4arch9wavefront6targetE1EEEvT1_,comdat
	.protected	_ZN7rocprim17ROCPRIM_400000_NS6detail17trampoline_kernelINS0_14default_configENS1_27scan_by_key_config_selectorIiiEEZZNS1_16scan_by_key_implILNS1_25lookback_scan_determinismE0ELb0ES3_N6thrust23THRUST_200600_302600_NS10device_ptrIiEESB_SB_iNS9_4plusIvEENS9_8equal_toIvEEiEE10hipError_tPvRmT2_T3_T4_T5_mT6_T7_P12ihipStream_tbENKUlT_T0_E_clISt17integral_constantIbLb1EESW_EEDaSR_SS_EUlSR_E_NS1_11comp_targetILNS1_3genE9ELNS1_11target_archE1100ELNS1_3gpuE3ELNS1_3repE0EEENS1_30default_config_static_selectorELNS0_4arch9wavefront6targetE1EEEvT1_ ; -- Begin function _ZN7rocprim17ROCPRIM_400000_NS6detail17trampoline_kernelINS0_14default_configENS1_27scan_by_key_config_selectorIiiEEZZNS1_16scan_by_key_implILNS1_25lookback_scan_determinismE0ELb0ES3_N6thrust23THRUST_200600_302600_NS10device_ptrIiEESB_SB_iNS9_4plusIvEENS9_8equal_toIvEEiEE10hipError_tPvRmT2_T3_T4_T5_mT6_T7_P12ihipStream_tbENKUlT_T0_E_clISt17integral_constantIbLb1EESW_EEDaSR_SS_EUlSR_E_NS1_11comp_targetILNS1_3genE9ELNS1_11target_archE1100ELNS1_3gpuE3ELNS1_3repE0EEENS1_30default_config_static_selectorELNS0_4arch9wavefront6targetE1EEEvT1_
	.globl	_ZN7rocprim17ROCPRIM_400000_NS6detail17trampoline_kernelINS0_14default_configENS1_27scan_by_key_config_selectorIiiEEZZNS1_16scan_by_key_implILNS1_25lookback_scan_determinismE0ELb0ES3_N6thrust23THRUST_200600_302600_NS10device_ptrIiEESB_SB_iNS9_4plusIvEENS9_8equal_toIvEEiEE10hipError_tPvRmT2_T3_T4_T5_mT6_T7_P12ihipStream_tbENKUlT_T0_E_clISt17integral_constantIbLb1EESW_EEDaSR_SS_EUlSR_E_NS1_11comp_targetILNS1_3genE9ELNS1_11target_archE1100ELNS1_3gpuE3ELNS1_3repE0EEENS1_30default_config_static_selectorELNS0_4arch9wavefront6targetE1EEEvT1_
	.p2align	8
	.type	_ZN7rocprim17ROCPRIM_400000_NS6detail17trampoline_kernelINS0_14default_configENS1_27scan_by_key_config_selectorIiiEEZZNS1_16scan_by_key_implILNS1_25lookback_scan_determinismE0ELb0ES3_N6thrust23THRUST_200600_302600_NS10device_ptrIiEESB_SB_iNS9_4plusIvEENS9_8equal_toIvEEiEE10hipError_tPvRmT2_T3_T4_T5_mT6_T7_P12ihipStream_tbENKUlT_T0_E_clISt17integral_constantIbLb1EESW_EEDaSR_SS_EUlSR_E_NS1_11comp_targetILNS1_3genE9ELNS1_11target_archE1100ELNS1_3gpuE3ELNS1_3repE0EEENS1_30default_config_static_selectorELNS0_4arch9wavefront6targetE1EEEvT1_,@function
_ZN7rocprim17ROCPRIM_400000_NS6detail17trampoline_kernelINS0_14default_configENS1_27scan_by_key_config_selectorIiiEEZZNS1_16scan_by_key_implILNS1_25lookback_scan_determinismE0ELb0ES3_N6thrust23THRUST_200600_302600_NS10device_ptrIiEESB_SB_iNS9_4plusIvEENS9_8equal_toIvEEiEE10hipError_tPvRmT2_T3_T4_T5_mT6_T7_P12ihipStream_tbENKUlT_T0_E_clISt17integral_constantIbLb1EESW_EEDaSR_SS_EUlSR_E_NS1_11comp_targetILNS1_3genE9ELNS1_11target_archE1100ELNS1_3gpuE3ELNS1_3repE0EEENS1_30default_config_static_selectorELNS0_4arch9wavefront6targetE1EEEvT1_: ; @_ZN7rocprim17ROCPRIM_400000_NS6detail17trampoline_kernelINS0_14default_configENS1_27scan_by_key_config_selectorIiiEEZZNS1_16scan_by_key_implILNS1_25lookback_scan_determinismE0ELb0ES3_N6thrust23THRUST_200600_302600_NS10device_ptrIiEESB_SB_iNS9_4plusIvEENS9_8equal_toIvEEiEE10hipError_tPvRmT2_T3_T4_T5_mT6_T7_P12ihipStream_tbENKUlT_T0_E_clISt17integral_constantIbLb1EESW_EEDaSR_SS_EUlSR_E_NS1_11comp_targetILNS1_3genE9ELNS1_11target_archE1100ELNS1_3gpuE3ELNS1_3repE0EEENS1_30default_config_static_selectorELNS0_4arch9wavefront6targetE1EEEvT1_
; %bb.0:
	.section	.rodata,"a",@progbits
	.p2align	6, 0x0
	.amdhsa_kernel _ZN7rocprim17ROCPRIM_400000_NS6detail17trampoline_kernelINS0_14default_configENS1_27scan_by_key_config_selectorIiiEEZZNS1_16scan_by_key_implILNS1_25lookback_scan_determinismE0ELb0ES3_N6thrust23THRUST_200600_302600_NS10device_ptrIiEESB_SB_iNS9_4plusIvEENS9_8equal_toIvEEiEE10hipError_tPvRmT2_T3_T4_T5_mT6_T7_P12ihipStream_tbENKUlT_T0_E_clISt17integral_constantIbLb1EESW_EEDaSR_SS_EUlSR_E_NS1_11comp_targetILNS1_3genE9ELNS1_11target_archE1100ELNS1_3gpuE3ELNS1_3repE0EEENS1_30default_config_static_selectorELNS0_4arch9wavefront6targetE1EEEvT1_
		.amdhsa_group_segment_fixed_size 0
		.amdhsa_private_segment_fixed_size 0
		.amdhsa_kernarg_size 112
		.amdhsa_user_sgpr_count 6
		.amdhsa_user_sgpr_private_segment_buffer 1
		.amdhsa_user_sgpr_dispatch_ptr 0
		.amdhsa_user_sgpr_queue_ptr 0
		.amdhsa_user_sgpr_kernarg_segment_ptr 1
		.amdhsa_user_sgpr_dispatch_id 0
		.amdhsa_user_sgpr_flat_scratch_init 0
		.amdhsa_user_sgpr_kernarg_preload_length 0
		.amdhsa_user_sgpr_kernarg_preload_offset 0
		.amdhsa_user_sgpr_private_segment_size 0
		.amdhsa_uses_dynamic_stack 0
		.amdhsa_system_sgpr_private_segment_wavefront_offset 0
		.amdhsa_system_sgpr_workgroup_id_x 1
		.amdhsa_system_sgpr_workgroup_id_y 0
		.amdhsa_system_sgpr_workgroup_id_z 0
		.amdhsa_system_sgpr_workgroup_info 0
		.amdhsa_system_vgpr_workitem_id 0
		.amdhsa_next_free_vgpr 1
		.amdhsa_next_free_sgpr 0
		.amdhsa_accum_offset 4
		.amdhsa_reserve_vcc 0
		.amdhsa_reserve_flat_scratch 0
		.amdhsa_float_round_mode_32 0
		.amdhsa_float_round_mode_16_64 0
		.amdhsa_float_denorm_mode_32 3
		.amdhsa_float_denorm_mode_16_64 3
		.amdhsa_dx10_clamp 1
		.amdhsa_ieee_mode 1
		.amdhsa_fp16_overflow 0
		.amdhsa_tg_split 0
		.amdhsa_exception_fp_ieee_invalid_op 0
		.amdhsa_exception_fp_denorm_src 0
		.amdhsa_exception_fp_ieee_div_zero 0
		.amdhsa_exception_fp_ieee_overflow 0
		.amdhsa_exception_fp_ieee_underflow 0
		.amdhsa_exception_fp_ieee_inexact 0
		.amdhsa_exception_int_div_zero 0
	.end_amdhsa_kernel
	.section	.text._ZN7rocprim17ROCPRIM_400000_NS6detail17trampoline_kernelINS0_14default_configENS1_27scan_by_key_config_selectorIiiEEZZNS1_16scan_by_key_implILNS1_25lookback_scan_determinismE0ELb0ES3_N6thrust23THRUST_200600_302600_NS10device_ptrIiEESB_SB_iNS9_4plusIvEENS9_8equal_toIvEEiEE10hipError_tPvRmT2_T3_T4_T5_mT6_T7_P12ihipStream_tbENKUlT_T0_E_clISt17integral_constantIbLb1EESW_EEDaSR_SS_EUlSR_E_NS1_11comp_targetILNS1_3genE9ELNS1_11target_archE1100ELNS1_3gpuE3ELNS1_3repE0EEENS1_30default_config_static_selectorELNS0_4arch9wavefront6targetE1EEEvT1_,"axG",@progbits,_ZN7rocprim17ROCPRIM_400000_NS6detail17trampoline_kernelINS0_14default_configENS1_27scan_by_key_config_selectorIiiEEZZNS1_16scan_by_key_implILNS1_25lookback_scan_determinismE0ELb0ES3_N6thrust23THRUST_200600_302600_NS10device_ptrIiEESB_SB_iNS9_4plusIvEENS9_8equal_toIvEEiEE10hipError_tPvRmT2_T3_T4_T5_mT6_T7_P12ihipStream_tbENKUlT_T0_E_clISt17integral_constantIbLb1EESW_EEDaSR_SS_EUlSR_E_NS1_11comp_targetILNS1_3genE9ELNS1_11target_archE1100ELNS1_3gpuE3ELNS1_3repE0EEENS1_30default_config_static_selectorELNS0_4arch9wavefront6targetE1EEEvT1_,comdat
.Lfunc_end2211:
	.size	_ZN7rocprim17ROCPRIM_400000_NS6detail17trampoline_kernelINS0_14default_configENS1_27scan_by_key_config_selectorIiiEEZZNS1_16scan_by_key_implILNS1_25lookback_scan_determinismE0ELb0ES3_N6thrust23THRUST_200600_302600_NS10device_ptrIiEESB_SB_iNS9_4plusIvEENS9_8equal_toIvEEiEE10hipError_tPvRmT2_T3_T4_T5_mT6_T7_P12ihipStream_tbENKUlT_T0_E_clISt17integral_constantIbLb1EESW_EEDaSR_SS_EUlSR_E_NS1_11comp_targetILNS1_3genE9ELNS1_11target_archE1100ELNS1_3gpuE3ELNS1_3repE0EEENS1_30default_config_static_selectorELNS0_4arch9wavefront6targetE1EEEvT1_, .Lfunc_end2211-_ZN7rocprim17ROCPRIM_400000_NS6detail17trampoline_kernelINS0_14default_configENS1_27scan_by_key_config_selectorIiiEEZZNS1_16scan_by_key_implILNS1_25lookback_scan_determinismE0ELb0ES3_N6thrust23THRUST_200600_302600_NS10device_ptrIiEESB_SB_iNS9_4plusIvEENS9_8equal_toIvEEiEE10hipError_tPvRmT2_T3_T4_T5_mT6_T7_P12ihipStream_tbENKUlT_T0_E_clISt17integral_constantIbLb1EESW_EEDaSR_SS_EUlSR_E_NS1_11comp_targetILNS1_3genE9ELNS1_11target_archE1100ELNS1_3gpuE3ELNS1_3repE0EEENS1_30default_config_static_selectorELNS0_4arch9wavefront6targetE1EEEvT1_
                                        ; -- End function
	.section	.AMDGPU.csdata,"",@progbits
; Kernel info:
; codeLenInByte = 0
; NumSgprs: 4
; NumVgprs: 0
; NumAgprs: 0
; TotalNumVgprs: 0
; ScratchSize: 0
; MemoryBound: 0
; FloatMode: 240
; IeeeMode: 1
; LDSByteSize: 0 bytes/workgroup (compile time only)
; SGPRBlocks: 0
; VGPRBlocks: 0
; NumSGPRsForWavesPerEU: 4
; NumVGPRsForWavesPerEU: 1
; AccumOffset: 4
; Occupancy: 8
; WaveLimiterHint : 0
; COMPUTE_PGM_RSRC2:SCRATCH_EN: 0
; COMPUTE_PGM_RSRC2:USER_SGPR: 6
; COMPUTE_PGM_RSRC2:TRAP_HANDLER: 0
; COMPUTE_PGM_RSRC2:TGID_X_EN: 1
; COMPUTE_PGM_RSRC2:TGID_Y_EN: 0
; COMPUTE_PGM_RSRC2:TGID_Z_EN: 0
; COMPUTE_PGM_RSRC2:TIDIG_COMP_CNT: 0
; COMPUTE_PGM_RSRC3_GFX90A:ACCUM_OFFSET: 0
; COMPUTE_PGM_RSRC3_GFX90A:TG_SPLIT: 0
	.section	.text._ZN7rocprim17ROCPRIM_400000_NS6detail17trampoline_kernelINS0_14default_configENS1_27scan_by_key_config_selectorIiiEEZZNS1_16scan_by_key_implILNS1_25lookback_scan_determinismE0ELb0ES3_N6thrust23THRUST_200600_302600_NS10device_ptrIiEESB_SB_iNS9_4plusIvEENS9_8equal_toIvEEiEE10hipError_tPvRmT2_T3_T4_T5_mT6_T7_P12ihipStream_tbENKUlT_T0_E_clISt17integral_constantIbLb1EESW_EEDaSR_SS_EUlSR_E_NS1_11comp_targetILNS1_3genE8ELNS1_11target_archE1030ELNS1_3gpuE2ELNS1_3repE0EEENS1_30default_config_static_selectorELNS0_4arch9wavefront6targetE1EEEvT1_,"axG",@progbits,_ZN7rocprim17ROCPRIM_400000_NS6detail17trampoline_kernelINS0_14default_configENS1_27scan_by_key_config_selectorIiiEEZZNS1_16scan_by_key_implILNS1_25lookback_scan_determinismE0ELb0ES3_N6thrust23THRUST_200600_302600_NS10device_ptrIiEESB_SB_iNS9_4plusIvEENS9_8equal_toIvEEiEE10hipError_tPvRmT2_T3_T4_T5_mT6_T7_P12ihipStream_tbENKUlT_T0_E_clISt17integral_constantIbLb1EESW_EEDaSR_SS_EUlSR_E_NS1_11comp_targetILNS1_3genE8ELNS1_11target_archE1030ELNS1_3gpuE2ELNS1_3repE0EEENS1_30default_config_static_selectorELNS0_4arch9wavefront6targetE1EEEvT1_,comdat
	.protected	_ZN7rocprim17ROCPRIM_400000_NS6detail17trampoline_kernelINS0_14default_configENS1_27scan_by_key_config_selectorIiiEEZZNS1_16scan_by_key_implILNS1_25lookback_scan_determinismE0ELb0ES3_N6thrust23THRUST_200600_302600_NS10device_ptrIiEESB_SB_iNS9_4plusIvEENS9_8equal_toIvEEiEE10hipError_tPvRmT2_T3_T4_T5_mT6_T7_P12ihipStream_tbENKUlT_T0_E_clISt17integral_constantIbLb1EESW_EEDaSR_SS_EUlSR_E_NS1_11comp_targetILNS1_3genE8ELNS1_11target_archE1030ELNS1_3gpuE2ELNS1_3repE0EEENS1_30default_config_static_selectorELNS0_4arch9wavefront6targetE1EEEvT1_ ; -- Begin function _ZN7rocprim17ROCPRIM_400000_NS6detail17trampoline_kernelINS0_14default_configENS1_27scan_by_key_config_selectorIiiEEZZNS1_16scan_by_key_implILNS1_25lookback_scan_determinismE0ELb0ES3_N6thrust23THRUST_200600_302600_NS10device_ptrIiEESB_SB_iNS9_4plusIvEENS9_8equal_toIvEEiEE10hipError_tPvRmT2_T3_T4_T5_mT6_T7_P12ihipStream_tbENKUlT_T0_E_clISt17integral_constantIbLb1EESW_EEDaSR_SS_EUlSR_E_NS1_11comp_targetILNS1_3genE8ELNS1_11target_archE1030ELNS1_3gpuE2ELNS1_3repE0EEENS1_30default_config_static_selectorELNS0_4arch9wavefront6targetE1EEEvT1_
	.globl	_ZN7rocprim17ROCPRIM_400000_NS6detail17trampoline_kernelINS0_14default_configENS1_27scan_by_key_config_selectorIiiEEZZNS1_16scan_by_key_implILNS1_25lookback_scan_determinismE0ELb0ES3_N6thrust23THRUST_200600_302600_NS10device_ptrIiEESB_SB_iNS9_4plusIvEENS9_8equal_toIvEEiEE10hipError_tPvRmT2_T3_T4_T5_mT6_T7_P12ihipStream_tbENKUlT_T0_E_clISt17integral_constantIbLb1EESW_EEDaSR_SS_EUlSR_E_NS1_11comp_targetILNS1_3genE8ELNS1_11target_archE1030ELNS1_3gpuE2ELNS1_3repE0EEENS1_30default_config_static_selectorELNS0_4arch9wavefront6targetE1EEEvT1_
	.p2align	8
	.type	_ZN7rocprim17ROCPRIM_400000_NS6detail17trampoline_kernelINS0_14default_configENS1_27scan_by_key_config_selectorIiiEEZZNS1_16scan_by_key_implILNS1_25lookback_scan_determinismE0ELb0ES3_N6thrust23THRUST_200600_302600_NS10device_ptrIiEESB_SB_iNS9_4plusIvEENS9_8equal_toIvEEiEE10hipError_tPvRmT2_T3_T4_T5_mT6_T7_P12ihipStream_tbENKUlT_T0_E_clISt17integral_constantIbLb1EESW_EEDaSR_SS_EUlSR_E_NS1_11comp_targetILNS1_3genE8ELNS1_11target_archE1030ELNS1_3gpuE2ELNS1_3repE0EEENS1_30default_config_static_selectorELNS0_4arch9wavefront6targetE1EEEvT1_,@function
_ZN7rocprim17ROCPRIM_400000_NS6detail17trampoline_kernelINS0_14default_configENS1_27scan_by_key_config_selectorIiiEEZZNS1_16scan_by_key_implILNS1_25lookback_scan_determinismE0ELb0ES3_N6thrust23THRUST_200600_302600_NS10device_ptrIiEESB_SB_iNS9_4plusIvEENS9_8equal_toIvEEiEE10hipError_tPvRmT2_T3_T4_T5_mT6_T7_P12ihipStream_tbENKUlT_T0_E_clISt17integral_constantIbLb1EESW_EEDaSR_SS_EUlSR_E_NS1_11comp_targetILNS1_3genE8ELNS1_11target_archE1030ELNS1_3gpuE2ELNS1_3repE0EEENS1_30default_config_static_selectorELNS0_4arch9wavefront6targetE1EEEvT1_: ; @_ZN7rocprim17ROCPRIM_400000_NS6detail17trampoline_kernelINS0_14default_configENS1_27scan_by_key_config_selectorIiiEEZZNS1_16scan_by_key_implILNS1_25lookback_scan_determinismE0ELb0ES3_N6thrust23THRUST_200600_302600_NS10device_ptrIiEESB_SB_iNS9_4plusIvEENS9_8equal_toIvEEiEE10hipError_tPvRmT2_T3_T4_T5_mT6_T7_P12ihipStream_tbENKUlT_T0_E_clISt17integral_constantIbLb1EESW_EEDaSR_SS_EUlSR_E_NS1_11comp_targetILNS1_3genE8ELNS1_11target_archE1030ELNS1_3gpuE2ELNS1_3repE0EEENS1_30default_config_static_selectorELNS0_4arch9wavefront6targetE1EEEvT1_
; %bb.0:
	.section	.rodata,"a",@progbits
	.p2align	6, 0x0
	.amdhsa_kernel _ZN7rocprim17ROCPRIM_400000_NS6detail17trampoline_kernelINS0_14default_configENS1_27scan_by_key_config_selectorIiiEEZZNS1_16scan_by_key_implILNS1_25lookback_scan_determinismE0ELb0ES3_N6thrust23THRUST_200600_302600_NS10device_ptrIiEESB_SB_iNS9_4plusIvEENS9_8equal_toIvEEiEE10hipError_tPvRmT2_T3_T4_T5_mT6_T7_P12ihipStream_tbENKUlT_T0_E_clISt17integral_constantIbLb1EESW_EEDaSR_SS_EUlSR_E_NS1_11comp_targetILNS1_3genE8ELNS1_11target_archE1030ELNS1_3gpuE2ELNS1_3repE0EEENS1_30default_config_static_selectorELNS0_4arch9wavefront6targetE1EEEvT1_
		.amdhsa_group_segment_fixed_size 0
		.amdhsa_private_segment_fixed_size 0
		.amdhsa_kernarg_size 112
		.amdhsa_user_sgpr_count 6
		.amdhsa_user_sgpr_private_segment_buffer 1
		.amdhsa_user_sgpr_dispatch_ptr 0
		.amdhsa_user_sgpr_queue_ptr 0
		.amdhsa_user_sgpr_kernarg_segment_ptr 1
		.amdhsa_user_sgpr_dispatch_id 0
		.amdhsa_user_sgpr_flat_scratch_init 0
		.amdhsa_user_sgpr_kernarg_preload_length 0
		.amdhsa_user_sgpr_kernarg_preload_offset 0
		.amdhsa_user_sgpr_private_segment_size 0
		.amdhsa_uses_dynamic_stack 0
		.amdhsa_system_sgpr_private_segment_wavefront_offset 0
		.amdhsa_system_sgpr_workgroup_id_x 1
		.amdhsa_system_sgpr_workgroup_id_y 0
		.amdhsa_system_sgpr_workgroup_id_z 0
		.amdhsa_system_sgpr_workgroup_info 0
		.amdhsa_system_vgpr_workitem_id 0
		.amdhsa_next_free_vgpr 1
		.amdhsa_next_free_sgpr 0
		.amdhsa_accum_offset 4
		.amdhsa_reserve_vcc 0
		.amdhsa_reserve_flat_scratch 0
		.amdhsa_float_round_mode_32 0
		.amdhsa_float_round_mode_16_64 0
		.amdhsa_float_denorm_mode_32 3
		.amdhsa_float_denorm_mode_16_64 3
		.amdhsa_dx10_clamp 1
		.amdhsa_ieee_mode 1
		.amdhsa_fp16_overflow 0
		.amdhsa_tg_split 0
		.amdhsa_exception_fp_ieee_invalid_op 0
		.amdhsa_exception_fp_denorm_src 0
		.amdhsa_exception_fp_ieee_div_zero 0
		.amdhsa_exception_fp_ieee_overflow 0
		.amdhsa_exception_fp_ieee_underflow 0
		.amdhsa_exception_fp_ieee_inexact 0
		.amdhsa_exception_int_div_zero 0
	.end_amdhsa_kernel
	.section	.text._ZN7rocprim17ROCPRIM_400000_NS6detail17trampoline_kernelINS0_14default_configENS1_27scan_by_key_config_selectorIiiEEZZNS1_16scan_by_key_implILNS1_25lookback_scan_determinismE0ELb0ES3_N6thrust23THRUST_200600_302600_NS10device_ptrIiEESB_SB_iNS9_4plusIvEENS9_8equal_toIvEEiEE10hipError_tPvRmT2_T3_T4_T5_mT6_T7_P12ihipStream_tbENKUlT_T0_E_clISt17integral_constantIbLb1EESW_EEDaSR_SS_EUlSR_E_NS1_11comp_targetILNS1_3genE8ELNS1_11target_archE1030ELNS1_3gpuE2ELNS1_3repE0EEENS1_30default_config_static_selectorELNS0_4arch9wavefront6targetE1EEEvT1_,"axG",@progbits,_ZN7rocprim17ROCPRIM_400000_NS6detail17trampoline_kernelINS0_14default_configENS1_27scan_by_key_config_selectorIiiEEZZNS1_16scan_by_key_implILNS1_25lookback_scan_determinismE0ELb0ES3_N6thrust23THRUST_200600_302600_NS10device_ptrIiEESB_SB_iNS9_4plusIvEENS9_8equal_toIvEEiEE10hipError_tPvRmT2_T3_T4_T5_mT6_T7_P12ihipStream_tbENKUlT_T0_E_clISt17integral_constantIbLb1EESW_EEDaSR_SS_EUlSR_E_NS1_11comp_targetILNS1_3genE8ELNS1_11target_archE1030ELNS1_3gpuE2ELNS1_3repE0EEENS1_30default_config_static_selectorELNS0_4arch9wavefront6targetE1EEEvT1_,comdat
.Lfunc_end2212:
	.size	_ZN7rocprim17ROCPRIM_400000_NS6detail17trampoline_kernelINS0_14default_configENS1_27scan_by_key_config_selectorIiiEEZZNS1_16scan_by_key_implILNS1_25lookback_scan_determinismE0ELb0ES3_N6thrust23THRUST_200600_302600_NS10device_ptrIiEESB_SB_iNS9_4plusIvEENS9_8equal_toIvEEiEE10hipError_tPvRmT2_T3_T4_T5_mT6_T7_P12ihipStream_tbENKUlT_T0_E_clISt17integral_constantIbLb1EESW_EEDaSR_SS_EUlSR_E_NS1_11comp_targetILNS1_3genE8ELNS1_11target_archE1030ELNS1_3gpuE2ELNS1_3repE0EEENS1_30default_config_static_selectorELNS0_4arch9wavefront6targetE1EEEvT1_, .Lfunc_end2212-_ZN7rocprim17ROCPRIM_400000_NS6detail17trampoline_kernelINS0_14default_configENS1_27scan_by_key_config_selectorIiiEEZZNS1_16scan_by_key_implILNS1_25lookback_scan_determinismE0ELb0ES3_N6thrust23THRUST_200600_302600_NS10device_ptrIiEESB_SB_iNS9_4plusIvEENS9_8equal_toIvEEiEE10hipError_tPvRmT2_T3_T4_T5_mT6_T7_P12ihipStream_tbENKUlT_T0_E_clISt17integral_constantIbLb1EESW_EEDaSR_SS_EUlSR_E_NS1_11comp_targetILNS1_3genE8ELNS1_11target_archE1030ELNS1_3gpuE2ELNS1_3repE0EEENS1_30default_config_static_selectorELNS0_4arch9wavefront6targetE1EEEvT1_
                                        ; -- End function
	.section	.AMDGPU.csdata,"",@progbits
; Kernel info:
; codeLenInByte = 0
; NumSgprs: 4
; NumVgprs: 0
; NumAgprs: 0
; TotalNumVgprs: 0
; ScratchSize: 0
; MemoryBound: 0
; FloatMode: 240
; IeeeMode: 1
; LDSByteSize: 0 bytes/workgroup (compile time only)
; SGPRBlocks: 0
; VGPRBlocks: 0
; NumSGPRsForWavesPerEU: 4
; NumVGPRsForWavesPerEU: 1
; AccumOffset: 4
; Occupancy: 8
; WaveLimiterHint : 0
; COMPUTE_PGM_RSRC2:SCRATCH_EN: 0
; COMPUTE_PGM_RSRC2:USER_SGPR: 6
; COMPUTE_PGM_RSRC2:TRAP_HANDLER: 0
; COMPUTE_PGM_RSRC2:TGID_X_EN: 1
; COMPUTE_PGM_RSRC2:TGID_Y_EN: 0
; COMPUTE_PGM_RSRC2:TGID_Z_EN: 0
; COMPUTE_PGM_RSRC2:TIDIG_COMP_CNT: 0
; COMPUTE_PGM_RSRC3_GFX90A:ACCUM_OFFSET: 0
; COMPUTE_PGM_RSRC3_GFX90A:TG_SPLIT: 0
	.section	.text._ZN7rocprim17ROCPRIM_400000_NS6detail30init_device_scan_by_key_kernelINS1_19lookback_scan_stateINS0_5tupleIJibEEELb1ELb1EEEN6thrust23THRUST_200600_302600_NS10device_ptrIiEEjNS1_16block_id_wrapperIjLb0EEEEEvT_jjPNSD_10value_typeET0_PNSt15iterator_traitsISG_E10value_typeEmT1_T2_,"axG",@progbits,_ZN7rocprim17ROCPRIM_400000_NS6detail30init_device_scan_by_key_kernelINS1_19lookback_scan_stateINS0_5tupleIJibEEELb1ELb1EEEN6thrust23THRUST_200600_302600_NS10device_ptrIiEEjNS1_16block_id_wrapperIjLb0EEEEEvT_jjPNSD_10value_typeET0_PNSt15iterator_traitsISG_E10value_typeEmT1_T2_,comdat
	.protected	_ZN7rocprim17ROCPRIM_400000_NS6detail30init_device_scan_by_key_kernelINS1_19lookback_scan_stateINS0_5tupleIJibEEELb1ELb1EEEN6thrust23THRUST_200600_302600_NS10device_ptrIiEEjNS1_16block_id_wrapperIjLb0EEEEEvT_jjPNSD_10value_typeET0_PNSt15iterator_traitsISG_E10value_typeEmT1_T2_ ; -- Begin function _ZN7rocprim17ROCPRIM_400000_NS6detail30init_device_scan_by_key_kernelINS1_19lookback_scan_stateINS0_5tupleIJibEEELb1ELb1EEEN6thrust23THRUST_200600_302600_NS10device_ptrIiEEjNS1_16block_id_wrapperIjLb0EEEEEvT_jjPNSD_10value_typeET0_PNSt15iterator_traitsISG_E10value_typeEmT1_T2_
	.globl	_ZN7rocprim17ROCPRIM_400000_NS6detail30init_device_scan_by_key_kernelINS1_19lookback_scan_stateINS0_5tupleIJibEEELb1ELb1EEEN6thrust23THRUST_200600_302600_NS10device_ptrIiEEjNS1_16block_id_wrapperIjLb0EEEEEvT_jjPNSD_10value_typeET0_PNSt15iterator_traitsISG_E10value_typeEmT1_T2_
	.p2align	8
	.type	_ZN7rocprim17ROCPRIM_400000_NS6detail30init_device_scan_by_key_kernelINS1_19lookback_scan_stateINS0_5tupleIJibEEELb1ELb1EEEN6thrust23THRUST_200600_302600_NS10device_ptrIiEEjNS1_16block_id_wrapperIjLb0EEEEEvT_jjPNSD_10value_typeET0_PNSt15iterator_traitsISG_E10value_typeEmT1_T2_,@function
_ZN7rocprim17ROCPRIM_400000_NS6detail30init_device_scan_by_key_kernelINS1_19lookback_scan_stateINS0_5tupleIJibEEELb1ELb1EEEN6thrust23THRUST_200600_302600_NS10device_ptrIiEEjNS1_16block_id_wrapperIjLb0EEEEEvT_jjPNSD_10value_typeET0_PNSt15iterator_traitsISG_E10value_typeEmT1_T2_: ; @_ZN7rocprim17ROCPRIM_400000_NS6detail30init_device_scan_by_key_kernelINS1_19lookback_scan_stateINS0_5tupleIJibEEELb1ELb1EEEN6thrust23THRUST_200600_302600_NS10device_ptrIiEEjNS1_16block_id_wrapperIjLb0EEEEEvT_jjPNSD_10value_typeET0_PNSt15iterator_traitsISG_E10value_typeEmT1_T2_
; %bb.0:
	s_load_dword s0, s[4:5], 0x44
	s_load_dwordx8 s[8:15], s[4:5], 0x0
	s_load_dword s18, s[4:5], 0x38
	s_waitcnt lgkmcnt(0)
	s_and_b32 s19, s0, 0xffff
	s_mul_i32 s6, s6, s19
	s_cmp_eq_u64 s[12:13], 0
	v_add_u32_e32 v4, s6, v0
	s_cbranch_scc1 .LBB2213_10
; %bb.1:
	s_cmp_lt_u32 s11, s10
	s_cselect_b32 s0, s11, 0
	s_mov_b32 s3, 0
	v_cmp_eq_u32_e32 vcc, s0, v4
	s_and_saveexec_b64 s[0:1], vcc
	s_cbranch_execz .LBB2213_9
; %bb.2:
	s_add_i32 s2, s11, 64
	s_lshl_b64 s[2:3], s[2:3], 4
	s_add_u32 s16, s8, s2
	s_addc_u32 s17, s9, s3
	v_pk_mov_b32 v[0:1], s[16:17], s[16:17] op_sel:[0,1]
	;;#ASMSTART
	global_load_dwordx4 v[0:3], v[0:1] off glc	
s_waitcnt vmcnt(0)
	;;#ASMEND
	v_mov_b32_e32 v7, 0
	v_and_b32_e32 v6, 0xff, v2
	s_mov_b64 s[6:7], 0
	v_cmp_eq_u64_e32 vcc, 0, v[6:7]
	s_and_saveexec_b64 s[2:3], vcc
	s_cbranch_execz .LBB2213_8
; %bb.3:
	s_mov_b32 s11, 1
	v_pk_mov_b32 v[8:9], s[16:17], s[16:17] op_sel:[0,1]
.LBB2213_4:                             ; =>This Loop Header: Depth=1
                                        ;     Child Loop BB2213_5 Depth 2
	s_max_u32 s16, s11, 1
.LBB2213_5:                             ;   Parent Loop BB2213_4 Depth=1
                                        ; =>  This Inner Loop Header: Depth=2
	s_add_i32 s16, s16, -1
	s_cmp_eq_u32 s16, 0
	s_sleep 1
	s_cbranch_scc0 .LBB2213_5
; %bb.6:                                ;   in Loop: Header=BB2213_4 Depth=1
	s_cmp_lt_u32 s11, 32
	s_cselect_b64 s[16:17], -1, 0
	s_cmp_lg_u64 s[16:17], 0
	;;#ASMSTART
	global_load_dwordx4 v[0:3], v[8:9] off glc	
s_waitcnt vmcnt(0)
	;;#ASMEND
	v_and_b32_e32 v6, 0xff, v2
	s_addc_u32 s11, s11, 0
	v_cmp_ne_u64_e32 vcc, 0, v[6:7]
	s_or_b64 s[6:7], vcc, s[6:7]
	s_andn2_b64 exec, exec, s[6:7]
	s_cbranch_execnz .LBB2213_4
; %bb.7:
	s_or_b64 exec, exec, s[6:7]
.LBB2213_8:
	s_or_b64 exec, exec, s[2:3]
	v_mov_b32_e32 v2, 0
	global_store_dword v2, v0, s[12:13]
	global_store_byte v2, v1, s[12:13] offset:4
.LBB2213_9:
	s_or_b64 exec, exec, s[0:1]
.LBB2213_10:
	v_cmp_gt_u32_e32 vcc, s10, v4
	s_and_saveexec_b64 s[0:1], vcc
	s_cbranch_execz .LBB2213_12
; %bb.11:
	v_add_u32_e32 v0, 64, v4
	v_mov_b32_e32 v1, 0
	v_lshlrev_b64 v[2:3], 4, v[0:1]
	v_mov_b32_e32 v0, s9
	v_add_co_u32_e32 v6, vcc, s8, v2
	v_addc_co_u32_e32 v7, vcc, v0, v3, vcc
	v_mov_b32_e32 v0, v1
	v_mov_b32_e32 v2, v1
	;; [unrolled: 1-line block ×3, first 2 shown]
	global_store_dwordx4 v[6:7], v[0:3], off
.LBB2213_12:
	s_or_b64 exec, exec, s[0:1]
	v_cmp_gt_u32_e32 vcc, 64, v4
	v_mov_b32_e32 v5, 0
	s_and_saveexec_b64 s[0:1], vcc
	s_cbranch_execz .LBB2213_14
; %bb.13:
	v_lshlrev_b64 v[0:1], 4, v[4:5]
	v_mov_b32_e32 v2, s9
	v_add_co_u32_e32 v6, vcc, s8, v0
	v_addc_co_u32_e32 v7, vcc, v2, v1, vcc
	v_mov_b32_e32 v2, 0xff
	v_mov_b32_e32 v0, v5
	;; [unrolled: 1-line block ×4, first 2 shown]
	global_store_dwordx4 v[6:7], v[0:3], off
.LBB2213_14:
	s_or_b64 exec, exec, s[0:1]
	s_load_dwordx2 s[0:1], s[4:5], 0x28
	s_waitcnt lgkmcnt(0)
	v_cmp_gt_u64_e32 vcc, s[0:1], v[4:5]
	s_and_saveexec_b64 s[2:3], vcc
	s_cbranch_execz .LBB2213_17
; %bb.15:
	s_load_dword s10, s[4:5], 0x30
	s_load_dwordx2 s[6:7], s[4:5], 0x20
	s_mov_b32 s5, 0
	s_mov_b32 s3, s5
	s_mul_i32 s2, s18, s19
	s_waitcnt lgkmcnt(0)
	s_add_i32 s4, s10, -1
	s_lshl_b64 s[4:5], s[4:5], 2
	v_mad_u64_u32 v[0:1], s[8:9], s10, v4, 0
	s_add_u32 s4, s14, s4
	v_lshlrev_b64 v[0:1], 2, v[0:1]
	s_addc_u32 s5, s15, s5
	v_mov_b32_e32 v2, s5
	v_add_co_u32_e32 v0, vcc, s4, v0
	v_addc_co_u32_e32 v1, vcc, v2, v1, vcc
	s_mul_hi_u32 s5, s10, s2
	s_mul_i32 s4, s10, s2
	v_lshlrev_b64 v[2:3], 2, v[4:5]
	s_lshl_b64 s[4:5], s[4:5], 2
	v_mov_b32_e32 v6, s7
	v_add_co_u32_e32 v2, vcc, s6, v2
	s_lshl_b64 s[6:7], s[2:3], 2
	v_addc_co_u32_e32 v3, vcc, v6, v3, vcc
	s_mov_b64 s[8:9], 0
	v_mov_b32_e32 v6, s3
	v_mov_b32_e32 v7, s5
	v_mov_b32_e32 v8, s7
.LBB2213_16:                            ; =>This Inner Loop Header: Depth=1
	global_load_dword v9, v[0:1], off
	v_add_co_u32_e32 v4, vcc, s2, v4
	v_addc_co_u32_e32 v5, vcc, v5, v6, vcc
	v_add_co_u32_e32 v0, vcc, s4, v0
	v_addc_co_u32_e32 v1, vcc, v1, v7, vcc
	v_cmp_le_u64_e32 vcc, s[0:1], v[4:5]
	s_or_b64 s[8:9], vcc, s[8:9]
	s_waitcnt vmcnt(0)
	global_store_dword v[2:3], v9, off
	v_add_co_u32_e32 v2, vcc, s6, v2
	v_addc_co_u32_e32 v3, vcc, v3, v8, vcc
	s_andn2_b64 exec, exec, s[8:9]
	s_cbranch_execnz .LBB2213_16
.LBB2213_17:
	s_endpgm
	.section	.rodata,"a",@progbits
	.p2align	6, 0x0
	.amdhsa_kernel _ZN7rocprim17ROCPRIM_400000_NS6detail30init_device_scan_by_key_kernelINS1_19lookback_scan_stateINS0_5tupleIJibEEELb1ELb1EEEN6thrust23THRUST_200600_302600_NS10device_ptrIiEEjNS1_16block_id_wrapperIjLb0EEEEEvT_jjPNSD_10value_typeET0_PNSt15iterator_traitsISG_E10value_typeEmT1_T2_
		.amdhsa_group_segment_fixed_size 0
		.amdhsa_private_segment_fixed_size 0
		.amdhsa_kernarg_size 312
		.amdhsa_user_sgpr_count 6
		.amdhsa_user_sgpr_private_segment_buffer 1
		.amdhsa_user_sgpr_dispatch_ptr 0
		.amdhsa_user_sgpr_queue_ptr 0
		.amdhsa_user_sgpr_kernarg_segment_ptr 1
		.amdhsa_user_sgpr_dispatch_id 0
		.amdhsa_user_sgpr_flat_scratch_init 0
		.amdhsa_user_sgpr_kernarg_preload_length 0
		.amdhsa_user_sgpr_kernarg_preload_offset 0
		.amdhsa_user_sgpr_private_segment_size 0
		.amdhsa_uses_dynamic_stack 0
		.amdhsa_system_sgpr_private_segment_wavefront_offset 0
		.amdhsa_system_sgpr_workgroup_id_x 1
		.amdhsa_system_sgpr_workgroup_id_y 0
		.amdhsa_system_sgpr_workgroup_id_z 0
		.amdhsa_system_sgpr_workgroup_info 0
		.amdhsa_system_vgpr_workitem_id 0
		.amdhsa_next_free_vgpr 10
		.amdhsa_next_free_sgpr 20
		.amdhsa_accum_offset 12
		.amdhsa_reserve_vcc 1
		.amdhsa_reserve_flat_scratch 0
		.amdhsa_float_round_mode_32 0
		.amdhsa_float_round_mode_16_64 0
		.amdhsa_float_denorm_mode_32 3
		.amdhsa_float_denorm_mode_16_64 3
		.amdhsa_dx10_clamp 1
		.amdhsa_ieee_mode 1
		.amdhsa_fp16_overflow 0
		.amdhsa_tg_split 0
		.amdhsa_exception_fp_ieee_invalid_op 0
		.amdhsa_exception_fp_denorm_src 0
		.amdhsa_exception_fp_ieee_div_zero 0
		.amdhsa_exception_fp_ieee_overflow 0
		.amdhsa_exception_fp_ieee_underflow 0
		.amdhsa_exception_fp_ieee_inexact 0
		.amdhsa_exception_int_div_zero 0
	.end_amdhsa_kernel
	.section	.text._ZN7rocprim17ROCPRIM_400000_NS6detail30init_device_scan_by_key_kernelINS1_19lookback_scan_stateINS0_5tupleIJibEEELb1ELb1EEEN6thrust23THRUST_200600_302600_NS10device_ptrIiEEjNS1_16block_id_wrapperIjLb0EEEEEvT_jjPNSD_10value_typeET0_PNSt15iterator_traitsISG_E10value_typeEmT1_T2_,"axG",@progbits,_ZN7rocprim17ROCPRIM_400000_NS6detail30init_device_scan_by_key_kernelINS1_19lookback_scan_stateINS0_5tupleIJibEEELb1ELb1EEEN6thrust23THRUST_200600_302600_NS10device_ptrIiEEjNS1_16block_id_wrapperIjLb0EEEEEvT_jjPNSD_10value_typeET0_PNSt15iterator_traitsISG_E10value_typeEmT1_T2_,comdat
.Lfunc_end2213:
	.size	_ZN7rocprim17ROCPRIM_400000_NS6detail30init_device_scan_by_key_kernelINS1_19lookback_scan_stateINS0_5tupleIJibEEELb1ELb1EEEN6thrust23THRUST_200600_302600_NS10device_ptrIiEEjNS1_16block_id_wrapperIjLb0EEEEEvT_jjPNSD_10value_typeET0_PNSt15iterator_traitsISG_E10value_typeEmT1_T2_, .Lfunc_end2213-_ZN7rocprim17ROCPRIM_400000_NS6detail30init_device_scan_by_key_kernelINS1_19lookback_scan_stateINS0_5tupleIJibEEELb1ELb1EEEN6thrust23THRUST_200600_302600_NS10device_ptrIiEEjNS1_16block_id_wrapperIjLb0EEEEEvT_jjPNSD_10value_typeET0_PNSt15iterator_traitsISG_E10value_typeEmT1_T2_
                                        ; -- End function
	.section	.AMDGPU.csdata,"",@progbits
; Kernel info:
; codeLenInByte = 612
; NumSgprs: 24
; NumVgprs: 10
; NumAgprs: 0
; TotalNumVgprs: 10
; ScratchSize: 0
; MemoryBound: 0
; FloatMode: 240
; IeeeMode: 1
; LDSByteSize: 0 bytes/workgroup (compile time only)
; SGPRBlocks: 2
; VGPRBlocks: 1
; NumSGPRsForWavesPerEU: 24
; NumVGPRsForWavesPerEU: 10
; AccumOffset: 12
; Occupancy: 8
; WaveLimiterHint : 0
; COMPUTE_PGM_RSRC2:SCRATCH_EN: 0
; COMPUTE_PGM_RSRC2:USER_SGPR: 6
; COMPUTE_PGM_RSRC2:TRAP_HANDLER: 0
; COMPUTE_PGM_RSRC2:TGID_X_EN: 1
; COMPUTE_PGM_RSRC2:TGID_Y_EN: 0
; COMPUTE_PGM_RSRC2:TGID_Z_EN: 0
; COMPUTE_PGM_RSRC2:TIDIG_COMP_CNT: 0
; COMPUTE_PGM_RSRC3_GFX90A:ACCUM_OFFSET: 2
; COMPUTE_PGM_RSRC3_GFX90A:TG_SPLIT: 0
	.section	.text._ZN7rocprim17ROCPRIM_400000_NS6detail17trampoline_kernelINS0_14default_configENS1_27scan_by_key_config_selectorIiiEEZZNS1_16scan_by_key_implILNS1_25lookback_scan_determinismE0ELb0ES3_N6thrust23THRUST_200600_302600_NS10device_ptrIiEESB_SB_iNS9_4plusIvEENS9_8equal_toIvEEiEE10hipError_tPvRmT2_T3_T4_T5_mT6_T7_P12ihipStream_tbENKUlT_T0_E_clISt17integral_constantIbLb1EESV_IbLb0EEEEDaSR_SS_EUlSR_E_NS1_11comp_targetILNS1_3genE0ELNS1_11target_archE4294967295ELNS1_3gpuE0ELNS1_3repE0EEENS1_30default_config_static_selectorELNS0_4arch9wavefront6targetE1EEEvT1_,"axG",@progbits,_ZN7rocprim17ROCPRIM_400000_NS6detail17trampoline_kernelINS0_14default_configENS1_27scan_by_key_config_selectorIiiEEZZNS1_16scan_by_key_implILNS1_25lookback_scan_determinismE0ELb0ES3_N6thrust23THRUST_200600_302600_NS10device_ptrIiEESB_SB_iNS9_4plusIvEENS9_8equal_toIvEEiEE10hipError_tPvRmT2_T3_T4_T5_mT6_T7_P12ihipStream_tbENKUlT_T0_E_clISt17integral_constantIbLb1EESV_IbLb0EEEEDaSR_SS_EUlSR_E_NS1_11comp_targetILNS1_3genE0ELNS1_11target_archE4294967295ELNS1_3gpuE0ELNS1_3repE0EEENS1_30default_config_static_selectorELNS0_4arch9wavefront6targetE1EEEvT1_,comdat
	.protected	_ZN7rocprim17ROCPRIM_400000_NS6detail17trampoline_kernelINS0_14default_configENS1_27scan_by_key_config_selectorIiiEEZZNS1_16scan_by_key_implILNS1_25lookback_scan_determinismE0ELb0ES3_N6thrust23THRUST_200600_302600_NS10device_ptrIiEESB_SB_iNS9_4plusIvEENS9_8equal_toIvEEiEE10hipError_tPvRmT2_T3_T4_T5_mT6_T7_P12ihipStream_tbENKUlT_T0_E_clISt17integral_constantIbLb1EESV_IbLb0EEEEDaSR_SS_EUlSR_E_NS1_11comp_targetILNS1_3genE0ELNS1_11target_archE4294967295ELNS1_3gpuE0ELNS1_3repE0EEENS1_30default_config_static_selectorELNS0_4arch9wavefront6targetE1EEEvT1_ ; -- Begin function _ZN7rocprim17ROCPRIM_400000_NS6detail17trampoline_kernelINS0_14default_configENS1_27scan_by_key_config_selectorIiiEEZZNS1_16scan_by_key_implILNS1_25lookback_scan_determinismE0ELb0ES3_N6thrust23THRUST_200600_302600_NS10device_ptrIiEESB_SB_iNS9_4plusIvEENS9_8equal_toIvEEiEE10hipError_tPvRmT2_T3_T4_T5_mT6_T7_P12ihipStream_tbENKUlT_T0_E_clISt17integral_constantIbLb1EESV_IbLb0EEEEDaSR_SS_EUlSR_E_NS1_11comp_targetILNS1_3genE0ELNS1_11target_archE4294967295ELNS1_3gpuE0ELNS1_3repE0EEENS1_30default_config_static_selectorELNS0_4arch9wavefront6targetE1EEEvT1_
	.globl	_ZN7rocprim17ROCPRIM_400000_NS6detail17trampoline_kernelINS0_14default_configENS1_27scan_by_key_config_selectorIiiEEZZNS1_16scan_by_key_implILNS1_25lookback_scan_determinismE0ELb0ES3_N6thrust23THRUST_200600_302600_NS10device_ptrIiEESB_SB_iNS9_4plusIvEENS9_8equal_toIvEEiEE10hipError_tPvRmT2_T3_T4_T5_mT6_T7_P12ihipStream_tbENKUlT_T0_E_clISt17integral_constantIbLb1EESV_IbLb0EEEEDaSR_SS_EUlSR_E_NS1_11comp_targetILNS1_3genE0ELNS1_11target_archE4294967295ELNS1_3gpuE0ELNS1_3repE0EEENS1_30default_config_static_selectorELNS0_4arch9wavefront6targetE1EEEvT1_
	.p2align	8
	.type	_ZN7rocprim17ROCPRIM_400000_NS6detail17trampoline_kernelINS0_14default_configENS1_27scan_by_key_config_selectorIiiEEZZNS1_16scan_by_key_implILNS1_25lookback_scan_determinismE0ELb0ES3_N6thrust23THRUST_200600_302600_NS10device_ptrIiEESB_SB_iNS9_4plusIvEENS9_8equal_toIvEEiEE10hipError_tPvRmT2_T3_T4_T5_mT6_T7_P12ihipStream_tbENKUlT_T0_E_clISt17integral_constantIbLb1EESV_IbLb0EEEEDaSR_SS_EUlSR_E_NS1_11comp_targetILNS1_3genE0ELNS1_11target_archE4294967295ELNS1_3gpuE0ELNS1_3repE0EEENS1_30default_config_static_selectorELNS0_4arch9wavefront6targetE1EEEvT1_,@function
_ZN7rocprim17ROCPRIM_400000_NS6detail17trampoline_kernelINS0_14default_configENS1_27scan_by_key_config_selectorIiiEEZZNS1_16scan_by_key_implILNS1_25lookback_scan_determinismE0ELb0ES3_N6thrust23THRUST_200600_302600_NS10device_ptrIiEESB_SB_iNS9_4plusIvEENS9_8equal_toIvEEiEE10hipError_tPvRmT2_T3_T4_T5_mT6_T7_P12ihipStream_tbENKUlT_T0_E_clISt17integral_constantIbLb1EESV_IbLb0EEEEDaSR_SS_EUlSR_E_NS1_11comp_targetILNS1_3genE0ELNS1_11target_archE4294967295ELNS1_3gpuE0ELNS1_3repE0EEENS1_30default_config_static_selectorELNS0_4arch9wavefront6targetE1EEEvT1_: ; @_ZN7rocprim17ROCPRIM_400000_NS6detail17trampoline_kernelINS0_14default_configENS1_27scan_by_key_config_selectorIiiEEZZNS1_16scan_by_key_implILNS1_25lookback_scan_determinismE0ELb0ES3_N6thrust23THRUST_200600_302600_NS10device_ptrIiEESB_SB_iNS9_4plusIvEENS9_8equal_toIvEEiEE10hipError_tPvRmT2_T3_T4_T5_mT6_T7_P12ihipStream_tbENKUlT_T0_E_clISt17integral_constantIbLb1EESV_IbLb0EEEEDaSR_SS_EUlSR_E_NS1_11comp_targetILNS1_3genE0ELNS1_11target_archE4294967295ELNS1_3gpuE0ELNS1_3repE0EEENS1_30default_config_static_selectorELNS0_4arch9wavefront6targetE1EEEvT1_
; %bb.0:
	.section	.rodata,"a",@progbits
	.p2align	6, 0x0
	.amdhsa_kernel _ZN7rocprim17ROCPRIM_400000_NS6detail17trampoline_kernelINS0_14default_configENS1_27scan_by_key_config_selectorIiiEEZZNS1_16scan_by_key_implILNS1_25lookback_scan_determinismE0ELb0ES3_N6thrust23THRUST_200600_302600_NS10device_ptrIiEESB_SB_iNS9_4plusIvEENS9_8equal_toIvEEiEE10hipError_tPvRmT2_T3_T4_T5_mT6_T7_P12ihipStream_tbENKUlT_T0_E_clISt17integral_constantIbLb1EESV_IbLb0EEEEDaSR_SS_EUlSR_E_NS1_11comp_targetILNS1_3genE0ELNS1_11target_archE4294967295ELNS1_3gpuE0ELNS1_3repE0EEENS1_30default_config_static_selectorELNS0_4arch9wavefront6targetE1EEEvT1_
		.amdhsa_group_segment_fixed_size 0
		.amdhsa_private_segment_fixed_size 0
		.amdhsa_kernarg_size 112
		.amdhsa_user_sgpr_count 6
		.amdhsa_user_sgpr_private_segment_buffer 1
		.amdhsa_user_sgpr_dispatch_ptr 0
		.amdhsa_user_sgpr_queue_ptr 0
		.amdhsa_user_sgpr_kernarg_segment_ptr 1
		.amdhsa_user_sgpr_dispatch_id 0
		.amdhsa_user_sgpr_flat_scratch_init 0
		.amdhsa_user_sgpr_kernarg_preload_length 0
		.amdhsa_user_sgpr_kernarg_preload_offset 0
		.amdhsa_user_sgpr_private_segment_size 0
		.amdhsa_uses_dynamic_stack 0
		.amdhsa_system_sgpr_private_segment_wavefront_offset 0
		.amdhsa_system_sgpr_workgroup_id_x 1
		.amdhsa_system_sgpr_workgroup_id_y 0
		.amdhsa_system_sgpr_workgroup_id_z 0
		.amdhsa_system_sgpr_workgroup_info 0
		.amdhsa_system_vgpr_workitem_id 0
		.amdhsa_next_free_vgpr 1
		.amdhsa_next_free_sgpr 0
		.amdhsa_accum_offset 4
		.amdhsa_reserve_vcc 0
		.amdhsa_reserve_flat_scratch 0
		.amdhsa_float_round_mode_32 0
		.amdhsa_float_round_mode_16_64 0
		.amdhsa_float_denorm_mode_32 3
		.amdhsa_float_denorm_mode_16_64 3
		.amdhsa_dx10_clamp 1
		.amdhsa_ieee_mode 1
		.amdhsa_fp16_overflow 0
		.amdhsa_tg_split 0
		.amdhsa_exception_fp_ieee_invalid_op 0
		.amdhsa_exception_fp_denorm_src 0
		.amdhsa_exception_fp_ieee_div_zero 0
		.amdhsa_exception_fp_ieee_overflow 0
		.amdhsa_exception_fp_ieee_underflow 0
		.amdhsa_exception_fp_ieee_inexact 0
		.amdhsa_exception_int_div_zero 0
	.end_amdhsa_kernel
	.section	.text._ZN7rocprim17ROCPRIM_400000_NS6detail17trampoline_kernelINS0_14default_configENS1_27scan_by_key_config_selectorIiiEEZZNS1_16scan_by_key_implILNS1_25lookback_scan_determinismE0ELb0ES3_N6thrust23THRUST_200600_302600_NS10device_ptrIiEESB_SB_iNS9_4plusIvEENS9_8equal_toIvEEiEE10hipError_tPvRmT2_T3_T4_T5_mT6_T7_P12ihipStream_tbENKUlT_T0_E_clISt17integral_constantIbLb1EESV_IbLb0EEEEDaSR_SS_EUlSR_E_NS1_11comp_targetILNS1_3genE0ELNS1_11target_archE4294967295ELNS1_3gpuE0ELNS1_3repE0EEENS1_30default_config_static_selectorELNS0_4arch9wavefront6targetE1EEEvT1_,"axG",@progbits,_ZN7rocprim17ROCPRIM_400000_NS6detail17trampoline_kernelINS0_14default_configENS1_27scan_by_key_config_selectorIiiEEZZNS1_16scan_by_key_implILNS1_25lookback_scan_determinismE0ELb0ES3_N6thrust23THRUST_200600_302600_NS10device_ptrIiEESB_SB_iNS9_4plusIvEENS9_8equal_toIvEEiEE10hipError_tPvRmT2_T3_T4_T5_mT6_T7_P12ihipStream_tbENKUlT_T0_E_clISt17integral_constantIbLb1EESV_IbLb0EEEEDaSR_SS_EUlSR_E_NS1_11comp_targetILNS1_3genE0ELNS1_11target_archE4294967295ELNS1_3gpuE0ELNS1_3repE0EEENS1_30default_config_static_selectorELNS0_4arch9wavefront6targetE1EEEvT1_,comdat
.Lfunc_end2214:
	.size	_ZN7rocprim17ROCPRIM_400000_NS6detail17trampoline_kernelINS0_14default_configENS1_27scan_by_key_config_selectorIiiEEZZNS1_16scan_by_key_implILNS1_25lookback_scan_determinismE0ELb0ES3_N6thrust23THRUST_200600_302600_NS10device_ptrIiEESB_SB_iNS9_4plusIvEENS9_8equal_toIvEEiEE10hipError_tPvRmT2_T3_T4_T5_mT6_T7_P12ihipStream_tbENKUlT_T0_E_clISt17integral_constantIbLb1EESV_IbLb0EEEEDaSR_SS_EUlSR_E_NS1_11comp_targetILNS1_3genE0ELNS1_11target_archE4294967295ELNS1_3gpuE0ELNS1_3repE0EEENS1_30default_config_static_selectorELNS0_4arch9wavefront6targetE1EEEvT1_, .Lfunc_end2214-_ZN7rocprim17ROCPRIM_400000_NS6detail17trampoline_kernelINS0_14default_configENS1_27scan_by_key_config_selectorIiiEEZZNS1_16scan_by_key_implILNS1_25lookback_scan_determinismE0ELb0ES3_N6thrust23THRUST_200600_302600_NS10device_ptrIiEESB_SB_iNS9_4plusIvEENS9_8equal_toIvEEiEE10hipError_tPvRmT2_T3_T4_T5_mT6_T7_P12ihipStream_tbENKUlT_T0_E_clISt17integral_constantIbLb1EESV_IbLb0EEEEDaSR_SS_EUlSR_E_NS1_11comp_targetILNS1_3genE0ELNS1_11target_archE4294967295ELNS1_3gpuE0ELNS1_3repE0EEENS1_30default_config_static_selectorELNS0_4arch9wavefront6targetE1EEEvT1_
                                        ; -- End function
	.section	.AMDGPU.csdata,"",@progbits
; Kernel info:
; codeLenInByte = 0
; NumSgprs: 4
; NumVgprs: 0
; NumAgprs: 0
; TotalNumVgprs: 0
; ScratchSize: 0
; MemoryBound: 0
; FloatMode: 240
; IeeeMode: 1
; LDSByteSize: 0 bytes/workgroup (compile time only)
; SGPRBlocks: 0
; VGPRBlocks: 0
; NumSGPRsForWavesPerEU: 4
; NumVGPRsForWavesPerEU: 1
; AccumOffset: 4
; Occupancy: 8
; WaveLimiterHint : 0
; COMPUTE_PGM_RSRC2:SCRATCH_EN: 0
; COMPUTE_PGM_RSRC2:USER_SGPR: 6
; COMPUTE_PGM_RSRC2:TRAP_HANDLER: 0
; COMPUTE_PGM_RSRC2:TGID_X_EN: 1
; COMPUTE_PGM_RSRC2:TGID_Y_EN: 0
; COMPUTE_PGM_RSRC2:TGID_Z_EN: 0
; COMPUTE_PGM_RSRC2:TIDIG_COMP_CNT: 0
; COMPUTE_PGM_RSRC3_GFX90A:ACCUM_OFFSET: 0
; COMPUTE_PGM_RSRC3_GFX90A:TG_SPLIT: 0
	.section	.text._ZN7rocprim17ROCPRIM_400000_NS6detail17trampoline_kernelINS0_14default_configENS1_27scan_by_key_config_selectorIiiEEZZNS1_16scan_by_key_implILNS1_25lookback_scan_determinismE0ELb0ES3_N6thrust23THRUST_200600_302600_NS10device_ptrIiEESB_SB_iNS9_4plusIvEENS9_8equal_toIvEEiEE10hipError_tPvRmT2_T3_T4_T5_mT6_T7_P12ihipStream_tbENKUlT_T0_E_clISt17integral_constantIbLb1EESV_IbLb0EEEEDaSR_SS_EUlSR_E_NS1_11comp_targetILNS1_3genE10ELNS1_11target_archE1201ELNS1_3gpuE5ELNS1_3repE0EEENS1_30default_config_static_selectorELNS0_4arch9wavefront6targetE1EEEvT1_,"axG",@progbits,_ZN7rocprim17ROCPRIM_400000_NS6detail17trampoline_kernelINS0_14default_configENS1_27scan_by_key_config_selectorIiiEEZZNS1_16scan_by_key_implILNS1_25lookback_scan_determinismE0ELb0ES3_N6thrust23THRUST_200600_302600_NS10device_ptrIiEESB_SB_iNS9_4plusIvEENS9_8equal_toIvEEiEE10hipError_tPvRmT2_T3_T4_T5_mT6_T7_P12ihipStream_tbENKUlT_T0_E_clISt17integral_constantIbLb1EESV_IbLb0EEEEDaSR_SS_EUlSR_E_NS1_11comp_targetILNS1_3genE10ELNS1_11target_archE1201ELNS1_3gpuE5ELNS1_3repE0EEENS1_30default_config_static_selectorELNS0_4arch9wavefront6targetE1EEEvT1_,comdat
	.protected	_ZN7rocprim17ROCPRIM_400000_NS6detail17trampoline_kernelINS0_14default_configENS1_27scan_by_key_config_selectorIiiEEZZNS1_16scan_by_key_implILNS1_25lookback_scan_determinismE0ELb0ES3_N6thrust23THRUST_200600_302600_NS10device_ptrIiEESB_SB_iNS9_4plusIvEENS9_8equal_toIvEEiEE10hipError_tPvRmT2_T3_T4_T5_mT6_T7_P12ihipStream_tbENKUlT_T0_E_clISt17integral_constantIbLb1EESV_IbLb0EEEEDaSR_SS_EUlSR_E_NS1_11comp_targetILNS1_3genE10ELNS1_11target_archE1201ELNS1_3gpuE5ELNS1_3repE0EEENS1_30default_config_static_selectorELNS0_4arch9wavefront6targetE1EEEvT1_ ; -- Begin function _ZN7rocprim17ROCPRIM_400000_NS6detail17trampoline_kernelINS0_14default_configENS1_27scan_by_key_config_selectorIiiEEZZNS1_16scan_by_key_implILNS1_25lookback_scan_determinismE0ELb0ES3_N6thrust23THRUST_200600_302600_NS10device_ptrIiEESB_SB_iNS9_4plusIvEENS9_8equal_toIvEEiEE10hipError_tPvRmT2_T3_T4_T5_mT6_T7_P12ihipStream_tbENKUlT_T0_E_clISt17integral_constantIbLb1EESV_IbLb0EEEEDaSR_SS_EUlSR_E_NS1_11comp_targetILNS1_3genE10ELNS1_11target_archE1201ELNS1_3gpuE5ELNS1_3repE0EEENS1_30default_config_static_selectorELNS0_4arch9wavefront6targetE1EEEvT1_
	.globl	_ZN7rocprim17ROCPRIM_400000_NS6detail17trampoline_kernelINS0_14default_configENS1_27scan_by_key_config_selectorIiiEEZZNS1_16scan_by_key_implILNS1_25lookback_scan_determinismE0ELb0ES3_N6thrust23THRUST_200600_302600_NS10device_ptrIiEESB_SB_iNS9_4plusIvEENS9_8equal_toIvEEiEE10hipError_tPvRmT2_T3_T4_T5_mT6_T7_P12ihipStream_tbENKUlT_T0_E_clISt17integral_constantIbLb1EESV_IbLb0EEEEDaSR_SS_EUlSR_E_NS1_11comp_targetILNS1_3genE10ELNS1_11target_archE1201ELNS1_3gpuE5ELNS1_3repE0EEENS1_30default_config_static_selectorELNS0_4arch9wavefront6targetE1EEEvT1_
	.p2align	8
	.type	_ZN7rocprim17ROCPRIM_400000_NS6detail17trampoline_kernelINS0_14default_configENS1_27scan_by_key_config_selectorIiiEEZZNS1_16scan_by_key_implILNS1_25lookback_scan_determinismE0ELb0ES3_N6thrust23THRUST_200600_302600_NS10device_ptrIiEESB_SB_iNS9_4plusIvEENS9_8equal_toIvEEiEE10hipError_tPvRmT2_T3_T4_T5_mT6_T7_P12ihipStream_tbENKUlT_T0_E_clISt17integral_constantIbLb1EESV_IbLb0EEEEDaSR_SS_EUlSR_E_NS1_11comp_targetILNS1_3genE10ELNS1_11target_archE1201ELNS1_3gpuE5ELNS1_3repE0EEENS1_30default_config_static_selectorELNS0_4arch9wavefront6targetE1EEEvT1_,@function
_ZN7rocprim17ROCPRIM_400000_NS6detail17trampoline_kernelINS0_14default_configENS1_27scan_by_key_config_selectorIiiEEZZNS1_16scan_by_key_implILNS1_25lookback_scan_determinismE0ELb0ES3_N6thrust23THRUST_200600_302600_NS10device_ptrIiEESB_SB_iNS9_4plusIvEENS9_8equal_toIvEEiEE10hipError_tPvRmT2_T3_T4_T5_mT6_T7_P12ihipStream_tbENKUlT_T0_E_clISt17integral_constantIbLb1EESV_IbLb0EEEEDaSR_SS_EUlSR_E_NS1_11comp_targetILNS1_3genE10ELNS1_11target_archE1201ELNS1_3gpuE5ELNS1_3repE0EEENS1_30default_config_static_selectorELNS0_4arch9wavefront6targetE1EEEvT1_: ; @_ZN7rocprim17ROCPRIM_400000_NS6detail17trampoline_kernelINS0_14default_configENS1_27scan_by_key_config_selectorIiiEEZZNS1_16scan_by_key_implILNS1_25lookback_scan_determinismE0ELb0ES3_N6thrust23THRUST_200600_302600_NS10device_ptrIiEESB_SB_iNS9_4plusIvEENS9_8equal_toIvEEiEE10hipError_tPvRmT2_T3_T4_T5_mT6_T7_P12ihipStream_tbENKUlT_T0_E_clISt17integral_constantIbLb1EESV_IbLb0EEEEDaSR_SS_EUlSR_E_NS1_11comp_targetILNS1_3genE10ELNS1_11target_archE1201ELNS1_3gpuE5ELNS1_3repE0EEENS1_30default_config_static_selectorELNS0_4arch9wavefront6targetE1EEEvT1_
; %bb.0:
	.section	.rodata,"a",@progbits
	.p2align	6, 0x0
	.amdhsa_kernel _ZN7rocprim17ROCPRIM_400000_NS6detail17trampoline_kernelINS0_14default_configENS1_27scan_by_key_config_selectorIiiEEZZNS1_16scan_by_key_implILNS1_25lookback_scan_determinismE0ELb0ES3_N6thrust23THRUST_200600_302600_NS10device_ptrIiEESB_SB_iNS9_4plusIvEENS9_8equal_toIvEEiEE10hipError_tPvRmT2_T3_T4_T5_mT6_T7_P12ihipStream_tbENKUlT_T0_E_clISt17integral_constantIbLb1EESV_IbLb0EEEEDaSR_SS_EUlSR_E_NS1_11comp_targetILNS1_3genE10ELNS1_11target_archE1201ELNS1_3gpuE5ELNS1_3repE0EEENS1_30default_config_static_selectorELNS0_4arch9wavefront6targetE1EEEvT1_
		.amdhsa_group_segment_fixed_size 0
		.amdhsa_private_segment_fixed_size 0
		.amdhsa_kernarg_size 112
		.amdhsa_user_sgpr_count 6
		.amdhsa_user_sgpr_private_segment_buffer 1
		.amdhsa_user_sgpr_dispatch_ptr 0
		.amdhsa_user_sgpr_queue_ptr 0
		.amdhsa_user_sgpr_kernarg_segment_ptr 1
		.amdhsa_user_sgpr_dispatch_id 0
		.amdhsa_user_sgpr_flat_scratch_init 0
		.amdhsa_user_sgpr_kernarg_preload_length 0
		.amdhsa_user_sgpr_kernarg_preload_offset 0
		.amdhsa_user_sgpr_private_segment_size 0
		.amdhsa_uses_dynamic_stack 0
		.amdhsa_system_sgpr_private_segment_wavefront_offset 0
		.amdhsa_system_sgpr_workgroup_id_x 1
		.amdhsa_system_sgpr_workgroup_id_y 0
		.amdhsa_system_sgpr_workgroup_id_z 0
		.amdhsa_system_sgpr_workgroup_info 0
		.amdhsa_system_vgpr_workitem_id 0
		.amdhsa_next_free_vgpr 1
		.amdhsa_next_free_sgpr 0
		.amdhsa_accum_offset 4
		.amdhsa_reserve_vcc 0
		.amdhsa_reserve_flat_scratch 0
		.amdhsa_float_round_mode_32 0
		.amdhsa_float_round_mode_16_64 0
		.amdhsa_float_denorm_mode_32 3
		.amdhsa_float_denorm_mode_16_64 3
		.amdhsa_dx10_clamp 1
		.amdhsa_ieee_mode 1
		.amdhsa_fp16_overflow 0
		.amdhsa_tg_split 0
		.amdhsa_exception_fp_ieee_invalid_op 0
		.amdhsa_exception_fp_denorm_src 0
		.amdhsa_exception_fp_ieee_div_zero 0
		.amdhsa_exception_fp_ieee_overflow 0
		.amdhsa_exception_fp_ieee_underflow 0
		.amdhsa_exception_fp_ieee_inexact 0
		.amdhsa_exception_int_div_zero 0
	.end_amdhsa_kernel
	.section	.text._ZN7rocprim17ROCPRIM_400000_NS6detail17trampoline_kernelINS0_14default_configENS1_27scan_by_key_config_selectorIiiEEZZNS1_16scan_by_key_implILNS1_25lookback_scan_determinismE0ELb0ES3_N6thrust23THRUST_200600_302600_NS10device_ptrIiEESB_SB_iNS9_4plusIvEENS9_8equal_toIvEEiEE10hipError_tPvRmT2_T3_T4_T5_mT6_T7_P12ihipStream_tbENKUlT_T0_E_clISt17integral_constantIbLb1EESV_IbLb0EEEEDaSR_SS_EUlSR_E_NS1_11comp_targetILNS1_3genE10ELNS1_11target_archE1201ELNS1_3gpuE5ELNS1_3repE0EEENS1_30default_config_static_selectorELNS0_4arch9wavefront6targetE1EEEvT1_,"axG",@progbits,_ZN7rocprim17ROCPRIM_400000_NS6detail17trampoline_kernelINS0_14default_configENS1_27scan_by_key_config_selectorIiiEEZZNS1_16scan_by_key_implILNS1_25lookback_scan_determinismE0ELb0ES3_N6thrust23THRUST_200600_302600_NS10device_ptrIiEESB_SB_iNS9_4plusIvEENS9_8equal_toIvEEiEE10hipError_tPvRmT2_T3_T4_T5_mT6_T7_P12ihipStream_tbENKUlT_T0_E_clISt17integral_constantIbLb1EESV_IbLb0EEEEDaSR_SS_EUlSR_E_NS1_11comp_targetILNS1_3genE10ELNS1_11target_archE1201ELNS1_3gpuE5ELNS1_3repE0EEENS1_30default_config_static_selectorELNS0_4arch9wavefront6targetE1EEEvT1_,comdat
.Lfunc_end2215:
	.size	_ZN7rocprim17ROCPRIM_400000_NS6detail17trampoline_kernelINS0_14default_configENS1_27scan_by_key_config_selectorIiiEEZZNS1_16scan_by_key_implILNS1_25lookback_scan_determinismE0ELb0ES3_N6thrust23THRUST_200600_302600_NS10device_ptrIiEESB_SB_iNS9_4plusIvEENS9_8equal_toIvEEiEE10hipError_tPvRmT2_T3_T4_T5_mT6_T7_P12ihipStream_tbENKUlT_T0_E_clISt17integral_constantIbLb1EESV_IbLb0EEEEDaSR_SS_EUlSR_E_NS1_11comp_targetILNS1_3genE10ELNS1_11target_archE1201ELNS1_3gpuE5ELNS1_3repE0EEENS1_30default_config_static_selectorELNS0_4arch9wavefront6targetE1EEEvT1_, .Lfunc_end2215-_ZN7rocprim17ROCPRIM_400000_NS6detail17trampoline_kernelINS0_14default_configENS1_27scan_by_key_config_selectorIiiEEZZNS1_16scan_by_key_implILNS1_25lookback_scan_determinismE0ELb0ES3_N6thrust23THRUST_200600_302600_NS10device_ptrIiEESB_SB_iNS9_4plusIvEENS9_8equal_toIvEEiEE10hipError_tPvRmT2_T3_T4_T5_mT6_T7_P12ihipStream_tbENKUlT_T0_E_clISt17integral_constantIbLb1EESV_IbLb0EEEEDaSR_SS_EUlSR_E_NS1_11comp_targetILNS1_3genE10ELNS1_11target_archE1201ELNS1_3gpuE5ELNS1_3repE0EEENS1_30default_config_static_selectorELNS0_4arch9wavefront6targetE1EEEvT1_
                                        ; -- End function
	.section	.AMDGPU.csdata,"",@progbits
; Kernel info:
; codeLenInByte = 0
; NumSgprs: 4
; NumVgprs: 0
; NumAgprs: 0
; TotalNumVgprs: 0
; ScratchSize: 0
; MemoryBound: 0
; FloatMode: 240
; IeeeMode: 1
; LDSByteSize: 0 bytes/workgroup (compile time only)
; SGPRBlocks: 0
; VGPRBlocks: 0
; NumSGPRsForWavesPerEU: 4
; NumVGPRsForWavesPerEU: 1
; AccumOffset: 4
; Occupancy: 8
; WaveLimiterHint : 0
; COMPUTE_PGM_RSRC2:SCRATCH_EN: 0
; COMPUTE_PGM_RSRC2:USER_SGPR: 6
; COMPUTE_PGM_RSRC2:TRAP_HANDLER: 0
; COMPUTE_PGM_RSRC2:TGID_X_EN: 1
; COMPUTE_PGM_RSRC2:TGID_Y_EN: 0
; COMPUTE_PGM_RSRC2:TGID_Z_EN: 0
; COMPUTE_PGM_RSRC2:TIDIG_COMP_CNT: 0
; COMPUTE_PGM_RSRC3_GFX90A:ACCUM_OFFSET: 0
; COMPUTE_PGM_RSRC3_GFX90A:TG_SPLIT: 0
	.section	.text._ZN7rocprim17ROCPRIM_400000_NS6detail17trampoline_kernelINS0_14default_configENS1_27scan_by_key_config_selectorIiiEEZZNS1_16scan_by_key_implILNS1_25lookback_scan_determinismE0ELb0ES3_N6thrust23THRUST_200600_302600_NS10device_ptrIiEESB_SB_iNS9_4plusIvEENS9_8equal_toIvEEiEE10hipError_tPvRmT2_T3_T4_T5_mT6_T7_P12ihipStream_tbENKUlT_T0_E_clISt17integral_constantIbLb1EESV_IbLb0EEEEDaSR_SS_EUlSR_E_NS1_11comp_targetILNS1_3genE5ELNS1_11target_archE942ELNS1_3gpuE9ELNS1_3repE0EEENS1_30default_config_static_selectorELNS0_4arch9wavefront6targetE1EEEvT1_,"axG",@progbits,_ZN7rocprim17ROCPRIM_400000_NS6detail17trampoline_kernelINS0_14default_configENS1_27scan_by_key_config_selectorIiiEEZZNS1_16scan_by_key_implILNS1_25lookback_scan_determinismE0ELb0ES3_N6thrust23THRUST_200600_302600_NS10device_ptrIiEESB_SB_iNS9_4plusIvEENS9_8equal_toIvEEiEE10hipError_tPvRmT2_T3_T4_T5_mT6_T7_P12ihipStream_tbENKUlT_T0_E_clISt17integral_constantIbLb1EESV_IbLb0EEEEDaSR_SS_EUlSR_E_NS1_11comp_targetILNS1_3genE5ELNS1_11target_archE942ELNS1_3gpuE9ELNS1_3repE0EEENS1_30default_config_static_selectorELNS0_4arch9wavefront6targetE1EEEvT1_,comdat
	.protected	_ZN7rocprim17ROCPRIM_400000_NS6detail17trampoline_kernelINS0_14default_configENS1_27scan_by_key_config_selectorIiiEEZZNS1_16scan_by_key_implILNS1_25lookback_scan_determinismE0ELb0ES3_N6thrust23THRUST_200600_302600_NS10device_ptrIiEESB_SB_iNS9_4plusIvEENS9_8equal_toIvEEiEE10hipError_tPvRmT2_T3_T4_T5_mT6_T7_P12ihipStream_tbENKUlT_T0_E_clISt17integral_constantIbLb1EESV_IbLb0EEEEDaSR_SS_EUlSR_E_NS1_11comp_targetILNS1_3genE5ELNS1_11target_archE942ELNS1_3gpuE9ELNS1_3repE0EEENS1_30default_config_static_selectorELNS0_4arch9wavefront6targetE1EEEvT1_ ; -- Begin function _ZN7rocprim17ROCPRIM_400000_NS6detail17trampoline_kernelINS0_14default_configENS1_27scan_by_key_config_selectorIiiEEZZNS1_16scan_by_key_implILNS1_25lookback_scan_determinismE0ELb0ES3_N6thrust23THRUST_200600_302600_NS10device_ptrIiEESB_SB_iNS9_4plusIvEENS9_8equal_toIvEEiEE10hipError_tPvRmT2_T3_T4_T5_mT6_T7_P12ihipStream_tbENKUlT_T0_E_clISt17integral_constantIbLb1EESV_IbLb0EEEEDaSR_SS_EUlSR_E_NS1_11comp_targetILNS1_3genE5ELNS1_11target_archE942ELNS1_3gpuE9ELNS1_3repE0EEENS1_30default_config_static_selectorELNS0_4arch9wavefront6targetE1EEEvT1_
	.globl	_ZN7rocprim17ROCPRIM_400000_NS6detail17trampoline_kernelINS0_14default_configENS1_27scan_by_key_config_selectorIiiEEZZNS1_16scan_by_key_implILNS1_25lookback_scan_determinismE0ELb0ES3_N6thrust23THRUST_200600_302600_NS10device_ptrIiEESB_SB_iNS9_4plusIvEENS9_8equal_toIvEEiEE10hipError_tPvRmT2_T3_T4_T5_mT6_T7_P12ihipStream_tbENKUlT_T0_E_clISt17integral_constantIbLb1EESV_IbLb0EEEEDaSR_SS_EUlSR_E_NS1_11comp_targetILNS1_3genE5ELNS1_11target_archE942ELNS1_3gpuE9ELNS1_3repE0EEENS1_30default_config_static_selectorELNS0_4arch9wavefront6targetE1EEEvT1_
	.p2align	8
	.type	_ZN7rocprim17ROCPRIM_400000_NS6detail17trampoline_kernelINS0_14default_configENS1_27scan_by_key_config_selectorIiiEEZZNS1_16scan_by_key_implILNS1_25lookback_scan_determinismE0ELb0ES3_N6thrust23THRUST_200600_302600_NS10device_ptrIiEESB_SB_iNS9_4plusIvEENS9_8equal_toIvEEiEE10hipError_tPvRmT2_T3_T4_T5_mT6_T7_P12ihipStream_tbENKUlT_T0_E_clISt17integral_constantIbLb1EESV_IbLb0EEEEDaSR_SS_EUlSR_E_NS1_11comp_targetILNS1_3genE5ELNS1_11target_archE942ELNS1_3gpuE9ELNS1_3repE0EEENS1_30default_config_static_selectorELNS0_4arch9wavefront6targetE1EEEvT1_,@function
_ZN7rocprim17ROCPRIM_400000_NS6detail17trampoline_kernelINS0_14default_configENS1_27scan_by_key_config_selectorIiiEEZZNS1_16scan_by_key_implILNS1_25lookback_scan_determinismE0ELb0ES3_N6thrust23THRUST_200600_302600_NS10device_ptrIiEESB_SB_iNS9_4plusIvEENS9_8equal_toIvEEiEE10hipError_tPvRmT2_T3_T4_T5_mT6_T7_P12ihipStream_tbENKUlT_T0_E_clISt17integral_constantIbLb1EESV_IbLb0EEEEDaSR_SS_EUlSR_E_NS1_11comp_targetILNS1_3genE5ELNS1_11target_archE942ELNS1_3gpuE9ELNS1_3repE0EEENS1_30default_config_static_selectorELNS0_4arch9wavefront6targetE1EEEvT1_: ; @_ZN7rocprim17ROCPRIM_400000_NS6detail17trampoline_kernelINS0_14default_configENS1_27scan_by_key_config_selectorIiiEEZZNS1_16scan_by_key_implILNS1_25lookback_scan_determinismE0ELb0ES3_N6thrust23THRUST_200600_302600_NS10device_ptrIiEESB_SB_iNS9_4plusIvEENS9_8equal_toIvEEiEE10hipError_tPvRmT2_T3_T4_T5_mT6_T7_P12ihipStream_tbENKUlT_T0_E_clISt17integral_constantIbLb1EESV_IbLb0EEEEDaSR_SS_EUlSR_E_NS1_11comp_targetILNS1_3genE5ELNS1_11target_archE942ELNS1_3gpuE9ELNS1_3repE0EEENS1_30default_config_static_selectorELNS0_4arch9wavefront6targetE1EEEvT1_
; %bb.0:
	.section	.rodata,"a",@progbits
	.p2align	6, 0x0
	.amdhsa_kernel _ZN7rocprim17ROCPRIM_400000_NS6detail17trampoline_kernelINS0_14default_configENS1_27scan_by_key_config_selectorIiiEEZZNS1_16scan_by_key_implILNS1_25lookback_scan_determinismE0ELb0ES3_N6thrust23THRUST_200600_302600_NS10device_ptrIiEESB_SB_iNS9_4plusIvEENS9_8equal_toIvEEiEE10hipError_tPvRmT2_T3_T4_T5_mT6_T7_P12ihipStream_tbENKUlT_T0_E_clISt17integral_constantIbLb1EESV_IbLb0EEEEDaSR_SS_EUlSR_E_NS1_11comp_targetILNS1_3genE5ELNS1_11target_archE942ELNS1_3gpuE9ELNS1_3repE0EEENS1_30default_config_static_selectorELNS0_4arch9wavefront6targetE1EEEvT1_
		.amdhsa_group_segment_fixed_size 0
		.amdhsa_private_segment_fixed_size 0
		.amdhsa_kernarg_size 112
		.amdhsa_user_sgpr_count 6
		.amdhsa_user_sgpr_private_segment_buffer 1
		.amdhsa_user_sgpr_dispatch_ptr 0
		.amdhsa_user_sgpr_queue_ptr 0
		.amdhsa_user_sgpr_kernarg_segment_ptr 1
		.amdhsa_user_sgpr_dispatch_id 0
		.amdhsa_user_sgpr_flat_scratch_init 0
		.amdhsa_user_sgpr_kernarg_preload_length 0
		.amdhsa_user_sgpr_kernarg_preload_offset 0
		.amdhsa_user_sgpr_private_segment_size 0
		.amdhsa_uses_dynamic_stack 0
		.amdhsa_system_sgpr_private_segment_wavefront_offset 0
		.amdhsa_system_sgpr_workgroup_id_x 1
		.amdhsa_system_sgpr_workgroup_id_y 0
		.amdhsa_system_sgpr_workgroup_id_z 0
		.amdhsa_system_sgpr_workgroup_info 0
		.amdhsa_system_vgpr_workitem_id 0
		.amdhsa_next_free_vgpr 1
		.amdhsa_next_free_sgpr 0
		.amdhsa_accum_offset 4
		.amdhsa_reserve_vcc 0
		.amdhsa_reserve_flat_scratch 0
		.amdhsa_float_round_mode_32 0
		.amdhsa_float_round_mode_16_64 0
		.amdhsa_float_denorm_mode_32 3
		.amdhsa_float_denorm_mode_16_64 3
		.amdhsa_dx10_clamp 1
		.amdhsa_ieee_mode 1
		.amdhsa_fp16_overflow 0
		.amdhsa_tg_split 0
		.amdhsa_exception_fp_ieee_invalid_op 0
		.amdhsa_exception_fp_denorm_src 0
		.amdhsa_exception_fp_ieee_div_zero 0
		.amdhsa_exception_fp_ieee_overflow 0
		.amdhsa_exception_fp_ieee_underflow 0
		.amdhsa_exception_fp_ieee_inexact 0
		.amdhsa_exception_int_div_zero 0
	.end_amdhsa_kernel
	.section	.text._ZN7rocprim17ROCPRIM_400000_NS6detail17trampoline_kernelINS0_14default_configENS1_27scan_by_key_config_selectorIiiEEZZNS1_16scan_by_key_implILNS1_25lookback_scan_determinismE0ELb0ES3_N6thrust23THRUST_200600_302600_NS10device_ptrIiEESB_SB_iNS9_4plusIvEENS9_8equal_toIvEEiEE10hipError_tPvRmT2_T3_T4_T5_mT6_T7_P12ihipStream_tbENKUlT_T0_E_clISt17integral_constantIbLb1EESV_IbLb0EEEEDaSR_SS_EUlSR_E_NS1_11comp_targetILNS1_3genE5ELNS1_11target_archE942ELNS1_3gpuE9ELNS1_3repE0EEENS1_30default_config_static_selectorELNS0_4arch9wavefront6targetE1EEEvT1_,"axG",@progbits,_ZN7rocprim17ROCPRIM_400000_NS6detail17trampoline_kernelINS0_14default_configENS1_27scan_by_key_config_selectorIiiEEZZNS1_16scan_by_key_implILNS1_25lookback_scan_determinismE0ELb0ES3_N6thrust23THRUST_200600_302600_NS10device_ptrIiEESB_SB_iNS9_4plusIvEENS9_8equal_toIvEEiEE10hipError_tPvRmT2_T3_T4_T5_mT6_T7_P12ihipStream_tbENKUlT_T0_E_clISt17integral_constantIbLb1EESV_IbLb0EEEEDaSR_SS_EUlSR_E_NS1_11comp_targetILNS1_3genE5ELNS1_11target_archE942ELNS1_3gpuE9ELNS1_3repE0EEENS1_30default_config_static_selectorELNS0_4arch9wavefront6targetE1EEEvT1_,comdat
.Lfunc_end2216:
	.size	_ZN7rocprim17ROCPRIM_400000_NS6detail17trampoline_kernelINS0_14default_configENS1_27scan_by_key_config_selectorIiiEEZZNS1_16scan_by_key_implILNS1_25lookback_scan_determinismE0ELb0ES3_N6thrust23THRUST_200600_302600_NS10device_ptrIiEESB_SB_iNS9_4plusIvEENS9_8equal_toIvEEiEE10hipError_tPvRmT2_T3_T4_T5_mT6_T7_P12ihipStream_tbENKUlT_T0_E_clISt17integral_constantIbLb1EESV_IbLb0EEEEDaSR_SS_EUlSR_E_NS1_11comp_targetILNS1_3genE5ELNS1_11target_archE942ELNS1_3gpuE9ELNS1_3repE0EEENS1_30default_config_static_selectorELNS0_4arch9wavefront6targetE1EEEvT1_, .Lfunc_end2216-_ZN7rocprim17ROCPRIM_400000_NS6detail17trampoline_kernelINS0_14default_configENS1_27scan_by_key_config_selectorIiiEEZZNS1_16scan_by_key_implILNS1_25lookback_scan_determinismE0ELb0ES3_N6thrust23THRUST_200600_302600_NS10device_ptrIiEESB_SB_iNS9_4plusIvEENS9_8equal_toIvEEiEE10hipError_tPvRmT2_T3_T4_T5_mT6_T7_P12ihipStream_tbENKUlT_T0_E_clISt17integral_constantIbLb1EESV_IbLb0EEEEDaSR_SS_EUlSR_E_NS1_11comp_targetILNS1_3genE5ELNS1_11target_archE942ELNS1_3gpuE9ELNS1_3repE0EEENS1_30default_config_static_selectorELNS0_4arch9wavefront6targetE1EEEvT1_
                                        ; -- End function
	.section	.AMDGPU.csdata,"",@progbits
; Kernel info:
; codeLenInByte = 0
; NumSgprs: 4
; NumVgprs: 0
; NumAgprs: 0
; TotalNumVgprs: 0
; ScratchSize: 0
; MemoryBound: 0
; FloatMode: 240
; IeeeMode: 1
; LDSByteSize: 0 bytes/workgroup (compile time only)
; SGPRBlocks: 0
; VGPRBlocks: 0
; NumSGPRsForWavesPerEU: 4
; NumVGPRsForWavesPerEU: 1
; AccumOffset: 4
; Occupancy: 8
; WaveLimiterHint : 0
; COMPUTE_PGM_RSRC2:SCRATCH_EN: 0
; COMPUTE_PGM_RSRC2:USER_SGPR: 6
; COMPUTE_PGM_RSRC2:TRAP_HANDLER: 0
; COMPUTE_PGM_RSRC2:TGID_X_EN: 1
; COMPUTE_PGM_RSRC2:TGID_Y_EN: 0
; COMPUTE_PGM_RSRC2:TGID_Z_EN: 0
; COMPUTE_PGM_RSRC2:TIDIG_COMP_CNT: 0
; COMPUTE_PGM_RSRC3_GFX90A:ACCUM_OFFSET: 0
; COMPUTE_PGM_RSRC3_GFX90A:TG_SPLIT: 0
	.section	.text._ZN7rocprim17ROCPRIM_400000_NS6detail17trampoline_kernelINS0_14default_configENS1_27scan_by_key_config_selectorIiiEEZZNS1_16scan_by_key_implILNS1_25lookback_scan_determinismE0ELb0ES3_N6thrust23THRUST_200600_302600_NS10device_ptrIiEESB_SB_iNS9_4plusIvEENS9_8equal_toIvEEiEE10hipError_tPvRmT2_T3_T4_T5_mT6_T7_P12ihipStream_tbENKUlT_T0_E_clISt17integral_constantIbLb1EESV_IbLb0EEEEDaSR_SS_EUlSR_E_NS1_11comp_targetILNS1_3genE4ELNS1_11target_archE910ELNS1_3gpuE8ELNS1_3repE0EEENS1_30default_config_static_selectorELNS0_4arch9wavefront6targetE1EEEvT1_,"axG",@progbits,_ZN7rocprim17ROCPRIM_400000_NS6detail17trampoline_kernelINS0_14default_configENS1_27scan_by_key_config_selectorIiiEEZZNS1_16scan_by_key_implILNS1_25lookback_scan_determinismE0ELb0ES3_N6thrust23THRUST_200600_302600_NS10device_ptrIiEESB_SB_iNS9_4plusIvEENS9_8equal_toIvEEiEE10hipError_tPvRmT2_T3_T4_T5_mT6_T7_P12ihipStream_tbENKUlT_T0_E_clISt17integral_constantIbLb1EESV_IbLb0EEEEDaSR_SS_EUlSR_E_NS1_11comp_targetILNS1_3genE4ELNS1_11target_archE910ELNS1_3gpuE8ELNS1_3repE0EEENS1_30default_config_static_selectorELNS0_4arch9wavefront6targetE1EEEvT1_,comdat
	.protected	_ZN7rocprim17ROCPRIM_400000_NS6detail17trampoline_kernelINS0_14default_configENS1_27scan_by_key_config_selectorIiiEEZZNS1_16scan_by_key_implILNS1_25lookback_scan_determinismE0ELb0ES3_N6thrust23THRUST_200600_302600_NS10device_ptrIiEESB_SB_iNS9_4plusIvEENS9_8equal_toIvEEiEE10hipError_tPvRmT2_T3_T4_T5_mT6_T7_P12ihipStream_tbENKUlT_T0_E_clISt17integral_constantIbLb1EESV_IbLb0EEEEDaSR_SS_EUlSR_E_NS1_11comp_targetILNS1_3genE4ELNS1_11target_archE910ELNS1_3gpuE8ELNS1_3repE0EEENS1_30default_config_static_selectorELNS0_4arch9wavefront6targetE1EEEvT1_ ; -- Begin function _ZN7rocprim17ROCPRIM_400000_NS6detail17trampoline_kernelINS0_14default_configENS1_27scan_by_key_config_selectorIiiEEZZNS1_16scan_by_key_implILNS1_25lookback_scan_determinismE0ELb0ES3_N6thrust23THRUST_200600_302600_NS10device_ptrIiEESB_SB_iNS9_4plusIvEENS9_8equal_toIvEEiEE10hipError_tPvRmT2_T3_T4_T5_mT6_T7_P12ihipStream_tbENKUlT_T0_E_clISt17integral_constantIbLb1EESV_IbLb0EEEEDaSR_SS_EUlSR_E_NS1_11comp_targetILNS1_3genE4ELNS1_11target_archE910ELNS1_3gpuE8ELNS1_3repE0EEENS1_30default_config_static_selectorELNS0_4arch9wavefront6targetE1EEEvT1_
	.globl	_ZN7rocprim17ROCPRIM_400000_NS6detail17trampoline_kernelINS0_14default_configENS1_27scan_by_key_config_selectorIiiEEZZNS1_16scan_by_key_implILNS1_25lookback_scan_determinismE0ELb0ES3_N6thrust23THRUST_200600_302600_NS10device_ptrIiEESB_SB_iNS9_4plusIvEENS9_8equal_toIvEEiEE10hipError_tPvRmT2_T3_T4_T5_mT6_T7_P12ihipStream_tbENKUlT_T0_E_clISt17integral_constantIbLb1EESV_IbLb0EEEEDaSR_SS_EUlSR_E_NS1_11comp_targetILNS1_3genE4ELNS1_11target_archE910ELNS1_3gpuE8ELNS1_3repE0EEENS1_30default_config_static_selectorELNS0_4arch9wavefront6targetE1EEEvT1_
	.p2align	8
	.type	_ZN7rocprim17ROCPRIM_400000_NS6detail17trampoline_kernelINS0_14default_configENS1_27scan_by_key_config_selectorIiiEEZZNS1_16scan_by_key_implILNS1_25lookback_scan_determinismE0ELb0ES3_N6thrust23THRUST_200600_302600_NS10device_ptrIiEESB_SB_iNS9_4plusIvEENS9_8equal_toIvEEiEE10hipError_tPvRmT2_T3_T4_T5_mT6_T7_P12ihipStream_tbENKUlT_T0_E_clISt17integral_constantIbLb1EESV_IbLb0EEEEDaSR_SS_EUlSR_E_NS1_11comp_targetILNS1_3genE4ELNS1_11target_archE910ELNS1_3gpuE8ELNS1_3repE0EEENS1_30default_config_static_selectorELNS0_4arch9wavefront6targetE1EEEvT1_,@function
_ZN7rocprim17ROCPRIM_400000_NS6detail17trampoline_kernelINS0_14default_configENS1_27scan_by_key_config_selectorIiiEEZZNS1_16scan_by_key_implILNS1_25lookback_scan_determinismE0ELb0ES3_N6thrust23THRUST_200600_302600_NS10device_ptrIiEESB_SB_iNS9_4plusIvEENS9_8equal_toIvEEiEE10hipError_tPvRmT2_T3_T4_T5_mT6_T7_P12ihipStream_tbENKUlT_T0_E_clISt17integral_constantIbLb1EESV_IbLb0EEEEDaSR_SS_EUlSR_E_NS1_11comp_targetILNS1_3genE4ELNS1_11target_archE910ELNS1_3gpuE8ELNS1_3repE0EEENS1_30default_config_static_selectorELNS0_4arch9wavefront6targetE1EEEvT1_: ; @_ZN7rocprim17ROCPRIM_400000_NS6detail17trampoline_kernelINS0_14default_configENS1_27scan_by_key_config_selectorIiiEEZZNS1_16scan_by_key_implILNS1_25lookback_scan_determinismE0ELb0ES3_N6thrust23THRUST_200600_302600_NS10device_ptrIiEESB_SB_iNS9_4plusIvEENS9_8equal_toIvEEiEE10hipError_tPvRmT2_T3_T4_T5_mT6_T7_P12ihipStream_tbENKUlT_T0_E_clISt17integral_constantIbLb1EESV_IbLb0EEEEDaSR_SS_EUlSR_E_NS1_11comp_targetILNS1_3genE4ELNS1_11target_archE910ELNS1_3gpuE8ELNS1_3repE0EEENS1_30default_config_static_selectorELNS0_4arch9wavefront6targetE1EEEvT1_
; %bb.0:
	s_load_dwordx8 s[36:43], s[4:5], 0x0
	s_load_dwordx4 s[52:55], s[4:5], 0x28
	s_load_dwordx2 s[56:57], s[4:5], 0x38
	s_load_dword s0, s[4:5], 0x40
	s_load_dwordx8 s[44:51], s[4:5], 0x48
	s_waitcnt lgkmcnt(0)
	s_lshl_b64 s[38:39], s[38:39], 2
	s_add_u32 s2, s36, s38
	s_addc_u32 s3, s37, s39
	s_add_u32 s4, s40, s38
	s_mul_i32 s1, s57, s0
	s_mul_hi_u32 s7, s56, s0
	s_addc_u32 s5, s41, s39
	s_add_i32 s8, s7, s1
	s_mul_i32 s9, s56, s0
	s_cmp_lg_u64 s[48:49], 0
	s_mul_i32 s0, s6, 0xe00
	s_mov_b32 s1, 0
	s_cselect_b64 s[40:41], -1, 0
	s_lshl_b64 s[36:37], s[0:1], 2
	s_add_u32 s34, s2, s36
	s_addc_u32 s35, s3, s37
	s_add_u32 s7, s4, s36
	s_addc_u32 s55, s5, s37
	;; [unrolled: 2-line block ×3, first 2 shown]
	s_add_u32 s2, s44, -1
	s_addc_u32 s3, s45, -1
	v_pk_mov_b32 v[2:3], s[2:3], s[2:3] op_sel:[0,1]
	v_cmp_ge_u64_e64 s[0:1], s[48:49], v[2:3]
	s_mov_b64 s[18:19], 0
	s_mov_b64 s[4:5], -1
	s_and_b64 vcc, exec, s[0:1]
	s_mul_i32 s33, s2, 0xfffff200
	s_barrier
	s_cbranch_vccz .LBB2217_77
; %bb.1:
	v_pk_mov_b32 v[2:3], s[34:35], s[34:35] op_sel:[0,1]
	flat_load_dword v1, v[2:3]
	s_add_i32 s60, s33, s54
	v_cmp_gt_u32_e64 s[2:3], s60, v0
	s_waitcnt vmcnt(0) lgkmcnt(0)
	v_mov_b32_e32 v13, v1
	s_and_saveexec_b64 s[4:5], s[2:3]
	s_cbranch_execz .LBB2217_3
; %bb.2:
	v_lshlrev_b32_e32 v2, 2, v0
	v_mov_b32_e32 v3, s35
	v_add_co_u32_e32 v2, vcc, s34, v2
	v_addc_co_u32_e32 v3, vcc, 0, v3, vcc
	flat_load_dword v13, v[2:3]
.LBB2217_3:
	s_or_b64 exec, exec, s[4:5]
	v_or_b32_e32 v2, 0x100, v0
	v_cmp_gt_u32_e64 s[4:5], s60, v2
	v_mov_b32_e32 v14, v1
	s_and_saveexec_b64 s[8:9], s[4:5]
	s_cbranch_execz .LBB2217_5
; %bb.4:
	v_lshlrev_b32_e32 v2, 2, v0
	v_mov_b32_e32 v3, s35
	v_add_co_u32_e32 v2, vcc, s34, v2
	v_addc_co_u32_e32 v3, vcc, 0, v3, vcc
	flat_load_dword v14, v[2:3] offset:1024
.LBB2217_5:
	s_or_b64 exec, exec, s[8:9]
	v_or_b32_e32 v2, 0x200, v0
	v_cmp_gt_u32_e64 s[30:31], s60, v2
	v_mov_b32_e32 v15, v1
	s_and_saveexec_b64 s[8:9], s[30:31]
	s_cbranch_execz .LBB2217_7
; %bb.6:
	v_lshlrev_b32_e32 v2, 2, v0
	v_mov_b32_e32 v3, s35
	v_add_co_u32_e32 v2, vcc, s34, v2
	v_addc_co_u32_e32 v3, vcc, 0, v3, vcc
	flat_load_dword v15, v[2:3] offset:2048
.LBB2217_7:
	s_or_b64 exec, exec, s[8:9]
	v_or_b32_e32 v2, 0x300, v0
	v_cmp_gt_u32_e64 s[8:9], s60, v2
	v_mov_b32_e32 v16, v1
	s_and_saveexec_b64 s[10:11], s[8:9]
	s_cbranch_execz .LBB2217_9
; %bb.8:
	v_lshlrev_b32_e32 v2, 2, v0
	v_mov_b32_e32 v3, s35
	v_add_co_u32_e32 v2, vcc, s34, v2
	v_addc_co_u32_e32 v3, vcc, 0, v3, vcc
	flat_load_dword v16, v[2:3] offset:3072
.LBB2217_9:
	s_or_b64 exec, exec, s[10:11]
	v_or_b32_e32 v2, 0x400, v0
	v_cmp_gt_u32_e64 s[10:11], s60, v2
	v_mov_b32_e32 v17, v1
	s_and_saveexec_b64 s[12:13], s[10:11]
	s_cbranch_execz .LBB2217_11
; %bb.10:
	v_lshlrev_b32_e32 v3, 2, v2
	v_mov_b32_e32 v5, s35
	v_add_co_u32_e32 v4, vcc, s34, v3
	v_addc_co_u32_e32 v5, vcc, 0, v5, vcc
	flat_load_dword v17, v[4:5]
.LBB2217_11:
	s_or_b64 exec, exec, s[12:13]
	v_or_b32_e32 v3, 0x500, v0
	v_cmp_gt_u32_e64 s[12:13], s60, v3
	v_mov_b32_e32 v18, v1
	s_and_saveexec_b64 s[14:15], s[12:13]
	s_cbranch_execz .LBB2217_13
; %bb.12:
	v_lshlrev_b32_e32 v4, 2, v3
	v_mov_b32_e32 v5, s35
	v_add_co_u32_e32 v4, vcc, s34, v4
	v_addc_co_u32_e32 v5, vcc, 0, v5, vcc
	flat_load_dword v18, v[4:5]
.LBB2217_13:
	;; [unrolled: 13-line block ×9, first 2 shown]
	s_or_b64 exec, exec, s[28:29]
	v_or_b32_e32 v11, 0xd00, v0
	v_cmp_gt_u32_e64 s[28:29], s60, v11
	s_and_saveexec_b64 s[44:45], s[28:29]
	s_cbranch_execz .LBB2217_29
; %bb.28:
	v_lshlrev_b32_e32 v1, 2, v11
	v_mov_b32_e32 v12, s35
	v_add_co_u32_e32 v26, vcc, s34, v1
	v_addc_co_u32_e32 v27, vcc, 0, v12, vcc
	flat_load_dword v1, v[26:27]
.LBB2217_29:
	s_or_b64 exec, exec, s[44:45]
	v_lshlrev_b32_e32 v12, 2, v0
	s_waitcnt vmcnt(0) lgkmcnt(0)
	ds_write2st64_b32 v12, v13, v14 offset1:4
	ds_write2st64_b32 v12, v15, v16 offset0:8 offset1:12
	ds_write2st64_b32 v12, v17, v18 offset0:16 offset1:20
	;; [unrolled: 1-line block ×6, first 2 shown]
	v_mad_u32_u24 v1, v0, 52, v12
	s_waitcnt lgkmcnt(0)
	s_barrier
	ds_read2_b64 v[34:37], v1 offset1:1
	ds_read2_b64 v[30:33], v1 offset0:2 offset1:3
	ds_read2_b64 v[26:29], v1 offset0:4 offset1:5
	ds_read_b64 v[40:41], v1 offset:48
	s_cmp_eq_u64 s[48:49], 0
	s_mov_b64 s[44:45], s[34:35]
	s_cbranch_scc1 .LBB2217_33
; %bb.30:
	s_andn2_b64 vcc, exec, s[40:41]
	s_cbranch_vccnz .LBB2217_183
; %bb.31:
	s_lshl_b64 s[44:45], s[48:49], 2
	s_add_u32 s44, s50, s44
	s_addc_u32 s45, s51, s45
	s_add_u32 s44, s44, -4
	s_addc_u32 s45, s45, -1
	s_cbranch_execnz .LBB2217_33
.LBB2217_32:
	s_add_u32 s44, s34, -4
	s_addc_u32 s45, s35, -1
.LBB2217_33:
	v_pk_mov_b32 v[14:15], s[44:45], s[44:45] op_sel:[0,1]
	flat_load_dword v44, v[14:15]
	s_movk_i32 s44, 0xffcc
	v_mad_i32_i24 v13, v0, s44, v1
	v_cmp_ne_u32_e32 vcc, 0, v0
	s_waitcnt lgkmcnt(0)
	ds_write_b32 v13, v41 offset:14336
	s_waitcnt lgkmcnt(0)
	s_barrier
	s_and_saveexec_b64 s[44:45], vcc
	s_cbranch_execz .LBB2217_35
; %bb.34:
	v_mul_i32_i24_e32 v13, 0xffffffcc, v0
	v_add_u32_e32 v13, v1, v13
	s_waitcnt vmcnt(0)
	ds_read_b32 v44, v13 offset:14332
.LBB2217_35:
	s_or_b64 exec, exec, s[44:45]
	s_waitcnt lgkmcnt(0)
	s_barrier
	s_waitcnt lgkmcnt(0)
                                        ; implicit-def: $vgpr13
	s_and_saveexec_b64 s[44:45], s[2:3]
	s_cbranch_execnz .LBB2217_170
; %bb.36:
	s_or_b64 exec, exec, s[44:45]
                                        ; implicit-def: $vgpr14
	s_and_saveexec_b64 s[2:3], s[4:5]
	s_cbranch_execnz .LBB2217_171
.LBB2217_37:
	s_or_b64 exec, exec, s[2:3]
                                        ; implicit-def: $vgpr15
	s_and_saveexec_b64 s[2:3], s[30:31]
	s_cbranch_execnz .LBB2217_172
.LBB2217_38:
	s_or_b64 exec, exec, s[2:3]
                                        ; implicit-def: $vgpr16
	s_and_saveexec_b64 s[2:3], s[8:9]
	s_cbranch_execnz .LBB2217_173
.LBB2217_39:
	s_or_b64 exec, exec, s[2:3]
                                        ; implicit-def: $vgpr17
	s_and_saveexec_b64 s[2:3], s[10:11]
	s_cbranch_execnz .LBB2217_174
.LBB2217_40:
	s_or_b64 exec, exec, s[2:3]
                                        ; implicit-def: $vgpr2
	s_and_saveexec_b64 s[2:3], s[12:13]
	s_cbranch_execnz .LBB2217_175
.LBB2217_41:
	s_or_b64 exec, exec, s[2:3]
                                        ; implicit-def: $vgpr3
	s_and_saveexec_b64 s[2:3], s[14:15]
	s_cbranch_execnz .LBB2217_176
.LBB2217_42:
	s_or_b64 exec, exec, s[2:3]
                                        ; implicit-def: $vgpr4
	s_and_saveexec_b64 s[2:3], s[16:17]
	s_cbranch_execnz .LBB2217_177
.LBB2217_43:
	s_or_b64 exec, exec, s[2:3]
                                        ; implicit-def: $vgpr5
	s_and_saveexec_b64 s[2:3], s[18:19]
	s_cbranch_execnz .LBB2217_178
.LBB2217_44:
	s_or_b64 exec, exec, s[2:3]
                                        ; implicit-def: $vgpr6
	s_and_saveexec_b64 s[2:3], s[20:21]
	s_cbranch_execnz .LBB2217_179
.LBB2217_45:
	s_or_b64 exec, exec, s[2:3]
                                        ; implicit-def: $vgpr7
	s_and_saveexec_b64 s[2:3], s[22:23]
	s_cbranch_execnz .LBB2217_180
.LBB2217_46:
	s_or_b64 exec, exec, s[2:3]
                                        ; implicit-def: $vgpr8
	s_and_saveexec_b64 s[2:3], s[24:25]
	s_cbranch_execnz .LBB2217_181
.LBB2217_47:
	s_or_b64 exec, exec, s[2:3]
                                        ; implicit-def: $vgpr9
	s_and_saveexec_b64 s[2:3], s[26:27]
	s_cbranch_execnz .LBB2217_182
.LBB2217_48:
	s_or_b64 exec, exec, s[2:3]
                                        ; implicit-def: $vgpr10
	s_and_saveexec_b64 s[2:3], s[28:29]
	s_cbranch_execz .LBB2217_50
.LBB2217_49:
	v_lshlrev_b32_e32 v10, 2, v11
	v_mov_b32_e32 v11, s55
	v_add_co_u32_e32 v10, vcc, s7, v10
	v_addc_co_u32_e32 v11, vcc, 0, v11, vcc
	flat_load_dword v10, v[10:11]
.LBB2217_50:
	s_or_b64 exec, exec, s[2:3]
	s_mov_b32 s8, 0
	s_mov_b32 s9, s8
	s_waitcnt vmcnt(0) lgkmcnt(0)
	ds_write2st64_b32 v12, v13, v14 offset1:4
	ds_write2st64_b32 v12, v15, v16 offset0:8 offset1:12
	ds_write2st64_b32 v12, v17, v2 offset0:16 offset1:20
	;; [unrolled: 1-line block ×6, first 2 shown]
	s_mov_b32 s10, s8
	s_mov_b32 s11, s8
	s_mov_b32 s12, s8
	s_mov_b32 s13, s8
	s_mov_b32 s14, s8
	s_mov_b32 s15, s8
	v_pk_mov_b32 v[2:3], s[8:9], s[8:9] op_sel:[0,1]
	v_pk_mov_b32 v[8:9], s[14:15], s[14:15] op_sel:[0,1]
	v_mul_u32_u24_e32 v42, 14, v0
	v_pk_mov_b32 v[4:5], s[10:11], s[10:11] op_sel:[0,1]
	v_pk_mov_b32 v[6:7], s[12:13], s[12:13] op_sel:[0,1]
	;; [unrolled: 1-line block ×4, first 2 shown]
	v_cmp_gt_u32_e32 vcc, s60, v42
	s_mov_b64 s[4:5], 0
	v_pk_mov_b32 v[38:39], 0, 0
	s_mov_b64 s[18:19], 0
	v_pk_mov_b32 v[14:15], v[6:7], v[6:7] op_sel:[0,1]
	v_pk_mov_b32 v[12:13], v[4:5], v[4:5] op_sel:[0,1]
	v_pk_mov_b32 v[10:11], v[2:3], v[2:3] op_sel:[0,1]
	v_pk_mov_b32 v[22:23], v[6:7], v[6:7] op_sel:[0,1]
	v_pk_mov_b32 v[20:21], v[4:5], v[4:5] op_sel:[0,1]
	v_pk_mov_b32 v[18:19], v[2:3], v[2:3] op_sel:[0,1]
	s_waitcnt lgkmcnt(0)
	s_barrier
	s_waitcnt lgkmcnt(0)
                                        ; implicit-def: $sgpr2_sgpr3
                                        ; implicit-def: $vgpr43
	s_and_saveexec_b64 s[16:17], vcc
	s_cbranch_execz .LBB2217_76
; %bb.51:
	v_or_b32_e32 v2, 1, v42
	ds_read_b32 v38, v1
	v_cmp_ne_u32_e32 vcc, v44, v34
	v_cndmask_b32_e64 v39, 0, 1, vcc
	v_cmp_gt_u32_e32 vcc, s60, v2
	v_pk_mov_b32 v[2:3], s[8:9], s[8:9] op_sel:[0,1]
	v_pk_mov_b32 v[8:9], s[14:15], s[14:15] op_sel:[0,1]
	;; [unrolled: 1-line block ×6, first 2 shown]
	s_mov_b64 s[20:21], 0
	v_pk_mov_b32 v[14:15], v[6:7], v[6:7] op_sel:[0,1]
	v_pk_mov_b32 v[12:13], v[4:5], v[4:5] op_sel:[0,1]
	;; [unrolled: 1-line block ×6, first 2 shown]
                                        ; implicit-def: $sgpr8_sgpr9
                                        ; implicit-def: $vgpr43
	s_and_saveexec_b64 s[18:19], vcc
	s_cbranch_execz .LBB2217_75
; %bb.52:
	ds_read2_b32 v[44:45], v1 offset0:1 offset1:2
	s_mov_b32 s8, 0
	s_mov_b32 s14, s8
	;; [unrolled: 1-line block ×8, first 2 shown]
	v_pk_mov_b32 v[16:17], s[14:15], s[14:15] op_sel:[0,1]
	v_add_u32_e32 v2, 2, v42
	v_cmp_ne_u32_e32 vcc, v34, v35
	v_mov_b32_e32 v6, 0
	v_pk_mov_b32 v[14:15], s[12:13], s[12:13] op_sel:[0,1]
	v_pk_mov_b32 v[12:13], s[10:11], s[10:11] op_sel:[0,1]
	;; [unrolled: 1-line block ×4, first 2 shown]
	v_cndmask_b32_e64 v3, 0, 1, vcc
	v_cmp_gt_u32_e32 vcc, s60, v2
	s_waitcnt lgkmcnt(0)
	v_mov_b32_e32 v2, v44
	v_mov_b32_e32 v4, v6
	;; [unrolled: 1-line block ×6, first 2 shown]
	s_mov_b64 s[2:3], 0
	v_pk_mov_b32 v[22:23], v[14:15], v[14:15] op_sel:[0,1]
	v_pk_mov_b32 v[20:21], v[12:13], v[12:13] op_sel:[0,1]
	;; [unrolled: 1-line block ×3, first 2 shown]
                                        ; implicit-def: $sgpr22_sgpr23
                                        ; implicit-def: $vgpr43
	s_and_saveexec_b64 s[20:21], vcc
	s_cbranch_execz .LBB2217_74
; %bb.53:
	v_pk_mov_b32 v[16:17], s[14:15], s[14:15] op_sel:[0,1]
	v_add_u32_e32 v2, 3, v42
	v_cmp_ne_u32_e32 vcc, v35, v36
	v_pk_mov_b32 v[14:15], s[12:13], s[12:13] op_sel:[0,1]
	v_pk_mov_b32 v[12:13], s[10:11], s[10:11] op_sel:[0,1]
	;; [unrolled: 1-line block ×4, first 2 shown]
	v_cndmask_b32_e64 v5, 0, 1, vcc
	v_cmp_gt_u32_e32 vcc, s60, v2
	v_mov_b32_e32 v2, v44
	v_mov_b32_e32 v4, v45
	;; [unrolled: 1-line block ×5, first 2 shown]
	v_pk_mov_b32 v[22:23], v[14:15], v[14:15] op_sel:[0,1]
	v_pk_mov_b32 v[20:21], v[12:13], v[12:13] op_sel:[0,1]
	;; [unrolled: 1-line block ×3, first 2 shown]
                                        ; implicit-def: $sgpr8_sgpr9
                                        ; implicit-def: $vgpr43
	s_and_saveexec_b64 s[22:23], vcc
	s_cbranch_execz .LBB2217_73
; %bb.54:
	ds_read2_b32 v[34:35], v1 offset0:3 offset1:4
	s_mov_b32 s8, 0
	s_mov_b32 s14, s8
	;; [unrolled: 1-line block ×8, first 2 shown]
	v_pk_mov_b32 v[16:17], s[14:15], s[14:15] op_sel:[0,1]
	v_add_u32_e32 v6, 4, v42
	v_cmp_ne_u32_e32 vcc, v36, v37
	v_pk_mov_b32 v[14:15], s[12:13], s[12:13] op_sel:[0,1]
	v_pk_mov_b32 v[12:13], s[10:11], s[10:11] op_sel:[0,1]
	;; [unrolled: 1-line block ×4, first 2 shown]
	v_cndmask_b32_e64 v7, 0, 1, vcc
	v_cmp_gt_u32_e32 vcc, s60, v6
	s_waitcnt lgkmcnt(0)
	v_mov_b32_e32 v6, v34
	v_mov_b32_e32 v8, s8
	;; [unrolled: 1-line block ×3, first 2 shown]
	v_pk_mov_b32 v[22:23], v[14:15], v[14:15] op_sel:[0,1]
	v_pk_mov_b32 v[20:21], v[12:13], v[12:13] op_sel:[0,1]
	;; [unrolled: 1-line block ×3, first 2 shown]
                                        ; implicit-def: $sgpr26_sgpr27
                                        ; implicit-def: $vgpr43
	s_and_saveexec_b64 s[24:25], vcc
	s_cbranch_execz .LBB2217_72
; %bb.55:
	v_pk_mov_b32 v[16:17], s[14:15], s[14:15] op_sel:[0,1]
	v_add_u32_e32 v8, 5, v42
	v_cmp_ne_u32_e32 vcc, v37, v30
	v_pk_mov_b32 v[14:15], s[12:13], s[12:13] op_sel:[0,1]
	v_pk_mov_b32 v[12:13], s[10:11], s[10:11] op_sel:[0,1]
	;; [unrolled: 1-line block ×4, first 2 shown]
	v_cndmask_b32_e64 v9, 0, 1, vcc
	v_cmp_gt_u32_e32 vcc, s60, v8
	v_mov_b32_e32 v8, v35
	v_pk_mov_b32 v[22:23], v[14:15], v[14:15] op_sel:[0,1]
	v_pk_mov_b32 v[20:21], v[12:13], v[12:13] op_sel:[0,1]
	;; [unrolled: 1-line block ×3, first 2 shown]
                                        ; implicit-def: $sgpr8_sgpr9
                                        ; implicit-def: $vgpr43
	s_and_saveexec_b64 s[26:27], vcc
	s_cbranch_execz .LBB2217_71
; %bb.56:
	ds_read2_b32 v[34:35], v1 offset0:5 offset1:6
	s_mov_b32 s8, 0
	s_mov_b32 s14, s8
	;; [unrolled: 1-line block ×3, first 2 shown]
	v_add_u32_e32 v10, 6, v42
	v_cmp_ne_u32_e32 vcc, v30, v31
	v_mov_b32_e32 v14, 0
	s_mov_b32 s9, s8
	s_mov_b32 s10, s8
	;; [unrolled: 1-line block ×5, first 2 shown]
	v_pk_mov_b32 v[24:25], s[14:15], s[14:15] op_sel:[0,1]
	v_cndmask_b32_e64 v11, 0, 1, vcc
	v_cmp_gt_u32_e32 vcc, s60, v10
	s_waitcnt lgkmcnt(0)
	v_mov_b32_e32 v10, v34
	v_mov_b32_e32 v12, v14
	;; [unrolled: 1-line block ×6, first 2 shown]
	v_pk_mov_b32 v[22:23], s[12:13], s[12:13] op_sel:[0,1]
	v_pk_mov_b32 v[20:21], s[10:11], s[10:11] op_sel:[0,1]
	;; [unrolled: 1-line block ×3, first 2 shown]
                                        ; implicit-def: $sgpr30_sgpr31
                                        ; implicit-def: $vgpr43
	s_and_saveexec_b64 s[28:29], vcc
	s_cbranch_execz .LBB2217_70
; %bb.57:
	v_add_u32_e32 v10, 7, v42
	v_cmp_ne_u32_e32 vcc, v31, v32
	v_pk_mov_b32 v[24:25], s[14:15], s[14:15] op_sel:[0,1]
	v_cndmask_b32_e64 v13, 0, 1, vcc
	v_cmp_gt_u32_e32 vcc, s60, v10
	v_mov_b32_e32 v10, v34
	v_mov_b32_e32 v12, v35
	;; [unrolled: 1-line block ×5, first 2 shown]
	v_pk_mov_b32 v[22:23], s[12:13], s[12:13] op_sel:[0,1]
	v_pk_mov_b32 v[20:21], s[10:11], s[10:11] op_sel:[0,1]
	;; [unrolled: 1-line block ×3, first 2 shown]
                                        ; implicit-def: $sgpr8_sgpr9
                                        ; implicit-def: $vgpr43
	s_and_saveexec_b64 s[30:31], vcc
	s_cbranch_execz .LBB2217_69
; %bb.58:
	ds_read2_b32 v[30:31], v1 offset0:7 offset1:8
	s_mov_b32 s8, 0
	s_mov_b32 s14, s8
	;; [unrolled: 1-line block ×3, first 2 shown]
	v_add_u32_e32 v14, 8, v42
	v_cmp_ne_u32_e32 vcc, v32, v33
	s_mov_b32 s9, s8
	s_mov_b32 s10, s8
	;; [unrolled: 1-line block ×5, first 2 shown]
	v_pk_mov_b32 v[24:25], s[14:15], s[14:15] op_sel:[0,1]
	v_cndmask_b32_e64 v15, 0, 1, vcc
	v_cmp_gt_u32_e32 vcc, s60, v14
	s_waitcnt lgkmcnt(0)
	v_mov_b32_e32 v14, v30
	v_mov_b32_e32 v16, s8
	;; [unrolled: 1-line block ×3, first 2 shown]
	v_pk_mov_b32 v[22:23], s[12:13], s[12:13] op_sel:[0,1]
	v_pk_mov_b32 v[20:21], s[10:11], s[10:11] op_sel:[0,1]
	;; [unrolled: 1-line block ×3, first 2 shown]
                                        ; implicit-def: $sgpr58_sgpr59
                                        ; implicit-def: $vgpr43
	s_and_saveexec_b64 s[44:45], vcc
	s_cbranch_execz .LBB2217_68
; %bb.59:
	v_add_u32_e32 v16, 9, v42
	v_cmp_ne_u32_e32 vcc, v33, v26
	v_pk_mov_b32 v[24:25], s[14:15], s[14:15] op_sel:[0,1]
	v_cndmask_b32_e64 v17, 0, 1, vcc
	v_cmp_gt_u32_e32 vcc, s60, v16
	v_mov_b32_e32 v16, v31
	v_pk_mov_b32 v[22:23], s[12:13], s[12:13] op_sel:[0,1]
	v_pk_mov_b32 v[20:21], s[10:11], s[10:11] op_sel:[0,1]
	;; [unrolled: 1-line block ×3, first 2 shown]
                                        ; implicit-def: $sgpr10_sgpr11
                                        ; implicit-def: $vgpr43
	s_and_saveexec_b64 s[8:9], vcc
	s_cbranch_execz .LBB2217_67
; %bb.60:
	ds_read2_b32 v[30:31], v1 offset0:9 offset1:10
	v_add_u32_e32 v18, 10, v42
	v_cmp_ne_u32_e32 vcc, v26, v27
	v_mov_b32_e32 v22, 0
	v_cndmask_b32_e64 v19, 0, 1, vcc
	v_cmp_gt_u32_e32 vcc, s60, v18
	s_waitcnt lgkmcnt(0)
	v_mov_b32_e32 v18, v30
	v_mov_b32_e32 v20, v22
	v_mov_b32_e32 v21, v22
	v_mov_b32_e32 v23, v22
	v_mov_b32_e32 v24, v22
	v_mov_b32_e32 v25, v22
                                        ; implicit-def: $sgpr12_sgpr13
                                        ; implicit-def: $vgpr43
	s_and_saveexec_b64 s[10:11], vcc
	s_cbranch_execz .LBB2217_66
; %bb.61:
	v_add_u32_e32 v18, 11, v42
	v_cmp_ne_u32_e32 vcc, v27, v28
	v_cndmask_b32_e64 v21, 0, 1, vcc
	v_cmp_gt_u32_e32 vcc, s60, v18
	s_mov_b32 s58, 0
	v_mov_b32_e32 v18, v30
	v_mov_b32_e32 v20, v31
	;; [unrolled: 1-line block ×5, first 2 shown]
                                        ; implicit-def: $sgpr14_sgpr15
                                        ; implicit-def: $vgpr43
	s_and_saveexec_b64 s[12:13], vcc
	s_cbranch_execz .LBB2217_65
; %bb.62:
	ds_read2_b32 v[26:27], v1 offset0:11 offset1:12
	v_add_u32_e32 v22, 12, v42
	v_cmp_ne_u32_e32 vcc, v28, v29
	v_cndmask_b32_e64 v23, 0, 1, vcc
	v_cmp_gt_u32_e32 vcc, s60, v22
	s_waitcnt lgkmcnt(0)
	v_mov_b32_e32 v22, v26
	v_mov_b32_e32 v24, s58
	;; [unrolled: 1-line block ×3, first 2 shown]
                                        ; implicit-def: $sgpr14_sgpr15
                                        ; implicit-def: $vgpr43
	s_and_saveexec_b64 s[58:59], vcc
	s_xor_b64 s[58:59], exec, s[58:59]
	s_cbranch_execz .LBB2217_64
; %bb.63:
	ds_read_b32 v43, v1 offset:52
	v_add_u32_e32 v1, 13, v42
	v_cmp_ne_u32_e64 s[2:3], v29, v40
	v_cmp_ne_u32_e32 vcc, v40, v41
	v_cndmask_b32_e64 v25, 0, 1, s[2:3]
	v_cmp_gt_u32_e64 s[2:3], s60, v1
	v_mov_b32_e32 v24, v27
	s_and_b64 s[14:15], vcc, exec
	s_and_b64 s[2:3], s[2:3], exec
.LBB2217_64:
	s_or_b64 exec, exec, s[58:59]
	s_and_b64 s[14:15], s[14:15], exec
	s_and_b64 s[2:3], s[2:3], exec
.LBB2217_65:
	s_or_b64 exec, exec, s[12:13]
	s_and_b64 s[12:13], s[14:15], exec
	s_and_b64 s[2:3], s[2:3], exec
.LBB2217_66:
	s_or_b64 exec, exec, s[10:11]
	s_and_b64 s[10:11], s[12:13], exec
	s_and_b64 s[2:3], s[2:3], exec
.LBB2217_67:
	s_or_b64 exec, exec, s[8:9]
	s_and_b64 s[58:59], s[10:11], exec
	s_and_b64 s[2:3], s[2:3], exec
.LBB2217_68:
	s_or_b64 exec, exec, s[44:45]
	s_and_b64 s[8:9], s[58:59], exec
	s_and_b64 s[2:3], s[2:3], exec
.LBB2217_69:
	s_or_b64 exec, exec, s[30:31]
	s_and_b64 s[30:31], s[8:9], exec
	s_and_b64 s[2:3], s[2:3], exec
.LBB2217_70:
	s_or_b64 exec, exec, s[28:29]
	s_and_b64 s[8:9], s[30:31], exec
	s_and_b64 s[2:3], s[2:3], exec
.LBB2217_71:
	s_or_b64 exec, exec, s[26:27]
	s_and_b64 s[26:27], s[8:9], exec
	s_and_b64 s[2:3], s[2:3], exec
.LBB2217_72:
	s_or_b64 exec, exec, s[24:25]
	s_and_b64 s[8:9], s[26:27], exec
	s_and_b64 s[2:3], s[2:3], exec
.LBB2217_73:
	s_or_b64 exec, exec, s[22:23]
	s_and_b64 s[22:23], s[8:9], exec
	s_and_b64 s[2:3], s[2:3], exec
.LBB2217_74:
	s_or_b64 exec, exec, s[20:21]
	s_and_b64 s[8:9], s[22:23], exec
	s_and_b64 s[20:21], s[2:3], exec
.LBB2217_75:
	s_or_b64 exec, exec, s[18:19]
	s_and_b64 s[2:3], s[8:9], exec
	s_and_b64 s[18:19], s[20:21], exec
.LBB2217_76:
	s_or_b64 exec, exec, s[16:17]
	s_and_b64 vcc, exec, s[4:5]
	v_lshlrev_b32_e32 v50, 2, v0
	s_cbranch_vccnz .LBB2217_78
	s_branch .LBB2217_86
.LBB2217_77:
                                        ; implicit-def: $sgpr2_sgpr3
                                        ; implicit-def: $vgpr2_vgpr3_vgpr4_vgpr5_vgpr6_vgpr7_vgpr8_vgpr9
                                        ; implicit-def: $vgpr10_vgpr11_vgpr12_vgpr13_vgpr14_vgpr15_vgpr16_vgpr17
                                        ; implicit-def: $vgpr18_vgpr19_vgpr20_vgpr21_vgpr22_vgpr23_vgpr24_vgpr25
                                        ; implicit-def: $vgpr43
                                        ; implicit-def: $vgpr38_vgpr39
	s_and_b64 vcc, exec, s[4:5]
	v_lshlrev_b32_e32 v50, 2, v0
	s_cbranch_vccz .LBB2217_86
.LBB2217_78:
	v_mov_b32_e32 v1, s35
	v_add_co_u32_e32 v2, vcc, s34, v50
	v_addc_co_u32_e32 v3, vcc, 0, v1, vcc
	v_add_co_u32_e32 v4, vcc, 0x1000, v2
	v_addc_co_u32_e32 v5, vcc, 0, v3, vcc
	flat_load_dword v6, v[2:3]
	flat_load_dword v7, v[2:3] offset:1024
	flat_load_dword v8, v[2:3] offset:2048
	flat_load_dword v9, v[2:3] offset:3072
	flat_load_dword v10, v[4:5]
	flat_load_dword v11, v[4:5] offset:1024
	flat_load_dword v12, v[4:5] offset:2048
	;; [unrolled: 1-line block ×3, first 2 shown]
	v_add_co_u32_e32 v4, vcc, 0x2000, v2
	v_addc_co_u32_e32 v5, vcc, 0, v3, vcc
	v_add_co_u32_e32 v2, vcc, 0x3000, v2
	v_addc_co_u32_e32 v3, vcc, 0, v3, vcc
	flat_load_dword v14, v[4:5]
	flat_load_dword v15, v[4:5] offset:1024
	flat_load_dword v16, v[4:5] offset:2048
	;; [unrolled: 1-line block ×3, first 2 shown]
	flat_load_dword v18, v[2:3]
	flat_load_dword v19, v[2:3] offset:1024
	v_mad_u32_u24 v1, v0, 52, v50
	s_cmp_eq_u64 s[48:49], 0
	s_waitcnt vmcnt(0) lgkmcnt(0)
	ds_write2st64_b32 v50, v6, v7 offset1:4
	ds_write2st64_b32 v50, v8, v9 offset0:8 offset1:12
	ds_write2st64_b32 v50, v10, v11 offset0:16 offset1:20
	;; [unrolled: 1-line block ×6, first 2 shown]
	s_waitcnt lgkmcnt(0)
	s_barrier
	ds_read2_b64 v[2:5], v1 offset1:1
	ds_read2_b64 v[10:13], v1 offset0:2 offset1:3
	ds_read2_b64 v[18:21], v1 offset0:4 offset1:5
	ds_read_b64 v[6:7], v1 offset:48
	s_cbranch_scc1 .LBB2217_83
; %bb.79:
	s_andn2_b64 vcc, exec, s[40:41]
	s_cbranch_vccnz .LBB2217_184
; %bb.80:
	s_lshl_b64 s[2:3], s[48:49], 2
	s_add_u32 s2, s50, s2
	s_addc_u32 s3, s51, s3
	s_add_u32 s2, s2, -4
	s_addc_u32 s3, s3, -1
	s_cbranch_execnz .LBB2217_82
.LBB2217_81:
	s_add_u32 s2, s34, -4
	s_addc_u32 s3, s35, -1
.LBB2217_82:
	s_mov_b64 s[34:35], s[2:3]
.LBB2217_83:
	v_pk_mov_b32 v[8:9], s[34:35], s[34:35] op_sel:[0,1]
	flat_load_dword v8, v[8:9]
	s_movk_i32 s2, 0xffcc
	v_mad_i32_i24 v9, v0, s2, v1
	v_cmp_ne_u32_e32 vcc, 0, v0
	s_waitcnt lgkmcnt(0)
	ds_write_b32 v9, v7 offset:14336
	s_waitcnt lgkmcnt(0)
	s_barrier
	s_and_saveexec_b64 s[2:3], vcc
	s_cbranch_execz .LBB2217_85
; %bb.84:
	s_waitcnt vmcnt(0)
	v_mul_i32_i24_e32 v8, 0xffffffcc, v0
	v_add_u32_e32 v8, v1, v8
	ds_read_b32 v8, v8 offset:14332
.LBB2217_85:
	s_or_b64 exec, exec, s[2:3]
	v_mov_b32_e32 v9, s55
	v_add_co_u32_e32 v14, vcc, s7, v50
	v_addc_co_u32_e32 v15, vcc, 0, v9, vcc
	s_movk_i32 s2, 0x1000
	v_add_co_u32_e32 v16, vcc, s2, v14
	v_addc_co_u32_e32 v17, vcc, 0, v15, vcc
	s_movk_i32 s2, 0x2000
	s_waitcnt lgkmcnt(0)
	s_barrier
	flat_load_dword v22, v[14:15]
	flat_load_dword v24, v[14:15] offset:1024
	flat_load_dword v26, v[14:15] offset:2048
	;; [unrolled: 1-line block ×3, first 2 shown]
	flat_load_dword v28, v[16:17]
	flat_load_dword v29, v[16:17] offset:1024
	flat_load_dword v30, v[16:17] offset:2048
	;; [unrolled: 1-line block ×3, first 2 shown]
	v_add_co_u32_e32 v16, vcc, s2, v14
	v_addc_co_u32_e32 v17, vcc, 0, v15, vcc
	s_movk_i32 s2, 0x3000
	v_add_co_u32_e32 v14, vcc, s2, v14
	v_addc_co_u32_e32 v15, vcc, 0, v15, vcc
	flat_load_dword v32, v[16:17]
	flat_load_dword v33, v[16:17] offset:1024
	flat_load_dword v34, v[16:17] offset:2048
	;; [unrolled: 1-line block ×3, first 2 shown]
	flat_load_dword v36, v[14:15]
	flat_load_dword v37, v[14:15] offset:1024
	s_waitcnt vmcnt(0)
	v_cmp_ne_u32_e32 vcc, v8, v2
	v_cndmask_b32_e64 v39, 0, 1, vcc
	v_cmp_ne_u32_e32 vcc, v5, v10
	v_cndmask_b32_e64 v9, 0, 1, vcc
	v_cmp_ne_u32_e32 vcc, v4, v5
	v_cmp_ne_u32_e64 s[2:3], v6, v7
	v_cndmask_b32_e64 v7, 0, 1, vcc
	v_cmp_ne_u32_e32 vcc, v3, v4
	v_cndmask_b32_e64 v5, 0, 1, vcc
	v_cmp_ne_u32_e32 vcc, v2, v3
	;; [unrolled: 2-line block ×10, first 2 shown]
	v_cndmask_b32_e64 v19, 0, 1, vcc
	s_mov_b64 s[18:19], -1
                                        ; implicit-def: $sgpr4_sgpr5
	s_waitcnt lgkmcnt(0)
	ds_write2st64_b32 v50, v22, v24 offset1:4
	ds_write2st64_b32 v50, v26, v27 offset0:8 offset1:12
	ds_write2st64_b32 v50, v28, v29 offset0:16 offset1:20
	;; [unrolled: 1-line block ×6, first 2 shown]
	s_waitcnt lgkmcnt(0)
	s_barrier
	ds_read2_b32 v[42:43], v1 offset1:13
	ds_read2_b32 v[26:27], v1 offset0:7 offset1:8
	ds_read2_b32 v[28:29], v1 offset0:5 offset1:6
	;; [unrolled: 1-line block ×6, first 2 shown]
	s_waitcnt lgkmcnt(6)
	v_mov_b32_e32 v38, v42
	s_waitcnt lgkmcnt(4)
	v_mov_b32_e32 v10, v28
	;; [unrolled: 2-line block ×4, first 2 shown]
	v_mov_b32_e32 v4, v33
	v_mov_b32_e32 v8, v31
	;; [unrolled: 1-line block ×5, first 2 shown]
	s_waitcnt lgkmcnt(0)
	v_mov_b32_e32 v18, v36
	v_mov_b32_e32 v20, v37
	;; [unrolled: 1-line block ×4, first 2 shown]
.LBB2217_86:
	v_pk_mov_b32 v[40:41], s[4:5], s[4:5] op_sel:[0,1]
	s_and_saveexec_b64 s[4:5], s[18:19]
	s_cbranch_execz .LBB2217_88
; %bb.87:
	v_cndmask_b32_e64 v41, 0, 1, s[2:3]
	s_waitcnt lgkmcnt(0)
	v_mov_b32_e32 v40, v43
.LBB2217_88:
	s_or_b64 exec, exec, s[4:5]
	s_mov_b32 s26, 0
	s_cmp_lg_u32 s6, 0
	v_mbcnt_lo_u32_b32 v52, -1, 0
	v_lshrrev_b32_e32 v1, 6, v0
	v_or_b32_e32 v51, 63, v0
	s_waitcnt lgkmcnt(0)
	s_barrier
	s_cbranch_scc0 .LBB2217_121
; %bb.89:
	s_mov_b32 s27, 1
	v_cmp_gt_u64_e64 s[2:3], s[26:27], v[2:3]
	v_cndmask_b32_e64 v27, 0, v38, s[2:3]
	v_add_u32_e32 v27, v27, v2
	v_cmp_gt_u64_e64 s[4:5], s[26:27], v[4:5]
	v_cndmask_b32_e64 v27, 0, v27, s[4:5]
	v_add_u32_e32 v27, v27, v4
	;; [unrolled: 3-line block ×13, first 2 shown]
	v_or3_b32 v27, v41, v25, v23
	v_or3_b32 v27, v27, v21, v19
	;; [unrolled: 1-line block ×6, first 2 shown]
	v_mov_b32_e32 v26, 0
	v_and_b32_e32 v27, 1, v27
	v_cmp_eq_u64_e32 vcc, 0, v[26:27]
	v_cndmask_b32_e32 v26, 1, v39, vcc
	v_mbcnt_hi_u32_b32 v46, -1, v52
	v_mov_b32_dpp v29, v28 row_shr:1 row_mask:0xf bank_mask:0xf
	v_mov_b32_dpp v30, v26 row_shr:1 row_mask:0xf bank_mask:0xf
	v_cmp_eq_u32_e32 vcc, 0, v26
	v_and_b32_e32 v31, 1, v26
	v_and_b32_e32 v27, 15, v46
	v_cndmask_b32_e32 v29, 0, v29, vcc
	v_and_b32_e32 v30, 1, v30
	v_cmp_eq_u32_e32 vcc, 1, v31
	v_cndmask_b32_e64 v30, v30, 1, vcc
	v_cmp_eq_u32_e32 vcc, 0, v27
	v_cndmask_b32_e32 v26, v30, v26, vcc
	v_and_b32_e32 v31, 1, v26
	v_cmp_eq_u32_e64 s[28:29], 1, v31
	v_mov_b32_dpp v30, v26 row_shr:2 row_mask:0xf bank_mask:0xf
	v_and_b32_e32 v30, 1, v30
	v_cndmask_b32_e64 v30, v30, 1, s[28:29]
	v_cmp_lt_u32_e64 s[28:29], 1, v27
	v_cndmask_b32_e64 v29, v29, 0, vcc
	v_cmp_eq_u32_e32 vcc, 0, v26
	v_cndmask_b32_e64 v26, v26, v30, s[28:29]
	v_add_u32_e32 v28, v29, v28
	v_and_b32_e32 v31, 1, v26
	v_mov_b32_dpp v30, v26 row_shr:4 row_mask:0xf bank_mask:0xf
	v_mov_b32_dpp v29, v28 row_shr:2 row_mask:0xf bank_mask:0xf
	s_and_b64 vcc, s[28:29], vcc
	v_and_b32_e32 v30, 1, v30
	v_cmp_eq_u32_e64 s[28:29], 1, v31
	v_cndmask_b32_e32 v29, 0, v29, vcc
	v_cndmask_b32_e64 v30, v30, 1, s[28:29]
	v_cmp_lt_u32_e64 s[28:29], 3, v27
	v_add_u32_e32 v28, v29, v28
	v_cmp_eq_u32_e32 vcc, 0, v26
	v_cndmask_b32_e64 v26, v26, v30, s[28:29]
	v_mov_b32_dpp v29, v28 row_shr:4 row_mask:0xf bank_mask:0xf
	s_and_b64 vcc, s[28:29], vcc
	v_mov_b32_dpp v30, v26 row_shr:8 row_mask:0xf bank_mask:0xf
	v_and_b32_e32 v31, 1, v26
	v_cndmask_b32_e32 v29, 0, v29, vcc
	v_and_b32_e32 v30, 1, v30
	v_cmp_eq_u32_e64 s[28:29], 1, v31
	v_add_u32_e32 v28, v29, v28
	v_cmp_eq_u32_e32 vcc, 0, v26
	v_cndmask_b32_e64 v30, v30, 1, s[28:29]
	v_cmp_lt_u32_e64 s[28:29], 7, v27
	v_mov_b32_dpp v29, v28 row_shr:8 row_mask:0xf bank_mask:0xf
	s_and_b64 vcc, s[28:29], vcc
	v_cndmask_b32_e32 v27, 0, v29, vcc
	v_cndmask_b32_e64 v26, v26, v30, s[28:29]
	v_add_u32_e32 v27, v27, v28
	v_cmp_eq_u32_e32 vcc, 0, v26
	v_mov_b32_dpp v29, v26 row_bcast:15 row_mask:0xf bank_mask:0xf
	v_mov_b32_dpp v28, v27 row_bcast:15 row_mask:0xf bank_mask:0xf
	v_and_b32_e32 v32, 1, v26
	v_and_b32_e32 v31, 16, v46
	v_cndmask_b32_e32 v28, 0, v28, vcc
	v_and_b32_e32 v29, 1, v29
	v_cmp_eq_u32_e32 vcc, 1, v32
	v_bfe_i32 v30, v46, 4, 1
	v_cndmask_b32_e64 v29, v29, 1, vcc
	v_cmp_eq_u32_e32 vcc, 0, v31
	v_and_b32_e32 v28, v30, v28
	v_cndmask_b32_e32 v26, v29, v26, vcc
	v_add_u32_e32 v27, v28, v27
	v_and_b32_e32 v30, 1, v26
	v_mov_b32_dpp v28, v26 row_bcast:31 row_mask:0xf bank_mask:0xf
	v_and_b32_e32 v28, 1, v28
	v_cmp_eq_u32_e64 s[28:29], 1, v30
	v_cmp_eq_u32_e32 vcc, 0, v26
	v_cndmask_b32_e64 v28, v28, 1, s[28:29]
	v_cmp_lt_u32_e64 s[28:29], 31, v46
	v_mov_b32_dpp v29, v27 row_bcast:31 row_mask:0xf bank_mask:0xf
	s_and_b64 vcc, s[28:29], vcc
	v_cndmask_b32_e64 v28, v26, v28, s[28:29]
	v_cndmask_b32_e32 v26, 0, v29, vcc
	v_add_u32_e32 v29, v26, v27
	v_cmp_eq_u32_e32 vcc, v51, v0
	s_and_saveexec_b64 s[28:29], vcc
	s_cbranch_execz .LBB2217_91
; %bb.90:
	v_lshlrev_b32_e32 v26, 3, v1
	ds_write_b32 v26, v29
	ds_write_b8 v26, v28 offset:4
.LBB2217_91:
	s_or_b64 exec, exec, s[28:29]
	v_cmp_gt_u32_e32 vcc, 4, v0
	s_waitcnt lgkmcnt(0)
	s_barrier
	s_and_saveexec_b64 s[28:29], vcc
	s_cbranch_execz .LBB2217_95
; %bb.92:
	v_lshlrev_b32_e32 v30, 3, v0
	ds_read_b64 v[26:27], v30
	v_and_b32_e32 v31, 3, v46
	v_cmp_ne_u32_e32 vcc, 0, v31
	s_waitcnt lgkmcnt(0)
	v_mov_b32_dpp v32, v26 row_shr:1 row_mask:0xf bank_mask:0xf
	v_mov_b32_dpp v34, v27 row_shr:1 row_mask:0xf bank_mask:0xf
	v_mov_b32_e32 v33, v27
	s_and_saveexec_b64 s[34:35], vcc
	s_cbranch_execz .LBB2217_94
; %bb.93:
	v_and_b32_e32 v33, 1, v27
	v_and_b32_e32 v34, 1, v34
	v_cmp_eq_u32_e32 vcc, 1, v33
	v_mov_b32_e32 v33, 0
	v_cndmask_b32_e64 v34, v34, 1, vcc
	v_cmp_eq_u16_sdwa vcc, v27, v33 src0_sel:BYTE_0 src1_sel:DWORD
	v_cndmask_b32_e32 v32, 0, v32, vcc
	v_add_u32_e32 v26, v32, v26
	v_and_b32_e32 v32, 0xffff, v34
	s_movk_i32 s7, 0xff00
	v_and_or_b32 v33, v27, s7, v32
	v_mov_b32_e32 v27, v34
.LBB2217_94:
	s_or_b64 exec, exec, s[34:35]
	v_mov_b32_dpp v33, v33 row_shr:2 row_mask:0xf bank_mask:0xf
	v_and_b32_e32 v34, 1, v27
	v_and_b32_e32 v33, 1, v33
	v_cmp_eq_u32_e32 vcc, 1, v34
	v_mov_b32_e32 v34, 0
	v_cndmask_b32_e64 v33, v33, 1, vcc
	v_cmp_eq_u16_sdwa s[34:35], v27, v34 src0_sel:BYTE_0 src1_sel:DWORD
	v_cmp_lt_u32_e32 vcc, 1, v31
	v_mov_b32_dpp v32, v26 row_shr:2 row_mask:0xf bank_mask:0xf
	v_cndmask_b32_e32 v27, v27, v33, vcc
	s_and_b64 vcc, vcc, s[34:35]
	v_cndmask_b32_e32 v31, 0, v32, vcc
	v_add_u32_e32 v26, v31, v26
	ds_write_b32 v30, v26
	ds_write_b8 v30, v27 offset:4
.LBB2217_95:
	s_or_b64 exec, exec, s[28:29]
	v_cmp_gt_u32_e32 vcc, 64, v0
	v_cmp_lt_u32_e64 s[28:29], 63, v0
	v_mov_b32_e32 v42, 0
	v_mov_b32_e32 v43, 0
	s_waitcnt lgkmcnt(0)
	s_barrier
	s_and_saveexec_b64 s[34:35], s[28:29]
	s_cbranch_execz .LBB2217_97
; %bb.96:
	v_lshl_add_u32 v26, v1, 3, -8
	ds_read_b32 v42, v26
	ds_read_u8 v43, v26 offset:4
	v_and_b32_e32 v27, 1, v28
	v_cmp_eq_u32_e64 s[28:29], 0, v28
	s_waitcnt lgkmcnt(1)
	v_cndmask_b32_e64 v26, 0, v42, s[28:29]
	v_cmp_eq_u32_e64 s[28:29], 1, v27
	v_add_u32_e32 v29, v26, v29
	s_waitcnt lgkmcnt(0)
	v_cndmask_b32_e64 v28, v43, 1, s[28:29]
.LBB2217_97:
	s_or_b64 exec, exec, s[34:35]
	v_add_u32_e32 v26, -1, v46
	v_and_b32_e32 v27, 64, v46
	v_cmp_lt_i32_e64 s[28:29], v26, v27
	v_cndmask_b32_e64 v26, v26, v46, s[28:29]
	v_lshlrev_b32_e32 v26, 2, v26
	ds_bpermute_b32 v44, v26, v29
	ds_bpermute_b32 v45, v26, v28
	v_cmp_eq_u32_e64 s[28:29], 0, v46
	s_and_saveexec_b64 s[40:41], vcc
	s_cbranch_execz .LBB2217_120
; %bb.98:
	v_mov_b32_e32 v29, 0
	ds_read_b64 v[26:27], v29 offset:24
	s_waitcnt lgkmcnt(0)
	v_readfirstlane_b32 s7, v27
	s_and_saveexec_b64 s[34:35], s[28:29]
	s_cbranch_execz .LBB2217_100
; %bb.99:
	s_add_i32 s44, s6, 64
	s_mov_b32 s45, 0
	s_lshl_b64 s[48:49], s[44:45], 4
	s_add_u32 s48, s52, s48
	s_addc_u32 s49, s53, s49
	s_and_b32 s51, s7, 0xff000000
	s_mov_b32 s50, s45
	s_and_b32 s59, s7, 0xff0000
	s_mov_b32 s58, s45
	s_or_b64 s[50:51], s[58:59], s[50:51]
	s_and_b32 s59, s7, 0xff00
	s_or_b64 s[50:51], s[50:51], s[58:59]
	s_and_b32 s59, s7, 0xff
	s_or_b64 s[44:45], s[50:51], s[58:59]
	v_mov_b32_e32 v27, s45
	v_mov_b32_e32 v28, 1
	v_pk_mov_b32 v[30:31], s[48:49], s[48:49] op_sel:[0,1]
	;;#ASMSTART
	global_store_dwordx4 v[30:31], v[26:29] off	
s_waitcnt vmcnt(0)
	;;#ASMEND
.LBB2217_100:
	s_or_b64 exec, exec, s[34:35]
	v_xad_u32 v34, v46, -1, s6
	v_add_u32_e32 v28, 64, v34
	v_lshlrev_b64 v[30:31], 4, v[28:29]
	v_mov_b32_e32 v27, s53
	v_add_co_u32_e32 v36, vcc, s52, v30
	v_addc_co_u32_e32 v37, vcc, v27, v31, vcc
	;;#ASMSTART
	global_load_dwordx4 v[30:33], v[36:37] off glc	
s_waitcnt vmcnt(0)
	;;#ASMEND
	v_and_b32_e32 v27, 0xff0000, v30
	v_or_b32_sdwa v27, v30, v27 dst_sel:DWORD dst_unused:UNUSED_PAD src0_sel:WORD_0 src1_sel:DWORD
	v_and_b32_e32 v28, 0xff000000, v30
	v_and_b32_e32 v30, 0xff, v31
	v_or3_b32 v31, 0, 0, v30
	v_or3_b32 v30, v27, v28, 0
	v_cmp_eq_u16_sdwa s[44:45], v32, v29 src0_sel:BYTE_0 src1_sel:DWORD
	s_and_saveexec_b64 s[34:35], s[44:45]
	s_cbranch_execz .LBB2217_106
; %bb.101:
	s_mov_b32 s48, 1
	s_mov_b64 s[44:45], 0
	v_mov_b32_e32 v27, 0
.LBB2217_102:                           ; =>This Loop Header: Depth=1
                                        ;     Child Loop BB2217_103 Depth 2
	s_max_u32 s49, s48, 1
.LBB2217_103:                           ;   Parent Loop BB2217_102 Depth=1
                                        ; =>  This Inner Loop Header: Depth=2
	s_add_i32 s49, s49, -1
	s_cmp_eq_u32 s49, 0
	s_sleep 1
	s_cbranch_scc0 .LBB2217_103
; %bb.104:                              ;   in Loop: Header=BB2217_102 Depth=1
	s_cmp_lt_u32 s48, 32
	s_cselect_b64 s[50:51], -1, 0
	s_cmp_lg_u64 s[50:51], 0
	s_addc_u32 s48, s48, 0
	;;#ASMSTART
	global_load_dwordx4 v[30:33], v[36:37] off glc	
s_waitcnt vmcnt(0)
	;;#ASMEND
	v_cmp_ne_u16_sdwa s[50:51], v32, v27 src0_sel:BYTE_0 src1_sel:DWORD
	s_or_b64 s[44:45], s[50:51], s[44:45]
	s_andn2_b64 exec, exec, s[44:45]
	s_cbranch_execnz .LBB2217_102
; %bb.105:
	s_or_b64 exec, exec, s[44:45]
	v_and_b32_e32 v31, 0xff, v31
.LBB2217_106:
	s_or_b64 exec, exec, s[34:35]
	v_mov_b32_e32 v27, 2
	v_cmp_eq_u16_sdwa s[34:35], v32, v27 src0_sel:BYTE_0 src1_sel:DWORD
	v_lshlrev_b64 v[28:29], v46, -1
	v_and_b32_e32 v33, s35, v29
	v_or_b32_e32 v33, 0x80000000, v33
	v_and_b32_e32 v35, s34, v28
	v_ffbl_b32_e32 v33, v33
	v_and_b32_e32 v47, 63, v46
	v_add_u32_e32 v33, 32, v33
	v_ffbl_b32_e32 v35, v35
	v_cmp_ne_u32_e32 vcc, 63, v47
	v_min_u32_e32 v33, v35, v33
	v_addc_co_u32_e32 v35, vcc, 0, v46, vcc
	v_lshlrev_b32_e32 v48, 2, v35
	ds_bpermute_b32 v35, v48, v31
	ds_bpermute_b32 v36, v48, v30
	s_mov_b32 s44, 0
	v_and_b32_e32 v37, 1, v31
	s_mov_b32 s45, 1
	s_waitcnt lgkmcnt(1)
	v_and_b32_e32 v35, 1, v35
	v_cmp_eq_u32_e32 vcc, 1, v37
	v_cndmask_b32_e64 v35, v35, 1, vcc
	v_cmp_gt_u64_e32 vcc, s[44:45], v[30:31]
	v_cmp_lt_u32_e64 s[34:35], v47, v33
	s_and_b64 vcc, s[34:35], vcc
	v_and_b32_e32 v37, 0xffff, v35
	v_cndmask_b32_e64 v54, v31, v35, s[34:35]
	s_waitcnt lgkmcnt(0)
	v_cndmask_b32_e32 v35, 0, v36, vcc
	v_cmp_gt_u32_e32 vcc, 62, v47
	v_cndmask_b32_e64 v36, 0, 1, vcc
	v_lshlrev_b32_e32 v36, 1, v36
	v_cndmask_b32_e64 v31, v31, v37, s[34:35]
	v_add_lshl_u32 v49, v36, v46, 2
	ds_bpermute_b32 v36, v49, v31
	v_add_u32_e32 v30, v35, v30
	ds_bpermute_b32 v37, v49, v30
	v_and_b32_e32 v35, 1, v54
	v_cmp_eq_u32_e32 vcc, 1, v35
	s_waitcnt lgkmcnt(1)
	v_and_b32_e32 v36, 1, v36
	v_mov_b32_e32 v35, 0
	v_add_u32_e32 v53, 2, v47
	v_cndmask_b32_e64 v36, v36, 1, vcc
	v_cmp_eq_u16_sdwa vcc, v54, v35 src0_sel:BYTE_0 src1_sel:DWORD
	v_and_b32_e32 v55, 0xffff, v36
	s_waitcnt lgkmcnt(0)
	v_cndmask_b32_e32 v37, 0, v37, vcc
	v_cmp_gt_u32_e32 vcc, v53, v33
	v_cndmask_b32_e32 v36, v36, v54, vcc
	v_cndmask_b32_e64 v37, v37, 0, vcc
	v_cndmask_b32_e32 v31, v55, v31, vcc
	v_cmp_gt_u32_e32 vcc, 60, v47
	v_cndmask_b32_e64 v54, 0, 1, vcc
	v_lshlrev_b32_e32 v54, 2, v54
	v_add_lshl_u32 v54, v54, v46, 2
	ds_bpermute_b32 v56, v54, v31
	v_add_u32_e32 v30, v37, v30
	ds_bpermute_b32 v37, v54, v30
	v_and_b32_e32 v57, 1, v36
	v_cmp_eq_u32_e32 vcc, 1, v57
	s_waitcnt lgkmcnt(1)
	v_and_b32_e32 v56, 1, v56
	v_add_u32_e32 v55, 4, v47
	v_cndmask_b32_e64 v56, v56, 1, vcc
	v_cmp_eq_u16_sdwa vcc, v36, v35 src0_sel:BYTE_0 src1_sel:DWORD
	v_and_b32_e32 v57, 0xffff, v56
	s_waitcnt lgkmcnt(0)
	v_cndmask_b32_e32 v37, 0, v37, vcc
	v_cmp_gt_u32_e32 vcc, v55, v33
	v_cndmask_b32_e32 v36, v56, v36, vcc
	v_cndmask_b32_e64 v37, v37, 0, vcc
	v_cndmask_b32_e32 v31, v57, v31, vcc
	v_cmp_gt_u32_e32 vcc, 56, v47
	v_cndmask_b32_e64 v56, 0, 1, vcc
	v_lshlrev_b32_e32 v56, 3, v56
	v_add_lshl_u32 v56, v56, v46, 2
	ds_bpermute_b32 v58, v56, v31
	v_add_u32_e32 v30, v37, v30
	ds_bpermute_b32 v37, v56, v30
	v_and_b32_e32 v59, 1, v36
	v_cmp_eq_u32_e32 vcc, 1, v59
	s_waitcnt lgkmcnt(1)
	v_and_b32_e32 v58, 1, v58
	v_add_u32_e32 v57, 8, v47
	v_cndmask_b32_e64 v58, v58, 1, vcc
	v_cmp_eq_u16_sdwa vcc, v36, v35 src0_sel:BYTE_0 src1_sel:DWORD
	v_and_b32_e32 v59, 0xffff, v58
	s_waitcnt lgkmcnt(0)
	v_cndmask_b32_e32 v37, 0, v37, vcc
	v_cmp_gt_u32_e32 vcc, v57, v33
	v_cndmask_b32_e32 v36, v58, v36, vcc
	v_cndmask_b32_e64 v37, v37, 0, vcc
	v_cndmask_b32_e32 v31, v59, v31, vcc
	v_cmp_gt_u32_e32 vcc, 48, v47
	v_cndmask_b32_e64 v58, 0, 1, vcc
	v_lshlrev_b32_e32 v58, 4, v58
	v_add_lshl_u32 v58, v58, v46, 2
	ds_bpermute_b32 v60, v58, v31
	v_add_u32_e32 v30, v37, v30
	ds_bpermute_b32 v37, v58, v30
	v_and_b32_e32 v61, 1, v36
	v_cmp_eq_u32_e32 vcc, 1, v61
	s_waitcnt lgkmcnt(1)
	v_and_b32_e32 v60, 1, v60
	v_add_u32_e32 v59, 16, v47
	v_cndmask_b32_e64 v60, v60, 1, vcc
	v_cmp_eq_u16_sdwa vcc, v36, v35 src0_sel:BYTE_0 src1_sel:DWORD
	v_and_b32_e32 v61, 0xffff, v60
	s_waitcnt lgkmcnt(0)
	v_cndmask_b32_e32 v37, 0, v37, vcc
	v_cmp_gt_u32_e32 vcc, v59, v33
	v_cndmask_b32_e32 v36, v60, v36, vcc
	v_cndmask_b32_e64 v37, v37, 0, vcc
	v_cndmask_b32_e32 v31, v61, v31, vcc
	v_cmp_gt_u32_e32 vcc, 32, v47
	v_cndmask_b32_e64 v60, 0, 1, vcc
	v_lshlrev_b32_e32 v60, 5, v60
	v_add_lshl_u32 v61, v60, v46, 2
	ds_bpermute_b32 v31, v61, v31
	v_add_u32_e32 v30, v37, v30
	ds_bpermute_b32 v37, v61, v30
	v_and_b32_e32 v46, 1, v36
	v_cmp_eq_u32_e32 vcc, 1, v46
	s_waitcnt lgkmcnt(1)
	v_and_b32_e32 v31, 1, v31
	v_add_u32_e32 v62, 32, v47
	v_cndmask_b32_e64 v31, v31, 1, vcc
	v_cmp_eq_u16_sdwa vcc, v36, v35 src0_sel:BYTE_0 src1_sel:DWORD
	s_waitcnt lgkmcnt(0)
	v_cndmask_b32_e32 v37, 0, v37, vcc
	v_cmp_gt_u32_e32 vcc, v62, v33
	v_cndmask_b32_e64 v33, v37, 0, vcc
	v_cndmask_b32_e32 v31, v31, v36, vcc
	v_add_u32_e32 v30, v33, v30
	s_branch .LBB2217_108
.LBB2217_107:                           ;   in Loop: Header=BB2217_108 Depth=1
	s_or_b64 exec, exec, s[34:35]
	v_cmp_eq_u16_sdwa s[34:35], v32, v27 src0_sel:BYTE_0 src1_sel:DWORD
	v_and_b32_e32 v33, s35, v29
	ds_bpermute_b32 v37, v48, v31
	v_or_b32_e32 v33, 0x80000000, v33
	v_and_b32_e32 v36, s34, v28
	v_ffbl_b32_e32 v33, v33
	v_add_u32_e32 v33, 32, v33
	v_ffbl_b32_e32 v36, v36
	v_min_u32_e32 v33, v36, v33
	ds_bpermute_b32 v36, v48, v30
	v_and_b32_e32 v63, 1, v31
	s_waitcnt lgkmcnt(1)
	v_and_b32_e32 v37, 1, v37
	v_cmp_eq_u32_e32 vcc, 1, v63
	v_cndmask_b32_e64 v37, v37, 1, vcc
	v_cmp_gt_u64_e32 vcc, s[44:45], v[30:31]
	v_and_b32_e32 v63, 0xffff, v37
	v_cmp_lt_u32_e64 s[34:35], v47, v33
	v_cndmask_b32_e64 v37, v31, v37, s[34:35]
	v_cndmask_b32_e64 v31, v31, v63, s[34:35]
	s_and_b64 vcc, s[34:35], vcc
	ds_bpermute_b32 v63, v49, v31
	s_waitcnt lgkmcnt(1)
	v_cndmask_b32_e32 v36, 0, v36, vcc
	v_add_u32_e32 v30, v36, v30
	ds_bpermute_b32 v36, v49, v30
	v_and_b32_e32 v64, 1, v37
	s_waitcnt lgkmcnt(1)
	v_and_b32_e32 v63, 1, v63
	v_cmp_eq_u32_e32 vcc, 1, v64
	v_cndmask_b32_e64 v63, v63, 1, vcc
	v_cmp_eq_u16_sdwa vcc, v37, v35 src0_sel:BYTE_0 src1_sel:DWORD
	v_and_b32_e32 v64, 0xffff, v63
	s_waitcnt lgkmcnt(0)
	v_cndmask_b32_e32 v36, 0, v36, vcc
	v_cmp_gt_u32_e32 vcc, v53, v33
	v_cndmask_b32_e32 v31, v64, v31, vcc
	v_cndmask_b32_e32 v37, v63, v37, vcc
	ds_bpermute_b32 v63, v54, v31
	v_cndmask_b32_e64 v36, v36, 0, vcc
	v_add_u32_e32 v30, v36, v30
	ds_bpermute_b32 v36, v54, v30
	v_and_b32_e32 v64, 1, v37
	s_waitcnt lgkmcnt(1)
	v_and_b32_e32 v63, 1, v63
	v_cmp_eq_u32_e32 vcc, 1, v64
	v_cndmask_b32_e64 v63, v63, 1, vcc
	v_cmp_eq_u16_sdwa vcc, v37, v35 src0_sel:BYTE_0 src1_sel:DWORD
	v_and_b32_e32 v64, 0xffff, v63
	s_waitcnt lgkmcnt(0)
	v_cndmask_b32_e32 v36, 0, v36, vcc
	v_cmp_gt_u32_e32 vcc, v55, v33
	v_cndmask_b32_e32 v31, v64, v31, vcc
	v_cndmask_b32_e32 v37, v63, v37, vcc
	ds_bpermute_b32 v63, v56, v31
	v_cndmask_b32_e64 v36, v36, 0, vcc
	;; [unrolled: 16-line block ×3, first 2 shown]
	v_add_u32_e32 v30, v36, v30
	ds_bpermute_b32 v36, v58, v30
	v_and_b32_e32 v64, 1, v37
	s_waitcnt lgkmcnt(1)
	v_and_b32_e32 v63, 1, v63
	v_cmp_eq_u32_e32 vcc, 1, v64
	v_cndmask_b32_e64 v63, v63, 1, vcc
	v_cmp_eq_u16_sdwa vcc, v37, v35 src0_sel:BYTE_0 src1_sel:DWORD
	v_and_b32_e32 v64, 0xffff, v63
	s_waitcnt lgkmcnt(0)
	v_cndmask_b32_e32 v36, 0, v36, vcc
	v_cmp_gt_u32_e32 vcc, v59, v33
	v_cndmask_b32_e64 v36, v36, 0, vcc
	v_cndmask_b32_e32 v31, v64, v31, vcc
	ds_bpermute_b32 v31, v61, v31
	v_add_u32_e32 v30, v36, v30
	ds_bpermute_b32 v36, v61, v30
	v_cndmask_b32_e32 v37, v63, v37, vcc
	v_and_b32_e32 v63, 1, v37
	v_cmp_eq_u32_e32 vcc, 1, v63
	s_waitcnt lgkmcnt(1)
	v_cndmask_b32_e64 v31, v31, 1, vcc
	v_cmp_eq_u16_sdwa vcc, v37, v35 src0_sel:BYTE_0 src1_sel:DWORD
	s_waitcnt lgkmcnt(0)
	v_cndmask_b32_e32 v36, 0, v36, vcc
	v_cmp_gt_u32_e32 vcc, v62, v33
	v_cndmask_b32_e64 v33, v36, 0, vcc
	v_cndmask_b32_e32 v31, v31, v37, vcc
	v_add_u32_e32 v30, v33, v30
	v_cmp_eq_u16_sdwa vcc, v46, v35 src0_sel:BYTE_0 src1_sel:DWORD
	v_and_b32_e32 v33, 1, v46
	v_cndmask_b32_e32 v30, 0, v30, vcc
	v_and_b32_e32 v31, 1, v31
	v_cmp_eq_u32_e32 vcc, 1, v33
	v_subrev_u32_e32 v34, 64, v34
	v_add_u32_e32 v30, v30, v60
	v_cndmask_b32_e64 v31, v31, 1, vcc
.LBB2217_108:                           ; =>This Loop Header: Depth=1
                                        ;     Child Loop BB2217_111 Depth 2
                                        ;       Child Loop BB2217_112 Depth 3
	v_cmp_ne_u16_sdwa s[34:35], v32, v27 src0_sel:BYTE_0 src1_sel:DWORD
	v_mov_b32_e32 v46, v31
	v_cndmask_b32_e64 v31, 0, 1, s[34:35]
	;;#ASMSTART
	;;#ASMEND
	v_cmp_ne_u32_e32 vcc, 0, v31
	s_cmp_lg_u64 vcc, exec
	v_mov_b32_e32 v60, v30
	s_cbranch_scc1 .LBB2217_115
; %bb.109:                              ;   in Loop: Header=BB2217_108 Depth=1
	v_lshlrev_b64 v[30:31], 4, v[34:35]
	v_mov_b32_e32 v32, s53
	v_add_co_u32_e32 v36, vcc, s52, v30
	v_addc_co_u32_e32 v37, vcc, v32, v31, vcc
	;;#ASMSTART
	global_load_dwordx4 v[30:33], v[36:37] off glc	
s_waitcnt vmcnt(0)
	;;#ASMEND
	v_and_b32_e32 v33, 0xff0000, v30
	v_or_b32_sdwa v33, v30, v33 dst_sel:DWORD dst_unused:UNUSED_PAD src0_sel:WORD_0 src1_sel:DWORD
	v_and_b32_e32 v30, 0xff000000, v30
	v_and_b32_e32 v31, 0xff, v31
	v_or3_b32 v31, 0, 0, v31
	v_or3_b32 v30, v33, v30, 0
	v_cmp_eq_u16_sdwa s[48:49], v32, v35 src0_sel:BYTE_0 src1_sel:DWORD
	s_and_saveexec_b64 s[34:35], s[48:49]
	s_cbranch_execz .LBB2217_107
; %bb.110:                              ;   in Loop: Header=BB2217_108 Depth=1
	s_mov_b32 s50, 1
	s_mov_b64 s[48:49], 0
.LBB2217_111:                           ;   Parent Loop BB2217_108 Depth=1
                                        ; =>  This Loop Header: Depth=2
                                        ;       Child Loop BB2217_112 Depth 3
	s_max_u32 s51, s50, 1
.LBB2217_112:                           ;   Parent Loop BB2217_108 Depth=1
                                        ;     Parent Loop BB2217_111 Depth=2
                                        ; =>    This Inner Loop Header: Depth=3
	s_add_i32 s51, s51, -1
	s_cmp_eq_u32 s51, 0
	s_sleep 1
	s_cbranch_scc0 .LBB2217_112
; %bb.113:                              ;   in Loop: Header=BB2217_111 Depth=2
	s_cmp_lt_u32 s50, 32
	s_cselect_b64 s[58:59], -1, 0
	s_cmp_lg_u64 s[58:59], 0
	s_addc_u32 s50, s50, 0
	;;#ASMSTART
	global_load_dwordx4 v[30:33], v[36:37] off glc	
s_waitcnt vmcnt(0)
	;;#ASMEND
	v_cmp_ne_u16_sdwa s[58:59], v32, v35 src0_sel:BYTE_0 src1_sel:DWORD
	s_or_b64 s[48:49], s[58:59], s[48:49]
	s_andn2_b64 exec, exec, s[48:49]
	s_cbranch_execnz .LBB2217_111
; %bb.114:                              ;   in Loop: Header=BB2217_108 Depth=1
	s_or_b64 exec, exec, s[48:49]
	v_and_b32_e32 v31, 0xff, v31
	s_branch .LBB2217_107
.LBB2217_115:                           ;   in Loop: Header=BB2217_108 Depth=1
                                        ; implicit-def: $vgpr31
                                        ; implicit-def: $vgpr30
                                        ; implicit-def: $vgpr32
	s_cbranch_execz .LBB2217_108
; %bb.116:
	s_and_saveexec_b64 s[34:35], s[28:29]
	s_cbranch_execz .LBB2217_118
; %bb.117:
	s_and_b32 s44, s7, 0xff
	s_cmp_eq_u32 s44, 0
	s_cselect_b64 vcc, -1, 0
	s_bitcmp1_b32 s7, 0
	s_mov_b32 s45, 0
	s_cselect_b64 s[48:49], -1, 0
	s_add_i32 s44, s6, 64
	s_lshl_b64 s[6:7], s[44:45], 4
	v_cndmask_b32_e32 v27, 0, v60, vcc
	s_add_u32 s6, s52, s6
	v_add_u32_e32 v26, v27, v26
	v_and_b32_e32 v27, 1, v46
	s_addc_u32 s7, s53, s7
	v_mov_b32_e32 v29, 0
	v_cndmask_b32_e64 v27, v27, 1, s[48:49]
	v_mov_b32_e32 v28, 2
	v_pk_mov_b32 v[30:31], s[6:7], s[6:7] op_sel:[0,1]
	;;#ASMSTART
	global_store_dwordx4 v[30:31], v[26:29] off	
s_waitcnt vmcnt(0)
	;;#ASMEND
.LBB2217_118:
	s_or_b64 exec, exec, s[34:35]
	v_cmp_eq_u32_e32 vcc, 0, v0
	s_and_b64 exec, exec, vcc
	s_cbranch_execz .LBB2217_120
; %bb.119:
	v_mov_b32_e32 v26, 0
	ds_write_b32 v26, v60 offset:24
	ds_write_b8 v26, v46 offset:28
.LBB2217_120:
	s_or_b64 exec, exec, s[40:41]
	s_mov_b32 s6, 0
	v_mov_b32_e32 v28, 0
	s_mov_b32 s7, 1
	s_waitcnt lgkmcnt(0)
	v_cndmask_b32_e64 v26, v45, v43, s[28:29]
	v_cndmask_b32_e64 v27, v44, v42, s[28:29]
	s_barrier
	ds_read_b32 v29, v28 offset:24
	v_cmp_gt_u64_e32 vcc, s[6:7], v[38:39]
	v_and_b32_e32 v30, 1, v39
	v_cndmask_b32_e32 v27, 0, v27, vcc
	v_and_b32_e32 v26, 1, v26
	v_cmp_eq_u32_e32 vcc, 1, v30
	v_cndmask_b32_e64 v26, v26, 1, vcc
	v_cmp_eq_u32_e32 vcc, 0, v0
	v_cndmask_b32_e32 v26, v26, v39, vcc
	v_cndmask_b32_e64 v27, v27, 0, vcc
	v_cmp_eq_u16_sdwa vcc, v26, v28 src0_sel:BYTE_0 src1_sel:DWORD
	s_waitcnt lgkmcnt(0)
	v_cndmask_b32_e32 v26, 0, v29, vcc
	v_add3_u32 v26, v27, v38, v26
	v_cndmask_b32_e64 v27, 0, v26, s[2:3]
	v_add_u32_e32 v27, v27, v2
	v_cndmask_b32_e64 v28, 0, v27, s[4:5]
	v_add_u32_e32 v42, v28, v4
	;; [unrolled: 2-line block ×13, first 2 shown]
	s_branch .LBB2217_137
.LBB2217_121:
                                        ; implicit-def: $vgpr49
                                        ; implicit-def: $vgpr47
                                        ; implicit-def: $vgpr45
                                        ; implicit-def: $vgpr43
                                        ; implicit-def: $vgpr34_vgpr35_vgpr36_vgpr37
                                        ; implicit-def: $vgpr30_vgpr31_vgpr32_vgpr33
                                        ; implicit-def: $vgpr26_vgpr27_vgpr28_vgpr29
	s_cbranch_execz .LBB2217_137
; %bb.122:
	s_cmp_lg_u64 s[56:57], 0
	s_cselect_b32 s5, s47, 0
	s_cselect_b32 s4, s46, 0
	s_cmp_lg_u64 s[4:5], 0
	s_cselect_b64 s[6:7], -1, 0
	v_cmp_eq_u32_e32 vcc, 0, v0
	s_mov_b32 s28, 0
	v_cmp_ne_u32_e64 s[2:3], 0, v0
	s_and_b64 s[8:9], vcc, s[6:7]
	s_and_saveexec_b64 s[6:7], s[8:9]
	s_cbranch_execz .LBB2217_124
; %bb.123:
	v_mov_b32_e32 v26, 0
	global_load_dword v28, v26, s[4:5]
	global_load_ubyte v29, v26, s[4:5] offset:4
	s_mov_b32 s29, 1
	v_and_b32_e32 v27, 1, v39
	v_cmp_gt_u64_e64 s[4:5], s[28:29], v[38:39]
	s_waitcnt vmcnt(1)
	v_cndmask_b32_e64 v28, 0, v28, s[4:5]
	s_waitcnt vmcnt(0)
	v_and_b32_e32 v29, 1, v29
	v_cmp_eq_u64_e64 s[4:5], 0, v[26:27]
	v_add_u32_e32 v38, v28, v38
	v_cndmask_b32_e64 v39, 1, v29, s[4:5]
.LBB2217_124:
	s_or_b64 exec, exec, s[6:7]
	s_mov_b32 s29, 1
	v_cmp_gt_u64_e64 s[4:5], s[28:29], v[2:3]
	v_cndmask_b32_e64 v26, 0, v38, s[4:5]
	v_add_u32_e32 v27, v26, v2
	v_cmp_gt_u64_e64 s[6:7], s[28:29], v[4:5]
	v_cndmask_b32_e64 v26, 0, v27, s[6:7]
	v_add_u32_e32 v42, v26, v4
	;; [unrolled: 3-line block ×7, first 2 shown]
	v_cmp_gt_u64_e64 s[18:19], s[28:29], v[16:17]
	v_mov_b32_e32 v28, 0
	v_cndmask_b32_e64 v26, 0, v45, s[18:19]
	v_or3_b32 v7, v23, v15, v7
	v_add_u32_e32 v34, v26, v16
	v_cmp_gt_u64_e64 s[20:21], s[28:29], v[18:19]
	v_or3_b32 v9, v25, v17, v9
	v_and_b32_e32 v55, 1, v7
	v_mov_b32_e32 v54, v28
	v_cndmask_b32_e64 v26, 0, v34, s[20:21]
	v_or3_b32 v3, v19, v11, v3
	v_and_b32_e32 v37, 1, v9
	v_mov_b32_e32 v36, v28
	v_cmp_ne_u64_e64 s[34:35], 0, v[54:55]
	v_add_u32_e32 v35, v26, v18
	v_cmp_gt_u64_e64 s[22:23], s[28:29], v[20:21]
	v_or3_b32 v5, v21, v13, v5
	v_and_b32_e32 v29, 1, v3
	v_cndmask_b32_e64 v3, 0, 1, s[34:35]
	v_cmp_ne_u64_e64 s[34:35], 0, v[36:37]
	v_cndmask_b32_e64 v26, 0, v35, s[22:23]
	v_and_b32_e32 v33, 1, v5
	v_mov_b32_e32 v32, v28
	v_cndmask_b32_e64 v5, 0, 1, s[34:35]
	v_add_u32_e32 v46, v26, v20
	v_cmp_gt_u64_e64 s[24:25], s[28:29], v[22:23]
	v_lshlrev_b16_e32 v3, 2, v3
	v_lshlrev_b16_e32 v5, 3, v5
	v_cmp_ne_u64_e64 s[34:35], 0, v[32:33]
	v_cndmask_b32_e64 v26, 0, v46, s[24:25]
	v_or_b32_e32 v3, v5, v3
	v_cndmask_b32_e64 v5, 0, 1, s[34:35]
	v_cmp_ne_u64_e64 s[34:35], 0, v[28:29]
	v_add_u32_e32 v47, v26, v22
	v_cmp_gt_u64_e64 s[26:27], s[28:29], v[24:25]
	v_lshlrev_b16_e32 v5, 1, v5
	v_cndmask_b32_e64 v7, 0, 1, s[34:35]
	v_cndmask_b32_e64 v26, 0, v47, s[26:27]
	v_or_b32_e32 v5, v7, v5
	v_add_u32_e32 v48, v26, v24
	v_cmp_gt_u64_e64 s[28:29], s[28:29], v[40:41]
	v_and_b32_e32 v5, 3, v5
	v_cndmask_b32_e64 v26, 0, v48, s[28:29]
	v_or_b32_e32 v3, v5, v3
	v_add_u32_e32 v49, v26, v40
	v_and_b32_e32 v26, 1, v41
	v_and_b32_e32 v3, 15, v3
	v_cmp_eq_u32_e64 s[30:31], 1, v26
	v_cmp_ne_u16_e64 s[34:35], 0, v3
	s_or_b64 s[30:31], s[30:31], s[34:35]
	v_cndmask_b32_e64 v5, v39, 1, s[30:31]
	v_mbcnt_hi_u32_b32 v3, -1, v52
	v_mov_b32_dpp v9, v49 row_shr:1 row_mask:0xf bank_mask:0xf
	v_mov_b32_dpp v11, v5 row_shr:1 row_mask:0xf bank_mask:0xf
	v_cmp_eq_u32_e64 s[30:31], 0, v5
	v_and_b32_e32 v13, 1, v5
	v_and_b32_e32 v7, 15, v3
	v_cndmask_b32_e64 v9, 0, v9, s[30:31]
	v_and_b32_e32 v11, 1, v11
	v_cmp_eq_u32_e64 s[30:31], 1, v13
	v_cndmask_b32_e64 v11, v11, 1, s[30:31]
	v_cmp_eq_u32_e64 s[30:31], 0, v7
	v_cndmask_b32_e64 v5, v11, v5, s[30:31]
	v_and_b32_e32 v15, 1, v5
	v_cmp_eq_u32_e64 s[34:35], 1, v15
	v_mov_b32_dpp v13, v5 row_shr:2 row_mask:0xf bank_mask:0xf
	v_and_b32_e32 v13, 1, v13
	v_cndmask_b32_e64 v13, v13, 1, s[34:35]
	v_cmp_lt_u32_e64 s[34:35], 1, v7
	v_cndmask_b32_e64 v9, v9, 0, s[30:31]
	v_cmp_eq_u32_e64 s[30:31], 0, v5
	v_cndmask_b32_e64 v5, v5, v13, s[34:35]
	v_add_u32_e32 v9, v49, v9
	v_and_b32_e32 v15, 1, v5
	v_mov_b32_dpp v13, v5 row_shr:4 row_mask:0xf bank_mask:0xf
	v_mov_b32_dpp v11, v9 row_shr:2 row_mask:0xf bank_mask:0xf
	s_and_b64 s[30:31], s[34:35], s[30:31]
	v_and_b32_e32 v13, 1, v13
	v_cmp_eq_u32_e64 s[34:35], 1, v15
	v_cndmask_b32_e64 v11, 0, v11, s[30:31]
	v_cndmask_b32_e64 v13, v13, 1, s[34:35]
	v_cmp_lt_u32_e64 s[34:35], 3, v7
	v_add_u32_e32 v9, v9, v11
	v_cmp_eq_u32_e64 s[30:31], 0, v5
	v_cndmask_b32_e64 v5, v5, v13, s[34:35]
	v_mov_b32_dpp v11, v9 row_shr:4 row_mask:0xf bank_mask:0xf
	s_and_b64 s[30:31], s[34:35], s[30:31]
	v_mov_b32_dpp v13, v5 row_shr:8 row_mask:0xf bank_mask:0xf
	v_and_b32_e32 v15, 1, v5
	v_cndmask_b32_e64 v11, 0, v11, s[30:31]
	v_and_b32_e32 v13, 1, v13
	v_cmp_eq_u32_e64 s[34:35], 1, v15
	v_add_u32_e32 v9, v9, v11
	v_cmp_eq_u32_e64 s[30:31], 0, v5
	v_cndmask_b32_e64 v13, v13, 1, s[34:35]
	v_cmp_lt_u32_e64 s[34:35], 7, v7
	v_mov_b32_dpp v11, v9 row_shr:8 row_mask:0xf bank_mask:0xf
	s_and_b64 s[30:31], s[34:35], s[30:31]
	v_cndmask_b32_e64 v7, 0, v11, s[30:31]
	v_cndmask_b32_e64 v5, v5, v13, s[34:35]
	v_add_u32_e32 v7, v9, v7
	v_cmp_eq_u32_e64 s[30:31], 0, v5
	v_mov_b32_dpp v11, v5 row_bcast:15 row_mask:0xf bank_mask:0xf
	v_mov_b32_dpp v9, v7 row_bcast:15 row_mask:0xf bank_mask:0xf
	v_and_b32_e32 v17, 1, v5
	v_and_b32_e32 v15, 16, v3
	v_cndmask_b32_e64 v9, 0, v9, s[30:31]
	v_and_b32_e32 v11, 1, v11
	v_cmp_eq_u32_e64 s[30:31], 1, v17
	v_bfe_i32 v13, v3, 4, 1
	v_cndmask_b32_e64 v11, v11, 1, s[30:31]
	v_cmp_eq_u32_e64 s[30:31], 0, v15
	v_and_b32_e32 v9, v13, v9
	v_cndmask_b32_e64 v5, v11, v5, s[30:31]
	v_add_u32_e32 v9, v7, v9
	v_and_b32_e32 v13, 1, v5
	v_mov_b32_dpp v7, v5 row_bcast:31 row_mask:0xf bank_mask:0xf
	v_and_b32_e32 v7, 1, v7
	v_cmp_eq_u32_e64 s[34:35], 1, v13
	v_cmp_eq_u32_e64 s[30:31], 0, v5
	v_cndmask_b32_e64 v7, v7, 1, s[34:35]
	v_cmp_lt_u32_e64 s[34:35], 31, v3
	v_mov_b32_dpp v11, v9 row_bcast:31 row_mask:0xf bank_mask:0xf
	s_and_b64 s[30:31], s[34:35], s[30:31]
	v_cndmask_b32_e64 v7, v5, v7, s[34:35]
	v_cndmask_b32_e64 v5, 0, v11, s[30:31]
	v_add_u32_e32 v5, v9, v5
	v_cmp_eq_u32_e64 s[30:31], v51, v0
	s_and_saveexec_b64 s[34:35], s[30:31]
	s_cbranch_execz .LBB2217_126
; %bb.125:
	v_lshlrev_b32_e32 v9, 3, v1
	ds_write_b32 v9, v5
	ds_write_b8 v9, v7 offset:4
.LBB2217_126:
	s_or_b64 exec, exec, s[34:35]
	v_cmp_gt_u32_e64 s[30:31], 4, v0
	s_waitcnt lgkmcnt(0)
	s_barrier
	s_and_saveexec_b64 s[34:35], s[30:31]
	s_cbranch_execz .LBB2217_130
; %bb.127:
	v_lshlrev_b32_e32 v9, 3, v0
	ds_read_b64 v[28:29], v9
	v_and_b32_e32 v11, 3, v3
	v_cmp_ne_u32_e64 s[30:31], 0, v11
	s_waitcnt lgkmcnt(0)
	v_mov_b32_dpp v13, v28 row_shr:1 row_mask:0xf bank_mask:0xf
	v_mov_b32_dpp v17, v29 row_shr:1 row_mask:0xf bank_mask:0xf
	v_mov_b32_e32 v15, v29
	s_and_saveexec_b64 s[40:41], s[30:31]
	s_cbranch_execz .LBB2217_129
; %bb.128:
	v_and_b32_e32 v15, 1, v29
	v_and_b32_e32 v17, 1, v17
	v_cmp_eq_u32_e64 s[30:31], 1, v15
	v_mov_b32_e32 v15, 0
	v_cndmask_b32_e64 v17, v17, 1, s[30:31]
	v_cmp_eq_u16_sdwa s[30:31], v29, v15 src0_sel:BYTE_0 src1_sel:DWORD
	v_cndmask_b32_e64 v13, 0, v13, s[30:31]
	v_add_u32_e32 v28, v13, v28
	v_and_b32_e32 v13, 0xffff, v17
	s_movk_i32 s30, 0xff00
	v_and_or_b32 v15, v29, s30, v13
	v_mov_b32_e32 v29, v17
.LBB2217_129:
	s_or_b64 exec, exec, s[40:41]
	v_mov_b32_dpp v15, v15 row_shr:2 row_mask:0xf bank_mask:0xf
	v_and_b32_e32 v17, 1, v29
	v_and_b32_e32 v15, 1, v15
	v_cmp_eq_u32_e64 s[30:31], 1, v17
	v_mov_b32_e32 v17, 0
	v_cndmask_b32_e64 v15, v15, 1, s[30:31]
	v_cmp_eq_u16_sdwa s[40:41], v29, v17 src0_sel:BYTE_0 src1_sel:DWORD
	v_cmp_lt_u32_e64 s[30:31], 1, v11
	v_mov_b32_dpp v13, v28 row_shr:2 row_mask:0xf bank_mask:0xf
	v_cndmask_b32_e64 v11, v29, v15, s[30:31]
	s_and_b64 s[30:31], s[30:31], s[40:41]
	v_cndmask_b32_e64 v13, 0, v13, s[30:31]
	v_add_u32_e32 v13, v13, v28
	ds_write_b32 v9, v13
	ds_write_b8 v9, v11 offset:4
.LBB2217_130:
	s_or_b64 exec, exec, s[34:35]
	v_cmp_lt_u32_e64 s[30:31], 63, v0
	v_mov_b32_e32 v9, 0
	s_waitcnt lgkmcnt(0)
	s_barrier
	s_and_saveexec_b64 s[34:35], s[30:31]
	s_cbranch_execz .LBB2217_132
; %bb.131:
	v_lshl_add_u32 v1, v1, 3, -8
	ds_read_b32 v9, v1
	v_cmp_eq_u32_e64 s[30:31], 0, v7
	s_waitcnt lgkmcnt(0)
	v_cndmask_b32_e64 v1, 0, v9, s[30:31]
	v_add_u32_e32 v5, v1, v5
.LBB2217_132:
	s_or_b64 exec, exec, s[34:35]
	v_add_u32_e32 v1, -1, v3
	v_and_b32_e32 v7, 64, v3
	v_cmp_lt_i32_e64 s[30:31], v1, v7
	v_cndmask_b32_e64 v1, v1, v3, s[30:31]
	v_lshlrev_b32_e32 v1, 2, v1
	ds_bpermute_b32 v1, v1, v5
	s_and_saveexec_b64 s[30:31], s[2:3]
	s_cbranch_execz .LBB2217_134
; %bb.133:
	v_and_b32_e32 v27, 0xff, v39
	v_mov_b32_e32 v26, 0
	v_cmp_eq_u32_e64 s[2:3], 0, v3
	s_waitcnt lgkmcnt(0)
	v_cndmask_b32_e64 v1, v1, v9, s[2:3]
	v_cmp_eq_u64_e64 s[2:3], 0, v[26:27]
	v_cndmask_b32_e64 v1, 0, v1, s[2:3]
	v_add_u32_e32 v38, v1, v38
	v_cndmask_b32_e64 v1, 0, v38, s[4:5]
	v_add_u32_e32 v27, v1, v2
	;; [unrolled: 2-line block ×14, first 2 shown]
	;;#ASMSTART
	;;#ASMEND
.LBB2217_134:
	s_or_b64 exec, exec, s[30:31]
	s_and_saveexec_b64 s[2:3], vcc
	s_cbranch_execz .LBB2217_136
; %bb.135:
	v_mov_b32_e32 v5, 0
	ds_read_b32 v2, v5 offset:24
	ds_read_u8 v3, v5 offset:28
	s_add_u32 s4, s52, 0x400
	s_addc_u32 s5, s53, 0
	v_mov_b32_e32 v4, 2
	v_pk_mov_b32 v[6:7], s[4:5], s[4:5] op_sel:[0,1]
	s_waitcnt lgkmcnt(0)
	;;#ASMSTART
	global_store_dwordx4 v[6:7], v[2:5] off	
s_waitcnt vmcnt(0)
	;;#ASMEND
.LBB2217_136:
	s_or_b64 exec, exec, s[2:3]
	v_mov_b32_e32 v26, v38
.LBB2217_137:
	s_add_u32 s2, s42, s38
	s_addc_u32 s3, s43, s39
	s_add_u32 s4, s2, s36
	s_waitcnt lgkmcnt(0)
	v_mul_u32_u24_e32 v1, 14, v0
	s_addc_u32 s5, s3, s37
	s_and_b64 vcc, exec, s[0:1]
	v_lshlrev_b32_e32 v2, 2, v1
	s_cbranch_vccz .LBB2217_165
; %bb.138:
	s_movk_i32 s0, 0xffcc
	v_mad_i32_i24 v3, v0, s0, v2
	s_barrier
	ds_write2_b64 v2, v[26:27], v[42:43] offset1:1
	ds_write2_b64 v2, v[30:31], v[44:45] offset0:2 offset1:3
	ds_write2_b64 v2, v[34:35], v[46:47] offset0:4 offset1:5
	ds_write_b64 v2, v[48:49] offset:48
	s_waitcnt lgkmcnt(0)
	s_barrier
	ds_read2st64_b32 v[16:17], v3 offset0:4 offset1:8
	ds_read2st64_b32 v[14:15], v3 offset0:12 offset1:16
	;; [unrolled: 1-line block ×6, first 2 shown]
	ds_read_b32 v3, v3 offset:13312
	v_mov_b32_e32 v7, s5
	v_add_co_u32_e32 v6, vcc, s4, v50
	s_add_i32 s33, s33, s54
	v_addc_co_u32_e32 v7, vcc, 0, v7, vcc
	v_mov_b32_e32 v1, 0
	v_cmp_gt_u32_e32 vcc, s33, v0
	s_and_saveexec_b64 s[0:1], vcc
	s_cbranch_execz .LBB2217_140
; %bb.139:
	v_mul_i32_i24_e32 v18, 0xffffffcc, v0
	v_add_u32_e32 v18, v2, v18
	ds_read_b32 v18, v18
	s_waitcnt lgkmcnt(0)
	flat_store_dword v[6:7], v18
.LBB2217_140:
	s_or_b64 exec, exec, s[0:1]
	v_or_b32_e32 v18, 0x100, v0
	v_cmp_gt_u32_e32 vcc, s33, v18
	s_and_saveexec_b64 s[0:1], vcc
	s_cbranch_execz .LBB2217_142
; %bb.141:
	s_waitcnt lgkmcnt(0)
	flat_store_dword v[6:7], v16 offset:1024
.LBB2217_142:
	s_or_b64 exec, exec, s[0:1]
	s_waitcnt lgkmcnt(0)
	v_or_b32_e32 v16, 0x200, v0
	v_cmp_gt_u32_e32 vcc, s33, v16
	s_and_saveexec_b64 s[0:1], vcc
	s_cbranch_execz .LBB2217_144
; %bb.143:
	flat_store_dword v[6:7], v17 offset:2048
.LBB2217_144:
	s_or_b64 exec, exec, s[0:1]
	v_or_b32_e32 v16, 0x300, v0
	v_cmp_gt_u32_e32 vcc, s33, v16
	s_and_saveexec_b64 s[0:1], vcc
	s_cbranch_execz .LBB2217_146
; %bb.145:
	flat_store_dword v[6:7], v14 offset:3072
.LBB2217_146:
	s_or_b64 exec, exec, s[0:1]
	v_or_b32_e32 v14, 0x400, v0
	v_cmp_gt_u32_e32 vcc, s33, v14
	s_and_saveexec_b64 s[0:1], vcc
	s_cbranch_execz .LBB2217_148
; %bb.147:
	v_add_co_u32_e32 v16, vcc, 0x1000, v6
	v_addc_co_u32_e32 v17, vcc, 0, v7, vcc
	flat_store_dword v[16:17], v15
.LBB2217_148:
	s_or_b64 exec, exec, s[0:1]
	v_or_b32_e32 v14, 0x500, v0
	v_cmp_gt_u32_e32 vcc, s33, v14
	s_and_saveexec_b64 s[0:1], vcc
	s_cbranch_execz .LBB2217_150
; %bb.149:
	v_add_co_u32_e32 v14, vcc, 0x1000, v6
	v_addc_co_u32_e32 v15, vcc, 0, v7, vcc
	flat_store_dword v[14:15], v12 offset:1024
.LBB2217_150:
	s_or_b64 exec, exec, s[0:1]
	v_or_b32_e32 v12, 0x600, v0
	v_cmp_gt_u32_e32 vcc, s33, v12
	s_and_saveexec_b64 s[0:1], vcc
	s_cbranch_execz .LBB2217_152
; %bb.151:
	v_add_co_u32_e32 v14, vcc, 0x1000, v6
	v_addc_co_u32_e32 v15, vcc, 0, v7, vcc
	flat_store_dword v[14:15], v13 offset:2048
.LBB2217_152:
	;; [unrolled: 10-line block ×3, first 2 shown]
	s_or_b64 exec, exec, s[0:1]
	v_or_b32_e32 v10, 0x800, v0
	v_cmp_gt_u32_e32 vcc, s33, v10
	s_and_saveexec_b64 s[0:1], vcc
	s_cbranch_execz .LBB2217_156
; %bb.155:
	v_add_co_u32_e32 v12, vcc, 0x2000, v6
	v_addc_co_u32_e32 v13, vcc, 0, v7, vcc
	flat_store_dword v[12:13], v11
.LBB2217_156:
	s_or_b64 exec, exec, s[0:1]
	v_or_b32_e32 v10, 0x900, v0
	v_cmp_gt_u32_e32 vcc, s33, v10
	s_and_saveexec_b64 s[0:1], vcc
	s_cbranch_execz .LBB2217_158
; %bb.157:
	v_add_co_u32_e32 v10, vcc, 0x2000, v6
	v_addc_co_u32_e32 v11, vcc, 0, v7, vcc
	flat_store_dword v[10:11], v8 offset:1024
.LBB2217_158:
	s_or_b64 exec, exec, s[0:1]
	v_or_b32_e32 v8, 0xa00, v0
	v_cmp_gt_u32_e32 vcc, s33, v8
	s_and_saveexec_b64 s[0:1], vcc
	s_cbranch_execz .LBB2217_160
; %bb.159:
	v_add_co_u32_e32 v10, vcc, 0x2000, v6
	v_addc_co_u32_e32 v11, vcc, 0, v7, vcc
	flat_store_dword v[10:11], v9 offset:2048
.LBB2217_160:
	;; [unrolled: 10-line block ×3, first 2 shown]
	s_or_b64 exec, exec, s[0:1]
	v_or_b32_e32 v4, 0xc00, v0
	v_cmp_gt_u32_e32 vcc, s33, v4
	s_and_saveexec_b64 s[0:1], vcc
	s_cbranch_execz .LBB2217_164
; %bb.163:
	v_add_co_u32_e32 v6, vcc, 0x3000, v6
	v_addc_co_u32_e32 v7, vcc, 0, v7, vcc
	flat_store_dword v[6:7], v5
.LBB2217_164:
	s_or_b64 exec, exec, s[0:1]
	v_or_b32_e32 v4, 0xd00, v0
	v_cmp_gt_u32_e64 s[0:1], s33, v4
	s_branch .LBB2217_167
.LBB2217_165:
	s_mov_b64 s[0:1], 0
                                        ; implicit-def: $vgpr3
	s_cbranch_execz .LBB2217_167
; %bb.166:
	s_movk_i32 s2, 0xffcc
	s_waitcnt lgkmcnt(0)
	s_barrier
	ds_write2_b64 v2, v[26:27], v[42:43] offset1:1
	ds_write2_b64 v2, v[30:31], v[44:45] offset0:2 offset1:3
	ds_write2_b64 v2, v[34:35], v[46:47] offset0:4 offset1:5
	ds_write_b64 v2, v[48:49] offset:48
	v_mad_i32_i24 v2, v0, s2, v2
	v_mov_b32_e32 v17, s5
	v_add_co_u32_e32 v16, vcc, s4, v50
	s_waitcnt lgkmcnt(0)
	s_barrier
	ds_read2st64_b32 v[4:5], v2 offset1:4
	ds_read2st64_b32 v[6:7], v2 offset0:8 offset1:12
	ds_read2st64_b32 v[8:9], v2 offset0:16 offset1:20
	;; [unrolled: 1-line block ×6, first 2 shown]
	v_addc_co_u32_e32 v17, vcc, 0, v17, vcc
	s_movk_i32 s2, 0x1000
	s_waitcnt lgkmcnt(0)
	flat_store_dword v[16:17], v4
	flat_store_dword v[16:17], v5 offset:1024
	flat_store_dword v[16:17], v6 offset:2048
	flat_store_dword v[16:17], v7 offset:3072
	v_add_co_u32_e32 v4, vcc, s2, v16
	v_addc_co_u32_e32 v5, vcc, 0, v17, vcc
	flat_store_dword v[4:5], v8
	flat_store_dword v[4:5], v9 offset:1024
	flat_store_dword v[4:5], v10 offset:2048
	;; [unrolled: 1-line block ×3, first 2 shown]
	v_add_co_u32_e32 v4, vcc, 0x2000, v16
	v_addc_co_u32_e32 v5, vcc, 0, v17, vcc
	flat_store_dword v[4:5], v12
	flat_store_dword v[4:5], v13 offset:1024
	flat_store_dword v[4:5], v14 offset:2048
	;; [unrolled: 1-line block ×3, first 2 shown]
	v_add_co_u32_e32 v4, vcc, 0x3000, v16
	v_mov_b32_e32 v1, 0
	v_addc_co_u32_e32 v5, vcc, 0, v17, vcc
	s_or_b64 s[0:1], s[0:1], exec
	flat_store_dword v[4:5], v2
.LBB2217_167:
	s_and_saveexec_b64 s[2:3], s[0:1]
	s_cbranch_execnz .LBB2217_169
; %bb.168:
	s_endpgm
.LBB2217_169:
	v_lshlrev_b64 v[0:1], 2, v[0:1]
	v_mov_b32_e32 v2, s5
	v_add_co_u32_e32 v0, vcc, s4, v0
	v_addc_co_u32_e32 v1, vcc, v2, v1, vcc
	v_add_co_u32_e32 v0, vcc, 0x3000, v0
	v_addc_co_u32_e32 v1, vcc, 0, v1, vcc
	flat_store_dword v[0:1], v3 offset:1024
	s_endpgm
.LBB2217_170:
	v_mov_b32_e32 v13, s55
	v_add_co_u32_e32 v14, vcc, s7, v12
	v_addc_co_u32_e32 v15, vcc, 0, v13, vcc
	flat_load_dword v13, v[14:15]
	s_or_b64 exec, exec, s[44:45]
                                        ; implicit-def: $vgpr14
	s_and_saveexec_b64 s[2:3], s[4:5]
	s_cbranch_execz .LBB2217_37
.LBB2217_171:
	v_mov_b32_e32 v15, s55
	v_add_co_u32_e32 v14, vcc, s7, v12
	v_addc_co_u32_e32 v15, vcc, 0, v15, vcc
	flat_load_dword v14, v[14:15] offset:1024
	s_or_b64 exec, exec, s[2:3]
                                        ; implicit-def: $vgpr15
	s_and_saveexec_b64 s[2:3], s[30:31]
	s_cbranch_execz .LBB2217_38
.LBB2217_172:
	v_mov_b32_e32 v15, s55
	v_add_co_u32_e32 v16, vcc, s7, v12
	v_addc_co_u32_e32 v17, vcc, 0, v15, vcc
	flat_load_dword v15, v[16:17] offset:2048
	s_or_b64 exec, exec, s[2:3]
                                        ; implicit-def: $vgpr16
	s_and_saveexec_b64 s[2:3], s[8:9]
	s_cbranch_execz .LBB2217_39
.LBB2217_173:
	v_mov_b32_e32 v17, s55
	v_add_co_u32_e32 v16, vcc, s7, v12
	v_addc_co_u32_e32 v17, vcc, 0, v17, vcc
	flat_load_dword v16, v[16:17] offset:3072
	s_or_b64 exec, exec, s[2:3]
                                        ; implicit-def: $vgpr17
	s_and_saveexec_b64 s[2:3], s[10:11]
	s_cbranch_execz .LBB2217_40
.LBB2217_174:
	v_lshlrev_b32_e32 v2, 2, v2
	v_mov_b32_e32 v17, s55
	v_add_co_u32_e32 v18, vcc, s7, v2
	v_addc_co_u32_e32 v19, vcc, 0, v17, vcc
	flat_load_dword v17, v[18:19]
	s_or_b64 exec, exec, s[2:3]
                                        ; implicit-def: $vgpr2
	s_and_saveexec_b64 s[2:3], s[12:13]
	s_cbranch_execz .LBB2217_41
.LBB2217_175:
	v_lshlrev_b32_e32 v2, 2, v3
	v_mov_b32_e32 v3, s55
	v_add_co_u32_e32 v2, vcc, s7, v2
	v_addc_co_u32_e32 v3, vcc, 0, v3, vcc
	flat_load_dword v2, v[2:3]
	s_or_b64 exec, exec, s[2:3]
                                        ; implicit-def: $vgpr3
	s_and_saveexec_b64 s[2:3], s[14:15]
	s_cbranch_execz .LBB2217_42
.LBB2217_176:
	v_lshlrev_b32_e32 v3, 2, v4
	v_mov_b32_e32 v4, s55
	v_add_co_u32_e32 v18, vcc, s7, v3
	v_addc_co_u32_e32 v19, vcc, 0, v4, vcc
	flat_load_dword v3, v[18:19]
	s_or_b64 exec, exec, s[2:3]
                                        ; implicit-def: $vgpr4
	s_and_saveexec_b64 s[2:3], s[16:17]
	s_cbranch_execz .LBB2217_43
.LBB2217_177:
	v_lshlrev_b32_e32 v4, 2, v5
	v_mov_b32_e32 v5, s55
	v_add_co_u32_e32 v4, vcc, s7, v4
	v_addc_co_u32_e32 v5, vcc, 0, v5, vcc
	flat_load_dword v4, v[4:5]
	s_or_b64 exec, exec, s[2:3]
                                        ; implicit-def: $vgpr5
	s_and_saveexec_b64 s[2:3], s[18:19]
	s_cbranch_execz .LBB2217_44
.LBB2217_178:
	v_lshlrev_b32_e32 v5, 2, v6
	v_mov_b32_e32 v6, s55
	v_add_co_u32_e32 v18, vcc, s7, v5
	v_addc_co_u32_e32 v19, vcc, 0, v6, vcc
	flat_load_dword v5, v[18:19]
	s_or_b64 exec, exec, s[2:3]
                                        ; implicit-def: $vgpr6
	s_and_saveexec_b64 s[2:3], s[20:21]
	s_cbranch_execz .LBB2217_45
.LBB2217_179:
	v_lshlrev_b32_e32 v6, 2, v7
	v_mov_b32_e32 v7, s55
	v_add_co_u32_e32 v6, vcc, s7, v6
	v_addc_co_u32_e32 v7, vcc, 0, v7, vcc
	flat_load_dword v6, v[6:7]
	s_or_b64 exec, exec, s[2:3]
                                        ; implicit-def: $vgpr7
	s_and_saveexec_b64 s[2:3], s[22:23]
	s_cbranch_execz .LBB2217_46
.LBB2217_180:
	v_lshlrev_b32_e32 v7, 2, v8
	v_mov_b32_e32 v8, s55
	v_add_co_u32_e32 v18, vcc, s7, v7
	v_addc_co_u32_e32 v19, vcc, 0, v8, vcc
	flat_load_dword v7, v[18:19]
	s_or_b64 exec, exec, s[2:3]
                                        ; implicit-def: $vgpr8
	s_and_saveexec_b64 s[2:3], s[24:25]
	s_cbranch_execz .LBB2217_47
.LBB2217_181:
	v_lshlrev_b32_e32 v8, 2, v9
	v_mov_b32_e32 v9, s55
	v_add_co_u32_e32 v8, vcc, s7, v8
	v_addc_co_u32_e32 v9, vcc, 0, v9, vcc
	flat_load_dword v8, v[8:9]
	s_or_b64 exec, exec, s[2:3]
                                        ; implicit-def: $vgpr9
	s_and_saveexec_b64 s[2:3], s[26:27]
	s_cbranch_execz .LBB2217_48
.LBB2217_182:
	v_lshlrev_b32_e32 v9, 2, v10
	v_mov_b32_e32 v10, s55
	v_add_co_u32_e32 v18, vcc, s7, v9
	v_addc_co_u32_e32 v19, vcc, 0, v10, vcc
	flat_load_dword v9, v[18:19]
	s_or_b64 exec, exec, s[2:3]
                                        ; implicit-def: $vgpr10
	s_and_saveexec_b64 s[2:3], s[28:29]
	s_cbranch_execnz .LBB2217_49
	s_branch .LBB2217_50
.LBB2217_183:
                                        ; implicit-def: $sgpr44_sgpr45
	s_branch .LBB2217_32
.LBB2217_184:
                                        ; implicit-def: $sgpr2_sgpr3
	s_branch .LBB2217_81
	.section	.rodata,"a",@progbits
	.p2align	6, 0x0
	.amdhsa_kernel _ZN7rocprim17ROCPRIM_400000_NS6detail17trampoline_kernelINS0_14default_configENS1_27scan_by_key_config_selectorIiiEEZZNS1_16scan_by_key_implILNS1_25lookback_scan_determinismE0ELb0ES3_N6thrust23THRUST_200600_302600_NS10device_ptrIiEESB_SB_iNS9_4plusIvEENS9_8equal_toIvEEiEE10hipError_tPvRmT2_T3_T4_T5_mT6_T7_P12ihipStream_tbENKUlT_T0_E_clISt17integral_constantIbLb1EESV_IbLb0EEEEDaSR_SS_EUlSR_E_NS1_11comp_targetILNS1_3genE4ELNS1_11target_archE910ELNS1_3gpuE8ELNS1_3repE0EEENS1_30default_config_static_selectorELNS0_4arch9wavefront6targetE1EEEvT1_
		.amdhsa_group_segment_fixed_size 16384
		.amdhsa_private_segment_fixed_size 0
		.amdhsa_kernarg_size 112
		.amdhsa_user_sgpr_count 6
		.amdhsa_user_sgpr_private_segment_buffer 1
		.amdhsa_user_sgpr_dispatch_ptr 0
		.amdhsa_user_sgpr_queue_ptr 0
		.amdhsa_user_sgpr_kernarg_segment_ptr 1
		.amdhsa_user_sgpr_dispatch_id 0
		.amdhsa_user_sgpr_flat_scratch_init 0
		.amdhsa_user_sgpr_kernarg_preload_length 0
		.amdhsa_user_sgpr_kernarg_preload_offset 0
		.amdhsa_user_sgpr_private_segment_size 0
		.amdhsa_uses_dynamic_stack 0
		.amdhsa_system_sgpr_private_segment_wavefront_offset 0
		.amdhsa_system_sgpr_workgroup_id_x 1
		.amdhsa_system_sgpr_workgroup_id_y 0
		.amdhsa_system_sgpr_workgroup_id_z 0
		.amdhsa_system_sgpr_workgroup_info 0
		.amdhsa_system_vgpr_workitem_id 0
		.amdhsa_next_free_vgpr 65
		.amdhsa_next_free_sgpr 61
		.amdhsa_accum_offset 68
		.amdhsa_reserve_vcc 1
		.amdhsa_reserve_flat_scratch 0
		.amdhsa_float_round_mode_32 0
		.amdhsa_float_round_mode_16_64 0
		.amdhsa_float_denorm_mode_32 3
		.amdhsa_float_denorm_mode_16_64 3
		.amdhsa_dx10_clamp 1
		.amdhsa_ieee_mode 1
		.amdhsa_fp16_overflow 0
		.amdhsa_tg_split 0
		.amdhsa_exception_fp_ieee_invalid_op 0
		.amdhsa_exception_fp_denorm_src 0
		.amdhsa_exception_fp_ieee_div_zero 0
		.amdhsa_exception_fp_ieee_overflow 0
		.amdhsa_exception_fp_ieee_underflow 0
		.amdhsa_exception_fp_ieee_inexact 0
		.amdhsa_exception_int_div_zero 0
	.end_amdhsa_kernel
	.section	.text._ZN7rocprim17ROCPRIM_400000_NS6detail17trampoline_kernelINS0_14default_configENS1_27scan_by_key_config_selectorIiiEEZZNS1_16scan_by_key_implILNS1_25lookback_scan_determinismE0ELb0ES3_N6thrust23THRUST_200600_302600_NS10device_ptrIiEESB_SB_iNS9_4plusIvEENS9_8equal_toIvEEiEE10hipError_tPvRmT2_T3_T4_T5_mT6_T7_P12ihipStream_tbENKUlT_T0_E_clISt17integral_constantIbLb1EESV_IbLb0EEEEDaSR_SS_EUlSR_E_NS1_11comp_targetILNS1_3genE4ELNS1_11target_archE910ELNS1_3gpuE8ELNS1_3repE0EEENS1_30default_config_static_selectorELNS0_4arch9wavefront6targetE1EEEvT1_,"axG",@progbits,_ZN7rocprim17ROCPRIM_400000_NS6detail17trampoline_kernelINS0_14default_configENS1_27scan_by_key_config_selectorIiiEEZZNS1_16scan_by_key_implILNS1_25lookback_scan_determinismE0ELb0ES3_N6thrust23THRUST_200600_302600_NS10device_ptrIiEESB_SB_iNS9_4plusIvEENS9_8equal_toIvEEiEE10hipError_tPvRmT2_T3_T4_T5_mT6_T7_P12ihipStream_tbENKUlT_T0_E_clISt17integral_constantIbLb1EESV_IbLb0EEEEDaSR_SS_EUlSR_E_NS1_11comp_targetILNS1_3genE4ELNS1_11target_archE910ELNS1_3gpuE8ELNS1_3repE0EEENS1_30default_config_static_selectorELNS0_4arch9wavefront6targetE1EEEvT1_,comdat
.Lfunc_end2217:
	.size	_ZN7rocprim17ROCPRIM_400000_NS6detail17trampoline_kernelINS0_14default_configENS1_27scan_by_key_config_selectorIiiEEZZNS1_16scan_by_key_implILNS1_25lookback_scan_determinismE0ELb0ES3_N6thrust23THRUST_200600_302600_NS10device_ptrIiEESB_SB_iNS9_4plusIvEENS9_8equal_toIvEEiEE10hipError_tPvRmT2_T3_T4_T5_mT6_T7_P12ihipStream_tbENKUlT_T0_E_clISt17integral_constantIbLb1EESV_IbLb0EEEEDaSR_SS_EUlSR_E_NS1_11comp_targetILNS1_3genE4ELNS1_11target_archE910ELNS1_3gpuE8ELNS1_3repE0EEENS1_30default_config_static_selectorELNS0_4arch9wavefront6targetE1EEEvT1_, .Lfunc_end2217-_ZN7rocprim17ROCPRIM_400000_NS6detail17trampoline_kernelINS0_14default_configENS1_27scan_by_key_config_selectorIiiEEZZNS1_16scan_by_key_implILNS1_25lookback_scan_determinismE0ELb0ES3_N6thrust23THRUST_200600_302600_NS10device_ptrIiEESB_SB_iNS9_4plusIvEENS9_8equal_toIvEEiEE10hipError_tPvRmT2_T3_T4_T5_mT6_T7_P12ihipStream_tbENKUlT_T0_E_clISt17integral_constantIbLb1EESV_IbLb0EEEEDaSR_SS_EUlSR_E_NS1_11comp_targetILNS1_3genE4ELNS1_11target_archE910ELNS1_3gpuE8ELNS1_3repE0EEENS1_30default_config_static_selectorELNS0_4arch9wavefront6targetE1EEEvT1_
                                        ; -- End function
	.section	.AMDGPU.csdata,"",@progbits
; Kernel info:
; codeLenInByte = 11028
; NumSgprs: 65
; NumVgprs: 65
; NumAgprs: 0
; TotalNumVgprs: 65
; ScratchSize: 0
; MemoryBound: 0
; FloatMode: 240
; IeeeMode: 1
; LDSByteSize: 16384 bytes/workgroup (compile time only)
; SGPRBlocks: 8
; VGPRBlocks: 8
; NumSGPRsForWavesPerEU: 65
; NumVGPRsForWavesPerEU: 65
; AccumOffset: 68
; Occupancy: 4
; WaveLimiterHint : 1
; COMPUTE_PGM_RSRC2:SCRATCH_EN: 0
; COMPUTE_PGM_RSRC2:USER_SGPR: 6
; COMPUTE_PGM_RSRC2:TRAP_HANDLER: 0
; COMPUTE_PGM_RSRC2:TGID_X_EN: 1
; COMPUTE_PGM_RSRC2:TGID_Y_EN: 0
; COMPUTE_PGM_RSRC2:TGID_Z_EN: 0
; COMPUTE_PGM_RSRC2:TIDIG_COMP_CNT: 0
; COMPUTE_PGM_RSRC3_GFX90A:ACCUM_OFFSET: 16
; COMPUTE_PGM_RSRC3_GFX90A:TG_SPLIT: 0
	.section	.text._ZN7rocprim17ROCPRIM_400000_NS6detail17trampoline_kernelINS0_14default_configENS1_27scan_by_key_config_selectorIiiEEZZNS1_16scan_by_key_implILNS1_25lookback_scan_determinismE0ELb0ES3_N6thrust23THRUST_200600_302600_NS10device_ptrIiEESB_SB_iNS9_4plusIvEENS9_8equal_toIvEEiEE10hipError_tPvRmT2_T3_T4_T5_mT6_T7_P12ihipStream_tbENKUlT_T0_E_clISt17integral_constantIbLb1EESV_IbLb0EEEEDaSR_SS_EUlSR_E_NS1_11comp_targetILNS1_3genE3ELNS1_11target_archE908ELNS1_3gpuE7ELNS1_3repE0EEENS1_30default_config_static_selectorELNS0_4arch9wavefront6targetE1EEEvT1_,"axG",@progbits,_ZN7rocprim17ROCPRIM_400000_NS6detail17trampoline_kernelINS0_14default_configENS1_27scan_by_key_config_selectorIiiEEZZNS1_16scan_by_key_implILNS1_25lookback_scan_determinismE0ELb0ES3_N6thrust23THRUST_200600_302600_NS10device_ptrIiEESB_SB_iNS9_4plusIvEENS9_8equal_toIvEEiEE10hipError_tPvRmT2_T3_T4_T5_mT6_T7_P12ihipStream_tbENKUlT_T0_E_clISt17integral_constantIbLb1EESV_IbLb0EEEEDaSR_SS_EUlSR_E_NS1_11comp_targetILNS1_3genE3ELNS1_11target_archE908ELNS1_3gpuE7ELNS1_3repE0EEENS1_30default_config_static_selectorELNS0_4arch9wavefront6targetE1EEEvT1_,comdat
	.protected	_ZN7rocprim17ROCPRIM_400000_NS6detail17trampoline_kernelINS0_14default_configENS1_27scan_by_key_config_selectorIiiEEZZNS1_16scan_by_key_implILNS1_25lookback_scan_determinismE0ELb0ES3_N6thrust23THRUST_200600_302600_NS10device_ptrIiEESB_SB_iNS9_4plusIvEENS9_8equal_toIvEEiEE10hipError_tPvRmT2_T3_T4_T5_mT6_T7_P12ihipStream_tbENKUlT_T0_E_clISt17integral_constantIbLb1EESV_IbLb0EEEEDaSR_SS_EUlSR_E_NS1_11comp_targetILNS1_3genE3ELNS1_11target_archE908ELNS1_3gpuE7ELNS1_3repE0EEENS1_30default_config_static_selectorELNS0_4arch9wavefront6targetE1EEEvT1_ ; -- Begin function _ZN7rocprim17ROCPRIM_400000_NS6detail17trampoline_kernelINS0_14default_configENS1_27scan_by_key_config_selectorIiiEEZZNS1_16scan_by_key_implILNS1_25lookback_scan_determinismE0ELb0ES3_N6thrust23THRUST_200600_302600_NS10device_ptrIiEESB_SB_iNS9_4plusIvEENS9_8equal_toIvEEiEE10hipError_tPvRmT2_T3_T4_T5_mT6_T7_P12ihipStream_tbENKUlT_T0_E_clISt17integral_constantIbLb1EESV_IbLb0EEEEDaSR_SS_EUlSR_E_NS1_11comp_targetILNS1_3genE3ELNS1_11target_archE908ELNS1_3gpuE7ELNS1_3repE0EEENS1_30default_config_static_selectorELNS0_4arch9wavefront6targetE1EEEvT1_
	.globl	_ZN7rocprim17ROCPRIM_400000_NS6detail17trampoline_kernelINS0_14default_configENS1_27scan_by_key_config_selectorIiiEEZZNS1_16scan_by_key_implILNS1_25lookback_scan_determinismE0ELb0ES3_N6thrust23THRUST_200600_302600_NS10device_ptrIiEESB_SB_iNS9_4plusIvEENS9_8equal_toIvEEiEE10hipError_tPvRmT2_T3_T4_T5_mT6_T7_P12ihipStream_tbENKUlT_T0_E_clISt17integral_constantIbLb1EESV_IbLb0EEEEDaSR_SS_EUlSR_E_NS1_11comp_targetILNS1_3genE3ELNS1_11target_archE908ELNS1_3gpuE7ELNS1_3repE0EEENS1_30default_config_static_selectorELNS0_4arch9wavefront6targetE1EEEvT1_
	.p2align	8
	.type	_ZN7rocprim17ROCPRIM_400000_NS6detail17trampoline_kernelINS0_14default_configENS1_27scan_by_key_config_selectorIiiEEZZNS1_16scan_by_key_implILNS1_25lookback_scan_determinismE0ELb0ES3_N6thrust23THRUST_200600_302600_NS10device_ptrIiEESB_SB_iNS9_4plusIvEENS9_8equal_toIvEEiEE10hipError_tPvRmT2_T3_T4_T5_mT6_T7_P12ihipStream_tbENKUlT_T0_E_clISt17integral_constantIbLb1EESV_IbLb0EEEEDaSR_SS_EUlSR_E_NS1_11comp_targetILNS1_3genE3ELNS1_11target_archE908ELNS1_3gpuE7ELNS1_3repE0EEENS1_30default_config_static_selectorELNS0_4arch9wavefront6targetE1EEEvT1_,@function
_ZN7rocprim17ROCPRIM_400000_NS6detail17trampoline_kernelINS0_14default_configENS1_27scan_by_key_config_selectorIiiEEZZNS1_16scan_by_key_implILNS1_25lookback_scan_determinismE0ELb0ES3_N6thrust23THRUST_200600_302600_NS10device_ptrIiEESB_SB_iNS9_4plusIvEENS9_8equal_toIvEEiEE10hipError_tPvRmT2_T3_T4_T5_mT6_T7_P12ihipStream_tbENKUlT_T0_E_clISt17integral_constantIbLb1EESV_IbLb0EEEEDaSR_SS_EUlSR_E_NS1_11comp_targetILNS1_3genE3ELNS1_11target_archE908ELNS1_3gpuE7ELNS1_3repE0EEENS1_30default_config_static_selectorELNS0_4arch9wavefront6targetE1EEEvT1_: ; @_ZN7rocprim17ROCPRIM_400000_NS6detail17trampoline_kernelINS0_14default_configENS1_27scan_by_key_config_selectorIiiEEZZNS1_16scan_by_key_implILNS1_25lookback_scan_determinismE0ELb0ES3_N6thrust23THRUST_200600_302600_NS10device_ptrIiEESB_SB_iNS9_4plusIvEENS9_8equal_toIvEEiEE10hipError_tPvRmT2_T3_T4_T5_mT6_T7_P12ihipStream_tbENKUlT_T0_E_clISt17integral_constantIbLb1EESV_IbLb0EEEEDaSR_SS_EUlSR_E_NS1_11comp_targetILNS1_3genE3ELNS1_11target_archE908ELNS1_3gpuE7ELNS1_3repE0EEENS1_30default_config_static_selectorELNS0_4arch9wavefront6targetE1EEEvT1_
; %bb.0:
	.section	.rodata,"a",@progbits
	.p2align	6, 0x0
	.amdhsa_kernel _ZN7rocprim17ROCPRIM_400000_NS6detail17trampoline_kernelINS0_14default_configENS1_27scan_by_key_config_selectorIiiEEZZNS1_16scan_by_key_implILNS1_25lookback_scan_determinismE0ELb0ES3_N6thrust23THRUST_200600_302600_NS10device_ptrIiEESB_SB_iNS9_4plusIvEENS9_8equal_toIvEEiEE10hipError_tPvRmT2_T3_T4_T5_mT6_T7_P12ihipStream_tbENKUlT_T0_E_clISt17integral_constantIbLb1EESV_IbLb0EEEEDaSR_SS_EUlSR_E_NS1_11comp_targetILNS1_3genE3ELNS1_11target_archE908ELNS1_3gpuE7ELNS1_3repE0EEENS1_30default_config_static_selectorELNS0_4arch9wavefront6targetE1EEEvT1_
		.amdhsa_group_segment_fixed_size 0
		.amdhsa_private_segment_fixed_size 0
		.amdhsa_kernarg_size 112
		.amdhsa_user_sgpr_count 6
		.amdhsa_user_sgpr_private_segment_buffer 1
		.amdhsa_user_sgpr_dispatch_ptr 0
		.amdhsa_user_sgpr_queue_ptr 0
		.amdhsa_user_sgpr_kernarg_segment_ptr 1
		.amdhsa_user_sgpr_dispatch_id 0
		.amdhsa_user_sgpr_flat_scratch_init 0
		.amdhsa_user_sgpr_kernarg_preload_length 0
		.amdhsa_user_sgpr_kernarg_preload_offset 0
		.amdhsa_user_sgpr_private_segment_size 0
		.amdhsa_uses_dynamic_stack 0
		.amdhsa_system_sgpr_private_segment_wavefront_offset 0
		.amdhsa_system_sgpr_workgroup_id_x 1
		.amdhsa_system_sgpr_workgroup_id_y 0
		.amdhsa_system_sgpr_workgroup_id_z 0
		.amdhsa_system_sgpr_workgroup_info 0
		.amdhsa_system_vgpr_workitem_id 0
		.amdhsa_next_free_vgpr 1
		.amdhsa_next_free_sgpr 0
		.amdhsa_accum_offset 4
		.amdhsa_reserve_vcc 0
		.amdhsa_reserve_flat_scratch 0
		.amdhsa_float_round_mode_32 0
		.amdhsa_float_round_mode_16_64 0
		.amdhsa_float_denorm_mode_32 3
		.amdhsa_float_denorm_mode_16_64 3
		.amdhsa_dx10_clamp 1
		.amdhsa_ieee_mode 1
		.amdhsa_fp16_overflow 0
		.amdhsa_tg_split 0
		.amdhsa_exception_fp_ieee_invalid_op 0
		.amdhsa_exception_fp_denorm_src 0
		.amdhsa_exception_fp_ieee_div_zero 0
		.amdhsa_exception_fp_ieee_overflow 0
		.amdhsa_exception_fp_ieee_underflow 0
		.amdhsa_exception_fp_ieee_inexact 0
		.amdhsa_exception_int_div_zero 0
	.end_amdhsa_kernel
	.section	.text._ZN7rocprim17ROCPRIM_400000_NS6detail17trampoline_kernelINS0_14default_configENS1_27scan_by_key_config_selectorIiiEEZZNS1_16scan_by_key_implILNS1_25lookback_scan_determinismE0ELb0ES3_N6thrust23THRUST_200600_302600_NS10device_ptrIiEESB_SB_iNS9_4plusIvEENS9_8equal_toIvEEiEE10hipError_tPvRmT2_T3_T4_T5_mT6_T7_P12ihipStream_tbENKUlT_T0_E_clISt17integral_constantIbLb1EESV_IbLb0EEEEDaSR_SS_EUlSR_E_NS1_11comp_targetILNS1_3genE3ELNS1_11target_archE908ELNS1_3gpuE7ELNS1_3repE0EEENS1_30default_config_static_selectorELNS0_4arch9wavefront6targetE1EEEvT1_,"axG",@progbits,_ZN7rocprim17ROCPRIM_400000_NS6detail17trampoline_kernelINS0_14default_configENS1_27scan_by_key_config_selectorIiiEEZZNS1_16scan_by_key_implILNS1_25lookback_scan_determinismE0ELb0ES3_N6thrust23THRUST_200600_302600_NS10device_ptrIiEESB_SB_iNS9_4plusIvEENS9_8equal_toIvEEiEE10hipError_tPvRmT2_T3_T4_T5_mT6_T7_P12ihipStream_tbENKUlT_T0_E_clISt17integral_constantIbLb1EESV_IbLb0EEEEDaSR_SS_EUlSR_E_NS1_11comp_targetILNS1_3genE3ELNS1_11target_archE908ELNS1_3gpuE7ELNS1_3repE0EEENS1_30default_config_static_selectorELNS0_4arch9wavefront6targetE1EEEvT1_,comdat
.Lfunc_end2218:
	.size	_ZN7rocprim17ROCPRIM_400000_NS6detail17trampoline_kernelINS0_14default_configENS1_27scan_by_key_config_selectorIiiEEZZNS1_16scan_by_key_implILNS1_25lookback_scan_determinismE0ELb0ES3_N6thrust23THRUST_200600_302600_NS10device_ptrIiEESB_SB_iNS9_4plusIvEENS9_8equal_toIvEEiEE10hipError_tPvRmT2_T3_T4_T5_mT6_T7_P12ihipStream_tbENKUlT_T0_E_clISt17integral_constantIbLb1EESV_IbLb0EEEEDaSR_SS_EUlSR_E_NS1_11comp_targetILNS1_3genE3ELNS1_11target_archE908ELNS1_3gpuE7ELNS1_3repE0EEENS1_30default_config_static_selectorELNS0_4arch9wavefront6targetE1EEEvT1_, .Lfunc_end2218-_ZN7rocprim17ROCPRIM_400000_NS6detail17trampoline_kernelINS0_14default_configENS1_27scan_by_key_config_selectorIiiEEZZNS1_16scan_by_key_implILNS1_25lookback_scan_determinismE0ELb0ES3_N6thrust23THRUST_200600_302600_NS10device_ptrIiEESB_SB_iNS9_4plusIvEENS9_8equal_toIvEEiEE10hipError_tPvRmT2_T3_T4_T5_mT6_T7_P12ihipStream_tbENKUlT_T0_E_clISt17integral_constantIbLb1EESV_IbLb0EEEEDaSR_SS_EUlSR_E_NS1_11comp_targetILNS1_3genE3ELNS1_11target_archE908ELNS1_3gpuE7ELNS1_3repE0EEENS1_30default_config_static_selectorELNS0_4arch9wavefront6targetE1EEEvT1_
                                        ; -- End function
	.section	.AMDGPU.csdata,"",@progbits
; Kernel info:
; codeLenInByte = 0
; NumSgprs: 4
; NumVgprs: 0
; NumAgprs: 0
; TotalNumVgprs: 0
; ScratchSize: 0
; MemoryBound: 0
; FloatMode: 240
; IeeeMode: 1
; LDSByteSize: 0 bytes/workgroup (compile time only)
; SGPRBlocks: 0
; VGPRBlocks: 0
; NumSGPRsForWavesPerEU: 4
; NumVGPRsForWavesPerEU: 1
; AccumOffset: 4
; Occupancy: 8
; WaveLimiterHint : 0
; COMPUTE_PGM_RSRC2:SCRATCH_EN: 0
; COMPUTE_PGM_RSRC2:USER_SGPR: 6
; COMPUTE_PGM_RSRC2:TRAP_HANDLER: 0
; COMPUTE_PGM_RSRC2:TGID_X_EN: 1
; COMPUTE_PGM_RSRC2:TGID_Y_EN: 0
; COMPUTE_PGM_RSRC2:TGID_Z_EN: 0
; COMPUTE_PGM_RSRC2:TIDIG_COMP_CNT: 0
; COMPUTE_PGM_RSRC3_GFX90A:ACCUM_OFFSET: 0
; COMPUTE_PGM_RSRC3_GFX90A:TG_SPLIT: 0
	.section	.text._ZN7rocprim17ROCPRIM_400000_NS6detail17trampoline_kernelINS0_14default_configENS1_27scan_by_key_config_selectorIiiEEZZNS1_16scan_by_key_implILNS1_25lookback_scan_determinismE0ELb0ES3_N6thrust23THRUST_200600_302600_NS10device_ptrIiEESB_SB_iNS9_4plusIvEENS9_8equal_toIvEEiEE10hipError_tPvRmT2_T3_T4_T5_mT6_T7_P12ihipStream_tbENKUlT_T0_E_clISt17integral_constantIbLb1EESV_IbLb0EEEEDaSR_SS_EUlSR_E_NS1_11comp_targetILNS1_3genE2ELNS1_11target_archE906ELNS1_3gpuE6ELNS1_3repE0EEENS1_30default_config_static_selectorELNS0_4arch9wavefront6targetE1EEEvT1_,"axG",@progbits,_ZN7rocprim17ROCPRIM_400000_NS6detail17trampoline_kernelINS0_14default_configENS1_27scan_by_key_config_selectorIiiEEZZNS1_16scan_by_key_implILNS1_25lookback_scan_determinismE0ELb0ES3_N6thrust23THRUST_200600_302600_NS10device_ptrIiEESB_SB_iNS9_4plusIvEENS9_8equal_toIvEEiEE10hipError_tPvRmT2_T3_T4_T5_mT6_T7_P12ihipStream_tbENKUlT_T0_E_clISt17integral_constantIbLb1EESV_IbLb0EEEEDaSR_SS_EUlSR_E_NS1_11comp_targetILNS1_3genE2ELNS1_11target_archE906ELNS1_3gpuE6ELNS1_3repE0EEENS1_30default_config_static_selectorELNS0_4arch9wavefront6targetE1EEEvT1_,comdat
	.protected	_ZN7rocprim17ROCPRIM_400000_NS6detail17trampoline_kernelINS0_14default_configENS1_27scan_by_key_config_selectorIiiEEZZNS1_16scan_by_key_implILNS1_25lookback_scan_determinismE0ELb0ES3_N6thrust23THRUST_200600_302600_NS10device_ptrIiEESB_SB_iNS9_4plusIvEENS9_8equal_toIvEEiEE10hipError_tPvRmT2_T3_T4_T5_mT6_T7_P12ihipStream_tbENKUlT_T0_E_clISt17integral_constantIbLb1EESV_IbLb0EEEEDaSR_SS_EUlSR_E_NS1_11comp_targetILNS1_3genE2ELNS1_11target_archE906ELNS1_3gpuE6ELNS1_3repE0EEENS1_30default_config_static_selectorELNS0_4arch9wavefront6targetE1EEEvT1_ ; -- Begin function _ZN7rocprim17ROCPRIM_400000_NS6detail17trampoline_kernelINS0_14default_configENS1_27scan_by_key_config_selectorIiiEEZZNS1_16scan_by_key_implILNS1_25lookback_scan_determinismE0ELb0ES3_N6thrust23THRUST_200600_302600_NS10device_ptrIiEESB_SB_iNS9_4plusIvEENS9_8equal_toIvEEiEE10hipError_tPvRmT2_T3_T4_T5_mT6_T7_P12ihipStream_tbENKUlT_T0_E_clISt17integral_constantIbLb1EESV_IbLb0EEEEDaSR_SS_EUlSR_E_NS1_11comp_targetILNS1_3genE2ELNS1_11target_archE906ELNS1_3gpuE6ELNS1_3repE0EEENS1_30default_config_static_selectorELNS0_4arch9wavefront6targetE1EEEvT1_
	.globl	_ZN7rocprim17ROCPRIM_400000_NS6detail17trampoline_kernelINS0_14default_configENS1_27scan_by_key_config_selectorIiiEEZZNS1_16scan_by_key_implILNS1_25lookback_scan_determinismE0ELb0ES3_N6thrust23THRUST_200600_302600_NS10device_ptrIiEESB_SB_iNS9_4plusIvEENS9_8equal_toIvEEiEE10hipError_tPvRmT2_T3_T4_T5_mT6_T7_P12ihipStream_tbENKUlT_T0_E_clISt17integral_constantIbLb1EESV_IbLb0EEEEDaSR_SS_EUlSR_E_NS1_11comp_targetILNS1_3genE2ELNS1_11target_archE906ELNS1_3gpuE6ELNS1_3repE0EEENS1_30default_config_static_selectorELNS0_4arch9wavefront6targetE1EEEvT1_
	.p2align	8
	.type	_ZN7rocprim17ROCPRIM_400000_NS6detail17trampoline_kernelINS0_14default_configENS1_27scan_by_key_config_selectorIiiEEZZNS1_16scan_by_key_implILNS1_25lookback_scan_determinismE0ELb0ES3_N6thrust23THRUST_200600_302600_NS10device_ptrIiEESB_SB_iNS9_4plusIvEENS9_8equal_toIvEEiEE10hipError_tPvRmT2_T3_T4_T5_mT6_T7_P12ihipStream_tbENKUlT_T0_E_clISt17integral_constantIbLb1EESV_IbLb0EEEEDaSR_SS_EUlSR_E_NS1_11comp_targetILNS1_3genE2ELNS1_11target_archE906ELNS1_3gpuE6ELNS1_3repE0EEENS1_30default_config_static_selectorELNS0_4arch9wavefront6targetE1EEEvT1_,@function
_ZN7rocprim17ROCPRIM_400000_NS6detail17trampoline_kernelINS0_14default_configENS1_27scan_by_key_config_selectorIiiEEZZNS1_16scan_by_key_implILNS1_25lookback_scan_determinismE0ELb0ES3_N6thrust23THRUST_200600_302600_NS10device_ptrIiEESB_SB_iNS9_4plusIvEENS9_8equal_toIvEEiEE10hipError_tPvRmT2_T3_T4_T5_mT6_T7_P12ihipStream_tbENKUlT_T0_E_clISt17integral_constantIbLb1EESV_IbLb0EEEEDaSR_SS_EUlSR_E_NS1_11comp_targetILNS1_3genE2ELNS1_11target_archE906ELNS1_3gpuE6ELNS1_3repE0EEENS1_30default_config_static_selectorELNS0_4arch9wavefront6targetE1EEEvT1_: ; @_ZN7rocprim17ROCPRIM_400000_NS6detail17trampoline_kernelINS0_14default_configENS1_27scan_by_key_config_selectorIiiEEZZNS1_16scan_by_key_implILNS1_25lookback_scan_determinismE0ELb0ES3_N6thrust23THRUST_200600_302600_NS10device_ptrIiEESB_SB_iNS9_4plusIvEENS9_8equal_toIvEEiEE10hipError_tPvRmT2_T3_T4_T5_mT6_T7_P12ihipStream_tbENKUlT_T0_E_clISt17integral_constantIbLb1EESV_IbLb0EEEEDaSR_SS_EUlSR_E_NS1_11comp_targetILNS1_3genE2ELNS1_11target_archE906ELNS1_3gpuE6ELNS1_3repE0EEENS1_30default_config_static_selectorELNS0_4arch9wavefront6targetE1EEEvT1_
; %bb.0:
	.section	.rodata,"a",@progbits
	.p2align	6, 0x0
	.amdhsa_kernel _ZN7rocprim17ROCPRIM_400000_NS6detail17trampoline_kernelINS0_14default_configENS1_27scan_by_key_config_selectorIiiEEZZNS1_16scan_by_key_implILNS1_25lookback_scan_determinismE0ELb0ES3_N6thrust23THRUST_200600_302600_NS10device_ptrIiEESB_SB_iNS9_4plusIvEENS9_8equal_toIvEEiEE10hipError_tPvRmT2_T3_T4_T5_mT6_T7_P12ihipStream_tbENKUlT_T0_E_clISt17integral_constantIbLb1EESV_IbLb0EEEEDaSR_SS_EUlSR_E_NS1_11comp_targetILNS1_3genE2ELNS1_11target_archE906ELNS1_3gpuE6ELNS1_3repE0EEENS1_30default_config_static_selectorELNS0_4arch9wavefront6targetE1EEEvT1_
		.amdhsa_group_segment_fixed_size 0
		.amdhsa_private_segment_fixed_size 0
		.amdhsa_kernarg_size 112
		.amdhsa_user_sgpr_count 6
		.amdhsa_user_sgpr_private_segment_buffer 1
		.amdhsa_user_sgpr_dispatch_ptr 0
		.amdhsa_user_sgpr_queue_ptr 0
		.amdhsa_user_sgpr_kernarg_segment_ptr 1
		.amdhsa_user_sgpr_dispatch_id 0
		.amdhsa_user_sgpr_flat_scratch_init 0
		.amdhsa_user_sgpr_kernarg_preload_length 0
		.amdhsa_user_sgpr_kernarg_preload_offset 0
		.amdhsa_user_sgpr_private_segment_size 0
		.amdhsa_uses_dynamic_stack 0
		.amdhsa_system_sgpr_private_segment_wavefront_offset 0
		.amdhsa_system_sgpr_workgroup_id_x 1
		.amdhsa_system_sgpr_workgroup_id_y 0
		.amdhsa_system_sgpr_workgroup_id_z 0
		.amdhsa_system_sgpr_workgroup_info 0
		.amdhsa_system_vgpr_workitem_id 0
		.amdhsa_next_free_vgpr 1
		.amdhsa_next_free_sgpr 0
		.amdhsa_accum_offset 4
		.amdhsa_reserve_vcc 0
		.amdhsa_reserve_flat_scratch 0
		.amdhsa_float_round_mode_32 0
		.amdhsa_float_round_mode_16_64 0
		.amdhsa_float_denorm_mode_32 3
		.amdhsa_float_denorm_mode_16_64 3
		.amdhsa_dx10_clamp 1
		.amdhsa_ieee_mode 1
		.amdhsa_fp16_overflow 0
		.amdhsa_tg_split 0
		.amdhsa_exception_fp_ieee_invalid_op 0
		.amdhsa_exception_fp_denorm_src 0
		.amdhsa_exception_fp_ieee_div_zero 0
		.amdhsa_exception_fp_ieee_overflow 0
		.amdhsa_exception_fp_ieee_underflow 0
		.amdhsa_exception_fp_ieee_inexact 0
		.amdhsa_exception_int_div_zero 0
	.end_amdhsa_kernel
	.section	.text._ZN7rocprim17ROCPRIM_400000_NS6detail17trampoline_kernelINS0_14default_configENS1_27scan_by_key_config_selectorIiiEEZZNS1_16scan_by_key_implILNS1_25lookback_scan_determinismE0ELb0ES3_N6thrust23THRUST_200600_302600_NS10device_ptrIiEESB_SB_iNS9_4plusIvEENS9_8equal_toIvEEiEE10hipError_tPvRmT2_T3_T4_T5_mT6_T7_P12ihipStream_tbENKUlT_T0_E_clISt17integral_constantIbLb1EESV_IbLb0EEEEDaSR_SS_EUlSR_E_NS1_11comp_targetILNS1_3genE2ELNS1_11target_archE906ELNS1_3gpuE6ELNS1_3repE0EEENS1_30default_config_static_selectorELNS0_4arch9wavefront6targetE1EEEvT1_,"axG",@progbits,_ZN7rocprim17ROCPRIM_400000_NS6detail17trampoline_kernelINS0_14default_configENS1_27scan_by_key_config_selectorIiiEEZZNS1_16scan_by_key_implILNS1_25lookback_scan_determinismE0ELb0ES3_N6thrust23THRUST_200600_302600_NS10device_ptrIiEESB_SB_iNS9_4plusIvEENS9_8equal_toIvEEiEE10hipError_tPvRmT2_T3_T4_T5_mT6_T7_P12ihipStream_tbENKUlT_T0_E_clISt17integral_constantIbLb1EESV_IbLb0EEEEDaSR_SS_EUlSR_E_NS1_11comp_targetILNS1_3genE2ELNS1_11target_archE906ELNS1_3gpuE6ELNS1_3repE0EEENS1_30default_config_static_selectorELNS0_4arch9wavefront6targetE1EEEvT1_,comdat
.Lfunc_end2219:
	.size	_ZN7rocprim17ROCPRIM_400000_NS6detail17trampoline_kernelINS0_14default_configENS1_27scan_by_key_config_selectorIiiEEZZNS1_16scan_by_key_implILNS1_25lookback_scan_determinismE0ELb0ES3_N6thrust23THRUST_200600_302600_NS10device_ptrIiEESB_SB_iNS9_4plusIvEENS9_8equal_toIvEEiEE10hipError_tPvRmT2_T3_T4_T5_mT6_T7_P12ihipStream_tbENKUlT_T0_E_clISt17integral_constantIbLb1EESV_IbLb0EEEEDaSR_SS_EUlSR_E_NS1_11comp_targetILNS1_3genE2ELNS1_11target_archE906ELNS1_3gpuE6ELNS1_3repE0EEENS1_30default_config_static_selectorELNS0_4arch9wavefront6targetE1EEEvT1_, .Lfunc_end2219-_ZN7rocprim17ROCPRIM_400000_NS6detail17trampoline_kernelINS0_14default_configENS1_27scan_by_key_config_selectorIiiEEZZNS1_16scan_by_key_implILNS1_25lookback_scan_determinismE0ELb0ES3_N6thrust23THRUST_200600_302600_NS10device_ptrIiEESB_SB_iNS9_4plusIvEENS9_8equal_toIvEEiEE10hipError_tPvRmT2_T3_T4_T5_mT6_T7_P12ihipStream_tbENKUlT_T0_E_clISt17integral_constantIbLb1EESV_IbLb0EEEEDaSR_SS_EUlSR_E_NS1_11comp_targetILNS1_3genE2ELNS1_11target_archE906ELNS1_3gpuE6ELNS1_3repE0EEENS1_30default_config_static_selectorELNS0_4arch9wavefront6targetE1EEEvT1_
                                        ; -- End function
	.section	.AMDGPU.csdata,"",@progbits
; Kernel info:
; codeLenInByte = 0
; NumSgprs: 4
; NumVgprs: 0
; NumAgprs: 0
; TotalNumVgprs: 0
; ScratchSize: 0
; MemoryBound: 0
; FloatMode: 240
; IeeeMode: 1
; LDSByteSize: 0 bytes/workgroup (compile time only)
; SGPRBlocks: 0
; VGPRBlocks: 0
; NumSGPRsForWavesPerEU: 4
; NumVGPRsForWavesPerEU: 1
; AccumOffset: 4
; Occupancy: 8
; WaveLimiterHint : 0
; COMPUTE_PGM_RSRC2:SCRATCH_EN: 0
; COMPUTE_PGM_RSRC2:USER_SGPR: 6
; COMPUTE_PGM_RSRC2:TRAP_HANDLER: 0
; COMPUTE_PGM_RSRC2:TGID_X_EN: 1
; COMPUTE_PGM_RSRC2:TGID_Y_EN: 0
; COMPUTE_PGM_RSRC2:TGID_Z_EN: 0
; COMPUTE_PGM_RSRC2:TIDIG_COMP_CNT: 0
; COMPUTE_PGM_RSRC3_GFX90A:ACCUM_OFFSET: 0
; COMPUTE_PGM_RSRC3_GFX90A:TG_SPLIT: 0
	.section	.text._ZN7rocprim17ROCPRIM_400000_NS6detail17trampoline_kernelINS0_14default_configENS1_27scan_by_key_config_selectorIiiEEZZNS1_16scan_by_key_implILNS1_25lookback_scan_determinismE0ELb0ES3_N6thrust23THRUST_200600_302600_NS10device_ptrIiEESB_SB_iNS9_4plusIvEENS9_8equal_toIvEEiEE10hipError_tPvRmT2_T3_T4_T5_mT6_T7_P12ihipStream_tbENKUlT_T0_E_clISt17integral_constantIbLb1EESV_IbLb0EEEEDaSR_SS_EUlSR_E_NS1_11comp_targetILNS1_3genE10ELNS1_11target_archE1200ELNS1_3gpuE4ELNS1_3repE0EEENS1_30default_config_static_selectorELNS0_4arch9wavefront6targetE1EEEvT1_,"axG",@progbits,_ZN7rocprim17ROCPRIM_400000_NS6detail17trampoline_kernelINS0_14default_configENS1_27scan_by_key_config_selectorIiiEEZZNS1_16scan_by_key_implILNS1_25lookback_scan_determinismE0ELb0ES3_N6thrust23THRUST_200600_302600_NS10device_ptrIiEESB_SB_iNS9_4plusIvEENS9_8equal_toIvEEiEE10hipError_tPvRmT2_T3_T4_T5_mT6_T7_P12ihipStream_tbENKUlT_T0_E_clISt17integral_constantIbLb1EESV_IbLb0EEEEDaSR_SS_EUlSR_E_NS1_11comp_targetILNS1_3genE10ELNS1_11target_archE1200ELNS1_3gpuE4ELNS1_3repE0EEENS1_30default_config_static_selectorELNS0_4arch9wavefront6targetE1EEEvT1_,comdat
	.protected	_ZN7rocprim17ROCPRIM_400000_NS6detail17trampoline_kernelINS0_14default_configENS1_27scan_by_key_config_selectorIiiEEZZNS1_16scan_by_key_implILNS1_25lookback_scan_determinismE0ELb0ES3_N6thrust23THRUST_200600_302600_NS10device_ptrIiEESB_SB_iNS9_4plusIvEENS9_8equal_toIvEEiEE10hipError_tPvRmT2_T3_T4_T5_mT6_T7_P12ihipStream_tbENKUlT_T0_E_clISt17integral_constantIbLb1EESV_IbLb0EEEEDaSR_SS_EUlSR_E_NS1_11comp_targetILNS1_3genE10ELNS1_11target_archE1200ELNS1_3gpuE4ELNS1_3repE0EEENS1_30default_config_static_selectorELNS0_4arch9wavefront6targetE1EEEvT1_ ; -- Begin function _ZN7rocprim17ROCPRIM_400000_NS6detail17trampoline_kernelINS0_14default_configENS1_27scan_by_key_config_selectorIiiEEZZNS1_16scan_by_key_implILNS1_25lookback_scan_determinismE0ELb0ES3_N6thrust23THRUST_200600_302600_NS10device_ptrIiEESB_SB_iNS9_4plusIvEENS9_8equal_toIvEEiEE10hipError_tPvRmT2_T3_T4_T5_mT6_T7_P12ihipStream_tbENKUlT_T0_E_clISt17integral_constantIbLb1EESV_IbLb0EEEEDaSR_SS_EUlSR_E_NS1_11comp_targetILNS1_3genE10ELNS1_11target_archE1200ELNS1_3gpuE4ELNS1_3repE0EEENS1_30default_config_static_selectorELNS0_4arch9wavefront6targetE1EEEvT1_
	.globl	_ZN7rocprim17ROCPRIM_400000_NS6detail17trampoline_kernelINS0_14default_configENS1_27scan_by_key_config_selectorIiiEEZZNS1_16scan_by_key_implILNS1_25lookback_scan_determinismE0ELb0ES3_N6thrust23THRUST_200600_302600_NS10device_ptrIiEESB_SB_iNS9_4plusIvEENS9_8equal_toIvEEiEE10hipError_tPvRmT2_T3_T4_T5_mT6_T7_P12ihipStream_tbENKUlT_T0_E_clISt17integral_constantIbLb1EESV_IbLb0EEEEDaSR_SS_EUlSR_E_NS1_11comp_targetILNS1_3genE10ELNS1_11target_archE1200ELNS1_3gpuE4ELNS1_3repE0EEENS1_30default_config_static_selectorELNS0_4arch9wavefront6targetE1EEEvT1_
	.p2align	8
	.type	_ZN7rocprim17ROCPRIM_400000_NS6detail17trampoline_kernelINS0_14default_configENS1_27scan_by_key_config_selectorIiiEEZZNS1_16scan_by_key_implILNS1_25lookback_scan_determinismE0ELb0ES3_N6thrust23THRUST_200600_302600_NS10device_ptrIiEESB_SB_iNS9_4plusIvEENS9_8equal_toIvEEiEE10hipError_tPvRmT2_T3_T4_T5_mT6_T7_P12ihipStream_tbENKUlT_T0_E_clISt17integral_constantIbLb1EESV_IbLb0EEEEDaSR_SS_EUlSR_E_NS1_11comp_targetILNS1_3genE10ELNS1_11target_archE1200ELNS1_3gpuE4ELNS1_3repE0EEENS1_30default_config_static_selectorELNS0_4arch9wavefront6targetE1EEEvT1_,@function
_ZN7rocprim17ROCPRIM_400000_NS6detail17trampoline_kernelINS0_14default_configENS1_27scan_by_key_config_selectorIiiEEZZNS1_16scan_by_key_implILNS1_25lookback_scan_determinismE0ELb0ES3_N6thrust23THRUST_200600_302600_NS10device_ptrIiEESB_SB_iNS9_4plusIvEENS9_8equal_toIvEEiEE10hipError_tPvRmT2_T3_T4_T5_mT6_T7_P12ihipStream_tbENKUlT_T0_E_clISt17integral_constantIbLb1EESV_IbLb0EEEEDaSR_SS_EUlSR_E_NS1_11comp_targetILNS1_3genE10ELNS1_11target_archE1200ELNS1_3gpuE4ELNS1_3repE0EEENS1_30default_config_static_selectorELNS0_4arch9wavefront6targetE1EEEvT1_: ; @_ZN7rocprim17ROCPRIM_400000_NS6detail17trampoline_kernelINS0_14default_configENS1_27scan_by_key_config_selectorIiiEEZZNS1_16scan_by_key_implILNS1_25lookback_scan_determinismE0ELb0ES3_N6thrust23THRUST_200600_302600_NS10device_ptrIiEESB_SB_iNS9_4plusIvEENS9_8equal_toIvEEiEE10hipError_tPvRmT2_T3_T4_T5_mT6_T7_P12ihipStream_tbENKUlT_T0_E_clISt17integral_constantIbLb1EESV_IbLb0EEEEDaSR_SS_EUlSR_E_NS1_11comp_targetILNS1_3genE10ELNS1_11target_archE1200ELNS1_3gpuE4ELNS1_3repE0EEENS1_30default_config_static_selectorELNS0_4arch9wavefront6targetE1EEEvT1_
; %bb.0:
	.section	.rodata,"a",@progbits
	.p2align	6, 0x0
	.amdhsa_kernel _ZN7rocprim17ROCPRIM_400000_NS6detail17trampoline_kernelINS0_14default_configENS1_27scan_by_key_config_selectorIiiEEZZNS1_16scan_by_key_implILNS1_25lookback_scan_determinismE0ELb0ES3_N6thrust23THRUST_200600_302600_NS10device_ptrIiEESB_SB_iNS9_4plusIvEENS9_8equal_toIvEEiEE10hipError_tPvRmT2_T3_T4_T5_mT6_T7_P12ihipStream_tbENKUlT_T0_E_clISt17integral_constantIbLb1EESV_IbLb0EEEEDaSR_SS_EUlSR_E_NS1_11comp_targetILNS1_3genE10ELNS1_11target_archE1200ELNS1_3gpuE4ELNS1_3repE0EEENS1_30default_config_static_selectorELNS0_4arch9wavefront6targetE1EEEvT1_
		.amdhsa_group_segment_fixed_size 0
		.amdhsa_private_segment_fixed_size 0
		.amdhsa_kernarg_size 112
		.amdhsa_user_sgpr_count 6
		.amdhsa_user_sgpr_private_segment_buffer 1
		.amdhsa_user_sgpr_dispatch_ptr 0
		.amdhsa_user_sgpr_queue_ptr 0
		.amdhsa_user_sgpr_kernarg_segment_ptr 1
		.amdhsa_user_sgpr_dispatch_id 0
		.amdhsa_user_sgpr_flat_scratch_init 0
		.amdhsa_user_sgpr_kernarg_preload_length 0
		.amdhsa_user_sgpr_kernarg_preload_offset 0
		.amdhsa_user_sgpr_private_segment_size 0
		.amdhsa_uses_dynamic_stack 0
		.amdhsa_system_sgpr_private_segment_wavefront_offset 0
		.amdhsa_system_sgpr_workgroup_id_x 1
		.amdhsa_system_sgpr_workgroup_id_y 0
		.amdhsa_system_sgpr_workgroup_id_z 0
		.amdhsa_system_sgpr_workgroup_info 0
		.amdhsa_system_vgpr_workitem_id 0
		.amdhsa_next_free_vgpr 1
		.amdhsa_next_free_sgpr 0
		.amdhsa_accum_offset 4
		.amdhsa_reserve_vcc 0
		.amdhsa_reserve_flat_scratch 0
		.amdhsa_float_round_mode_32 0
		.amdhsa_float_round_mode_16_64 0
		.amdhsa_float_denorm_mode_32 3
		.amdhsa_float_denorm_mode_16_64 3
		.amdhsa_dx10_clamp 1
		.amdhsa_ieee_mode 1
		.amdhsa_fp16_overflow 0
		.amdhsa_tg_split 0
		.amdhsa_exception_fp_ieee_invalid_op 0
		.amdhsa_exception_fp_denorm_src 0
		.amdhsa_exception_fp_ieee_div_zero 0
		.amdhsa_exception_fp_ieee_overflow 0
		.amdhsa_exception_fp_ieee_underflow 0
		.amdhsa_exception_fp_ieee_inexact 0
		.amdhsa_exception_int_div_zero 0
	.end_amdhsa_kernel
	.section	.text._ZN7rocprim17ROCPRIM_400000_NS6detail17trampoline_kernelINS0_14default_configENS1_27scan_by_key_config_selectorIiiEEZZNS1_16scan_by_key_implILNS1_25lookback_scan_determinismE0ELb0ES3_N6thrust23THRUST_200600_302600_NS10device_ptrIiEESB_SB_iNS9_4plusIvEENS9_8equal_toIvEEiEE10hipError_tPvRmT2_T3_T4_T5_mT6_T7_P12ihipStream_tbENKUlT_T0_E_clISt17integral_constantIbLb1EESV_IbLb0EEEEDaSR_SS_EUlSR_E_NS1_11comp_targetILNS1_3genE10ELNS1_11target_archE1200ELNS1_3gpuE4ELNS1_3repE0EEENS1_30default_config_static_selectorELNS0_4arch9wavefront6targetE1EEEvT1_,"axG",@progbits,_ZN7rocprim17ROCPRIM_400000_NS6detail17trampoline_kernelINS0_14default_configENS1_27scan_by_key_config_selectorIiiEEZZNS1_16scan_by_key_implILNS1_25lookback_scan_determinismE0ELb0ES3_N6thrust23THRUST_200600_302600_NS10device_ptrIiEESB_SB_iNS9_4plusIvEENS9_8equal_toIvEEiEE10hipError_tPvRmT2_T3_T4_T5_mT6_T7_P12ihipStream_tbENKUlT_T0_E_clISt17integral_constantIbLb1EESV_IbLb0EEEEDaSR_SS_EUlSR_E_NS1_11comp_targetILNS1_3genE10ELNS1_11target_archE1200ELNS1_3gpuE4ELNS1_3repE0EEENS1_30default_config_static_selectorELNS0_4arch9wavefront6targetE1EEEvT1_,comdat
.Lfunc_end2220:
	.size	_ZN7rocprim17ROCPRIM_400000_NS6detail17trampoline_kernelINS0_14default_configENS1_27scan_by_key_config_selectorIiiEEZZNS1_16scan_by_key_implILNS1_25lookback_scan_determinismE0ELb0ES3_N6thrust23THRUST_200600_302600_NS10device_ptrIiEESB_SB_iNS9_4plusIvEENS9_8equal_toIvEEiEE10hipError_tPvRmT2_T3_T4_T5_mT6_T7_P12ihipStream_tbENKUlT_T0_E_clISt17integral_constantIbLb1EESV_IbLb0EEEEDaSR_SS_EUlSR_E_NS1_11comp_targetILNS1_3genE10ELNS1_11target_archE1200ELNS1_3gpuE4ELNS1_3repE0EEENS1_30default_config_static_selectorELNS0_4arch9wavefront6targetE1EEEvT1_, .Lfunc_end2220-_ZN7rocprim17ROCPRIM_400000_NS6detail17trampoline_kernelINS0_14default_configENS1_27scan_by_key_config_selectorIiiEEZZNS1_16scan_by_key_implILNS1_25lookback_scan_determinismE0ELb0ES3_N6thrust23THRUST_200600_302600_NS10device_ptrIiEESB_SB_iNS9_4plusIvEENS9_8equal_toIvEEiEE10hipError_tPvRmT2_T3_T4_T5_mT6_T7_P12ihipStream_tbENKUlT_T0_E_clISt17integral_constantIbLb1EESV_IbLb0EEEEDaSR_SS_EUlSR_E_NS1_11comp_targetILNS1_3genE10ELNS1_11target_archE1200ELNS1_3gpuE4ELNS1_3repE0EEENS1_30default_config_static_selectorELNS0_4arch9wavefront6targetE1EEEvT1_
                                        ; -- End function
	.section	.AMDGPU.csdata,"",@progbits
; Kernel info:
; codeLenInByte = 0
; NumSgprs: 4
; NumVgprs: 0
; NumAgprs: 0
; TotalNumVgprs: 0
; ScratchSize: 0
; MemoryBound: 0
; FloatMode: 240
; IeeeMode: 1
; LDSByteSize: 0 bytes/workgroup (compile time only)
; SGPRBlocks: 0
; VGPRBlocks: 0
; NumSGPRsForWavesPerEU: 4
; NumVGPRsForWavesPerEU: 1
; AccumOffset: 4
; Occupancy: 8
; WaveLimiterHint : 0
; COMPUTE_PGM_RSRC2:SCRATCH_EN: 0
; COMPUTE_PGM_RSRC2:USER_SGPR: 6
; COMPUTE_PGM_RSRC2:TRAP_HANDLER: 0
; COMPUTE_PGM_RSRC2:TGID_X_EN: 1
; COMPUTE_PGM_RSRC2:TGID_Y_EN: 0
; COMPUTE_PGM_RSRC2:TGID_Z_EN: 0
; COMPUTE_PGM_RSRC2:TIDIG_COMP_CNT: 0
; COMPUTE_PGM_RSRC3_GFX90A:ACCUM_OFFSET: 0
; COMPUTE_PGM_RSRC3_GFX90A:TG_SPLIT: 0
	.section	.text._ZN7rocprim17ROCPRIM_400000_NS6detail17trampoline_kernelINS0_14default_configENS1_27scan_by_key_config_selectorIiiEEZZNS1_16scan_by_key_implILNS1_25lookback_scan_determinismE0ELb0ES3_N6thrust23THRUST_200600_302600_NS10device_ptrIiEESB_SB_iNS9_4plusIvEENS9_8equal_toIvEEiEE10hipError_tPvRmT2_T3_T4_T5_mT6_T7_P12ihipStream_tbENKUlT_T0_E_clISt17integral_constantIbLb1EESV_IbLb0EEEEDaSR_SS_EUlSR_E_NS1_11comp_targetILNS1_3genE9ELNS1_11target_archE1100ELNS1_3gpuE3ELNS1_3repE0EEENS1_30default_config_static_selectorELNS0_4arch9wavefront6targetE1EEEvT1_,"axG",@progbits,_ZN7rocprim17ROCPRIM_400000_NS6detail17trampoline_kernelINS0_14default_configENS1_27scan_by_key_config_selectorIiiEEZZNS1_16scan_by_key_implILNS1_25lookback_scan_determinismE0ELb0ES3_N6thrust23THRUST_200600_302600_NS10device_ptrIiEESB_SB_iNS9_4plusIvEENS9_8equal_toIvEEiEE10hipError_tPvRmT2_T3_T4_T5_mT6_T7_P12ihipStream_tbENKUlT_T0_E_clISt17integral_constantIbLb1EESV_IbLb0EEEEDaSR_SS_EUlSR_E_NS1_11comp_targetILNS1_3genE9ELNS1_11target_archE1100ELNS1_3gpuE3ELNS1_3repE0EEENS1_30default_config_static_selectorELNS0_4arch9wavefront6targetE1EEEvT1_,comdat
	.protected	_ZN7rocprim17ROCPRIM_400000_NS6detail17trampoline_kernelINS0_14default_configENS1_27scan_by_key_config_selectorIiiEEZZNS1_16scan_by_key_implILNS1_25lookback_scan_determinismE0ELb0ES3_N6thrust23THRUST_200600_302600_NS10device_ptrIiEESB_SB_iNS9_4plusIvEENS9_8equal_toIvEEiEE10hipError_tPvRmT2_T3_T4_T5_mT6_T7_P12ihipStream_tbENKUlT_T0_E_clISt17integral_constantIbLb1EESV_IbLb0EEEEDaSR_SS_EUlSR_E_NS1_11comp_targetILNS1_3genE9ELNS1_11target_archE1100ELNS1_3gpuE3ELNS1_3repE0EEENS1_30default_config_static_selectorELNS0_4arch9wavefront6targetE1EEEvT1_ ; -- Begin function _ZN7rocprim17ROCPRIM_400000_NS6detail17trampoline_kernelINS0_14default_configENS1_27scan_by_key_config_selectorIiiEEZZNS1_16scan_by_key_implILNS1_25lookback_scan_determinismE0ELb0ES3_N6thrust23THRUST_200600_302600_NS10device_ptrIiEESB_SB_iNS9_4plusIvEENS9_8equal_toIvEEiEE10hipError_tPvRmT2_T3_T4_T5_mT6_T7_P12ihipStream_tbENKUlT_T0_E_clISt17integral_constantIbLb1EESV_IbLb0EEEEDaSR_SS_EUlSR_E_NS1_11comp_targetILNS1_3genE9ELNS1_11target_archE1100ELNS1_3gpuE3ELNS1_3repE0EEENS1_30default_config_static_selectorELNS0_4arch9wavefront6targetE1EEEvT1_
	.globl	_ZN7rocprim17ROCPRIM_400000_NS6detail17trampoline_kernelINS0_14default_configENS1_27scan_by_key_config_selectorIiiEEZZNS1_16scan_by_key_implILNS1_25lookback_scan_determinismE0ELb0ES3_N6thrust23THRUST_200600_302600_NS10device_ptrIiEESB_SB_iNS9_4plusIvEENS9_8equal_toIvEEiEE10hipError_tPvRmT2_T3_T4_T5_mT6_T7_P12ihipStream_tbENKUlT_T0_E_clISt17integral_constantIbLb1EESV_IbLb0EEEEDaSR_SS_EUlSR_E_NS1_11comp_targetILNS1_3genE9ELNS1_11target_archE1100ELNS1_3gpuE3ELNS1_3repE0EEENS1_30default_config_static_selectorELNS0_4arch9wavefront6targetE1EEEvT1_
	.p2align	8
	.type	_ZN7rocprim17ROCPRIM_400000_NS6detail17trampoline_kernelINS0_14default_configENS1_27scan_by_key_config_selectorIiiEEZZNS1_16scan_by_key_implILNS1_25lookback_scan_determinismE0ELb0ES3_N6thrust23THRUST_200600_302600_NS10device_ptrIiEESB_SB_iNS9_4plusIvEENS9_8equal_toIvEEiEE10hipError_tPvRmT2_T3_T4_T5_mT6_T7_P12ihipStream_tbENKUlT_T0_E_clISt17integral_constantIbLb1EESV_IbLb0EEEEDaSR_SS_EUlSR_E_NS1_11comp_targetILNS1_3genE9ELNS1_11target_archE1100ELNS1_3gpuE3ELNS1_3repE0EEENS1_30default_config_static_selectorELNS0_4arch9wavefront6targetE1EEEvT1_,@function
_ZN7rocprim17ROCPRIM_400000_NS6detail17trampoline_kernelINS0_14default_configENS1_27scan_by_key_config_selectorIiiEEZZNS1_16scan_by_key_implILNS1_25lookback_scan_determinismE0ELb0ES3_N6thrust23THRUST_200600_302600_NS10device_ptrIiEESB_SB_iNS9_4plusIvEENS9_8equal_toIvEEiEE10hipError_tPvRmT2_T3_T4_T5_mT6_T7_P12ihipStream_tbENKUlT_T0_E_clISt17integral_constantIbLb1EESV_IbLb0EEEEDaSR_SS_EUlSR_E_NS1_11comp_targetILNS1_3genE9ELNS1_11target_archE1100ELNS1_3gpuE3ELNS1_3repE0EEENS1_30default_config_static_selectorELNS0_4arch9wavefront6targetE1EEEvT1_: ; @_ZN7rocprim17ROCPRIM_400000_NS6detail17trampoline_kernelINS0_14default_configENS1_27scan_by_key_config_selectorIiiEEZZNS1_16scan_by_key_implILNS1_25lookback_scan_determinismE0ELb0ES3_N6thrust23THRUST_200600_302600_NS10device_ptrIiEESB_SB_iNS9_4plusIvEENS9_8equal_toIvEEiEE10hipError_tPvRmT2_T3_T4_T5_mT6_T7_P12ihipStream_tbENKUlT_T0_E_clISt17integral_constantIbLb1EESV_IbLb0EEEEDaSR_SS_EUlSR_E_NS1_11comp_targetILNS1_3genE9ELNS1_11target_archE1100ELNS1_3gpuE3ELNS1_3repE0EEENS1_30default_config_static_selectorELNS0_4arch9wavefront6targetE1EEEvT1_
; %bb.0:
	.section	.rodata,"a",@progbits
	.p2align	6, 0x0
	.amdhsa_kernel _ZN7rocprim17ROCPRIM_400000_NS6detail17trampoline_kernelINS0_14default_configENS1_27scan_by_key_config_selectorIiiEEZZNS1_16scan_by_key_implILNS1_25lookback_scan_determinismE0ELb0ES3_N6thrust23THRUST_200600_302600_NS10device_ptrIiEESB_SB_iNS9_4plusIvEENS9_8equal_toIvEEiEE10hipError_tPvRmT2_T3_T4_T5_mT6_T7_P12ihipStream_tbENKUlT_T0_E_clISt17integral_constantIbLb1EESV_IbLb0EEEEDaSR_SS_EUlSR_E_NS1_11comp_targetILNS1_3genE9ELNS1_11target_archE1100ELNS1_3gpuE3ELNS1_3repE0EEENS1_30default_config_static_selectorELNS0_4arch9wavefront6targetE1EEEvT1_
		.amdhsa_group_segment_fixed_size 0
		.amdhsa_private_segment_fixed_size 0
		.amdhsa_kernarg_size 112
		.amdhsa_user_sgpr_count 6
		.amdhsa_user_sgpr_private_segment_buffer 1
		.amdhsa_user_sgpr_dispatch_ptr 0
		.amdhsa_user_sgpr_queue_ptr 0
		.amdhsa_user_sgpr_kernarg_segment_ptr 1
		.amdhsa_user_sgpr_dispatch_id 0
		.amdhsa_user_sgpr_flat_scratch_init 0
		.amdhsa_user_sgpr_kernarg_preload_length 0
		.amdhsa_user_sgpr_kernarg_preload_offset 0
		.amdhsa_user_sgpr_private_segment_size 0
		.amdhsa_uses_dynamic_stack 0
		.amdhsa_system_sgpr_private_segment_wavefront_offset 0
		.amdhsa_system_sgpr_workgroup_id_x 1
		.amdhsa_system_sgpr_workgroup_id_y 0
		.amdhsa_system_sgpr_workgroup_id_z 0
		.amdhsa_system_sgpr_workgroup_info 0
		.amdhsa_system_vgpr_workitem_id 0
		.amdhsa_next_free_vgpr 1
		.amdhsa_next_free_sgpr 0
		.amdhsa_accum_offset 4
		.amdhsa_reserve_vcc 0
		.amdhsa_reserve_flat_scratch 0
		.amdhsa_float_round_mode_32 0
		.amdhsa_float_round_mode_16_64 0
		.amdhsa_float_denorm_mode_32 3
		.amdhsa_float_denorm_mode_16_64 3
		.amdhsa_dx10_clamp 1
		.amdhsa_ieee_mode 1
		.amdhsa_fp16_overflow 0
		.amdhsa_tg_split 0
		.amdhsa_exception_fp_ieee_invalid_op 0
		.amdhsa_exception_fp_denorm_src 0
		.amdhsa_exception_fp_ieee_div_zero 0
		.amdhsa_exception_fp_ieee_overflow 0
		.amdhsa_exception_fp_ieee_underflow 0
		.amdhsa_exception_fp_ieee_inexact 0
		.amdhsa_exception_int_div_zero 0
	.end_amdhsa_kernel
	.section	.text._ZN7rocprim17ROCPRIM_400000_NS6detail17trampoline_kernelINS0_14default_configENS1_27scan_by_key_config_selectorIiiEEZZNS1_16scan_by_key_implILNS1_25lookback_scan_determinismE0ELb0ES3_N6thrust23THRUST_200600_302600_NS10device_ptrIiEESB_SB_iNS9_4plusIvEENS9_8equal_toIvEEiEE10hipError_tPvRmT2_T3_T4_T5_mT6_T7_P12ihipStream_tbENKUlT_T0_E_clISt17integral_constantIbLb1EESV_IbLb0EEEEDaSR_SS_EUlSR_E_NS1_11comp_targetILNS1_3genE9ELNS1_11target_archE1100ELNS1_3gpuE3ELNS1_3repE0EEENS1_30default_config_static_selectorELNS0_4arch9wavefront6targetE1EEEvT1_,"axG",@progbits,_ZN7rocprim17ROCPRIM_400000_NS6detail17trampoline_kernelINS0_14default_configENS1_27scan_by_key_config_selectorIiiEEZZNS1_16scan_by_key_implILNS1_25lookback_scan_determinismE0ELb0ES3_N6thrust23THRUST_200600_302600_NS10device_ptrIiEESB_SB_iNS9_4plusIvEENS9_8equal_toIvEEiEE10hipError_tPvRmT2_T3_T4_T5_mT6_T7_P12ihipStream_tbENKUlT_T0_E_clISt17integral_constantIbLb1EESV_IbLb0EEEEDaSR_SS_EUlSR_E_NS1_11comp_targetILNS1_3genE9ELNS1_11target_archE1100ELNS1_3gpuE3ELNS1_3repE0EEENS1_30default_config_static_selectorELNS0_4arch9wavefront6targetE1EEEvT1_,comdat
.Lfunc_end2221:
	.size	_ZN7rocprim17ROCPRIM_400000_NS6detail17trampoline_kernelINS0_14default_configENS1_27scan_by_key_config_selectorIiiEEZZNS1_16scan_by_key_implILNS1_25lookback_scan_determinismE0ELb0ES3_N6thrust23THRUST_200600_302600_NS10device_ptrIiEESB_SB_iNS9_4plusIvEENS9_8equal_toIvEEiEE10hipError_tPvRmT2_T3_T4_T5_mT6_T7_P12ihipStream_tbENKUlT_T0_E_clISt17integral_constantIbLb1EESV_IbLb0EEEEDaSR_SS_EUlSR_E_NS1_11comp_targetILNS1_3genE9ELNS1_11target_archE1100ELNS1_3gpuE3ELNS1_3repE0EEENS1_30default_config_static_selectorELNS0_4arch9wavefront6targetE1EEEvT1_, .Lfunc_end2221-_ZN7rocprim17ROCPRIM_400000_NS6detail17trampoline_kernelINS0_14default_configENS1_27scan_by_key_config_selectorIiiEEZZNS1_16scan_by_key_implILNS1_25lookback_scan_determinismE0ELb0ES3_N6thrust23THRUST_200600_302600_NS10device_ptrIiEESB_SB_iNS9_4plusIvEENS9_8equal_toIvEEiEE10hipError_tPvRmT2_T3_T4_T5_mT6_T7_P12ihipStream_tbENKUlT_T0_E_clISt17integral_constantIbLb1EESV_IbLb0EEEEDaSR_SS_EUlSR_E_NS1_11comp_targetILNS1_3genE9ELNS1_11target_archE1100ELNS1_3gpuE3ELNS1_3repE0EEENS1_30default_config_static_selectorELNS0_4arch9wavefront6targetE1EEEvT1_
                                        ; -- End function
	.section	.AMDGPU.csdata,"",@progbits
; Kernel info:
; codeLenInByte = 0
; NumSgprs: 4
; NumVgprs: 0
; NumAgprs: 0
; TotalNumVgprs: 0
; ScratchSize: 0
; MemoryBound: 0
; FloatMode: 240
; IeeeMode: 1
; LDSByteSize: 0 bytes/workgroup (compile time only)
; SGPRBlocks: 0
; VGPRBlocks: 0
; NumSGPRsForWavesPerEU: 4
; NumVGPRsForWavesPerEU: 1
; AccumOffset: 4
; Occupancy: 8
; WaveLimiterHint : 0
; COMPUTE_PGM_RSRC2:SCRATCH_EN: 0
; COMPUTE_PGM_RSRC2:USER_SGPR: 6
; COMPUTE_PGM_RSRC2:TRAP_HANDLER: 0
; COMPUTE_PGM_RSRC2:TGID_X_EN: 1
; COMPUTE_PGM_RSRC2:TGID_Y_EN: 0
; COMPUTE_PGM_RSRC2:TGID_Z_EN: 0
; COMPUTE_PGM_RSRC2:TIDIG_COMP_CNT: 0
; COMPUTE_PGM_RSRC3_GFX90A:ACCUM_OFFSET: 0
; COMPUTE_PGM_RSRC3_GFX90A:TG_SPLIT: 0
	.section	.text._ZN7rocprim17ROCPRIM_400000_NS6detail17trampoline_kernelINS0_14default_configENS1_27scan_by_key_config_selectorIiiEEZZNS1_16scan_by_key_implILNS1_25lookback_scan_determinismE0ELb0ES3_N6thrust23THRUST_200600_302600_NS10device_ptrIiEESB_SB_iNS9_4plusIvEENS9_8equal_toIvEEiEE10hipError_tPvRmT2_T3_T4_T5_mT6_T7_P12ihipStream_tbENKUlT_T0_E_clISt17integral_constantIbLb1EESV_IbLb0EEEEDaSR_SS_EUlSR_E_NS1_11comp_targetILNS1_3genE8ELNS1_11target_archE1030ELNS1_3gpuE2ELNS1_3repE0EEENS1_30default_config_static_selectorELNS0_4arch9wavefront6targetE1EEEvT1_,"axG",@progbits,_ZN7rocprim17ROCPRIM_400000_NS6detail17trampoline_kernelINS0_14default_configENS1_27scan_by_key_config_selectorIiiEEZZNS1_16scan_by_key_implILNS1_25lookback_scan_determinismE0ELb0ES3_N6thrust23THRUST_200600_302600_NS10device_ptrIiEESB_SB_iNS9_4plusIvEENS9_8equal_toIvEEiEE10hipError_tPvRmT2_T3_T4_T5_mT6_T7_P12ihipStream_tbENKUlT_T0_E_clISt17integral_constantIbLb1EESV_IbLb0EEEEDaSR_SS_EUlSR_E_NS1_11comp_targetILNS1_3genE8ELNS1_11target_archE1030ELNS1_3gpuE2ELNS1_3repE0EEENS1_30default_config_static_selectorELNS0_4arch9wavefront6targetE1EEEvT1_,comdat
	.protected	_ZN7rocprim17ROCPRIM_400000_NS6detail17trampoline_kernelINS0_14default_configENS1_27scan_by_key_config_selectorIiiEEZZNS1_16scan_by_key_implILNS1_25lookback_scan_determinismE0ELb0ES3_N6thrust23THRUST_200600_302600_NS10device_ptrIiEESB_SB_iNS9_4plusIvEENS9_8equal_toIvEEiEE10hipError_tPvRmT2_T3_T4_T5_mT6_T7_P12ihipStream_tbENKUlT_T0_E_clISt17integral_constantIbLb1EESV_IbLb0EEEEDaSR_SS_EUlSR_E_NS1_11comp_targetILNS1_3genE8ELNS1_11target_archE1030ELNS1_3gpuE2ELNS1_3repE0EEENS1_30default_config_static_selectorELNS0_4arch9wavefront6targetE1EEEvT1_ ; -- Begin function _ZN7rocprim17ROCPRIM_400000_NS6detail17trampoline_kernelINS0_14default_configENS1_27scan_by_key_config_selectorIiiEEZZNS1_16scan_by_key_implILNS1_25lookback_scan_determinismE0ELb0ES3_N6thrust23THRUST_200600_302600_NS10device_ptrIiEESB_SB_iNS9_4plusIvEENS9_8equal_toIvEEiEE10hipError_tPvRmT2_T3_T4_T5_mT6_T7_P12ihipStream_tbENKUlT_T0_E_clISt17integral_constantIbLb1EESV_IbLb0EEEEDaSR_SS_EUlSR_E_NS1_11comp_targetILNS1_3genE8ELNS1_11target_archE1030ELNS1_3gpuE2ELNS1_3repE0EEENS1_30default_config_static_selectorELNS0_4arch9wavefront6targetE1EEEvT1_
	.globl	_ZN7rocprim17ROCPRIM_400000_NS6detail17trampoline_kernelINS0_14default_configENS1_27scan_by_key_config_selectorIiiEEZZNS1_16scan_by_key_implILNS1_25lookback_scan_determinismE0ELb0ES3_N6thrust23THRUST_200600_302600_NS10device_ptrIiEESB_SB_iNS9_4plusIvEENS9_8equal_toIvEEiEE10hipError_tPvRmT2_T3_T4_T5_mT6_T7_P12ihipStream_tbENKUlT_T0_E_clISt17integral_constantIbLb1EESV_IbLb0EEEEDaSR_SS_EUlSR_E_NS1_11comp_targetILNS1_3genE8ELNS1_11target_archE1030ELNS1_3gpuE2ELNS1_3repE0EEENS1_30default_config_static_selectorELNS0_4arch9wavefront6targetE1EEEvT1_
	.p2align	8
	.type	_ZN7rocprim17ROCPRIM_400000_NS6detail17trampoline_kernelINS0_14default_configENS1_27scan_by_key_config_selectorIiiEEZZNS1_16scan_by_key_implILNS1_25lookback_scan_determinismE0ELb0ES3_N6thrust23THRUST_200600_302600_NS10device_ptrIiEESB_SB_iNS9_4plusIvEENS9_8equal_toIvEEiEE10hipError_tPvRmT2_T3_T4_T5_mT6_T7_P12ihipStream_tbENKUlT_T0_E_clISt17integral_constantIbLb1EESV_IbLb0EEEEDaSR_SS_EUlSR_E_NS1_11comp_targetILNS1_3genE8ELNS1_11target_archE1030ELNS1_3gpuE2ELNS1_3repE0EEENS1_30default_config_static_selectorELNS0_4arch9wavefront6targetE1EEEvT1_,@function
_ZN7rocprim17ROCPRIM_400000_NS6detail17trampoline_kernelINS0_14default_configENS1_27scan_by_key_config_selectorIiiEEZZNS1_16scan_by_key_implILNS1_25lookback_scan_determinismE0ELb0ES3_N6thrust23THRUST_200600_302600_NS10device_ptrIiEESB_SB_iNS9_4plusIvEENS9_8equal_toIvEEiEE10hipError_tPvRmT2_T3_T4_T5_mT6_T7_P12ihipStream_tbENKUlT_T0_E_clISt17integral_constantIbLb1EESV_IbLb0EEEEDaSR_SS_EUlSR_E_NS1_11comp_targetILNS1_3genE8ELNS1_11target_archE1030ELNS1_3gpuE2ELNS1_3repE0EEENS1_30default_config_static_selectorELNS0_4arch9wavefront6targetE1EEEvT1_: ; @_ZN7rocprim17ROCPRIM_400000_NS6detail17trampoline_kernelINS0_14default_configENS1_27scan_by_key_config_selectorIiiEEZZNS1_16scan_by_key_implILNS1_25lookback_scan_determinismE0ELb0ES3_N6thrust23THRUST_200600_302600_NS10device_ptrIiEESB_SB_iNS9_4plusIvEENS9_8equal_toIvEEiEE10hipError_tPvRmT2_T3_T4_T5_mT6_T7_P12ihipStream_tbENKUlT_T0_E_clISt17integral_constantIbLb1EESV_IbLb0EEEEDaSR_SS_EUlSR_E_NS1_11comp_targetILNS1_3genE8ELNS1_11target_archE1030ELNS1_3gpuE2ELNS1_3repE0EEENS1_30default_config_static_selectorELNS0_4arch9wavefront6targetE1EEEvT1_
; %bb.0:
	.section	.rodata,"a",@progbits
	.p2align	6, 0x0
	.amdhsa_kernel _ZN7rocprim17ROCPRIM_400000_NS6detail17trampoline_kernelINS0_14default_configENS1_27scan_by_key_config_selectorIiiEEZZNS1_16scan_by_key_implILNS1_25lookback_scan_determinismE0ELb0ES3_N6thrust23THRUST_200600_302600_NS10device_ptrIiEESB_SB_iNS9_4plusIvEENS9_8equal_toIvEEiEE10hipError_tPvRmT2_T3_T4_T5_mT6_T7_P12ihipStream_tbENKUlT_T0_E_clISt17integral_constantIbLb1EESV_IbLb0EEEEDaSR_SS_EUlSR_E_NS1_11comp_targetILNS1_3genE8ELNS1_11target_archE1030ELNS1_3gpuE2ELNS1_3repE0EEENS1_30default_config_static_selectorELNS0_4arch9wavefront6targetE1EEEvT1_
		.amdhsa_group_segment_fixed_size 0
		.amdhsa_private_segment_fixed_size 0
		.amdhsa_kernarg_size 112
		.amdhsa_user_sgpr_count 6
		.amdhsa_user_sgpr_private_segment_buffer 1
		.amdhsa_user_sgpr_dispatch_ptr 0
		.amdhsa_user_sgpr_queue_ptr 0
		.amdhsa_user_sgpr_kernarg_segment_ptr 1
		.amdhsa_user_sgpr_dispatch_id 0
		.amdhsa_user_sgpr_flat_scratch_init 0
		.amdhsa_user_sgpr_kernarg_preload_length 0
		.amdhsa_user_sgpr_kernarg_preload_offset 0
		.amdhsa_user_sgpr_private_segment_size 0
		.amdhsa_uses_dynamic_stack 0
		.amdhsa_system_sgpr_private_segment_wavefront_offset 0
		.amdhsa_system_sgpr_workgroup_id_x 1
		.amdhsa_system_sgpr_workgroup_id_y 0
		.amdhsa_system_sgpr_workgroup_id_z 0
		.amdhsa_system_sgpr_workgroup_info 0
		.amdhsa_system_vgpr_workitem_id 0
		.amdhsa_next_free_vgpr 1
		.amdhsa_next_free_sgpr 0
		.amdhsa_accum_offset 4
		.amdhsa_reserve_vcc 0
		.amdhsa_reserve_flat_scratch 0
		.amdhsa_float_round_mode_32 0
		.amdhsa_float_round_mode_16_64 0
		.amdhsa_float_denorm_mode_32 3
		.amdhsa_float_denorm_mode_16_64 3
		.amdhsa_dx10_clamp 1
		.amdhsa_ieee_mode 1
		.amdhsa_fp16_overflow 0
		.amdhsa_tg_split 0
		.amdhsa_exception_fp_ieee_invalid_op 0
		.amdhsa_exception_fp_denorm_src 0
		.amdhsa_exception_fp_ieee_div_zero 0
		.amdhsa_exception_fp_ieee_overflow 0
		.amdhsa_exception_fp_ieee_underflow 0
		.amdhsa_exception_fp_ieee_inexact 0
		.amdhsa_exception_int_div_zero 0
	.end_amdhsa_kernel
	.section	.text._ZN7rocprim17ROCPRIM_400000_NS6detail17trampoline_kernelINS0_14default_configENS1_27scan_by_key_config_selectorIiiEEZZNS1_16scan_by_key_implILNS1_25lookback_scan_determinismE0ELb0ES3_N6thrust23THRUST_200600_302600_NS10device_ptrIiEESB_SB_iNS9_4plusIvEENS9_8equal_toIvEEiEE10hipError_tPvRmT2_T3_T4_T5_mT6_T7_P12ihipStream_tbENKUlT_T0_E_clISt17integral_constantIbLb1EESV_IbLb0EEEEDaSR_SS_EUlSR_E_NS1_11comp_targetILNS1_3genE8ELNS1_11target_archE1030ELNS1_3gpuE2ELNS1_3repE0EEENS1_30default_config_static_selectorELNS0_4arch9wavefront6targetE1EEEvT1_,"axG",@progbits,_ZN7rocprim17ROCPRIM_400000_NS6detail17trampoline_kernelINS0_14default_configENS1_27scan_by_key_config_selectorIiiEEZZNS1_16scan_by_key_implILNS1_25lookback_scan_determinismE0ELb0ES3_N6thrust23THRUST_200600_302600_NS10device_ptrIiEESB_SB_iNS9_4plusIvEENS9_8equal_toIvEEiEE10hipError_tPvRmT2_T3_T4_T5_mT6_T7_P12ihipStream_tbENKUlT_T0_E_clISt17integral_constantIbLb1EESV_IbLb0EEEEDaSR_SS_EUlSR_E_NS1_11comp_targetILNS1_3genE8ELNS1_11target_archE1030ELNS1_3gpuE2ELNS1_3repE0EEENS1_30default_config_static_selectorELNS0_4arch9wavefront6targetE1EEEvT1_,comdat
.Lfunc_end2222:
	.size	_ZN7rocprim17ROCPRIM_400000_NS6detail17trampoline_kernelINS0_14default_configENS1_27scan_by_key_config_selectorIiiEEZZNS1_16scan_by_key_implILNS1_25lookback_scan_determinismE0ELb0ES3_N6thrust23THRUST_200600_302600_NS10device_ptrIiEESB_SB_iNS9_4plusIvEENS9_8equal_toIvEEiEE10hipError_tPvRmT2_T3_T4_T5_mT6_T7_P12ihipStream_tbENKUlT_T0_E_clISt17integral_constantIbLb1EESV_IbLb0EEEEDaSR_SS_EUlSR_E_NS1_11comp_targetILNS1_3genE8ELNS1_11target_archE1030ELNS1_3gpuE2ELNS1_3repE0EEENS1_30default_config_static_selectorELNS0_4arch9wavefront6targetE1EEEvT1_, .Lfunc_end2222-_ZN7rocprim17ROCPRIM_400000_NS6detail17trampoline_kernelINS0_14default_configENS1_27scan_by_key_config_selectorIiiEEZZNS1_16scan_by_key_implILNS1_25lookback_scan_determinismE0ELb0ES3_N6thrust23THRUST_200600_302600_NS10device_ptrIiEESB_SB_iNS9_4plusIvEENS9_8equal_toIvEEiEE10hipError_tPvRmT2_T3_T4_T5_mT6_T7_P12ihipStream_tbENKUlT_T0_E_clISt17integral_constantIbLb1EESV_IbLb0EEEEDaSR_SS_EUlSR_E_NS1_11comp_targetILNS1_3genE8ELNS1_11target_archE1030ELNS1_3gpuE2ELNS1_3repE0EEENS1_30default_config_static_selectorELNS0_4arch9wavefront6targetE1EEEvT1_
                                        ; -- End function
	.section	.AMDGPU.csdata,"",@progbits
; Kernel info:
; codeLenInByte = 0
; NumSgprs: 4
; NumVgprs: 0
; NumAgprs: 0
; TotalNumVgprs: 0
; ScratchSize: 0
; MemoryBound: 0
; FloatMode: 240
; IeeeMode: 1
; LDSByteSize: 0 bytes/workgroup (compile time only)
; SGPRBlocks: 0
; VGPRBlocks: 0
; NumSGPRsForWavesPerEU: 4
; NumVGPRsForWavesPerEU: 1
; AccumOffset: 4
; Occupancy: 8
; WaveLimiterHint : 0
; COMPUTE_PGM_RSRC2:SCRATCH_EN: 0
; COMPUTE_PGM_RSRC2:USER_SGPR: 6
; COMPUTE_PGM_RSRC2:TRAP_HANDLER: 0
; COMPUTE_PGM_RSRC2:TGID_X_EN: 1
; COMPUTE_PGM_RSRC2:TGID_Y_EN: 0
; COMPUTE_PGM_RSRC2:TGID_Z_EN: 0
; COMPUTE_PGM_RSRC2:TIDIG_COMP_CNT: 0
; COMPUTE_PGM_RSRC3_GFX90A:ACCUM_OFFSET: 0
; COMPUTE_PGM_RSRC3_GFX90A:TG_SPLIT: 0
	.section	.text._ZN7rocprim17ROCPRIM_400000_NS6detail30init_device_scan_by_key_kernelINS1_19lookback_scan_stateINS0_5tupleIJibEEELb0ELb1EEEN6thrust23THRUST_200600_302600_NS10device_ptrIiEEjNS1_16block_id_wrapperIjLb1EEEEEvT_jjPNSD_10value_typeET0_PNSt15iterator_traitsISG_E10value_typeEmT1_T2_,"axG",@progbits,_ZN7rocprim17ROCPRIM_400000_NS6detail30init_device_scan_by_key_kernelINS1_19lookback_scan_stateINS0_5tupleIJibEEELb0ELb1EEEN6thrust23THRUST_200600_302600_NS10device_ptrIiEEjNS1_16block_id_wrapperIjLb1EEEEEvT_jjPNSD_10value_typeET0_PNSt15iterator_traitsISG_E10value_typeEmT1_T2_,comdat
	.protected	_ZN7rocprim17ROCPRIM_400000_NS6detail30init_device_scan_by_key_kernelINS1_19lookback_scan_stateINS0_5tupleIJibEEELb0ELb1EEEN6thrust23THRUST_200600_302600_NS10device_ptrIiEEjNS1_16block_id_wrapperIjLb1EEEEEvT_jjPNSD_10value_typeET0_PNSt15iterator_traitsISG_E10value_typeEmT1_T2_ ; -- Begin function _ZN7rocprim17ROCPRIM_400000_NS6detail30init_device_scan_by_key_kernelINS1_19lookback_scan_stateINS0_5tupleIJibEEELb0ELb1EEEN6thrust23THRUST_200600_302600_NS10device_ptrIiEEjNS1_16block_id_wrapperIjLb1EEEEEvT_jjPNSD_10value_typeET0_PNSt15iterator_traitsISG_E10value_typeEmT1_T2_
	.globl	_ZN7rocprim17ROCPRIM_400000_NS6detail30init_device_scan_by_key_kernelINS1_19lookback_scan_stateINS0_5tupleIJibEEELb0ELb1EEEN6thrust23THRUST_200600_302600_NS10device_ptrIiEEjNS1_16block_id_wrapperIjLb1EEEEEvT_jjPNSD_10value_typeET0_PNSt15iterator_traitsISG_E10value_typeEmT1_T2_
	.p2align	8
	.type	_ZN7rocprim17ROCPRIM_400000_NS6detail30init_device_scan_by_key_kernelINS1_19lookback_scan_stateINS0_5tupleIJibEEELb0ELb1EEEN6thrust23THRUST_200600_302600_NS10device_ptrIiEEjNS1_16block_id_wrapperIjLb1EEEEEvT_jjPNSD_10value_typeET0_PNSt15iterator_traitsISG_E10value_typeEmT1_T2_,@function
_ZN7rocprim17ROCPRIM_400000_NS6detail30init_device_scan_by_key_kernelINS1_19lookback_scan_stateINS0_5tupleIJibEEELb0ELb1EEEN6thrust23THRUST_200600_302600_NS10device_ptrIiEEjNS1_16block_id_wrapperIjLb1EEEEEvT_jjPNSD_10value_typeET0_PNSt15iterator_traitsISG_E10value_typeEmT1_T2_: ; @_ZN7rocprim17ROCPRIM_400000_NS6detail30init_device_scan_by_key_kernelINS1_19lookback_scan_stateINS0_5tupleIJibEEELb0ELb1EEEN6thrust23THRUST_200600_302600_NS10device_ptrIiEEjNS1_16block_id_wrapperIjLb1EEEEEvT_jjPNSD_10value_typeET0_PNSt15iterator_traitsISG_E10value_typeEmT1_T2_
; %bb.0:
	s_load_dword s0, s[4:5], 0x4c
	s_load_dwordx8 s[8:15], s[4:5], 0x0
	s_load_dword s18, s[4:5], 0x40
	s_waitcnt lgkmcnt(0)
	s_and_b32 s19, s0, 0xffff
	s_mul_i32 s6, s6, s19
	s_cmp_eq_u64 s[12:13], 0
	v_add_u32_e32 v4, s6, v0
	s_cbranch_scc1 .LBB2223_8
; %bb.1:
	s_cmp_lt_u32 s11, s10
	s_cselect_b32 s0, s11, 0
	s_mov_b32 s3, 0
	v_cmp_eq_u32_e32 vcc, s0, v4
	s_and_saveexec_b64 s[0:1], vcc
	s_cbranch_execz .LBB2223_7
; %bb.2:
	s_add_i32 s2, s11, 64
	s_lshl_b64 s[2:3], s[2:3], 4
	s_add_u32 s16, s8, s2
	s_addc_u32 s17, s9, s3
	v_pk_mov_b32 v[0:1], s[16:17], s[16:17] op_sel:[0,1]
	;;#ASMSTART
	global_load_dwordx4 v[0:3], v[0:1] off glc	
s_waitcnt vmcnt(0)
	;;#ASMEND
	v_mov_b32_e32 v7, 0
	v_and_b32_e32 v6, 0xff, v2
	s_mov_b64 s[6:7], 0
	v_cmp_eq_u64_e32 vcc, 0, v[6:7]
	s_and_saveexec_b64 s[2:3], vcc
	s_cbranch_execz .LBB2223_6
; %bb.3:
	v_pk_mov_b32 v[8:9], s[16:17], s[16:17] op_sel:[0,1]
.LBB2223_4:                             ; =>This Inner Loop Header: Depth=1
	;;#ASMSTART
	global_load_dwordx4 v[0:3], v[8:9] off glc	
s_waitcnt vmcnt(0)
	;;#ASMEND
	v_and_b32_e32 v6, 0xff, v2
	v_cmp_ne_u64_e32 vcc, 0, v[6:7]
	s_or_b64 s[6:7], vcc, s[6:7]
	s_andn2_b64 exec, exec, s[6:7]
	s_cbranch_execnz .LBB2223_4
; %bb.5:
	s_or_b64 exec, exec, s[6:7]
.LBB2223_6:
	s_or_b64 exec, exec, s[2:3]
	v_mov_b32_e32 v2, 0
	global_store_dword v2, v0, s[12:13]
	global_store_byte v2, v1, s[12:13] offset:4
.LBB2223_7:
	s_or_b64 exec, exec, s[0:1]
.LBB2223_8:
	v_cmp_eq_u32_e32 vcc, 0, v4
	s_and_saveexec_b64 s[0:1], vcc
	s_cbranch_execz .LBB2223_10
; %bb.9:
	s_load_dwordx2 s[2:3], s[4:5], 0x38
	v_mov_b32_e32 v0, 0
	s_waitcnt lgkmcnt(0)
	global_store_dword v0, v0, s[2:3]
.LBB2223_10:
	s_or_b64 exec, exec, s[0:1]
	v_cmp_gt_u32_e32 vcc, s10, v4
	s_and_saveexec_b64 s[0:1], vcc
	s_cbranch_execz .LBB2223_12
; %bb.11:
	v_add_u32_e32 v0, 64, v4
	v_mov_b32_e32 v1, 0
	v_lshlrev_b64 v[2:3], 4, v[0:1]
	v_mov_b32_e32 v0, s9
	v_add_co_u32_e32 v6, vcc, s8, v2
	v_addc_co_u32_e32 v7, vcc, v0, v3, vcc
	v_mov_b32_e32 v0, v1
	v_mov_b32_e32 v2, v1
	;; [unrolled: 1-line block ×3, first 2 shown]
	global_store_dwordx4 v[6:7], v[0:3], off
.LBB2223_12:
	s_or_b64 exec, exec, s[0:1]
	v_cmp_gt_u32_e32 vcc, 64, v4
	v_mov_b32_e32 v5, 0
	s_and_saveexec_b64 s[0:1], vcc
	s_cbranch_execz .LBB2223_14
; %bb.13:
	v_lshlrev_b64 v[0:1], 4, v[4:5]
	v_mov_b32_e32 v2, s9
	v_add_co_u32_e32 v6, vcc, s8, v0
	v_addc_co_u32_e32 v7, vcc, v2, v1, vcc
	v_mov_b32_e32 v2, 0xff
	v_mov_b32_e32 v0, v5
	;; [unrolled: 1-line block ×4, first 2 shown]
	global_store_dwordx4 v[6:7], v[0:3], off
.LBB2223_14:
	s_or_b64 exec, exec, s[0:1]
	s_load_dwordx2 s[0:1], s[4:5], 0x28
	s_waitcnt lgkmcnt(0)
	v_cmp_gt_u64_e32 vcc, s[0:1], v[4:5]
	s_and_saveexec_b64 s[2:3], vcc
	s_cbranch_execz .LBB2223_17
; %bb.15:
	s_load_dword s10, s[4:5], 0x30
	s_load_dwordx2 s[6:7], s[4:5], 0x20
	s_mov_b32 s5, 0
	s_mov_b32 s3, s5
	s_mul_i32 s2, s18, s19
	s_waitcnt lgkmcnt(0)
	s_add_i32 s4, s10, -1
	s_lshl_b64 s[4:5], s[4:5], 2
	v_mad_u64_u32 v[0:1], s[8:9], s10, v4, 0
	s_add_u32 s4, s14, s4
	v_lshlrev_b64 v[0:1], 2, v[0:1]
	s_addc_u32 s5, s15, s5
	v_mov_b32_e32 v2, s5
	v_add_co_u32_e32 v0, vcc, s4, v0
	v_addc_co_u32_e32 v1, vcc, v2, v1, vcc
	s_mul_hi_u32 s5, s10, s2
	s_mul_i32 s4, s10, s2
	v_lshlrev_b64 v[2:3], 2, v[4:5]
	s_lshl_b64 s[4:5], s[4:5], 2
	v_mov_b32_e32 v6, s7
	v_add_co_u32_e32 v2, vcc, s6, v2
	s_lshl_b64 s[6:7], s[2:3], 2
	v_addc_co_u32_e32 v3, vcc, v6, v3, vcc
	s_mov_b64 s[8:9], 0
	v_mov_b32_e32 v6, s3
	v_mov_b32_e32 v7, s5
	;; [unrolled: 1-line block ×3, first 2 shown]
.LBB2223_16:                            ; =>This Inner Loop Header: Depth=1
	global_load_dword v9, v[0:1], off
	v_add_co_u32_e32 v4, vcc, s2, v4
	v_addc_co_u32_e32 v5, vcc, v5, v6, vcc
	v_add_co_u32_e32 v0, vcc, s4, v0
	v_addc_co_u32_e32 v1, vcc, v1, v7, vcc
	v_cmp_le_u64_e32 vcc, s[0:1], v[4:5]
	s_or_b64 s[8:9], vcc, s[8:9]
	s_waitcnt vmcnt(0)
	global_store_dword v[2:3], v9, off
	v_add_co_u32_e32 v2, vcc, s6, v2
	v_addc_co_u32_e32 v3, vcc, v3, v8, vcc
	s_andn2_b64 exec, exec, s[8:9]
	s_cbranch_execnz .LBB2223_16
.LBB2223_17:
	s_endpgm
	.section	.rodata,"a",@progbits
	.p2align	6, 0x0
	.amdhsa_kernel _ZN7rocprim17ROCPRIM_400000_NS6detail30init_device_scan_by_key_kernelINS1_19lookback_scan_stateINS0_5tupleIJibEEELb0ELb1EEEN6thrust23THRUST_200600_302600_NS10device_ptrIiEEjNS1_16block_id_wrapperIjLb1EEEEEvT_jjPNSD_10value_typeET0_PNSt15iterator_traitsISG_E10value_typeEmT1_T2_
		.amdhsa_group_segment_fixed_size 0
		.amdhsa_private_segment_fixed_size 0
		.amdhsa_kernarg_size 320
		.amdhsa_user_sgpr_count 6
		.amdhsa_user_sgpr_private_segment_buffer 1
		.amdhsa_user_sgpr_dispatch_ptr 0
		.amdhsa_user_sgpr_queue_ptr 0
		.amdhsa_user_sgpr_kernarg_segment_ptr 1
		.amdhsa_user_sgpr_dispatch_id 0
		.amdhsa_user_sgpr_flat_scratch_init 0
		.amdhsa_user_sgpr_kernarg_preload_length 0
		.amdhsa_user_sgpr_kernarg_preload_offset 0
		.amdhsa_user_sgpr_private_segment_size 0
		.amdhsa_uses_dynamic_stack 0
		.amdhsa_system_sgpr_private_segment_wavefront_offset 0
		.amdhsa_system_sgpr_workgroup_id_x 1
		.amdhsa_system_sgpr_workgroup_id_y 0
		.amdhsa_system_sgpr_workgroup_id_z 0
		.amdhsa_system_sgpr_workgroup_info 0
		.amdhsa_system_vgpr_workitem_id 0
		.amdhsa_next_free_vgpr 10
		.amdhsa_next_free_sgpr 20
		.amdhsa_accum_offset 12
		.amdhsa_reserve_vcc 1
		.amdhsa_reserve_flat_scratch 0
		.amdhsa_float_round_mode_32 0
		.amdhsa_float_round_mode_16_64 0
		.amdhsa_float_denorm_mode_32 3
		.amdhsa_float_denorm_mode_16_64 3
		.amdhsa_dx10_clamp 1
		.amdhsa_ieee_mode 1
		.amdhsa_fp16_overflow 0
		.amdhsa_tg_split 0
		.amdhsa_exception_fp_ieee_invalid_op 0
		.amdhsa_exception_fp_denorm_src 0
		.amdhsa_exception_fp_ieee_div_zero 0
		.amdhsa_exception_fp_ieee_overflow 0
		.amdhsa_exception_fp_ieee_underflow 0
		.amdhsa_exception_fp_ieee_inexact 0
		.amdhsa_exception_int_div_zero 0
	.end_amdhsa_kernel
	.section	.text._ZN7rocprim17ROCPRIM_400000_NS6detail30init_device_scan_by_key_kernelINS1_19lookback_scan_stateINS0_5tupleIJibEEELb0ELb1EEEN6thrust23THRUST_200600_302600_NS10device_ptrIiEEjNS1_16block_id_wrapperIjLb1EEEEEvT_jjPNSD_10value_typeET0_PNSt15iterator_traitsISG_E10value_typeEmT1_T2_,"axG",@progbits,_ZN7rocprim17ROCPRIM_400000_NS6detail30init_device_scan_by_key_kernelINS1_19lookback_scan_stateINS0_5tupleIJibEEELb0ELb1EEEN6thrust23THRUST_200600_302600_NS10device_ptrIiEEjNS1_16block_id_wrapperIjLb1EEEEEvT_jjPNSD_10value_typeET0_PNSt15iterator_traitsISG_E10value_typeEmT1_T2_,comdat
.Lfunc_end2223:
	.size	_ZN7rocprim17ROCPRIM_400000_NS6detail30init_device_scan_by_key_kernelINS1_19lookback_scan_stateINS0_5tupleIJibEEELb0ELb1EEEN6thrust23THRUST_200600_302600_NS10device_ptrIiEEjNS1_16block_id_wrapperIjLb1EEEEEvT_jjPNSD_10value_typeET0_PNSt15iterator_traitsISG_E10value_typeEmT1_T2_, .Lfunc_end2223-_ZN7rocprim17ROCPRIM_400000_NS6detail30init_device_scan_by_key_kernelINS1_19lookback_scan_stateINS0_5tupleIJibEEELb0ELb1EEEN6thrust23THRUST_200600_302600_NS10device_ptrIiEEjNS1_16block_id_wrapperIjLb1EEEEEvT_jjPNSD_10value_typeET0_PNSt15iterator_traitsISG_E10value_typeEmT1_T2_
                                        ; -- End function
	.section	.AMDGPU.csdata,"",@progbits
; Kernel info:
; codeLenInByte = 612
; NumSgprs: 24
; NumVgprs: 10
; NumAgprs: 0
; TotalNumVgprs: 10
; ScratchSize: 0
; MemoryBound: 0
; FloatMode: 240
; IeeeMode: 1
; LDSByteSize: 0 bytes/workgroup (compile time only)
; SGPRBlocks: 2
; VGPRBlocks: 1
; NumSGPRsForWavesPerEU: 24
; NumVGPRsForWavesPerEU: 10
; AccumOffset: 12
; Occupancy: 8
; WaveLimiterHint : 0
; COMPUTE_PGM_RSRC2:SCRATCH_EN: 0
; COMPUTE_PGM_RSRC2:USER_SGPR: 6
; COMPUTE_PGM_RSRC2:TRAP_HANDLER: 0
; COMPUTE_PGM_RSRC2:TGID_X_EN: 1
; COMPUTE_PGM_RSRC2:TGID_Y_EN: 0
; COMPUTE_PGM_RSRC2:TGID_Z_EN: 0
; COMPUTE_PGM_RSRC2:TIDIG_COMP_CNT: 0
; COMPUTE_PGM_RSRC3_GFX90A:ACCUM_OFFSET: 2
; COMPUTE_PGM_RSRC3_GFX90A:TG_SPLIT: 0
	.section	.text._ZN7rocprim17ROCPRIM_400000_NS6detail17trampoline_kernelINS0_14default_configENS1_27scan_by_key_config_selectorIiiEEZZNS1_16scan_by_key_implILNS1_25lookback_scan_determinismE0ELb0ES3_N6thrust23THRUST_200600_302600_NS10device_ptrIiEESB_SB_iNS9_4plusIvEENS9_8equal_toIvEEiEE10hipError_tPvRmT2_T3_T4_T5_mT6_T7_P12ihipStream_tbENKUlT_T0_E_clISt17integral_constantIbLb0EESV_IbLb1EEEEDaSR_SS_EUlSR_E_NS1_11comp_targetILNS1_3genE0ELNS1_11target_archE4294967295ELNS1_3gpuE0ELNS1_3repE0EEENS1_30default_config_static_selectorELNS0_4arch9wavefront6targetE1EEEvT1_,"axG",@progbits,_ZN7rocprim17ROCPRIM_400000_NS6detail17trampoline_kernelINS0_14default_configENS1_27scan_by_key_config_selectorIiiEEZZNS1_16scan_by_key_implILNS1_25lookback_scan_determinismE0ELb0ES3_N6thrust23THRUST_200600_302600_NS10device_ptrIiEESB_SB_iNS9_4plusIvEENS9_8equal_toIvEEiEE10hipError_tPvRmT2_T3_T4_T5_mT6_T7_P12ihipStream_tbENKUlT_T0_E_clISt17integral_constantIbLb0EESV_IbLb1EEEEDaSR_SS_EUlSR_E_NS1_11comp_targetILNS1_3genE0ELNS1_11target_archE4294967295ELNS1_3gpuE0ELNS1_3repE0EEENS1_30default_config_static_selectorELNS0_4arch9wavefront6targetE1EEEvT1_,comdat
	.protected	_ZN7rocprim17ROCPRIM_400000_NS6detail17trampoline_kernelINS0_14default_configENS1_27scan_by_key_config_selectorIiiEEZZNS1_16scan_by_key_implILNS1_25lookback_scan_determinismE0ELb0ES3_N6thrust23THRUST_200600_302600_NS10device_ptrIiEESB_SB_iNS9_4plusIvEENS9_8equal_toIvEEiEE10hipError_tPvRmT2_T3_T4_T5_mT6_T7_P12ihipStream_tbENKUlT_T0_E_clISt17integral_constantIbLb0EESV_IbLb1EEEEDaSR_SS_EUlSR_E_NS1_11comp_targetILNS1_3genE0ELNS1_11target_archE4294967295ELNS1_3gpuE0ELNS1_3repE0EEENS1_30default_config_static_selectorELNS0_4arch9wavefront6targetE1EEEvT1_ ; -- Begin function _ZN7rocprim17ROCPRIM_400000_NS6detail17trampoline_kernelINS0_14default_configENS1_27scan_by_key_config_selectorIiiEEZZNS1_16scan_by_key_implILNS1_25lookback_scan_determinismE0ELb0ES3_N6thrust23THRUST_200600_302600_NS10device_ptrIiEESB_SB_iNS9_4plusIvEENS9_8equal_toIvEEiEE10hipError_tPvRmT2_T3_T4_T5_mT6_T7_P12ihipStream_tbENKUlT_T0_E_clISt17integral_constantIbLb0EESV_IbLb1EEEEDaSR_SS_EUlSR_E_NS1_11comp_targetILNS1_3genE0ELNS1_11target_archE4294967295ELNS1_3gpuE0ELNS1_3repE0EEENS1_30default_config_static_selectorELNS0_4arch9wavefront6targetE1EEEvT1_
	.globl	_ZN7rocprim17ROCPRIM_400000_NS6detail17trampoline_kernelINS0_14default_configENS1_27scan_by_key_config_selectorIiiEEZZNS1_16scan_by_key_implILNS1_25lookback_scan_determinismE0ELb0ES3_N6thrust23THRUST_200600_302600_NS10device_ptrIiEESB_SB_iNS9_4plusIvEENS9_8equal_toIvEEiEE10hipError_tPvRmT2_T3_T4_T5_mT6_T7_P12ihipStream_tbENKUlT_T0_E_clISt17integral_constantIbLb0EESV_IbLb1EEEEDaSR_SS_EUlSR_E_NS1_11comp_targetILNS1_3genE0ELNS1_11target_archE4294967295ELNS1_3gpuE0ELNS1_3repE0EEENS1_30default_config_static_selectorELNS0_4arch9wavefront6targetE1EEEvT1_
	.p2align	8
	.type	_ZN7rocprim17ROCPRIM_400000_NS6detail17trampoline_kernelINS0_14default_configENS1_27scan_by_key_config_selectorIiiEEZZNS1_16scan_by_key_implILNS1_25lookback_scan_determinismE0ELb0ES3_N6thrust23THRUST_200600_302600_NS10device_ptrIiEESB_SB_iNS9_4plusIvEENS9_8equal_toIvEEiEE10hipError_tPvRmT2_T3_T4_T5_mT6_T7_P12ihipStream_tbENKUlT_T0_E_clISt17integral_constantIbLb0EESV_IbLb1EEEEDaSR_SS_EUlSR_E_NS1_11comp_targetILNS1_3genE0ELNS1_11target_archE4294967295ELNS1_3gpuE0ELNS1_3repE0EEENS1_30default_config_static_selectorELNS0_4arch9wavefront6targetE1EEEvT1_,@function
_ZN7rocprim17ROCPRIM_400000_NS6detail17trampoline_kernelINS0_14default_configENS1_27scan_by_key_config_selectorIiiEEZZNS1_16scan_by_key_implILNS1_25lookback_scan_determinismE0ELb0ES3_N6thrust23THRUST_200600_302600_NS10device_ptrIiEESB_SB_iNS9_4plusIvEENS9_8equal_toIvEEiEE10hipError_tPvRmT2_T3_T4_T5_mT6_T7_P12ihipStream_tbENKUlT_T0_E_clISt17integral_constantIbLb0EESV_IbLb1EEEEDaSR_SS_EUlSR_E_NS1_11comp_targetILNS1_3genE0ELNS1_11target_archE4294967295ELNS1_3gpuE0ELNS1_3repE0EEENS1_30default_config_static_selectorELNS0_4arch9wavefront6targetE1EEEvT1_: ; @_ZN7rocprim17ROCPRIM_400000_NS6detail17trampoline_kernelINS0_14default_configENS1_27scan_by_key_config_selectorIiiEEZZNS1_16scan_by_key_implILNS1_25lookback_scan_determinismE0ELb0ES3_N6thrust23THRUST_200600_302600_NS10device_ptrIiEESB_SB_iNS9_4plusIvEENS9_8equal_toIvEEiEE10hipError_tPvRmT2_T3_T4_T5_mT6_T7_P12ihipStream_tbENKUlT_T0_E_clISt17integral_constantIbLb0EESV_IbLb1EEEEDaSR_SS_EUlSR_E_NS1_11comp_targetILNS1_3genE0ELNS1_11target_archE4294967295ELNS1_3gpuE0ELNS1_3repE0EEENS1_30default_config_static_selectorELNS0_4arch9wavefront6targetE1EEEvT1_
; %bb.0:
	.section	.rodata,"a",@progbits
	.p2align	6, 0x0
	.amdhsa_kernel _ZN7rocprim17ROCPRIM_400000_NS6detail17trampoline_kernelINS0_14default_configENS1_27scan_by_key_config_selectorIiiEEZZNS1_16scan_by_key_implILNS1_25lookback_scan_determinismE0ELb0ES3_N6thrust23THRUST_200600_302600_NS10device_ptrIiEESB_SB_iNS9_4plusIvEENS9_8equal_toIvEEiEE10hipError_tPvRmT2_T3_T4_T5_mT6_T7_P12ihipStream_tbENKUlT_T0_E_clISt17integral_constantIbLb0EESV_IbLb1EEEEDaSR_SS_EUlSR_E_NS1_11comp_targetILNS1_3genE0ELNS1_11target_archE4294967295ELNS1_3gpuE0ELNS1_3repE0EEENS1_30default_config_static_selectorELNS0_4arch9wavefront6targetE1EEEvT1_
		.amdhsa_group_segment_fixed_size 0
		.amdhsa_private_segment_fixed_size 0
		.amdhsa_kernarg_size 112
		.amdhsa_user_sgpr_count 6
		.amdhsa_user_sgpr_private_segment_buffer 1
		.amdhsa_user_sgpr_dispatch_ptr 0
		.amdhsa_user_sgpr_queue_ptr 0
		.amdhsa_user_sgpr_kernarg_segment_ptr 1
		.amdhsa_user_sgpr_dispatch_id 0
		.amdhsa_user_sgpr_flat_scratch_init 0
		.amdhsa_user_sgpr_kernarg_preload_length 0
		.amdhsa_user_sgpr_kernarg_preload_offset 0
		.amdhsa_user_sgpr_private_segment_size 0
		.amdhsa_uses_dynamic_stack 0
		.amdhsa_system_sgpr_private_segment_wavefront_offset 0
		.amdhsa_system_sgpr_workgroup_id_x 1
		.amdhsa_system_sgpr_workgroup_id_y 0
		.amdhsa_system_sgpr_workgroup_id_z 0
		.amdhsa_system_sgpr_workgroup_info 0
		.amdhsa_system_vgpr_workitem_id 0
		.amdhsa_next_free_vgpr 1
		.amdhsa_next_free_sgpr 0
		.amdhsa_accum_offset 4
		.amdhsa_reserve_vcc 0
		.amdhsa_reserve_flat_scratch 0
		.amdhsa_float_round_mode_32 0
		.amdhsa_float_round_mode_16_64 0
		.amdhsa_float_denorm_mode_32 3
		.amdhsa_float_denorm_mode_16_64 3
		.amdhsa_dx10_clamp 1
		.amdhsa_ieee_mode 1
		.amdhsa_fp16_overflow 0
		.amdhsa_tg_split 0
		.amdhsa_exception_fp_ieee_invalid_op 0
		.amdhsa_exception_fp_denorm_src 0
		.amdhsa_exception_fp_ieee_div_zero 0
		.amdhsa_exception_fp_ieee_overflow 0
		.amdhsa_exception_fp_ieee_underflow 0
		.amdhsa_exception_fp_ieee_inexact 0
		.amdhsa_exception_int_div_zero 0
	.end_amdhsa_kernel
	.section	.text._ZN7rocprim17ROCPRIM_400000_NS6detail17trampoline_kernelINS0_14default_configENS1_27scan_by_key_config_selectorIiiEEZZNS1_16scan_by_key_implILNS1_25lookback_scan_determinismE0ELb0ES3_N6thrust23THRUST_200600_302600_NS10device_ptrIiEESB_SB_iNS9_4plusIvEENS9_8equal_toIvEEiEE10hipError_tPvRmT2_T3_T4_T5_mT6_T7_P12ihipStream_tbENKUlT_T0_E_clISt17integral_constantIbLb0EESV_IbLb1EEEEDaSR_SS_EUlSR_E_NS1_11comp_targetILNS1_3genE0ELNS1_11target_archE4294967295ELNS1_3gpuE0ELNS1_3repE0EEENS1_30default_config_static_selectorELNS0_4arch9wavefront6targetE1EEEvT1_,"axG",@progbits,_ZN7rocprim17ROCPRIM_400000_NS6detail17trampoline_kernelINS0_14default_configENS1_27scan_by_key_config_selectorIiiEEZZNS1_16scan_by_key_implILNS1_25lookback_scan_determinismE0ELb0ES3_N6thrust23THRUST_200600_302600_NS10device_ptrIiEESB_SB_iNS9_4plusIvEENS9_8equal_toIvEEiEE10hipError_tPvRmT2_T3_T4_T5_mT6_T7_P12ihipStream_tbENKUlT_T0_E_clISt17integral_constantIbLb0EESV_IbLb1EEEEDaSR_SS_EUlSR_E_NS1_11comp_targetILNS1_3genE0ELNS1_11target_archE4294967295ELNS1_3gpuE0ELNS1_3repE0EEENS1_30default_config_static_selectorELNS0_4arch9wavefront6targetE1EEEvT1_,comdat
.Lfunc_end2224:
	.size	_ZN7rocprim17ROCPRIM_400000_NS6detail17trampoline_kernelINS0_14default_configENS1_27scan_by_key_config_selectorIiiEEZZNS1_16scan_by_key_implILNS1_25lookback_scan_determinismE0ELb0ES3_N6thrust23THRUST_200600_302600_NS10device_ptrIiEESB_SB_iNS9_4plusIvEENS9_8equal_toIvEEiEE10hipError_tPvRmT2_T3_T4_T5_mT6_T7_P12ihipStream_tbENKUlT_T0_E_clISt17integral_constantIbLb0EESV_IbLb1EEEEDaSR_SS_EUlSR_E_NS1_11comp_targetILNS1_3genE0ELNS1_11target_archE4294967295ELNS1_3gpuE0ELNS1_3repE0EEENS1_30default_config_static_selectorELNS0_4arch9wavefront6targetE1EEEvT1_, .Lfunc_end2224-_ZN7rocprim17ROCPRIM_400000_NS6detail17trampoline_kernelINS0_14default_configENS1_27scan_by_key_config_selectorIiiEEZZNS1_16scan_by_key_implILNS1_25lookback_scan_determinismE0ELb0ES3_N6thrust23THRUST_200600_302600_NS10device_ptrIiEESB_SB_iNS9_4plusIvEENS9_8equal_toIvEEiEE10hipError_tPvRmT2_T3_T4_T5_mT6_T7_P12ihipStream_tbENKUlT_T0_E_clISt17integral_constantIbLb0EESV_IbLb1EEEEDaSR_SS_EUlSR_E_NS1_11comp_targetILNS1_3genE0ELNS1_11target_archE4294967295ELNS1_3gpuE0ELNS1_3repE0EEENS1_30default_config_static_selectorELNS0_4arch9wavefront6targetE1EEEvT1_
                                        ; -- End function
	.section	.AMDGPU.csdata,"",@progbits
; Kernel info:
; codeLenInByte = 0
; NumSgprs: 4
; NumVgprs: 0
; NumAgprs: 0
; TotalNumVgprs: 0
; ScratchSize: 0
; MemoryBound: 0
; FloatMode: 240
; IeeeMode: 1
; LDSByteSize: 0 bytes/workgroup (compile time only)
; SGPRBlocks: 0
; VGPRBlocks: 0
; NumSGPRsForWavesPerEU: 4
; NumVGPRsForWavesPerEU: 1
; AccumOffset: 4
; Occupancy: 8
; WaveLimiterHint : 0
; COMPUTE_PGM_RSRC2:SCRATCH_EN: 0
; COMPUTE_PGM_RSRC2:USER_SGPR: 6
; COMPUTE_PGM_RSRC2:TRAP_HANDLER: 0
; COMPUTE_PGM_RSRC2:TGID_X_EN: 1
; COMPUTE_PGM_RSRC2:TGID_Y_EN: 0
; COMPUTE_PGM_RSRC2:TGID_Z_EN: 0
; COMPUTE_PGM_RSRC2:TIDIG_COMP_CNT: 0
; COMPUTE_PGM_RSRC3_GFX90A:ACCUM_OFFSET: 0
; COMPUTE_PGM_RSRC3_GFX90A:TG_SPLIT: 0
	.section	.text._ZN7rocprim17ROCPRIM_400000_NS6detail17trampoline_kernelINS0_14default_configENS1_27scan_by_key_config_selectorIiiEEZZNS1_16scan_by_key_implILNS1_25lookback_scan_determinismE0ELb0ES3_N6thrust23THRUST_200600_302600_NS10device_ptrIiEESB_SB_iNS9_4plusIvEENS9_8equal_toIvEEiEE10hipError_tPvRmT2_T3_T4_T5_mT6_T7_P12ihipStream_tbENKUlT_T0_E_clISt17integral_constantIbLb0EESV_IbLb1EEEEDaSR_SS_EUlSR_E_NS1_11comp_targetILNS1_3genE10ELNS1_11target_archE1201ELNS1_3gpuE5ELNS1_3repE0EEENS1_30default_config_static_selectorELNS0_4arch9wavefront6targetE1EEEvT1_,"axG",@progbits,_ZN7rocprim17ROCPRIM_400000_NS6detail17trampoline_kernelINS0_14default_configENS1_27scan_by_key_config_selectorIiiEEZZNS1_16scan_by_key_implILNS1_25lookback_scan_determinismE0ELb0ES3_N6thrust23THRUST_200600_302600_NS10device_ptrIiEESB_SB_iNS9_4plusIvEENS9_8equal_toIvEEiEE10hipError_tPvRmT2_T3_T4_T5_mT6_T7_P12ihipStream_tbENKUlT_T0_E_clISt17integral_constantIbLb0EESV_IbLb1EEEEDaSR_SS_EUlSR_E_NS1_11comp_targetILNS1_3genE10ELNS1_11target_archE1201ELNS1_3gpuE5ELNS1_3repE0EEENS1_30default_config_static_selectorELNS0_4arch9wavefront6targetE1EEEvT1_,comdat
	.protected	_ZN7rocprim17ROCPRIM_400000_NS6detail17trampoline_kernelINS0_14default_configENS1_27scan_by_key_config_selectorIiiEEZZNS1_16scan_by_key_implILNS1_25lookback_scan_determinismE0ELb0ES3_N6thrust23THRUST_200600_302600_NS10device_ptrIiEESB_SB_iNS9_4plusIvEENS9_8equal_toIvEEiEE10hipError_tPvRmT2_T3_T4_T5_mT6_T7_P12ihipStream_tbENKUlT_T0_E_clISt17integral_constantIbLb0EESV_IbLb1EEEEDaSR_SS_EUlSR_E_NS1_11comp_targetILNS1_3genE10ELNS1_11target_archE1201ELNS1_3gpuE5ELNS1_3repE0EEENS1_30default_config_static_selectorELNS0_4arch9wavefront6targetE1EEEvT1_ ; -- Begin function _ZN7rocprim17ROCPRIM_400000_NS6detail17trampoline_kernelINS0_14default_configENS1_27scan_by_key_config_selectorIiiEEZZNS1_16scan_by_key_implILNS1_25lookback_scan_determinismE0ELb0ES3_N6thrust23THRUST_200600_302600_NS10device_ptrIiEESB_SB_iNS9_4plusIvEENS9_8equal_toIvEEiEE10hipError_tPvRmT2_T3_T4_T5_mT6_T7_P12ihipStream_tbENKUlT_T0_E_clISt17integral_constantIbLb0EESV_IbLb1EEEEDaSR_SS_EUlSR_E_NS1_11comp_targetILNS1_3genE10ELNS1_11target_archE1201ELNS1_3gpuE5ELNS1_3repE0EEENS1_30default_config_static_selectorELNS0_4arch9wavefront6targetE1EEEvT1_
	.globl	_ZN7rocprim17ROCPRIM_400000_NS6detail17trampoline_kernelINS0_14default_configENS1_27scan_by_key_config_selectorIiiEEZZNS1_16scan_by_key_implILNS1_25lookback_scan_determinismE0ELb0ES3_N6thrust23THRUST_200600_302600_NS10device_ptrIiEESB_SB_iNS9_4plusIvEENS9_8equal_toIvEEiEE10hipError_tPvRmT2_T3_T4_T5_mT6_T7_P12ihipStream_tbENKUlT_T0_E_clISt17integral_constantIbLb0EESV_IbLb1EEEEDaSR_SS_EUlSR_E_NS1_11comp_targetILNS1_3genE10ELNS1_11target_archE1201ELNS1_3gpuE5ELNS1_3repE0EEENS1_30default_config_static_selectorELNS0_4arch9wavefront6targetE1EEEvT1_
	.p2align	8
	.type	_ZN7rocprim17ROCPRIM_400000_NS6detail17trampoline_kernelINS0_14default_configENS1_27scan_by_key_config_selectorIiiEEZZNS1_16scan_by_key_implILNS1_25lookback_scan_determinismE0ELb0ES3_N6thrust23THRUST_200600_302600_NS10device_ptrIiEESB_SB_iNS9_4plusIvEENS9_8equal_toIvEEiEE10hipError_tPvRmT2_T3_T4_T5_mT6_T7_P12ihipStream_tbENKUlT_T0_E_clISt17integral_constantIbLb0EESV_IbLb1EEEEDaSR_SS_EUlSR_E_NS1_11comp_targetILNS1_3genE10ELNS1_11target_archE1201ELNS1_3gpuE5ELNS1_3repE0EEENS1_30default_config_static_selectorELNS0_4arch9wavefront6targetE1EEEvT1_,@function
_ZN7rocprim17ROCPRIM_400000_NS6detail17trampoline_kernelINS0_14default_configENS1_27scan_by_key_config_selectorIiiEEZZNS1_16scan_by_key_implILNS1_25lookback_scan_determinismE0ELb0ES3_N6thrust23THRUST_200600_302600_NS10device_ptrIiEESB_SB_iNS9_4plusIvEENS9_8equal_toIvEEiEE10hipError_tPvRmT2_T3_T4_T5_mT6_T7_P12ihipStream_tbENKUlT_T0_E_clISt17integral_constantIbLb0EESV_IbLb1EEEEDaSR_SS_EUlSR_E_NS1_11comp_targetILNS1_3genE10ELNS1_11target_archE1201ELNS1_3gpuE5ELNS1_3repE0EEENS1_30default_config_static_selectorELNS0_4arch9wavefront6targetE1EEEvT1_: ; @_ZN7rocprim17ROCPRIM_400000_NS6detail17trampoline_kernelINS0_14default_configENS1_27scan_by_key_config_selectorIiiEEZZNS1_16scan_by_key_implILNS1_25lookback_scan_determinismE0ELb0ES3_N6thrust23THRUST_200600_302600_NS10device_ptrIiEESB_SB_iNS9_4plusIvEENS9_8equal_toIvEEiEE10hipError_tPvRmT2_T3_T4_T5_mT6_T7_P12ihipStream_tbENKUlT_T0_E_clISt17integral_constantIbLb0EESV_IbLb1EEEEDaSR_SS_EUlSR_E_NS1_11comp_targetILNS1_3genE10ELNS1_11target_archE1201ELNS1_3gpuE5ELNS1_3repE0EEENS1_30default_config_static_selectorELNS0_4arch9wavefront6targetE1EEEvT1_
; %bb.0:
	.section	.rodata,"a",@progbits
	.p2align	6, 0x0
	.amdhsa_kernel _ZN7rocprim17ROCPRIM_400000_NS6detail17trampoline_kernelINS0_14default_configENS1_27scan_by_key_config_selectorIiiEEZZNS1_16scan_by_key_implILNS1_25lookback_scan_determinismE0ELb0ES3_N6thrust23THRUST_200600_302600_NS10device_ptrIiEESB_SB_iNS9_4plusIvEENS9_8equal_toIvEEiEE10hipError_tPvRmT2_T3_T4_T5_mT6_T7_P12ihipStream_tbENKUlT_T0_E_clISt17integral_constantIbLb0EESV_IbLb1EEEEDaSR_SS_EUlSR_E_NS1_11comp_targetILNS1_3genE10ELNS1_11target_archE1201ELNS1_3gpuE5ELNS1_3repE0EEENS1_30default_config_static_selectorELNS0_4arch9wavefront6targetE1EEEvT1_
		.amdhsa_group_segment_fixed_size 0
		.amdhsa_private_segment_fixed_size 0
		.amdhsa_kernarg_size 112
		.amdhsa_user_sgpr_count 6
		.amdhsa_user_sgpr_private_segment_buffer 1
		.amdhsa_user_sgpr_dispatch_ptr 0
		.amdhsa_user_sgpr_queue_ptr 0
		.amdhsa_user_sgpr_kernarg_segment_ptr 1
		.amdhsa_user_sgpr_dispatch_id 0
		.amdhsa_user_sgpr_flat_scratch_init 0
		.amdhsa_user_sgpr_kernarg_preload_length 0
		.amdhsa_user_sgpr_kernarg_preload_offset 0
		.amdhsa_user_sgpr_private_segment_size 0
		.amdhsa_uses_dynamic_stack 0
		.amdhsa_system_sgpr_private_segment_wavefront_offset 0
		.amdhsa_system_sgpr_workgroup_id_x 1
		.amdhsa_system_sgpr_workgroup_id_y 0
		.amdhsa_system_sgpr_workgroup_id_z 0
		.amdhsa_system_sgpr_workgroup_info 0
		.amdhsa_system_vgpr_workitem_id 0
		.amdhsa_next_free_vgpr 1
		.amdhsa_next_free_sgpr 0
		.amdhsa_accum_offset 4
		.amdhsa_reserve_vcc 0
		.amdhsa_reserve_flat_scratch 0
		.amdhsa_float_round_mode_32 0
		.amdhsa_float_round_mode_16_64 0
		.amdhsa_float_denorm_mode_32 3
		.amdhsa_float_denorm_mode_16_64 3
		.amdhsa_dx10_clamp 1
		.amdhsa_ieee_mode 1
		.amdhsa_fp16_overflow 0
		.amdhsa_tg_split 0
		.amdhsa_exception_fp_ieee_invalid_op 0
		.amdhsa_exception_fp_denorm_src 0
		.amdhsa_exception_fp_ieee_div_zero 0
		.amdhsa_exception_fp_ieee_overflow 0
		.amdhsa_exception_fp_ieee_underflow 0
		.amdhsa_exception_fp_ieee_inexact 0
		.amdhsa_exception_int_div_zero 0
	.end_amdhsa_kernel
	.section	.text._ZN7rocprim17ROCPRIM_400000_NS6detail17trampoline_kernelINS0_14default_configENS1_27scan_by_key_config_selectorIiiEEZZNS1_16scan_by_key_implILNS1_25lookback_scan_determinismE0ELb0ES3_N6thrust23THRUST_200600_302600_NS10device_ptrIiEESB_SB_iNS9_4plusIvEENS9_8equal_toIvEEiEE10hipError_tPvRmT2_T3_T4_T5_mT6_T7_P12ihipStream_tbENKUlT_T0_E_clISt17integral_constantIbLb0EESV_IbLb1EEEEDaSR_SS_EUlSR_E_NS1_11comp_targetILNS1_3genE10ELNS1_11target_archE1201ELNS1_3gpuE5ELNS1_3repE0EEENS1_30default_config_static_selectorELNS0_4arch9wavefront6targetE1EEEvT1_,"axG",@progbits,_ZN7rocprim17ROCPRIM_400000_NS6detail17trampoline_kernelINS0_14default_configENS1_27scan_by_key_config_selectorIiiEEZZNS1_16scan_by_key_implILNS1_25lookback_scan_determinismE0ELb0ES3_N6thrust23THRUST_200600_302600_NS10device_ptrIiEESB_SB_iNS9_4plusIvEENS9_8equal_toIvEEiEE10hipError_tPvRmT2_T3_T4_T5_mT6_T7_P12ihipStream_tbENKUlT_T0_E_clISt17integral_constantIbLb0EESV_IbLb1EEEEDaSR_SS_EUlSR_E_NS1_11comp_targetILNS1_3genE10ELNS1_11target_archE1201ELNS1_3gpuE5ELNS1_3repE0EEENS1_30default_config_static_selectorELNS0_4arch9wavefront6targetE1EEEvT1_,comdat
.Lfunc_end2225:
	.size	_ZN7rocprim17ROCPRIM_400000_NS6detail17trampoline_kernelINS0_14default_configENS1_27scan_by_key_config_selectorIiiEEZZNS1_16scan_by_key_implILNS1_25lookback_scan_determinismE0ELb0ES3_N6thrust23THRUST_200600_302600_NS10device_ptrIiEESB_SB_iNS9_4plusIvEENS9_8equal_toIvEEiEE10hipError_tPvRmT2_T3_T4_T5_mT6_T7_P12ihipStream_tbENKUlT_T0_E_clISt17integral_constantIbLb0EESV_IbLb1EEEEDaSR_SS_EUlSR_E_NS1_11comp_targetILNS1_3genE10ELNS1_11target_archE1201ELNS1_3gpuE5ELNS1_3repE0EEENS1_30default_config_static_selectorELNS0_4arch9wavefront6targetE1EEEvT1_, .Lfunc_end2225-_ZN7rocprim17ROCPRIM_400000_NS6detail17trampoline_kernelINS0_14default_configENS1_27scan_by_key_config_selectorIiiEEZZNS1_16scan_by_key_implILNS1_25lookback_scan_determinismE0ELb0ES3_N6thrust23THRUST_200600_302600_NS10device_ptrIiEESB_SB_iNS9_4plusIvEENS9_8equal_toIvEEiEE10hipError_tPvRmT2_T3_T4_T5_mT6_T7_P12ihipStream_tbENKUlT_T0_E_clISt17integral_constantIbLb0EESV_IbLb1EEEEDaSR_SS_EUlSR_E_NS1_11comp_targetILNS1_3genE10ELNS1_11target_archE1201ELNS1_3gpuE5ELNS1_3repE0EEENS1_30default_config_static_selectorELNS0_4arch9wavefront6targetE1EEEvT1_
                                        ; -- End function
	.section	.AMDGPU.csdata,"",@progbits
; Kernel info:
; codeLenInByte = 0
; NumSgprs: 4
; NumVgprs: 0
; NumAgprs: 0
; TotalNumVgprs: 0
; ScratchSize: 0
; MemoryBound: 0
; FloatMode: 240
; IeeeMode: 1
; LDSByteSize: 0 bytes/workgroup (compile time only)
; SGPRBlocks: 0
; VGPRBlocks: 0
; NumSGPRsForWavesPerEU: 4
; NumVGPRsForWavesPerEU: 1
; AccumOffset: 4
; Occupancy: 8
; WaveLimiterHint : 0
; COMPUTE_PGM_RSRC2:SCRATCH_EN: 0
; COMPUTE_PGM_RSRC2:USER_SGPR: 6
; COMPUTE_PGM_RSRC2:TRAP_HANDLER: 0
; COMPUTE_PGM_RSRC2:TGID_X_EN: 1
; COMPUTE_PGM_RSRC2:TGID_Y_EN: 0
; COMPUTE_PGM_RSRC2:TGID_Z_EN: 0
; COMPUTE_PGM_RSRC2:TIDIG_COMP_CNT: 0
; COMPUTE_PGM_RSRC3_GFX90A:ACCUM_OFFSET: 0
; COMPUTE_PGM_RSRC3_GFX90A:TG_SPLIT: 0
	.section	.text._ZN7rocprim17ROCPRIM_400000_NS6detail17trampoline_kernelINS0_14default_configENS1_27scan_by_key_config_selectorIiiEEZZNS1_16scan_by_key_implILNS1_25lookback_scan_determinismE0ELb0ES3_N6thrust23THRUST_200600_302600_NS10device_ptrIiEESB_SB_iNS9_4plusIvEENS9_8equal_toIvEEiEE10hipError_tPvRmT2_T3_T4_T5_mT6_T7_P12ihipStream_tbENKUlT_T0_E_clISt17integral_constantIbLb0EESV_IbLb1EEEEDaSR_SS_EUlSR_E_NS1_11comp_targetILNS1_3genE5ELNS1_11target_archE942ELNS1_3gpuE9ELNS1_3repE0EEENS1_30default_config_static_selectorELNS0_4arch9wavefront6targetE1EEEvT1_,"axG",@progbits,_ZN7rocprim17ROCPRIM_400000_NS6detail17trampoline_kernelINS0_14default_configENS1_27scan_by_key_config_selectorIiiEEZZNS1_16scan_by_key_implILNS1_25lookback_scan_determinismE0ELb0ES3_N6thrust23THRUST_200600_302600_NS10device_ptrIiEESB_SB_iNS9_4plusIvEENS9_8equal_toIvEEiEE10hipError_tPvRmT2_T3_T4_T5_mT6_T7_P12ihipStream_tbENKUlT_T0_E_clISt17integral_constantIbLb0EESV_IbLb1EEEEDaSR_SS_EUlSR_E_NS1_11comp_targetILNS1_3genE5ELNS1_11target_archE942ELNS1_3gpuE9ELNS1_3repE0EEENS1_30default_config_static_selectorELNS0_4arch9wavefront6targetE1EEEvT1_,comdat
	.protected	_ZN7rocprim17ROCPRIM_400000_NS6detail17trampoline_kernelINS0_14default_configENS1_27scan_by_key_config_selectorIiiEEZZNS1_16scan_by_key_implILNS1_25lookback_scan_determinismE0ELb0ES3_N6thrust23THRUST_200600_302600_NS10device_ptrIiEESB_SB_iNS9_4plusIvEENS9_8equal_toIvEEiEE10hipError_tPvRmT2_T3_T4_T5_mT6_T7_P12ihipStream_tbENKUlT_T0_E_clISt17integral_constantIbLb0EESV_IbLb1EEEEDaSR_SS_EUlSR_E_NS1_11comp_targetILNS1_3genE5ELNS1_11target_archE942ELNS1_3gpuE9ELNS1_3repE0EEENS1_30default_config_static_selectorELNS0_4arch9wavefront6targetE1EEEvT1_ ; -- Begin function _ZN7rocprim17ROCPRIM_400000_NS6detail17trampoline_kernelINS0_14default_configENS1_27scan_by_key_config_selectorIiiEEZZNS1_16scan_by_key_implILNS1_25lookback_scan_determinismE0ELb0ES3_N6thrust23THRUST_200600_302600_NS10device_ptrIiEESB_SB_iNS9_4plusIvEENS9_8equal_toIvEEiEE10hipError_tPvRmT2_T3_T4_T5_mT6_T7_P12ihipStream_tbENKUlT_T0_E_clISt17integral_constantIbLb0EESV_IbLb1EEEEDaSR_SS_EUlSR_E_NS1_11comp_targetILNS1_3genE5ELNS1_11target_archE942ELNS1_3gpuE9ELNS1_3repE0EEENS1_30default_config_static_selectorELNS0_4arch9wavefront6targetE1EEEvT1_
	.globl	_ZN7rocprim17ROCPRIM_400000_NS6detail17trampoline_kernelINS0_14default_configENS1_27scan_by_key_config_selectorIiiEEZZNS1_16scan_by_key_implILNS1_25lookback_scan_determinismE0ELb0ES3_N6thrust23THRUST_200600_302600_NS10device_ptrIiEESB_SB_iNS9_4plusIvEENS9_8equal_toIvEEiEE10hipError_tPvRmT2_T3_T4_T5_mT6_T7_P12ihipStream_tbENKUlT_T0_E_clISt17integral_constantIbLb0EESV_IbLb1EEEEDaSR_SS_EUlSR_E_NS1_11comp_targetILNS1_3genE5ELNS1_11target_archE942ELNS1_3gpuE9ELNS1_3repE0EEENS1_30default_config_static_selectorELNS0_4arch9wavefront6targetE1EEEvT1_
	.p2align	8
	.type	_ZN7rocprim17ROCPRIM_400000_NS6detail17trampoline_kernelINS0_14default_configENS1_27scan_by_key_config_selectorIiiEEZZNS1_16scan_by_key_implILNS1_25lookback_scan_determinismE0ELb0ES3_N6thrust23THRUST_200600_302600_NS10device_ptrIiEESB_SB_iNS9_4plusIvEENS9_8equal_toIvEEiEE10hipError_tPvRmT2_T3_T4_T5_mT6_T7_P12ihipStream_tbENKUlT_T0_E_clISt17integral_constantIbLb0EESV_IbLb1EEEEDaSR_SS_EUlSR_E_NS1_11comp_targetILNS1_3genE5ELNS1_11target_archE942ELNS1_3gpuE9ELNS1_3repE0EEENS1_30default_config_static_selectorELNS0_4arch9wavefront6targetE1EEEvT1_,@function
_ZN7rocprim17ROCPRIM_400000_NS6detail17trampoline_kernelINS0_14default_configENS1_27scan_by_key_config_selectorIiiEEZZNS1_16scan_by_key_implILNS1_25lookback_scan_determinismE0ELb0ES3_N6thrust23THRUST_200600_302600_NS10device_ptrIiEESB_SB_iNS9_4plusIvEENS9_8equal_toIvEEiEE10hipError_tPvRmT2_T3_T4_T5_mT6_T7_P12ihipStream_tbENKUlT_T0_E_clISt17integral_constantIbLb0EESV_IbLb1EEEEDaSR_SS_EUlSR_E_NS1_11comp_targetILNS1_3genE5ELNS1_11target_archE942ELNS1_3gpuE9ELNS1_3repE0EEENS1_30default_config_static_selectorELNS0_4arch9wavefront6targetE1EEEvT1_: ; @_ZN7rocprim17ROCPRIM_400000_NS6detail17trampoline_kernelINS0_14default_configENS1_27scan_by_key_config_selectorIiiEEZZNS1_16scan_by_key_implILNS1_25lookback_scan_determinismE0ELb0ES3_N6thrust23THRUST_200600_302600_NS10device_ptrIiEESB_SB_iNS9_4plusIvEENS9_8equal_toIvEEiEE10hipError_tPvRmT2_T3_T4_T5_mT6_T7_P12ihipStream_tbENKUlT_T0_E_clISt17integral_constantIbLb0EESV_IbLb1EEEEDaSR_SS_EUlSR_E_NS1_11comp_targetILNS1_3genE5ELNS1_11target_archE942ELNS1_3gpuE9ELNS1_3repE0EEENS1_30default_config_static_selectorELNS0_4arch9wavefront6targetE1EEEvT1_
; %bb.0:
	.section	.rodata,"a",@progbits
	.p2align	6, 0x0
	.amdhsa_kernel _ZN7rocprim17ROCPRIM_400000_NS6detail17trampoline_kernelINS0_14default_configENS1_27scan_by_key_config_selectorIiiEEZZNS1_16scan_by_key_implILNS1_25lookback_scan_determinismE0ELb0ES3_N6thrust23THRUST_200600_302600_NS10device_ptrIiEESB_SB_iNS9_4plusIvEENS9_8equal_toIvEEiEE10hipError_tPvRmT2_T3_T4_T5_mT6_T7_P12ihipStream_tbENKUlT_T0_E_clISt17integral_constantIbLb0EESV_IbLb1EEEEDaSR_SS_EUlSR_E_NS1_11comp_targetILNS1_3genE5ELNS1_11target_archE942ELNS1_3gpuE9ELNS1_3repE0EEENS1_30default_config_static_selectorELNS0_4arch9wavefront6targetE1EEEvT1_
		.amdhsa_group_segment_fixed_size 0
		.amdhsa_private_segment_fixed_size 0
		.amdhsa_kernarg_size 112
		.amdhsa_user_sgpr_count 6
		.amdhsa_user_sgpr_private_segment_buffer 1
		.amdhsa_user_sgpr_dispatch_ptr 0
		.amdhsa_user_sgpr_queue_ptr 0
		.amdhsa_user_sgpr_kernarg_segment_ptr 1
		.amdhsa_user_sgpr_dispatch_id 0
		.amdhsa_user_sgpr_flat_scratch_init 0
		.amdhsa_user_sgpr_kernarg_preload_length 0
		.amdhsa_user_sgpr_kernarg_preload_offset 0
		.amdhsa_user_sgpr_private_segment_size 0
		.amdhsa_uses_dynamic_stack 0
		.amdhsa_system_sgpr_private_segment_wavefront_offset 0
		.amdhsa_system_sgpr_workgroup_id_x 1
		.amdhsa_system_sgpr_workgroup_id_y 0
		.amdhsa_system_sgpr_workgroup_id_z 0
		.amdhsa_system_sgpr_workgroup_info 0
		.amdhsa_system_vgpr_workitem_id 0
		.amdhsa_next_free_vgpr 1
		.amdhsa_next_free_sgpr 0
		.amdhsa_accum_offset 4
		.amdhsa_reserve_vcc 0
		.amdhsa_reserve_flat_scratch 0
		.amdhsa_float_round_mode_32 0
		.amdhsa_float_round_mode_16_64 0
		.amdhsa_float_denorm_mode_32 3
		.amdhsa_float_denorm_mode_16_64 3
		.amdhsa_dx10_clamp 1
		.amdhsa_ieee_mode 1
		.amdhsa_fp16_overflow 0
		.amdhsa_tg_split 0
		.amdhsa_exception_fp_ieee_invalid_op 0
		.amdhsa_exception_fp_denorm_src 0
		.amdhsa_exception_fp_ieee_div_zero 0
		.amdhsa_exception_fp_ieee_overflow 0
		.amdhsa_exception_fp_ieee_underflow 0
		.amdhsa_exception_fp_ieee_inexact 0
		.amdhsa_exception_int_div_zero 0
	.end_amdhsa_kernel
	.section	.text._ZN7rocprim17ROCPRIM_400000_NS6detail17trampoline_kernelINS0_14default_configENS1_27scan_by_key_config_selectorIiiEEZZNS1_16scan_by_key_implILNS1_25lookback_scan_determinismE0ELb0ES3_N6thrust23THRUST_200600_302600_NS10device_ptrIiEESB_SB_iNS9_4plusIvEENS9_8equal_toIvEEiEE10hipError_tPvRmT2_T3_T4_T5_mT6_T7_P12ihipStream_tbENKUlT_T0_E_clISt17integral_constantIbLb0EESV_IbLb1EEEEDaSR_SS_EUlSR_E_NS1_11comp_targetILNS1_3genE5ELNS1_11target_archE942ELNS1_3gpuE9ELNS1_3repE0EEENS1_30default_config_static_selectorELNS0_4arch9wavefront6targetE1EEEvT1_,"axG",@progbits,_ZN7rocprim17ROCPRIM_400000_NS6detail17trampoline_kernelINS0_14default_configENS1_27scan_by_key_config_selectorIiiEEZZNS1_16scan_by_key_implILNS1_25lookback_scan_determinismE0ELb0ES3_N6thrust23THRUST_200600_302600_NS10device_ptrIiEESB_SB_iNS9_4plusIvEENS9_8equal_toIvEEiEE10hipError_tPvRmT2_T3_T4_T5_mT6_T7_P12ihipStream_tbENKUlT_T0_E_clISt17integral_constantIbLb0EESV_IbLb1EEEEDaSR_SS_EUlSR_E_NS1_11comp_targetILNS1_3genE5ELNS1_11target_archE942ELNS1_3gpuE9ELNS1_3repE0EEENS1_30default_config_static_selectorELNS0_4arch9wavefront6targetE1EEEvT1_,comdat
.Lfunc_end2226:
	.size	_ZN7rocprim17ROCPRIM_400000_NS6detail17trampoline_kernelINS0_14default_configENS1_27scan_by_key_config_selectorIiiEEZZNS1_16scan_by_key_implILNS1_25lookback_scan_determinismE0ELb0ES3_N6thrust23THRUST_200600_302600_NS10device_ptrIiEESB_SB_iNS9_4plusIvEENS9_8equal_toIvEEiEE10hipError_tPvRmT2_T3_T4_T5_mT6_T7_P12ihipStream_tbENKUlT_T0_E_clISt17integral_constantIbLb0EESV_IbLb1EEEEDaSR_SS_EUlSR_E_NS1_11comp_targetILNS1_3genE5ELNS1_11target_archE942ELNS1_3gpuE9ELNS1_3repE0EEENS1_30default_config_static_selectorELNS0_4arch9wavefront6targetE1EEEvT1_, .Lfunc_end2226-_ZN7rocprim17ROCPRIM_400000_NS6detail17trampoline_kernelINS0_14default_configENS1_27scan_by_key_config_selectorIiiEEZZNS1_16scan_by_key_implILNS1_25lookback_scan_determinismE0ELb0ES3_N6thrust23THRUST_200600_302600_NS10device_ptrIiEESB_SB_iNS9_4plusIvEENS9_8equal_toIvEEiEE10hipError_tPvRmT2_T3_T4_T5_mT6_T7_P12ihipStream_tbENKUlT_T0_E_clISt17integral_constantIbLb0EESV_IbLb1EEEEDaSR_SS_EUlSR_E_NS1_11comp_targetILNS1_3genE5ELNS1_11target_archE942ELNS1_3gpuE9ELNS1_3repE0EEENS1_30default_config_static_selectorELNS0_4arch9wavefront6targetE1EEEvT1_
                                        ; -- End function
	.section	.AMDGPU.csdata,"",@progbits
; Kernel info:
; codeLenInByte = 0
; NumSgprs: 4
; NumVgprs: 0
; NumAgprs: 0
; TotalNumVgprs: 0
; ScratchSize: 0
; MemoryBound: 0
; FloatMode: 240
; IeeeMode: 1
; LDSByteSize: 0 bytes/workgroup (compile time only)
; SGPRBlocks: 0
; VGPRBlocks: 0
; NumSGPRsForWavesPerEU: 4
; NumVGPRsForWavesPerEU: 1
; AccumOffset: 4
; Occupancy: 8
; WaveLimiterHint : 0
; COMPUTE_PGM_RSRC2:SCRATCH_EN: 0
; COMPUTE_PGM_RSRC2:USER_SGPR: 6
; COMPUTE_PGM_RSRC2:TRAP_HANDLER: 0
; COMPUTE_PGM_RSRC2:TGID_X_EN: 1
; COMPUTE_PGM_RSRC2:TGID_Y_EN: 0
; COMPUTE_PGM_RSRC2:TGID_Z_EN: 0
; COMPUTE_PGM_RSRC2:TIDIG_COMP_CNT: 0
; COMPUTE_PGM_RSRC3_GFX90A:ACCUM_OFFSET: 0
; COMPUTE_PGM_RSRC3_GFX90A:TG_SPLIT: 0
	.section	.text._ZN7rocprim17ROCPRIM_400000_NS6detail17trampoline_kernelINS0_14default_configENS1_27scan_by_key_config_selectorIiiEEZZNS1_16scan_by_key_implILNS1_25lookback_scan_determinismE0ELb0ES3_N6thrust23THRUST_200600_302600_NS10device_ptrIiEESB_SB_iNS9_4plusIvEENS9_8equal_toIvEEiEE10hipError_tPvRmT2_T3_T4_T5_mT6_T7_P12ihipStream_tbENKUlT_T0_E_clISt17integral_constantIbLb0EESV_IbLb1EEEEDaSR_SS_EUlSR_E_NS1_11comp_targetILNS1_3genE4ELNS1_11target_archE910ELNS1_3gpuE8ELNS1_3repE0EEENS1_30default_config_static_selectorELNS0_4arch9wavefront6targetE1EEEvT1_,"axG",@progbits,_ZN7rocprim17ROCPRIM_400000_NS6detail17trampoline_kernelINS0_14default_configENS1_27scan_by_key_config_selectorIiiEEZZNS1_16scan_by_key_implILNS1_25lookback_scan_determinismE0ELb0ES3_N6thrust23THRUST_200600_302600_NS10device_ptrIiEESB_SB_iNS9_4plusIvEENS9_8equal_toIvEEiEE10hipError_tPvRmT2_T3_T4_T5_mT6_T7_P12ihipStream_tbENKUlT_T0_E_clISt17integral_constantIbLb0EESV_IbLb1EEEEDaSR_SS_EUlSR_E_NS1_11comp_targetILNS1_3genE4ELNS1_11target_archE910ELNS1_3gpuE8ELNS1_3repE0EEENS1_30default_config_static_selectorELNS0_4arch9wavefront6targetE1EEEvT1_,comdat
	.protected	_ZN7rocprim17ROCPRIM_400000_NS6detail17trampoline_kernelINS0_14default_configENS1_27scan_by_key_config_selectorIiiEEZZNS1_16scan_by_key_implILNS1_25lookback_scan_determinismE0ELb0ES3_N6thrust23THRUST_200600_302600_NS10device_ptrIiEESB_SB_iNS9_4plusIvEENS9_8equal_toIvEEiEE10hipError_tPvRmT2_T3_T4_T5_mT6_T7_P12ihipStream_tbENKUlT_T0_E_clISt17integral_constantIbLb0EESV_IbLb1EEEEDaSR_SS_EUlSR_E_NS1_11comp_targetILNS1_3genE4ELNS1_11target_archE910ELNS1_3gpuE8ELNS1_3repE0EEENS1_30default_config_static_selectorELNS0_4arch9wavefront6targetE1EEEvT1_ ; -- Begin function _ZN7rocprim17ROCPRIM_400000_NS6detail17trampoline_kernelINS0_14default_configENS1_27scan_by_key_config_selectorIiiEEZZNS1_16scan_by_key_implILNS1_25lookback_scan_determinismE0ELb0ES3_N6thrust23THRUST_200600_302600_NS10device_ptrIiEESB_SB_iNS9_4plusIvEENS9_8equal_toIvEEiEE10hipError_tPvRmT2_T3_T4_T5_mT6_T7_P12ihipStream_tbENKUlT_T0_E_clISt17integral_constantIbLb0EESV_IbLb1EEEEDaSR_SS_EUlSR_E_NS1_11comp_targetILNS1_3genE4ELNS1_11target_archE910ELNS1_3gpuE8ELNS1_3repE0EEENS1_30default_config_static_selectorELNS0_4arch9wavefront6targetE1EEEvT1_
	.globl	_ZN7rocprim17ROCPRIM_400000_NS6detail17trampoline_kernelINS0_14default_configENS1_27scan_by_key_config_selectorIiiEEZZNS1_16scan_by_key_implILNS1_25lookback_scan_determinismE0ELb0ES3_N6thrust23THRUST_200600_302600_NS10device_ptrIiEESB_SB_iNS9_4plusIvEENS9_8equal_toIvEEiEE10hipError_tPvRmT2_T3_T4_T5_mT6_T7_P12ihipStream_tbENKUlT_T0_E_clISt17integral_constantIbLb0EESV_IbLb1EEEEDaSR_SS_EUlSR_E_NS1_11comp_targetILNS1_3genE4ELNS1_11target_archE910ELNS1_3gpuE8ELNS1_3repE0EEENS1_30default_config_static_selectorELNS0_4arch9wavefront6targetE1EEEvT1_
	.p2align	8
	.type	_ZN7rocprim17ROCPRIM_400000_NS6detail17trampoline_kernelINS0_14default_configENS1_27scan_by_key_config_selectorIiiEEZZNS1_16scan_by_key_implILNS1_25lookback_scan_determinismE0ELb0ES3_N6thrust23THRUST_200600_302600_NS10device_ptrIiEESB_SB_iNS9_4plusIvEENS9_8equal_toIvEEiEE10hipError_tPvRmT2_T3_T4_T5_mT6_T7_P12ihipStream_tbENKUlT_T0_E_clISt17integral_constantIbLb0EESV_IbLb1EEEEDaSR_SS_EUlSR_E_NS1_11comp_targetILNS1_3genE4ELNS1_11target_archE910ELNS1_3gpuE8ELNS1_3repE0EEENS1_30default_config_static_selectorELNS0_4arch9wavefront6targetE1EEEvT1_,@function
_ZN7rocprim17ROCPRIM_400000_NS6detail17trampoline_kernelINS0_14default_configENS1_27scan_by_key_config_selectorIiiEEZZNS1_16scan_by_key_implILNS1_25lookback_scan_determinismE0ELb0ES3_N6thrust23THRUST_200600_302600_NS10device_ptrIiEESB_SB_iNS9_4plusIvEENS9_8equal_toIvEEiEE10hipError_tPvRmT2_T3_T4_T5_mT6_T7_P12ihipStream_tbENKUlT_T0_E_clISt17integral_constantIbLb0EESV_IbLb1EEEEDaSR_SS_EUlSR_E_NS1_11comp_targetILNS1_3genE4ELNS1_11target_archE910ELNS1_3gpuE8ELNS1_3repE0EEENS1_30default_config_static_selectorELNS0_4arch9wavefront6targetE1EEEvT1_: ; @_ZN7rocprim17ROCPRIM_400000_NS6detail17trampoline_kernelINS0_14default_configENS1_27scan_by_key_config_selectorIiiEEZZNS1_16scan_by_key_implILNS1_25lookback_scan_determinismE0ELb0ES3_N6thrust23THRUST_200600_302600_NS10device_ptrIiEESB_SB_iNS9_4plusIvEENS9_8equal_toIvEEiEE10hipError_tPvRmT2_T3_T4_T5_mT6_T7_P12ihipStream_tbENKUlT_T0_E_clISt17integral_constantIbLb0EESV_IbLb1EEEEDaSR_SS_EUlSR_E_NS1_11comp_targetILNS1_3genE4ELNS1_11target_archE910ELNS1_3gpuE8ELNS1_3repE0EEENS1_30default_config_static_selectorELNS0_4arch9wavefront6targetE1EEEvT1_
; %bb.0:
	s_load_dwordx4 s[56:59], s[4:5], 0x28
	s_load_dwordx2 s[60:61], s[4:5], 0x38
	v_cmp_ne_u32_e64 s[36:37], 0, v0
	v_cmp_eq_u32_e64 s[0:1], 0, v0
	s_and_saveexec_b64 s[2:3], s[0:1]
	s_cbranch_execz .LBB2227_4
; %bb.1:
	s_mov_b64 s[8:9], exec
	v_mbcnt_lo_u32_b32 v1, s8, 0
	v_mbcnt_hi_u32_b32 v1, s9, v1
	v_cmp_eq_u32_e32 vcc, 0, v1
                                        ; implicit-def: $vgpr2
	s_and_saveexec_b64 s[6:7], vcc
	s_cbranch_execz .LBB2227_3
; %bb.2:
	s_load_dwordx2 s[10:11], s[4:5], 0x68
	s_bcnt1_i32_b64 s8, s[8:9]
	v_mov_b32_e32 v2, 0
	v_mov_b32_e32 v3, s8
	s_waitcnt lgkmcnt(0)
	global_atomic_add v2, v2, v3, s[10:11] glc
.LBB2227_3:
	s_or_b64 exec, exec, s[6:7]
	s_waitcnt vmcnt(0)
	v_readfirstlane_b32 s6, v2
	v_add_u32_e32 v1, s6, v1
	v_mov_b32_e32 v2, 0
	ds_write_b32 v2, v1
.LBB2227_4:
	s_or_b64 exec, exec, s[2:3]
	s_load_dwordx8 s[40:47], s[4:5], 0x0
	s_load_dword s2, s[4:5], 0x40
	s_load_dwordx8 s[48:55], s[4:5], 0x48
	v_mov_b32_e32 v1, 0
	s_waitcnt lgkmcnt(0)
	s_barrier
	ds_read_b32 v1, v1
	s_lshl_b64 s[38:39], s[42:43], 2
	s_add_u32 s4, s40, s38
	s_addc_u32 s5, s41, s39
	s_add_u32 s6, s44, s38
	s_mul_i32 s3, s61, s2
	s_mul_hi_u32 s8, s60, s2
	s_addc_u32 s7, s45, s39
	s_add_i32 s8, s8, s3
	s_waitcnt lgkmcnt(0)
	v_readfirstlane_b32 s59, v1
	s_mul_i32 s9, s60, s2
	s_cmp_lg_u64 s[52:53], 0
	s_mov_b32 s3, 0
	s_mul_i32 s2, s59, 0xe00
	s_cselect_b64 s[44:45], -1, 0
	s_lshl_b64 s[40:41], s[2:3], 2
	s_add_u32 s42, s4, s40
	s_addc_u32 s43, s5, s41
	s_add_u32 s62, s6, s40
	s_addc_u32 s63, s7, s41
	;; [unrolled: 2-line block ×3, first 2 shown]
	s_add_u32 s4, s48, -1
	s_addc_u32 s5, s49, -1
	v_pk_mov_b32 v[2:3], s[4:5], s[4:5] op_sel:[0,1]
	v_cmp_ge_u64_e64 s[2:3], s[52:53], v[2:3]
	s_mov_b64 s[18:19], 0
	s_mov_b64 s[12:13], -1
	s_and_b64 vcc, exec, s[2:3]
	s_mul_i32 s33, s4, 0xfffff200
	s_barrier
	s_barrier
	s_cbranch_vccz .LBB2227_81
; %bb.5:
	v_pk_mov_b32 v[2:3], s[42:43], s[42:43] op_sel:[0,1]
	flat_load_dword v1, v[2:3]
	s_add_i32 s64, s33, s58
	v_cmp_gt_u32_e64 s[6:7], s64, v0
	s_waitcnt vmcnt(0) lgkmcnt(0)
	v_mov_b32_e32 v13, v1
	s_and_saveexec_b64 s[4:5], s[6:7]
	s_cbranch_execz .LBB2227_7
; %bb.6:
	v_lshlrev_b32_e32 v2, 2, v0
	v_mov_b32_e32 v3, s43
	v_add_co_u32_e32 v2, vcc, s42, v2
	v_addc_co_u32_e32 v3, vcc, 0, v3, vcc
	flat_load_dword v13, v[2:3]
.LBB2227_7:
	s_or_b64 exec, exec, s[4:5]
	v_or_b32_e32 v2, 0x100, v0
	v_cmp_gt_u32_e64 s[8:9], s64, v2
	v_mov_b32_e32 v14, v1
	s_and_saveexec_b64 s[4:5], s[8:9]
	s_cbranch_execz .LBB2227_9
; %bb.8:
	v_lshlrev_b32_e32 v2, 2, v0
	v_mov_b32_e32 v3, s43
	v_add_co_u32_e32 v2, vcc, s42, v2
	v_addc_co_u32_e32 v3, vcc, 0, v3, vcc
	flat_load_dword v14, v[2:3] offset:1024
.LBB2227_9:
	s_or_b64 exec, exec, s[4:5]
	v_or_b32_e32 v2, 0x200, v0
	v_cmp_gt_u32_e64 s[10:11], s64, v2
	v_mov_b32_e32 v15, v1
	s_and_saveexec_b64 s[4:5], s[10:11]
	s_cbranch_execz .LBB2227_11
; %bb.10:
	v_lshlrev_b32_e32 v2, 2, v0
	v_mov_b32_e32 v3, s43
	v_add_co_u32_e32 v2, vcc, s42, v2
	v_addc_co_u32_e32 v3, vcc, 0, v3, vcc
	flat_load_dword v15, v[2:3] offset:2048
.LBB2227_11:
	s_or_b64 exec, exec, s[4:5]
	v_or_b32_e32 v2, 0x300, v0
	v_cmp_gt_u32_e64 s[12:13], s64, v2
	v_mov_b32_e32 v16, v1
	s_and_saveexec_b64 s[4:5], s[12:13]
	s_cbranch_execz .LBB2227_13
; %bb.12:
	v_lshlrev_b32_e32 v2, 2, v0
	v_mov_b32_e32 v3, s43
	v_add_co_u32_e32 v2, vcc, s42, v2
	v_addc_co_u32_e32 v3, vcc, 0, v3, vcc
	flat_load_dword v16, v[2:3] offset:3072
.LBB2227_13:
	s_or_b64 exec, exec, s[4:5]
	v_or_b32_e32 v2, 0x400, v0
	v_cmp_gt_u32_e64 s[14:15], s64, v2
	v_lshlrev_b32_e32 v2, 2, v2
	v_mov_b32_e32 v17, v1
	s_and_saveexec_b64 s[4:5], s[14:15]
	s_cbranch_execz .LBB2227_15
; %bb.14:
	v_mov_b32_e32 v3, s43
	v_add_co_u32_e32 v4, vcc, s42, v2
	v_addc_co_u32_e32 v5, vcc, 0, v3, vcc
	flat_load_dword v17, v[4:5]
.LBB2227_15:
	s_or_b64 exec, exec, s[4:5]
	v_or_b32_e32 v3, 0x500, v0
	v_cmp_gt_u32_e64 s[16:17], s64, v3
	v_lshlrev_b32_e32 v3, 2, v3
	v_mov_b32_e32 v18, v1
	s_and_saveexec_b64 s[4:5], s[16:17]
	s_cbranch_execz .LBB2227_17
; %bb.16:
	v_mov_b32_e32 v5, s43
	v_add_co_u32_e32 v4, vcc, s42, v3
	v_addc_co_u32_e32 v5, vcc, 0, v5, vcc
	flat_load_dword v18, v[4:5]
.LBB2227_17:
	;; [unrolled: 13-line block ×9, first 2 shown]
	s_or_b64 exec, exec, s[4:5]
	v_or_b32_e32 v11, 0xd00, v0
	v_cmp_gt_u32_e64 s[34:35], s64, v11
	v_lshlrev_b32_e32 v11, 2, v11
	s_and_saveexec_b64 s[4:5], s[34:35]
	s_cbranch_execz .LBB2227_33
; %bb.32:
	v_mov_b32_e32 v1, s43
	v_add_co_u32_e32 v26, vcc, s42, v11
	v_addc_co_u32_e32 v27, vcc, 0, v1, vcc
	flat_load_dword v1, v[26:27]
.LBB2227_33:
	s_or_b64 exec, exec, s[4:5]
	v_lshlrev_b32_e32 v12, 2, v0
	s_waitcnt vmcnt(0) lgkmcnt(0)
	ds_write2st64_b32 v12, v13, v14 offset1:4
	ds_write2st64_b32 v12, v15, v16 offset0:8 offset1:12
	ds_write2st64_b32 v12, v17, v18 offset0:16 offset1:20
	;; [unrolled: 1-line block ×6, first 2 shown]
	v_mad_u32_u24 v1, v0, 52, v12
	s_waitcnt lgkmcnt(0)
	s_barrier
	ds_read2_b64 v[34:37], v1 offset1:1
	ds_read2_b64 v[30:33], v1 offset0:2 offset1:3
	ds_read2_b64 v[26:29], v1 offset0:4 offset1:5
	ds_read_b64 v[40:41], v1 offset:48
	s_cmp_eq_u64 s[52:53], 0
	s_mov_b64 s[4:5], s[42:43]
	s_cbranch_scc1 .LBB2227_37
; %bb.34:
	s_andn2_b64 vcc, exec, s[44:45]
	s_cbranch_vccnz .LBB2227_183
; %bb.35:
	s_lshl_b64 s[4:5], s[52:53], 2
	s_add_u32 s4, s54, s4
	s_addc_u32 s5, s55, s5
	s_add_u32 s4, s4, -4
	s_addc_u32 s5, s5, -1
	s_cbranch_execnz .LBB2227_37
.LBB2227_36:
	s_add_u32 s4, s42, -4
	s_addc_u32 s5, s43, -1
.LBB2227_37:
	v_pk_mov_b32 v[14:15], s[4:5], s[4:5] op_sel:[0,1]
	flat_load_dword v44, v[14:15]
	s_movk_i32 s4, 0xffcc
	v_mad_i32_i24 v13, v0, s4, v1
	s_waitcnt lgkmcnt(0)
	ds_write_b32 v13, v41 offset:14336
	s_waitcnt lgkmcnt(0)
	s_barrier
	s_and_saveexec_b64 s[4:5], s[36:37]
	s_cbranch_execz .LBB2227_39
; %bb.38:
	v_mul_i32_i24_e32 v13, 0xffffffcc, v0
	v_add_u32_e32 v13, v1, v13
	s_waitcnt vmcnt(0)
	ds_read_b32 v44, v13 offset:14332
.LBB2227_39:
	s_or_b64 exec, exec, s[4:5]
	s_waitcnt lgkmcnt(0)
	s_barrier
	s_waitcnt lgkmcnt(0)
                                        ; implicit-def: $vgpr13
	s_and_saveexec_b64 s[4:5], s[6:7]
	s_cbranch_execnz .LBB2227_170
; %bb.40:
	s_or_b64 exec, exec, s[4:5]
                                        ; implicit-def: $vgpr14
	s_and_saveexec_b64 s[4:5], s[8:9]
	s_cbranch_execnz .LBB2227_171
.LBB2227_41:
	s_or_b64 exec, exec, s[4:5]
                                        ; implicit-def: $vgpr15
	s_and_saveexec_b64 s[4:5], s[10:11]
	s_cbranch_execnz .LBB2227_172
.LBB2227_42:
	s_or_b64 exec, exec, s[4:5]
                                        ; implicit-def: $vgpr16
	s_and_saveexec_b64 s[4:5], s[12:13]
	s_cbranch_execnz .LBB2227_173
.LBB2227_43:
	s_or_b64 exec, exec, s[4:5]
                                        ; implicit-def: $vgpr17
	s_and_saveexec_b64 s[4:5], s[14:15]
	s_cbranch_execnz .LBB2227_174
.LBB2227_44:
	s_or_b64 exec, exec, s[4:5]
                                        ; implicit-def: $vgpr2
	s_and_saveexec_b64 s[4:5], s[16:17]
	s_cbranch_execnz .LBB2227_175
.LBB2227_45:
	s_or_b64 exec, exec, s[4:5]
                                        ; implicit-def: $vgpr3
	s_and_saveexec_b64 s[4:5], s[18:19]
	s_cbranch_execnz .LBB2227_176
.LBB2227_46:
	s_or_b64 exec, exec, s[4:5]
                                        ; implicit-def: $vgpr4
	s_and_saveexec_b64 s[4:5], s[20:21]
	s_cbranch_execnz .LBB2227_177
.LBB2227_47:
	s_or_b64 exec, exec, s[4:5]
                                        ; implicit-def: $vgpr5
	s_and_saveexec_b64 s[4:5], s[22:23]
	s_cbranch_execnz .LBB2227_178
.LBB2227_48:
	s_or_b64 exec, exec, s[4:5]
                                        ; implicit-def: $vgpr6
	s_and_saveexec_b64 s[4:5], s[24:25]
	s_cbranch_execnz .LBB2227_179
.LBB2227_49:
	s_or_b64 exec, exec, s[4:5]
                                        ; implicit-def: $vgpr7
	s_and_saveexec_b64 s[4:5], s[26:27]
	s_cbranch_execnz .LBB2227_180
.LBB2227_50:
	s_or_b64 exec, exec, s[4:5]
                                        ; implicit-def: $vgpr8
	s_and_saveexec_b64 s[4:5], s[28:29]
	s_cbranch_execnz .LBB2227_181
.LBB2227_51:
	s_or_b64 exec, exec, s[4:5]
                                        ; implicit-def: $vgpr9
	s_and_saveexec_b64 s[4:5], s[30:31]
	s_cbranch_execnz .LBB2227_182
.LBB2227_52:
	s_or_b64 exec, exec, s[4:5]
                                        ; implicit-def: $vgpr10
	s_and_saveexec_b64 s[4:5], s[34:35]
	s_cbranch_execz .LBB2227_54
.LBB2227_53:
	v_mov_b32_e32 v18, s63
	v_add_co_u32_e32 v10, vcc, s62, v11
	v_addc_co_u32_e32 v11, vcc, 0, v18, vcc
	flat_load_dword v10, v[10:11]
.LBB2227_54:
	s_or_b64 exec, exec, s[4:5]
	s_mov_b32 s4, 0
	s_mov_b32 s5, s4
	s_waitcnt vmcnt(0) lgkmcnt(0)
	ds_write2st64_b32 v12, v13, v14 offset1:4
	ds_write2st64_b32 v12, v15, v16 offset0:8 offset1:12
	ds_write2st64_b32 v12, v17, v2 offset0:16 offset1:20
	;; [unrolled: 1-line block ×6, first 2 shown]
	s_mov_b32 s6, s4
	s_mov_b32 s7, s4
	;; [unrolled: 1-line block ×6, first 2 shown]
	v_pk_mov_b32 v[2:3], s[4:5], s[4:5] op_sel:[0,1]
	v_pk_mov_b32 v[8:9], s[10:11], s[10:11] op_sel:[0,1]
	v_mul_u32_u24_e32 v42, 14, v0
	v_pk_mov_b32 v[4:5], s[6:7], s[6:7] op_sel:[0,1]
	v_pk_mov_b32 v[6:7], s[8:9], s[8:9] op_sel:[0,1]
	;; [unrolled: 1-line block ×4, first 2 shown]
	v_cmp_gt_u32_e32 vcc, s64, v42
	s_mov_b64 s[12:13], 0
	v_pk_mov_b32 v[38:39], 0, 0
	s_mov_b64 s[18:19], 0
	v_pk_mov_b32 v[14:15], v[6:7], v[6:7] op_sel:[0,1]
	v_pk_mov_b32 v[12:13], v[4:5], v[4:5] op_sel:[0,1]
	;; [unrolled: 1-line block ×6, first 2 shown]
	s_waitcnt lgkmcnt(0)
	s_barrier
	s_waitcnt lgkmcnt(0)
                                        ; implicit-def: $sgpr16_sgpr17
                                        ; implicit-def: $vgpr43
	s_and_saveexec_b64 s[14:15], vcc
	s_cbranch_execz .LBB2227_80
; %bb.55:
	v_or_b32_e32 v2, 1, v42
	ds_read_b32 v38, v1
	v_cmp_ne_u32_e32 vcc, v44, v34
	v_cndmask_b32_e64 v39, 0, 1, vcc
	v_cmp_gt_u32_e32 vcc, s64, v2
	v_pk_mov_b32 v[2:3], s[4:5], s[4:5] op_sel:[0,1]
	v_pk_mov_b32 v[8:9], s[10:11], s[10:11] op_sel:[0,1]
	;; [unrolled: 1-line block ×12, first 2 shown]
                                        ; implicit-def: $sgpr4_sgpr5
                                        ; implicit-def: $vgpr43
	s_and_saveexec_b64 s[16:17], vcc
	s_cbranch_execz .LBB2227_79
; %bb.56:
	ds_read2_b32 v[44:45], v1 offset0:1 offset1:2
	s_mov_b32 s4, 0
	s_mov_b32 s10, s4
	;; [unrolled: 1-line block ×8, first 2 shown]
	v_pk_mov_b32 v[16:17], s[10:11], s[10:11] op_sel:[0,1]
	v_add_u32_e32 v2, 2, v42
	v_cmp_ne_u32_e32 vcc, v34, v35
	v_mov_b32_e32 v6, 0
	v_pk_mov_b32 v[14:15], s[8:9], s[8:9] op_sel:[0,1]
	v_pk_mov_b32 v[12:13], s[6:7], s[6:7] op_sel:[0,1]
	;; [unrolled: 1-line block ×4, first 2 shown]
	v_cndmask_b32_e64 v3, 0, 1, vcc
	v_cmp_gt_u32_e32 vcc, s64, v2
	s_waitcnt lgkmcnt(0)
	v_mov_b32_e32 v2, v44
	v_mov_b32_e32 v4, v6
	;; [unrolled: 1-line block ×6, first 2 shown]
	s_mov_b64 s[20:21], 0
	v_pk_mov_b32 v[22:23], v[14:15], v[14:15] op_sel:[0,1]
	v_pk_mov_b32 v[20:21], v[12:13], v[12:13] op_sel:[0,1]
	;; [unrolled: 1-line block ×3, first 2 shown]
                                        ; implicit-def: $sgpr24_sgpr25
                                        ; implicit-def: $vgpr43
	s_and_saveexec_b64 s[18:19], vcc
	s_cbranch_execz .LBB2227_78
; %bb.57:
	v_pk_mov_b32 v[16:17], s[10:11], s[10:11] op_sel:[0,1]
	v_add_u32_e32 v2, 3, v42
	v_cmp_ne_u32_e32 vcc, v35, v36
	v_pk_mov_b32 v[14:15], s[8:9], s[8:9] op_sel:[0,1]
	v_pk_mov_b32 v[12:13], s[6:7], s[6:7] op_sel:[0,1]
	;; [unrolled: 1-line block ×4, first 2 shown]
	v_cndmask_b32_e64 v5, 0, 1, vcc
	v_cmp_gt_u32_e32 vcc, s64, v2
	v_mov_b32_e32 v2, v44
	v_mov_b32_e32 v4, v45
	;; [unrolled: 1-line block ×5, first 2 shown]
	s_mov_b64 s[22:23], 0
	v_pk_mov_b32 v[22:23], v[14:15], v[14:15] op_sel:[0,1]
	v_pk_mov_b32 v[20:21], v[12:13], v[12:13] op_sel:[0,1]
	;; [unrolled: 1-line block ×3, first 2 shown]
                                        ; implicit-def: $sgpr4_sgpr5
                                        ; implicit-def: $vgpr43
	s_and_saveexec_b64 s[20:21], vcc
	s_cbranch_execz .LBB2227_77
; %bb.58:
	ds_read2_b32 v[34:35], v1 offset0:3 offset1:4
	s_mov_b32 s4, 0
	s_mov_b32 s10, s4
	;; [unrolled: 1-line block ×8, first 2 shown]
	v_pk_mov_b32 v[16:17], s[10:11], s[10:11] op_sel:[0,1]
	v_add_u32_e32 v6, 4, v42
	v_cmp_ne_u32_e32 vcc, v36, v37
	v_pk_mov_b32 v[14:15], s[8:9], s[8:9] op_sel:[0,1]
	v_pk_mov_b32 v[12:13], s[6:7], s[6:7] op_sel:[0,1]
	;; [unrolled: 1-line block ×4, first 2 shown]
	v_cndmask_b32_e64 v7, 0, 1, vcc
	v_cmp_gt_u32_e32 vcc, s64, v6
	s_waitcnt lgkmcnt(0)
	v_mov_b32_e32 v6, v34
	v_mov_b32_e32 v8, s4
	;; [unrolled: 1-line block ×3, first 2 shown]
	s_mov_b64 s[24:25], 0
	v_pk_mov_b32 v[22:23], v[14:15], v[14:15] op_sel:[0,1]
	v_pk_mov_b32 v[20:21], v[12:13], v[12:13] op_sel:[0,1]
	;; [unrolled: 1-line block ×3, first 2 shown]
                                        ; implicit-def: $sgpr26_sgpr27
                                        ; implicit-def: $vgpr43
	s_and_saveexec_b64 s[22:23], vcc
	s_cbranch_execz .LBB2227_76
; %bb.59:
	v_pk_mov_b32 v[16:17], s[10:11], s[10:11] op_sel:[0,1]
	v_add_u32_e32 v8, 5, v42
	v_cmp_ne_u32_e32 vcc, v37, v30
	v_pk_mov_b32 v[14:15], s[8:9], s[8:9] op_sel:[0,1]
	v_pk_mov_b32 v[12:13], s[6:7], s[6:7] op_sel:[0,1]
	;; [unrolled: 1-line block ×4, first 2 shown]
	v_cndmask_b32_e64 v9, 0, 1, vcc
	v_cmp_gt_u32_e32 vcc, s64, v8
	v_mov_b32_e32 v8, v35
	s_mov_b64 s[28:29], 0
	v_pk_mov_b32 v[22:23], v[14:15], v[14:15] op_sel:[0,1]
	v_pk_mov_b32 v[20:21], v[12:13], v[12:13] op_sel:[0,1]
	;; [unrolled: 1-line block ×3, first 2 shown]
                                        ; implicit-def: $sgpr4_sgpr5
                                        ; implicit-def: $vgpr43
	s_and_saveexec_b64 s[24:25], vcc
	s_cbranch_execz .LBB2227_75
; %bb.60:
	ds_read2_b32 v[34:35], v1 offset0:5 offset1:6
	s_mov_b32 s4, 0
	s_mov_b32 s10, s4
	;; [unrolled: 1-line block ×3, first 2 shown]
	v_add_u32_e32 v10, 6, v42
	v_cmp_ne_u32_e32 vcc, v30, v31
	v_mov_b32_e32 v14, 0
	s_mov_b32 s5, s4
	s_mov_b32 s6, s4
	;; [unrolled: 1-line block ×5, first 2 shown]
	v_pk_mov_b32 v[24:25], s[10:11], s[10:11] op_sel:[0,1]
	v_cndmask_b32_e64 v11, 0, 1, vcc
	v_cmp_gt_u32_e32 vcc, s64, v10
	s_waitcnt lgkmcnt(0)
	v_mov_b32_e32 v10, v34
	v_mov_b32_e32 v12, v14
	;; [unrolled: 1-line block ×6, first 2 shown]
	v_pk_mov_b32 v[22:23], s[8:9], s[8:9] op_sel:[0,1]
	v_pk_mov_b32 v[20:21], s[6:7], s[6:7] op_sel:[0,1]
	;; [unrolled: 1-line block ×3, first 2 shown]
                                        ; implicit-def: $sgpr34_sgpr35
                                        ; implicit-def: $vgpr43
	s_and_saveexec_b64 s[26:27], vcc
	s_cbranch_execz .LBB2227_74
; %bb.61:
	v_add_u32_e32 v10, 7, v42
	v_cmp_ne_u32_e32 vcc, v31, v32
	v_pk_mov_b32 v[24:25], s[10:11], s[10:11] op_sel:[0,1]
	v_cndmask_b32_e64 v13, 0, 1, vcc
	v_cmp_gt_u32_e32 vcc, s64, v10
	v_mov_b32_e32 v10, v34
	v_mov_b32_e32 v12, v35
	;; [unrolled: 1-line block ×5, first 2 shown]
	s_mov_b64 s[30:31], 0
	v_pk_mov_b32 v[22:23], s[8:9], s[8:9] op_sel:[0,1]
	v_pk_mov_b32 v[20:21], s[6:7], s[6:7] op_sel:[0,1]
	;; [unrolled: 1-line block ×3, first 2 shown]
                                        ; implicit-def: $sgpr4_sgpr5
                                        ; implicit-def: $vgpr43
	s_and_saveexec_b64 s[28:29], vcc
	s_cbranch_execz .LBB2227_73
; %bb.62:
	ds_read2_b32 v[30:31], v1 offset0:7 offset1:8
	s_mov_b32 s4, 0
	s_mov_b32 s10, s4
	;; [unrolled: 1-line block ×3, first 2 shown]
	v_add_u32_e32 v14, 8, v42
	v_cmp_ne_u32_e32 vcc, v32, v33
	s_mov_b32 s5, s4
	s_mov_b32 s6, s4
	;; [unrolled: 1-line block ×5, first 2 shown]
	v_pk_mov_b32 v[24:25], s[10:11], s[10:11] op_sel:[0,1]
	v_cndmask_b32_e64 v15, 0, 1, vcc
	v_cmp_gt_u32_e32 vcc, s64, v14
	s_waitcnt lgkmcnt(0)
	v_mov_b32_e32 v14, v30
	v_mov_b32_e32 v16, s4
	;; [unrolled: 1-line block ×3, first 2 shown]
	s_mov_b64 s[34:35], 0
	v_pk_mov_b32 v[22:23], s[8:9], s[8:9] op_sel:[0,1]
	v_pk_mov_b32 v[20:21], s[6:7], s[6:7] op_sel:[0,1]
	;; [unrolled: 1-line block ×3, first 2 shown]
                                        ; implicit-def: $sgpr48_sgpr49
                                        ; implicit-def: $vgpr43
	s_and_saveexec_b64 s[30:31], vcc
	s_cbranch_execz .LBB2227_72
; %bb.63:
	v_add_u32_e32 v16, 9, v42
	v_cmp_ne_u32_e32 vcc, v33, v26
	v_pk_mov_b32 v[24:25], s[10:11], s[10:11] op_sel:[0,1]
	v_cndmask_b32_e64 v17, 0, 1, vcc
	v_cmp_gt_u32_e32 vcc, s64, v16
	v_mov_b32_e32 v16, v31
	v_pk_mov_b32 v[22:23], s[8:9], s[8:9] op_sel:[0,1]
	v_pk_mov_b32 v[20:21], s[6:7], s[6:7] op_sel:[0,1]
	;; [unrolled: 1-line block ×3, first 2 shown]
                                        ; implicit-def: $sgpr8_sgpr9
                                        ; implicit-def: $vgpr43
	s_and_saveexec_b64 s[6:7], vcc
	s_cbranch_execz .LBB2227_71
; %bb.64:
	ds_read2_b32 v[30:31], v1 offset0:9 offset1:10
	v_add_u32_e32 v18, 10, v42
	v_cmp_ne_u32_e32 vcc, v26, v27
	v_mov_b32_e32 v22, 0
	v_cndmask_b32_e64 v19, 0, 1, vcc
	v_cmp_gt_u32_e32 vcc, s64, v18
	s_waitcnt lgkmcnt(0)
	v_mov_b32_e32 v18, v30
	v_mov_b32_e32 v20, v22
	;; [unrolled: 1-line block ×6, first 2 shown]
	s_mov_b64 s[4:5], 0
                                        ; implicit-def: $sgpr10_sgpr11
                                        ; implicit-def: $vgpr43
	s_and_saveexec_b64 s[8:9], vcc
	s_cbranch_execz .LBB2227_70
; %bb.65:
	v_add_u32_e32 v18, 11, v42
	v_cmp_ne_u32_e32 vcc, v27, v28
	v_cndmask_b32_e64 v21, 0, 1, vcc
	v_cmp_gt_u32_e32 vcc, s64, v18
	s_mov_b32 s48, 0
	v_mov_b32_e32 v18, v30
	v_mov_b32_e32 v20, v31
	;; [unrolled: 1-line block ×5, first 2 shown]
                                        ; implicit-def: $sgpr34_sgpr35
                                        ; implicit-def: $vgpr43
	s_and_saveexec_b64 s[10:11], vcc
	s_cbranch_execz .LBB2227_69
; %bb.66:
	ds_read2_b32 v[26:27], v1 offset0:11 offset1:12
	v_add_u32_e32 v22, 12, v42
	v_cmp_ne_u32_e32 vcc, v28, v29
	v_cndmask_b32_e64 v23, 0, 1, vcc
	v_cmp_gt_u32_e32 vcc, s64, v22
	s_waitcnt lgkmcnt(0)
	v_mov_b32_e32 v22, v26
	v_mov_b32_e32 v24, s48
	;; [unrolled: 1-line block ×3, first 2 shown]
                                        ; implicit-def: $sgpr34_sgpr35
                                        ; implicit-def: $vgpr43
	s_and_saveexec_b64 s[48:49], vcc
	s_xor_b64 s[48:49], exec, s[48:49]
	s_cbranch_execz .LBB2227_68
; %bb.67:
	ds_read_b32 v43, v1 offset:52
	v_add_u32_e32 v1, 13, v42
	v_cmp_ne_u32_e64 s[4:5], v29, v40
	v_cmp_ne_u32_e32 vcc, v40, v41
	v_cndmask_b32_e64 v25, 0, 1, s[4:5]
	v_cmp_gt_u32_e64 s[4:5], s64, v1
	v_mov_b32_e32 v24, v27
	s_and_b64 s[34:35], vcc, exec
	s_and_b64 s[4:5], s[4:5], exec
.LBB2227_68:
	s_or_b64 exec, exec, s[48:49]
	s_and_b64 s[34:35], s[34:35], exec
	s_and_b64 s[4:5], s[4:5], exec
.LBB2227_69:
	s_or_b64 exec, exec, s[10:11]
	s_and_b64 s[10:11], s[34:35], exec
	s_and_b64 s[4:5], s[4:5], exec
.LBB2227_70:
	s_or_b64 exec, exec, s[8:9]
	s_and_b64 s[8:9], s[10:11], exec
	s_and_b64 s[34:35], s[4:5], exec
.LBB2227_71:
	s_or_b64 exec, exec, s[6:7]
	s_and_b64 s[48:49], s[8:9], exec
	s_and_b64 s[34:35], s[34:35], exec
.LBB2227_72:
	s_or_b64 exec, exec, s[30:31]
	s_and_b64 s[4:5], s[48:49], exec
	s_and_b64 s[30:31], s[34:35], exec
.LBB2227_73:
	s_or_b64 exec, exec, s[28:29]
	s_and_b64 s[34:35], s[4:5], exec
	s_and_b64 s[28:29], s[30:31], exec
.LBB2227_74:
	s_or_b64 exec, exec, s[26:27]
	s_and_b64 s[4:5], s[34:35], exec
	s_and_b64 s[28:29], s[28:29], exec
.LBB2227_75:
	s_or_b64 exec, exec, s[24:25]
	s_and_b64 s[26:27], s[4:5], exec
	s_and_b64 s[24:25], s[28:29], exec
.LBB2227_76:
	s_or_b64 exec, exec, s[22:23]
	s_and_b64 s[4:5], s[26:27], exec
	s_and_b64 s[22:23], s[24:25], exec
.LBB2227_77:
	s_or_b64 exec, exec, s[20:21]
	s_and_b64 s[24:25], s[4:5], exec
	s_and_b64 s[20:21], s[22:23], exec
.LBB2227_78:
	s_or_b64 exec, exec, s[18:19]
	s_and_b64 s[4:5], s[24:25], exec
	s_and_b64 s[18:19], s[20:21], exec
.LBB2227_79:
	s_or_b64 exec, exec, s[16:17]
	s_and_b64 s[16:17], s[4:5], exec
	s_and_b64 s[18:19], s[18:19], exec
.LBB2227_80:
	s_or_b64 exec, exec, s[14:15]
	s_and_b64 vcc, exec, s[12:13]
	v_lshlrev_b32_e32 v50, 2, v0
	s_cbranch_vccnz .LBB2227_82
	s_branch .LBB2227_90
.LBB2227_81:
                                        ; implicit-def: $sgpr16_sgpr17
                                        ; implicit-def: $vgpr2_vgpr3_vgpr4_vgpr5_vgpr6_vgpr7_vgpr8_vgpr9
                                        ; implicit-def: $vgpr10_vgpr11_vgpr12_vgpr13_vgpr14_vgpr15_vgpr16_vgpr17
                                        ; implicit-def: $vgpr18_vgpr19_vgpr20_vgpr21_vgpr22_vgpr23_vgpr24_vgpr25
                                        ; implicit-def: $vgpr43
                                        ; implicit-def: $vgpr38_vgpr39
	s_and_b64 vcc, exec, s[12:13]
	v_lshlrev_b32_e32 v50, 2, v0
	s_cbranch_vccz .LBB2227_90
.LBB2227_82:
	v_mov_b32_e32 v1, s43
	v_add_co_u32_e32 v2, vcc, s42, v50
	v_addc_co_u32_e32 v3, vcc, 0, v1, vcc
	v_add_co_u32_e32 v4, vcc, 0x1000, v2
	v_addc_co_u32_e32 v5, vcc, 0, v3, vcc
	flat_load_dword v6, v[2:3]
	flat_load_dword v7, v[2:3] offset:1024
	flat_load_dword v8, v[2:3] offset:2048
	;; [unrolled: 1-line block ×3, first 2 shown]
	flat_load_dword v10, v[4:5]
	flat_load_dword v11, v[4:5] offset:1024
	flat_load_dword v12, v[4:5] offset:2048
	;; [unrolled: 1-line block ×3, first 2 shown]
	v_add_co_u32_e32 v4, vcc, 0x2000, v2
	v_addc_co_u32_e32 v5, vcc, 0, v3, vcc
	v_add_co_u32_e32 v2, vcc, 0x3000, v2
	v_addc_co_u32_e32 v3, vcc, 0, v3, vcc
	flat_load_dword v14, v[4:5]
	flat_load_dword v15, v[4:5] offset:1024
	flat_load_dword v16, v[4:5] offset:2048
	;; [unrolled: 1-line block ×3, first 2 shown]
	flat_load_dword v18, v[2:3]
	flat_load_dword v19, v[2:3] offset:1024
	v_mad_u32_u24 v1, v0, 52, v50
	s_cmp_eq_u64 s[52:53], 0
	s_waitcnt vmcnt(0) lgkmcnt(0)
	ds_write2st64_b32 v50, v6, v7 offset1:4
	ds_write2st64_b32 v50, v8, v9 offset0:8 offset1:12
	ds_write2st64_b32 v50, v10, v11 offset0:16 offset1:20
	;; [unrolled: 1-line block ×6, first 2 shown]
	s_waitcnt lgkmcnt(0)
	s_barrier
	ds_read2_b64 v[2:5], v1 offset1:1
	ds_read2_b64 v[10:13], v1 offset0:2 offset1:3
	ds_read2_b64 v[18:21], v1 offset0:4 offset1:5
	ds_read_b64 v[6:7], v1 offset:48
	s_cbranch_scc1 .LBB2227_87
; %bb.83:
	s_andn2_b64 vcc, exec, s[44:45]
	s_cbranch_vccnz .LBB2227_184
; %bb.84:
	s_lshl_b64 s[4:5], s[52:53], 2
	s_add_u32 s4, s54, s4
	s_addc_u32 s5, s55, s5
	s_add_u32 s4, s4, -4
	s_addc_u32 s5, s5, -1
	s_cbranch_execnz .LBB2227_86
.LBB2227_85:
	s_add_u32 s4, s42, -4
	s_addc_u32 s5, s43, -1
.LBB2227_86:
	s_mov_b64 s[42:43], s[4:5]
.LBB2227_87:
	v_pk_mov_b32 v[8:9], s[42:43], s[42:43] op_sel:[0,1]
	flat_load_dword v8, v[8:9]
	s_movk_i32 s4, 0xffcc
	v_mad_i32_i24 v9, v0, s4, v1
	s_waitcnt lgkmcnt(0)
	ds_write_b32 v9, v7 offset:14336
	s_waitcnt lgkmcnt(0)
	s_barrier
	s_and_saveexec_b64 s[4:5], s[36:37]
	s_cbranch_execz .LBB2227_89
; %bb.88:
	s_waitcnt vmcnt(0)
	v_mul_i32_i24_e32 v8, 0xffffffcc, v0
	v_add_u32_e32 v8, v1, v8
	ds_read_b32 v8, v8 offset:14332
.LBB2227_89:
	s_or_b64 exec, exec, s[4:5]
	v_mov_b32_e32 v9, s63
	v_add_co_u32_e32 v14, vcc, s62, v50
	v_addc_co_u32_e32 v15, vcc, 0, v9, vcc
	s_movk_i32 s4, 0x1000
	v_add_co_u32_e32 v16, vcc, s4, v14
	v_addc_co_u32_e32 v17, vcc, 0, v15, vcc
	s_movk_i32 s4, 0x2000
	s_waitcnt lgkmcnt(0)
	s_barrier
	flat_load_dword v22, v[14:15]
	flat_load_dword v24, v[14:15] offset:1024
	flat_load_dword v26, v[14:15] offset:2048
	;; [unrolled: 1-line block ×3, first 2 shown]
	flat_load_dword v28, v[16:17]
	flat_load_dword v29, v[16:17] offset:1024
	flat_load_dword v30, v[16:17] offset:2048
	;; [unrolled: 1-line block ×3, first 2 shown]
	v_add_co_u32_e32 v16, vcc, s4, v14
	v_addc_co_u32_e32 v17, vcc, 0, v15, vcc
	s_movk_i32 s4, 0x3000
	v_add_co_u32_e32 v14, vcc, s4, v14
	v_addc_co_u32_e32 v15, vcc, 0, v15, vcc
	flat_load_dword v32, v[16:17]
	flat_load_dword v33, v[16:17] offset:1024
	flat_load_dword v34, v[16:17] offset:2048
	;; [unrolled: 1-line block ×3, first 2 shown]
	flat_load_dword v36, v[14:15]
	flat_load_dword v37, v[14:15] offset:1024
	s_waitcnt vmcnt(0)
	v_cmp_ne_u32_e32 vcc, v8, v2
	v_cndmask_b32_e64 v39, 0, 1, vcc
	v_cmp_ne_u32_e32 vcc, v5, v10
	v_cndmask_b32_e64 v9, 0, 1, vcc
	v_cmp_ne_u32_e32 vcc, v4, v5
	v_cmp_ne_u32_e64 s[16:17], v6, v7
	v_cndmask_b32_e64 v7, 0, 1, vcc
	v_cmp_ne_u32_e32 vcc, v3, v4
	v_cndmask_b32_e64 v5, 0, 1, vcc
	v_cmp_ne_u32_e32 vcc, v2, v3
	;; [unrolled: 2-line block ×10, first 2 shown]
	v_cndmask_b32_e64 v19, 0, 1, vcc
	s_mov_b64 s[18:19], -1
                                        ; implicit-def: $sgpr12_sgpr13
	s_waitcnt lgkmcnt(0)
	ds_write2st64_b32 v50, v22, v24 offset1:4
	ds_write2st64_b32 v50, v26, v27 offset0:8 offset1:12
	ds_write2st64_b32 v50, v28, v29 offset0:16 offset1:20
	;; [unrolled: 1-line block ×6, first 2 shown]
	s_waitcnt lgkmcnt(0)
	s_barrier
	ds_read2_b32 v[42:43], v1 offset1:13
	ds_read2_b32 v[26:27], v1 offset0:7 offset1:8
	ds_read2_b32 v[28:29], v1 offset0:5 offset1:6
	ds_read2_b32 v[30:31], v1 offset0:3 offset1:4
	ds_read2_b32 v[32:33], v1 offset0:1 offset1:2
	ds_read2_b32 v[34:35], v1 offset0:11 offset1:12
	ds_read2_b32 v[36:37], v1 offset0:9 offset1:10
	s_waitcnt lgkmcnt(6)
	v_mov_b32_e32 v38, v42
	s_waitcnt lgkmcnt(4)
	v_mov_b32_e32 v10, v28
	;; [unrolled: 2-line block ×4, first 2 shown]
	v_mov_b32_e32 v4, v33
	v_mov_b32_e32 v8, v31
	;; [unrolled: 1-line block ×5, first 2 shown]
	s_waitcnt lgkmcnt(0)
	v_mov_b32_e32 v18, v36
	v_mov_b32_e32 v20, v37
	;; [unrolled: 1-line block ×4, first 2 shown]
.LBB2227_90:
	v_pk_mov_b32 v[40:41], s[12:13], s[12:13] op_sel:[0,1]
	s_and_saveexec_b64 s[4:5], s[18:19]
	s_cbranch_execz .LBB2227_92
; %bb.91:
	v_cndmask_b32_e64 v41, 0, 1, s[16:17]
	s_waitcnt lgkmcnt(0)
	v_mov_b32_e32 v40, v43
.LBB2227_92:
	s_or_b64 exec, exec, s[4:5]
	s_mov_b32 s4, 0
	s_cmp_lg_u32 s59, 0
	v_mbcnt_lo_u32_b32 v52, -1, 0
	v_lshrrev_b32_e32 v1, 6, v0
	v_or_b32_e32 v51, 63, v0
	s_waitcnt lgkmcnt(0)
	s_barrier
	s_cbranch_scc0 .LBB2227_121
; %bb.93:
	s_mov_b32 s5, 1
	v_cmp_gt_u64_e64 s[6:7], s[4:5], v[2:3]
	v_cndmask_b32_e64 v27, 0, v38, s[6:7]
	v_add_u32_e32 v27, v27, v2
	v_cmp_gt_u64_e64 s[8:9], s[4:5], v[4:5]
	v_cndmask_b32_e64 v27, 0, v27, s[8:9]
	v_add_u32_e32 v27, v27, v4
	;; [unrolled: 3-line block ×13, first 2 shown]
	v_or3_b32 v27, v41, v25, v23
	v_or3_b32 v27, v27, v21, v19
	;; [unrolled: 1-line block ×6, first 2 shown]
	v_mov_b32_e32 v26, 0
	v_and_b32_e32 v27, 1, v27
	v_cmp_eq_u64_e32 vcc, 0, v[26:27]
	v_cndmask_b32_e32 v26, 1, v39, vcc
	v_mbcnt_hi_u32_b32 v46, -1, v52
	v_mov_b32_dpp v29, v28 row_shr:1 row_mask:0xf bank_mask:0xf
	v_mov_b32_dpp v30, v26 row_shr:1 row_mask:0xf bank_mask:0xf
	v_cmp_eq_u32_e32 vcc, 0, v26
	v_and_b32_e32 v31, 1, v26
	v_and_b32_e32 v27, 15, v46
	v_cndmask_b32_e32 v29, 0, v29, vcc
	v_and_b32_e32 v30, 1, v30
	v_cmp_eq_u32_e32 vcc, 1, v31
	v_cndmask_b32_e64 v30, v30, 1, vcc
	v_cmp_eq_u32_e32 vcc, 0, v27
	v_cndmask_b32_e32 v26, v30, v26, vcc
	v_and_b32_e32 v31, 1, v26
	v_cmp_eq_u32_e64 s[4:5], 1, v31
	v_mov_b32_dpp v30, v26 row_shr:2 row_mask:0xf bank_mask:0xf
	v_and_b32_e32 v30, 1, v30
	v_cndmask_b32_e64 v30, v30, 1, s[4:5]
	v_cmp_lt_u32_e64 s[4:5], 1, v27
	v_cndmask_b32_e64 v29, v29, 0, vcc
	v_cmp_eq_u32_e32 vcc, 0, v26
	v_cndmask_b32_e64 v26, v26, v30, s[4:5]
	v_add_u32_e32 v28, v29, v28
	v_and_b32_e32 v31, 1, v26
	v_mov_b32_dpp v30, v26 row_shr:4 row_mask:0xf bank_mask:0xf
	v_mov_b32_dpp v29, v28 row_shr:2 row_mask:0xf bank_mask:0xf
	s_and_b64 vcc, s[4:5], vcc
	v_and_b32_e32 v30, 1, v30
	v_cmp_eq_u32_e64 s[4:5], 1, v31
	v_cndmask_b32_e32 v29, 0, v29, vcc
	v_cndmask_b32_e64 v30, v30, 1, s[4:5]
	v_cmp_lt_u32_e64 s[4:5], 3, v27
	v_add_u32_e32 v28, v29, v28
	v_cmp_eq_u32_e32 vcc, 0, v26
	v_cndmask_b32_e64 v26, v26, v30, s[4:5]
	v_mov_b32_dpp v29, v28 row_shr:4 row_mask:0xf bank_mask:0xf
	s_and_b64 vcc, s[4:5], vcc
	v_mov_b32_dpp v30, v26 row_shr:8 row_mask:0xf bank_mask:0xf
	v_and_b32_e32 v31, 1, v26
	v_cndmask_b32_e32 v29, 0, v29, vcc
	v_and_b32_e32 v30, 1, v30
	v_cmp_eq_u32_e64 s[4:5], 1, v31
	v_add_u32_e32 v28, v29, v28
	v_cmp_eq_u32_e32 vcc, 0, v26
	v_cndmask_b32_e64 v30, v30, 1, s[4:5]
	v_cmp_lt_u32_e64 s[4:5], 7, v27
	v_mov_b32_dpp v29, v28 row_shr:8 row_mask:0xf bank_mask:0xf
	s_and_b64 vcc, s[4:5], vcc
	v_cndmask_b32_e32 v27, 0, v29, vcc
	v_cndmask_b32_e64 v26, v26, v30, s[4:5]
	v_add_u32_e32 v27, v27, v28
	v_cmp_eq_u32_e32 vcc, 0, v26
	v_mov_b32_dpp v29, v26 row_bcast:15 row_mask:0xf bank_mask:0xf
	v_mov_b32_dpp v28, v27 row_bcast:15 row_mask:0xf bank_mask:0xf
	v_and_b32_e32 v32, 1, v26
	v_and_b32_e32 v31, 16, v46
	v_cndmask_b32_e32 v28, 0, v28, vcc
	v_and_b32_e32 v29, 1, v29
	v_cmp_eq_u32_e32 vcc, 1, v32
	v_bfe_i32 v30, v46, 4, 1
	v_cndmask_b32_e64 v29, v29, 1, vcc
	v_cmp_eq_u32_e32 vcc, 0, v31
	v_and_b32_e32 v28, v30, v28
	v_cndmask_b32_e32 v26, v29, v26, vcc
	v_add_u32_e32 v27, v28, v27
	v_and_b32_e32 v30, 1, v26
	v_mov_b32_dpp v28, v26 row_bcast:31 row_mask:0xf bank_mask:0xf
	v_and_b32_e32 v28, 1, v28
	v_cmp_eq_u32_e64 s[4:5], 1, v30
	v_cmp_eq_u32_e32 vcc, 0, v26
	v_cndmask_b32_e64 v28, v28, 1, s[4:5]
	v_cmp_lt_u32_e64 s[4:5], 31, v46
	v_mov_b32_dpp v29, v27 row_bcast:31 row_mask:0xf bank_mask:0xf
	s_and_b64 vcc, s[4:5], vcc
	v_cndmask_b32_e64 v28, v26, v28, s[4:5]
	v_cndmask_b32_e32 v26, 0, v29, vcc
	v_add_u32_e32 v29, v26, v27
	v_cmp_eq_u32_e32 vcc, v51, v0
	s_and_saveexec_b64 s[4:5], vcc
	s_cbranch_execz .LBB2227_95
; %bb.94:
	v_lshlrev_b32_e32 v26, 3, v1
	ds_write_b32 v26, v29
	ds_write_b8 v26, v28 offset:4
.LBB2227_95:
	s_or_b64 exec, exec, s[4:5]
	v_cmp_gt_u32_e32 vcc, 4, v0
	s_waitcnt lgkmcnt(0)
	s_barrier
	s_and_saveexec_b64 s[4:5], vcc
	s_cbranch_execz .LBB2227_99
; %bb.96:
	v_lshlrev_b32_e32 v30, 3, v0
	ds_read_b64 v[26:27], v30
	v_and_b32_e32 v31, 3, v46
	v_cmp_ne_u32_e32 vcc, 0, v31
	s_waitcnt lgkmcnt(0)
	v_mov_b32_dpp v32, v26 row_shr:1 row_mask:0xf bank_mask:0xf
	v_mov_b32_dpp v34, v27 row_shr:1 row_mask:0xf bank_mask:0xf
	v_mov_b32_e32 v33, v27
	s_and_saveexec_b64 s[34:35], vcc
	s_cbranch_execz .LBB2227_98
; %bb.97:
	v_and_b32_e32 v33, 1, v27
	v_and_b32_e32 v34, 1, v34
	v_cmp_eq_u32_e32 vcc, 1, v33
	v_mov_b32_e32 v33, 0
	v_cndmask_b32_e64 v34, v34, 1, vcc
	v_cmp_eq_u16_sdwa vcc, v27, v33 src0_sel:BYTE_0 src1_sel:DWORD
	v_cndmask_b32_e32 v32, 0, v32, vcc
	v_add_u32_e32 v26, v32, v26
	v_and_b32_e32 v32, 0xffff, v34
	s_movk_i32 s42, 0xff00
	v_and_or_b32 v33, v27, s42, v32
	v_mov_b32_e32 v27, v34
.LBB2227_98:
	s_or_b64 exec, exec, s[34:35]
	v_mov_b32_dpp v33, v33 row_shr:2 row_mask:0xf bank_mask:0xf
	v_and_b32_e32 v34, 1, v27
	v_and_b32_e32 v33, 1, v33
	v_cmp_eq_u32_e32 vcc, 1, v34
	v_mov_b32_e32 v34, 0
	v_cndmask_b32_e64 v33, v33, 1, vcc
	v_cmp_eq_u16_sdwa s[34:35], v27, v34 src0_sel:BYTE_0 src1_sel:DWORD
	v_cmp_lt_u32_e32 vcc, 1, v31
	v_mov_b32_dpp v32, v26 row_shr:2 row_mask:0xf bank_mask:0xf
	v_cndmask_b32_e32 v27, v27, v33, vcc
	s_and_b64 vcc, vcc, s[34:35]
	v_cndmask_b32_e32 v31, 0, v32, vcc
	v_add_u32_e32 v26, v31, v26
	ds_write_b32 v30, v26
	ds_write_b8 v30, v27 offset:4
.LBB2227_99:
	s_or_b64 exec, exec, s[4:5]
	v_cmp_gt_u32_e32 vcc, 64, v0
	v_cmp_lt_u32_e64 s[4:5], 63, v0
	v_mov_b32_e32 v42, 0
	v_mov_b32_e32 v43, 0
	s_waitcnt lgkmcnt(0)
	s_barrier
	s_and_saveexec_b64 s[34:35], s[4:5]
	s_cbranch_execz .LBB2227_101
; %bb.100:
	v_lshl_add_u32 v26, v1, 3, -8
	ds_read_b32 v42, v26
	ds_read_u8 v43, v26 offset:4
	v_and_b32_e32 v27, 1, v28
	v_cmp_eq_u32_e64 s[4:5], 0, v28
	s_waitcnt lgkmcnt(1)
	v_cndmask_b32_e64 v26, 0, v42, s[4:5]
	v_cmp_eq_u32_e64 s[4:5], 1, v27
	v_add_u32_e32 v29, v26, v29
	s_waitcnt lgkmcnt(0)
	v_cndmask_b32_e64 v28, v43, 1, s[4:5]
.LBB2227_101:
	s_or_b64 exec, exec, s[34:35]
	v_add_u32_e32 v26, -1, v46
	v_and_b32_e32 v27, 64, v46
	v_cmp_lt_i32_e64 s[4:5], v26, v27
	v_cndmask_b32_e64 v26, v26, v46, s[4:5]
	v_lshlrev_b32_e32 v26, 2, v26
	ds_bpermute_b32 v44, v26, v29
	ds_bpermute_b32 v45, v26, v28
	v_cmp_eq_u32_e64 s[34:35], 0, v46
	s_and_saveexec_b64 s[42:43], vcc
	s_cbranch_execz .LBB2227_120
; %bb.102:
	v_mov_b32_e32 v29, 0
	ds_read_b64 v[26:27], v29 offset:24
	s_waitcnt lgkmcnt(0)
	v_readfirstlane_b32 s52, v27
	s_and_saveexec_b64 s[4:5], s[34:35]
	s_cbranch_execz .LBB2227_104
; %bb.103:
	s_add_i32 s44, s59, 64
	s_mov_b32 s45, 0
	s_lshl_b64 s[48:49], s[44:45], 4
	s_add_u32 s48, s56, s48
	s_addc_u32 s49, s57, s49
	s_and_b32 s55, s52, 0xff000000
	s_mov_b32 s54, s45
	s_and_b32 s63, s52, 0xff0000
	s_mov_b32 s62, s45
	s_or_b64 s[54:55], s[62:63], s[54:55]
	s_and_b32 s63, s52, 0xff00
	s_or_b64 s[54:55], s[54:55], s[62:63]
	s_and_b32 s63, s52, 0xff
	s_or_b64 s[44:45], s[54:55], s[62:63]
	v_mov_b32_e32 v27, s45
	v_mov_b32_e32 v28, 1
	v_pk_mov_b32 v[30:31], s[48:49], s[48:49] op_sel:[0,1]
	;;#ASMSTART
	global_store_dwordx4 v[30:31], v[26:29] off	
s_waitcnt vmcnt(0)
	;;#ASMEND
.LBB2227_104:
	s_or_b64 exec, exec, s[4:5]
	v_xad_u32 v34, v46, -1, s59
	v_add_u32_e32 v28, 64, v34
	v_lshlrev_b64 v[30:31], 4, v[28:29]
	v_mov_b32_e32 v27, s57
	v_add_co_u32_e32 v36, vcc, s56, v30
	v_addc_co_u32_e32 v37, vcc, v27, v31, vcc
	;;#ASMSTART
	global_load_dwordx4 v[30:33], v[36:37] off glc	
s_waitcnt vmcnt(0)
	;;#ASMEND
	v_and_b32_e32 v27, 0xff0000, v30
	v_or_b32_sdwa v27, v30, v27 dst_sel:DWORD dst_unused:UNUSED_PAD src0_sel:WORD_0 src1_sel:DWORD
	v_and_b32_e32 v28, 0xff000000, v30
	v_and_b32_e32 v30, 0xff, v31
	v_or3_b32 v31, 0, 0, v30
	v_or3_b32 v30, v27, v28, 0
	v_cmp_eq_u16_sdwa s[44:45], v32, v29 src0_sel:BYTE_0 src1_sel:DWORD
	s_and_saveexec_b64 s[4:5], s[44:45]
	s_cbranch_execz .LBB2227_108
; %bb.105:
	s_mov_b64 s[44:45], 0
	v_mov_b32_e32 v27, 0
.LBB2227_106:                           ; =>This Inner Loop Header: Depth=1
	;;#ASMSTART
	global_load_dwordx4 v[30:33], v[36:37] off glc	
s_waitcnt vmcnt(0)
	;;#ASMEND
	v_cmp_ne_u16_sdwa s[48:49], v32, v27 src0_sel:BYTE_0 src1_sel:DWORD
	s_or_b64 s[44:45], s[48:49], s[44:45]
	s_andn2_b64 exec, exec, s[44:45]
	s_cbranch_execnz .LBB2227_106
; %bb.107:
	s_or_b64 exec, exec, s[44:45]
	v_and_b32_e32 v31, 0xff, v31
.LBB2227_108:
	s_or_b64 exec, exec, s[4:5]
	v_mov_b32_e32 v27, 2
	v_cmp_eq_u16_sdwa s[4:5], v32, v27 src0_sel:BYTE_0 src1_sel:DWORD
	v_lshlrev_b64 v[28:29], v46, -1
	v_and_b32_e32 v33, s5, v29
	v_or_b32_e32 v33, 0x80000000, v33
	v_and_b32_e32 v35, s4, v28
	v_ffbl_b32_e32 v33, v33
	v_and_b32_e32 v47, 63, v46
	v_add_u32_e32 v33, 32, v33
	v_ffbl_b32_e32 v35, v35
	v_cmp_ne_u32_e32 vcc, 63, v47
	v_min_u32_e32 v33, v35, v33
	v_addc_co_u32_e32 v35, vcc, 0, v46, vcc
	v_lshlrev_b32_e32 v48, 2, v35
	ds_bpermute_b32 v35, v48, v31
	ds_bpermute_b32 v36, v48, v30
	s_mov_b32 s44, 0
	v_and_b32_e32 v37, 1, v31
	s_mov_b32 s45, 1
	s_waitcnt lgkmcnt(1)
	v_and_b32_e32 v35, 1, v35
	v_cmp_eq_u32_e32 vcc, 1, v37
	v_cndmask_b32_e64 v35, v35, 1, vcc
	v_cmp_gt_u64_e32 vcc, s[44:45], v[30:31]
	v_cmp_lt_u32_e64 s[4:5], v47, v33
	s_and_b64 vcc, s[4:5], vcc
	v_and_b32_e32 v37, 0xffff, v35
	v_cndmask_b32_e64 v54, v31, v35, s[4:5]
	s_waitcnt lgkmcnt(0)
	v_cndmask_b32_e32 v35, 0, v36, vcc
	v_cmp_gt_u32_e32 vcc, 62, v47
	v_cndmask_b32_e64 v36, 0, 1, vcc
	v_lshlrev_b32_e32 v36, 1, v36
	v_cndmask_b32_e64 v31, v31, v37, s[4:5]
	v_add_lshl_u32 v49, v36, v46, 2
	ds_bpermute_b32 v36, v49, v31
	v_add_u32_e32 v30, v35, v30
	ds_bpermute_b32 v37, v49, v30
	v_and_b32_e32 v35, 1, v54
	v_cmp_eq_u32_e32 vcc, 1, v35
	s_waitcnt lgkmcnt(1)
	v_and_b32_e32 v36, 1, v36
	v_mov_b32_e32 v35, 0
	v_add_u32_e32 v53, 2, v47
	v_cndmask_b32_e64 v36, v36, 1, vcc
	v_cmp_eq_u16_sdwa vcc, v54, v35 src0_sel:BYTE_0 src1_sel:DWORD
	v_and_b32_e32 v55, 0xffff, v36
	s_waitcnt lgkmcnt(0)
	v_cndmask_b32_e32 v37, 0, v37, vcc
	v_cmp_gt_u32_e32 vcc, v53, v33
	v_cndmask_b32_e32 v36, v36, v54, vcc
	v_cndmask_b32_e64 v37, v37, 0, vcc
	v_cndmask_b32_e32 v31, v55, v31, vcc
	v_cmp_gt_u32_e32 vcc, 60, v47
	v_cndmask_b32_e64 v54, 0, 1, vcc
	v_lshlrev_b32_e32 v54, 2, v54
	v_add_lshl_u32 v54, v54, v46, 2
	ds_bpermute_b32 v56, v54, v31
	v_add_u32_e32 v30, v37, v30
	ds_bpermute_b32 v37, v54, v30
	v_and_b32_e32 v57, 1, v36
	v_cmp_eq_u32_e32 vcc, 1, v57
	s_waitcnt lgkmcnt(1)
	v_and_b32_e32 v56, 1, v56
	v_add_u32_e32 v55, 4, v47
	v_cndmask_b32_e64 v56, v56, 1, vcc
	v_cmp_eq_u16_sdwa vcc, v36, v35 src0_sel:BYTE_0 src1_sel:DWORD
	v_and_b32_e32 v57, 0xffff, v56
	s_waitcnt lgkmcnt(0)
	v_cndmask_b32_e32 v37, 0, v37, vcc
	v_cmp_gt_u32_e32 vcc, v55, v33
	v_cndmask_b32_e32 v36, v56, v36, vcc
	v_cndmask_b32_e64 v37, v37, 0, vcc
	v_cndmask_b32_e32 v31, v57, v31, vcc
	v_cmp_gt_u32_e32 vcc, 56, v47
	v_cndmask_b32_e64 v56, 0, 1, vcc
	v_lshlrev_b32_e32 v56, 3, v56
	v_add_lshl_u32 v56, v56, v46, 2
	ds_bpermute_b32 v58, v56, v31
	v_add_u32_e32 v30, v37, v30
	ds_bpermute_b32 v37, v56, v30
	v_and_b32_e32 v59, 1, v36
	v_cmp_eq_u32_e32 vcc, 1, v59
	s_waitcnt lgkmcnt(1)
	v_and_b32_e32 v58, 1, v58
	;; [unrolled: 21-line block ×4, first 2 shown]
	v_add_u32_e32 v62, 32, v47
	v_cndmask_b32_e64 v31, v31, 1, vcc
	v_cmp_eq_u16_sdwa vcc, v36, v35 src0_sel:BYTE_0 src1_sel:DWORD
	s_waitcnt lgkmcnt(0)
	v_cndmask_b32_e32 v37, 0, v37, vcc
	v_cmp_gt_u32_e32 vcc, v62, v33
	v_cndmask_b32_e64 v33, v37, 0, vcc
	v_cndmask_b32_e32 v31, v31, v36, vcc
	v_add_u32_e32 v30, v33, v30
	s_branch .LBB2227_110
.LBB2227_109:                           ;   in Loop: Header=BB2227_110 Depth=1
	s_or_b64 exec, exec, s[4:5]
	v_cmp_eq_u16_sdwa s[4:5], v32, v27 src0_sel:BYTE_0 src1_sel:DWORD
	v_and_b32_e32 v33, s5, v29
	ds_bpermute_b32 v37, v48, v31
	v_or_b32_e32 v33, 0x80000000, v33
	v_and_b32_e32 v36, s4, v28
	v_ffbl_b32_e32 v33, v33
	v_add_u32_e32 v33, 32, v33
	v_ffbl_b32_e32 v36, v36
	v_min_u32_e32 v33, v36, v33
	ds_bpermute_b32 v36, v48, v30
	v_and_b32_e32 v63, 1, v31
	s_waitcnt lgkmcnt(1)
	v_and_b32_e32 v37, 1, v37
	v_cmp_eq_u32_e32 vcc, 1, v63
	v_cndmask_b32_e64 v37, v37, 1, vcc
	v_cmp_gt_u64_e32 vcc, s[44:45], v[30:31]
	v_and_b32_e32 v63, 0xffff, v37
	v_cmp_lt_u32_e64 s[4:5], v47, v33
	v_cndmask_b32_e64 v37, v31, v37, s[4:5]
	v_cndmask_b32_e64 v31, v31, v63, s[4:5]
	s_and_b64 vcc, s[4:5], vcc
	ds_bpermute_b32 v63, v49, v31
	s_waitcnt lgkmcnt(1)
	v_cndmask_b32_e32 v36, 0, v36, vcc
	v_add_u32_e32 v30, v36, v30
	ds_bpermute_b32 v36, v49, v30
	v_and_b32_e32 v64, 1, v37
	s_waitcnt lgkmcnt(1)
	v_and_b32_e32 v63, 1, v63
	v_cmp_eq_u32_e32 vcc, 1, v64
	v_cndmask_b32_e64 v63, v63, 1, vcc
	v_cmp_eq_u16_sdwa vcc, v37, v35 src0_sel:BYTE_0 src1_sel:DWORD
	v_and_b32_e32 v64, 0xffff, v63
	s_waitcnt lgkmcnt(0)
	v_cndmask_b32_e32 v36, 0, v36, vcc
	v_cmp_gt_u32_e32 vcc, v53, v33
	v_cndmask_b32_e32 v31, v64, v31, vcc
	v_cndmask_b32_e32 v37, v63, v37, vcc
	ds_bpermute_b32 v63, v54, v31
	v_cndmask_b32_e64 v36, v36, 0, vcc
	v_add_u32_e32 v30, v36, v30
	ds_bpermute_b32 v36, v54, v30
	v_and_b32_e32 v64, 1, v37
	s_waitcnt lgkmcnt(1)
	v_and_b32_e32 v63, 1, v63
	v_cmp_eq_u32_e32 vcc, 1, v64
	v_cndmask_b32_e64 v63, v63, 1, vcc
	v_cmp_eq_u16_sdwa vcc, v37, v35 src0_sel:BYTE_0 src1_sel:DWORD
	v_and_b32_e32 v64, 0xffff, v63
	s_waitcnt lgkmcnt(0)
	v_cndmask_b32_e32 v36, 0, v36, vcc
	v_cmp_gt_u32_e32 vcc, v55, v33
	v_cndmask_b32_e32 v31, v64, v31, vcc
	v_cndmask_b32_e32 v37, v63, v37, vcc
	ds_bpermute_b32 v63, v56, v31
	v_cndmask_b32_e64 v36, v36, 0, vcc
	;; [unrolled: 16-line block ×3, first 2 shown]
	v_add_u32_e32 v30, v36, v30
	ds_bpermute_b32 v36, v58, v30
	v_and_b32_e32 v64, 1, v37
	s_waitcnt lgkmcnt(1)
	v_and_b32_e32 v63, 1, v63
	v_cmp_eq_u32_e32 vcc, 1, v64
	v_cndmask_b32_e64 v63, v63, 1, vcc
	v_cmp_eq_u16_sdwa vcc, v37, v35 src0_sel:BYTE_0 src1_sel:DWORD
	v_and_b32_e32 v64, 0xffff, v63
	s_waitcnt lgkmcnt(0)
	v_cndmask_b32_e32 v36, 0, v36, vcc
	v_cmp_gt_u32_e32 vcc, v59, v33
	v_cndmask_b32_e64 v36, v36, 0, vcc
	v_cndmask_b32_e32 v31, v64, v31, vcc
	ds_bpermute_b32 v31, v61, v31
	v_add_u32_e32 v30, v36, v30
	ds_bpermute_b32 v36, v61, v30
	v_cndmask_b32_e32 v37, v63, v37, vcc
	v_and_b32_e32 v63, 1, v37
	v_cmp_eq_u32_e32 vcc, 1, v63
	s_waitcnt lgkmcnt(1)
	v_cndmask_b32_e64 v31, v31, 1, vcc
	v_cmp_eq_u16_sdwa vcc, v37, v35 src0_sel:BYTE_0 src1_sel:DWORD
	s_waitcnt lgkmcnt(0)
	v_cndmask_b32_e32 v36, 0, v36, vcc
	v_cmp_gt_u32_e32 vcc, v62, v33
	v_cndmask_b32_e64 v33, v36, 0, vcc
	v_cndmask_b32_e32 v31, v31, v37, vcc
	v_add_u32_e32 v30, v33, v30
	v_cmp_eq_u16_sdwa vcc, v46, v35 src0_sel:BYTE_0 src1_sel:DWORD
	v_and_b32_e32 v33, 1, v46
	v_cndmask_b32_e32 v30, 0, v30, vcc
	v_and_b32_e32 v31, 1, v31
	v_cmp_eq_u32_e32 vcc, 1, v33
	v_subrev_u32_e32 v34, 64, v34
	v_add_u32_e32 v30, v30, v60
	v_cndmask_b32_e64 v31, v31, 1, vcc
.LBB2227_110:                           ; =>This Loop Header: Depth=1
                                        ;     Child Loop BB2227_113 Depth 2
	v_cmp_ne_u16_sdwa s[4:5], v32, v27 src0_sel:BYTE_0 src1_sel:DWORD
	v_mov_b32_e32 v46, v31
	v_cndmask_b32_e64 v31, 0, 1, s[4:5]
	;;#ASMSTART
	;;#ASMEND
	v_cmp_ne_u32_e32 vcc, 0, v31
	s_cmp_lg_u64 vcc, exec
	v_mov_b32_e32 v60, v30
	s_cbranch_scc1 .LBB2227_115
; %bb.111:                              ;   in Loop: Header=BB2227_110 Depth=1
	v_lshlrev_b64 v[30:31], 4, v[34:35]
	v_mov_b32_e32 v32, s57
	v_add_co_u32_e32 v36, vcc, s56, v30
	v_addc_co_u32_e32 v37, vcc, v32, v31, vcc
	;;#ASMSTART
	global_load_dwordx4 v[30:33], v[36:37] off glc	
s_waitcnt vmcnt(0)
	;;#ASMEND
	v_and_b32_e32 v33, 0xff0000, v30
	v_or_b32_sdwa v33, v30, v33 dst_sel:DWORD dst_unused:UNUSED_PAD src0_sel:WORD_0 src1_sel:DWORD
	v_and_b32_e32 v30, 0xff000000, v30
	v_and_b32_e32 v31, 0xff, v31
	v_or3_b32 v31, 0, 0, v31
	v_or3_b32 v30, v33, v30, 0
	v_cmp_eq_u16_sdwa s[48:49], v32, v35 src0_sel:BYTE_0 src1_sel:DWORD
	s_and_saveexec_b64 s[4:5], s[48:49]
	s_cbranch_execz .LBB2227_109
; %bb.112:                              ;   in Loop: Header=BB2227_110 Depth=1
	s_mov_b64 s[48:49], 0
.LBB2227_113:                           ;   Parent Loop BB2227_110 Depth=1
                                        ; =>  This Inner Loop Header: Depth=2
	;;#ASMSTART
	global_load_dwordx4 v[30:33], v[36:37] off glc	
s_waitcnt vmcnt(0)
	;;#ASMEND
	v_cmp_ne_u16_sdwa s[54:55], v32, v35 src0_sel:BYTE_0 src1_sel:DWORD
	s_or_b64 s[48:49], s[54:55], s[48:49]
	s_andn2_b64 exec, exec, s[48:49]
	s_cbranch_execnz .LBB2227_113
; %bb.114:                              ;   in Loop: Header=BB2227_110 Depth=1
	s_or_b64 exec, exec, s[48:49]
	v_and_b32_e32 v31, 0xff, v31
	s_branch .LBB2227_109
.LBB2227_115:                           ;   in Loop: Header=BB2227_110 Depth=1
                                        ; implicit-def: $vgpr31
                                        ; implicit-def: $vgpr30
                                        ; implicit-def: $vgpr32
	s_cbranch_execz .LBB2227_110
; %bb.116:
	s_and_saveexec_b64 s[4:5], s[34:35]
	s_cbranch_execz .LBB2227_118
; %bb.117:
	s_and_b32 s44, s52, 0xff
	s_cmp_eq_u32 s44, 0
	s_cselect_b64 vcc, -1, 0
	s_bitcmp1_b32 s52, 0
	s_mov_b32 s45, 0
	s_cselect_b64 s[48:49], -1, 0
	s_add_i32 s44, s59, 64
	s_lshl_b64 s[44:45], s[44:45], 4
	v_cndmask_b32_e32 v27, 0, v60, vcc
	s_add_u32 s44, s56, s44
	v_add_u32_e32 v26, v27, v26
	v_and_b32_e32 v27, 1, v46
	s_addc_u32 s45, s57, s45
	v_mov_b32_e32 v29, 0
	v_cndmask_b32_e64 v27, v27, 1, s[48:49]
	v_mov_b32_e32 v28, 2
	v_pk_mov_b32 v[30:31], s[44:45], s[44:45] op_sel:[0,1]
	;;#ASMSTART
	global_store_dwordx4 v[30:31], v[26:29] off	
s_waitcnt vmcnt(0)
	;;#ASMEND
.LBB2227_118:
	s_or_b64 exec, exec, s[4:5]
	s_and_b64 exec, exec, s[0:1]
	s_cbranch_execz .LBB2227_120
; %bb.119:
	v_mov_b32_e32 v26, 0
	ds_write_b32 v26, v60 offset:24
	ds_write_b8 v26, v46 offset:28
.LBB2227_120:
	s_or_b64 exec, exec, s[42:43]
	s_mov_b32 s4, 0
	v_mov_b32_e32 v28, 0
	s_mov_b32 s5, 1
	s_waitcnt lgkmcnt(0)
	v_cndmask_b32_e64 v26, v45, v43, s[34:35]
	v_cndmask_b32_e64 v27, v44, v42, s[34:35]
	s_barrier
	ds_read_b32 v29, v28 offset:24
	v_cmp_gt_u64_e32 vcc, s[4:5], v[38:39]
	v_and_b32_e32 v30, 1, v39
	v_cndmask_b32_e32 v27, 0, v27, vcc
	v_and_b32_e32 v26, 1, v26
	v_cmp_eq_u32_e32 vcc, 1, v30
	v_cndmask_b32_e64 v26, v26, 1, vcc
	v_cndmask_b32_e64 v26, v26, v39, s[0:1]
	v_cmp_eq_u16_sdwa vcc, v26, v28 src0_sel:BYTE_0 src1_sel:DWORD
	v_cndmask_b32_e64 v27, v27, 0, s[0:1]
	s_waitcnt lgkmcnt(0)
	v_cndmask_b32_e32 v26, 0, v29, vcc
	v_add3_u32 v26, v27, v38, v26
	v_cndmask_b32_e64 v27, 0, v26, s[6:7]
	v_add_u32_e32 v27, v27, v2
	v_cndmask_b32_e64 v28, 0, v27, s[8:9]
	v_add_u32_e32 v42, v28, v4
	;; [unrolled: 2-line block ×13, first 2 shown]
	s_branch .LBB2227_137
.LBB2227_121:
                                        ; implicit-def: $vgpr49
                                        ; implicit-def: $vgpr47
                                        ; implicit-def: $vgpr45
                                        ; implicit-def: $vgpr43
                                        ; implicit-def: $vgpr34_vgpr35_vgpr36_vgpr37
                                        ; implicit-def: $vgpr30_vgpr31_vgpr32_vgpr33
                                        ; implicit-def: $vgpr26_vgpr27_vgpr28_vgpr29
	s_cbranch_execz .LBB2227_137
; %bb.122:
	s_cmp_lg_u64 s[60:61], 0
	s_cselect_b32 s9, s51, 0
	s_cselect_b32 s8, s50, 0
	s_cmp_lg_u64 s[8:9], 0
	s_cselect_b64 s[6:7], -1, 0
	s_mov_b32 s4, 0
	s_and_b64 s[10:11], s[0:1], s[6:7]
	s_and_saveexec_b64 s[6:7], s[10:11]
	s_cbranch_execz .LBB2227_124
; %bb.123:
	v_mov_b32_e32 v26, 0
	global_load_dword v28, v26, s[8:9]
	global_load_ubyte v29, v26, s[8:9] offset:4
	s_mov_b32 s5, 1
	v_and_b32_e32 v27, 1, v39
	v_cmp_gt_u64_e32 vcc, s[4:5], v[38:39]
	s_waitcnt vmcnt(1)
	v_cndmask_b32_e32 v28, 0, v28, vcc
	s_waitcnt vmcnt(0)
	v_and_b32_e32 v29, 1, v29
	v_cmp_eq_u64_e32 vcc, 0, v[26:27]
	v_add_u32_e32 v38, v28, v38
	v_cndmask_b32_e32 v39, 1, v29, vcc
.LBB2227_124:
	s_or_b64 exec, exec, s[6:7]
	s_mov_b32 s5, 1
	v_cmp_gt_u64_e32 vcc, s[4:5], v[2:3]
	v_cndmask_b32_e32 v26, 0, v38, vcc
	v_add_u32_e32 v27, v26, v2
	v_cmp_gt_u64_e64 s[6:7], s[4:5], v[4:5]
	v_cndmask_b32_e64 v26, 0, v27, s[6:7]
	v_add_u32_e32 v42, v26, v4
	v_cmp_gt_u64_e64 s[8:9], s[4:5], v[6:7]
	v_cndmask_b32_e64 v26, 0, v42, s[8:9]
	;; [unrolled: 3-line block ×6, first 2 shown]
	v_add_u32_e32 v45, v26, v14
	v_cmp_gt_u64_e64 s[18:19], s[4:5], v[16:17]
	v_mov_b32_e32 v28, 0
	v_cndmask_b32_e64 v26, 0, v45, s[18:19]
	v_or3_b32 v7, v23, v15, v7
	v_add_u32_e32 v34, v26, v16
	v_cmp_gt_u64_e64 s[20:21], s[4:5], v[18:19]
	v_or3_b32 v9, v25, v17, v9
	v_and_b32_e32 v55, 1, v7
	v_mov_b32_e32 v54, v28
	v_cndmask_b32_e64 v26, 0, v34, s[20:21]
	v_or3_b32 v3, v19, v11, v3
	v_and_b32_e32 v37, 1, v9
	v_mov_b32_e32 v36, v28
	v_cmp_ne_u64_e64 s[30:31], 0, v[54:55]
	v_add_u32_e32 v35, v26, v18
	v_cmp_gt_u64_e64 s[22:23], s[4:5], v[20:21]
	v_or3_b32 v5, v21, v13, v5
	v_and_b32_e32 v29, 1, v3
	v_cndmask_b32_e64 v3, 0, 1, s[30:31]
	v_cmp_ne_u64_e64 s[30:31], 0, v[36:37]
	v_cndmask_b32_e64 v26, 0, v35, s[22:23]
	v_and_b32_e32 v33, 1, v5
	v_mov_b32_e32 v32, v28
	v_cndmask_b32_e64 v5, 0, 1, s[30:31]
	v_add_u32_e32 v46, v26, v20
	v_cmp_gt_u64_e64 s[24:25], s[4:5], v[22:23]
	v_lshlrev_b16_e32 v3, 2, v3
	v_lshlrev_b16_e32 v5, 3, v5
	v_cmp_ne_u64_e64 s[30:31], 0, v[32:33]
	v_cndmask_b32_e64 v26, 0, v46, s[24:25]
	v_or_b32_e32 v3, v5, v3
	v_cndmask_b32_e64 v5, 0, 1, s[30:31]
	v_cmp_ne_u64_e64 s[30:31], 0, v[28:29]
	v_add_u32_e32 v47, v26, v22
	v_cmp_gt_u64_e64 s[26:27], s[4:5], v[24:25]
	v_lshlrev_b16_e32 v5, 1, v5
	v_cndmask_b32_e64 v7, 0, 1, s[30:31]
	v_cndmask_b32_e64 v26, 0, v47, s[26:27]
	v_or_b32_e32 v5, v7, v5
	v_add_u32_e32 v48, v26, v24
	v_cmp_gt_u64_e64 s[28:29], s[4:5], v[40:41]
	v_and_b32_e32 v5, 3, v5
	v_cndmask_b32_e64 v26, 0, v48, s[28:29]
	v_or_b32_e32 v3, v5, v3
	v_add_u32_e32 v49, v26, v40
	v_and_b32_e32 v26, 1, v41
	v_and_b32_e32 v3, 15, v3
	v_cmp_eq_u32_e64 s[4:5], 1, v26
	v_cmp_ne_u16_e64 s[30:31], 0, v3
	s_or_b64 s[4:5], s[4:5], s[30:31]
	v_cndmask_b32_e64 v5, v39, 1, s[4:5]
	v_mbcnt_hi_u32_b32 v3, -1, v52
	v_mov_b32_dpp v9, v49 row_shr:1 row_mask:0xf bank_mask:0xf
	v_mov_b32_dpp v11, v5 row_shr:1 row_mask:0xf bank_mask:0xf
	v_cmp_eq_u32_e64 s[4:5], 0, v5
	v_and_b32_e32 v13, 1, v5
	v_and_b32_e32 v7, 15, v3
	v_cndmask_b32_e64 v9, 0, v9, s[4:5]
	v_and_b32_e32 v11, 1, v11
	v_cmp_eq_u32_e64 s[4:5], 1, v13
	v_cndmask_b32_e64 v11, v11, 1, s[4:5]
	v_cmp_eq_u32_e64 s[4:5], 0, v7
	v_cndmask_b32_e64 v5, v11, v5, s[4:5]
	v_and_b32_e32 v15, 1, v5
	v_cmp_eq_u32_e64 s[30:31], 1, v15
	v_mov_b32_dpp v13, v5 row_shr:2 row_mask:0xf bank_mask:0xf
	v_and_b32_e32 v13, 1, v13
	v_cndmask_b32_e64 v13, v13, 1, s[30:31]
	v_cmp_lt_u32_e64 s[30:31], 1, v7
	v_cndmask_b32_e64 v9, v9, 0, s[4:5]
	v_cmp_eq_u32_e64 s[4:5], 0, v5
	v_cndmask_b32_e64 v5, v5, v13, s[30:31]
	v_add_u32_e32 v9, v49, v9
	v_and_b32_e32 v15, 1, v5
	v_mov_b32_dpp v13, v5 row_shr:4 row_mask:0xf bank_mask:0xf
	v_mov_b32_dpp v11, v9 row_shr:2 row_mask:0xf bank_mask:0xf
	s_and_b64 s[4:5], s[30:31], s[4:5]
	v_and_b32_e32 v13, 1, v13
	v_cmp_eq_u32_e64 s[30:31], 1, v15
	v_cndmask_b32_e64 v11, 0, v11, s[4:5]
	v_cndmask_b32_e64 v13, v13, 1, s[30:31]
	v_cmp_lt_u32_e64 s[30:31], 3, v7
	v_add_u32_e32 v9, v9, v11
	v_cmp_eq_u32_e64 s[4:5], 0, v5
	v_cndmask_b32_e64 v5, v5, v13, s[30:31]
	v_mov_b32_dpp v11, v9 row_shr:4 row_mask:0xf bank_mask:0xf
	s_and_b64 s[4:5], s[30:31], s[4:5]
	v_mov_b32_dpp v13, v5 row_shr:8 row_mask:0xf bank_mask:0xf
	v_and_b32_e32 v15, 1, v5
	v_cndmask_b32_e64 v11, 0, v11, s[4:5]
	v_and_b32_e32 v13, 1, v13
	v_cmp_eq_u32_e64 s[30:31], 1, v15
	v_add_u32_e32 v9, v9, v11
	v_cmp_eq_u32_e64 s[4:5], 0, v5
	v_cndmask_b32_e64 v13, v13, 1, s[30:31]
	v_cmp_lt_u32_e64 s[30:31], 7, v7
	v_mov_b32_dpp v11, v9 row_shr:8 row_mask:0xf bank_mask:0xf
	s_and_b64 s[4:5], s[30:31], s[4:5]
	v_cndmask_b32_e64 v7, 0, v11, s[4:5]
	v_cndmask_b32_e64 v5, v5, v13, s[30:31]
	v_add_u32_e32 v7, v9, v7
	v_cmp_eq_u32_e64 s[4:5], 0, v5
	v_mov_b32_dpp v11, v5 row_bcast:15 row_mask:0xf bank_mask:0xf
	v_mov_b32_dpp v9, v7 row_bcast:15 row_mask:0xf bank_mask:0xf
	v_and_b32_e32 v17, 1, v5
	v_and_b32_e32 v15, 16, v3
	v_cndmask_b32_e64 v9, 0, v9, s[4:5]
	v_and_b32_e32 v11, 1, v11
	v_cmp_eq_u32_e64 s[4:5], 1, v17
	v_bfe_i32 v13, v3, 4, 1
	v_cndmask_b32_e64 v11, v11, 1, s[4:5]
	v_cmp_eq_u32_e64 s[4:5], 0, v15
	v_and_b32_e32 v9, v13, v9
	v_cndmask_b32_e64 v5, v11, v5, s[4:5]
	v_add_u32_e32 v9, v7, v9
	v_and_b32_e32 v13, 1, v5
	v_mov_b32_dpp v7, v5 row_bcast:31 row_mask:0xf bank_mask:0xf
	v_and_b32_e32 v7, 1, v7
	v_cmp_eq_u32_e64 s[30:31], 1, v13
	v_cmp_eq_u32_e64 s[4:5], 0, v5
	v_cndmask_b32_e64 v7, v7, 1, s[30:31]
	v_cmp_lt_u32_e64 s[30:31], 31, v3
	v_mov_b32_dpp v11, v9 row_bcast:31 row_mask:0xf bank_mask:0xf
	s_and_b64 s[4:5], s[30:31], s[4:5]
	v_cndmask_b32_e64 v7, v5, v7, s[30:31]
	v_cndmask_b32_e64 v5, 0, v11, s[4:5]
	v_add_u32_e32 v5, v9, v5
	v_cmp_eq_u32_e64 s[4:5], v51, v0
	s_and_saveexec_b64 s[30:31], s[4:5]
	s_cbranch_execz .LBB2227_126
; %bb.125:
	v_lshlrev_b32_e32 v9, 3, v1
	ds_write_b32 v9, v5
	ds_write_b8 v9, v7 offset:4
.LBB2227_126:
	s_or_b64 exec, exec, s[30:31]
	v_cmp_gt_u32_e64 s[4:5], 4, v0
	s_waitcnt lgkmcnt(0)
	s_barrier
	s_and_saveexec_b64 s[30:31], s[4:5]
	s_cbranch_execz .LBB2227_130
; %bb.127:
	v_lshlrev_b32_e32 v9, 3, v0
	ds_read_b64 v[28:29], v9
	v_and_b32_e32 v11, 3, v3
	v_cmp_ne_u32_e64 s[4:5], 0, v11
	s_waitcnt lgkmcnt(0)
	v_mov_b32_dpp v13, v28 row_shr:1 row_mask:0xf bank_mask:0xf
	v_mov_b32_dpp v17, v29 row_shr:1 row_mask:0xf bank_mask:0xf
	v_mov_b32_e32 v15, v29
	s_and_saveexec_b64 s[34:35], s[4:5]
	s_cbranch_execz .LBB2227_129
; %bb.128:
	v_and_b32_e32 v15, 1, v29
	v_and_b32_e32 v17, 1, v17
	v_cmp_eq_u32_e64 s[4:5], 1, v15
	v_mov_b32_e32 v15, 0
	v_cndmask_b32_e64 v17, v17, 1, s[4:5]
	v_cmp_eq_u16_sdwa s[4:5], v29, v15 src0_sel:BYTE_0 src1_sel:DWORD
	v_cndmask_b32_e64 v13, 0, v13, s[4:5]
	v_add_u32_e32 v28, v13, v28
	v_and_b32_e32 v13, 0xffff, v17
	s_movk_i32 s4, 0xff00
	v_and_or_b32 v15, v29, s4, v13
	v_mov_b32_e32 v29, v17
.LBB2227_129:
	s_or_b64 exec, exec, s[34:35]
	v_mov_b32_dpp v15, v15 row_shr:2 row_mask:0xf bank_mask:0xf
	v_and_b32_e32 v17, 1, v29
	v_and_b32_e32 v15, 1, v15
	v_cmp_eq_u32_e64 s[4:5], 1, v17
	v_mov_b32_e32 v17, 0
	v_cndmask_b32_e64 v15, v15, 1, s[4:5]
	v_cmp_eq_u16_sdwa s[34:35], v29, v17 src0_sel:BYTE_0 src1_sel:DWORD
	v_cmp_lt_u32_e64 s[4:5], 1, v11
	v_mov_b32_dpp v13, v28 row_shr:2 row_mask:0xf bank_mask:0xf
	v_cndmask_b32_e64 v11, v29, v15, s[4:5]
	s_and_b64 s[4:5], s[4:5], s[34:35]
	v_cndmask_b32_e64 v13, 0, v13, s[4:5]
	v_add_u32_e32 v13, v13, v28
	ds_write_b32 v9, v13
	ds_write_b8 v9, v11 offset:4
.LBB2227_130:
	s_or_b64 exec, exec, s[30:31]
	v_cmp_lt_u32_e64 s[4:5], 63, v0
	v_mov_b32_e32 v9, 0
	s_waitcnt lgkmcnt(0)
	s_barrier
	s_and_saveexec_b64 s[30:31], s[4:5]
	s_cbranch_execz .LBB2227_132
; %bb.131:
	v_lshl_add_u32 v1, v1, 3, -8
	ds_read_b32 v9, v1
	v_cmp_eq_u32_e64 s[4:5], 0, v7
	s_waitcnt lgkmcnt(0)
	v_cndmask_b32_e64 v1, 0, v9, s[4:5]
	v_add_u32_e32 v5, v1, v5
.LBB2227_132:
	s_or_b64 exec, exec, s[30:31]
	v_add_u32_e32 v1, -1, v3
	v_and_b32_e32 v7, 64, v3
	v_cmp_lt_i32_e64 s[4:5], v1, v7
	v_cndmask_b32_e64 v1, v1, v3, s[4:5]
	v_lshlrev_b32_e32 v1, 2, v1
	ds_bpermute_b32 v1, v1, v5
	s_and_saveexec_b64 s[30:31], s[36:37]
	s_cbranch_execz .LBB2227_134
; %bb.133:
	v_and_b32_e32 v27, 0xff, v39
	v_mov_b32_e32 v26, 0
	v_cmp_eq_u32_e64 s[4:5], 0, v3
	s_waitcnt lgkmcnt(0)
	v_cndmask_b32_e64 v1, v1, v9, s[4:5]
	v_cmp_eq_u64_e64 s[4:5], 0, v[26:27]
	v_cndmask_b32_e64 v1, 0, v1, s[4:5]
	v_add_u32_e32 v38, v1, v38
	v_cndmask_b32_e32 v1, 0, v38, vcc
	v_add_u32_e32 v27, v1, v2
	v_cndmask_b32_e64 v1, 0, v27, s[6:7]
	v_add_u32_e32 v42, v1, v4
	v_cndmask_b32_e64 v1, 0, v42, s[8:9]
	;; [unrolled: 2-line block ×12, first 2 shown]
	v_add_u32_e32 v49, v1, v40
	;;#ASMSTART
	;;#ASMEND
.LBB2227_134:
	s_or_b64 exec, exec, s[30:31]
	s_and_saveexec_b64 s[4:5], s[0:1]
	s_cbranch_execz .LBB2227_136
; %bb.135:
	v_mov_b32_e32 v5, 0
	ds_read_b32 v2, v5 offset:24
	ds_read_u8 v3, v5 offset:28
	s_add_u32 s0, s56, 0x400
	s_addc_u32 s1, s57, 0
	v_mov_b32_e32 v4, 2
	v_pk_mov_b32 v[6:7], s[0:1], s[0:1] op_sel:[0,1]
	s_waitcnt lgkmcnt(0)
	;;#ASMSTART
	global_store_dwordx4 v[6:7], v[2:5] off	
s_waitcnt vmcnt(0)
	;;#ASMEND
.LBB2227_136:
	s_or_b64 exec, exec, s[4:5]
	v_mov_b32_e32 v26, v38
.LBB2227_137:
	s_add_u32 s0, s46, s38
	s_addc_u32 s1, s47, s39
	s_add_u32 s4, s0, s40
	s_waitcnt lgkmcnt(0)
	v_mul_u32_u24_e32 v1, 14, v0
	s_addc_u32 s5, s1, s41
	s_and_b64 vcc, exec, s[2:3]
	v_lshlrev_b32_e32 v2, 2, v1
	s_cbranch_vccz .LBB2227_165
; %bb.138:
	s_movk_i32 s0, 0xffcc
	v_mad_i32_i24 v3, v0, s0, v2
	s_barrier
	ds_write2_b64 v2, v[26:27], v[42:43] offset1:1
	ds_write2_b64 v2, v[30:31], v[44:45] offset0:2 offset1:3
	ds_write2_b64 v2, v[34:35], v[46:47] offset0:4 offset1:5
	ds_write_b64 v2, v[48:49] offset:48
	s_waitcnt lgkmcnt(0)
	s_barrier
	ds_read2st64_b32 v[16:17], v3 offset0:4 offset1:8
	ds_read2st64_b32 v[14:15], v3 offset0:12 offset1:16
	;; [unrolled: 1-line block ×6, first 2 shown]
	ds_read_b32 v3, v3 offset:13312
	v_mov_b32_e32 v7, s5
	v_add_co_u32_e32 v6, vcc, s4, v50
	s_add_i32 s33, s33, s58
	v_addc_co_u32_e32 v7, vcc, 0, v7, vcc
	v_mov_b32_e32 v1, 0
	v_cmp_gt_u32_e32 vcc, s33, v0
	s_and_saveexec_b64 s[0:1], vcc
	s_cbranch_execz .LBB2227_140
; %bb.139:
	v_mul_i32_i24_e32 v18, 0xffffffcc, v0
	v_add_u32_e32 v18, v2, v18
	ds_read_b32 v18, v18
	s_waitcnt lgkmcnt(0)
	flat_store_dword v[6:7], v18
.LBB2227_140:
	s_or_b64 exec, exec, s[0:1]
	v_or_b32_e32 v18, 0x100, v0
	v_cmp_gt_u32_e32 vcc, s33, v18
	s_and_saveexec_b64 s[0:1], vcc
	s_cbranch_execz .LBB2227_142
; %bb.141:
	s_waitcnt lgkmcnt(0)
	flat_store_dword v[6:7], v16 offset:1024
.LBB2227_142:
	s_or_b64 exec, exec, s[0:1]
	s_waitcnt lgkmcnt(0)
	v_or_b32_e32 v16, 0x200, v0
	v_cmp_gt_u32_e32 vcc, s33, v16
	s_and_saveexec_b64 s[0:1], vcc
	s_cbranch_execz .LBB2227_144
; %bb.143:
	flat_store_dword v[6:7], v17 offset:2048
.LBB2227_144:
	s_or_b64 exec, exec, s[0:1]
	v_or_b32_e32 v16, 0x300, v0
	v_cmp_gt_u32_e32 vcc, s33, v16
	s_and_saveexec_b64 s[0:1], vcc
	s_cbranch_execz .LBB2227_146
; %bb.145:
	flat_store_dword v[6:7], v14 offset:3072
.LBB2227_146:
	s_or_b64 exec, exec, s[0:1]
	v_or_b32_e32 v14, 0x400, v0
	v_cmp_gt_u32_e32 vcc, s33, v14
	s_and_saveexec_b64 s[0:1], vcc
	s_cbranch_execz .LBB2227_148
; %bb.147:
	v_add_co_u32_e32 v16, vcc, 0x1000, v6
	v_addc_co_u32_e32 v17, vcc, 0, v7, vcc
	flat_store_dword v[16:17], v15
.LBB2227_148:
	s_or_b64 exec, exec, s[0:1]
	v_or_b32_e32 v14, 0x500, v0
	v_cmp_gt_u32_e32 vcc, s33, v14
	s_and_saveexec_b64 s[0:1], vcc
	s_cbranch_execz .LBB2227_150
; %bb.149:
	v_add_co_u32_e32 v14, vcc, 0x1000, v6
	v_addc_co_u32_e32 v15, vcc, 0, v7, vcc
	flat_store_dword v[14:15], v12 offset:1024
.LBB2227_150:
	s_or_b64 exec, exec, s[0:1]
	v_or_b32_e32 v12, 0x600, v0
	v_cmp_gt_u32_e32 vcc, s33, v12
	s_and_saveexec_b64 s[0:1], vcc
	s_cbranch_execz .LBB2227_152
; %bb.151:
	v_add_co_u32_e32 v14, vcc, 0x1000, v6
	v_addc_co_u32_e32 v15, vcc, 0, v7, vcc
	flat_store_dword v[14:15], v13 offset:2048
.LBB2227_152:
	;; [unrolled: 10-line block ×3, first 2 shown]
	s_or_b64 exec, exec, s[0:1]
	v_or_b32_e32 v10, 0x800, v0
	v_cmp_gt_u32_e32 vcc, s33, v10
	s_and_saveexec_b64 s[0:1], vcc
	s_cbranch_execz .LBB2227_156
; %bb.155:
	v_add_co_u32_e32 v12, vcc, 0x2000, v6
	v_addc_co_u32_e32 v13, vcc, 0, v7, vcc
	flat_store_dword v[12:13], v11
.LBB2227_156:
	s_or_b64 exec, exec, s[0:1]
	v_or_b32_e32 v10, 0x900, v0
	v_cmp_gt_u32_e32 vcc, s33, v10
	s_and_saveexec_b64 s[0:1], vcc
	s_cbranch_execz .LBB2227_158
; %bb.157:
	v_add_co_u32_e32 v10, vcc, 0x2000, v6
	v_addc_co_u32_e32 v11, vcc, 0, v7, vcc
	flat_store_dword v[10:11], v8 offset:1024
.LBB2227_158:
	s_or_b64 exec, exec, s[0:1]
	v_or_b32_e32 v8, 0xa00, v0
	v_cmp_gt_u32_e32 vcc, s33, v8
	s_and_saveexec_b64 s[0:1], vcc
	s_cbranch_execz .LBB2227_160
; %bb.159:
	v_add_co_u32_e32 v10, vcc, 0x2000, v6
	v_addc_co_u32_e32 v11, vcc, 0, v7, vcc
	flat_store_dword v[10:11], v9 offset:2048
.LBB2227_160:
	;; [unrolled: 10-line block ×3, first 2 shown]
	s_or_b64 exec, exec, s[0:1]
	v_or_b32_e32 v4, 0xc00, v0
	v_cmp_gt_u32_e32 vcc, s33, v4
	s_and_saveexec_b64 s[0:1], vcc
	s_cbranch_execz .LBB2227_164
; %bb.163:
	v_add_co_u32_e32 v6, vcc, 0x3000, v6
	v_addc_co_u32_e32 v7, vcc, 0, v7, vcc
	flat_store_dword v[6:7], v5
.LBB2227_164:
	s_or_b64 exec, exec, s[0:1]
	v_or_b32_e32 v4, 0xd00, v0
	v_cmp_gt_u32_e64 s[0:1], s33, v4
	s_branch .LBB2227_167
.LBB2227_165:
	s_mov_b64 s[0:1], 0
                                        ; implicit-def: $vgpr3
	s_cbranch_execz .LBB2227_167
; %bb.166:
	s_movk_i32 s2, 0xffcc
	s_waitcnt lgkmcnt(0)
	s_barrier
	ds_write2_b64 v2, v[26:27], v[42:43] offset1:1
	ds_write2_b64 v2, v[30:31], v[44:45] offset0:2 offset1:3
	ds_write2_b64 v2, v[34:35], v[46:47] offset0:4 offset1:5
	ds_write_b64 v2, v[48:49] offset:48
	v_mad_i32_i24 v2, v0, s2, v2
	v_mov_b32_e32 v17, s5
	v_add_co_u32_e32 v16, vcc, s4, v50
	s_waitcnt lgkmcnt(0)
	s_barrier
	ds_read2st64_b32 v[4:5], v2 offset1:4
	ds_read2st64_b32 v[6:7], v2 offset0:8 offset1:12
	ds_read2st64_b32 v[8:9], v2 offset0:16 offset1:20
	;; [unrolled: 1-line block ×6, first 2 shown]
	v_addc_co_u32_e32 v17, vcc, 0, v17, vcc
	s_movk_i32 s2, 0x1000
	s_waitcnt lgkmcnt(0)
	flat_store_dword v[16:17], v4
	flat_store_dword v[16:17], v5 offset:1024
	flat_store_dword v[16:17], v6 offset:2048
	flat_store_dword v[16:17], v7 offset:3072
	v_add_co_u32_e32 v4, vcc, s2, v16
	v_addc_co_u32_e32 v5, vcc, 0, v17, vcc
	flat_store_dword v[4:5], v8
	flat_store_dword v[4:5], v9 offset:1024
	flat_store_dword v[4:5], v10 offset:2048
	;; [unrolled: 1-line block ×3, first 2 shown]
	v_add_co_u32_e32 v4, vcc, 0x2000, v16
	v_addc_co_u32_e32 v5, vcc, 0, v17, vcc
	flat_store_dword v[4:5], v12
	flat_store_dword v[4:5], v13 offset:1024
	flat_store_dword v[4:5], v14 offset:2048
	;; [unrolled: 1-line block ×3, first 2 shown]
	v_add_co_u32_e32 v4, vcc, 0x3000, v16
	v_mov_b32_e32 v1, 0
	v_addc_co_u32_e32 v5, vcc, 0, v17, vcc
	s_or_b64 s[0:1], s[0:1], exec
	flat_store_dword v[4:5], v2
.LBB2227_167:
	s_and_saveexec_b64 s[2:3], s[0:1]
	s_cbranch_execnz .LBB2227_169
; %bb.168:
	s_endpgm
.LBB2227_169:
	v_lshlrev_b64 v[0:1], 2, v[0:1]
	v_mov_b32_e32 v2, s5
	v_add_co_u32_e32 v0, vcc, s4, v0
	v_addc_co_u32_e32 v1, vcc, v2, v1, vcc
	v_add_co_u32_e32 v0, vcc, 0x3000, v0
	v_addc_co_u32_e32 v1, vcc, 0, v1, vcc
	flat_store_dword v[0:1], v3 offset:1024
	s_endpgm
.LBB2227_170:
	v_mov_b32_e32 v13, s63
	v_add_co_u32_e32 v14, vcc, s62, v12
	v_addc_co_u32_e32 v15, vcc, 0, v13, vcc
	flat_load_dword v13, v[14:15]
	s_or_b64 exec, exec, s[4:5]
                                        ; implicit-def: $vgpr14
	s_and_saveexec_b64 s[4:5], s[8:9]
	s_cbranch_execz .LBB2227_41
.LBB2227_171:
	v_mov_b32_e32 v15, s63
	v_add_co_u32_e32 v14, vcc, s62, v12
	v_addc_co_u32_e32 v15, vcc, 0, v15, vcc
	flat_load_dword v14, v[14:15] offset:1024
	s_or_b64 exec, exec, s[4:5]
                                        ; implicit-def: $vgpr15
	s_and_saveexec_b64 s[4:5], s[10:11]
	s_cbranch_execz .LBB2227_42
.LBB2227_172:
	v_mov_b32_e32 v15, s63
	v_add_co_u32_e32 v16, vcc, s62, v12
	v_addc_co_u32_e32 v17, vcc, 0, v15, vcc
	flat_load_dword v15, v[16:17] offset:2048
	s_or_b64 exec, exec, s[4:5]
                                        ; implicit-def: $vgpr16
	s_and_saveexec_b64 s[4:5], s[12:13]
	s_cbranch_execz .LBB2227_43
.LBB2227_173:
	v_mov_b32_e32 v17, s63
	v_add_co_u32_e32 v16, vcc, s62, v12
	v_addc_co_u32_e32 v17, vcc, 0, v17, vcc
	flat_load_dword v16, v[16:17] offset:3072
	s_or_b64 exec, exec, s[4:5]
                                        ; implicit-def: $vgpr17
	s_and_saveexec_b64 s[4:5], s[14:15]
	s_cbranch_execz .LBB2227_44
.LBB2227_174:
	v_mov_b32_e32 v17, s63
	v_add_co_u32_e32 v18, vcc, s62, v2
	v_addc_co_u32_e32 v19, vcc, 0, v17, vcc
	flat_load_dword v17, v[18:19]
	s_or_b64 exec, exec, s[4:5]
                                        ; implicit-def: $vgpr2
	s_and_saveexec_b64 s[4:5], s[16:17]
	s_cbranch_execz .LBB2227_45
.LBB2227_175:
	v_mov_b32_e32 v18, s63
	v_add_co_u32_e32 v2, vcc, s62, v3
	v_addc_co_u32_e32 v3, vcc, 0, v18, vcc
	flat_load_dword v2, v[2:3]
	s_or_b64 exec, exec, s[4:5]
                                        ; implicit-def: $vgpr3
	s_and_saveexec_b64 s[4:5], s[18:19]
	s_cbranch_execz .LBB2227_46
.LBB2227_176:
	v_mov_b32_e32 v3, s63
	v_add_co_u32_e32 v18, vcc, s62, v4
	v_addc_co_u32_e32 v19, vcc, 0, v3, vcc
	flat_load_dword v3, v[18:19]
	s_or_b64 exec, exec, s[4:5]
                                        ; implicit-def: $vgpr4
	s_and_saveexec_b64 s[4:5], s[20:21]
	s_cbranch_execz .LBB2227_47
.LBB2227_177:
	v_mov_b32_e32 v18, s63
	v_add_co_u32_e32 v4, vcc, s62, v5
	v_addc_co_u32_e32 v5, vcc, 0, v18, vcc
	flat_load_dword v4, v[4:5]
	s_or_b64 exec, exec, s[4:5]
                                        ; implicit-def: $vgpr5
	s_and_saveexec_b64 s[4:5], s[22:23]
	s_cbranch_execz .LBB2227_48
.LBB2227_178:
	v_mov_b32_e32 v5, s63
	v_add_co_u32_e32 v18, vcc, s62, v6
	v_addc_co_u32_e32 v19, vcc, 0, v5, vcc
	flat_load_dword v5, v[18:19]
	s_or_b64 exec, exec, s[4:5]
                                        ; implicit-def: $vgpr6
	s_and_saveexec_b64 s[4:5], s[24:25]
	s_cbranch_execz .LBB2227_49
.LBB2227_179:
	v_mov_b32_e32 v18, s63
	v_add_co_u32_e32 v6, vcc, s62, v7
	v_addc_co_u32_e32 v7, vcc, 0, v18, vcc
	flat_load_dword v6, v[6:7]
	s_or_b64 exec, exec, s[4:5]
                                        ; implicit-def: $vgpr7
	s_and_saveexec_b64 s[4:5], s[26:27]
	s_cbranch_execz .LBB2227_50
.LBB2227_180:
	v_mov_b32_e32 v7, s63
	v_add_co_u32_e32 v18, vcc, s62, v8
	v_addc_co_u32_e32 v19, vcc, 0, v7, vcc
	flat_load_dword v7, v[18:19]
	s_or_b64 exec, exec, s[4:5]
                                        ; implicit-def: $vgpr8
	s_and_saveexec_b64 s[4:5], s[28:29]
	s_cbranch_execz .LBB2227_51
.LBB2227_181:
	v_mov_b32_e32 v18, s63
	v_add_co_u32_e32 v8, vcc, s62, v9
	v_addc_co_u32_e32 v9, vcc, 0, v18, vcc
	flat_load_dword v8, v[8:9]
	s_or_b64 exec, exec, s[4:5]
                                        ; implicit-def: $vgpr9
	s_and_saveexec_b64 s[4:5], s[30:31]
	s_cbranch_execz .LBB2227_52
.LBB2227_182:
	v_mov_b32_e32 v9, s63
	v_add_co_u32_e32 v18, vcc, s62, v10
	v_addc_co_u32_e32 v19, vcc, 0, v9, vcc
	flat_load_dword v9, v[18:19]
	s_or_b64 exec, exec, s[4:5]
                                        ; implicit-def: $vgpr10
	s_and_saveexec_b64 s[4:5], s[34:35]
	s_cbranch_execnz .LBB2227_53
	s_branch .LBB2227_54
.LBB2227_183:
                                        ; implicit-def: $sgpr4_sgpr5
	s_branch .LBB2227_36
.LBB2227_184:
                                        ; implicit-def: $sgpr4_sgpr5
	s_branch .LBB2227_85
	.section	.rodata,"a",@progbits
	.p2align	6, 0x0
	.amdhsa_kernel _ZN7rocprim17ROCPRIM_400000_NS6detail17trampoline_kernelINS0_14default_configENS1_27scan_by_key_config_selectorIiiEEZZNS1_16scan_by_key_implILNS1_25lookback_scan_determinismE0ELb0ES3_N6thrust23THRUST_200600_302600_NS10device_ptrIiEESB_SB_iNS9_4plusIvEENS9_8equal_toIvEEiEE10hipError_tPvRmT2_T3_T4_T5_mT6_T7_P12ihipStream_tbENKUlT_T0_E_clISt17integral_constantIbLb0EESV_IbLb1EEEEDaSR_SS_EUlSR_E_NS1_11comp_targetILNS1_3genE4ELNS1_11target_archE910ELNS1_3gpuE8ELNS1_3repE0EEENS1_30default_config_static_selectorELNS0_4arch9wavefront6targetE1EEEvT1_
		.amdhsa_group_segment_fixed_size 16384
		.amdhsa_private_segment_fixed_size 0
		.amdhsa_kernarg_size 112
		.amdhsa_user_sgpr_count 6
		.amdhsa_user_sgpr_private_segment_buffer 1
		.amdhsa_user_sgpr_dispatch_ptr 0
		.amdhsa_user_sgpr_queue_ptr 0
		.amdhsa_user_sgpr_kernarg_segment_ptr 1
		.amdhsa_user_sgpr_dispatch_id 0
		.amdhsa_user_sgpr_flat_scratch_init 0
		.amdhsa_user_sgpr_kernarg_preload_length 0
		.amdhsa_user_sgpr_kernarg_preload_offset 0
		.amdhsa_user_sgpr_private_segment_size 0
		.amdhsa_uses_dynamic_stack 0
		.amdhsa_system_sgpr_private_segment_wavefront_offset 0
		.amdhsa_system_sgpr_workgroup_id_x 1
		.amdhsa_system_sgpr_workgroup_id_y 0
		.amdhsa_system_sgpr_workgroup_id_z 0
		.amdhsa_system_sgpr_workgroup_info 0
		.amdhsa_system_vgpr_workitem_id 0
		.amdhsa_next_free_vgpr 65
		.amdhsa_next_free_sgpr 65
		.amdhsa_accum_offset 68
		.amdhsa_reserve_vcc 1
		.amdhsa_reserve_flat_scratch 0
		.amdhsa_float_round_mode_32 0
		.amdhsa_float_round_mode_16_64 0
		.amdhsa_float_denorm_mode_32 3
		.amdhsa_float_denorm_mode_16_64 3
		.amdhsa_dx10_clamp 1
		.amdhsa_ieee_mode 1
		.amdhsa_fp16_overflow 0
		.amdhsa_tg_split 0
		.amdhsa_exception_fp_ieee_invalid_op 0
		.amdhsa_exception_fp_denorm_src 0
		.amdhsa_exception_fp_ieee_div_zero 0
		.amdhsa_exception_fp_ieee_overflow 0
		.amdhsa_exception_fp_ieee_underflow 0
		.amdhsa_exception_fp_ieee_inexact 0
		.amdhsa_exception_int_div_zero 0
	.end_amdhsa_kernel
	.section	.text._ZN7rocprim17ROCPRIM_400000_NS6detail17trampoline_kernelINS0_14default_configENS1_27scan_by_key_config_selectorIiiEEZZNS1_16scan_by_key_implILNS1_25lookback_scan_determinismE0ELb0ES3_N6thrust23THRUST_200600_302600_NS10device_ptrIiEESB_SB_iNS9_4plusIvEENS9_8equal_toIvEEiEE10hipError_tPvRmT2_T3_T4_T5_mT6_T7_P12ihipStream_tbENKUlT_T0_E_clISt17integral_constantIbLb0EESV_IbLb1EEEEDaSR_SS_EUlSR_E_NS1_11comp_targetILNS1_3genE4ELNS1_11target_archE910ELNS1_3gpuE8ELNS1_3repE0EEENS1_30default_config_static_selectorELNS0_4arch9wavefront6targetE1EEEvT1_,"axG",@progbits,_ZN7rocprim17ROCPRIM_400000_NS6detail17trampoline_kernelINS0_14default_configENS1_27scan_by_key_config_selectorIiiEEZZNS1_16scan_by_key_implILNS1_25lookback_scan_determinismE0ELb0ES3_N6thrust23THRUST_200600_302600_NS10device_ptrIiEESB_SB_iNS9_4plusIvEENS9_8equal_toIvEEiEE10hipError_tPvRmT2_T3_T4_T5_mT6_T7_P12ihipStream_tbENKUlT_T0_E_clISt17integral_constantIbLb0EESV_IbLb1EEEEDaSR_SS_EUlSR_E_NS1_11comp_targetILNS1_3genE4ELNS1_11target_archE910ELNS1_3gpuE8ELNS1_3repE0EEENS1_30default_config_static_selectorELNS0_4arch9wavefront6targetE1EEEvT1_,comdat
.Lfunc_end2227:
	.size	_ZN7rocprim17ROCPRIM_400000_NS6detail17trampoline_kernelINS0_14default_configENS1_27scan_by_key_config_selectorIiiEEZZNS1_16scan_by_key_implILNS1_25lookback_scan_determinismE0ELb0ES3_N6thrust23THRUST_200600_302600_NS10device_ptrIiEESB_SB_iNS9_4plusIvEENS9_8equal_toIvEEiEE10hipError_tPvRmT2_T3_T4_T5_mT6_T7_P12ihipStream_tbENKUlT_T0_E_clISt17integral_constantIbLb0EESV_IbLb1EEEEDaSR_SS_EUlSR_E_NS1_11comp_targetILNS1_3genE4ELNS1_11target_archE910ELNS1_3gpuE8ELNS1_3repE0EEENS1_30default_config_static_selectorELNS0_4arch9wavefront6targetE1EEEvT1_, .Lfunc_end2227-_ZN7rocprim17ROCPRIM_400000_NS6detail17trampoline_kernelINS0_14default_configENS1_27scan_by_key_config_selectorIiiEEZZNS1_16scan_by_key_implILNS1_25lookback_scan_determinismE0ELb0ES3_N6thrust23THRUST_200600_302600_NS10device_ptrIiEESB_SB_iNS9_4plusIvEENS9_8equal_toIvEEiEE10hipError_tPvRmT2_T3_T4_T5_mT6_T7_P12ihipStream_tbENKUlT_T0_E_clISt17integral_constantIbLb0EESV_IbLb1EEEEDaSR_SS_EUlSR_E_NS1_11comp_targetILNS1_3genE4ELNS1_11target_archE910ELNS1_3gpuE8ELNS1_3repE0EEENS1_30default_config_static_selectorELNS0_4arch9wavefront6targetE1EEEvT1_
                                        ; -- End function
	.section	.AMDGPU.csdata,"",@progbits
; Kernel info:
; codeLenInByte = 11024
; NumSgprs: 69
; NumVgprs: 65
; NumAgprs: 0
; TotalNumVgprs: 65
; ScratchSize: 0
; MemoryBound: 0
; FloatMode: 240
; IeeeMode: 1
; LDSByteSize: 16384 bytes/workgroup (compile time only)
; SGPRBlocks: 8
; VGPRBlocks: 8
; NumSGPRsForWavesPerEU: 69
; NumVGPRsForWavesPerEU: 65
; AccumOffset: 68
; Occupancy: 4
; WaveLimiterHint : 1
; COMPUTE_PGM_RSRC2:SCRATCH_EN: 0
; COMPUTE_PGM_RSRC2:USER_SGPR: 6
; COMPUTE_PGM_RSRC2:TRAP_HANDLER: 0
; COMPUTE_PGM_RSRC2:TGID_X_EN: 1
; COMPUTE_PGM_RSRC2:TGID_Y_EN: 0
; COMPUTE_PGM_RSRC2:TGID_Z_EN: 0
; COMPUTE_PGM_RSRC2:TIDIG_COMP_CNT: 0
; COMPUTE_PGM_RSRC3_GFX90A:ACCUM_OFFSET: 16
; COMPUTE_PGM_RSRC3_GFX90A:TG_SPLIT: 0
	.section	.text._ZN7rocprim17ROCPRIM_400000_NS6detail17trampoline_kernelINS0_14default_configENS1_27scan_by_key_config_selectorIiiEEZZNS1_16scan_by_key_implILNS1_25lookback_scan_determinismE0ELb0ES3_N6thrust23THRUST_200600_302600_NS10device_ptrIiEESB_SB_iNS9_4plusIvEENS9_8equal_toIvEEiEE10hipError_tPvRmT2_T3_T4_T5_mT6_T7_P12ihipStream_tbENKUlT_T0_E_clISt17integral_constantIbLb0EESV_IbLb1EEEEDaSR_SS_EUlSR_E_NS1_11comp_targetILNS1_3genE3ELNS1_11target_archE908ELNS1_3gpuE7ELNS1_3repE0EEENS1_30default_config_static_selectorELNS0_4arch9wavefront6targetE1EEEvT1_,"axG",@progbits,_ZN7rocprim17ROCPRIM_400000_NS6detail17trampoline_kernelINS0_14default_configENS1_27scan_by_key_config_selectorIiiEEZZNS1_16scan_by_key_implILNS1_25lookback_scan_determinismE0ELb0ES3_N6thrust23THRUST_200600_302600_NS10device_ptrIiEESB_SB_iNS9_4plusIvEENS9_8equal_toIvEEiEE10hipError_tPvRmT2_T3_T4_T5_mT6_T7_P12ihipStream_tbENKUlT_T0_E_clISt17integral_constantIbLb0EESV_IbLb1EEEEDaSR_SS_EUlSR_E_NS1_11comp_targetILNS1_3genE3ELNS1_11target_archE908ELNS1_3gpuE7ELNS1_3repE0EEENS1_30default_config_static_selectorELNS0_4arch9wavefront6targetE1EEEvT1_,comdat
	.protected	_ZN7rocprim17ROCPRIM_400000_NS6detail17trampoline_kernelINS0_14default_configENS1_27scan_by_key_config_selectorIiiEEZZNS1_16scan_by_key_implILNS1_25lookback_scan_determinismE0ELb0ES3_N6thrust23THRUST_200600_302600_NS10device_ptrIiEESB_SB_iNS9_4plusIvEENS9_8equal_toIvEEiEE10hipError_tPvRmT2_T3_T4_T5_mT6_T7_P12ihipStream_tbENKUlT_T0_E_clISt17integral_constantIbLb0EESV_IbLb1EEEEDaSR_SS_EUlSR_E_NS1_11comp_targetILNS1_3genE3ELNS1_11target_archE908ELNS1_3gpuE7ELNS1_3repE0EEENS1_30default_config_static_selectorELNS0_4arch9wavefront6targetE1EEEvT1_ ; -- Begin function _ZN7rocprim17ROCPRIM_400000_NS6detail17trampoline_kernelINS0_14default_configENS1_27scan_by_key_config_selectorIiiEEZZNS1_16scan_by_key_implILNS1_25lookback_scan_determinismE0ELb0ES3_N6thrust23THRUST_200600_302600_NS10device_ptrIiEESB_SB_iNS9_4plusIvEENS9_8equal_toIvEEiEE10hipError_tPvRmT2_T3_T4_T5_mT6_T7_P12ihipStream_tbENKUlT_T0_E_clISt17integral_constantIbLb0EESV_IbLb1EEEEDaSR_SS_EUlSR_E_NS1_11comp_targetILNS1_3genE3ELNS1_11target_archE908ELNS1_3gpuE7ELNS1_3repE0EEENS1_30default_config_static_selectorELNS0_4arch9wavefront6targetE1EEEvT1_
	.globl	_ZN7rocprim17ROCPRIM_400000_NS6detail17trampoline_kernelINS0_14default_configENS1_27scan_by_key_config_selectorIiiEEZZNS1_16scan_by_key_implILNS1_25lookback_scan_determinismE0ELb0ES3_N6thrust23THRUST_200600_302600_NS10device_ptrIiEESB_SB_iNS9_4plusIvEENS9_8equal_toIvEEiEE10hipError_tPvRmT2_T3_T4_T5_mT6_T7_P12ihipStream_tbENKUlT_T0_E_clISt17integral_constantIbLb0EESV_IbLb1EEEEDaSR_SS_EUlSR_E_NS1_11comp_targetILNS1_3genE3ELNS1_11target_archE908ELNS1_3gpuE7ELNS1_3repE0EEENS1_30default_config_static_selectorELNS0_4arch9wavefront6targetE1EEEvT1_
	.p2align	8
	.type	_ZN7rocprim17ROCPRIM_400000_NS6detail17trampoline_kernelINS0_14default_configENS1_27scan_by_key_config_selectorIiiEEZZNS1_16scan_by_key_implILNS1_25lookback_scan_determinismE0ELb0ES3_N6thrust23THRUST_200600_302600_NS10device_ptrIiEESB_SB_iNS9_4plusIvEENS9_8equal_toIvEEiEE10hipError_tPvRmT2_T3_T4_T5_mT6_T7_P12ihipStream_tbENKUlT_T0_E_clISt17integral_constantIbLb0EESV_IbLb1EEEEDaSR_SS_EUlSR_E_NS1_11comp_targetILNS1_3genE3ELNS1_11target_archE908ELNS1_3gpuE7ELNS1_3repE0EEENS1_30default_config_static_selectorELNS0_4arch9wavefront6targetE1EEEvT1_,@function
_ZN7rocprim17ROCPRIM_400000_NS6detail17trampoline_kernelINS0_14default_configENS1_27scan_by_key_config_selectorIiiEEZZNS1_16scan_by_key_implILNS1_25lookback_scan_determinismE0ELb0ES3_N6thrust23THRUST_200600_302600_NS10device_ptrIiEESB_SB_iNS9_4plusIvEENS9_8equal_toIvEEiEE10hipError_tPvRmT2_T3_T4_T5_mT6_T7_P12ihipStream_tbENKUlT_T0_E_clISt17integral_constantIbLb0EESV_IbLb1EEEEDaSR_SS_EUlSR_E_NS1_11comp_targetILNS1_3genE3ELNS1_11target_archE908ELNS1_3gpuE7ELNS1_3repE0EEENS1_30default_config_static_selectorELNS0_4arch9wavefront6targetE1EEEvT1_: ; @_ZN7rocprim17ROCPRIM_400000_NS6detail17trampoline_kernelINS0_14default_configENS1_27scan_by_key_config_selectorIiiEEZZNS1_16scan_by_key_implILNS1_25lookback_scan_determinismE0ELb0ES3_N6thrust23THRUST_200600_302600_NS10device_ptrIiEESB_SB_iNS9_4plusIvEENS9_8equal_toIvEEiEE10hipError_tPvRmT2_T3_T4_T5_mT6_T7_P12ihipStream_tbENKUlT_T0_E_clISt17integral_constantIbLb0EESV_IbLb1EEEEDaSR_SS_EUlSR_E_NS1_11comp_targetILNS1_3genE3ELNS1_11target_archE908ELNS1_3gpuE7ELNS1_3repE0EEENS1_30default_config_static_selectorELNS0_4arch9wavefront6targetE1EEEvT1_
; %bb.0:
	.section	.rodata,"a",@progbits
	.p2align	6, 0x0
	.amdhsa_kernel _ZN7rocprim17ROCPRIM_400000_NS6detail17trampoline_kernelINS0_14default_configENS1_27scan_by_key_config_selectorIiiEEZZNS1_16scan_by_key_implILNS1_25lookback_scan_determinismE0ELb0ES3_N6thrust23THRUST_200600_302600_NS10device_ptrIiEESB_SB_iNS9_4plusIvEENS9_8equal_toIvEEiEE10hipError_tPvRmT2_T3_T4_T5_mT6_T7_P12ihipStream_tbENKUlT_T0_E_clISt17integral_constantIbLb0EESV_IbLb1EEEEDaSR_SS_EUlSR_E_NS1_11comp_targetILNS1_3genE3ELNS1_11target_archE908ELNS1_3gpuE7ELNS1_3repE0EEENS1_30default_config_static_selectorELNS0_4arch9wavefront6targetE1EEEvT1_
		.amdhsa_group_segment_fixed_size 0
		.amdhsa_private_segment_fixed_size 0
		.amdhsa_kernarg_size 112
		.amdhsa_user_sgpr_count 6
		.amdhsa_user_sgpr_private_segment_buffer 1
		.amdhsa_user_sgpr_dispatch_ptr 0
		.amdhsa_user_sgpr_queue_ptr 0
		.amdhsa_user_sgpr_kernarg_segment_ptr 1
		.amdhsa_user_sgpr_dispatch_id 0
		.amdhsa_user_sgpr_flat_scratch_init 0
		.amdhsa_user_sgpr_kernarg_preload_length 0
		.amdhsa_user_sgpr_kernarg_preload_offset 0
		.amdhsa_user_sgpr_private_segment_size 0
		.amdhsa_uses_dynamic_stack 0
		.amdhsa_system_sgpr_private_segment_wavefront_offset 0
		.amdhsa_system_sgpr_workgroup_id_x 1
		.amdhsa_system_sgpr_workgroup_id_y 0
		.amdhsa_system_sgpr_workgroup_id_z 0
		.amdhsa_system_sgpr_workgroup_info 0
		.amdhsa_system_vgpr_workitem_id 0
		.amdhsa_next_free_vgpr 1
		.amdhsa_next_free_sgpr 0
		.amdhsa_accum_offset 4
		.amdhsa_reserve_vcc 0
		.amdhsa_reserve_flat_scratch 0
		.amdhsa_float_round_mode_32 0
		.amdhsa_float_round_mode_16_64 0
		.amdhsa_float_denorm_mode_32 3
		.amdhsa_float_denorm_mode_16_64 3
		.amdhsa_dx10_clamp 1
		.amdhsa_ieee_mode 1
		.amdhsa_fp16_overflow 0
		.amdhsa_tg_split 0
		.amdhsa_exception_fp_ieee_invalid_op 0
		.amdhsa_exception_fp_denorm_src 0
		.amdhsa_exception_fp_ieee_div_zero 0
		.amdhsa_exception_fp_ieee_overflow 0
		.amdhsa_exception_fp_ieee_underflow 0
		.amdhsa_exception_fp_ieee_inexact 0
		.amdhsa_exception_int_div_zero 0
	.end_amdhsa_kernel
	.section	.text._ZN7rocprim17ROCPRIM_400000_NS6detail17trampoline_kernelINS0_14default_configENS1_27scan_by_key_config_selectorIiiEEZZNS1_16scan_by_key_implILNS1_25lookback_scan_determinismE0ELb0ES3_N6thrust23THRUST_200600_302600_NS10device_ptrIiEESB_SB_iNS9_4plusIvEENS9_8equal_toIvEEiEE10hipError_tPvRmT2_T3_T4_T5_mT6_T7_P12ihipStream_tbENKUlT_T0_E_clISt17integral_constantIbLb0EESV_IbLb1EEEEDaSR_SS_EUlSR_E_NS1_11comp_targetILNS1_3genE3ELNS1_11target_archE908ELNS1_3gpuE7ELNS1_3repE0EEENS1_30default_config_static_selectorELNS0_4arch9wavefront6targetE1EEEvT1_,"axG",@progbits,_ZN7rocprim17ROCPRIM_400000_NS6detail17trampoline_kernelINS0_14default_configENS1_27scan_by_key_config_selectorIiiEEZZNS1_16scan_by_key_implILNS1_25lookback_scan_determinismE0ELb0ES3_N6thrust23THRUST_200600_302600_NS10device_ptrIiEESB_SB_iNS9_4plusIvEENS9_8equal_toIvEEiEE10hipError_tPvRmT2_T3_T4_T5_mT6_T7_P12ihipStream_tbENKUlT_T0_E_clISt17integral_constantIbLb0EESV_IbLb1EEEEDaSR_SS_EUlSR_E_NS1_11comp_targetILNS1_3genE3ELNS1_11target_archE908ELNS1_3gpuE7ELNS1_3repE0EEENS1_30default_config_static_selectorELNS0_4arch9wavefront6targetE1EEEvT1_,comdat
.Lfunc_end2228:
	.size	_ZN7rocprim17ROCPRIM_400000_NS6detail17trampoline_kernelINS0_14default_configENS1_27scan_by_key_config_selectorIiiEEZZNS1_16scan_by_key_implILNS1_25lookback_scan_determinismE0ELb0ES3_N6thrust23THRUST_200600_302600_NS10device_ptrIiEESB_SB_iNS9_4plusIvEENS9_8equal_toIvEEiEE10hipError_tPvRmT2_T3_T4_T5_mT6_T7_P12ihipStream_tbENKUlT_T0_E_clISt17integral_constantIbLb0EESV_IbLb1EEEEDaSR_SS_EUlSR_E_NS1_11comp_targetILNS1_3genE3ELNS1_11target_archE908ELNS1_3gpuE7ELNS1_3repE0EEENS1_30default_config_static_selectorELNS0_4arch9wavefront6targetE1EEEvT1_, .Lfunc_end2228-_ZN7rocprim17ROCPRIM_400000_NS6detail17trampoline_kernelINS0_14default_configENS1_27scan_by_key_config_selectorIiiEEZZNS1_16scan_by_key_implILNS1_25lookback_scan_determinismE0ELb0ES3_N6thrust23THRUST_200600_302600_NS10device_ptrIiEESB_SB_iNS9_4plusIvEENS9_8equal_toIvEEiEE10hipError_tPvRmT2_T3_T4_T5_mT6_T7_P12ihipStream_tbENKUlT_T0_E_clISt17integral_constantIbLb0EESV_IbLb1EEEEDaSR_SS_EUlSR_E_NS1_11comp_targetILNS1_3genE3ELNS1_11target_archE908ELNS1_3gpuE7ELNS1_3repE0EEENS1_30default_config_static_selectorELNS0_4arch9wavefront6targetE1EEEvT1_
                                        ; -- End function
	.section	.AMDGPU.csdata,"",@progbits
; Kernel info:
; codeLenInByte = 0
; NumSgprs: 4
; NumVgprs: 0
; NumAgprs: 0
; TotalNumVgprs: 0
; ScratchSize: 0
; MemoryBound: 0
; FloatMode: 240
; IeeeMode: 1
; LDSByteSize: 0 bytes/workgroup (compile time only)
; SGPRBlocks: 0
; VGPRBlocks: 0
; NumSGPRsForWavesPerEU: 4
; NumVGPRsForWavesPerEU: 1
; AccumOffset: 4
; Occupancy: 8
; WaveLimiterHint : 0
; COMPUTE_PGM_RSRC2:SCRATCH_EN: 0
; COMPUTE_PGM_RSRC2:USER_SGPR: 6
; COMPUTE_PGM_RSRC2:TRAP_HANDLER: 0
; COMPUTE_PGM_RSRC2:TGID_X_EN: 1
; COMPUTE_PGM_RSRC2:TGID_Y_EN: 0
; COMPUTE_PGM_RSRC2:TGID_Z_EN: 0
; COMPUTE_PGM_RSRC2:TIDIG_COMP_CNT: 0
; COMPUTE_PGM_RSRC3_GFX90A:ACCUM_OFFSET: 0
; COMPUTE_PGM_RSRC3_GFX90A:TG_SPLIT: 0
	.section	.text._ZN7rocprim17ROCPRIM_400000_NS6detail17trampoline_kernelINS0_14default_configENS1_27scan_by_key_config_selectorIiiEEZZNS1_16scan_by_key_implILNS1_25lookback_scan_determinismE0ELb0ES3_N6thrust23THRUST_200600_302600_NS10device_ptrIiEESB_SB_iNS9_4plusIvEENS9_8equal_toIvEEiEE10hipError_tPvRmT2_T3_T4_T5_mT6_T7_P12ihipStream_tbENKUlT_T0_E_clISt17integral_constantIbLb0EESV_IbLb1EEEEDaSR_SS_EUlSR_E_NS1_11comp_targetILNS1_3genE2ELNS1_11target_archE906ELNS1_3gpuE6ELNS1_3repE0EEENS1_30default_config_static_selectorELNS0_4arch9wavefront6targetE1EEEvT1_,"axG",@progbits,_ZN7rocprim17ROCPRIM_400000_NS6detail17trampoline_kernelINS0_14default_configENS1_27scan_by_key_config_selectorIiiEEZZNS1_16scan_by_key_implILNS1_25lookback_scan_determinismE0ELb0ES3_N6thrust23THRUST_200600_302600_NS10device_ptrIiEESB_SB_iNS9_4plusIvEENS9_8equal_toIvEEiEE10hipError_tPvRmT2_T3_T4_T5_mT6_T7_P12ihipStream_tbENKUlT_T0_E_clISt17integral_constantIbLb0EESV_IbLb1EEEEDaSR_SS_EUlSR_E_NS1_11comp_targetILNS1_3genE2ELNS1_11target_archE906ELNS1_3gpuE6ELNS1_3repE0EEENS1_30default_config_static_selectorELNS0_4arch9wavefront6targetE1EEEvT1_,comdat
	.protected	_ZN7rocprim17ROCPRIM_400000_NS6detail17trampoline_kernelINS0_14default_configENS1_27scan_by_key_config_selectorIiiEEZZNS1_16scan_by_key_implILNS1_25lookback_scan_determinismE0ELb0ES3_N6thrust23THRUST_200600_302600_NS10device_ptrIiEESB_SB_iNS9_4plusIvEENS9_8equal_toIvEEiEE10hipError_tPvRmT2_T3_T4_T5_mT6_T7_P12ihipStream_tbENKUlT_T0_E_clISt17integral_constantIbLb0EESV_IbLb1EEEEDaSR_SS_EUlSR_E_NS1_11comp_targetILNS1_3genE2ELNS1_11target_archE906ELNS1_3gpuE6ELNS1_3repE0EEENS1_30default_config_static_selectorELNS0_4arch9wavefront6targetE1EEEvT1_ ; -- Begin function _ZN7rocprim17ROCPRIM_400000_NS6detail17trampoline_kernelINS0_14default_configENS1_27scan_by_key_config_selectorIiiEEZZNS1_16scan_by_key_implILNS1_25lookback_scan_determinismE0ELb0ES3_N6thrust23THRUST_200600_302600_NS10device_ptrIiEESB_SB_iNS9_4plusIvEENS9_8equal_toIvEEiEE10hipError_tPvRmT2_T3_T4_T5_mT6_T7_P12ihipStream_tbENKUlT_T0_E_clISt17integral_constantIbLb0EESV_IbLb1EEEEDaSR_SS_EUlSR_E_NS1_11comp_targetILNS1_3genE2ELNS1_11target_archE906ELNS1_3gpuE6ELNS1_3repE0EEENS1_30default_config_static_selectorELNS0_4arch9wavefront6targetE1EEEvT1_
	.globl	_ZN7rocprim17ROCPRIM_400000_NS6detail17trampoline_kernelINS0_14default_configENS1_27scan_by_key_config_selectorIiiEEZZNS1_16scan_by_key_implILNS1_25lookback_scan_determinismE0ELb0ES3_N6thrust23THRUST_200600_302600_NS10device_ptrIiEESB_SB_iNS9_4plusIvEENS9_8equal_toIvEEiEE10hipError_tPvRmT2_T3_T4_T5_mT6_T7_P12ihipStream_tbENKUlT_T0_E_clISt17integral_constantIbLb0EESV_IbLb1EEEEDaSR_SS_EUlSR_E_NS1_11comp_targetILNS1_3genE2ELNS1_11target_archE906ELNS1_3gpuE6ELNS1_3repE0EEENS1_30default_config_static_selectorELNS0_4arch9wavefront6targetE1EEEvT1_
	.p2align	8
	.type	_ZN7rocprim17ROCPRIM_400000_NS6detail17trampoline_kernelINS0_14default_configENS1_27scan_by_key_config_selectorIiiEEZZNS1_16scan_by_key_implILNS1_25lookback_scan_determinismE0ELb0ES3_N6thrust23THRUST_200600_302600_NS10device_ptrIiEESB_SB_iNS9_4plusIvEENS9_8equal_toIvEEiEE10hipError_tPvRmT2_T3_T4_T5_mT6_T7_P12ihipStream_tbENKUlT_T0_E_clISt17integral_constantIbLb0EESV_IbLb1EEEEDaSR_SS_EUlSR_E_NS1_11comp_targetILNS1_3genE2ELNS1_11target_archE906ELNS1_3gpuE6ELNS1_3repE0EEENS1_30default_config_static_selectorELNS0_4arch9wavefront6targetE1EEEvT1_,@function
_ZN7rocprim17ROCPRIM_400000_NS6detail17trampoline_kernelINS0_14default_configENS1_27scan_by_key_config_selectorIiiEEZZNS1_16scan_by_key_implILNS1_25lookback_scan_determinismE0ELb0ES3_N6thrust23THRUST_200600_302600_NS10device_ptrIiEESB_SB_iNS9_4plusIvEENS9_8equal_toIvEEiEE10hipError_tPvRmT2_T3_T4_T5_mT6_T7_P12ihipStream_tbENKUlT_T0_E_clISt17integral_constantIbLb0EESV_IbLb1EEEEDaSR_SS_EUlSR_E_NS1_11comp_targetILNS1_3genE2ELNS1_11target_archE906ELNS1_3gpuE6ELNS1_3repE0EEENS1_30default_config_static_selectorELNS0_4arch9wavefront6targetE1EEEvT1_: ; @_ZN7rocprim17ROCPRIM_400000_NS6detail17trampoline_kernelINS0_14default_configENS1_27scan_by_key_config_selectorIiiEEZZNS1_16scan_by_key_implILNS1_25lookback_scan_determinismE0ELb0ES3_N6thrust23THRUST_200600_302600_NS10device_ptrIiEESB_SB_iNS9_4plusIvEENS9_8equal_toIvEEiEE10hipError_tPvRmT2_T3_T4_T5_mT6_T7_P12ihipStream_tbENKUlT_T0_E_clISt17integral_constantIbLb0EESV_IbLb1EEEEDaSR_SS_EUlSR_E_NS1_11comp_targetILNS1_3genE2ELNS1_11target_archE906ELNS1_3gpuE6ELNS1_3repE0EEENS1_30default_config_static_selectorELNS0_4arch9wavefront6targetE1EEEvT1_
; %bb.0:
	.section	.rodata,"a",@progbits
	.p2align	6, 0x0
	.amdhsa_kernel _ZN7rocprim17ROCPRIM_400000_NS6detail17trampoline_kernelINS0_14default_configENS1_27scan_by_key_config_selectorIiiEEZZNS1_16scan_by_key_implILNS1_25lookback_scan_determinismE0ELb0ES3_N6thrust23THRUST_200600_302600_NS10device_ptrIiEESB_SB_iNS9_4plusIvEENS9_8equal_toIvEEiEE10hipError_tPvRmT2_T3_T4_T5_mT6_T7_P12ihipStream_tbENKUlT_T0_E_clISt17integral_constantIbLb0EESV_IbLb1EEEEDaSR_SS_EUlSR_E_NS1_11comp_targetILNS1_3genE2ELNS1_11target_archE906ELNS1_3gpuE6ELNS1_3repE0EEENS1_30default_config_static_selectorELNS0_4arch9wavefront6targetE1EEEvT1_
		.amdhsa_group_segment_fixed_size 0
		.amdhsa_private_segment_fixed_size 0
		.amdhsa_kernarg_size 112
		.amdhsa_user_sgpr_count 6
		.amdhsa_user_sgpr_private_segment_buffer 1
		.amdhsa_user_sgpr_dispatch_ptr 0
		.amdhsa_user_sgpr_queue_ptr 0
		.amdhsa_user_sgpr_kernarg_segment_ptr 1
		.amdhsa_user_sgpr_dispatch_id 0
		.amdhsa_user_sgpr_flat_scratch_init 0
		.amdhsa_user_sgpr_kernarg_preload_length 0
		.amdhsa_user_sgpr_kernarg_preload_offset 0
		.amdhsa_user_sgpr_private_segment_size 0
		.amdhsa_uses_dynamic_stack 0
		.amdhsa_system_sgpr_private_segment_wavefront_offset 0
		.amdhsa_system_sgpr_workgroup_id_x 1
		.amdhsa_system_sgpr_workgroup_id_y 0
		.amdhsa_system_sgpr_workgroup_id_z 0
		.amdhsa_system_sgpr_workgroup_info 0
		.amdhsa_system_vgpr_workitem_id 0
		.amdhsa_next_free_vgpr 1
		.amdhsa_next_free_sgpr 0
		.amdhsa_accum_offset 4
		.amdhsa_reserve_vcc 0
		.amdhsa_reserve_flat_scratch 0
		.amdhsa_float_round_mode_32 0
		.amdhsa_float_round_mode_16_64 0
		.amdhsa_float_denorm_mode_32 3
		.amdhsa_float_denorm_mode_16_64 3
		.amdhsa_dx10_clamp 1
		.amdhsa_ieee_mode 1
		.amdhsa_fp16_overflow 0
		.amdhsa_tg_split 0
		.amdhsa_exception_fp_ieee_invalid_op 0
		.amdhsa_exception_fp_denorm_src 0
		.amdhsa_exception_fp_ieee_div_zero 0
		.amdhsa_exception_fp_ieee_overflow 0
		.amdhsa_exception_fp_ieee_underflow 0
		.amdhsa_exception_fp_ieee_inexact 0
		.amdhsa_exception_int_div_zero 0
	.end_amdhsa_kernel
	.section	.text._ZN7rocprim17ROCPRIM_400000_NS6detail17trampoline_kernelINS0_14default_configENS1_27scan_by_key_config_selectorIiiEEZZNS1_16scan_by_key_implILNS1_25lookback_scan_determinismE0ELb0ES3_N6thrust23THRUST_200600_302600_NS10device_ptrIiEESB_SB_iNS9_4plusIvEENS9_8equal_toIvEEiEE10hipError_tPvRmT2_T3_T4_T5_mT6_T7_P12ihipStream_tbENKUlT_T0_E_clISt17integral_constantIbLb0EESV_IbLb1EEEEDaSR_SS_EUlSR_E_NS1_11comp_targetILNS1_3genE2ELNS1_11target_archE906ELNS1_3gpuE6ELNS1_3repE0EEENS1_30default_config_static_selectorELNS0_4arch9wavefront6targetE1EEEvT1_,"axG",@progbits,_ZN7rocprim17ROCPRIM_400000_NS6detail17trampoline_kernelINS0_14default_configENS1_27scan_by_key_config_selectorIiiEEZZNS1_16scan_by_key_implILNS1_25lookback_scan_determinismE0ELb0ES3_N6thrust23THRUST_200600_302600_NS10device_ptrIiEESB_SB_iNS9_4plusIvEENS9_8equal_toIvEEiEE10hipError_tPvRmT2_T3_T4_T5_mT6_T7_P12ihipStream_tbENKUlT_T0_E_clISt17integral_constantIbLb0EESV_IbLb1EEEEDaSR_SS_EUlSR_E_NS1_11comp_targetILNS1_3genE2ELNS1_11target_archE906ELNS1_3gpuE6ELNS1_3repE0EEENS1_30default_config_static_selectorELNS0_4arch9wavefront6targetE1EEEvT1_,comdat
.Lfunc_end2229:
	.size	_ZN7rocprim17ROCPRIM_400000_NS6detail17trampoline_kernelINS0_14default_configENS1_27scan_by_key_config_selectorIiiEEZZNS1_16scan_by_key_implILNS1_25lookback_scan_determinismE0ELb0ES3_N6thrust23THRUST_200600_302600_NS10device_ptrIiEESB_SB_iNS9_4plusIvEENS9_8equal_toIvEEiEE10hipError_tPvRmT2_T3_T4_T5_mT6_T7_P12ihipStream_tbENKUlT_T0_E_clISt17integral_constantIbLb0EESV_IbLb1EEEEDaSR_SS_EUlSR_E_NS1_11comp_targetILNS1_3genE2ELNS1_11target_archE906ELNS1_3gpuE6ELNS1_3repE0EEENS1_30default_config_static_selectorELNS0_4arch9wavefront6targetE1EEEvT1_, .Lfunc_end2229-_ZN7rocprim17ROCPRIM_400000_NS6detail17trampoline_kernelINS0_14default_configENS1_27scan_by_key_config_selectorIiiEEZZNS1_16scan_by_key_implILNS1_25lookback_scan_determinismE0ELb0ES3_N6thrust23THRUST_200600_302600_NS10device_ptrIiEESB_SB_iNS9_4plusIvEENS9_8equal_toIvEEiEE10hipError_tPvRmT2_T3_T4_T5_mT6_T7_P12ihipStream_tbENKUlT_T0_E_clISt17integral_constantIbLb0EESV_IbLb1EEEEDaSR_SS_EUlSR_E_NS1_11comp_targetILNS1_3genE2ELNS1_11target_archE906ELNS1_3gpuE6ELNS1_3repE0EEENS1_30default_config_static_selectorELNS0_4arch9wavefront6targetE1EEEvT1_
                                        ; -- End function
	.section	.AMDGPU.csdata,"",@progbits
; Kernel info:
; codeLenInByte = 0
; NumSgprs: 4
; NumVgprs: 0
; NumAgprs: 0
; TotalNumVgprs: 0
; ScratchSize: 0
; MemoryBound: 0
; FloatMode: 240
; IeeeMode: 1
; LDSByteSize: 0 bytes/workgroup (compile time only)
; SGPRBlocks: 0
; VGPRBlocks: 0
; NumSGPRsForWavesPerEU: 4
; NumVGPRsForWavesPerEU: 1
; AccumOffset: 4
; Occupancy: 8
; WaveLimiterHint : 0
; COMPUTE_PGM_RSRC2:SCRATCH_EN: 0
; COMPUTE_PGM_RSRC2:USER_SGPR: 6
; COMPUTE_PGM_RSRC2:TRAP_HANDLER: 0
; COMPUTE_PGM_RSRC2:TGID_X_EN: 1
; COMPUTE_PGM_RSRC2:TGID_Y_EN: 0
; COMPUTE_PGM_RSRC2:TGID_Z_EN: 0
; COMPUTE_PGM_RSRC2:TIDIG_COMP_CNT: 0
; COMPUTE_PGM_RSRC3_GFX90A:ACCUM_OFFSET: 0
; COMPUTE_PGM_RSRC3_GFX90A:TG_SPLIT: 0
	.section	.text._ZN7rocprim17ROCPRIM_400000_NS6detail17trampoline_kernelINS0_14default_configENS1_27scan_by_key_config_selectorIiiEEZZNS1_16scan_by_key_implILNS1_25lookback_scan_determinismE0ELb0ES3_N6thrust23THRUST_200600_302600_NS10device_ptrIiEESB_SB_iNS9_4plusIvEENS9_8equal_toIvEEiEE10hipError_tPvRmT2_T3_T4_T5_mT6_T7_P12ihipStream_tbENKUlT_T0_E_clISt17integral_constantIbLb0EESV_IbLb1EEEEDaSR_SS_EUlSR_E_NS1_11comp_targetILNS1_3genE10ELNS1_11target_archE1200ELNS1_3gpuE4ELNS1_3repE0EEENS1_30default_config_static_selectorELNS0_4arch9wavefront6targetE1EEEvT1_,"axG",@progbits,_ZN7rocprim17ROCPRIM_400000_NS6detail17trampoline_kernelINS0_14default_configENS1_27scan_by_key_config_selectorIiiEEZZNS1_16scan_by_key_implILNS1_25lookback_scan_determinismE0ELb0ES3_N6thrust23THRUST_200600_302600_NS10device_ptrIiEESB_SB_iNS9_4plusIvEENS9_8equal_toIvEEiEE10hipError_tPvRmT2_T3_T4_T5_mT6_T7_P12ihipStream_tbENKUlT_T0_E_clISt17integral_constantIbLb0EESV_IbLb1EEEEDaSR_SS_EUlSR_E_NS1_11comp_targetILNS1_3genE10ELNS1_11target_archE1200ELNS1_3gpuE4ELNS1_3repE0EEENS1_30default_config_static_selectorELNS0_4arch9wavefront6targetE1EEEvT1_,comdat
	.protected	_ZN7rocprim17ROCPRIM_400000_NS6detail17trampoline_kernelINS0_14default_configENS1_27scan_by_key_config_selectorIiiEEZZNS1_16scan_by_key_implILNS1_25lookback_scan_determinismE0ELb0ES3_N6thrust23THRUST_200600_302600_NS10device_ptrIiEESB_SB_iNS9_4plusIvEENS9_8equal_toIvEEiEE10hipError_tPvRmT2_T3_T4_T5_mT6_T7_P12ihipStream_tbENKUlT_T0_E_clISt17integral_constantIbLb0EESV_IbLb1EEEEDaSR_SS_EUlSR_E_NS1_11comp_targetILNS1_3genE10ELNS1_11target_archE1200ELNS1_3gpuE4ELNS1_3repE0EEENS1_30default_config_static_selectorELNS0_4arch9wavefront6targetE1EEEvT1_ ; -- Begin function _ZN7rocprim17ROCPRIM_400000_NS6detail17trampoline_kernelINS0_14default_configENS1_27scan_by_key_config_selectorIiiEEZZNS1_16scan_by_key_implILNS1_25lookback_scan_determinismE0ELb0ES3_N6thrust23THRUST_200600_302600_NS10device_ptrIiEESB_SB_iNS9_4plusIvEENS9_8equal_toIvEEiEE10hipError_tPvRmT2_T3_T4_T5_mT6_T7_P12ihipStream_tbENKUlT_T0_E_clISt17integral_constantIbLb0EESV_IbLb1EEEEDaSR_SS_EUlSR_E_NS1_11comp_targetILNS1_3genE10ELNS1_11target_archE1200ELNS1_3gpuE4ELNS1_3repE0EEENS1_30default_config_static_selectorELNS0_4arch9wavefront6targetE1EEEvT1_
	.globl	_ZN7rocprim17ROCPRIM_400000_NS6detail17trampoline_kernelINS0_14default_configENS1_27scan_by_key_config_selectorIiiEEZZNS1_16scan_by_key_implILNS1_25lookback_scan_determinismE0ELb0ES3_N6thrust23THRUST_200600_302600_NS10device_ptrIiEESB_SB_iNS9_4plusIvEENS9_8equal_toIvEEiEE10hipError_tPvRmT2_T3_T4_T5_mT6_T7_P12ihipStream_tbENKUlT_T0_E_clISt17integral_constantIbLb0EESV_IbLb1EEEEDaSR_SS_EUlSR_E_NS1_11comp_targetILNS1_3genE10ELNS1_11target_archE1200ELNS1_3gpuE4ELNS1_3repE0EEENS1_30default_config_static_selectorELNS0_4arch9wavefront6targetE1EEEvT1_
	.p2align	8
	.type	_ZN7rocprim17ROCPRIM_400000_NS6detail17trampoline_kernelINS0_14default_configENS1_27scan_by_key_config_selectorIiiEEZZNS1_16scan_by_key_implILNS1_25lookback_scan_determinismE0ELb0ES3_N6thrust23THRUST_200600_302600_NS10device_ptrIiEESB_SB_iNS9_4plusIvEENS9_8equal_toIvEEiEE10hipError_tPvRmT2_T3_T4_T5_mT6_T7_P12ihipStream_tbENKUlT_T0_E_clISt17integral_constantIbLb0EESV_IbLb1EEEEDaSR_SS_EUlSR_E_NS1_11comp_targetILNS1_3genE10ELNS1_11target_archE1200ELNS1_3gpuE4ELNS1_3repE0EEENS1_30default_config_static_selectorELNS0_4arch9wavefront6targetE1EEEvT1_,@function
_ZN7rocprim17ROCPRIM_400000_NS6detail17trampoline_kernelINS0_14default_configENS1_27scan_by_key_config_selectorIiiEEZZNS1_16scan_by_key_implILNS1_25lookback_scan_determinismE0ELb0ES3_N6thrust23THRUST_200600_302600_NS10device_ptrIiEESB_SB_iNS9_4plusIvEENS9_8equal_toIvEEiEE10hipError_tPvRmT2_T3_T4_T5_mT6_T7_P12ihipStream_tbENKUlT_T0_E_clISt17integral_constantIbLb0EESV_IbLb1EEEEDaSR_SS_EUlSR_E_NS1_11comp_targetILNS1_3genE10ELNS1_11target_archE1200ELNS1_3gpuE4ELNS1_3repE0EEENS1_30default_config_static_selectorELNS0_4arch9wavefront6targetE1EEEvT1_: ; @_ZN7rocprim17ROCPRIM_400000_NS6detail17trampoline_kernelINS0_14default_configENS1_27scan_by_key_config_selectorIiiEEZZNS1_16scan_by_key_implILNS1_25lookback_scan_determinismE0ELb0ES3_N6thrust23THRUST_200600_302600_NS10device_ptrIiEESB_SB_iNS9_4plusIvEENS9_8equal_toIvEEiEE10hipError_tPvRmT2_T3_T4_T5_mT6_T7_P12ihipStream_tbENKUlT_T0_E_clISt17integral_constantIbLb0EESV_IbLb1EEEEDaSR_SS_EUlSR_E_NS1_11comp_targetILNS1_3genE10ELNS1_11target_archE1200ELNS1_3gpuE4ELNS1_3repE0EEENS1_30default_config_static_selectorELNS0_4arch9wavefront6targetE1EEEvT1_
; %bb.0:
	.section	.rodata,"a",@progbits
	.p2align	6, 0x0
	.amdhsa_kernel _ZN7rocprim17ROCPRIM_400000_NS6detail17trampoline_kernelINS0_14default_configENS1_27scan_by_key_config_selectorIiiEEZZNS1_16scan_by_key_implILNS1_25lookback_scan_determinismE0ELb0ES3_N6thrust23THRUST_200600_302600_NS10device_ptrIiEESB_SB_iNS9_4plusIvEENS9_8equal_toIvEEiEE10hipError_tPvRmT2_T3_T4_T5_mT6_T7_P12ihipStream_tbENKUlT_T0_E_clISt17integral_constantIbLb0EESV_IbLb1EEEEDaSR_SS_EUlSR_E_NS1_11comp_targetILNS1_3genE10ELNS1_11target_archE1200ELNS1_3gpuE4ELNS1_3repE0EEENS1_30default_config_static_selectorELNS0_4arch9wavefront6targetE1EEEvT1_
		.amdhsa_group_segment_fixed_size 0
		.amdhsa_private_segment_fixed_size 0
		.amdhsa_kernarg_size 112
		.amdhsa_user_sgpr_count 6
		.amdhsa_user_sgpr_private_segment_buffer 1
		.amdhsa_user_sgpr_dispatch_ptr 0
		.amdhsa_user_sgpr_queue_ptr 0
		.amdhsa_user_sgpr_kernarg_segment_ptr 1
		.amdhsa_user_sgpr_dispatch_id 0
		.amdhsa_user_sgpr_flat_scratch_init 0
		.amdhsa_user_sgpr_kernarg_preload_length 0
		.amdhsa_user_sgpr_kernarg_preload_offset 0
		.amdhsa_user_sgpr_private_segment_size 0
		.amdhsa_uses_dynamic_stack 0
		.amdhsa_system_sgpr_private_segment_wavefront_offset 0
		.amdhsa_system_sgpr_workgroup_id_x 1
		.amdhsa_system_sgpr_workgroup_id_y 0
		.amdhsa_system_sgpr_workgroup_id_z 0
		.amdhsa_system_sgpr_workgroup_info 0
		.amdhsa_system_vgpr_workitem_id 0
		.amdhsa_next_free_vgpr 1
		.amdhsa_next_free_sgpr 0
		.amdhsa_accum_offset 4
		.amdhsa_reserve_vcc 0
		.amdhsa_reserve_flat_scratch 0
		.amdhsa_float_round_mode_32 0
		.amdhsa_float_round_mode_16_64 0
		.amdhsa_float_denorm_mode_32 3
		.amdhsa_float_denorm_mode_16_64 3
		.amdhsa_dx10_clamp 1
		.amdhsa_ieee_mode 1
		.amdhsa_fp16_overflow 0
		.amdhsa_tg_split 0
		.amdhsa_exception_fp_ieee_invalid_op 0
		.amdhsa_exception_fp_denorm_src 0
		.amdhsa_exception_fp_ieee_div_zero 0
		.amdhsa_exception_fp_ieee_overflow 0
		.amdhsa_exception_fp_ieee_underflow 0
		.amdhsa_exception_fp_ieee_inexact 0
		.amdhsa_exception_int_div_zero 0
	.end_amdhsa_kernel
	.section	.text._ZN7rocprim17ROCPRIM_400000_NS6detail17trampoline_kernelINS0_14default_configENS1_27scan_by_key_config_selectorIiiEEZZNS1_16scan_by_key_implILNS1_25lookback_scan_determinismE0ELb0ES3_N6thrust23THRUST_200600_302600_NS10device_ptrIiEESB_SB_iNS9_4plusIvEENS9_8equal_toIvEEiEE10hipError_tPvRmT2_T3_T4_T5_mT6_T7_P12ihipStream_tbENKUlT_T0_E_clISt17integral_constantIbLb0EESV_IbLb1EEEEDaSR_SS_EUlSR_E_NS1_11comp_targetILNS1_3genE10ELNS1_11target_archE1200ELNS1_3gpuE4ELNS1_3repE0EEENS1_30default_config_static_selectorELNS0_4arch9wavefront6targetE1EEEvT1_,"axG",@progbits,_ZN7rocprim17ROCPRIM_400000_NS6detail17trampoline_kernelINS0_14default_configENS1_27scan_by_key_config_selectorIiiEEZZNS1_16scan_by_key_implILNS1_25lookback_scan_determinismE0ELb0ES3_N6thrust23THRUST_200600_302600_NS10device_ptrIiEESB_SB_iNS9_4plusIvEENS9_8equal_toIvEEiEE10hipError_tPvRmT2_T3_T4_T5_mT6_T7_P12ihipStream_tbENKUlT_T0_E_clISt17integral_constantIbLb0EESV_IbLb1EEEEDaSR_SS_EUlSR_E_NS1_11comp_targetILNS1_3genE10ELNS1_11target_archE1200ELNS1_3gpuE4ELNS1_3repE0EEENS1_30default_config_static_selectorELNS0_4arch9wavefront6targetE1EEEvT1_,comdat
.Lfunc_end2230:
	.size	_ZN7rocprim17ROCPRIM_400000_NS6detail17trampoline_kernelINS0_14default_configENS1_27scan_by_key_config_selectorIiiEEZZNS1_16scan_by_key_implILNS1_25lookback_scan_determinismE0ELb0ES3_N6thrust23THRUST_200600_302600_NS10device_ptrIiEESB_SB_iNS9_4plusIvEENS9_8equal_toIvEEiEE10hipError_tPvRmT2_T3_T4_T5_mT6_T7_P12ihipStream_tbENKUlT_T0_E_clISt17integral_constantIbLb0EESV_IbLb1EEEEDaSR_SS_EUlSR_E_NS1_11comp_targetILNS1_3genE10ELNS1_11target_archE1200ELNS1_3gpuE4ELNS1_3repE0EEENS1_30default_config_static_selectorELNS0_4arch9wavefront6targetE1EEEvT1_, .Lfunc_end2230-_ZN7rocprim17ROCPRIM_400000_NS6detail17trampoline_kernelINS0_14default_configENS1_27scan_by_key_config_selectorIiiEEZZNS1_16scan_by_key_implILNS1_25lookback_scan_determinismE0ELb0ES3_N6thrust23THRUST_200600_302600_NS10device_ptrIiEESB_SB_iNS9_4plusIvEENS9_8equal_toIvEEiEE10hipError_tPvRmT2_T3_T4_T5_mT6_T7_P12ihipStream_tbENKUlT_T0_E_clISt17integral_constantIbLb0EESV_IbLb1EEEEDaSR_SS_EUlSR_E_NS1_11comp_targetILNS1_3genE10ELNS1_11target_archE1200ELNS1_3gpuE4ELNS1_3repE0EEENS1_30default_config_static_selectorELNS0_4arch9wavefront6targetE1EEEvT1_
                                        ; -- End function
	.section	.AMDGPU.csdata,"",@progbits
; Kernel info:
; codeLenInByte = 0
; NumSgprs: 4
; NumVgprs: 0
; NumAgprs: 0
; TotalNumVgprs: 0
; ScratchSize: 0
; MemoryBound: 0
; FloatMode: 240
; IeeeMode: 1
; LDSByteSize: 0 bytes/workgroup (compile time only)
; SGPRBlocks: 0
; VGPRBlocks: 0
; NumSGPRsForWavesPerEU: 4
; NumVGPRsForWavesPerEU: 1
; AccumOffset: 4
; Occupancy: 8
; WaveLimiterHint : 0
; COMPUTE_PGM_RSRC2:SCRATCH_EN: 0
; COMPUTE_PGM_RSRC2:USER_SGPR: 6
; COMPUTE_PGM_RSRC2:TRAP_HANDLER: 0
; COMPUTE_PGM_RSRC2:TGID_X_EN: 1
; COMPUTE_PGM_RSRC2:TGID_Y_EN: 0
; COMPUTE_PGM_RSRC2:TGID_Z_EN: 0
; COMPUTE_PGM_RSRC2:TIDIG_COMP_CNT: 0
; COMPUTE_PGM_RSRC3_GFX90A:ACCUM_OFFSET: 0
; COMPUTE_PGM_RSRC3_GFX90A:TG_SPLIT: 0
	.section	.text._ZN7rocprim17ROCPRIM_400000_NS6detail17trampoline_kernelINS0_14default_configENS1_27scan_by_key_config_selectorIiiEEZZNS1_16scan_by_key_implILNS1_25lookback_scan_determinismE0ELb0ES3_N6thrust23THRUST_200600_302600_NS10device_ptrIiEESB_SB_iNS9_4plusIvEENS9_8equal_toIvEEiEE10hipError_tPvRmT2_T3_T4_T5_mT6_T7_P12ihipStream_tbENKUlT_T0_E_clISt17integral_constantIbLb0EESV_IbLb1EEEEDaSR_SS_EUlSR_E_NS1_11comp_targetILNS1_3genE9ELNS1_11target_archE1100ELNS1_3gpuE3ELNS1_3repE0EEENS1_30default_config_static_selectorELNS0_4arch9wavefront6targetE1EEEvT1_,"axG",@progbits,_ZN7rocprim17ROCPRIM_400000_NS6detail17trampoline_kernelINS0_14default_configENS1_27scan_by_key_config_selectorIiiEEZZNS1_16scan_by_key_implILNS1_25lookback_scan_determinismE0ELb0ES3_N6thrust23THRUST_200600_302600_NS10device_ptrIiEESB_SB_iNS9_4plusIvEENS9_8equal_toIvEEiEE10hipError_tPvRmT2_T3_T4_T5_mT6_T7_P12ihipStream_tbENKUlT_T0_E_clISt17integral_constantIbLb0EESV_IbLb1EEEEDaSR_SS_EUlSR_E_NS1_11comp_targetILNS1_3genE9ELNS1_11target_archE1100ELNS1_3gpuE3ELNS1_3repE0EEENS1_30default_config_static_selectorELNS0_4arch9wavefront6targetE1EEEvT1_,comdat
	.protected	_ZN7rocprim17ROCPRIM_400000_NS6detail17trampoline_kernelINS0_14default_configENS1_27scan_by_key_config_selectorIiiEEZZNS1_16scan_by_key_implILNS1_25lookback_scan_determinismE0ELb0ES3_N6thrust23THRUST_200600_302600_NS10device_ptrIiEESB_SB_iNS9_4plusIvEENS9_8equal_toIvEEiEE10hipError_tPvRmT2_T3_T4_T5_mT6_T7_P12ihipStream_tbENKUlT_T0_E_clISt17integral_constantIbLb0EESV_IbLb1EEEEDaSR_SS_EUlSR_E_NS1_11comp_targetILNS1_3genE9ELNS1_11target_archE1100ELNS1_3gpuE3ELNS1_3repE0EEENS1_30default_config_static_selectorELNS0_4arch9wavefront6targetE1EEEvT1_ ; -- Begin function _ZN7rocprim17ROCPRIM_400000_NS6detail17trampoline_kernelINS0_14default_configENS1_27scan_by_key_config_selectorIiiEEZZNS1_16scan_by_key_implILNS1_25lookback_scan_determinismE0ELb0ES3_N6thrust23THRUST_200600_302600_NS10device_ptrIiEESB_SB_iNS9_4plusIvEENS9_8equal_toIvEEiEE10hipError_tPvRmT2_T3_T4_T5_mT6_T7_P12ihipStream_tbENKUlT_T0_E_clISt17integral_constantIbLb0EESV_IbLb1EEEEDaSR_SS_EUlSR_E_NS1_11comp_targetILNS1_3genE9ELNS1_11target_archE1100ELNS1_3gpuE3ELNS1_3repE0EEENS1_30default_config_static_selectorELNS0_4arch9wavefront6targetE1EEEvT1_
	.globl	_ZN7rocprim17ROCPRIM_400000_NS6detail17trampoline_kernelINS0_14default_configENS1_27scan_by_key_config_selectorIiiEEZZNS1_16scan_by_key_implILNS1_25lookback_scan_determinismE0ELb0ES3_N6thrust23THRUST_200600_302600_NS10device_ptrIiEESB_SB_iNS9_4plusIvEENS9_8equal_toIvEEiEE10hipError_tPvRmT2_T3_T4_T5_mT6_T7_P12ihipStream_tbENKUlT_T0_E_clISt17integral_constantIbLb0EESV_IbLb1EEEEDaSR_SS_EUlSR_E_NS1_11comp_targetILNS1_3genE9ELNS1_11target_archE1100ELNS1_3gpuE3ELNS1_3repE0EEENS1_30default_config_static_selectorELNS0_4arch9wavefront6targetE1EEEvT1_
	.p2align	8
	.type	_ZN7rocprim17ROCPRIM_400000_NS6detail17trampoline_kernelINS0_14default_configENS1_27scan_by_key_config_selectorIiiEEZZNS1_16scan_by_key_implILNS1_25lookback_scan_determinismE0ELb0ES3_N6thrust23THRUST_200600_302600_NS10device_ptrIiEESB_SB_iNS9_4plusIvEENS9_8equal_toIvEEiEE10hipError_tPvRmT2_T3_T4_T5_mT6_T7_P12ihipStream_tbENKUlT_T0_E_clISt17integral_constantIbLb0EESV_IbLb1EEEEDaSR_SS_EUlSR_E_NS1_11comp_targetILNS1_3genE9ELNS1_11target_archE1100ELNS1_3gpuE3ELNS1_3repE0EEENS1_30default_config_static_selectorELNS0_4arch9wavefront6targetE1EEEvT1_,@function
_ZN7rocprim17ROCPRIM_400000_NS6detail17trampoline_kernelINS0_14default_configENS1_27scan_by_key_config_selectorIiiEEZZNS1_16scan_by_key_implILNS1_25lookback_scan_determinismE0ELb0ES3_N6thrust23THRUST_200600_302600_NS10device_ptrIiEESB_SB_iNS9_4plusIvEENS9_8equal_toIvEEiEE10hipError_tPvRmT2_T3_T4_T5_mT6_T7_P12ihipStream_tbENKUlT_T0_E_clISt17integral_constantIbLb0EESV_IbLb1EEEEDaSR_SS_EUlSR_E_NS1_11comp_targetILNS1_3genE9ELNS1_11target_archE1100ELNS1_3gpuE3ELNS1_3repE0EEENS1_30default_config_static_selectorELNS0_4arch9wavefront6targetE1EEEvT1_: ; @_ZN7rocprim17ROCPRIM_400000_NS6detail17trampoline_kernelINS0_14default_configENS1_27scan_by_key_config_selectorIiiEEZZNS1_16scan_by_key_implILNS1_25lookback_scan_determinismE0ELb0ES3_N6thrust23THRUST_200600_302600_NS10device_ptrIiEESB_SB_iNS9_4plusIvEENS9_8equal_toIvEEiEE10hipError_tPvRmT2_T3_T4_T5_mT6_T7_P12ihipStream_tbENKUlT_T0_E_clISt17integral_constantIbLb0EESV_IbLb1EEEEDaSR_SS_EUlSR_E_NS1_11comp_targetILNS1_3genE9ELNS1_11target_archE1100ELNS1_3gpuE3ELNS1_3repE0EEENS1_30default_config_static_selectorELNS0_4arch9wavefront6targetE1EEEvT1_
; %bb.0:
	.section	.rodata,"a",@progbits
	.p2align	6, 0x0
	.amdhsa_kernel _ZN7rocprim17ROCPRIM_400000_NS6detail17trampoline_kernelINS0_14default_configENS1_27scan_by_key_config_selectorIiiEEZZNS1_16scan_by_key_implILNS1_25lookback_scan_determinismE0ELb0ES3_N6thrust23THRUST_200600_302600_NS10device_ptrIiEESB_SB_iNS9_4plusIvEENS9_8equal_toIvEEiEE10hipError_tPvRmT2_T3_T4_T5_mT6_T7_P12ihipStream_tbENKUlT_T0_E_clISt17integral_constantIbLb0EESV_IbLb1EEEEDaSR_SS_EUlSR_E_NS1_11comp_targetILNS1_3genE9ELNS1_11target_archE1100ELNS1_3gpuE3ELNS1_3repE0EEENS1_30default_config_static_selectorELNS0_4arch9wavefront6targetE1EEEvT1_
		.amdhsa_group_segment_fixed_size 0
		.amdhsa_private_segment_fixed_size 0
		.amdhsa_kernarg_size 112
		.amdhsa_user_sgpr_count 6
		.amdhsa_user_sgpr_private_segment_buffer 1
		.amdhsa_user_sgpr_dispatch_ptr 0
		.amdhsa_user_sgpr_queue_ptr 0
		.amdhsa_user_sgpr_kernarg_segment_ptr 1
		.amdhsa_user_sgpr_dispatch_id 0
		.amdhsa_user_sgpr_flat_scratch_init 0
		.amdhsa_user_sgpr_kernarg_preload_length 0
		.amdhsa_user_sgpr_kernarg_preload_offset 0
		.amdhsa_user_sgpr_private_segment_size 0
		.amdhsa_uses_dynamic_stack 0
		.amdhsa_system_sgpr_private_segment_wavefront_offset 0
		.amdhsa_system_sgpr_workgroup_id_x 1
		.amdhsa_system_sgpr_workgroup_id_y 0
		.amdhsa_system_sgpr_workgroup_id_z 0
		.amdhsa_system_sgpr_workgroup_info 0
		.amdhsa_system_vgpr_workitem_id 0
		.amdhsa_next_free_vgpr 1
		.amdhsa_next_free_sgpr 0
		.amdhsa_accum_offset 4
		.amdhsa_reserve_vcc 0
		.amdhsa_reserve_flat_scratch 0
		.amdhsa_float_round_mode_32 0
		.amdhsa_float_round_mode_16_64 0
		.amdhsa_float_denorm_mode_32 3
		.amdhsa_float_denorm_mode_16_64 3
		.amdhsa_dx10_clamp 1
		.amdhsa_ieee_mode 1
		.amdhsa_fp16_overflow 0
		.amdhsa_tg_split 0
		.amdhsa_exception_fp_ieee_invalid_op 0
		.amdhsa_exception_fp_denorm_src 0
		.amdhsa_exception_fp_ieee_div_zero 0
		.amdhsa_exception_fp_ieee_overflow 0
		.amdhsa_exception_fp_ieee_underflow 0
		.amdhsa_exception_fp_ieee_inexact 0
		.amdhsa_exception_int_div_zero 0
	.end_amdhsa_kernel
	.section	.text._ZN7rocprim17ROCPRIM_400000_NS6detail17trampoline_kernelINS0_14default_configENS1_27scan_by_key_config_selectorIiiEEZZNS1_16scan_by_key_implILNS1_25lookback_scan_determinismE0ELb0ES3_N6thrust23THRUST_200600_302600_NS10device_ptrIiEESB_SB_iNS9_4plusIvEENS9_8equal_toIvEEiEE10hipError_tPvRmT2_T3_T4_T5_mT6_T7_P12ihipStream_tbENKUlT_T0_E_clISt17integral_constantIbLb0EESV_IbLb1EEEEDaSR_SS_EUlSR_E_NS1_11comp_targetILNS1_3genE9ELNS1_11target_archE1100ELNS1_3gpuE3ELNS1_3repE0EEENS1_30default_config_static_selectorELNS0_4arch9wavefront6targetE1EEEvT1_,"axG",@progbits,_ZN7rocprim17ROCPRIM_400000_NS6detail17trampoline_kernelINS0_14default_configENS1_27scan_by_key_config_selectorIiiEEZZNS1_16scan_by_key_implILNS1_25lookback_scan_determinismE0ELb0ES3_N6thrust23THRUST_200600_302600_NS10device_ptrIiEESB_SB_iNS9_4plusIvEENS9_8equal_toIvEEiEE10hipError_tPvRmT2_T3_T4_T5_mT6_T7_P12ihipStream_tbENKUlT_T0_E_clISt17integral_constantIbLb0EESV_IbLb1EEEEDaSR_SS_EUlSR_E_NS1_11comp_targetILNS1_3genE9ELNS1_11target_archE1100ELNS1_3gpuE3ELNS1_3repE0EEENS1_30default_config_static_selectorELNS0_4arch9wavefront6targetE1EEEvT1_,comdat
.Lfunc_end2231:
	.size	_ZN7rocprim17ROCPRIM_400000_NS6detail17trampoline_kernelINS0_14default_configENS1_27scan_by_key_config_selectorIiiEEZZNS1_16scan_by_key_implILNS1_25lookback_scan_determinismE0ELb0ES3_N6thrust23THRUST_200600_302600_NS10device_ptrIiEESB_SB_iNS9_4plusIvEENS9_8equal_toIvEEiEE10hipError_tPvRmT2_T3_T4_T5_mT6_T7_P12ihipStream_tbENKUlT_T0_E_clISt17integral_constantIbLb0EESV_IbLb1EEEEDaSR_SS_EUlSR_E_NS1_11comp_targetILNS1_3genE9ELNS1_11target_archE1100ELNS1_3gpuE3ELNS1_3repE0EEENS1_30default_config_static_selectorELNS0_4arch9wavefront6targetE1EEEvT1_, .Lfunc_end2231-_ZN7rocprim17ROCPRIM_400000_NS6detail17trampoline_kernelINS0_14default_configENS1_27scan_by_key_config_selectorIiiEEZZNS1_16scan_by_key_implILNS1_25lookback_scan_determinismE0ELb0ES3_N6thrust23THRUST_200600_302600_NS10device_ptrIiEESB_SB_iNS9_4plusIvEENS9_8equal_toIvEEiEE10hipError_tPvRmT2_T3_T4_T5_mT6_T7_P12ihipStream_tbENKUlT_T0_E_clISt17integral_constantIbLb0EESV_IbLb1EEEEDaSR_SS_EUlSR_E_NS1_11comp_targetILNS1_3genE9ELNS1_11target_archE1100ELNS1_3gpuE3ELNS1_3repE0EEENS1_30default_config_static_selectorELNS0_4arch9wavefront6targetE1EEEvT1_
                                        ; -- End function
	.section	.AMDGPU.csdata,"",@progbits
; Kernel info:
; codeLenInByte = 0
; NumSgprs: 4
; NumVgprs: 0
; NumAgprs: 0
; TotalNumVgprs: 0
; ScratchSize: 0
; MemoryBound: 0
; FloatMode: 240
; IeeeMode: 1
; LDSByteSize: 0 bytes/workgroup (compile time only)
; SGPRBlocks: 0
; VGPRBlocks: 0
; NumSGPRsForWavesPerEU: 4
; NumVGPRsForWavesPerEU: 1
; AccumOffset: 4
; Occupancy: 8
; WaveLimiterHint : 0
; COMPUTE_PGM_RSRC2:SCRATCH_EN: 0
; COMPUTE_PGM_RSRC2:USER_SGPR: 6
; COMPUTE_PGM_RSRC2:TRAP_HANDLER: 0
; COMPUTE_PGM_RSRC2:TGID_X_EN: 1
; COMPUTE_PGM_RSRC2:TGID_Y_EN: 0
; COMPUTE_PGM_RSRC2:TGID_Z_EN: 0
; COMPUTE_PGM_RSRC2:TIDIG_COMP_CNT: 0
; COMPUTE_PGM_RSRC3_GFX90A:ACCUM_OFFSET: 0
; COMPUTE_PGM_RSRC3_GFX90A:TG_SPLIT: 0
	.section	.text._ZN7rocprim17ROCPRIM_400000_NS6detail17trampoline_kernelINS0_14default_configENS1_27scan_by_key_config_selectorIiiEEZZNS1_16scan_by_key_implILNS1_25lookback_scan_determinismE0ELb0ES3_N6thrust23THRUST_200600_302600_NS10device_ptrIiEESB_SB_iNS9_4plusIvEENS9_8equal_toIvEEiEE10hipError_tPvRmT2_T3_T4_T5_mT6_T7_P12ihipStream_tbENKUlT_T0_E_clISt17integral_constantIbLb0EESV_IbLb1EEEEDaSR_SS_EUlSR_E_NS1_11comp_targetILNS1_3genE8ELNS1_11target_archE1030ELNS1_3gpuE2ELNS1_3repE0EEENS1_30default_config_static_selectorELNS0_4arch9wavefront6targetE1EEEvT1_,"axG",@progbits,_ZN7rocprim17ROCPRIM_400000_NS6detail17trampoline_kernelINS0_14default_configENS1_27scan_by_key_config_selectorIiiEEZZNS1_16scan_by_key_implILNS1_25lookback_scan_determinismE0ELb0ES3_N6thrust23THRUST_200600_302600_NS10device_ptrIiEESB_SB_iNS9_4plusIvEENS9_8equal_toIvEEiEE10hipError_tPvRmT2_T3_T4_T5_mT6_T7_P12ihipStream_tbENKUlT_T0_E_clISt17integral_constantIbLb0EESV_IbLb1EEEEDaSR_SS_EUlSR_E_NS1_11comp_targetILNS1_3genE8ELNS1_11target_archE1030ELNS1_3gpuE2ELNS1_3repE0EEENS1_30default_config_static_selectorELNS0_4arch9wavefront6targetE1EEEvT1_,comdat
	.protected	_ZN7rocprim17ROCPRIM_400000_NS6detail17trampoline_kernelINS0_14default_configENS1_27scan_by_key_config_selectorIiiEEZZNS1_16scan_by_key_implILNS1_25lookback_scan_determinismE0ELb0ES3_N6thrust23THRUST_200600_302600_NS10device_ptrIiEESB_SB_iNS9_4plusIvEENS9_8equal_toIvEEiEE10hipError_tPvRmT2_T3_T4_T5_mT6_T7_P12ihipStream_tbENKUlT_T0_E_clISt17integral_constantIbLb0EESV_IbLb1EEEEDaSR_SS_EUlSR_E_NS1_11comp_targetILNS1_3genE8ELNS1_11target_archE1030ELNS1_3gpuE2ELNS1_3repE0EEENS1_30default_config_static_selectorELNS0_4arch9wavefront6targetE1EEEvT1_ ; -- Begin function _ZN7rocprim17ROCPRIM_400000_NS6detail17trampoline_kernelINS0_14default_configENS1_27scan_by_key_config_selectorIiiEEZZNS1_16scan_by_key_implILNS1_25lookback_scan_determinismE0ELb0ES3_N6thrust23THRUST_200600_302600_NS10device_ptrIiEESB_SB_iNS9_4plusIvEENS9_8equal_toIvEEiEE10hipError_tPvRmT2_T3_T4_T5_mT6_T7_P12ihipStream_tbENKUlT_T0_E_clISt17integral_constantIbLb0EESV_IbLb1EEEEDaSR_SS_EUlSR_E_NS1_11comp_targetILNS1_3genE8ELNS1_11target_archE1030ELNS1_3gpuE2ELNS1_3repE0EEENS1_30default_config_static_selectorELNS0_4arch9wavefront6targetE1EEEvT1_
	.globl	_ZN7rocprim17ROCPRIM_400000_NS6detail17trampoline_kernelINS0_14default_configENS1_27scan_by_key_config_selectorIiiEEZZNS1_16scan_by_key_implILNS1_25lookback_scan_determinismE0ELb0ES3_N6thrust23THRUST_200600_302600_NS10device_ptrIiEESB_SB_iNS9_4plusIvEENS9_8equal_toIvEEiEE10hipError_tPvRmT2_T3_T4_T5_mT6_T7_P12ihipStream_tbENKUlT_T0_E_clISt17integral_constantIbLb0EESV_IbLb1EEEEDaSR_SS_EUlSR_E_NS1_11comp_targetILNS1_3genE8ELNS1_11target_archE1030ELNS1_3gpuE2ELNS1_3repE0EEENS1_30default_config_static_selectorELNS0_4arch9wavefront6targetE1EEEvT1_
	.p2align	8
	.type	_ZN7rocprim17ROCPRIM_400000_NS6detail17trampoline_kernelINS0_14default_configENS1_27scan_by_key_config_selectorIiiEEZZNS1_16scan_by_key_implILNS1_25lookback_scan_determinismE0ELb0ES3_N6thrust23THRUST_200600_302600_NS10device_ptrIiEESB_SB_iNS9_4plusIvEENS9_8equal_toIvEEiEE10hipError_tPvRmT2_T3_T4_T5_mT6_T7_P12ihipStream_tbENKUlT_T0_E_clISt17integral_constantIbLb0EESV_IbLb1EEEEDaSR_SS_EUlSR_E_NS1_11comp_targetILNS1_3genE8ELNS1_11target_archE1030ELNS1_3gpuE2ELNS1_3repE0EEENS1_30default_config_static_selectorELNS0_4arch9wavefront6targetE1EEEvT1_,@function
_ZN7rocprim17ROCPRIM_400000_NS6detail17trampoline_kernelINS0_14default_configENS1_27scan_by_key_config_selectorIiiEEZZNS1_16scan_by_key_implILNS1_25lookback_scan_determinismE0ELb0ES3_N6thrust23THRUST_200600_302600_NS10device_ptrIiEESB_SB_iNS9_4plusIvEENS9_8equal_toIvEEiEE10hipError_tPvRmT2_T3_T4_T5_mT6_T7_P12ihipStream_tbENKUlT_T0_E_clISt17integral_constantIbLb0EESV_IbLb1EEEEDaSR_SS_EUlSR_E_NS1_11comp_targetILNS1_3genE8ELNS1_11target_archE1030ELNS1_3gpuE2ELNS1_3repE0EEENS1_30default_config_static_selectorELNS0_4arch9wavefront6targetE1EEEvT1_: ; @_ZN7rocprim17ROCPRIM_400000_NS6detail17trampoline_kernelINS0_14default_configENS1_27scan_by_key_config_selectorIiiEEZZNS1_16scan_by_key_implILNS1_25lookback_scan_determinismE0ELb0ES3_N6thrust23THRUST_200600_302600_NS10device_ptrIiEESB_SB_iNS9_4plusIvEENS9_8equal_toIvEEiEE10hipError_tPvRmT2_T3_T4_T5_mT6_T7_P12ihipStream_tbENKUlT_T0_E_clISt17integral_constantIbLb0EESV_IbLb1EEEEDaSR_SS_EUlSR_E_NS1_11comp_targetILNS1_3genE8ELNS1_11target_archE1030ELNS1_3gpuE2ELNS1_3repE0EEENS1_30default_config_static_selectorELNS0_4arch9wavefront6targetE1EEEvT1_
; %bb.0:
	.section	.rodata,"a",@progbits
	.p2align	6, 0x0
	.amdhsa_kernel _ZN7rocprim17ROCPRIM_400000_NS6detail17trampoline_kernelINS0_14default_configENS1_27scan_by_key_config_selectorIiiEEZZNS1_16scan_by_key_implILNS1_25lookback_scan_determinismE0ELb0ES3_N6thrust23THRUST_200600_302600_NS10device_ptrIiEESB_SB_iNS9_4plusIvEENS9_8equal_toIvEEiEE10hipError_tPvRmT2_T3_T4_T5_mT6_T7_P12ihipStream_tbENKUlT_T0_E_clISt17integral_constantIbLb0EESV_IbLb1EEEEDaSR_SS_EUlSR_E_NS1_11comp_targetILNS1_3genE8ELNS1_11target_archE1030ELNS1_3gpuE2ELNS1_3repE0EEENS1_30default_config_static_selectorELNS0_4arch9wavefront6targetE1EEEvT1_
		.amdhsa_group_segment_fixed_size 0
		.amdhsa_private_segment_fixed_size 0
		.amdhsa_kernarg_size 112
		.amdhsa_user_sgpr_count 6
		.amdhsa_user_sgpr_private_segment_buffer 1
		.amdhsa_user_sgpr_dispatch_ptr 0
		.amdhsa_user_sgpr_queue_ptr 0
		.amdhsa_user_sgpr_kernarg_segment_ptr 1
		.amdhsa_user_sgpr_dispatch_id 0
		.amdhsa_user_sgpr_flat_scratch_init 0
		.amdhsa_user_sgpr_kernarg_preload_length 0
		.amdhsa_user_sgpr_kernarg_preload_offset 0
		.amdhsa_user_sgpr_private_segment_size 0
		.amdhsa_uses_dynamic_stack 0
		.amdhsa_system_sgpr_private_segment_wavefront_offset 0
		.amdhsa_system_sgpr_workgroup_id_x 1
		.amdhsa_system_sgpr_workgroup_id_y 0
		.amdhsa_system_sgpr_workgroup_id_z 0
		.amdhsa_system_sgpr_workgroup_info 0
		.amdhsa_system_vgpr_workitem_id 0
		.amdhsa_next_free_vgpr 1
		.amdhsa_next_free_sgpr 0
		.amdhsa_accum_offset 4
		.amdhsa_reserve_vcc 0
		.amdhsa_reserve_flat_scratch 0
		.amdhsa_float_round_mode_32 0
		.amdhsa_float_round_mode_16_64 0
		.amdhsa_float_denorm_mode_32 3
		.amdhsa_float_denorm_mode_16_64 3
		.amdhsa_dx10_clamp 1
		.amdhsa_ieee_mode 1
		.amdhsa_fp16_overflow 0
		.amdhsa_tg_split 0
		.amdhsa_exception_fp_ieee_invalid_op 0
		.amdhsa_exception_fp_denorm_src 0
		.amdhsa_exception_fp_ieee_div_zero 0
		.amdhsa_exception_fp_ieee_overflow 0
		.amdhsa_exception_fp_ieee_underflow 0
		.amdhsa_exception_fp_ieee_inexact 0
		.amdhsa_exception_int_div_zero 0
	.end_amdhsa_kernel
	.section	.text._ZN7rocprim17ROCPRIM_400000_NS6detail17trampoline_kernelINS0_14default_configENS1_27scan_by_key_config_selectorIiiEEZZNS1_16scan_by_key_implILNS1_25lookback_scan_determinismE0ELb0ES3_N6thrust23THRUST_200600_302600_NS10device_ptrIiEESB_SB_iNS9_4plusIvEENS9_8equal_toIvEEiEE10hipError_tPvRmT2_T3_T4_T5_mT6_T7_P12ihipStream_tbENKUlT_T0_E_clISt17integral_constantIbLb0EESV_IbLb1EEEEDaSR_SS_EUlSR_E_NS1_11comp_targetILNS1_3genE8ELNS1_11target_archE1030ELNS1_3gpuE2ELNS1_3repE0EEENS1_30default_config_static_selectorELNS0_4arch9wavefront6targetE1EEEvT1_,"axG",@progbits,_ZN7rocprim17ROCPRIM_400000_NS6detail17trampoline_kernelINS0_14default_configENS1_27scan_by_key_config_selectorIiiEEZZNS1_16scan_by_key_implILNS1_25lookback_scan_determinismE0ELb0ES3_N6thrust23THRUST_200600_302600_NS10device_ptrIiEESB_SB_iNS9_4plusIvEENS9_8equal_toIvEEiEE10hipError_tPvRmT2_T3_T4_T5_mT6_T7_P12ihipStream_tbENKUlT_T0_E_clISt17integral_constantIbLb0EESV_IbLb1EEEEDaSR_SS_EUlSR_E_NS1_11comp_targetILNS1_3genE8ELNS1_11target_archE1030ELNS1_3gpuE2ELNS1_3repE0EEENS1_30default_config_static_selectorELNS0_4arch9wavefront6targetE1EEEvT1_,comdat
.Lfunc_end2232:
	.size	_ZN7rocprim17ROCPRIM_400000_NS6detail17trampoline_kernelINS0_14default_configENS1_27scan_by_key_config_selectorIiiEEZZNS1_16scan_by_key_implILNS1_25lookback_scan_determinismE0ELb0ES3_N6thrust23THRUST_200600_302600_NS10device_ptrIiEESB_SB_iNS9_4plusIvEENS9_8equal_toIvEEiEE10hipError_tPvRmT2_T3_T4_T5_mT6_T7_P12ihipStream_tbENKUlT_T0_E_clISt17integral_constantIbLb0EESV_IbLb1EEEEDaSR_SS_EUlSR_E_NS1_11comp_targetILNS1_3genE8ELNS1_11target_archE1030ELNS1_3gpuE2ELNS1_3repE0EEENS1_30default_config_static_selectorELNS0_4arch9wavefront6targetE1EEEvT1_, .Lfunc_end2232-_ZN7rocprim17ROCPRIM_400000_NS6detail17trampoline_kernelINS0_14default_configENS1_27scan_by_key_config_selectorIiiEEZZNS1_16scan_by_key_implILNS1_25lookback_scan_determinismE0ELb0ES3_N6thrust23THRUST_200600_302600_NS10device_ptrIiEESB_SB_iNS9_4plusIvEENS9_8equal_toIvEEiEE10hipError_tPvRmT2_T3_T4_T5_mT6_T7_P12ihipStream_tbENKUlT_T0_E_clISt17integral_constantIbLb0EESV_IbLb1EEEEDaSR_SS_EUlSR_E_NS1_11comp_targetILNS1_3genE8ELNS1_11target_archE1030ELNS1_3gpuE2ELNS1_3repE0EEENS1_30default_config_static_selectorELNS0_4arch9wavefront6targetE1EEEvT1_
                                        ; -- End function
	.section	.AMDGPU.csdata,"",@progbits
; Kernel info:
; codeLenInByte = 0
; NumSgprs: 4
; NumVgprs: 0
; NumAgprs: 0
; TotalNumVgprs: 0
; ScratchSize: 0
; MemoryBound: 0
; FloatMode: 240
; IeeeMode: 1
; LDSByteSize: 0 bytes/workgroup (compile time only)
; SGPRBlocks: 0
; VGPRBlocks: 0
; NumSGPRsForWavesPerEU: 4
; NumVGPRsForWavesPerEU: 1
; AccumOffset: 4
; Occupancy: 8
; WaveLimiterHint : 0
; COMPUTE_PGM_RSRC2:SCRATCH_EN: 0
; COMPUTE_PGM_RSRC2:USER_SGPR: 6
; COMPUTE_PGM_RSRC2:TRAP_HANDLER: 0
; COMPUTE_PGM_RSRC2:TGID_X_EN: 1
; COMPUTE_PGM_RSRC2:TGID_Y_EN: 0
; COMPUTE_PGM_RSRC2:TGID_Z_EN: 0
; COMPUTE_PGM_RSRC2:TIDIG_COMP_CNT: 0
; COMPUTE_PGM_RSRC3_GFX90A:ACCUM_OFFSET: 0
; COMPUTE_PGM_RSRC3_GFX90A:TG_SPLIT: 0
	.section	.text._ZN7rocprim17ROCPRIM_400000_NS6detail17trampoline_kernelINS0_14default_configENS1_27scan_by_key_config_selectorIiiEEZZNS1_16scan_by_key_implILNS1_25lookback_scan_determinismE0ELb1ES3_N6thrust23THRUST_200600_302600_NS10device_ptrIiEESB_SB_iNS9_4plusIvEENS9_8equal_toIvEEiEE10hipError_tPvRmT2_T3_T4_T5_mT6_T7_P12ihipStream_tbENKUlT_T0_E_clISt17integral_constantIbLb0EESW_EEDaSR_SS_EUlSR_E_NS1_11comp_targetILNS1_3genE0ELNS1_11target_archE4294967295ELNS1_3gpuE0ELNS1_3repE0EEENS1_30default_config_static_selectorELNS0_4arch9wavefront6targetE1EEEvT1_,"axG",@progbits,_ZN7rocprim17ROCPRIM_400000_NS6detail17trampoline_kernelINS0_14default_configENS1_27scan_by_key_config_selectorIiiEEZZNS1_16scan_by_key_implILNS1_25lookback_scan_determinismE0ELb1ES3_N6thrust23THRUST_200600_302600_NS10device_ptrIiEESB_SB_iNS9_4plusIvEENS9_8equal_toIvEEiEE10hipError_tPvRmT2_T3_T4_T5_mT6_T7_P12ihipStream_tbENKUlT_T0_E_clISt17integral_constantIbLb0EESW_EEDaSR_SS_EUlSR_E_NS1_11comp_targetILNS1_3genE0ELNS1_11target_archE4294967295ELNS1_3gpuE0ELNS1_3repE0EEENS1_30default_config_static_selectorELNS0_4arch9wavefront6targetE1EEEvT1_,comdat
	.protected	_ZN7rocprim17ROCPRIM_400000_NS6detail17trampoline_kernelINS0_14default_configENS1_27scan_by_key_config_selectorIiiEEZZNS1_16scan_by_key_implILNS1_25lookback_scan_determinismE0ELb1ES3_N6thrust23THRUST_200600_302600_NS10device_ptrIiEESB_SB_iNS9_4plusIvEENS9_8equal_toIvEEiEE10hipError_tPvRmT2_T3_T4_T5_mT6_T7_P12ihipStream_tbENKUlT_T0_E_clISt17integral_constantIbLb0EESW_EEDaSR_SS_EUlSR_E_NS1_11comp_targetILNS1_3genE0ELNS1_11target_archE4294967295ELNS1_3gpuE0ELNS1_3repE0EEENS1_30default_config_static_selectorELNS0_4arch9wavefront6targetE1EEEvT1_ ; -- Begin function _ZN7rocprim17ROCPRIM_400000_NS6detail17trampoline_kernelINS0_14default_configENS1_27scan_by_key_config_selectorIiiEEZZNS1_16scan_by_key_implILNS1_25lookback_scan_determinismE0ELb1ES3_N6thrust23THRUST_200600_302600_NS10device_ptrIiEESB_SB_iNS9_4plusIvEENS9_8equal_toIvEEiEE10hipError_tPvRmT2_T3_T4_T5_mT6_T7_P12ihipStream_tbENKUlT_T0_E_clISt17integral_constantIbLb0EESW_EEDaSR_SS_EUlSR_E_NS1_11comp_targetILNS1_3genE0ELNS1_11target_archE4294967295ELNS1_3gpuE0ELNS1_3repE0EEENS1_30default_config_static_selectorELNS0_4arch9wavefront6targetE1EEEvT1_
	.globl	_ZN7rocprim17ROCPRIM_400000_NS6detail17trampoline_kernelINS0_14default_configENS1_27scan_by_key_config_selectorIiiEEZZNS1_16scan_by_key_implILNS1_25lookback_scan_determinismE0ELb1ES3_N6thrust23THRUST_200600_302600_NS10device_ptrIiEESB_SB_iNS9_4plusIvEENS9_8equal_toIvEEiEE10hipError_tPvRmT2_T3_T4_T5_mT6_T7_P12ihipStream_tbENKUlT_T0_E_clISt17integral_constantIbLb0EESW_EEDaSR_SS_EUlSR_E_NS1_11comp_targetILNS1_3genE0ELNS1_11target_archE4294967295ELNS1_3gpuE0ELNS1_3repE0EEENS1_30default_config_static_selectorELNS0_4arch9wavefront6targetE1EEEvT1_
	.p2align	8
	.type	_ZN7rocprim17ROCPRIM_400000_NS6detail17trampoline_kernelINS0_14default_configENS1_27scan_by_key_config_selectorIiiEEZZNS1_16scan_by_key_implILNS1_25lookback_scan_determinismE0ELb1ES3_N6thrust23THRUST_200600_302600_NS10device_ptrIiEESB_SB_iNS9_4plusIvEENS9_8equal_toIvEEiEE10hipError_tPvRmT2_T3_T4_T5_mT6_T7_P12ihipStream_tbENKUlT_T0_E_clISt17integral_constantIbLb0EESW_EEDaSR_SS_EUlSR_E_NS1_11comp_targetILNS1_3genE0ELNS1_11target_archE4294967295ELNS1_3gpuE0ELNS1_3repE0EEENS1_30default_config_static_selectorELNS0_4arch9wavefront6targetE1EEEvT1_,@function
_ZN7rocprim17ROCPRIM_400000_NS6detail17trampoline_kernelINS0_14default_configENS1_27scan_by_key_config_selectorIiiEEZZNS1_16scan_by_key_implILNS1_25lookback_scan_determinismE0ELb1ES3_N6thrust23THRUST_200600_302600_NS10device_ptrIiEESB_SB_iNS9_4plusIvEENS9_8equal_toIvEEiEE10hipError_tPvRmT2_T3_T4_T5_mT6_T7_P12ihipStream_tbENKUlT_T0_E_clISt17integral_constantIbLb0EESW_EEDaSR_SS_EUlSR_E_NS1_11comp_targetILNS1_3genE0ELNS1_11target_archE4294967295ELNS1_3gpuE0ELNS1_3repE0EEENS1_30default_config_static_selectorELNS0_4arch9wavefront6targetE1EEEvT1_: ; @_ZN7rocprim17ROCPRIM_400000_NS6detail17trampoline_kernelINS0_14default_configENS1_27scan_by_key_config_selectorIiiEEZZNS1_16scan_by_key_implILNS1_25lookback_scan_determinismE0ELb1ES3_N6thrust23THRUST_200600_302600_NS10device_ptrIiEESB_SB_iNS9_4plusIvEENS9_8equal_toIvEEiEE10hipError_tPvRmT2_T3_T4_T5_mT6_T7_P12ihipStream_tbENKUlT_T0_E_clISt17integral_constantIbLb0EESW_EEDaSR_SS_EUlSR_E_NS1_11comp_targetILNS1_3genE0ELNS1_11target_archE4294967295ELNS1_3gpuE0ELNS1_3repE0EEENS1_30default_config_static_selectorELNS0_4arch9wavefront6targetE1EEEvT1_
; %bb.0:
	.section	.rodata,"a",@progbits
	.p2align	6, 0x0
	.amdhsa_kernel _ZN7rocprim17ROCPRIM_400000_NS6detail17trampoline_kernelINS0_14default_configENS1_27scan_by_key_config_selectorIiiEEZZNS1_16scan_by_key_implILNS1_25lookback_scan_determinismE0ELb1ES3_N6thrust23THRUST_200600_302600_NS10device_ptrIiEESB_SB_iNS9_4plusIvEENS9_8equal_toIvEEiEE10hipError_tPvRmT2_T3_T4_T5_mT6_T7_P12ihipStream_tbENKUlT_T0_E_clISt17integral_constantIbLb0EESW_EEDaSR_SS_EUlSR_E_NS1_11comp_targetILNS1_3genE0ELNS1_11target_archE4294967295ELNS1_3gpuE0ELNS1_3repE0EEENS1_30default_config_static_selectorELNS0_4arch9wavefront6targetE1EEEvT1_
		.amdhsa_group_segment_fixed_size 0
		.amdhsa_private_segment_fixed_size 0
		.amdhsa_kernarg_size 112
		.amdhsa_user_sgpr_count 6
		.amdhsa_user_sgpr_private_segment_buffer 1
		.amdhsa_user_sgpr_dispatch_ptr 0
		.amdhsa_user_sgpr_queue_ptr 0
		.amdhsa_user_sgpr_kernarg_segment_ptr 1
		.amdhsa_user_sgpr_dispatch_id 0
		.amdhsa_user_sgpr_flat_scratch_init 0
		.amdhsa_user_sgpr_kernarg_preload_length 0
		.amdhsa_user_sgpr_kernarg_preload_offset 0
		.amdhsa_user_sgpr_private_segment_size 0
		.amdhsa_uses_dynamic_stack 0
		.amdhsa_system_sgpr_private_segment_wavefront_offset 0
		.amdhsa_system_sgpr_workgroup_id_x 1
		.amdhsa_system_sgpr_workgroup_id_y 0
		.amdhsa_system_sgpr_workgroup_id_z 0
		.amdhsa_system_sgpr_workgroup_info 0
		.amdhsa_system_vgpr_workitem_id 0
		.amdhsa_next_free_vgpr 1
		.amdhsa_next_free_sgpr 0
		.amdhsa_accum_offset 4
		.amdhsa_reserve_vcc 0
		.amdhsa_reserve_flat_scratch 0
		.amdhsa_float_round_mode_32 0
		.amdhsa_float_round_mode_16_64 0
		.amdhsa_float_denorm_mode_32 3
		.amdhsa_float_denorm_mode_16_64 3
		.amdhsa_dx10_clamp 1
		.amdhsa_ieee_mode 1
		.amdhsa_fp16_overflow 0
		.amdhsa_tg_split 0
		.amdhsa_exception_fp_ieee_invalid_op 0
		.amdhsa_exception_fp_denorm_src 0
		.amdhsa_exception_fp_ieee_div_zero 0
		.amdhsa_exception_fp_ieee_overflow 0
		.amdhsa_exception_fp_ieee_underflow 0
		.amdhsa_exception_fp_ieee_inexact 0
		.amdhsa_exception_int_div_zero 0
	.end_amdhsa_kernel
	.section	.text._ZN7rocprim17ROCPRIM_400000_NS6detail17trampoline_kernelINS0_14default_configENS1_27scan_by_key_config_selectorIiiEEZZNS1_16scan_by_key_implILNS1_25lookback_scan_determinismE0ELb1ES3_N6thrust23THRUST_200600_302600_NS10device_ptrIiEESB_SB_iNS9_4plusIvEENS9_8equal_toIvEEiEE10hipError_tPvRmT2_T3_T4_T5_mT6_T7_P12ihipStream_tbENKUlT_T0_E_clISt17integral_constantIbLb0EESW_EEDaSR_SS_EUlSR_E_NS1_11comp_targetILNS1_3genE0ELNS1_11target_archE4294967295ELNS1_3gpuE0ELNS1_3repE0EEENS1_30default_config_static_selectorELNS0_4arch9wavefront6targetE1EEEvT1_,"axG",@progbits,_ZN7rocprim17ROCPRIM_400000_NS6detail17trampoline_kernelINS0_14default_configENS1_27scan_by_key_config_selectorIiiEEZZNS1_16scan_by_key_implILNS1_25lookback_scan_determinismE0ELb1ES3_N6thrust23THRUST_200600_302600_NS10device_ptrIiEESB_SB_iNS9_4plusIvEENS9_8equal_toIvEEiEE10hipError_tPvRmT2_T3_T4_T5_mT6_T7_P12ihipStream_tbENKUlT_T0_E_clISt17integral_constantIbLb0EESW_EEDaSR_SS_EUlSR_E_NS1_11comp_targetILNS1_3genE0ELNS1_11target_archE4294967295ELNS1_3gpuE0ELNS1_3repE0EEENS1_30default_config_static_selectorELNS0_4arch9wavefront6targetE1EEEvT1_,comdat
.Lfunc_end2233:
	.size	_ZN7rocprim17ROCPRIM_400000_NS6detail17trampoline_kernelINS0_14default_configENS1_27scan_by_key_config_selectorIiiEEZZNS1_16scan_by_key_implILNS1_25lookback_scan_determinismE0ELb1ES3_N6thrust23THRUST_200600_302600_NS10device_ptrIiEESB_SB_iNS9_4plusIvEENS9_8equal_toIvEEiEE10hipError_tPvRmT2_T3_T4_T5_mT6_T7_P12ihipStream_tbENKUlT_T0_E_clISt17integral_constantIbLb0EESW_EEDaSR_SS_EUlSR_E_NS1_11comp_targetILNS1_3genE0ELNS1_11target_archE4294967295ELNS1_3gpuE0ELNS1_3repE0EEENS1_30default_config_static_selectorELNS0_4arch9wavefront6targetE1EEEvT1_, .Lfunc_end2233-_ZN7rocprim17ROCPRIM_400000_NS6detail17trampoline_kernelINS0_14default_configENS1_27scan_by_key_config_selectorIiiEEZZNS1_16scan_by_key_implILNS1_25lookback_scan_determinismE0ELb1ES3_N6thrust23THRUST_200600_302600_NS10device_ptrIiEESB_SB_iNS9_4plusIvEENS9_8equal_toIvEEiEE10hipError_tPvRmT2_T3_T4_T5_mT6_T7_P12ihipStream_tbENKUlT_T0_E_clISt17integral_constantIbLb0EESW_EEDaSR_SS_EUlSR_E_NS1_11comp_targetILNS1_3genE0ELNS1_11target_archE4294967295ELNS1_3gpuE0ELNS1_3repE0EEENS1_30default_config_static_selectorELNS0_4arch9wavefront6targetE1EEEvT1_
                                        ; -- End function
	.section	.AMDGPU.csdata,"",@progbits
; Kernel info:
; codeLenInByte = 0
; NumSgprs: 4
; NumVgprs: 0
; NumAgprs: 0
; TotalNumVgprs: 0
; ScratchSize: 0
; MemoryBound: 0
; FloatMode: 240
; IeeeMode: 1
; LDSByteSize: 0 bytes/workgroup (compile time only)
; SGPRBlocks: 0
; VGPRBlocks: 0
; NumSGPRsForWavesPerEU: 4
; NumVGPRsForWavesPerEU: 1
; AccumOffset: 4
; Occupancy: 8
; WaveLimiterHint : 0
; COMPUTE_PGM_RSRC2:SCRATCH_EN: 0
; COMPUTE_PGM_RSRC2:USER_SGPR: 6
; COMPUTE_PGM_RSRC2:TRAP_HANDLER: 0
; COMPUTE_PGM_RSRC2:TGID_X_EN: 1
; COMPUTE_PGM_RSRC2:TGID_Y_EN: 0
; COMPUTE_PGM_RSRC2:TGID_Z_EN: 0
; COMPUTE_PGM_RSRC2:TIDIG_COMP_CNT: 0
; COMPUTE_PGM_RSRC3_GFX90A:ACCUM_OFFSET: 0
; COMPUTE_PGM_RSRC3_GFX90A:TG_SPLIT: 0
	.section	.text._ZN7rocprim17ROCPRIM_400000_NS6detail17trampoline_kernelINS0_14default_configENS1_27scan_by_key_config_selectorIiiEEZZNS1_16scan_by_key_implILNS1_25lookback_scan_determinismE0ELb1ES3_N6thrust23THRUST_200600_302600_NS10device_ptrIiEESB_SB_iNS9_4plusIvEENS9_8equal_toIvEEiEE10hipError_tPvRmT2_T3_T4_T5_mT6_T7_P12ihipStream_tbENKUlT_T0_E_clISt17integral_constantIbLb0EESW_EEDaSR_SS_EUlSR_E_NS1_11comp_targetILNS1_3genE10ELNS1_11target_archE1201ELNS1_3gpuE5ELNS1_3repE0EEENS1_30default_config_static_selectorELNS0_4arch9wavefront6targetE1EEEvT1_,"axG",@progbits,_ZN7rocprim17ROCPRIM_400000_NS6detail17trampoline_kernelINS0_14default_configENS1_27scan_by_key_config_selectorIiiEEZZNS1_16scan_by_key_implILNS1_25lookback_scan_determinismE0ELb1ES3_N6thrust23THRUST_200600_302600_NS10device_ptrIiEESB_SB_iNS9_4plusIvEENS9_8equal_toIvEEiEE10hipError_tPvRmT2_T3_T4_T5_mT6_T7_P12ihipStream_tbENKUlT_T0_E_clISt17integral_constantIbLb0EESW_EEDaSR_SS_EUlSR_E_NS1_11comp_targetILNS1_3genE10ELNS1_11target_archE1201ELNS1_3gpuE5ELNS1_3repE0EEENS1_30default_config_static_selectorELNS0_4arch9wavefront6targetE1EEEvT1_,comdat
	.protected	_ZN7rocprim17ROCPRIM_400000_NS6detail17trampoline_kernelINS0_14default_configENS1_27scan_by_key_config_selectorIiiEEZZNS1_16scan_by_key_implILNS1_25lookback_scan_determinismE0ELb1ES3_N6thrust23THRUST_200600_302600_NS10device_ptrIiEESB_SB_iNS9_4plusIvEENS9_8equal_toIvEEiEE10hipError_tPvRmT2_T3_T4_T5_mT6_T7_P12ihipStream_tbENKUlT_T0_E_clISt17integral_constantIbLb0EESW_EEDaSR_SS_EUlSR_E_NS1_11comp_targetILNS1_3genE10ELNS1_11target_archE1201ELNS1_3gpuE5ELNS1_3repE0EEENS1_30default_config_static_selectorELNS0_4arch9wavefront6targetE1EEEvT1_ ; -- Begin function _ZN7rocprim17ROCPRIM_400000_NS6detail17trampoline_kernelINS0_14default_configENS1_27scan_by_key_config_selectorIiiEEZZNS1_16scan_by_key_implILNS1_25lookback_scan_determinismE0ELb1ES3_N6thrust23THRUST_200600_302600_NS10device_ptrIiEESB_SB_iNS9_4plusIvEENS9_8equal_toIvEEiEE10hipError_tPvRmT2_T3_T4_T5_mT6_T7_P12ihipStream_tbENKUlT_T0_E_clISt17integral_constantIbLb0EESW_EEDaSR_SS_EUlSR_E_NS1_11comp_targetILNS1_3genE10ELNS1_11target_archE1201ELNS1_3gpuE5ELNS1_3repE0EEENS1_30default_config_static_selectorELNS0_4arch9wavefront6targetE1EEEvT1_
	.globl	_ZN7rocprim17ROCPRIM_400000_NS6detail17trampoline_kernelINS0_14default_configENS1_27scan_by_key_config_selectorIiiEEZZNS1_16scan_by_key_implILNS1_25lookback_scan_determinismE0ELb1ES3_N6thrust23THRUST_200600_302600_NS10device_ptrIiEESB_SB_iNS9_4plusIvEENS9_8equal_toIvEEiEE10hipError_tPvRmT2_T3_T4_T5_mT6_T7_P12ihipStream_tbENKUlT_T0_E_clISt17integral_constantIbLb0EESW_EEDaSR_SS_EUlSR_E_NS1_11comp_targetILNS1_3genE10ELNS1_11target_archE1201ELNS1_3gpuE5ELNS1_3repE0EEENS1_30default_config_static_selectorELNS0_4arch9wavefront6targetE1EEEvT1_
	.p2align	8
	.type	_ZN7rocprim17ROCPRIM_400000_NS6detail17trampoline_kernelINS0_14default_configENS1_27scan_by_key_config_selectorIiiEEZZNS1_16scan_by_key_implILNS1_25lookback_scan_determinismE0ELb1ES3_N6thrust23THRUST_200600_302600_NS10device_ptrIiEESB_SB_iNS9_4plusIvEENS9_8equal_toIvEEiEE10hipError_tPvRmT2_T3_T4_T5_mT6_T7_P12ihipStream_tbENKUlT_T0_E_clISt17integral_constantIbLb0EESW_EEDaSR_SS_EUlSR_E_NS1_11comp_targetILNS1_3genE10ELNS1_11target_archE1201ELNS1_3gpuE5ELNS1_3repE0EEENS1_30default_config_static_selectorELNS0_4arch9wavefront6targetE1EEEvT1_,@function
_ZN7rocprim17ROCPRIM_400000_NS6detail17trampoline_kernelINS0_14default_configENS1_27scan_by_key_config_selectorIiiEEZZNS1_16scan_by_key_implILNS1_25lookback_scan_determinismE0ELb1ES3_N6thrust23THRUST_200600_302600_NS10device_ptrIiEESB_SB_iNS9_4plusIvEENS9_8equal_toIvEEiEE10hipError_tPvRmT2_T3_T4_T5_mT6_T7_P12ihipStream_tbENKUlT_T0_E_clISt17integral_constantIbLb0EESW_EEDaSR_SS_EUlSR_E_NS1_11comp_targetILNS1_3genE10ELNS1_11target_archE1201ELNS1_3gpuE5ELNS1_3repE0EEENS1_30default_config_static_selectorELNS0_4arch9wavefront6targetE1EEEvT1_: ; @_ZN7rocprim17ROCPRIM_400000_NS6detail17trampoline_kernelINS0_14default_configENS1_27scan_by_key_config_selectorIiiEEZZNS1_16scan_by_key_implILNS1_25lookback_scan_determinismE0ELb1ES3_N6thrust23THRUST_200600_302600_NS10device_ptrIiEESB_SB_iNS9_4plusIvEENS9_8equal_toIvEEiEE10hipError_tPvRmT2_T3_T4_T5_mT6_T7_P12ihipStream_tbENKUlT_T0_E_clISt17integral_constantIbLb0EESW_EEDaSR_SS_EUlSR_E_NS1_11comp_targetILNS1_3genE10ELNS1_11target_archE1201ELNS1_3gpuE5ELNS1_3repE0EEENS1_30default_config_static_selectorELNS0_4arch9wavefront6targetE1EEEvT1_
; %bb.0:
	.section	.rodata,"a",@progbits
	.p2align	6, 0x0
	.amdhsa_kernel _ZN7rocprim17ROCPRIM_400000_NS6detail17trampoline_kernelINS0_14default_configENS1_27scan_by_key_config_selectorIiiEEZZNS1_16scan_by_key_implILNS1_25lookback_scan_determinismE0ELb1ES3_N6thrust23THRUST_200600_302600_NS10device_ptrIiEESB_SB_iNS9_4plusIvEENS9_8equal_toIvEEiEE10hipError_tPvRmT2_T3_T4_T5_mT6_T7_P12ihipStream_tbENKUlT_T0_E_clISt17integral_constantIbLb0EESW_EEDaSR_SS_EUlSR_E_NS1_11comp_targetILNS1_3genE10ELNS1_11target_archE1201ELNS1_3gpuE5ELNS1_3repE0EEENS1_30default_config_static_selectorELNS0_4arch9wavefront6targetE1EEEvT1_
		.amdhsa_group_segment_fixed_size 0
		.amdhsa_private_segment_fixed_size 0
		.amdhsa_kernarg_size 112
		.amdhsa_user_sgpr_count 6
		.amdhsa_user_sgpr_private_segment_buffer 1
		.amdhsa_user_sgpr_dispatch_ptr 0
		.amdhsa_user_sgpr_queue_ptr 0
		.amdhsa_user_sgpr_kernarg_segment_ptr 1
		.amdhsa_user_sgpr_dispatch_id 0
		.amdhsa_user_sgpr_flat_scratch_init 0
		.amdhsa_user_sgpr_kernarg_preload_length 0
		.amdhsa_user_sgpr_kernarg_preload_offset 0
		.amdhsa_user_sgpr_private_segment_size 0
		.amdhsa_uses_dynamic_stack 0
		.amdhsa_system_sgpr_private_segment_wavefront_offset 0
		.amdhsa_system_sgpr_workgroup_id_x 1
		.amdhsa_system_sgpr_workgroup_id_y 0
		.amdhsa_system_sgpr_workgroup_id_z 0
		.amdhsa_system_sgpr_workgroup_info 0
		.amdhsa_system_vgpr_workitem_id 0
		.amdhsa_next_free_vgpr 1
		.amdhsa_next_free_sgpr 0
		.amdhsa_accum_offset 4
		.amdhsa_reserve_vcc 0
		.amdhsa_reserve_flat_scratch 0
		.amdhsa_float_round_mode_32 0
		.amdhsa_float_round_mode_16_64 0
		.amdhsa_float_denorm_mode_32 3
		.amdhsa_float_denorm_mode_16_64 3
		.amdhsa_dx10_clamp 1
		.amdhsa_ieee_mode 1
		.amdhsa_fp16_overflow 0
		.amdhsa_tg_split 0
		.amdhsa_exception_fp_ieee_invalid_op 0
		.amdhsa_exception_fp_denorm_src 0
		.amdhsa_exception_fp_ieee_div_zero 0
		.amdhsa_exception_fp_ieee_overflow 0
		.amdhsa_exception_fp_ieee_underflow 0
		.amdhsa_exception_fp_ieee_inexact 0
		.amdhsa_exception_int_div_zero 0
	.end_amdhsa_kernel
	.section	.text._ZN7rocprim17ROCPRIM_400000_NS6detail17trampoline_kernelINS0_14default_configENS1_27scan_by_key_config_selectorIiiEEZZNS1_16scan_by_key_implILNS1_25lookback_scan_determinismE0ELb1ES3_N6thrust23THRUST_200600_302600_NS10device_ptrIiEESB_SB_iNS9_4plusIvEENS9_8equal_toIvEEiEE10hipError_tPvRmT2_T3_T4_T5_mT6_T7_P12ihipStream_tbENKUlT_T0_E_clISt17integral_constantIbLb0EESW_EEDaSR_SS_EUlSR_E_NS1_11comp_targetILNS1_3genE10ELNS1_11target_archE1201ELNS1_3gpuE5ELNS1_3repE0EEENS1_30default_config_static_selectorELNS0_4arch9wavefront6targetE1EEEvT1_,"axG",@progbits,_ZN7rocprim17ROCPRIM_400000_NS6detail17trampoline_kernelINS0_14default_configENS1_27scan_by_key_config_selectorIiiEEZZNS1_16scan_by_key_implILNS1_25lookback_scan_determinismE0ELb1ES3_N6thrust23THRUST_200600_302600_NS10device_ptrIiEESB_SB_iNS9_4plusIvEENS9_8equal_toIvEEiEE10hipError_tPvRmT2_T3_T4_T5_mT6_T7_P12ihipStream_tbENKUlT_T0_E_clISt17integral_constantIbLb0EESW_EEDaSR_SS_EUlSR_E_NS1_11comp_targetILNS1_3genE10ELNS1_11target_archE1201ELNS1_3gpuE5ELNS1_3repE0EEENS1_30default_config_static_selectorELNS0_4arch9wavefront6targetE1EEEvT1_,comdat
.Lfunc_end2234:
	.size	_ZN7rocprim17ROCPRIM_400000_NS6detail17trampoline_kernelINS0_14default_configENS1_27scan_by_key_config_selectorIiiEEZZNS1_16scan_by_key_implILNS1_25lookback_scan_determinismE0ELb1ES3_N6thrust23THRUST_200600_302600_NS10device_ptrIiEESB_SB_iNS9_4plusIvEENS9_8equal_toIvEEiEE10hipError_tPvRmT2_T3_T4_T5_mT6_T7_P12ihipStream_tbENKUlT_T0_E_clISt17integral_constantIbLb0EESW_EEDaSR_SS_EUlSR_E_NS1_11comp_targetILNS1_3genE10ELNS1_11target_archE1201ELNS1_3gpuE5ELNS1_3repE0EEENS1_30default_config_static_selectorELNS0_4arch9wavefront6targetE1EEEvT1_, .Lfunc_end2234-_ZN7rocprim17ROCPRIM_400000_NS6detail17trampoline_kernelINS0_14default_configENS1_27scan_by_key_config_selectorIiiEEZZNS1_16scan_by_key_implILNS1_25lookback_scan_determinismE0ELb1ES3_N6thrust23THRUST_200600_302600_NS10device_ptrIiEESB_SB_iNS9_4plusIvEENS9_8equal_toIvEEiEE10hipError_tPvRmT2_T3_T4_T5_mT6_T7_P12ihipStream_tbENKUlT_T0_E_clISt17integral_constantIbLb0EESW_EEDaSR_SS_EUlSR_E_NS1_11comp_targetILNS1_3genE10ELNS1_11target_archE1201ELNS1_3gpuE5ELNS1_3repE0EEENS1_30default_config_static_selectorELNS0_4arch9wavefront6targetE1EEEvT1_
                                        ; -- End function
	.section	.AMDGPU.csdata,"",@progbits
; Kernel info:
; codeLenInByte = 0
; NumSgprs: 4
; NumVgprs: 0
; NumAgprs: 0
; TotalNumVgprs: 0
; ScratchSize: 0
; MemoryBound: 0
; FloatMode: 240
; IeeeMode: 1
; LDSByteSize: 0 bytes/workgroup (compile time only)
; SGPRBlocks: 0
; VGPRBlocks: 0
; NumSGPRsForWavesPerEU: 4
; NumVGPRsForWavesPerEU: 1
; AccumOffset: 4
; Occupancy: 8
; WaveLimiterHint : 0
; COMPUTE_PGM_RSRC2:SCRATCH_EN: 0
; COMPUTE_PGM_RSRC2:USER_SGPR: 6
; COMPUTE_PGM_RSRC2:TRAP_HANDLER: 0
; COMPUTE_PGM_RSRC2:TGID_X_EN: 1
; COMPUTE_PGM_RSRC2:TGID_Y_EN: 0
; COMPUTE_PGM_RSRC2:TGID_Z_EN: 0
; COMPUTE_PGM_RSRC2:TIDIG_COMP_CNT: 0
; COMPUTE_PGM_RSRC3_GFX90A:ACCUM_OFFSET: 0
; COMPUTE_PGM_RSRC3_GFX90A:TG_SPLIT: 0
	.section	.text._ZN7rocprim17ROCPRIM_400000_NS6detail17trampoline_kernelINS0_14default_configENS1_27scan_by_key_config_selectorIiiEEZZNS1_16scan_by_key_implILNS1_25lookback_scan_determinismE0ELb1ES3_N6thrust23THRUST_200600_302600_NS10device_ptrIiEESB_SB_iNS9_4plusIvEENS9_8equal_toIvEEiEE10hipError_tPvRmT2_T3_T4_T5_mT6_T7_P12ihipStream_tbENKUlT_T0_E_clISt17integral_constantIbLb0EESW_EEDaSR_SS_EUlSR_E_NS1_11comp_targetILNS1_3genE5ELNS1_11target_archE942ELNS1_3gpuE9ELNS1_3repE0EEENS1_30default_config_static_selectorELNS0_4arch9wavefront6targetE1EEEvT1_,"axG",@progbits,_ZN7rocprim17ROCPRIM_400000_NS6detail17trampoline_kernelINS0_14default_configENS1_27scan_by_key_config_selectorIiiEEZZNS1_16scan_by_key_implILNS1_25lookback_scan_determinismE0ELb1ES3_N6thrust23THRUST_200600_302600_NS10device_ptrIiEESB_SB_iNS9_4plusIvEENS9_8equal_toIvEEiEE10hipError_tPvRmT2_T3_T4_T5_mT6_T7_P12ihipStream_tbENKUlT_T0_E_clISt17integral_constantIbLb0EESW_EEDaSR_SS_EUlSR_E_NS1_11comp_targetILNS1_3genE5ELNS1_11target_archE942ELNS1_3gpuE9ELNS1_3repE0EEENS1_30default_config_static_selectorELNS0_4arch9wavefront6targetE1EEEvT1_,comdat
	.protected	_ZN7rocprim17ROCPRIM_400000_NS6detail17trampoline_kernelINS0_14default_configENS1_27scan_by_key_config_selectorIiiEEZZNS1_16scan_by_key_implILNS1_25lookback_scan_determinismE0ELb1ES3_N6thrust23THRUST_200600_302600_NS10device_ptrIiEESB_SB_iNS9_4plusIvEENS9_8equal_toIvEEiEE10hipError_tPvRmT2_T3_T4_T5_mT6_T7_P12ihipStream_tbENKUlT_T0_E_clISt17integral_constantIbLb0EESW_EEDaSR_SS_EUlSR_E_NS1_11comp_targetILNS1_3genE5ELNS1_11target_archE942ELNS1_3gpuE9ELNS1_3repE0EEENS1_30default_config_static_selectorELNS0_4arch9wavefront6targetE1EEEvT1_ ; -- Begin function _ZN7rocprim17ROCPRIM_400000_NS6detail17trampoline_kernelINS0_14default_configENS1_27scan_by_key_config_selectorIiiEEZZNS1_16scan_by_key_implILNS1_25lookback_scan_determinismE0ELb1ES3_N6thrust23THRUST_200600_302600_NS10device_ptrIiEESB_SB_iNS9_4plusIvEENS9_8equal_toIvEEiEE10hipError_tPvRmT2_T3_T4_T5_mT6_T7_P12ihipStream_tbENKUlT_T0_E_clISt17integral_constantIbLb0EESW_EEDaSR_SS_EUlSR_E_NS1_11comp_targetILNS1_3genE5ELNS1_11target_archE942ELNS1_3gpuE9ELNS1_3repE0EEENS1_30default_config_static_selectorELNS0_4arch9wavefront6targetE1EEEvT1_
	.globl	_ZN7rocprim17ROCPRIM_400000_NS6detail17trampoline_kernelINS0_14default_configENS1_27scan_by_key_config_selectorIiiEEZZNS1_16scan_by_key_implILNS1_25lookback_scan_determinismE0ELb1ES3_N6thrust23THRUST_200600_302600_NS10device_ptrIiEESB_SB_iNS9_4plusIvEENS9_8equal_toIvEEiEE10hipError_tPvRmT2_T3_T4_T5_mT6_T7_P12ihipStream_tbENKUlT_T0_E_clISt17integral_constantIbLb0EESW_EEDaSR_SS_EUlSR_E_NS1_11comp_targetILNS1_3genE5ELNS1_11target_archE942ELNS1_3gpuE9ELNS1_3repE0EEENS1_30default_config_static_selectorELNS0_4arch9wavefront6targetE1EEEvT1_
	.p2align	8
	.type	_ZN7rocprim17ROCPRIM_400000_NS6detail17trampoline_kernelINS0_14default_configENS1_27scan_by_key_config_selectorIiiEEZZNS1_16scan_by_key_implILNS1_25lookback_scan_determinismE0ELb1ES3_N6thrust23THRUST_200600_302600_NS10device_ptrIiEESB_SB_iNS9_4plusIvEENS9_8equal_toIvEEiEE10hipError_tPvRmT2_T3_T4_T5_mT6_T7_P12ihipStream_tbENKUlT_T0_E_clISt17integral_constantIbLb0EESW_EEDaSR_SS_EUlSR_E_NS1_11comp_targetILNS1_3genE5ELNS1_11target_archE942ELNS1_3gpuE9ELNS1_3repE0EEENS1_30default_config_static_selectorELNS0_4arch9wavefront6targetE1EEEvT1_,@function
_ZN7rocprim17ROCPRIM_400000_NS6detail17trampoline_kernelINS0_14default_configENS1_27scan_by_key_config_selectorIiiEEZZNS1_16scan_by_key_implILNS1_25lookback_scan_determinismE0ELb1ES3_N6thrust23THRUST_200600_302600_NS10device_ptrIiEESB_SB_iNS9_4plusIvEENS9_8equal_toIvEEiEE10hipError_tPvRmT2_T3_T4_T5_mT6_T7_P12ihipStream_tbENKUlT_T0_E_clISt17integral_constantIbLb0EESW_EEDaSR_SS_EUlSR_E_NS1_11comp_targetILNS1_3genE5ELNS1_11target_archE942ELNS1_3gpuE9ELNS1_3repE0EEENS1_30default_config_static_selectorELNS0_4arch9wavefront6targetE1EEEvT1_: ; @_ZN7rocprim17ROCPRIM_400000_NS6detail17trampoline_kernelINS0_14default_configENS1_27scan_by_key_config_selectorIiiEEZZNS1_16scan_by_key_implILNS1_25lookback_scan_determinismE0ELb1ES3_N6thrust23THRUST_200600_302600_NS10device_ptrIiEESB_SB_iNS9_4plusIvEENS9_8equal_toIvEEiEE10hipError_tPvRmT2_T3_T4_T5_mT6_T7_P12ihipStream_tbENKUlT_T0_E_clISt17integral_constantIbLb0EESW_EEDaSR_SS_EUlSR_E_NS1_11comp_targetILNS1_3genE5ELNS1_11target_archE942ELNS1_3gpuE9ELNS1_3repE0EEENS1_30default_config_static_selectorELNS0_4arch9wavefront6targetE1EEEvT1_
; %bb.0:
	.section	.rodata,"a",@progbits
	.p2align	6, 0x0
	.amdhsa_kernel _ZN7rocprim17ROCPRIM_400000_NS6detail17trampoline_kernelINS0_14default_configENS1_27scan_by_key_config_selectorIiiEEZZNS1_16scan_by_key_implILNS1_25lookback_scan_determinismE0ELb1ES3_N6thrust23THRUST_200600_302600_NS10device_ptrIiEESB_SB_iNS9_4plusIvEENS9_8equal_toIvEEiEE10hipError_tPvRmT2_T3_T4_T5_mT6_T7_P12ihipStream_tbENKUlT_T0_E_clISt17integral_constantIbLb0EESW_EEDaSR_SS_EUlSR_E_NS1_11comp_targetILNS1_3genE5ELNS1_11target_archE942ELNS1_3gpuE9ELNS1_3repE0EEENS1_30default_config_static_selectorELNS0_4arch9wavefront6targetE1EEEvT1_
		.amdhsa_group_segment_fixed_size 0
		.amdhsa_private_segment_fixed_size 0
		.amdhsa_kernarg_size 112
		.amdhsa_user_sgpr_count 6
		.amdhsa_user_sgpr_private_segment_buffer 1
		.amdhsa_user_sgpr_dispatch_ptr 0
		.amdhsa_user_sgpr_queue_ptr 0
		.amdhsa_user_sgpr_kernarg_segment_ptr 1
		.amdhsa_user_sgpr_dispatch_id 0
		.amdhsa_user_sgpr_flat_scratch_init 0
		.amdhsa_user_sgpr_kernarg_preload_length 0
		.amdhsa_user_sgpr_kernarg_preload_offset 0
		.amdhsa_user_sgpr_private_segment_size 0
		.amdhsa_uses_dynamic_stack 0
		.amdhsa_system_sgpr_private_segment_wavefront_offset 0
		.amdhsa_system_sgpr_workgroup_id_x 1
		.amdhsa_system_sgpr_workgroup_id_y 0
		.amdhsa_system_sgpr_workgroup_id_z 0
		.amdhsa_system_sgpr_workgroup_info 0
		.amdhsa_system_vgpr_workitem_id 0
		.amdhsa_next_free_vgpr 1
		.amdhsa_next_free_sgpr 0
		.amdhsa_accum_offset 4
		.amdhsa_reserve_vcc 0
		.amdhsa_reserve_flat_scratch 0
		.amdhsa_float_round_mode_32 0
		.amdhsa_float_round_mode_16_64 0
		.amdhsa_float_denorm_mode_32 3
		.amdhsa_float_denorm_mode_16_64 3
		.amdhsa_dx10_clamp 1
		.amdhsa_ieee_mode 1
		.amdhsa_fp16_overflow 0
		.amdhsa_tg_split 0
		.amdhsa_exception_fp_ieee_invalid_op 0
		.amdhsa_exception_fp_denorm_src 0
		.amdhsa_exception_fp_ieee_div_zero 0
		.amdhsa_exception_fp_ieee_overflow 0
		.amdhsa_exception_fp_ieee_underflow 0
		.amdhsa_exception_fp_ieee_inexact 0
		.amdhsa_exception_int_div_zero 0
	.end_amdhsa_kernel
	.section	.text._ZN7rocprim17ROCPRIM_400000_NS6detail17trampoline_kernelINS0_14default_configENS1_27scan_by_key_config_selectorIiiEEZZNS1_16scan_by_key_implILNS1_25lookback_scan_determinismE0ELb1ES3_N6thrust23THRUST_200600_302600_NS10device_ptrIiEESB_SB_iNS9_4plusIvEENS9_8equal_toIvEEiEE10hipError_tPvRmT2_T3_T4_T5_mT6_T7_P12ihipStream_tbENKUlT_T0_E_clISt17integral_constantIbLb0EESW_EEDaSR_SS_EUlSR_E_NS1_11comp_targetILNS1_3genE5ELNS1_11target_archE942ELNS1_3gpuE9ELNS1_3repE0EEENS1_30default_config_static_selectorELNS0_4arch9wavefront6targetE1EEEvT1_,"axG",@progbits,_ZN7rocprim17ROCPRIM_400000_NS6detail17trampoline_kernelINS0_14default_configENS1_27scan_by_key_config_selectorIiiEEZZNS1_16scan_by_key_implILNS1_25lookback_scan_determinismE0ELb1ES3_N6thrust23THRUST_200600_302600_NS10device_ptrIiEESB_SB_iNS9_4plusIvEENS9_8equal_toIvEEiEE10hipError_tPvRmT2_T3_T4_T5_mT6_T7_P12ihipStream_tbENKUlT_T0_E_clISt17integral_constantIbLb0EESW_EEDaSR_SS_EUlSR_E_NS1_11comp_targetILNS1_3genE5ELNS1_11target_archE942ELNS1_3gpuE9ELNS1_3repE0EEENS1_30default_config_static_selectorELNS0_4arch9wavefront6targetE1EEEvT1_,comdat
.Lfunc_end2235:
	.size	_ZN7rocprim17ROCPRIM_400000_NS6detail17trampoline_kernelINS0_14default_configENS1_27scan_by_key_config_selectorIiiEEZZNS1_16scan_by_key_implILNS1_25lookback_scan_determinismE0ELb1ES3_N6thrust23THRUST_200600_302600_NS10device_ptrIiEESB_SB_iNS9_4plusIvEENS9_8equal_toIvEEiEE10hipError_tPvRmT2_T3_T4_T5_mT6_T7_P12ihipStream_tbENKUlT_T0_E_clISt17integral_constantIbLb0EESW_EEDaSR_SS_EUlSR_E_NS1_11comp_targetILNS1_3genE5ELNS1_11target_archE942ELNS1_3gpuE9ELNS1_3repE0EEENS1_30default_config_static_selectorELNS0_4arch9wavefront6targetE1EEEvT1_, .Lfunc_end2235-_ZN7rocprim17ROCPRIM_400000_NS6detail17trampoline_kernelINS0_14default_configENS1_27scan_by_key_config_selectorIiiEEZZNS1_16scan_by_key_implILNS1_25lookback_scan_determinismE0ELb1ES3_N6thrust23THRUST_200600_302600_NS10device_ptrIiEESB_SB_iNS9_4plusIvEENS9_8equal_toIvEEiEE10hipError_tPvRmT2_T3_T4_T5_mT6_T7_P12ihipStream_tbENKUlT_T0_E_clISt17integral_constantIbLb0EESW_EEDaSR_SS_EUlSR_E_NS1_11comp_targetILNS1_3genE5ELNS1_11target_archE942ELNS1_3gpuE9ELNS1_3repE0EEENS1_30default_config_static_selectorELNS0_4arch9wavefront6targetE1EEEvT1_
                                        ; -- End function
	.section	.AMDGPU.csdata,"",@progbits
; Kernel info:
; codeLenInByte = 0
; NumSgprs: 4
; NumVgprs: 0
; NumAgprs: 0
; TotalNumVgprs: 0
; ScratchSize: 0
; MemoryBound: 0
; FloatMode: 240
; IeeeMode: 1
; LDSByteSize: 0 bytes/workgroup (compile time only)
; SGPRBlocks: 0
; VGPRBlocks: 0
; NumSGPRsForWavesPerEU: 4
; NumVGPRsForWavesPerEU: 1
; AccumOffset: 4
; Occupancy: 8
; WaveLimiterHint : 0
; COMPUTE_PGM_RSRC2:SCRATCH_EN: 0
; COMPUTE_PGM_RSRC2:USER_SGPR: 6
; COMPUTE_PGM_RSRC2:TRAP_HANDLER: 0
; COMPUTE_PGM_RSRC2:TGID_X_EN: 1
; COMPUTE_PGM_RSRC2:TGID_Y_EN: 0
; COMPUTE_PGM_RSRC2:TGID_Z_EN: 0
; COMPUTE_PGM_RSRC2:TIDIG_COMP_CNT: 0
; COMPUTE_PGM_RSRC3_GFX90A:ACCUM_OFFSET: 0
; COMPUTE_PGM_RSRC3_GFX90A:TG_SPLIT: 0
	.section	.text._ZN7rocprim17ROCPRIM_400000_NS6detail17trampoline_kernelINS0_14default_configENS1_27scan_by_key_config_selectorIiiEEZZNS1_16scan_by_key_implILNS1_25lookback_scan_determinismE0ELb1ES3_N6thrust23THRUST_200600_302600_NS10device_ptrIiEESB_SB_iNS9_4plusIvEENS9_8equal_toIvEEiEE10hipError_tPvRmT2_T3_T4_T5_mT6_T7_P12ihipStream_tbENKUlT_T0_E_clISt17integral_constantIbLb0EESW_EEDaSR_SS_EUlSR_E_NS1_11comp_targetILNS1_3genE4ELNS1_11target_archE910ELNS1_3gpuE8ELNS1_3repE0EEENS1_30default_config_static_selectorELNS0_4arch9wavefront6targetE1EEEvT1_,"axG",@progbits,_ZN7rocprim17ROCPRIM_400000_NS6detail17trampoline_kernelINS0_14default_configENS1_27scan_by_key_config_selectorIiiEEZZNS1_16scan_by_key_implILNS1_25lookback_scan_determinismE0ELb1ES3_N6thrust23THRUST_200600_302600_NS10device_ptrIiEESB_SB_iNS9_4plusIvEENS9_8equal_toIvEEiEE10hipError_tPvRmT2_T3_T4_T5_mT6_T7_P12ihipStream_tbENKUlT_T0_E_clISt17integral_constantIbLb0EESW_EEDaSR_SS_EUlSR_E_NS1_11comp_targetILNS1_3genE4ELNS1_11target_archE910ELNS1_3gpuE8ELNS1_3repE0EEENS1_30default_config_static_selectorELNS0_4arch9wavefront6targetE1EEEvT1_,comdat
	.protected	_ZN7rocprim17ROCPRIM_400000_NS6detail17trampoline_kernelINS0_14default_configENS1_27scan_by_key_config_selectorIiiEEZZNS1_16scan_by_key_implILNS1_25lookback_scan_determinismE0ELb1ES3_N6thrust23THRUST_200600_302600_NS10device_ptrIiEESB_SB_iNS9_4plusIvEENS9_8equal_toIvEEiEE10hipError_tPvRmT2_T3_T4_T5_mT6_T7_P12ihipStream_tbENKUlT_T0_E_clISt17integral_constantIbLb0EESW_EEDaSR_SS_EUlSR_E_NS1_11comp_targetILNS1_3genE4ELNS1_11target_archE910ELNS1_3gpuE8ELNS1_3repE0EEENS1_30default_config_static_selectorELNS0_4arch9wavefront6targetE1EEEvT1_ ; -- Begin function _ZN7rocprim17ROCPRIM_400000_NS6detail17trampoline_kernelINS0_14default_configENS1_27scan_by_key_config_selectorIiiEEZZNS1_16scan_by_key_implILNS1_25lookback_scan_determinismE0ELb1ES3_N6thrust23THRUST_200600_302600_NS10device_ptrIiEESB_SB_iNS9_4plusIvEENS9_8equal_toIvEEiEE10hipError_tPvRmT2_T3_T4_T5_mT6_T7_P12ihipStream_tbENKUlT_T0_E_clISt17integral_constantIbLb0EESW_EEDaSR_SS_EUlSR_E_NS1_11comp_targetILNS1_3genE4ELNS1_11target_archE910ELNS1_3gpuE8ELNS1_3repE0EEENS1_30default_config_static_selectorELNS0_4arch9wavefront6targetE1EEEvT1_
	.globl	_ZN7rocprim17ROCPRIM_400000_NS6detail17trampoline_kernelINS0_14default_configENS1_27scan_by_key_config_selectorIiiEEZZNS1_16scan_by_key_implILNS1_25lookback_scan_determinismE0ELb1ES3_N6thrust23THRUST_200600_302600_NS10device_ptrIiEESB_SB_iNS9_4plusIvEENS9_8equal_toIvEEiEE10hipError_tPvRmT2_T3_T4_T5_mT6_T7_P12ihipStream_tbENKUlT_T0_E_clISt17integral_constantIbLb0EESW_EEDaSR_SS_EUlSR_E_NS1_11comp_targetILNS1_3genE4ELNS1_11target_archE910ELNS1_3gpuE8ELNS1_3repE0EEENS1_30default_config_static_selectorELNS0_4arch9wavefront6targetE1EEEvT1_
	.p2align	8
	.type	_ZN7rocprim17ROCPRIM_400000_NS6detail17trampoline_kernelINS0_14default_configENS1_27scan_by_key_config_selectorIiiEEZZNS1_16scan_by_key_implILNS1_25lookback_scan_determinismE0ELb1ES3_N6thrust23THRUST_200600_302600_NS10device_ptrIiEESB_SB_iNS9_4plusIvEENS9_8equal_toIvEEiEE10hipError_tPvRmT2_T3_T4_T5_mT6_T7_P12ihipStream_tbENKUlT_T0_E_clISt17integral_constantIbLb0EESW_EEDaSR_SS_EUlSR_E_NS1_11comp_targetILNS1_3genE4ELNS1_11target_archE910ELNS1_3gpuE8ELNS1_3repE0EEENS1_30default_config_static_selectorELNS0_4arch9wavefront6targetE1EEEvT1_,@function
_ZN7rocprim17ROCPRIM_400000_NS6detail17trampoline_kernelINS0_14default_configENS1_27scan_by_key_config_selectorIiiEEZZNS1_16scan_by_key_implILNS1_25lookback_scan_determinismE0ELb1ES3_N6thrust23THRUST_200600_302600_NS10device_ptrIiEESB_SB_iNS9_4plusIvEENS9_8equal_toIvEEiEE10hipError_tPvRmT2_T3_T4_T5_mT6_T7_P12ihipStream_tbENKUlT_T0_E_clISt17integral_constantIbLb0EESW_EEDaSR_SS_EUlSR_E_NS1_11comp_targetILNS1_3genE4ELNS1_11target_archE910ELNS1_3gpuE8ELNS1_3repE0EEENS1_30default_config_static_selectorELNS0_4arch9wavefront6targetE1EEEvT1_: ; @_ZN7rocprim17ROCPRIM_400000_NS6detail17trampoline_kernelINS0_14default_configENS1_27scan_by_key_config_selectorIiiEEZZNS1_16scan_by_key_implILNS1_25lookback_scan_determinismE0ELb1ES3_N6thrust23THRUST_200600_302600_NS10device_ptrIiEESB_SB_iNS9_4plusIvEENS9_8equal_toIvEEiEE10hipError_tPvRmT2_T3_T4_T5_mT6_T7_P12ihipStream_tbENKUlT_T0_E_clISt17integral_constantIbLb0EESW_EEDaSR_SS_EUlSR_E_NS1_11comp_targetILNS1_3genE4ELNS1_11target_archE910ELNS1_3gpuE8ELNS1_3repE0EEENS1_30default_config_static_selectorELNS0_4arch9wavefront6targetE1EEEvT1_
; %bb.0:
	s_load_dwordx8 s[36:43], s[4:5], 0x0
	s_load_dword s56, s[4:5], 0x20
	s_load_dwordx4 s[44:47], s[4:5], 0x28
	s_load_dwordx2 s[52:53], s[4:5], 0x38
	s_load_dword s0, s[4:5], 0x40
	s_load_dwordx4 s[48:51], s[4:5], 0x48
	s_waitcnt lgkmcnt(0)
	s_lshl_b64 s[34:35], s[38:39], 2
	s_add_u32 s2, s36, s34
	s_addc_u32 s3, s37, s35
	s_add_u32 s4, s40, s34
	s_mul_i32 s1, s53, s0
	s_mul_hi_u32 s7, s52, s0
	s_addc_u32 s5, s41, s35
	s_add_i32 s8, s7, s1
	s_mul_i32 s9, s52, s0
	s_mul_i32 s0, s6, 0xe00
	s_mov_b32 s1, 0
	s_lshl_b64 s[36:37], s[0:1], 2
	s_add_u32 s38, s2, s36
	s_addc_u32 s39, s3, s37
	s_add_u32 s7, s4, s36
	s_addc_u32 s47, s5, s37
	;; [unrolled: 2-line block ×3, first 2 shown]
	s_add_u32 s4, s48, -1
	s_addc_u32 s5, s49, -1
	v_pk_mov_b32 v[2:3], s[4:5], s[4:5] op_sel:[0,1]
	v_cmp_ge_u64_e64 s[0:1], s[0:1], v[2:3]
	s_mov_b64 s[2:3], -1
	s_and_b64 vcc, exec, s[0:1]
	s_mul_i32 s33, s4, 0xfffff200
	s_barrier
	s_cbranch_vccz .LBB2236_76
; %bb.1:
	v_pk_mov_b32 v[2:3], s[38:39], s[38:39] op_sel:[0,1]
	flat_load_dword v1, v[2:3]
	s_add_i32 s54, s33, s46
	v_cmp_gt_u32_e32 vcc, s54, v0
	s_waitcnt vmcnt(0) lgkmcnt(0)
	v_mov_b32_e32 v13, v1
	s_and_saveexec_b64 s[4:5], vcc
	s_cbranch_execz .LBB2236_3
; %bb.2:
	v_lshlrev_b32_e32 v2, 2, v0
	v_mov_b32_e32 v3, s39
	v_add_co_u32_e64 v2, s[2:3], s38, v2
	v_addc_co_u32_e64 v3, s[2:3], 0, v3, s[2:3]
	flat_load_dword v13, v[2:3]
.LBB2236_3:
	s_or_b64 exec, exec, s[4:5]
	v_or_b32_e32 v2, 0x100, v0
	v_cmp_gt_u32_e64 s[2:3], s54, v2
	v_mov_b32_e32 v14, v1
	s_and_saveexec_b64 s[8:9], s[2:3]
	s_cbranch_execz .LBB2236_5
; %bb.4:
	v_lshlrev_b32_e32 v2, 2, v0
	v_mov_b32_e32 v3, s39
	v_add_co_u32_e64 v2, s[4:5], s38, v2
	v_addc_co_u32_e64 v3, s[4:5], 0, v3, s[4:5]
	flat_load_dword v14, v[2:3] offset:1024
.LBB2236_5:
	s_or_b64 exec, exec, s[8:9]
	v_or_b32_e32 v2, 0x200, v0
	v_cmp_gt_u32_e64 s[4:5], s54, v2
	v_mov_b32_e32 v15, v1
	s_and_saveexec_b64 s[10:11], s[4:5]
	s_cbranch_execz .LBB2236_7
; %bb.6:
	v_lshlrev_b32_e32 v2, 2, v0
	v_mov_b32_e32 v3, s39
	v_add_co_u32_e64 v2, s[8:9], s38, v2
	v_addc_co_u32_e64 v3, s[8:9], 0, v3, s[8:9]
	flat_load_dword v15, v[2:3] offset:2048
.LBB2236_7:
	;; [unrolled: 13-line block ×3, first 2 shown]
	s_or_b64 exec, exec, s[10:11]
	v_or_b32_e32 v2, 0x400, v0
	v_cmp_gt_u32_e64 s[8:9], s54, v2
	v_lshlrev_b32_e32 v2, 2, v2
	v_mov_b32_e32 v17, v1
	s_and_saveexec_b64 s[12:13], s[8:9]
	s_cbranch_execz .LBB2236_11
; %bb.10:
	v_mov_b32_e32 v3, s39
	v_add_co_u32_e64 v4, s[10:11], s38, v2
	v_addc_co_u32_e64 v5, s[10:11], 0, v3, s[10:11]
	flat_load_dword v17, v[4:5]
.LBB2236_11:
	s_or_b64 exec, exec, s[12:13]
	v_or_b32_e32 v3, 0x500, v0
	v_cmp_gt_u32_e64 s[10:11], s54, v3
	v_lshlrev_b32_e32 v3, 2, v3
	v_mov_b32_e32 v18, v1
	s_and_saveexec_b64 s[14:15], s[10:11]
	s_cbranch_execz .LBB2236_13
; %bb.12:
	v_mov_b32_e32 v5, s39
	v_add_co_u32_e64 v4, s[12:13], s38, v3
	v_addc_co_u32_e64 v5, s[12:13], 0, v5, s[12:13]
	flat_load_dword v18, v[4:5]
.LBB2236_13:
	;; [unrolled: 13-line block ×9, first 2 shown]
	s_or_b64 exec, exec, s[30:31]
	v_or_b32_e32 v11, 0xd00, v0
	v_cmp_gt_u32_e64 s[26:27], s54, v11
	v_lshlrev_b32_e32 v11, 2, v11
	s_and_saveexec_b64 s[40:41], s[26:27]
	s_cbranch_execz .LBB2236_29
; %bb.28:
	v_mov_b32_e32 v1, s39
	v_add_co_u32_e64 v26, s[30:31], s38, v11
	v_addc_co_u32_e64 v27, s[30:31], 0, v1, s[30:31]
	flat_load_dword v1, v[26:27]
.LBB2236_29:
	s_or_b64 exec, exec, s[40:41]
	v_lshlrev_b32_e32 v12, 2, v0
	s_waitcnt vmcnt(0) lgkmcnt(0)
	ds_write2st64_b32 v12, v13, v14 offset1:4
	ds_write2st64_b32 v12, v15, v16 offset0:8 offset1:12
	ds_write2st64_b32 v12, v17, v18 offset0:16 offset1:20
	;; [unrolled: 1-line block ×6, first 2 shown]
	v_pk_mov_b32 v[14:15], s[38:39], s[38:39] op_sel:[0,1]
	s_waitcnt lgkmcnt(0)
	s_barrier
	flat_load_dword v1, v[14:15]
	v_mad_u32_u24 v44, v0, 52, v12
	s_movk_i32 s30, 0xffcc
	ds_read2_b64 v[34:37], v44 offset1:1
	ds_read2_b64 v[30:33], v44 offset0:2 offset1:3
	ds_read2_b64 v[26:29], v44 offset0:4 offset1:5
	ds_read_b64 v[40:41], v44 offset:48
	v_mad_i32_i24 v13, v0, s30, v44
	s_movk_i32 s30, 0xff
	v_cmp_ne_u32_e64 s[30:31], s30, v0
	s_waitcnt lgkmcnt(0)
	ds_write_b32 v13, v34 offset:15360
	s_waitcnt lgkmcnt(0)
	s_barrier
	s_and_saveexec_b64 s[40:41], s[30:31]
	s_cbranch_execz .LBB2236_31
; %bb.30:
	s_waitcnt vmcnt(0)
	ds_read_b32 v1, v12 offset:15364
.LBB2236_31:
	s_or_b64 exec, exec, s[40:41]
	s_waitcnt lgkmcnt(0)
	s_barrier
	s_waitcnt lgkmcnt(0)
                                        ; implicit-def: $vgpr13
	s_and_saveexec_b64 s[30:31], vcc
	s_cbranch_execz .LBB2236_113
; %bb.32:
	v_mov_b32_e32 v13, s47
	v_add_co_u32_e32 v14, vcc, s7, v12
	v_addc_co_u32_e32 v15, vcc, 0, v13, vcc
	flat_load_dword v13, v[14:15]
	s_or_b64 exec, exec, s[30:31]
                                        ; implicit-def: $vgpr14
	s_and_saveexec_b64 s[30:31], s[2:3]
	s_cbranch_execnz .LBB2236_114
.LBB2236_33:
	s_or_b64 exec, exec, s[30:31]
                                        ; implicit-def: $vgpr15
	s_and_saveexec_b64 s[2:3], s[4:5]
	s_cbranch_execz .LBB2236_115
.LBB2236_34:
	v_mov_b32_e32 v15, s47
	v_add_co_u32_e32 v16, vcc, s7, v12
	v_addc_co_u32_e32 v17, vcc, 0, v15, vcc
	flat_load_dword v15, v[16:17] offset:2048
	s_or_b64 exec, exec, s[2:3]
                                        ; implicit-def: $vgpr16
	s_and_saveexec_b64 s[2:3], s[28:29]
	s_cbranch_execnz .LBB2236_116
.LBB2236_35:
	s_or_b64 exec, exec, s[2:3]
                                        ; implicit-def: $vgpr17
	s_and_saveexec_b64 s[2:3], s[8:9]
	s_cbranch_execz .LBB2236_117
.LBB2236_36:
	v_mov_b32_e32 v17, s47
	v_add_co_u32_e32 v18, vcc, s7, v2
	v_addc_co_u32_e32 v19, vcc, 0, v17, vcc
	flat_load_dword v17, v[18:19]
	s_or_b64 exec, exec, s[2:3]
                                        ; implicit-def: $vgpr2
	s_and_saveexec_b64 s[2:3], s[10:11]
	s_cbranch_execnz .LBB2236_118
.LBB2236_37:
	s_or_b64 exec, exec, s[2:3]
                                        ; implicit-def: $vgpr3
	s_and_saveexec_b64 s[2:3], s[12:13]
	s_cbranch_execz .LBB2236_119
.LBB2236_38:
	v_mov_b32_e32 v3, s47
	v_add_co_u32_e32 v18, vcc, s7, v4
	v_addc_co_u32_e32 v19, vcc, 0, v3, vcc
	flat_load_dword v3, v[18:19]
	s_or_b64 exec, exec, s[2:3]
                                        ; implicit-def: $vgpr4
	s_and_saveexec_b64 s[2:3], s[14:15]
	s_cbranch_execnz .LBB2236_120
.LBB2236_39:
	s_or_b64 exec, exec, s[2:3]
                                        ; implicit-def: $vgpr5
	s_and_saveexec_b64 s[2:3], s[16:17]
	s_cbranch_execz .LBB2236_121
.LBB2236_40:
	v_mov_b32_e32 v5, s47
	v_add_co_u32_e32 v18, vcc, s7, v6
	v_addc_co_u32_e32 v19, vcc, 0, v5, vcc
	flat_load_dword v5, v[18:19]
	s_or_b64 exec, exec, s[2:3]
                                        ; implicit-def: $vgpr6
	s_and_saveexec_b64 s[2:3], s[18:19]
	s_cbranch_execnz .LBB2236_122
.LBB2236_41:
	s_or_b64 exec, exec, s[2:3]
                                        ; implicit-def: $vgpr7
	s_and_saveexec_b64 s[2:3], s[20:21]
	s_cbranch_execz .LBB2236_123
.LBB2236_42:
	v_mov_b32_e32 v7, s47
	v_add_co_u32_e32 v18, vcc, s7, v8
	v_addc_co_u32_e32 v19, vcc, 0, v7, vcc
	flat_load_dword v7, v[18:19]
	s_or_b64 exec, exec, s[2:3]
                                        ; implicit-def: $vgpr8
	s_and_saveexec_b64 s[2:3], s[22:23]
	s_cbranch_execnz .LBB2236_124
.LBB2236_43:
	s_or_b64 exec, exec, s[2:3]
                                        ; implicit-def: $vgpr9
	s_and_saveexec_b64 s[2:3], s[24:25]
	s_cbranch_execz .LBB2236_45
.LBB2236_44:
	v_mov_b32_e32 v9, s47
	v_add_co_u32_e32 v18, vcc, s7, v10
	v_addc_co_u32_e32 v19, vcc, 0, v9, vcc
	flat_load_dword v9, v[18:19]
.LBB2236_45:
	s_or_b64 exec, exec, s[2:3]
	v_mul_u32_u24_e32 v45, 14, v0
                                        ; implicit-def: $vgpr10
	s_and_saveexec_b64 s[2:3], s[26:27]
	s_cbranch_execz .LBB2236_47
; %bb.46:
	v_mov_b32_e32 v18, s47
	v_add_co_u32_e32 v10, vcc, s7, v11
	v_addc_co_u32_e32 v11, vcc, 0, v18, vcc
	flat_load_dword v10, v[10:11]
.LBB2236_47:
	s_or_b64 exec, exec, s[2:3]
	s_mov_b32 s8, 0
	s_mov_b32 s9, s8
	s_waitcnt vmcnt(0) lgkmcnt(0)
	ds_write2st64_b32 v12, v13, v14 offset1:4
	ds_write2st64_b32 v12, v15, v16 offset0:8 offset1:12
	ds_write2st64_b32 v12, v17, v2 offset0:16 offset1:20
	;; [unrolled: 1-line block ×6, first 2 shown]
	s_mov_b32 s10, s8
	s_mov_b32 s11, s8
	s_mov_b32 s12, s8
	s_mov_b32 s13, s8
	s_mov_b32 s14, s8
	s_mov_b32 s15, s8
	v_pk_mov_b32 v[2:3], s[8:9], s[8:9] op_sel:[0,1]
	v_pk_mov_b32 v[8:9], s[14:15], s[14:15] op_sel:[0,1]
	;; [unrolled: 1-line block ×6, first 2 shown]
	v_cmp_gt_u32_e32 vcc, s54, v45
	s_mov_b64 s[2:3], 0
	v_pk_mov_b32 v[38:39], 0, 0
	s_mov_b64 s[18:19], 0
	v_pk_mov_b32 v[14:15], v[6:7], v[6:7] op_sel:[0,1]
	v_pk_mov_b32 v[12:13], v[4:5], v[4:5] op_sel:[0,1]
	;; [unrolled: 1-line block ×6, first 2 shown]
	s_waitcnt lgkmcnt(0)
	s_barrier
	s_waitcnt lgkmcnt(0)
                                        ; implicit-def: $sgpr16_sgpr17
                                        ; implicit-def: $vgpr42
	s_and_saveexec_b64 s[4:5], vcc
	s_cbranch_execz .LBB2236_75
; %bb.48:
	ds_read_b32 v2, v44
	v_mov_b32_e32 v4, s56
	v_cmp_eq_u32_e32 vcc, v34, v35
	v_or_b32_e32 v3, 1, v45
                                        ; implicit-def: $vgpr42
	s_waitcnt lgkmcnt(0)
	v_cndmask_b32_e32 v38, v4, v2, vcc
	v_cmp_ne_u32_e32 vcc, v34, v35
	v_cndmask_b32_e64 v39, 0, 1, vcc
	v_cmp_gt_u32_e32 vcc, s54, v3
	v_pk_mov_b32 v[2:3], s[8:9], s[8:9] op_sel:[0,1]
	v_pk_mov_b32 v[8:9], s[14:15], s[14:15] op_sel:[0,1]
	;; [unrolled: 1-line block ×12, first 2 shown]
                                        ; implicit-def: $sgpr8_sgpr9
	s_and_saveexec_b64 s[16:17], vcc
	s_cbranch_execz .LBB2236_74
; %bb.49:
	ds_read2_b32 v[42:43], v44 offset0:1 offset1:2
	s_mov_b32 s8, 0
	v_mov_b32_e32 v3, s56
	v_cmp_eq_u32_e32 vcc, v35, v36
	s_mov_b32 s14, s8
	s_mov_b32 s15, s8
	v_add_u32_e32 v2, 2, v45
	s_waitcnt lgkmcnt(0)
	v_cndmask_b32_e32 v8, v3, v42, vcc
	v_cmp_ne_u32_e32 vcc, v35, v36
	s_mov_b32 s9, s8
	s_mov_b32 s10, s8
	;; [unrolled: 1-line block ×5, first 2 shown]
	v_pk_mov_b32 v[16:17], s[14:15], s[14:15] op_sel:[0,1]
	v_cndmask_b32_e64 v9, 0, 1, vcc
	v_cmp_gt_u32_e32 vcc, s54, v2
	v_mov_b32_e32 v2, 0
	v_pk_mov_b32 v[14:15], s[12:13], s[12:13] op_sel:[0,1]
	v_pk_mov_b32 v[12:13], s[10:11], s[10:11] op_sel:[0,1]
	;; [unrolled: 1-line block ×4, first 2 shown]
	v_mov_b32_e32 v3, v2
	v_mov_b32_e32 v4, v2
	;; [unrolled: 1-line block ×5, first 2 shown]
	s_mov_b64 s[20:21], 0
	v_pk_mov_b32 v[22:23], v[14:15], v[14:15] op_sel:[0,1]
	v_pk_mov_b32 v[20:21], v[12:13], v[12:13] op_sel:[0,1]
	;; [unrolled: 1-line block ×3, first 2 shown]
                                        ; implicit-def: $sgpr24_sgpr25
                                        ; implicit-def: $vgpr42
	s_and_saveexec_b64 s[18:19], vcc
	s_cbranch_execz .LBB2236_73
; %bb.50:
	v_mov_b32_e32 v4, s56
	v_cmp_eq_u32_e32 vcc, v36, v37
	v_pk_mov_b32 v[16:17], s[14:15], s[14:15] op_sel:[0,1]
	v_add_u32_e32 v3, 3, v45
	v_cndmask_b32_e32 v6, v4, v43, vcc
	v_cmp_ne_u32_e32 vcc, v36, v37
	v_pk_mov_b32 v[14:15], s[12:13], s[12:13] op_sel:[0,1]
	v_pk_mov_b32 v[12:13], s[10:11], s[10:11] op_sel:[0,1]
	;; [unrolled: 1-line block ×4, first 2 shown]
	v_cndmask_b32_e64 v7, 0, 1, vcc
	v_cmp_gt_u32_e32 vcc, s54, v3
	v_mov_b32_e32 v3, v2
	v_mov_b32_e32 v4, v2
	;; [unrolled: 1-line block ×3, first 2 shown]
	s_mov_b64 s[22:23], 0
	v_pk_mov_b32 v[22:23], v[14:15], v[14:15] op_sel:[0,1]
	v_pk_mov_b32 v[20:21], v[12:13], v[12:13] op_sel:[0,1]
	;; [unrolled: 1-line block ×3, first 2 shown]
                                        ; implicit-def: $sgpr8_sgpr9
                                        ; implicit-def: $vgpr42
	s_and_saveexec_b64 s[20:21], vcc
	s_cbranch_execz .LBB2236_72
; %bb.51:
	ds_read2_b32 v[34:35], v44 offset0:3 offset1:4
	s_mov_b32 s8, 0
	s_mov_b32 s14, s8
	;; [unrolled: 1-line block ×3, first 2 shown]
	v_mov_b32_e32 v3, s56
	v_cmp_eq_u32_e32 vcc, v37, v30
	s_mov_b32 s9, s8
	s_mov_b32 s10, s8
	;; [unrolled: 1-line block ×5, first 2 shown]
	v_pk_mov_b32 v[16:17], s[14:15], s[14:15] op_sel:[0,1]
	v_add_u32_e32 v2, 4, v45
	s_waitcnt lgkmcnt(0)
	v_cndmask_b32_e32 v4, v3, v34, vcc
	v_cmp_ne_u32_e32 vcc, v37, v30
	v_pk_mov_b32 v[14:15], s[12:13], s[12:13] op_sel:[0,1]
	v_pk_mov_b32 v[12:13], s[10:11], s[10:11] op_sel:[0,1]
	;; [unrolled: 1-line block ×4, first 2 shown]
	v_cndmask_b32_e64 v5, 0, 1, vcc
	v_cmp_gt_u32_e32 vcc, s54, v2
	v_mov_b32_e32 v2, s8
	v_mov_b32_e32 v3, s8
	s_mov_b64 s[24:25], 0
	v_pk_mov_b32 v[22:23], v[14:15], v[14:15] op_sel:[0,1]
	v_pk_mov_b32 v[20:21], v[12:13], v[12:13] op_sel:[0,1]
	;; [unrolled: 1-line block ×3, first 2 shown]
                                        ; implicit-def: $sgpr26_sgpr27
                                        ; implicit-def: $vgpr42
	s_and_saveexec_b64 s[22:23], vcc
	s_cbranch_execz .LBB2236_71
; %bb.52:
	v_mov_b32_e32 v2, s56
	v_cmp_eq_u32_e32 vcc, v30, v31
	v_add_u32_e32 v10, 5, v45
	v_cndmask_b32_e32 v2, v2, v35, vcc
	v_cmp_ne_u32_e32 vcc, v30, v31
	v_cndmask_b32_e64 v3, 0, 1, vcc
	v_cmp_gt_u32_e32 vcc, s54, v10
	v_pk_mov_b32 v[16:17], s[14:15], s[14:15] op_sel:[0,1]
	v_pk_mov_b32 v[14:15], s[12:13], s[12:13] op_sel:[0,1]
	v_pk_mov_b32 v[12:13], s[10:11], s[10:11] op_sel:[0,1]
	v_pk_mov_b32 v[10:11], s[8:9], s[8:9] op_sel:[0,1]
	v_pk_mov_b32 v[24:25], v[16:17], v[16:17] op_sel:[0,1]
	s_mov_b64 s[28:29], 0
	v_pk_mov_b32 v[22:23], v[14:15], v[14:15] op_sel:[0,1]
	v_pk_mov_b32 v[20:21], v[12:13], v[12:13] op_sel:[0,1]
	;; [unrolled: 1-line block ×3, first 2 shown]
                                        ; implicit-def: $sgpr8_sgpr9
                                        ; implicit-def: $vgpr42
	s_and_saveexec_b64 s[24:25], vcc
	s_cbranch_execz .LBB2236_70
; %bb.53:
	ds_read2_b32 v[34:35], v44 offset0:5 offset1:6
	v_mov_b32_e32 v11, s56
	v_cmp_eq_u32_e32 vcc, v31, v32
	s_mov_b32 s8, 0
	v_add_u32_e32 v10, 6, v45
	s_waitcnt lgkmcnt(0)
	v_cndmask_b32_e32 v16, v11, v34, vcc
	v_cmp_ne_u32_e32 vcc, v31, v32
	s_mov_b32 s14, s8
	s_mov_b32 s15, s8
	v_cndmask_b32_e64 v17, 0, 1, vcc
	v_cmp_gt_u32_e32 vcc, s54, v10
	v_mov_b32_e32 v10, 0
	s_mov_b32 s9, s8
	s_mov_b32 s10, s8
	;; [unrolled: 1-line block ×5, first 2 shown]
	v_pk_mov_b32 v[24:25], s[14:15], s[14:15] op_sel:[0,1]
	v_mov_b32_e32 v11, v10
	v_mov_b32_e32 v12, v10
	;; [unrolled: 1-line block ×5, first 2 shown]
	v_pk_mov_b32 v[22:23], s[12:13], s[12:13] op_sel:[0,1]
	v_pk_mov_b32 v[20:21], s[10:11], s[10:11] op_sel:[0,1]
	;; [unrolled: 1-line block ×3, first 2 shown]
                                        ; implicit-def: $sgpr40_sgpr41
                                        ; implicit-def: $vgpr42
	s_and_saveexec_b64 s[26:27], vcc
	s_cbranch_execz .LBB2236_69
; %bb.54:
	v_mov_b32_e32 v12, s56
	v_cmp_eq_u32_e32 vcc, v32, v33
	v_add_u32_e32 v11, 7, v45
	v_cndmask_b32_e32 v14, v12, v35, vcc
	v_cmp_ne_u32_e32 vcc, v32, v33
	v_pk_mov_b32 v[24:25], s[14:15], s[14:15] op_sel:[0,1]
	v_cndmask_b32_e64 v15, 0, 1, vcc
	v_cmp_gt_u32_e32 vcc, s54, v11
	v_mov_b32_e32 v11, v10
	v_mov_b32_e32 v12, v10
	v_mov_b32_e32 v13, v10
	s_mov_b64 s[30:31], 0
	v_pk_mov_b32 v[22:23], s[12:13], s[12:13] op_sel:[0,1]
	v_pk_mov_b32 v[20:21], s[10:11], s[10:11] op_sel:[0,1]
	;; [unrolled: 1-line block ×3, first 2 shown]
                                        ; implicit-def: $sgpr8_sgpr9
                                        ; implicit-def: $vgpr42
	s_and_saveexec_b64 s[28:29], vcc
	s_cbranch_execz .LBB2236_68
; %bb.55:
	ds_read2_b32 v[30:31], v44 offset0:7 offset1:8
	s_mov_b32 s8, 0
	v_mov_b32_e32 v11, s56
	v_cmp_eq_u32_e32 vcc, v33, v26
	s_mov_b32 s14, s8
	s_mov_b32 s15, s8
	v_add_u32_e32 v10, 8, v45
	s_waitcnt lgkmcnt(0)
	v_cndmask_b32_e32 v12, v11, v30, vcc
	v_cmp_ne_u32_e32 vcc, v33, v26
	s_mov_b32 s9, s8
	s_mov_b32 s10, s8
	;; [unrolled: 1-line block ×5, first 2 shown]
	v_pk_mov_b32 v[24:25], s[14:15], s[14:15] op_sel:[0,1]
	v_cndmask_b32_e64 v13, 0, 1, vcc
	v_cmp_gt_u32_e32 vcc, s54, v10
	v_mov_b32_e32 v10, s8
	v_mov_b32_e32 v11, s8
	s_mov_b64 s[40:41], 0
	v_pk_mov_b32 v[22:23], s[12:13], s[12:13] op_sel:[0,1]
	v_pk_mov_b32 v[20:21], s[10:11], s[10:11] op_sel:[0,1]
	;; [unrolled: 1-line block ×3, first 2 shown]
                                        ; implicit-def: $sgpr48_sgpr49
                                        ; implicit-def: $vgpr42
	s_and_saveexec_b64 s[30:31], vcc
	s_cbranch_execz .LBB2236_67
; %bb.56:
	v_mov_b32_e32 v10, s56
	v_cmp_eq_u32_e32 vcc, v26, v27
	v_add_u32_e32 v18, 9, v45
	v_cndmask_b32_e32 v10, v10, v31, vcc
	v_cmp_ne_u32_e32 vcc, v26, v27
	v_cndmask_b32_e64 v11, 0, 1, vcc
	v_cmp_gt_u32_e32 vcc, s54, v18
	v_pk_mov_b32 v[24:25], s[14:15], s[14:15] op_sel:[0,1]
	v_pk_mov_b32 v[22:23], s[12:13], s[12:13] op_sel:[0,1]
	;; [unrolled: 1-line block ×4, first 2 shown]
                                        ; implicit-def: $sgpr10_sgpr11
                                        ; implicit-def: $vgpr42
	s_and_saveexec_b64 s[8:9], vcc
	s_cbranch_execz .LBB2236_66
; %bb.57:
	ds_read2_b32 v[30:31], v44 offset0:9 offset1:10
	v_mov_b32_e32 v18, s56
	v_cmp_eq_u32_e32 vcc, v27, v28
	v_add_u32_e32 v20, 10, v45
	v_mov_b32_e32 v22, 0
	s_waitcnt lgkmcnt(0)
	v_cndmask_b32_e32 v18, v18, v30, vcc
	v_cmp_ne_u32_e32 vcc, v27, v28
	v_cndmask_b32_e64 v19, 0, 1, vcc
	v_cmp_gt_u32_e32 vcc, s54, v20
	v_mov_b32_e32 v20, v22
	v_mov_b32_e32 v21, v22
	v_mov_b32_e32 v23, v22
	v_mov_b32_e32 v24, v22
	v_mov_b32_e32 v25, v22
	s_mov_b64 s[12:13], 0
                                        ; implicit-def: $sgpr40_sgpr41
                                        ; implicit-def: $vgpr42
	s_and_saveexec_b64 s[10:11], vcc
	s_cbranch_execz .LBB2236_65
; %bb.58:
	v_mov_b32_e32 v20, s56
	v_cmp_eq_u32_e32 vcc, v28, v29
	v_add_u32_e32 v23, 11, v45
	v_cndmask_b32_e32 v20, v20, v31, vcc
	v_cmp_ne_u32_e32 vcc, v28, v29
	v_cndmask_b32_e64 v21, 0, 1, vcc
	v_cmp_gt_u32_e32 vcc, s54, v23
	s_mov_b32 s40, 0
	v_mov_b32_e32 v23, v22
	v_mov_b32_e32 v24, v22
	;; [unrolled: 1-line block ×3, first 2 shown]
	s_mov_b64 s[14:15], 0
                                        ; implicit-def: $sgpr48_sgpr49
                                        ; implicit-def: $vgpr42
	s_and_saveexec_b64 s[12:13], vcc
	s_cbranch_execz .LBB2236_64
; %bb.59:
	ds_read2_b32 v[26:27], v44 offset0:11 offset1:12
	v_mov_b32_e32 v22, s56
	v_cmp_eq_u32_e32 vcc, v29, v40
	v_add_u32_e32 v24, 12, v45
	v_mov_b32_e32 v25, s40
	s_waitcnt lgkmcnt(0)
	v_cndmask_b32_e32 v22, v22, v26, vcc
	v_cmp_ne_u32_e32 vcc, v29, v40
	v_cndmask_b32_e64 v23, 0, 1, vcc
	v_cmp_gt_u32_e32 vcc, s54, v24
	v_mov_b32_e32 v24, s40
	s_mov_b64 s[40:41], 0
                                        ; implicit-def: $sgpr48_sgpr49
                                        ; implicit-def: $vgpr42
	s_and_saveexec_b64 s[14:15], vcc
	s_cbranch_execz .LBB2236_63
; %bb.60:
	v_mov_b32_e32 v24, s56
	v_cmp_eq_u32_e32 vcc, v40, v41
	v_add_u32_e32 v26, 13, v45
	v_cndmask_b32_e32 v24, v24, v27, vcc
	v_cmp_ne_u32_e32 vcc, v40, v41
	v_cndmask_b32_e64 v25, 0, 1, vcc
	v_cmp_gt_u32_e32 vcc, s54, v26
                                        ; implicit-def: $sgpr48_sgpr49
                                        ; implicit-def: $vgpr42
	s_and_saveexec_b64 s[54:55], vcc
	s_xor_b64 s[54:55], exec, s[54:55]
	s_cbranch_execz .LBB2236_62
; %bb.61:
	ds_read_b32 v26, v44 offset:52
	v_mov_b32_e32 v27, s56
	v_cmp_ne_u32_e32 vcc, v41, v1
	s_mov_b64 s[40:41], exec
	s_and_b64 s[48:49], vcc, exec
	s_waitcnt lgkmcnt(0)
	v_cndmask_b32_e32 v42, v26, v27, vcc
.LBB2236_62:
	s_or_b64 exec, exec, s[54:55]
	s_and_b64 s[48:49], s[48:49], exec
	s_and_b64 s[40:41], s[40:41], exec
.LBB2236_63:
	s_or_b64 exec, exec, s[14:15]
	s_and_b64 s[48:49], s[48:49], exec
	s_and_b64 s[14:15], s[40:41], exec
.LBB2236_64:
	s_or_b64 exec, exec, s[12:13]
	s_and_b64 s[40:41], s[48:49], exec
	s_and_b64 s[12:13], s[14:15], exec
.LBB2236_65:
	s_or_b64 exec, exec, s[10:11]
	s_and_b64 s[10:11], s[40:41], exec
	s_and_b64 s[40:41], s[12:13], exec
.LBB2236_66:
	s_or_b64 exec, exec, s[8:9]
	s_and_b64 s[48:49], s[10:11], exec
	s_and_b64 s[40:41], s[40:41], exec
.LBB2236_67:
	s_or_b64 exec, exec, s[30:31]
	s_and_b64 s[8:9], s[48:49], exec
	s_and_b64 s[30:31], s[40:41], exec
.LBB2236_68:
	s_or_b64 exec, exec, s[28:29]
	s_and_b64 s[40:41], s[8:9], exec
	s_and_b64 s[28:29], s[30:31], exec
.LBB2236_69:
	s_or_b64 exec, exec, s[26:27]
	s_and_b64 s[8:9], s[40:41], exec
	s_and_b64 s[28:29], s[28:29], exec
.LBB2236_70:
	s_or_b64 exec, exec, s[24:25]
	s_and_b64 s[26:27], s[8:9], exec
	s_and_b64 s[24:25], s[28:29], exec
.LBB2236_71:
	s_or_b64 exec, exec, s[22:23]
	s_and_b64 s[8:9], s[26:27], exec
	s_and_b64 s[22:23], s[24:25], exec
.LBB2236_72:
	s_or_b64 exec, exec, s[20:21]
	s_and_b64 s[24:25], s[8:9], exec
	s_and_b64 s[20:21], s[22:23], exec
.LBB2236_73:
	s_or_b64 exec, exec, s[18:19]
	s_and_b64 s[8:9], s[24:25], exec
	s_and_b64 s[18:19], s[20:21], exec
.LBB2236_74:
	s_or_b64 exec, exec, s[16:17]
	s_and_b64 s[16:17], s[8:9], exec
	s_and_b64 s[18:19], s[18:19], exec
.LBB2236_75:
	s_or_b64 exec, exec, s[4:5]
	s_and_b64 vcc, exec, s[2:3]
	v_lshlrev_b32_e32 v50, 2, v0
	s_cbranch_vccnz .LBB2236_77
	s_branch .LBB2236_82
.LBB2236_76:
	s_mov_b64 s[18:19], 0
                                        ; implicit-def: $sgpr16_sgpr17
                                        ; implicit-def: $vgpr2_vgpr3_vgpr4_vgpr5_vgpr6_vgpr7_vgpr8_vgpr9
                                        ; implicit-def: $vgpr10_vgpr11_vgpr12_vgpr13_vgpr14_vgpr15_vgpr16_vgpr17
                                        ; implicit-def: $vgpr18_vgpr19_vgpr20_vgpr21_vgpr22_vgpr23_vgpr24_vgpr25
                                        ; implicit-def: $vgpr42
                                        ; implicit-def: $vgpr38_vgpr39
	s_and_b64 vcc, exec, s[2:3]
	v_lshlrev_b32_e32 v50, 2, v0
	s_cbranch_vccz .LBB2236_82
.LBB2236_77:
	v_mov_b32_e32 v1, s39
	v_add_co_u32_e32 v2, vcc, s38, v50
	v_addc_co_u32_e32 v3, vcc, 0, v1, vcc
	v_add_co_u32_e32 v4, vcc, 0x1000, v2
	v_addc_co_u32_e32 v5, vcc, 0, v3, vcc
	flat_load_dword v1, v[2:3]
	flat_load_dword v6, v[2:3] offset:1024
	flat_load_dword v7, v[2:3] offset:2048
	;; [unrolled: 1-line block ×3, first 2 shown]
	flat_load_dword v9, v[4:5]
	flat_load_dword v10, v[4:5] offset:1024
	flat_load_dword v11, v[4:5] offset:2048
	;; [unrolled: 1-line block ×3, first 2 shown]
	v_add_co_u32_e32 v4, vcc, 0x2000, v2
	v_addc_co_u32_e32 v5, vcc, 0, v3, vcc
	v_add_co_u32_e32 v2, vcc, 0x3000, v2
	v_addc_co_u32_e32 v3, vcc, 0, v3, vcc
	flat_load_dword v13, v[4:5]
	flat_load_dword v14, v[4:5] offset:1024
	flat_load_dword v15, v[4:5] offset:2048
	;; [unrolled: 1-line block ×3, first 2 shown]
	flat_load_dword v17, v[2:3]
	flat_load_dword v18, v[2:3] offset:1024
	v_mov_b32_e32 v2, s38
	v_mov_b32_e32 v3, s39
	v_add_co_u32_e32 v2, vcc, 0x3000, v2
	v_addc_co_u32_e32 v3, vcc, 0, v3, vcc
	s_movk_i32 s4, 0xffcc
	s_movk_i32 s9, 0x1000
	s_mov_b32 s2, 0
	s_movk_i32 s8, 0x2000
	s_movk_i32 s3, 0x3000
	s_waitcnt vmcnt(0) lgkmcnt(0)
	ds_write2st64_b32 v50, v1, v6 offset1:4
	ds_write2st64_b32 v50, v7, v8 offset0:8 offset1:12
	ds_write2st64_b32 v50, v9, v10 offset0:16 offset1:20
	;; [unrolled: 1-line block ×6, first 2 shown]
	s_waitcnt lgkmcnt(0)
	s_barrier
	flat_load_dword v1, v[2:3] offset:2048
	v_mad_u32_u24 v6, v0, 52, v50
	v_mad_i32_i24 v2, v0, s4, v6
	s_movk_i32 s4, 0xff
	v_cmp_ne_u32_e32 vcc, s4, v0
	ds_read2_b32 v[26:27], v6 offset1:13
	ds_read2_b32 v[18:19], v6 offset0:7 offset1:8
	ds_read2_b32 v[20:21], v6 offset0:5 offset1:6
	;; [unrolled: 1-line block ×6, first 2 shown]
	s_waitcnt lgkmcnt(0)
	ds_write_b32 v2, v26 offset:15360
	s_waitcnt lgkmcnt(0)
	s_barrier
	s_and_saveexec_b64 s[4:5], vcc
	s_cbranch_execz .LBB2236_79
; %bb.78:
	s_waitcnt vmcnt(0)
	ds_read_b32 v1, v50 offset:15364
.LBB2236_79:
	s_or_b64 exec, exec, s[4:5]
	v_mov_b32_e32 v3, s47
	v_add_co_u32_e32 v2, vcc, s7, v50
	v_addc_co_u32_e32 v3, vcc, 0, v3, vcc
	v_add_co_u32_e32 v4, vcc, s9, v2
	v_addc_co_u32_e32 v5, vcc, 0, v3, vcc
	s_waitcnt lgkmcnt(0)
	s_barrier
	flat_load_dword v7, v[2:3]
	flat_load_dword v8, v[2:3] offset:1024
	flat_load_dword v9, v[2:3] offset:2048
	;; [unrolled: 1-line block ×3, first 2 shown]
	flat_load_dword v15, v[4:5]
	flat_load_dword v16, v[4:5] offset:1024
	flat_load_dword v17, v[4:5] offset:2048
	;; [unrolled: 1-line block ×3, first 2 shown]
	v_add_co_u32_e32 v4, vcc, s8, v2
	v_addc_co_u32_e32 v5, vcc, 0, v3, vcc
	v_add_co_u32_e32 v2, vcc, s3, v2
	v_addc_co_u32_e32 v3, vcc, 0, v3, vcc
	flat_load_dword v23, v[4:5]
	flat_load_dword v24, v[4:5] offset:1024
	flat_load_dword v25, v[4:5] offset:2048
	;; [unrolled: 1-line block ×3, first 2 shown]
	flat_load_dword v33, v[2:3]
	flat_load_dword v34, v[2:3] offset:1024
	s_mov_b32 s3, 1
	v_cmp_eq_u32_e32 vcc, v26, v12
	v_pk_mov_b32 v[38:39], s[2:3], s[2:3] op_sel:[0,1]
	s_waitcnt vmcnt(0) lgkmcnt(0)
	ds_write2st64_b32 v50, v7, v8 offset1:4
	ds_write2st64_b32 v50, v9, v14 offset0:8 offset1:12
	ds_write2st64_b32 v50, v15, v16 offset0:16 offset1:20
	ds_write2st64_b32 v50, v17, v22 offset0:24 offset1:28
	ds_write2st64_b32 v50, v23, v24 offset0:32 offset1:36
	ds_write2st64_b32 v50, v25, v32 offset0:40 offset1:44
	ds_write2st64_b32 v50, v33, v34 offset0:48 offset1:52
	s_waitcnt lgkmcnt(0)
	s_barrier
	ds_read2_b32 v[24:25], v6 offset0:7 offset1:8
	ds_read2_b32 v[14:15], v6 offset0:5 offset1:6
	;; [unrolled: 1-line block ×4, first 2 shown]
	ds_read_b32 v34, v6 offset:52
	ds_read2_b32 v[22:23], v6 offset0:11 offset1:12
	ds_read2_b32 v[32:33], v6 offset0:9 offset1:10
	v_mov_b32_e32 v7, s56
	s_and_saveexec_b64 s[2:3], vcc
	s_cbranch_execz .LBB2236_81
; %bb.80:
	ds_read_b32 v7, v6
	v_pk_mov_b32 v[38:39], 0, 0
.LBB2236_81:
	s_or_b64 exec, exec, s[2:3]
	v_mov_b32_e32 v26, s56
	v_cmp_eq_u32_e32 vcc, v12, v13
	s_waitcnt lgkmcnt(3)
	v_cndmask_b32_e32 v8, v26, v4, vcc
	v_cmp_eq_u32_e32 vcc, v13, v10
	v_cndmask_b32_e32 v6, v26, v5, vcc
	v_cmp_eq_u32_e32 vcc, v10, v11
	;; [unrolled: 2-line block ×3, first 2 shown]
	v_cndmask_b32_e32 v2, v26, v3, vcc
	v_cmp_ne_u32_e32 vcc, v12, v13
	v_cndmask_b32_e64 v9, 0, 1, vcc
	v_cmp_ne_u32_e32 vcc, v13, v10
	s_waitcnt lgkmcnt(0)
	v_or_b32_e32 v38, v38, v7
	v_cndmask_b32_e64 v7, 0, 1, vcc
	v_cmp_ne_u32_e32 vcc, v10, v11
	v_cndmask_b32_e64 v5, 0, 1, vcc
	v_cmp_ne_u32_e32 vcc, v11, v20
	v_cndmask_b32_e64 v3, 0, 1, vcc
	v_cmp_eq_u32_e32 vcc, v20, v21
	v_cndmask_b32_e32 v16, v26, v14, vcc
	v_cmp_eq_u32_e32 vcc, v21, v18
	v_cndmask_b32_e32 v14, v26, v15, vcc
	;; [unrolled: 2-line block ×4, first 2 shown]
	v_cmp_ne_u32_e32 vcc, v20, v21
	v_cndmask_b32_e64 v17, 0, 1, vcc
	v_cmp_ne_u32_e32 vcc, v21, v18
	v_cndmask_b32_e64 v15, 0, 1, vcc
	;; [unrolled: 2-line block ×4, first 2 shown]
	v_cmp_eq_u32_e32 vcc, v31, v27
	v_cndmask_b32_e32 v24, v26, v23, vcc
	v_cmp_eq_u32_e32 vcc, v30, v31
	v_cndmask_b32_e32 v22, v26, v22, vcc
	;; [unrolled: 2-line block ×4, first 2 shown]
	v_cmp_ne_u32_e32 vcc, v31, v27
	v_cndmask_b32_e64 v25, 0, 1, vcc
	v_cmp_ne_u32_e32 vcc, v30, v31
	v_cndmask_b32_e64 v23, 0, 1, vcc
	;; [unrolled: 2-line block ×3, first 2 shown]
	v_cmp_ne_u32_e32 vcc, v28, v29
	v_cmp_ne_u32_e64 s[16:17], v27, v1
	v_cndmask_b32_e64 v19, 0, 1, vcc
	v_cndmask_b32_e64 v42, v34, v26, s[16:17]
	s_mov_b64 s[18:19], -1
                                        ; implicit-def: $sgpr2_sgpr3
.LBB2236_82:
	v_pk_mov_b32 v[40:41], s[2:3], s[2:3] op_sel:[0,1]
	s_and_saveexec_b64 s[2:3], s[18:19]
; %bb.83:
	v_cndmask_b32_e64 v43, 0, 1, s[16:17]
	v_pk_mov_b32 v[40:41], v[42:43], v[42:43] op_sel:[0,1]
; %bb.84:
	s_or_b64 exec, exec, s[2:3]
	s_mov_b32 s26, 0
	s_cmp_lg_u32 s6, 0
	v_mbcnt_lo_u32_b32 v52, -1, 0
	v_lshrrev_b32_e32 v1, 6, v0
	v_or_b32_e32 v51, 63, v0
	s_barrier
	s_cbranch_scc0 .LBB2236_125
; %bb.85:
	s_mov_b32 s27, 1
	v_cmp_gt_u64_e64 s[2:3], s[26:27], v[8:9]
	v_cndmask_b32_e64 v27, 0, v38, s[2:3]
	v_add_u32_e32 v27, v27, v8
	v_cmp_gt_u64_e64 s[4:5], s[26:27], v[6:7]
	v_cndmask_b32_e64 v27, 0, v27, s[4:5]
	v_add_u32_e32 v27, v27, v6
	;; [unrolled: 3-line block ×12, first 2 shown]
	v_cmp_gt_u64_e32 vcc, s[26:27], v[40:41]
	v_cndmask_b32_e32 v27, 0, v27, vcc
	v_add_u32_e32 v28, v27, v40
	v_or3_b32 v27, v41, v25, v23
	v_or3_b32 v27, v27, v21, v19
	;; [unrolled: 1-line block ×6, first 2 shown]
	v_mov_b32_e32 v26, 0
	v_and_b32_e32 v27, 1, v27
	v_cmp_eq_u64_e32 vcc, 0, v[26:27]
	v_cndmask_b32_e32 v27, 1, v39, vcc
	v_and_b32_e32 v29, 0xff, v27
	v_mov_b32_dpp v31, v28 row_shr:1 row_mask:0xf bank_mask:0xf
	v_cmp_eq_u16_e32 vcc, 0, v29
	v_mov_b32_dpp v32, v29 row_shr:1 row_mask:0xf bank_mask:0xf
	v_and_b32_e32 v33, 1, v27
	v_mbcnt_hi_u32_b32 v46, -1, v52
	v_cndmask_b32_e32 v31, 0, v31, vcc
	v_and_b32_e32 v32, 1, v32
	v_cmp_eq_u32_e32 vcc, 1, v33
	v_and_b32_e32 v30, 15, v46
	v_cndmask_b32_e64 v32, v32, 1, vcc
	v_and_b32_e32 v33, 0xffff, v32
	v_cmp_eq_u32_e32 vcc, 0, v30
	v_cndmask_b32_e32 v27, v32, v27, vcc
	v_cndmask_b32_e32 v29, v33, v29, vcc
	v_and_b32_e32 v33, 1, v27
	v_cndmask_b32_e64 v31, v31, 0, vcc
	v_mov_b32_dpp v32, v29 row_shr:2 row_mask:0xf bank_mask:0xf
	v_and_b32_e32 v32, 1, v32
	v_cmp_eq_u32_e32 vcc, 1, v33
	v_cndmask_b32_e64 v32, v32, 1, vcc
	v_and_b32_e32 v33, 0xffff, v32
	v_cmp_lt_u32_e32 vcc, 1, v30
	v_add_u32_e32 v28, v31, v28
	v_cmp_eq_u16_sdwa s[26:27], v27, v26 src0_sel:BYTE_0 src1_sel:DWORD
	v_cndmask_b32_e32 v27, v27, v32, vcc
	v_cndmask_b32_e32 v29, v29, v33, vcc
	v_mov_b32_dpp v31, v28 row_shr:2 row_mask:0xf bank_mask:0xf
	s_and_b64 vcc, vcc, s[26:27]
	v_mov_b32_dpp v32, v29 row_shr:4 row_mask:0xf bank_mask:0xf
	v_and_b32_e32 v33, 1, v27
	v_cndmask_b32_e32 v31, 0, v31, vcc
	v_and_b32_e32 v32, 1, v32
	v_cmp_eq_u32_e32 vcc, 1, v33
	v_cndmask_b32_e64 v32, v32, 1, vcc
	v_and_b32_e32 v33, 0xffff, v32
	v_cmp_lt_u32_e32 vcc, 3, v30
	v_add_u32_e32 v28, v31, v28
	v_cmp_eq_u16_sdwa s[26:27], v27, v26 src0_sel:BYTE_0 src1_sel:DWORD
	v_cndmask_b32_e32 v27, v27, v32, vcc
	v_cndmask_b32_e32 v29, v29, v33, vcc
	v_mov_b32_dpp v31, v28 row_shr:4 row_mask:0xf bank_mask:0xf
	s_and_b64 vcc, vcc, s[26:27]
	v_mov_b32_dpp v32, v29 row_shr:8 row_mask:0xf bank_mask:0xf
	v_and_b32_e32 v33, 1, v27
	v_cndmask_b32_e32 v31, 0, v31, vcc
	v_and_b32_e32 v32, 1, v32
	v_cmp_eq_u32_e32 vcc, 1, v33
	v_cndmask_b32_e64 v32, v32, 1, vcc
	v_add_u32_e32 v28, v31, v28
	v_cmp_eq_u16_sdwa s[26:27], v27, v26 src0_sel:BYTE_0 src1_sel:DWORD
	v_and_b32_e32 v33, 0xffff, v32
	v_cmp_lt_u32_e32 vcc, 7, v30
	v_mov_b32_dpp v31, v28 row_shr:8 row_mask:0xf bank_mask:0xf
	v_cndmask_b32_e32 v27, v27, v32, vcc
	v_cndmask_b32_e32 v29, v29, v33, vcc
	s_and_b64 vcc, vcc, s[26:27]
	v_cndmask_b32_e32 v30, 0, v31, vcc
	v_add_u32_e32 v28, v30, v28
	v_mov_b32_dpp v31, v29 row_bcast:15 row_mask:0xf bank_mask:0xf
	v_cmp_eq_u16_sdwa vcc, v27, v26 src0_sel:BYTE_0 src1_sel:DWORD
	v_mov_b32_dpp v30, v28 row_bcast:15 row_mask:0xf bank_mask:0xf
	v_and_b32_e32 v34, 1, v27
	v_cndmask_b32_e32 v30, 0, v30, vcc
	v_and_b32_e32 v31, 1, v31
	v_cmp_eq_u32_e32 vcc, 1, v34
	v_and_b32_e32 v33, 16, v46
	v_cndmask_b32_e64 v31, v31, 1, vcc
	v_and_b32_e32 v34, 0xffff, v31
	v_cmp_eq_u32_e32 vcc, 0, v33
	v_cndmask_b32_e32 v27, v31, v27, vcc
	v_cndmask_b32_e32 v29, v34, v29, vcc
	v_bfe_i32 v32, v46, 4, 1
	v_cmp_eq_u16_sdwa s[26:27], v27, v26 src0_sel:BYTE_0 src1_sel:DWORD
	v_mov_b32_dpp v29, v29 row_bcast:31 row_mask:0xf bank_mask:0xf
	v_and_b32_e32 v26, 1, v27
	v_and_b32_e32 v30, v32, v30
	;; [unrolled: 1-line block ×3, first 2 shown]
	v_cmp_eq_u32_e32 vcc, 1, v26
	v_add_u32_e32 v28, v30, v28
	v_cndmask_b32_e64 v26, v29, 1, vcc
	v_cmp_lt_u32_e32 vcc, 31, v46
	v_mov_b32_dpp v30, v28 row_bcast:31 row_mask:0xf bank_mask:0xf
	v_cndmask_b32_e32 v29, v27, v26, vcc
	s_and_b64 vcc, vcc, s[26:27]
	v_cndmask_b32_e32 v26, 0, v30, vcc
	v_add_u32_e32 v28, v26, v28
	v_cmp_eq_u32_e32 vcc, v51, v0
	s_and_saveexec_b64 s[26:27], vcc
	s_cbranch_execz .LBB2236_87
; %bb.86:
	v_lshlrev_b32_e32 v26, 3, v1
	ds_write_b32 v26, v28
	ds_write_b8 v26, v29 offset:4
.LBB2236_87:
	s_or_b64 exec, exec, s[26:27]
	v_cmp_gt_u32_e32 vcc, 4, v0
	s_waitcnt lgkmcnt(0)
	s_barrier
	s_and_saveexec_b64 s[26:27], vcc
	s_cbranch_execz .LBB2236_91
; %bb.88:
	v_lshlrev_b32_e32 v30, 3, v0
	ds_read_b64 v[26:27], v30
	v_and_b32_e32 v31, 3, v46
	v_cmp_ne_u32_e32 vcc, 0, v31
	s_waitcnt lgkmcnt(0)
	v_mov_b32_dpp v32, v26 row_shr:1 row_mask:0xf bank_mask:0xf
	v_mov_b32_dpp v34, v27 row_shr:1 row_mask:0xf bank_mask:0xf
	v_mov_b32_e32 v33, v27
	s_and_saveexec_b64 s[30:31], vcc
	s_cbranch_execz .LBB2236_90
; %bb.89:
	v_and_b32_e32 v33, 1, v27
	v_and_b32_e32 v34, 1, v34
	v_cmp_eq_u32_e32 vcc, 1, v33
	v_mov_b32_e32 v33, 0
	v_cndmask_b32_e64 v34, v34, 1, vcc
	v_cmp_eq_u16_sdwa vcc, v27, v33 src0_sel:BYTE_0 src1_sel:DWORD
	v_cndmask_b32_e32 v32, 0, v32, vcc
	v_add_u32_e32 v26, v32, v26
	v_and_b32_e32 v32, 0xffff, v34
	s_movk_i32 s7, 0xff00
	v_and_or_b32 v33, v27, s7, v32
	v_mov_b32_e32 v27, v34
.LBB2236_90:
	s_or_b64 exec, exec, s[30:31]
	v_mov_b32_dpp v33, v33 row_shr:2 row_mask:0xf bank_mask:0xf
	v_and_b32_e32 v34, 1, v27
	v_and_b32_e32 v33, 1, v33
	v_cmp_eq_u32_e32 vcc, 1, v34
	v_mov_b32_e32 v34, 0
	v_cndmask_b32_e64 v33, v33, 1, vcc
	v_cmp_eq_u16_sdwa s[30:31], v27, v34 src0_sel:BYTE_0 src1_sel:DWORD
	v_cmp_lt_u32_e32 vcc, 1, v31
	v_mov_b32_dpp v32, v26 row_shr:2 row_mask:0xf bank_mask:0xf
	v_cndmask_b32_e32 v27, v27, v33, vcc
	s_and_b64 vcc, vcc, s[30:31]
	v_cndmask_b32_e32 v31, 0, v32, vcc
	v_add_u32_e32 v26, v31, v26
	ds_write_b32 v30, v26
	ds_write_b8 v30, v27 offset:4
.LBB2236_91:
	s_or_b64 exec, exec, s[26:27]
	v_cmp_gt_u32_e32 vcc, 64, v0
	v_cmp_lt_u32_e64 s[26:27], 63, v0
	v_mov_b32_e32 v42, 0
	v_mov_b32_e32 v43, 0
	s_waitcnt lgkmcnt(0)
	s_barrier
	s_and_saveexec_b64 s[30:31], s[26:27]
	s_cbranch_execz .LBB2236_93
; %bb.92:
	v_lshl_add_u32 v26, v1, 3, -8
	ds_read_b32 v42, v26
	ds_read_u8 v43, v26 offset:4
	v_mov_b32_e32 v27, 0
	v_and_b32_e32 v30, 1, v29
	v_cmp_eq_u16_sdwa s[26:27], v29, v27 src0_sel:BYTE_0 src1_sel:DWORD
	s_waitcnt lgkmcnt(1)
	v_cndmask_b32_e64 v26, 0, v42, s[26:27]
	v_cmp_eq_u32_e64 s[26:27], 1, v30
	v_add_u32_e32 v28, v26, v28
	s_waitcnt lgkmcnt(0)
	v_cndmask_b32_e64 v29, v43, 1, s[26:27]
.LBB2236_93:
	s_or_b64 exec, exec, s[30:31]
	v_and_b32_e32 v26, 0xff, v29
	v_add_u32_e32 v27, -1, v46
	v_and_b32_e32 v29, 64, v46
	v_cmp_lt_i32_e64 s[26:27], v27, v29
	v_cndmask_b32_e64 v27, v27, v46, s[26:27]
	v_lshlrev_b32_e32 v27, 2, v27
	ds_bpermute_b32 v44, v27, v28
	ds_bpermute_b32 v45, v27, v26
	v_cmp_eq_u32_e64 s[26:27], 0, v46
	s_and_saveexec_b64 s[38:39], vcc
	s_cbranch_execz .LBB2236_112
; %bb.94:
	v_mov_b32_e32 v29, 0
	ds_read_b64 v[26:27], v29 offset:24
	s_waitcnt lgkmcnt(0)
	v_readfirstlane_b32 s7, v27
	s_and_saveexec_b64 s[30:31], s[26:27]
	s_cbranch_execz .LBB2236_96
; %bb.95:
	s_add_i32 s40, s6, 64
	s_mov_b32 s41, 0
	s_lshl_b64 s[48:49], s[40:41], 4
	s_add_u32 s48, s44, s48
	s_addc_u32 s49, s45, s49
	s_and_b32 s55, s7, 0xff000000
	s_mov_b32 s54, s41
	s_and_b32 s59, s7, 0xff0000
	s_mov_b32 s58, s41
	s_or_b64 s[54:55], s[58:59], s[54:55]
	s_and_b32 s59, s7, 0xff00
	s_or_b64 s[54:55], s[54:55], s[58:59]
	s_and_b32 s59, s7, 0xff
	s_or_b64 s[40:41], s[54:55], s[58:59]
	v_mov_b32_e32 v27, s41
	v_mov_b32_e32 v28, 1
	v_pk_mov_b32 v[30:31], s[48:49], s[48:49] op_sel:[0,1]
	;;#ASMSTART
	global_store_dwordx4 v[30:31], v[26:29] off	
s_waitcnt vmcnt(0)
	;;#ASMEND
.LBB2236_96:
	s_or_b64 exec, exec, s[30:31]
	v_xad_u32 v34, v46, -1, s6
	v_add_u32_e32 v28, 64, v34
	v_lshlrev_b64 v[30:31], 4, v[28:29]
	v_mov_b32_e32 v27, s45
	v_add_co_u32_e32 v36, vcc, s44, v30
	v_addc_co_u32_e32 v37, vcc, v27, v31, vcc
	;;#ASMSTART
	global_load_dwordx4 v[30:33], v[36:37] off glc	
s_waitcnt vmcnt(0)
	;;#ASMEND
	v_and_b32_e32 v27, 0xff0000, v30
	v_or_b32_sdwa v27, v30, v27 dst_sel:DWORD dst_unused:UNUSED_PAD src0_sel:WORD_0 src1_sel:DWORD
	v_and_b32_e32 v28, 0xff000000, v30
	v_and_b32_e32 v30, 0xff, v31
	v_or3_b32 v31, 0, 0, v30
	v_or3_b32 v30, v27, v28, 0
	v_cmp_eq_u16_sdwa s[40:41], v32, v29 src0_sel:BYTE_0 src1_sel:DWORD
	s_and_saveexec_b64 s[30:31], s[40:41]
	s_cbranch_execz .LBB2236_100
; %bb.97:
	s_mov_b64 s[40:41], 0
	v_mov_b32_e32 v27, 0
.LBB2236_98:                            ; =>This Inner Loop Header: Depth=1
	;;#ASMSTART
	global_load_dwordx4 v[30:33], v[36:37] off glc	
s_waitcnt vmcnt(0)
	;;#ASMEND
	v_cmp_ne_u16_sdwa s[48:49], v32, v27 src0_sel:BYTE_0 src1_sel:DWORD
	s_or_b64 s[40:41], s[48:49], s[40:41]
	s_andn2_b64 exec, exec, s[40:41]
	s_cbranch_execnz .LBB2236_98
; %bb.99:
	s_or_b64 exec, exec, s[40:41]
	v_and_b32_e32 v31, 0xff, v31
.LBB2236_100:
	s_or_b64 exec, exec, s[30:31]
	v_mov_b32_e32 v27, 2
	v_cmp_eq_u16_sdwa s[30:31], v32, v27 src0_sel:BYTE_0 src1_sel:DWORD
	v_lshlrev_b64 v[28:29], v46, -1
	v_and_b32_e32 v33, s31, v29
	v_or_b32_e32 v33, 0x80000000, v33
	v_and_b32_e32 v35, s30, v28
	v_ffbl_b32_e32 v33, v33
	v_and_b32_e32 v47, 63, v46
	v_add_u32_e32 v33, 32, v33
	v_ffbl_b32_e32 v35, v35
	v_cmp_ne_u32_e32 vcc, 63, v47
	v_min_u32_e32 v33, v35, v33
	v_addc_co_u32_e32 v35, vcc, 0, v46, vcc
	v_lshlrev_b32_e32 v48, 2, v35
	ds_bpermute_b32 v35, v48, v31
	ds_bpermute_b32 v36, v48, v30
	s_mov_b32 s40, 0
	v_and_b32_e32 v37, 1, v31
	s_mov_b32 s41, 1
	s_waitcnt lgkmcnt(1)
	v_and_b32_e32 v35, 1, v35
	v_cmp_eq_u32_e32 vcc, 1, v37
	v_cndmask_b32_e64 v35, v35, 1, vcc
	v_cmp_gt_u64_e32 vcc, s[40:41], v[30:31]
	v_cmp_lt_u32_e64 s[30:31], v47, v33
	s_and_b64 vcc, s[30:31], vcc
	v_and_b32_e32 v37, 0xffff, v35
	v_cndmask_b32_e64 v54, v31, v35, s[30:31]
	s_waitcnt lgkmcnt(0)
	v_cndmask_b32_e32 v35, 0, v36, vcc
	v_cmp_gt_u32_e32 vcc, 62, v47
	v_cndmask_b32_e64 v36, 0, 1, vcc
	v_lshlrev_b32_e32 v36, 1, v36
	v_cndmask_b32_e64 v31, v31, v37, s[30:31]
	v_add_lshl_u32 v49, v36, v46, 2
	ds_bpermute_b32 v36, v49, v31
	v_add_u32_e32 v30, v35, v30
	ds_bpermute_b32 v37, v49, v30
	v_and_b32_e32 v35, 1, v54
	v_cmp_eq_u32_e32 vcc, 1, v35
	s_waitcnt lgkmcnt(1)
	v_and_b32_e32 v36, 1, v36
	v_mov_b32_e32 v35, 0
	v_add_u32_e32 v53, 2, v47
	v_cndmask_b32_e64 v36, v36, 1, vcc
	v_cmp_eq_u16_sdwa vcc, v54, v35 src0_sel:BYTE_0 src1_sel:DWORD
	v_and_b32_e32 v55, 0xffff, v36
	s_waitcnt lgkmcnt(0)
	v_cndmask_b32_e32 v37, 0, v37, vcc
	v_cmp_gt_u32_e32 vcc, v53, v33
	v_cndmask_b32_e32 v36, v36, v54, vcc
	v_cndmask_b32_e64 v37, v37, 0, vcc
	v_cndmask_b32_e32 v31, v55, v31, vcc
	v_cmp_gt_u32_e32 vcc, 60, v47
	v_cndmask_b32_e64 v54, 0, 1, vcc
	v_lshlrev_b32_e32 v54, 2, v54
	v_add_lshl_u32 v54, v54, v46, 2
	ds_bpermute_b32 v56, v54, v31
	v_add_u32_e32 v30, v37, v30
	ds_bpermute_b32 v37, v54, v30
	v_and_b32_e32 v57, 1, v36
	v_cmp_eq_u32_e32 vcc, 1, v57
	s_waitcnt lgkmcnt(1)
	v_and_b32_e32 v56, 1, v56
	v_add_u32_e32 v55, 4, v47
	v_cndmask_b32_e64 v56, v56, 1, vcc
	v_cmp_eq_u16_sdwa vcc, v36, v35 src0_sel:BYTE_0 src1_sel:DWORD
	v_and_b32_e32 v57, 0xffff, v56
	s_waitcnt lgkmcnt(0)
	v_cndmask_b32_e32 v37, 0, v37, vcc
	v_cmp_gt_u32_e32 vcc, v55, v33
	v_cndmask_b32_e32 v36, v56, v36, vcc
	v_cndmask_b32_e64 v37, v37, 0, vcc
	v_cndmask_b32_e32 v31, v57, v31, vcc
	v_cmp_gt_u32_e32 vcc, 56, v47
	v_cndmask_b32_e64 v56, 0, 1, vcc
	v_lshlrev_b32_e32 v56, 3, v56
	v_add_lshl_u32 v56, v56, v46, 2
	ds_bpermute_b32 v58, v56, v31
	v_add_u32_e32 v30, v37, v30
	ds_bpermute_b32 v37, v56, v30
	v_and_b32_e32 v59, 1, v36
	v_cmp_eq_u32_e32 vcc, 1, v59
	s_waitcnt lgkmcnt(1)
	v_and_b32_e32 v58, 1, v58
	;; [unrolled: 21-line block ×4, first 2 shown]
	v_add_u32_e32 v62, 32, v47
	v_cndmask_b32_e64 v31, v31, 1, vcc
	v_cmp_eq_u16_sdwa vcc, v36, v35 src0_sel:BYTE_0 src1_sel:DWORD
	s_waitcnt lgkmcnt(0)
	v_cndmask_b32_e32 v37, 0, v37, vcc
	v_cmp_gt_u32_e32 vcc, v62, v33
	v_cndmask_b32_e64 v33, v37, 0, vcc
	v_cndmask_b32_e32 v31, v31, v36, vcc
	v_add_u32_e32 v30, v33, v30
	s_branch .LBB2236_102
.LBB2236_101:                           ;   in Loop: Header=BB2236_102 Depth=1
	s_or_b64 exec, exec, s[30:31]
	v_cmp_eq_u16_sdwa s[30:31], v32, v27 src0_sel:BYTE_0 src1_sel:DWORD
	v_and_b32_e32 v33, s31, v29
	ds_bpermute_b32 v37, v48, v31
	v_or_b32_e32 v33, 0x80000000, v33
	v_and_b32_e32 v36, s30, v28
	v_ffbl_b32_e32 v33, v33
	v_add_u32_e32 v33, 32, v33
	v_ffbl_b32_e32 v36, v36
	v_min_u32_e32 v33, v36, v33
	ds_bpermute_b32 v36, v48, v30
	v_and_b32_e32 v63, 1, v31
	s_waitcnt lgkmcnt(1)
	v_and_b32_e32 v37, 1, v37
	v_cmp_eq_u32_e32 vcc, 1, v63
	v_cndmask_b32_e64 v37, v37, 1, vcc
	v_cmp_gt_u64_e32 vcc, s[40:41], v[30:31]
	v_and_b32_e32 v63, 0xffff, v37
	v_cmp_lt_u32_e64 s[30:31], v47, v33
	v_cndmask_b32_e64 v37, v31, v37, s[30:31]
	v_cndmask_b32_e64 v31, v31, v63, s[30:31]
	s_and_b64 vcc, s[30:31], vcc
	ds_bpermute_b32 v63, v49, v31
	s_waitcnt lgkmcnt(1)
	v_cndmask_b32_e32 v36, 0, v36, vcc
	v_add_u32_e32 v30, v36, v30
	ds_bpermute_b32 v36, v49, v30
	v_and_b32_e32 v64, 1, v37
	s_waitcnt lgkmcnt(1)
	v_and_b32_e32 v63, 1, v63
	v_cmp_eq_u32_e32 vcc, 1, v64
	v_cndmask_b32_e64 v63, v63, 1, vcc
	v_cmp_eq_u16_sdwa vcc, v37, v35 src0_sel:BYTE_0 src1_sel:DWORD
	v_and_b32_e32 v64, 0xffff, v63
	s_waitcnt lgkmcnt(0)
	v_cndmask_b32_e32 v36, 0, v36, vcc
	v_cmp_gt_u32_e32 vcc, v53, v33
	v_cndmask_b32_e32 v31, v64, v31, vcc
	v_cndmask_b32_e32 v37, v63, v37, vcc
	ds_bpermute_b32 v63, v54, v31
	v_cndmask_b32_e64 v36, v36, 0, vcc
	v_add_u32_e32 v30, v36, v30
	ds_bpermute_b32 v36, v54, v30
	v_and_b32_e32 v64, 1, v37
	s_waitcnt lgkmcnt(1)
	v_and_b32_e32 v63, 1, v63
	v_cmp_eq_u32_e32 vcc, 1, v64
	v_cndmask_b32_e64 v63, v63, 1, vcc
	v_cmp_eq_u16_sdwa vcc, v37, v35 src0_sel:BYTE_0 src1_sel:DWORD
	v_and_b32_e32 v64, 0xffff, v63
	s_waitcnt lgkmcnt(0)
	v_cndmask_b32_e32 v36, 0, v36, vcc
	v_cmp_gt_u32_e32 vcc, v55, v33
	v_cndmask_b32_e32 v31, v64, v31, vcc
	v_cndmask_b32_e32 v37, v63, v37, vcc
	ds_bpermute_b32 v63, v56, v31
	v_cndmask_b32_e64 v36, v36, 0, vcc
	;; [unrolled: 16-line block ×3, first 2 shown]
	v_add_u32_e32 v30, v36, v30
	ds_bpermute_b32 v36, v58, v30
	v_and_b32_e32 v64, 1, v37
	s_waitcnt lgkmcnt(1)
	v_and_b32_e32 v63, 1, v63
	v_cmp_eq_u32_e32 vcc, 1, v64
	v_cndmask_b32_e64 v63, v63, 1, vcc
	v_cmp_eq_u16_sdwa vcc, v37, v35 src0_sel:BYTE_0 src1_sel:DWORD
	v_and_b32_e32 v64, 0xffff, v63
	s_waitcnt lgkmcnt(0)
	v_cndmask_b32_e32 v36, 0, v36, vcc
	v_cmp_gt_u32_e32 vcc, v59, v33
	v_cndmask_b32_e64 v36, v36, 0, vcc
	v_cndmask_b32_e32 v31, v64, v31, vcc
	ds_bpermute_b32 v31, v61, v31
	v_add_u32_e32 v30, v36, v30
	ds_bpermute_b32 v36, v61, v30
	v_cndmask_b32_e32 v37, v63, v37, vcc
	v_and_b32_e32 v63, 1, v37
	v_cmp_eq_u32_e32 vcc, 1, v63
	s_waitcnt lgkmcnt(1)
	v_cndmask_b32_e64 v31, v31, 1, vcc
	v_cmp_eq_u16_sdwa vcc, v37, v35 src0_sel:BYTE_0 src1_sel:DWORD
	s_waitcnt lgkmcnt(0)
	v_cndmask_b32_e32 v36, 0, v36, vcc
	v_cmp_gt_u32_e32 vcc, v62, v33
	v_cndmask_b32_e64 v33, v36, 0, vcc
	v_cndmask_b32_e32 v31, v31, v37, vcc
	v_add_u32_e32 v30, v33, v30
	v_cmp_eq_u16_sdwa vcc, v46, v35 src0_sel:BYTE_0 src1_sel:DWORD
	v_and_b32_e32 v33, 1, v46
	v_cndmask_b32_e32 v30, 0, v30, vcc
	v_and_b32_e32 v31, 1, v31
	v_cmp_eq_u32_e32 vcc, 1, v33
	v_subrev_u32_e32 v34, 64, v34
	v_add_u32_e32 v30, v30, v60
	v_cndmask_b32_e64 v31, v31, 1, vcc
.LBB2236_102:                           ; =>This Loop Header: Depth=1
                                        ;     Child Loop BB2236_105 Depth 2
	v_cmp_ne_u16_sdwa s[30:31], v32, v27 src0_sel:BYTE_0 src1_sel:DWORD
	v_mov_b32_e32 v46, v31
	v_cndmask_b32_e64 v31, 0, 1, s[30:31]
	;;#ASMSTART
	;;#ASMEND
	v_cmp_ne_u32_e32 vcc, 0, v31
	s_cmp_lg_u64 vcc, exec
	v_mov_b32_e32 v60, v30
	s_cbranch_scc1 .LBB2236_107
; %bb.103:                              ;   in Loop: Header=BB2236_102 Depth=1
	v_lshlrev_b64 v[30:31], 4, v[34:35]
	v_mov_b32_e32 v32, s45
	v_add_co_u32_e32 v36, vcc, s44, v30
	v_addc_co_u32_e32 v37, vcc, v32, v31, vcc
	;;#ASMSTART
	global_load_dwordx4 v[30:33], v[36:37] off glc	
s_waitcnt vmcnt(0)
	;;#ASMEND
	v_and_b32_e32 v33, 0xff0000, v30
	v_or_b32_sdwa v33, v30, v33 dst_sel:DWORD dst_unused:UNUSED_PAD src0_sel:WORD_0 src1_sel:DWORD
	v_and_b32_e32 v30, 0xff000000, v30
	v_and_b32_e32 v31, 0xff, v31
	v_or3_b32 v31, 0, 0, v31
	v_or3_b32 v30, v33, v30, 0
	v_cmp_eq_u16_sdwa s[48:49], v32, v35 src0_sel:BYTE_0 src1_sel:DWORD
	s_and_saveexec_b64 s[30:31], s[48:49]
	s_cbranch_execz .LBB2236_101
; %bb.104:                              ;   in Loop: Header=BB2236_102 Depth=1
	s_mov_b64 s[48:49], 0
.LBB2236_105:                           ;   Parent Loop BB2236_102 Depth=1
                                        ; =>  This Inner Loop Header: Depth=2
	;;#ASMSTART
	global_load_dwordx4 v[30:33], v[36:37] off glc	
s_waitcnt vmcnt(0)
	;;#ASMEND
	v_cmp_ne_u16_sdwa s[54:55], v32, v35 src0_sel:BYTE_0 src1_sel:DWORD
	s_or_b64 s[48:49], s[54:55], s[48:49]
	s_andn2_b64 exec, exec, s[48:49]
	s_cbranch_execnz .LBB2236_105
; %bb.106:                              ;   in Loop: Header=BB2236_102 Depth=1
	s_or_b64 exec, exec, s[48:49]
	v_and_b32_e32 v31, 0xff, v31
	s_branch .LBB2236_101
.LBB2236_107:                           ;   in Loop: Header=BB2236_102 Depth=1
                                        ; implicit-def: $vgpr31
                                        ; implicit-def: $vgpr30
                                        ; implicit-def: $vgpr32
	s_cbranch_execz .LBB2236_102
; %bb.108:
	s_and_saveexec_b64 s[30:31], s[26:27]
	s_cbranch_execz .LBB2236_110
; %bb.109:
	s_and_b32 s40, s7, 0xff
	s_cmp_eq_u32 s40, 0
	s_cselect_b64 vcc, -1, 0
	s_bitcmp1_b32 s7, 0
	s_mov_b32 s41, 0
	s_cselect_b64 s[48:49], -1, 0
	s_add_i32 s40, s6, 64
	s_lshl_b64 s[6:7], s[40:41], 4
	v_cndmask_b32_e32 v27, 0, v60, vcc
	s_add_u32 s6, s44, s6
	v_add_u32_e32 v26, v27, v26
	v_and_b32_e32 v27, 1, v46
	s_addc_u32 s7, s45, s7
	v_mov_b32_e32 v29, 0
	v_cndmask_b32_e64 v27, v27, 1, s[48:49]
	v_mov_b32_e32 v28, 2
	v_pk_mov_b32 v[30:31], s[6:7], s[6:7] op_sel:[0,1]
	;;#ASMSTART
	global_store_dwordx4 v[30:31], v[26:29] off	
s_waitcnt vmcnt(0)
	;;#ASMEND
.LBB2236_110:
	s_or_b64 exec, exec, s[30:31]
	v_cmp_eq_u32_e32 vcc, 0, v0
	s_and_b64 exec, exec, vcc
	s_cbranch_execz .LBB2236_112
; %bb.111:
	v_mov_b32_e32 v26, 0
	ds_write_b32 v26, v60 offset:24
	ds_write_b8 v26, v46 offset:28
.LBB2236_112:
	s_or_b64 exec, exec, s[38:39]
	v_mov_b32_e32 v28, 0
	s_waitcnt lgkmcnt(0)
	s_barrier
	ds_read_b32 v26, v28 offset:24
	v_cndmask_b32_e64 v27, v45, v43, s[26:27]
	v_cmp_eq_u16_sdwa vcc, v27, v28 src0_sel:BYTE_0 src1_sel:DWORD
	v_cndmask_b32_e64 v29, v44, v42, s[26:27]
	s_waitcnt lgkmcnt(0)
	v_cndmask_b32_e32 v27, 0, v26, vcc
	v_add_u32_e32 v27, v27, v29
	v_cmp_eq_u32_e32 vcc, 0, v0
	v_and_b32_e32 v29, 0xff, v39
	v_cndmask_b32_e32 v26, v27, v26, vcc
	v_cmp_eq_u64_e32 vcc, 0, v[28:29]
	v_cndmask_b32_e32 v27, 0, v26, vcc
	v_add_u32_e32 v27, v27, v38
	v_cndmask_b32_e64 v28, 0, v27, s[2:3]
	v_add_u32_e32 v42, v28, v8
	v_cndmask_b32_e64 v28, 0, v42, s[4:5]
	;; [unrolled: 2-line block ×12, first 2 shown]
	v_add_u32_e32 v49, v28, v24
	s_branch .LBB2236_139
.LBB2236_113:
	s_or_b64 exec, exec, s[30:31]
                                        ; implicit-def: $vgpr14
	s_and_saveexec_b64 s[30:31], s[2:3]
	s_cbranch_execz .LBB2236_33
.LBB2236_114:
	v_mov_b32_e32 v15, s47
	v_add_co_u32_e32 v14, vcc, s7, v12
	v_addc_co_u32_e32 v15, vcc, 0, v15, vcc
	flat_load_dword v14, v[14:15] offset:1024
	s_or_b64 exec, exec, s[30:31]
                                        ; implicit-def: $vgpr15
	s_and_saveexec_b64 s[2:3], s[4:5]
	s_cbranch_execnz .LBB2236_34
.LBB2236_115:
	s_or_b64 exec, exec, s[2:3]
                                        ; implicit-def: $vgpr16
	s_and_saveexec_b64 s[2:3], s[28:29]
	s_cbranch_execz .LBB2236_35
.LBB2236_116:
	v_mov_b32_e32 v17, s47
	v_add_co_u32_e32 v16, vcc, s7, v12
	v_addc_co_u32_e32 v17, vcc, 0, v17, vcc
	flat_load_dword v16, v[16:17] offset:3072
	s_or_b64 exec, exec, s[2:3]
                                        ; implicit-def: $vgpr17
	s_and_saveexec_b64 s[2:3], s[8:9]
	s_cbranch_execnz .LBB2236_36
.LBB2236_117:
	s_or_b64 exec, exec, s[2:3]
                                        ; implicit-def: $vgpr2
	s_and_saveexec_b64 s[2:3], s[10:11]
	s_cbranch_execz .LBB2236_37
.LBB2236_118:
	v_mov_b32_e32 v18, s47
	v_add_co_u32_e32 v2, vcc, s7, v3
	v_addc_co_u32_e32 v3, vcc, 0, v18, vcc
	flat_load_dword v2, v[2:3]
	s_or_b64 exec, exec, s[2:3]
                                        ; implicit-def: $vgpr3
	s_and_saveexec_b64 s[2:3], s[12:13]
	s_cbranch_execnz .LBB2236_38
.LBB2236_119:
	s_or_b64 exec, exec, s[2:3]
                                        ; implicit-def: $vgpr4
	s_and_saveexec_b64 s[2:3], s[14:15]
	s_cbranch_execz .LBB2236_39
.LBB2236_120:
	v_mov_b32_e32 v18, s47
	v_add_co_u32_e32 v4, vcc, s7, v5
	v_addc_co_u32_e32 v5, vcc, 0, v18, vcc
	flat_load_dword v4, v[4:5]
	s_or_b64 exec, exec, s[2:3]
                                        ; implicit-def: $vgpr5
	s_and_saveexec_b64 s[2:3], s[16:17]
	s_cbranch_execnz .LBB2236_40
.LBB2236_121:
	s_or_b64 exec, exec, s[2:3]
                                        ; implicit-def: $vgpr6
	s_and_saveexec_b64 s[2:3], s[18:19]
	s_cbranch_execz .LBB2236_41
.LBB2236_122:
	v_mov_b32_e32 v18, s47
	v_add_co_u32_e32 v6, vcc, s7, v7
	v_addc_co_u32_e32 v7, vcc, 0, v18, vcc
	flat_load_dword v6, v[6:7]
	s_or_b64 exec, exec, s[2:3]
                                        ; implicit-def: $vgpr7
	s_and_saveexec_b64 s[2:3], s[20:21]
	s_cbranch_execnz .LBB2236_42
.LBB2236_123:
	s_or_b64 exec, exec, s[2:3]
                                        ; implicit-def: $vgpr8
	s_and_saveexec_b64 s[2:3], s[22:23]
	s_cbranch_execz .LBB2236_43
.LBB2236_124:
	v_mov_b32_e32 v18, s47
	v_add_co_u32_e32 v8, vcc, s7, v9
	v_addc_co_u32_e32 v9, vcc, 0, v18, vcc
	flat_load_dword v8, v[8:9]
	s_or_b64 exec, exec, s[2:3]
                                        ; implicit-def: $vgpr9
	s_and_saveexec_b64 s[2:3], s[24:25]
	s_cbranch_execz .LBB2236_45
	s_branch .LBB2236_44
.LBB2236_125:
                                        ; implicit-def: $vgpr49
                                        ; implicit-def: $vgpr47
                                        ; implicit-def: $vgpr45
                                        ; implicit-def: $vgpr43
                                        ; implicit-def: $vgpr34_vgpr35_vgpr36_vgpr37
                                        ; implicit-def: $vgpr30_vgpr31_vgpr32_vgpr33
                                        ; implicit-def: $vgpr26_vgpr27_vgpr28_vgpr29
	s_cbranch_execz .LBB2236_139
; %bb.126:
	s_cmp_lg_u64 s[52:53], 0
	s_cselect_b32 s3, s51, 0
	s_cselect_b32 s2, s50, 0
	s_mov_b32 s24, 0
	s_cmp_eq_u64 s[2:3], 0
	v_mov_b32_e32 v32, s56
	s_cbranch_scc1 .LBB2236_128
; %bb.127:
	v_mov_b32_e32 v26, 0
	global_load_dword v32, v26, s[2:3]
.LBB2236_128:
	s_mov_b32 s25, 1
	v_cmp_gt_u64_e32 vcc, s[24:25], v[8:9]
	v_cndmask_b32_e32 v27, 0, v38, vcc
	v_add_u32_e32 v27, v27, v8
	v_cmp_gt_u64_e64 s[2:3], s[24:25], v[6:7]
	v_cndmask_b32_e64 v27, 0, v27, s[2:3]
	v_add_u32_e32 v27, v27, v6
	v_cmp_gt_u64_e64 s[4:5], s[24:25], v[4:5]
	v_cndmask_b32_e64 v27, 0, v27, s[4:5]
	;; [unrolled: 3-line block ×11, first 2 shown]
	v_mov_b32_e32 v26, 0
	v_add_u32_e32 v27, v27, v24
	v_cmp_gt_u64_e64 s[24:25], s[24:25], v[40:41]
	v_or3_b32 v7, v23, v15, v7
	v_cndmask_b32_e64 v27, 0, v27, s[24:25]
	v_or3_b32 v9, v25, v17, v9
	v_and_b32_e32 v35, 1, v7
	v_mov_b32_e32 v34, v26
	v_add_u32_e32 v33, v27, v40
	v_and_b32_e32 v27, 1, v41
	v_or3_b32 v3, v19, v11, v3
	v_and_b32_e32 v31, 1, v9
	v_mov_b32_e32 v30, v26
	v_cmp_ne_u64_e64 s[26:27], 0, v[34:35]
	v_cmp_eq_u32_e64 s[24:25], 1, v27
	v_or3_b32 v5, v21, v13, v5
	v_and_b32_e32 v27, 1, v3
	v_cndmask_b32_e64 v3, 0, 1, s[26:27]
	v_cmp_ne_u64_e64 s[26:27], 0, v[30:31]
	v_and_b32_e32 v29, 1, v5
	v_mov_b32_e32 v28, v26
	v_cndmask_b32_e64 v5, 0, 1, s[26:27]
	v_lshlrev_b16_e32 v3, 2, v3
	v_lshlrev_b16_e32 v5, 3, v5
	v_cmp_ne_u64_e64 s[26:27], 0, v[28:29]
	v_or_b32_e32 v3, v5, v3
	v_cndmask_b32_e64 v5, 0, 1, s[26:27]
	v_cmp_ne_u64_e64 s[26:27], 0, v[26:27]
	v_lshlrev_b16_e32 v5, 1, v5
	v_cndmask_b32_e64 v7, 0, 1, s[26:27]
	v_or_b32_e32 v5, v7, v5
	v_and_b32_e32 v5, 3, v5
	v_or_b32_e32 v3, v5, v3
	v_and_b32_e32 v3, 15, v3
	v_cmp_ne_u16_e64 s[26:27], 0, v3
	s_or_b64 s[24:25], s[24:25], s[26:27]
	v_cndmask_b32_e64 v5, v39, 1, s[24:25]
	v_and_b32_e32 v7, 0xff, v5
	v_mov_b32_dpp v11, v33 row_shr:1 row_mask:0xf bank_mask:0xf
	v_cmp_eq_u16_e64 s[24:25], 0, v7
	v_mov_b32_dpp v13, v7 row_shr:1 row_mask:0xf bank_mask:0xf
	v_and_b32_e32 v15, 1, v5
	v_mbcnt_hi_u32_b32 v3, -1, v52
	v_cndmask_b32_e64 v11, 0, v11, s[24:25]
	v_and_b32_e32 v13, 1, v13
	v_cmp_eq_u32_e64 s[24:25], 1, v15
	v_and_b32_e32 v9, 15, v3
	v_cndmask_b32_e64 v13, v13, 1, s[24:25]
	v_and_b32_e32 v15, 0xffff, v13
	v_cmp_eq_u32_e64 s[24:25], 0, v9
	v_cndmask_b32_e64 v5, v13, v5, s[24:25]
	v_cndmask_b32_e64 v7, v15, v7, s[24:25]
	v_and_b32_e32 v17, 1, v5
	v_cndmask_b32_e64 v11, v11, 0, s[24:25]
	v_mov_b32_dpp v15, v7 row_shr:2 row_mask:0xf bank_mask:0xf
	v_and_b32_e32 v15, 1, v15
	v_cmp_eq_u32_e64 s[24:25], 1, v17
	v_cndmask_b32_e64 v15, v15, 1, s[24:25]
	v_and_b32_e32 v17, 0xffff, v15
	v_cmp_lt_u32_e64 s[24:25], 1, v9
	v_add_u32_e32 v11, v11, v33
	v_cmp_eq_u16_sdwa s[26:27], v5, v26 src0_sel:BYTE_0 src1_sel:DWORD
	v_cndmask_b32_e64 v5, v5, v15, s[24:25]
	v_cndmask_b32_e64 v7, v7, v17, s[24:25]
	v_mov_b32_dpp v13, v11 row_shr:2 row_mask:0xf bank_mask:0xf
	s_and_b64 s[24:25], s[24:25], s[26:27]
	v_mov_b32_dpp v15, v7 row_shr:4 row_mask:0xf bank_mask:0xf
	v_and_b32_e32 v17, 1, v5
	v_cndmask_b32_e64 v13, 0, v13, s[24:25]
	v_and_b32_e32 v15, 1, v15
	v_cmp_eq_u32_e64 s[24:25], 1, v17
	v_cndmask_b32_e64 v15, v15, 1, s[24:25]
	v_and_b32_e32 v17, 0xffff, v15
	v_cmp_lt_u32_e64 s[24:25], 3, v9
	v_add_u32_e32 v11, v13, v11
	v_cmp_eq_u16_sdwa s[26:27], v5, v26 src0_sel:BYTE_0 src1_sel:DWORD
	v_cndmask_b32_e64 v5, v5, v15, s[24:25]
	v_cndmask_b32_e64 v7, v7, v17, s[24:25]
	v_mov_b32_dpp v13, v11 row_shr:4 row_mask:0xf bank_mask:0xf
	s_and_b64 s[24:25], s[24:25], s[26:27]
	v_mov_b32_dpp v15, v7 row_shr:8 row_mask:0xf bank_mask:0xf
	v_and_b32_e32 v17, 1, v5
	v_cndmask_b32_e64 v13, 0, v13, s[24:25]
	v_and_b32_e32 v15, 1, v15
	v_cmp_eq_u32_e64 s[24:25], 1, v17
	v_cndmask_b32_e64 v15, v15, 1, s[24:25]
	v_add_u32_e32 v11, v13, v11
	v_cmp_eq_u16_sdwa s[26:27], v5, v26 src0_sel:BYTE_0 src1_sel:DWORD
	v_and_b32_e32 v17, 0xffff, v15
	v_cmp_lt_u32_e64 s[24:25], 7, v9
	v_mov_b32_dpp v13, v11 row_shr:8 row_mask:0xf bank_mask:0xf
	v_cndmask_b32_e64 v5, v5, v15, s[24:25]
	v_cndmask_b32_e64 v7, v7, v17, s[24:25]
	s_and_b64 s[24:25], s[24:25], s[26:27]
	v_cndmask_b32_e64 v9, 0, v13, s[24:25]
	v_add_u32_e32 v9, v9, v11
	v_mov_b32_dpp v13, v7 row_bcast:15 row_mask:0xf bank_mask:0xf
	v_cmp_eq_u16_sdwa s[24:25], v5, v26 src0_sel:BYTE_0 src1_sel:DWORD
	v_mov_b32_dpp v11, v9 row_bcast:15 row_mask:0xf bank_mask:0xf
	v_and_b32_e32 v19, 1, v5
	v_cndmask_b32_e64 v11, 0, v11, s[24:25]
	v_and_b32_e32 v13, 1, v13
	v_cmp_eq_u32_e64 s[24:25], 1, v19
	v_and_b32_e32 v17, 16, v3
	v_cndmask_b32_e64 v13, v13, 1, s[24:25]
	v_and_b32_e32 v19, 0xffff, v13
	v_cmp_eq_u32_e64 s[24:25], 0, v17
	v_cndmask_b32_e64 v5, v13, v5, s[24:25]
	v_cndmask_b32_e64 v7, v19, v7, s[24:25]
	v_bfe_i32 v15, v3, 4, 1
	v_and_b32_e32 v13, 1, v5
	v_mov_b32_dpp v7, v7 row_bcast:31 row_mask:0xf bank_mask:0xf
	v_and_b32_e32 v11, v15, v11
	v_and_b32_e32 v7, 1, v7
	v_cmp_eq_u32_e64 s[24:25], 1, v13
	v_add_u32_e32 v9, v11, v9
	v_cmp_eq_u16_sdwa s[26:27], v5, v26 src0_sel:BYTE_0 src1_sel:DWORD
	v_cndmask_b32_e64 v7, v7, 1, s[24:25]
	v_cmp_lt_u32_e64 s[24:25], 31, v3
	v_mov_b32_dpp v11, v9 row_bcast:31 row_mask:0xf bank_mask:0xf
	v_cndmask_b32_e64 v5, v5, v7, s[24:25]
	s_and_b64 s[24:25], s[24:25], s[26:27]
	v_cndmask_b32_e64 v7, 0, v11, s[24:25]
	v_add_u32_e32 v7, v7, v9
	v_cmp_eq_u32_e64 s[24:25], v51, v0
	s_and_saveexec_b64 s[26:27], s[24:25]
	s_cbranch_execz .LBB2236_130
; %bb.129:
	v_lshlrev_b32_e32 v9, 3, v1
	ds_write_b32 v9, v7
	ds_write_b8 v9, v5 offset:4
.LBB2236_130:
	s_or_b64 exec, exec, s[26:27]
	v_cmp_gt_u32_e64 s[24:25], 4, v0
	s_waitcnt lgkmcnt(0)
	s_barrier
	s_and_saveexec_b64 s[26:27], s[24:25]
	s_cbranch_execz .LBB2236_134
; %bb.131:
	v_lshlrev_b32_e32 v9, 3, v0
	ds_read_b64 v[26:27], v9
	v_and_b32_e32 v11, 3, v3
	v_cmp_ne_u32_e64 s[24:25], 0, v11
	s_waitcnt lgkmcnt(0)
	v_mov_b32_dpp v13, v26 row_shr:1 row_mask:0xf bank_mask:0xf
	v_mov_b32_dpp v17, v27 row_shr:1 row_mask:0xf bank_mask:0xf
	v_mov_b32_e32 v15, v27
	s_and_saveexec_b64 s[28:29], s[24:25]
	s_cbranch_execz .LBB2236_133
; %bb.132:
	v_and_b32_e32 v15, 1, v27
	v_and_b32_e32 v17, 1, v17
	v_cmp_eq_u32_e64 s[24:25], 1, v15
	v_mov_b32_e32 v15, 0
	v_cndmask_b32_e64 v17, v17, 1, s[24:25]
	v_cmp_eq_u16_sdwa s[24:25], v27, v15 src0_sel:BYTE_0 src1_sel:DWORD
	v_cndmask_b32_e64 v13, 0, v13, s[24:25]
	v_add_u32_e32 v26, v13, v26
	v_and_b32_e32 v13, 0xffff, v17
	s_movk_i32 s24, 0xff00
	v_and_or_b32 v15, v27, s24, v13
	v_mov_b32_e32 v27, v17
.LBB2236_133:
	s_or_b64 exec, exec, s[28:29]
	v_mov_b32_dpp v15, v15 row_shr:2 row_mask:0xf bank_mask:0xf
	v_and_b32_e32 v17, 1, v27
	v_and_b32_e32 v15, 1, v15
	v_cmp_eq_u32_e64 s[24:25], 1, v17
	v_mov_b32_e32 v17, 0
	v_cndmask_b32_e64 v15, v15, 1, s[24:25]
	v_cmp_eq_u16_sdwa s[28:29], v27, v17 src0_sel:BYTE_0 src1_sel:DWORD
	v_cmp_lt_u32_e64 s[24:25], 1, v11
	v_mov_b32_dpp v13, v26 row_shr:2 row_mask:0xf bank_mask:0xf
	v_cndmask_b32_e64 v11, v27, v15, s[24:25]
	s_and_b64 s[24:25], s[24:25], s[28:29]
	v_cndmask_b32_e64 v13, 0, v13, s[24:25]
	v_add_u32_e32 v13, v13, v26
	ds_write_b32 v9, v13
	ds_write_b8 v9, v11 offset:4
.LBB2236_134:
	s_or_b64 exec, exec, s[26:27]
	v_cmp_lt_u32_e64 s[24:25], 63, v0
	s_waitcnt vmcnt(0)
	v_mov_b32_e32 v9, v32
	s_waitcnt lgkmcnt(0)
	s_barrier
	s_and_saveexec_b64 s[26:27], s[24:25]
	s_cbranch_execz .LBB2236_136
; %bb.135:
	v_lshl_add_u32 v1, v1, 3, -8
	ds_read_u8 v9, v1 offset:4
	ds_read_b32 v1, v1
	s_waitcnt lgkmcnt(1)
	v_cmp_eq_u16_e64 s[24:25], 0, v9
	v_cndmask_b32_e64 v9, 0, v32, s[24:25]
	s_waitcnt lgkmcnt(0)
	v_add_u32_e32 v9, v9, v1
.LBB2236_136:
	s_or_b64 exec, exec, s[26:27]
	v_mov_b32_e32 v28, 0
	v_cmp_eq_u16_sdwa s[24:25], v5, v28 src0_sel:BYTE_0 src1_sel:DWORD
	v_cndmask_b32_e64 v1, 0, v9, s[24:25]
	v_add_u32_e32 v1, v1, v7
	v_add_u32_e32 v5, -1, v3
	v_and_b32_e32 v7, 64, v3
	v_cmp_lt_i32_e64 s[24:25], v5, v7
	v_cndmask_b32_e64 v5, v5, v3, s[24:25]
	v_lshlrev_b32_e32 v5, 2, v5
	ds_bpermute_b32 v1, v5, v1
	v_cmp_eq_u32_e64 s[24:25], 0, v3
	v_and_b32_e32 v29, 0xff, v39
	v_cmp_eq_u64_e64 s[26:27], 0, v[28:29]
	s_waitcnt lgkmcnt(0)
	v_cndmask_b32_e64 v26, v1, v9, s[24:25]
	v_cmp_eq_u32_e64 s[24:25], 0, v0
	v_cndmask_b32_e64 v1, v26, v32, s[24:25]
	v_cndmask_b32_e64 v1, 0, v1, s[26:27]
	v_add_u32_e32 v27, v1, v38
	v_cndmask_b32_e32 v1, 0, v27, vcc
	v_add_u32_e32 v42, v1, v8
	v_cndmask_b32_e64 v1, 0, v42, s[2:3]
	v_add_u32_e32 v43, v1, v6
	v_cndmask_b32_e64 v1, 0, v43, s[4:5]
	;; [unrolled: 2-line block ×11, first 2 shown]
	s_and_saveexec_b64 s[2:3], s[24:25]
	s_cbranch_execz .LBB2236_138
; %bb.137:
	ds_read_u8 v3, v28 offset:28
	ds_read_b32 v2, v28 offset:24
	s_add_u32 s4, s44, 0x400
	s_addc_u32 s5, s45, 0
	v_mov_b32_e32 v5, v28
	s_waitcnt lgkmcnt(1)
	v_cmp_eq_u16_e32 vcc, 0, v3
	v_cndmask_b32_e32 v4, 0, v32, vcc
	s_waitcnt lgkmcnt(0)
	v_add_u32_e32 v2, v4, v2
	v_and_b32_e32 v3, 0xffff, v3
	v_mov_b32_e32 v4, 2
	v_pk_mov_b32 v[6:7], s[4:5], s[4:5] op_sel:[0,1]
	;;#ASMSTART
	global_store_dwordx4 v[6:7], v[2:5] off	
s_waitcnt vmcnt(0)
	;;#ASMEND
	v_mov_b32_e32 v26, v32
.LBB2236_138:
	s_or_b64 exec, exec, s[2:3]
	v_add_u32_e32 v49, v1, v24
.LBB2236_139:
	s_add_u32 s2, s42, s34
	s_addc_u32 s3, s43, s35
	s_add_u32 s4, s2, s36
	v_mul_u32_u24_e32 v1, 14, v0
	s_addc_u32 s5, s3, s37
	s_and_b64 vcc, exec, s[0:1]
	v_lshlrev_b32_e32 v2, 2, v1
	s_cbranch_vccz .LBB2236_167
; %bb.140:
	s_movk_i32 s0, 0xffcc
	v_mad_i32_i24 v3, v0, s0, v2
	s_barrier
	ds_write2_b64 v2, v[26:27], v[42:43] offset1:1
	ds_write2_b64 v2, v[30:31], v[44:45] offset0:2 offset1:3
	ds_write2_b64 v2, v[34:35], v[46:47] offset0:4 offset1:5
	ds_write_b64 v2, v[48:49] offset:48
	s_waitcnt lgkmcnt(0)
	s_barrier
	ds_read2st64_b32 v[16:17], v3 offset0:4 offset1:8
	ds_read2st64_b32 v[14:15], v3 offset0:12 offset1:16
	;; [unrolled: 1-line block ×6, first 2 shown]
	ds_read_b32 v3, v3 offset:13312
	v_mov_b32_e32 v7, s5
	v_add_co_u32_e32 v6, vcc, s4, v50
	s_add_i32 s33, s33, s46
	v_addc_co_u32_e32 v7, vcc, 0, v7, vcc
	v_mov_b32_e32 v1, 0
	v_cmp_gt_u32_e32 vcc, s33, v0
	s_and_saveexec_b64 s[0:1], vcc
	s_cbranch_execz .LBB2236_142
; %bb.141:
	v_mul_i32_i24_e32 v18, 0xffffffcc, v0
	v_add_u32_e32 v18, v2, v18
	ds_read_b32 v18, v18
	s_waitcnt lgkmcnt(0)
	flat_store_dword v[6:7], v18
.LBB2236_142:
	s_or_b64 exec, exec, s[0:1]
	v_or_b32_e32 v18, 0x100, v0
	v_cmp_gt_u32_e32 vcc, s33, v18
	s_and_saveexec_b64 s[0:1], vcc
	s_cbranch_execz .LBB2236_144
; %bb.143:
	s_waitcnt lgkmcnt(0)
	flat_store_dword v[6:7], v16 offset:1024
.LBB2236_144:
	s_or_b64 exec, exec, s[0:1]
	s_waitcnt lgkmcnt(0)
	v_or_b32_e32 v16, 0x200, v0
	v_cmp_gt_u32_e32 vcc, s33, v16
	s_and_saveexec_b64 s[0:1], vcc
	s_cbranch_execz .LBB2236_146
; %bb.145:
	flat_store_dword v[6:7], v17 offset:2048
.LBB2236_146:
	s_or_b64 exec, exec, s[0:1]
	v_or_b32_e32 v16, 0x300, v0
	v_cmp_gt_u32_e32 vcc, s33, v16
	s_and_saveexec_b64 s[0:1], vcc
	s_cbranch_execz .LBB2236_148
; %bb.147:
	flat_store_dword v[6:7], v14 offset:3072
.LBB2236_148:
	s_or_b64 exec, exec, s[0:1]
	v_or_b32_e32 v14, 0x400, v0
	v_cmp_gt_u32_e32 vcc, s33, v14
	s_and_saveexec_b64 s[0:1], vcc
	s_cbranch_execz .LBB2236_150
; %bb.149:
	v_add_co_u32_e32 v16, vcc, 0x1000, v6
	v_addc_co_u32_e32 v17, vcc, 0, v7, vcc
	flat_store_dword v[16:17], v15
.LBB2236_150:
	s_or_b64 exec, exec, s[0:1]
	v_or_b32_e32 v14, 0x500, v0
	v_cmp_gt_u32_e32 vcc, s33, v14
	s_and_saveexec_b64 s[0:1], vcc
	s_cbranch_execz .LBB2236_152
; %bb.151:
	v_add_co_u32_e32 v14, vcc, 0x1000, v6
	v_addc_co_u32_e32 v15, vcc, 0, v7, vcc
	flat_store_dword v[14:15], v12 offset:1024
.LBB2236_152:
	s_or_b64 exec, exec, s[0:1]
	v_or_b32_e32 v12, 0x600, v0
	v_cmp_gt_u32_e32 vcc, s33, v12
	s_and_saveexec_b64 s[0:1], vcc
	s_cbranch_execz .LBB2236_154
; %bb.153:
	v_add_co_u32_e32 v14, vcc, 0x1000, v6
	v_addc_co_u32_e32 v15, vcc, 0, v7, vcc
	flat_store_dword v[14:15], v13 offset:2048
.LBB2236_154:
	;; [unrolled: 10-line block ×3, first 2 shown]
	s_or_b64 exec, exec, s[0:1]
	v_or_b32_e32 v10, 0x800, v0
	v_cmp_gt_u32_e32 vcc, s33, v10
	s_and_saveexec_b64 s[0:1], vcc
	s_cbranch_execz .LBB2236_158
; %bb.157:
	v_add_co_u32_e32 v12, vcc, 0x2000, v6
	v_addc_co_u32_e32 v13, vcc, 0, v7, vcc
	flat_store_dword v[12:13], v11
.LBB2236_158:
	s_or_b64 exec, exec, s[0:1]
	v_or_b32_e32 v10, 0x900, v0
	v_cmp_gt_u32_e32 vcc, s33, v10
	s_and_saveexec_b64 s[0:1], vcc
	s_cbranch_execz .LBB2236_160
; %bb.159:
	v_add_co_u32_e32 v10, vcc, 0x2000, v6
	v_addc_co_u32_e32 v11, vcc, 0, v7, vcc
	flat_store_dword v[10:11], v8 offset:1024
.LBB2236_160:
	s_or_b64 exec, exec, s[0:1]
	v_or_b32_e32 v8, 0xa00, v0
	v_cmp_gt_u32_e32 vcc, s33, v8
	s_and_saveexec_b64 s[0:1], vcc
	s_cbranch_execz .LBB2236_162
; %bb.161:
	v_add_co_u32_e32 v10, vcc, 0x2000, v6
	v_addc_co_u32_e32 v11, vcc, 0, v7, vcc
	flat_store_dword v[10:11], v9 offset:2048
.LBB2236_162:
	;; [unrolled: 10-line block ×3, first 2 shown]
	s_or_b64 exec, exec, s[0:1]
	v_or_b32_e32 v4, 0xc00, v0
	v_cmp_gt_u32_e32 vcc, s33, v4
	s_and_saveexec_b64 s[0:1], vcc
	s_cbranch_execz .LBB2236_166
; %bb.165:
	v_add_co_u32_e32 v6, vcc, 0x3000, v6
	v_addc_co_u32_e32 v7, vcc, 0, v7, vcc
	flat_store_dword v[6:7], v5
.LBB2236_166:
	s_or_b64 exec, exec, s[0:1]
	v_or_b32_e32 v4, 0xd00, v0
	v_cmp_gt_u32_e64 s[0:1], s33, v4
	s_branch .LBB2236_169
.LBB2236_167:
	s_mov_b64 s[0:1], 0
                                        ; implicit-def: $vgpr3
	s_cbranch_execz .LBB2236_169
; %bb.168:
	s_movk_i32 s2, 0xffcc
	s_waitcnt lgkmcnt(0)
	s_barrier
	ds_write2_b64 v2, v[26:27], v[42:43] offset1:1
	ds_write2_b64 v2, v[30:31], v[44:45] offset0:2 offset1:3
	ds_write2_b64 v2, v[34:35], v[46:47] offset0:4 offset1:5
	ds_write_b64 v2, v[48:49] offset:48
	v_mad_i32_i24 v2, v0, s2, v2
	v_mov_b32_e32 v17, s5
	v_add_co_u32_e32 v16, vcc, s4, v50
	s_waitcnt lgkmcnt(0)
	s_barrier
	ds_read2st64_b32 v[4:5], v2 offset1:4
	ds_read2st64_b32 v[6:7], v2 offset0:8 offset1:12
	ds_read2st64_b32 v[8:9], v2 offset0:16 offset1:20
	;; [unrolled: 1-line block ×6, first 2 shown]
	v_addc_co_u32_e32 v17, vcc, 0, v17, vcc
	s_movk_i32 s2, 0x1000
	s_waitcnt lgkmcnt(0)
	flat_store_dword v[16:17], v4
	flat_store_dword v[16:17], v5 offset:1024
	flat_store_dword v[16:17], v6 offset:2048
	flat_store_dword v[16:17], v7 offset:3072
	v_add_co_u32_e32 v4, vcc, s2, v16
	v_addc_co_u32_e32 v5, vcc, 0, v17, vcc
	flat_store_dword v[4:5], v8
	flat_store_dword v[4:5], v9 offset:1024
	flat_store_dword v[4:5], v10 offset:2048
	;; [unrolled: 1-line block ×3, first 2 shown]
	v_add_co_u32_e32 v4, vcc, 0x2000, v16
	v_addc_co_u32_e32 v5, vcc, 0, v17, vcc
	flat_store_dword v[4:5], v12
	flat_store_dword v[4:5], v13 offset:1024
	flat_store_dword v[4:5], v14 offset:2048
	;; [unrolled: 1-line block ×3, first 2 shown]
	v_add_co_u32_e32 v4, vcc, 0x3000, v16
	v_mov_b32_e32 v1, 0
	v_addc_co_u32_e32 v5, vcc, 0, v17, vcc
	s_or_b64 s[0:1], s[0:1], exec
	flat_store_dword v[4:5], v2
.LBB2236_169:
	s_and_saveexec_b64 s[2:3], s[0:1]
	s_cbranch_execz .LBB2236_171
; %bb.170:
	v_lshlrev_b64 v[0:1], 2, v[0:1]
	v_mov_b32_e32 v2, s5
	v_add_co_u32_e32 v0, vcc, s4, v0
	v_addc_co_u32_e32 v1, vcc, v2, v1, vcc
	v_add_co_u32_e32 v0, vcc, 0x3000, v0
	v_addc_co_u32_e32 v1, vcc, 0, v1, vcc
	flat_store_dword v[0:1], v3 offset:1024
	s_endpgm
.LBB2236_171:
	s_endpgm
	.section	.rodata,"a",@progbits
	.p2align	6, 0x0
	.amdhsa_kernel _ZN7rocprim17ROCPRIM_400000_NS6detail17trampoline_kernelINS0_14default_configENS1_27scan_by_key_config_selectorIiiEEZZNS1_16scan_by_key_implILNS1_25lookback_scan_determinismE0ELb1ES3_N6thrust23THRUST_200600_302600_NS10device_ptrIiEESB_SB_iNS9_4plusIvEENS9_8equal_toIvEEiEE10hipError_tPvRmT2_T3_T4_T5_mT6_T7_P12ihipStream_tbENKUlT_T0_E_clISt17integral_constantIbLb0EESW_EEDaSR_SS_EUlSR_E_NS1_11comp_targetILNS1_3genE4ELNS1_11target_archE910ELNS1_3gpuE8ELNS1_3repE0EEENS1_30default_config_static_selectorELNS0_4arch9wavefront6targetE1EEEvT1_
		.amdhsa_group_segment_fixed_size 16384
		.amdhsa_private_segment_fixed_size 0
		.amdhsa_kernarg_size 112
		.amdhsa_user_sgpr_count 6
		.amdhsa_user_sgpr_private_segment_buffer 1
		.amdhsa_user_sgpr_dispatch_ptr 0
		.amdhsa_user_sgpr_queue_ptr 0
		.amdhsa_user_sgpr_kernarg_segment_ptr 1
		.amdhsa_user_sgpr_dispatch_id 0
		.amdhsa_user_sgpr_flat_scratch_init 0
		.amdhsa_user_sgpr_kernarg_preload_length 0
		.amdhsa_user_sgpr_kernarg_preload_offset 0
		.amdhsa_user_sgpr_private_segment_size 0
		.amdhsa_uses_dynamic_stack 0
		.amdhsa_system_sgpr_private_segment_wavefront_offset 0
		.amdhsa_system_sgpr_workgroup_id_x 1
		.amdhsa_system_sgpr_workgroup_id_y 0
		.amdhsa_system_sgpr_workgroup_id_z 0
		.amdhsa_system_sgpr_workgroup_info 0
		.amdhsa_system_vgpr_workitem_id 0
		.amdhsa_next_free_vgpr 65
		.amdhsa_next_free_sgpr 60
		.amdhsa_accum_offset 68
		.amdhsa_reserve_vcc 1
		.amdhsa_reserve_flat_scratch 0
		.amdhsa_float_round_mode_32 0
		.amdhsa_float_round_mode_16_64 0
		.amdhsa_float_denorm_mode_32 3
		.amdhsa_float_denorm_mode_16_64 3
		.amdhsa_dx10_clamp 1
		.amdhsa_ieee_mode 1
		.amdhsa_fp16_overflow 0
		.amdhsa_tg_split 0
		.amdhsa_exception_fp_ieee_invalid_op 0
		.amdhsa_exception_fp_denorm_src 0
		.amdhsa_exception_fp_ieee_div_zero 0
		.amdhsa_exception_fp_ieee_overflow 0
		.amdhsa_exception_fp_ieee_underflow 0
		.amdhsa_exception_fp_ieee_inexact 0
		.amdhsa_exception_int_div_zero 0
	.end_amdhsa_kernel
	.section	.text._ZN7rocprim17ROCPRIM_400000_NS6detail17trampoline_kernelINS0_14default_configENS1_27scan_by_key_config_selectorIiiEEZZNS1_16scan_by_key_implILNS1_25lookback_scan_determinismE0ELb1ES3_N6thrust23THRUST_200600_302600_NS10device_ptrIiEESB_SB_iNS9_4plusIvEENS9_8equal_toIvEEiEE10hipError_tPvRmT2_T3_T4_T5_mT6_T7_P12ihipStream_tbENKUlT_T0_E_clISt17integral_constantIbLb0EESW_EEDaSR_SS_EUlSR_E_NS1_11comp_targetILNS1_3genE4ELNS1_11target_archE910ELNS1_3gpuE8ELNS1_3repE0EEENS1_30default_config_static_selectorELNS0_4arch9wavefront6targetE1EEEvT1_,"axG",@progbits,_ZN7rocprim17ROCPRIM_400000_NS6detail17trampoline_kernelINS0_14default_configENS1_27scan_by_key_config_selectorIiiEEZZNS1_16scan_by_key_implILNS1_25lookback_scan_determinismE0ELb1ES3_N6thrust23THRUST_200600_302600_NS10device_ptrIiEESB_SB_iNS9_4plusIvEENS9_8equal_toIvEEiEE10hipError_tPvRmT2_T3_T4_T5_mT6_T7_P12ihipStream_tbENKUlT_T0_E_clISt17integral_constantIbLb0EESW_EEDaSR_SS_EUlSR_E_NS1_11comp_targetILNS1_3genE4ELNS1_11target_archE910ELNS1_3gpuE8ELNS1_3repE0EEENS1_30default_config_static_selectorELNS0_4arch9wavefront6targetE1EEEvT1_,comdat
.Lfunc_end2236:
	.size	_ZN7rocprim17ROCPRIM_400000_NS6detail17trampoline_kernelINS0_14default_configENS1_27scan_by_key_config_selectorIiiEEZZNS1_16scan_by_key_implILNS1_25lookback_scan_determinismE0ELb1ES3_N6thrust23THRUST_200600_302600_NS10device_ptrIiEESB_SB_iNS9_4plusIvEENS9_8equal_toIvEEiEE10hipError_tPvRmT2_T3_T4_T5_mT6_T7_P12ihipStream_tbENKUlT_T0_E_clISt17integral_constantIbLb0EESW_EEDaSR_SS_EUlSR_E_NS1_11comp_targetILNS1_3genE4ELNS1_11target_archE910ELNS1_3gpuE8ELNS1_3repE0EEENS1_30default_config_static_selectorELNS0_4arch9wavefront6targetE1EEEvT1_, .Lfunc_end2236-_ZN7rocprim17ROCPRIM_400000_NS6detail17trampoline_kernelINS0_14default_configENS1_27scan_by_key_config_selectorIiiEEZZNS1_16scan_by_key_implILNS1_25lookback_scan_determinismE0ELb1ES3_N6thrust23THRUST_200600_302600_NS10device_ptrIiEESB_SB_iNS9_4plusIvEENS9_8equal_toIvEEiEE10hipError_tPvRmT2_T3_T4_T5_mT6_T7_P12ihipStream_tbENKUlT_T0_E_clISt17integral_constantIbLb0EESW_EEDaSR_SS_EUlSR_E_NS1_11comp_targetILNS1_3genE4ELNS1_11target_archE910ELNS1_3gpuE8ELNS1_3repE0EEENS1_30default_config_static_selectorELNS0_4arch9wavefront6targetE1EEEvT1_
                                        ; -- End function
	.section	.AMDGPU.csdata,"",@progbits
; Kernel info:
; codeLenInByte = 11184
; NumSgprs: 64
; NumVgprs: 65
; NumAgprs: 0
; TotalNumVgprs: 65
; ScratchSize: 0
; MemoryBound: 0
; FloatMode: 240
; IeeeMode: 1
; LDSByteSize: 16384 bytes/workgroup (compile time only)
; SGPRBlocks: 7
; VGPRBlocks: 8
; NumSGPRsForWavesPerEU: 64
; NumVGPRsForWavesPerEU: 65
; AccumOffset: 68
; Occupancy: 4
; WaveLimiterHint : 1
; COMPUTE_PGM_RSRC2:SCRATCH_EN: 0
; COMPUTE_PGM_RSRC2:USER_SGPR: 6
; COMPUTE_PGM_RSRC2:TRAP_HANDLER: 0
; COMPUTE_PGM_RSRC2:TGID_X_EN: 1
; COMPUTE_PGM_RSRC2:TGID_Y_EN: 0
; COMPUTE_PGM_RSRC2:TGID_Z_EN: 0
; COMPUTE_PGM_RSRC2:TIDIG_COMP_CNT: 0
; COMPUTE_PGM_RSRC3_GFX90A:ACCUM_OFFSET: 16
; COMPUTE_PGM_RSRC3_GFX90A:TG_SPLIT: 0
	.section	.text._ZN7rocprim17ROCPRIM_400000_NS6detail17trampoline_kernelINS0_14default_configENS1_27scan_by_key_config_selectorIiiEEZZNS1_16scan_by_key_implILNS1_25lookback_scan_determinismE0ELb1ES3_N6thrust23THRUST_200600_302600_NS10device_ptrIiEESB_SB_iNS9_4plusIvEENS9_8equal_toIvEEiEE10hipError_tPvRmT2_T3_T4_T5_mT6_T7_P12ihipStream_tbENKUlT_T0_E_clISt17integral_constantIbLb0EESW_EEDaSR_SS_EUlSR_E_NS1_11comp_targetILNS1_3genE3ELNS1_11target_archE908ELNS1_3gpuE7ELNS1_3repE0EEENS1_30default_config_static_selectorELNS0_4arch9wavefront6targetE1EEEvT1_,"axG",@progbits,_ZN7rocprim17ROCPRIM_400000_NS6detail17trampoline_kernelINS0_14default_configENS1_27scan_by_key_config_selectorIiiEEZZNS1_16scan_by_key_implILNS1_25lookback_scan_determinismE0ELb1ES3_N6thrust23THRUST_200600_302600_NS10device_ptrIiEESB_SB_iNS9_4plusIvEENS9_8equal_toIvEEiEE10hipError_tPvRmT2_T3_T4_T5_mT6_T7_P12ihipStream_tbENKUlT_T0_E_clISt17integral_constantIbLb0EESW_EEDaSR_SS_EUlSR_E_NS1_11comp_targetILNS1_3genE3ELNS1_11target_archE908ELNS1_3gpuE7ELNS1_3repE0EEENS1_30default_config_static_selectorELNS0_4arch9wavefront6targetE1EEEvT1_,comdat
	.protected	_ZN7rocprim17ROCPRIM_400000_NS6detail17trampoline_kernelINS0_14default_configENS1_27scan_by_key_config_selectorIiiEEZZNS1_16scan_by_key_implILNS1_25lookback_scan_determinismE0ELb1ES3_N6thrust23THRUST_200600_302600_NS10device_ptrIiEESB_SB_iNS9_4plusIvEENS9_8equal_toIvEEiEE10hipError_tPvRmT2_T3_T4_T5_mT6_T7_P12ihipStream_tbENKUlT_T0_E_clISt17integral_constantIbLb0EESW_EEDaSR_SS_EUlSR_E_NS1_11comp_targetILNS1_3genE3ELNS1_11target_archE908ELNS1_3gpuE7ELNS1_3repE0EEENS1_30default_config_static_selectorELNS0_4arch9wavefront6targetE1EEEvT1_ ; -- Begin function _ZN7rocprim17ROCPRIM_400000_NS6detail17trampoline_kernelINS0_14default_configENS1_27scan_by_key_config_selectorIiiEEZZNS1_16scan_by_key_implILNS1_25lookback_scan_determinismE0ELb1ES3_N6thrust23THRUST_200600_302600_NS10device_ptrIiEESB_SB_iNS9_4plusIvEENS9_8equal_toIvEEiEE10hipError_tPvRmT2_T3_T4_T5_mT6_T7_P12ihipStream_tbENKUlT_T0_E_clISt17integral_constantIbLb0EESW_EEDaSR_SS_EUlSR_E_NS1_11comp_targetILNS1_3genE3ELNS1_11target_archE908ELNS1_3gpuE7ELNS1_3repE0EEENS1_30default_config_static_selectorELNS0_4arch9wavefront6targetE1EEEvT1_
	.globl	_ZN7rocprim17ROCPRIM_400000_NS6detail17trampoline_kernelINS0_14default_configENS1_27scan_by_key_config_selectorIiiEEZZNS1_16scan_by_key_implILNS1_25lookback_scan_determinismE0ELb1ES3_N6thrust23THRUST_200600_302600_NS10device_ptrIiEESB_SB_iNS9_4plusIvEENS9_8equal_toIvEEiEE10hipError_tPvRmT2_T3_T4_T5_mT6_T7_P12ihipStream_tbENKUlT_T0_E_clISt17integral_constantIbLb0EESW_EEDaSR_SS_EUlSR_E_NS1_11comp_targetILNS1_3genE3ELNS1_11target_archE908ELNS1_3gpuE7ELNS1_3repE0EEENS1_30default_config_static_selectorELNS0_4arch9wavefront6targetE1EEEvT1_
	.p2align	8
	.type	_ZN7rocprim17ROCPRIM_400000_NS6detail17trampoline_kernelINS0_14default_configENS1_27scan_by_key_config_selectorIiiEEZZNS1_16scan_by_key_implILNS1_25lookback_scan_determinismE0ELb1ES3_N6thrust23THRUST_200600_302600_NS10device_ptrIiEESB_SB_iNS9_4plusIvEENS9_8equal_toIvEEiEE10hipError_tPvRmT2_T3_T4_T5_mT6_T7_P12ihipStream_tbENKUlT_T0_E_clISt17integral_constantIbLb0EESW_EEDaSR_SS_EUlSR_E_NS1_11comp_targetILNS1_3genE3ELNS1_11target_archE908ELNS1_3gpuE7ELNS1_3repE0EEENS1_30default_config_static_selectorELNS0_4arch9wavefront6targetE1EEEvT1_,@function
_ZN7rocprim17ROCPRIM_400000_NS6detail17trampoline_kernelINS0_14default_configENS1_27scan_by_key_config_selectorIiiEEZZNS1_16scan_by_key_implILNS1_25lookback_scan_determinismE0ELb1ES3_N6thrust23THRUST_200600_302600_NS10device_ptrIiEESB_SB_iNS9_4plusIvEENS9_8equal_toIvEEiEE10hipError_tPvRmT2_T3_T4_T5_mT6_T7_P12ihipStream_tbENKUlT_T0_E_clISt17integral_constantIbLb0EESW_EEDaSR_SS_EUlSR_E_NS1_11comp_targetILNS1_3genE3ELNS1_11target_archE908ELNS1_3gpuE7ELNS1_3repE0EEENS1_30default_config_static_selectorELNS0_4arch9wavefront6targetE1EEEvT1_: ; @_ZN7rocprim17ROCPRIM_400000_NS6detail17trampoline_kernelINS0_14default_configENS1_27scan_by_key_config_selectorIiiEEZZNS1_16scan_by_key_implILNS1_25lookback_scan_determinismE0ELb1ES3_N6thrust23THRUST_200600_302600_NS10device_ptrIiEESB_SB_iNS9_4plusIvEENS9_8equal_toIvEEiEE10hipError_tPvRmT2_T3_T4_T5_mT6_T7_P12ihipStream_tbENKUlT_T0_E_clISt17integral_constantIbLb0EESW_EEDaSR_SS_EUlSR_E_NS1_11comp_targetILNS1_3genE3ELNS1_11target_archE908ELNS1_3gpuE7ELNS1_3repE0EEENS1_30default_config_static_selectorELNS0_4arch9wavefront6targetE1EEEvT1_
; %bb.0:
	.section	.rodata,"a",@progbits
	.p2align	6, 0x0
	.amdhsa_kernel _ZN7rocprim17ROCPRIM_400000_NS6detail17trampoline_kernelINS0_14default_configENS1_27scan_by_key_config_selectorIiiEEZZNS1_16scan_by_key_implILNS1_25lookback_scan_determinismE0ELb1ES3_N6thrust23THRUST_200600_302600_NS10device_ptrIiEESB_SB_iNS9_4plusIvEENS9_8equal_toIvEEiEE10hipError_tPvRmT2_T3_T4_T5_mT6_T7_P12ihipStream_tbENKUlT_T0_E_clISt17integral_constantIbLb0EESW_EEDaSR_SS_EUlSR_E_NS1_11comp_targetILNS1_3genE3ELNS1_11target_archE908ELNS1_3gpuE7ELNS1_3repE0EEENS1_30default_config_static_selectorELNS0_4arch9wavefront6targetE1EEEvT1_
		.amdhsa_group_segment_fixed_size 0
		.amdhsa_private_segment_fixed_size 0
		.amdhsa_kernarg_size 112
		.amdhsa_user_sgpr_count 6
		.amdhsa_user_sgpr_private_segment_buffer 1
		.amdhsa_user_sgpr_dispatch_ptr 0
		.amdhsa_user_sgpr_queue_ptr 0
		.amdhsa_user_sgpr_kernarg_segment_ptr 1
		.amdhsa_user_sgpr_dispatch_id 0
		.amdhsa_user_sgpr_flat_scratch_init 0
		.amdhsa_user_sgpr_kernarg_preload_length 0
		.amdhsa_user_sgpr_kernarg_preload_offset 0
		.amdhsa_user_sgpr_private_segment_size 0
		.amdhsa_uses_dynamic_stack 0
		.amdhsa_system_sgpr_private_segment_wavefront_offset 0
		.amdhsa_system_sgpr_workgroup_id_x 1
		.amdhsa_system_sgpr_workgroup_id_y 0
		.amdhsa_system_sgpr_workgroup_id_z 0
		.amdhsa_system_sgpr_workgroup_info 0
		.amdhsa_system_vgpr_workitem_id 0
		.amdhsa_next_free_vgpr 1
		.amdhsa_next_free_sgpr 0
		.amdhsa_accum_offset 4
		.amdhsa_reserve_vcc 0
		.amdhsa_reserve_flat_scratch 0
		.amdhsa_float_round_mode_32 0
		.amdhsa_float_round_mode_16_64 0
		.amdhsa_float_denorm_mode_32 3
		.amdhsa_float_denorm_mode_16_64 3
		.amdhsa_dx10_clamp 1
		.amdhsa_ieee_mode 1
		.amdhsa_fp16_overflow 0
		.amdhsa_tg_split 0
		.amdhsa_exception_fp_ieee_invalid_op 0
		.amdhsa_exception_fp_denorm_src 0
		.amdhsa_exception_fp_ieee_div_zero 0
		.amdhsa_exception_fp_ieee_overflow 0
		.amdhsa_exception_fp_ieee_underflow 0
		.amdhsa_exception_fp_ieee_inexact 0
		.amdhsa_exception_int_div_zero 0
	.end_amdhsa_kernel
	.section	.text._ZN7rocprim17ROCPRIM_400000_NS6detail17trampoline_kernelINS0_14default_configENS1_27scan_by_key_config_selectorIiiEEZZNS1_16scan_by_key_implILNS1_25lookback_scan_determinismE0ELb1ES3_N6thrust23THRUST_200600_302600_NS10device_ptrIiEESB_SB_iNS9_4plusIvEENS9_8equal_toIvEEiEE10hipError_tPvRmT2_T3_T4_T5_mT6_T7_P12ihipStream_tbENKUlT_T0_E_clISt17integral_constantIbLb0EESW_EEDaSR_SS_EUlSR_E_NS1_11comp_targetILNS1_3genE3ELNS1_11target_archE908ELNS1_3gpuE7ELNS1_3repE0EEENS1_30default_config_static_selectorELNS0_4arch9wavefront6targetE1EEEvT1_,"axG",@progbits,_ZN7rocprim17ROCPRIM_400000_NS6detail17trampoline_kernelINS0_14default_configENS1_27scan_by_key_config_selectorIiiEEZZNS1_16scan_by_key_implILNS1_25lookback_scan_determinismE0ELb1ES3_N6thrust23THRUST_200600_302600_NS10device_ptrIiEESB_SB_iNS9_4plusIvEENS9_8equal_toIvEEiEE10hipError_tPvRmT2_T3_T4_T5_mT6_T7_P12ihipStream_tbENKUlT_T0_E_clISt17integral_constantIbLb0EESW_EEDaSR_SS_EUlSR_E_NS1_11comp_targetILNS1_3genE3ELNS1_11target_archE908ELNS1_3gpuE7ELNS1_3repE0EEENS1_30default_config_static_selectorELNS0_4arch9wavefront6targetE1EEEvT1_,comdat
.Lfunc_end2237:
	.size	_ZN7rocprim17ROCPRIM_400000_NS6detail17trampoline_kernelINS0_14default_configENS1_27scan_by_key_config_selectorIiiEEZZNS1_16scan_by_key_implILNS1_25lookback_scan_determinismE0ELb1ES3_N6thrust23THRUST_200600_302600_NS10device_ptrIiEESB_SB_iNS9_4plusIvEENS9_8equal_toIvEEiEE10hipError_tPvRmT2_T3_T4_T5_mT6_T7_P12ihipStream_tbENKUlT_T0_E_clISt17integral_constantIbLb0EESW_EEDaSR_SS_EUlSR_E_NS1_11comp_targetILNS1_3genE3ELNS1_11target_archE908ELNS1_3gpuE7ELNS1_3repE0EEENS1_30default_config_static_selectorELNS0_4arch9wavefront6targetE1EEEvT1_, .Lfunc_end2237-_ZN7rocprim17ROCPRIM_400000_NS6detail17trampoline_kernelINS0_14default_configENS1_27scan_by_key_config_selectorIiiEEZZNS1_16scan_by_key_implILNS1_25lookback_scan_determinismE0ELb1ES3_N6thrust23THRUST_200600_302600_NS10device_ptrIiEESB_SB_iNS9_4plusIvEENS9_8equal_toIvEEiEE10hipError_tPvRmT2_T3_T4_T5_mT6_T7_P12ihipStream_tbENKUlT_T0_E_clISt17integral_constantIbLb0EESW_EEDaSR_SS_EUlSR_E_NS1_11comp_targetILNS1_3genE3ELNS1_11target_archE908ELNS1_3gpuE7ELNS1_3repE0EEENS1_30default_config_static_selectorELNS0_4arch9wavefront6targetE1EEEvT1_
                                        ; -- End function
	.section	.AMDGPU.csdata,"",@progbits
; Kernel info:
; codeLenInByte = 0
; NumSgprs: 4
; NumVgprs: 0
; NumAgprs: 0
; TotalNumVgprs: 0
; ScratchSize: 0
; MemoryBound: 0
; FloatMode: 240
; IeeeMode: 1
; LDSByteSize: 0 bytes/workgroup (compile time only)
; SGPRBlocks: 0
; VGPRBlocks: 0
; NumSGPRsForWavesPerEU: 4
; NumVGPRsForWavesPerEU: 1
; AccumOffset: 4
; Occupancy: 8
; WaveLimiterHint : 0
; COMPUTE_PGM_RSRC2:SCRATCH_EN: 0
; COMPUTE_PGM_RSRC2:USER_SGPR: 6
; COMPUTE_PGM_RSRC2:TRAP_HANDLER: 0
; COMPUTE_PGM_RSRC2:TGID_X_EN: 1
; COMPUTE_PGM_RSRC2:TGID_Y_EN: 0
; COMPUTE_PGM_RSRC2:TGID_Z_EN: 0
; COMPUTE_PGM_RSRC2:TIDIG_COMP_CNT: 0
; COMPUTE_PGM_RSRC3_GFX90A:ACCUM_OFFSET: 0
; COMPUTE_PGM_RSRC3_GFX90A:TG_SPLIT: 0
	.section	.text._ZN7rocprim17ROCPRIM_400000_NS6detail17trampoline_kernelINS0_14default_configENS1_27scan_by_key_config_selectorIiiEEZZNS1_16scan_by_key_implILNS1_25lookback_scan_determinismE0ELb1ES3_N6thrust23THRUST_200600_302600_NS10device_ptrIiEESB_SB_iNS9_4plusIvEENS9_8equal_toIvEEiEE10hipError_tPvRmT2_T3_T4_T5_mT6_T7_P12ihipStream_tbENKUlT_T0_E_clISt17integral_constantIbLb0EESW_EEDaSR_SS_EUlSR_E_NS1_11comp_targetILNS1_3genE2ELNS1_11target_archE906ELNS1_3gpuE6ELNS1_3repE0EEENS1_30default_config_static_selectorELNS0_4arch9wavefront6targetE1EEEvT1_,"axG",@progbits,_ZN7rocprim17ROCPRIM_400000_NS6detail17trampoline_kernelINS0_14default_configENS1_27scan_by_key_config_selectorIiiEEZZNS1_16scan_by_key_implILNS1_25lookback_scan_determinismE0ELb1ES3_N6thrust23THRUST_200600_302600_NS10device_ptrIiEESB_SB_iNS9_4plusIvEENS9_8equal_toIvEEiEE10hipError_tPvRmT2_T3_T4_T5_mT6_T7_P12ihipStream_tbENKUlT_T0_E_clISt17integral_constantIbLb0EESW_EEDaSR_SS_EUlSR_E_NS1_11comp_targetILNS1_3genE2ELNS1_11target_archE906ELNS1_3gpuE6ELNS1_3repE0EEENS1_30default_config_static_selectorELNS0_4arch9wavefront6targetE1EEEvT1_,comdat
	.protected	_ZN7rocprim17ROCPRIM_400000_NS6detail17trampoline_kernelINS0_14default_configENS1_27scan_by_key_config_selectorIiiEEZZNS1_16scan_by_key_implILNS1_25lookback_scan_determinismE0ELb1ES3_N6thrust23THRUST_200600_302600_NS10device_ptrIiEESB_SB_iNS9_4plusIvEENS9_8equal_toIvEEiEE10hipError_tPvRmT2_T3_T4_T5_mT6_T7_P12ihipStream_tbENKUlT_T0_E_clISt17integral_constantIbLb0EESW_EEDaSR_SS_EUlSR_E_NS1_11comp_targetILNS1_3genE2ELNS1_11target_archE906ELNS1_3gpuE6ELNS1_3repE0EEENS1_30default_config_static_selectorELNS0_4arch9wavefront6targetE1EEEvT1_ ; -- Begin function _ZN7rocprim17ROCPRIM_400000_NS6detail17trampoline_kernelINS0_14default_configENS1_27scan_by_key_config_selectorIiiEEZZNS1_16scan_by_key_implILNS1_25lookback_scan_determinismE0ELb1ES3_N6thrust23THRUST_200600_302600_NS10device_ptrIiEESB_SB_iNS9_4plusIvEENS9_8equal_toIvEEiEE10hipError_tPvRmT2_T3_T4_T5_mT6_T7_P12ihipStream_tbENKUlT_T0_E_clISt17integral_constantIbLb0EESW_EEDaSR_SS_EUlSR_E_NS1_11comp_targetILNS1_3genE2ELNS1_11target_archE906ELNS1_3gpuE6ELNS1_3repE0EEENS1_30default_config_static_selectorELNS0_4arch9wavefront6targetE1EEEvT1_
	.globl	_ZN7rocprim17ROCPRIM_400000_NS6detail17trampoline_kernelINS0_14default_configENS1_27scan_by_key_config_selectorIiiEEZZNS1_16scan_by_key_implILNS1_25lookback_scan_determinismE0ELb1ES3_N6thrust23THRUST_200600_302600_NS10device_ptrIiEESB_SB_iNS9_4plusIvEENS9_8equal_toIvEEiEE10hipError_tPvRmT2_T3_T4_T5_mT6_T7_P12ihipStream_tbENKUlT_T0_E_clISt17integral_constantIbLb0EESW_EEDaSR_SS_EUlSR_E_NS1_11comp_targetILNS1_3genE2ELNS1_11target_archE906ELNS1_3gpuE6ELNS1_3repE0EEENS1_30default_config_static_selectorELNS0_4arch9wavefront6targetE1EEEvT1_
	.p2align	8
	.type	_ZN7rocprim17ROCPRIM_400000_NS6detail17trampoline_kernelINS0_14default_configENS1_27scan_by_key_config_selectorIiiEEZZNS1_16scan_by_key_implILNS1_25lookback_scan_determinismE0ELb1ES3_N6thrust23THRUST_200600_302600_NS10device_ptrIiEESB_SB_iNS9_4plusIvEENS9_8equal_toIvEEiEE10hipError_tPvRmT2_T3_T4_T5_mT6_T7_P12ihipStream_tbENKUlT_T0_E_clISt17integral_constantIbLb0EESW_EEDaSR_SS_EUlSR_E_NS1_11comp_targetILNS1_3genE2ELNS1_11target_archE906ELNS1_3gpuE6ELNS1_3repE0EEENS1_30default_config_static_selectorELNS0_4arch9wavefront6targetE1EEEvT1_,@function
_ZN7rocprim17ROCPRIM_400000_NS6detail17trampoline_kernelINS0_14default_configENS1_27scan_by_key_config_selectorIiiEEZZNS1_16scan_by_key_implILNS1_25lookback_scan_determinismE0ELb1ES3_N6thrust23THRUST_200600_302600_NS10device_ptrIiEESB_SB_iNS9_4plusIvEENS9_8equal_toIvEEiEE10hipError_tPvRmT2_T3_T4_T5_mT6_T7_P12ihipStream_tbENKUlT_T0_E_clISt17integral_constantIbLb0EESW_EEDaSR_SS_EUlSR_E_NS1_11comp_targetILNS1_3genE2ELNS1_11target_archE906ELNS1_3gpuE6ELNS1_3repE0EEENS1_30default_config_static_selectorELNS0_4arch9wavefront6targetE1EEEvT1_: ; @_ZN7rocprim17ROCPRIM_400000_NS6detail17trampoline_kernelINS0_14default_configENS1_27scan_by_key_config_selectorIiiEEZZNS1_16scan_by_key_implILNS1_25lookback_scan_determinismE0ELb1ES3_N6thrust23THRUST_200600_302600_NS10device_ptrIiEESB_SB_iNS9_4plusIvEENS9_8equal_toIvEEiEE10hipError_tPvRmT2_T3_T4_T5_mT6_T7_P12ihipStream_tbENKUlT_T0_E_clISt17integral_constantIbLb0EESW_EEDaSR_SS_EUlSR_E_NS1_11comp_targetILNS1_3genE2ELNS1_11target_archE906ELNS1_3gpuE6ELNS1_3repE0EEENS1_30default_config_static_selectorELNS0_4arch9wavefront6targetE1EEEvT1_
; %bb.0:
	.section	.rodata,"a",@progbits
	.p2align	6, 0x0
	.amdhsa_kernel _ZN7rocprim17ROCPRIM_400000_NS6detail17trampoline_kernelINS0_14default_configENS1_27scan_by_key_config_selectorIiiEEZZNS1_16scan_by_key_implILNS1_25lookback_scan_determinismE0ELb1ES3_N6thrust23THRUST_200600_302600_NS10device_ptrIiEESB_SB_iNS9_4plusIvEENS9_8equal_toIvEEiEE10hipError_tPvRmT2_T3_T4_T5_mT6_T7_P12ihipStream_tbENKUlT_T0_E_clISt17integral_constantIbLb0EESW_EEDaSR_SS_EUlSR_E_NS1_11comp_targetILNS1_3genE2ELNS1_11target_archE906ELNS1_3gpuE6ELNS1_3repE0EEENS1_30default_config_static_selectorELNS0_4arch9wavefront6targetE1EEEvT1_
		.amdhsa_group_segment_fixed_size 0
		.amdhsa_private_segment_fixed_size 0
		.amdhsa_kernarg_size 112
		.amdhsa_user_sgpr_count 6
		.amdhsa_user_sgpr_private_segment_buffer 1
		.amdhsa_user_sgpr_dispatch_ptr 0
		.amdhsa_user_sgpr_queue_ptr 0
		.amdhsa_user_sgpr_kernarg_segment_ptr 1
		.amdhsa_user_sgpr_dispatch_id 0
		.amdhsa_user_sgpr_flat_scratch_init 0
		.amdhsa_user_sgpr_kernarg_preload_length 0
		.amdhsa_user_sgpr_kernarg_preload_offset 0
		.amdhsa_user_sgpr_private_segment_size 0
		.amdhsa_uses_dynamic_stack 0
		.amdhsa_system_sgpr_private_segment_wavefront_offset 0
		.amdhsa_system_sgpr_workgroup_id_x 1
		.amdhsa_system_sgpr_workgroup_id_y 0
		.amdhsa_system_sgpr_workgroup_id_z 0
		.amdhsa_system_sgpr_workgroup_info 0
		.amdhsa_system_vgpr_workitem_id 0
		.amdhsa_next_free_vgpr 1
		.amdhsa_next_free_sgpr 0
		.amdhsa_accum_offset 4
		.amdhsa_reserve_vcc 0
		.amdhsa_reserve_flat_scratch 0
		.amdhsa_float_round_mode_32 0
		.amdhsa_float_round_mode_16_64 0
		.amdhsa_float_denorm_mode_32 3
		.amdhsa_float_denorm_mode_16_64 3
		.amdhsa_dx10_clamp 1
		.amdhsa_ieee_mode 1
		.amdhsa_fp16_overflow 0
		.amdhsa_tg_split 0
		.amdhsa_exception_fp_ieee_invalid_op 0
		.amdhsa_exception_fp_denorm_src 0
		.amdhsa_exception_fp_ieee_div_zero 0
		.amdhsa_exception_fp_ieee_overflow 0
		.amdhsa_exception_fp_ieee_underflow 0
		.amdhsa_exception_fp_ieee_inexact 0
		.amdhsa_exception_int_div_zero 0
	.end_amdhsa_kernel
	.section	.text._ZN7rocprim17ROCPRIM_400000_NS6detail17trampoline_kernelINS0_14default_configENS1_27scan_by_key_config_selectorIiiEEZZNS1_16scan_by_key_implILNS1_25lookback_scan_determinismE0ELb1ES3_N6thrust23THRUST_200600_302600_NS10device_ptrIiEESB_SB_iNS9_4plusIvEENS9_8equal_toIvEEiEE10hipError_tPvRmT2_T3_T4_T5_mT6_T7_P12ihipStream_tbENKUlT_T0_E_clISt17integral_constantIbLb0EESW_EEDaSR_SS_EUlSR_E_NS1_11comp_targetILNS1_3genE2ELNS1_11target_archE906ELNS1_3gpuE6ELNS1_3repE0EEENS1_30default_config_static_selectorELNS0_4arch9wavefront6targetE1EEEvT1_,"axG",@progbits,_ZN7rocprim17ROCPRIM_400000_NS6detail17trampoline_kernelINS0_14default_configENS1_27scan_by_key_config_selectorIiiEEZZNS1_16scan_by_key_implILNS1_25lookback_scan_determinismE0ELb1ES3_N6thrust23THRUST_200600_302600_NS10device_ptrIiEESB_SB_iNS9_4plusIvEENS9_8equal_toIvEEiEE10hipError_tPvRmT2_T3_T4_T5_mT6_T7_P12ihipStream_tbENKUlT_T0_E_clISt17integral_constantIbLb0EESW_EEDaSR_SS_EUlSR_E_NS1_11comp_targetILNS1_3genE2ELNS1_11target_archE906ELNS1_3gpuE6ELNS1_3repE0EEENS1_30default_config_static_selectorELNS0_4arch9wavefront6targetE1EEEvT1_,comdat
.Lfunc_end2238:
	.size	_ZN7rocprim17ROCPRIM_400000_NS6detail17trampoline_kernelINS0_14default_configENS1_27scan_by_key_config_selectorIiiEEZZNS1_16scan_by_key_implILNS1_25lookback_scan_determinismE0ELb1ES3_N6thrust23THRUST_200600_302600_NS10device_ptrIiEESB_SB_iNS9_4plusIvEENS9_8equal_toIvEEiEE10hipError_tPvRmT2_T3_T4_T5_mT6_T7_P12ihipStream_tbENKUlT_T0_E_clISt17integral_constantIbLb0EESW_EEDaSR_SS_EUlSR_E_NS1_11comp_targetILNS1_3genE2ELNS1_11target_archE906ELNS1_3gpuE6ELNS1_3repE0EEENS1_30default_config_static_selectorELNS0_4arch9wavefront6targetE1EEEvT1_, .Lfunc_end2238-_ZN7rocprim17ROCPRIM_400000_NS6detail17trampoline_kernelINS0_14default_configENS1_27scan_by_key_config_selectorIiiEEZZNS1_16scan_by_key_implILNS1_25lookback_scan_determinismE0ELb1ES3_N6thrust23THRUST_200600_302600_NS10device_ptrIiEESB_SB_iNS9_4plusIvEENS9_8equal_toIvEEiEE10hipError_tPvRmT2_T3_T4_T5_mT6_T7_P12ihipStream_tbENKUlT_T0_E_clISt17integral_constantIbLb0EESW_EEDaSR_SS_EUlSR_E_NS1_11comp_targetILNS1_3genE2ELNS1_11target_archE906ELNS1_3gpuE6ELNS1_3repE0EEENS1_30default_config_static_selectorELNS0_4arch9wavefront6targetE1EEEvT1_
                                        ; -- End function
	.section	.AMDGPU.csdata,"",@progbits
; Kernel info:
; codeLenInByte = 0
; NumSgprs: 4
; NumVgprs: 0
; NumAgprs: 0
; TotalNumVgprs: 0
; ScratchSize: 0
; MemoryBound: 0
; FloatMode: 240
; IeeeMode: 1
; LDSByteSize: 0 bytes/workgroup (compile time only)
; SGPRBlocks: 0
; VGPRBlocks: 0
; NumSGPRsForWavesPerEU: 4
; NumVGPRsForWavesPerEU: 1
; AccumOffset: 4
; Occupancy: 8
; WaveLimiterHint : 0
; COMPUTE_PGM_RSRC2:SCRATCH_EN: 0
; COMPUTE_PGM_RSRC2:USER_SGPR: 6
; COMPUTE_PGM_RSRC2:TRAP_HANDLER: 0
; COMPUTE_PGM_RSRC2:TGID_X_EN: 1
; COMPUTE_PGM_RSRC2:TGID_Y_EN: 0
; COMPUTE_PGM_RSRC2:TGID_Z_EN: 0
; COMPUTE_PGM_RSRC2:TIDIG_COMP_CNT: 0
; COMPUTE_PGM_RSRC3_GFX90A:ACCUM_OFFSET: 0
; COMPUTE_PGM_RSRC3_GFX90A:TG_SPLIT: 0
	.section	.text._ZN7rocprim17ROCPRIM_400000_NS6detail17trampoline_kernelINS0_14default_configENS1_27scan_by_key_config_selectorIiiEEZZNS1_16scan_by_key_implILNS1_25lookback_scan_determinismE0ELb1ES3_N6thrust23THRUST_200600_302600_NS10device_ptrIiEESB_SB_iNS9_4plusIvEENS9_8equal_toIvEEiEE10hipError_tPvRmT2_T3_T4_T5_mT6_T7_P12ihipStream_tbENKUlT_T0_E_clISt17integral_constantIbLb0EESW_EEDaSR_SS_EUlSR_E_NS1_11comp_targetILNS1_3genE10ELNS1_11target_archE1200ELNS1_3gpuE4ELNS1_3repE0EEENS1_30default_config_static_selectorELNS0_4arch9wavefront6targetE1EEEvT1_,"axG",@progbits,_ZN7rocprim17ROCPRIM_400000_NS6detail17trampoline_kernelINS0_14default_configENS1_27scan_by_key_config_selectorIiiEEZZNS1_16scan_by_key_implILNS1_25lookback_scan_determinismE0ELb1ES3_N6thrust23THRUST_200600_302600_NS10device_ptrIiEESB_SB_iNS9_4plusIvEENS9_8equal_toIvEEiEE10hipError_tPvRmT2_T3_T4_T5_mT6_T7_P12ihipStream_tbENKUlT_T0_E_clISt17integral_constantIbLb0EESW_EEDaSR_SS_EUlSR_E_NS1_11comp_targetILNS1_3genE10ELNS1_11target_archE1200ELNS1_3gpuE4ELNS1_3repE0EEENS1_30default_config_static_selectorELNS0_4arch9wavefront6targetE1EEEvT1_,comdat
	.protected	_ZN7rocprim17ROCPRIM_400000_NS6detail17trampoline_kernelINS0_14default_configENS1_27scan_by_key_config_selectorIiiEEZZNS1_16scan_by_key_implILNS1_25lookback_scan_determinismE0ELb1ES3_N6thrust23THRUST_200600_302600_NS10device_ptrIiEESB_SB_iNS9_4plusIvEENS9_8equal_toIvEEiEE10hipError_tPvRmT2_T3_T4_T5_mT6_T7_P12ihipStream_tbENKUlT_T0_E_clISt17integral_constantIbLb0EESW_EEDaSR_SS_EUlSR_E_NS1_11comp_targetILNS1_3genE10ELNS1_11target_archE1200ELNS1_3gpuE4ELNS1_3repE0EEENS1_30default_config_static_selectorELNS0_4arch9wavefront6targetE1EEEvT1_ ; -- Begin function _ZN7rocprim17ROCPRIM_400000_NS6detail17trampoline_kernelINS0_14default_configENS1_27scan_by_key_config_selectorIiiEEZZNS1_16scan_by_key_implILNS1_25lookback_scan_determinismE0ELb1ES3_N6thrust23THRUST_200600_302600_NS10device_ptrIiEESB_SB_iNS9_4plusIvEENS9_8equal_toIvEEiEE10hipError_tPvRmT2_T3_T4_T5_mT6_T7_P12ihipStream_tbENKUlT_T0_E_clISt17integral_constantIbLb0EESW_EEDaSR_SS_EUlSR_E_NS1_11comp_targetILNS1_3genE10ELNS1_11target_archE1200ELNS1_3gpuE4ELNS1_3repE0EEENS1_30default_config_static_selectorELNS0_4arch9wavefront6targetE1EEEvT1_
	.globl	_ZN7rocprim17ROCPRIM_400000_NS6detail17trampoline_kernelINS0_14default_configENS1_27scan_by_key_config_selectorIiiEEZZNS1_16scan_by_key_implILNS1_25lookback_scan_determinismE0ELb1ES3_N6thrust23THRUST_200600_302600_NS10device_ptrIiEESB_SB_iNS9_4plusIvEENS9_8equal_toIvEEiEE10hipError_tPvRmT2_T3_T4_T5_mT6_T7_P12ihipStream_tbENKUlT_T0_E_clISt17integral_constantIbLb0EESW_EEDaSR_SS_EUlSR_E_NS1_11comp_targetILNS1_3genE10ELNS1_11target_archE1200ELNS1_3gpuE4ELNS1_3repE0EEENS1_30default_config_static_selectorELNS0_4arch9wavefront6targetE1EEEvT1_
	.p2align	8
	.type	_ZN7rocprim17ROCPRIM_400000_NS6detail17trampoline_kernelINS0_14default_configENS1_27scan_by_key_config_selectorIiiEEZZNS1_16scan_by_key_implILNS1_25lookback_scan_determinismE0ELb1ES3_N6thrust23THRUST_200600_302600_NS10device_ptrIiEESB_SB_iNS9_4plusIvEENS9_8equal_toIvEEiEE10hipError_tPvRmT2_T3_T4_T5_mT6_T7_P12ihipStream_tbENKUlT_T0_E_clISt17integral_constantIbLb0EESW_EEDaSR_SS_EUlSR_E_NS1_11comp_targetILNS1_3genE10ELNS1_11target_archE1200ELNS1_3gpuE4ELNS1_3repE0EEENS1_30default_config_static_selectorELNS0_4arch9wavefront6targetE1EEEvT1_,@function
_ZN7rocprim17ROCPRIM_400000_NS6detail17trampoline_kernelINS0_14default_configENS1_27scan_by_key_config_selectorIiiEEZZNS1_16scan_by_key_implILNS1_25lookback_scan_determinismE0ELb1ES3_N6thrust23THRUST_200600_302600_NS10device_ptrIiEESB_SB_iNS9_4plusIvEENS9_8equal_toIvEEiEE10hipError_tPvRmT2_T3_T4_T5_mT6_T7_P12ihipStream_tbENKUlT_T0_E_clISt17integral_constantIbLb0EESW_EEDaSR_SS_EUlSR_E_NS1_11comp_targetILNS1_3genE10ELNS1_11target_archE1200ELNS1_3gpuE4ELNS1_3repE0EEENS1_30default_config_static_selectorELNS0_4arch9wavefront6targetE1EEEvT1_: ; @_ZN7rocprim17ROCPRIM_400000_NS6detail17trampoline_kernelINS0_14default_configENS1_27scan_by_key_config_selectorIiiEEZZNS1_16scan_by_key_implILNS1_25lookback_scan_determinismE0ELb1ES3_N6thrust23THRUST_200600_302600_NS10device_ptrIiEESB_SB_iNS9_4plusIvEENS9_8equal_toIvEEiEE10hipError_tPvRmT2_T3_T4_T5_mT6_T7_P12ihipStream_tbENKUlT_T0_E_clISt17integral_constantIbLb0EESW_EEDaSR_SS_EUlSR_E_NS1_11comp_targetILNS1_3genE10ELNS1_11target_archE1200ELNS1_3gpuE4ELNS1_3repE0EEENS1_30default_config_static_selectorELNS0_4arch9wavefront6targetE1EEEvT1_
; %bb.0:
	.section	.rodata,"a",@progbits
	.p2align	6, 0x0
	.amdhsa_kernel _ZN7rocprim17ROCPRIM_400000_NS6detail17trampoline_kernelINS0_14default_configENS1_27scan_by_key_config_selectorIiiEEZZNS1_16scan_by_key_implILNS1_25lookback_scan_determinismE0ELb1ES3_N6thrust23THRUST_200600_302600_NS10device_ptrIiEESB_SB_iNS9_4plusIvEENS9_8equal_toIvEEiEE10hipError_tPvRmT2_T3_T4_T5_mT6_T7_P12ihipStream_tbENKUlT_T0_E_clISt17integral_constantIbLb0EESW_EEDaSR_SS_EUlSR_E_NS1_11comp_targetILNS1_3genE10ELNS1_11target_archE1200ELNS1_3gpuE4ELNS1_3repE0EEENS1_30default_config_static_selectorELNS0_4arch9wavefront6targetE1EEEvT1_
		.amdhsa_group_segment_fixed_size 0
		.amdhsa_private_segment_fixed_size 0
		.amdhsa_kernarg_size 112
		.amdhsa_user_sgpr_count 6
		.amdhsa_user_sgpr_private_segment_buffer 1
		.amdhsa_user_sgpr_dispatch_ptr 0
		.amdhsa_user_sgpr_queue_ptr 0
		.amdhsa_user_sgpr_kernarg_segment_ptr 1
		.amdhsa_user_sgpr_dispatch_id 0
		.amdhsa_user_sgpr_flat_scratch_init 0
		.amdhsa_user_sgpr_kernarg_preload_length 0
		.amdhsa_user_sgpr_kernarg_preload_offset 0
		.amdhsa_user_sgpr_private_segment_size 0
		.amdhsa_uses_dynamic_stack 0
		.amdhsa_system_sgpr_private_segment_wavefront_offset 0
		.amdhsa_system_sgpr_workgroup_id_x 1
		.amdhsa_system_sgpr_workgroup_id_y 0
		.amdhsa_system_sgpr_workgroup_id_z 0
		.amdhsa_system_sgpr_workgroup_info 0
		.amdhsa_system_vgpr_workitem_id 0
		.amdhsa_next_free_vgpr 1
		.amdhsa_next_free_sgpr 0
		.amdhsa_accum_offset 4
		.amdhsa_reserve_vcc 0
		.amdhsa_reserve_flat_scratch 0
		.amdhsa_float_round_mode_32 0
		.amdhsa_float_round_mode_16_64 0
		.amdhsa_float_denorm_mode_32 3
		.amdhsa_float_denorm_mode_16_64 3
		.amdhsa_dx10_clamp 1
		.amdhsa_ieee_mode 1
		.amdhsa_fp16_overflow 0
		.amdhsa_tg_split 0
		.amdhsa_exception_fp_ieee_invalid_op 0
		.amdhsa_exception_fp_denorm_src 0
		.amdhsa_exception_fp_ieee_div_zero 0
		.amdhsa_exception_fp_ieee_overflow 0
		.amdhsa_exception_fp_ieee_underflow 0
		.amdhsa_exception_fp_ieee_inexact 0
		.amdhsa_exception_int_div_zero 0
	.end_amdhsa_kernel
	.section	.text._ZN7rocprim17ROCPRIM_400000_NS6detail17trampoline_kernelINS0_14default_configENS1_27scan_by_key_config_selectorIiiEEZZNS1_16scan_by_key_implILNS1_25lookback_scan_determinismE0ELb1ES3_N6thrust23THRUST_200600_302600_NS10device_ptrIiEESB_SB_iNS9_4plusIvEENS9_8equal_toIvEEiEE10hipError_tPvRmT2_T3_T4_T5_mT6_T7_P12ihipStream_tbENKUlT_T0_E_clISt17integral_constantIbLb0EESW_EEDaSR_SS_EUlSR_E_NS1_11comp_targetILNS1_3genE10ELNS1_11target_archE1200ELNS1_3gpuE4ELNS1_3repE0EEENS1_30default_config_static_selectorELNS0_4arch9wavefront6targetE1EEEvT1_,"axG",@progbits,_ZN7rocprim17ROCPRIM_400000_NS6detail17trampoline_kernelINS0_14default_configENS1_27scan_by_key_config_selectorIiiEEZZNS1_16scan_by_key_implILNS1_25lookback_scan_determinismE0ELb1ES3_N6thrust23THRUST_200600_302600_NS10device_ptrIiEESB_SB_iNS9_4plusIvEENS9_8equal_toIvEEiEE10hipError_tPvRmT2_T3_T4_T5_mT6_T7_P12ihipStream_tbENKUlT_T0_E_clISt17integral_constantIbLb0EESW_EEDaSR_SS_EUlSR_E_NS1_11comp_targetILNS1_3genE10ELNS1_11target_archE1200ELNS1_3gpuE4ELNS1_3repE0EEENS1_30default_config_static_selectorELNS0_4arch9wavefront6targetE1EEEvT1_,comdat
.Lfunc_end2239:
	.size	_ZN7rocprim17ROCPRIM_400000_NS6detail17trampoline_kernelINS0_14default_configENS1_27scan_by_key_config_selectorIiiEEZZNS1_16scan_by_key_implILNS1_25lookback_scan_determinismE0ELb1ES3_N6thrust23THRUST_200600_302600_NS10device_ptrIiEESB_SB_iNS9_4plusIvEENS9_8equal_toIvEEiEE10hipError_tPvRmT2_T3_T4_T5_mT6_T7_P12ihipStream_tbENKUlT_T0_E_clISt17integral_constantIbLb0EESW_EEDaSR_SS_EUlSR_E_NS1_11comp_targetILNS1_3genE10ELNS1_11target_archE1200ELNS1_3gpuE4ELNS1_3repE0EEENS1_30default_config_static_selectorELNS0_4arch9wavefront6targetE1EEEvT1_, .Lfunc_end2239-_ZN7rocprim17ROCPRIM_400000_NS6detail17trampoline_kernelINS0_14default_configENS1_27scan_by_key_config_selectorIiiEEZZNS1_16scan_by_key_implILNS1_25lookback_scan_determinismE0ELb1ES3_N6thrust23THRUST_200600_302600_NS10device_ptrIiEESB_SB_iNS9_4plusIvEENS9_8equal_toIvEEiEE10hipError_tPvRmT2_T3_T4_T5_mT6_T7_P12ihipStream_tbENKUlT_T0_E_clISt17integral_constantIbLb0EESW_EEDaSR_SS_EUlSR_E_NS1_11comp_targetILNS1_3genE10ELNS1_11target_archE1200ELNS1_3gpuE4ELNS1_3repE0EEENS1_30default_config_static_selectorELNS0_4arch9wavefront6targetE1EEEvT1_
                                        ; -- End function
	.section	.AMDGPU.csdata,"",@progbits
; Kernel info:
; codeLenInByte = 0
; NumSgprs: 4
; NumVgprs: 0
; NumAgprs: 0
; TotalNumVgprs: 0
; ScratchSize: 0
; MemoryBound: 0
; FloatMode: 240
; IeeeMode: 1
; LDSByteSize: 0 bytes/workgroup (compile time only)
; SGPRBlocks: 0
; VGPRBlocks: 0
; NumSGPRsForWavesPerEU: 4
; NumVGPRsForWavesPerEU: 1
; AccumOffset: 4
; Occupancy: 8
; WaveLimiterHint : 0
; COMPUTE_PGM_RSRC2:SCRATCH_EN: 0
; COMPUTE_PGM_RSRC2:USER_SGPR: 6
; COMPUTE_PGM_RSRC2:TRAP_HANDLER: 0
; COMPUTE_PGM_RSRC2:TGID_X_EN: 1
; COMPUTE_PGM_RSRC2:TGID_Y_EN: 0
; COMPUTE_PGM_RSRC2:TGID_Z_EN: 0
; COMPUTE_PGM_RSRC2:TIDIG_COMP_CNT: 0
; COMPUTE_PGM_RSRC3_GFX90A:ACCUM_OFFSET: 0
; COMPUTE_PGM_RSRC3_GFX90A:TG_SPLIT: 0
	.section	.text._ZN7rocprim17ROCPRIM_400000_NS6detail17trampoline_kernelINS0_14default_configENS1_27scan_by_key_config_selectorIiiEEZZNS1_16scan_by_key_implILNS1_25lookback_scan_determinismE0ELb1ES3_N6thrust23THRUST_200600_302600_NS10device_ptrIiEESB_SB_iNS9_4plusIvEENS9_8equal_toIvEEiEE10hipError_tPvRmT2_T3_T4_T5_mT6_T7_P12ihipStream_tbENKUlT_T0_E_clISt17integral_constantIbLb0EESW_EEDaSR_SS_EUlSR_E_NS1_11comp_targetILNS1_3genE9ELNS1_11target_archE1100ELNS1_3gpuE3ELNS1_3repE0EEENS1_30default_config_static_selectorELNS0_4arch9wavefront6targetE1EEEvT1_,"axG",@progbits,_ZN7rocprim17ROCPRIM_400000_NS6detail17trampoline_kernelINS0_14default_configENS1_27scan_by_key_config_selectorIiiEEZZNS1_16scan_by_key_implILNS1_25lookback_scan_determinismE0ELb1ES3_N6thrust23THRUST_200600_302600_NS10device_ptrIiEESB_SB_iNS9_4plusIvEENS9_8equal_toIvEEiEE10hipError_tPvRmT2_T3_T4_T5_mT6_T7_P12ihipStream_tbENKUlT_T0_E_clISt17integral_constantIbLb0EESW_EEDaSR_SS_EUlSR_E_NS1_11comp_targetILNS1_3genE9ELNS1_11target_archE1100ELNS1_3gpuE3ELNS1_3repE0EEENS1_30default_config_static_selectorELNS0_4arch9wavefront6targetE1EEEvT1_,comdat
	.protected	_ZN7rocprim17ROCPRIM_400000_NS6detail17trampoline_kernelINS0_14default_configENS1_27scan_by_key_config_selectorIiiEEZZNS1_16scan_by_key_implILNS1_25lookback_scan_determinismE0ELb1ES3_N6thrust23THRUST_200600_302600_NS10device_ptrIiEESB_SB_iNS9_4plusIvEENS9_8equal_toIvEEiEE10hipError_tPvRmT2_T3_T4_T5_mT6_T7_P12ihipStream_tbENKUlT_T0_E_clISt17integral_constantIbLb0EESW_EEDaSR_SS_EUlSR_E_NS1_11comp_targetILNS1_3genE9ELNS1_11target_archE1100ELNS1_3gpuE3ELNS1_3repE0EEENS1_30default_config_static_selectorELNS0_4arch9wavefront6targetE1EEEvT1_ ; -- Begin function _ZN7rocprim17ROCPRIM_400000_NS6detail17trampoline_kernelINS0_14default_configENS1_27scan_by_key_config_selectorIiiEEZZNS1_16scan_by_key_implILNS1_25lookback_scan_determinismE0ELb1ES3_N6thrust23THRUST_200600_302600_NS10device_ptrIiEESB_SB_iNS9_4plusIvEENS9_8equal_toIvEEiEE10hipError_tPvRmT2_T3_T4_T5_mT6_T7_P12ihipStream_tbENKUlT_T0_E_clISt17integral_constantIbLb0EESW_EEDaSR_SS_EUlSR_E_NS1_11comp_targetILNS1_3genE9ELNS1_11target_archE1100ELNS1_3gpuE3ELNS1_3repE0EEENS1_30default_config_static_selectorELNS0_4arch9wavefront6targetE1EEEvT1_
	.globl	_ZN7rocprim17ROCPRIM_400000_NS6detail17trampoline_kernelINS0_14default_configENS1_27scan_by_key_config_selectorIiiEEZZNS1_16scan_by_key_implILNS1_25lookback_scan_determinismE0ELb1ES3_N6thrust23THRUST_200600_302600_NS10device_ptrIiEESB_SB_iNS9_4plusIvEENS9_8equal_toIvEEiEE10hipError_tPvRmT2_T3_T4_T5_mT6_T7_P12ihipStream_tbENKUlT_T0_E_clISt17integral_constantIbLb0EESW_EEDaSR_SS_EUlSR_E_NS1_11comp_targetILNS1_3genE9ELNS1_11target_archE1100ELNS1_3gpuE3ELNS1_3repE0EEENS1_30default_config_static_selectorELNS0_4arch9wavefront6targetE1EEEvT1_
	.p2align	8
	.type	_ZN7rocprim17ROCPRIM_400000_NS6detail17trampoline_kernelINS0_14default_configENS1_27scan_by_key_config_selectorIiiEEZZNS1_16scan_by_key_implILNS1_25lookback_scan_determinismE0ELb1ES3_N6thrust23THRUST_200600_302600_NS10device_ptrIiEESB_SB_iNS9_4plusIvEENS9_8equal_toIvEEiEE10hipError_tPvRmT2_T3_T4_T5_mT6_T7_P12ihipStream_tbENKUlT_T0_E_clISt17integral_constantIbLb0EESW_EEDaSR_SS_EUlSR_E_NS1_11comp_targetILNS1_3genE9ELNS1_11target_archE1100ELNS1_3gpuE3ELNS1_3repE0EEENS1_30default_config_static_selectorELNS0_4arch9wavefront6targetE1EEEvT1_,@function
_ZN7rocprim17ROCPRIM_400000_NS6detail17trampoline_kernelINS0_14default_configENS1_27scan_by_key_config_selectorIiiEEZZNS1_16scan_by_key_implILNS1_25lookback_scan_determinismE0ELb1ES3_N6thrust23THRUST_200600_302600_NS10device_ptrIiEESB_SB_iNS9_4plusIvEENS9_8equal_toIvEEiEE10hipError_tPvRmT2_T3_T4_T5_mT6_T7_P12ihipStream_tbENKUlT_T0_E_clISt17integral_constantIbLb0EESW_EEDaSR_SS_EUlSR_E_NS1_11comp_targetILNS1_3genE9ELNS1_11target_archE1100ELNS1_3gpuE3ELNS1_3repE0EEENS1_30default_config_static_selectorELNS0_4arch9wavefront6targetE1EEEvT1_: ; @_ZN7rocprim17ROCPRIM_400000_NS6detail17trampoline_kernelINS0_14default_configENS1_27scan_by_key_config_selectorIiiEEZZNS1_16scan_by_key_implILNS1_25lookback_scan_determinismE0ELb1ES3_N6thrust23THRUST_200600_302600_NS10device_ptrIiEESB_SB_iNS9_4plusIvEENS9_8equal_toIvEEiEE10hipError_tPvRmT2_T3_T4_T5_mT6_T7_P12ihipStream_tbENKUlT_T0_E_clISt17integral_constantIbLb0EESW_EEDaSR_SS_EUlSR_E_NS1_11comp_targetILNS1_3genE9ELNS1_11target_archE1100ELNS1_3gpuE3ELNS1_3repE0EEENS1_30default_config_static_selectorELNS0_4arch9wavefront6targetE1EEEvT1_
; %bb.0:
	.section	.rodata,"a",@progbits
	.p2align	6, 0x0
	.amdhsa_kernel _ZN7rocprim17ROCPRIM_400000_NS6detail17trampoline_kernelINS0_14default_configENS1_27scan_by_key_config_selectorIiiEEZZNS1_16scan_by_key_implILNS1_25lookback_scan_determinismE0ELb1ES3_N6thrust23THRUST_200600_302600_NS10device_ptrIiEESB_SB_iNS9_4plusIvEENS9_8equal_toIvEEiEE10hipError_tPvRmT2_T3_T4_T5_mT6_T7_P12ihipStream_tbENKUlT_T0_E_clISt17integral_constantIbLb0EESW_EEDaSR_SS_EUlSR_E_NS1_11comp_targetILNS1_3genE9ELNS1_11target_archE1100ELNS1_3gpuE3ELNS1_3repE0EEENS1_30default_config_static_selectorELNS0_4arch9wavefront6targetE1EEEvT1_
		.amdhsa_group_segment_fixed_size 0
		.amdhsa_private_segment_fixed_size 0
		.amdhsa_kernarg_size 112
		.amdhsa_user_sgpr_count 6
		.amdhsa_user_sgpr_private_segment_buffer 1
		.amdhsa_user_sgpr_dispatch_ptr 0
		.amdhsa_user_sgpr_queue_ptr 0
		.amdhsa_user_sgpr_kernarg_segment_ptr 1
		.amdhsa_user_sgpr_dispatch_id 0
		.amdhsa_user_sgpr_flat_scratch_init 0
		.amdhsa_user_sgpr_kernarg_preload_length 0
		.amdhsa_user_sgpr_kernarg_preload_offset 0
		.amdhsa_user_sgpr_private_segment_size 0
		.amdhsa_uses_dynamic_stack 0
		.amdhsa_system_sgpr_private_segment_wavefront_offset 0
		.amdhsa_system_sgpr_workgroup_id_x 1
		.amdhsa_system_sgpr_workgroup_id_y 0
		.amdhsa_system_sgpr_workgroup_id_z 0
		.amdhsa_system_sgpr_workgroup_info 0
		.amdhsa_system_vgpr_workitem_id 0
		.amdhsa_next_free_vgpr 1
		.amdhsa_next_free_sgpr 0
		.amdhsa_accum_offset 4
		.amdhsa_reserve_vcc 0
		.amdhsa_reserve_flat_scratch 0
		.amdhsa_float_round_mode_32 0
		.amdhsa_float_round_mode_16_64 0
		.amdhsa_float_denorm_mode_32 3
		.amdhsa_float_denorm_mode_16_64 3
		.amdhsa_dx10_clamp 1
		.amdhsa_ieee_mode 1
		.amdhsa_fp16_overflow 0
		.amdhsa_tg_split 0
		.amdhsa_exception_fp_ieee_invalid_op 0
		.amdhsa_exception_fp_denorm_src 0
		.amdhsa_exception_fp_ieee_div_zero 0
		.amdhsa_exception_fp_ieee_overflow 0
		.amdhsa_exception_fp_ieee_underflow 0
		.amdhsa_exception_fp_ieee_inexact 0
		.amdhsa_exception_int_div_zero 0
	.end_amdhsa_kernel
	.section	.text._ZN7rocprim17ROCPRIM_400000_NS6detail17trampoline_kernelINS0_14default_configENS1_27scan_by_key_config_selectorIiiEEZZNS1_16scan_by_key_implILNS1_25lookback_scan_determinismE0ELb1ES3_N6thrust23THRUST_200600_302600_NS10device_ptrIiEESB_SB_iNS9_4plusIvEENS9_8equal_toIvEEiEE10hipError_tPvRmT2_T3_T4_T5_mT6_T7_P12ihipStream_tbENKUlT_T0_E_clISt17integral_constantIbLb0EESW_EEDaSR_SS_EUlSR_E_NS1_11comp_targetILNS1_3genE9ELNS1_11target_archE1100ELNS1_3gpuE3ELNS1_3repE0EEENS1_30default_config_static_selectorELNS0_4arch9wavefront6targetE1EEEvT1_,"axG",@progbits,_ZN7rocprim17ROCPRIM_400000_NS6detail17trampoline_kernelINS0_14default_configENS1_27scan_by_key_config_selectorIiiEEZZNS1_16scan_by_key_implILNS1_25lookback_scan_determinismE0ELb1ES3_N6thrust23THRUST_200600_302600_NS10device_ptrIiEESB_SB_iNS9_4plusIvEENS9_8equal_toIvEEiEE10hipError_tPvRmT2_T3_T4_T5_mT6_T7_P12ihipStream_tbENKUlT_T0_E_clISt17integral_constantIbLb0EESW_EEDaSR_SS_EUlSR_E_NS1_11comp_targetILNS1_3genE9ELNS1_11target_archE1100ELNS1_3gpuE3ELNS1_3repE0EEENS1_30default_config_static_selectorELNS0_4arch9wavefront6targetE1EEEvT1_,comdat
.Lfunc_end2240:
	.size	_ZN7rocprim17ROCPRIM_400000_NS6detail17trampoline_kernelINS0_14default_configENS1_27scan_by_key_config_selectorIiiEEZZNS1_16scan_by_key_implILNS1_25lookback_scan_determinismE0ELb1ES3_N6thrust23THRUST_200600_302600_NS10device_ptrIiEESB_SB_iNS9_4plusIvEENS9_8equal_toIvEEiEE10hipError_tPvRmT2_T3_T4_T5_mT6_T7_P12ihipStream_tbENKUlT_T0_E_clISt17integral_constantIbLb0EESW_EEDaSR_SS_EUlSR_E_NS1_11comp_targetILNS1_3genE9ELNS1_11target_archE1100ELNS1_3gpuE3ELNS1_3repE0EEENS1_30default_config_static_selectorELNS0_4arch9wavefront6targetE1EEEvT1_, .Lfunc_end2240-_ZN7rocprim17ROCPRIM_400000_NS6detail17trampoline_kernelINS0_14default_configENS1_27scan_by_key_config_selectorIiiEEZZNS1_16scan_by_key_implILNS1_25lookback_scan_determinismE0ELb1ES3_N6thrust23THRUST_200600_302600_NS10device_ptrIiEESB_SB_iNS9_4plusIvEENS9_8equal_toIvEEiEE10hipError_tPvRmT2_T3_T4_T5_mT6_T7_P12ihipStream_tbENKUlT_T0_E_clISt17integral_constantIbLb0EESW_EEDaSR_SS_EUlSR_E_NS1_11comp_targetILNS1_3genE9ELNS1_11target_archE1100ELNS1_3gpuE3ELNS1_3repE0EEENS1_30default_config_static_selectorELNS0_4arch9wavefront6targetE1EEEvT1_
                                        ; -- End function
	.section	.AMDGPU.csdata,"",@progbits
; Kernel info:
; codeLenInByte = 0
; NumSgprs: 4
; NumVgprs: 0
; NumAgprs: 0
; TotalNumVgprs: 0
; ScratchSize: 0
; MemoryBound: 0
; FloatMode: 240
; IeeeMode: 1
; LDSByteSize: 0 bytes/workgroup (compile time only)
; SGPRBlocks: 0
; VGPRBlocks: 0
; NumSGPRsForWavesPerEU: 4
; NumVGPRsForWavesPerEU: 1
; AccumOffset: 4
; Occupancy: 8
; WaveLimiterHint : 0
; COMPUTE_PGM_RSRC2:SCRATCH_EN: 0
; COMPUTE_PGM_RSRC2:USER_SGPR: 6
; COMPUTE_PGM_RSRC2:TRAP_HANDLER: 0
; COMPUTE_PGM_RSRC2:TGID_X_EN: 1
; COMPUTE_PGM_RSRC2:TGID_Y_EN: 0
; COMPUTE_PGM_RSRC2:TGID_Z_EN: 0
; COMPUTE_PGM_RSRC2:TIDIG_COMP_CNT: 0
; COMPUTE_PGM_RSRC3_GFX90A:ACCUM_OFFSET: 0
; COMPUTE_PGM_RSRC3_GFX90A:TG_SPLIT: 0
	.section	.text._ZN7rocprim17ROCPRIM_400000_NS6detail17trampoline_kernelINS0_14default_configENS1_27scan_by_key_config_selectorIiiEEZZNS1_16scan_by_key_implILNS1_25lookback_scan_determinismE0ELb1ES3_N6thrust23THRUST_200600_302600_NS10device_ptrIiEESB_SB_iNS9_4plusIvEENS9_8equal_toIvEEiEE10hipError_tPvRmT2_T3_T4_T5_mT6_T7_P12ihipStream_tbENKUlT_T0_E_clISt17integral_constantIbLb0EESW_EEDaSR_SS_EUlSR_E_NS1_11comp_targetILNS1_3genE8ELNS1_11target_archE1030ELNS1_3gpuE2ELNS1_3repE0EEENS1_30default_config_static_selectorELNS0_4arch9wavefront6targetE1EEEvT1_,"axG",@progbits,_ZN7rocprim17ROCPRIM_400000_NS6detail17trampoline_kernelINS0_14default_configENS1_27scan_by_key_config_selectorIiiEEZZNS1_16scan_by_key_implILNS1_25lookback_scan_determinismE0ELb1ES3_N6thrust23THRUST_200600_302600_NS10device_ptrIiEESB_SB_iNS9_4plusIvEENS9_8equal_toIvEEiEE10hipError_tPvRmT2_T3_T4_T5_mT6_T7_P12ihipStream_tbENKUlT_T0_E_clISt17integral_constantIbLb0EESW_EEDaSR_SS_EUlSR_E_NS1_11comp_targetILNS1_3genE8ELNS1_11target_archE1030ELNS1_3gpuE2ELNS1_3repE0EEENS1_30default_config_static_selectorELNS0_4arch9wavefront6targetE1EEEvT1_,comdat
	.protected	_ZN7rocprim17ROCPRIM_400000_NS6detail17trampoline_kernelINS0_14default_configENS1_27scan_by_key_config_selectorIiiEEZZNS1_16scan_by_key_implILNS1_25lookback_scan_determinismE0ELb1ES3_N6thrust23THRUST_200600_302600_NS10device_ptrIiEESB_SB_iNS9_4plusIvEENS9_8equal_toIvEEiEE10hipError_tPvRmT2_T3_T4_T5_mT6_T7_P12ihipStream_tbENKUlT_T0_E_clISt17integral_constantIbLb0EESW_EEDaSR_SS_EUlSR_E_NS1_11comp_targetILNS1_3genE8ELNS1_11target_archE1030ELNS1_3gpuE2ELNS1_3repE0EEENS1_30default_config_static_selectorELNS0_4arch9wavefront6targetE1EEEvT1_ ; -- Begin function _ZN7rocprim17ROCPRIM_400000_NS6detail17trampoline_kernelINS0_14default_configENS1_27scan_by_key_config_selectorIiiEEZZNS1_16scan_by_key_implILNS1_25lookback_scan_determinismE0ELb1ES3_N6thrust23THRUST_200600_302600_NS10device_ptrIiEESB_SB_iNS9_4plusIvEENS9_8equal_toIvEEiEE10hipError_tPvRmT2_T3_T4_T5_mT6_T7_P12ihipStream_tbENKUlT_T0_E_clISt17integral_constantIbLb0EESW_EEDaSR_SS_EUlSR_E_NS1_11comp_targetILNS1_3genE8ELNS1_11target_archE1030ELNS1_3gpuE2ELNS1_3repE0EEENS1_30default_config_static_selectorELNS0_4arch9wavefront6targetE1EEEvT1_
	.globl	_ZN7rocprim17ROCPRIM_400000_NS6detail17trampoline_kernelINS0_14default_configENS1_27scan_by_key_config_selectorIiiEEZZNS1_16scan_by_key_implILNS1_25lookback_scan_determinismE0ELb1ES3_N6thrust23THRUST_200600_302600_NS10device_ptrIiEESB_SB_iNS9_4plusIvEENS9_8equal_toIvEEiEE10hipError_tPvRmT2_T3_T4_T5_mT6_T7_P12ihipStream_tbENKUlT_T0_E_clISt17integral_constantIbLb0EESW_EEDaSR_SS_EUlSR_E_NS1_11comp_targetILNS1_3genE8ELNS1_11target_archE1030ELNS1_3gpuE2ELNS1_3repE0EEENS1_30default_config_static_selectorELNS0_4arch9wavefront6targetE1EEEvT1_
	.p2align	8
	.type	_ZN7rocprim17ROCPRIM_400000_NS6detail17trampoline_kernelINS0_14default_configENS1_27scan_by_key_config_selectorIiiEEZZNS1_16scan_by_key_implILNS1_25lookback_scan_determinismE0ELb1ES3_N6thrust23THRUST_200600_302600_NS10device_ptrIiEESB_SB_iNS9_4plusIvEENS9_8equal_toIvEEiEE10hipError_tPvRmT2_T3_T4_T5_mT6_T7_P12ihipStream_tbENKUlT_T0_E_clISt17integral_constantIbLb0EESW_EEDaSR_SS_EUlSR_E_NS1_11comp_targetILNS1_3genE8ELNS1_11target_archE1030ELNS1_3gpuE2ELNS1_3repE0EEENS1_30default_config_static_selectorELNS0_4arch9wavefront6targetE1EEEvT1_,@function
_ZN7rocprim17ROCPRIM_400000_NS6detail17trampoline_kernelINS0_14default_configENS1_27scan_by_key_config_selectorIiiEEZZNS1_16scan_by_key_implILNS1_25lookback_scan_determinismE0ELb1ES3_N6thrust23THRUST_200600_302600_NS10device_ptrIiEESB_SB_iNS9_4plusIvEENS9_8equal_toIvEEiEE10hipError_tPvRmT2_T3_T4_T5_mT6_T7_P12ihipStream_tbENKUlT_T0_E_clISt17integral_constantIbLb0EESW_EEDaSR_SS_EUlSR_E_NS1_11comp_targetILNS1_3genE8ELNS1_11target_archE1030ELNS1_3gpuE2ELNS1_3repE0EEENS1_30default_config_static_selectorELNS0_4arch9wavefront6targetE1EEEvT1_: ; @_ZN7rocprim17ROCPRIM_400000_NS6detail17trampoline_kernelINS0_14default_configENS1_27scan_by_key_config_selectorIiiEEZZNS1_16scan_by_key_implILNS1_25lookback_scan_determinismE0ELb1ES3_N6thrust23THRUST_200600_302600_NS10device_ptrIiEESB_SB_iNS9_4plusIvEENS9_8equal_toIvEEiEE10hipError_tPvRmT2_T3_T4_T5_mT6_T7_P12ihipStream_tbENKUlT_T0_E_clISt17integral_constantIbLb0EESW_EEDaSR_SS_EUlSR_E_NS1_11comp_targetILNS1_3genE8ELNS1_11target_archE1030ELNS1_3gpuE2ELNS1_3repE0EEENS1_30default_config_static_selectorELNS0_4arch9wavefront6targetE1EEEvT1_
; %bb.0:
	.section	.rodata,"a",@progbits
	.p2align	6, 0x0
	.amdhsa_kernel _ZN7rocprim17ROCPRIM_400000_NS6detail17trampoline_kernelINS0_14default_configENS1_27scan_by_key_config_selectorIiiEEZZNS1_16scan_by_key_implILNS1_25lookback_scan_determinismE0ELb1ES3_N6thrust23THRUST_200600_302600_NS10device_ptrIiEESB_SB_iNS9_4plusIvEENS9_8equal_toIvEEiEE10hipError_tPvRmT2_T3_T4_T5_mT6_T7_P12ihipStream_tbENKUlT_T0_E_clISt17integral_constantIbLb0EESW_EEDaSR_SS_EUlSR_E_NS1_11comp_targetILNS1_3genE8ELNS1_11target_archE1030ELNS1_3gpuE2ELNS1_3repE0EEENS1_30default_config_static_selectorELNS0_4arch9wavefront6targetE1EEEvT1_
		.amdhsa_group_segment_fixed_size 0
		.amdhsa_private_segment_fixed_size 0
		.amdhsa_kernarg_size 112
		.amdhsa_user_sgpr_count 6
		.amdhsa_user_sgpr_private_segment_buffer 1
		.amdhsa_user_sgpr_dispatch_ptr 0
		.amdhsa_user_sgpr_queue_ptr 0
		.amdhsa_user_sgpr_kernarg_segment_ptr 1
		.amdhsa_user_sgpr_dispatch_id 0
		.amdhsa_user_sgpr_flat_scratch_init 0
		.amdhsa_user_sgpr_kernarg_preload_length 0
		.amdhsa_user_sgpr_kernarg_preload_offset 0
		.amdhsa_user_sgpr_private_segment_size 0
		.amdhsa_uses_dynamic_stack 0
		.amdhsa_system_sgpr_private_segment_wavefront_offset 0
		.amdhsa_system_sgpr_workgroup_id_x 1
		.amdhsa_system_sgpr_workgroup_id_y 0
		.amdhsa_system_sgpr_workgroup_id_z 0
		.amdhsa_system_sgpr_workgroup_info 0
		.amdhsa_system_vgpr_workitem_id 0
		.amdhsa_next_free_vgpr 1
		.amdhsa_next_free_sgpr 0
		.amdhsa_accum_offset 4
		.amdhsa_reserve_vcc 0
		.amdhsa_reserve_flat_scratch 0
		.amdhsa_float_round_mode_32 0
		.amdhsa_float_round_mode_16_64 0
		.amdhsa_float_denorm_mode_32 3
		.amdhsa_float_denorm_mode_16_64 3
		.amdhsa_dx10_clamp 1
		.amdhsa_ieee_mode 1
		.amdhsa_fp16_overflow 0
		.amdhsa_tg_split 0
		.amdhsa_exception_fp_ieee_invalid_op 0
		.amdhsa_exception_fp_denorm_src 0
		.amdhsa_exception_fp_ieee_div_zero 0
		.amdhsa_exception_fp_ieee_overflow 0
		.amdhsa_exception_fp_ieee_underflow 0
		.amdhsa_exception_fp_ieee_inexact 0
		.amdhsa_exception_int_div_zero 0
	.end_amdhsa_kernel
	.section	.text._ZN7rocprim17ROCPRIM_400000_NS6detail17trampoline_kernelINS0_14default_configENS1_27scan_by_key_config_selectorIiiEEZZNS1_16scan_by_key_implILNS1_25lookback_scan_determinismE0ELb1ES3_N6thrust23THRUST_200600_302600_NS10device_ptrIiEESB_SB_iNS9_4plusIvEENS9_8equal_toIvEEiEE10hipError_tPvRmT2_T3_T4_T5_mT6_T7_P12ihipStream_tbENKUlT_T0_E_clISt17integral_constantIbLb0EESW_EEDaSR_SS_EUlSR_E_NS1_11comp_targetILNS1_3genE8ELNS1_11target_archE1030ELNS1_3gpuE2ELNS1_3repE0EEENS1_30default_config_static_selectorELNS0_4arch9wavefront6targetE1EEEvT1_,"axG",@progbits,_ZN7rocprim17ROCPRIM_400000_NS6detail17trampoline_kernelINS0_14default_configENS1_27scan_by_key_config_selectorIiiEEZZNS1_16scan_by_key_implILNS1_25lookback_scan_determinismE0ELb1ES3_N6thrust23THRUST_200600_302600_NS10device_ptrIiEESB_SB_iNS9_4plusIvEENS9_8equal_toIvEEiEE10hipError_tPvRmT2_T3_T4_T5_mT6_T7_P12ihipStream_tbENKUlT_T0_E_clISt17integral_constantIbLb0EESW_EEDaSR_SS_EUlSR_E_NS1_11comp_targetILNS1_3genE8ELNS1_11target_archE1030ELNS1_3gpuE2ELNS1_3repE0EEENS1_30default_config_static_selectorELNS0_4arch9wavefront6targetE1EEEvT1_,comdat
.Lfunc_end2241:
	.size	_ZN7rocprim17ROCPRIM_400000_NS6detail17trampoline_kernelINS0_14default_configENS1_27scan_by_key_config_selectorIiiEEZZNS1_16scan_by_key_implILNS1_25lookback_scan_determinismE0ELb1ES3_N6thrust23THRUST_200600_302600_NS10device_ptrIiEESB_SB_iNS9_4plusIvEENS9_8equal_toIvEEiEE10hipError_tPvRmT2_T3_T4_T5_mT6_T7_P12ihipStream_tbENKUlT_T0_E_clISt17integral_constantIbLb0EESW_EEDaSR_SS_EUlSR_E_NS1_11comp_targetILNS1_3genE8ELNS1_11target_archE1030ELNS1_3gpuE2ELNS1_3repE0EEENS1_30default_config_static_selectorELNS0_4arch9wavefront6targetE1EEEvT1_, .Lfunc_end2241-_ZN7rocprim17ROCPRIM_400000_NS6detail17trampoline_kernelINS0_14default_configENS1_27scan_by_key_config_selectorIiiEEZZNS1_16scan_by_key_implILNS1_25lookback_scan_determinismE0ELb1ES3_N6thrust23THRUST_200600_302600_NS10device_ptrIiEESB_SB_iNS9_4plusIvEENS9_8equal_toIvEEiEE10hipError_tPvRmT2_T3_T4_T5_mT6_T7_P12ihipStream_tbENKUlT_T0_E_clISt17integral_constantIbLb0EESW_EEDaSR_SS_EUlSR_E_NS1_11comp_targetILNS1_3genE8ELNS1_11target_archE1030ELNS1_3gpuE2ELNS1_3repE0EEENS1_30default_config_static_selectorELNS0_4arch9wavefront6targetE1EEEvT1_
                                        ; -- End function
	.section	.AMDGPU.csdata,"",@progbits
; Kernel info:
; codeLenInByte = 0
; NumSgprs: 4
; NumVgprs: 0
; NumAgprs: 0
; TotalNumVgprs: 0
; ScratchSize: 0
; MemoryBound: 0
; FloatMode: 240
; IeeeMode: 1
; LDSByteSize: 0 bytes/workgroup (compile time only)
; SGPRBlocks: 0
; VGPRBlocks: 0
; NumSGPRsForWavesPerEU: 4
; NumVGPRsForWavesPerEU: 1
; AccumOffset: 4
; Occupancy: 8
; WaveLimiterHint : 0
; COMPUTE_PGM_RSRC2:SCRATCH_EN: 0
; COMPUTE_PGM_RSRC2:USER_SGPR: 6
; COMPUTE_PGM_RSRC2:TRAP_HANDLER: 0
; COMPUTE_PGM_RSRC2:TGID_X_EN: 1
; COMPUTE_PGM_RSRC2:TGID_Y_EN: 0
; COMPUTE_PGM_RSRC2:TGID_Z_EN: 0
; COMPUTE_PGM_RSRC2:TIDIG_COMP_CNT: 0
; COMPUTE_PGM_RSRC3_GFX90A:ACCUM_OFFSET: 0
; COMPUTE_PGM_RSRC3_GFX90A:TG_SPLIT: 0
	.section	.text._ZN7rocprim17ROCPRIM_400000_NS6detail17trampoline_kernelINS0_14default_configENS1_27scan_by_key_config_selectorIiiEEZZNS1_16scan_by_key_implILNS1_25lookback_scan_determinismE0ELb1ES3_N6thrust23THRUST_200600_302600_NS10device_ptrIiEESB_SB_iNS9_4plusIvEENS9_8equal_toIvEEiEE10hipError_tPvRmT2_T3_T4_T5_mT6_T7_P12ihipStream_tbENKUlT_T0_E_clISt17integral_constantIbLb1EESW_EEDaSR_SS_EUlSR_E_NS1_11comp_targetILNS1_3genE0ELNS1_11target_archE4294967295ELNS1_3gpuE0ELNS1_3repE0EEENS1_30default_config_static_selectorELNS0_4arch9wavefront6targetE1EEEvT1_,"axG",@progbits,_ZN7rocprim17ROCPRIM_400000_NS6detail17trampoline_kernelINS0_14default_configENS1_27scan_by_key_config_selectorIiiEEZZNS1_16scan_by_key_implILNS1_25lookback_scan_determinismE0ELb1ES3_N6thrust23THRUST_200600_302600_NS10device_ptrIiEESB_SB_iNS9_4plusIvEENS9_8equal_toIvEEiEE10hipError_tPvRmT2_T3_T4_T5_mT6_T7_P12ihipStream_tbENKUlT_T0_E_clISt17integral_constantIbLb1EESW_EEDaSR_SS_EUlSR_E_NS1_11comp_targetILNS1_3genE0ELNS1_11target_archE4294967295ELNS1_3gpuE0ELNS1_3repE0EEENS1_30default_config_static_selectorELNS0_4arch9wavefront6targetE1EEEvT1_,comdat
	.protected	_ZN7rocprim17ROCPRIM_400000_NS6detail17trampoline_kernelINS0_14default_configENS1_27scan_by_key_config_selectorIiiEEZZNS1_16scan_by_key_implILNS1_25lookback_scan_determinismE0ELb1ES3_N6thrust23THRUST_200600_302600_NS10device_ptrIiEESB_SB_iNS9_4plusIvEENS9_8equal_toIvEEiEE10hipError_tPvRmT2_T3_T4_T5_mT6_T7_P12ihipStream_tbENKUlT_T0_E_clISt17integral_constantIbLb1EESW_EEDaSR_SS_EUlSR_E_NS1_11comp_targetILNS1_3genE0ELNS1_11target_archE4294967295ELNS1_3gpuE0ELNS1_3repE0EEENS1_30default_config_static_selectorELNS0_4arch9wavefront6targetE1EEEvT1_ ; -- Begin function _ZN7rocprim17ROCPRIM_400000_NS6detail17trampoline_kernelINS0_14default_configENS1_27scan_by_key_config_selectorIiiEEZZNS1_16scan_by_key_implILNS1_25lookback_scan_determinismE0ELb1ES3_N6thrust23THRUST_200600_302600_NS10device_ptrIiEESB_SB_iNS9_4plusIvEENS9_8equal_toIvEEiEE10hipError_tPvRmT2_T3_T4_T5_mT6_T7_P12ihipStream_tbENKUlT_T0_E_clISt17integral_constantIbLb1EESW_EEDaSR_SS_EUlSR_E_NS1_11comp_targetILNS1_3genE0ELNS1_11target_archE4294967295ELNS1_3gpuE0ELNS1_3repE0EEENS1_30default_config_static_selectorELNS0_4arch9wavefront6targetE1EEEvT1_
	.globl	_ZN7rocprim17ROCPRIM_400000_NS6detail17trampoline_kernelINS0_14default_configENS1_27scan_by_key_config_selectorIiiEEZZNS1_16scan_by_key_implILNS1_25lookback_scan_determinismE0ELb1ES3_N6thrust23THRUST_200600_302600_NS10device_ptrIiEESB_SB_iNS9_4plusIvEENS9_8equal_toIvEEiEE10hipError_tPvRmT2_T3_T4_T5_mT6_T7_P12ihipStream_tbENKUlT_T0_E_clISt17integral_constantIbLb1EESW_EEDaSR_SS_EUlSR_E_NS1_11comp_targetILNS1_3genE0ELNS1_11target_archE4294967295ELNS1_3gpuE0ELNS1_3repE0EEENS1_30default_config_static_selectorELNS0_4arch9wavefront6targetE1EEEvT1_
	.p2align	8
	.type	_ZN7rocprim17ROCPRIM_400000_NS6detail17trampoline_kernelINS0_14default_configENS1_27scan_by_key_config_selectorIiiEEZZNS1_16scan_by_key_implILNS1_25lookback_scan_determinismE0ELb1ES3_N6thrust23THRUST_200600_302600_NS10device_ptrIiEESB_SB_iNS9_4plusIvEENS9_8equal_toIvEEiEE10hipError_tPvRmT2_T3_T4_T5_mT6_T7_P12ihipStream_tbENKUlT_T0_E_clISt17integral_constantIbLb1EESW_EEDaSR_SS_EUlSR_E_NS1_11comp_targetILNS1_3genE0ELNS1_11target_archE4294967295ELNS1_3gpuE0ELNS1_3repE0EEENS1_30default_config_static_selectorELNS0_4arch9wavefront6targetE1EEEvT1_,@function
_ZN7rocprim17ROCPRIM_400000_NS6detail17trampoline_kernelINS0_14default_configENS1_27scan_by_key_config_selectorIiiEEZZNS1_16scan_by_key_implILNS1_25lookback_scan_determinismE0ELb1ES3_N6thrust23THRUST_200600_302600_NS10device_ptrIiEESB_SB_iNS9_4plusIvEENS9_8equal_toIvEEiEE10hipError_tPvRmT2_T3_T4_T5_mT6_T7_P12ihipStream_tbENKUlT_T0_E_clISt17integral_constantIbLb1EESW_EEDaSR_SS_EUlSR_E_NS1_11comp_targetILNS1_3genE0ELNS1_11target_archE4294967295ELNS1_3gpuE0ELNS1_3repE0EEENS1_30default_config_static_selectorELNS0_4arch9wavefront6targetE1EEEvT1_: ; @_ZN7rocprim17ROCPRIM_400000_NS6detail17trampoline_kernelINS0_14default_configENS1_27scan_by_key_config_selectorIiiEEZZNS1_16scan_by_key_implILNS1_25lookback_scan_determinismE0ELb1ES3_N6thrust23THRUST_200600_302600_NS10device_ptrIiEESB_SB_iNS9_4plusIvEENS9_8equal_toIvEEiEE10hipError_tPvRmT2_T3_T4_T5_mT6_T7_P12ihipStream_tbENKUlT_T0_E_clISt17integral_constantIbLb1EESW_EEDaSR_SS_EUlSR_E_NS1_11comp_targetILNS1_3genE0ELNS1_11target_archE4294967295ELNS1_3gpuE0ELNS1_3repE0EEENS1_30default_config_static_selectorELNS0_4arch9wavefront6targetE1EEEvT1_
; %bb.0:
	.section	.rodata,"a",@progbits
	.p2align	6, 0x0
	.amdhsa_kernel _ZN7rocprim17ROCPRIM_400000_NS6detail17trampoline_kernelINS0_14default_configENS1_27scan_by_key_config_selectorIiiEEZZNS1_16scan_by_key_implILNS1_25lookback_scan_determinismE0ELb1ES3_N6thrust23THRUST_200600_302600_NS10device_ptrIiEESB_SB_iNS9_4plusIvEENS9_8equal_toIvEEiEE10hipError_tPvRmT2_T3_T4_T5_mT6_T7_P12ihipStream_tbENKUlT_T0_E_clISt17integral_constantIbLb1EESW_EEDaSR_SS_EUlSR_E_NS1_11comp_targetILNS1_3genE0ELNS1_11target_archE4294967295ELNS1_3gpuE0ELNS1_3repE0EEENS1_30default_config_static_selectorELNS0_4arch9wavefront6targetE1EEEvT1_
		.amdhsa_group_segment_fixed_size 0
		.amdhsa_private_segment_fixed_size 0
		.amdhsa_kernarg_size 112
		.amdhsa_user_sgpr_count 6
		.amdhsa_user_sgpr_private_segment_buffer 1
		.amdhsa_user_sgpr_dispatch_ptr 0
		.amdhsa_user_sgpr_queue_ptr 0
		.amdhsa_user_sgpr_kernarg_segment_ptr 1
		.amdhsa_user_sgpr_dispatch_id 0
		.amdhsa_user_sgpr_flat_scratch_init 0
		.amdhsa_user_sgpr_kernarg_preload_length 0
		.amdhsa_user_sgpr_kernarg_preload_offset 0
		.amdhsa_user_sgpr_private_segment_size 0
		.amdhsa_uses_dynamic_stack 0
		.amdhsa_system_sgpr_private_segment_wavefront_offset 0
		.amdhsa_system_sgpr_workgroup_id_x 1
		.amdhsa_system_sgpr_workgroup_id_y 0
		.amdhsa_system_sgpr_workgroup_id_z 0
		.amdhsa_system_sgpr_workgroup_info 0
		.amdhsa_system_vgpr_workitem_id 0
		.amdhsa_next_free_vgpr 1
		.amdhsa_next_free_sgpr 0
		.amdhsa_accum_offset 4
		.amdhsa_reserve_vcc 0
		.amdhsa_reserve_flat_scratch 0
		.amdhsa_float_round_mode_32 0
		.amdhsa_float_round_mode_16_64 0
		.amdhsa_float_denorm_mode_32 3
		.amdhsa_float_denorm_mode_16_64 3
		.amdhsa_dx10_clamp 1
		.amdhsa_ieee_mode 1
		.amdhsa_fp16_overflow 0
		.amdhsa_tg_split 0
		.amdhsa_exception_fp_ieee_invalid_op 0
		.amdhsa_exception_fp_denorm_src 0
		.amdhsa_exception_fp_ieee_div_zero 0
		.amdhsa_exception_fp_ieee_overflow 0
		.amdhsa_exception_fp_ieee_underflow 0
		.amdhsa_exception_fp_ieee_inexact 0
		.amdhsa_exception_int_div_zero 0
	.end_amdhsa_kernel
	.section	.text._ZN7rocprim17ROCPRIM_400000_NS6detail17trampoline_kernelINS0_14default_configENS1_27scan_by_key_config_selectorIiiEEZZNS1_16scan_by_key_implILNS1_25lookback_scan_determinismE0ELb1ES3_N6thrust23THRUST_200600_302600_NS10device_ptrIiEESB_SB_iNS9_4plusIvEENS9_8equal_toIvEEiEE10hipError_tPvRmT2_T3_T4_T5_mT6_T7_P12ihipStream_tbENKUlT_T0_E_clISt17integral_constantIbLb1EESW_EEDaSR_SS_EUlSR_E_NS1_11comp_targetILNS1_3genE0ELNS1_11target_archE4294967295ELNS1_3gpuE0ELNS1_3repE0EEENS1_30default_config_static_selectorELNS0_4arch9wavefront6targetE1EEEvT1_,"axG",@progbits,_ZN7rocprim17ROCPRIM_400000_NS6detail17trampoline_kernelINS0_14default_configENS1_27scan_by_key_config_selectorIiiEEZZNS1_16scan_by_key_implILNS1_25lookback_scan_determinismE0ELb1ES3_N6thrust23THRUST_200600_302600_NS10device_ptrIiEESB_SB_iNS9_4plusIvEENS9_8equal_toIvEEiEE10hipError_tPvRmT2_T3_T4_T5_mT6_T7_P12ihipStream_tbENKUlT_T0_E_clISt17integral_constantIbLb1EESW_EEDaSR_SS_EUlSR_E_NS1_11comp_targetILNS1_3genE0ELNS1_11target_archE4294967295ELNS1_3gpuE0ELNS1_3repE0EEENS1_30default_config_static_selectorELNS0_4arch9wavefront6targetE1EEEvT1_,comdat
.Lfunc_end2242:
	.size	_ZN7rocprim17ROCPRIM_400000_NS6detail17trampoline_kernelINS0_14default_configENS1_27scan_by_key_config_selectorIiiEEZZNS1_16scan_by_key_implILNS1_25lookback_scan_determinismE0ELb1ES3_N6thrust23THRUST_200600_302600_NS10device_ptrIiEESB_SB_iNS9_4plusIvEENS9_8equal_toIvEEiEE10hipError_tPvRmT2_T3_T4_T5_mT6_T7_P12ihipStream_tbENKUlT_T0_E_clISt17integral_constantIbLb1EESW_EEDaSR_SS_EUlSR_E_NS1_11comp_targetILNS1_3genE0ELNS1_11target_archE4294967295ELNS1_3gpuE0ELNS1_3repE0EEENS1_30default_config_static_selectorELNS0_4arch9wavefront6targetE1EEEvT1_, .Lfunc_end2242-_ZN7rocprim17ROCPRIM_400000_NS6detail17trampoline_kernelINS0_14default_configENS1_27scan_by_key_config_selectorIiiEEZZNS1_16scan_by_key_implILNS1_25lookback_scan_determinismE0ELb1ES3_N6thrust23THRUST_200600_302600_NS10device_ptrIiEESB_SB_iNS9_4plusIvEENS9_8equal_toIvEEiEE10hipError_tPvRmT2_T3_T4_T5_mT6_T7_P12ihipStream_tbENKUlT_T0_E_clISt17integral_constantIbLb1EESW_EEDaSR_SS_EUlSR_E_NS1_11comp_targetILNS1_3genE0ELNS1_11target_archE4294967295ELNS1_3gpuE0ELNS1_3repE0EEENS1_30default_config_static_selectorELNS0_4arch9wavefront6targetE1EEEvT1_
                                        ; -- End function
	.section	.AMDGPU.csdata,"",@progbits
; Kernel info:
; codeLenInByte = 0
; NumSgprs: 4
; NumVgprs: 0
; NumAgprs: 0
; TotalNumVgprs: 0
; ScratchSize: 0
; MemoryBound: 0
; FloatMode: 240
; IeeeMode: 1
; LDSByteSize: 0 bytes/workgroup (compile time only)
; SGPRBlocks: 0
; VGPRBlocks: 0
; NumSGPRsForWavesPerEU: 4
; NumVGPRsForWavesPerEU: 1
; AccumOffset: 4
; Occupancy: 8
; WaveLimiterHint : 0
; COMPUTE_PGM_RSRC2:SCRATCH_EN: 0
; COMPUTE_PGM_RSRC2:USER_SGPR: 6
; COMPUTE_PGM_RSRC2:TRAP_HANDLER: 0
; COMPUTE_PGM_RSRC2:TGID_X_EN: 1
; COMPUTE_PGM_RSRC2:TGID_Y_EN: 0
; COMPUTE_PGM_RSRC2:TGID_Z_EN: 0
; COMPUTE_PGM_RSRC2:TIDIG_COMP_CNT: 0
; COMPUTE_PGM_RSRC3_GFX90A:ACCUM_OFFSET: 0
; COMPUTE_PGM_RSRC3_GFX90A:TG_SPLIT: 0
	.section	.text._ZN7rocprim17ROCPRIM_400000_NS6detail17trampoline_kernelINS0_14default_configENS1_27scan_by_key_config_selectorIiiEEZZNS1_16scan_by_key_implILNS1_25lookback_scan_determinismE0ELb1ES3_N6thrust23THRUST_200600_302600_NS10device_ptrIiEESB_SB_iNS9_4plusIvEENS9_8equal_toIvEEiEE10hipError_tPvRmT2_T3_T4_T5_mT6_T7_P12ihipStream_tbENKUlT_T0_E_clISt17integral_constantIbLb1EESW_EEDaSR_SS_EUlSR_E_NS1_11comp_targetILNS1_3genE10ELNS1_11target_archE1201ELNS1_3gpuE5ELNS1_3repE0EEENS1_30default_config_static_selectorELNS0_4arch9wavefront6targetE1EEEvT1_,"axG",@progbits,_ZN7rocprim17ROCPRIM_400000_NS6detail17trampoline_kernelINS0_14default_configENS1_27scan_by_key_config_selectorIiiEEZZNS1_16scan_by_key_implILNS1_25lookback_scan_determinismE0ELb1ES3_N6thrust23THRUST_200600_302600_NS10device_ptrIiEESB_SB_iNS9_4plusIvEENS9_8equal_toIvEEiEE10hipError_tPvRmT2_T3_T4_T5_mT6_T7_P12ihipStream_tbENKUlT_T0_E_clISt17integral_constantIbLb1EESW_EEDaSR_SS_EUlSR_E_NS1_11comp_targetILNS1_3genE10ELNS1_11target_archE1201ELNS1_3gpuE5ELNS1_3repE0EEENS1_30default_config_static_selectorELNS0_4arch9wavefront6targetE1EEEvT1_,comdat
	.protected	_ZN7rocprim17ROCPRIM_400000_NS6detail17trampoline_kernelINS0_14default_configENS1_27scan_by_key_config_selectorIiiEEZZNS1_16scan_by_key_implILNS1_25lookback_scan_determinismE0ELb1ES3_N6thrust23THRUST_200600_302600_NS10device_ptrIiEESB_SB_iNS9_4plusIvEENS9_8equal_toIvEEiEE10hipError_tPvRmT2_T3_T4_T5_mT6_T7_P12ihipStream_tbENKUlT_T0_E_clISt17integral_constantIbLb1EESW_EEDaSR_SS_EUlSR_E_NS1_11comp_targetILNS1_3genE10ELNS1_11target_archE1201ELNS1_3gpuE5ELNS1_3repE0EEENS1_30default_config_static_selectorELNS0_4arch9wavefront6targetE1EEEvT1_ ; -- Begin function _ZN7rocprim17ROCPRIM_400000_NS6detail17trampoline_kernelINS0_14default_configENS1_27scan_by_key_config_selectorIiiEEZZNS1_16scan_by_key_implILNS1_25lookback_scan_determinismE0ELb1ES3_N6thrust23THRUST_200600_302600_NS10device_ptrIiEESB_SB_iNS9_4plusIvEENS9_8equal_toIvEEiEE10hipError_tPvRmT2_T3_T4_T5_mT6_T7_P12ihipStream_tbENKUlT_T0_E_clISt17integral_constantIbLb1EESW_EEDaSR_SS_EUlSR_E_NS1_11comp_targetILNS1_3genE10ELNS1_11target_archE1201ELNS1_3gpuE5ELNS1_3repE0EEENS1_30default_config_static_selectorELNS0_4arch9wavefront6targetE1EEEvT1_
	.globl	_ZN7rocprim17ROCPRIM_400000_NS6detail17trampoline_kernelINS0_14default_configENS1_27scan_by_key_config_selectorIiiEEZZNS1_16scan_by_key_implILNS1_25lookback_scan_determinismE0ELb1ES3_N6thrust23THRUST_200600_302600_NS10device_ptrIiEESB_SB_iNS9_4plusIvEENS9_8equal_toIvEEiEE10hipError_tPvRmT2_T3_T4_T5_mT6_T7_P12ihipStream_tbENKUlT_T0_E_clISt17integral_constantIbLb1EESW_EEDaSR_SS_EUlSR_E_NS1_11comp_targetILNS1_3genE10ELNS1_11target_archE1201ELNS1_3gpuE5ELNS1_3repE0EEENS1_30default_config_static_selectorELNS0_4arch9wavefront6targetE1EEEvT1_
	.p2align	8
	.type	_ZN7rocprim17ROCPRIM_400000_NS6detail17trampoline_kernelINS0_14default_configENS1_27scan_by_key_config_selectorIiiEEZZNS1_16scan_by_key_implILNS1_25lookback_scan_determinismE0ELb1ES3_N6thrust23THRUST_200600_302600_NS10device_ptrIiEESB_SB_iNS9_4plusIvEENS9_8equal_toIvEEiEE10hipError_tPvRmT2_T3_T4_T5_mT6_T7_P12ihipStream_tbENKUlT_T0_E_clISt17integral_constantIbLb1EESW_EEDaSR_SS_EUlSR_E_NS1_11comp_targetILNS1_3genE10ELNS1_11target_archE1201ELNS1_3gpuE5ELNS1_3repE0EEENS1_30default_config_static_selectorELNS0_4arch9wavefront6targetE1EEEvT1_,@function
_ZN7rocprim17ROCPRIM_400000_NS6detail17trampoline_kernelINS0_14default_configENS1_27scan_by_key_config_selectorIiiEEZZNS1_16scan_by_key_implILNS1_25lookback_scan_determinismE0ELb1ES3_N6thrust23THRUST_200600_302600_NS10device_ptrIiEESB_SB_iNS9_4plusIvEENS9_8equal_toIvEEiEE10hipError_tPvRmT2_T3_T4_T5_mT6_T7_P12ihipStream_tbENKUlT_T0_E_clISt17integral_constantIbLb1EESW_EEDaSR_SS_EUlSR_E_NS1_11comp_targetILNS1_3genE10ELNS1_11target_archE1201ELNS1_3gpuE5ELNS1_3repE0EEENS1_30default_config_static_selectorELNS0_4arch9wavefront6targetE1EEEvT1_: ; @_ZN7rocprim17ROCPRIM_400000_NS6detail17trampoline_kernelINS0_14default_configENS1_27scan_by_key_config_selectorIiiEEZZNS1_16scan_by_key_implILNS1_25lookback_scan_determinismE0ELb1ES3_N6thrust23THRUST_200600_302600_NS10device_ptrIiEESB_SB_iNS9_4plusIvEENS9_8equal_toIvEEiEE10hipError_tPvRmT2_T3_T4_T5_mT6_T7_P12ihipStream_tbENKUlT_T0_E_clISt17integral_constantIbLb1EESW_EEDaSR_SS_EUlSR_E_NS1_11comp_targetILNS1_3genE10ELNS1_11target_archE1201ELNS1_3gpuE5ELNS1_3repE0EEENS1_30default_config_static_selectorELNS0_4arch9wavefront6targetE1EEEvT1_
; %bb.0:
	.section	.rodata,"a",@progbits
	.p2align	6, 0x0
	.amdhsa_kernel _ZN7rocprim17ROCPRIM_400000_NS6detail17trampoline_kernelINS0_14default_configENS1_27scan_by_key_config_selectorIiiEEZZNS1_16scan_by_key_implILNS1_25lookback_scan_determinismE0ELb1ES3_N6thrust23THRUST_200600_302600_NS10device_ptrIiEESB_SB_iNS9_4plusIvEENS9_8equal_toIvEEiEE10hipError_tPvRmT2_T3_T4_T5_mT6_T7_P12ihipStream_tbENKUlT_T0_E_clISt17integral_constantIbLb1EESW_EEDaSR_SS_EUlSR_E_NS1_11comp_targetILNS1_3genE10ELNS1_11target_archE1201ELNS1_3gpuE5ELNS1_3repE0EEENS1_30default_config_static_selectorELNS0_4arch9wavefront6targetE1EEEvT1_
		.amdhsa_group_segment_fixed_size 0
		.amdhsa_private_segment_fixed_size 0
		.amdhsa_kernarg_size 112
		.amdhsa_user_sgpr_count 6
		.amdhsa_user_sgpr_private_segment_buffer 1
		.amdhsa_user_sgpr_dispatch_ptr 0
		.amdhsa_user_sgpr_queue_ptr 0
		.amdhsa_user_sgpr_kernarg_segment_ptr 1
		.amdhsa_user_sgpr_dispatch_id 0
		.amdhsa_user_sgpr_flat_scratch_init 0
		.amdhsa_user_sgpr_kernarg_preload_length 0
		.amdhsa_user_sgpr_kernarg_preload_offset 0
		.amdhsa_user_sgpr_private_segment_size 0
		.amdhsa_uses_dynamic_stack 0
		.amdhsa_system_sgpr_private_segment_wavefront_offset 0
		.amdhsa_system_sgpr_workgroup_id_x 1
		.amdhsa_system_sgpr_workgroup_id_y 0
		.amdhsa_system_sgpr_workgroup_id_z 0
		.amdhsa_system_sgpr_workgroup_info 0
		.amdhsa_system_vgpr_workitem_id 0
		.amdhsa_next_free_vgpr 1
		.amdhsa_next_free_sgpr 0
		.amdhsa_accum_offset 4
		.amdhsa_reserve_vcc 0
		.amdhsa_reserve_flat_scratch 0
		.amdhsa_float_round_mode_32 0
		.amdhsa_float_round_mode_16_64 0
		.amdhsa_float_denorm_mode_32 3
		.amdhsa_float_denorm_mode_16_64 3
		.amdhsa_dx10_clamp 1
		.amdhsa_ieee_mode 1
		.amdhsa_fp16_overflow 0
		.amdhsa_tg_split 0
		.amdhsa_exception_fp_ieee_invalid_op 0
		.amdhsa_exception_fp_denorm_src 0
		.amdhsa_exception_fp_ieee_div_zero 0
		.amdhsa_exception_fp_ieee_overflow 0
		.amdhsa_exception_fp_ieee_underflow 0
		.amdhsa_exception_fp_ieee_inexact 0
		.amdhsa_exception_int_div_zero 0
	.end_amdhsa_kernel
	.section	.text._ZN7rocprim17ROCPRIM_400000_NS6detail17trampoline_kernelINS0_14default_configENS1_27scan_by_key_config_selectorIiiEEZZNS1_16scan_by_key_implILNS1_25lookback_scan_determinismE0ELb1ES3_N6thrust23THRUST_200600_302600_NS10device_ptrIiEESB_SB_iNS9_4plusIvEENS9_8equal_toIvEEiEE10hipError_tPvRmT2_T3_T4_T5_mT6_T7_P12ihipStream_tbENKUlT_T0_E_clISt17integral_constantIbLb1EESW_EEDaSR_SS_EUlSR_E_NS1_11comp_targetILNS1_3genE10ELNS1_11target_archE1201ELNS1_3gpuE5ELNS1_3repE0EEENS1_30default_config_static_selectorELNS0_4arch9wavefront6targetE1EEEvT1_,"axG",@progbits,_ZN7rocprim17ROCPRIM_400000_NS6detail17trampoline_kernelINS0_14default_configENS1_27scan_by_key_config_selectorIiiEEZZNS1_16scan_by_key_implILNS1_25lookback_scan_determinismE0ELb1ES3_N6thrust23THRUST_200600_302600_NS10device_ptrIiEESB_SB_iNS9_4plusIvEENS9_8equal_toIvEEiEE10hipError_tPvRmT2_T3_T4_T5_mT6_T7_P12ihipStream_tbENKUlT_T0_E_clISt17integral_constantIbLb1EESW_EEDaSR_SS_EUlSR_E_NS1_11comp_targetILNS1_3genE10ELNS1_11target_archE1201ELNS1_3gpuE5ELNS1_3repE0EEENS1_30default_config_static_selectorELNS0_4arch9wavefront6targetE1EEEvT1_,comdat
.Lfunc_end2243:
	.size	_ZN7rocprim17ROCPRIM_400000_NS6detail17trampoline_kernelINS0_14default_configENS1_27scan_by_key_config_selectorIiiEEZZNS1_16scan_by_key_implILNS1_25lookback_scan_determinismE0ELb1ES3_N6thrust23THRUST_200600_302600_NS10device_ptrIiEESB_SB_iNS9_4plusIvEENS9_8equal_toIvEEiEE10hipError_tPvRmT2_T3_T4_T5_mT6_T7_P12ihipStream_tbENKUlT_T0_E_clISt17integral_constantIbLb1EESW_EEDaSR_SS_EUlSR_E_NS1_11comp_targetILNS1_3genE10ELNS1_11target_archE1201ELNS1_3gpuE5ELNS1_3repE0EEENS1_30default_config_static_selectorELNS0_4arch9wavefront6targetE1EEEvT1_, .Lfunc_end2243-_ZN7rocprim17ROCPRIM_400000_NS6detail17trampoline_kernelINS0_14default_configENS1_27scan_by_key_config_selectorIiiEEZZNS1_16scan_by_key_implILNS1_25lookback_scan_determinismE0ELb1ES3_N6thrust23THRUST_200600_302600_NS10device_ptrIiEESB_SB_iNS9_4plusIvEENS9_8equal_toIvEEiEE10hipError_tPvRmT2_T3_T4_T5_mT6_T7_P12ihipStream_tbENKUlT_T0_E_clISt17integral_constantIbLb1EESW_EEDaSR_SS_EUlSR_E_NS1_11comp_targetILNS1_3genE10ELNS1_11target_archE1201ELNS1_3gpuE5ELNS1_3repE0EEENS1_30default_config_static_selectorELNS0_4arch9wavefront6targetE1EEEvT1_
                                        ; -- End function
	.section	.AMDGPU.csdata,"",@progbits
; Kernel info:
; codeLenInByte = 0
; NumSgprs: 4
; NumVgprs: 0
; NumAgprs: 0
; TotalNumVgprs: 0
; ScratchSize: 0
; MemoryBound: 0
; FloatMode: 240
; IeeeMode: 1
; LDSByteSize: 0 bytes/workgroup (compile time only)
; SGPRBlocks: 0
; VGPRBlocks: 0
; NumSGPRsForWavesPerEU: 4
; NumVGPRsForWavesPerEU: 1
; AccumOffset: 4
; Occupancy: 8
; WaveLimiterHint : 0
; COMPUTE_PGM_RSRC2:SCRATCH_EN: 0
; COMPUTE_PGM_RSRC2:USER_SGPR: 6
; COMPUTE_PGM_RSRC2:TRAP_HANDLER: 0
; COMPUTE_PGM_RSRC2:TGID_X_EN: 1
; COMPUTE_PGM_RSRC2:TGID_Y_EN: 0
; COMPUTE_PGM_RSRC2:TGID_Z_EN: 0
; COMPUTE_PGM_RSRC2:TIDIG_COMP_CNT: 0
; COMPUTE_PGM_RSRC3_GFX90A:ACCUM_OFFSET: 0
; COMPUTE_PGM_RSRC3_GFX90A:TG_SPLIT: 0
	.section	.text._ZN7rocprim17ROCPRIM_400000_NS6detail17trampoline_kernelINS0_14default_configENS1_27scan_by_key_config_selectorIiiEEZZNS1_16scan_by_key_implILNS1_25lookback_scan_determinismE0ELb1ES3_N6thrust23THRUST_200600_302600_NS10device_ptrIiEESB_SB_iNS9_4plusIvEENS9_8equal_toIvEEiEE10hipError_tPvRmT2_T3_T4_T5_mT6_T7_P12ihipStream_tbENKUlT_T0_E_clISt17integral_constantIbLb1EESW_EEDaSR_SS_EUlSR_E_NS1_11comp_targetILNS1_3genE5ELNS1_11target_archE942ELNS1_3gpuE9ELNS1_3repE0EEENS1_30default_config_static_selectorELNS0_4arch9wavefront6targetE1EEEvT1_,"axG",@progbits,_ZN7rocprim17ROCPRIM_400000_NS6detail17trampoline_kernelINS0_14default_configENS1_27scan_by_key_config_selectorIiiEEZZNS1_16scan_by_key_implILNS1_25lookback_scan_determinismE0ELb1ES3_N6thrust23THRUST_200600_302600_NS10device_ptrIiEESB_SB_iNS9_4plusIvEENS9_8equal_toIvEEiEE10hipError_tPvRmT2_T3_T4_T5_mT6_T7_P12ihipStream_tbENKUlT_T0_E_clISt17integral_constantIbLb1EESW_EEDaSR_SS_EUlSR_E_NS1_11comp_targetILNS1_3genE5ELNS1_11target_archE942ELNS1_3gpuE9ELNS1_3repE0EEENS1_30default_config_static_selectorELNS0_4arch9wavefront6targetE1EEEvT1_,comdat
	.protected	_ZN7rocprim17ROCPRIM_400000_NS6detail17trampoline_kernelINS0_14default_configENS1_27scan_by_key_config_selectorIiiEEZZNS1_16scan_by_key_implILNS1_25lookback_scan_determinismE0ELb1ES3_N6thrust23THRUST_200600_302600_NS10device_ptrIiEESB_SB_iNS9_4plusIvEENS9_8equal_toIvEEiEE10hipError_tPvRmT2_T3_T4_T5_mT6_T7_P12ihipStream_tbENKUlT_T0_E_clISt17integral_constantIbLb1EESW_EEDaSR_SS_EUlSR_E_NS1_11comp_targetILNS1_3genE5ELNS1_11target_archE942ELNS1_3gpuE9ELNS1_3repE0EEENS1_30default_config_static_selectorELNS0_4arch9wavefront6targetE1EEEvT1_ ; -- Begin function _ZN7rocprim17ROCPRIM_400000_NS6detail17trampoline_kernelINS0_14default_configENS1_27scan_by_key_config_selectorIiiEEZZNS1_16scan_by_key_implILNS1_25lookback_scan_determinismE0ELb1ES3_N6thrust23THRUST_200600_302600_NS10device_ptrIiEESB_SB_iNS9_4plusIvEENS9_8equal_toIvEEiEE10hipError_tPvRmT2_T3_T4_T5_mT6_T7_P12ihipStream_tbENKUlT_T0_E_clISt17integral_constantIbLb1EESW_EEDaSR_SS_EUlSR_E_NS1_11comp_targetILNS1_3genE5ELNS1_11target_archE942ELNS1_3gpuE9ELNS1_3repE0EEENS1_30default_config_static_selectorELNS0_4arch9wavefront6targetE1EEEvT1_
	.globl	_ZN7rocprim17ROCPRIM_400000_NS6detail17trampoline_kernelINS0_14default_configENS1_27scan_by_key_config_selectorIiiEEZZNS1_16scan_by_key_implILNS1_25lookback_scan_determinismE0ELb1ES3_N6thrust23THRUST_200600_302600_NS10device_ptrIiEESB_SB_iNS9_4plusIvEENS9_8equal_toIvEEiEE10hipError_tPvRmT2_T3_T4_T5_mT6_T7_P12ihipStream_tbENKUlT_T0_E_clISt17integral_constantIbLb1EESW_EEDaSR_SS_EUlSR_E_NS1_11comp_targetILNS1_3genE5ELNS1_11target_archE942ELNS1_3gpuE9ELNS1_3repE0EEENS1_30default_config_static_selectorELNS0_4arch9wavefront6targetE1EEEvT1_
	.p2align	8
	.type	_ZN7rocprim17ROCPRIM_400000_NS6detail17trampoline_kernelINS0_14default_configENS1_27scan_by_key_config_selectorIiiEEZZNS1_16scan_by_key_implILNS1_25lookback_scan_determinismE0ELb1ES3_N6thrust23THRUST_200600_302600_NS10device_ptrIiEESB_SB_iNS9_4plusIvEENS9_8equal_toIvEEiEE10hipError_tPvRmT2_T3_T4_T5_mT6_T7_P12ihipStream_tbENKUlT_T0_E_clISt17integral_constantIbLb1EESW_EEDaSR_SS_EUlSR_E_NS1_11comp_targetILNS1_3genE5ELNS1_11target_archE942ELNS1_3gpuE9ELNS1_3repE0EEENS1_30default_config_static_selectorELNS0_4arch9wavefront6targetE1EEEvT1_,@function
_ZN7rocprim17ROCPRIM_400000_NS6detail17trampoline_kernelINS0_14default_configENS1_27scan_by_key_config_selectorIiiEEZZNS1_16scan_by_key_implILNS1_25lookback_scan_determinismE0ELb1ES3_N6thrust23THRUST_200600_302600_NS10device_ptrIiEESB_SB_iNS9_4plusIvEENS9_8equal_toIvEEiEE10hipError_tPvRmT2_T3_T4_T5_mT6_T7_P12ihipStream_tbENKUlT_T0_E_clISt17integral_constantIbLb1EESW_EEDaSR_SS_EUlSR_E_NS1_11comp_targetILNS1_3genE5ELNS1_11target_archE942ELNS1_3gpuE9ELNS1_3repE0EEENS1_30default_config_static_selectorELNS0_4arch9wavefront6targetE1EEEvT1_: ; @_ZN7rocprim17ROCPRIM_400000_NS6detail17trampoline_kernelINS0_14default_configENS1_27scan_by_key_config_selectorIiiEEZZNS1_16scan_by_key_implILNS1_25lookback_scan_determinismE0ELb1ES3_N6thrust23THRUST_200600_302600_NS10device_ptrIiEESB_SB_iNS9_4plusIvEENS9_8equal_toIvEEiEE10hipError_tPvRmT2_T3_T4_T5_mT6_T7_P12ihipStream_tbENKUlT_T0_E_clISt17integral_constantIbLb1EESW_EEDaSR_SS_EUlSR_E_NS1_11comp_targetILNS1_3genE5ELNS1_11target_archE942ELNS1_3gpuE9ELNS1_3repE0EEENS1_30default_config_static_selectorELNS0_4arch9wavefront6targetE1EEEvT1_
; %bb.0:
	.section	.rodata,"a",@progbits
	.p2align	6, 0x0
	.amdhsa_kernel _ZN7rocprim17ROCPRIM_400000_NS6detail17trampoline_kernelINS0_14default_configENS1_27scan_by_key_config_selectorIiiEEZZNS1_16scan_by_key_implILNS1_25lookback_scan_determinismE0ELb1ES3_N6thrust23THRUST_200600_302600_NS10device_ptrIiEESB_SB_iNS9_4plusIvEENS9_8equal_toIvEEiEE10hipError_tPvRmT2_T3_T4_T5_mT6_T7_P12ihipStream_tbENKUlT_T0_E_clISt17integral_constantIbLb1EESW_EEDaSR_SS_EUlSR_E_NS1_11comp_targetILNS1_3genE5ELNS1_11target_archE942ELNS1_3gpuE9ELNS1_3repE0EEENS1_30default_config_static_selectorELNS0_4arch9wavefront6targetE1EEEvT1_
		.amdhsa_group_segment_fixed_size 0
		.amdhsa_private_segment_fixed_size 0
		.amdhsa_kernarg_size 112
		.amdhsa_user_sgpr_count 6
		.amdhsa_user_sgpr_private_segment_buffer 1
		.amdhsa_user_sgpr_dispatch_ptr 0
		.amdhsa_user_sgpr_queue_ptr 0
		.amdhsa_user_sgpr_kernarg_segment_ptr 1
		.amdhsa_user_sgpr_dispatch_id 0
		.amdhsa_user_sgpr_flat_scratch_init 0
		.amdhsa_user_sgpr_kernarg_preload_length 0
		.amdhsa_user_sgpr_kernarg_preload_offset 0
		.amdhsa_user_sgpr_private_segment_size 0
		.amdhsa_uses_dynamic_stack 0
		.amdhsa_system_sgpr_private_segment_wavefront_offset 0
		.amdhsa_system_sgpr_workgroup_id_x 1
		.amdhsa_system_sgpr_workgroup_id_y 0
		.amdhsa_system_sgpr_workgroup_id_z 0
		.amdhsa_system_sgpr_workgroup_info 0
		.amdhsa_system_vgpr_workitem_id 0
		.amdhsa_next_free_vgpr 1
		.amdhsa_next_free_sgpr 0
		.amdhsa_accum_offset 4
		.amdhsa_reserve_vcc 0
		.amdhsa_reserve_flat_scratch 0
		.amdhsa_float_round_mode_32 0
		.amdhsa_float_round_mode_16_64 0
		.amdhsa_float_denorm_mode_32 3
		.amdhsa_float_denorm_mode_16_64 3
		.amdhsa_dx10_clamp 1
		.amdhsa_ieee_mode 1
		.amdhsa_fp16_overflow 0
		.amdhsa_tg_split 0
		.amdhsa_exception_fp_ieee_invalid_op 0
		.amdhsa_exception_fp_denorm_src 0
		.amdhsa_exception_fp_ieee_div_zero 0
		.amdhsa_exception_fp_ieee_overflow 0
		.amdhsa_exception_fp_ieee_underflow 0
		.amdhsa_exception_fp_ieee_inexact 0
		.amdhsa_exception_int_div_zero 0
	.end_amdhsa_kernel
	.section	.text._ZN7rocprim17ROCPRIM_400000_NS6detail17trampoline_kernelINS0_14default_configENS1_27scan_by_key_config_selectorIiiEEZZNS1_16scan_by_key_implILNS1_25lookback_scan_determinismE0ELb1ES3_N6thrust23THRUST_200600_302600_NS10device_ptrIiEESB_SB_iNS9_4plusIvEENS9_8equal_toIvEEiEE10hipError_tPvRmT2_T3_T4_T5_mT6_T7_P12ihipStream_tbENKUlT_T0_E_clISt17integral_constantIbLb1EESW_EEDaSR_SS_EUlSR_E_NS1_11comp_targetILNS1_3genE5ELNS1_11target_archE942ELNS1_3gpuE9ELNS1_3repE0EEENS1_30default_config_static_selectorELNS0_4arch9wavefront6targetE1EEEvT1_,"axG",@progbits,_ZN7rocprim17ROCPRIM_400000_NS6detail17trampoline_kernelINS0_14default_configENS1_27scan_by_key_config_selectorIiiEEZZNS1_16scan_by_key_implILNS1_25lookback_scan_determinismE0ELb1ES3_N6thrust23THRUST_200600_302600_NS10device_ptrIiEESB_SB_iNS9_4plusIvEENS9_8equal_toIvEEiEE10hipError_tPvRmT2_T3_T4_T5_mT6_T7_P12ihipStream_tbENKUlT_T0_E_clISt17integral_constantIbLb1EESW_EEDaSR_SS_EUlSR_E_NS1_11comp_targetILNS1_3genE5ELNS1_11target_archE942ELNS1_3gpuE9ELNS1_3repE0EEENS1_30default_config_static_selectorELNS0_4arch9wavefront6targetE1EEEvT1_,comdat
.Lfunc_end2244:
	.size	_ZN7rocprim17ROCPRIM_400000_NS6detail17trampoline_kernelINS0_14default_configENS1_27scan_by_key_config_selectorIiiEEZZNS1_16scan_by_key_implILNS1_25lookback_scan_determinismE0ELb1ES3_N6thrust23THRUST_200600_302600_NS10device_ptrIiEESB_SB_iNS9_4plusIvEENS9_8equal_toIvEEiEE10hipError_tPvRmT2_T3_T4_T5_mT6_T7_P12ihipStream_tbENKUlT_T0_E_clISt17integral_constantIbLb1EESW_EEDaSR_SS_EUlSR_E_NS1_11comp_targetILNS1_3genE5ELNS1_11target_archE942ELNS1_3gpuE9ELNS1_3repE0EEENS1_30default_config_static_selectorELNS0_4arch9wavefront6targetE1EEEvT1_, .Lfunc_end2244-_ZN7rocprim17ROCPRIM_400000_NS6detail17trampoline_kernelINS0_14default_configENS1_27scan_by_key_config_selectorIiiEEZZNS1_16scan_by_key_implILNS1_25lookback_scan_determinismE0ELb1ES3_N6thrust23THRUST_200600_302600_NS10device_ptrIiEESB_SB_iNS9_4plusIvEENS9_8equal_toIvEEiEE10hipError_tPvRmT2_T3_T4_T5_mT6_T7_P12ihipStream_tbENKUlT_T0_E_clISt17integral_constantIbLb1EESW_EEDaSR_SS_EUlSR_E_NS1_11comp_targetILNS1_3genE5ELNS1_11target_archE942ELNS1_3gpuE9ELNS1_3repE0EEENS1_30default_config_static_selectorELNS0_4arch9wavefront6targetE1EEEvT1_
                                        ; -- End function
	.section	.AMDGPU.csdata,"",@progbits
; Kernel info:
; codeLenInByte = 0
; NumSgprs: 4
; NumVgprs: 0
; NumAgprs: 0
; TotalNumVgprs: 0
; ScratchSize: 0
; MemoryBound: 0
; FloatMode: 240
; IeeeMode: 1
; LDSByteSize: 0 bytes/workgroup (compile time only)
; SGPRBlocks: 0
; VGPRBlocks: 0
; NumSGPRsForWavesPerEU: 4
; NumVGPRsForWavesPerEU: 1
; AccumOffset: 4
; Occupancy: 8
; WaveLimiterHint : 0
; COMPUTE_PGM_RSRC2:SCRATCH_EN: 0
; COMPUTE_PGM_RSRC2:USER_SGPR: 6
; COMPUTE_PGM_RSRC2:TRAP_HANDLER: 0
; COMPUTE_PGM_RSRC2:TGID_X_EN: 1
; COMPUTE_PGM_RSRC2:TGID_Y_EN: 0
; COMPUTE_PGM_RSRC2:TGID_Z_EN: 0
; COMPUTE_PGM_RSRC2:TIDIG_COMP_CNT: 0
; COMPUTE_PGM_RSRC3_GFX90A:ACCUM_OFFSET: 0
; COMPUTE_PGM_RSRC3_GFX90A:TG_SPLIT: 0
	.section	.text._ZN7rocprim17ROCPRIM_400000_NS6detail17trampoline_kernelINS0_14default_configENS1_27scan_by_key_config_selectorIiiEEZZNS1_16scan_by_key_implILNS1_25lookback_scan_determinismE0ELb1ES3_N6thrust23THRUST_200600_302600_NS10device_ptrIiEESB_SB_iNS9_4plusIvEENS9_8equal_toIvEEiEE10hipError_tPvRmT2_T3_T4_T5_mT6_T7_P12ihipStream_tbENKUlT_T0_E_clISt17integral_constantIbLb1EESW_EEDaSR_SS_EUlSR_E_NS1_11comp_targetILNS1_3genE4ELNS1_11target_archE910ELNS1_3gpuE8ELNS1_3repE0EEENS1_30default_config_static_selectorELNS0_4arch9wavefront6targetE1EEEvT1_,"axG",@progbits,_ZN7rocprim17ROCPRIM_400000_NS6detail17trampoline_kernelINS0_14default_configENS1_27scan_by_key_config_selectorIiiEEZZNS1_16scan_by_key_implILNS1_25lookback_scan_determinismE0ELb1ES3_N6thrust23THRUST_200600_302600_NS10device_ptrIiEESB_SB_iNS9_4plusIvEENS9_8equal_toIvEEiEE10hipError_tPvRmT2_T3_T4_T5_mT6_T7_P12ihipStream_tbENKUlT_T0_E_clISt17integral_constantIbLb1EESW_EEDaSR_SS_EUlSR_E_NS1_11comp_targetILNS1_3genE4ELNS1_11target_archE910ELNS1_3gpuE8ELNS1_3repE0EEENS1_30default_config_static_selectorELNS0_4arch9wavefront6targetE1EEEvT1_,comdat
	.protected	_ZN7rocprim17ROCPRIM_400000_NS6detail17trampoline_kernelINS0_14default_configENS1_27scan_by_key_config_selectorIiiEEZZNS1_16scan_by_key_implILNS1_25lookback_scan_determinismE0ELb1ES3_N6thrust23THRUST_200600_302600_NS10device_ptrIiEESB_SB_iNS9_4plusIvEENS9_8equal_toIvEEiEE10hipError_tPvRmT2_T3_T4_T5_mT6_T7_P12ihipStream_tbENKUlT_T0_E_clISt17integral_constantIbLb1EESW_EEDaSR_SS_EUlSR_E_NS1_11comp_targetILNS1_3genE4ELNS1_11target_archE910ELNS1_3gpuE8ELNS1_3repE0EEENS1_30default_config_static_selectorELNS0_4arch9wavefront6targetE1EEEvT1_ ; -- Begin function _ZN7rocprim17ROCPRIM_400000_NS6detail17trampoline_kernelINS0_14default_configENS1_27scan_by_key_config_selectorIiiEEZZNS1_16scan_by_key_implILNS1_25lookback_scan_determinismE0ELb1ES3_N6thrust23THRUST_200600_302600_NS10device_ptrIiEESB_SB_iNS9_4plusIvEENS9_8equal_toIvEEiEE10hipError_tPvRmT2_T3_T4_T5_mT6_T7_P12ihipStream_tbENKUlT_T0_E_clISt17integral_constantIbLb1EESW_EEDaSR_SS_EUlSR_E_NS1_11comp_targetILNS1_3genE4ELNS1_11target_archE910ELNS1_3gpuE8ELNS1_3repE0EEENS1_30default_config_static_selectorELNS0_4arch9wavefront6targetE1EEEvT1_
	.globl	_ZN7rocprim17ROCPRIM_400000_NS6detail17trampoline_kernelINS0_14default_configENS1_27scan_by_key_config_selectorIiiEEZZNS1_16scan_by_key_implILNS1_25lookback_scan_determinismE0ELb1ES3_N6thrust23THRUST_200600_302600_NS10device_ptrIiEESB_SB_iNS9_4plusIvEENS9_8equal_toIvEEiEE10hipError_tPvRmT2_T3_T4_T5_mT6_T7_P12ihipStream_tbENKUlT_T0_E_clISt17integral_constantIbLb1EESW_EEDaSR_SS_EUlSR_E_NS1_11comp_targetILNS1_3genE4ELNS1_11target_archE910ELNS1_3gpuE8ELNS1_3repE0EEENS1_30default_config_static_selectorELNS0_4arch9wavefront6targetE1EEEvT1_
	.p2align	8
	.type	_ZN7rocprim17ROCPRIM_400000_NS6detail17trampoline_kernelINS0_14default_configENS1_27scan_by_key_config_selectorIiiEEZZNS1_16scan_by_key_implILNS1_25lookback_scan_determinismE0ELb1ES3_N6thrust23THRUST_200600_302600_NS10device_ptrIiEESB_SB_iNS9_4plusIvEENS9_8equal_toIvEEiEE10hipError_tPvRmT2_T3_T4_T5_mT6_T7_P12ihipStream_tbENKUlT_T0_E_clISt17integral_constantIbLb1EESW_EEDaSR_SS_EUlSR_E_NS1_11comp_targetILNS1_3genE4ELNS1_11target_archE910ELNS1_3gpuE8ELNS1_3repE0EEENS1_30default_config_static_selectorELNS0_4arch9wavefront6targetE1EEEvT1_,@function
_ZN7rocprim17ROCPRIM_400000_NS6detail17trampoline_kernelINS0_14default_configENS1_27scan_by_key_config_selectorIiiEEZZNS1_16scan_by_key_implILNS1_25lookback_scan_determinismE0ELb1ES3_N6thrust23THRUST_200600_302600_NS10device_ptrIiEESB_SB_iNS9_4plusIvEENS9_8equal_toIvEEiEE10hipError_tPvRmT2_T3_T4_T5_mT6_T7_P12ihipStream_tbENKUlT_T0_E_clISt17integral_constantIbLb1EESW_EEDaSR_SS_EUlSR_E_NS1_11comp_targetILNS1_3genE4ELNS1_11target_archE910ELNS1_3gpuE8ELNS1_3repE0EEENS1_30default_config_static_selectorELNS0_4arch9wavefront6targetE1EEEvT1_: ; @_ZN7rocprim17ROCPRIM_400000_NS6detail17trampoline_kernelINS0_14default_configENS1_27scan_by_key_config_selectorIiiEEZZNS1_16scan_by_key_implILNS1_25lookback_scan_determinismE0ELb1ES3_N6thrust23THRUST_200600_302600_NS10device_ptrIiEESB_SB_iNS9_4plusIvEENS9_8equal_toIvEEiEE10hipError_tPvRmT2_T3_T4_T5_mT6_T7_P12ihipStream_tbENKUlT_T0_E_clISt17integral_constantIbLb1EESW_EEDaSR_SS_EUlSR_E_NS1_11comp_targetILNS1_3genE4ELNS1_11target_archE910ELNS1_3gpuE8ELNS1_3repE0EEENS1_30default_config_static_selectorELNS0_4arch9wavefront6targetE1EEEvT1_
; %bb.0:
	s_load_dword s54, s[4:5], 0x20
	s_load_dwordx4 s[44:47], s[4:5], 0x28
	s_load_dwordx2 s[52:53], s[4:5], 0x38
	v_cmp_eq_u32_e64 s[0:1], 0, v0
	s_and_saveexec_b64 s[2:3], s[0:1]
	s_cbranch_execz .LBB2245_4
; %bb.1:
	s_mov_b64 s[8:9], exec
	v_mbcnt_lo_u32_b32 v1, s8, 0
	v_mbcnt_hi_u32_b32 v1, s9, v1
	v_cmp_eq_u32_e32 vcc, 0, v1
                                        ; implicit-def: $vgpr2
	s_and_saveexec_b64 s[6:7], vcc
	s_cbranch_execz .LBB2245_3
; %bb.2:
	s_load_dwordx2 s[10:11], s[4:5], 0x68
	s_bcnt1_i32_b64 s8, s[8:9]
	v_mov_b32_e32 v2, 0
	v_mov_b32_e32 v3, s8
	s_waitcnt lgkmcnt(0)
	global_atomic_add v2, v2, v3, s[10:11] glc
.LBB2245_3:
	s_or_b64 exec, exec, s[6:7]
	s_waitcnt vmcnt(0)
	v_readfirstlane_b32 s6, v2
	v_add_u32_e32 v1, s6, v1
	v_mov_b32_e32 v2, 0
	ds_write_b32 v2, v1
.LBB2245_4:
	s_or_b64 exec, exec, s[2:3]
	s_load_dwordx8 s[36:43], s[4:5], 0x0
	s_load_dword s2, s[4:5], 0x40
	s_load_dwordx4 s[48:51], s[4:5], 0x48
	v_mov_b32_e32 v3, 0
	s_waitcnt lgkmcnt(0)
	s_lshl_b64 s[34:35], s[38:39], 2
	s_barrier
	ds_read_b32 v4, v3
	s_add_u32 s3, s36, s34
	s_addc_u32 s4, s37, s35
	s_add_u32 s5, s40, s34
	s_mul_i32 s7, s53, s2
	s_mul_hi_u32 s8, s52, s2
	s_addc_u32 s6, s41, s35
	s_add_i32 s7, s8, s7
	s_movk_i32 s8, 0xe00
	s_waitcnt lgkmcnt(0)
	v_mul_lo_u32 v2, v4, s8
	v_lshlrev_b64 v[38:39], 2, v[2:3]
	v_mov_b32_e32 v1, s4
	v_add_co_u32_e32 v42, vcc, s3, v38
	v_addc_co_u32_e32 v43, vcc, v1, v39, vcc
	v_mov_b32_e32 v2, s6
	v_add_co_u32_e32 v1, vcc, s5, v38
	s_mul_i32 s2, s52, s2
	v_addc_co_u32_e32 v48, vcc, v2, v39, vcc
	v_mov_b32_e32 v3, s7
	v_add_co_u32_e32 v2, vcc, s2, v4
	s_add_u32 s4, s48, -1
	v_addc_co_u32_e32 v3, vcc, 0, v3, vcc
	s_addc_u32 s5, s49, -1
	v_cmp_le_u64_e64 s[2:3], s[4:5], v[2:3]
	v_readfirstlane_b32 s47, v4
	s_mov_b64 s[12:13], -1
	s_and_b64 vcc, exec, s[2:3]
	s_mul_i32 s33, s4, 0xfffff200
	s_barrier
	s_barrier
	s_cbranch_vccz .LBB2245_80
; %bb.5:
	flat_load_dword v13, v[42:43]
	s_add_i32 s40, s33, s46
	v_cmp_gt_u32_e32 vcc, s40, v0
	s_waitcnt vmcnt(0) lgkmcnt(0)
	v_mov_b32_e32 v14, v13
	s_and_saveexec_b64 s[6:7], vcc
	s_cbranch_execz .LBB2245_7
; %bb.6:
	v_lshlrev_b32_e32 v2, 2, v0
	v_add_co_u32_e64 v2, s[4:5], v42, v2
	v_addc_co_u32_e64 v3, s[4:5], 0, v43, s[4:5]
	flat_load_dword v14, v[2:3]
.LBB2245_7:
	s_or_b64 exec, exec, s[6:7]
	v_or_b32_e32 v2, 0x100, v0
	v_cmp_gt_u32_e64 s[4:5], s40, v2
	v_mov_b32_e32 v15, v13
	s_and_saveexec_b64 s[8:9], s[4:5]
	s_cbranch_execz .LBB2245_9
; %bb.8:
	v_lshlrev_b32_e32 v2, 2, v0
	v_add_co_u32_e64 v2, s[6:7], v42, v2
	v_addc_co_u32_e64 v3, s[6:7], 0, v43, s[6:7]
	flat_load_dword v15, v[2:3] offset:1024
.LBB2245_9:
	s_or_b64 exec, exec, s[8:9]
	v_or_b32_e32 v2, 0x200, v0
	v_cmp_gt_u32_e64 s[6:7], s40, v2
	v_mov_b32_e32 v16, v13
	s_and_saveexec_b64 s[10:11], s[6:7]
	s_cbranch_execz .LBB2245_11
; %bb.10:
	v_lshlrev_b32_e32 v2, 2, v0
	v_add_co_u32_e64 v2, s[8:9], v42, v2
	v_addc_co_u32_e64 v3, s[8:9], 0, v43, s[8:9]
	flat_load_dword v16, v[2:3] offset:2048
.LBB2245_11:
	;; [unrolled: 12-line block ×3, first 2 shown]
	s_or_b64 exec, exec, s[12:13]
	v_or_b32_e32 v2, 0x400, v0
	v_cmp_gt_u32_e64 s[10:11], s40, v2
	v_mov_b32_e32 v18, v13
	s_and_saveexec_b64 s[14:15], s[10:11]
	s_cbranch_execz .LBB2245_15
; %bb.14:
	v_lshlrev_b32_e32 v3, 2, v2
	v_add_co_u32_e64 v4, s[12:13], v42, v3
	v_addc_co_u32_e64 v5, s[12:13], 0, v43, s[12:13]
	flat_load_dword v18, v[4:5]
.LBB2245_15:
	s_or_b64 exec, exec, s[14:15]
	v_or_b32_e32 v3, 0x500, v0
	v_cmp_gt_u32_e64 s[12:13], s40, v3
	v_mov_b32_e32 v19, v13
	s_and_saveexec_b64 s[16:17], s[12:13]
	s_cbranch_execz .LBB2245_17
; %bb.16:
	v_lshlrev_b32_e32 v4, 2, v3
	v_add_co_u32_e64 v4, s[14:15], v42, v4
	v_addc_co_u32_e64 v5, s[14:15], 0, v43, s[14:15]
	flat_load_dword v19, v[4:5]
.LBB2245_17:
	;; [unrolled: 12-line block ×9, first 2 shown]
	s_or_b64 exec, exec, s[30:31]
	v_or_b32_e32 v11, 0xd00, v0
	v_cmp_gt_u32_e64 s[28:29], s40, v11
	s_and_saveexec_b64 s[36:37], s[28:29]
	s_cbranch_execz .LBB2245_33
; %bb.32:
	v_lshlrev_b32_e32 v12, 2, v11
	v_add_co_u32_e64 v12, s[30:31], v42, v12
	v_addc_co_u32_e64 v13, s[30:31], 0, v43, s[30:31]
	flat_load_dword v13, v[12:13]
.LBB2245_33:
	s_or_b64 exec, exec, s[36:37]
	v_lshlrev_b32_e32 v12, 2, v0
	s_waitcnt vmcnt(0) lgkmcnt(0)
	ds_write2st64_b32 v12, v14, v15 offset1:4
	ds_write2st64_b32 v12, v16, v17 offset0:8 offset1:12
	ds_write2st64_b32 v12, v18, v19 offset0:16 offset1:20
	;; [unrolled: 1-line block ×6, first 2 shown]
	s_waitcnt lgkmcnt(0)
	s_barrier
	flat_load_dword v49, v[42:43]
	v_mad_u32_u24 v50, v0, 52, v12
	s_movk_i32 s30, 0xffcc
	ds_read2_b64 v[34:37], v50 offset1:1
	ds_read2_b64 v[30:33], v50 offset0:2 offset1:3
	ds_read2_b64 v[26:29], v50 offset0:4 offset1:5
	ds_read_b64 v[44:45], v50 offset:48
	v_mad_i32_i24 v13, v0, s30, v50
	s_movk_i32 s30, 0xff
	v_cmp_ne_u32_e64 s[30:31], s30, v0
	s_waitcnt lgkmcnt(0)
	ds_write_b32 v13, v34 offset:15360
	s_waitcnt lgkmcnt(0)
	s_barrier
	s_and_saveexec_b64 s[36:37], s[30:31]
	s_cbranch_execz .LBB2245_35
; %bb.34:
	s_waitcnt vmcnt(0)
	ds_read_b32 v49, v12 offset:15364
.LBB2245_35:
	s_or_b64 exec, exec, s[36:37]
	s_waitcnt lgkmcnt(0)
	s_barrier
	s_waitcnt lgkmcnt(0)
                                        ; implicit-def: $vgpr13
	s_and_saveexec_b64 s[30:31], vcc
	s_cbranch_execz .LBB2245_121
; %bb.36:
	v_add_co_u32_e32 v14, vcc, v1, v12
	v_addc_co_u32_e32 v15, vcc, 0, v48, vcc
	flat_load_dword v13, v[14:15]
	s_or_b64 exec, exec, s[30:31]
                                        ; implicit-def: $vgpr14
	s_and_saveexec_b64 s[30:31], s[4:5]
	s_cbranch_execnz .LBB2245_122
.LBB2245_37:
	s_or_b64 exec, exec, s[30:31]
                                        ; implicit-def: $vgpr15
	s_and_saveexec_b64 s[4:5], s[6:7]
	s_cbranch_execz .LBB2245_123
.LBB2245_38:
	v_add_co_u32_e32 v16, vcc, v1, v12
	v_addc_co_u32_e32 v17, vcc, 0, v48, vcc
	flat_load_dword v15, v[16:17] offset:2048
	s_or_b64 exec, exec, s[4:5]
                                        ; implicit-def: $vgpr16
	s_and_saveexec_b64 s[4:5], s[8:9]
	s_cbranch_execnz .LBB2245_124
.LBB2245_39:
	s_or_b64 exec, exec, s[4:5]
                                        ; implicit-def: $vgpr17
	s_and_saveexec_b64 s[4:5], s[10:11]
	s_cbranch_execz .LBB2245_125
.LBB2245_40:
	v_lshlrev_b32_e32 v2, 2, v2
	v_add_co_u32_e32 v18, vcc, v1, v2
	v_addc_co_u32_e32 v19, vcc, 0, v48, vcc
	flat_load_dword v17, v[18:19]
	s_or_b64 exec, exec, s[4:5]
                                        ; implicit-def: $vgpr2
	s_and_saveexec_b64 s[4:5], s[12:13]
	s_cbranch_execnz .LBB2245_126
.LBB2245_41:
	s_or_b64 exec, exec, s[4:5]
                                        ; implicit-def: $vgpr3
	s_and_saveexec_b64 s[4:5], s[14:15]
	s_cbranch_execz .LBB2245_127
.LBB2245_42:
	v_lshlrev_b32_e32 v3, 2, v4
	v_add_co_u32_e32 v18, vcc, v1, v3
	v_addc_co_u32_e32 v19, vcc, 0, v48, vcc
	flat_load_dword v3, v[18:19]
	s_or_b64 exec, exec, s[4:5]
                                        ; implicit-def: $vgpr4
	s_and_saveexec_b64 s[4:5], s[16:17]
	s_cbranch_execnz .LBB2245_128
.LBB2245_43:
	s_or_b64 exec, exec, s[4:5]
                                        ; implicit-def: $vgpr5
	s_and_saveexec_b64 s[4:5], s[18:19]
	s_cbranch_execz .LBB2245_129
.LBB2245_44:
	v_lshlrev_b32_e32 v5, 2, v6
	v_add_co_u32_e32 v18, vcc, v1, v5
	v_addc_co_u32_e32 v19, vcc, 0, v48, vcc
	flat_load_dword v5, v[18:19]
	s_or_b64 exec, exec, s[4:5]
                                        ; implicit-def: $vgpr6
	s_and_saveexec_b64 s[4:5], s[20:21]
	s_cbranch_execnz .LBB2245_130
.LBB2245_45:
	s_or_b64 exec, exec, s[4:5]
                                        ; implicit-def: $vgpr7
	s_and_saveexec_b64 s[4:5], s[22:23]
	s_cbranch_execz .LBB2245_131
.LBB2245_46:
	v_lshlrev_b32_e32 v7, 2, v8
	v_add_co_u32_e32 v18, vcc, v1, v7
	v_addc_co_u32_e32 v19, vcc, 0, v48, vcc
	flat_load_dword v7, v[18:19]
	s_or_b64 exec, exec, s[4:5]
                                        ; implicit-def: $vgpr8
	s_and_saveexec_b64 s[4:5], s[24:25]
	s_cbranch_execnz .LBB2245_132
.LBB2245_47:
	s_or_b64 exec, exec, s[4:5]
                                        ; implicit-def: $vgpr9
	s_and_saveexec_b64 s[4:5], s[26:27]
	s_cbranch_execz .LBB2245_49
.LBB2245_48:
	v_lshlrev_b32_e32 v9, 2, v10
	v_add_co_u32_e32 v18, vcc, v1, v9
	v_addc_co_u32_e32 v19, vcc, 0, v48, vcc
	flat_load_dword v9, v[18:19]
.LBB2245_49:
	s_or_b64 exec, exec, s[4:5]
	v_mul_u32_u24_e32 v51, 14, v0
                                        ; implicit-def: $vgpr10
	s_and_saveexec_b64 s[4:5], s[28:29]
	s_cbranch_execz .LBB2245_51
; %bb.50:
	v_lshlrev_b32_e32 v10, 2, v11
	v_add_co_u32_e32 v10, vcc, v1, v10
	v_addc_co_u32_e32 v11, vcc, 0, v48, vcc
	flat_load_dword v10, v[10:11]
.LBB2245_51:
	s_or_b64 exec, exec, s[4:5]
	s_mov_b32 s4, 0
	s_mov_b32 s5, s4
	s_waitcnt vmcnt(0) lgkmcnt(0)
	ds_write2st64_b32 v12, v13, v14 offset1:4
	ds_write2st64_b32 v12, v15, v16 offset0:8 offset1:12
	ds_write2st64_b32 v12, v17, v2 offset0:16 offset1:20
	ds_write2st64_b32 v12, v3, v4 offset0:24 offset1:28
	ds_write2st64_b32 v12, v5, v6 offset0:32 offset1:36
	ds_write2st64_b32 v12, v7, v8 offset0:40 offset1:44
	ds_write2st64_b32 v12, v9, v10 offset0:48 offset1:52
	s_mov_b32 s6, s4
	s_mov_b32 s7, s4
	s_mov_b32 s8, s4
	s_mov_b32 s9, s4
	s_mov_b32 s10, s4
	s_mov_b32 s11, s4
	v_pk_mov_b32 v[2:3], s[4:5], s[4:5] op_sel:[0,1]
	v_pk_mov_b32 v[8:9], s[10:11], s[10:11] op_sel:[0,1]
	v_pk_mov_b32 v[4:5], s[6:7], s[6:7] op_sel:[0,1]
	v_pk_mov_b32 v[6:7], s[8:9], s[8:9] op_sel:[0,1]
	v_pk_mov_b32 v[16:17], v[8:9], v[8:9] op_sel:[0,1]
	v_pk_mov_b32 v[24:25], v[8:9], v[8:9] op_sel:[0,1]
	v_cmp_gt_u32_e32 vcc, s40, v51
	s_mov_b64 s[12:13], 0
	v_pk_mov_b32 v[40:41], 0, 0
	s_mov_b64 s[18:19], 0
	v_pk_mov_b32 v[14:15], v[6:7], v[6:7] op_sel:[0,1]
	v_pk_mov_b32 v[12:13], v[4:5], v[4:5] op_sel:[0,1]
	;; [unrolled: 1-line block ×6, first 2 shown]
	s_waitcnt lgkmcnt(0)
	s_barrier
	s_waitcnt lgkmcnt(0)
                                        ; implicit-def: $sgpr16_sgpr17
                                        ; implicit-def: $vgpr46
	s_and_saveexec_b64 s[14:15], vcc
	s_cbranch_execz .LBB2245_79
; %bb.52:
	ds_read_b32 v2, v50
	v_mov_b32_e32 v4, s54
	v_cmp_eq_u32_e32 vcc, v34, v35
	v_or_b32_e32 v3, 1, v51
                                        ; implicit-def: $vgpr46
	s_waitcnt lgkmcnt(0)
	v_cndmask_b32_e32 v40, v4, v2, vcc
	v_cmp_ne_u32_e32 vcc, v34, v35
	v_cndmask_b32_e64 v41, 0, 1, vcc
	v_cmp_gt_u32_e32 vcc, s40, v3
	v_pk_mov_b32 v[2:3], s[4:5], s[4:5] op_sel:[0,1]
	v_pk_mov_b32 v[8:9], s[10:11], s[10:11] op_sel:[0,1]
	;; [unrolled: 1-line block ×12, first 2 shown]
                                        ; implicit-def: $sgpr4_sgpr5
	s_and_saveexec_b64 s[16:17], vcc
	s_cbranch_execz .LBB2245_78
; %bb.53:
	ds_read2_b32 v[46:47], v50 offset0:1 offset1:2
	s_mov_b32 s4, 0
	v_mov_b32_e32 v3, s54
	v_cmp_eq_u32_e32 vcc, v35, v36
	s_mov_b32 s10, s4
	s_mov_b32 s11, s4
	v_add_u32_e32 v2, 2, v51
	s_waitcnt lgkmcnt(0)
	v_cndmask_b32_e32 v8, v3, v46, vcc
	v_cmp_ne_u32_e32 vcc, v35, v36
	s_mov_b32 s5, s4
	s_mov_b32 s6, s4
	;; [unrolled: 1-line block ×5, first 2 shown]
	v_pk_mov_b32 v[16:17], s[10:11], s[10:11] op_sel:[0,1]
	v_cndmask_b32_e64 v9, 0, 1, vcc
	v_cmp_gt_u32_e32 vcc, s40, v2
	v_mov_b32_e32 v2, 0
	v_pk_mov_b32 v[14:15], s[8:9], s[8:9] op_sel:[0,1]
	v_pk_mov_b32 v[12:13], s[6:7], s[6:7] op_sel:[0,1]
	;; [unrolled: 1-line block ×4, first 2 shown]
	v_mov_b32_e32 v3, v2
	v_mov_b32_e32 v4, v2
	;; [unrolled: 1-line block ×5, first 2 shown]
	s_mov_b64 s[20:21], 0
	v_pk_mov_b32 v[22:23], v[14:15], v[14:15] op_sel:[0,1]
	v_pk_mov_b32 v[20:21], v[12:13], v[12:13] op_sel:[0,1]
	;; [unrolled: 1-line block ×3, first 2 shown]
                                        ; implicit-def: $sgpr24_sgpr25
                                        ; implicit-def: $vgpr46
	s_and_saveexec_b64 s[18:19], vcc
	s_cbranch_execz .LBB2245_77
; %bb.54:
	v_mov_b32_e32 v4, s54
	v_cmp_eq_u32_e32 vcc, v36, v37
	v_pk_mov_b32 v[16:17], s[10:11], s[10:11] op_sel:[0,1]
	v_add_u32_e32 v3, 3, v51
	v_cndmask_b32_e32 v6, v4, v47, vcc
	v_cmp_ne_u32_e32 vcc, v36, v37
	v_pk_mov_b32 v[14:15], s[8:9], s[8:9] op_sel:[0,1]
	v_pk_mov_b32 v[12:13], s[6:7], s[6:7] op_sel:[0,1]
	;; [unrolled: 1-line block ×4, first 2 shown]
	v_cndmask_b32_e64 v7, 0, 1, vcc
	v_cmp_gt_u32_e32 vcc, s40, v3
	v_mov_b32_e32 v3, v2
	v_mov_b32_e32 v4, v2
	;; [unrolled: 1-line block ×3, first 2 shown]
	s_mov_b64 s[22:23], 0
	v_pk_mov_b32 v[22:23], v[14:15], v[14:15] op_sel:[0,1]
	v_pk_mov_b32 v[20:21], v[12:13], v[12:13] op_sel:[0,1]
	;; [unrolled: 1-line block ×3, first 2 shown]
                                        ; implicit-def: $sgpr4_sgpr5
                                        ; implicit-def: $vgpr46
	s_and_saveexec_b64 s[20:21], vcc
	s_cbranch_execz .LBB2245_76
; %bb.55:
	ds_read2_b32 v[34:35], v50 offset0:3 offset1:4
	s_mov_b32 s4, 0
	s_mov_b32 s10, s4
	;; [unrolled: 1-line block ×3, first 2 shown]
	v_mov_b32_e32 v3, s54
	v_cmp_eq_u32_e32 vcc, v37, v30
	s_mov_b32 s5, s4
	s_mov_b32 s6, s4
	;; [unrolled: 1-line block ×5, first 2 shown]
	v_pk_mov_b32 v[16:17], s[10:11], s[10:11] op_sel:[0,1]
	v_add_u32_e32 v2, 4, v51
	s_waitcnt lgkmcnt(0)
	v_cndmask_b32_e32 v4, v3, v34, vcc
	v_cmp_ne_u32_e32 vcc, v37, v30
	v_pk_mov_b32 v[14:15], s[8:9], s[8:9] op_sel:[0,1]
	v_pk_mov_b32 v[12:13], s[6:7], s[6:7] op_sel:[0,1]
	;; [unrolled: 1-line block ×4, first 2 shown]
	v_cndmask_b32_e64 v5, 0, 1, vcc
	v_cmp_gt_u32_e32 vcc, s40, v2
	v_mov_b32_e32 v2, s4
	v_mov_b32_e32 v3, s4
	s_mov_b64 s[24:25], 0
	v_pk_mov_b32 v[22:23], v[14:15], v[14:15] op_sel:[0,1]
	v_pk_mov_b32 v[20:21], v[12:13], v[12:13] op_sel:[0,1]
	;; [unrolled: 1-line block ×3, first 2 shown]
                                        ; implicit-def: $sgpr26_sgpr27
                                        ; implicit-def: $vgpr46
	s_and_saveexec_b64 s[22:23], vcc
	s_cbranch_execz .LBB2245_75
; %bb.56:
	v_mov_b32_e32 v2, s54
	v_cmp_eq_u32_e32 vcc, v30, v31
	v_add_u32_e32 v10, 5, v51
	v_cndmask_b32_e32 v2, v2, v35, vcc
	v_cmp_ne_u32_e32 vcc, v30, v31
	v_cndmask_b32_e64 v3, 0, 1, vcc
	v_cmp_gt_u32_e32 vcc, s40, v10
	v_pk_mov_b32 v[16:17], s[10:11], s[10:11] op_sel:[0,1]
	v_pk_mov_b32 v[14:15], s[8:9], s[8:9] op_sel:[0,1]
	;; [unrolled: 1-line block ×5, first 2 shown]
	s_mov_b64 s[28:29], 0
	v_pk_mov_b32 v[22:23], v[14:15], v[14:15] op_sel:[0,1]
	v_pk_mov_b32 v[20:21], v[12:13], v[12:13] op_sel:[0,1]
	;; [unrolled: 1-line block ×3, first 2 shown]
                                        ; implicit-def: $sgpr4_sgpr5
                                        ; implicit-def: $vgpr46
	s_and_saveexec_b64 s[24:25], vcc
	s_cbranch_execz .LBB2245_74
; %bb.57:
	ds_read2_b32 v[34:35], v50 offset0:5 offset1:6
	v_mov_b32_e32 v11, s54
	v_cmp_eq_u32_e32 vcc, v31, v32
	s_mov_b32 s4, 0
	v_add_u32_e32 v10, 6, v51
	s_waitcnt lgkmcnt(0)
	v_cndmask_b32_e32 v16, v11, v34, vcc
	v_cmp_ne_u32_e32 vcc, v31, v32
	s_mov_b32 s10, s4
	s_mov_b32 s11, s4
	v_cndmask_b32_e64 v17, 0, 1, vcc
	v_cmp_gt_u32_e32 vcc, s40, v10
	v_mov_b32_e32 v10, 0
	s_mov_b32 s5, s4
	s_mov_b32 s6, s4
	;; [unrolled: 1-line block ×5, first 2 shown]
	v_pk_mov_b32 v[24:25], s[10:11], s[10:11] op_sel:[0,1]
	v_mov_b32_e32 v11, v10
	v_mov_b32_e32 v12, v10
	;; [unrolled: 1-line block ×5, first 2 shown]
	v_pk_mov_b32 v[22:23], s[8:9], s[8:9] op_sel:[0,1]
	v_pk_mov_b32 v[20:21], s[6:7], s[6:7] op_sel:[0,1]
	v_pk_mov_b32 v[18:19], s[4:5], s[4:5] op_sel:[0,1]
                                        ; implicit-def: $sgpr36_sgpr37
                                        ; implicit-def: $vgpr46
	s_and_saveexec_b64 s[26:27], vcc
	s_cbranch_execz .LBB2245_73
; %bb.58:
	v_mov_b32_e32 v12, s54
	v_cmp_eq_u32_e32 vcc, v32, v33
	v_add_u32_e32 v11, 7, v51
	v_cndmask_b32_e32 v14, v12, v35, vcc
	v_cmp_ne_u32_e32 vcc, v32, v33
	v_pk_mov_b32 v[24:25], s[10:11], s[10:11] op_sel:[0,1]
	v_cndmask_b32_e64 v15, 0, 1, vcc
	v_cmp_gt_u32_e32 vcc, s40, v11
	v_mov_b32_e32 v11, v10
	v_mov_b32_e32 v12, v10
	;; [unrolled: 1-line block ×3, first 2 shown]
	s_mov_b64 s[30:31], 0
	v_pk_mov_b32 v[22:23], s[8:9], s[8:9] op_sel:[0,1]
	v_pk_mov_b32 v[20:21], s[6:7], s[6:7] op_sel:[0,1]
	;; [unrolled: 1-line block ×3, first 2 shown]
                                        ; implicit-def: $sgpr4_sgpr5
                                        ; implicit-def: $vgpr46
	s_and_saveexec_b64 s[28:29], vcc
	s_cbranch_execz .LBB2245_72
; %bb.59:
	ds_read2_b32 v[30:31], v50 offset0:7 offset1:8
	s_mov_b32 s4, 0
	v_mov_b32_e32 v11, s54
	v_cmp_eq_u32_e32 vcc, v33, v26
	s_mov_b32 s10, s4
	s_mov_b32 s11, s4
	v_add_u32_e32 v10, 8, v51
	s_waitcnt lgkmcnt(0)
	v_cndmask_b32_e32 v12, v11, v30, vcc
	v_cmp_ne_u32_e32 vcc, v33, v26
	s_mov_b32 s5, s4
	s_mov_b32 s6, s4
	;; [unrolled: 1-line block ×5, first 2 shown]
	v_pk_mov_b32 v[24:25], s[10:11], s[10:11] op_sel:[0,1]
	v_cndmask_b32_e64 v13, 0, 1, vcc
	v_cmp_gt_u32_e32 vcc, s40, v10
	v_mov_b32_e32 v10, s4
	v_mov_b32_e32 v11, s4
	s_mov_b64 s[36:37], 0
	v_pk_mov_b32 v[22:23], s[8:9], s[8:9] op_sel:[0,1]
	v_pk_mov_b32 v[20:21], s[6:7], s[6:7] op_sel:[0,1]
	;; [unrolled: 1-line block ×3, first 2 shown]
                                        ; implicit-def: $sgpr38_sgpr39
                                        ; implicit-def: $vgpr46
	s_and_saveexec_b64 s[30:31], vcc
	s_cbranch_execz .LBB2245_71
; %bb.60:
	v_mov_b32_e32 v10, s54
	v_cmp_eq_u32_e32 vcc, v26, v27
	v_add_u32_e32 v18, 9, v51
	v_cndmask_b32_e32 v10, v10, v31, vcc
	v_cmp_ne_u32_e32 vcc, v26, v27
	v_cndmask_b32_e64 v11, 0, 1, vcc
	v_cmp_gt_u32_e32 vcc, s40, v18
	v_pk_mov_b32 v[24:25], s[10:11], s[10:11] op_sel:[0,1]
	v_pk_mov_b32 v[22:23], s[8:9], s[8:9] op_sel:[0,1]
	;; [unrolled: 1-line block ×4, first 2 shown]
                                        ; implicit-def: $sgpr6_sgpr7
                                        ; implicit-def: $vgpr46
	s_and_saveexec_b64 s[4:5], vcc
	s_cbranch_execz .LBB2245_70
; %bb.61:
	ds_read2_b32 v[30:31], v50 offset0:9 offset1:10
	v_mov_b32_e32 v18, s54
	v_cmp_eq_u32_e32 vcc, v27, v28
	v_add_u32_e32 v20, 10, v51
	v_mov_b32_e32 v22, 0
	s_waitcnt lgkmcnt(0)
	v_cndmask_b32_e32 v18, v18, v30, vcc
	v_cmp_ne_u32_e32 vcc, v27, v28
	v_cndmask_b32_e64 v19, 0, 1, vcc
	v_cmp_gt_u32_e32 vcc, s40, v20
	v_mov_b32_e32 v20, v22
	v_mov_b32_e32 v21, v22
	;; [unrolled: 1-line block ×5, first 2 shown]
	s_mov_b64 s[8:9], 0
                                        ; implicit-def: $sgpr36_sgpr37
                                        ; implicit-def: $vgpr46
	s_and_saveexec_b64 s[6:7], vcc
	s_cbranch_execz .LBB2245_69
; %bb.62:
	v_mov_b32_e32 v20, s54
	v_cmp_eq_u32_e32 vcc, v28, v29
	v_add_u32_e32 v23, 11, v51
	v_cndmask_b32_e32 v20, v20, v31, vcc
	v_cmp_ne_u32_e32 vcc, v28, v29
	v_cndmask_b32_e64 v21, 0, 1, vcc
	v_cmp_gt_u32_e32 vcc, s40, v23
	s_mov_b32 s36, 0
	v_mov_b32_e32 v23, v22
	v_mov_b32_e32 v24, v22
	;; [unrolled: 1-line block ×3, first 2 shown]
	s_mov_b64 s[10:11], 0
                                        ; implicit-def: $sgpr38_sgpr39
                                        ; implicit-def: $vgpr46
	s_and_saveexec_b64 s[8:9], vcc
	s_cbranch_execz .LBB2245_68
; %bb.63:
	ds_read2_b32 v[26:27], v50 offset0:11 offset1:12
	v_mov_b32_e32 v22, s54
	v_cmp_eq_u32_e32 vcc, v29, v44
	v_add_u32_e32 v24, 12, v51
	v_mov_b32_e32 v25, s36
	s_waitcnt lgkmcnt(0)
	v_cndmask_b32_e32 v22, v22, v26, vcc
	v_cmp_ne_u32_e32 vcc, v29, v44
	v_cndmask_b32_e64 v23, 0, 1, vcc
	v_cmp_gt_u32_e32 vcc, s40, v24
	v_mov_b32_e32 v24, s36
	s_mov_b64 s[36:37], 0
                                        ; implicit-def: $sgpr38_sgpr39
                                        ; implicit-def: $vgpr46
	s_and_saveexec_b64 s[10:11], vcc
	s_cbranch_execz .LBB2245_67
; %bb.64:
	v_mov_b32_e32 v24, s54
	v_cmp_eq_u32_e32 vcc, v44, v45
	v_add_u32_e32 v26, 13, v51
	v_cndmask_b32_e32 v24, v24, v27, vcc
	v_cmp_ne_u32_e32 vcc, v44, v45
	v_cndmask_b32_e64 v25, 0, 1, vcc
	v_cmp_gt_u32_e32 vcc, s40, v26
                                        ; implicit-def: $sgpr38_sgpr39
                                        ; implicit-def: $vgpr46
	s_and_saveexec_b64 s[40:41], vcc
	s_xor_b64 s[40:41], exec, s[40:41]
	s_cbranch_execz .LBB2245_66
; %bb.65:
	ds_read_b32 v26, v50 offset:52
	v_mov_b32_e32 v27, s54
	v_cmp_ne_u32_e32 vcc, v45, v49
	s_mov_b64 s[36:37], exec
	s_and_b64 s[38:39], vcc, exec
	s_waitcnt lgkmcnt(0)
	v_cndmask_b32_e32 v46, v26, v27, vcc
.LBB2245_66:
	s_or_b64 exec, exec, s[40:41]
	s_and_b64 s[38:39], s[38:39], exec
	s_and_b64 s[36:37], s[36:37], exec
.LBB2245_67:
	s_or_b64 exec, exec, s[10:11]
	s_and_b64 s[38:39], s[38:39], exec
	s_and_b64 s[10:11], s[36:37], exec
.LBB2245_68:
	s_or_b64 exec, exec, s[8:9]
	s_and_b64 s[36:37], s[38:39], exec
	s_and_b64 s[8:9], s[10:11], exec
.LBB2245_69:
	s_or_b64 exec, exec, s[6:7]
	s_and_b64 s[6:7], s[36:37], exec
	s_and_b64 s[36:37], s[8:9], exec
.LBB2245_70:
	s_or_b64 exec, exec, s[4:5]
	s_and_b64 s[38:39], s[6:7], exec
	s_and_b64 s[36:37], s[36:37], exec
.LBB2245_71:
	s_or_b64 exec, exec, s[30:31]
	s_and_b64 s[4:5], s[38:39], exec
	s_and_b64 s[30:31], s[36:37], exec
.LBB2245_72:
	s_or_b64 exec, exec, s[28:29]
	s_and_b64 s[36:37], s[4:5], exec
	s_and_b64 s[28:29], s[30:31], exec
.LBB2245_73:
	s_or_b64 exec, exec, s[26:27]
	s_and_b64 s[4:5], s[36:37], exec
	s_and_b64 s[28:29], s[28:29], exec
.LBB2245_74:
	s_or_b64 exec, exec, s[24:25]
	s_and_b64 s[26:27], s[4:5], exec
	s_and_b64 s[24:25], s[28:29], exec
.LBB2245_75:
	s_or_b64 exec, exec, s[22:23]
	s_and_b64 s[4:5], s[26:27], exec
	s_and_b64 s[22:23], s[24:25], exec
.LBB2245_76:
	s_or_b64 exec, exec, s[20:21]
	s_and_b64 s[24:25], s[4:5], exec
	s_and_b64 s[20:21], s[22:23], exec
.LBB2245_77:
	s_or_b64 exec, exec, s[18:19]
	s_and_b64 s[4:5], s[24:25], exec
	s_and_b64 s[18:19], s[20:21], exec
.LBB2245_78:
	s_or_b64 exec, exec, s[16:17]
	s_and_b64 s[16:17], s[4:5], exec
	s_and_b64 s[18:19], s[18:19], exec
.LBB2245_79:
	s_or_b64 exec, exec, s[14:15]
	s_and_b64 vcc, exec, s[12:13]
	v_lshlrev_b32_e32 v52, 2, v0
	s_cbranch_vccnz .LBB2245_81
	s_branch .LBB2245_86
.LBB2245_80:
	s_mov_b64 s[18:19], 0
                                        ; implicit-def: $sgpr16_sgpr17
                                        ; implicit-def: $vgpr2_vgpr3_vgpr4_vgpr5_vgpr6_vgpr7_vgpr8_vgpr9
                                        ; implicit-def: $vgpr10_vgpr11_vgpr12_vgpr13_vgpr14_vgpr15_vgpr16_vgpr17
                                        ; implicit-def: $vgpr18_vgpr19_vgpr20_vgpr21_vgpr22_vgpr23_vgpr24_vgpr25
                                        ; implicit-def: $vgpr46
                                        ; implicit-def: $vgpr40_vgpr41
	s_and_b64 vcc, exec, s[12:13]
	v_lshlrev_b32_e32 v52, 2, v0
	s_cbranch_vccz .LBB2245_86
.LBB2245_81:
	v_add_co_u32_e32 v2, vcc, v42, v52
	v_addc_co_u32_e32 v3, vcc, 0, v43, vcc
	v_add_co_u32_e32 v4, vcc, 0x1000, v2
	v_addc_co_u32_e32 v5, vcc, 0, v3, vcc
	flat_load_dword v6, v[2:3]
	flat_load_dword v7, v[2:3] offset:1024
	flat_load_dword v8, v[2:3] offset:2048
	;; [unrolled: 1-line block ×3, first 2 shown]
	flat_load_dword v10, v[4:5]
	flat_load_dword v11, v[4:5] offset:1024
	flat_load_dword v12, v[4:5] offset:2048
	;; [unrolled: 1-line block ×3, first 2 shown]
	v_add_co_u32_e32 v4, vcc, 0x2000, v2
	v_addc_co_u32_e32 v5, vcc, 0, v3, vcc
	v_add_co_u32_e32 v2, vcc, 0x3000, v2
	v_addc_co_u32_e32 v3, vcc, 0, v3, vcc
	flat_load_dword v14, v[4:5]
	flat_load_dword v15, v[4:5] offset:1024
	flat_load_dword v16, v[4:5] offset:2048
	;; [unrolled: 1-line block ×3, first 2 shown]
	flat_load_dword v18, v[2:3]
	flat_load_dword v19, v[2:3] offset:1024
	v_add_co_u32_e32 v2, vcc, 0x3000, v42
	v_addc_co_u32_e32 v3, vcc, 0, v43, vcc
	s_movk_i32 s6, 0xffcc
	s_movk_i32 s9, 0x1000
	s_mov_b32 s4, 0
	s_movk_i32 s8, 0x2000
	s_movk_i32 s5, 0x3000
	s_waitcnt vmcnt(0) lgkmcnt(0)
	ds_write2st64_b32 v52, v6, v7 offset1:4
	ds_write2st64_b32 v52, v8, v9 offset0:8 offset1:12
	ds_write2st64_b32 v52, v10, v11 offset0:16 offset1:20
	;; [unrolled: 1-line block ×6, first 2 shown]
	s_waitcnt lgkmcnt(0)
	s_barrier
	flat_load_dword v34, v[2:3] offset:2048
	v_mad_u32_u24 v6, v0, 52, v52
	v_mad_i32_i24 v2, v0, s6, v6
	s_movk_i32 s6, 0xff
	v_cmp_ne_u32_e32 vcc, s6, v0
	ds_read2_b32 v[26:27], v6 offset1:13
	ds_read2_b32 v[18:19], v6 offset0:7 offset1:8
	ds_read2_b32 v[20:21], v6 offset0:5 offset1:6
	;; [unrolled: 1-line block ×6, first 2 shown]
	s_waitcnt lgkmcnt(0)
	ds_write_b32 v2, v26 offset:15360
	s_waitcnt lgkmcnt(0)
	s_barrier
	s_and_saveexec_b64 s[6:7], vcc
	s_cbranch_execz .LBB2245_83
; %bb.82:
	s_waitcnt vmcnt(0)
	ds_read_b32 v34, v52 offset:15364
.LBB2245_83:
	s_or_b64 exec, exec, s[6:7]
	v_add_co_u32_e32 v2, vcc, v1, v52
	v_addc_co_u32_e32 v3, vcc, 0, v48, vcc
	v_add_co_u32_e32 v4, vcc, s9, v2
	v_addc_co_u32_e32 v5, vcc, 0, v3, vcc
	s_waitcnt lgkmcnt(0)
	s_barrier
	flat_load_dword v1, v[2:3]
	flat_load_dword v7, v[2:3] offset:1024
	flat_load_dword v8, v[2:3] offset:2048
	;; [unrolled: 1-line block ×3, first 2 shown]
	flat_load_dword v14, v[4:5]
	flat_load_dword v15, v[4:5] offset:1024
	flat_load_dword v16, v[4:5] offset:2048
	;; [unrolled: 1-line block ×3, first 2 shown]
	v_add_co_u32_e32 v4, vcc, s8, v2
	v_addc_co_u32_e32 v5, vcc, 0, v3, vcc
	v_add_co_u32_e32 v2, vcc, s5, v2
	v_addc_co_u32_e32 v3, vcc, 0, v3, vcc
	flat_load_dword v22, v[4:5]
	flat_load_dword v23, v[4:5] offset:1024
	flat_load_dword v24, v[4:5] offset:2048
	;; [unrolled: 1-line block ×3, first 2 shown]
	flat_load_dword v32, v[2:3]
	flat_load_dword v33, v[2:3] offset:1024
	s_mov_b32 s5, 1
	v_cmp_eq_u32_e32 vcc, v26, v12
	v_pk_mov_b32 v[40:41], s[4:5], s[4:5] op_sel:[0,1]
	s_waitcnt vmcnt(0) lgkmcnt(0)
	ds_write2st64_b32 v52, v1, v7 offset1:4
	ds_write2st64_b32 v52, v8, v9 offset0:8 offset1:12
	ds_write2st64_b32 v52, v14, v15 offset0:16 offset1:20
	;; [unrolled: 1-line block ×6, first 2 shown]
	s_waitcnt lgkmcnt(0)
	s_barrier
	ds_read2_b32 v[24:25], v6 offset0:7 offset1:8
	ds_read2_b32 v[14:15], v6 offset0:5 offset1:6
	;; [unrolled: 1-line block ×4, first 2 shown]
	ds_read_b32 v1, v6 offset:52
	ds_read2_b32 v[22:23], v6 offset0:11 offset1:12
	ds_read2_b32 v[32:33], v6 offset0:9 offset1:10
	v_mov_b32_e32 v7, s54
	s_and_saveexec_b64 s[4:5], vcc
	s_cbranch_execz .LBB2245_85
; %bb.84:
	ds_read_b32 v7, v6
	v_pk_mov_b32 v[40:41], 0, 0
.LBB2245_85:
	s_or_b64 exec, exec, s[4:5]
	v_mov_b32_e32 v26, s54
	v_cmp_eq_u32_e32 vcc, v12, v13
	s_waitcnt lgkmcnt(3)
	v_cndmask_b32_e32 v8, v26, v4, vcc
	v_cmp_eq_u32_e32 vcc, v13, v10
	v_cndmask_b32_e32 v6, v26, v5, vcc
	v_cmp_eq_u32_e32 vcc, v10, v11
	;; [unrolled: 2-line block ×3, first 2 shown]
	v_cndmask_b32_e32 v2, v26, v3, vcc
	v_cmp_ne_u32_e32 vcc, v12, v13
	v_cndmask_b32_e64 v9, 0, 1, vcc
	v_cmp_ne_u32_e32 vcc, v13, v10
	s_waitcnt lgkmcnt(0)
	v_or_b32_e32 v40, v40, v7
	v_cndmask_b32_e64 v7, 0, 1, vcc
	v_cmp_ne_u32_e32 vcc, v10, v11
	v_cndmask_b32_e64 v5, 0, 1, vcc
	v_cmp_ne_u32_e32 vcc, v11, v20
	v_cndmask_b32_e64 v3, 0, 1, vcc
	v_cmp_eq_u32_e32 vcc, v20, v21
	v_cndmask_b32_e32 v16, v26, v14, vcc
	v_cmp_eq_u32_e32 vcc, v21, v18
	v_cndmask_b32_e32 v14, v26, v15, vcc
	;; [unrolled: 2-line block ×4, first 2 shown]
	v_cmp_ne_u32_e32 vcc, v20, v21
	v_cndmask_b32_e64 v17, 0, 1, vcc
	v_cmp_ne_u32_e32 vcc, v21, v18
	v_cndmask_b32_e64 v15, 0, 1, vcc
	;; [unrolled: 2-line block ×4, first 2 shown]
	v_cmp_eq_u32_e32 vcc, v31, v27
	v_cndmask_b32_e32 v24, v26, v23, vcc
	v_cmp_eq_u32_e32 vcc, v30, v31
	v_cndmask_b32_e32 v22, v26, v22, vcc
	;; [unrolled: 2-line block ×4, first 2 shown]
	v_cmp_ne_u32_e32 vcc, v31, v27
	v_cndmask_b32_e64 v25, 0, 1, vcc
	v_cmp_ne_u32_e32 vcc, v30, v31
	v_cndmask_b32_e64 v23, 0, 1, vcc
	;; [unrolled: 2-line block ×3, first 2 shown]
	v_cmp_ne_u32_e32 vcc, v28, v29
	v_cmp_ne_u32_e64 s[16:17], v27, v34
	v_cndmask_b32_e64 v19, 0, 1, vcc
	v_cndmask_b32_e64 v46, v1, v26, s[16:17]
	s_mov_b64 s[18:19], -1
                                        ; implicit-def: $sgpr12_sgpr13
.LBB2245_86:
	v_pk_mov_b32 v[42:43], s[12:13], s[12:13] op_sel:[0,1]
	s_and_saveexec_b64 s[4:5], s[18:19]
; %bb.87:
	v_cndmask_b32_e64 v47, 0, 1, s[16:17]
	v_pk_mov_b32 v[42:43], v[46:47], v[46:47] op_sel:[0,1]
; %bb.88:
	s_or_b64 exec, exec, s[4:5]
	s_mov_b32 s28, 0
	s_cmp_lg_u32 s47, 0
	v_mbcnt_lo_u32_b32 v54, -1, 0
	v_lshrrev_b32_e32 v1, 6, v0
	v_or_b32_e32 v53, 63, v0
	s_barrier
	s_cbranch_scc0 .LBB2245_133
; %bb.89:
	s_mov_b32 s29, 1
	v_cmp_gt_u64_e64 s[4:5], s[28:29], v[8:9]
	v_cndmask_b32_e64 v27, 0, v40, s[4:5]
	v_add_u32_e32 v27, v27, v8
	v_cmp_gt_u64_e64 s[6:7], s[28:29], v[6:7]
	v_cndmask_b32_e64 v27, 0, v27, s[6:7]
	v_add_u32_e32 v27, v27, v6
	;; [unrolled: 3-line block ×12, first 2 shown]
	v_cmp_gt_u64_e32 vcc, s[28:29], v[42:43]
	v_cndmask_b32_e32 v27, 0, v27, vcc
	v_add_u32_e32 v28, v27, v42
	v_or3_b32 v27, v43, v25, v23
	v_or3_b32 v27, v27, v21, v19
	;; [unrolled: 1-line block ×6, first 2 shown]
	v_mov_b32_e32 v26, 0
	v_and_b32_e32 v27, 1, v27
	v_cmp_eq_u64_e32 vcc, 0, v[26:27]
	v_cndmask_b32_e32 v27, 1, v41, vcc
	v_and_b32_e32 v29, 0xff, v27
	v_mov_b32_dpp v31, v28 row_shr:1 row_mask:0xf bank_mask:0xf
	v_cmp_eq_u16_e32 vcc, 0, v29
	v_mov_b32_dpp v32, v29 row_shr:1 row_mask:0xf bank_mask:0xf
	v_and_b32_e32 v33, 1, v27
	v_mbcnt_hi_u32_b32 v48, -1, v54
	v_cndmask_b32_e32 v31, 0, v31, vcc
	v_and_b32_e32 v32, 1, v32
	v_cmp_eq_u32_e32 vcc, 1, v33
	v_and_b32_e32 v30, 15, v48
	v_cndmask_b32_e64 v32, v32, 1, vcc
	v_and_b32_e32 v33, 0xffff, v32
	v_cmp_eq_u32_e32 vcc, 0, v30
	v_cndmask_b32_e32 v27, v32, v27, vcc
	v_cndmask_b32_e32 v29, v33, v29, vcc
	v_and_b32_e32 v33, 1, v27
	v_cndmask_b32_e64 v31, v31, 0, vcc
	v_mov_b32_dpp v32, v29 row_shr:2 row_mask:0xf bank_mask:0xf
	v_and_b32_e32 v32, 1, v32
	v_cmp_eq_u32_e32 vcc, 1, v33
	v_cndmask_b32_e64 v32, v32, 1, vcc
	v_and_b32_e32 v33, 0xffff, v32
	v_cmp_lt_u32_e32 vcc, 1, v30
	v_add_u32_e32 v28, v31, v28
	v_cmp_eq_u16_sdwa s[28:29], v27, v26 src0_sel:BYTE_0 src1_sel:DWORD
	v_cndmask_b32_e32 v27, v27, v32, vcc
	v_cndmask_b32_e32 v29, v29, v33, vcc
	v_mov_b32_dpp v31, v28 row_shr:2 row_mask:0xf bank_mask:0xf
	s_and_b64 vcc, vcc, s[28:29]
	v_mov_b32_dpp v32, v29 row_shr:4 row_mask:0xf bank_mask:0xf
	v_and_b32_e32 v33, 1, v27
	v_cndmask_b32_e32 v31, 0, v31, vcc
	v_and_b32_e32 v32, 1, v32
	v_cmp_eq_u32_e32 vcc, 1, v33
	v_cndmask_b32_e64 v32, v32, 1, vcc
	v_and_b32_e32 v33, 0xffff, v32
	v_cmp_lt_u32_e32 vcc, 3, v30
	v_add_u32_e32 v28, v31, v28
	v_cmp_eq_u16_sdwa s[28:29], v27, v26 src0_sel:BYTE_0 src1_sel:DWORD
	v_cndmask_b32_e32 v27, v27, v32, vcc
	v_cndmask_b32_e32 v29, v29, v33, vcc
	v_mov_b32_dpp v31, v28 row_shr:4 row_mask:0xf bank_mask:0xf
	s_and_b64 vcc, vcc, s[28:29]
	v_mov_b32_dpp v32, v29 row_shr:8 row_mask:0xf bank_mask:0xf
	v_and_b32_e32 v33, 1, v27
	v_cndmask_b32_e32 v31, 0, v31, vcc
	v_and_b32_e32 v32, 1, v32
	v_cmp_eq_u32_e32 vcc, 1, v33
	v_cndmask_b32_e64 v32, v32, 1, vcc
	v_add_u32_e32 v28, v31, v28
	v_cmp_eq_u16_sdwa s[28:29], v27, v26 src0_sel:BYTE_0 src1_sel:DWORD
	v_and_b32_e32 v33, 0xffff, v32
	v_cmp_lt_u32_e32 vcc, 7, v30
	v_mov_b32_dpp v31, v28 row_shr:8 row_mask:0xf bank_mask:0xf
	v_cndmask_b32_e32 v27, v27, v32, vcc
	v_cndmask_b32_e32 v29, v29, v33, vcc
	s_and_b64 vcc, vcc, s[28:29]
	v_cndmask_b32_e32 v30, 0, v31, vcc
	v_add_u32_e32 v28, v30, v28
	v_mov_b32_dpp v31, v29 row_bcast:15 row_mask:0xf bank_mask:0xf
	v_cmp_eq_u16_sdwa vcc, v27, v26 src0_sel:BYTE_0 src1_sel:DWORD
	v_mov_b32_dpp v30, v28 row_bcast:15 row_mask:0xf bank_mask:0xf
	v_and_b32_e32 v34, 1, v27
	v_cndmask_b32_e32 v30, 0, v30, vcc
	v_and_b32_e32 v31, 1, v31
	v_cmp_eq_u32_e32 vcc, 1, v34
	v_and_b32_e32 v33, 16, v48
	v_cndmask_b32_e64 v31, v31, 1, vcc
	v_and_b32_e32 v34, 0xffff, v31
	v_cmp_eq_u32_e32 vcc, 0, v33
	v_cndmask_b32_e32 v27, v31, v27, vcc
	v_cndmask_b32_e32 v29, v34, v29, vcc
	v_bfe_i32 v32, v48, 4, 1
	v_cmp_eq_u16_sdwa s[28:29], v27, v26 src0_sel:BYTE_0 src1_sel:DWORD
	v_mov_b32_dpp v29, v29 row_bcast:31 row_mask:0xf bank_mask:0xf
	v_and_b32_e32 v26, 1, v27
	v_and_b32_e32 v30, v32, v30
	;; [unrolled: 1-line block ×3, first 2 shown]
	v_cmp_eq_u32_e32 vcc, 1, v26
	v_add_u32_e32 v28, v30, v28
	v_cndmask_b32_e64 v26, v29, 1, vcc
	v_cmp_lt_u32_e32 vcc, 31, v48
	v_mov_b32_dpp v30, v28 row_bcast:31 row_mask:0xf bank_mask:0xf
	v_cndmask_b32_e32 v29, v27, v26, vcc
	s_and_b64 vcc, vcc, s[28:29]
	v_cndmask_b32_e32 v26, 0, v30, vcc
	v_add_u32_e32 v28, v26, v28
	v_cmp_eq_u32_e32 vcc, v53, v0
	s_and_saveexec_b64 s[28:29], vcc
	s_cbranch_execz .LBB2245_91
; %bb.90:
	v_lshlrev_b32_e32 v26, 3, v1
	ds_write_b32 v26, v28
	ds_write_b8 v26, v29 offset:4
.LBB2245_91:
	s_or_b64 exec, exec, s[28:29]
	v_cmp_gt_u32_e32 vcc, 4, v0
	s_waitcnt lgkmcnt(0)
	s_barrier
	s_and_saveexec_b64 s[28:29], vcc
	s_cbranch_execz .LBB2245_95
; %bb.92:
	v_lshlrev_b32_e32 v30, 3, v0
	ds_read_b64 v[26:27], v30
	v_and_b32_e32 v31, 3, v48
	v_cmp_ne_u32_e32 vcc, 0, v31
	s_waitcnt lgkmcnt(0)
	v_mov_b32_dpp v32, v26 row_shr:1 row_mask:0xf bank_mask:0xf
	v_mov_b32_dpp v34, v27 row_shr:1 row_mask:0xf bank_mask:0xf
	v_mov_b32_e32 v33, v27
	s_and_saveexec_b64 s[30:31], vcc
	s_cbranch_execz .LBB2245_94
; %bb.93:
	v_and_b32_e32 v33, 1, v27
	v_and_b32_e32 v34, 1, v34
	v_cmp_eq_u32_e32 vcc, 1, v33
	v_mov_b32_e32 v33, 0
	v_cndmask_b32_e64 v34, v34, 1, vcc
	v_cmp_eq_u16_sdwa vcc, v27, v33 src0_sel:BYTE_0 src1_sel:DWORD
	v_cndmask_b32_e32 v32, 0, v32, vcc
	v_add_u32_e32 v26, v32, v26
	v_and_b32_e32 v32, 0xffff, v34
	s_movk_i32 s36, 0xff00
	v_and_or_b32 v33, v27, s36, v32
	v_mov_b32_e32 v27, v34
.LBB2245_94:
	s_or_b64 exec, exec, s[30:31]
	v_mov_b32_dpp v33, v33 row_shr:2 row_mask:0xf bank_mask:0xf
	v_and_b32_e32 v34, 1, v27
	v_and_b32_e32 v33, 1, v33
	v_cmp_eq_u32_e32 vcc, 1, v34
	v_mov_b32_e32 v34, 0
	v_cndmask_b32_e64 v33, v33, 1, vcc
	v_cmp_eq_u16_sdwa s[30:31], v27, v34 src0_sel:BYTE_0 src1_sel:DWORD
	v_cmp_lt_u32_e32 vcc, 1, v31
	v_mov_b32_dpp v32, v26 row_shr:2 row_mask:0xf bank_mask:0xf
	v_cndmask_b32_e32 v27, v27, v33, vcc
	s_and_b64 vcc, vcc, s[30:31]
	v_cndmask_b32_e32 v31, 0, v32, vcc
	v_add_u32_e32 v26, v31, v26
	ds_write_b32 v30, v26
	ds_write_b8 v30, v27 offset:4
.LBB2245_95:
	s_or_b64 exec, exec, s[28:29]
	v_cmp_gt_u32_e32 vcc, 64, v0
	v_cmp_lt_u32_e64 s[28:29], 63, v0
	v_mov_b32_e32 v44, 0
	v_mov_b32_e32 v45, 0
	s_waitcnt lgkmcnt(0)
	s_barrier
	s_and_saveexec_b64 s[30:31], s[28:29]
	s_cbranch_execz .LBB2245_97
; %bb.96:
	v_lshl_add_u32 v26, v1, 3, -8
	ds_read_b32 v44, v26
	ds_read_u8 v45, v26 offset:4
	v_mov_b32_e32 v27, 0
	v_and_b32_e32 v30, 1, v29
	v_cmp_eq_u16_sdwa s[28:29], v29, v27 src0_sel:BYTE_0 src1_sel:DWORD
	s_waitcnt lgkmcnt(1)
	v_cndmask_b32_e64 v26, 0, v44, s[28:29]
	v_cmp_eq_u32_e64 s[28:29], 1, v30
	v_add_u32_e32 v28, v26, v28
	s_waitcnt lgkmcnt(0)
	v_cndmask_b32_e64 v29, v45, 1, s[28:29]
.LBB2245_97:
	s_or_b64 exec, exec, s[30:31]
	v_and_b32_e32 v26, 0xff, v29
	v_add_u32_e32 v27, -1, v48
	v_and_b32_e32 v29, 64, v48
	v_cmp_lt_i32_e64 s[28:29], v27, v29
	v_cndmask_b32_e64 v27, v27, v48, s[28:29]
	v_lshlrev_b32_e32 v27, 2, v27
	ds_bpermute_b32 v46, v27, v28
	ds_bpermute_b32 v47, v27, v26
	v_cmp_eq_u32_e64 s[28:29], 0, v48
	s_and_saveexec_b64 s[36:37], vcc
	s_cbranch_execz .LBB2245_120
; %bb.98:
	v_mov_b32_e32 v29, 0
	ds_read_b64 v[26:27], v29 offset:24
	s_waitcnt lgkmcnt(0)
	v_readfirstlane_b32 s48, v27
	s_and_saveexec_b64 s[30:31], s[28:29]
	s_cbranch_execz .LBB2245_100
; %bb.99:
	s_add_i32 s38, s47, 64
	s_mov_b32 s39, 0
	s_lshl_b64 s[40:41], s[38:39], 4
	s_add_u32 s40, s44, s40
	s_addc_u32 s41, s45, s41
	s_and_b32 s57, s48, 0xff000000
	s_mov_b32 s56, s39
	s_and_b32 s59, s48, 0xff0000
	s_mov_b32 s58, s39
	s_or_b64 s[56:57], s[58:59], s[56:57]
	s_and_b32 s59, s48, 0xff00
	s_or_b64 s[56:57], s[56:57], s[58:59]
	s_and_b32 s59, s48, 0xff
	s_or_b64 s[38:39], s[56:57], s[58:59]
	v_mov_b32_e32 v27, s39
	v_mov_b32_e32 v28, 1
	v_pk_mov_b32 v[30:31], s[40:41], s[40:41] op_sel:[0,1]
	;;#ASMSTART
	global_store_dwordx4 v[30:31], v[26:29] off	
s_waitcnt vmcnt(0)
	;;#ASMEND
.LBB2245_100:
	s_or_b64 exec, exec, s[30:31]
	v_xad_u32 v34, v48, -1, s47
	v_add_u32_e32 v28, 64, v34
	v_lshlrev_b64 v[30:31], 4, v[28:29]
	v_mov_b32_e32 v27, s45
	v_add_co_u32_e32 v36, vcc, s44, v30
	v_addc_co_u32_e32 v37, vcc, v27, v31, vcc
	;;#ASMSTART
	global_load_dwordx4 v[30:33], v[36:37] off glc	
s_waitcnt vmcnt(0)
	;;#ASMEND
	v_and_b32_e32 v27, 0xff0000, v30
	v_or_b32_sdwa v27, v30, v27 dst_sel:DWORD dst_unused:UNUSED_PAD src0_sel:WORD_0 src1_sel:DWORD
	v_and_b32_e32 v28, 0xff000000, v30
	v_and_b32_e32 v30, 0xff, v31
	v_or3_b32 v31, 0, 0, v30
	v_or3_b32 v30, v27, v28, 0
	v_cmp_eq_u16_sdwa s[38:39], v32, v29 src0_sel:BYTE_0 src1_sel:DWORD
	s_and_saveexec_b64 s[30:31], s[38:39]
	s_cbranch_execz .LBB2245_106
; %bb.101:
	s_mov_b32 s40, 1
	s_mov_b64 s[38:39], 0
	v_mov_b32_e32 v27, 0
.LBB2245_102:                           ; =>This Loop Header: Depth=1
                                        ;     Child Loop BB2245_103 Depth 2
	s_max_u32 s41, s40, 1
.LBB2245_103:                           ;   Parent Loop BB2245_102 Depth=1
                                        ; =>  This Inner Loop Header: Depth=2
	s_add_i32 s41, s41, -1
	s_cmp_eq_u32 s41, 0
	s_sleep 1
	s_cbranch_scc0 .LBB2245_103
; %bb.104:                              ;   in Loop: Header=BB2245_102 Depth=1
	s_cmp_lt_u32 s40, 32
	s_cselect_b64 s[56:57], -1, 0
	s_cmp_lg_u64 s[56:57], 0
	s_addc_u32 s40, s40, 0
	;;#ASMSTART
	global_load_dwordx4 v[30:33], v[36:37] off glc	
s_waitcnt vmcnt(0)
	;;#ASMEND
	v_cmp_ne_u16_sdwa s[56:57], v32, v27 src0_sel:BYTE_0 src1_sel:DWORD
	s_or_b64 s[38:39], s[56:57], s[38:39]
	s_andn2_b64 exec, exec, s[38:39]
	s_cbranch_execnz .LBB2245_102
; %bb.105:
	s_or_b64 exec, exec, s[38:39]
	v_and_b32_e32 v31, 0xff, v31
.LBB2245_106:
	s_or_b64 exec, exec, s[30:31]
	v_mov_b32_e32 v27, 2
	v_cmp_eq_u16_sdwa s[30:31], v32, v27 src0_sel:BYTE_0 src1_sel:DWORD
	v_lshlrev_b64 v[28:29], v48, -1
	v_and_b32_e32 v33, s31, v29
	v_or_b32_e32 v33, 0x80000000, v33
	v_and_b32_e32 v35, s30, v28
	v_ffbl_b32_e32 v33, v33
	v_and_b32_e32 v49, 63, v48
	v_add_u32_e32 v33, 32, v33
	v_ffbl_b32_e32 v35, v35
	v_cmp_ne_u32_e32 vcc, 63, v49
	v_min_u32_e32 v33, v35, v33
	v_addc_co_u32_e32 v35, vcc, 0, v48, vcc
	v_lshlrev_b32_e32 v50, 2, v35
	ds_bpermute_b32 v35, v50, v31
	ds_bpermute_b32 v36, v50, v30
	s_mov_b32 s38, 0
	v_and_b32_e32 v37, 1, v31
	s_mov_b32 s39, 1
	s_waitcnt lgkmcnt(1)
	v_and_b32_e32 v35, 1, v35
	v_cmp_eq_u32_e32 vcc, 1, v37
	v_cndmask_b32_e64 v35, v35, 1, vcc
	v_cmp_gt_u64_e32 vcc, s[38:39], v[30:31]
	v_cmp_lt_u32_e64 s[30:31], v49, v33
	s_and_b64 vcc, s[30:31], vcc
	v_and_b32_e32 v37, 0xffff, v35
	v_cndmask_b32_e64 v56, v31, v35, s[30:31]
	s_waitcnt lgkmcnt(0)
	v_cndmask_b32_e32 v35, 0, v36, vcc
	v_cmp_gt_u32_e32 vcc, 62, v49
	v_cndmask_b32_e64 v36, 0, 1, vcc
	v_lshlrev_b32_e32 v36, 1, v36
	v_cndmask_b32_e64 v31, v31, v37, s[30:31]
	v_add_lshl_u32 v51, v36, v48, 2
	ds_bpermute_b32 v36, v51, v31
	v_add_u32_e32 v30, v35, v30
	ds_bpermute_b32 v37, v51, v30
	v_and_b32_e32 v35, 1, v56
	v_cmp_eq_u32_e32 vcc, 1, v35
	s_waitcnt lgkmcnt(1)
	v_and_b32_e32 v36, 1, v36
	v_mov_b32_e32 v35, 0
	v_add_u32_e32 v55, 2, v49
	v_cndmask_b32_e64 v36, v36, 1, vcc
	v_cmp_eq_u16_sdwa vcc, v56, v35 src0_sel:BYTE_0 src1_sel:DWORD
	v_and_b32_e32 v57, 0xffff, v36
	s_waitcnt lgkmcnt(0)
	v_cndmask_b32_e32 v37, 0, v37, vcc
	v_cmp_gt_u32_e32 vcc, v55, v33
	v_cndmask_b32_e32 v36, v36, v56, vcc
	v_cndmask_b32_e64 v37, v37, 0, vcc
	v_cndmask_b32_e32 v31, v57, v31, vcc
	v_cmp_gt_u32_e32 vcc, 60, v49
	v_cndmask_b32_e64 v56, 0, 1, vcc
	v_lshlrev_b32_e32 v56, 2, v56
	v_add_lshl_u32 v56, v56, v48, 2
	ds_bpermute_b32 v58, v56, v31
	v_add_u32_e32 v30, v37, v30
	ds_bpermute_b32 v37, v56, v30
	v_and_b32_e32 v59, 1, v36
	v_cmp_eq_u32_e32 vcc, 1, v59
	s_waitcnt lgkmcnt(1)
	v_and_b32_e32 v58, 1, v58
	v_add_u32_e32 v57, 4, v49
	v_cndmask_b32_e64 v58, v58, 1, vcc
	v_cmp_eq_u16_sdwa vcc, v36, v35 src0_sel:BYTE_0 src1_sel:DWORD
	v_and_b32_e32 v59, 0xffff, v58
	s_waitcnt lgkmcnt(0)
	v_cndmask_b32_e32 v37, 0, v37, vcc
	v_cmp_gt_u32_e32 vcc, v57, v33
	v_cndmask_b32_e32 v36, v58, v36, vcc
	v_cndmask_b32_e64 v37, v37, 0, vcc
	v_cndmask_b32_e32 v31, v59, v31, vcc
	v_cmp_gt_u32_e32 vcc, 56, v49
	v_cndmask_b32_e64 v58, 0, 1, vcc
	v_lshlrev_b32_e32 v58, 3, v58
	v_add_lshl_u32 v58, v58, v48, 2
	ds_bpermute_b32 v60, v58, v31
	v_add_u32_e32 v30, v37, v30
	ds_bpermute_b32 v37, v58, v30
	v_and_b32_e32 v61, 1, v36
	v_cmp_eq_u32_e32 vcc, 1, v61
	s_waitcnt lgkmcnt(1)
	v_and_b32_e32 v60, 1, v60
	v_add_u32_e32 v59, 8, v49
	v_cndmask_b32_e64 v60, v60, 1, vcc
	v_cmp_eq_u16_sdwa vcc, v36, v35 src0_sel:BYTE_0 src1_sel:DWORD
	v_and_b32_e32 v61, 0xffff, v60
	s_waitcnt lgkmcnt(0)
	v_cndmask_b32_e32 v37, 0, v37, vcc
	v_cmp_gt_u32_e32 vcc, v59, v33
	v_cndmask_b32_e32 v36, v60, v36, vcc
	v_cndmask_b32_e64 v37, v37, 0, vcc
	v_cndmask_b32_e32 v31, v61, v31, vcc
	v_cmp_gt_u32_e32 vcc, 48, v49
	v_cndmask_b32_e64 v60, 0, 1, vcc
	v_lshlrev_b32_e32 v60, 4, v60
	v_add_lshl_u32 v60, v60, v48, 2
	ds_bpermute_b32 v62, v60, v31
	v_add_u32_e32 v30, v37, v30
	ds_bpermute_b32 v37, v60, v30
	v_and_b32_e32 v63, 1, v36
	v_cmp_eq_u32_e32 vcc, 1, v63
	s_waitcnt lgkmcnt(1)
	v_and_b32_e32 v62, 1, v62
	v_add_u32_e32 v61, 16, v49
	v_cndmask_b32_e64 v62, v62, 1, vcc
	v_cmp_eq_u16_sdwa vcc, v36, v35 src0_sel:BYTE_0 src1_sel:DWORD
	v_and_b32_e32 v63, 0xffff, v62
	s_waitcnt lgkmcnt(0)
	v_cndmask_b32_e32 v37, 0, v37, vcc
	v_cmp_gt_u32_e32 vcc, v61, v33
	v_cndmask_b32_e32 v36, v62, v36, vcc
	v_cndmask_b32_e64 v37, v37, 0, vcc
	v_cndmask_b32_e32 v31, v63, v31, vcc
	v_cmp_gt_u32_e32 vcc, 32, v49
	v_cndmask_b32_e64 v62, 0, 1, vcc
	v_lshlrev_b32_e32 v62, 5, v62
	v_add_lshl_u32 v63, v62, v48, 2
	ds_bpermute_b32 v31, v63, v31
	v_add_u32_e32 v30, v37, v30
	ds_bpermute_b32 v37, v63, v30
	v_and_b32_e32 v48, 1, v36
	v_cmp_eq_u32_e32 vcc, 1, v48
	s_waitcnt lgkmcnt(1)
	v_and_b32_e32 v31, 1, v31
	v_add_u32_e32 v64, 32, v49
	v_cndmask_b32_e64 v31, v31, 1, vcc
	v_cmp_eq_u16_sdwa vcc, v36, v35 src0_sel:BYTE_0 src1_sel:DWORD
	s_waitcnt lgkmcnt(0)
	v_cndmask_b32_e32 v37, 0, v37, vcc
	v_cmp_gt_u32_e32 vcc, v64, v33
	v_cndmask_b32_e64 v33, v37, 0, vcc
	v_cndmask_b32_e32 v31, v31, v36, vcc
	v_add_u32_e32 v30, v33, v30
	s_branch .LBB2245_108
.LBB2245_107:                           ;   in Loop: Header=BB2245_108 Depth=1
	s_or_b64 exec, exec, s[30:31]
	v_cmp_eq_u16_sdwa s[30:31], v32, v27 src0_sel:BYTE_0 src1_sel:DWORD
	v_and_b32_e32 v33, s31, v29
	ds_bpermute_b32 v37, v50, v31
	v_or_b32_e32 v33, 0x80000000, v33
	v_and_b32_e32 v36, s30, v28
	v_ffbl_b32_e32 v33, v33
	v_add_u32_e32 v33, 32, v33
	v_ffbl_b32_e32 v36, v36
	v_min_u32_e32 v33, v36, v33
	ds_bpermute_b32 v36, v50, v30
	v_and_b32_e32 v65, 1, v31
	s_waitcnt lgkmcnt(1)
	v_and_b32_e32 v37, 1, v37
	v_cmp_eq_u32_e32 vcc, 1, v65
	v_cndmask_b32_e64 v37, v37, 1, vcc
	v_cmp_gt_u64_e32 vcc, s[38:39], v[30:31]
	v_and_b32_e32 v65, 0xffff, v37
	v_cmp_lt_u32_e64 s[30:31], v49, v33
	v_cndmask_b32_e64 v37, v31, v37, s[30:31]
	v_cndmask_b32_e64 v31, v31, v65, s[30:31]
	s_and_b64 vcc, s[30:31], vcc
	ds_bpermute_b32 v65, v51, v31
	s_waitcnt lgkmcnt(1)
	v_cndmask_b32_e32 v36, 0, v36, vcc
	v_add_u32_e32 v30, v36, v30
	ds_bpermute_b32 v36, v51, v30
	v_and_b32_e32 v66, 1, v37
	s_waitcnt lgkmcnt(1)
	v_and_b32_e32 v65, 1, v65
	v_cmp_eq_u32_e32 vcc, 1, v66
	v_cndmask_b32_e64 v65, v65, 1, vcc
	v_cmp_eq_u16_sdwa vcc, v37, v35 src0_sel:BYTE_0 src1_sel:DWORD
	v_and_b32_e32 v66, 0xffff, v65
	s_waitcnt lgkmcnt(0)
	v_cndmask_b32_e32 v36, 0, v36, vcc
	v_cmp_gt_u32_e32 vcc, v55, v33
	v_cndmask_b32_e32 v31, v66, v31, vcc
	v_cndmask_b32_e32 v37, v65, v37, vcc
	ds_bpermute_b32 v65, v56, v31
	v_cndmask_b32_e64 v36, v36, 0, vcc
	v_add_u32_e32 v30, v36, v30
	ds_bpermute_b32 v36, v56, v30
	v_and_b32_e32 v66, 1, v37
	s_waitcnt lgkmcnt(1)
	v_and_b32_e32 v65, 1, v65
	v_cmp_eq_u32_e32 vcc, 1, v66
	v_cndmask_b32_e64 v65, v65, 1, vcc
	v_cmp_eq_u16_sdwa vcc, v37, v35 src0_sel:BYTE_0 src1_sel:DWORD
	v_and_b32_e32 v66, 0xffff, v65
	s_waitcnt lgkmcnt(0)
	v_cndmask_b32_e32 v36, 0, v36, vcc
	v_cmp_gt_u32_e32 vcc, v57, v33
	v_cndmask_b32_e32 v31, v66, v31, vcc
	v_cndmask_b32_e32 v37, v65, v37, vcc
	ds_bpermute_b32 v65, v58, v31
	v_cndmask_b32_e64 v36, v36, 0, vcc
	;; [unrolled: 16-line block ×3, first 2 shown]
	v_add_u32_e32 v30, v36, v30
	ds_bpermute_b32 v36, v60, v30
	v_and_b32_e32 v66, 1, v37
	s_waitcnt lgkmcnt(1)
	v_and_b32_e32 v65, 1, v65
	v_cmp_eq_u32_e32 vcc, 1, v66
	v_cndmask_b32_e64 v65, v65, 1, vcc
	v_cmp_eq_u16_sdwa vcc, v37, v35 src0_sel:BYTE_0 src1_sel:DWORD
	v_and_b32_e32 v66, 0xffff, v65
	s_waitcnt lgkmcnt(0)
	v_cndmask_b32_e32 v36, 0, v36, vcc
	v_cmp_gt_u32_e32 vcc, v61, v33
	v_cndmask_b32_e64 v36, v36, 0, vcc
	v_cndmask_b32_e32 v31, v66, v31, vcc
	ds_bpermute_b32 v31, v63, v31
	v_add_u32_e32 v30, v36, v30
	ds_bpermute_b32 v36, v63, v30
	v_cndmask_b32_e32 v37, v65, v37, vcc
	v_and_b32_e32 v65, 1, v37
	v_cmp_eq_u32_e32 vcc, 1, v65
	s_waitcnt lgkmcnt(1)
	v_cndmask_b32_e64 v31, v31, 1, vcc
	v_cmp_eq_u16_sdwa vcc, v37, v35 src0_sel:BYTE_0 src1_sel:DWORD
	s_waitcnt lgkmcnt(0)
	v_cndmask_b32_e32 v36, 0, v36, vcc
	v_cmp_gt_u32_e32 vcc, v64, v33
	v_cndmask_b32_e64 v33, v36, 0, vcc
	v_cndmask_b32_e32 v31, v31, v37, vcc
	v_add_u32_e32 v30, v33, v30
	v_cmp_eq_u16_sdwa vcc, v48, v35 src0_sel:BYTE_0 src1_sel:DWORD
	v_and_b32_e32 v33, 1, v48
	v_cndmask_b32_e32 v30, 0, v30, vcc
	v_and_b32_e32 v31, 1, v31
	v_cmp_eq_u32_e32 vcc, 1, v33
	v_subrev_u32_e32 v34, 64, v34
	v_add_u32_e32 v30, v30, v62
	v_cndmask_b32_e64 v31, v31, 1, vcc
.LBB2245_108:                           ; =>This Loop Header: Depth=1
                                        ;     Child Loop BB2245_111 Depth 2
                                        ;       Child Loop BB2245_112 Depth 3
	v_cmp_ne_u16_sdwa s[30:31], v32, v27 src0_sel:BYTE_0 src1_sel:DWORD
	v_mov_b32_e32 v48, v31
	v_cndmask_b32_e64 v31, 0, 1, s[30:31]
	;;#ASMSTART
	;;#ASMEND
	v_cmp_ne_u32_e32 vcc, 0, v31
	s_cmp_lg_u64 vcc, exec
	v_mov_b32_e32 v62, v30
	s_cbranch_scc1 .LBB2245_115
; %bb.109:                              ;   in Loop: Header=BB2245_108 Depth=1
	v_lshlrev_b64 v[30:31], 4, v[34:35]
	v_mov_b32_e32 v32, s45
	v_add_co_u32_e32 v36, vcc, s44, v30
	v_addc_co_u32_e32 v37, vcc, v32, v31, vcc
	;;#ASMSTART
	global_load_dwordx4 v[30:33], v[36:37] off glc	
s_waitcnt vmcnt(0)
	;;#ASMEND
	v_and_b32_e32 v33, 0xff0000, v30
	v_or_b32_sdwa v33, v30, v33 dst_sel:DWORD dst_unused:UNUSED_PAD src0_sel:WORD_0 src1_sel:DWORD
	v_and_b32_e32 v30, 0xff000000, v30
	v_and_b32_e32 v31, 0xff, v31
	v_or3_b32 v31, 0, 0, v31
	v_or3_b32 v30, v33, v30, 0
	v_cmp_eq_u16_sdwa s[40:41], v32, v35 src0_sel:BYTE_0 src1_sel:DWORD
	s_and_saveexec_b64 s[30:31], s[40:41]
	s_cbranch_execz .LBB2245_107
; %bb.110:                              ;   in Loop: Header=BB2245_108 Depth=1
	s_mov_b32 s49, 1
	s_mov_b64 s[40:41], 0
.LBB2245_111:                           ;   Parent Loop BB2245_108 Depth=1
                                        ; =>  This Loop Header: Depth=2
                                        ;       Child Loop BB2245_112 Depth 3
	s_max_u32 s55, s49, 1
.LBB2245_112:                           ;   Parent Loop BB2245_108 Depth=1
                                        ;     Parent Loop BB2245_111 Depth=2
                                        ; =>    This Inner Loop Header: Depth=3
	s_add_i32 s55, s55, -1
	s_cmp_eq_u32 s55, 0
	s_sleep 1
	s_cbranch_scc0 .LBB2245_112
; %bb.113:                              ;   in Loop: Header=BB2245_111 Depth=2
	s_cmp_lt_u32 s49, 32
	s_cselect_b64 s[56:57], -1, 0
	s_cmp_lg_u64 s[56:57], 0
	s_addc_u32 s49, s49, 0
	;;#ASMSTART
	global_load_dwordx4 v[30:33], v[36:37] off glc	
s_waitcnt vmcnt(0)
	;;#ASMEND
	v_cmp_ne_u16_sdwa s[56:57], v32, v35 src0_sel:BYTE_0 src1_sel:DWORD
	s_or_b64 s[40:41], s[56:57], s[40:41]
	s_andn2_b64 exec, exec, s[40:41]
	s_cbranch_execnz .LBB2245_111
; %bb.114:                              ;   in Loop: Header=BB2245_108 Depth=1
	s_or_b64 exec, exec, s[40:41]
	v_and_b32_e32 v31, 0xff, v31
	s_branch .LBB2245_107
.LBB2245_115:                           ;   in Loop: Header=BB2245_108 Depth=1
                                        ; implicit-def: $vgpr31
                                        ; implicit-def: $vgpr30
                                        ; implicit-def: $vgpr32
	s_cbranch_execz .LBB2245_108
; %bb.116:
	s_and_saveexec_b64 s[30:31], s[28:29]
	s_cbranch_execz .LBB2245_118
; %bb.117:
	s_and_b32 s38, s48, 0xff
	s_cmp_eq_u32 s38, 0
	s_cselect_b64 vcc, -1, 0
	s_bitcmp1_b32 s48, 0
	s_mov_b32 s39, 0
	s_cselect_b64 s[40:41], -1, 0
	s_add_i32 s38, s47, 64
	s_lshl_b64 s[38:39], s[38:39], 4
	v_cndmask_b32_e32 v27, 0, v62, vcc
	s_add_u32 s38, s44, s38
	v_add_u32_e32 v26, v27, v26
	v_and_b32_e32 v27, 1, v48
	s_addc_u32 s39, s45, s39
	v_mov_b32_e32 v29, 0
	v_cndmask_b32_e64 v27, v27, 1, s[40:41]
	v_mov_b32_e32 v28, 2
	v_pk_mov_b32 v[30:31], s[38:39], s[38:39] op_sel:[0,1]
	;;#ASMSTART
	global_store_dwordx4 v[30:31], v[26:29] off	
s_waitcnt vmcnt(0)
	;;#ASMEND
.LBB2245_118:
	s_or_b64 exec, exec, s[30:31]
	s_and_b64 exec, exec, s[0:1]
	s_cbranch_execz .LBB2245_120
; %bb.119:
	v_mov_b32_e32 v26, 0
	ds_write_b32 v26, v62 offset:24
	ds_write_b8 v26, v48 offset:28
.LBB2245_120:
	s_or_b64 exec, exec, s[36:37]
	v_mov_b32_e32 v28, 0
	s_waitcnt lgkmcnt(0)
	s_barrier
	ds_read_b32 v26, v28 offset:24
	v_cndmask_b32_e64 v27, v47, v45, s[28:29]
	v_cmp_eq_u16_sdwa vcc, v27, v28 src0_sel:BYTE_0 src1_sel:DWORD
	v_cndmask_b32_e64 v29, v46, v44, s[28:29]
	s_waitcnt lgkmcnt(0)
	v_cndmask_b32_e32 v27, 0, v26, vcc
	v_add_u32_e32 v27, v27, v29
	v_and_b32_e32 v29, 0xff, v41
	v_cndmask_b32_e64 v26, v27, v26, s[0:1]
	v_cmp_eq_u64_e32 vcc, 0, v[28:29]
	v_cndmask_b32_e32 v27, 0, v26, vcc
	v_add_u32_e32 v27, v27, v40
	v_cndmask_b32_e64 v28, 0, v27, s[4:5]
	v_add_u32_e32 v44, v28, v8
	v_cndmask_b32_e64 v28, 0, v44, s[6:7]
	;; [unrolled: 2-line block ×12, first 2 shown]
	v_add_u32_e32 v51, v28, v24
	s_branch .LBB2245_147
.LBB2245_121:
	s_or_b64 exec, exec, s[30:31]
                                        ; implicit-def: $vgpr14
	s_and_saveexec_b64 s[30:31], s[4:5]
	s_cbranch_execz .LBB2245_37
.LBB2245_122:
	v_add_co_u32_e32 v14, vcc, v1, v12
	v_addc_co_u32_e32 v15, vcc, 0, v48, vcc
	flat_load_dword v14, v[14:15] offset:1024
	s_or_b64 exec, exec, s[30:31]
                                        ; implicit-def: $vgpr15
	s_and_saveexec_b64 s[4:5], s[6:7]
	s_cbranch_execnz .LBB2245_38
.LBB2245_123:
	s_or_b64 exec, exec, s[4:5]
                                        ; implicit-def: $vgpr16
	s_and_saveexec_b64 s[4:5], s[8:9]
	s_cbranch_execz .LBB2245_39
.LBB2245_124:
	v_add_co_u32_e32 v16, vcc, v1, v12
	v_addc_co_u32_e32 v17, vcc, 0, v48, vcc
	flat_load_dword v16, v[16:17] offset:3072
	s_or_b64 exec, exec, s[4:5]
                                        ; implicit-def: $vgpr17
	s_and_saveexec_b64 s[4:5], s[10:11]
	s_cbranch_execnz .LBB2245_40
.LBB2245_125:
	s_or_b64 exec, exec, s[4:5]
                                        ; implicit-def: $vgpr2
	s_and_saveexec_b64 s[4:5], s[12:13]
	s_cbranch_execz .LBB2245_41
.LBB2245_126:
	v_lshlrev_b32_e32 v2, 2, v3
	v_add_co_u32_e32 v2, vcc, v1, v2
	v_addc_co_u32_e32 v3, vcc, 0, v48, vcc
	flat_load_dword v2, v[2:3]
	s_or_b64 exec, exec, s[4:5]
                                        ; implicit-def: $vgpr3
	s_and_saveexec_b64 s[4:5], s[14:15]
	s_cbranch_execnz .LBB2245_42
.LBB2245_127:
	s_or_b64 exec, exec, s[4:5]
                                        ; implicit-def: $vgpr4
	s_and_saveexec_b64 s[4:5], s[16:17]
	s_cbranch_execz .LBB2245_43
.LBB2245_128:
	v_lshlrev_b32_e32 v4, 2, v5
	v_add_co_u32_e32 v4, vcc, v1, v4
	v_addc_co_u32_e32 v5, vcc, 0, v48, vcc
	flat_load_dword v4, v[4:5]
	s_or_b64 exec, exec, s[4:5]
                                        ; implicit-def: $vgpr5
	s_and_saveexec_b64 s[4:5], s[18:19]
	s_cbranch_execnz .LBB2245_44
.LBB2245_129:
	s_or_b64 exec, exec, s[4:5]
                                        ; implicit-def: $vgpr6
	s_and_saveexec_b64 s[4:5], s[20:21]
	s_cbranch_execz .LBB2245_45
.LBB2245_130:
	v_lshlrev_b32_e32 v6, 2, v7
	v_add_co_u32_e32 v6, vcc, v1, v6
	v_addc_co_u32_e32 v7, vcc, 0, v48, vcc
	flat_load_dword v6, v[6:7]
	s_or_b64 exec, exec, s[4:5]
                                        ; implicit-def: $vgpr7
	s_and_saveexec_b64 s[4:5], s[22:23]
	s_cbranch_execnz .LBB2245_46
.LBB2245_131:
	s_or_b64 exec, exec, s[4:5]
                                        ; implicit-def: $vgpr8
	s_and_saveexec_b64 s[4:5], s[24:25]
	s_cbranch_execz .LBB2245_47
.LBB2245_132:
	v_lshlrev_b32_e32 v8, 2, v9
	v_add_co_u32_e32 v8, vcc, v1, v8
	v_addc_co_u32_e32 v9, vcc, 0, v48, vcc
	flat_load_dword v8, v[8:9]
	s_or_b64 exec, exec, s[4:5]
                                        ; implicit-def: $vgpr9
	s_and_saveexec_b64 s[4:5], s[26:27]
	s_cbranch_execz .LBB2245_49
	s_branch .LBB2245_48
.LBB2245_133:
                                        ; implicit-def: $vgpr51
                                        ; implicit-def: $vgpr49
                                        ; implicit-def: $vgpr47
                                        ; implicit-def: $vgpr45
                                        ; implicit-def: $vgpr34_vgpr35_vgpr36_vgpr37
                                        ; implicit-def: $vgpr30_vgpr31_vgpr32_vgpr33
                                        ; implicit-def: $vgpr26_vgpr27_vgpr28_vgpr29
	s_cbranch_execz .LBB2245_147
; %bb.134:
	s_cmp_lg_u64 s[52:53], 0
	s_cselect_b32 s5, s51, 0
	s_cselect_b32 s4, s50, 0
	s_mov_b32 s26, 0
	s_cmp_eq_u64 s[4:5], 0
	v_mov_b32_e32 v32, s54
	s_cbranch_scc1 .LBB2245_136
; %bb.135:
	v_mov_b32_e32 v26, 0
	global_load_dword v32, v26, s[4:5]
.LBB2245_136:
	s_mov_b32 s27, 1
	v_cmp_gt_u64_e32 vcc, s[26:27], v[8:9]
	v_cndmask_b32_e32 v27, 0, v40, vcc
	v_add_u32_e32 v27, v27, v8
	v_cmp_gt_u64_e64 s[4:5], s[26:27], v[6:7]
	v_cndmask_b32_e64 v27, 0, v27, s[4:5]
	v_add_u32_e32 v27, v27, v6
	v_cmp_gt_u64_e64 s[6:7], s[26:27], v[4:5]
	v_cndmask_b32_e64 v27, 0, v27, s[6:7]
	;; [unrolled: 3-line block ×11, first 2 shown]
	v_mov_b32_e32 v26, 0
	v_add_u32_e32 v27, v27, v24
	v_cmp_gt_u64_e64 s[26:27], s[26:27], v[42:43]
	v_or3_b32 v7, v23, v15, v7
	v_cndmask_b32_e64 v27, 0, v27, s[26:27]
	v_or3_b32 v9, v25, v17, v9
	v_and_b32_e32 v35, 1, v7
	v_mov_b32_e32 v34, v26
	v_add_u32_e32 v33, v27, v42
	v_and_b32_e32 v27, 1, v43
	v_or3_b32 v3, v19, v11, v3
	v_and_b32_e32 v31, 1, v9
	v_mov_b32_e32 v30, v26
	v_cmp_ne_u64_e64 s[28:29], 0, v[34:35]
	v_cmp_eq_u32_e64 s[26:27], 1, v27
	v_or3_b32 v5, v21, v13, v5
	v_and_b32_e32 v27, 1, v3
	v_cndmask_b32_e64 v3, 0, 1, s[28:29]
	v_cmp_ne_u64_e64 s[28:29], 0, v[30:31]
	v_and_b32_e32 v29, 1, v5
	v_mov_b32_e32 v28, v26
	v_cndmask_b32_e64 v5, 0, 1, s[28:29]
	v_lshlrev_b16_e32 v3, 2, v3
	v_lshlrev_b16_e32 v5, 3, v5
	v_cmp_ne_u64_e64 s[28:29], 0, v[28:29]
	v_or_b32_e32 v3, v5, v3
	v_cndmask_b32_e64 v5, 0, 1, s[28:29]
	v_cmp_ne_u64_e64 s[28:29], 0, v[26:27]
	v_lshlrev_b16_e32 v5, 1, v5
	v_cndmask_b32_e64 v7, 0, 1, s[28:29]
	v_or_b32_e32 v5, v7, v5
	v_and_b32_e32 v5, 3, v5
	v_or_b32_e32 v3, v5, v3
	v_and_b32_e32 v3, 15, v3
	v_cmp_ne_u16_e64 s[28:29], 0, v3
	s_or_b64 s[26:27], s[26:27], s[28:29]
	v_cndmask_b32_e64 v5, v41, 1, s[26:27]
	v_and_b32_e32 v7, 0xff, v5
	v_mov_b32_dpp v11, v33 row_shr:1 row_mask:0xf bank_mask:0xf
	v_cmp_eq_u16_e64 s[26:27], 0, v7
	v_mov_b32_dpp v13, v7 row_shr:1 row_mask:0xf bank_mask:0xf
	v_and_b32_e32 v15, 1, v5
	v_mbcnt_hi_u32_b32 v3, -1, v54
	v_cndmask_b32_e64 v11, 0, v11, s[26:27]
	v_and_b32_e32 v13, 1, v13
	v_cmp_eq_u32_e64 s[26:27], 1, v15
	v_and_b32_e32 v9, 15, v3
	v_cndmask_b32_e64 v13, v13, 1, s[26:27]
	v_and_b32_e32 v15, 0xffff, v13
	v_cmp_eq_u32_e64 s[26:27], 0, v9
	v_cndmask_b32_e64 v5, v13, v5, s[26:27]
	v_cndmask_b32_e64 v7, v15, v7, s[26:27]
	v_and_b32_e32 v17, 1, v5
	v_cndmask_b32_e64 v11, v11, 0, s[26:27]
	v_mov_b32_dpp v15, v7 row_shr:2 row_mask:0xf bank_mask:0xf
	v_and_b32_e32 v15, 1, v15
	v_cmp_eq_u32_e64 s[26:27], 1, v17
	v_cndmask_b32_e64 v15, v15, 1, s[26:27]
	v_and_b32_e32 v17, 0xffff, v15
	v_cmp_lt_u32_e64 s[26:27], 1, v9
	v_add_u32_e32 v11, v11, v33
	v_cmp_eq_u16_sdwa s[28:29], v5, v26 src0_sel:BYTE_0 src1_sel:DWORD
	v_cndmask_b32_e64 v5, v5, v15, s[26:27]
	v_cndmask_b32_e64 v7, v7, v17, s[26:27]
	v_mov_b32_dpp v13, v11 row_shr:2 row_mask:0xf bank_mask:0xf
	s_and_b64 s[26:27], s[26:27], s[28:29]
	v_mov_b32_dpp v15, v7 row_shr:4 row_mask:0xf bank_mask:0xf
	v_and_b32_e32 v17, 1, v5
	v_cndmask_b32_e64 v13, 0, v13, s[26:27]
	v_and_b32_e32 v15, 1, v15
	v_cmp_eq_u32_e64 s[26:27], 1, v17
	v_cndmask_b32_e64 v15, v15, 1, s[26:27]
	v_and_b32_e32 v17, 0xffff, v15
	v_cmp_lt_u32_e64 s[26:27], 3, v9
	v_add_u32_e32 v11, v13, v11
	v_cmp_eq_u16_sdwa s[28:29], v5, v26 src0_sel:BYTE_0 src1_sel:DWORD
	v_cndmask_b32_e64 v5, v5, v15, s[26:27]
	v_cndmask_b32_e64 v7, v7, v17, s[26:27]
	v_mov_b32_dpp v13, v11 row_shr:4 row_mask:0xf bank_mask:0xf
	s_and_b64 s[26:27], s[26:27], s[28:29]
	v_mov_b32_dpp v15, v7 row_shr:8 row_mask:0xf bank_mask:0xf
	v_and_b32_e32 v17, 1, v5
	v_cndmask_b32_e64 v13, 0, v13, s[26:27]
	v_and_b32_e32 v15, 1, v15
	v_cmp_eq_u32_e64 s[26:27], 1, v17
	v_cndmask_b32_e64 v15, v15, 1, s[26:27]
	v_add_u32_e32 v11, v13, v11
	v_cmp_eq_u16_sdwa s[28:29], v5, v26 src0_sel:BYTE_0 src1_sel:DWORD
	v_and_b32_e32 v17, 0xffff, v15
	v_cmp_lt_u32_e64 s[26:27], 7, v9
	v_mov_b32_dpp v13, v11 row_shr:8 row_mask:0xf bank_mask:0xf
	v_cndmask_b32_e64 v5, v5, v15, s[26:27]
	v_cndmask_b32_e64 v7, v7, v17, s[26:27]
	s_and_b64 s[26:27], s[26:27], s[28:29]
	v_cndmask_b32_e64 v9, 0, v13, s[26:27]
	v_add_u32_e32 v9, v9, v11
	v_mov_b32_dpp v13, v7 row_bcast:15 row_mask:0xf bank_mask:0xf
	v_cmp_eq_u16_sdwa s[26:27], v5, v26 src0_sel:BYTE_0 src1_sel:DWORD
	v_mov_b32_dpp v11, v9 row_bcast:15 row_mask:0xf bank_mask:0xf
	v_and_b32_e32 v19, 1, v5
	v_cndmask_b32_e64 v11, 0, v11, s[26:27]
	v_and_b32_e32 v13, 1, v13
	v_cmp_eq_u32_e64 s[26:27], 1, v19
	v_and_b32_e32 v17, 16, v3
	v_cndmask_b32_e64 v13, v13, 1, s[26:27]
	v_and_b32_e32 v19, 0xffff, v13
	v_cmp_eq_u32_e64 s[26:27], 0, v17
	v_cndmask_b32_e64 v5, v13, v5, s[26:27]
	v_cndmask_b32_e64 v7, v19, v7, s[26:27]
	v_bfe_i32 v15, v3, 4, 1
	v_and_b32_e32 v13, 1, v5
	v_mov_b32_dpp v7, v7 row_bcast:31 row_mask:0xf bank_mask:0xf
	v_and_b32_e32 v11, v15, v11
	v_and_b32_e32 v7, 1, v7
	v_cmp_eq_u32_e64 s[26:27], 1, v13
	v_add_u32_e32 v9, v11, v9
	v_cmp_eq_u16_sdwa s[28:29], v5, v26 src0_sel:BYTE_0 src1_sel:DWORD
	v_cndmask_b32_e64 v7, v7, 1, s[26:27]
	v_cmp_lt_u32_e64 s[26:27], 31, v3
	v_mov_b32_dpp v11, v9 row_bcast:31 row_mask:0xf bank_mask:0xf
	v_cndmask_b32_e64 v5, v5, v7, s[26:27]
	s_and_b64 s[26:27], s[26:27], s[28:29]
	v_cndmask_b32_e64 v7, 0, v11, s[26:27]
	v_add_u32_e32 v7, v7, v9
	v_cmp_eq_u32_e64 s[26:27], v53, v0
	s_and_saveexec_b64 s[28:29], s[26:27]
	s_cbranch_execz .LBB2245_138
; %bb.137:
	v_lshlrev_b32_e32 v9, 3, v1
	ds_write_b32 v9, v7
	ds_write_b8 v9, v5 offset:4
.LBB2245_138:
	s_or_b64 exec, exec, s[28:29]
	v_cmp_gt_u32_e64 s[26:27], 4, v0
	s_waitcnt lgkmcnt(0)
	s_barrier
	s_and_saveexec_b64 s[28:29], s[26:27]
	s_cbranch_execz .LBB2245_142
; %bb.139:
	v_lshlrev_b32_e32 v9, 3, v0
	ds_read_b64 v[26:27], v9
	v_and_b32_e32 v11, 3, v3
	v_cmp_ne_u32_e64 s[26:27], 0, v11
	s_waitcnt lgkmcnt(0)
	v_mov_b32_dpp v13, v26 row_shr:1 row_mask:0xf bank_mask:0xf
	v_mov_b32_dpp v17, v27 row_shr:1 row_mask:0xf bank_mask:0xf
	v_mov_b32_e32 v15, v27
	s_and_saveexec_b64 s[30:31], s[26:27]
	s_cbranch_execz .LBB2245_141
; %bb.140:
	v_and_b32_e32 v15, 1, v27
	v_and_b32_e32 v17, 1, v17
	v_cmp_eq_u32_e64 s[26:27], 1, v15
	v_mov_b32_e32 v15, 0
	v_cndmask_b32_e64 v17, v17, 1, s[26:27]
	v_cmp_eq_u16_sdwa s[26:27], v27, v15 src0_sel:BYTE_0 src1_sel:DWORD
	v_cndmask_b32_e64 v13, 0, v13, s[26:27]
	v_add_u32_e32 v26, v13, v26
	v_and_b32_e32 v13, 0xffff, v17
	s_movk_i32 s26, 0xff00
	v_and_or_b32 v15, v27, s26, v13
	v_mov_b32_e32 v27, v17
.LBB2245_141:
	s_or_b64 exec, exec, s[30:31]
	v_mov_b32_dpp v15, v15 row_shr:2 row_mask:0xf bank_mask:0xf
	v_and_b32_e32 v17, 1, v27
	v_and_b32_e32 v15, 1, v15
	v_cmp_eq_u32_e64 s[26:27], 1, v17
	v_mov_b32_e32 v17, 0
	v_cndmask_b32_e64 v15, v15, 1, s[26:27]
	v_cmp_eq_u16_sdwa s[30:31], v27, v17 src0_sel:BYTE_0 src1_sel:DWORD
	v_cmp_lt_u32_e64 s[26:27], 1, v11
	v_mov_b32_dpp v13, v26 row_shr:2 row_mask:0xf bank_mask:0xf
	v_cndmask_b32_e64 v11, v27, v15, s[26:27]
	s_and_b64 s[26:27], s[26:27], s[30:31]
	v_cndmask_b32_e64 v13, 0, v13, s[26:27]
	v_add_u32_e32 v13, v13, v26
	ds_write_b32 v9, v13
	ds_write_b8 v9, v11 offset:4
.LBB2245_142:
	s_or_b64 exec, exec, s[28:29]
	v_cmp_lt_u32_e64 s[26:27], 63, v0
	s_waitcnt vmcnt(0)
	v_mov_b32_e32 v9, v32
	s_waitcnt lgkmcnt(0)
	s_barrier
	s_and_saveexec_b64 s[28:29], s[26:27]
	s_cbranch_execz .LBB2245_144
; %bb.143:
	v_lshl_add_u32 v1, v1, 3, -8
	ds_read_u8 v9, v1 offset:4
	ds_read_b32 v1, v1
	s_waitcnt lgkmcnt(1)
	v_cmp_eq_u16_e64 s[26:27], 0, v9
	v_cndmask_b32_e64 v9, 0, v32, s[26:27]
	s_waitcnt lgkmcnt(0)
	v_add_u32_e32 v9, v9, v1
.LBB2245_144:
	s_or_b64 exec, exec, s[28:29]
	v_mov_b32_e32 v28, 0
	v_cmp_eq_u16_sdwa s[26:27], v5, v28 src0_sel:BYTE_0 src1_sel:DWORD
	v_cndmask_b32_e64 v1, 0, v9, s[26:27]
	v_add_u32_e32 v1, v1, v7
	v_add_u32_e32 v5, -1, v3
	v_and_b32_e32 v7, 64, v3
	v_cmp_lt_i32_e64 s[26:27], v5, v7
	v_cndmask_b32_e64 v5, v5, v3, s[26:27]
	v_lshlrev_b32_e32 v5, 2, v5
	ds_bpermute_b32 v1, v5, v1
	v_cmp_eq_u32_e64 s[26:27], 0, v3
	v_and_b32_e32 v29, 0xff, v41
	s_waitcnt lgkmcnt(0)
	v_cndmask_b32_e64 v26, v1, v9, s[26:27]
	v_cndmask_b32_e64 v1, v26, v32, s[0:1]
	v_cmp_eq_u64_e64 s[26:27], 0, v[28:29]
	v_cndmask_b32_e64 v1, 0, v1, s[26:27]
	v_add_u32_e32 v27, v1, v40
	v_cndmask_b32_e32 v1, 0, v27, vcc
	v_add_u32_e32 v44, v1, v8
	v_cndmask_b32_e64 v1, 0, v44, s[4:5]
	v_add_u32_e32 v45, v1, v6
	v_cndmask_b32_e64 v1, 0, v45, s[6:7]
	;; [unrolled: 2-line block ×11, first 2 shown]
	s_and_saveexec_b64 s[4:5], s[0:1]
	s_cbranch_execz .LBB2245_146
; %bb.145:
	ds_read_u8 v3, v28 offset:28
	ds_read_b32 v2, v28 offset:24
	s_add_u32 s0, s44, 0x400
	s_addc_u32 s1, s45, 0
	v_mov_b32_e32 v5, v28
	s_waitcnt lgkmcnt(1)
	v_cmp_eq_u16_e32 vcc, 0, v3
	v_cndmask_b32_e32 v4, 0, v32, vcc
	s_waitcnt lgkmcnt(0)
	v_add_u32_e32 v2, v4, v2
	v_and_b32_e32 v3, 0xffff, v3
	v_mov_b32_e32 v4, 2
	v_pk_mov_b32 v[6:7], s[0:1], s[0:1] op_sel:[0,1]
	;;#ASMSTART
	global_store_dwordx4 v[6:7], v[2:5] off	
s_waitcnt vmcnt(0)
	;;#ASMEND
	v_mov_b32_e32 v26, v32
.LBB2245_146:
	s_or_b64 exec, exec, s[4:5]
	v_add_u32_e32 v51, v1, v24
.LBB2245_147:
	s_add_u32 s0, s42, s34
	s_addc_u32 s1, s43, s35
	v_mov_b32_e32 v1, s1
	v_add_co_u32_e32 v18, vcc, s0, v38
	v_addc_co_u32_e32 v19, vcc, v1, v39, vcc
	v_mul_u32_u24_e32 v1, 14, v0
	s_and_b64 vcc, exec, s[2:3]
	v_lshlrev_b32_e32 v2, 2, v1
	s_cbranch_vccz .LBB2245_175
; %bb.148:
	s_movk_i32 s0, 0xffcc
	v_mad_i32_i24 v3, v0, s0, v2
	s_barrier
	ds_write2_b64 v2, v[26:27], v[44:45] offset1:1
	ds_write2_b64 v2, v[30:31], v[46:47] offset0:2 offset1:3
	ds_write2_b64 v2, v[34:35], v[48:49] offset0:4 offset1:5
	ds_write_b64 v2, v[50:51] offset:48
	s_waitcnt lgkmcnt(0)
	s_barrier
	ds_read2st64_b32 v[16:17], v3 offset0:4 offset1:8
	ds_read2st64_b32 v[14:15], v3 offset0:12 offset1:16
	;; [unrolled: 1-line block ×6, first 2 shown]
	ds_read_b32 v3, v3 offset:13312
	v_add_co_u32_e32 v6, vcc, v18, v52
	s_add_i32 s33, s33, s46
	v_addc_co_u32_e32 v7, vcc, 0, v19, vcc
	v_mov_b32_e32 v1, 0
	v_cmp_gt_u32_e32 vcc, s33, v0
	s_and_saveexec_b64 s[0:1], vcc
	s_cbranch_execz .LBB2245_150
; %bb.149:
	v_mul_i32_i24_e32 v20, 0xffffffcc, v0
	v_add_u32_e32 v20, v2, v20
	ds_read_b32 v20, v20
	s_waitcnt lgkmcnt(0)
	flat_store_dword v[6:7], v20
.LBB2245_150:
	s_or_b64 exec, exec, s[0:1]
	v_or_b32_e32 v20, 0x100, v0
	v_cmp_gt_u32_e32 vcc, s33, v20
	s_and_saveexec_b64 s[0:1], vcc
	s_cbranch_execz .LBB2245_152
; %bb.151:
	s_waitcnt lgkmcnt(0)
	flat_store_dword v[6:7], v16 offset:1024
.LBB2245_152:
	s_or_b64 exec, exec, s[0:1]
	s_waitcnt lgkmcnt(0)
	v_or_b32_e32 v16, 0x200, v0
	v_cmp_gt_u32_e32 vcc, s33, v16
	s_and_saveexec_b64 s[0:1], vcc
	s_cbranch_execz .LBB2245_154
; %bb.153:
	flat_store_dword v[6:7], v17 offset:2048
.LBB2245_154:
	s_or_b64 exec, exec, s[0:1]
	v_or_b32_e32 v16, 0x300, v0
	v_cmp_gt_u32_e32 vcc, s33, v16
	s_and_saveexec_b64 s[0:1], vcc
	s_cbranch_execz .LBB2245_156
; %bb.155:
	flat_store_dword v[6:7], v14 offset:3072
.LBB2245_156:
	s_or_b64 exec, exec, s[0:1]
	v_or_b32_e32 v14, 0x400, v0
	v_cmp_gt_u32_e32 vcc, s33, v14
	s_and_saveexec_b64 s[0:1], vcc
	s_cbranch_execz .LBB2245_158
; %bb.157:
	v_add_co_u32_e32 v16, vcc, 0x1000, v6
	v_addc_co_u32_e32 v17, vcc, 0, v7, vcc
	flat_store_dword v[16:17], v15
.LBB2245_158:
	s_or_b64 exec, exec, s[0:1]
	v_or_b32_e32 v14, 0x500, v0
	v_cmp_gt_u32_e32 vcc, s33, v14
	s_and_saveexec_b64 s[0:1], vcc
	s_cbranch_execz .LBB2245_160
; %bb.159:
	v_add_co_u32_e32 v14, vcc, 0x1000, v6
	v_addc_co_u32_e32 v15, vcc, 0, v7, vcc
	flat_store_dword v[14:15], v12 offset:1024
.LBB2245_160:
	s_or_b64 exec, exec, s[0:1]
	v_or_b32_e32 v12, 0x600, v0
	v_cmp_gt_u32_e32 vcc, s33, v12
	s_and_saveexec_b64 s[0:1], vcc
	s_cbranch_execz .LBB2245_162
; %bb.161:
	v_add_co_u32_e32 v14, vcc, 0x1000, v6
	v_addc_co_u32_e32 v15, vcc, 0, v7, vcc
	flat_store_dword v[14:15], v13 offset:2048
.LBB2245_162:
	s_or_b64 exec, exec, s[0:1]
	v_or_b32_e32 v12, 0x700, v0
	v_cmp_gt_u32_e32 vcc, s33, v12
	s_and_saveexec_b64 s[0:1], vcc
	s_cbranch_execz .LBB2245_164
; %bb.163:
	v_add_co_u32_e32 v12, vcc, 0x1000, v6
	v_addc_co_u32_e32 v13, vcc, 0, v7, vcc
	flat_store_dword v[12:13], v10 offset:3072
.LBB2245_164:
	s_or_b64 exec, exec, s[0:1]
	v_or_b32_e32 v10, 0x800, v0
	v_cmp_gt_u32_e32 vcc, s33, v10
	s_and_saveexec_b64 s[0:1], vcc
	s_cbranch_execz .LBB2245_166
; %bb.165:
	v_add_co_u32_e32 v12, vcc, 0x2000, v6
	v_addc_co_u32_e32 v13, vcc, 0, v7, vcc
	flat_store_dword v[12:13], v11
.LBB2245_166:
	s_or_b64 exec, exec, s[0:1]
	v_or_b32_e32 v10, 0x900, v0
	v_cmp_gt_u32_e32 vcc, s33, v10
	s_and_saveexec_b64 s[0:1], vcc
	s_cbranch_execz .LBB2245_168
; %bb.167:
	v_add_co_u32_e32 v10, vcc, 0x2000, v6
	v_addc_co_u32_e32 v11, vcc, 0, v7, vcc
	flat_store_dword v[10:11], v8 offset:1024
.LBB2245_168:
	s_or_b64 exec, exec, s[0:1]
	v_or_b32_e32 v8, 0xa00, v0
	v_cmp_gt_u32_e32 vcc, s33, v8
	s_and_saveexec_b64 s[0:1], vcc
	s_cbranch_execz .LBB2245_170
; %bb.169:
	v_add_co_u32_e32 v10, vcc, 0x2000, v6
	v_addc_co_u32_e32 v11, vcc, 0, v7, vcc
	flat_store_dword v[10:11], v9 offset:2048
.LBB2245_170:
	;; [unrolled: 10-line block ×3, first 2 shown]
	s_or_b64 exec, exec, s[0:1]
	v_or_b32_e32 v4, 0xc00, v0
	v_cmp_gt_u32_e32 vcc, s33, v4
	s_and_saveexec_b64 s[0:1], vcc
	s_cbranch_execz .LBB2245_174
; %bb.173:
	v_add_co_u32_e32 v6, vcc, 0x3000, v6
	v_addc_co_u32_e32 v7, vcc, 0, v7, vcc
	flat_store_dword v[6:7], v5
.LBB2245_174:
	s_or_b64 exec, exec, s[0:1]
	v_or_b32_e32 v4, 0xd00, v0
	v_cmp_gt_u32_e64 s[0:1], s33, v4
	s_branch .LBB2245_177
.LBB2245_175:
	s_mov_b64 s[0:1], 0
                                        ; implicit-def: $vgpr3
	s_cbranch_execz .LBB2245_177
; %bb.176:
	s_movk_i32 s2, 0xffcc
	s_waitcnt lgkmcnt(0)
	s_barrier
	ds_write2_b64 v2, v[26:27], v[44:45] offset1:1
	ds_write2_b64 v2, v[30:31], v[46:47] offset0:2 offset1:3
	ds_write2_b64 v2, v[34:35], v[48:49] offset0:4 offset1:5
	ds_write_b64 v2, v[50:51] offset:48
	v_mad_i32_i24 v2, v0, s2, v2
	v_add_co_u32_e32 v16, vcc, v18, v52
	s_waitcnt lgkmcnt(0)
	s_barrier
	ds_read2st64_b32 v[4:5], v2 offset1:4
	ds_read2st64_b32 v[6:7], v2 offset0:8 offset1:12
	ds_read2st64_b32 v[8:9], v2 offset0:16 offset1:20
	;; [unrolled: 1-line block ×6, first 2 shown]
	v_addc_co_u32_e32 v17, vcc, 0, v19, vcc
	s_movk_i32 s2, 0x1000
	s_waitcnt lgkmcnt(0)
	flat_store_dword v[16:17], v4
	flat_store_dword v[16:17], v5 offset:1024
	flat_store_dword v[16:17], v6 offset:2048
	;; [unrolled: 1-line block ×3, first 2 shown]
	v_add_co_u32_e32 v4, vcc, s2, v16
	v_addc_co_u32_e32 v5, vcc, 0, v17, vcc
	flat_store_dword v[4:5], v8
	flat_store_dword v[4:5], v9 offset:1024
	flat_store_dword v[4:5], v10 offset:2048
	;; [unrolled: 1-line block ×3, first 2 shown]
	v_add_co_u32_e32 v4, vcc, 0x2000, v16
	v_addc_co_u32_e32 v5, vcc, 0, v17, vcc
	flat_store_dword v[4:5], v12
	flat_store_dword v[4:5], v13 offset:1024
	flat_store_dword v[4:5], v14 offset:2048
	;; [unrolled: 1-line block ×3, first 2 shown]
	v_add_co_u32_e32 v4, vcc, 0x3000, v16
	v_mov_b32_e32 v1, 0
	v_addc_co_u32_e32 v5, vcc, 0, v17, vcc
	s_or_b64 s[0:1], s[0:1], exec
	flat_store_dword v[4:5], v2
.LBB2245_177:
	s_and_saveexec_b64 s[2:3], s[0:1]
	s_cbranch_execz .LBB2245_179
; %bb.178:
	v_lshlrev_b64 v[0:1], 2, v[0:1]
	v_add_co_u32_e32 v0, vcc, v18, v0
	v_addc_co_u32_e32 v1, vcc, v19, v1, vcc
	v_add_co_u32_e32 v0, vcc, 0x3000, v0
	v_addc_co_u32_e32 v1, vcc, 0, v1, vcc
	flat_store_dword v[0:1], v3 offset:1024
	s_endpgm
.LBB2245_179:
	s_endpgm
	.section	.rodata,"a",@progbits
	.p2align	6, 0x0
	.amdhsa_kernel _ZN7rocprim17ROCPRIM_400000_NS6detail17trampoline_kernelINS0_14default_configENS1_27scan_by_key_config_selectorIiiEEZZNS1_16scan_by_key_implILNS1_25lookback_scan_determinismE0ELb1ES3_N6thrust23THRUST_200600_302600_NS10device_ptrIiEESB_SB_iNS9_4plusIvEENS9_8equal_toIvEEiEE10hipError_tPvRmT2_T3_T4_T5_mT6_T7_P12ihipStream_tbENKUlT_T0_E_clISt17integral_constantIbLb1EESW_EEDaSR_SS_EUlSR_E_NS1_11comp_targetILNS1_3genE4ELNS1_11target_archE910ELNS1_3gpuE8ELNS1_3repE0EEENS1_30default_config_static_selectorELNS0_4arch9wavefront6targetE1EEEvT1_
		.amdhsa_group_segment_fixed_size 16384
		.amdhsa_private_segment_fixed_size 0
		.amdhsa_kernarg_size 112
		.amdhsa_user_sgpr_count 6
		.amdhsa_user_sgpr_private_segment_buffer 1
		.amdhsa_user_sgpr_dispatch_ptr 0
		.amdhsa_user_sgpr_queue_ptr 0
		.amdhsa_user_sgpr_kernarg_segment_ptr 1
		.amdhsa_user_sgpr_dispatch_id 0
		.amdhsa_user_sgpr_flat_scratch_init 0
		.amdhsa_user_sgpr_kernarg_preload_length 0
		.amdhsa_user_sgpr_kernarg_preload_offset 0
		.amdhsa_user_sgpr_private_segment_size 0
		.amdhsa_uses_dynamic_stack 0
		.amdhsa_system_sgpr_private_segment_wavefront_offset 0
		.amdhsa_system_sgpr_workgroup_id_x 1
		.amdhsa_system_sgpr_workgroup_id_y 0
		.amdhsa_system_sgpr_workgroup_id_z 0
		.amdhsa_system_sgpr_workgroup_info 0
		.amdhsa_system_vgpr_workitem_id 0
		.amdhsa_next_free_vgpr 67
		.amdhsa_next_free_sgpr 60
		.amdhsa_accum_offset 68
		.amdhsa_reserve_vcc 1
		.amdhsa_reserve_flat_scratch 0
		.amdhsa_float_round_mode_32 0
		.amdhsa_float_round_mode_16_64 0
		.amdhsa_float_denorm_mode_32 3
		.amdhsa_float_denorm_mode_16_64 3
		.amdhsa_dx10_clamp 1
		.amdhsa_ieee_mode 1
		.amdhsa_fp16_overflow 0
		.amdhsa_tg_split 0
		.amdhsa_exception_fp_ieee_invalid_op 0
		.amdhsa_exception_fp_denorm_src 0
		.amdhsa_exception_fp_ieee_div_zero 0
		.amdhsa_exception_fp_ieee_overflow 0
		.amdhsa_exception_fp_ieee_underflow 0
		.amdhsa_exception_fp_ieee_inexact 0
		.amdhsa_exception_int_div_zero 0
	.end_amdhsa_kernel
	.section	.text._ZN7rocprim17ROCPRIM_400000_NS6detail17trampoline_kernelINS0_14default_configENS1_27scan_by_key_config_selectorIiiEEZZNS1_16scan_by_key_implILNS1_25lookback_scan_determinismE0ELb1ES3_N6thrust23THRUST_200600_302600_NS10device_ptrIiEESB_SB_iNS9_4plusIvEENS9_8equal_toIvEEiEE10hipError_tPvRmT2_T3_T4_T5_mT6_T7_P12ihipStream_tbENKUlT_T0_E_clISt17integral_constantIbLb1EESW_EEDaSR_SS_EUlSR_E_NS1_11comp_targetILNS1_3genE4ELNS1_11target_archE910ELNS1_3gpuE8ELNS1_3repE0EEENS1_30default_config_static_selectorELNS0_4arch9wavefront6targetE1EEEvT1_,"axG",@progbits,_ZN7rocprim17ROCPRIM_400000_NS6detail17trampoline_kernelINS0_14default_configENS1_27scan_by_key_config_selectorIiiEEZZNS1_16scan_by_key_implILNS1_25lookback_scan_determinismE0ELb1ES3_N6thrust23THRUST_200600_302600_NS10device_ptrIiEESB_SB_iNS9_4plusIvEENS9_8equal_toIvEEiEE10hipError_tPvRmT2_T3_T4_T5_mT6_T7_P12ihipStream_tbENKUlT_T0_E_clISt17integral_constantIbLb1EESW_EEDaSR_SS_EUlSR_E_NS1_11comp_targetILNS1_3genE4ELNS1_11target_archE910ELNS1_3gpuE8ELNS1_3repE0EEENS1_30default_config_static_selectorELNS0_4arch9wavefront6targetE1EEEvT1_,comdat
.Lfunc_end2245:
	.size	_ZN7rocprim17ROCPRIM_400000_NS6detail17trampoline_kernelINS0_14default_configENS1_27scan_by_key_config_selectorIiiEEZZNS1_16scan_by_key_implILNS1_25lookback_scan_determinismE0ELb1ES3_N6thrust23THRUST_200600_302600_NS10device_ptrIiEESB_SB_iNS9_4plusIvEENS9_8equal_toIvEEiEE10hipError_tPvRmT2_T3_T4_T5_mT6_T7_P12ihipStream_tbENKUlT_T0_E_clISt17integral_constantIbLb1EESW_EEDaSR_SS_EUlSR_E_NS1_11comp_targetILNS1_3genE4ELNS1_11target_archE910ELNS1_3gpuE8ELNS1_3repE0EEENS1_30default_config_static_selectorELNS0_4arch9wavefront6targetE1EEEvT1_, .Lfunc_end2245-_ZN7rocprim17ROCPRIM_400000_NS6detail17trampoline_kernelINS0_14default_configENS1_27scan_by_key_config_selectorIiiEEZZNS1_16scan_by_key_implILNS1_25lookback_scan_determinismE0ELb1ES3_N6thrust23THRUST_200600_302600_NS10device_ptrIiEESB_SB_iNS9_4plusIvEENS9_8equal_toIvEEiEE10hipError_tPvRmT2_T3_T4_T5_mT6_T7_P12ihipStream_tbENKUlT_T0_E_clISt17integral_constantIbLb1EESW_EEDaSR_SS_EUlSR_E_NS1_11comp_targetILNS1_3genE4ELNS1_11target_archE910ELNS1_3gpuE8ELNS1_3repE0EEENS1_30default_config_static_selectorELNS0_4arch9wavefront6targetE1EEEvT1_
                                        ; -- End function
	.section	.AMDGPU.csdata,"",@progbits
; Kernel info:
; codeLenInByte = 11288
; NumSgprs: 64
; NumVgprs: 67
; NumAgprs: 0
; TotalNumVgprs: 67
; ScratchSize: 0
; MemoryBound: 0
; FloatMode: 240
; IeeeMode: 1
; LDSByteSize: 16384 bytes/workgroup (compile time only)
; SGPRBlocks: 7
; VGPRBlocks: 8
; NumSGPRsForWavesPerEU: 64
; NumVGPRsForWavesPerEU: 67
; AccumOffset: 68
; Occupancy: 4
; WaveLimiterHint : 1
; COMPUTE_PGM_RSRC2:SCRATCH_EN: 0
; COMPUTE_PGM_RSRC2:USER_SGPR: 6
; COMPUTE_PGM_RSRC2:TRAP_HANDLER: 0
; COMPUTE_PGM_RSRC2:TGID_X_EN: 1
; COMPUTE_PGM_RSRC2:TGID_Y_EN: 0
; COMPUTE_PGM_RSRC2:TGID_Z_EN: 0
; COMPUTE_PGM_RSRC2:TIDIG_COMP_CNT: 0
; COMPUTE_PGM_RSRC3_GFX90A:ACCUM_OFFSET: 16
; COMPUTE_PGM_RSRC3_GFX90A:TG_SPLIT: 0
	.section	.text._ZN7rocprim17ROCPRIM_400000_NS6detail17trampoline_kernelINS0_14default_configENS1_27scan_by_key_config_selectorIiiEEZZNS1_16scan_by_key_implILNS1_25lookback_scan_determinismE0ELb1ES3_N6thrust23THRUST_200600_302600_NS10device_ptrIiEESB_SB_iNS9_4plusIvEENS9_8equal_toIvEEiEE10hipError_tPvRmT2_T3_T4_T5_mT6_T7_P12ihipStream_tbENKUlT_T0_E_clISt17integral_constantIbLb1EESW_EEDaSR_SS_EUlSR_E_NS1_11comp_targetILNS1_3genE3ELNS1_11target_archE908ELNS1_3gpuE7ELNS1_3repE0EEENS1_30default_config_static_selectorELNS0_4arch9wavefront6targetE1EEEvT1_,"axG",@progbits,_ZN7rocprim17ROCPRIM_400000_NS6detail17trampoline_kernelINS0_14default_configENS1_27scan_by_key_config_selectorIiiEEZZNS1_16scan_by_key_implILNS1_25lookback_scan_determinismE0ELb1ES3_N6thrust23THRUST_200600_302600_NS10device_ptrIiEESB_SB_iNS9_4plusIvEENS9_8equal_toIvEEiEE10hipError_tPvRmT2_T3_T4_T5_mT6_T7_P12ihipStream_tbENKUlT_T0_E_clISt17integral_constantIbLb1EESW_EEDaSR_SS_EUlSR_E_NS1_11comp_targetILNS1_3genE3ELNS1_11target_archE908ELNS1_3gpuE7ELNS1_3repE0EEENS1_30default_config_static_selectorELNS0_4arch9wavefront6targetE1EEEvT1_,comdat
	.protected	_ZN7rocprim17ROCPRIM_400000_NS6detail17trampoline_kernelINS0_14default_configENS1_27scan_by_key_config_selectorIiiEEZZNS1_16scan_by_key_implILNS1_25lookback_scan_determinismE0ELb1ES3_N6thrust23THRUST_200600_302600_NS10device_ptrIiEESB_SB_iNS9_4plusIvEENS9_8equal_toIvEEiEE10hipError_tPvRmT2_T3_T4_T5_mT6_T7_P12ihipStream_tbENKUlT_T0_E_clISt17integral_constantIbLb1EESW_EEDaSR_SS_EUlSR_E_NS1_11comp_targetILNS1_3genE3ELNS1_11target_archE908ELNS1_3gpuE7ELNS1_3repE0EEENS1_30default_config_static_selectorELNS0_4arch9wavefront6targetE1EEEvT1_ ; -- Begin function _ZN7rocprim17ROCPRIM_400000_NS6detail17trampoline_kernelINS0_14default_configENS1_27scan_by_key_config_selectorIiiEEZZNS1_16scan_by_key_implILNS1_25lookback_scan_determinismE0ELb1ES3_N6thrust23THRUST_200600_302600_NS10device_ptrIiEESB_SB_iNS9_4plusIvEENS9_8equal_toIvEEiEE10hipError_tPvRmT2_T3_T4_T5_mT6_T7_P12ihipStream_tbENKUlT_T0_E_clISt17integral_constantIbLb1EESW_EEDaSR_SS_EUlSR_E_NS1_11comp_targetILNS1_3genE3ELNS1_11target_archE908ELNS1_3gpuE7ELNS1_3repE0EEENS1_30default_config_static_selectorELNS0_4arch9wavefront6targetE1EEEvT1_
	.globl	_ZN7rocprim17ROCPRIM_400000_NS6detail17trampoline_kernelINS0_14default_configENS1_27scan_by_key_config_selectorIiiEEZZNS1_16scan_by_key_implILNS1_25lookback_scan_determinismE0ELb1ES3_N6thrust23THRUST_200600_302600_NS10device_ptrIiEESB_SB_iNS9_4plusIvEENS9_8equal_toIvEEiEE10hipError_tPvRmT2_T3_T4_T5_mT6_T7_P12ihipStream_tbENKUlT_T0_E_clISt17integral_constantIbLb1EESW_EEDaSR_SS_EUlSR_E_NS1_11comp_targetILNS1_3genE3ELNS1_11target_archE908ELNS1_3gpuE7ELNS1_3repE0EEENS1_30default_config_static_selectorELNS0_4arch9wavefront6targetE1EEEvT1_
	.p2align	8
	.type	_ZN7rocprim17ROCPRIM_400000_NS6detail17trampoline_kernelINS0_14default_configENS1_27scan_by_key_config_selectorIiiEEZZNS1_16scan_by_key_implILNS1_25lookback_scan_determinismE0ELb1ES3_N6thrust23THRUST_200600_302600_NS10device_ptrIiEESB_SB_iNS9_4plusIvEENS9_8equal_toIvEEiEE10hipError_tPvRmT2_T3_T4_T5_mT6_T7_P12ihipStream_tbENKUlT_T0_E_clISt17integral_constantIbLb1EESW_EEDaSR_SS_EUlSR_E_NS1_11comp_targetILNS1_3genE3ELNS1_11target_archE908ELNS1_3gpuE7ELNS1_3repE0EEENS1_30default_config_static_selectorELNS0_4arch9wavefront6targetE1EEEvT1_,@function
_ZN7rocprim17ROCPRIM_400000_NS6detail17trampoline_kernelINS0_14default_configENS1_27scan_by_key_config_selectorIiiEEZZNS1_16scan_by_key_implILNS1_25lookback_scan_determinismE0ELb1ES3_N6thrust23THRUST_200600_302600_NS10device_ptrIiEESB_SB_iNS9_4plusIvEENS9_8equal_toIvEEiEE10hipError_tPvRmT2_T3_T4_T5_mT6_T7_P12ihipStream_tbENKUlT_T0_E_clISt17integral_constantIbLb1EESW_EEDaSR_SS_EUlSR_E_NS1_11comp_targetILNS1_3genE3ELNS1_11target_archE908ELNS1_3gpuE7ELNS1_3repE0EEENS1_30default_config_static_selectorELNS0_4arch9wavefront6targetE1EEEvT1_: ; @_ZN7rocprim17ROCPRIM_400000_NS6detail17trampoline_kernelINS0_14default_configENS1_27scan_by_key_config_selectorIiiEEZZNS1_16scan_by_key_implILNS1_25lookback_scan_determinismE0ELb1ES3_N6thrust23THRUST_200600_302600_NS10device_ptrIiEESB_SB_iNS9_4plusIvEENS9_8equal_toIvEEiEE10hipError_tPvRmT2_T3_T4_T5_mT6_T7_P12ihipStream_tbENKUlT_T0_E_clISt17integral_constantIbLb1EESW_EEDaSR_SS_EUlSR_E_NS1_11comp_targetILNS1_3genE3ELNS1_11target_archE908ELNS1_3gpuE7ELNS1_3repE0EEENS1_30default_config_static_selectorELNS0_4arch9wavefront6targetE1EEEvT1_
; %bb.0:
	.section	.rodata,"a",@progbits
	.p2align	6, 0x0
	.amdhsa_kernel _ZN7rocprim17ROCPRIM_400000_NS6detail17trampoline_kernelINS0_14default_configENS1_27scan_by_key_config_selectorIiiEEZZNS1_16scan_by_key_implILNS1_25lookback_scan_determinismE0ELb1ES3_N6thrust23THRUST_200600_302600_NS10device_ptrIiEESB_SB_iNS9_4plusIvEENS9_8equal_toIvEEiEE10hipError_tPvRmT2_T3_T4_T5_mT6_T7_P12ihipStream_tbENKUlT_T0_E_clISt17integral_constantIbLb1EESW_EEDaSR_SS_EUlSR_E_NS1_11comp_targetILNS1_3genE3ELNS1_11target_archE908ELNS1_3gpuE7ELNS1_3repE0EEENS1_30default_config_static_selectorELNS0_4arch9wavefront6targetE1EEEvT1_
		.amdhsa_group_segment_fixed_size 0
		.amdhsa_private_segment_fixed_size 0
		.amdhsa_kernarg_size 112
		.amdhsa_user_sgpr_count 6
		.amdhsa_user_sgpr_private_segment_buffer 1
		.amdhsa_user_sgpr_dispatch_ptr 0
		.amdhsa_user_sgpr_queue_ptr 0
		.amdhsa_user_sgpr_kernarg_segment_ptr 1
		.amdhsa_user_sgpr_dispatch_id 0
		.amdhsa_user_sgpr_flat_scratch_init 0
		.amdhsa_user_sgpr_kernarg_preload_length 0
		.amdhsa_user_sgpr_kernarg_preload_offset 0
		.amdhsa_user_sgpr_private_segment_size 0
		.amdhsa_uses_dynamic_stack 0
		.amdhsa_system_sgpr_private_segment_wavefront_offset 0
		.amdhsa_system_sgpr_workgroup_id_x 1
		.amdhsa_system_sgpr_workgroup_id_y 0
		.amdhsa_system_sgpr_workgroup_id_z 0
		.amdhsa_system_sgpr_workgroup_info 0
		.amdhsa_system_vgpr_workitem_id 0
		.amdhsa_next_free_vgpr 1
		.amdhsa_next_free_sgpr 0
		.amdhsa_accum_offset 4
		.amdhsa_reserve_vcc 0
		.amdhsa_reserve_flat_scratch 0
		.amdhsa_float_round_mode_32 0
		.amdhsa_float_round_mode_16_64 0
		.amdhsa_float_denorm_mode_32 3
		.amdhsa_float_denorm_mode_16_64 3
		.amdhsa_dx10_clamp 1
		.amdhsa_ieee_mode 1
		.amdhsa_fp16_overflow 0
		.amdhsa_tg_split 0
		.amdhsa_exception_fp_ieee_invalid_op 0
		.amdhsa_exception_fp_denorm_src 0
		.amdhsa_exception_fp_ieee_div_zero 0
		.amdhsa_exception_fp_ieee_overflow 0
		.amdhsa_exception_fp_ieee_underflow 0
		.amdhsa_exception_fp_ieee_inexact 0
		.amdhsa_exception_int_div_zero 0
	.end_amdhsa_kernel
	.section	.text._ZN7rocprim17ROCPRIM_400000_NS6detail17trampoline_kernelINS0_14default_configENS1_27scan_by_key_config_selectorIiiEEZZNS1_16scan_by_key_implILNS1_25lookback_scan_determinismE0ELb1ES3_N6thrust23THRUST_200600_302600_NS10device_ptrIiEESB_SB_iNS9_4plusIvEENS9_8equal_toIvEEiEE10hipError_tPvRmT2_T3_T4_T5_mT6_T7_P12ihipStream_tbENKUlT_T0_E_clISt17integral_constantIbLb1EESW_EEDaSR_SS_EUlSR_E_NS1_11comp_targetILNS1_3genE3ELNS1_11target_archE908ELNS1_3gpuE7ELNS1_3repE0EEENS1_30default_config_static_selectorELNS0_4arch9wavefront6targetE1EEEvT1_,"axG",@progbits,_ZN7rocprim17ROCPRIM_400000_NS6detail17trampoline_kernelINS0_14default_configENS1_27scan_by_key_config_selectorIiiEEZZNS1_16scan_by_key_implILNS1_25lookback_scan_determinismE0ELb1ES3_N6thrust23THRUST_200600_302600_NS10device_ptrIiEESB_SB_iNS9_4plusIvEENS9_8equal_toIvEEiEE10hipError_tPvRmT2_T3_T4_T5_mT6_T7_P12ihipStream_tbENKUlT_T0_E_clISt17integral_constantIbLb1EESW_EEDaSR_SS_EUlSR_E_NS1_11comp_targetILNS1_3genE3ELNS1_11target_archE908ELNS1_3gpuE7ELNS1_3repE0EEENS1_30default_config_static_selectorELNS0_4arch9wavefront6targetE1EEEvT1_,comdat
.Lfunc_end2246:
	.size	_ZN7rocprim17ROCPRIM_400000_NS6detail17trampoline_kernelINS0_14default_configENS1_27scan_by_key_config_selectorIiiEEZZNS1_16scan_by_key_implILNS1_25lookback_scan_determinismE0ELb1ES3_N6thrust23THRUST_200600_302600_NS10device_ptrIiEESB_SB_iNS9_4plusIvEENS9_8equal_toIvEEiEE10hipError_tPvRmT2_T3_T4_T5_mT6_T7_P12ihipStream_tbENKUlT_T0_E_clISt17integral_constantIbLb1EESW_EEDaSR_SS_EUlSR_E_NS1_11comp_targetILNS1_3genE3ELNS1_11target_archE908ELNS1_3gpuE7ELNS1_3repE0EEENS1_30default_config_static_selectorELNS0_4arch9wavefront6targetE1EEEvT1_, .Lfunc_end2246-_ZN7rocprim17ROCPRIM_400000_NS6detail17trampoline_kernelINS0_14default_configENS1_27scan_by_key_config_selectorIiiEEZZNS1_16scan_by_key_implILNS1_25lookback_scan_determinismE0ELb1ES3_N6thrust23THRUST_200600_302600_NS10device_ptrIiEESB_SB_iNS9_4plusIvEENS9_8equal_toIvEEiEE10hipError_tPvRmT2_T3_T4_T5_mT6_T7_P12ihipStream_tbENKUlT_T0_E_clISt17integral_constantIbLb1EESW_EEDaSR_SS_EUlSR_E_NS1_11comp_targetILNS1_3genE3ELNS1_11target_archE908ELNS1_3gpuE7ELNS1_3repE0EEENS1_30default_config_static_selectorELNS0_4arch9wavefront6targetE1EEEvT1_
                                        ; -- End function
	.section	.AMDGPU.csdata,"",@progbits
; Kernel info:
; codeLenInByte = 0
; NumSgprs: 4
; NumVgprs: 0
; NumAgprs: 0
; TotalNumVgprs: 0
; ScratchSize: 0
; MemoryBound: 0
; FloatMode: 240
; IeeeMode: 1
; LDSByteSize: 0 bytes/workgroup (compile time only)
; SGPRBlocks: 0
; VGPRBlocks: 0
; NumSGPRsForWavesPerEU: 4
; NumVGPRsForWavesPerEU: 1
; AccumOffset: 4
; Occupancy: 8
; WaveLimiterHint : 0
; COMPUTE_PGM_RSRC2:SCRATCH_EN: 0
; COMPUTE_PGM_RSRC2:USER_SGPR: 6
; COMPUTE_PGM_RSRC2:TRAP_HANDLER: 0
; COMPUTE_PGM_RSRC2:TGID_X_EN: 1
; COMPUTE_PGM_RSRC2:TGID_Y_EN: 0
; COMPUTE_PGM_RSRC2:TGID_Z_EN: 0
; COMPUTE_PGM_RSRC2:TIDIG_COMP_CNT: 0
; COMPUTE_PGM_RSRC3_GFX90A:ACCUM_OFFSET: 0
; COMPUTE_PGM_RSRC3_GFX90A:TG_SPLIT: 0
	.section	.text._ZN7rocprim17ROCPRIM_400000_NS6detail17trampoline_kernelINS0_14default_configENS1_27scan_by_key_config_selectorIiiEEZZNS1_16scan_by_key_implILNS1_25lookback_scan_determinismE0ELb1ES3_N6thrust23THRUST_200600_302600_NS10device_ptrIiEESB_SB_iNS9_4plusIvEENS9_8equal_toIvEEiEE10hipError_tPvRmT2_T3_T4_T5_mT6_T7_P12ihipStream_tbENKUlT_T0_E_clISt17integral_constantIbLb1EESW_EEDaSR_SS_EUlSR_E_NS1_11comp_targetILNS1_3genE2ELNS1_11target_archE906ELNS1_3gpuE6ELNS1_3repE0EEENS1_30default_config_static_selectorELNS0_4arch9wavefront6targetE1EEEvT1_,"axG",@progbits,_ZN7rocprim17ROCPRIM_400000_NS6detail17trampoline_kernelINS0_14default_configENS1_27scan_by_key_config_selectorIiiEEZZNS1_16scan_by_key_implILNS1_25lookback_scan_determinismE0ELb1ES3_N6thrust23THRUST_200600_302600_NS10device_ptrIiEESB_SB_iNS9_4plusIvEENS9_8equal_toIvEEiEE10hipError_tPvRmT2_T3_T4_T5_mT6_T7_P12ihipStream_tbENKUlT_T0_E_clISt17integral_constantIbLb1EESW_EEDaSR_SS_EUlSR_E_NS1_11comp_targetILNS1_3genE2ELNS1_11target_archE906ELNS1_3gpuE6ELNS1_3repE0EEENS1_30default_config_static_selectorELNS0_4arch9wavefront6targetE1EEEvT1_,comdat
	.protected	_ZN7rocprim17ROCPRIM_400000_NS6detail17trampoline_kernelINS0_14default_configENS1_27scan_by_key_config_selectorIiiEEZZNS1_16scan_by_key_implILNS1_25lookback_scan_determinismE0ELb1ES3_N6thrust23THRUST_200600_302600_NS10device_ptrIiEESB_SB_iNS9_4plusIvEENS9_8equal_toIvEEiEE10hipError_tPvRmT2_T3_T4_T5_mT6_T7_P12ihipStream_tbENKUlT_T0_E_clISt17integral_constantIbLb1EESW_EEDaSR_SS_EUlSR_E_NS1_11comp_targetILNS1_3genE2ELNS1_11target_archE906ELNS1_3gpuE6ELNS1_3repE0EEENS1_30default_config_static_selectorELNS0_4arch9wavefront6targetE1EEEvT1_ ; -- Begin function _ZN7rocprim17ROCPRIM_400000_NS6detail17trampoline_kernelINS0_14default_configENS1_27scan_by_key_config_selectorIiiEEZZNS1_16scan_by_key_implILNS1_25lookback_scan_determinismE0ELb1ES3_N6thrust23THRUST_200600_302600_NS10device_ptrIiEESB_SB_iNS9_4plusIvEENS9_8equal_toIvEEiEE10hipError_tPvRmT2_T3_T4_T5_mT6_T7_P12ihipStream_tbENKUlT_T0_E_clISt17integral_constantIbLb1EESW_EEDaSR_SS_EUlSR_E_NS1_11comp_targetILNS1_3genE2ELNS1_11target_archE906ELNS1_3gpuE6ELNS1_3repE0EEENS1_30default_config_static_selectorELNS0_4arch9wavefront6targetE1EEEvT1_
	.globl	_ZN7rocprim17ROCPRIM_400000_NS6detail17trampoline_kernelINS0_14default_configENS1_27scan_by_key_config_selectorIiiEEZZNS1_16scan_by_key_implILNS1_25lookback_scan_determinismE0ELb1ES3_N6thrust23THRUST_200600_302600_NS10device_ptrIiEESB_SB_iNS9_4plusIvEENS9_8equal_toIvEEiEE10hipError_tPvRmT2_T3_T4_T5_mT6_T7_P12ihipStream_tbENKUlT_T0_E_clISt17integral_constantIbLb1EESW_EEDaSR_SS_EUlSR_E_NS1_11comp_targetILNS1_3genE2ELNS1_11target_archE906ELNS1_3gpuE6ELNS1_3repE0EEENS1_30default_config_static_selectorELNS0_4arch9wavefront6targetE1EEEvT1_
	.p2align	8
	.type	_ZN7rocprim17ROCPRIM_400000_NS6detail17trampoline_kernelINS0_14default_configENS1_27scan_by_key_config_selectorIiiEEZZNS1_16scan_by_key_implILNS1_25lookback_scan_determinismE0ELb1ES3_N6thrust23THRUST_200600_302600_NS10device_ptrIiEESB_SB_iNS9_4plusIvEENS9_8equal_toIvEEiEE10hipError_tPvRmT2_T3_T4_T5_mT6_T7_P12ihipStream_tbENKUlT_T0_E_clISt17integral_constantIbLb1EESW_EEDaSR_SS_EUlSR_E_NS1_11comp_targetILNS1_3genE2ELNS1_11target_archE906ELNS1_3gpuE6ELNS1_3repE0EEENS1_30default_config_static_selectorELNS0_4arch9wavefront6targetE1EEEvT1_,@function
_ZN7rocprim17ROCPRIM_400000_NS6detail17trampoline_kernelINS0_14default_configENS1_27scan_by_key_config_selectorIiiEEZZNS1_16scan_by_key_implILNS1_25lookback_scan_determinismE0ELb1ES3_N6thrust23THRUST_200600_302600_NS10device_ptrIiEESB_SB_iNS9_4plusIvEENS9_8equal_toIvEEiEE10hipError_tPvRmT2_T3_T4_T5_mT6_T7_P12ihipStream_tbENKUlT_T0_E_clISt17integral_constantIbLb1EESW_EEDaSR_SS_EUlSR_E_NS1_11comp_targetILNS1_3genE2ELNS1_11target_archE906ELNS1_3gpuE6ELNS1_3repE0EEENS1_30default_config_static_selectorELNS0_4arch9wavefront6targetE1EEEvT1_: ; @_ZN7rocprim17ROCPRIM_400000_NS6detail17trampoline_kernelINS0_14default_configENS1_27scan_by_key_config_selectorIiiEEZZNS1_16scan_by_key_implILNS1_25lookback_scan_determinismE0ELb1ES3_N6thrust23THRUST_200600_302600_NS10device_ptrIiEESB_SB_iNS9_4plusIvEENS9_8equal_toIvEEiEE10hipError_tPvRmT2_T3_T4_T5_mT6_T7_P12ihipStream_tbENKUlT_T0_E_clISt17integral_constantIbLb1EESW_EEDaSR_SS_EUlSR_E_NS1_11comp_targetILNS1_3genE2ELNS1_11target_archE906ELNS1_3gpuE6ELNS1_3repE0EEENS1_30default_config_static_selectorELNS0_4arch9wavefront6targetE1EEEvT1_
; %bb.0:
	.section	.rodata,"a",@progbits
	.p2align	6, 0x0
	.amdhsa_kernel _ZN7rocprim17ROCPRIM_400000_NS6detail17trampoline_kernelINS0_14default_configENS1_27scan_by_key_config_selectorIiiEEZZNS1_16scan_by_key_implILNS1_25lookback_scan_determinismE0ELb1ES3_N6thrust23THRUST_200600_302600_NS10device_ptrIiEESB_SB_iNS9_4plusIvEENS9_8equal_toIvEEiEE10hipError_tPvRmT2_T3_T4_T5_mT6_T7_P12ihipStream_tbENKUlT_T0_E_clISt17integral_constantIbLb1EESW_EEDaSR_SS_EUlSR_E_NS1_11comp_targetILNS1_3genE2ELNS1_11target_archE906ELNS1_3gpuE6ELNS1_3repE0EEENS1_30default_config_static_selectorELNS0_4arch9wavefront6targetE1EEEvT1_
		.amdhsa_group_segment_fixed_size 0
		.amdhsa_private_segment_fixed_size 0
		.amdhsa_kernarg_size 112
		.amdhsa_user_sgpr_count 6
		.amdhsa_user_sgpr_private_segment_buffer 1
		.amdhsa_user_sgpr_dispatch_ptr 0
		.amdhsa_user_sgpr_queue_ptr 0
		.amdhsa_user_sgpr_kernarg_segment_ptr 1
		.amdhsa_user_sgpr_dispatch_id 0
		.amdhsa_user_sgpr_flat_scratch_init 0
		.amdhsa_user_sgpr_kernarg_preload_length 0
		.amdhsa_user_sgpr_kernarg_preload_offset 0
		.amdhsa_user_sgpr_private_segment_size 0
		.amdhsa_uses_dynamic_stack 0
		.amdhsa_system_sgpr_private_segment_wavefront_offset 0
		.amdhsa_system_sgpr_workgroup_id_x 1
		.amdhsa_system_sgpr_workgroup_id_y 0
		.amdhsa_system_sgpr_workgroup_id_z 0
		.amdhsa_system_sgpr_workgroup_info 0
		.amdhsa_system_vgpr_workitem_id 0
		.amdhsa_next_free_vgpr 1
		.amdhsa_next_free_sgpr 0
		.amdhsa_accum_offset 4
		.amdhsa_reserve_vcc 0
		.amdhsa_reserve_flat_scratch 0
		.amdhsa_float_round_mode_32 0
		.amdhsa_float_round_mode_16_64 0
		.amdhsa_float_denorm_mode_32 3
		.amdhsa_float_denorm_mode_16_64 3
		.amdhsa_dx10_clamp 1
		.amdhsa_ieee_mode 1
		.amdhsa_fp16_overflow 0
		.amdhsa_tg_split 0
		.amdhsa_exception_fp_ieee_invalid_op 0
		.amdhsa_exception_fp_denorm_src 0
		.amdhsa_exception_fp_ieee_div_zero 0
		.amdhsa_exception_fp_ieee_overflow 0
		.amdhsa_exception_fp_ieee_underflow 0
		.amdhsa_exception_fp_ieee_inexact 0
		.amdhsa_exception_int_div_zero 0
	.end_amdhsa_kernel
	.section	.text._ZN7rocprim17ROCPRIM_400000_NS6detail17trampoline_kernelINS0_14default_configENS1_27scan_by_key_config_selectorIiiEEZZNS1_16scan_by_key_implILNS1_25lookback_scan_determinismE0ELb1ES3_N6thrust23THRUST_200600_302600_NS10device_ptrIiEESB_SB_iNS9_4plusIvEENS9_8equal_toIvEEiEE10hipError_tPvRmT2_T3_T4_T5_mT6_T7_P12ihipStream_tbENKUlT_T0_E_clISt17integral_constantIbLb1EESW_EEDaSR_SS_EUlSR_E_NS1_11comp_targetILNS1_3genE2ELNS1_11target_archE906ELNS1_3gpuE6ELNS1_3repE0EEENS1_30default_config_static_selectorELNS0_4arch9wavefront6targetE1EEEvT1_,"axG",@progbits,_ZN7rocprim17ROCPRIM_400000_NS6detail17trampoline_kernelINS0_14default_configENS1_27scan_by_key_config_selectorIiiEEZZNS1_16scan_by_key_implILNS1_25lookback_scan_determinismE0ELb1ES3_N6thrust23THRUST_200600_302600_NS10device_ptrIiEESB_SB_iNS9_4plusIvEENS9_8equal_toIvEEiEE10hipError_tPvRmT2_T3_T4_T5_mT6_T7_P12ihipStream_tbENKUlT_T0_E_clISt17integral_constantIbLb1EESW_EEDaSR_SS_EUlSR_E_NS1_11comp_targetILNS1_3genE2ELNS1_11target_archE906ELNS1_3gpuE6ELNS1_3repE0EEENS1_30default_config_static_selectorELNS0_4arch9wavefront6targetE1EEEvT1_,comdat
.Lfunc_end2247:
	.size	_ZN7rocprim17ROCPRIM_400000_NS6detail17trampoline_kernelINS0_14default_configENS1_27scan_by_key_config_selectorIiiEEZZNS1_16scan_by_key_implILNS1_25lookback_scan_determinismE0ELb1ES3_N6thrust23THRUST_200600_302600_NS10device_ptrIiEESB_SB_iNS9_4plusIvEENS9_8equal_toIvEEiEE10hipError_tPvRmT2_T3_T4_T5_mT6_T7_P12ihipStream_tbENKUlT_T0_E_clISt17integral_constantIbLb1EESW_EEDaSR_SS_EUlSR_E_NS1_11comp_targetILNS1_3genE2ELNS1_11target_archE906ELNS1_3gpuE6ELNS1_3repE0EEENS1_30default_config_static_selectorELNS0_4arch9wavefront6targetE1EEEvT1_, .Lfunc_end2247-_ZN7rocprim17ROCPRIM_400000_NS6detail17trampoline_kernelINS0_14default_configENS1_27scan_by_key_config_selectorIiiEEZZNS1_16scan_by_key_implILNS1_25lookback_scan_determinismE0ELb1ES3_N6thrust23THRUST_200600_302600_NS10device_ptrIiEESB_SB_iNS9_4plusIvEENS9_8equal_toIvEEiEE10hipError_tPvRmT2_T3_T4_T5_mT6_T7_P12ihipStream_tbENKUlT_T0_E_clISt17integral_constantIbLb1EESW_EEDaSR_SS_EUlSR_E_NS1_11comp_targetILNS1_3genE2ELNS1_11target_archE906ELNS1_3gpuE6ELNS1_3repE0EEENS1_30default_config_static_selectorELNS0_4arch9wavefront6targetE1EEEvT1_
                                        ; -- End function
	.section	.AMDGPU.csdata,"",@progbits
; Kernel info:
; codeLenInByte = 0
; NumSgprs: 4
; NumVgprs: 0
; NumAgprs: 0
; TotalNumVgprs: 0
; ScratchSize: 0
; MemoryBound: 0
; FloatMode: 240
; IeeeMode: 1
; LDSByteSize: 0 bytes/workgroup (compile time only)
; SGPRBlocks: 0
; VGPRBlocks: 0
; NumSGPRsForWavesPerEU: 4
; NumVGPRsForWavesPerEU: 1
; AccumOffset: 4
; Occupancy: 8
; WaveLimiterHint : 0
; COMPUTE_PGM_RSRC2:SCRATCH_EN: 0
; COMPUTE_PGM_RSRC2:USER_SGPR: 6
; COMPUTE_PGM_RSRC2:TRAP_HANDLER: 0
; COMPUTE_PGM_RSRC2:TGID_X_EN: 1
; COMPUTE_PGM_RSRC2:TGID_Y_EN: 0
; COMPUTE_PGM_RSRC2:TGID_Z_EN: 0
; COMPUTE_PGM_RSRC2:TIDIG_COMP_CNT: 0
; COMPUTE_PGM_RSRC3_GFX90A:ACCUM_OFFSET: 0
; COMPUTE_PGM_RSRC3_GFX90A:TG_SPLIT: 0
	.section	.text._ZN7rocprim17ROCPRIM_400000_NS6detail17trampoline_kernelINS0_14default_configENS1_27scan_by_key_config_selectorIiiEEZZNS1_16scan_by_key_implILNS1_25lookback_scan_determinismE0ELb1ES3_N6thrust23THRUST_200600_302600_NS10device_ptrIiEESB_SB_iNS9_4plusIvEENS9_8equal_toIvEEiEE10hipError_tPvRmT2_T3_T4_T5_mT6_T7_P12ihipStream_tbENKUlT_T0_E_clISt17integral_constantIbLb1EESW_EEDaSR_SS_EUlSR_E_NS1_11comp_targetILNS1_3genE10ELNS1_11target_archE1200ELNS1_3gpuE4ELNS1_3repE0EEENS1_30default_config_static_selectorELNS0_4arch9wavefront6targetE1EEEvT1_,"axG",@progbits,_ZN7rocprim17ROCPRIM_400000_NS6detail17trampoline_kernelINS0_14default_configENS1_27scan_by_key_config_selectorIiiEEZZNS1_16scan_by_key_implILNS1_25lookback_scan_determinismE0ELb1ES3_N6thrust23THRUST_200600_302600_NS10device_ptrIiEESB_SB_iNS9_4plusIvEENS9_8equal_toIvEEiEE10hipError_tPvRmT2_T3_T4_T5_mT6_T7_P12ihipStream_tbENKUlT_T0_E_clISt17integral_constantIbLb1EESW_EEDaSR_SS_EUlSR_E_NS1_11comp_targetILNS1_3genE10ELNS1_11target_archE1200ELNS1_3gpuE4ELNS1_3repE0EEENS1_30default_config_static_selectorELNS0_4arch9wavefront6targetE1EEEvT1_,comdat
	.protected	_ZN7rocprim17ROCPRIM_400000_NS6detail17trampoline_kernelINS0_14default_configENS1_27scan_by_key_config_selectorIiiEEZZNS1_16scan_by_key_implILNS1_25lookback_scan_determinismE0ELb1ES3_N6thrust23THRUST_200600_302600_NS10device_ptrIiEESB_SB_iNS9_4plusIvEENS9_8equal_toIvEEiEE10hipError_tPvRmT2_T3_T4_T5_mT6_T7_P12ihipStream_tbENKUlT_T0_E_clISt17integral_constantIbLb1EESW_EEDaSR_SS_EUlSR_E_NS1_11comp_targetILNS1_3genE10ELNS1_11target_archE1200ELNS1_3gpuE4ELNS1_3repE0EEENS1_30default_config_static_selectorELNS0_4arch9wavefront6targetE1EEEvT1_ ; -- Begin function _ZN7rocprim17ROCPRIM_400000_NS6detail17trampoline_kernelINS0_14default_configENS1_27scan_by_key_config_selectorIiiEEZZNS1_16scan_by_key_implILNS1_25lookback_scan_determinismE0ELb1ES3_N6thrust23THRUST_200600_302600_NS10device_ptrIiEESB_SB_iNS9_4plusIvEENS9_8equal_toIvEEiEE10hipError_tPvRmT2_T3_T4_T5_mT6_T7_P12ihipStream_tbENKUlT_T0_E_clISt17integral_constantIbLb1EESW_EEDaSR_SS_EUlSR_E_NS1_11comp_targetILNS1_3genE10ELNS1_11target_archE1200ELNS1_3gpuE4ELNS1_3repE0EEENS1_30default_config_static_selectorELNS0_4arch9wavefront6targetE1EEEvT1_
	.globl	_ZN7rocprim17ROCPRIM_400000_NS6detail17trampoline_kernelINS0_14default_configENS1_27scan_by_key_config_selectorIiiEEZZNS1_16scan_by_key_implILNS1_25lookback_scan_determinismE0ELb1ES3_N6thrust23THRUST_200600_302600_NS10device_ptrIiEESB_SB_iNS9_4plusIvEENS9_8equal_toIvEEiEE10hipError_tPvRmT2_T3_T4_T5_mT6_T7_P12ihipStream_tbENKUlT_T0_E_clISt17integral_constantIbLb1EESW_EEDaSR_SS_EUlSR_E_NS1_11comp_targetILNS1_3genE10ELNS1_11target_archE1200ELNS1_3gpuE4ELNS1_3repE0EEENS1_30default_config_static_selectorELNS0_4arch9wavefront6targetE1EEEvT1_
	.p2align	8
	.type	_ZN7rocprim17ROCPRIM_400000_NS6detail17trampoline_kernelINS0_14default_configENS1_27scan_by_key_config_selectorIiiEEZZNS1_16scan_by_key_implILNS1_25lookback_scan_determinismE0ELb1ES3_N6thrust23THRUST_200600_302600_NS10device_ptrIiEESB_SB_iNS9_4plusIvEENS9_8equal_toIvEEiEE10hipError_tPvRmT2_T3_T4_T5_mT6_T7_P12ihipStream_tbENKUlT_T0_E_clISt17integral_constantIbLb1EESW_EEDaSR_SS_EUlSR_E_NS1_11comp_targetILNS1_3genE10ELNS1_11target_archE1200ELNS1_3gpuE4ELNS1_3repE0EEENS1_30default_config_static_selectorELNS0_4arch9wavefront6targetE1EEEvT1_,@function
_ZN7rocprim17ROCPRIM_400000_NS6detail17trampoline_kernelINS0_14default_configENS1_27scan_by_key_config_selectorIiiEEZZNS1_16scan_by_key_implILNS1_25lookback_scan_determinismE0ELb1ES3_N6thrust23THRUST_200600_302600_NS10device_ptrIiEESB_SB_iNS9_4plusIvEENS9_8equal_toIvEEiEE10hipError_tPvRmT2_T3_T4_T5_mT6_T7_P12ihipStream_tbENKUlT_T0_E_clISt17integral_constantIbLb1EESW_EEDaSR_SS_EUlSR_E_NS1_11comp_targetILNS1_3genE10ELNS1_11target_archE1200ELNS1_3gpuE4ELNS1_3repE0EEENS1_30default_config_static_selectorELNS0_4arch9wavefront6targetE1EEEvT1_: ; @_ZN7rocprim17ROCPRIM_400000_NS6detail17trampoline_kernelINS0_14default_configENS1_27scan_by_key_config_selectorIiiEEZZNS1_16scan_by_key_implILNS1_25lookback_scan_determinismE0ELb1ES3_N6thrust23THRUST_200600_302600_NS10device_ptrIiEESB_SB_iNS9_4plusIvEENS9_8equal_toIvEEiEE10hipError_tPvRmT2_T3_T4_T5_mT6_T7_P12ihipStream_tbENKUlT_T0_E_clISt17integral_constantIbLb1EESW_EEDaSR_SS_EUlSR_E_NS1_11comp_targetILNS1_3genE10ELNS1_11target_archE1200ELNS1_3gpuE4ELNS1_3repE0EEENS1_30default_config_static_selectorELNS0_4arch9wavefront6targetE1EEEvT1_
; %bb.0:
	.section	.rodata,"a",@progbits
	.p2align	6, 0x0
	.amdhsa_kernel _ZN7rocprim17ROCPRIM_400000_NS6detail17trampoline_kernelINS0_14default_configENS1_27scan_by_key_config_selectorIiiEEZZNS1_16scan_by_key_implILNS1_25lookback_scan_determinismE0ELb1ES3_N6thrust23THRUST_200600_302600_NS10device_ptrIiEESB_SB_iNS9_4plusIvEENS9_8equal_toIvEEiEE10hipError_tPvRmT2_T3_T4_T5_mT6_T7_P12ihipStream_tbENKUlT_T0_E_clISt17integral_constantIbLb1EESW_EEDaSR_SS_EUlSR_E_NS1_11comp_targetILNS1_3genE10ELNS1_11target_archE1200ELNS1_3gpuE4ELNS1_3repE0EEENS1_30default_config_static_selectorELNS0_4arch9wavefront6targetE1EEEvT1_
		.amdhsa_group_segment_fixed_size 0
		.amdhsa_private_segment_fixed_size 0
		.amdhsa_kernarg_size 112
		.amdhsa_user_sgpr_count 6
		.amdhsa_user_sgpr_private_segment_buffer 1
		.amdhsa_user_sgpr_dispatch_ptr 0
		.amdhsa_user_sgpr_queue_ptr 0
		.amdhsa_user_sgpr_kernarg_segment_ptr 1
		.amdhsa_user_sgpr_dispatch_id 0
		.amdhsa_user_sgpr_flat_scratch_init 0
		.amdhsa_user_sgpr_kernarg_preload_length 0
		.amdhsa_user_sgpr_kernarg_preload_offset 0
		.amdhsa_user_sgpr_private_segment_size 0
		.amdhsa_uses_dynamic_stack 0
		.amdhsa_system_sgpr_private_segment_wavefront_offset 0
		.amdhsa_system_sgpr_workgroup_id_x 1
		.amdhsa_system_sgpr_workgroup_id_y 0
		.amdhsa_system_sgpr_workgroup_id_z 0
		.amdhsa_system_sgpr_workgroup_info 0
		.amdhsa_system_vgpr_workitem_id 0
		.amdhsa_next_free_vgpr 1
		.amdhsa_next_free_sgpr 0
		.amdhsa_accum_offset 4
		.amdhsa_reserve_vcc 0
		.amdhsa_reserve_flat_scratch 0
		.amdhsa_float_round_mode_32 0
		.amdhsa_float_round_mode_16_64 0
		.amdhsa_float_denorm_mode_32 3
		.amdhsa_float_denorm_mode_16_64 3
		.amdhsa_dx10_clamp 1
		.amdhsa_ieee_mode 1
		.amdhsa_fp16_overflow 0
		.amdhsa_tg_split 0
		.amdhsa_exception_fp_ieee_invalid_op 0
		.amdhsa_exception_fp_denorm_src 0
		.amdhsa_exception_fp_ieee_div_zero 0
		.amdhsa_exception_fp_ieee_overflow 0
		.amdhsa_exception_fp_ieee_underflow 0
		.amdhsa_exception_fp_ieee_inexact 0
		.amdhsa_exception_int_div_zero 0
	.end_amdhsa_kernel
	.section	.text._ZN7rocprim17ROCPRIM_400000_NS6detail17trampoline_kernelINS0_14default_configENS1_27scan_by_key_config_selectorIiiEEZZNS1_16scan_by_key_implILNS1_25lookback_scan_determinismE0ELb1ES3_N6thrust23THRUST_200600_302600_NS10device_ptrIiEESB_SB_iNS9_4plusIvEENS9_8equal_toIvEEiEE10hipError_tPvRmT2_T3_T4_T5_mT6_T7_P12ihipStream_tbENKUlT_T0_E_clISt17integral_constantIbLb1EESW_EEDaSR_SS_EUlSR_E_NS1_11comp_targetILNS1_3genE10ELNS1_11target_archE1200ELNS1_3gpuE4ELNS1_3repE0EEENS1_30default_config_static_selectorELNS0_4arch9wavefront6targetE1EEEvT1_,"axG",@progbits,_ZN7rocprim17ROCPRIM_400000_NS6detail17trampoline_kernelINS0_14default_configENS1_27scan_by_key_config_selectorIiiEEZZNS1_16scan_by_key_implILNS1_25lookback_scan_determinismE0ELb1ES3_N6thrust23THRUST_200600_302600_NS10device_ptrIiEESB_SB_iNS9_4plusIvEENS9_8equal_toIvEEiEE10hipError_tPvRmT2_T3_T4_T5_mT6_T7_P12ihipStream_tbENKUlT_T0_E_clISt17integral_constantIbLb1EESW_EEDaSR_SS_EUlSR_E_NS1_11comp_targetILNS1_3genE10ELNS1_11target_archE1200ELNS1_3gpuE4ELNS1_3repE0EEENS1_30default_config_static_selectorELNS0_4arch9wavefront6targetE1EEEvT1_,comdat
.Lfunc_end2248:
	.size	_ZN7rocprim17ROCPRIM_400000_NS6detail17trampoline_kernelINS0_14default_configENS1_27scan_by_key_config_selectorIiiEEZZNS1_16scan_by_key_implILNS1_25lookback_scan_determinismE0ELb1ES3_N6thrust23THRUST_200600_302600_NS10device_ptrIiEESB_SB_iNS9_4plusIvEENS9_8equal_toIvEEiEE10hipError_tPvRmT2_T3_T4_T5_mT6_T7_P12ihipStream_tbENKUlT_T0_E_clISt17integral_constantIbLb1EESW_EEDaSR_SS_EUlSR_E_NS1_11comp_targetILNS1_3genE10ELNS1_11target_archE1200ELNS1_3gpuE4ELNS1_3repE0EEENS1_30default_config_static_selectorELNS0_4arch9wavefront6targetE1EEEvT1_, .Lfunc_end2248-_ZN7rocprim17ROCPRIM_400000_NS6detail17trampoline_kernelINS0_14default_configENS1_27scan_by_key_config_selectorIiiEEZZNS1_16scan_by_key_implILNS1_25lookback_scan_determinismE0ELb1ES3_N6thrust23THRUST_200600_302600_NS10device_ptrIiEESB_SB_iNS9_4plusIvEENS9_8equal_toIvEEiEE10hipError_tPvRmT2_T3_T4_T5_mT6_T7_P12ihipStream_tbENKUlT_T0_E_clISt17integral_constantIbLb1EESW_EEDaSR_SS_EUlSR_E_NS1_11comp_targetILNS1_3genE10ELNS1_11target_archE1200ELNS1_3gpuE4ELNS1_3repE0EEENS1_30default_config_static_selectorELNS0_4arch9wavefront6targetE1EEEvT1_
                                        ; -- End function
	.section	.AMDGPU.csdata,"",@progbits
; Kernel info:
; codeLenInByte = 0
; NumSgprs: 4
; NumVgprs: 0
; NumAgprs: 0
; TotalNumVgprs: 0
; ScratchSize: 0
; MemoryBound: 0
; FloatMode: 240
; IeeeMode: 1
; LDSByteSize: 0 bytes/workgroup (compile time only)
; SGPRBlocks: 0
; VGPRBlocks: 0
; NumSGPRsForWavesPerEU: 4
; NumVGPRsForWavesPerEU: 1
; AccumOffset: 4
; Occupancy: 8
; WaveLimiterHint : 0
; COMPUTE_PGM_RSRC2:SCRATCH_EN: 0
; COMPUTE_PGM_RSRC2:USER_SGPR: 6
; COMPUTE_PGM_RSRC2:TRAP_HANDLER: 0
; COMPUTE_PGM_RSRC2:TGID_X_EN: 1
; COMPUTE_PGM_RSRC2:TGID_Y_EN: 0
; COMPUTE_PGM_RSRC2:TGID_Z_EN: 0
; COMPUTE_PGM_RSRC2:TIDIG_COMP_CNT: 0
; COMPUTE_PGM_RSRC3_GFX90A:ACCUM_OFFSET: 0
; COMPUTE_PGM_RSRC3_GFX90A:TG_SPLIT: 0
	.section	.text._ZN7rocprim17ROCPRIM_400000_NS6detail17trampoline_kernelINS0_14default_configENS1_27scan_by_key_config_selectorIiiEEZZNS1_16scan_by_key_implILNS1_25lookback_scan_determinismE0ELb1ES3_N6thrust23THRUST_200600_302600_NS10device_ptrIiEESB_SB_iNS9_4plusIvEENS9_8equal_toIvEEiEE10hipError_tPvRmT2_T3_T4_T5_mT6_T7_P12ihipStream_tbENKUlT_T0_E_clISt17integral_constantIbLb1EESW_EEDaSR_SS_EUlSR_E_NS1_11comp_targetILNS1_3genE9ELNS1_11target_archE1100ELNS1_3gpuE3ELNS1_3repE0EEENS1_30default_config_static_selectorELNS0_4arch9wavefront6targetE1EEEvT1_,"axG",@progbits,_ZN7rocprim17ROCPRIM_400000_NS6detail17trampoline_kernelINS0_14default_configENS1_27scan_by_key_config_selectorIiiEEZZNS1_16scan_by_key_implILNS1_25lookback_scan_determinismE0ELb1ES3_N6thrust23THRUST_200600_302600_NS10device_ptrIiEESB_SB_iNS9_4plusIvEENS9_8equal_toIvEEiEE10hipError_tPvRmT2_T3_T4_T5_mT6_T7_P12ihipStream_tbENKUlT_T0_E_clISt17integral_constantIbLb1EESW_EEDaSR_SS_EUlSR_E_NS1_11comp_targetILNS1_3genE9ELNS1_11target_archE1100ELNS1_3gpuE3ELNS1_3repE0EEENS1_30default_config_static_selectorELNS0_4arch9wavefront6targetE1EEEvT1_,comdat
	.protected	_ZN7rocprim17ROCPRIM_400000_NS6detail17trampoline_kernelINS0_14default_configENS1_27scan_by_key_config_selectorIiiEEZZNS1_16scan_by_key_implILNS1_25lookback_scan_determinismE0ELb1ES3_N6thrust23THRUST_200600_302600_NS10device_ptrIiEESB_SB_iNS9_4plusIvEENS9_8equal_toIvEEiEE10hipError_tPvRmT2_T3_T4_T5_mT6_T7_P12ihipStream_tbENKUlT_T0_E_clISt17integral_constantIbLb1EESW_EEDaSR_SS_EUlSR_E_NS1_11comp_targetILNS1_3genE9ELNS1_11target_archE1100ELNS1_3gpuE3ELNS1_3repE0EEENS1_30default_config_static_selectorELNS0_4arch9wavefront6targetE1EEEvT1_ ; -- Begin function _ZN7rocprim17ROCPRIM_400000_NS6detail17trampoline_kernelINS0_14default_configENS1_27scan_by_key_config_selectorIiiEEZZNS1_16scan_by_key_implILNS1_25lookback_scan_determinismE0ELb1ES3_N6thrust23THRUST_200600_302600_NS10device_ptrIiEESB_SB_iNS9_4plusIvEENS9_8equal_toIvEEiEE10hipError_tPvRmT2_T3_T4_T5_mT6_T7_P12ihipStream_tbENKUlT_T0_E_clISt17integral_constantIbLb1EESW_EEDaSR_SS_EUlSR_E_NS1_11comp_targetILNS1_3genE9ELNS1_11target_archE1100ELNS1_3gpuE3ELNS1_3repE0EEENS1_30default_config_static_selectorELNS0_4arch9wavefront6targetE1EEEvT1_
	.globl	_ZN7rocprim17ROCPRIM_400000_NS6detail17trampoline_kernelINS0_14default_configENS1_27scan_by_key_config_selectorIiiEEZZNS1_16scan_by_key_implILNS1_25lookback_scan_determinismE0ELb1ES3_N6thrust23THRUST_200600_302600_NS10device_ptrIiEESB_SB_iNS9_4plusIvEENS9_8equal_toIvEEiEE10hipError_tPvRmT2_T3_T4_T5_mT6_T7_P12ihipStream_tbENKUlT_T0_E_clISt17integral_constantIbLb1EESW_EEDaSR_SS_EUlSR_E_NS1_11comp_targetILNS1_3genE9ELNS1_11target_archE1100ELNS1_3gpuE3ELNS1_3repE0EEENS1_30default_config_static_selectorELNS0_4arch9wavefront6targetE1EEEvT1_
	.p2align	8
	.type	_ZN7rocprim17ROCPRIM_400000_NS6detail17trampoline_kernelINS0_14default_configENS1_27scan_by_key_config_selectorIiiEEZZNS1_16scan_by_key_implILNS1_25lookback_scan_determinismE0ELb1ES3_N6thrust23THRUST_200600_302600_NS10device_ptrIiEESB_SB_iNS9_4plusIvEENS9_8equal_toIvEEiEE10hipError_tPvRmT2_T3_T4_T5_mT6_T7_P12ihipStream_tbENKUlT_T0_E_clISt17integral_constantIbLb1EESW_EEDaSR_SS_EUlSR_E_NS1_11comp_targetILNS1_3genE9ELNS1_11target_archE1100ELNS1_3gpuE3ELNS1_3repE0EEENS1_30default_config_static_selectorELNS0_4arch9wavefront6targetE1EEEvT1_,@function
_ZN7rocprim17ROCPRIM_400000_NS6detail17trampoline_kernelINS0_14default_configENS1_27scan_by_key_config_selectorIiiEEZZNS1_16scan_by_key_implILNS1_25lookback_scan_determinismE0ELb1ES3_N6thrust23THRUST_200600_302600_NS10device_ptrIiEESB_SB_iNS9_4plusIvEENS9_8equal_toIvEEiEE10hipError_tPvRmT2_T3_T4_T5_mT6_T7_P12ihipStream_tbENKUlT_T0_E_clISt17integral_constantIbLb1EESW_EEDaSR_SS_EUlSR_E_NS1_11comp_targetILNS1_3genE9ELNS1_11target_archE1100ELNS1_3gpuE3ELNS1_3repE0EEENS1_30default_config_static_selectorELNS0_4arch9wavefront6targetE1EEEvT1_: ; @_ZN7rocprim17ROCPRIM_400000_NS6detail17trampoline_kernelINS0_14default_configENS1_27scan_by_key_config_selectorIiiEEZZNS1_16scan_by_key_implILNS1_25lookback_scan_determinismE0ELb1ES3_N6thrust23THRUST_200600_302600_NS10device_ptrIiEESB_SB_iNS9_4plusIvEENS9_8equal_toIvEEiEE10hipError_tPvRmT2_T3_T4_T5_mT6_T7_P12ihipStream_tbENKUlT_T0_E_clISt17integral_constantIbLb1EESW_EEDaSR_SS_EUlSR_E_NS1_11comp_targetILNS1_3genE9ELNS1_11target_archE1100ELNS1_3gpuE3ELNS1_3repE0EEENS1_30default_config_static_selectorELNS0_4arch9wavefront6targetE1EEEvT1_
; %bb.0:
	.section	.rodata,"a",@progbits
	.p2align	6, 0x0
	.amdhsa_kernel _ZN7rocprim17ROCPRIM_400000_NS6detail17trampoline_kernelINS0_14default_configENS1_27scan_by_key_config_selectorIiiEEZZNS1_16scan_by_key_implILNS1_25lookback_scan_determinismE0ELb1ES3_N6thrust23THRUST_200600_302600_NS10device_ptrIiEESB_SB_iNS9_4plusIvEENS9_8equal_toIvEEiEE10hipError_tPvRmT2_T3_T4_T5_mT6_T7_P12ihipStream_tbENKUlT_T0_E_clISt17integral_constantIbLb1EESW_EEDaSR_SS_EUlSR_E_NS1_11comp_targetILNS1_3genE9ELNS1_11target_archE1100ELNS1_3gpuE3ELNS1_3repE0EEENS1_30default_config_static_selectorELNS0_4arch9wavefront6targetE1EEEvT1_
		.amdhsa_group_segment_fixed_size 0
		.amdhsa_private_segment_fixed_size 0
		.amdhsa_kernarg_size 112
		.amdhsa_user_sgpr_count 6
		.amdhsa_user_sgpr_private_segment_buffer 1
		.amdhsa_user_sgpr_dispatch_ptr 0
		.amdhsa_user_sgpr_queue_ptr 0
		.amdhsa_user_sgpr_kernarg_segment_ptr 1
		.amdhsa_user_sgpr_dispatch_id 0
		.amdhsa_user_sgpr_flat_scratch_init 0
		.amdhsa_user_sgpr_kernarg_preload_length 0
		.amdhsa_user_sgpr_kernarg_preload_offset 0
		.amdhsa_user_sgpr_private_segment_size 0
		.amdhsa_uses_dynamic_stack 0
		.amdhsa_system_sgpr_private_segment_wavefront_offset 0
		.amdhsa_system_sgpr_workgroup_id_x 1
		.amdhsa_system_sgpr_workgroup_id_y 0
		.amdhsa_system_sgpr_workgroup_id_z 0
		.amdhsa_system_sgpr_workgroup_info 0
		.amdhsa_system_vgpr_workitem_id 0
		.amdhsa_next_free_vgpr 1
		.amdhsa_next_free_sgpr 0
		.amdhsa_accum_offset 4
		.amdhsa_reserve_vcc 0
		.amdhsa_reserve_flat_scratch 0
		.amdhsa_float_round_mode_32 0
		.amdhsa_float_round_mode_16_64 0
		.amdhsa_float_denorm_mode_32 3
		.amdhsa_float_denorm_mode_16_64 3
		.amdhsa_dx10_clamp 1
		.amdhsa_ieee_mode 1
		.amdhsa_fp16_overflow 0
		.amdhsa_tg_split 0
		.amdhsa_exception_fp_ieee_invalid_op 0
		.amdhsa_exception_fp_denorm_src 0
		.amdhsa_exception_fp_ieee_div_zero 0
		.amdhsa_exception_fp_ieee_overflow 0
		.amdhsa_exception_fp_ieee_underflow 0
		.amdhsa_exception_fp_ieee_inexact 0
		.amdhsa_exception_int_div_zero 0
	.end_amdhsa_kernel
	.section	.text._ZN7rocprim17ROCPRIM_400000_NS6detail17trampoline_kernelINS0_14default_configENS1_27scan_by_key_config_selectorIiiEEZZNS1_16scan_by_key_implILNS1_25lookback_scan_determinismE0ELb1ES3_N6thrust23THRUST_200600_302600_NS10device_ptrIiEESB_SB_iNS9_4plusIvEENS9_8equal_toIvEEiEE10hipError_tPvRmT2_T3_T4_T5_mT6_T7_P12ihipStream_tbENKUlT_T0_E_clISt17integral_constantIbLb1EESW_EEDaSR_SS_EUlSR_E_NS1_11comp_targetILNS1_3genE9ELNS1_11target_archE1100ELNS1_3gpuE3ELNS1_3repE0EEENS1_30default_config_static_selectorELNS0_4arch9wavefront6targetE1EEEvT1_,"axG",@progbits,_ZN7rocprim17ROCPRIM_400000_NS6detail17trampoline_kernelINS0_14default_configENS1_27scan_by_key_config_selectorIiiEEZZNS1_16scan_by_key_implILNS1_25lookback_scan_determinismE0ELb1ES3_N6thrust23THRUST_200600_302600_NS10device_ptrIiEESB_SB_iNS9_4plusIvEENS9_8equal_toIvEEiEE10hipError_tPvRmT2_T3_T4_T5_mT6_T7_P12ihipStream_tbENKUlT_T0_E_clISt17integral_constantIbLb1EESW_EEDaSR_SS_EUlSR_E_NS1_11comp_targetILNS1_3genE9ELNS1_11target_archE1100ELNS1_3gpuE3ELNS1_3repE0EEENS1_30default_config_static_selectorELNS0_4arch9wavefront6targetE1EEEvT1_,comdat
.Lfunc_end2249:
	.size	_ZN7rocprim17ROCPRIM_400000_NS6detail17trampoline_kernelINS0_14default_configENS1_27scan_by_key_config_selectorIiiEEZZNS1_16scan_by_key_implILNS1_25lookback_scan_determinismE0ELb1ES3_N6thrust23THRUST_200600_302600_NS10device_ptrIiEESB_SB_iNS9_4plusIvEENS9_8equal_toIvEEiEE10hipError_tPvRmT2_T3_T4_T5_mT6_T7_P12ihipStream_tbENKUlT_T0_E_clISt17integral_constantIbLb1EESW_EEDaSR_SS_EUlSR_E_NS1_11comp_targetILNS1_3genE9ELNS1_11target_archE1100ELNS1_3gpuE3ELNS1_3repE0EEENS1_30default_config_static_selectorELNS0_4arch9wavefront6targetE1EEEvT1_, .Lfunc_end2249-_ZN7rocprim17ROCPRIM_400000_NS6detail17trampoline_kernelINS0_14default_configENS1_27scan_by_key_config_selectorIiiEEZZNS1_16scan_by_key_implILNS1_25lookback_scan_determinismE0ELb1ES3_N6thrust23THRUST_200600_302600_NS10device_ptrIiEESB_SB_iNS9_4plusIvEENS9_8equal_toIvEEiEE10hipError_tPvRmT2_T3_T4_T5_mT6_T7_P12ihipStream_tbENKUlT_T0_E_clISt17integral_constantIbLb1EESW_EEDaSR_SS_EUlSR_E_NS1_11comp_targetILNS1_3genE9ELNS1_11target_archE1100ELNS1_3gpuE3ELNS1_3repE0EEENS1_30default_config_static_selectorELNS0_4arch9wavefront6targetE1EEEvT1_
                                        ; -- End function
	.section	.AMDGPU.csdata,"",@progbits
; Kernel info:
; codeLenInByte = 0
; NumSgprs: 4
; NumVgprs: 0
; NumAgprs: 0
; TotalNumVgprs: 0
; ScratchSize: 0
; MemoryBound: 0
; FloatMode: 240
; IeeeMode: 1
; LDSByteSize: 0 bytes/workgroup (compile time only)
; SGPRBlocks: 0
; VGPRBlocks: 0
; NumSGPRsForWavesPerEU: 4
; NumVGPRsForWavesPerEU: 1
; AccumOffset: 4
; Occupancy: 8
; WaveLimiterHint : 0
; COMPUTE_PGM_RSRC2:SCRATCH_EN: 0
; COMPUTE_PGM_RSRC2:USER_SGPR: 6
; COMPUTE_PGM_RSRC2:TRAP_HANDLER: 0
; COMPUTE_PGM_RSRC2:TGID_X_EN: 1
; COMPUTE_PGM_RSRC2:TGID_Y_EN: 0
; COMPUTE_PGM_RSRC2:TGID_Z_EN: 0
; COMPUTE_PGM_RSRC2:TIDIG_COMP_CNT: 0
; COMPUTE_PGM_RSRC3_GFX90A:ACCUM_OFFSET: 0
; COMPUTE_PGM_RSRC3_GFX90A:TG_SPLIT: 0
	.section	.text._ZN7rocprim17ROCPRIM_400000_NS6detail17trampoline_kernelINS0_14default_configENS1_27scan_by_key_config_selectorIiiEEZZNS1_16scan_by_key_implILNS1_25lookback_scan_determinismE0ELb1ES3_N6thrust23THRUST_200600_302600_NS10device_ptrIiEESB_SB_iNS9_4plusIvEENS9_8equal_toIvEEiEE10hipError_tPvRmT2_T3_T4_T5_mT6_T7_P12ihipStream_tbENKUlT_T0_E_clISt17integral_constantIbLb1EESW_EEDaSR_SS_EUlSR_E_NS1_11comp_targetILNS1_3genE8ELNS1_11target_archE1030ELNS1_3gpuE2ELNS1_3repE0EEENS1_30default_config_static_selectorELNS0_4arch9wavefront6targetE1EEEvT1_,"axG",@progbits,_ZN7rocprim17ROCPRIM_400000_NS6detail17trampoline_kernelINS0_14default_configENS1_27scan_by_key_config_selectorIiiEEZZNS1_16scan_by_key_implILNS1_25lookback_scan_determinismE0ELb1ES3_N6thrust23THRUST_200600_302600_NS10device_ptrIiEESB_SB_iNS9_4plusIvEENS9_8equal_toIvEEiEE10hipError_tPvRmT2_T3_T4_T5_mT6_T7_P12ihipStream_tbENKUlT_T0_E_clISt17integral_constantIbLb1EESW_EEDaSR_SS_EUlSR_E_NS1_11comp_targetILNS1_3genE8ELNS1_11target_archE1030ELNS1_3gpuE2ELNS1_3repE0EEENS1_30default_config_static_selectorELNS0_4arch9wavefront6targetE1EEEvT1_,comdat
	.protected	_ZN7rocprim17ROCPRIM_400000_NS6detail17trampoline_kernelINS0_14default_configENS1_27scan_by_key_config_selectorIiiEEZZNS1_16scan_by_key_implILNS1_25lookback_scan_determinismE0ELb1ES3_N6thrust23THRUST_200600_302600_NS10device_ptrIiEESB_SB_iNS9_4plusIvEENS9_8equal_toIvEEiEE10hipError_tPvRmT2_T3_T4_T5_mT6_T7_P12ihipStream_tbENKUlT_T0_E_clISt17integral_constantIbLb1EESW_EEDaSR_SS_EUlSR_E_NS1_11comp_targetILNS1_3genE8ELNS1_11target_archE1030ELNS1_3gpuE2ELNS1_3repE0EEENS1_30default_config_static_selectorELNS0_4arch9wavefront6targetE1EEEvT1_ ; -- Begin function _ZN7rocprim17ROCPRIM_400000_NS6detail17trampoline_kernelINS0_14default_configENS1_27scan_by_key_config_selectorIiiEEZZNS1_16scan_by_key_implILNS1_25lookback_scan_determinismE0ELb1ES3_N6thrust23THRUST_200600_302600_NS10device_ptrIiEESB_SB_iNS9_4plusIvEENS9_8equal_toIvEEiEE10hipError_tPvRmT2_T3_T4_T5_mT6_T7_P12ihipStream_tbENKUlT_T0_E_clISt17integral_constantIbLb1EESW_EEDaSR_SS_EUlSR_E_NS1_11comp_targetILNS1_3genE8ELNS1_11target_archE1030ELNS1_3gpuE2ELNS1_3repE0EEENS1_30default_config_static_selectorELNS0_4arch9wavefront6targetE1EEEvT1_
	.globl	_ZN7rocprim17ROCPRIM_400000_NS6detail17trampoline_kernelINS0_14default_configENS1_27scan_by_key_config_selectorIiiEEZZNS1_16scan_by_key_implILNS1_25lookback_scan_determinismE0ELb1ES3_N6thrust23THRUST_200600_302600_NS10device_ptrIiEESB_SB_iNS9_4plusIvEENS9_8equal_toIvEEiEE10hipError_tPvRmT2_T3_T4_T5_mT6_T7_P12ihipStream_tbENKUlT_T0_E_clISt17integral_constantIbLb1EESW_EEDaSR_SS_EUlSR_E_NS1_11comp_targetILNS1_3genE8ELNS1_11target_archE1030ELNS1_3gpuE2ELNS1_3repE0EEENS1_30default_config_static_selectorELNS0_4arch9wavefront6targetE1EEEvT1_
	.p2align	8
	.type	_ZN7rocprim17ROCPRIM_400000_NS6detail17trampoline_kernelINS0_14default_configENS1_27scan_by_key_config_selectorIiiEEZZNS1_16scan_by_key_implILNS1_25lookback_scan_determinismE0ELb1ES3_N6thrust23THRUST_200600_302600_NS10device_ptrIiEESB_SB_iNS9_4plusIvEENS9_8equal_toIvEEiEE10hipError_tPvRmT2_T3_T4_T5_mT6_T7_P12ihipStream_tbENKUlT_T0_E_clISt17integral_constantIbLb1EESW_EEDaSR_SS_EUlSR_E_NS1_11comp_targetILNS1_3genE8ELNS1_11target_archE1030ELNS1_3gpuE2ELNS1_3repE0EEENS1_30default_config_static_selectorELNS0_4arch9wavefront6targetE1EEEvT1_,@function
_ZN7rocprim17ROCPRIM_400000_NS6detail17trampoline_kernelINS0_14default_configENS1_27scan_by_key_config_selectorIiiEEZZNS1_16scan_by_key_implILNS1_25lookback_scan_determinismE0ELb1ES3_N6thrust23THRUST_200600_302600_NS10device_ptrIiEESB_SB_iNS9_4plusIvEENS9_8equal_toIvEEiEE10hipError_tPvRmT2_T3_T4_T5_mT6_T7_P12ihipStream_tbENKUlT_T0_E_clISt17integral_constantIbLb1EESW_EEDaSR_SS_EUlSR_E_NS1_11comp_targetILNS1_3genE8ELNS1_11target_archE1030ELNS1_3gpuE2ELNS1_3repE0EEENS1_30default_config_static_selectorELNS0_4arch9wavefront6targetE1EEEvT1_: ; @_ZN7rocprim17ROCPRIM_400000_NS6detail17trampoline_kernelINS0_14default_configENS1_27scan_by_key_config_selectorIiiEEZZNS1_16scan_by_key_implILNS1_25lookback_scan_determinismE0ELb1ES3_N6thrust23THRUST_200600_302600_NS10device_ptrIiEESB_SB_iNS9_4plusIvEENS9_8equal_toIvEEiEE10hipError_tPvRmT2_T3_T4_T5_mT6_T7_P12ihipStream_tbENKUlT_T0_E_clISt17integral_constantIbLb1EESW_EEDaSR_SS_EUlSR_E_NS1_11comp_targetILNS1_3genE8ELNS1_11target_archE1030ELNS1_3gpuE2ELNS1_3repE0EEENS1_30default_config_static_selectorELNS0_4arch9wavefront6targetE1EEEvT1_
; %bb.0:
	.section	.rodata,"a",@progbits
	.p2align	6, 0x0
	.amdhsa_kernel _ZN7rocprim17ROCPRIM_400000_NS6detail17trampoline_kernelINS0_14default_configENS1_27scan_by_key_config_selectorIiiEEZZNS1_16scan_by_key_implILNS1_25lookback_scan_determinismE0ELb1ES3_N6thrust23THRUST_200600_302600_NS10device_ptrIiEESB_SB_iNS9_4plusIvEENS9_8equal_toIvEEiEE10hipError_tPvRmT2_T3_T4_T5_mT6_T7_P12ihipStream_tbENKUlT_T0_E_clISt17integral_constantIbLb1EESW_EEDaSR_SS_EUlSR_E_NS1_11comp_targetILNS1_3genE8ELNS1_11target_archE1030ELNS1_3gpuE2ELNS1_3repE0EEENS1_30default_config_static_selectorELNS0_4arch9wavefront6targetE1EEEvT1_
		.amdhsa_group_segment_fixed_size 0
		.amdhsa_private_segment_fixed_size 0
		.amdhsa_kernarg_size 112
		.amdhsa_user_sgpr_count 6
		.amdhsa_user_sgpr_private_segment_buffer 1
		.amdhsa_user_sgpr_dispatch_ptr 0
		.amdhsa_user_sgpr_queue_ptr 0
		.amdhsa_user_sgpr_kernarg_segment_ptr 1
		.amdhsa_user_sgpr_dispatch_id 0
		.amdhsa_user_sgpr_flat_scratch_init 0
		.amdhsa_user_sgpr_kernarg_preload_length 0
		.amdhsa_user_sgpr_kernarg_preload_offset 0
		.amdhsa_user_sgpr_private_segment_size 0
		.amdhsa_uses_dynamic_stack 0
		.amdhsa_system_sgpr_private_segment_wavefront_offset 0
		.amdhsa_system_sgpr_workgroup_id_x 1
		.amdhsa_system_sgpr_workgroup_id_y 0
		.amdhsa_system_sgpr_workgroup_id_z 0
		.amdhsa_system_sgpr_workgroup_info 0
		.amdhsa_system_vgpr_workitem_id 0
		.amdhsa_next_free_vgpr 1
		.amdhsa_next_free_sgpr 0
		.amdhsa_accum_offset 4
		.amdhsa_reserve_vcc 0
		.amdhsa_reserve_flat_scratch 0
		.amdhsa_float_round_mode_32 0
		.amdhsa_float_round_mode_16_64 0
		.amdhsa_float_denorm_mode_32 3
		.amdhsa_float_denorm_mode_16_64 3
		.amdhsa_dx10_clamp 1
		.amdhsa_ieee_mode 1
		.amdhsa_fp16_overflow 0
		.amdhsa_tg_split 0
		.amdhsa_exception_fp_ieee_invalid_op 0
		.amdhsa_exception_fp_denorm_src 0
		.amdhsa_exception_fp_ieee_div_zero 0
		.amdhsa_exception_fp_ieee_overflow 0
		.amdhsa_exception_fp_ieee_underflow 0
		.amdhsa_exception_fp_ieee_inexact 0
		.amdhsa_exception_int_div_zero 0
	.end_amdhsa_kernel
	.section	.text._ZN7rocprim17ROCPRIM_400000_NS6detail17trampoline_kernelINS0_14default_configENS1_27scan_by_key_config_selectorIiiEEZZNS1_16scan_by_key_implILNS1_25lookback_scan_determinismE0ELb1ES3_N6thrust23THRUST_200600_302600_NS10device_ptrIiEESB_SB_iNS9_4plusIvEENS9_8equal_toIvEEiEE10hipError_tPvRmT2_T3_T4_T5_mT6_T7_P12ihipStream_tbENKUlT_T0_E_clISt17integral_constantIbLb1EESW_EEDaSR_SS_EUlSR_E_NS1_11comp_targetILNS1_3genE8ELNS1_11target_archE1030ELNS1_3gpuE2ELNS1_3repE0EEENS1_30default_config_static_selectorELNS0_4arch9wavefront6targetE1EEEvT1_,"axG",@progbits,_ZN7rocprim17ROCPRIM_400000_NS6detail17trampoline_kernelINS0_14default_configENS1_27scan_by_key_config_selectorIiiEEZZNS1_16scan_by_key_implILNS1_25lookback_scan_determinismE0ELb1ES3_N6thrust23THRUST_200600_302600_NS10device_ptrIiEESB_SB_iNS9_4plusIvEENS9_8equal_toIvEEiEE10hipError_tPvRmT2_T3_T4_T5_mT6_T7_P12ihipStream_tbENKUlT_T0_E_clISt17integral_constantIbLb1EESW_EEDaSR_SS_EUlSR_E_NS1_11comp_targetILNS1_3genE8ELNS1_11target_archE1030ELNS1_3gpuE2ELNS1_3repE0EEENS1_30default_config_static_selectorELNS0_4arch9wavefront6targetE1EEEvT1_,comdat
.Lfunc_end2250:
	.size	_ZN7rocprim17ROCPRIM_400000_NS6detail17trampoline_kernelINS0_14default_configENS1_27scan_by_key_config_selectorIiiEEZZNS1_16scan_by_key_implILNS1_25lookback_scan_determinismE0ELb1ES3_N6thrust23THRUST_200600_302600_NS10device_ptrIiEESB_SB_iNS9_4plusIvEENS9_8equal_toIvEEiEE10hipError_tPvRmT2_T3_T4_T5_mT6_T7_P12ihipStream_tbENKUlT_T0_E_clISt17integral_constantIbLb1EESW_EEDaSR_SS_EUlSR_E_NS1_11comp_targetILNS1_3genE8ELNS1_11target_archE1030ELNS1_3gpuE2ELNS1_3repE0EEENS1_30default_config_static_selectorELNS0_4arch9wavefront6targetE1EEEvT1_, .Lfunc_end2250-_ZN7rocprim17ROCPRIM_400000_NS6detail17trampoline_kernelINS0_14default_configENS1_27scan_by_key_config_selectorIiiEEZZNS1_16scan_by_key_implILNS1_25lookback_scan_determinismE0ELb1ES3_N6thrust23THRUST_200600_302600_NS10device_ptrIiEESB_SB_iNS9_4plusIvEENS9_8equal_toIvEEiEE10hipError_tPvRmT2_T3_T4_T5_mT6_T7_P12ihipStream_tbENKUlT_T0_E_clISt17integral_constantIbLb1EESW_EEDaSR_SS_EUlSR_E_NS1_11comp_targetILNS1_3genE8ELNS1_11target_archE1030ELNS1_3gpuE2ELNS1_3repE0EEENS1_30default_config_static_selectorELNS0_4arch9wavefront6targetE1EEEvT1_
                                        ; -- End function
	.section	.AMDGPU.csdata,"",@progbits
; Kernel info:
; codeLenInByte = 0
; NumSgprs: 4
; NumVgprs: 0
; NumAgprs: 0
; TotalNumVgprs: 0
; ScratchSize: 0
; MemoryBound: 0
; FloatMode: 240
; IeeeMode: 1
; LDSByteSize: 0 bytes/workgroup (compile time only)
; SGPRBlocks: 0
; VGPRBlocks: 0
; NumSGPRsForWavesPerEU: 4
; NumVGPRsForWavesPerEU: 1
; AccumOffset: 4
; Occupancy: 8
; WaveLimiterHint : 0
; COMPUTE_PGM_RSRC2:SCRATCH_EN: 0
; COMPUTE_PGM_RSRC2:USER_SGPR: 6
; COMPUTE_PGM_RSRC2:TRAP_HANDLER: 0
; COMPUTE_PGM_RSRC2:TGID_X_EN: 1
; COMPUTE_PGM_RSRC2:TGID_Y_EN: 0
; COMPUTE_PGM_RSRC2:TGID_Z_EN: 0
; COMPUTE_PGM_RSRC2:TIDIG_COMP_CNT: 0
; COMPUTE_PGM_RSRC3_GFX90A:ACCUM_OFFSET: 0
; COMPUTE_PGM_RSRC3_GFX90A:TG_SPLIT: 0
	.section	.text._ZN7rocprim17ROCPRIM_400000_NS6detail17trampoline_kernelINS0_14default_configENS1_27scan_by_key_config_selectorIiiEEZZNS1_16scan_by_key_implILNS1_25lookback_scan_determinismE0ELb1ES3_N6thrust23THRUST_200600_302600_NS10device_ptrIiEESB_SB_iNS9_4plusIvEENS9_8equal_toIvEEiEE10hipError_tPvRmT2_T3_T4_T5_mT6_T7_P12ihipStream_tbENKUlT_T0_E_clISt17integral_constantIbLb1EESV_IbLb0EEEEDaSR_SS_EUlSR_E_NS1_11comp_targetILNS1_3genE0ELNS1_11target_archE4294967295ELNS1_3gpuE0ELNS1_3repE0EEENS1_30default_config_static_selectorELNS0_4arch9wavefront6targetE1EEEvT1_,"axG",@progbits,_ZN7rocprim17ROCPRIM_400000_NS6detail17trampoline_kernelINS0_14default_configENS1_27scan_by_key_config_selectorIiiEEZZNS1_16scan_by_key_implILNS1_25lookback_scan_determinismE0ELb1ES3_N6thrust23THRUST_200600_302600_NS10device_ptrIiEESB_SB_iNS9_4plusIvEENS9_8equal_toIvEEiEE10hipError_tPvRmT2_T3_T4_T5_mT6_T7_P12ihipStream_tbENKUlT_T0_E_clISt17integral_constantIbLb1EESV_IbLb0EEEEDaSR_SS_EUlSR_E_NS1_11comp_targetILNS1_3genE0ELNS1_11target_archE4294967295ELNS1_3gpuE0ELNS1_3repE0EEENS1_30default_config_static_selectorELNS0_4arch9wavefront6targetE1EEEvT1_,comdat
	.protected	_ZN7rocprim17ROCPRIM_400000_NS6detail17trampoline_kernelINS0_14default_configENS1_27scan_by_key_config_selectorIiiEEZZNS1_16scan_by_key_implILNS1_25lookback_scan_determinismE0ELb1ES3_N6thrust23THRUST_200600_302600_NS10device_ptrIiEESB_SB_iNS9_4plusIvEENS9_8equal_toIvEEiEE10hipError_tPvRmT2_T3_T4_T5_mT6_T7_P12ihipStream_tbENKUlT_T0_E_clISt17integral_constantIbLb1EESV_IbLb0EEEEDaSR_SS_EUlSR_E_NS1_11comp_targetILNS1_3genE0ELNS1_11target_archE4294967295ELNS1_3gpuE0ELNS1_3repE0EEENS1_30default_config_static_selectorELNS0_4arch9wavefront6targetE1EEEvT1_ ; -- Begin function _ZN7rocprim17ROCPRIM_400000_NS6detail17trampoline_kernelINS0_14default_configENS1_27scan_by_key_config_selectorIiiEEZZNS1_16scan_by_key_implILNS1_25lookback_scan_determinismE0ELb1ES3_N6thrust23THRUST_200600_302600_NS10device_ptrIiEESB_SB_iNS9_4plusIvEENS9_8equal_toIvEEiEE10hipError_tPvRmT2_T3_T4_T5_mT6_T7_P12ihipStream_tbENKUlT_T0_E_clISt17integral_constantIbLb1EESV_IbLb0EEEEDaSR_SS_EUlSR_E_NS1_11comp_targetILNS1_3genE0ELNS1_11target_archE4294967295ELNS1_3gpuE0ELNS1_3repE0EEENS1_30default_config_static_selectorELNS0_4arch9wavefront6targetE1EEEvT1_
	.globl	_ZN7rocprim17ROCPRIM_400000_NS6detail17trampoline_kernelINS0_14default_configENS1_27scan_by_key_config_selectorIiiEEZZNS1_16scan_by_key_implILNS1_25lookback_scan_determinismE0ELb1ES3_N6thrust23THRUST_200600_302600_NS10device_ptrIiEESB_SB_iNS9_4plusIvEENS9_8equal_toIvEEiEE10hipError_tPvRmT2_T3_T4_T5_mT6_T7_P12ihipStream_tbENKUlT_T0_E_clISt17integral_constantIbLb1EESV_IbLb0EEEEDaSR_SS_EUlSR_E_NS1_11comp_targetILNS1_3genE0ELNS1_11target_archE4294967295ELNS1_3gpuE0ELNS1_3repE0EEENS1_30default_config_static_selectorELNS0_4arch9wavefront6targetE1EEEvT1_
	.p2align	8
	.type	_ZN7rocprim17ROCPRIM_400000_NS6detail17trampoline_kernelINS0_14default_configENS1_27scan_by_key_config_selectorIiiEEZZNS1_16scan_by_key_implILNS1_25lookback_scan_determinismE0ELb1ES3_N6thrust23THRUST_200600_302600_NS10device_ptrIiEESB_SB_iNS9_4plusIvEENS9_8equal_toIvEEiEE10hipError_tPvRmT2_T3_T4_T5_mT6_T7_P12ihipStream_tbENKUlT_T0_E_clISt17integral_constantIbLb1EESV_IbLb0EEEEDaSR_SS_EUlSR_E_NS1_11comp_targetILNS1_3genE0ELNS1_11target_archE4294967295ELNS1_3gpuE0ELNS1_3repE0EEENS1_30default_config_static_selectorELNS0_4arch9wavefront6targetE1EEEvT1_,@function
_ZN7rocprim17ROCPRIM_400000_NS6detail17trampoline_kernelINS0_14default_configENS1_27scan_by_key_config_selectorIiiEEZZNS1_16scan_by_key_implILNS1_25lookback_scan_determinismE0ELb1ES3_N6thrust23THRUST_200600_302600_NS10device_ptrIiEESB_SB_iNS9_4plusIvEENS9_8equal_toIvEEiEE10hipError_tPvRmT2_T3_T4_T5_mT6_T7_P12ihipStream_tbENKUlT_T0_E_clISt17integral_constantIbLb1EESV_IbLb0EEEEDaSR_SS_EUlSR_E_NS1_11comp_targetILNS1_3genE0ELNS1_11target_archE4294967295ELNS1_3gpuE0ELNS1_3repE0EEENS1_30default_config_static_selectorELNS0_4arch9wavefront6targetE1EEEvT1_: ; @_ZN7rocprim17ROCPRIM_400000_NS6detail17trampoline_kernelINS0_14default_configENS1_27scan_by_key_config_selectorIiiEEZZNS1_16scan_by_key_implILNS1_25lookback_scan_determinismE0ELb1ES3_N6thrust23THRUST_200600_302600_NS10device_ptrIiEESB_SB_iNS9_4plusIvEENS9_8equal_toIvEEiEE10hipError_tPvRmT2_T3_T4_T5_mT6_T7_P12ihipStream_tbENKUlT_T0_E_clISt17integral_constantIbLb1EESV_IbLb0EEEEDaSR_SS_EUlSR_E_NS1_11comp_targetILNS1_3genE0ELNS1_11target_archE4294967295ELNS1_3gpuE0ELNS1_3repE0EEENS1_30default_config_static_selectorELNS0_4arch9wavefront6targetE1EEEvT1_
; %bb.0:
	.section	.rodata,"a",@progbits
	.p2align	6, 0x0
	.amdhsa_kernel _ZN7rocprim17ROCPRIM_400000_NS6detail17trampoline_kernelINS0_14default_configENS1_27scan_by_key_config_selectorIiiEEZZNS1_16scan_by_key_implILNS1_25lookback_scan_determinismE0ELb1ES3_N6thrust23THRUST_200600_302600_NS10device_ptrIiEESB_SB_iNS9_4plusIvEENS9_8equal_toIvEEiEE10hipError_tPvRmT2_T3_T4_T5_mT6_T7_P12ihipStream_tbENKUlT_T0_E_clISt17integral_constantIbLb1EESV_IbLb0EEEEDaSR_SS_EUlSR_E_NS1_11comp_targetILNS1_3genE0ELNS1_11target_archE4294967295ELNS1_3gpuE0ELNS1_3repE0EEENS1_30default_config_static_selectorELNS0_4arch9wavefront6targetE1EEEvT1_
		.amdhsa_group_segment_fixed_size 0
		.amdhsa_private_segment_fixed_size 0
		.amdhsa_kernarg_size 112
		.amdhsa_user_sgpr_count 6
		.amdhsa_user_sgpr_private_segment_buffer 1
		.amdhsa_user_sgpr_dispatch_ptr 0
		.amdhsa_user_sgpr_queue_ptr 0
		.amdhsa_user_sgpr_kernarg_segment_ptr 1
		.amdhsa_user_sgpr_dispatch_id 0
		.amdhsa_user_sgpr_flat_scratch_init 0
		.amdhsa_user_sgpr_kernarg_preload_length 0
		.amdhsa_user_sgpr_kernarg_preload_offset 0
		.amdhsa_user_sgpr_private_segment_size 0
		.amdhsa_uses_dynamic_stack 0
		.amdhsa_system_sgpr_private_segment_wavefront_offset 0
		.amdhsa_system_sgpr_workgroup_id_x 1
		.amdhsa_system_sgpr_workgroup_id_y 0
		.amdhsa_system_sgpr_workgroup_id_z 0
		.amdhsa_system_sgpr_workgroup_info 0
		.amdhsa_system_vgpr_workitem_id 0
		.amdhsa_next_free_vgpr 1
		.amdhsa_next_free_sgpr 0
		.amdhsa_accum_offset 4
		.amdhsa_reserve_vcc 0
		.amdhsa_reserve_flat_scratch 0
		.amdhsa_float_round_mode_32 0
		.amdhsa_float_round_mode_16_64 0
		.amdhsa_float_denorm_mode_32 3
		.amdhsa_float_denorm_mode_16_64 3
		.amdhsa_dx10_clamp 1
		.amdhsa_ieee_mode 1
		.amdhsa_fp16_overflow 0
		.amdhsa_tg_split 0
		.amdhsa_exception_fp_ieee_invalid_op 0
		.amdhsa_exception_fp_denorm_src 0
		.amdhsa_exception_fp_ieee_div_zero 0
		.amdhsa_exception_fp_ieee_overflow 0
		.amdhsa_exception_fp_ieee_underflow 0
		.amdhsa_exception_fp_ieee_inexact 0
		.amdhsa_exception_int_div_zero 0
	.end_amdhsa_kernel
	.section	.text._ZN7rocprim17ROCPRIM_400000_NS6detail17trampoline_kernelINS0_14default_configENS1_27scan_by_key_config_selectorIiiEEZZNS1_16scan_by_key_implILNS1_25lookback_scan_determinismE0ELb1ES3_N6thrust23THRUST_200600_302600_NS10device_ptrIiEESB_SB_iNS9_4plusIvEENS9_8equal_toIvEEiEE10hipError_tPvRmT2_T3_T4_T5_mT6_T7_P12ihipStream_tbENKUlT_T0_E_clISt17integral_constantIbLb1EESV_IbLb0EEEEDaSR_SS_EUlSR_E_NS1_11comp_targetILNS1_3genE0ELNS1_11target_archE4294967295ELNS1_3gpuE0ELNS1_3repE0EEENS1_30default_config_static_selectorELNS0_4arch9wavefront6targetE1EEEvT1_,"axG",@progbits,_ZN7rocprim17ROCPRIM_400000_NS6detail17trampoline_kernelINS0_14default_configENS1_27scan_by_key_config_selectorIiiEEZZNS1_16scan_by_key_implILNS1_25lookback_scan_determinismE0ELb1ES3_N6thrust23THRUST_200600_302600_NS10device_ptrIiEESB_SB_iNS9_4plusIvEENS9_8equal_toIvEEiEE10hipError_tPvRmT2_T3_T4_T5_mT6_T7_P12ihipStream_tbENKUlT_T0_E_clISt17integral_constantIbLb1EESV_IbLb0EEEEDaSR_SS_EUlSR_E_NS1_11comp_targetILNS1_3genE0ELNS1_11target_archE4294967295ELNS1_3gpuE0ELNS1_3repE0EEENS1_30default_config_static_selectorELNS0_4arch9wavefront6targetE1EEEvT1_,comdat
.Lfunc_end2251:
	.size	_ZN7rocprim17ROCPRIM_400000_NS6detail17trampoline_kernelINS0_14default_configENS1_27scan_by_key_config_selectorIiiEEZZNS1_16scan_by_key_implILNS1_25lookback_scan_determinismE0ELb1ES3_N6thrust23THRUST_200600_302600_NS10device_ptrIiEESB_SB_iNS9_4plusIvEENS9_8equal_toIvEEiEE10hipError_tPvRmT2_T3_T4_T5_mT6_T7_P12ihipStream_tbENKUlT_T0_E_clISt17integral_constantIbLb1EESV_IbLb0EEEEDaSR_SS_EUlSR_E_NS1_11comp_targetILNS1_3genE0ELNS1_11target_archE4294967295ELNS1_3gpuE0ELNS1_3repE0EEENS1_30default_config_static_selectorELNS0_4arch9wavefront6targetE1EEEvT1_, .Lfunc_end2251-_ZN7rocprim17ROCPRIM_400000_NS6detail17trampoline_kernelINS0_14default_configENS1_27scan_by_key_config_selectorIiiEEZZNS1_16scan_by_key_implILNS1_25lookback_scan_determinismE0ELb1ES3_N6thrust23THRUST_200600_302600_NS10device_ptrIiEESB_SB_iNS9_4plusIvEENS9_8equal_toIvEEiEE10hipError_tPvRmT2_T3_T4_T5_mT6_T7_P12ihipStream_tbENKUlT_T0_E_clISt17integral_constantIbLb1EESV_IbLb0EEEEDaSR_SS_EUlSR_E_NS1_11comp_targetILNS1_3genE0ELNS1_11target_archE4294967295ELNS1_3gpuE0ELNS1_3repE0EEENS1_30default_config_static_selectorELNS0_4arch9wavefront6targetE1EEEvT1_
                                        ; -- End function
	.section	.AMDGPU.csdata,"",@progbits
; Kernel info:
; codeLenInByte = 0
; NumSgprs: 4
; NumVgprs: 0
; NumAgprs: 0
; TotalNumVgprs: 0
; ScratchSize: 0
; MemoryBound: 0
; FloatMode: 240
; IeeeMode: 1
; LDSByteSize: 0 bytes/workgroup (compile time only)
; SGPRBlocks: 0
; VGPRBlocks: 0
; NumSGPRsForWavesPerEU: 4
; NumVGPRsForWavesPerEU: 1
; AccumOffset: 4
; Occupancy: 8
; WaveLimiterHint : 0
; COMPUTE_PGM_RSRC2:SCRATCH_EN: 0
; COMPUTE_PGM_RSRC2:USER_SGPR: 6
; COMPUTE_PGM_RSRC2:TRAP_HANDLER: 0
; COMPUTE_PGM_RSRC2:TGID_X_EN: 1
; COMPUTE_PGM_RSRC2:TGID_Y_EN: 0
; COMPUTE_PGM_RSRC2:TGID_Z_EN: 0
; COMPUTE_PGM_RSRC2:TIDIG_COMP_CNT: 0
; COMPUTE_PGM_RSRC3_GFX90A:ACCUM_OFFSET: 0
; COMPUTE_PGM_RSRC3_GFX90A:TG_SPLIT: 0
	.section	.text._ZN7rocprim17ROCPRIM_400000_NS6detail17trampoline_kernelINS0_14default_configENS1_27scan_by_key_config_selectorIiiEEZZNS1_16scan_by_key_implILNS1_25lookback_scan_determinismE0ELb1ES3_N6thrust23THRUST_200600_302600_NS10device_ptrIiEESB_SB_iNS9_4plusIvEENS9_8equal_toIvEEiEE10hipError_tPvRmT2_T3_T4_T5_mT6_T7_P12ihipStream_tbENKUlT_T0_E_clISt17integral_constantIbLb1EESV_IbLb0EEEEDaSR_SS_EUlSR_E_NS1_11comp_targetILNS1_3genE10ELNS1_11target_archE1201ELNS1_3gpuE5ELNS1_3repE0EEENS1_30default_config_static_selectorELNS0_4arch9wavefront6targetE1EEEvT1_,"axG",@progbits,_ZN7rocprim17ROCPRIM_400000_NS6detail17trampoline_kernelINS0_14default_configENS1_27scan_by_key_config_selectorIiiEEZZNS1_16scan_by_key_implILNS1_25lookback_scan_determinismE0ELb1ES3_N6thrust23THRUST_200600_302600_NS10device_ptrIiEESB_SB_iNS9_4plusIvEENS9_8equal_toIvEEiEE10hipError_tPvRmT2_T3_T4_T5_mT6_T7_P12ihipStream_tbENKUlT_T0_E_clISt17integral_constantIbLb1EESV_IbLb0EEEEDaSR_SS_EUlSR_E_NS1_11comp_targetILNS1_3genE10ELNS1_11target_archE1201ELNS1_3gpuE5ELNS1_3repE0EEENS1_30default_config_static_selectorELNS0_4arch9wavefront6targetE1EEEvT1_,comdat
	.protected	_ZN7rocprim17ROCPRIM_400000_NS6detail17trampoline_kernelINS0_14default_configENS1_27scan_by_key_config_selectorIiiEEZZNS1_16scan_by_key_implILNS1_25lookback_scan_determinismE0ELb1ES3_N6thrust23THRUST_200600_302600_NS10device_ptrIiEESB_SB_iNS9_4plusIvEENS9_8equal_toIvEEiEE10hipError_tPvRmT2_T3_T4_T5_mT6_T7_P12ihipStream_tbENKUlT_T0_E_clISt17integral_constantIbLb1EESV_IbLb0EEEEDaSR_SS_EUlSR_E_NS1_11comp_targetILNS1_3genE10ELNS1_11target_archE1201ELNS1_3gpuE5ELNS1_3repE0EEENS1_30default_config_static_selectorELNS0_4arch9wavefront6targetE1EEEvT1_ ; -- Begin function _ZN7rocprim17ROCPRIM_400000_NS6detail17trampoline_kernelINS0_14default_configENS1_27scan_by_key_config_selectorIiiEEZZNS1_16scan_by_key_implILNS1_25lookback_scan_determinismE0ELb1ES3_N6thrust23THRUST_200600_302600_NS10device_ptrIiEESB_SB_iNS9_4plusIvEENS9_8equal_toIvEEiEE10hipError_tPvRmT2_T3_T4_T5_mT6_T7_P12ihipStream_tbENKUlT_T0_E_clISt17integral_constantIbLb1EESV_IbLb0EEEEDaSR_SS_EUlSR_E_NS1_11comp_targetILNS1_3genE10ELNS1_11target_archE1201ELNS1_3gpuE5ELNS1_3repE0EEENS1_30default_config_static_selectorELNS0_4arch9wavefront6targetE1EEEvT1_
	.globl	_ZN7rocprim17ROCPRIM_400000_NS6detail17trampoline_kernelINS0_14default_configENS1_27scan_by_key_config_selectorIiiEEZZNS1_16scan_by_key_implILNS1_25lookback_scan_determinismE0ELb1ES3_N6thrust23THRUST_200600_302600_NS10device_ptrIiEESB_SB_iNS9_4plusIvEENS9_8equal_toIvEEiEE10hipError_tPvRmT2_T3_T4_T5_mT6_T7_P12ihipStream_tbENKUlT_T0_E_clISt17integral_constantIbLb1EESV_IbLb0EEEEDaSR_SS_EUlSR_E_NS1_11comp_targetILNS1_3genE10ELNS1_11target_archE1201ELNS1_3gpuE5ELNS1_3repE0EEENS1_30default_config_static_selectorELNS0_4arch9wavefront6targetE1EEEvT1_
	.p2align	8
	.type	_ZN7rocprim17ROCPRIM_400000_NS6detail17trampoline_kernelINS0_14default_configENS1_27scan_by_key_config_selectorIiiEEZZNS1_16scan_by_key_implILNS1_25lookback_scan_determinismE0ELb1ES3_N6thrust23THRUST_200600_302600_NS10device_ptrIiEESB_SB_iNS9_4plusIvEENS9_8equal_toIvEEiEE10hipError_tPvRmT2_T3_T4_T5_mT6_T7_P12ihipStream_tbENKUlT_T0_E_clISt17integral_constantIbLb1EESV_IbLb0EEEEDaSR_SS_EUlSR_E_NS1_11comp_targetILNS1_3genE10ELNS1_11target_archE1201ELNS1_3gpuE5ELNS1_3repE0EEENS1_30default_config_static_selectorELNS0_4arch9wavefront6targetE1EEEvT1_,@function
_ZN7rocprim17ROCPRIM_400000_NS6detail17trampoline_kernelINS0_14default_configENS1_27scan_by_key_config_selectorIiiEEZZNS1_16scan_by_key_implILNS1_25lookback_scan_determinismE0ELb1ES3_N6thrust23THRUST_200600_302600_NS10device_ptrIiEESB_SB_iNS9_4plusIvEENS9_8equal_toIvEEiEE10hipError_tPvRmT2_T3_T4_T5_mT6_T7_P12ihipStream_tbENKUlT_T0_E_clISt17integral_constantIbLb1EESV_IbLb0EEEEDaSR_SS_EUlSR_E_NS1_11comp_targetILNS1_3genE10ELNS1_11target_archE1201ELNS1_3gpuE5ELNS1_3repE0EEENS1_30default_config_static_selectorELNS0_4arch9wavefront6targetE1EEEvT1_: ; @_ZN7rocprim17ROCPRIM_400000_NS6detail17trampoline_kernelINS0_14default_configENS1_27scan_by_key_config_selectorIiiEEZZNS1_16scan_by_key_implILNS1_25lookback_scan_determinismE0ELb1ES3_N6thrust23THRUST_200600_302600_NS10device_ptrIiEESB_SB_iNS9_4plusIvEENS9_8equal_toIvEEiEE10hipError_tPvRmT2_T3_T4_T5_mT6_T7_P12ihipStream_tbENKUlT_T0_E_clISt17integral_constantIbLb1EESV_IbLb0EEEEDaSR_SS_EUlSR_E_NS1_11comp_targetILNS1_3genE10ELNS1_11target_archE1201ELNS1_3gpuE5ELNS1_3repE0EEENS1_30default_config_static_selectorELNS0_4arch9wavefront6targetE1EEEvT1_
; %bb.0:
	.section	.rodata,"a",@progbits
	.p2align	6, 0x0
	.amdhsa_kernel _ZN7rocprim17ROCPRIM_400000_NS6detail17trampoline_kernelINS0_14default_configENS1_27scan_by_key_config_selectorIiiEEZZNS1_16scan_by_key_implILNS1_25lookback_scan_determinismE0ELb1ES3_N6thrust23THRUST_200600_302600_NS10device_ptrIiEESB_SB_iNS9_4plusIvEENS9_8equal_toIvEEiEE10hipError_tPvRmT2_T3_T4_T5_mT6_T7_P12ihipStream_tbENKUlT_T0_E_clISt17integral_constantIbLb1EESV_IbLb0EEEEDaSR_SS_EUlSR_E_NS1_11comp_targetILNS1_3genE10ELNS1_11target_archE1201ELNS1_3gpuE5ELNS1_3repE0EEENS1_30default_config_static_selectorELNS0_4arch9wavefront6targetE1EEEvT1_
		.amdhsa_group_segment_fixed_size 0
		.amdhsa_private_segment_fixed_size 0
		.amdhsa_kernarg_size 112
		.amdhsa_user_sgpr_count 6
		.amdhsa_user_sgpr_private_segment_buffer 1
		.amdhsa_user_sgpr_dispatch_ptr 0
		.amdhsa_user_sgpr_queue_ptr 0
		.amdhsa_user_sgpr_kernarg_segment_ptr 1
		.amdhsa_user_sgpr_dispatch_id 0
		.amdhsa_user_sgpr_flat_scratch_init 0
		.amdhsa_user_sgpr_kernarg_preload_length 0
		.amdhsa_user_sgpr_kernarg_preload_offset 0
		.amdhsa_user_sgpr_private_segment_size 0
		.amdhsa_uses_dynamic_stack 0
		.amdhsa_system_sgpr_private_segment_wavefront_offset 0
		.amdhsa_system_sgpr_workgroup_id_x 1
		.amdhsa_system_sgpr_workgroup_id_y 0
		.amdhsa_system_sgpr_workgroup_id_z 0
		.amdhsa_system_sgpr_workgroup_info 0
		.amdhsa_system_vgpr_workitem_id 0
		.amdhsa_next_free_vgpr 1
		.amdhsa_next_free_sgpr 0
		.amdhsa_accum_offset 4
		.amdhsa_reserve_vcc 0
		.amdhsa_reserve_flat_scratch 0
		.amdhsa_float_round_mode_32 0
		.amdhsa_float_round_mode_16_64 0
		.amdhsa_float_denorm_mode_32 3
		.amdhsa_float_denorm_mode_16_64 3
		.amdhsa_dx10_clamp 1
		.amdhsa_ieee_mode 1
		.amdhsa_fp16_overflow 0
		.amdhsa_tg_split 0
		.amdhsa_exception_fp_ieee_invalid_op 0
		.amdhsa_exception_fp_denorm_src 0
		.amdhsa_exception_fp_ieee_div_zero 0
		.amdhsa_exception_fp_ieee_overflow 0
		.amdhsa_exception_fp_ieee_underflow 0
		.amdhsa_exception_fp_ieee_inexact 0
		.amdhsa_exception_int_div_zero 0
	.end_amdhsa_kernel
	.section	.text._ZN7rocprim17ROCPRIM_400000_NS6detail17trampoline_kernelINS0_14default_configENS1_27scan_by_key_config_selectorIiiEEZZNS1_16scan_by_key_implILNS1_25lookback_scan_determinismE0ELb1ES3_N6thrust23THRUST_200600_302600_NS10device_ptrIiEESB_SB_iNS9_4plusIvEENS9_8equal_toIvEEiEE10hipError_tPvRmT2_T3_T4_T5_mT6_T7_P12ihipStream_tbENKUlT_T0_E_clISt17integral_constantIbLb1EESV_IbLb0EEEEDaSR_SS_EUlSR_E_NS1_11comp_targetILNS1_3genE10ELNS1_11target_archE1201ELNS1_3gpuE5ELNS1_3repE0EEENS1_30default_config_static_selectorELNS0_4arch9wavefront6targetE1EEEvT1_,"axG",@progbits,_ZN7rocprim17ROCPRIM_400000_NS6detail17trampoline_kernelINS0_14default_configENS1_27scan_by_key_config_selectorIiiEEZZNS1_16scan_by_key_implILNS1_25lookback_scan_determinismE0ELb1ES3_N6thrust23THRUST_200600_302600_NS10device_ptrIiEESB_SB_iNS9_4plusIvEENS9_8equal_toIvEEiEE10hipError_tPvRmT2_T3_T4_T5_mT6_T7_P12ihipStream_tbENKUlT_T0_E_clISt17integral_constantIbLb1EESV_IbLb0EEEEDaSR_SS_EUlSR_E_NS1_11comp_targetILNS1_3genE10ELNS1_11target_archE1201ELNS1_3gpuE5ELNS1_3repE0EEENS1_30default_config_static_selectorELNS0_4arch9wavefront6targetE1EEEvT1_,comdat
.Lfunc_end2252:
	.size	_ZN7rocprim17ROCPRIM_400000_NS6detail17trampoline_kernelINS0_14default_configENS1_27scan_by_key_config_selectorIiiEEZZNS1_16scan_by_key_implILNS1_25lookback_scan_determinismE0ELb1ES3_N6thrust23THRUST_200600_302600_NS10device_ptrIiEESB_SB_iNS9_4plusIvEENS9_8equal_toIvEEiEE10hipError_tPvRmT2_T3_T4_T5_mT6_T7_P12ihipStream_tbENKUlT_T0_E_clISt17integral_constantIbLb1EESV_IbLb0EEEEDaSR_SS_EUlSR_E_NS1_11comp_targetILNS1_3genE10ELNS1_11target_archE1201ELNS1_3gpuE5ELNS1_3repE0EEENS1_30default_config_static_selectorELNS0_4arch9wavefront6targetE1EEEvT1_, .Lfunc_end2252-_ZN7rocprim17ROCPRIM_400000_NS6detail17trampoline_kernelINS0_14default_configENS1_27scan_by_key_config_selectorIiiEEZZNS1_16scan_by_key_implILNS1_25lookback_scan_determinismE0ELb1ES3_N6thrust23THRUST_200600_302600_NS10device_ptrIiEESB_SB_iNS9_4plusIvEENS9_8equal_toIvEEiEE10hipError_tPvRmT2_T3_T4_T5_mT6_T7_P12ihipStream_tbENKUlT_T0_E_clISt17integral_constantIbLb1EESV_IbLb0EEEEDaSR_SS_EUlSR_E_NS1_11comp_targetILNS1_3genE10ELNS1_11target_archE1201ELNS1_3gpuE5ELNS1_3repE0EEENS1_30default_config_static_selectorELNS0_4arch9wavefront6targetE1EEEvT1_
                                        ; -- End function
	.section	.AMDGPU.csdata,"",@progbits
; Kernel info:
; codeLenInByte = 0
; NumSgprs: 4
; NumVgprs: 0
; NumAgprs: 0
; TotalNumVgprs: 0
; ScratchSize: 0
; MemoryBound: 0
; FloatMode: 240
; IeeeMode: 1
; LDSByteSize: 0 bytes/workgroup (compile time only)
; SGPRBlocks: 0
; VGPRBlocks: 0
; NumSGPRsForWavesPerEU: 4
; NumVGPRsForWavesPerEU: 1
; AccumOffset: 4
; Occupancy: 8
; WaveLimiterHint : 0
; COMPUTE_PGM_RSRC2:SCRATCH_EN: 0
; COMPUTE_PGM_RSRC2:USER_SGPR: 6
; COMPUTE_PGM_RSRC2:TRAP_HANDLER: 0
; COMPUTE_PGM_RSRC2:TGID_X_EN: 1
; COMPUTE_PGM_RSRC2:TGID_Y_EN: 0
; COMPUTE_PGM_RSRC2:TGID_Z_EN: 0
; COMPUTE_PGM_RSRC2:TIDIG_COMP_CNT: 0
; COMPUTE_PGM_RSRC3_GFX90A:ACCUM_OFFSET: 0
; COMPUTE_PGM_RSRC3_GFX90A:TG_SPLIT: 0
	.section	.text._ZN7rocprim17ROCPRIM_400000_NS6detail17trampoline_kernelINS0_14default_configENS1_27scan_by_key_config_selectorIiiEEZZNS1_16scan_by_key_implILNS1_25lookback_scan_determinismE0ELb1ES3_N6thrust23THRUST_200600_302600_NS10device_ptrIiEESB_SB_iNS9_4plusIvEENS9_8equal_toIvEEiEE10hipError_tPvRmT2_T3_T4_T5_mT6_T7_P12ihipStream_tbENKUlT_T0_E_clISt17integral_constantIbLb1EESV_IbLb0EEEEDaSR_SS_EUlSR_E_NS1_11comp_targetILNS1_3genE5ELNS1_11target_archE942ELNS1_3gpuE9ELNS1_3repE0EEENS1_30default_config_static_selectorELNS0_4arch9wavefront6targetE1EEEvT1_,"axG",@progbits,_ZN7rocprim17ROCPRIM_400000_NS6detail17trampoline_kernelINS0_14default_configENS1_27scan_by_key_config_selectorIiiEEZZNS1_16scan_by_key_implILNS1_25lookback_scan_determinismE0ELb1ES3_N6thrust23THRUST_200600_302600_NS10device_ptrIiEESB_SB_iNS9_4plusIvEENS9_8equal_toIvEEiEE10hipError_tPvRmT2_T3_T4_T5_mT6_T7_P12ihipStream_tbENKUlT_T0_E_clISt17integral_constantIbLb1EESV_IbLb0EEEEDaSR_SS_EUlSR_E_NS1_11comp_targetILNS1_3genE5ELNS1_11target_archE942ELNS1_3gpuE9ELNS1_3repE0EEENS1_30default_config_static_selectorELNS0_4arch9wavefront6targetE1EEEvT1_,comdat
	.protected	_ZN7rocprim17ROCPRIM_400000_NS6detail17trampoline_kernelINS0_14default_configENS1_27scan_by_key_config_selectorIiiEEZZNS1_16scan_by_key_implILNS1_25lookback_scan_determinismE0ELb1ES3_N6thrust23THRUST_200600_302600_NS10device_ptrIiEESB_SB_iNS9_4plusIvEENS9_8equal_toIvEEiEE10hipError_tPvRmT2_T3_T4_T5_mT6_T7_P12ihipStream_tbENKUlT_T0_E_clISt17integral_constantIbLb1EESV_IbLb0EEEEDaSR_SS_EUlSR_E_NS1_11comp_targetILNS1_3genE5ELNS1_11target_archE942ELNS1_3gpuE9ELNS1_3repE0EEENS1_30default_config_static_selectorELNS0_4arch9wavefront6targetE1EEEvT1_ ; -- Begin function _ZN7rocprim17ROCPRIM_400000_NS6detail17trampoline_kernelINS0_14default_configENS1_27scan_by_key_config_selectorIiiEEZZNS1_16scan_by_key_implILNS1_25lookback_scan_determinismE0ELb1ES3_N6thrust23THRUST_200600_302600_NS10device_ptrIiEESB_SB_iNS9_4plusIvEENS9_8equal_toIvEEiEE10hipError_tPvRmT2_T3_T4_T5_mT6_T7_P12ihipStream_tbENKUlT_T0_E_clISt17integral_constantIbLb1EESV_IbLb0EEEEDaSR_SS_EUlSR_E_NS1_11comp_targetILNS1_3genE5ELNS1_11target_archE942ELNS1_3gpuE9ELNS1_3repE0EEENS1_30default_config_static_selectorELNS0_4arch9wavefront6targetE1EEEvT1_
	.globl	_ZN7rocprim17ROCPRIM_400000_NS6detail17trampoline_kernelINS0_14default_configENS1_27scan_by_key_config_selectorIiiEEZZNS1_16scan_by_key_implILNS1_25lookback_scan_determinismE0ELb1ES3_N6thrust23THRUST_200600_302600_NS10device_ptrIiEESB_SB_iNS9_4plusIvEENS9_8equal_toIvEEiEE10hipError_tPvRmT2_T3_T4_T5_mT6_T7_P12ihipStream_tbENKUlT_T0_E_clISt17integral_constantIbLb1EESV_IbLb0EEEEDaSR_SS_EUlSR_E_NS1_11comp_targetILNS1_3genE5ELNS1_11target_archE942ELNS1_3gpuE9ELNS1_3repE0EEENS1_30default_config_static_selectorELNS0_4arch9wavefront6targetE1EEEvT1_
	.p2align	8
	.type	_ZN7rocprim17ROCPRIM_400000_NS6detail17trampoline_kernelINS0_14default_configENS1_27scan_by_key_config_selectorIiiEEZZNS1_16scan_by_key_implILNS1_25lookback_scan_determinismE0ELb1ES3_N6thrust23THRUST_200600_302600_NS10device_ptrIiEESB_SB_iNS9_4plusIvEENS9_8equal_toIvEEiEE10hipError_tPvRmT2_T3_T4_T5_mT6_T7_P12ihipStream_tbENKUlT_T0_E_clISt17integral_constantIbLb1EESV_IbLb0EEEEDaSR_SS_EUlSR_E_NS1_11comp_targetILNS1_3genE5ELNS1_11target_archE942ELNS1_3gpuE9ELNS1_3repE0EEENS1_30default_config_static_selectorELNS0_4arch9wavefront6targetE1EEEvT1_,@function
_ZN7rocprim17ROCPRIM_400000_NS6detail17trampoline_kernelINS0_14default_configENS1_27scan_by_key_config_selectorIiiEEZZNS1_16scan_by_key_implILNS1_25lookback_scan_determinismE0ELb1ES3_N6thrust23THRUST_200600_302600_NS10device_ptrIiEESB_SB_iNS9_4plusIvEENS9_8equal_toIvEEiEE10hipError_tPvRmT2_T3_T4_T5_mT6_T7_P12ihipStream_tbENKUlT_T0_E_clISt17integral_constantIbLb1EESV_IbLb0EEEEDaSR_SS_EUlSR_E_NS1_11comp_targetILNS1_3genE5ELNS1_11target_archE942ELNS1_3gpuE9ELNS1_3repE0EEENS1_30default_config_static_selectorELNS0_4arch9wavefront6targetE1EEEvT1_: ; @_ZN7rocprim17ROCPRIM_400000_NS6detail17trampoline_kernelINS0_14default_configENS1_27scan_by_key_config_selectorIiiEEZZNS1_16scan_by_key_implILNS1_25lookback_scan_determinismE0ELb1ES3_N6thrust23THRUST_200600_302600_NS10device_ptrIiEESB_SB_iNS9_4plusIvEENS9_8equal_toIvEEiEE10hipError_tPvRmT2_T3_T4_T5_mT6_T7_P12ihipStream_tbENKUlT_T0_E_clISt17integral_constantIbLb1EESV_IbLb0EEEEDaSR_SS_EUlSR_E_NS1_11comp_targetILNS1_3genE5ELNS1_11target_archE942ELNS1_3gpuE9ELNS1_3repE0EEENS1_30default_config_static_selectorELNS0_4arch9wavefront6targetE1EEEvT1_
; %bb.0:
	.section	.rodata,"a",@progbits
	.p2align	6, 0x0
	.amdhsa_kernel _ZN7rocprim17ROCPRIM_400000_NS6detail17trampoline_kernelINS0_14default_configENS1_27scan_by_key_config_selectorIiiEEZZNS1_16scan_by_key_implILNS1_25lookback_scan_determinismE0ELb1ES3_N6thrust23THRUST_200600_302600_NS10device_ptrIiEESB_SB_iNS9_4plusIvEENS9_8equal_toIvEEiEE10hipError_tPvRmT2_T3_T4_T5_mT6_T7_P12ihipStream_tbENKUlT_T0_E_clISt17integral_constantIbLb1EESV_IbLb0EEEEDaSR_SS_EUlSR_E_NS1_11comp_targetILNS1_3genE5ELNS1_11target_archE942ELNS1_3gpuE9ELNS1_3repE0EEENS1_30default_config_static_selectorELNS0_4arch9wavefront6targetE1EEEvT1_
		.amdhsa_group_segment_fixed_size 0
		.amdhsa_private_segment_fixed_size 0
		.amdhsa_kernarg_size 112
		.amdhsa_user_sgpr_count 6
		.amdhsa_user_sgpr_private_segment_buffer 1
		.amdhsa_user_sgpr_dispatch_ptr 0
		.amdhsa_user_sgpr_queue_ptr 0
		.amdhsa_user_sgpr_kernarg_segment_ptr 1
		.amdhsa_user_sgpr_dispatch_id 0
		.amdhsa_user_sgpr_flat_scratch_init 0
		.amdhsa_user_sgpr_kernarg_preload_length 0
		.amdhsa_user_sgpr_kernarg_preload_offset 0
		.amdhsa_user_sgpr_private_segment_size 0
		.amdhsa_uses_dynamic_stack 0
		.amdhsa_system_sgpr_private_segment_wavefront_offset 0
		.amdhsa_system_sgpr_workgroup_id_x 1
		.amdhsa_system_sgpr_workgroup_id_y 0
		.amdhsa_system_sgpr_workgroup_id_z 0
		.amdhsa_system_sgpr_workgroup_info 0
		.amdhsa_system_vgpr_workitem_id 0
		.amdhsa_next_free_vgpr 1
		.amdhsa_next_free_sgpr 0
		.amdhsa_accum_offset 4
		.amdhsa_reserve_vcc 0
		.amdhsa_reserve_flat_scratch 0
		.amdhsa_float_round_mode_32 0
		.amdhsa_float_round_mode_16_64 0
		.amdhsa_float_denorm_mode_32 3
		.amdhsa_float_denorm_mode_16_64 3
		.amdhsa_dx10_clamp 1
		.amdhsa_ieee_mode 1
		.amdhsa_fp16_overflow 0
		.amdhsa_tg_split 0
		.amdhsa_exception_fp_ieee_invalid_op 0
		.amdhsa_exception_fp_denorm_src 0
		.amdhsa_exception_fp_ieee_div_zero 0
		.amdhsa_exception_fp_ieee_overflow 0
		.amdhsa_exception_fp_ieee_underflow 0
		.amdhsa_exception_fp_ieee_inexact 0
		.amdhsa_exception_int_div_zero 0
	.end_amdhsa_kernel
	.section	.text._ZN7rocprim17ROCPRIM_400000_NS6detail17trampoline_kernelINS0_14default_configENS1_27scan_by_key_config_selectorIiiEEZZNS1_16scan_by_key_implILNS1_25lookback_scan_determinismE0ELb1ES3_N6thrust23THRUST_200600_302600_NS10device_ptrIiEESB_SB_iNS9_4plusIvEENS9_8equal_toIvEEiEE10hipError_tPvRmT2_T3_T4_T5_mT6_T7_P12ihipStream_tbENKUlT_T0_E_clISt17integral_constantIbLb1EESV_IbLb0EEEEDaSR_SS_EUlSR_E_NS1_11comp_targetILNS1_3genE5ELNS1_11target_archE942ELNS1_3gpuE9ELNS1_3repE0EEENS1_30default_config_static_selectorELNS0_4arch9wavefront6targetE1EEEvT1_,"axG",@progbits,_ZN7rocprim17ROCPRIM_400000_NS6detail17trampoline_kernelINS0_14default_configENS1_27scan_by_key_config_selectorIiiEEZZNS1_16scan_by_key_implILNS1_25lookback_scan_determinismE0ELb1ES3_N6thrust23THRUST_200600_302600_NS10device_ptrIiEESB_SB_iNS9_4plusIvEENS9_8equal_toIvEEiEE10hipError_tPvRmT2_T3_T4_T5_mT6_T7_P12ihipStream_tbENKUlT_T0_E_clISt17integral_constantIbLb1EESV_IbLb0EEEEDaSR_SS_EUlSR_E_NS1_11comp_targetILNS1_3genE5ELNS1_11target_archE942ELNS1_3gpuE9ELNS1_3repE0EEENS1_30default_config_static_selectorELNS0_4arch9wavefront6targetE1EEEvT1_,comdat
.Lfunc_end2253:
	.size	_ZN7rocprim17ROCPRIM_400000_NS6detail17trampoline_kernelINS0_14default_configENS1_27scan_by_key_config_selectorIiiEEZZNS1_16scan_by_key_implILNS1_25lookback_scan_determinismE0ELb1ES3_N6thrust23THRUST_200600_302600_NS10device_ptrIiEESB_SB_iNS9_4plusIvEENS9_8equal_toIvEEiEE10hipError_tPvRmT2_T3_T4_T5_mT6_T7_P12ihipStream_tbENKUlT_T0_E_clISt17integral_constantIbLb1EESV_IbLb0EEEEDaSR_SS_EUlSR_E_NS1_11comp_targetILNS1_3genE5ELNS1_11target_archE942ELNS1_3gpuE9ELNS1_3repE0EEENS1_30default_config_static_selectorELNS0_4arch9wavefront6targetE1EEEvT1_, .Lfunc_end2253-_ZN7rocprim17ROCPRIM_400000_NS6detail17trampoline_kernelINS0_14default_configENS1_27scan_by_key_config_selectorIiiEEZZNS1_16scan_by_key_implILNS1_25lookback_scan_determinismE0ELb1ES3_N6thrust23THRUST_200600_302600_NS10device_ptrIiEESB_SB_iNS9_4plusIvEENS9_8equal_toIvEEiEE10hipError_tPvRmT2_T3_T4_T5_mT6_T7_P12ihipStream_tbENKUlT_T0_E_clISt17integral_constantIbLb1EESV_IbLb0EEEEDaSR_SS_EUlSR_E_NS1_11comp_targetILNS1_3genE5ELNS1_11target_archE942ELNS1_3gpuE9ELNS1_3repE0EEENS1_30default_config_static_selectorELNS0_4arch9wavefront6targetE1EEEvT1_
                                        ; -- End function
	.section	.AMDGPU.csdata,"",@progbits
; Kernel info:
; codeLenInByte = 0
; NumSgprs: 4
; NumVgprs: 0
; NumAgprs: 0
; TotalNumVgprs: 0
; ScratchSize: 0
; MemoryBound: 0
; FloatMode: 240
; IeeeMode: 1
; LDSByteSize: 0 bytes/workgroup (compile time only)
; SGPRBlocks: 0
; VGPRBlocks: 0
; NumSGPRsForWavesPerEU: 4
; NumVGPRsForWavesPerEU: 1
; AccumOffset: 4
; Occupancy: 8
; WaveLimiterHint : 0
; COMPUTE_PGM_RSRC2:SCRATCH_EN: 0
; COMPUTE_PGM_RSRC2:USER_SGPR: 6
; COMPUTE_PGM_RSRC2:TRAP_HANDLER: 0
; COMPUTE_PGM_RSRC2:TGID_X_EN: 1
; COMPUTE_PGM_RSRC2:TGID_Y_EN: 0
; COMPUTE_PGM_RSRC2:TGID_Z_EN: 0
; COMPUTE_PGM_RSRC2:TIDIG_COMP_CNT: 0
; COMPUTE_PGM_RSRC3_GFX90A:ACCUM_OFFSET: 0
; COMPUTE_PGM_RSRC3_GFX90A:TG_SPLIT: 0
	.section	.text._ZN7rocprim17ROCPRIM_400000_NS6detail17trampoline_kernelINS0_14default_configENS1_27scan_by_key_config_selectorIiiEEZZNS1_16scan_by_key_implILNS1_25lookback_scan_determinismE0ELb1ES3_N6thrust23THRUST_200600_302600_NS10device_ptrIiEESB_SB_iNS9_4plusIvEENS9_8equal_toIvEEiEE10hipError_tPvRmT2_T3_T4_T5_mT6_T7_P12ihipStream_tbENKUlT_T0_E_clISt17integral_constantIbLb1EESV_IbLb0EEEEDaSR_SS_EUlSR_E_NS1_11comp_targetILNS1_3genE4ELNS1_11target_archE910ELNS1_3gpuE8ELNS1_3repE0EEENS1_30default_config_static_selectorELNS0_4arch9wavefront6targetE1EEEvT1_,"axG",@progbits,_ZN7rocprim17ROCPRIM_400000_NS6detail17trampoline_kernelINS0_14default_configENS1_27scan_by_key_config_selectorIiiEEZZNS1_16scan_by_key_implILNS1_25lookback_scan_determinismE0ELb1ES3_N6thrust23THRUST_200600_302600_NS10device_ptrIiEESB_SB_iNS9_4plusIvEENS9_8equal_toIvEEiEE10hipError_tPvRmT2_T3_T4_T5_mT6_T7_P12ihipStream_tbENKUlT_T0_E_clISt17integral_constantIbLb1EESV_IbLb0EEEEDaSR_SS_EUlSR_E_NS1_11comp_targetILNS1_3genE4ELNS1_11target_archE910ELNS1_3gpuE8ELNS1_3repE0EEENS1_30default_config_static_selectorELNS0_4arch9wavefront6targetE1EEEvT1_,comdat
	.protected	_ZN7rocprim17ROCPRIM_400000_NS6detail17trampoline_kernelINS0_14default_configENS1_27scan_by_key_config_selectorIiiEEZZNS1_16scan_by_key_implILNS1_25lookback_scan_determinismE0ELb1ES3_N6thrust23THRUST_200600_302600_NS10device_ptrIiEESB_SB_iNS9_4plusIvEENS9_8equal_toIvEEiEE10hipError_tPvRmT2_T3_T4_T5_mT6_T7_P12ihipStream_tbENKUlT_T0_E_clISt17integral_constantIbLb1EESV_IbLb0EEEEDaSR_SS_EUlSR_E_NS1_11comp_targetILNS1_3genE4ELNS1_11target_archE910ELNS1_3gpuE8ELNS1_3repE0EEENS1_30default_config_static_selectorELNS0_4arch9wavefront6targetE1EEEvT1_ ; -- Begin function _ZN7rocprim17ROCPRIM_400000_NS6detail17trampoline_kernelINS0_14default_configENS1_27scan_by_key_config_selectorIiiEEZZNS1_16scan_by_key_implILNS1_25lookback_scan_determinismE0ELb1ES3_N6thrust23THRUST_200600_302600_NS10device_ptrIiEESB_SB_iNS9_4plusIvEENS9_8equal_toIvEEiEE10hipError_tPvRmT2_T3_T4_T5_mT6_T7_P12ihipStream_tbENKUlT_T0_E_clISt17integral_constantIbLb1EESV_IbLb0EEEEDaSR_SS_EUlSR_E_NS1_11comp_targetILNS1_3genE4ELNS1_11target_archE910ELNS1_3gpuE8ELNS1_3repE0EEENS1_30default_config_static_selectorELNS0_4arch9wavefront6targetE1EEEvT1_
	.globl	_ZN7rocprim17ROCPRIM_400000_NS6detail17trampoline_kernelINS0_14default_configENS1_27scan_by_key_config_selectorIiiEEZZNS1_16scan_by_key_implILNS1_25lookback_scan_determinismE0ELb1ES3_N6thrust23THRUST_200600_302600_NS10device_ptrIiEESB_SB_iNS9_4plusIvEENS9_8equal_toIvEEiEE10hipError_tPvRmT2_T3_T4_T5_mT6_T7_P12ihipStream_tbENKUlT_T0_E_clISt17integral_constantIbLb1EESV_IbLb0EEEEDaSR_SS_EUlSR_E_NS1_11comp_targetILNS1_3genE4ELNS1_11target_archE910ELNS1_3gpuE8ELNS1_3repE0EEENS1_30default_config_static_selectorELNS0_4arch9wavefront6targetE1EEEvT1_
	.p2align	8
	.type	_ZN7rocprim17ROCPRIM_400000_NS6detail17trampoline_kernelINS0_14default_configENS1_27scan_by_key_config_selectorIiiEEZZNS1_16scan_by_key_implILNS1_25lookback_scan_determinismE0ELb1ES3_N6thrust23THRUST_200600_302600_NS10device_ptrIiEESB_SB_iNS9_4plusIvEENS9_8equal_toIvEEiEE10hipError_tPvRmT2_T3_T4_T5_mT6_T7_P12ihipStream_tbENKUlT_T0_E_clISt17integral_constantIbLb1EESV_IbLb0EEEEDaSR_SS_EUlSR_E_NS1_11comp_targetILNS1_3genE4ELNS1_11target_archE910ELNS1_3gpuE8ELNS1_3repE0EEENS1_30default_config_static_selectorELNS0_4arch9wavefront6targetE1EEEvT1_,@function
_ZN7rocprim17ROCPRIM_400000_NS6detail17trampoline_kernelINS0_14default_configENS1_27scan_by_key_config_selectorIiiEEZZNS1_16scan_by_key_implILNS1_25lookback_scan_determinismE0ELb1ES3_N6thrust23THRUST_200600_302600_NS10device_ptrIiEESB_SB_iNS9_4plusIvEENS9_8equal_toIvEEiEE10hipError_tPvRmT2_T3_T4_T5_mT6_T7_P12ihipStream_tbENKUlT_T0_E_clISt17integral_constantIbLb1EESV_IbLb0EEEEDaSR_SS_EUlSR_E_NS1_11comp_targetILNS1_3genE4ELNS1_11target_archE910ELNS1_3gpuE8ELNS1_3repE0EEENS1_30default_config_static_selectorELNS0_4arch9wavefront6targetE1EEEvT1_: ; @_ZN7rocprim17ROCPRIM_400000_NS6detail17trampoline_kernelINS0_14default_configENS1_27scan_by_key_config_selectorIiiEEZZNS1_16scan_by_key_implILNS1_25lookback_scan_determinismE0ELb1ES3_N6thrust23THRUST_200600_302600_NS10device_ptrIiEESB_SB_iNS9_4plusIvEENS9_8equal_toIvEEiEE10hipError_tPvRmT2_T3_T4_T5_mT6_T7_P12ihipStream_tbENKUlT_T0_E_clISt17integral_constantIbLb1EESV_IbLb0EEEEDaSR_SS_EUlSR_E_NS1_11comp_targetILNS1_3genE4ELNS1_11target_archE910ELNS1_3gpuE8ELNS1_3repE0EEENS1_30default_config_static_selectorELNS0_4arch9wavefront6targetE1EEEvT1_
; %bb.0:
	s_load_dwordx8 s[36:43], s[4:5], 0x0
	s_load_dword s56, s[4:5], 0x20
	s_load_dwordx4 s[44:47], s[4:5], 0x28
	s_load_dwordx2 s[52:53], s[4:5], 0x38
	s_load_dword s0, s[4:5], 0x40
	s_load_dwordx4 s[48:51], s[4:5], 0x48
	s_waitcnt lgkmcnt(0)
	s_lshl_b64 s[34:35], s[38:39], 2
	s_add_u32 s2, s36, s34
	s_addc_u32 s3, s37, s35
	s_add_u32 s4, s40, s34
	s_mul_i32 s1, s53, s0
	s_mul_hi_u32 s7, s52, s0
	s_addc_u32 s5, s41, s35
	s_add_i32 s8, s7, s1
	s_mul_i32 s9, s52, s0
	s_mul_i32 s0, s6, 0xe00
	s_mov_b32 s1, 0
	s_lshl_b64 s[36:37], s[0:1], 2
	s_add_u32 s38, s2, s36
	s_addc_u32 s39, s3, s37
	s_add_u32 s7, s4, s36
	s_addc_u32 s47, s5, s37
	;; [unrolled: 2-line block ×3, first 2 shown]
	s_add_u32 s4, s48, -1
	s_addc_u32 s5, s49, -1
	v_pk_mov_b32 v[2:3], s[4:5], s[4:5] op_sel:[0,1]
	v_cmp_ge_u64_e64 s[0:1], s[0:1], v[2:3]
	s_mov_b64 s[2:3], -1
	s_and_b64 vcc, exec, s[0:1]
	s_mul_i32 s33, s4, 0xfffff200
	s_barrier
	s_cbranch_vccz .LBB2254_76
; %bb.1:
	v_pk_mov_b32 v[2:3], s[38:39], s[38:39] op_sel:[0,1]
	flat_load_dword v1, v[2:3]
	s_add_i32 s54, s33, s46
	v_cmp_gt_u32_e32 vcc, s54, v0
	s_waitcnt vmcnt(0) lgkmcnt(0)
	v_mov_b32_e32 v13, v1
	s_and_saveexec_b64 s[4:5], vcc
	s_cbranch_execz .LBB2254_3
; %bb.2:
	v_lshlrev_b32_e32 v2, 2, v0
	v_mov_b32_e32 v3, s39
	v_add_co_u32_e64 v2, s[2:3], s38, v2
	v_addc_co_u32_e64 v3, s[2:3], 0, v3, s[2:3]
	flat_load_dword v13, v[2:3]
.LBB2254_3:
	s_or_b64 exec, exec, s[4:5]
	v_or_b32_e32 v2, 0x100, v0
	v_cmp_gt_u32_e64 s[2:3], s54, v2
	v_mov_b32_e32 v14, v1
	s_and_saveexec_b64 s[8:9], s[2:3]
	s_cbranch_execz .LBB2254_5
; %bb.4:
	v_lshlrev_b32_e32 v2, 2, v0
	v_mov_b32_e32 v3, s39
	v_add_co_u32_e64 v2, s[4:5], s38, v2
	v_addc_co_u32_e64 v3, s[4:5], 0, v3, s[4:5]
	flat_load_dword v14, v[2:3] offset:1024
.LBB2254_5:
	s_or_b64 exec, exec, s[8:9]
	v_or_b32_e32 v2, 0x200, v0
	v_cmp_gt_u32_e64 s[4:5], s54, v2
	v_mov_b32_e32 v15, v1
	s_and_saveexec_b64 s[10:11], s[4:5]
	s_cbranch_execz .LBB2254_7
; %bb.6:
	v_lshlrev_b32_e32 v2, 2, v0
	v_mov_b32_e32 v3, s39
	v_add_co_u32_e64 v2, s[8:9], s38, v2
	v_addc_co_u32_e64 v3, s[8:9], 0, v3, s[8:9]
	flat_load_dword v15, v[2:3] offset:2048
.LBB2254_7:
	;; [unrolled: 13-line block ×3, first 2 shown]
	s_or_b64 exec, exec, s[10:11]
	v_or_b32_e32 v2, 0x400, v0
	v_cmp_gt_u32_e64 s[8:9], s54, v2
	v_mov_b32_e32 v17, v1
	s_and_saveexec_b64 s[12:13], s[8:9]
	s_cbranch_execz .LBB2254_11
; %bb.10:
	v_lshlrev_b32_e32 v3, 2, v2
	v_mov_b32_e32 v5, s39
	v_add_co_u32_e64 v4, s[10:11], s38, v3
	v_addc_co_u32_e64 v5, s[10:11], 0, v5, s[10:11]
	flat_load_dword v17, v[4:5]
.LBB2254_11:
	s_or_b64 exec, exec, s[12:13]
	v_or_b32_e32 v3, 0x500, v0
	v_cmp_gt_u32_e64 s[10:11], s54, v3
	v_mov_b32_e32 v18, v1
	s_and_saveexec_b64 s[14:15], s[10:11]
	s_cbranch_execz .LBB2254_13
; %bb.12:
	v_lshlrev_b32_e32 v4, 2, v3
	v_mov_b32_e32 v5, s39
	v_add_co_u32_e64 v4, s[12:13], s38, v4
	v_addc_co_u32_e64 v5, s[12:13], 0, v5, s[12:13]
	flat_load_dword v18, v[4:5]
.LBB2254_13:
	;; [unrolled: 13-line block ×9, first 2 shown]
	s_or_b64 exec, exec, s[30:31]
	v_or_b32_e32 v11, 0xd00, v0
	v_cmp_gt_u32_e64 s[26:27], s54, v11
	s_and_saveexec_b64 s[40:41], s[26:27]
	s_cbranch_execz .LBB2254_29
; %bb.28:
	v_lshlrev_b32_e32 v1, 2, v11
	v_mov_b32_e32 v12, s39
	v_add_co_u32_e64 v26, s[30:31], s38, v1
	v_addc_co_u32_e64 v27, s[30:31], 0, v12, s[30:31]
	flat_load_dword v1, v[26:27]
.LBB2254_29:
	s_or_b64 exec, exec, s[40:41]
	v_lshlrev_b32_e32 v12, 2, v0
	s_waitcnt vmcnt(0) lgkmcnt(0)
	ds_write2st64_b32 v12, v13, v14 offset1:4
	ds_write2st64_b32 v12, v15, v16 offset0:8 offset1:12
	ds_write2st64_b32 v12, v17, v18 offset0:16 offset1:20
	;; [unrolled: 1-line block ×6, first 2 shown]
	v_pk_mov_b32 v[14:15], s[38:39], s[38:39] op_sel:[0,1]
	s_waitcnt lgkmcnt(0)
	s_barrier
	flat_load_dword v1, v[14:15]
	v_mad_u32_u24 v44, v0, 52, v12
	s_movk_i32 s30, 0xffcc
	ds_read2_b64 v[34:37], v44 offset1:1
	ds_read2_b64 v[30:33], v44 offset0:2 offset1:3
	ds_read2_b64 v[26:29], v44 offset0:4 offset1:5
	ds_read_b64 v[40:41], v44 offset:48
	v_mad_i32_i24 v13, v0, s30, v44
	s_movk_i32 s30, 0xff
	v_cmp_ne_u32_e64 s[30:31], s30, v0
	s_waitcnt lgkmcnt(0)
	ds_write_b32 v13, v34 offset:15360
	s_waitcnt lgkmcnt(0)
	s_barrier
	s_and_saveexec_b64 s[40:41], s[30:31]
	s_cbranch_execz .LBB2254_31
; %bb.30:
	s_waitcnt vmcnt(0)
	ds_read_b32 v1, v12 offset:15364
.LBB2254_31:
	s_or_b64 exec, exec, s[40:41]
	s_waitcnt lgkmcnt(0)
	s_barrier
	s_waitcnt lgkmcnt(0)
                                        ; implicit-def: $vgpr13
	s_and_saveexec_b64 s[30:31], vcc
	s_cbranch_execz .LBB2254_117
; %bb.32:
	v_mov_b32_e32 v13, s47
	v_add_co_u32_e32 v14, vcc, s7, v12
	v_addc_co_u32_e32 v15, vcc, 0, v13, vcc
	flat_load_dword v13, v[14:15]
	s_or_b64 exec, exec, s[30:31]
                                        ; implicit-def: $vgpr14
	s_and_saveexec_b64 s[30:31], s[2:3]
	s_cbranch_execnz .LBB2254_118
.LBB2254_33:
	s_or_b64 exec, exec, s[30:31]
                                        ; implicit-def: $vgpr15
	s_and_saveexec_b64 s[2:3], s[4:5]
	s_cbranch_execz .LBB2254_119
.LBB2254_34:
	v_mov_b32_e32 v15, s47
	v_add_co_u32_e32 v16, vcc, s7, v12
	v_addc_co_u32_e32 v17, vcc, 0, v15, vcc
	flat_load_dword v15, v[16:17] offset:2048
	s_or_b64 exec, exec, s[2:3]
                                        ; implicit-def: $vgpr16
	s_and_saveexec_b64 s[2:3], s[28:29]
	s_cbranch_execnz .LBB2254_120
.LBB2254_35:
	s_or_b64 exec, exec, s[2:3]
                                        ; implicit-def: $vgpr17
	s_and_saveexec_b64 s[2:3], s[8:9]
	s_cbranch_execz .LBB2254_121
.LBB2254_36:
	v_lshlrev_b32_e32 v2, 2, v2
	v_mov_b32_e32 v17, s47
	v_add_co_u32_e32 v18, vcc, s7, v2
	v_addc_co_u32_e32 v19, vcc, 0, v17, vcc
	flat_load_dword v17, v[18:19]
	s_or_b64 exec, exec, s[2:3]
                                        ; implicit-def: $vgpr2
	s_and_saveexec_b64 s[2:3], s[10:11]
	s_cbranch_execnz .LBB2254_122
.LBB2254_37:
	s_or_b64 exec, exec, s[2:3]
                                        ; implicit-def: $vgpr3
	s_and_saveexec_b64 s[2:3], s[12:13]
	s_cbranch_execz .LBB2254_123
.LBB2254_38:
	v_lshlrev_b32_e32 v3, 2, v4
	v_mov_b32_e32 v4, s47
	v_add_co_u32_e32 v18, vcc, s7, v3
	v_addc_co_u32_e32 v19, vcc, 0, v4, vcc
	flat_load_dword v3, v[18:19]
	s_or_b64 exec, exec, s[2:3]
                                        ; implicit-def: $vgpr4
	s_and_saveexec_b64 s[2:3], s[14:15]
	s_cbranch_execnz .LBB2254_124
.LBB2254_39:
	s_or_b64 exec, exec, s[2:3]
                                        ; implicit-def: $vgpr5
	s_and_saveexec_b64 s[2:3], s[16:17]
	s_cbranch_execz .LBB2254_125
.LBB2254_40:
	v_lshlrev_b32_e32 v5, 2, v6
	v_mov_b32_e32 v6, s47
	v_add_co_u32_e32 v18, vcc, s7, v5
	v_addc_co_u32_e32 v19, vcc, 0, v6, vcc
	flat_load_dword v5, v[18:19]
	s_or_b64 exec, exec, s[2:3]
                                        ; implicit-def: $vgpr6
	s_and_saveexec_b64 s[2:3], s[18:19]
	s_cbranch_execnz .LBB2254_126
.LBB2254_41:
	s_or_b64 exec, exec, s[2:3]
                                        ; implicit-def: $vgpr7
	s_and_saveexec_b64 s[2:3], s[20:21]
	s_cbranch_execz .LBB2254_127
.LBB2254_42:
	v_lshlrev_b32_e32 v7, 2, v8
	v_mov_b32_e32 v8, s47
	v_add_co_u32_e32 v18, vcc, s7, v7
	v_addc_co_u32_e32 v19, vcc, 0, v8, vcc
	flat_load_dword v7, v[18:19]
	s_or_b64 exec, exec, s[2:3]
                                        ; implicit-def: $vgpr8
	s_and_saveexec_b64 s[2:3], s[22:23]
	s_cbranch_execnz .LBB2254_128
.LBB2254_43:
	s_or_b64 exec, exec, s[2:3]
                                        ; implicit-def: $vgpr9
	s_and_saveexec_b64 s[2:3], s[24:25]
	s_cbranch_execz .LBB2254_45
.LBB2254_44:
	v_lshlrev_b32_e32 v9, 2, v10
	v_mov_b32_e32 v10, s47
	v_add_co_u32_e32 v18, vcc, s7, v9
	v_addc_co_u32_e32 v19, vcc, 0, v10, vcc
	flat_load_dword v9, v[18:19]
.LBB2254_45:
	s_or_b64 exec, exec, s[2:3]
	v_mul_u32_u24_e32 v45, 14, v0
                                        ; implicit-def: $vgpr10
	s_and_saveexec_b64 s[2:3], s[26:27]
	s_cbranch_execz .LBB2254_47
; %bb.46:
	v_lshlrev_b32_e32 v10, 2, v11
	v_mov_b32_e32 v11, s47
	v_add_co_u32_e32 v10, vcc, s7, v10
	v_addc_co_u32_e32 v11, vcc, 0, v11, vcc
	flat_load_dword v10, v[10:11]
.LBB2254_47:
	s_or_b64 exec, exec, s[2:3]
	s_mov_b32 s8, 0
	s_mov_b32 s9, s8
	s_waitcnt vmcnt(0) lgkmcnt(0)
	ds_write2st64_b32 v12, v13, v14 offset1:4
	ds_write2st64_b32 v12, v15, v16 offset0:8 offset1:12
	ds_write2st64_b32 v12, v17, v2 offset0:16 offset1:20
	;; [unrolled: 1-line block ×6, first 2 shown]
	s_mov_b32 s10, s8
	s_mov_b32 s11, s8
	;; [unrolled: 1-line block ×6, first 2 shown]
	v_pk_mov_b32 v[2:3], s[8:9], s[8:9] op_sel:[0,1]
	v_pk_mov_b32 v[8:9], s[14:15], s[14:15] op_sel:[0,1]
	v_pk_mov_b32 v[4:5], s[10:11], s[10:11] op_sel:[0,1]
	v_pk_mov_b32 v[6:7], s[12:13], s[12:13] op_sel:[0,1]
	v_pk_mov_b32 v[16:17], v[8:9], v[8:9] op_sel:[0,1]
	v_pk_mov_b32 v[24:25], v[8:9], v[8:9] op_sel:[0,1]
	v_cmp_gt_u32_e32 vcc, s54, v45
	s_mov_b64 s[2:3], 0
	v_pk_mov_b32 v[38:39], 0, 0
	s_mov_b64 s[18:19], 0
	v_pk_mov_b32 v[14:15], v[6:7], v[6:7] op_sel:[0,1]
	v_pk_mov_b32 v[12:13], v[4:5], v[4:5] op_sel:[0,1]
	v_pk_mov_b32 v[10:11], v[2:3], v[2:3] op_sel:[0,1]
	v_pk_mov_b32 v[22:23], v[6:7], v[6:7] op_sel:[0,1]
	v_pk_mov_b32 v[20:21], v[4:5], v[4:5] op_sel:[0,1]
	v_pk_mov_b32 v[18:19], v[2:3], v[2:3] op_sel:[0,1]
	s_waitcnt lgkmcnt(0)
	s_barrier
	s_waitcnt lgkmcnt(0)
                                        ; implicit-def: $sgpr16_sgpr17
                                        ; implicit-def: $vgpr42
	s_and_saveexec_b64 s[4:5], vcc
	s_cbranch_execz .LBB2254_75
; %bb.48:
	ds_read_b32 v2, v44
	v_mov_b32_e32 v4, s56
	v_cmp_eq_u32_e32 vcc, v34, v35
	v_or_b32_e32 v3, 1, v45
                                        ; implicit-def: $vgpr42
	s_waitcnt lgkmcnt(0)
	v_cndmask_b32_e32 v38, v4, v2, vcc
	v_cmp_ne_u32_e32 vcc, v34, v35
	v_cndmask_b32_e64 v39, 0, 1, vcc
	v_cmp_gt_u32_e32 vcc, s54, v3
	v_pk_mov_b32 v[2:3], s[8:9], s[8:9] op_sel:[0,1]
	v_pk_mov_b32 v[8:9], s[14:15], s[14:15] op_sel:[0,1]
	v_pk_mov_b32 v[4:5], s[10:11], s[10:11] op_sel:[0,1]
	v_pk_mov_b32 v[6:7], s[12:13], s[12:13] op_sel:[0,1]
	v_pk_mov_b32 v[16:17], v[8:9], v[8:9] op_sel:[0,1]
	v_pk_mov_b32 v[24:25], v[8:9], v[8:9] op_sel:[0,1]
	v_pk_mov_b32 v[14:15], v[6:7], v[6:7] op_sel:[0,1]
	v_pk_mov_b32 v[12:13], v[4:5], v[4:5] op_sel:[0,1]
	v_pk_mov_b32 v[10:11], v[2:3], v[2:3] op_sel:[0,1]
	v_pk_mov_b32 v[22:23], v[6:7], v[6:7] op_sel:[0,1]
	v_pk_mov_b32 v[20:21], v[4:5], v[4:5] op_sel:[0,1]
	v_pk_mov_b32 v[18:19], v[2:3], v[2:3] op_sel:[0,1]
                                        ; implicit-def: $sgpr8_sgpr9
	s_and_saveexec_b64 s[16:17], vcc
	s_cbranch_execz .LBB2254_74
; %bb.49:
	ds_read2_b32 v[42:43], v44 offset0:1 offset1:2
	s_mov_b32 s8, 0
	v_mov_b32_e32 v3, s56
	v_cmp_eq_u32_e32 vcc, v35, v36
	s_mov_b32 s14, s8
	s_mov_b32 s15, s8
	v_add_u32_e32 v2, 2, v45
	s_waitcnt lgkmcnt(0)
	v_cndmask_b32_e32 v8, v3, v42, vcc
	v_cmp_ne_u32_e32 vcc, v35, v36
	s_mov_b32 s9, s8
	s_mov_b32 s10, s8
	;; [unrolled: 1-line block ×5, first 2 shown]
	v_pk_mov_b32 v[16:17], s[14:15], s[14:15] op_sel:[0,1]
	v_cndmask_b32_e64 v9, 0, 1, vcc
	v_cmp_gt_u32_e32 vcc, s54, v2
	v_mov_b32_e32 v2, 0
	v_pk_mov_b32 v[14:15], s[12:13], s[12:13] op_sel:[0,1]
	v_pk_mov_b32 v[12:13], s[10:11], s[10:11] op_sel:[0,1]
	;; [unrolled: 1-line block ×4, first 2 shown]
	v_mov_b32_e32 v3, v2
	v_mov_b32_e32 v4, v2
	;; [unrolled: 1-line block ×5, first 2 shown]
	s_mov_b64 s[20:21], 0
	v_pk_mov_b32 v[22:23], v[14:15], v[14:15] op_sel:[0,1]
	v_pk_mov_b32 v[20:21], v[12:13], v[12:13] op_sel:[0,1]
	;; [unrolled: 1-line block ×3, first 2 shown]
                                        ; implicit-def: $sgpr24_sgpr25
                                        ; implicit-def: $vgpr42
	s_and_saveexec_b64 s[18:19], vcc
	s_cbranch_execz .LBB2254_73
; %bb.50:
	v_mov_b32_e32 v4, s56
	v_cmp_eq_u32_e32 vcc, v36, v37
	v_pk_mov_b32 v[16:17], s[14:15], s[14:15] op_sel:[0,1]
	v_add_u32_e32 v3, 3, v45
	v_cndmask_b32_e32 v6, v4, v43, vcc
	v_cmp_ne_u32_e32 vcc, v36, v37
	v_pk_mov_b32 v[14:15], s[12:13], s[12:13] op_sel:[0,1]
	v_pk_mov_b32 v[12:13], s[10:11], s[10:11] op_sel:[0,1]
	;; [unrolled: 1-line block ×4, first 2 shown]
	v_cndmask_b32_e64 v7, 0, 1, vcc
	v_cmp_gt_u32_e32 vcc, s54, v3
	v_mov_b32_e32 v3, v2
	v_mov_b32_e32 v4, v2
	;; [unrolled: 1-line block ×3, first 2 shown]
	s_mov_b64 s[22:23], 0
	v_pk_mov_b32 v[22:23], v[14:15], v[14:15] op_sel:[0,1]
	v_pk_mov_b32 v[20:21], v[12:13], v[12:13] op_sel:[0,1]
	;; [unrolled: 1-line block ×3, first 2 shown]
                                        ; implicit-def: $sgpr8_sgpr9
                                        ; implicit-def: $vgpr42
	s_and_saveexec_b64 s[20:21], vcc
	s_cbranch_execz .LBB2254_72
; %bb.51:
	ds_read2_b32 v[34:35], v44 offset0:3 offset1:4
	s_mov_b32 s8, 0
	s_mov_b32 s14, s8
	;; [unrolled: 1-line block ×3, first 2 shown]
	v_mov_b32_e32 v3, s56
	v_cmp_eq_u32_e32 vcc, v37, v30
	s_mov_b32 s9, s8
	s_mov_b32 s10, s8
	;; [unrolled: 1-line block ×5, first 2 shown]
	v_pk_mov_b32 v[16:17], s[14:15], s[14:15] op_sel:[0,1]
	v_add_u32_e32 v2, 4, v45
	s_waitcnt lgkmcnt(0)
	v_cndmask_b32_e32 v4, v3, v34, vcc
	v_cmp_ne_u32_e32 vcc, v37, v30
	v_pk_mov_b32 v[14:15], s[12:13], s[12:13] op_sel:[0,1]
	v_pk_mov_b32 v[12:13], s[10:11], s[10:11] op_sel:[0,1]
	;; [unrolled: 1-line block ×4, first 2 shown]
	v_cndmask_b32_e64 v5, 0, 1, vcc
	v_cmp_gt_u32_e32 vcc, s54, v2
	v_mov_b32_e32 v2, s8
	v_mov_b32_e32 v3, s8
	s_mov_b64 s[24:25], 0
	v_pk_mov_b32 v[22:23], v[14:15], v[14:15] op_sel:[0,1]
	v_pk_mov_b32 v[20:21], v[12:13], v[12:13] op_sel:[0,1]
	;; [unrolled: 1-line block ×3, first 2 shown]
                                        ; implicit-def: $sgpr26_sgpr27
                                        ; implicit-def: $vgpr42
	s_and_saveexec_b64 s[22:23], vcc
	s_cbranch_execz .LBB2254_71
; %bb.52:
	v_mov_b32_e32 v2, s56
	v_cmp_eq_u32_e32 vcc, v30, v31
	v_add_u32_e32 v10, 5, v45
	v_cndmask_b32_e32 v2, v2, v35, vcc
	v_cmp_ne_u32_e32 vcc, v30, v31
	v_cndmask_b32_e64 v3, 0, 1, vcc
	v_cmp_gt_u32_e32 vcc, s54, v10
	v_pk_mov_b32 v[16:17], s[14:15], s[14:15] op_sel:[0,1]
	v_pk_mov_b32 v[14:15], s[12:13], s[12:13] op_sel:[0,1]
	;; [unrolled: 1-line block ×5, first 2 shown]
	s_mov_b64 s[28:29], 0
	v_pk_mov_b32 v[22:23], v[14:15], v[14:15] op_sel:[0,1]
	v_pk_mov_b32 v[20:21], v[12:13], v[12:13] op_sel:[0,1]
	;; [unrolled: 1-line block ×3, first 2 shown]
                                        ; implicit-def: $sgpr8_sgpr9
                                        ; implicit-def: $vgpr42
	s_and_saveexec_b64 s[24:25], vcc
	s_cbranch_execz .LBB2254_70
; %bb.53:
	ds_read2_b32 v[34:35], v44 offset0:5 offset1:6
	v_mov_b32_e32 v11, s56
	v_cmp_eq_u32_e32 vcc, v31, v32
	s_mov_b32 s8, 0
	v_add_u32_e32 v10, 6, v45
	s_waitcnt lgkmcnt(0)
	v_cndmask_b32_e32 v16, v11, v34, vcc
	v_cmp_ne_u32_e32 vcc, v31, v32
	s_mov_b32 s14, s8
	s_mov_b32 s15, s8
	v_cndmask_b32_e64 v17, 0, 1, vcc
	v_cmp_gt_u32_e32 vcc, s54, v10
	v_mov_b32_e32 v10, 0
	s_mov_b32 s9, s8
	s_mov_b32 s10, s8
	;; [unrolled: 1-line block ×5, first 2 shown]
	v_pk_mov_b32 v[24:25], s[14:15], s[14:15] op_sel:[0,1]
	v_mov_b32_e32 v11, v10
	v_mov_b32_e32 v12, v10
	;; [unrolled: 1-line block ×5, first 2 shown]
	v_pk_mov_b32 v[22:23], s[12:13], s[12:13] op_sel:[0,1]
	v_pk_mov_b32 v[20:21], s[10:11], s[10:11] op_sel:[0,1]
	v_pk_mov_b32 v[18:19], s[8:9], s[8:9] op_sel:[0,1]
                                        ; implicit-def: $sgpr40_sgpr41
                                        ; implicit-def: $vgpr42
	s_and_saveexec_b64 s[26:27], vcc
	s_cbranch_execz .LBB2254_69
; %bb.54:
	v_mov_b32_e32 v12, s56
	v_cmp_eq_u32_e32 vcc, v32, v33
	v_add_u32_e32 v11, 7, v45
	v_cndmask_b32_e32 v14, v12, v35, vcc
	v_cmp_ne_u32_e32 vcc, v32, v33
	v_pk_mov_b32 v[24:25], s[14:15], s[14:15] op_sel:[0,1]
	v_cndmask_b32_e64 v15, 0, 1, vcc
	v_cmp_gt_u32_e32 vcc, s54, v11
	v_mov_b32_e32 v11, v10
	v_mov_b32_e32 v12, v10
	;; [unrolled: 1-line block ×3, first 2 shown]
	s_mov_b64 s[30:31], 0
	v_pk_mov_b32 v[22:23], s[12:13], s[12:13] op_sel:[0,1]
	v_pk_mov_b32 v[20:21], s[10:11], s[10:11] op_sel:[0,1]
	;; [unrolled: 1-line block ×3, first 2 shown]
                                        ; implicit-def: $sgpr8_sgpr9
                                        ; implicit-def: $vgpr42
	s_and_saveexec_b64 s[28:29], vcc
	s_cbranch_execz .LBB2254_68
; %bb.55:
	ds_read2_b32 v[30:31], v44 offset0:7 offset1:8
	s_mov_b32 s8, 0
	v_mov_b32_e32 v11, s56
	v_cmp_eq_u32_e32 vcc, v33, v26
	s_mov_b32 s14, s8
	s_mov_b32 s15, s8
	v_add_u32_e32 v10, 8, v45
	s_waitcnt lgkmcnt(0)
	v_cndmask_b32_e32 v12, v11, v30, vcc
	v_cmp_ne_u32_e32 vcc, v33, v26
	s_mov_b32 s9, s8
	s_mov_b32 s10, s8
	;; [unrolled: 1-line block ×5, first 2 shown]
	v_pk_mov_b32 v[24:25], s[14:15], s[14:15] op_sel:[0,1]
	v_cndmask_b32_e64 v13, 0, 1, vcc
	v_cmp_gt_u32_e32 vcc, s54, v10
	v_mov_b32_e32 v10, s8
	v_mov_b32_e32 v11, s8
	s_mov_b64 s[40:41], 0
	v_pk_mov_b32 v[22:23], s[12:13], s[12:13] op_sel:[0,1]
	v_pk_mov_b32 v[20:21], s[10:11], s[10:11] op_sel:[0,1]
	;; [unrolled: 1-line block ×3, first 2 shown]
                                        ; implicit-def: $sgpr48_sgpr49
                                        ; implicit-def: $vgpr42
	s_and_saveexec_b64 s[30:31], vcc
	s_cbranch_execz .LBB2254_67
; %bb.56:
	v_mov_b32_e32 v10, s56
	v_cmp_eq_u32_e32 vcc, v26, v27
	v_add_u32_e32 v18, 9, v45
	v_cndmask_b32_e32 v10, v10, v31, vcc
	v_cmp_ne_u32_e32 vcc, v26, v27
	v_cndmask_b32_e64 v11, 0, 1, vcc
	v_cmp_gt_u32_e32 vcc, s54, v18
	v_pk_mov_b32 v[24:25], s[14:15], s[14:15] op_sel:[0,1]
	v_pk_mov_b32 v[22:23], s[12:13], s[12:13] op_sel:[0,1]
	v_pk_mov_b32 v[20:21], s[10:11], s[10:11] op_sel:[0,1]
	v_pk_mov_b32 v[18:19], s[8:9], s[8:9] op_sel:[0,1]
                                        ; implicit-def: $sgpr10_sgpr11
                                        ; implicit-def: $vgpr42
	s_and_saveexec_b64 s[8:9], vcc
	s_cbranch_execz .LBB2254_66
; %bb.57:
	ds_read2_b32 v[30:31], v44 offset0:9 offset1:10
	v_mov_b32_e32 v18, s56
	v_cmp_eq_u32_e32 vcc, v27, v28
	v_add_u32_e32 v20, 10, v45
	v_mov_b32_e32 v22, 0
	s_waitcnt lgkmcnt(0)
	v_cndmask_b32_e32 v18, v18, v30, vcc
	v_cmp_ne_u32_e32 vcc, v27, v28
	v_cndmask_b32_e64 v19, 0, 1, vcc
	v_cmp_gt_u32_e32 vcc, s54, v20
	v_mov_b32_e32 v20, v22
	v_mov_b32_e32 v21, v22
	;; [unrolled: 1-line block ×5, first 2 shown]
	s_mov_b64 s[12:13], 0
                                        ; implicit-def: $sgpr40_sgpr41
                                        ; implicit-def: $vgpr42
	s_and_saveexec_b64 s[10:11], vcc
	s_cbranch_execz .LBB2254_65
; %bb.58:
	v_mov_b32_e32 v20, s56
	v_cmp_eq_u32_e32 vcc, v28, v29
	v_add_u32_e32 v23, 11, v45
	v_cndmask_b32_e32 v20, v20, v31, vcc
	v_cmp_ne_u32_e32 vcc, v28, v29
	v_cndmask_b32_e64 v21, 0, 1, vcc
	v_cmp_gt_u32_e32 vcc, s54, v23
	s_mov_b32 s40, 0
	v_mov_b32_e32 v23, v22
	v_mov_b32_e32 v24, v22
	;; [unrolled: 1-line block ×3, first 2 shown]
	s_mov_b64 s[14:15], 0
                                        ; implicit-def: $sgpr48_sgpr49
                                        ; implicit-def: $vgpr42
	s_and_saveexec_b64 s[12:13], vcc
	s_cbranch_execz .LBB2254_64
; %bb.59:
	ds_read2_b32 v[26:27], v44 offset0:11 offset1:12
	v_mov_b32_e32 v22, s56
	v_cmp_eq_u32_e32 vcc, v29, v40
	v_add_u32_e32 v24, 12, v45
	v_mov_b32_e32 v25, s40
	s_waitcnt lgkmcnt(0)
	v_cndmask_b32_e32 v22, v22, v26, vcc
	v_cmp_ne_u32_e32 vcc, v29, v40
	v_cndmask_b32_e64 v23, 0, 1, vcc
	v_cmp_gt_u32_e32 vcc, s54, v24
	v_mov_b32_e32 v24, s40
	s_mov_b64 s[40:41], 0
                                        ; implicit-def: $sgpr48_sgpr49
                                        ; implicit-def: $vgpr42
	s_and_saveexec_b64 s[14:15], vcc
	s_cbranch_execz .LBB2254_63
; %bb.60:
	v_mov_b32_e32 v24, s56
	v_cmp_eq_u32_e32 vcc, v40, v41
	v_add_u32_e32 v26, 13, v45
	v_cndmask_b32_e32 v24, v24, v27, vcc
	v_cmp_ne_u32_e32 vcc, v40, v41
	v_cndmask_b32_e64 v25, 0, 1, vcc
	v_cmp_gt_u32_e32 vcc, s54, v26
                                        ; implicit-def: $sgpr48_sgpr49
                                        ; implicit-def: $vgpr42
	s_and_saveexec_b64 s[54:55], vcc
	s_xor_b64 s[54:55], exec, s[54:55]
	s_cbranch_execz .LBB2254_62
; %bb.61:
	ds_read_b32 v26, v44 offset:52
	v_mov_b32_e32 v27, s56
	v_cmp_ne_u32_e32 vcc, v41, v1
	s_mov_b64 s[40:41], exec
	s_and_b64 s[48:49], vcc, exec
	s_waitcnt lgkmcnt(0)
	v_cndmask_b32_e32 v42, v26, v27, vcc
.LBB2254_62:
	s_or_b64 exec, exec, s[54:55]
	s_and_b64 s[48:49], s[48:49], exec
	s_and_b64 s[40:41], s[40:41], exec
.LBB2254_63:
	s_or_b64 exec, exec, s[14:15]
	s_and_b64 s[48:49], s[48:49], exec
	s_and_b64 s[14:15], s[40:41], exec
.LBB2254_64:
	s_or_b64 exec, exec, s[12:13]
	s_and_b64 s[40:41], s[48:49], exec
	s_and_b64 s[12:13], s[14:15], exec
.LBB2254_65:
	s_or_b64 exec, exec, s[10:11]
	s_and_b64 s[10:11], s[40:41], exec
	s_and_b64 s[40:41], s[12:13], exec
.LBB2254_66:
	s_or_b64 exec, exec, s[8:9]
	s_and_b64 s[48:49], s[10:11], exec
	s_and_b64 s[40:41], s[40:41], exec
.LBB2254_67:
	s_or_b64 exec, exec, s[30:31]
	s_and_b64 s[8:9], s[48:49], exec
	s_and_b64 s[30:31], s[40:41], exec
.LBB2254_68:
	s_or_b64 exec, exec, s[28:29]
	s_and_b64 s[40:41], s[8:9], exec
	s_and_b64 s[28:29], s[30:31], exec
.LBB2254_69:
	s_or_b64 exec, exec, s[26:27]
	s_and_b64 s[8:9], s[40:41], exec
	s_and_b64 s[28:29], s[28:29], exec
.LBB2254_70:
	s_or_b64 exec, exec, s[24:25]
	s_and_b64 s[26:27], s[8:9], exec
	s_and_b64 s[24:25], s[28:29], exec
.LBB2254_71:
	s_or_b64 exec, exec, s[22:23]
	s_and_b64 s[8:9], s[26:27], exec
	s_and_b64 s[22:23], s[24:25], exec
.LBB2254_72:
	s_or_b64 exec, exec, s[20:21]
	s_and_b64 s[24:25], s[8:9], exec
	s_and_b64 s[20:21], s[22:23], exec
.LBB2254_73:
	s_or_b64 exec, exec, s[18:19]
	s_and_b64 s[8:9], s[24:25], exec
	s_and_b64 s[18:19], s[20:21], exec
.LBB2254_74:
	s_or_b64 exec, exec, s[16:17]
	s_and_b64 s[16:17], s[8:9], exec
	s_and_b64 s[18:19], s[18:19], exec
.LBB2254_75:
	s_or_b64 exec, exec, s[4:5]
	s_and_b64 vcc, exec, s[2:3]
	v_lshlrev_b32_e32 v50, 2, v0
	s_cbranch_vccnz .LBB2254_77
	s_branch .LBB2254_82
.LBB2254_76:
	s_mov_b64 s[18:19], 0
                                        ; implicit-def: $sgpr16_sgpr17
                                        ; implicit-def: $vgpr2_vgpr3_vgpr4_vgpr5_vgpr6_vgpr7_vgpr8_vgpr9
                                        ; implicit-def: $vgpr10_vgpr11_vgpr12_vgpr13_vgpr14_vgpr15_vgpr16_vgpr17
                                        ; implicit-def: $vgpr18_vgpr19_vgpr20_vgpr21_vgpr22_vgpr23_vgpr24_vgpr25
                                        ; implicit-def: $vgpr42
                                        ; implicit-def: $vgpr38_vgpr39
	s_and_b64 vcc, exec, s[2:3]
	v_lshlrev_b32_e32 v50, 2, v0
	s_cbranch_vccz .LBB2254_82
.LBB2254_77:
	v_mov_b32_e32 v1, s39
	v_add_co_u32_e32 v2, vcc, s38, v50
	v_addc_co_u32_e32 v3, vcc, 0, v1, vcc
	v_add_co_u32_e32 v4, vcc, 0x1000, v2
	v_addc_co_u32_e32 v5, vcc, 0, v3, vcc
	flat_load_dword v1, v[2:3]
	flat_load_dword v6, v[2:3] offset:1024
	flat_load_dword v7, v[2:3] offset:2048
	;; [unrolled: 1-line block ×3, first 2 shown]
	flat_load_dword v9, v[4:5]
	flat_load_dword v10, v[4:5] offset:1024
	flat_load_dword v11, v[4:5] offset:2048
	;; [unrolled: 1-line block ×3, first 2 shown]
	v_add_co_u32_e32 v4, vcc, 0x2000, v2
	v_addc_co_u32_e32 v5, vcc, 0, v3, vcc
	v_add_co_u32_e32 v2, vcc, 0x3000, v2
	v_addc_co_u32_e32 v3, vcc, 0, v3, vcc
	flat_load_dword v13, v[4:5]
	flat_load_dword v14, v[4:5] offset:1024
	flat_load_dword v15, v[4:5] offset:2048
	;; [unrolled: 1-line block ×3, first 2 shown]
	flat_load_dword v17, v[2:3]
	flat_load_dword v18, v[2:3] offset:1024
	v_mov_b32_e32 v2, s38
	v_mov_b32_e32 v3, s39
	v_add_co_u32_e32 v2, vcc, 0x3000, v2
	v_addc_co_u32_e32 v3, vcc, 0, v3, vcc
	s_movk_i32 s4, 0xffcc
	s_movk_i32 s9, 0x1000
	s_mov_b32 s2, 0
	s_movk_i32 s8, 0x2000
	s_movk_i32 s3, 0x3000
	s_waitcnt vmcnt(0) lgkmcnt(0)
	ds_write2st64_b32 v50, v1, v6 offset1:4
	ds_write2st64_b32 v50, v7, v8 offset0:8 offset1:12
	ds_write2st64_b32 v50, v9, v10 offset0:16 offset1:20
	;; [unrolled: 1-line block ×6, first 2 shown]
	s_waitcnt lgkmcnt(0)
	s_barrier
	flat_load_dword v1, v[2:3] offset:2048
	v_mad_u32_u24 v6, v0, 52, v50
	v_mad_i32_i24 v2, v0, s4, v6
	s_movk_i32 s4, 0xff
	v_cmp_ne_u32_e32 vcc, s4, v0
	ds_read2_b32 v[26:27], v6 offset1:13
	ds_read2_b32 v[18:19], v6 offset0:7 offset1:8
	ds_read2_b32 v[20:21], v6 offset0:5 offset1:6
	;; [unrolled: 1-line block ×6, first 2 shown]
	s_waitcnt lgkmcnt(0)
	ds_write_b32 v2, v26 offset:15360
	s_waitcnt lgkmcnt(0)
	s_barrier
	s_and_saveexec_b64 s[4:5], vcc
	s_cbranch_execz .LBB2254_79
; %bb.78:
	s_waitcnt vmcnt(0)
	ds_read_b32 v1, v50 offset:15364
.LBB2254_79:
	s_or_b64 exec, exec, s[4:5]
	v_mov_b32_e32 v3, s47
	v_add_co_u32_e32 v2, vcc, s7, v50
	v_addc_co_u32_e32 v3, vcc, 0, v3, vcc
	v_add_co_u32_e32 v4, vcc, s9, v2
	v_addc_co_u32_e32 v5, vcc, 0, v3, vcc
	s_waitcnt lgkmcnt(0)
	s_barrier
	flat_load_dword v7, v[2:3]
	flat_load_dword v8, v[2:3] offset:1024
	flat_load_dword v9, v[2:3] offset:2048
	;; [unrolled: 1-line block ×3, first 2 shown]
	flat_load_dword v15, v[4:5]
	flat_load_dword v16, v[4:5] offset:1024
	flat_load_dword v17, v[4:5] offset:2048
	;; [unrolled: 1-line block ×3, first 2 shown]
	v_add_co_u32_e32 v4, vcc, s8, v2
	v_addc_co_u32_e32 v5, vcc, 0, v3, vcc
	v_add_co_u32_e32 v2, vcc, s3, v2
	v_addc_co_u32_e32 v3, vcc, 0, v3, vcc
	flat_load_dword v23, v[4:5]
	flat_load_dword v24, v[4:5] offset:1024
	flat_load_dword v25, v[4:5] offset:2048
	;; [unrolled: 1-line block ×3, first 2 shown]
	flat_load_dword v33, v[2:3]
	flat_load_dword v34, v[2:3] offset:1024
	s_mov_b32 s3, 1
	v_cmp_eq_u32_e32 vcc, v26, v12
	v_pk_mov_b32 v[38:39], s[2:3], s[2:3] op_sel:[0,1]
	s_waitcnt vmcnt(0) lgkmcnt(0)
	ds_write2st64_b32 v50, v7, v8 offset1:4
	ds_write2st64_b32 v50, v9, v14 offset0:8 offset1:12
	ds_write2st64_b32 v50, v15, v16 offset0:16 offset1:20
	;; [unrolled: 1-line block ×6, first 2 shown]
	s_waitcnt lgkmcnt(0)
	s_barrier
	ds_read2_b32 v[24:25], v6 offset0:7 offset1:8
	ds_read2_b32 v[14:15], v6 offset0:5 offset1:6
	;; [unrolled: 1-line block ×4, first 2 shown]
	ds_read_b32 v34, v6 offset:52
	ds_read2_b32 v[22:23], v6 offset0:11 offset1:12
	ds_read2_b32 v[32:33], v6 offset0:9 offset1:10
	v_mov_b32_e32 v7, s56
	s_and_saveexec_b64 s[2:3], vcc
	s_cbranch_execz .LBB2254_81
; %bb.80:
	ds_read_b32 v7, v6
	v_pk_mov_b32 v[38:39], 0, 0
.LBB2254_81:
	s_or_b64 exec, exec, s[2:3]
	v_mov_b32_e32 v26, s56
	v_cmp_eq_u32_e32 vcc, v12, v13
	s_waitcnt lgkmcnt(3)
	v_cndmask_b32_e32 v8, v26, v4, vcc
	v_cmp_eq_u32_e32 vcc, v13, v10
	v_cndmask_b32_e32 v6, v26, v5, vcc
	v_cmp_eq_u32_e32 vcc, v10, v11
	;; [unrolled: 2-line block ×3, first 2 shown]
	v_cndmask_b32_e32 v2, v26, v3, vcc
	v_cmp_ne_u32_e32 vcc, v12, v13
	v_cndmask_b32_e64 v9, 0, 1, vcc
	v_cmp_ne_u32_e32 vcc, v13, v10
	s_waitcnt lgkmcnt(0)
	v_or_b32_e32 v38, v38, v7
	v_cndmask_b32_e64 v7, 0, 1, vcc
	v_cmp_ne_u32_e32 vcc, v10, v11
	v_cndmask_b32_e64 v5, 0, 1, vcc
	v_cmp_ne_u32_e32 vcc, v11, v20
	v_cndmask_b32_e64 v3, 0, 1, vcc
	v_cmp_eq_u32_e32 vcc, v20, v21
	v_cndmask_b32_e32 v16, v26, v14, vcc
	v_cmp_eq_u32_e32 vcc, v21, v18
	v_cndmask_b32_e32 v14, v26, v15, vcc
	;; [unrolled: 2-line block ×4, first 2 shown]
	v_cmp_ne_u32_e32 vcc, v20, v21
	v_cndmask_b32_e64 v17, 0, 1, vcc
	v_cmp_ne_u32_e32 vcc, v21, v18
	v_cndmask_b32_e64 v15, 0, 1, vcc
	;; [unrolled: 2-line block ×4, first 2 shown]
	v_cmp_eq_u32_e32 vcc, v31, v27
	v_cndmask_b32_e32 v24, v26, v23, vcc
	v_cmp_eq_u32_e32 vcc, v30, v31
	v_cndmask_b32_e32 v22, v26, v22, vcc
	;; [unrolled: 2-line block ×4, first 2 shown]
	v_cmp_ne_u32_e32 vcc, v31, v27
	v_cndmask_b32_e64 v25, 0, 1, vcc
	v_cmp_ne_u32_e32 vcc, v30, v31
	v_cndmask_b32_e64 v23, 0, 1, vcc
	;; [unrolled: 2-line block ×3, first 2 shown]
	v_cmp_ne_u32_e32 vcc, v28, v29
	v_cmp_ne_u32_e64 s[16:17], v27, v1
	v_cndmask_b32_e64 v19, 0, 1, vcc
	v_cndmask_b32_e64 v42, v34, v26, s[16:17]
	s_mov_b64 s[18:19], -1
                                        ; implicit-def: $sgpr2_sgpr3
.LBB2254_82:
	v_pk_mov_b32 v[40:41], s[2:3], s[2:3] op_sel:[0,1]
	s_and_saveexec_b64 s[2:3], s[18:19]
; %bb.83:
	v_cndmask_b32_e64 v43, 0, 1, s[16:17]
	v_pk_mov_b32 v[40:41], v[42:43], v[42:43] op_sel:[0,1]
; %bb.84:
	s_or_b64 exec, exec, s[2:3]
	s_mov_b32 s26, 0
	s_cmp_lg_u32 s6, 0
	v_mbcnt_lo_u32_b32 v52, -1, 0
	v_lshrrev_b32_e32 v1, 6, v0
	v_or_b32_e32 v51, 63, v0
	s_barrier
	s_cbranch_scc0 .LBB2254_129
; %bb.85:
	s_mov_b32 s27, 1
	v_cmp_gt_u64_e64 s[2:3], s[26:27], v[8:9]
	v_cndmask_b32_e64 v27, 0, v38, s[2:3]
	v_add_u32_e32 v27, v27, v8
	v_cmp_gt_u64_e64 s[4:5], s[26:27], v[6:7]
	v_cndmask_b32_e64 v27, 0, v27, s[4:5]
	v_add_u32_e32 v27, v27, v6
	;; [unrolled: 3-line block ×12, first 2 shown]
	v_cmp_gt_u64_e32 vcc, s[26:27], v[40:41]
	v_cndmask_b32_e32 v27, 0, v27, vcc
	v_add_u32_e32 v28, v27, v40
	v_or3_b32 v27, v41, v25, v23
	v_or3_b32 v27, v27, v21, v19
	;; [unrolled: 1-line block ×6, first 2 shown]
	v_mov_b32_e32 v26, 0
	v_and_b32_e32 v27, 1, v27
	v_cmp_eq_u64_e32 vcc, 0, v[26:27]
	v_cndmask_b32_e32 v27, 1, v39, vcc
	v_and_b32_e32 v29, 0xff, v27
	v_mov_b32_dpp v31, v28 row_shr:1 row_mask:0xf bank_mask:0xf
	v_cmp_eq_u16_e32 vcc, 0, v29
	v_mov_b32_dpp v32, v29 row_shr:1 row_mask:0xf bank_mask:0xf
	v_and_b32_e32 v33, 1, v27
	v_mbcnt_hi_u32_b32 v46, -1, v52
	v_cndmask_b32_e32 v31, 0, v31, vcc
	v_and_b32_e32 v32, 1, v32
	v_cmp_eq_u32_e32 vcc, 1, v33
	v_and_b32_e32 v30, 15, v46
	v_cndmask_b32_e64 v32, v32, 1, vcc
	v_and_b32_e32 v33, 0xffff, v32
	v_cmp_eq_u32_e32 vcc, 0, v30
	v_cndmask_b32_e32 v27, v32, v27, vcc
	v_cndmask_b32_e32 v29, v33, v29, vcc
	v_and_b32_e32 v33, 1, v27
	v_cndmask_b32_e64 v31, v31, 0, vcc
	v_mov_b32_dpp v32, v29 row_shr:2 row_mask:0xf bank_mask:0xf
	v_and_b32_e32 v32, 1, v32
	v_cmp_eq_u32_e32 vcc, 1, v33
	v_cndmask_b32_e64 v32, v32, 1, vcc
	v_and_b32_e32 v33, 0xffff, v32
	v_cmp_lt_u32_e32 vcc, 1, v30
	v_add_u32_e32 v28, v31, v28
	v_cmp_eq_u16_sdwa s[26:27], v27, v26 src0_sel:BYTE_0 src1_sel:DWORD
	v_cndmask_b32_e32 v27, v27, v32, vcc
	v_cndmask_b32_e32 v29, v29, v33, vcc
	v_mov_b32_dpp v31, v28 row_shr:2 row_mask:0xf bank_mask:0xf
	s_and_b64 vcc, vcc, s[26:27]
	v_mov_b32_dpp v32, v29 row_shr:4 row_mask:0xf bank_mask:0xf
	v_and_b32_e32 v33, 1, v27
	v_cndmask_b32_e32 v31, 0, v31, vcc
	v_and_b32_e32 v32, 1, v32
	v_cmp_eq_u32_e32 vcc, 1, v33
	v_cndmask_b32_e64 v32, v32, 1, vcc
	v_and_b32_e32 v33, 0xffff, v32
	v_cmp_lt_u32_e32 vcc, 3, v30
	v_add_u32_e32 v28, v31, v28
	v_cmp_eq_u16_sdwa s[26:27], v27, v26 src0_sel:BYTE_0 src1_sel:DWORD
	v_cndmask_b32_e32 v27, v27, v32, vcc
	v_cndmask_b32_e32 v29, v29, v33, vcc
	v_mov_b32_dpp v31, v28 row_shr:4 row_mask:0xf bank_mask:0xf
	s_and_b64 vcc, vcc, s[26:27]
	v_mov_b32_dpp v32, v29 row_shr:8 row_mask:0xf bank_mask:0xf
	v_and_b32_e32 v33, 1, v27
	v_cndmask_b32_e32 v31, 0, v31, vcc
	v_and_b32_e32 v32, 1, v32
	v_cmp_eq_u32_e32 vcc, 1, v33
	v_cndmask_b32_e64 v32, v32, 1, vcc
	v_add_u32_e32 v28, v31, v28
	v_cmp_eq_u16_sdwa s[26:27], v27, v26 src0_sel:BYTE_0 src1_sel:DWORD
	v_and_b32_e32 v33, 0xffff, v32
	v_cmp_lt_u32_e32 vcc, 7, v30
	v_mov_b32_dpp v31, v28 row_shr:8 row_mask:0xf bank_mask:0xf
	v_cndmask_b32_e32 v27, v27, v32, vcc
	v_cndmask_b32_e32 v29, v29, v33, vcc
	s_and_b64 vcc, vcc, s[26:27]
	v_cndmask_b32_e32 v30, 0, v31, vcc
	v_add_u32_e32 v28, v30, v28
	v_mov_b32_dpp v31, v29 row_bcast:15 row_mask:0xf bank_mask:0xf
	v_cmp_eq_u16_sdwa vcc, v27, v26 src0_sel:BYTE_0 src1_sel:DWORD
	v_mov_b32_dpp v30, v28 row_bcast:15 row_mask:0xf bank_mask:0xf
	v_and_b32_e32 v34, 1, v27
	v_cndmask_b32_e32 v30, 0, v30, vcc
	v_and_b32_e32 v31, 1, v31
	v_cmp_eq_u32_e32 vcc, 1, v34
	v_and_b32_e32 v33, 16, v46
	v_cndmask_b32_e64 v31, v31, 1, vcc
	v_and_b32_e32 v34, 0xffff, v31
	v_cmp_eq_u32_e32 vcc, 0, v33
	v_cndmask_b32_e32 v27, v31, v27, vcc
	v_cndmask_b32_e32 v29, v34, v29, vcc
	v_bfe_i32 v32, v46, 4, 1
	v_cmp_eq_u16_sdwa s[26:27], v27, v26 src0_sel:BYTE_0 src1_sel:DWORD
	v_mov_b32_dpp v29, v29 row_bcast:31 row_mask:0xf bank_mask:0xf
	v_and_b32_e32 v26, 1, v27
	v_and_b32_e32 v30, v32, v30
	;; [unrolled: 1-line block ×3, first 2 shown]
	v_cmp_eq_u32_e32 vcc, 1, v26
	v_add_u32_e32 v28, v30, v28
	v_cndmask_b32_e64 v26, v29, 1, vcc
	v_cmp_lt_u32_e32 vcc, 31, v46
	v_mov_b32_dpp v30, v28 row_bcast:31 row_mask:0xf bank_mask:0xf
	v_cndmask_b32_e32 v29, v27, v26, vcc
	s_and_b64 vcc, vcc, s[26:27]
	v_cndmask_b32_e32 v26, 0, v30, vcc
	v_add_u32_e32 v28, v26, v28
	v_cmp_eq_u32_e32 vcc, v51, v0
	s_and_saveexec_b64 s[26:27], vcc
	s_cbranch_execz .LBB2254_87
; %bb.86:
	v_lshlrev_b32_e32 v26, 3, v1
	ds_write_b32 v26, v28
	ds_write_b8 v26, v29 offset:4
.LBB2254_87:
	s_or_b64 exec, exec, s[26:27]
	v_cmp_gt_u32_e32 vcc, 4, v0
	s_waitcnt lgkmcnt(0)
	s_barrier
	s_and_saveexec_b64 s[26:27], vcc
	s_cbranch_execz .LBB2254_91
; %bb.88:
	v_lshlrev_b32_e32 v30, 3, v0
	ds_read_b64 v[26:27], v30
	v_and_b32_e32 v31, 3, v46
	v_cmp_ne_u32_e32 vcc, 0, v31
	s_waitcnt lgkmcnt(0)
	v_mov_b32_dpp v32, v26 row_shr:1 row_mask:0xf bank_mask:0xf
	v_mov_b32_dpp v34, v27 row_shr:1 row_mask:0xf bank_mask:0xf
	v_mov_b32_e32 v33, v27
	s_and_saveexec_b64 s[30:31], vcc
	s_cbranch_execz .LBB2254_90
; %bb.89:
	v_and_b32_e32 v33, 1, v27
	v_and_b32_e32 v34, 1, v34
	v_cmp_eq_u32_e32 vcc, 1, v33
	v_mov_b32_e32 v33, 0
	v_cndmask_b32_e64 v34, v34, 1, vcc
	v_cmp_eq_u16_sdwa vcc, v27, v33 src0_sel:BYTE_0 src1_sel:DWORD
	v_cndmask_b32_e32 v32, 0, v32, vcc
	v_add_u32_e32 v26, v32, v26
	v_and_b32_e32 v32, 0xffff, v34
	s_movk_i32 s7, 0xff00
	v_and_or_b32 v33, v27, s7, v32
	v_mov_b32_e32 v27, v34
.LBB2254_90:
	s_or_b64 exec, exec, s[30:31]
	v_mov_b32_dpp v33, v33 row_shr:2 row_mask:0xf bank_mask:0xf
	v_and_b32_e32 v34, 1, v27
	v_and_b32_e32 v33, 1, v33
	v_cmp_eq_u32_e32 vcc, 1, v34
	v_mov_b32_e32 v34, 0
	v_cndmask_b32_e64 v33, v33, 1, vcc
	v_cmp_eq_u16_sdwa s[30:31], v27, v34 src0_sel:BYTE_0 src1_sel:DWORD
	v_cmp_lt_u32_e32 vcc, 1, v31
	v_mov_b32_dpp v32, v26 row_shr:2 row_mask:0xf bank_mask:0xf
	v_cndmask_b32_e32 v27, v27, v33, vcc
	s_and_b64 vcc, vcc, s[30:31]
	v_cndmask_b32_e32 v31, 0, v32, vcc
	v_add_u32_e32 v26, v31, v26
	ds_write_b32 v30, v26
	ds_write_b8 v30, v27 offset:4
.LBB2254_91:
	s_or_b64 exec, exec, s[26:27]
	v_cmp_gt_u32_e32 vcc, 64, v0
	v_cmp_lt_u32_e64 s[26:27], 63, v0
	v_mov_b32_e32 v42, 0
	v_mov_b32_e32 v43, 0
	s_waitcnt lgkmcnt(0)
	s_barrier
	s_and_saveexec_b64 s[30:31], s[26:27]
	s_cbranch_execz .LBB2254_93
; %bb.92:
	v_lshl_add_u32 v26, v1, 3, -8
	ds_read_b32 v42, v26
	ds_read_u8 v43, v26 offset:4
	v_mov_b32_e32 v27, 0
	v_and_b32_e32 v30, 1, v29
	v_cmp_eq_u16_sdwa s[26:27], v29, v27 src0_sel:BYTE_0 src1_sel:DWORD
	s_waitcnt lgkmcnt(1)
	v_cndmask_b32_e64 v26, 0, v42, s[26:27]
	v_cmp_eq_u32_e64 s[26:27], 1, v30
	v_add_u32_e32 v28, v26, v28
	s_waitcnt lgkmcnt(0)
	v_cndmask_b32_e64 v29, v43, 1, s[26:27]
.LBB2254_93:
	s_or_b64 exec, exec, s[30:31]
	v_and_b32_e32 v26, 0xff, v29
	v_add_u32_e32 v27, -1, v46
	v_and_b32_e32 v29, 64, v46
	v_cmp_lt_i32_e64 s[26:27], v27, v29
	v_cndmask_b32_e64 v27, v27, v46, s[26:27]
	v_lshlrev_b32_e32 v27, 2, v27
	ds_bpermute_b32 v44, v27, v28
	ds_bpermute_b32 v45, v27, v26
	v_cmp_eq_u32_e64 s[26:27], 0, v46
	s_and_saveexec_b64 s[38:39], vcc
	s_cbranch_execz .LBB2254_116
; %bb.94:
	v_mov_b32_e32 v29, 0
	ds_read_b64 v[26:27], v29 offset:24
	s_waitcnt lgkmcnt(0)
	v_readfirstlane_b32 s7, v27
	s_and_saveexec_b64 s[30:31], s[26:27]
	s_cbranch_execz .LBB2254_96
; %bb.95:
	s_add_i32 s40, s6, 64
	s_mov_b32 s41, 0
	s_lshl_b64 s[48:49], s[40:41], 4
	s_add_u32 s48, s44, s48
	s_addc_u32 s49, s45, s49
	s_and_b32 s55, s7, 0xff000000
	s_mov_b32 s54, s41
	s_and_b32 s59, s7, 0xff0000
	s_mov_b32 s58, s41
	s_or_b64 s[54:55], s[58:59], s[54:55]
	s_and_b32 s59, s7, 0xff00
	s_or_b64 s[54:55], s[54:55], s[58:59]
	s_and_b32 s59, s7, 0xff
	s_or_b64 s[40:41], s[54:55], s[58:59]
	v_mov_b32_e32 v27, s41
	v_mov_b32_e32 v28, 1
	v_pk_mov_b32 v[30:31], s[48:49], s[48:49] op_sel:[0,1]
	;;#ASMSTART
	global_store_dwordx4 v[30:31], v[26:29] off	
s_waitcnt vmcnt(0)
	;;#ASMEND
.LBB2254_96:
	s_or_b64 exec, exec, s[30:31]
	v_xad_u32 v34, v46, -1, s6
	v_add_u32_e32 v28, 64, v34
	v_lshlrev_b64 v[30:31], 4, v[28:29]
	v_mov_b32_e32 v27, s45
	v_add_co_u32_e32 v36, vcc, s44, v30
	v_addc_co_u32_e32 v37, vcc, v27, v31, vcc
	;;#ASMSTART
	global_load_dwordx4 v[30:33], v[36:37] off glc	
s_waitcnt vmcnt(0)
	;;#ASMEND
	v_and_b32_e32 v27, 0xff0000, v30
	v_or_b32_sdwa v27, v30, v27 dst_sel:DWORD dst_unused:UNUSED_PAD src0_sel:WORD_0 src1_sel:DWORD
	v_and_b32_e32 v28, 0xff000000, v30
	v_and_b32_e32 v30, 0xff, v31
	v_or3_b32 v31, 0, 0, v30
	v_or3_b32 v30, v27, v28, 0
	v_cmp_eq_u16_sdwa s[40:41], v32, v29 src0_sel:BYTE_0 src1_sel:DWORD
	s_and_saveexec_b64 s[30:31], s[40:41]
	s_cbranch_execz .LBB2254_102
; %bb.97:
	s_mov_b32 s47, 1
	s_mov_b64 s[40:41], 0
	v_mov_b32_e32 v27, 0
.LBB2254_98:                            ; =>This Loop Header: Depth=1
                                        ;     Child Loop BB2254_99 Depth 2
	s_max_u32 s48, s47, 1
.LBB2254_99:                            ;   Parent Loop BB2254_98 Depth=1
                                        ; =>  This Inner Loop Header: Depth=2
	s_add_i32 s48, s48, -1
	s_cmp_eq_u32 s48, 0
	s_sleep 1
	s_cbranch_scc0 .LBB2254_99
; %bb.100:                              ;   in Loop: Header=BB2254_98 Depth=1
	s_cmp_lt_u32 s47, 32
	s_cselect_b64 s[48:49], -1, 0
	s_cmp_lg_u64 s[48:49], 0
	s_addc_u32 s47, s47, 0
	;;#ASMSTART
	global_load_dwordx4 v[30:33], v[36:37] off glc	
s_waitcnt vmcnt(0)
	;;#ASMEND
	v_cmp_ne_u16_sdwa s[48:49], v32, v27 src0_sel:BYTE_0 src1_sel:DWORD
	s_or_b64 s[40:41], s[48:49], s[40:41]
	s_andn2_b64 exec, exec, s[40:41]
	s_cbranch_execnz .LBB2254_98
; %bb.101:
	s_or_b64 exec, exec, s[40:41]
	v_and_b32_e32 v31, 0xff, v31
.LBB2254_102:
	s_or_b64 exec, exec, s[30:31]
	v_mov_b32_e32 v27, 2
	v_cmp_eq_u16_sdwa s[30:31], v32, v27 src0_sel:BYTE_0 src1_sel:DWORD
	v_lshlrev_b64 v[28:29], v46, -1
	v_and_b32_e32 v33, s31, v29
	v_or_b32_e32 v33, 0x80000000, v33
	v_and_b32_e32 v35, s30, v28
	v_ffbl_b32_e32 v33, v33
	v_and_b32_e32 v47, 63, v46
	v_add_u32_e32 v33, 32, v33
	v_ffbl_b32_e32 v35, v35
	v_cmp_ne_u32_e32 vcc, 63, v47
	v_min_u32_e32 v33, v35, v33
	v_addc_co_u32_e32 v35, vcc, 0, v46, vcc
	v_lshlrev_b32_e32 v48, 2, v35
	ds_bpermute_b32 v35, v48, v31
	ds_bpermute_b32 v36, v48, v30
	s_mov_b32 s40, 0
	v_and_b32_e32 v37, 1, v31
	s_mov_b32 s41, 1
	s_waitcnt lgkmcnt(1)
	v_and_b32_e32 v35, 1, v35
	v_cmp_eq_u32_e32 vcc, 1, v37
	v_cndmask_b32_e64 v35, v35, 1, vcc
	v_cmp_gt_u64_e32 vcc, s[40:41], v[30:31]
	v_cmp_lt_u32_e64 s[30:31], v47, v33
	s_and_b64 vcc, s[30:31], vcc
	v_and_b32_e32 v37, 0xffff, v35
	v_cndmask_b32_e64 v54, v31, v35, s[30:31]
	s_waitcnt lgkmcnt(0)
	v_cndmask_b32_e32 v35, 0, v36, vcc
	v_cmp_gt_u32_e32 vcc, 62, v47
	v_cndmask_b32_e64 v36, 0, 1, vcc
	v_lshlrev_b32_e32 v36, 1, v36
	v_cndmask_b32_e64 v31, v31, v37, s[30:31]
	v_add_lshl_u32 v49, v36, v46, 2
	ds_bpermute_b32 v36, v49, v31
	v_add_u32_e32 v30, v35, v30
	ds_bpermute_b32 v37, v49, v30
	v_and_b32_e32 v35, 1, v54
	v_cmp_eq_u32_e32 vcc, 1, v35
	s_waitcnt lgkmcnt(1)
	v_and_b32_e32 v36, 1, v36
	v_mov_b32_e32 v35, 0
	v_add_u32_e32 v53, 2, v47
	v_cndmask_b32_e64 v36, v36, 1, vcc
	v_cmp_eq_u16_sdwa vcc, v54, v35 src0_sel:BYTE_0 src1_sel:DWORD
	v_and_b32_e32 v55, 0xffff, v36
	s_waitcnt lgkmcnt(0)
	v_cndmask_b32_e32 v37, 0, v37, vcc
	v_cmp_gt_u32_e32 vcc, v53, v33
	v_cndmask_b32_e32 v36, v36, v54, vcc
	v_cndmask_b32_e64 v37, v37, 0, vcc
	v_cndmask_b32_e32 v31, v55, v31, vcc
	v_cmp_gt_u32_e32 vcc, 60, v47
	v_cndmask_b32_e64 v54, 0, 1, vcc
	v_lshlrev_b32_e32 v54, 2, v54
	v_add_lshl_u32 v54, v54, v46, 2
	ds_bpermute_b32 v56, v54, v31
	v_add_u32_e32 v30, v37, v30
	ds_bpermute_b32 v37, v54, v30
	v_and_b32_e32 v57, 1, v36
	v_cmp_eq_u32_e32 vcc, 1, v57
	s_waitcnt lgkmcnt(1)
	v_and_b32_e32 v56, 1, v56
	v_add_u32_e32 v55, 4, v47
	v_cndmask_b32_e64 v56, v56, 1, vcc
	v_cmp_eq_u16_sdwa vcc, v36, v35 src0_sel:BYTE_0 src1_sel:DWORD
	v_and_b32_e32 v57, 0xffff, v56
	s_waitcnt lgkmcnt(0)
	v_cndmask_b32_e32 v37, 0, v37, vcc
	v_cmp_gt_u32_e32 vcc, v55, v33
	v_cndmask_b32_e32 v36, v56, v36, vcc
	v_cndmask_b32_e64 v37, v37, 0, vcc
	v_cndmask_b32_e32 v31, v57, v31, vcc
	v_cmp_gt_u32_e32 vcc, 56, v47
	v_cndmask_b32_e64 v56, 0, 1, vcc
	v_lshlrev_b32_e32 v56, 3, v56
	v_add_lshl_u32 v56, v56, v46, 2
	ds_bpermute_b32 v58, v56, v31
	v_add_u32_e32 v30, v37, v30
	ds_bpermute_b32 v37, v56, v30
	v_and_b32_e32 v59, 1, v36
	v_cmp_eq_u32_e32 vcc, 1, v59
	s_waitcnt lgkmcnt(1)
	v_and_b32_e32 v58, 1, v58
	;; [unrolled: 21-line block ×4, first 2 shown]
	v_add_u32_e32 v62, 32, v47
	v_cndmask_b32_e64 v31, v31, 1, vcc
	v_cmp_eq_u16_sdwa vcc, v36, v35 src0_sel:BYTE_0 src1_sel:DWORD
	s_waitcnt lgkmcnt(0)
	v_cndmask_b32_e32 v37, 0, v37, vcc
	v_cmp_gt_u32_e32 vcc, v62, v33
	v_cndmask_b32_e64 v33, v37, 0, vcc
	v_cndmask_b32_e32 v31, v31, v36, vcc
	v_add_u32_e32 v30, v33, v30
	s_branch .LBB2254_104
.LBB2254_103:                           ;   in Loop: Header=BB2254_104 Depth=1
	s_or_b64 exec, exec, s[30:31]
	v_cmp_eq_u16_sdwa s[30:31], v32, v27 src0_sel:BYTE_0 src1_sel:DWORD
	v_and_b32_e32 v33, s31, v29
	ds_bpermute_b32 v37, v48, v31
	v_or_b32_e32 v33, 0x80000000, v33
	v_and_b32_e32 v36, s30, v28
	v_ffbl_b32_e32 v33, v33
	v_add_u32_e32 v33, 32, v33
	v_ffbl_b32_e32 v36, v36
	v_min_u32_e32 v33, v36, v33
	ds_bpermute_b32 v36, v48, v30
	v_and_b32_e32 v63, 1, v31
	s_waitcnt lgkmcnt(1)
	v_and_b32_e32 v37, 1, v37
	v_cmp_eq_u32_e32 vcc, 1, v63
	v_cndmask_b32_e64 v37, v37, 1, vcc
	v_cmp_gt_u64_e32 vcc, s[40:41], v[30:31]
	v_and_b32_e32 v63, 0xffff, v37
	v_cmp_lt_u32_e64 s[30:31], v47, v33
	v_cndmask_b32_e64 v37, v31, v37, s[30:31]
	v_cndmask_b32_e64 v31, v31, v63, s[30:31]
	s_and_b64 vcc, s[30:31], vcc
	ds_bpermute_b32 v63, v49, v31
	s_waitcnt lgkmcnt(1)
	v_cndmask_b32_e32 v36, 0, v36, vcc
	v_add_u32_e32 v30, v36, v30
	ds_bpermute_b32 v36, v49, v30
	v_and_b32_e32 v64, 1, v37
	s_waitcnt lgkmcnt(1)
	v_and_b32_e32 v63, 1, v63
	v_cmp_eq_u32_e32 vcc, 1, v64
	v_cndmask_b32_e64 v63, v63, 1, vcc
	v_cmp_eq_u16_sdwa vcc, v37, v35 src0_sel:BYTE_0 src1_sel:DWORD
	v_and_b32_e32 v64, 0xffff, v63
	s_waitcnt lgkmcnt(0)
	v_cndmask_b32_e32 v36, 0, v36, vcc
	v_cmp_gt_u32_e32 vcc, v53, v33
	v_cndmask_b32_e32 v31, v64, v31, vcc
	v_cndmask_b32_e32 v37, v63, v37, vcc
	ds_bpermute_b32 v63, v54, v31
	v_cndmask_b32_e64 v36, v36, 0, vcc
	v_add_u32_e32 v30, v36, v30
	ds_bpermute_b32 v36, v54, v30
	v_and_b32_e32 v64, 1, v37
	s_waitcnt lgkmcnt(1)
	v_and_b32_e32 v63, 1, v63
	v_cmp_eq_u32_e32 vcc, 1, v64
	v_cndmask_b32_e64 v63, v63, 1, vcc
	v_cmp_eq_u16_sdwa vcc, v37, v35 src0_sel:BYTE_0 src1_sel:DWORD
	v_and_b32_e32 v64, 0xffff, v63
	s_waitcnt lgkmcnt(0)
	v_cndmask_b32_e32 v36, 0, v36, vcc
	v_cmp_gt_u32_e32 vcc, v55, v33
	v_cndmask_b32_e32 v31, v64, v31, vcc
	v_cndmask_b32_e32 v37, v63, v37, vcc
	ds_bpermute_b32 v63, v56, v31
	v_cndmask_b32_e64 v36, v36, 0, vcc
	;; [unrolled: 16-line block ×3, first 2 shown]
	v_add_u32_e32 v30, v36, v30
	ds_bpermute_b32 v36, v58, v30
	v_and_b32_e32 v64, 1, v37
	s_waitcnt lgkmcnt(1)
	v_and_b32_e32 v63, 1, v63
	v_cmp_eq_u32_e32 vcc, 1, v64
	v_cndmask_b32_e64 v63, v63, 1, vcc
	v_cmp_eq_u16_sdwa vcc, v37, v35 src0_sel:BYTE_0 src1_sel:DWORD
	v_and_b32_e32 v64, 0xffff, v63
	s_waitcnt lgkmcnt(0)
	v_cndmask_b32_e32 v36, 0, v36, vcc
	v_cmp_gt_u32_e32 vcc, v59, v33
	v_cndmask_b32_e64 v36, v36, 0, vcc
	v_cndmask_b32_e32 v31, v64, v31, vcc
	ds_bpermute_b32 v31, v61, v31
	v_add_u32_e32 v30, v36, v30
	ds_bpermute_b32 v36, v61, v30
	v_cndmask_b32_e32 v37, v63, v37, vcc
	v_and_b32_e32 v63, 1, v37
	v_cmp_eq_u32_e32 vcc, 1, v63
	s_waitcnt lgkmcnt(1)
	v_cndmask_b32_e64 v31, v31, 1, vcc
	v_cmp_eq_u16_sdwa vcc, v37, v35 src0_sel:BYTE_0 src1_sel:DWORD
	s_waitcnt lgkmcnt(0)
	v_cndmask_b32_e32 v36, 0, v36, vcc
	v_cmp_gt_u32_e32 vcc, v62, v33
	v_cndmask_b32_e64 v33, v36, 0, vcc
	v_cndmask_b32_e32 v31, v31, v37, vcc
	v_add_u32_e32 v30, v33, v30
	v_cmp_eq_u16_sdwa vcc, v46, v35 src0_sel:BYTE_0 src1_sel:DWORD
	v_and_b32_e32 v33, 1, v46
	v_cndmask_b32_e32 v30, 0, v30, vcc
	v_and_b32_e32 v31, 1, v31
	v_cmp_eq_u32_e32 vcc, 1, v33
	v_subrev_u32_e32 v34, 64, v34
	v_add_u32_e32 v30, v30, v60
	v_cndmask_b32_e64 v31, v31, 1, vcc
.LBB2254_104:                           ; =>This Loop Header: Depth=1
                                        ;     Child Loop BB2254_107 Depth 2
                                        ;       Child Loop BB2254_108 Depth 3
	v_cmp_ne_u16_sdwa s[30:31], v32, v27 src0_sel:BYTE_0 src1_sel:DWORD
	v_mov_b32_e32 v46, v31
	v_cndmask_b32_e64 v31, 0, 1, s[30:31]
	;;#ASMSTART
	;;#ASMEND
	v_cmp_ne_u32_e32 vcc, 0, v31
	s_cmp_lg_u64 vcc, exec
	v_mov_b32_e32 v60, v30
	s_cbranch_scc1 .LBB2254_111
; %bb.105:                              ;   in Loop: Header=BB2254_104 Depth=1
	v_lshlrev_b64 v[30:31], 4, v[34:35]
	v_mov_b32_e32 v32, s45
	v_add_co_u32_e32 v36, vcc, s44, v30
	v_addc_co_u32_e32 v37, vcc, v32, v31, vcc
	;;#ASMSTART
	global_load_dwordx4 v[30:33], v[36:37] off glc	
s_waitcnt vmcnt(0)
	;;#ASMEND
	v_and_b32_e32 v33, 0xff0000, v30
	v_or_b32_sdwa v33, v30, v33 dst_sel:DWORD dst_unused:UNUSED_PAD src0_sel:WORD_0 src1_sel:DWORD
	v_and_b32_e32 v30, 0xff000000, v30
	v_and_b32_e32 v31, 0xff, v31
	v_or3_b32 v31, 0, 0, v31
	v_or3_b32 v30, v33, v30, 0
	v_cmp_eq_u16_sdwa s[48:49], v32, v35 src0_sel:BYTE_0 src1_sel:DWORD
	s_and_saveexec_b64 s[30:31], s[48:49]
	s_cbranch_execz .LBB2254_103
; %bb.106:                              ;   in Loop: Header=BB2254_104 Depth=1
	s_mov_b32 s47, 1
	s_mov_b64 s[48:49], 0
.LBB2254_107:                           ;   Parent Loop BB2254_104 Depth=1
                                        ; =>  This Loop Header: Depth=2
                                        ;       Child Loop BB2254_108 Depth 3
	s_max_u32 s54, s47, 1
.LBB2254_108:                           ;   Parent Loop BB2254_104 Depth=1
                                        ;     Parent Loop BB2254_107 Depth=2
                                        ; =>    This Inner Loop Header: Depth=3
	s_add_i32 s54, s54, -1
	s_cmp_eq_u32 s54, 0
	s_sleep 1
	s_cbranch_scc0 .LBB2254_108
; %bb.109:                              ;   in Loop: Header=BB2254_107 Depth=2
	s_cmp_lt_u32 s47, 32
	s_cselect_b64 s[54:55], -1, 0
	s_cmp_lg_u64 s[54:55], 0
	s_addc_u32 s47, s47, 0
	;;#ASMSTART
	global_load_dwordx4 v[30:33], v[36:37] off glc	
s_waitcnt vmcnt(0)
	;;#ASMEND
	v_cmp_ne_u16_sdwa s[54:55], v32, v35 src0_sel:BYTE_0 src1_sel:DWORD
	s_or_b64 s[48:49], s[54:55], s[48:49]
	s_andn2_b64 exec, exec, s[48:49]
	s_cbranch_execnz .LBB2254_107
; %bb.110:                              ;   in Loop: Header=BB2254_104 Depth=1
	s_or_b64 exec, exec, s[48:49]
	v_and_b32_e32 v31, 0xff, v31
	s_branch .LBB2254_103
.LBB2254_111:                           ;   in Loop: Header=BB2254_104 Depth=1
                                        ; implicit-def: $vgpr31
                                        ; implicit-def: $vgpr30
                                        ; implicit-def: $vgpr32
	s_cbranch_execz .LBB2254_104
; %bb.112:
	s_and_saveexec_b64 s[30:31], s[26:27]
	s_cbranch_execz .LBB2254_114
; %bb.113:
	s_and_b32 s40, s7, 0xff
	s_cmp_eq_u32 s40, 0
	s_cselect_b64 vcc, -1, 0
	s_bitcmp1_b32 s7, 0
	s_mov_b32 s41, 0
	s_cselect_b64 s[48:49], -1, 0
	s_add_i32 s40, s6, 64
	s_lshl_b64 s[6:7], s[40:41], 4
	v_cndmask_b32_e32 v27, 0, v60, vcc
	s_add_u32 s6, s44, s6
	v_add_u32_e32 v26, v27, v26
	v_and_b32_e32 v27, 1, v46
	s_addc_u32 s7, s45, s7
	v_mov_b32_e32 v29, 0
	v_cndmask_b32_e64 v27, v27, 1, s[48:49]
	v_mov_b32_e32 v28, 2
	v_pk_mov_b32 v[30:31], s[6:7], s[6:7] op_sel:[0,1]
	;;#ASMSTART
	global_store_dwordx4 v[30:31], v[26:29] off	
s_waitcnt vmcnt(0)
	;;#ASMEND
.LBB2254_114:
	s_or_b64 exec, exec, s[30:31]
	v_cmp_eq_u32_e32 vcc, 0, v0
	s_and_b64 exec, exec, vcc
	s_cbranch_execz .LBB2254_116
; %bb.115:
	v_mov_b32_e32 v26, 0
	ds_write_b32 v26, v60 offset:24
	ds_write_b8 v26, v46 offset:28
.LBB2254_116:
	s_or_b64 exec, exec, s[38:39]
	v_mov_b32_e32 v28, 0
	s_waitcnt lgkmcnt(0)
	s_barrier
	ds_read_b32 v26, v28 offset:24
	v_cndmask_b32_e64 v27, v45, v43, s[26:27]
	v_cmp_eq_u16_sdwa vcc, v27, v28 src0_sel:BYTE_0 src1_sel:DWORD
	v_cndmask_b32_e64 v29, v44, v42, s[26:27]
	s_waitcnt lgkmcnt(0)
	v_cndmask_b32_e32 v27, 0, v26, vcc
	v_add_u32_e32 v27, v27, v29
	v_cmp_eq_u32_e32 vcc, 0, v0
	v_and_b32_e32 v29, 0xff, v39
	v_cndmask_b32_e32 v26, v27, v26, vcc
	v_cmp_eq_u64_e32 vcc, 0, v[28:29]
	v_cndmask_b32_e32 v27, 0, v26, vcc
	v_add_u32_e32 v27, v27, v38
	v_cndmask_b32_e64 v28, 0, v27, s[2:3]
	v_add_u32_e32 v42, v28, v8
	v_cndmask_b32_e64 v28, 0, v42, s[4:5]
	;; [unrolled: 2-line block ×12, first 2 shown]
	v_add_u32_e32 v49, v28, v24
	s_branch .LBB2254_143
.LBB2254_117:
	s_or_b64 exec, exec, s[30:31]
                                        ; implicit-def: $vgpr14
	s_and_saveexec_b64 s[30:31], s[2:3]
	s_cbranch_execz .LBB2254_33
.LBB2254_118:
	v_mov_b32_e32 v15, s47
	v_add_co_u32_e32 v14, vcc, s7, v12
	v_addc_co_u32_e32 v15, vcc, 0, v15, vcc
	flat_load_dword v14, v[14:15] offset:1024
	s_or_b64 exec, exec, s[30:31]
                                        ; implicit-def: $vgpr15
	s_and_saveexec_b64 s[2:3], s[4:5]
	s_cbranch_execnz .LBB2254_34
.LBB2254_119:
	s_or_b64 exec, exec, s[2:3]
                                        ; implicit-def: $vgpr16
	s_and_saveexec_b64 s[2:3], s[28:29]
	s_cbranch_execz .LBB2254_35
.LBB2254_120:
	v_mov_b32_e32 v17, s47
	v_add_co_u32_e32 v16, vcc, s7, v12
	v_addc_co_u32_e32 v17, vcc, 0, v17, vcc
	flat_load_dword v16, v[16:17] offset:3072
	s_or_b64 exec, exec, s[2:3]
                                        ; implicit-def: $vgpr17
	s_and_saveexec_b64 s[2:3], s[8:9]
	s_cbranch_execnz .LBB2254_36
.LBB2254_121:
	s_or_b64 exec, exec, s[2:3]
                                        ; implicit-def: $vgpr2
	s_and_saveexec_b64 s[2:3], s[10:11]
	s_cbranch_execz .LBB2254_37
.LBB2254_122:
	v_lshlrev_b32_e32 v2, 2, v3
	v_mov_b32_e32 v3, s47
	v_add_co_u32_e32 v2, vcc, s7, v2
	v_addc_co_u32_e32 v3, vcc, 0, v3, vcc
	flat_load_dword v2, v[2:3]
	s_or_b64 exec, exec, s[2:3]
                                        ; implicit-def: $vgpr3
	s_and_saveexec_b64 s[2:3], s[12:13]
	s_cbranch_execnz .LBB2254_38
.LBB2254_123:
	s_or_b64 exec, exec, s[2:3]
                                        ; implicit-def: $vgpr4
	s_and_saveexec_b64 s[2:3], s[14:15]
	s_cbranch_execz .LBB2254_39
.LBB2254_124:
	v_lshlrev_b32_e32 v4, 2, v5
	v_mov_b32_e32 v5, s47
	v_add_co_u32_e32 v4, vcc, s7, v4
	v_addc_co_u32_e32 v5, vcc, 0, v5, vcc
	flat_load_dword v4, v[4:5]
	s_or_b64 exec, exec, s[2:3]
                                        ; implicit-def: $vgpr5
	s_and_saveexec_b64 s[2:3], s[16:17]
	s_cbranch_execnz .LBB2254_40
.LBB2254_125:
	s_or_b64 exec, exec, s[2:3]
                                        ; implicit-def: $vgpr6
	s_and_saveexec_b64 s[2:3], s[18:19]
	s_cbranch_execz .LBB2254_41
.LBB2254_126:
	v_lshlrev_b32_e32 v6, 2, v7
	v_mov_b32_e32 v7, s47
	v_add_co_u32_e32 v6, vcc, s7, v6
	v_addc_co_u32_e32 v7, vcc, 0, v7, vcc
	flat_load_dword v6, v[6:7]
	s_or_b64 exec, exec, s[2:3]
                                        ; implicit-def: $vgpr7
	s_and_saveexec_b64 s[2:3], s[20:21]
	s_cbranch_execnz .LBB2254_42
.LBB2254_127:
	s_or_b64 exec, exec, s[2:3]
                                        ; implicit-def: $vgpr8
	s_and_saveexec_b64 s[2:3], s[22:23]
	s_cbranch_execz .LBB2254_43
.LBB2254_128:
	v_lshlrev_b32_e32 v8, 2, v9
	v_mov_b32_e32 v9, s47
	v_add_co_u32_e32 v8, vcc, s7, v8
	v_addc_co_u32_e32 v9, vcc, 0, v9, vcc
	flat_load_dword v8, v[8:9]
	s_or_b64 exec, exec, s[2:3]
                                        ; implicit-def: $vgpr9
	s_and_saveexec_b64 s[2:3], s[24:25]
	s_cbranch_execz .LBB2254_45
	s_branch .LBB2254_44
.LBB2254_129:
                                        ; implicit-def: $vgpr49
                                        ; implicit-def: $vgpr47
                                        ; implicit-def: $vgpr45
                                        ; implicit-def: $vgpr43
                                        ; implicit-def: $vgpr34_vgpr35_vgpr36_vgpr37
                                        ; implicit-def: $vgpr30_vgpr31_vgpr32_vgpr33
                                        ; implicit-def: $vgpr26_vgpr27_vgpr28_vgpr29
	s_cbranch_execz .LBB2254_143
; %bb.130:
	s_cmp_lg_u64 s[52:53], 0
	s_cselect_b32 s3, s51, 0
	s_cselect_b32 s2, s50, 0
	s_mov_b32 s24, 0
	s_cmp_eq_u64 s[2:3], 0
	v_mov_b32_e32 v32, s56
	s_cbranch_scc1 .LBB2254_132
; %bb.131:
	v_mov_b32_e32 v26, 0
	global_load_dword v32, v26, s[2:3]
.LBB2254_132:
	s_mov_b32 s25, 1
	v_cmp_gt_u64_e32 vcc, s[24:25], v[8:9]
	v_cndmask_b32_e32 v27, 0, v38, vcc
	v_add_u32_e32 v27, v27, v8
	v_cmp_gt_u64_e64 s[2:3], s[24:25], v[6:7]
	v_cndmask_b32_e64 v27, 0, v27, s[2:3]
	v_add_u32_e32 v27, v27, v6
	v_cmp_gt_u64_e64 s[4:5], s[24:25], v[4:5]
	v_cndmask_b32_e64 v27, 0, v27, s[4:5]
	;; [unrolled: 3-line block ×11, first 2 shown]
	v_mov_b32_e32 v26, 0
	v_add_u32_e32 v27, v27, v24
	v_cmp_gt_u64_e64 s[24:25], s[24:25], v[40:41]
	v_or3_b32 v7, v23, v15, v7
	v_cndmask_b32_e64 v27, 0, v27, s[24:25]
	v_or3_b32 v9, v25, v17, v9
	v_and_b32_e32 v35, 1, v7
	v_mov_b32_e32 v34, v26
	v_add_u32_e32 v33, v27, v40
	v_and_b32_e32 v27, 1, v41
	v_or3_b32 v3, v19, v11, v3
	v_and_b32_e32 v31, 1, v9
	v_mov_b32_e32 v30, v26
	v_cmp_ne_u64_e64 s[26:27], 0, v[34:35]
	v_cmp_eq_u32_e64 s[24:25], 1, v27
	v_or3_b32 v5, v21, v13, v5
	v_and_b32_e32 v27, 1, v3
	v_cndmask_b32_e64 v3, 0, 1, s[26:27]
	v_cmp_ne_u64_e64 s[26:27], 0, v[30:31]
	v_and_b32_e32 v29, 1, v5
	v_mov_b32_e32 v28, v26
	v_cndmask_b32_e64 v5, 0, 1, s[26:27]
	v_lshlrev_b16_e32 v3, 2, v3
	v_lshlrev_b16_e32 v5, 3, v5
	v_cmp_ne_u64_e64 s[26:27], 0, v[28:29]
	v_or_b32_e32 v3, v5, v3
	v_cndmask_b32_e64 v5, 0, 1, s[26:27]
	v_cmp_ne_u64_e64 s[26:27], 0, v[26:27]
	v_lshlrev_b16_e32 v5, 1, v5
	v_cndmask_b32_e64 v7, 0, 1, s[26:27]
	v_or_b32_e32 v5, v7, v5
	v_and_b32_e32 v5, 3, v5
	v_or_b32_e32 v3, v5, v3
	v_and_b32_e32 v3, 15, v3
	v_cmp_ne_u16_e64 s[26:27], 0, v3
	s_or_b64 s[24:25], s[24:25], s[26:27]
	v_cndmask_b32_e64 v5, v39, 1, s[24:25]
	v_and_b32_e32 v7, 0xff, v5
	v_mov_b32_dpp v11, v33 row_shr:1 row_mask:0xf bank_mask:0xf
	v_cmp_eq_u16_e64 s[24:25], 0, v7
	v_mov_b32_dpp v13, v7 row_shr:1 row_mask:0xf bank_mask:0xf
	v_and_b32_e32 v15, 1, v5
	v_mbcnt_hi_u32_b32 v3, -1, v52
	v_cndmask_b32_e64 v11, 0, v11, s[24:25]
	v_and_b32_e32 v13, 1, v13
	v_cmp_eq_u32_e64 s[24:25], 1, v15
	v_and_b32_e32 v9, 15, v3
	v_cndmask_b32_e64 v13, v13, 1, s[24:25]
	v_and_b32_e32 v15, 0xffff, v13
	v_cmp_eq_u32_e64 s[24:25], 0, v9
	v_cndmask_b32_e64 v5, v13, v5, s[24:25]
	v_cndmask_b32_e64 v7, v15, v7, s[24:25]
	v_and_b32_e32 v17, 1, v5
	v_cndmask_b32_e64 v11, v11, 0, s[24:25]
	v_mov_b32_dpp v15, v7 row_shr:2 row_mask:0xf bank_mask:0xf
	v_and_b32_e32 v15, 1, v15
	v_cmp_eq_u32_e64 s[24:25], 1, v17
	v_cndmask_b32_e64 v15, v15, 1, s[24:25]
	v_and_b32_e32 v17, 0xffff, v15
	v_cmp_lt_u32_e64 s[24:25], 1, v9
	v_add_u32_e32 v11, v11, v33
	v_cmp_eq_u16_sdwa s[26:27], v5, v26 src0_sel:BYTE_0 src1_sel:DWORD
	v_cndmask_b32_e64 v5, v5, v15, s[24:25]
	v_cndmask_b32_e64 v7, v7, v17, s[24:25]
	v_mov_b32_dpp v13, v11 row_shr:2 row_mask:0xf bank_mask:0xf
	s_and_b64 s[24:25], s[24:25], s[26:27]
	v_mov_b32_dpp v15, v7 row_shr:4 row_mask:0xf bank_mask:0xf
	v_and_b32_e32 v17, 1, v5
	v_cndmask_b32_e64 v13, 0, v13, s[24:25]
	v_and_b32_e32 v15, 1, v15
	v_cmp_eq_u32_e64 s[24:25], 1, v17
	v_cndmask_b32_e64 v15, v15, 1, s[24:25]
	v_and_b32_e32 v17, 0xffff, v15
	v_cmp_lt_u32_e64 s[24:25], 3, v9
	v_add_u32_e32 v11, v13, v11
	v_cmp_eq_u16_sdwa s[26:27], v5, v26 src0_sel:BYTE_0 src1_sel:DWORD
	v_cndmask_b32_e64 v5, v5, v15, s[24:25]
	v_cndmask_b32_e64 v7, v7, v17, s[24:25]
	v_mov_b32_dpp v13, v11 row_shr:4 row_mask:0xf bank_mask:0xf
	s_and_b64 s[24:25], s[24:25], s[26:27]
	v_mov_b32_dpp v15, v7 row_shr:8 row_mask:0xf bank_mask:0xf
	v_and_b32_e32 v17, 1, v5
	v_cndmask_b32_e64 v13, 0, v13, s[24:25]
	v_and_b32_e32 v15, 1, v15
	v_cmp_eq_u32_e64 s[24:25], 1, v17
	v_cndmask_b32_e64 v15, v15, 1, s[24:25]
	v_add_u32_e32 v11, v13, v11
	v_cmp_eq_u16_sdwa s[26:27], v5, v26 src0_sel:BYTE_0 src1_sel:DWORD
	v_and_b32_e32 v17, 0xffff, v15
	v_cmp_lt_u32_e64 s[24:25], 7, v9
	v_mov_b32_dpp v13, v11 row_shr:8 row_mask:0xf bank_mask:0xf
	v_cndmask_b32_e64 v5, v5, v15, s[24:25]
	v_cndmask_b32_e64 v7, v7, v17, s[24:25]
	s_and_b64 s[24:25], s[24:25], s[26:27]
	v_cndmask_b32_e64 v9, 0, v13, s[24:25]
	v_add_u32_e32 v9, v9, v11
	v_mov_b32_dpp v13, v7 row_bcast:15 row_mask:0xf bank_mask:0xf
	v_cmp_eq_u16_sdwa s[24:25], v5, v26 src0_sel:BYTE_0 src1_sel:DWORD
	v_mov_b32_dpp v11, v9 row_bcast:15 row_mask:0xf bank_mask:0xf
	v_and_b32_e32 v19, 1, v5
	v_cndmask_b32_e64 v11, 0, v11, s[24:25]
	v_and_b32_e32 v13, 1, v13
	v_cmp_eq_u32_e64 s[24:25], 1, v19
	v_and_b32_e32 v17, 16, v3
	v_cndmask_b32_e64 v13, v13, 1, s[24:25]
	v_and_b32_e32 v19, 0xffff, v13
	v_cmp_eq_u32_e64 s[24:25], 0, v17
	v_cndmask_b32_e64 v5, v13, v5, s[24:25]
	v_cndmask_b32_e64 v7, v19, v7, s[24:25]
	v_bfe_i32 v15, v3, 4, 1
	v_and_b32_e32 v13, 1, v5
	v_mov_b32_dpp v7, v7 row_bcast:31 row_mask:0xf bank_mask:0xf
	v_and_b32_e32 v11, v15, v11
	v_and_b32_e32 v7, 1, v7
	v_cmp_eq_u32_e64 s[24:25], 1, v13
	v_add_u32_e32 v9, v11, v9
	v_cmp_eq_u16_sdwa s[26:27], v5, v26 src0_sel:BYTE_0 src1_sel:DWORD
	v_cndmask_b32_e64 v7, v7, 1, s[24:25]
	v_cmp_lt_u32_e64 s[24:25], 31, v3
	v_mov_b32_dpp v11, v9 row_bcast:31 row_mask:0xf bank_mask:0xf
	v_cndmask_b32_e64 v5, v5, v7, s[24:25]
	s_and_b64 s[24:25], s[24:25], s[26:27]
	v_cndmask_b32_e64 v7, 0, v11, s[24:25]
	v_add_u32_e32 v7, v7, v9
	v_cmp_eq_u32_e64 s[24:25], v51, v0
	s_and_saveexec_b64 s[26:27], s[24:25]
	s_cbranch_execz .LBB2254_134
; %bb.133:
	v_lshlrev_b32_e32 v9, 3, v1
	ds_write_b32 v9, v7
	ds_write_b8 v9, v5 offset:4
.LBB2254_134:
	s_or_b64 exec, exec, s[26:27]
	v_cmp_gt_u32_e64 s[24:25], 4, v0
	s_waitcnt lgkmcnt(0)
	s_barrier
	s_and_saveexec_b64 s[26:27], s[24:25]
	s_cbranch_execz .LBB2254_138
; %bb.135:
	v_lshlrev_b32_e32 v9, 3, v0
	ds_read_b64 v[26:27], v9
	v_and_b32_e32 v11, 3, v3
	v_cmp_ne_u32_e64 s[24:25], 0, v11
	s_waitcnt lgkmcnt(0)
	v_mov_b32_dpp v13, v26 row_shr:1 row_mask:0xf bank_mask:0xf
	v_mov_b32_dpp v17, v27 row_shr:1 row_mask:0xf bank_mask:0xf
	v_mov_b32_e32 v15, v27
	s_and_saveexec_b64 s[28:29], s[24:25]
	s_cbranch_execz .LBB2254_137
; %bb.136:
	v_and_b32_e32 v15, 1, v27
	v_and_b32_e32 v17, 1, v17
	v_cmp_eq_u32_e64 s[24:25], 1, v15
	v_mov_b32_e32 v15, 0
	v_cndmask_b32_e64 v17, v17, 1, s[24:25]
	v_cmp_eq_u16_sdwa s[24:25], v27, v15 src0_sel:BYTE_0 src1_sel:DWORD
	v_cndmask_b32_e64 v13, 0, v13, s[24:25]
	v_add_u32_e32 v26, v13, v26
	v_and_b32_e32 v13, 0xffff, v17
	s_movk_i32 s24, 0xff00
	v_and_or_b32 v15, v27, s24, v13
	v_mov_b32_e32 v27, v17
.LBB2254_137:
	s_or_b64 exec, exec, s[28:29]
	v_mov_b32_dpp v15, v15 row_shr:2 row_mask:0xf bank_mask:0xf
	v_and_b32_e32 v17, 1, v27
	v_and_b32_e32 v15, 1, v15
	v_cmp_eq_u32_e64 s[24:25], 1, v17
	v_mov_b32_e32 v17, 0
	v_cndmask_b32_e64 v15, v15, 1, s[24:25]
	v_cmp_eq_u16_sdwa s[28:29], v27, v17 src0_sel:BYTE_0 src1_sel:DWORD
	v_cmp_lt_u32_e64 s[24:25], 1, v11
	v_mov_b32_dpp v13, v26 row_shr:2 row_mask:0xf bank_mask:0xf
	v_cndmask_b32_e64 v11, v27, v15, s[24:25]
	s_and_b64 s[24:25], s[24:25], s[28:29]
	v_cndmask_b32_e64 v13, 0, v13, s[24:25]
	v_add_u32_e32 v13, v13, v26
	ds_write_b32 v9, v13
	ds_write_b8 v9, v11 offset:4
.LBB2254_138:
	s_or_b64 exec, exec, s[26:27]
	v_cmp_lt_u32_e64 s[24:25], 63, v0
	s_waitcnt vmcnt(0)
	v_mov_b32_e32 v9, v32
	s_waitcnt lgkmcnt(0)
	s_barrier
	s_and_saveexec_b64 s[26:27], s[24:25]
	s_cbranch_execz .LBB2254_140
; %bb.139:
	v_lshl_add_u32 v1, v1, 3, -8
	ds_read_u8 v9, v1 offset:4
	ds_read_b32 v1, v1
	s_waitcnt lgkmcnt(1)
	v_cmp_eq_u16_e64 s[24:25], 0, v9
	v_cndmask_b32_e64 v9, 0, v32, s[24:25]
	s_waitcnt lgkmcnt(0)
	v_add_u32_e32 v9, v9, v1
.LBB2254_140:
	s_or_b64 exec, exec, s[26:27]
	v_mov_b32_e32 v28, 0
	v_cmp_eq_u16_sdwa s[24:25], v5, v28 src0_sel:BYTE_0 src1_sel:DWORD
	v_cndmask_b32_e64 v1, 0, v9, s[24:25]
	v_add_u32_e32 v1, v1, v7
	v_add_u32_e32 v5, -1, v3
	v_and_b32_e32 v7, 64, v3
	v_cmp_lt_i32_e64 s[24:25], v5, v7
	v_cndmask_b32_e64 v5, v5, v3, s[24:25]
	v_lshlrev_b32_e32 v5, 2, v5
	ds_bpermute_b32 v1, v5, v1
	v_cmp_eq_u32_e64 s[24:25], 0, v3
	v_and_b32_e32 v29, 0xff, v39
	v_cmp_eq_u64_e64 s[26:27], 0, v[28:29]
	s_waitcnt lgkmcnt(0)
	v_cndmask_b32_e64 v26, v1, v9, s[24:25]
	v_cmp_eq_u32_e64 s[24:25], 0, v0
	v_cndmask_b32_e64 v1, v26, v32, s[24:25]
	v_cndmask_b32_e64 v1, 0, v1, s[26:27]
	v_add_u32_e32 v27, v1, v38
	v_cndmask_b32_e32 v1, 0, v27, vcc
	v_add_u32_e32 v42, v1, v8
	v_cndmask_b32_e64 v1, 0, v42, s[2:3]
	v_add_u32_e32 v43, v1, v6
	v_cndmask_b32_e64 v1, 0, v43, s[4:5]
	;; [unrolled: 2-line block ×11, first 2 shown]
	s_and_saveexec_b64 s[2:3], s[24:25]
	s_cbranch_execz .LBB2254_142
; %bb.141:
	ds_read_u8 v3, v28 offset:28
	ds_read_b32 v2, v28 offset:24
	s_add_u32 s4, s44, 0x400
	s_addc_u32 s5, s45, 0
	v_mov_b32_e32 v5, v28
	s_waitcnt lgkmcnt(1)
	v_cmp_eq_u16_e32 vcc, 0, v3
	v_cndmask_b32_e32 v4, 0, v32, vcc
	s_waitcnt lgkmcnt(0)
	v_add_u32_e32 v2, v4, v2
	v_and_b32_e32 v3, 0xffff, v3
	v_mov_b32_e32 v4, 2
	v_pk_mov_b32 v[6:7], s[4:5], s[4:5] op_sel:[0,1]
	;;#ASMSTART
	global_store_dwordx4 v[6:7], v[2:5] off	
s_waitcnt vmcnt(0)
	;;#ASMEND
	v_mov_b32_e32 v26, v32
.LBB2254_142:
	s_or_b64 exec, exec, s[2:3]
	v_add_u32_e32 v49, v1, v24
.LBB2254_143:
	s_add_u32 s2, s42, s34
	s_addc_u32 s3, s43, s35
	s_add_u32 s4, s2, s36
	v_mul_u32_u24_e32 v1, 14, v0
	s_addc_u32 s5, s3, s37
	s_and_b64 vcc, exec, s[0:1]
	v_lshlrev_b32_e32 v2, 2, v1
	s_cbranch_vccz .LBB2254_171
; %bb.144:
	s_movk_i32 s0, 0xffcc
	v_mad_i32_i24 v3, v0, s0, v2
	s_barrier
	ds_write2_b64 v2, v[26:27], v[42:43] offset1:1
	ds_write2_b64 v2, v[30:31], v[44:45] offset0:2 offset1:3
	ds_write2_b64 v2, v[34:35], v[46:47] offset0:4 offset1:5
	ds_write_b64 v2, v[48:49] offset:48
	s_waitcnt lgkmcnt(0)
	s_barrier
	ds_read2st64_b32 v[16:17], v3 offset0:4 offset1:8
	ds_read2st64_b32 v[14:15], v3 offset0:12 offset1:16
	ds_read2st64_b32 v[12:13], v3 offset0:20 offset1:24
	ds_read2st64_b32 v[10:11], v3 offset0:28 offset1:32
	ds_read2st64_b32 v[8:9], v3 offset0:36 offset1:40
	ds_read2st64_b32 v[4:5], v3 offset0:44 offset1:48
	ds_read_b32 v3, v3 offset:13312
	v_mov_b32_e32 v7, s5
	v_add_co_u32_e32 v6, vcc, s4, v50
	s_add_i32 s33, s33, s46
	v_addc_co_u32_e32 v7, vcc, 0, v7, vcc
	v_mov_b32_e32 v1, 0
	v_cmp_gt_u32_e32 vcc, s33, v0
	s_and_saveexec_b64 s[0:1], vcc
	s_cbranch_execz .LBB2254_146
; %bb.145:
	v_mul_i32_i24_e32 v18, 0xffffffcc, v0
	v_add_u32_e32 v18, v2, v18
	ds_read_b32 v18, v18
	s_waitcnt lgkmcnt(0)
	flat_store_dword v[6:7], v18
.LBB2254_146:
	s_or_b64 exec, exec, s[0:1]
	v_or_b32_e32 v18, 0x100, v0
	v_cmp_gt_u32_e32 vcc, s33, v18
	s_and_saveexec_b64 s[0:1], vcc
	s_cbranch_execz .LBB2254_148
; %bb.147:
	s_waitcnt lgkmcnt(0)
	flat_store_dword v[6:7], v16 offset:1024
.LBB2254_148:
	s_or_b64 exec, exec, s[0:1]
	s_waitcnt lgkmcnt(0)
	v_or_b32_e32 v16, 0x200, v0
	v_cmp_gt_u32_e32 vcc, s33, v16
	s_and_saveexec_b64 s[0:1], vcc
	s_cbranch_execz .LBB2254_150
; %bb.149:
	flat_store_dword v[6:7], v17 offset:2048
.LBB2254_150:
	s_or_b64 exec, exec, s[0:1]
	v_or_b32_e32 v16, 0x300, v0
	v_cmp_gt_u32_e32 vcc, s33, v16
	s_and_saveexec_b64 s[0:1], vcc
	s_cbranch_execz .LBB2254_152
; %bb.151:
	flat_store_dword v[6:7], v14 offset:3072
.LBB2254_152:
	s_or_b64 exec, exec, s[0:1]
	v_or_b32_e32 v14, 0x400, v0
	v_cmp_gt_u32_e32 vcc, s33, v14
	s_and_saveexec_b64 s[0:1], vcc
	s_cbranch_execz .LBB2254_154
; %bb.153:
	v_add_co_u32_e32 v16, vcc, 0x1000, v6
	v_addc_co_u32_e32 v17, vcc, 0, v7, vcc
	flat_store_dword v[16:17], v15
.LBB2254_154:
	s_or_b64 exec, exec, s[0:1]
	v_or_b32_e32 v14, 0x500, v0
	v_cmp_gt_u32_e32 vcc, s33, v14
	s_and_saveexec_b64 s[0:1], vcc
	s_cbranch_execz .LBB2254_156
; %bb.155:
	v_add_co_u32_e32 v14, vcc, 0x1000, v6
	v_addc_co_u32_e32 v15, vcc, 0, v7, vcc
	flat_store_dword v[14:15], v12 offset:1024
.LBB2254_156:
	s_or_b64 exec, exec, s[0:1]
	v_or_b32_e32 v12, 0x600, v0
	v_cmp_gt_u32_e32 vcc, s33, v12
	s_and_saveexec_b64 s[0:1], vcc
	s_cbranch_execz .LBB2254_158
; %bb.157:
	v_add_co_u32_e32 v14, vcc, 0x1000, v6
	v_addc_co_u32_e32 v15, vcc, 0, v7, vcc
	flat_store_dword v[14:15], v13 offset:2048
.LBB2254_158:
	;; [unrolled: 10-line block ×3, first 2 shown]
	s_or_b64 exec, exec, s[0:1]
	v_or_b32_e32 v10, 0x800, v0
	v_cmp_gt_u32_e32 vcc, s33, v10
	s_and_saveexec_b64 s[0:1], vcc
	s_cbranch_execz .LBB2254_162
; %bb.161:
	v_add_co_u32_e32 v12, vcc, 0x2000, v6
	v_addc_co_u32_e32 v13, vcc, 0, v7, vcc
	flat_store_dword v[12:13], v11
.LBB2254_162:
	s_or_b64 exec, exec, s[0:1]
	v_or_b32_e32 v10, 0x900, v0
	v_cmp_gt_u32_e32 vcc, s33, v10
	s_and_saveexec_b64 s[0:1], vcc
	s_cbranch_execz .LBB2254_164
; %bb.163:
	v_add_co_u32_e32 v10, vcc, 0x2000, v6
	v_addc_co_u32_e32 v11, vcc, 0, v7, vcc
	flat_store_dword v[10:11], v8 offset:1024
.LBB2254_164:
	s_or_b64 exec, exec, s[0:1]
	v_or_b32_e32 v8, 0xa00, v0
	v_cmp_gt_u32_e32 vcc, s33, v8
	s_and_saveexec_b64 s[0:1], vcc
	s_cbranch_execz .LBB2254_166
; %bb.165:
	v_add_co_u32_e32 v10, vcc, 0x2000, v6
	v_addc_co_u32_e32 v11, vcc, 0, v7, vcc
	flat_store_dword v[10:11], v9 offset:2048
.LBB2254_166:
	;; [unrolled: 10-line block ×3, first 2 shown]
	s_or_b64 exec, exec, s[0:1]
	v_or_b32_e32 v4, 0xc00, v0
	v_cmp_gt_u32_e32 vcc, s33, v4
	s_and_saveexec_b64 s[0:1], vcc
	s_cbranch_execz .LBB2254_170
; %bb.169:
	v_add_co_u32_e32 v6, vcc, 0x3000, v6
	v_addc_co_u32_e32 v7, vcc, 0, v7, vcc
	flat_store_dword v[6:7], v5
.LBB2254_170:
	s_or_b64 exec, exec, s[0:1]
	v_or_b32_e32 v4, 0xd00, v0
	v_cmp_gt_u32_e64 s[0:1], s33, v4
	s_branch .LBB2254_173
.LBB2254_171:
	s_mov_b64 s[0:1], 0
                                        ; implicit-def: $vgpr3
	s_cbranch_execz .LBB2254_173
; %bb.172:
	s_movk_i32 s2, 0xffcc
	s_waitcnt lgkmcnt(0)
	s_barrier
	ds_write2_b64 v2, v[26:27], v[42:43] offset1:1
	ds_write2_b64 v2, v[30:31], v[44:45] offset0:2 offset1:3
	ds_write2_b64 v2, v[34:35], v[46:47] offset0:4 offset1:5
	ds_write_b64 v2, v[48:49] offset:48
	v_mad_i32_i24 v2, v0, s2, v2
	v_mov_b32_e32 v17, s5
	v_add_co_u32_e32 v16, vcc, s4, v50
	s_waitcnt lgkmcnt(0)
	s_barrier
	ds_read2st64_b32 v[4:5], v2 offset1:4
	ds_read2st64_b32 v[6:7], v2 offset0:8 offset1:12
	ds_read2st64_b32 v[8:9], v2 offset0:16 offset1:20
	;; [unrolled: 1-line block ×6, first 2 shown]
	v_addc_co_u32_e32 v17, vcc, 0, v17, vcc
	s_movk_i32 s2, 0x1000
	s_waitcnt lgkmcnt(0)
	flat_store_dword v[16:17], v4
	flat_store_dword v[16:17], v5 offset:1024
	flat_store_dword v[16:17], v6 offset:2048
	;; [unrolled: 1-line block ×3, first 2 shown]
	v_add_co_u32_e32 v4, vcc, s2, v16
	v_addc_co_u32_e32 v5, vcc, 0, v17, vcc
	flat_store_dword v[4:5], v8
	flat_store_dword v[4:5], v9 offset:1024
	flat_store_dword v[4:5], v10 offset:2048
	;; [unrolled: 1-line block ×3, first 2 shown]
	v_add_co_u32_e32 v4, vcc, 0x2000, v16
	v_addc_co_u32_e32 v5, vcc, 0, v17, vcc
	flat_store_dword v[4:5], v12
	flat_store_dword v[4:5], v13 offset:1024
	flat_store_dword v[4:5], v14 offset:2048
	;; [unrolled: 1-line block ×3, first 2 shown]
	v_add_co_u32_e32 v4, vcc, 0x3000, v16
	v_mov_b32_e32 v1, 0
	v_addc_co_u32_e32 v5, vcc, 0, v17, vcc
	s_or_b64 s[0:1], s[0:1], exec
	flat_store_dword v[4:5], v2
.LBB2254_173:
	s_and_saveexec_b64 s[2:3], s[0:1]
	s_cbranch_execz .LBB2254_175
; %bb.174:
	v_lshlrev_b64 v[0:1], 2, v[0:1]
	v_mov_b32_e32 v2, s5
	v_add_co_u32_e32 v0, vcc, s4, v0
	v_addc_co_u32_e32 v1, vcc, v2, v1, vcc
	v_add_co_u32_e32 v0, vcc, 0x3000, v0
	v_addc_co_u32_e32 v1, vcc, 0, v1, vcc
	flat_store_dword v[0:1], v3 offset:1024
	s_endpgm
.LBB2254_175:
	s_endpgm
	.section	.rodata,"a",@progbits
	.p2align	6, 0x0
	.amdhsa_kernel _ZN7rocprim17ROCPRIM_400000_NS6detail17trampoline_kernelINS0_14default_configENS1_27scan_by_key_config_selectorIiiEEZZNS1_16scan_by_key_implILNS1_25lookback_scan_determinismE0ELb1ES3_N6thrust23THRUST_200600_302600_NS10device_ptrIiEESB_SB_iNS9_4plusIvEENS9_8equal_toIvEEiEE10hipError_tPvRmT2_T3_T4_T5_mT6_T7_P12ihipStream_tbENKUlT_T0_E_clISt17integral_constantIbLb1EESV_IbLb0EEEEDaSR_SS_EUlSR_E_NS1_11comp_targetILNS1_3genE4ELNS1_11target_archE910ELNS1_3gpuE8ELNS1_3repE0EEENS1_30default_config_static_selectorELNS0_4arch9wavefront6targetE1EEEvT1_
		.amdhsa_group_segment_fixed_size 16384
		.amdhsa_private_segment_fixed_size 0
		.amdhsa_kernarg_size 112
		.amdhsa_user_sgpr_count 6
		.amdhsa_user_sgpr_private_segment_buffer 1
		.amdhsa_user_sgpr_dispatch_ptr 0
		.amdhsa_user_sgpr_queue_ptr 0
		.amdhsa_user_sgpr_kernarg_segment_ptr 1
		.amdhsa_user_sgpr_dispatch_id 0
		.amdhsa_user_sgpr_flat_scratch_init 0
		.amdhsa_user_sgpr_kernarg_preload_length 0
		.amdhsa_user_sgpr_kernarg_preload_offset 0
		.amdhsa_user_sgpr_private_segment_size 0
		.amdhsa_uses_dynamic_stack 0
		.amdhsa_system_sgpr_private_segment_wavefront_offset 0
		.amdhsa_system_sgpr_workgroup_id_x 1
		.amdhsa_system_sgpr_workgroup_id_y 0
		.amdhsa_system_sgpr_workgroup_id_z 0
		.amdhsa_system_sgpr_workgroup_info 0
		.amdhsa_system_vgpr_workitem_id 0
		.amdhsa_next_free_vgpr 65
		.amdhsa_next_free_sgpr 60
		.amdhsa_accum_offset 68
		.amdhsa_reserve_vcc 1
		.amdhsa_reserve_flat_scratch 0
		.amdhsa_float_round_mode_32 0
		.amdhsa_float_round_mode_16_64 0
		.amdhsa_float_denorm_mode_32 3
		.amdhsa_float_denorm_mode_16_64 3
		.amdhsa_dx10_clamp 1
		.amdhsa_ieee_mode 1
		.amdhsa_fp16_overflow 0
		.amdhsa_tg_split 0
		.amdhsa_exception_fp_ieee_invalid_op 0
		.amdhsa_exception_fp_denorm_src 0
		.amdhsa_exception_fp_ieee_div_zero 0
		.amdhsa_exception_fp_ieee_overflow 0
		.amdhsa_exception_fp_ieee_underflow 0
		.amdhsa_exception_fp_ieee_inexact 0
		.amdhsa_exception_int_div_zero 0
	.end_amdhsa_kernel
	.section	.text._ZN7rocprim17ROCPRIM_400000_NS6detail17trampoline_kernelINS0_14default_configENS1_27scan_by_key_config_selectorIiiEEZZNS1_16scan_by_key_implILNS1_25lookback_scan_determinismE0ELb1ES3_N6thrust23THRUST_200600_302600_NS10device_ptrIiEESB_SB_iNS9_4plusIvEENS9_8equal_toIvEEiEE10hipError_tPvRmT2_T3_T4_T5_mT6_T7_P12ihipStream_tbENKUlT_T0_E_clISt17integral_constantIbLb1EESV_IbLb0EEEEDaSR_SS_EUlSR_E_NS1_11comp_targetILNS1_3genE4ELNS1_11target_archE910ELNS1_3gpuE8ELNS1_3repE0EEENS1_30default_config_static_selectorELNS0_4arch9wavefront6targetE1EEEvT1_,"axG",@progbits,_ZN7rocprim17ROCPRIM_400000_NS6detail17trampoline_kernelINS0_14default_configENS1_27scan_by_key_config_selectorIiiEEZZNS1_16scan_by_key_implILNS1_25lookback_scan_determinismE0ELb1ES3_N6thrust23THRUST_200600_302600_NS10device_ptrIiEESB_SB_iNS9_4plusIvEENS9_8equal_toIvEEiEE10hipError_tPvRmT2_T3_T4_T5_mT6_T7_P12ihipStream_tbENKUlT_T0_E_clISt17integral_constantIbLb1EESV_IbLb0EEEEDaSR_SS_EUlSR_E_NS1_11comp_targetILNS1_3genE4ELNS1_11target_archE910ELNS1_3gpuE8ELNS1_3repE0EEENS1_30default_config_static_selectorELNS0_4arch9wavefront6targetE1EEEvT1_,comdat
.Lfunc_end2254:
	.size	_ZN7rocprim17ROCPRIM_400000_NS6detail17trampoline_kernelINS0_14default_configENS1_27scan_by_key_config_selectorIiiEEZZNS1_16scan_by_key_implILNS1_25lookback_scan_determinismE0ELb1ES3_N6thrust23THRUST_200600_302600_NS10device_ptrIiEESB_SB_iNS9_4plusIvEENS9_8equal_toIvEEiEE10hipError_tPvRmT2_T3_T4_T5_mT6_T7_P12ihipStream_tbENKUlT_T0_E_clISt17integral_constantIbLb1EESV_IbLb0EEEEDaSR_SS_EUlSR_E_NS1_11comp_targetILNS1_3genE4ELNS1_11target_archE910ELNS1_3gpuE8ELNS1_3repE0EEENS1_30default_config_static_selectorELNS0_4arch9wavefront6targetE1EEEvT1_, .Lfunc_end2254-_ZN7rocprim17ROCPRIM_400000_NS6detail17trampoline_kernelINS0_14default_configENS1_27scan_by_key_config_selectorIiiEEZZNS1_16scan_by_key_implILNS1_25lookback_scan_determinismE0ELb1ES3_N6thrust23THRUST_200600_302600_NS10device_ptrIiEESB_SB_iNS9_4plusIvEENS9_8equal_toIvEEiEE10hipError_tPvRmT2_T3_T4_T5_mT6_T7_P12ihipStream_tbENKUlT_T0_E_clISt17integral_constantIbLb1EESV_IbLb0EEEEDaSR_SS_EUlSR_E_NS1_11comp_targetILNS1_3genE4ELNS1_11target_archE910ELNS1_3gpuE8ELNS1_3repE0EEENS1_30default_config_static_selectorELNS0_4arch9wavefront6targetE1EEEvT1_
                                        ; -- End function
	.section	.AMDGPU.csdata,"",@progbits
; Kernel info:
; codeLenInByte = 11304
; NumSgprs: 64
; NumVgprs: 65
; NumAgprs: 0
; TotalNumVgprs: 65
; ScratchSize: 0
; MemoryBound: 0
; FloatMode: 240
; IeeeMode: 1
; LDSByteSize: 16384 bytes/workgroup (compile time only)
; SGPRBlocks: 7
; VGPRBlocks: 8
; NumSGPRsForWavesPerEU: 64
; NumVGPRsForWavesPerEU: 65
; AccumOffset: 68
; Occupancy: 4
; WaveLimiterHint : 1
; COMPUTE_PGM_RSRC2:SCRATCH_EN: 0
; COMPUTE_PGM_RSRC2:USER_SGPR: 6
; COMPUTE_PGM_RSRC2:TRAP_HANDLER: 0
; COMPUTE_PGM_RSRC2:TGID_X_EN: 1
; COMPUTE_PGM_RSRC2:TGID_Y_EN: 0
; COMPUTE_PGM_RSRC2:TGID_Z_EN: 0
; COMPUTE_PGM_RSRC2:TIDIG_COMP_CNT: 0
; COMPUTE_PGM_RSRC3_GFX90A:ACCUM_OFFSET: 16
; COMPUTE_PGM_RSRC3_GFX90A:TG_SPLIT: 0
	.section	.text._ZN7rocprim17ROCPRIM_400000_NS6detail17trampoline_kernelINS0_14default_configENS1_27scan_by_key_config_selectorIiiEEZZNS1_16scan_by_key_implILNS1_25lookback_scan_determinismE0ELb1ES3_N6thrust23THRUST_200600_302600_NS10device_ptrIiEESB_SB_iNS9_4plusIvEENS9_8equal_toIvEEiEE10hipError_tPvRmT2_T3_T4_T5_mT6_T7_P12ihipStream_tbENKUlT_T0_E_clISt17integral_constantIbLb1EESV_IbLb0EEEEDaSR_SS_EUlSR_E_NS1_11comp_targetILNS1_3genE3ELNS1_11target_archE908ELNS1_3gpuE7ELNS1_3repE0EEENS1_30default_config_static_selectorELNS0_4arch9wavefront6targetE1EEEvT1_,"axG",@progbits,_ZN7rocprim17ROCPRIM_400000_NS6detail17trampoline_kernelINS0_14default_configENS1_27scan_by_key_config_selectorIiiEEZZNS1_16scan_by_key_implILNS1_25lookback_scan_determinismE0ELb1ES3_N6thrust23THRUST_200600_302600_NS10device_ptrIiEESB_SB_iNS9_4plusIvEENS9_8equal_toIvEEiEE10hipError_tPvRmT2_T3_T4_T5_mT6_T7_P12ihipStream_tbENKUlT_T0_E_clISt17integral_constantIbLb1EESV_IbLb0EEEEDaSR_SS_EUlSR_E_NS1_11comp_targetILNS1_3genE3ELNS1_11target_archE908ELNS1_3gpuE7ELNS1_3repE0EEENS1_30default_config_static_selectorELNS0_4arch9wavefront6targetE1EEEvT1_,comdat
	.protected	_ZN7rocprim17ROCPRIM_400000_NS6detail17trampoline_kernelINS0_14default_configENS1_27scan_by_key_config_selectorIiiEEZZNS1_16scan_by_key_implILNS1_25lookback_scan_determinismE0ELb1ES3_N6thrust23THRUST_200600_302600_NS10device_ptrIiEESB_SB_iNS9_4plusIvEENS9_8equal_toIvEEiEE10hipError_tPvRmT2_T3_T4_T5_mT6_T7_P12ihipStream_tbENKUlT_T0_E_clISt17integral_constantIbLb1EESV_IbLb0EEEEDaSR_SS_EUlSR_E_NS1_11comp_targetILNS1_3genE3ELNS1_11target_archE908ELNS1_3gpuE7ELNS1_3repE0EEENS1_30default_config_static_selectorELNS0_4arch9wavefront6targetE1EEEvT1_ ; -- Begin function _ZN7rocprim17ROCPRIM_400000_NS6detail17trampoline_kernelINS0_14default_configENS1_27scan_by_key_config_selectorIiiEEZZNS1_16scan_by_key_implILNS1_25lookback_scan_determinismE0ELb1ES3_N6thrust23THRUST_200600_302600_NS10device_ptrIiEESB_SB_iNS9_4plusIvEENS9_8equal_toIvEEiEE10hipError_tPvRmT2_T3_T4_T5_mT6_T7_P12ihipStream_tbENKUlT_T0_E_clISt17integral_constantIbLb1EESV_IbLb0EEEEDaSR_SS_EUlSR_E_NS1_11comp_targetILNS1_3genE3ELNS1_11target_archE908ELNS1_3gpuE7ELNS1_3repE0EEENS1_30default_config_static_selectorELNS0_4arch9wavefront6targetE1EEEvT1_
	.globl	_ZN7rocprim17ROCPRIM_400000_NS6detail17trampoline_kernelINS0_14default_configENS1_27scan_by_key_config_selectorIiiEEZZNS1_16scan_by_key_implILNS1_25lookback_scan_determinismE0ELb1ES3_N6thrust23THRUST_200600_302600_NS10device_ptrIiEESB_SB_iNS9_4plusIvEENS9_8equal_toIvEEiEE10hipError_tPvRmT2_T3_T4_T5_mT6_T7_P12ihipStream_tbENKUlT_T0_E_clISt17integral_constantIbLb1EESV_IbLb0EEEEDaSR_SS_EUlSR_E_NS1_11comp_targetILNS1_3genE3ELNS1_11target_archE908ELNS1_3gpuE7ELNS1_3repE0EEENS1_30default_config_static_selectorELNS0_4arch9wavefront6targetE1EEEvT1_
	.p2align	8
	.type	_ZN7rocprim17ROCPRIM_400000_NS6detail17trampoline_kernelINS0_14default_configENS1_27scan_by_key_config_selectorIiiEEZZNS1_16scan_by_key_implILNS1_25lookback_scan_determinismE0ELb1ES3_N6thrust23THRUST_200600_302600_NS10device_ptrIiEESB_SB_iNS9_4plusIvEENS9_8equal_toIvEEiEE10hipError_tPvRmT2_T3_T4_T5_mT6_T7_P12ihipStream_tbENKUlT_T0_E_clISt17integral_constantIbLb1EESV_IbLb0EEEEDaSR_SS_EUlSR_E_NS1_11comp_targetILNS1_3genE3ELNS1_11target_archE908ELNS1_3gpuE7ELNS1_3repE0EEENS1_30default_config_static_selectorELNS0_4arch9wavefront6targetE1EEEvT1_,@function
_ZN7rocprim17ROCPRIM_400000_NS6detail17trampoline_kernelINS0_14default_configENS1_27scan_by_key_config_selectorIiiEEZZNS1_16scan_by_key_implILNS1_25lookback_scan_determinismE0ELb1ES3_N6thrust23THRUST_200600_302600_NS10device_ptrIiEESB_SB_iNS9_4plusIvEENS9_8equal_toIvEEiEE10hipError_tPvRmT2_T3_T4_T5_mT6_T7_P12ihipStream_tbENKUlT_T0_E_clISt17integral_constantIbLb1EESV_IbLb0EEEEDaSR_SS_EUlSR_E_NS1_11comp_targetILNS1_3genE3ELNS1_11target_archE908ELNS1_3gpuE7ELNS1_3repE0EEENS1_30default_config_static_selectorELNS0_4arch9wavefront6targetE1EEEvT1_: ; @_ZN7rocprim17ROCPRIM_400000_NS6detail17trampoline_kernelINS0_14default_configENS1_27scan_by_key_config_selectorIiiEEZZNS1_16scan_by_key_implILNS1_25lookback_scan_determinismE0ELb1ES3_N6thrust23THRUST_200600_302600_NS10device_ptrIiEESB_SB_iNS9_4plusIvEENS9_8equal_toIvEEiEE10hipError_tPvRmT2_T3_T4_T5_mT6_T7_P12ihipStream_tbENKUlT_T0_E_clISt17integral_constantIbLb1EESV_IbLb0EEEEDaSR_SS_EUlSR_E_NS1_11comp_targetILNS1_3genE3ELNS1_11target_archE908ELNS1_3gpuE7ELNS1_3repE0EEENS1_30default_config_static_selectorELNS0_4arch9wavefront6targetE1EEEvT1_
; %bb.0:
	.section	.rodata,"a",@progbits
	.p2align	6, 0x0
	.amdhsa_kernel _ZN7rocprim17ROCPRIM_400000_NS6detail17trampoline_kernelINS0_14default_configENS1_27scan_by_key_config_selectorIiiEEZZNS1_16scan_by_key_implILNS1_25lookback_scan_determinismE0ELb1ES3_N6thrust23THRUST_200600_302600_NS10device_ptrIiEESB_SB_iNS9_4plusIvEENS9_8equal_toIvEEiEE10hipError_tPvRmT2_T3_T4_T5_mT6_T7_P12ihipStream_tbENKUlT_T0_E_clISt17integral_constantIbLb1EESV_IbLb0EEEEDaSR_SS_EUlSR_E_NS1_11comp_targetILNS1_3genE3ELNS1_11target_archE908ELNS1_3gpuE7ELNS1_3repE0EEENS1_30default_config_static_selectorELNS0_4arch9wavefront6targetE1EEEvT1_
		.amdhsa_group_segment_fixed_size 0
		.amdhsa_private_segment_fixed_size 0
		.amdhsa_kernarg_size 112
		.amdhsa_user_sgpr_count 6
		.amdhsa_user_sgpr_private_segment_buffer 1
		.amdhsa_user_sgpr_dispatch_ptr 0
		.amdhsa_user_sgpr_queue_ptr 0
		.amdhsa_user_sgpr_kernarg_segment_ptr 1
		.amdhsa_user_sgpr_dispatch_id 0
		.amdhsa_user_sgpr_flat_scratch_init 0
		.amdhsa_user_sgpr_kernarg_preload_length 0
		.amdhsa_user_sgpr_kernarg_preload_offset 0
		.amdhsa_user_sgpr_private_segment_size 0
		.amdhsa_uses_dynamic_stack 0
		.amdhsa_system_sgpr_private_segment_wavefront_offset 0
		.amdhsa_system_sgpr_workgroup_id_x 1
		.amdhsa_system_sgpr_workgroup_id_y 0
		.amdhsa_system_sgpr_workgroup_id_z 0
		.amdhsa_system_sgpr_workgroup_info 0
		.amdhsa_system_vgpr_workitem_id 0
		.amdhsa_next_free_vgpr 1
		.amdhsa_next_free_sgpr 0
		.amdhsa_accum_offset 4
		.amdhsa_reserve_vcc 0
		.amdhsa_reserve_flat_scratch 0
		.amdhsa_float_round_mode_32 0
		.amdhsa_float_round_mode_16_64 0
		.amdhsa_float_denorm_mode_32 3
		.amdhsa_float_denorm_mode_16_64 3
		.amdhsa_dx10_clamp 1
		.amdhsa_ieee_mode 1
		.amdhsa_fp16_overflow 0
		.amdhsa_tg_split 0
		.amdhsa_exception_fp_ieee_invalid_op 0
		.amdhsa_exception_fp_denorm_src 0
		.amdhsa_exception_fp_ieee_div_zero 0
		.amdhsa_exception_fp_ieee_overflow 0
		.amdhsa_exception_fp_ieee_underflow 0
		.amdhsa_exception_fp_ieee_inexact 0
		.amdhsa_exception_int_div_zero 0
	.end_amdhsa_kernel
	.section	.text._ZN7rocprim17ROCPRIM_400000_NS6detail17trampoline_kernelINS0_14default_configENS1_27scan_by_key_config_selectorIiiEEZZNS1_16scan_by_key_implILNS1_25lookback_scan_determinismE0ELb1ES3_N6thrust23THRUST_200600_302600_NS10device_ptrIiEESB_SB_iNS9_4plusIvEENS9_8equal_toIvEEiEE10hipError_tPvRmT2_T3_T4_T5_mT6_T7_P12ihipStream_tbENKUlT_T0_E_clISt17integral_constantIbLb1EESV_IbLb0EEEEDaSR_SS_EUlSR_E_NS1_11comp_targetILNS1_3genE3ELNS1_11target_archE908ELNS1_3gpuE7ELNS1_3repE0EEENS1_30default_config_static_selectorELNS0_4arch9wavefront6targetE1EEEvT1_,"axG",@progbits,_ZN7rocprim17ROCPRIM_400000_NS6detail17trampoline_kernelINS0_14default_configENS1_27scan_by_key_config_selectorIiiEEZZNS1_16scan_by_key_implILNS1_25lookback_scan_determinismE0ELb1ES3_N6thrust23THRUST_200600_302600_NS10device_ptrIiEESB_SB_iNS9_4plusIvEENS9_8equal_toIvEEiEE10hipError_tPvRmT2_T3_T4_T5_mT6_T7_P12ihipStream_tbENKUlT_T0_E_clISt17integral_constantIbLb1EESV_IbLb0EEEEDaSR_SS_EUlSR_E_NS1_11comp_targetILNS1_3genE3ELNS1_11target_archE908ELNS1_3gpuE7ELNS1_3repE0EEENS1_30default_config_static_selectorELNS0_4arch9wavefront6targetE1EEEvT1_,comdat
.Lfunc_end2255:
	.size	_ZN7rocprim17ROCPRIM_400000_NS6detail17trampoline_kernelINS0_14default_configENS1_27scan_by_key_config_selectorIiiEEZZNS1_16scan_by_key_implILNS1_25lookback_scan_determinismE0ELb1ES3_N6thrust23THRUST_200600_302600_NS10device_ptrIiEESB_SB_iNS9_4plusIvEENS9_8equal_toIvEEiEE10hipError_tPvRmT2_T3_T4_T5_mT6_T7_P12ihipStream_tbENKUlT_T0_E_clISt17integral_constantIbLb1EESV_IbLb0EEEEDaSR_SS_EUlSR_E_NS1_11comp_targetILNS1_3genE3ELNS1_11target_archE908ELNS1_3gpuE7ELNS1_3repE0EEENS1_30default_config_static_selectorELNS0_4arch9wavefront6targetE1EEEvT1_, .Lfunc_end2255-_ZN7rocprim17ROCPRIM_400000_NS6detail17trampoline_kernelINS0_14default_configENS1_27scan_by_key_config_selectorIiiEEZZNS1_16scan_by_key_implILNS1_25lookback_scan_determinismE0ELb1ES3_N6thrust23THRUST_200600_302600_NS10device_ptrIiEESB_SB_iNS9_4plusIvEENS9_8equal_toIvEEiEE10hipError_tPvRmT2_T3_T4_T5_mT6_T7_P12ihipStream_tbENKUlT_T0_E_clISt17integral_constantIbLb1EESV_IbLb0EEEEDaSR_SS_EUlSR_E_NS1_11comp_targetILNS1_3genE3ELNS1_11target_archE908ELNS1_3gpuE7ELNS1_3repE0EEENS1_30default_config_static_selectorELNS0_4arch9wavefront6targetE1EEEvT1_
                                        ; -- End function
	.section	.AMDGPU.csdata,"",@progbits
; Kernel info:
; codeLenInByte = 0
; NumSgprs: 4
; NumVgprs: 0
; NumAgprs: 0
; TotalNumVgprs: 0
; ScratchSize: 0
; MemoryBound: 0
; FloatMode: 240
; IeeeMode: 1
; LDSByteSize: 0 bytes/workgroup (compile time only)
; SGPRBlocks: 0
; VGPRBlocks: 0
; NumSGPRsForWavesPerEU: 4
; NumVGPRsForWavesPerEU: 1
; AccumOffset: 4
; Occupancy: 8
; WaveLimiterHint : 0
; COMPUTE_PGM_RSRC2:SCRATCH_EN: 0
; COMPUTE_PGM_RSRC2:USER_SGPR: 6
; COMPUTE_PGM_RSRC2:TRAP_HANDLER: 0
; COMPUTE_PGM_RSRC2:TGID_X_EN: 1
; COMPUTE_PGM_RSRC2:TGID_Y_EN: 0
; COMPUTE_PGM_RSRC2:TGID_Z_EN: 0
; COMPUTE_PGM_RSRC2:TIDIG_COMP_CNT: 0
; COMPUTE_PGM_RSRC3_GFX90A:ACCUM_OFFSET: 0
; COMPUTE_PGM_RSRC3_GFX90A:TG_SPLIT: 0
	.section	.text._ZN7rocprim17ROCPRIM_400000_NS6detail17trampoline_kernelINS0_14default_configENS1_27scan_by_key_config_selectorIiiEEZZNS1_16scan_by_key_implILNS1_25lookback_scan_determinismE0ELb1ES3_N6thrust23THRUST_200600_302600_NS10device_ptrIiEESB_SB_iNS9_4plusIvEENS9_8equal_toIvEEiEE10hipError_tPvRmT2_T3_T4_T5_mT6_T7_P12ihipStream_tbENKUlT_T0_E_clISt17integral_constantIbLb1EESV_IbLb0EEEEDaSR_SS_EUlSR_E_NS1_11comp_targetILNS1_3genE2ELNS1_11target_archE906ELNS1_3gpuE6ELNS1_3repE0EEENS1_30default_config_static_selectorELNS0_4arch9wavefront6targetE1EEEvT1_,"axG",@progbits,_ZN7rocprim17ROCPRIM_400000_NS6detail17trampoline_kernelINS0_14default_configENS1_27scan_by_key_config_selectorIiiEEZZNS1_16scan_by_key_implILNS1_25lookback_scan_determinismE0ELb1ES3_N6thrust23THRUST_200600_302600_NS10device_ptrIiEESB_SB_iNS9_4plusIvEENS9_8equal_toIvEEiEE10hipError_tPvRmT2_T3_T4_T5_mT6_T7_P12ihipStream_tbENKUlT_T0_E_clISt17integral_constantIbLb1EESV_IbLb0EEEEDaSR_SS_EUlSR_E_NS1_11comp_targetILNS1_3genE2ELNS1_11target_archE906ELNS1_3gpuE6ELNS1_3repE0EEENS1_30default_config_static_selectorELNS0_4arch9wavefront6targetE1EEEvT1_,comdat
	.protected	_ZN7rocprim17ROCPRIM_400000_NS6detail17trampoline_kernelINS0_14default_configENS1_27scan_by_key_config_selectorIiiEEZZNS1_16scan_by_key_implILNS1_25lookback_scan_determinismE0ELb1ES3_N6thrust23THRUST_200600_302600_NS10device_ptrIiEESB_SB_iNS9_4plusIvEENS9_8equal_toIvEEiEE10hipError_tPvRmT2_T3_T4_T5_mT6_T7_P12ihipStream_tbENKUlT_T0_E_clISt17integral_constantIbLb1EESV_IbLb0EEEEDaSR_SS_EUlSR_E_NS1_11comp_targetILNS1_3genE2ELNS1_11target_archE906ELNS1_3gpuE6ELNS1_3repE0EEENS1_30default_config_static_selectorELNS0_4arch9wavefront6targetE1EEEvT1_ ; -- Begin function _ZN7rocprim17ROCPRIM_400000_NS6detail17trampoline_kernelINS0_14default_configENS1_27scan_by_key_config_selectorIiiEEZZNS1_16scan_by_key_implILNS1_25lookback_scan_determinismE0ELb1ES3_N6thrust23THRUST_200600_302600_NS10device_ptrIiEESB_SB_iNS9_4plusIvEENS9_8equal_toIvEEiEE10hipError_tPvRmT2_T3_T4_T5_mT6_T7_P12ihipStream_tbENKUlT_T0_E_clISt17integral_constantIbLb1EESV_IbLb0EEEEDaSR_SS_EUlSR_E_NS1_11comp_targetILNS1_3genE2ELNS1_11target_archE906ELNS1_3gpuE6ELNS1_3repE0EEENS1_30default_config_static_selectorELNS0_4arch9wavefront6targetE1EEEvT1_
	.globl	_ZN7rocprim17ROCPRIM_400000_NS6detail17trampoline_kernelINS0_14default_configENS1_27scan_by_key_config_selectorIiiEEZZNS1_16scan_by_key_implILNS1_25lookback_scan_determinismE0ELb1ES3_N6thrust23THRUST_200600_302600_NS10device_ptrIiEESB_SB_iNS9_4plusIvEENS9_8equal_toIvEEiEE10hipError_tPvRmT2_T3_T4_T5_mT6_T7_P12ihipStream_tbENKUlT_T0_E_clISt17integral_constantIbLb1EESV_IbLb0EEEEDaSR_SS_EUlSR_E_NS1_11comp_targetILNS1_3genE2ELNS1_11target_archE906ELNS1_3gpuE6ELNS1_3repE0EEENS1_30default_config_static_selectorELNS0_4arch9wavefront6targetE1EEEvT1_
	.p2align	8
	.type	_ZN7rocprim17ROCPRIM_400000_NS6detail17trampoline_kernelINS0_14default_configENS1_27scan_by_key_config_selectorIiiEEZZNS1_16scan_by_key_implILNS1_25lookback_scan_determinismE0ELb1ES3_N6thrust23THRUST_200600_302600_NS10device_ptrIiEESB_SB_iNS9_4plusIvEENS9_8equal_toIvEEiEE10hipError_tPvRmT2_T3_T4_T5_mT6_T7_P12ihipStream_tbENKUlT_T0_E_clISt17integral_constantIbLb1EESV_IbLb0EEEEDaSR_SS_EUlSR_E_NS1_11comp_targetILNS1_3genE2ELNS1_11target_archE906ELNS1_3gpuE6ELNS1_3repE0EEENS1_30default_config_static_selectorELNS0_4arch9wavefront6targetE1EEEvT1_,@function
_ZN7rocprim17ROCPRIM_400000_NS6detail17trampoline_kernelINS0_14default_configENS1_27scan_by_key_config_selectorIiiEEZZNS1_16scan_by_key_implILNS1_25lookback_scan_determinismE0ELb1ES3_N6thrust23THRUST_200600_302600_NS10device_ptrIiEESB_SB_iNS9_4plusIvEENS9_8equal_toIvEEiEE10hipError_tPvRmT2_T3_T4_T5_mT6_T7_P12ihipStream_tbENKUlT_T0_E_clISt17integral_constantIbLb1EESV_IbLb0EEEEDaSR_SS_EUlSR_E_NS1_11comp_targetILNS1_3genE2ELNS1_11target_archE906ELNS1_3gpuE6ELNS1_3repE0EEENS1_30default_config_static_selectorELNS0_4arch9wavefront6targetE1EEEvT1_: ; @_ZN7rocprim17ROCPRIM_400000_NS6detail17trampoline_kernelINS0_14default_configENS1_27scan_by_key_config_selectorIiiEEZZNS1_16scan_by_key_implILNS1_25lookback_scan_determinismE0ELb1ES3_N6thrust23THRUST_200600_302600_NS10device_ptrIiEESB_SB_iNS9_4plusIvEENS9_8equal_toIvEEiEE10hipError_tPvRmT2_T3_T4_T5_mT6_T7_P12ihipStream_tbENKUlT_T0_E_clISt17integral_constantIbLb1EESV_IbLb0EEEEDaSR_SS_EUlSR_E_NS1_11comp_targetILNS1_3genE2ELNS1_11target_archE906ELNS1_3gpuE6ELNS1_3repE0EEENS1_30default_config_static_selectorELNS0_4arch9wavefront6targetE1EEEvT1_
; %bb.0:
	.section	.rodata,"a",@progbits
	.p2align	6, 0x0
	.amdhsa_kernel _ZN7rocprim17ROCPRIM_400000_NS6detail17trampoline_kernelINS0_14default_configENS1_27scan_by_key_config_selectorIiiEEZZNS1_16scan_by_key_implILNS1_25lookback_scan_determinismE0ELb1ES3_N6thrust23THRUST_200600_302600_NS10device_ptrIiEESB_SB_iNS9_4plusIvEENS9_8equal_toIvEEiEE10hipError_tPvRmT2_T3_T4_T5_mT6_T7_P12ihipStream_tbENKUlT_T0_E_clISt17integral_constantIbLb1EESV_IbLb0EEEEDaSR_SS_EUlSR_E_NS1_11comp_targetILNS1_3genE2ELNS1_11target_archE906ELNS1_3gpuE6ELNS1_3repE0EEENS1_30default_config_static_selectorELNS0_4arch9wavefront6targetE1EEEvT1_
		.amdhsa_group_segment_fixed_size 0
		.amdhsa_private_segment_fixed_size 0
		.amdhsa_kernarg_size 112
		.amdhsa_user_sgpr_count 6
		.amdhsa_user_sgpr_private_segment_buffer 1
		.amdhsa_user_sgpr_dispatch_ptr 0
		.amdhsa_user_sgpr_queue_ptr 0
		.amdhsa_user_sgpr_kernarg_segment_ptr 1
		.amdhsa_user_sgpr_dispatch_id 0
		.amdhsa_user_sgpr_flat_scratch_init 0
		.amdhsa_user_sgpr_kernarg_preload_length 0
		.amdhsa_user_sgpr_kernarg_preload_offset 0
		.amdhsa_user_sgpr_private_segment_size 0
		.amdhsa_uses_dynamic_stack 0
		.amdhsa_system_sgpr_private_segment_wavefront_offset 0
		.amdhsa_system_sgpr_workgroup_id_x 1
		.amdhsa_system_sgpr_workgroup_id_y 0
		.amdhsa_system_sgpr_workgroup_id_z 0
		.amdhsa_system_sgpr_workgroup_info 0
		.amdhsa_system_vgpr_workitem_id 0
		.amdhsa_next_free_vgpr 1
		.amdhsa_next_free_sgpr 0
		.amdhsa_accum_offset 4
		.amdhsa_reserve_vcc 0
		.amdhsa_reserve_flat_scratch 0
		.amdhsa_float_round_mode_32 0
		.amdhsa_float_round_mode_16_64 0
		.amdhsa_float_denorm_mode_32 3
		.amdhsa_float_denorm_mode_16_64 3
		.amdhsa_dx10_clamp 1
		.amdhsa_ieee_mode 1
		.amdhsa_fp16_overflow 0
		.amdhsa_tg_split 0
		.amdhsa_exception_fp_ieee_invalid_op 0
		.amdhsa_exception_fp_denorm_src 0
		.amdhsa_exception_fp_ieee_div_zero 0
		.amdhsa_exception_fp_ieee_overflow 0
		.amdhsa_exception_fp_ieee_underflow 0
		.amdhsa_exception_fp_ieee_inexact 0
		.amdhsa_exception_int_div_zero 0
	.end_amdhsa_kernel
	.section	.text._ZN7rocprim17ROCPRIM_400000_NS6detail17trampoline_kernelINS0_14default_configENS1_27scan_by_key_config_selectorIiiEEZZNS1_16scan_by_key_implILNS1_25lookback_scan_determinismE0ELb1ES3_N6thrust23THRUST_200600_302600_NS10device_ptrIiEESB_SB_iNS9_4plusIvEENS9_8equal_toIvEEiEE10hipError_tPvRmT2_T3_T4_T5_mT6_T7_P12ihipStream_tbENKUlT_T0_E_clISt17integral_constantIbLb1EESV_IbLb0EEEEDaSR_SS_EUlSR_E_NS1_11comp_targetILNS1_3genE2ELNS1_11target_archE906ELNS1_3gpuE6ELNS1_3repE0EEENS1_30default_config_static_selectorELNS0_4arch9wavefront6targetE1EEEvT1_,"axG",@progbits,_ZN7rocprim17ROCPRIM_400000_NS6detail17trampoline_kernelINS0_14default_configENS1_27scan_by_key_config_selectorIiiEEZZNS1_16scan_by_key_implILNS1_25lookback_scan_determinismE0ELb1ES3_N6thrust23THRUST_200600_302600_NS10device_ptrIiEESB_SB_iNS9_4plusIvEENS9_8equal_toIvEEiEE10hipError_tPvRmT2_T3_T4_T5_mT6_T7_P12ihipStream_tbENKUlT_T0_E_clISt17integral_constantIbLb1EESV_IbLb0EEEEDaSR_SS_EUlSR_E_NS1_11comp_targetILNS1_3genE2ELNS1_11target_archE906ELNS1_3gpuE6ELNS1_3repE0EEENS1_30default_config_static_selectorELNS0_4arch9wavefront6targetE1EEEvT1_,comdat
.Lfunc_end2256:
	.size	_ZN7rocprim17ROCPRIM_400000_NS6detail17trampoline_kernelINS0_14default_configENS1_27scan_by_key_config_selectorIiiEEZZNS1_16scan_by_key_implILNS1_25lookback_scan_determinismE0ELb1ES3_N6thrust23THRUST_200600_302600_NS10device_ptrIiEESB_SB_iNS9_4plusIvEENS9_8equal_toIvEEiEE10hipError_tPvRmT2_T3_T4_T5_mT6_T7_P12ihipStream_tbENKUlT_T0_E_clISt17integral_constantIbLb1EESV_IbLb0EEEEDaSR_SS_EUlSR_E_NS1_11comp_targetILNS1_3genE2ELNS1_11target_archE906ELNS1_3gpuE6ELNS1_3repE0EEENS1_30default_config_static_selectorELNS0_4arch9wavefront6targetE1EEEvT1_, .Lfunc_end2256-_ZN7rocprim17ROCPRIM_400000_NS6detail17trampoline_kernelINS0_14default_configENS1_27scan_by_key_config_selectorIiiEEZZNS1_16scan_by_key_implILNS1_25lookback_scan_determinismE0ELb1ES3_N6thrust23THRUST_200600_302600_NS10device_ptrIiEESB_SB_iNS9_4plusIvEENS9_8equal_toIvEEiEE10hipError_tPvRmT2_T3_T4_T5_mT6_T7_P12ihipStream_tbENKUlT_T0_E_clISt17integral_constantIbLb1EESV_IbLb0EEEEDaSR_SS_EUlSR_E_NS1_11comp_targetILNS1_3genE2ELNS1_11target_archE906ELNS1_3gpuE6ELNS1_3repE0EEENS1_30default_config_static_selectorELNS0_4arch9wavefront6targetE1EEEvT1_
                                        ; -- End function
	.section	.AMDGPU.csdata,"",@progbits
; Kernel info:
; codeLenInByte = 0
; NumSgprs: 4
; NumVgprs: 0
; NumAgprs: 0
; TotalNumVgprs: 0
; ScratchSize: 0
; MemoryBound: 0
; FloatMode: 240
; IeeeMode: 1
; LDSByteSize: 0 bytes/workgroup (compile time only)
; SGPRBlocks: 0
; VGPRBlocks: 0
; NumSGPRsForWavesPerEU: 4
; NumVGPRsForWavesPerEU: 1
; AccumOffset: 4
; Occupancy: 8
; WaveLimiterHint : 0
; COMPUTE_PGM_RSRC2:SCRATCH_EN: 0
; COMPUTE_PGM_RSRC2:USER_SGPR: 6
; COMPUTE_PGM_RSRC2:TRAP_HANDLER: 0
; COMPUTE_PGM_RSRC2:TGID_X_EN: 1
; COMPUTE_PGM_RSRC2:TGID_Y_EN: 0
; COMPUTE_PGM_RSRC2:TGID_Z_EN: 0
; COMPUTE_PGM_RSRC2:TIDIG_COMP_CNT: 0
; COMPUTE_PGM_RSRC3_GFX90A:ACCUM_OFFSET: 0
; COMPUTE_PGM_RSRC3_GFX90A:TG_SPLIT: 0
	.section	.text._ZN7rocprim17ROCPRIM_400000_NS6detail17trampoline_kernelINS0_14default_configENS1_27scan_by_key_config_selectorIiiEEZZNS1_16scan_by_key_implILNS1_25lookback_scan_determinismE0ELb1ES3_N6thrust23THRUST_200600_302600_NS10device_ptrIiEESB_SB_iNS9_4plusIvEENS9_8equal_toIvEEiEE10hipError_tPvRmT2_T3_T4_T5_mT6_T7_P12ihipStream_tbENKUlT_T0_E_clISt17integral_constantIbLb1EESV_IbLb0EEEEDaSR_SS_EUlSR_E_NS1_11comp_targetILNS1_3genE10ELNS1_11target_archE1200ELNS1_3gpuE4ELNS1_3repE0EEENS1_30default_config_static_selectorELNS0_4arch9wavefront6targetE1EEEvT1_,"axG",@progbits,_ZN7rocprim17ROCPRIM_400000_NS6detail17trampoline_kernelINS0_14default_configENS1_27scan_by_key_config_selectorIiiEEZZNS1_16scan_by_key_implILNS1_25lookback_scan_determinismE0ELb1ES3_N6thrust23THRUST_200600_302600_NS10device_ptrIiEESB_SB_iNS9_4plusIvEENS9_8equal_toIvEEiEE10hipError_tPvRmT2_T3_T4_T5_mT6_T7_P12ihipStream_tbENKUlT_T0_E_clISt17integral_constantIbLb1EESV_IbLb0EEEEDaSR_SS_EUlSR_E_NS1_11comp_targetILNS1_3genE10ELNS1_11target_archE1200ELNS1_3gpuE4ELNS1_3repE0EEENS1_30default_config_static_selectorELNS0_4arch9wavefront6targetE1EEEvT1_,comdat
	.protected	_ZN7rocprim17ROCPRIM_400000_NS6detail17trampoline_kernelINS0_14default_configENS1_27scan_by_key_config_selectorIiiEEZZNS1_16scan_by_key_implILNS1_25lookback_scan_determinismE0ELb1ES3_N6thrust23THRUST_200600_302600_NS10device_ptrIiEESB_SB_iNS9_4plusIvEENS9_8equal_toIvEEiEE10hipError_tPvRmT2_T3_T4_T5_mT6_T7_P12ihipStream_tbENKUlT_T0_E_clISt17integral_constantIbLb1EESV_IbLb0EEEEDaSR_SS_EUlSR_E_NS1_11comp_targetILNS1_3genE10ELNS1_11target_archE1200ELNS1_3gpuE4ELNS1_3repE0EEENS1_30default_config_static_selectorELNS0_4arch9wavefront6targetE1EEEvT1_ ; -- Begin function _ZN7rocprim17ROCPRIM_400000_NS6detail17trampoline_kernelINS0_14default_configENS1_27scan_by_key_config_selectorIiiEEZZNS1_16scan_by_key_implILNS1_25lookback_scan_determinismE0ELb1ES3_N6thrust23THRUST_200600_302600_NS10device_ptrIiEESB_SB_iNS9_4plusIvEENS9_8equal_toIvEEiEE10hipError_tPvRmT2_T3_T4_T5_mT6_T7_P12ihipStream_tbENKUlT_T0_E_clISt17integral_constantIbLb1EESV_IbLb0EEEEDaSR_SS_EUlSR_E_NS1_11comp_targetILNS1_3genE10ELNS1_11target_archE1200ELNS1_3gpuE4ELNS1_3repE0EEENS1_30default_config_static_selectorELNS0_4arch9wavefront6targetE1EEEvT1_
	.globl	_ZN7rocprim17ROCPRIM_400000_NS6detail17trampoline_kernelINS0_14default_configENS1_27scan_by_key_config_selectorIiiEEZZNS1_16scan_by_key_implILNS1_25lookback_scan_determinismE0ELb1ES3_N6thrust23THRUST_200600_302600_NS10device_ptrIiEESB_SB_iNS9_4plusIvEENS9_8equal_toIvEEiEE10hipError_tPvRmT2_T3_T4_T5_mT6_T7_P12ihipStream_tbENKUlT_T0_E_clISt17integral_constantIbLb1EESV_IbLb0EEEEDaSR_SS_EUlSR_E_NS1_11comp_targetILNS1_3genE10ELNS1_11target_archE1200ELNS1_3gpuE4ELNS1_3repE0EEENS1_30default_config_static_selectorELNS0_4arch9wavefront6targetE1EEEvT1_
	.p2align	8
	.type	_ZN7rocprim17ROCPRIM_400000_NS6detail17trampoline_kernelINS0_14default_configENS1_27scan_by_key_config_selectorIiiEEZZNS1_16scan_by_key_implILNS1_25lookback_scan_determinismE0ELb1ES3_N6thrust23THRUST_200600_302600_NS10device_ptrIiEESB_SB_iNS9_4plusIvEENS9_8equal_toIvEEiEE10hipError_tPvRmT2_T3_T4_T5_mT6_T7_P12ihipStream_tbENKUlT_T0_E_clISt17integral_constantIbLb1EESV_IbLb0EEEEDaSR_SS_EUlSR_E_NS1_11comp_targetILNS1_3genE10ELNS1_11target_archE1200ELNS1_3gpuE4ELNS1_3repE0EEENS1_30default_config_static_selectorELNS0_4arch9wavefront6targetE1EEEvT1_,@function
_ZN7rocprim17ROCPRIM_400000_NS6detail17trampoline_kernelINS0_14default_configENS1_27scan_by_key_config_selectorIiiEEZZNS1_16scan_by_key_implILNS1_25lookback_scan_determinismE0ELb1ES3_N6thrust23THRUST_200600_302600_NS10device_ptrIiEESB_SB_iNS9_4plusIvEENS9_8equal_toIvEEiEE10hipError_tPvRmT2_T3_T4_T5_mT6_T7_P12ihipStream_tbENKUlT_T0_E_clISt17integral_constantIbLb1EESV_IbLb0EEEEDaSR_SS_EUlSR_E_NS1_11comp_targetILNS1_3genE10ELNS1_11target_archE1200ELNS1_3gpuE4ELNS1_3repE0EEENS1_30default_config_static_selectorELNS0_4arch9wavefront6targetE1EEEvT1_: ; @_ZN7rocprim17ROCPRIM_400000_NS6detail17trampoline_kernelINS0_14default_configENS1_27scan_by_key_config_selectorIiiEEZZNS1_16scan_by_key_implILNS1_25lookback_scan_determinismE0ELb1ES3_N6thrust23THRUST_200600_302600_NS10device_ptrIiEESB_SB_iNS9_4plusIvEENS9_8equal_toIvEEiEE10hipError_tPvRmT2_T3_T4_T5_mT6_T7_P12ihipStream_tbENKUlT_T0_E_clISt17integral_constantIbLb1EESV_IbLb0EEEEDaSR_SS_EUlSR_E_NS1_11comp_targetILNS1_3genE10ELNS1_11target_archE1200ELNS1_3gpuE4ELNS1_3repE0EEENS1_30default_config_static_selectorELNS0_4arch9wavefront6targetE1EEEvT1_
; %bb.0:
	.section	.rodata,"a",@progbits
	.p2align	6, 0x0
	.amdhsa_kernel _ZN7rocprim17ROCPRIM_400000_NS6detail17trampoline_kernelINS0_14default_configENS1_27scan_by_key_config_selectorIiiEEZZNS1_16scan_by_key_implILNS1_25lookback_scan_determinismE0ELb1ES3_N6thrust23THRUST_200600_302600_NS10device_ptrIiEESB_SB_iNS9_4plusIvEENS9_8equal_toIvEEiEE10hipError_tPvRmT2_T3_T4_T5_mT6_T7_P12ihipStream_tbENKUlT_T0_E_clISt17integral_constantIbLb1EESV_IbLb0EEEEDaSR_SS_EUlSR_E_NS1_11comp_targetILNS1_3genE10ELNS1_11target_archE1200ELNS1_3gpuE4ELNS1_3repE0EEENS1_30default_config_static_selectorELNS0_4arch9wavefront6targetE1EEEvT1_
		.amdhsa_group_segment_fixed_size 0
		.amdhsa_private_segment_fixed_size 0
		.amdhsa_kernarg_size 112
		.amdhsa_user_sgpr_count 6
		.amdhsa_user_sgpr_private_segment_buffer 1
		.amdhsa_user_sgpr_dispatch_ptr 0
		.amdhsa_user_sgpr_queue_ptr 0
		.amdhsa_user_sgpr_kernarg_segment_ptr 1
		.amdhsa_user_sgpr_dispatch_id 0
		.amdhsa_user_sgpr_flat_scratch_init 0
		.amdhsa_user_sgpr_kernarg_preload_length 0
		.amdhsa_user_sgpr_kernarg_preload_offset 0
		.amdhsa_user_sgpr_private_segment_size 0
		.amdhsa_uses_dynamic_stack 0
		.amdhsa_system_sgpr_private_segment_wavefront_offset 0
		.amdhsa_system_sgpr_workgroup_id_x 1
		.amdhsa_system_sgpr_workgroup_id_y 0
		.amdhsa_system_sgpr_workgroup_id_z 0
		.amdhsa_system_sgpr_workgroup_info 0
		.amdhsa_system_vgpr_workitem_id 0
		.amdhsa_next_free_vgpr 1
		.amdhsa_next_free_sgpr 0
		.amdhsa_accum_offset 4
		.amdhsa_reserve_vcc 0
		.amdhsa_reserve_flat_scratch 0
		.amdhsa_float_round_mode_32 0
		.amdhsa_float_round_mode_16_64 0
		.amdhsa_float_denorm_mode_32 3
		.amdhsa_float_denorm_mode_16_64 3
		.amdhsa_dx10_clamp 1
		.amdhsa_ieee_mode 1
		.amdhsa_fp16_overflow 0
		.amdhsa_tg_split 0
		.amdhsa_exception_fp_ieee_invalid_op 0
		.amdhsa_exception_fp_denorm_src 0
		.amdhsa_exception_fp_ieee_div_zero 0
		.amdhsa_exception_fp_ieee_overflow 0
		.amdhsa_exception_fp_ieee_underflow 0
		.amdhsa_exception_fp_ieee_inexact 0
		.amdhsa_exception_int_div_zero 0
	.end_amdhsa_kernel
	.section	.text._ZN7rocprim17ROCPRIM_400000_NS6detail17trampoline_kernelINS0_14default_configENS1_27scan_by_key_config_selectorIiiEEZZNS1_16scan_by_key_implILNS1_25lookback_scan_determinismE0ELb1ES3_N6thrust23THRUST_200600_302600_NS10device_ptrIiEESB_SB_iNS9_4plusIvEENS9_8equal_toIvEEiEE10hipError_tPvRmT2_T3_T4_T5_mT6_T7_P12ihipStream_tbENKUlT_T0_E_clISt17integral_constantIbLb1EESV_IbLb0EEEEDaSR_SS_EUlSR_E_NS1_11comp_targetILNS1_3genE10ELNS1_11target_archE1200ELNS1_3gpuE4ELNS1_3repE0EEENS1_30default_config_static_selectorELNS0_4arch9wavefront6targetE1EEEvT1_,"axG",@progbits,_ZN7rocprim17ROCPRIM_400000_NS6detail17trampoline_kernelINS0_14default_configENS1_27scan_by_key_config_selectorIiiEEZZNS1_16scan_by_key_implILNS1_25lookback_scan_determinismE0ELb1ES3_N6thrust23THRUST_200600_302600_NS10device_ptrIiEESB_SB_iNS9_4plusIvEENS9_8equal_toIvEEiEE10hipError_tPvRmT2_T3_T4_T5_mT6_T7_P12ihipStream_tbENKUlT_T0_E_clISt17integral_constantIbLb1EESV_IbLb0EEEEDaSR_SS_EUlSR_E_NS1_11comp_targetILNS1_3genE10ELNS1_11target_archE1200ELNS1_3gpuE4ELNS1_3repE0EEENS1_30default_config_static_selectorELNS0_4arch9wavefront6targetE1EEEvT1_,comdat
.Lfunc_end2257:
	.size	_ZN7rocprim17ROCPRIM_400000_NS6detail17trampoline_kernelINS0_14default_configENS1_27scan_by_key_config_selectorIiiEEZZNS1_16scan_by_key_implILNS1_25lookback_scan_determinismE0ELb1ES3_N6thrust23THRUST_200600_302600_NS10device_ptrIiEESB_SB_iNS9_4plusIvEENS9_8equal_toIvEEiEE10hipError_tPvRmT2_T3_T4_T5_mT6_T7_P12ihipStream_tbENKUlT_T0_E_clISt17integral_constantIbLb1EESV_IbLb0EEEEDaSR_SS_EUlSR_E_NS1_11comp_targetILNS1_3genE10ELNS1_11target_archE1200ELNS1_3gpuE4ELNS1_3repE0EEENS1_30default_config_static_selectorELNS0_4arch9wavefront6targetE1EEEvT1_, .Lfunc_end2257-_ZN7rocprim17ROCPRIM_400000_NS6detail17trampoline_kernelINS0_14default_configENS1_27scan_by_key_config_selectorIiiEEZZNS1_16scan_by_key_implILNS1_25lookback_scan_determinismE0ELb1ES3_N6thrust23THRUST_200600_302600_NS10device_ptrIiEESB_SB_iNS9_4plusIvEENS9_8equal_toIvEEiEE10hipError_tPvRmT2_T3_T4_T5_mT6_T7_P12ihipStream_tbENKUlT_T0_E_clISt17integral_constantIbLb1EESV_IbLb0EEEEDaSR_SS_EUlSR_E_NS1_11comp_targetILNS1_3genE10ELNS1_11target_archE1200ELNS1_3gpuE4ELNS1_3repE0EEENS1_30default_config_static_selectorELNS0_4arch9wavefront6targetE1EEEvT1_
                                        ; -- End function
	.section	.AMDGPU.csdata,"",@progbits
; Kernel info:
; codeLenInByte = 0
; NumSgprs: 4
; NumVgprs: 0
; NumAgprs: 0
; TotalNumVgprs: 0
; ScratchSize: 0
; MemoryBound: 0
; FloatMode: 240
; IeeeMode: 1
; LDSByteSize: 0 bytes/workgroup (compile time only)
; SGPRBlocks: 0
; VGPRBlocks: 0
; NumSGPRsForWavesPerEU: 4
; NumVGPRsForWavesPerEU: 1
; AccumOffset: 4
; Occupancy: 8
; WaveLimiterHint : 0
; COMPUTE_PGM_RSRC2:SCRATCH_EN: 0
; COMPUTE_PGM_RSRC2:USER_SGPR: 6
; COMPUTE_PGM_RSRC2:TRAP_HANDLER: 0
; COMPUTE_PGM_RSRC2:TGID_X_EN: 1
; COMPUTE_PGM_RSRC2:TGID_Y_EN: 0
; COMPUTE_PGM_RSRC2:TGID_Z_EN: 0
; COMPUTE_PGM_RSRC2:TIDIG_COMP_CNT: 0
; COMPUTE_PGM_RSRC3_GFX90A:ACCUM_OFFSET: 0
; COMPUTE_PGM_RSRC3_GFX90A:TG_SPLIT: 0
	.section	.text._ZN7rocprim17ROCPRIM_400000_NS6detail17trampoline_kernelINS0_14default_configENS1_27scan_by_key_config_selectorIiiEEZZNS1_16scan_by_key_implILNS1_25lookback_scan_determinismE0ELb1ES3_N6thrust23THRUST_200600_302600_NS10device_ptrIiEESB_SB_iNS9_4plusIvEENS9_8equal_toIvEEiEE10hipError_tPvRmT2_T3_T4_T5_mT6_T7_P12ihipStream_tbENKUlT_T0_E_clISt17integral_constantIbLb1EESV_IbLb0EEEEDaSR_SS_EUlSR_E_NS1_11comp_targetILNS1_3genE9ELNS1_11target_archE1100ELNS1_3gpuE3ELNS1_3repE0EEENS1_30default_config_static_selectorELNS0_4arch9wavefront6targetE1EEEvT1_,"axG",@progbits,_ZN7rocprim17ROCPRIM_400000_NS6detail17trampoline_kernelINS0_14default_configENS1_27scan_by_key_config_selectorIiiEEZZNS1_16scan_by_key_implILNS1_25lookback_scan_determinismE0ELb1ES3_N6thrust23THRUST_200600_302600_NS10device_ptrIiEESB_SB_iNS9_4plusIvEENS9_8equal_toIvEEiEE10hipError_tPvRmT2_T3_T4_T5_mT6_T7_P12ihipStream_tbENKUlT_T0_E_clISt17integral_constantIbLb1EESV_IbLb0EEEEDaSR_SS_EUlSR_E_NS1_11comp_targetILNS1_3genE9ELNS1_11target_archE1100ELNS1_3gpuE3ELNS1_3repE0EEENS1_30default_config_static_selectorELNS0_4arch9wavefront6targetE1EEEvT1_,comdat
	.protected	_ZN7rocprim17ROCPRIM_400000_NS6detail17trampoline_kernelINS0_14default_configENS1_27scan_by_key_config_selectorIiiEEZZNS1_16scan_by_key_implILNS1_25lookback_scan_determinismE0ELb1ES3_N6thrust23THRUST_200600_302600_NS10device_ptrIiEESB_SB_iNS9_4plusIvEENS9_8equal_toIvEEiEE10hipError_tPvRmT2_T3_T4_T5_mT6_T7_P12ihipStream_tbENKUlT_T0_E_clISt17integral_constantIbLb1EESV_IbLb0EEEEDaSR_SS_EUlSR_E_NS1_11comp_targetILNS1_3genE9ELNS1_11target_archE1100ELNS1_3gpuE3ELNS1_3repE0EEENS1_30default_config_static_selectorELNS0_4arch9wavefront6targetE1EEEvT1_ ; -- Begin function _ZN7rocprim17ROCPRIM_400000_NS6detail17trampoline_kernelINS0_14default_configENS1_27scan_by_key_config_selectorIiiEEZZNS1_16scan_by_key_implILNS1_25lookback_scan_determinismE0ELb1ES3_N6thrust23THRUST_200600_302600_NS10device_ptrIiEESB_SB_iNS9_4plusIvEENS9_8equal_toIvEEiEE10hipError_tPvRmT2_T3_T4_T5_mT6_T7_P12ihipStream_tbENKUlT_T0_E_clISt17integral_constantIbLb1EESV_IbLb0EEEEDaSR_SS_EUlSR_E_NS1_11comp_targetILNS1_3genE9ELNS1_11target_archE1100ELNS1_3gpuE3ELNS1_3repE0EEENS1_30default_config_static_selectorELNS0_4arch9wavefront6targetE1EEEvT1_
	.globl	_ZN7rocprim17ROCPRIM_400000_NS6detail17trampoline_kernelINS0_14default_configENS1_27scan_by_key_config_selectorIiiEEZZNS1_16scan_by_key_implILNS1_25lookback_scan_determinismE0ELb1ES3_N6thrust23THRUST_200600_302600_NS10device_ptrIiEESB_SB_iNS9_4plusIvEENS9_8equal_toIvEEiEE10hipError_tPvRmT2_T3_T4_T5_mT6_T7_P12ihipStream_tbENKUlT_T0_E_clISt17integral_constantIbLb1EESV_IbLb0EEEEDaSR_SS_EUlSR_E_NS1_11comp_targetILNS1_3genE9ELNS1_11target_archE1100ELNS1_3gpuE3ELNS1_3repE0EEENS1_30default_config_static_selectorELNS0_4arch9wavefront6targetE1EEEvT1_
	.p2align	8
	.type	_ZN7rocprim17ROCPRIM_400000_NS6detail17trampoline_kernelINS0_14default_configENS1_27scan_by_key_config_selectorIiiEEZZNS1_16scan_by_key_implILNS1_25lookback_scan_determinismE0ELb1ES3_N6thrust23THRUST_200600_302600_NS10device_ptrIiEESB_SB_iNS9_4plusIvEENS9_8equal_toIvEEiEE10hipError_tPvRmT2_T3_T4_T5_mT6_T7_P12ihipStream_tbENKUlT_T0_E_clISt17integral_constantIbLb1EESV_IbLb0EEEEDaSR_SS_EUlSR_E_NS1_11comp_targetILNS1_3genE9ELNS1_11target_archE1100ELNS1_3gpuE3ELNS1_3repE0EEENS1_30default_config_static_selectorELNS0_4arch9wavefront6targetE1EEEvT1_,@function
_ZN7rocprim17ROCPRIM_400000_NS6detail17trampoline_kernelINS0_14default_configENS1_27scan_by_key_config_selectorIiiEEZZNS1_16scan_by_key_implILNS1_25lookback_scan_determinismE0ELb1ES3_N6thrust23THRUST_200600_302600_NS10device_ptrIiEESB_SB_iNS9_4plusIvEENS9_8equal_toIvEEiEE10hipError_tPvRmT2_T3_T4_T5_mT6_T7_P12ihipStream_tbENKUlT_T0_E_clISt17integral_constantIbLb1EESV_IbLb0EEEEDaSR_SS_EUlSR_E_NS1_11comp_targetILNS1_3genE9ELNS1_11target_archE1100ELNS1_3gpuE3ELNS1_3repE0EEENS1_30default_config_static_selectorELNS0_4arch9wavefront6targetE1EEEvT1_: ; @_ZN7rocprim17ROCPRIM_400000_NS6detail17trampoline_kernelINS0_14default_configENS1_27scan_by_key_config_selectorIiiEEZZNS1_16scan_by_key_implILNS1_25lookback_scan_determinismE0ELb1ES3_N6thrust23THRUST_200600_302600_NS10device_ptrIiEESB_SB_iNS9_4plusIvEENS9_8equal_toIvEEiEE10hipError_tPvRmT2_T3_T4_T5_mT6_T7_P12ihipStream_tbENKUlT_T0_E_clISt17integral_constantIbLb1EESV_IbLb0EEEEDaSR_SS_EUlSR_E_NS1_11comp_targetILNS1_3genE9ELNS1_11target_archE1100ELNS1_3gpuE3ELNS1_3repE0EEENS1_30default_config_static_selectorELNS0_4arch9wavefront6targetE1EEEvT1_
; %bb.0:
	.section	.rodata,"a",@progbits
	.p2align	6, 0x0
	.amdhsa_kernel _ZN7rocprim17ROCPRIM_400000_NS6detail17trampoline_kernelINS0_14default_configENS1_27scan_by_key_config_selectorIiiEEZZNS1_16scan_by_key_implILNS1_25lookback_scan_determinismE0ELb1ES3_N6thrust23THRUST_200600_302600_NS10device_ptrIiEESB_SB_iNS9_4plusIvEENS9_8equal_toIvEEiEE10hipError_tPvRmT2_T3_T4_T5_mT6_T7_P12ihipStream_tbENKUlT_T0_E_clISt17integral_constantIbLb1EESV_IbLb0EEEEDaSR_SS_EUlSR_E_NS1_11comp_targetILNS1_3genE9ELNS1_11target_archE1100ELNS1_3gpuE3ELNS1_3repE0EEENS1_30default_config_static_selectorELNS0_4arch9wavefront6targetE1EEEvT1_
		.amdhsa_group_segment_fixed_size 0
		.amdhsa_private_segment_fixed_size 0
		.amdhsa_kernarg_size 112
		.amdhsa_user_sgpr_count 6
		.amdhsa_user_sgpr_private_segment_buffer 1
		.amdhsa_user_sgpr_dispatch_ptr 0
		.amdhsa_user_sgpr_queue_ptr 0
		.amdhsa_user_sgpr_kernarg_segment_ptr 1
		.amdhsa_user_sgpr_dispatch_id 0
		.amdhsa_user_sgpr_flat_scratch_init 0
		.amdhsa_user_sgpr_kernarg_preload_length 0
		.amdhsa_user_sgpr_kernarg_preload_offset 0
		.amdhsa_user_sgpr_private_segment_size 0
		.amdhsa_uses_dynamic_stack 0
		.amdhsa_system_sgpr_private_segment_wavefront_offset 0
		.amdhsa_system_sgpr_workgroup_id_x 1
		.amdhsa_system_sgpr_workgroup_id_y 0
		.amdhsa_system_sgpr_workgroup_id_z 0
		.amdhsa_system_sgpr_workgroup_info 0
		.amdhsa_system_vgpr_workitem_id 0
		.amdhsa_next_free_vgpr 1
		.amdhsa_next_free_sgpr 0
		.amdhsa_accum_offset 4
		.amdhsa_reserve_vcc 0
		.amdhsa_reserve_flat_scratch 0
		.amdhsa_float_round_mode_32 0
		.amdhsa_float_round_mode_16_64 0
		.amdhsa_float_denorm_mode_32 3
		.amdhsa_float_denorm_mode_16_64 3
		.amdhsa_dx10_clamp 1
		.amdhsa_ieee_mode 1
		.amdhsa_fp16_overflow 0
		.amdhsa_tg_split 0
		.amdhsa_exception_fp_ieee_invalid_op 0
		.amdhsa_exception_fp_denorm_src 0
		.amdhsa_exception_fp_ieee_div_zero 0
		.amdhsa_exception_fp_ieee_overflow 0
		.amdhsa_exception_fp_ieee_underflow 0
		.amdhsa_exception_fp_ieee_inexact 0
		.amdhsa_exception_int_div_zero 0
	.end_amdhsa_kernel
	.section	.text._ZN7rocprim17ROCPRIM_400000_NS6detail17trampoline_kernelINS0_14default_configENS1_27scan_by_key_config_selectorIiiEEZZNS1_16scan_by_key_implILNS1_25lookback_scan_determinismE0ELb1ES3_N6thrust23THRUST_200600_302600_NS10device_ptrIiEESB_SB_iNS9_4plusIvEENS9_8equal_toIvEEiEE10hipError_tPvRmT2_T3_T4_T5_mT6_T7_P12ihipStream_tbENKUlT_T0_E_clISt17integral_constantIbLb1EESV_IbLb0EEEEDaSR_SS_EUlSR_E_NS1_11comp_targetILNS1_3genE9ELNS1_11target_archE1100ELNS1_3gpuE3ELNS1_3repE0EEENS1_30default_config_static_selectorELNS0_4arch9wavefront6targetE1EEEvT1_,"axG",@progbits,_ZN7rocprim17ROCPRIM_400000_NS6detail17trampoline_kernelINS0_14default_configENS1_27scan_by_key_config_selectorIiiEEZZNS1_16scan_by_key_implILNS1_25lookback_scan_determinismE0ELb1ES3_N6thrust23THRUST_200600_302600_NS10device_ptrIiEESB_SB_iNS9_4plusIvEENS9_8equal_toIvEEiEE10hipError_tPvRmT2_T3_T4_T5_mT6_T7_P12ihipStream_tbENKUlT_T0_E_clISt17integral_constantIbLb1EESV_IbLb0EEEEDaSR_SS_EUlSR_E_NS1_11comp_targetILNS1_3genE9ELNS1_11target_archE1100ELNS1_3gpuE3ELNS1_3repE0EEENS1_30default_config_static_selectorELNS0_4arch9wavefront6targetE1EEEvT1_,comdat
.Lfunc_end2258:
	.size	_ZN7rocprim17ROCPRIM_400000_NS6detail17trampoline_kernelINS0_14default_configENS1_27scan_by_key_config_selectorIiiEEZZNS1_16scan_by_key_implILNS1_25lookback_scan_determinismE0ELb1ES3_N6thrust23THRUST_200600_302600_NS10device_ptrIiEESB_SB_iNS9_4plusIvEENS9_8equal_toIvEEiEE10hipError_tPvRmT2_T3_T4_T5_mT6_T7_P12ihipStream_tbENKUlT_T0_E_clISt17integral_constantIbLb1EESV_IbLb0EEEEDaSR_SS_EUlSR_E_NS1_11comp_targetILNS1_3genE9ELNS1_11target_archE1100ELNS1_3gpuE3ELNS1_3repE0EEENS1_30default_config_static_selectorELNS0_4arch9wavefront6targetE1EEEvT1_, .Lfunc_end2258-_ZN7rocprim17ROCPRIM_400000_NS6detail17trampoline_kernelINS0_14default_configENS1_27scan_by_key_config_selectorIiiEEZZNS1_16scan_by_key_implILNS1_25lookback_scan_determinismE0ELb1ES3_N6thrust23THRUST_200600_302600_NS10device_ptrIiEESB_SB_iNS9_4plusIvEENS9_8equal_toIvEEiEE10hipError_tPvRmT2_T3_T4_T5_mT6_T7_P12ihipStream_tbENKUlT_T0_E_clISt17integral_constantIbLb1EESV_IbLb0EEEEDaSR_SS_EUlSR_E_NS1_11comp_targetILNS1_3genE9ELNS1_11target_archE1100ELNS1_3gpuE3ELNS1_3repE0EEENS1_30default_config_static_selectorELNS0_4arch9wavefront6targetE1EEEvT1_
                                        ; -- End function
	.section	.AMDGPU.csdata,"",@progbits
; Kernel info:
; codeLenInByte = 0
; NumSgprs: 4
; NumVgprs: 0
; NumAgprs: 0
; TotalNumVgprs: 0
; ScratchSize: 0
; MemoryBound: 0
; FloatMode: 240
; IeeeMode: 1
; LDSByteSize: 0 bytes/workgroup (compile time only)
; SGPRBlocks: 0
; VGPRBlocks: 0
; NumSGPRsForWavesPerEU: 4
; NumVGPRsForWavesPerEU: 1
; AccumOffset: 4
; Occupancy: 8
; WaveLimiterHint : 0
; COMPUTE_PGM_RSRC2:SCRATCH_EN: 0
; COMPUTE_PGM_RSRC2:USER_SGPR: 6
; COMPUTE_PGM_RSRC2:TRAP_HANDLER: 0
; COMPUTE_PGM_RSRC2:TGID_X_EN: 1
; COMPUTE_PGM_RSRC2:TGID_Y_EN: 0
; COMPUTE_PGM_RSRC2:TGID_Z_EN: 0
; COMPUTE_PGM_RSRC2:TIDIG_COMP_CNT: 0
; COMPUTE_PGM_RSRC3_GFX90A:ACCUM_OFFSET: 0
; COMPUTE_PGM_RSRC3_GFX90A:TG_SPLIT: 0
	.section	.text._ZN7rocprim17ROCPRIM_400000_NS6detail17trampoline_kernelINS0_14default_configENS1_27scan_by_key_config_selectorIiiEEZZNS1_16scan_by_key_implILNS1_25lookback_scan_determinismE0ELb1ES3_N6thrust23THRUST_200600_302600_NS10device_ptrIiEESB_SB_iNS9_4plusIvEENS9_8equal_toIvEEiEE10hipError_tPvRmT2_T3_T4_T5_mT6_T7_P12ihipStream_tbENKUlT_T0_E_clISt17integral_constantIbLb1EESV_IbLb0EEEEDaSR_SS_EUlSR_E_NS1_11comp_targetILNS1_3genE8ELNS1_11target_archE1030ELNS1_3gpuE2ELNS1_3repE0EEENS1_30default_config_static_selectorELNS0_4arch9wavefront6targetE1EEEvT1_,"axG",@progbits,_ZN7rocprim17ROCPRIM_400000_NS6detail17trampoline_kernelINS0_14default_configENS1_27scan_by_key_config_selectorIiiEEZZNS1_16scan_by_key_implILNS1_25lookback_scan_determinismE0ELb1ES3_N6thrust23THRUST_200600_302600_NS10device_ptrIiEESB_SB_iNS9_4plusIvEENS9_8equal_toIvEEiEE10hipError_tPvRmT2_T3_T4_T5_mT6_T7_P12ihipStream_tbENKUlT_T0_E_clISt17integral_constantIbLb1EESV_IbLb0EEEEDaSR_SS_EUlSR_E_NS1_11comp_targetILNS1_3genE8ELNS1_11target_archE1030ELNS1_3gpuE2ELNS1_3repE0EEENS1_30default_config_static_selectorELNS0_4arch9wavefront6targetE1EEEvT1_,comdat
	.protected	_ZN7rocprim17ROCPRIM_400000_NS6detail17trampoline_kernelINS0_14default_configENS1_27scan_by_key_config_selectorIiiEEZZNS1_16scan_by_key_implILNS1_25lookback_scan_determinismE0ELb1ES3_N6thrust23THRUST_200600_302600_NS10device_ptrIiEESB_SB_iNS9_4plusIvEENS9_8equal_toIvEEiEE10hipError_tPvRmT2_T3_T4_T5_mT6_T7_P12ihipStream_tbENKUlT_T0_E_clISt17integral_constantIbLb1EESV_IbLb0EEEEDaSR_SS_EUlSR_E_NS1_11comp_targetILNS1_3genE8ELNS1_11target_archE1030ELNS1_3gpuE2ELNS1_3repE0EEENS1_30default_config_static_selectorELNS0_4arch9wavefront6targetE1EEEvT1_ ; -- Begin function _ZN7rocprim17ROCPRIM_400000_NS6detail17trampoline_kernelINS0_14default_configENS1_27scan_by_key_config_selectorIiiEEZZNS1_16scan_by_key_implILNS1_25lookback_scan_determinismE0ELb1ES3_N6thrust23THRUST_200600_302600_NS10device_ptrIiEESB_SB_iNS9_4plusIvEENS9_8equal_toIvEEiEE10hipError_tPvRmT2_T3_T4_T5_mT6_T7_P12ihipStream_tbENKUlT_T0_E_clISt17integral_constantIbLb1EESV_IbLb0EEEEDaSR_SS_EUlSR_E_NS1_11comp_targetILNS1_3genE8ELNS1_11target_archE1030ELNS1_3gpuE2ELNS1_3repE0EEENS1_30default_config_static_selectorELNS0_4arch9wavefront6targetE1EEEvT1_
	.globl	_ZN7rocprim17ROCPRIM_400000_NS6detail17trampoline_kernelINS0_14default_configENS1_27scan_by_key_config_selectorIiiEEZZNS1_16scan_by_key_implILNS1_25lookback_scan_determinismE0ELb1ES3_N6thrust23THRUST_200600_302600_NS10device_ptrIiEESB_SB_iNS9_4plusIvEENS9_8equal_toIvEEiEE10hipError_tPvRmT2_T3_T4_T5_mT6_T7_P12ihipStream_tbENKUlT_T0_E_clISt17integral_constantIbLb1EESV_IbLb0EEEEDaSR_SS_EUlSR_E_NS1_11comp_targetILNS1_3genE8ELNS1_11target_archE1030ELNS1_3gpuE2ELNS1_3repE0EEENS1_30default_config_static_selectorELNS0_4arch9wavefront6targetE1EEEvT1_
	.p2align	8
	.type	_ZN7rocprim17ROCPRIM_400000_NS6detail17trampoline_kernelINS0_14default_configENS1_27scan_by_key_config_selectorIiiEEZZNS1_16scan_by_key_implILNS1_25lookback_scan_determinismE0ELb1ES3_N6thrust23THRUST_200600_302600_NS10device_ptrIiEESB_SB_iNS9_4plusIvEENS9_8equal_toIvEEiEE10hipError_tPvRmT2_T3_T4_T5_mT6_T7_P12ihipStream_tbENKUlT_T0_E_clISt17integral_constantIbLb1EESV_IbLb0EEEEDaSR_SS_EUlSR_E_NS1_11comp_targetILNS1_3genE8ELNS1_11target_archE1030ELNS1_3gpuE2ELNS1_3repE0EEENS1_30default_config_static_selectorELNS0_4arch9wavefront6targetE1EEEvT1_,@function
_ZN7rocprim17ROCPRIM_400000_NS6detail17trampoline_kernelINS0_14default_configENS1_27scan_by_key_config_selectorIiiEEZZNS1_16scan_by_key_implILNS1_25lookback_scan_determinismE0ELb1ES3_N6thrust23THRUST_200600_302600_NS10device_ptrIiEESB_SB_iNS9_4plusIvEENS9_8equal_toIvEEiEE10hipError_tPvRmT2_T3_T4_T5_mT6_T7_P12ihipStream_tbENKUlT_T0_E_clISt17integral_constantIbLb1EESV_IbLb0EEEEDaSR_SS_EUlSR_E_NS1_11comp_targetILNS1_3genE8ELNS1_11target_archE1030ELNS1_3gpuE2ELNS1_3repE0EEENS1_30default_config_static_selectorELNS0_4arch9wavefront6targetE1EEEvT1_: ; @_ZN7rocprim17ROCPRIM_400000_NS6detail17trampoline_kernelINS0_14default_configENS1_27scan_by_key_config_selectorIiiEEZZNS1_16scan_by_key_implILNS1_25lookback_scan_determinismE0ELb1ES3_N6thrust23THRUST_200600_302600_NS10device_ptrIiEESB_SB_iNS9_4plusIvEENS9_8equal_toIvEEiEE10hipError_tPvRmT2_T3_T4_T5_mT6_T7_P12ihipStream_tbENKUlT_T0_E_clISt17integral_constantIbLb1EESV_IbLb0EEEEDaSR_SS_EUlSR_E_NS1_11comp_targetILNS1_3genE8ELNS1_11target_archE1030ELNS1_3gpuE2ELNS1_3repE0EEENS1_30default_config_static_selectorELNS0_4arch9wavefront6targetE1EEEvT1_
; %bb.0:
	.section	.rodata,"a",@progbits
	.p2align	6, 0x0
	.amdhsa_kernel _ZN7rocprim17ROCPRIM_400000_NS6detail17trampoline_kernelINS0_14default_configENS1_27scan_by_key_config_selectorIiiEEZZNS1_16scan_by_key_implILNS1_25lookback_scan_determinismE0ELb1ES3_N6thrust23THRUST_200600_302600_NS10device_ptrIiEESB_SB_iNS9_4plusIvEENS9_8equal_toIvEEiEE10hipError_tPvRmT2_T3_T4_T5_mT6_T7_P12ihipStream_tbENKUlT_T0_E_clISt17integral_constantIbLb1EESV_IbLb0EEEEDaSR_SS_EUlSR_E_NS1_11comp_targetILNS1_3genE8ELNS1_11target_archE1030ELNS1_3gpuE2ELNS1_3repE0EEENS1_30default_config_static_selectorELNS0_4arch9wavefront6targetE1EEEvT1_
		.amdhsa_group_segment_fixed_size 0
		.amdhsa_private_segment_fixed_size 0
		.amdhsa_kernarg_size 112
		.amdhsa_user_sgpr_count 6
		.amdhsa_user_sgpr_private_segment_buffer 1
		.amdhsa_user_sgpr_dispatch_ptr 0
		.amdhsa_user_sgpr_queue_ptr 0
		.amdhsa_user_sgpr_kernarg_segment_ptr 1
		.amdhsa_user_sgpr_dispatch_id 0
		.amdhsa_user_sgpr_flat_scratch_init 0
		.amdhsa_user_sgpr_kernarg_preload_length 0
		.amdhsa_user_sgpr_kernarg_preload_offset 0
		.amdhsa_user_sgpr_private_segment_size 0
		.amdhsa_uses_dynamic_stack 0
		.amdhsa_system_sgpr_private_segment_wavefront_offset 0
		.amdhsa_system_sgpr_workgroup_id_x 1
		.amdhsa_system_sgpr_workgroup_id_y 0
		.amdhsa_system_sgpr_workgroup_id_z 0
		.amdhsa_system_sgpr_workgroup_info 0
		.amdhsa_system_vgpr_workitem_id 0
		.amdhsa_next_free_vgpr 1
		.amdhsa_next_free_sgpr 0
		.amdhsa_accum_offset 4
		.amdhsa_reserve_vcc 0
		.amdhsa_reserve_flat_scratch 0
		.amdhsa_float_round_mode_32 0
		.amdhsa_float_round_mode_16_64 0
		.amdhsa_float_denorm_mode_32 3
		.amdhsa_float_denorm_mode_16_64 3
		.amdhsa_dx10_clamp 1
		.amdhsa_ieee_mode 1
		.amdhsa_fp16_overflow 0
		.amdhsa_tg_split 0
		.amdhsa_exception_fp_ieee_invalid_op 0
		.amdhsa_exception_fp_denorm_src 0
		.amdhsa_exception_fp_ieee_div_zero 0
		.amdhsa_exception_fp_ieee_overflow 0
		.amdhsa_exception_fp_ieee_underflow 0
		.amdhsa_exception_fp_ieee_inexact 0
		.amdhsa_exception_int_div_zero 0
	.end_amdhsa_kernel
	.section	.text._ZN7rocprim17ROCPRIM_400000_NS6detail17trampoline_kernelINS0_14default_configENS1_27scan_by_key_config_selectorIiiEEZZNS1_16scan_by_key_implILNS1_25lookback_scan_determinismE0ELb1ES3_N6thrust23THRUST_200600_302600_NS10device_ptrIiEESB_SB_iNS9_4plusIvEENS9_8equal_toIvEEiEE10hipError_tPvRmT2_T3_T4_T5_mT6_T7_P12ihipStream_tbENKUlT_T0_E_clISt17integral_constantIbLb1EESV_IbLb0EEEEDaSR_SS_EUlSR_E_NS1_11comp_targetILNS1_3genE8ELNS1_11target_archE1030ELNS1_3gpuE2ELNS1_3repE0EEENS1_30default_config_static_selectorELNS0_4arch9wavefront6targetE1EEEvT1_,"axG",@progbits,_ZN7rocprim17ROCPRIM_400000_NS6detail17trampoline_kernelINS0_14default_configENS1_27scan_by_key_config_selectorIiiEEZZNS1_16scan_by_key_implILNS1_25lookback_scan_determinismE0ELb1ES3_N6thrust23THRUST_200600_302600_NS10device_ptrIiEESB_SB_iNS9_4plusIvEENS9_8equal_toIvEEiEE10hipError_tPvRmT2_T3_T4_T5_mT6_T7_P12ihipStream_tbENKUlT_T0_E_clISt17integral_constantIbLb1EESV_IbLb0EEEEDaSR_SS_EUlSR_E_NS1_11comp_targetILNS1_3genE8ELNS1_11target_archE1030ELNS1_3gpuE2ELNS1_3repE0EEENS1_30default_config_static_selectorELNS0_4arch9wavefront6targetE1EEEvT1_,comdat
.Lfunc_end2259:
	.size	_ZN7rocprim17ROCPRIM_400000_NS6detail17trampoline_kernelINS0_14default_configENS1_27scan_by_key_config_selectorIiiEEZZNS1_16scan_by_key_implILNS1_25lookback_scan_determinismE0ELb1ES3_N6thrust23THRUST_200600_302600_NS10device_ptrIiEESB_SB_iNS9_4plusIvEENS9_8equal_toIvEEiEE10hipError_tPvRmT2_T3_T4_T5_mT6_T7_P12ihipStream_tbENKUlT_T0_E_clISt17integral_constantIbLb1EESV_IbLb0EEEEDaSR_SS_EUlSR_E_NS1_11comp_targetILNS1_3genE8ELNS1_11target_archE1030ELNS1_3gpuE2ELNS1_3repE0EEENS1_30default_config_static_selectorELNS0_4arch9wavefront6targetE1EEEvT1_, .Lfunc_end2259-_ZN7rocprim17ROCPRIM_400000_NS6detail17trampoline_kernelINS0_14default_configENS1_27scan_by_key_config_selectorIiiEEZZNS1_16scan_by_key_implILNS1_25lookback_scan_determinismE0ELb1ES3_N6thrust23THRUST_200600_302600_NS10device_ptrIiEESB_SB_iNS9_4plusIvEENS9_8equal_toIvEEiEE10hipError_tPvRmT2_T3_T4_T5_mT6_T7_P12ihipStream_tbENKUlT_T0_E_clISt17integral_constantIbLb1EESV_IbLb0EEEEDaSR_SS_EUlSR_E_NS1_11comp_targetILNS1_3genE8ELNS1_11target_archE1030ELNS1_3gpuE2ELNS1_3repE0EEENS1_30default_config_static_selectorELNS0_4arch9wavefront6targetE1EEEvT1_
                                        ; -- End function
	.section	.AMDGPU.csdata,"",@progbits
; Kernel info:
; codeLenInByte = 0
; NumSgprs: 4
; NumVgprs: 0
; NumAgprs: 0
; TotalNumVgprs: 0
; ScratchSize: 0
; MemoryBound: 0
; FloatMode: 240
; IeeeMode: 1
; LDSByteSize: 0 bytes/workgroup (compile time only)
; SGPRBlocks: 0
; VGPRBlocks: 0
; NumSGPRsForWavesPerEU: 4
; NumVGPRsForWavesPerEU: 1
; AccumOffset: 4
; Occupancy: 8
; WaveLimiterHint : 0
; COMPUTE_PGM_RSRC2:SCRATCH_EN: 0
; COMPUTE_PGM_RSRC2:USER_SGPR: 6
; COMPUTE_PGM_RSRC2:TRAP_HANDLER: 0
; COMPUTE_PGM_RSRC2:TGID_X_EN: 1
; COMPUTE_PGM_RSRC2:TGID_Y_EN: 0
; COMPUTE_PGM_RSRC2:TGID_Z_EN: 0
; COMPUTE_PGM_RSRC2:TIDIG_COMP_CNT: 0
; COMPUTE_PGM_RSRC3_GFX90A:ACCUM_OFFSET: 0
; COMPUTE_PGM_RSRC3_GFX90A:TG_SPLIT: 0
	.section	.text._ZN7rocprim17ROCPRIM_400000_NS6detail17trampoline_kernelINS0_14default_configENS1_27scan_by_key_config_selectorIiiEEZZNS1_16scan_by_key_implILNS1_25lookback_scan_determinismE0ELb1ES3_N6thrust23THRUST_200600_302600_NS10device_ptrIiEESB_SB_iNS9_4plusIvEENS9_8equal_toIvEEiEE10hipError_tPvRmT2_T3_T4_T5_mT6_T7_P12ihipStream_tbENKUlT_T0_E_clISt17integral_constantIbLb0EESV_IbLb1EEEEDaSR_SS_EUlSR_E_NS1_11comp_targetILNS1_3genE0ELNS1_11target_archE4294967295ELNS1_3gpuE0ELNS1_3repE0EEENS1_30default_config_static_selectorELNS0_4arch9wavefront6targetE1EEEvT1_,"axG",@progbits,_ZN7rocprim17ROCPRIM_400000_NS6detail17trampoline_kernelINS0_14default_configENS1_27scan_by_key_config_selectorIiiEEZZNS1_16scan_by_key_implILNS1_25lookback_scan_determinismE0ELb1ES3_N6thrust23THRUST_200600_302600_NS10device_ptrIiEESB_SB_iNS9_4plusIvEENS9_8equal_toIvEEiEE10hipError_tPvRmT2_T3_T4_T5_mT6_T7_P12ihipStream_tbENKUlT_T0_E_clISt17integral_constantIbLb0EESV_IbLb1EEEEDaSR_SS_EUlSR_E_NS1_11comp_targetILNS1_3genE0ELNS1_11target_archE4294967295ELNS1_3gpuE0ELNS1_3repE0EEENS1_30default_config_static_selectorELNS0_4arch9wavefront6targetE1EEEvT1_,comdat
	.protected	_ZN7rocprim17ROCPRIM_400000_NS6detail17trampoline_kernelINS0_14default_configENS1_27scan_by_key_config_selectorIiiEEZZNS1_16scan_by_key_implILNS1_25lookback_scan_determinismE0ELb1ES3_N6thrust23THRUST_200600_302600_NS10device_ptrIiEESB_SB_iNS9_4plusIvEENS9_8equal_toIvEEiEE10hipError_tPvRmT2_T3_T4_T5_mT6_T7_P12ihipStream_tbENKUlT_T0_E_clISt17integral_constantIbLb0EESV_IbLb1EEEEDaSR_SS_EUlSR_E_NS1_11comp_targetILNS1_3genE0ELNS1_11target_archE4294967295ELNS1_3gpuE0ELNS1_3repE0EEENS1_30default_config_static_selectorELNS0_4arch9wavefront6targetE1EEEvT1_ ; -- Begin function _ZN7rocprim17ROCPRIM_400000_NS6detail17trampoline_kernelINS0_14default_configENS1_27scan_by_key_config_selectorIiiEEZZNS1_16scan_by_key_implILNS1_25lookback_scan_determinismE0ELb1ES3_N6thrust23THRUST_200600_302600_NS10device_ptrIiEESB_SB_iNS9_4plusIvEENS9_8equal_toIvEEiEE10hipError_tPvRmT2_T3_T4_T5_mT6_T7_P12ihipStream_tbENKUlT_T0_E_clISt17integral_constantIbLb0EESV_IbLb1EEEEDaSR_SS_EUlSR_E_NS1_11comp_targetILNS1_3genE0ELNS1_11target_archE4294967295ELNS1_3gpuE0ELNS1_3repE0EEENS1_30default_config_static_selectorELNS0_4arch9wavefront6targetE1EEEvT1_
	.globl	_ZN7rocprim17ROCPRIM_400000_NS6detail17trampoline_kernelINS0_14default_configENS1_27scan_by_key_config_selectorIiiEEZZNS1_16scan_by_key_implILNS1_25lookback_scan_determinismE0ELb1ES3_N6thrust23THRUST_200600_302600_NS10device_ptrIiEESB_SB_iNS9_4plusIvEENS9_8equal_toIvEEiEE10hipError_tPvRmT2_T3_T4_T5_mT6_T7_P12ihipStream_tbENKUlT_T0_E_clISt17integral_constantIbLb0EESV_IbLb1EEEEDaSR_SS_EUlSR_E_NS1_11comp_targetILNS1_3genE0ELNS1_11target_archE4294967295ELNS1_3gpuE0ELNS1_3repE0EEENS1_30default_config_static_selectorELNS0_4arch9wavefront6targetE1EEEvT1_
	.p2align	8
	.type	_ZN7rocprim17ROCPRIM_400000_NS6detail17trampoline_kernelINS0_14default_configENS1_27scan_by_key_config_selectorIiiEEZZNS1_16scan_by_key_implILNS1_25lookback_scan_determinismE0ELb1ES3_N6thrust23THRUST_200600_302600_NS10device_ptrIiEESB_SB_iNS9_4plusIvEENS9_8equal_toIvEEiEE10hipError_tPvRmT2_T3_T4_T5_mT6_T7_P12ihipStream_tbENKUlT_T0_E_clISt17integral_constantIbLb0EESV_IbLb1EEEEDaSR_SS_EUlSR_E_NS1_11comp_targetILNS1_3genE0ELNS1_11target_archE4294967295ELNS1_3gpuE0ELNS1_3repE0EEENS1_30default_config_static_selectorELNS0_4arch9wavefront6targetE1EEEvT1_,@function
_ZN7rocprim17ROCPRIM_400000_NS6detail17trampoline_kernelINS0_14default_configENS1_27scan_by_key_config_selectorIiiEEZZNS1_16scan_by_key_implILNS1_25lookback_scan_determinismE0ELb1ES3_N6thrust23THRUST_200600_302600_NS10device_ptrIiEESB_SB_iNS9_4plusIvEENS9_8equal_toIvEEiEE10hipError_tPvRmT2_T3_T4_T5_mT6_T7_P12ihipStream_tbENKUlT_T0_E_clISt17integral_constantIbLb0EESV_IbLb1EEEEDaSR_SS_EUlSR_E_NS1_11comp_targetILNS1_3genE0ELNS1_11target_archE4294967295ELNS1_3gpuE0ELNS1_3repE0EEENS1_30default_config_static_selectorELNS0_4arch9wavefront6targetE1EEEvT1_: ; @_ZN7rocprim17ROCPRIM_400000_NS6detail17trampoline_kernelINS0_14default_configENS1_27scan_by_key_config_selectorIiiEEZZNS1_16scan_by_key_implILNS1_25lookback_scan_determinismE0ELb1ES3_N6thrust23THRUST_200600_302600_NS10device_ptrIiEESB_SB_iNS9_4plusIvEENS9_8equal_toIvEEiEE10hipError_tPvRmT2_T3_T4_T5_mT6_T7_P12ihipStream_tbENKUlT_T0_E_clISt17integral_constantIbLb0EESV_IbLb1EEEEDaSR_SS_EUlSR_E_NS1_11comp_targetILNS1_3genE0ELNS1_11target_archE4294967295ELNS1_3gpuE0ELNS1_3repE0EEENS1_30default_config_static_selectorELNS0_4arch9wavefront6targetE1EEEvT1_
; %bb.0:
	.section	.rodata,"a",@progbits
	.p2align	6, 0x0
	.amdhsa_kernel _ZN7rocprim17ROCPRIM_400000_NS6detail17trampoline_kernelINS0_14default_configENS1_27scan_by_key_config_selectorIiiEEZZNS1_16scan_by_key_implILNS1_25lookback_scan_determinismE0ELb1ES3_N6thrust23THRUST_200600_302600_NS10device_ptrIiEESB_SB_iNS9_4plusIvEENS9_8equal_toIvEEiEE10hipError_tPvRmT2_T3_T4_T5_mT6_T7_P12ihipStream_tbENKUlT_T0_E_clISt17integral_constantIbLb0EESV_IbLb1EEEEDaSR_SS_EUlSR_E_NS1_11comp_targetILNS1_3genE0ELNS1_11target_archE4294967295ELNS1_3gpuE0ELNS1_3repE0EEENS1_30default_config_static_selectorELNS0_4arch9wavefront6targetE1EEEvT1_
		.amdhsa_group_segment_fixed_size 0
		.amdhsa_private_segment_fixed_size 0
		.amdhsa_kernarg_size 112
		.amdhsa_user_sgpr_count 6
		.amdhsa_user_sgpr_private_segment_buffer 1
		.amdhsa_user_sgpr_dispatch_ptr 0
		.amdhsa_user_sgpr_queue_ptr 0
		.amdhsa_user_sgpr_kernarg_segment_ptr 1
		.amdhsa_user_sgpr_dispatch_id 0
		.amdhsa_user_sgpr_flat_scratch_init 0
		.amdhsa_user_sgpr_kernarg_preload_length 0
		.amdhsa_user_sgpr_kernarg_preload_offset 0
		.amdhsa_user_sgpr_private_segment_size 0
		.amdhsa_uses_dynamic_stack 0
		.amdhsa_system_sgpr_private_segment_wavefront_offset 0
		.amdhsa_system_sgpr_workgroup_id_x 1
		.amdhsa_system_sgpr_workgroup_id_y 0
		.amdhsa_system_sgpr_workgroup_id_z 0
		.amdhsa_system_sgpr_workgroup_info 0
		.amdhsa_system_vgpr_workitem_id 0
		.amdhsa_next_free_vgpr 1
		.amdhsa_next_free_sgpr 0
		.amdhsa_accum_offset 4
		.amdhsa_reserve_vcc 0
		.amdhsa_reserve_flat_scratch 0
		.amdhsa_float_round_mode_32 0
		.amdhsa_float_round_mode_16_64 0
		.amdhsa_float_denorm_mode_32 3
		.amdhsa_float_denorm_mode_16_64 3
		.amdhsa_dx10_clamp 1
		.amdhsa_ieee_mode 1
		.amdhsa_fp16_overflow 0
		.amdhsa_tg_split 0
		.amdhsa_exception_fp_ieee_invalid_op 0
		.amdhsa_exception_fp_denorm_src 0
		.amdhsa_exception_fp_ieee_div_zero 0
		.amdhsa_exception_fp_ieee_overflow 0
		.amdhsa_exception_fp_ieee_underflow 0
		.amdhsa_exception_fp_ieee_inexact 0
		.amdhsa_exception_int_div_zero 0
	.end_amdhsa_kernel
	.section	.text._ZN7rocprim17ROCPRIM_400000_NS6detail17trampoline_kernelINS0_14default_configENS1_27scan_by_key_config_selectorIiiEEZZNS1_16scan_by_key_implILNS1_25lookback_scan_determinismE0ELb1ES3_N6thrust23THRUST_200600_302600_NS10device_ptrIiEESB_SB_iNS9_4plusIvEENS9_8equal_toIvEEiEE10hipError_tPvRmT2_T3_T4_T5_mT6_T7_P12ihipStream_tbENKUlT_T0_E_clISt17integral_constantIbLb0EESV_IbLb1EEEEDaSR_SS_EUlSR_E_NS1_11comp_targetILNS1_3genE0ELNS1_11target_archE4294967295ELNS1_3gpuE0ELNS1_3repE0EEENS1_30default_config_static_selectorELNS0_4arch9wavefront6targetE1EEEvT1_,"axG",@progbits,_ZN7rocprim17ROCPRIM_400000_NS6detail17trampoline_kernelINS0_14default_configENS1_27scan_by_key_config_selectorIiiEEZZNS1_16scan_by_key_implILNS1_25lookback_scan_determinismE0ELb1ES3_N6thrust23THRUST_200600_302600_NS10device_ptrIiEESB_SB_iNS9_4plusIvEENS9_8equal_toIvEEiEE10hipError_tPvRmT2_T3_T4_T5_mT6_T7_P12ihipStream_tbENKUlT_T0_E_clISt17integral_constantIbLb0EESV_IbLb1EEEEDaSR_SS_EUlSR_E_NS1_11comp_targetILNS1_3genE0ELNS1_11target_archE4294967295ELNS1_3gpuE0ELNS1_3repE0EEENS1_30default_config_static_selectorELNS0_4arch9wavefront6targetE1EEEvT1_,comdat
.Lfunc_end2260:
	.size	_ZN7rocprim17ROCPRIM_400000_NS6detail17trampoline_kernelINS0_14default_configENS1_27scan_by_key_config_selectorIiiEEZZNS1_16scan_by_key_implILNS1_25lookback_scan_determinismE0ELb1ES3_N6thrust23THRUST_200600_302600_NS10device_ptrIiEESB_SB_iNS9_4plusIvEENS9_8equal_toIvEEiEE10hipError_tPvRmT2_T3_T4_T5_mT6_T7_P12ihipStream_tbENKUlT_T0_E_clISt17integral_constantIbLb0EESV_IbLb1EEEEDaSR_SS_EUlSR_E_NS1_11comp_targetILNS1_3genE0ELNS1_11target_archE4294967295ELNS1_3gpuE0ELNS1_3repE0EEENS1_30default_config_static_selectorELNS0_4arch9wavefront6targetE1EEEvT1_, .Lfunc_end2260-_ZN7rocprim17ROCPRIM_400000_NS6detail17trampoline_kernelINS0_14default_configENS1_27scan_by_key_config_selectorIiiEEZZNS1_16scan_by_key_implILNS1_25lookback_scan_determinismE0ELb1ES3_N6thrust23THRUST_200600_302600_NS10device_ptrIiEESB_SB_iNS9_4plusIvEENS9_8equal_toIvEEiEE10hipError_tPvRmT2_T3_T4_T5_mT6_T7_P12ihipStream_tbENKUlT_T0_E_clISt17integral_constantIbLb0EESV_IbLb1EEEEDaSR_SS_EUlSR_E_NS1_11comp_targetILNS1_3genE0ELNS1_11target_archE4294967295ELNS1_3gpuE0ELNS1_3repE0EEENS1_30default_config_static_selectorELNS0_4arch9wavefront6targetE1EEEvT1_
                                        ; -- End function
	.section	.AMDGPU.csdata,"",@progbits
; Kernel info:
; codeLenInByte = 0
; NumSgprs: 4
; NumVgprs: 0
; NumAgprs: 0
; TotalNumVgprs: 0
; ScratchSize: 0
; MemoryBound: 0
; FloatMode: 240
; IeeeMode: 1
; LDSByteSize: 0 bytes/workgroup (compile time only)
; SGPRBlocks: 0
; VGPRBlocks: 0
; NumSGPRsForWavesPerEU: 4
; NumVGPRsForWavesPerEU: 1
; AccumOffset: 4
; Occupancy: 8
; WaveLimiterHint : 0
; COMPUTE_PGM_RSRC2:SCRATCH_EN: 0
; COMPUTE_PGM_RSRC2:USER_SGPR: 6
; COMPUTE_PGM_RSRC2:TRAP_HANDLER: 0
; COMPUTE_PGM_RSRC2:TGID_X_EN: 1
; COMPUTE_PGM_RSRC2:TGID_Y_EN: 0
; COMPUTE_PGM_RSRC2:TGID_Z_EN: 0
; COMPUTE_PGM_RSRC2:TIDIG_COMP_CNT: 0
; COMPUTE_PGM_RSRC3_GFX90A:ACCUM_OFFSET: 0
; COMPUTE_PGM_RSRC3_GFX90A:TG_SPLIT: 0
	.section	.text._ZN7rocprim17ROCPRIM_400000_NS6detail17trampoline_kernelINS0_14default_configENS1_27scan_by_key_config_selectorIiiEEZZNS1_16scan_by_key_implILNS1_25lookback_scan_determinismE0ELb1ES3_N6thrust23THRUST_200600_302600_NS10device_ptrIiEESB_SB_iNS9_4plusIvEENS9_8equal_toIvEEiEE10hipError_tPvRmT2_T3_T4_T5_mT6_T7_P12ihipStream_tbENKUlT_T0_E_clISt17integral_constantIbLb0EESV_IbLb1EEEEDaSR_SS_EUlSR_E_NS1_11comp_targetILNS1_3genE10ELNS1_11target_archE1201ELNS1_3gpuE5ELNS1_3repE0EEENS1_30default_config_static_selectorELNS0_4arch9wavefront6targetE1EEEvT1_,"axG",@progbits,_ZN7rocprim17ROCPRIM_400000_NS6detail17trampoline_kernelINS0_14default_configENS1_27scan_by_key_config_selectorIiiEEZZNS1_16scan_by_key_implILNS1_25lookback_scan_determinismE0ELb1ES3_N6thrust23THRUST_200600_302600_NS10device_ptrIiEESB_SB_iNS9_4plusIvEENS9_8equal_toIvEEiEE10hipError_tPvRmT2_T3_T4_T5_mT6_T7_P12ihipStream_tbENKUlT_T0_E_clISt17integral_constantIbLb0EESV_IbLb1EEEEDaSR_SS_EUlSR_E_NS1_11comp_targetILNS1_3genE10ELNS1_11target_archE1201ELNS1_3gpuE5ELNS1_3repE0EEENS1_30default_config_static_selectorELNS0_4arch9wavefront6targetE1EEEvT1_,comdat
	.protected	_ZN7rocprim17ROCPRIM_400000_NS6detail17trampoline_kernelINS0_14default_configENS1_27scan_by_key_config_selectorIiiEEZZNS1_16scan_by_key_implILNS1_25lookback_scan_determinismE0ELb1ES3_N6thrust23THRUST_200600_302600_NS10device_ptrIiEESB_SB_iNS9_4plusIvEENS9_8equal_toIvEEiEE10hipError_tPvRmT2_T3_T4_T5_mT6_T7_P12ihipStream_tbENKUlT_T0_E_clISt17integral_constantIbLb0EESV_IbLb1EEEEDaSR_SS_EUlSR_E_NS1_11comp_targetILNS1_3genE10ELNS1_11target_archE1201ELNS1_3gpuE5ELNS1_3repE0EEENS1_30default_config_static_selectorELNS0_4arch9wavefront6targetE1EEEvT1_ ; -- Begin function _ZN7rocprim17ROCPRIM_400000_NS6detail17trampoline_kernelINS0_14default_configENS1_27scan_by_key_config_selectorIiiEEZZNS1_16scan_by_key_implILNS1_25lookback_scan_determinismE0ELb1ES3_N6thrust23THRUST_200600_302600_NS10device_ptrIiEESB_SB_iNS9_4plusIvEENS9_8equal_toIvEEiEE10hipError_tPvRmT2_T3_T4_T5_mT6_T7_P12ihipStream_tbENKUlT_T0_E_clISt17integral_constantIbLb0EESV_IbLb1EEEEDaSR_SS_EUlSR_E_NS1_11comp_targetILNS1_3genE10ELNS1_11target_archE1201ELNS1_3gpuE5ELNS1_3repE0EEENS1_30default_config_static_selectorELNS0_4arch9wavefront6targetE1EEEvT1_
	.globl	_ZN7rocprim17ROCPRIM_400000_NS6detail17trampoline_kernelINS0_14default_configENS1_27scan_by_key_config_selectorIiiEEZZNS1_16scan_by_key_implILNS1_25lookback_scan_determinismE0ELb1ES3_N6thrust23THRUST_200600_302600_NS10device_ptrIiEESB_SB_iNS9_4plusIvEENS9_8equal_toIvEEiEE10hipError_tPvRmT2_T3_T4_T5_mT6_T7_P12ihipStream_tbENKUlT_T0_E_clISt17integral_constantIbLb0EESV_IbLb1EEEEDaSR_SS_EUlSR_E_NS1_11comp_targetILNS1_3genE10ELNS1_11target_archE1201ELNS1_3gpuE5ELNS1_3repE0EEENS1_30default_config_static_selectorELNS0_4arch9wavefront6targetE1EEEvT1_
	.p2align	8
	.type	_ZN7rocprim17ROCPRIM_400000_NS6detail17trampoline_kernelINS0_14default_configENS1_27scan_by_key_config_selectorIiiEEZZNS1_16scan_by_key_implILNS1_25lookback_scan_determinismE0ELb1ES3_N6thrust23THRUST_200600_302600_NS10device_ptrIiEESB_SB_iNS9_4plusIvEENS9_8equal_toIvEEiEE10hipError_tPvRmT2_T3_T4_T5_mT6_T7_P12ihipStream_tbENKUlT_T0_E_clISt17integral_constantIbLb0EESV_IbLb1EEEEDaSR_SS_EUlSR_E_NS1_11comp_targetILNS1_3genE10ELNS1_11target_archE1201ELNS1_3gpuE5ELNS1_3repE0EEENS1_30default_config_static_selectorELNS0_4arch9wavefront6targetE1EEEvT1_,@function
_ZN7rocprim17ROCPRIM_400000_NS6detail17trampoline_kernelINS0_14default_configENS1_27scan_by_key_config_selectorIiiEEZZNS1_16scan_by_key_implILNS1_25lookback_scan_determinismE0ELb1ES3_N6thrust23THRUST_200600_302600_NS10device_ptrIiEESB_SB_iNS9_4plusIvEENS9_8equal_toIvEEiEE10hipError_tPvRmT2_T3_T4_T5_mT6_T7_P12ihipStream_tbENKUlT_T0_E_clISt17integral_constantIbLb0EESV_IbLb1EEEEDaSR_SS_EUlSR_E_NS1_11comp_targetILNS1_3genE10ELNS1_11target_archE1201ELNS1_3gpuE5ELNS1_3repE0EEENS1_30default_config_static_selectorELNS0_4arch9wavefront6targetE1EEEvT1_: ; @_ZN7rocprim17ROCPRIM_400000_NS6detail17trampoline_kernelINS0_14default_configENS1_27scan_by_key_config_selectorIiiEEZZNS1_16scan_by_key_implILNS1_25lookback_scan_determinismE0ELb1ES3_N6thrust23THRUST_200600_302600_NS10device_ptrIiEESB_SB_iNS9_4plusIvEENS9_8equal_toIvEEiEE10hipError_tPvRmT2_T3_T4_T5_mT6_T7_P12ihipStream_tbENKUlT_T0_E_clISt17integral_constantIbLb0EESV_IbLb1EEEEDaSR_SS_EUlSR_E_NS1_11comp_targetILNS1_3genE10ELNS1_11target_archE1201ELNS1_3gpuE5ELNS1_3repE0EEENS1_30default_config_static_selectorELNS0_4arch9wavefront6targetE1EEEvT1_
; %bb.0:
	.section	.rodata,"a",@progbits
	.p2align	6, 0x0
	.amdhsa_kernel _ZN7rocprim17ROCPRIM_400000_NS6detail17trampoline_kernelINS0_14default_configENS1_27scan_by_key_config_selectorIiiEEZZNS1_16scan_by_key_implILNS1_25lookback_scan_determinismE0ELb1ES3_N6thrust23THRUST_200600_302600_NS10device_ptrIiEESB_SB_iNS9_4plusIvEENS9_8equal_toIvEEiEE10hipError_tPvRmT2_T3_T4_T5_mT6_T7_P12ihipStream_tbENKUlT_T0_E_clISt17integral_constantIbLb0EESV_IbLb1EEEEDaSR_SS_EUlSR_E_NS1_11comp_targetILNS1_3genE10ELNS1_11target_archE1201ELNS1_3gpuE5ELNS1_3repE0EEENS1_30default_config_static_selectorELNS0_4arch9wavefront6targetE1EEEvT1_
		.amdhsa_group_segment_fixed_size 0
		.amdhsa_private_segment_fixed_size 0
		.amdhsa_kernarg_size 112
		.amdhsa_user_sgpr_count 6
		.amdhsa_user_sgpr_private_segment_buffer 1
		.amdhsa_user_sgpr_dispatch_ptr 0
		.amdhsa_user_sgpr_queue_ptr 0
		.amdhsa_user_sgpr_kernarg_segment_ptr 1
		.amdhsa_user_sgpr_dispatch_id 0
		.amdhsa_user_sgpr_flat_scratch_init 0
		.amdhsa_user_sgpr_kernarg_preload_length 0
		.amdhsa_user_sgpr_kernarg_preload_offset 0
		.amdhsa_user_sgpr_private_segment_size 0
		.amdhsa_uses_dynamic_stack 0
		.amdhsa_system_sgpr_private_segment_wavefront_offset 0
		.amdhsa_system_sgpr_workgroup_id_x 1
		.amdhsa_system_sgpr_workgroup_id_y 0
		.amdhsa_system_sgpr_workgroup_id_z 0
		.amdhsa_system_sgpr_workgroup_info 0
		.amdhsa_system_vgpr_workitem_id 0
		.amdhsa_next_free_vgpr 1
		.amdhsa_next_free_sgpr 0
		.amdhsa_accum_offset 4
		.amdhsa_reserve_vcc 0
		.amdhsa_reserve_flat_scratch 0
		.amdhsa_float_round_mode_32 0
		.amdhsa_float_round_mode_16_64 0
		.amdhsa_float_denorm_mode_32 3
		.amdhsa_float_denorm_mode_16_64 3
		.amdhsa_dx10_clamp 1
		.amdhsa_ieee_mode 1
		.amdhsa_fp16_overflow 0
		.amdhsa_tg_split 0
		.amdhsa_exception_fp_ieee_invalid_op 0
		.amdhsa_exception_fp_denorm_src 0
		.amdhsa_exception_fp_ieee_div_zero 0
		.amdhsa_exception_fp_ieee_overflow 0
		.amdhsa_exception_fp_ieee_underflow 0
		.amdhsa_exception_fp_ieee_inexact 0
		.amdhsa_exception_int_div_zero 0
	.end_amdhsa_kernel
	.section	.text._ZN7rocprim17ROCPRIM_400000_NS6detail17trampoline_kernelINS0_14default_configENS1_27scan_by_key_config_selectorIiiEEZZNS1_16scan_by_key_implILNS1_25lookback_scan_determinismE0ELb1ES3_N6thrust23THRUST_200600_302600_NS10device_ptrIiEESB_SB_iNS9_4plusIvEENS9_8equal_toIvEEiEE10hipError_tPvRmT2_T3_T4_T5_mT6_T7_P12ihipStream_tbENKUlT_T0_E_clISt17integral_constantIbLb0EESV_IbLb1EEEEDaSR_SS_EUlSR_E_NS1_11comp_targetILNS1_3genE10ELNS1_11target_archE1201ELNS1_3gpuE5ELNS1_3repE0EEENS1_30default_config_static_selectorELNS0_4arch9wavefront6targetE1EEEvT1_,"axG",@progbits,_ZN7rocprim17ROCPRIM_400000_NS6detail17trampoline_kernelINS0_14default_configENS1_27scan_by_key_config_selectorIiiEEZZNS1_16scan_by_key_implILNS1_25lookback_scan_determinismE0ELb1ES3_N6thrust23THRUST_200600_302600_NS10device_ptrIiEESB_SB_iNS9_4plusIvEENS9_8equal_toIvEEiEE10hipError_tPvRmT2_T3_T4_T5_mT6_T7_P12ihipStream_tbENKUlT_T0_E_clISt17integral_constantIbLb0EESV_IbLb1EEEEDaSR_SS_EUlSR_E_NS1_11comp_targetILNS1_3genE10ELNS1_11target_archE1201ELNS1_3gpuE5ELNS1_3repE0EEENS1_30default_config_static_selectorELNS0_4arch9wavefront6targetE1EEEvT1_,comdat
.Lfunc_end2261:
	.size	_ZN7rocprim17ROCPRIM_400000_NS6detail17trampoline_kernelINS0_14default_configENS1_27scan_by_key_config_selectorIiiEEZZNS1_16scan_by_key_implILNS1_25lookback_scan_determinismE0ELb1ES3_N6thrust23THRUST_200600_302600_NS10device_ptrIiEESB_SB_iNS9_4plusIvEENS9_8equal_toIvEEiEE10hipError_tPvRmT2_T3_T4_T5_mT6_T7_P12ihipStream_tbENKUlT_T0_E_clISt17integral_constantIbLb0EESV_IbLb1EEEEDaSR_SS_EUlSR_E_NS1_11comp_targetILNS1_3genE10ELNS1_11target_archE1201ELNS1_3gpuE5ELNS1_3repE0EEENS1_30default_config_static_selectorELNS0_4arch9wavefront6targetE1EEEvT1_, .Lfunc_end2261-_ZN7rocprim17ROCPRIM_400000_NS6detail17trampoline_kernelINS0_14default_configENS1_27scan_by_key_config_selectorIiiEEZZNS1_16scan_by_key_implILNS1_25lookback_scan_determinismE0ELb1ES3_N6thrust23THRUST_200600_302600_NS10device_ptrIiEESB_SB_iNS9_4plusIvEENS9_8equal_toIvEEiEE10hipError_tPvRmT2_T3_T4_T5_mT6_T7_P12ihipStream_tbENKUlT_T0_E_clISt17integral_constantIbLb0EESV_IbLb1EEEEDaSR_SS_EUlSR_E_NS1_11comp_targetILNS1_3genE10ELNS1_11target_archE1201ELNS1_3gpuE5ELNS1_3repE0EEENS1_30default_config_static_selectorELNS0_4arch9wavefront6targetE1EEEvT1_
                                        ; -- End function
	.section	.AMDGPU.csdata,"",@progbits
; Kernel info:
; codeLenInByte = 0
; NumSgprs: 4
; NumVgprs: 0
; NumAgprs: 0
; TotalNumVgprs: 0
; ScratchSize: 0
; MemoryBound: 0
; FloatMode: 240
; IeeeMode: 1
; LDSByteSize: 0 bytes/workgroup (compile time only)
; SGPRBlocks: 0
; VGPRBlocks: 0
; NumSGPRsForWavesPerEU: 4
; NumVGPRsForWavesPerEU: 1
; AccumOffset: 4
; Occupancy: 8
; WaveLimiterHint : 0
; COMPUTE_PGM_RSRC2:SCRATCH_EN: 0
; COMPUTE_PGM_RSRC2:USER_SGPR: 6
; COMPUTE_PGM_RSRC2:TRAP_HANDLER: 0
; COMPUTE_PGM_RSRC2:TGID_X_EN: 1
; COMPUTE_PGM_RSRC2:TGID_Y_EN: 0
; COMPUTE_PGM_RSRC2:TGID_Z_EN: 0
; COMPUTE_PGM_RSRC2:TIDIG_COMP_CNT: 0
; COMPUTE_PGM_RSRC3_GFX90A:ACCUM_OFFSET: 0
; COMPUTE_PGM_RSRC3_GFX90A:TG_SPLIT: 0
	.section	.text._ZN7rocprim17ROCPRIM_400000_NS6detail17trampoline_kernelINS0_14default_configENS1_27scan_by_key_config_selectorIiiEEZZNS1_16scan_by_key_implILNS1_25lookback_scan_determinismE0ELb1ES3_N6thrust23THRUST_200600_302600_NS10device_ptrIiEESB_SB_iNS9_4plusIvEENS9_8equal_toIvEEiEE10hipError_tPvRmT2_T3_T4_T5_mT6_T7_P12ihipStream_tbENKUlT_T0_E_clISt17integral_constantIbLb0EESV_IbLb1EEEEDaSR_SS_EUlSR_E_NS1_11comp_targetILNS1_3genE5ELNS1_11target_archE942ELNS1_3gpuE9ELNS1_3repE0EEENS1_30default_config_static_selectorELNS0_4arch9wavefront6targetE1EEEvT1_,"axG",@progbits,_ZN7rocprim17ROCPRIM_400000_NS6detail17trampoline_kernelINS0_14default_configENS1_27scan_by_key_config_selectorIiiEEZZNS1_16scan_by_key_implILNS1_25lookback_scan_determinismE0ELb1ES3_N6thrust23THRUST_200600_302600_NS10device_ptrIiEESB_SB_iNS9_4plusIvEENS9_8equal_toIvEEiEE10hipError_tPvRmT2_T3_T4_T5_mT6_T7_P12ihipStream_tbENKUlT_T0_E_clISt17integral_constantIbLb0EESV_IbLb1EEEEDaSR_SS_EUlSR_E_NS1_11comp_targetILNS1_3genE5ELNS1_11target_archE942ELNS1_3gpuE9ELNS1_3repE0EEENS1_30default_config_static_selectorELNS0_4arch9wavefront6targetE1EEEvT1_,comdat
	.protected	_ZN7rocprim17ROCPRIM_400000_NS6detail17trampoline_kernelINS0_14default_configENS1_27scan_by_key_config_selectorIiiEEZZNS1_16scan_by_key_implILNS1_25lookback_scan_determinismE0ELb1ES3_N6thrust23THRUST_200600_302600_NS10device_ptrIiEESB_SB_iNS9_4plusIvEENS9_8equal_toIvEEiEE10hipError_tPvRmT2_T3_T4_T5_mT6_T7_P12ihipStream_tbENKUlT_T0_E_clISt17integral_constantIbLb0EESV_IbLb1EEEEDaSR_SS_EUlSR_E_NS1_11comp_targetILNS1_3genE5ELNS1_11target_archE942ELNS1_3gpuE9ELNS1_3repE0EEENS1_30default_config_static_selectorELNS0_4arch9wavefront6targetE1EEEvT1_ ; -- Begin function _ZN7rocprim17ROCPRIM_400000_NS6detail17trampoline_kernelINS0_14default_configENS1_27scan_by_key_config_selectorIiiEEZZNS1_16scan_by_key_implILNS1_25lookback_scan_determinismE0ELb1ES3_N6thrust23THRUST_200600_302600_NS10device_ptrIiEESB_SB_iNS9_4plusIvEENS9_8equal_toIvEEiEE10hipError_tPvRmT2_T3_T4_T5_mT6_T7_P12ihipStream_tbENKUlT_T0_E_clISt17integral_constantIbLb0EESV_IbLb1EEEEDaSR_SS_EUlSR_E_NS1_11comp_targetILNS1_3genE5ELNS1_11target_archE942ELNS1_3gpuE9ELNS1_3repE0EEENS1_30default_config_static_selectorELNS0_4arch9wavefront6targetE1EEEvT1_
	.globl	_ZN7rocprim17ROCPRIM_400000_NS6detail17trampoline_kernelINS0_14default_configENS1_27scan_by_key_config_selectorIiiEEZZNS1_16scan_by_key_implILNS1_25lookback_scan_determinismE0ELb1ES3_N6thrust23THRUST_200600_302600_NS10device_ptrIiEESB_SB_iNS9_4plusIvEENS9_8equal_toIvEEiEE10hipError_tPvRmT2_T3_T4_T5_mT6_T7_P12ihipStream_tbENKUlT_T0_E_clISt17integral_constantIbLb0EESV_IbLb1EEEEDaSR_SS_EUlSR_E_NS1_11comp_targetILNS1_3genE5ELNS1_11target_archE942ELNS1_3gpuE9ELNS1_3repE0EEENS1_30default_config_static_selectorELNS0_4arch9wavefront6targetE1EEEvT1_
	.p2align	8
	.type	_ZN7rocprim17ROCPRIM_400000_NS6detail17trampoline_kernelINS0_14default_configENS1_27scan_by_key_config_selectorIiiEEZZNS1_16scan_by_key_implILNS1_25lookback_scan_determinismE0ELb1ES3_N6thrust23THRUST_200600_302600_NS10device_ptrIiEESB_SB_iNS9_4plusIvEENS9_8equal_toIvEEiEE10hipError_tPvRmT2_T3_T4_T5_mT6_T7_P12ihipStream_tbENKUlT_T0_E_clISt17integral_constantIbLb0EESV_IbLb1EEEEDaSR_SS_EUlSR_E_NS1_11comp_targetILNS1_3genE5ELNS1_11target_archE942ELNS1_3gpuE9ELNS1_3repE0EEENS1_30default_config_static_selectorELNS0_4arch9wavefront6targetE1EEEvT1_,@function
_ZN7rocprim17ROCPRIM_400000_NS6detail17trampoline_kernelINS0_14default_configENS1_27scan_by_key_config_selectorIiiEEZZNS1_16scan_by_key_implILNS1_25lookback_scan_determinismE0ELb1ES3_N6thrust23THRUST_200600_302600_NS10device_ptrIiEESB_SB_iNS9_4plusIvEENS9_8equal_toIvEEiEE10hipError_tPvRmT2_T3_T4_T5_mT6_T7_P12ihipStream_tbENKUlT_T0_E_clISt17integral_constantIbLb0EESV_IbLb1EEEEDaSR_SS_EUlSR_E_NS1_11comp_targetILNS1_3genE5ELNS1_11target_archE942ELNS1_3gpuE9ELNS1_3repE0EEENS1_30default_config_static_selectorELNS0_4arch9wavefront6targetE1EEEvT1_: ; @_ZN7rocprim17ROCPRIM_400000_NS6detail17trampoline_kernelINS0_14default_configENS1_27scan_by_key_config_selectorIiiEEZZNS1_16scan_by_key_implILNS1_25lookback_scan_determinismE0ELb1ES3_N6thrust23THRUST_200600_302600_NS10device_ptrIiEESB_SB_iNS9_4plusIvEENS9_8equal_toIvEEiEE10hipError_tPvRmT2_T3_T4_T5_mT6_T7_P12ihipStream_tbENKUlT_T0_E_clISt17integral_constantIbLb0EESV_IbLb1EEEEDaSR_SS_EUlSR_E_NS1_11comp_targetILNS1_3genE5ELNS1_11target_archE942ELNS1_3gpuE9ELNS1_3repE0EEENS1_30default_config_static_selectorELNS0_4arch9wavefront6targetE1EEEvT1_
; %bb.0:
	.section	.rodata,"a",@progbits
	.p2align	6, 0x0
	.amdhsa_kernel _ZN7rocprim17ROCPRIM_400000_NS6detail17trampoline_kernelINS0_14default_configENS1_27scan_by_key_config_selectorIiiEEZZNS1_16scan_by_key_implILNS1_25lookback_scan_determinismE0ELb1ES3_N6thrust23THRUST_200600_302600_NS10device_ptrIiEESB_SB_iNS9_4plusIvEENS9_8equal_toIvEEiEE10hipError_tPvRmT2_T3_T4_T5_mT6_T7_P12ihipStream_tbENKUlT_T0_E_clISt17integral_constantIbLb0EESV_IbLb1EEEEDaSR_SS_EUlSR_E_NS1_11comp_targetILNS1_3genE5ELNS1_11target_archE942ELNS1_3gpuE9ELNS1_3repE0EEENS1_30default_config_static_selectorELNS0_4arch9wavefront6targetE1EEEvT1_
		.amdhsa_group_segment_fixed_size 0
		.amdhsa_private_segment_fixed_size 0
		.amdhsa_kernarg_size 112
		.amdhsa_user_sgpr_count 6
		.amdhsa_user_sgpr_private_segment_buffer 1
		.amdhsa_user_sgpr_dispatch_ptr 0
		.amdhsa_user_sgpr_queue_ptr 0
		.amdhsa_user_sgpr_kernarg_segment_ptr 1
		.amdhsa_user_sgpr_dispatch_id 0
		.amdhsa_user_sgpr_flat_scratch_init 0
		.amdhsa_user_sgpr_kernarg_preload_length 0
		.amdhsa_user_sgpr_kernarg_preload_offset 0
		.amdhsa_user_sgpr_private_segment_size 0
		.amdhsa_uses_dynamic_stack 0
		.amdhsa_system_sgpr_private_segment_wavefront_offset 0
		.amdhsa_system_sgpr_workgroup_id_x 1
		.amdhsa_system_sgpr_workgroup_id_y 0
		.amdhsa_system_sgpr_workgroup_id_z 0
		.amdhsa_system_sgpr_workgroup_info 0
		.amdhsa_system_vgpr_workitem_id 0
		.amdhsa_next_free_vgpr 1
		.amdhsa_next_free_sgpr 0
		.amdhsa_accum_offset 4
		.amdhsa_reserve_vcc 0
		.amdhsa_reserve_flat_scratch 0
		.amdhsa_float_round_mode_32 0
		.amdhsa_float_round_mode_16_64 0
		.amdhsa_float_denorm_mode_32 3
		.amdhsa_float_denorm_mode_16_64 3
		.amdhsa_dx10_clamp 1
		.amdhsa_ieee_mode 1
		.amdhsa_fp16_overflow 0
		.amdhsa_tg_split 0
		.amdhsa_exception_fp_ieee_invalid_op 0
		.amdhsa_exception_fp_denorm_src 0
		.amdhsa_exception_fp_ieee_div_zero 0
		.amdhsa_exception_fp_ieee_overflow 0
		.amdhsa_exception_fp_ieee_underflow 0
		.amdhsa_exception_fp_ieee_inexact 0
		.amdhsa_exception_int_div_zero 0
	.end_amdhsa_kernel
	.section	.text._ZN7rocprim17ROCPRIM_400000_NS6detail17trampoline_kernelINS0_14default_configENS1_27scan_by_key_config_selectorIiiEEZZNS1_16scan_by_key_implILNS1_25lookback_scan_determinismE0ELb1ES3_N6thrust23THRUST_200600_302600_NS10device_ptrIiEESB_SB_iNS9_4plusIvEENS9_8equal_toIvEEiEE10hipError_tPvRmT2_T3_T4_T5_mT6_T7_P12ihipStream_tbENKUlT_T0_E_clISt17integral_constantIbLb0EESV_IbLb1EEEEDaSR_SS_EUlSR_E_NS1_11comp_targetILNS1_3genE5ELNS1_11target_archE942ELNS1_3gpuE9ELNS1_3repE0EEENS1_30default_config_static_selectorELNS0_4arch9wavefront6targetE1EEEvT1_,"axG",@progbits,_ZN7rocprim17ROCPRIM_400000_NS6detail17trampoline_kernelINS0_14default_configENS1_27scan_by_key_config_selectorIiiEEZZNS1_16scan_by_key_implILNS1_25lookback_scan_determinismE0ELb1ES3_N6thrust23THRUST_200600_302600_NS10device_ptrIiEESB_SB_iNS9_4plusIvEENS9_8equal_toIvEEiEE10hipError_tPvRmT2_T3_T4_T5_mT6_T7_P12ihipStream_tbENKUlT_T0_E_clISt17integral_constantIbLb0EESV_IbLb1EEEEDaSR_SS_EUlSR_E_NS1_11comp_targetILNS1_3genE5ELNS1_11target_archE942ELNS1_3gpuE9ELNS1_3repE0EEENS1_30default_config_static_selectorELNS0_4arch9wavefront6targetE1EEEvT1_,comdat
.Lfunc_end2262:
	.size	_ZN7rocprim17ROCPRIM_400000_NS6detail17trampoline_kernelINS0_14default_configENS1_27scan_by_key_config_selectorIiiEEZZNS1_16scan_by_key_implILNS1_25lookback_scan_determinismE0ELb1ES3_N6thrust23THRUST_200600_302600_NS10device_ptrIiEESB_SB_iNS9_4plusIvEENS9_8equal_toIvEEiEE10hipError_tPvRmT2_T3_T4_T5_mT6_T7_P12ihipStream_tbENKUlT_T0_E_clISt17integral_constantIbLb0EESV_IbLb1EEEEDaSR_SS_EUlSR_E_NS1_11comp_targetILNS1_3genE5ELNS1_11target_archE942ELNS1_3gpuE9ELNS1_3repE0EEENS1_30default_config_static_selectorELNS0_4arch9wavefront6targetE1EEEvT1_, .Lfunc_end2262-_ZN7rocprim17ROCPRIM_400000_NS6detail17trampoline_kernelINS0_14default_configENS1_27scan_by_key_config_selectorIiiEEZZNS1_16scan_by_key_implILNS1_25lookback_scan_determinismE0ELb1ES3_N6thrust23THRUST_200600_302600_NS10device_ptrIiEESB_SB_iNS9_4plusIvEENS9_8equal_toIvEEiEE10hipError_tPvRmT2_T3_T4_T5_mT6_T7_P12ihipStream_tbENKUlT_T0_E_clISt17integral_constantIbLb0EESV_IbLb1EEEEDaSR_SS_EUlSR_E_NS1_11comp_targetILNS1_3genE5ELNS1_11target_archE942ELNS1_3gpuE9ELNS1_3repE0EEENS1_30default_config_static_selectorELNS0_4arch9wavefront6targetE1EEEvT1_
                                        ; -- End function
	.section	.AMDGPU.csdata,"",@progbits
; Kernel info:
; codeLenInByte = 0
; NumSgprs: 4
; NumVgprs: 0
; NumAgprs: 0
; TotalNumVgprs: 0
; ScratchSize: 0
; MemoryBound: 0
; FloatMode: 240
; IeeeMode: 1
; LDSByteSize: 0 bytes/workgroup (compile time only)
; SGPRBlocks: 0
; VGPRBlocks: 0
; NumSGPRsForWavesPerEU: 4
; NumVGPRsForWavesPerEU: 1
; AccumOffset: 4
; Occupancy: 8
; WaveLimiterHint : 0
; COMPUTE_PGM_RSRC2:SCRATCH_EN: 0
; COMPUTE_PGM_RSRC2:USER_SGPR: 6
; COMPUTE_PGM_RSRC2:TRAP_HANDLER: 0
; COMPUTE_PGM_RSRC2:TGID_X_EN: 1
; COMPUTE_PGM_RSRC2:TGID_Y_EN: 0
; COMPUTE_PGM_RSRC2:TGID_Z_EN: 0
; COMPUTE_PGM_RSRC2:TIDIG_COMP_CNT: 0
; COMPUTE_PGM_RSRC3_GFX90A:ACCUM_OFFSET: 0
; COMPUTE_PGM_RSRC3_GFX90A:TG_SPLIT: 0
	.section	.text._ZN7rocprim17ROCPRIM_400000_NS6detail17trampoline_kernelINS0_14default_configENS1_27scan_by_key_config_selectorIiiEEZZNS1_16scan_by_key_implILNS1_25lookback_scan_determinismE0ELb1ES3_N6thrust23THRUST_200600_302600_NS10device_ptrIiEESB_SB_iNS9_4plusIvEENS9_8equal_toIvEEiEE10hipError_tPvRmT2_T3_T4_T5_mT6_T7_P12ihipStream_tbENKUlT_T0_E_clISt17integral_constantIbLb0EESV_IbLb1EEEEDaSR_SS_EUlSR_E_NS1_11comp_targetILNS1_3genE4ELNS1_11target_archE910ELNS1_3gpuE8ELNS1_3repE0EEENS1_30default_config_static_selectorELNS0_4arch9wavefront6targetE1EEEvT1_,"axG",@progbits,_ZN7rocprim17ROCPRIM_400000_NS6detail17trampoline_kernelINS0_14default_configENS1_27scan_by_key_config_selectorIiiEEZZNS1_16scan_by_key_implILNS1_25lookback_scan_determinismE0ELb1ES3_N6thrust23THRUST_200600_302600_NS10device_ptrIiEESB_SB_iNS9_4plusIvEENS9_8equal_toIvEEiEE10hipError_tPvRmT2_T3_T4_T5_mT6_T7_P12ihipStream_tbENKUlT_T0_E_clISt17integral_constantIbLb0EESV_IbLb1EEEEDaSR_SS_EUlSR_E_NS1_11comp_targetILNS1_3genE4ELNS1_11target_archE910ELNS1_3gpuE8ELNS1_3repE0EEENS1_30default_config_static_selectorELNS0_4arch9wavefront6targetE1EEEvT1_,comdat
	.protected	_ZN7rocprim17ROCPRIM_400000_NS6detail17trampoline_kernelINS0_14default_configENS1_27scan_by_key_config_selectorIiiEEZZNS1_16scan_by_key_implILNS1_25lookback_scan_determinismE0ELb1ES3_N6thrust23THRUST_200600_302600_NS10device_ptrIiEESB_SB_iNS9_4plusIvEENS9_8equal_toIvEEiEE10hipError_tPvRmT2_T3_T4_T5_mT6_T7_P12ihipStream_tbENKUlT_T0_E_clISt17integral_constantIbLb0EESV_IbLb1EEEEDaSR_SS_EUlSR_E_NS1_11comp_targetILNS1_3genE4ELNS1_11target_archE910ELNS1_3gpuE8ELNS1_3repE0EEENS1_30default_config_static_selectorELNS0_4arch9wavefront6targetE1EEEvT1_ ; -- Begin function _ZN7rocprim17ROCPRIM_400000_NS6detail17trampoline_kernelINS0_14default_configENS1_27scan_by_key_config_selectorIiiEEZZNS1_16scan_by_key_implILNS1_25lookback_scan_determinismE0ELb1ES3_N6thrust23THRUST_200600_302600_NS10device_ptrIiEESB_SB_iNS9_4plusIvEENS9_8equal_toIvEEiEE10hipError_tPvRmT2_T3_T4_T5_mT6_T7_P12ihipStream_tbENKUlT_T0_E_clISt17integral_constantIbLb0EESV_IbLb1EEEEDaSR_SS_EUlSR_E_NS1_11comp_targetILNS1_3genE4ELNS1_11target_archE910ELNS1_3gpuE8ELNS1_3repE0EEENS1_30default_config_static_selectorELNS0_4arch9wavefront6targetE1EEEvT1_
	.globl	_ZN7rocprim17ROCPRIM_400000_NS6detail17trampoline_kernelINS0_14default_configENS1_27scan_by_key_config_selectorIiiEEZZNS1_16scan_by_key_implILNS1_25lookback_scan_determinismE0ELb1ES3_N6thrust23THRUST_200600_302600_NS10device_ptrIiEESB_SB_iNS9_4plusIvEENS9_8equal_toIvEEiEE10hipError_tPvRmT2_T3_T4_T5_mT6_T7_P12ihipStream_tbENKUlT_T0_E_clISt17integral_constantIbLb0EESV_IbLb1EEEEDaSR_SS_EUlSR_E_NS1_11comp_targetILNS1_3genE4ELNS1_11target_archE910ELNS1_3gpuE8ELNS1_3repE0EEENS1_30default_config_static_selectorELNS0_4arch9wavefront6targetE1EEEvT1_
	.p2align	8
	.type	_ZN7rocprim17ROCPRIM_400000_NS6detail17trampoline_kernelINS0_14default_configENS1_27scan_by_key_config_selectorIiiEEZZNS1_16scan_by_key_implILNS1_25lookback_scan_determinismE0ELb1ES3_N6thrust23THRUST_200600_302600_NS10device_ptrIiEESB_SB_iNS9_4plusIvEENS9_8equal_toIvEEiEE10hipError_tPvRmT2_T3_T4_T5_mT6_T7_P12ihipStream_tbENKUlT_T0_E_clISt17integral_constantIbLb0EESV_IbLb1EEEEDaSR_SS_EUlSR_E_NS1_11comp_targetILNS1_3genE4ELNS1_11target_archE910ELNS1_3gpuE8ELNS1_3repE0EEENS1_30default_config_static_selectorELNS0_4arch9wavefront6targetE1EEEvT1_,@function
_ZN7rocprim17ROCPRIM_400000_NS6detail17trampoline_kernelINS0_14default_configENS1_27scan_by_key_config_selectorIiiEEZZNS1_16scan_by_key_implILNS1_25lookback_scan_determinismE0ELb1ES3_N6thrust23THRUST_200600_302600_NS10device_ptrIiEESB_SB_iNS9_4plusIvEENS9_8equal_toIvEEiEE10hipError_tPvRmT2_T3_T4_T5_mT6_T7_P12ihipStream_tbENKUlT_T0_E_clISt17integral_constantIbLb0EESV_IbLb1EEEEDaSR_SS_EUlSR_E_NS1_11comp_targetILNS1_3genE4ELNS1_11target_archE910ELNS1_3gpuE8ELNS1_3repE0EEENS1_30default_config_static_selectorELNS0_4arch9wavefront6targetE1EEEvT1_: ; @_ZN7rocprim17ROCPRIM_400000_NS6detail17trampoline_kernelINS0_14default_configENS1_27scan_by_key_config_selectorIiiEEZZNS1_16scan_by_key_implILNS1_25lookback_scan_determinismE0ELb1ES3_N6thrust23THRUST_200600_302600_NS10device_ptrIiEESB_SB_iNS9_4plusIvEENS9_8equal_toIvEEiEE10hipError_tPvRmT2_T3_T4_T5_mT6_T7_P12ihipStream_tbENKUlT_T0_E_clISt17integral_constantIbLb0EESV_IbLb1EEEEDaSR_SS_EUlSR_E_NS1_11comp_targetILNS1_3genE4ELNS1_11target_archE910ELNS1_3gpuE8ELNS1_3repE0EEENS1_30default_config_static_selectorELNS0_4arch9wavefront6targetE1EEEvT1_
; %bb.0:
	s_load_dword s54, s[4:5], 0x20
	s_load_dwordx4 s[44:47], s[4:5], 0x28
	s_load_dwordx2 s[52:53], s[4:5], 0x38
	v_cmp_eq_u32_e64 s[0:1], 0, v0
	s_and_saveexec_b64 s[2:3], s[0:1]
	s_cbranch_execz .LBB2263_4
; %bb.1:
	s_mov_b64 s[8:9], exec
	v_mbcnt_lo_u32_b32 v1, s8, 0
	v_mbcnt_hi_u32_b32 v1, s9, v1
	v_cmp_eq_u32_e32 vcc, 0, v1
                                        ; implicit-def: $vgpr2
	s_and_saveexec_b64 s[6:7], vcc
	s_cbranch_execz .LBB2263_3
; %bb.2:
	s_load_dwordx2 s[10:11], s[4:5], 0x68
	s_bcnt1_i32_b64 s8, s[8:9]
	v_mov_b32_e32 v2, 0
	v_mov_b32_e32 v3, s8
	s_waitcnt lgkmcnt(0)
	global_atomic_add v2, v2, v3, s[10:11] glc
.LBB2263_3:
	s_or_b64 exec, exec, s[6:7]
	s_waitcnt vmcnt(0)
	v_readfirstlane_b32 s6, v2
	v_add_u32_e32 v1, s6, v1
	v_mov_b32_e32 v2, 0
	ds_write_b32 v2, v1
.LBB2263_4:
	s_or_b64 exec, exec, s[2:3]
	s_load_dwordx8 s[36:43], s[4:5], 0x0
	s_load_dword s2, s[4:5], 0x40
	s_load_dwordx4 s[48:51], s[4:5], 0x48
	v_mov_b32_e32 v3, 0
	s_waitcnt lgkmcnt(0)
	s_lshl_b64 s[34:35], s[38:39], 2
	s_barrier
	ds_read_b32 v4, v3
	s_add_u32 s3, s36, s34
	s_addc_u32 s4, s37, s35
	s_add_u32 s5, s40, s34
	s_mul_i32 s7, s53, s2
	s_mul_hi_u32 s8, s52, s2
	s_addc_u32 s6, s41, s35
	s_add_i32 s7, s8, s7
	s_movk_i32 s8, 0xe00
	s_waitcnt lgkmcnt(0)
	v_mul_lo_u32 v2, v4, s8
	v_lshlrev_b64 v[38:39], 2, v[2:3]
	v_mov_b32_e32 v1, s4
	v_add_co_u32_e32 v42, vcc, s3, v38
	v_addc_co_u32_e32 v43, vcc, v1, v39, vcc
	v_mov_b32_e32 v2, s6
	v_add_co_u32_e32 v1, vcc, s5, v38
	s_mul_i32 s2, s52, s2
	v_addc_co_u32_e32 v48, vcc, v2, v39, vcc
	v_mov_b32_e32 v3, s7
	v_add_co_u32_e32 v2, vcc, s2, v4
	s_add_u32 s4, s48, -1
	v_addc_co_u32_e32 v3, vcc, 0, v3, vcc
	s_addc_u32 s5, s49, -1
	v_cmp_le_u64_e64 s[2:3], s[4:5], v[2:3]
	v_readfirstlane_b32 s47, v4
	s_mov_b64 s[12:13], -1
	s_and_b64 vcc, exec, s[2:3]
	s_mul_i32 s33, s4, 0xfffff200
	s_barrier
	s_barrier
	s_cbranch_vccz .LBB2263_80
; %bb.5:
	flat_load_dword v13, v[42:43]
	s_add_i32 s40, s33, s46
	v_cmp_gt_u32_e32 vcc, s40, v0
	s_waitcnt vmcnt(0) lgkmcnt(0)
	v_mov_b32_e32 v14, v13
	s_and_saveexec_b64 s[6:7], vcc
	s_cbranch_execz .LBB2263_7
; %bb.6:
	v_lshlrev_b32_e32 v2, 2, v0
	v_add_co_u32_e64 v2, s[4:5], v42, v2
	v_addc_co_u32_e64 v3, s[4:5], 0, v43, s[4:5]
	flat_load_dword v14, v[2:3]
.LBB2263_7:
	s_or_b64 exec, exec, s[6:7]
	v_or_b32_e32 v2, 0x100, v0
	v_cmp_gt_u32_e64 s[4:5], s40, v2
	v_mov_b32_e32 v15, v13
	s_and_saveexec_b64 s[8:9], s[4:5]
	s_cbranch_execz .LBB2263_9
; %bb.8:
	v_lshlrev_b32_e32 v2, 2, v0
	v_add_co_u32_e64 v2, s[6:7], v42, v2
	v_addc_co_u32_e64 v3, s[6:7], 0, v43, s[6:7]
	flat_load_dword v15, v[2:3] offset:1024
.LBB2263_9:
	s_or_b64 exec, exec, s[8:9]
	v_or_b32_e32 v2, 0x200, v0
	v_cmp_gt_u32_e64 s[6:7], s40, v2
	v_mov_b32_e32 v16, v13
	s_and_saveexec_b64 s[10:11], s[6:7]
	s_cbranch_execz .LBB2263_11
; %bb.10:
	v_lshlrev_b32_e32 v2, 2, v0
	v_add_co_u32_e64 v2, s[8:9], v42, v2
	v_addc_co_u32_e64 v3, s[8:9], 0, v43, s[8:9]
	flat_load_dword v16, v[2:3] offset:2048
.LBB2263_11:
	;; [unrolled: 12-line block ×3, first 2 shown]
	s_or_b64 exec, exec, s[12:13]
	v_or_b32_e32 v2, 0x400, v0
	v_cmp_gt_u32_e64 s[10:11], s40, v2
	v_lshlrev_b32_e32 v2, 2, v2
	v_mov_b32_e32 v18, v13
	s_and_saveexec_b64 s[14:15], s[10:11]
	s_cbranch_execz .LBB2263_15
; %bb.14:
	v_add_co_u32_e64 v4, s[12:13], v42, v2
	v_addc_co_u32_e64 v5, s[12:13], 0, v43, s[12:13]
	flat_load_dword v18, v[4:5]
.LBB2263_15:
	s_or_b64 exec, exec, s[14:15]
	v_or_b32_e32 v3, 0x500, v0
	v_cmp_gt_u32_e64 s[12:13], s40, v3
	v_lshlrev_b32_e32 v3, 2, v3
	v_mov_b32_e32 v19, v13
	s_and_saveexec_b64 s[16:17], s[12:13]
	s_cbranch_execz .LBB2263_17
; %bb.16:
	v_add_co_u32_e64 v4, s[14:15], v42, v3
	v_addc_co_u32_e64 v5, s[14:15], 0, v43, s[14:15]
	flat_load_dword v19, v[4:5]
.LBB2263_17:
	;; [unrolled: 12-line block ×9, first 2 shown]
	s_or_b64 exec, exec, s[30:31]
	v_or_b32_e32 v11, 0xd00, v0
	v_cmp_gt_u32_e64 s[28:29], s40, v11
	v_lshlrev_b32_e32 v11, 2, v11
	s_and_saveexec_b64 s[36:37], s[28:29]
	s_cbranch_execz .LBB2263_33
; %bb.32:
	v_add_co_u32_e64 v12, s[30:31], v42, v11
	v_addc_co_u32_e64 v13, s[30:31], 0, v43, s[30:31]
	flat_load_dword v13, v[12:13]
.LBB2263_33:
	s_or_b64 exec, exec, s[36:37]
	v_lshlrev_b32_e32 v12, 2, v0
	s_waitcnt vmcnt(0) lgkmcnt(0)
	ds_write2st64_b32 v12, v14, v15 offset1:4
	ds_write2st64_b32 v12, v16, v17 offset0:8 offset1:12
	ds_write2st64_b32 v12, v18, v19 offset0:16 offset1:20
	;; [unrolled: 1-line block ×6, first 2 shown]
	s_waitcnt lgkmcnt(0)
	s_barrier
	flat_load_dword v49, v[42:43]
	v_mad_u32_u24 v50, v0, 52, v12
	s_movk_i32 s30, 0xffcc
	ds_read2_b64 v[34:37], v50 offset1:1
	ds_read2_b64 v[30:33], v50 offset0:2 offset1:3
	ds_read2_b64 v[26:29], v50 offset0:4 offset1:5
	ds_read_b64 v[44:45], v50 offset:48
	v_mad_i32_i24 v13, v0, s30, v50
	s_movk_i32 s30, 0xff
	v_cmp_ne_u32_e64 s[30:31], s30, v0
	s_waitcnt lgkmcnt(0)
	ds_write_b32 v13, v34 offset:15360
	s_waitcnt lgkmcnt(0)
	s_barrier
	s_and_saveexec_b64 s[36:37], s[30:31]
	s_cbranch_execz .LBB2263_35
; %bb.34:
	s_waitcnt vmcnt(0)
	ds_read_b32 v49, v12 offset:15364
.LBB2263_35:
	s_or_b64 exec, exec, s[36:37]
	s_waitcnt lgkmcnt(0)
	s_barrier
	s_waitcnt lgkmcnt(0)
                                        ; implicit-def: $vgpr13
	s_and_saveexec_b64 s[30:31], vcc
	s_cbranch_execz .LBB2263_117
; %bb.36:
	v_add_co_u32_e32 v14, vcc, v1, v12
	v_addc_co_u32_e32 v15, vcc, 0, v48, vcc
	flat_load_dword v13, v[14:15]
	s_or_b64 exec, exec, s[30:31]
                                        ; implicit-def: $vgpr14
	s_and_saveexec_b64 s[30:31], s[4:5]
	s_cbranch_execnz .LBB2263_118
.LBB2263_37:
	s_or_b64 exec, exec, s[30:31]
                                        ; implicit-def: $vgpr15
	s_and_saveexec_b64 s[4:5], s[6:7]
	s_cbranch_execz .LBB2263_119
.LBB2263_38:
	v_add_co_u32_e32 v16, vcc, v1, v12
	v_addc_co_u32_e32 v17, vcc, 0, v48, vcc
	flat_load_dword v15, v[16:17] offset:2048
	s_or_b64 exec, exec, s[4:5]
                                        ; implicit-def: $vgpr16
	s_and_saveexec_b64 s[4:5], s[8:9]
	s_cbranch_execnz .LBB2263_120
.LBB2263_39:
	s_or_b64 exec, exec, s[4:5]
                                        ; implicit-def: $vgpr17
	s_and_saveexec_b64 s[4:5], s[10:11]
	s_cbranch_execz .LBB2263_121
.LBB2263_40:
	v_add_co_u32_e32 v18, vcc, v1, v2
	v_addc_co_u32_e32 v19, vcc, 0, v48, vcc
	flat_load_dword v17, v[18:19]
	s_or_b64 exec, exec, s[4:5]
                                        ; implicit-def: $vgpr2
	s_and_saveexec_b64 s[4:5], s[12:13]
	s_cbranch_execnz .LBB2263_122
.LBB2263_41:
	s_or_b64 exec, exec, s[4:5]
                                        ; implicit-def: $vgpr3
	s_and_saveexec_b64 s[4:5], s[14:15]
	s_cbranch_execz .LBB2263_123
.LBB2263_42:
	v_add_co_u32_e32 v18, vcc, v1, v4
	v_addc_co_u32_e32 v19, vcc, 0, v48, vcc
	flat_load_dword v3, v[18:19]
	s_or_b64 exec, exec, s[4:5]
                                        ; implicit-def: $vgpr4
	s_and_saveexec_b64 s[4:5], s[16:17]
	s_cbranch_execnz .LBB2263_124
.LBB2263_43:
	s_or_b64 exec, exec, s[4:5]
                                        ; implicit-def: $vgpr5
	s_and_saveexec_b64 s[4:5], s[18:19]
	s_cbranch_execz .LBB2263_125
.LBB2263_44:
	v_add_co_u32_e32 v18, vcc, v1, v6
	v_addc_co_u32_e32 v19, vcc, 0, v48, vcc
	flat_load_dword v5, v[18:19]
	s_or_b64 exec, exec, s[4:5]
                                        ; implicit-def: $vgpr6
	s_and_saveexec_b64 s[4:5], s[20:21]
	s_cbranch_execnz .LBB2263_126
.LBB2263_45:
	s_or_b64 exec, exec, s[4:5]
                                        ; implicit-def: $vgpr7
	s_and_saveexec_b64 s[4:5], s[22:23]
	s_cbranch_execz .LBB2263_127
.LBB2263_46:
	v_add_co_u32_e32 v18, vcc, v1, v8
	v_addc_co_u32_e32 v19, vcc, 0, v48, vcc
	flat_load_dword v7, v[18:19]
	s_or_b64 exec, exec, s[4:5]
                                        ; implicit-def: $vgpr8
	s_and_saveexec_b64 s[4:5], s[24:25]
	s_cbranch_execnz .LBB2263_128
.LBB2263_47:
	s_or_b64 exec, exec, s[4:5]
                                        ; implicit-def: $vgpr9
	s_and_saveexec_b64 s[4:5], s[26:27]
	s_cbranch_execz .LBB2263_49
.LBB2263_48:
	v_add_co_u32_e32 v18, vcc, v1, v10
	v_addc_co_u32_e32 v19, vcc, 0, v48, vcc
	flat_load_dword v9, v[18:19]
.LBB2263_49:
	s_or_b64 exec, exec, s[4:5]
	v_mul_u32_u24_e32 v51, 14, v0
                                        ; implicit-def: $vgpr10
	s_and_saveexec_b64 s[4:5], s[28:29]
	s_cbranch_execz .LBB2263_51
; %bb.50:
	v_add_co_u32_e32 v10, vcc, v1, v11
	v_addc_co_u32_e32 v11, vcc, 0, v48, vcc
	flat_load_dword v10, v[10:11]
.LBB2263_51:
	s_or_b64 exec, exec, s[4:5]
	s_mov_b32 s4, 0
	s_mov_b32 s5, s4
	s_waitcnt vmcnt(0) lgkmcnt(0)
	ds_write2st64_b32 v12, v13, v14 offset1:4
	ds_write2st64_b32 v12, v15, v16 offset0:8 offset1:12
	ds_write2st64_b32 v12, v17, v2 offset0:16 offset1:20
	ds_write2st64_b32 v12, v3, v4 offset0:24 offset1:28
	ds_write2st64_b32 v12, v5, v6 offset0:32 offset1:36
	ds_write2st64_b32 v12, v7, v8 offset0:40 offset1:44
	ds_write2st64_b32 v12, v9, v10 offset0:48 offset1:52
	s_mov_b32 s6, s4
	s_mov_b32 s7, s4
	;; [unrolled: 1-line block ×6, first 2 shown]
	v_pk_mov_b32 v[2:3], s[4:5], s[4:5] op_sel:[0,1]
	v_pk_mov_b32 v[8:9], s[10:11], s[10:11] op_sel:[0,1]
	;; [unrolled: 1-line block ×6, first 2 shown]
	v_cmp_gt_u32_e32 vcc, s40, v51
	s_mov_b64 s[12:13], 0
	v_pk_mov_b32 v[40:41], 0, 0
	s_mov_b64 s[18:19], 0
	v_pk_mov_b32 v[14:15], v[6:7], v[6:7] op_sel:[0,1]
	v_pk_mov_b32 v[12:13], v[4:5], v[4:5] op_sel:[0,1]
	;; [unrolled: 1-line block ×6, first 2 shown]
	s_waitcnt lgkmcnt(0)
	s_barrier
	s_waitcnt lgkmcnt(0)
                                        ; implicit-def: $sgpr16_sgpr17
                                        ; implicit-def: $vgpr46
	s_and_saveexec_b64 s[14:15], vcc
	s_cbranch_execz .LBB2263_79
; %bb.52:
	ds_read_b32 v2, v50
	v_mov_b32_e32 v4, s54
	v_cmp_eq_u32_e32 vcc, v34, v35
	v_or_b32_e32 v3, 1, v51
                                        ; implicit-def: $vgpr46
	s_waitcnt lgkmcnt(0)
	v_cndmask_b32_e32 v40, v4, v2, vcc
	v_cmp_ne_u32_e32 vcc, v34, v35
	v_cndmask_b32_e64 v41, 0, 1, vcc
	v_cmp_gt_u32_e32 vcc, s40, v3
	v_pk_mov_b32 v[2:3], s[4:5], s[4:5] op_sel:[0,1]
	v_pk_mov_b32 v[8:9], s[10:11], s[10:11] op_sel:[0,1]
	;; [unrolled: 1-line block ×12, first 2 shown]
                                        ; implicit-def: $sgpr4_sgpr5
	s_and_saveexec_b64 s[16:17], vcc
	s_cbranch_execz .LBB2263_78
; %bb.53:
	ds_read2_b32 v[46:47], v50 offset0:1 offset1:2
	s_mov_b32 s4, 0
	v_mov_b32_e32 v3, s54
	v_cmp_eq_u32_e32 vcc, v35, v36
	s_mov_b32 s10, s4
	s_mov_b32 s11, s4
	v_add_u32_e32 v2, 2, v51
	s_waitcnt lgkmcnt(0)
	v_cndmask_b32_e32 v8, v3, v46, vcc
	v_cmp_ne_u32_e32 vcc, v35, v36
	s_mov_b32 s5, s4
	s_mov_b32 s6, s4
	;; [unrolled: 1-line block ×5, first 2 shown]
	v_pk_mov_b32 v[16:17], s[10:11], s[10:11] op_sel:[0,1]
	v_cndmask_b32_e64 v9, 0, 1, vcc
	v_cmp_gt_u32_e32 vcc, s40, v2
	v_mov_b32_e32 v2, 0
	v_pk_mov_b32 v[14:15], s[8:9], s[8:9] op_sel:[0,1]
	v_pk_mov_b32 v[12:13], s[6:7], s[6:7] op_sel:[0,1]
	;; [unrolled: 1-line block ×4, first 2 shown]
	v_mov_b32_e32 v3, v2
	v_mov_b32_e32 v4, v2
	;; [unrolled: 1-line block ×5, first 2 shown]
	s_mov_b64 s[20:21], 0
	v_pk_mov_b32 v[22:23], v[14:15], v[14:15] op_sel:[0,1]
	v_pk_mov_b32 v[20:21], v[12:13], v[12:13] op_sel:[0,1]
	;; [unrolled: 1-line block ×3, first 2 shown]
                                        ; implicit-def: $sgpr24_sgpr25
                                        ; implicit-def: $vgpr46
	s_and_saveexec_b64 s[18:19], vcc
	s_cbranch_execz .LBB2263_77
; %bb.54:
	v_mov_b32_e32 v4, s54
	v_cmp_eq_u32_e32 vcc, v36, v37
	v_pk_mov_b32 v[16:17], s[10:11], s[10:11] op_sel:[0,1]
	v_add_u32_e32 v3, 3, v51
	v_cndmask_b32_e32 v6, v4, v47, vcc
	v_cmp_ne_u32_e32 vcc, v36, v37
	v_pk_mov_b32 v[14:15], s[8:9], s[8:9] op_sel:[0,1]
	v_pk_mov_b32 v[12:13], s[6:7], s[6:7] op_sel:[0,1]
	v_pk_mov_b32 v[10:11], s[4:5], s[4:5] op_sel:[0,1]
	v_pk_mov_b32 v[24:25], v[16:17], v[16:17] op_sel:[0,1]
	v_cndmask_b32_e64 v7, 0, 1, vcc
	v_cmp_gt_u32_e32 vcc, s40, v3
	v_mov_b32_e32 v3, v2
	v_mov_b32_e32 v4, v2
	;; [unrolled: 1-line block ×3, first 2 shown]
	s_mov_b64 s[22:23], 0
	v_pk_mov_b32 v[22:23], v[14:15], v[14:15] op_sel:[0,1]
	v_pk_mov_b32 v[20:21], v[12:13], v[12:13] op_sel:[0,1]
	;; [unrolled: 1-line block ×3, first 2 shown]
                                        ; implicit-def: $sgpr4_sgpr5
                                        ; implicit-def: $vgpr46
	s_and_saveexec_b64 s[20:21], vcc
	s_cbranch_execz .LBB2263_76
; %bb.55:
	ds_read2_b32 v[34:35], v50 offset0:3 offset1:4
	s_mov_b32 s4, 0
	s_mov_b32 s10, s4
	;; [unrolled: 1-line block ×3, first 2 shown]
	v_mov_b32_e32 v3, s54
	v_cmp_eq_u32_e32 vcc, v37, v30
	s_mov_b32 s5, s4
	s_mov_b32 s6, s4
	;; [unrolled: 1-line block ×5, first 2 shown]
	v_pk_mov_b32 v[16:17], s[10:11], s[10:11] op_sel:[0,1]
	v_add_u32_e32 v2, 4, v51
	s_waitcnt lgkmcnt(0)
	v_cndmask_b32_e32 v4, v3, v34, vcc
	v_cmp_ne_u32_e32 vcc, v37, v30
	v_pk_mov_b32 v[14:15], s[8:9], s[8:9] op_sel:[0,1]
	v_pk_mov_b32 v[12:13], s[6:7], s[6:7] op_sel:[0,1]
	;; [unrolled: 1-line block ×4, first 2 shown]
	v_cndmask_b32_e64 v5, 0, 1, vcc
	v_cmp_gt_u32_e32 vcc, s40, v2
	v_mov_b32_e32 v2, s4
	v_mov_b32_e32 v3, s4
	s_mov_b64 s[24:25], 0
	v_pk_mov_b32 v[22:23], v[14:15], v[14:15] op_sel:[0,1]
	v_pk_mov_b32 v[20:21], v[12:13], v[12:13] op_sel:[0,1]
	;; [unrolled: 1-line block ×3, first 2 shown]
                                        ; implicit-def: $sgpr26_sgpr27
                                        ; implicit-def: $vgpr46
	s_and_saveexec_b64 s[22:23], vcc
	s_cbranch_execz .LBB2263_75
; %bb.56:
	v_mov_b32_e32 v2, s54
	v_cmp_eq_u32_e32 vcc, v30, v31
	v_add_u32_e32 v10, 5, v51
	v_cndmask_b32_e32 v2, v2, v35, vcc
	v_cmp_ne_u32_e32 vcc, v30, v31
	v_cndmask_b32_e64 v3, 0, 1, vcc
	v_cmp_gt_u32_e32 vcc, s40, v10
	v_pk_mov_b32 v[16:17], s[10:11], s[10:11] op_sel:[0,1]
	v_pk_mov_b32 v[14:15], s[8:9], s[8:9] op_sel:[0,1]
	;; [unrolled: 1-line block ×5, first 2 shown]
	s_mov_b64 s[28:29], 0
	v_pk_mov_b32 v[22:23], v[14:15], v[14:15] op_sel:[0,1]
	v_pk_mov_b32 v[20:21], v[12:13], v[12:13] op_sel:[0,1]
	;; [unrolled: 1-line block ×3, first 2 shown]
                                        ; implicit-def: $sgpr4_sgpr5
                                        ; implicit-def: $vgpr46
	s_and_saveexec_b64 s[24:25], vcc
	s_cbranch_execz .LBB2263_74
; %bb.57:
	ds_read2_b32 v[34:35], v50 offset0:5 offset1:6
	v_mov_b32_e32 v11, s54
	v_cmp_eq_u32_e32 vcc, v31, v32
	s_mov_b32 s4, 0
	v_add_u32_e32 v10, 6, v51
	s_waitcnt lgkmcnt(0)
	v_cndmask_b32_e32 v16, v11, v34, vcc
	v_cmp_ne_u32_e32 vcc, v31, v32
	s_mov_b32 s10, s4
	s_mov_b32 s11, s4
	v_cndmask_b32_e64 v17, 0, 1, vcc
	v_cmp_gt_u32_e32 vcc, s40, v10
	v_mov_b32_e32 v10, 0
	s_mov_b32 s5, s4
	s_mov_b32 s6, s4
	;; [unrolled: 1-line block ×5, first 2 shown]
	v_pk_mov_b32 v[24:25], s[10:11], s[10:11] op_sel:[0,1]
	v_mov_b32_e32 v11, v10
	v_mov_b32_e32 v12, v10
	;; [unrolled: 1-line block ×5, first 2 shown]
	v_pk_mov_b32 v[22:23], s[8:9], s[8:9] op_sel:[0,1]
	v_pk_mov_b32 v[20:21], s[6:7], s[6:7] op_sel:[0,1]
	;; [unrolled: 1-line block ×3, first 2 shown]
                                        ; implicit-def: $sgpr36_sgpr37
                                        ; implicit-def: $vgpr46
	s_and_saveexec_b64 s[26:27], vcc
	s_cbranch_execz .LBB2263_73
; %bb.58:
	v_mov_b32_e32 v12, s54
	v_cmp_eq_u32_e32 vcc, v32, v33
	v_add_u32_e32 v11, 7, v51
	v_cndmask_b32_e32 v14, v12, v35, vcc
	v_cmp_ne_u32_e32 vcc, v32, v33
	v_pk_mov_b32 v[24:25], s[10:11], s[10:11] op_sel:[0,1]
	v_cndmask_b32_e64 v15, 0, 1, vcc
	v_cmp_gt_u32_e32 vcc, s40, v11
	v_mov_b32_e32 v11, v10
	v_mov_b32_e32 v12, v10
	;; [unrolled: 1-line block ×3, first 2 shown]
	s_mov_b64 s[30:31], 0
	v_pk_mov_b32 v[22:23], s[8:9], s[8:9] op_sel:[0,1]
	v_pk_mov_b32 v[20:21], s[6:7], s[6:7] op_sel:[0,1]
	;; [unrolled: 1-line block ×3, first 2 shown]
                                        ; implicit-def: $sgpr4_sgpr5
                                        ; implicit-def: $vgpr46
	s_and_saveexec_b64 s[28:29], vcc
	s_cbranch_execz .LBB2263_72
; %bb.59:
	ds_read2_b32 v[30:31], v50 offset0:7 offset1:8
	s_mov_b32 s4, 0
	v_mov_b32_e32 v11, s54
	v_cmp_eq_u32_e32 vcc, v33, v26
	s_mov_b32 s10, s4
	s_mov_b32 s11, s4
	v_add_u32_e32 v10, 8, v51
	s_waitcnt lgkmcnt(0)
	v_cndmask_b32_e32 v12, v11, v30, vcc
	v_cmp_ne_u32_e32 vcc, v33, v26
	s_mov_b32 s5, s4
	s_mov_b32 s6, s4
	;; [unrolled: 1-line block ×5, first 2 shown]
	v_pk_mov_b32 v[24:25], s[10:11], s[10:11] op_sel:[0,1]
	v_cndmask_b32_e64 v13, 0, 1, vcc
	v_cmp_gt_u32_e32 vcc, s40, v10
	v_mov_b32_e32 v10, s4
	v_mov_b32_e32 v11, s4
	s_mov_b64 s[36:37], 0
	v_pk_mov_b32 v[22:23], s[8:9], s[8:9] op_sel:[0,1]
	v_pk_mov_b32 v[20:21], s[6:7], s[6:7] op_sel:[0,1]
	;; [unrolled: 1-line block ×3, first 2 shown]
                                        ; implicit-def: $sgpr38_sgpr39
                                        ; implicit-def: $vgpr46
	s_and_saveexec_b64 s[30:31], vcc
	s_cbranch_execz .LBB2263_71
; %bb.60:
	v_mov_b32_e32 v10, s54
	v_cmp_eq_u32_e32 vcc, v26, v27
	v_add_u32_e32 v18, 9, v51
	v_cndmask_b32_e32 v10, v10, v31, vcc
	v_cmp_ne_u32_e32 vcc, v26, v27
	v_cndmask_b32_e64 v11, 0, 1, vcc
	v_cmp_gt_u32_e32 vcc, s40, v18
	v_pk_mov_b32 v[24:25], s[10:11], s[10:11] op_sel:[0,1]
	v_pk_mov_b32 v[22:23], s[8:9], s[8:9] op_sel:[0,1]
	;; [unrolled: 1-line block ×4, first 2 shown]
                                        ; implicit-def: $sgpr6_sgpr7
                                        ; implicit-def: $vgpr46
	s_and_saveexec_b64 s[4:5], vcc
	s_cbranch_execz .LBB2263_70
; %bb.61:
	ds_read2_b32 v[30:31], v50 offset0:9 offset1:10
	v_mov_b32_e32 v18, s54
	v_cmp_eq_u32_e32 vcc, v27, v28
	v_add_u32_e32 v20, 10, v51
	v_mov_b32_e32 v22, 0
	s_waitcnt lgkmcnt(0)
	v_cndmask_b32_e32 v18, v18, v30, vcc
	v_cmp_ne_u32_e32 vcc, v27, v28
	v_cndmask_b32_e64 v19, 0, 1, vcc
	v_cmp_gt_u32_e32 vcc, s40, v20
	v_mov_b32_e32 v20, v22
	v_mov_b32_e32 v21, v22
	;; [unrolled: 1-line block ×5, first 2 shown]
	s_mov_b64 s[8:9], 0
                                        ; implicit-def: $sgpr36_sgpr37
                                        ; implicit-def: $vgpr46
	s_and_saveexec_b64 s[6:7], vcc
	s_cbranch_execz .LBB2263_69
; %bb.62:
	v_mov_b32_e32 v20, s54
	v_cmp_eq_u32_e32 vcc, v28, v29
	v_add_u32_e32 v23, 11, v51
	v_cndmask_b32_e32 v20, v20, v31, vcc
	v_cmp_ne_u32_e32 vcc, v28, v29
	v_cndmask_b32_e64 v21, 0, 1, vcc
	v_cmp_gt_u32_e32 vcc, s40, v23
	s_mov_b32 s36, 0
	v_mov_b32_e32 v23, v22
	v_mov_b32_e32 v24, v22
	;; [unrolled: 1-line block ×3, first 2 shown]
	s_mov_b64 s[10:11], 0
                                        ; implicit-def: $sgpr38_sgpr39
                                        ; implicit-def: $vgpr46
	s_and_saveexec_b64 s[8:9], vcc
	s_cbranch_execz .LBB2263_68
; %bb.63:
	ds_read2_b32 v[26:27], v50 offset0:11 offset1:12
	v_mov_b32_e32 v22, s54
	v_cmp_eq_u32_e32 vcc, v29, v44
	v_add_u32_e32 v24, 12, v51
	v_mov_b32_e32 v25, s36
	s_waitcnt lgkmcnt(0)
	v_cndmask_b32_e32 v22, v22, v26, vcc
	v_cmp_ne_u32_e32 vcc, v29, v44
	v_cndmask_b32_e64 v23, 0, 1, vcc
	v_cmp_gt_u32_e32 vcc, s40, v24
	v_mov_b32_e32 v24, s36
	s_mov_b64 s[36:37], 0
                                        ; implicit-def: $sgpr38_sgpr39
                                        ; implicit-def: $vgpr46
	s_and_saveexec_b64 s[10:11], vcc
	s_cbranch_execz .LBB2263_67
; %bb.64:
	v_mov_b32_e32 v24, s54
	v_cmp_eq_u32_e32 vcc, v44, v45
	v_add_u32_e32 v26, 13, v51
	v_cndmask_b32_e32 v24, v24, v27, vcc
	v_cmp_ne_u32_e32 vcc, v44, v45
	v_cndmask_b32_e64 v25, 0, 1, vcc
	v_cmp_gt_u32_e32 vcc, s40, v26
                                        ; implicit-def: $sgpr38_sgpr39
                                        ; implicit-def: $vgpr46
	s_and_saveexec_b64 s[40:41], vcc
	s_xor_b64 s[40:41], exec, s[40:41]
	s_cbranch_execz .LBB2263_66
; %bb.65:
	ds_read_b32 v26, v50 offset:52
	v_mov_b32_e32 v27, s54
	v_cmp_ne_u32_e32 vcc, v45, v49
	s_mov_b64 s[36:37], exec
	s_and_b64 s[38:39], vcc, exec
	s_waitcnt lgkmcnt(0)
	v_cndmask_b32_e32 v46, v26, v27, vcc
.LBB2263_66:
	s_or_b64 exec, exec, s[40:41]
	s_and_b64 s[38:39], s[38:39], exec
	s_and_b64 s[36:37], s[36:37], exec
.LBB2263_67:
	s_or_b64 exec, exec, s[10:11]
	s_and_b64 s[38:39], s[38:39], exec
	s_and_b64 s[10:11], s[36:37], exec
.LBB2263_68:
	s_or_b64 exec, exec, s[8:9]
	s_and_b64 s[36:37], s[38:39], exec
	s_and_b64 s[8:9], s[10:11], exec
.LBB2263_69:
	s_or_b64 exec, exec, s[6:7]
	s_and_b64 s[6:7], s[36:37], exec
	s_and_b64 s[36:37], s[8:9], exec
.LBB2263_70:
	s_or_b64 exec, exec, s[4:5]
	s_and_b64 s[38:39], s[6:7], exec
	s_and_b64 s[36:37], s[36:37], exec
.LBB2263_71:
	s_or_b64 exec, exec, s[30:31]
	s_and_b64 s[4:5], s[38:39], exec
	s_and_b64 s[30:31], s[36:37], exec
.LBB2263_72:
	s_or_b64 exec, exec, s[28:29]
	s_and_b64 s[36:37], s[4:5], exec
	s_and_b64 s[28:29], s[30:31], exec
.LBB2263_73:
	s_or_b64 exec, exec, s[26:27]
	s_and_b64 s[4:5], s[36:37], exec
	s_and_b64 s[28:29], s[28:29], exec
.LBB2263_74:
	s_or_b64 exec, exec, s[24:25]
	s_and_b64 s[26:27], s[4:5], exec
	s_and_b64 s[24:25], s[28:29], exec
.LBB2263_75:
	s_or_b64 exec, exec, s[22:23]
	s_and_b64 s[4:5], s[26:27], exec
	s_and_b64 s[22:23], s[24:25], exec
.LBB2263_76:
	s_or_b64 exec, exec, s[20:21]
	s_and_b64 s[24:25], s[4:5], exec
	s_and_b64 s[20:21], s[22:23], exec
.LBB2263_77:
	s_or_b64 exec, exec, s[18:19]
	s_and_b64 s[4:5], s[24:25], exec
	s_and_b64 s[18:19], s[20:21], exec
.LBB2263_78:
	s_or_b64 exec, exec, s[16:17]
	s_and_b64 s[16:17], s[4:5], exec
	s_and_b64 s[18:19], s[18:19], exec
.LBB2263_79:
	s_or_b64 exec, exec, s[14:15]
	s_and_b64 vcc, exec, s[12:13]
	v_lshlrev_b32_e32 v52, 2, v0
	s_cbranch_vccnz .LBB2263_81
	s_branch .LBB2263_86
.LBB2263_80:
	s_mov_b64 s[18:19], 0
                                        ; implicit-def: $sgpr16_sgpr17
                                        ; implicit-def: $vgpr2_vgpr3_vgpr4_vgpr5_vgpr6_vgpr7_vgpr8_vgpr9
                                        ; implicit-def: $vgpr10_vgpr11_vgpr12_vgpr13_vgpr14_vgpr15_vgpr16_vgpr17
                                        ; implicit-def: $vgpr18_vgpr19_vgpr20_vgpr21_vgpr22_vgpr23_vgpr24_vgpr25
                                        ; implicit-def: $vgpr46
                                        ; implicit-def: $vgpr40_vgpr41
	s_and_b64 vcc, exec, s[12:13]
	v_lshlrev_b32_e32 v52, 2, v0
	s_cbranch_vccz .LBB2263_86
.LBB2263_81:
	v_add_co_u32_e32 v2, vcc, v42, v52
	v_addc_co_u32_e32 v3, vcc, 0, v43, vcc
	v_add_co_u32_e32 v4, vcc, 0x1000, v2
	v_addc_co_u32_e32 v5, vcc, 0, v3, vcc
	flat_load_dword v6, v[2:3]
	flat_load_dword v7, v[2:3] offset:1024
	flat_load_dword v8, v[2:3] offset:2048
	flat_load_dword v9, v[2:3] offset:3072
	flat_load_dword v10, v[4:5]
	flat_load_dword v11, v[4:5] offset:1024
	flat_load_dword v12, v[4:5] offset:2048
	;; [unrolled: 1-line block ×3, first 2 shown]
	v_add_co_u32_e32 v4, vcc, 0x2000, v2
	v_addc_co_u32_e32 v5, vcc, 0, v3, vcc
	v_add_co_u32_e32 v2, vcc, 0x3000, v2
	v_addc_co_u32_e32 v3, vcc, 0, v3, vcc
	flat_load_dword v14, v[4:5]
	flat_load_dword v15, v[4:5] offset:1024
	flat_load_dword v16, v[4:5] offset:2048
	;; [unrolled: 1-line block ×3, first 2 shown]
	flat_load_dword v18, v[2:3]
	flat_load_dword v19, v[2:3] offset:1024
	v_add_co_u32_e32 v2, vcc, 0x3000, v42
	v_addc_co_u32_e32 v3, vcc, 0, v43, vcc
	s_movk_i32 s6, 0xffcc
	s_movk_i32 s9, 0x1000
	s_mov_b32 s4, 0
	s_movk_i32 s8, 0x2000
	s_movk_i32 s5, 0x3000
	s_waitcnt vmcnt(0) lgkmcnt(0)
	ds_write2st64_b32 v52, v6, v7 offset1:4
	ds_write2st64_b32 v52, v8, v9 offset0:8 offset1:12
	ds_write2st64_b32 v52, v10, v11 offset0:16 offset1:20
	;; [unrolled: 1-line block ×6, first 2 shown]
	s_waitcnt lgkmcnt(0)
	s_barrier
	flat_load_dword v34, v[2:3] offset:2048
	v_mad_u32_u24 v6, v0, 52, v52
	v_mad_i32_i24 v2, v0, s6, v6
	s_movk_i32 s6, 0xff
	v_cmp_ne_u32_e32 vcc, s6, v0
	ds_read2_b32 v[26:27], v6 offset1:13
	ds_read2_b32 v[18:19], v6 offset0:7 offset1:8
	ds_read2_b32 v[20:21], v6 offset0:5 offset1:6
	;; [unrolled: 1-line block ×6, first 2 shown]
	s_waitcnt lgkmcnt(0)
	ds_write_b32 v2, v26 offset:15360
	s_waitcnt lgkmcnt(0)
	s_barrier
	s_and_saveexec_b64 s[6:7], vcc
	s_cbranch_execz .LBB2263_83
; %bb.82:
	s_waitcnt vmcnt(0)
	ds_read_b32 v34, v52 offset:15364
.LBB2263_83:
	s_or_b64 exec, exec, s[6:7]
	v_add_co_u32_e32 v2, vcc, v1, v52
	v_addc_co_u32_e32 v3, vcc, 0, v48, vcc
	v_add_co_u32_e32 v4, vcc, s9, v2
	v_addc_co_u32_e32 v5, vcc, 0, v3, vcc
	s_waitcnt lgkmcnt(0)
	s_barrier
	flat_load_dword v1, v[2:3]
	flat_load_dword v7, v[2:3] offset:1024
	flat_load_dword v8, v[2:3] offset:2048
	;; [unrolled: 1-line block ×3, first 2 shown]
	flat_load_dword v14, v[4:5]
	flat_load_dword v15, v[4:5] offset:1024
	flat_load_dword v16, v[4:5] offset:2048
	;; [unrolled: 1-line block ×3, first 2 shown]
	v_add_co_u32_e32 v4, vcc, s8, v2
	v_addc_co_u32_e32 v5, vcc, 0, v3, vcc
	v_add_co_u32_e32 v2, vcc, s5, v2
	v_addc_co_u32_e32 v3, vcc, 0, v3, vcc
	flat_load_dword v22, v[4:5]
	flat_load_dword v23, v[4:5] offset:1024
	flat_load_dword v24, v[4:5] offset:2048
	flat_load_dword v25, v[4:5] offset:3072
	flat_load_dword v32, v[2:3]
	flat_load_dword v33, v[2:3] offset:1024
	s_mov_b32 s5, 1
	v_cmp_eq_u32_e32 vcc, v26, v12
	v_pk_mov_b32 v[40:41], s[4:5], s[4:5] op_sel:[0,1]
	s_waitcnt vmcnt(0) lgkmcnt(0)
	ds_write2st64_b32 v52, v1, v7 offset1:4
	ds_write2st64_b32 v52, v8, v9 offset0:8 offset1:12
	ds_write2st64_b32 v52, v14, v15 offset0:16 offset1:20
	ds_write2st64_b32 v52, v16, v17 offset0:24 offset1:28
	ds_write2st64_b32 v52, v22, v23 offset0:32 offset1:36
	ds_write2st64_b32 v52, v24, v25 offset0:40 offset1:44
	ds_write2st64_b32 v52, v32, v33 offset0:48 offset1:52
	s_waitcnt lgkmcnt(0)
	s_barrier
	ds_read2_b32 v[24:25], v6 offset0:7 offset1:8
	ds_read2_b32 v[14:15], v6 offset0:5 offset1:6
	;; [unrolled: 1-line block ×4, first 2 shown]
	ds_read_b32 v1, v6 offset:52
	ds_read2_b32 v[22:23], v6 offset0:11 offset1:12
	ds_read2_b32 v[32:33], v6 offset0:9 offset1:10
	v_mov_b32_e32 v7, s54
	s_and_saveexec_b64 s[4:5], vcc
	s_cbranch_execz .LBB2263_85
; %bb.84:
	ds_read_b32 v7, v6
	v_pk_mov_b32 v[40:41], 0, 0
.LBB2263_85:
	s_or_b64 exec, exec, s[4:5]
	v_mov_b32_e32 v26, s54
	v_cmp_eq_u32_e32 vcc, v12, v13
	s_waitcnt lgkmcnt(3)
	v_cndmask_b32_e32 v8, v26, v4, vcc
	v_cmp_eq_u32_e32 vcc, v13, v10
	v_cndmask_b32_e32 v6, v26, v5, vcc
	v_cmp_eq_u32_e32 vcc, v10, v11
	v_cndmask_b32_e32 v4, v26, v2, vcc
	v_cmp_eq_u32_e32 vcc, v11, v20
	v_cndmask_b32_e32 v2, v26, v3, vcc
	v_cmp_ne_u32_e32 vcc, v12, v13
	v_cndmask_b32_e64 v9, 0, 1, vcc
	v_cmp_ne_u32_e32 vcc, v13, v10
	s_waitcnt lgkmcnt(0)
	v_or_b32_e32 v40, v40, v7
	v_cndmask_b32_e64 v7, 0, 1, vcc
	v_cmp_ne_u32_e32 vcc, v10, v11
	v_cndmask_b32_e64 v5, 0, 1, vcc
	v_cmp_ne_u32_e32 vcc, v11, v20
	v_cndmask_b32_e64 v3, 0, 1, vcc
	v_cmp_eq_u32_e32 vcc, v20, v21
	v_cndmask_b32_e32 v16, v26, v14, vcc
	v_cmp_eq_u32_e32 vcc, v21, v18
	v_cndmask_b32_e32 v14, v26, v15, vcc
	;; [unrolled: 2-line block ×4, first 2 shown]
	v_cmp_ne_u32_e32 vcc, v20, v21
	v_cndmask_b32_e64 v17, 0, 1, vcc
	v_cmp_ne_u32_e32 vcc, v21, v18
	v_cndmask_b32_e64 v15, 0, 1, vcc
	;; [unrolled: 2-line block ×4, first 2 shown]
	v_cmp_eq_u32_e32 vcc, v31, v27
	v_cndmask_b32_e32 v24, v26, v23, vcc
	v_cmp_eq_u32_e32 vcc, v30, v31
	v_cndmask_b32_e32 v22, v26, v22, vcc
	;; [unrolled: 2-line block ×4, first 2 shown]
	v_cmp_ne_u32_e32 vcc, v31, v27
	v_cndmask_b32_e64 v25, 0, 1, vcc
	v_cmp_ne_u32_e32 vcc, v30, v31
	v_cndmask_b32_e64 v23, 0, 1, vcc
	;; [unrolled: 2-line block ×3, first 2 shown]
	v_cmp_ne_u32_e32 vcc, v28, v29
	v_cmp_ne_u32_e64 s[16:17], v27, v34
	v_cndmask_b32_e64 v19, 0, 1, vcc
	v_cndmask_b32_e64 v46, v1, v26, s[16:17]
	s_mov_b64 s[18:19], -1
                                        ; implicit-def: $sgpr12_sgpr13
.LBB2263_86:
	v_pk_mov_b32 v[42:43], s[12:13], s[12:13] op_sel:[0,1]
	s_and_saveexec_b64 s[4:5], s[18:19]
; %bb.87:
	v_cndmask_b32_e64 v47, 0, 1, s[16:17]
	v_pk_mov_b32 v[42:43], v[46:47], v[46:47] op_sel:[0,1]
; %bb.88:
	s_or_b64 exec, exec, s[4:5]
	s_mov_b32 s28, 0
	s_cmp_lg_u32 s47, 0
	v_mbcnt_lo_u32_b32 v54, -1, 0
	v_lshrrev_b32_e32 v1, 6, v0
	v_or_b32_e32 v53, 63, v0
	s_barrier
	s_cbranch_scc0 .LBB2263_129
; %bb.89:
	s_mov_b32 s29, 1
	v_cmp_gt_u64_e64 s[4:5], s[28:29], v[8:9]
	v_cndmask_b32_e64 v27, 0, v40, s[4:5]
	v_add_u32_e32 v27, v27, v8
	v_cmp_gt_u64_e64 s[6:7], s[28:29], v[6:7]
	v_cndmask_b32_e64 v27, 0, v27, s[6:7]
	v_add_u32_e32 v27, v27, v6
	;; [unrolled: 3-line block ×12, first 2 shown]
	v_cmp_gt_u64_e32 vcc, s[28:29], v[42:43]
	v_cndmask_b32_e32 v27, 0, v27, vcc
	v_add_u32_e32 v28, v27, v42
	v_or3_b32 v27, v43, v25, v23
	v_or3_b32 v27, v27, v21, v19
	;; [unrolled: 1-line block ×6, first 2 shown]
	v_mov_b32_e32 v26, 0
	v_and_b32_e32 v27, 1, v27
	v_cmp_eq_u64_e32 vcc, 0, v[26:27]
	v_cndmask_b32_e32 v27, 1, v41, vcc
	v_and_b32_e32 v29, 0xff, v27
	v_mov_b32_dpp v31, v28 row_shr:1 row_mask:0xf bank_mask:0xf
	v_cmp_eq_u16_e32 vcc, 0, v29
	v_mov_b32_dpp v32, v29 row_shr:1 row_mask:0xf bank_mask:0xf
	v_and_b32_e32 v33, 1, v27
	v_mbcnt_hi_u32_b32 v48, -1, v54
	v_cndmask_b32_e32 v31, 0, v31, vcc
	v_and_b32_e32 v32, 1, v32
	v_cmp_eq_u32_e32 vcc, 1, v33
	v_and_b32_e32 v30, 15, v48
	v_cndmask_b32_e64 v32, v32, 1, vcc
	v_and_b32_e32 v33, 0xffff, v32
	v_cmp_eq_u32_e32 vcc, 0, v30
	v_cndmask_b32_e32 v27, v32, v27, vcc
	v_cndmask_b32_e32 v29, v33, v29, vcc
	v_and_b32_e32 v33, 1, v27
	v_cndmask_b32_e64 v31, v31, 0, vcc
	v_mov_b32_dpp v32, v29 row_shr:2 row_mask:0xf bank_mask:0xf
	v_and_b32_e32 v32, 1, v32
	v_cmp_eq_u32_e32 vcc, 1, v33
	v_cndmask_b32_e64 v32, v32, 1, vcc
	v_and_b32_e32 v33, 0xffff, v32
	v_cmp_lt_u32_e32 vcc, 1, v30
	v_add_u32_e32 v28, v31, v28
	v_cmp_eq_u16_sdwa s[28:29], v27, v26 src0_sel:BYTE_0 src1_sel:DWORD
	v_cndmask_b32_e32 v27, v27, v32, vcc
	v_cndmask_b32_e32 v29, v29, v33, vcc
	v_mov_b32_dpp v31, v28 row_shr:2 row_mask:0xf bank_mask:0xf
	s_and_b64 vcc, vcc, s[28:29]
	v_mov_b32_dpp v32, v29 row_shr:4 row_mask:0xf bank_mask:0xf
	v_and_b32_e32 v33, 1, v27
	v_cndmask_b32_e32 v31, 0, v31, vcc
	v_and_b32_e32 v32, 1, v32
	v_cmp_eq_u32_e32 vcc, 1, v33
	v_cndmask_b32_e64 v32, v32, 1, vcc
	v_and_b32_e32 v33, 0xffff, v32
	v_cmp_lt_u32_e32 vcc, 3, v30
	v_add_u32_e32 v28, v31, v28
	v_cmp_eq_u16_sdwa s[28:29], v27, v26 src0_sel:BYTE_0 src1_sel:DWORD
	v_cndmask_b32_e32 v27, v27, v32, vcc
	v_cndmask_b32_e32 v29, v29, v33, vcc
	v_mov_b32_dpp v31, v28 row_shr:4 row_mask:0xf bank_mask:0xf
	s_and_b64 vcc, vcc, s[28:29]
	v_mov_b32_dpp v32, v29 row_shr:8 row_mask:0xf bank_mask:0xf
	v_and_b32_e32 v33, 1, v27
	v_cndmask_b32_e32 v31, 0, v31, vcc
	v_and_b32_e32 v32, 1, v32
	v_cmp_eq_u32_e32 vcc, 1, v33
	v_cndmask_b32_e64 v32, v32, 1, vcc
	v_add_u32_e32 v28, v31, v28
	v_cmp_eq_u16_sdwa s[28:29], v27, v26 src0_sel:BYTE_0 src1_sel:DWORD
	v_and_b32_e32 v33, 0xffff, v32
	v_cmp_lt_u32_e32 vcc, 7, v30
	v_mov_b32_dpp v31, v28 row_shr:8 row_mask:0xf bank_mask:0xf
	v_cndmask_b32_e32 v27, v27, v32, vcc
	v_cndmask_b32_e32 v29, v29, v33, vcc
	s_and_b64 vcc, vcc, s[28:29]
	v_cndmask_b32_e32 v30, 0, v31, vcc
	v_add_u32_e32 v28, v30, v28
	v_mov_b32_dpp v31, v29 row_bcast:15 row_mask:0xf bank_mask:0xf
	v_cmp_eq_u16_sdwa vcc, v27, v26 src0_sel:BYTE_0 src1_sel:DWORD
	v_mov_b32_dpp v30, v28 row_bcast:15 row_mask:0xf bank_mask:0xf
	v_and_b32_e32 v34, 1, v27
	v_cndmask_b32_e32 v30, 0, v30, vcc
	v_and_b32_e32 v31, 1, v31
	v_cmp_eq_u32_e32 vcc, 1, v34
	v_and_b32_e32 v33, 16, v48
	v_cndmask_b32_e64 v31, v31, 1, vcc
	v_and_b32_e32 v34, 0xffff, v31
	v_cmp_eq_u32_e32 vcc, 0, v33
	v_cndmask_b32_e32 v27, v31, v27, vcc
	v_cndmask_b32_e32 v29, v34, v29, vcc
	v_bfe_i32 v32, v48, 4, 1
	v_cmp_eq_u16_sdwa s[28:29], v27, v26 src0_sel:BYTE_0 src1_sel:DWORD
	v_mov_b32_dpp v29, v29 row_bcast:31 row_mask:0xf bank_mask:0xf
	v_and_b32_e32 v26, 1, v27
	v_and_b32_e32 v30, v32, v30
	;; [unrolled: 1-line block ×3, first 2 shown]
	v_cmp_eq_u32_e32 vcc, 1, v26
	v_add_u32_e32 v28, v30, v28
	v_cndmask_b32_e64 v26, v29, 1, vcc
	v_cmp_lt_u32_e32 vcc, 31, v48
	v_mov_b32_dpp v30, v28 row_bcast:31 row_mask:0xf bank_mask:0xf
	v_cndmask_b32_e32 v29, v27, v26, vcc
	s_and_b64 vcc, vcc, s[28:29]
	v_cndmask_b32_e32 v26, 0, v30, vcc
	v_add_u32_e32 v28, v26, v28
	v_cmp_eq_u32_e32 vcc, v53, v0
	s_and_saveexec_b64 s[28:29], vcc
	s_cbranch_execz .LBB2263_91
; %bb.90:
	v_lshlrev_b32_e32 v26, 3, v1
	ds_write_b32 v26, v28
	ds_write_b8 v26, v29 offset:4
.LBB2263_91:
	s_or_b64 exec, exec, s[28:29]
	v_cmp_gt_u32_e32 vcc, 4, v0
	s_waitcnt lgkmcnt(0)
	s_barrier
	s_and_saveexec_b64 s[28:29], vcc
	s_cbranch_execz .LBB2263_95
; %bb.92:
	v_lshlrev_b32_e32 v30, 3, v0
	ds_read_b64 v[26:27], v30
	v_and_b32_e32 v31, 3, v48
	v_cmp_ne_u32_e32 vcc, 0, v31
	s_waitcnt lgkmcnt(0)
	v_mov_b32_dpp v32, v26 row_shr:1 row_mask:0xf bank_mask:0xf
	v_mov_b32_dpp v34, v27 row_shr:1 row_mask:0xf bank_mask:0xf
	v_mov_b32_e32 v33, v27
	s_and_saveexec_b64 s[30:31], vcc
	s_cbranch_execz .LBB2263_94
; %bb.93:
	v_and_b32_e32 v33, 1, v27
	v_and_b32_e32 v34, 1, v34
	v_cmp_eq_u32_e32 vcc, 1, v33
	v_mov_b32_e32 v33, 0
	v_cndmask_b32_e64 v34, v34, 1, vcc
	v_cmp_eq_u16_sdwa vcc, v27, v33 src0_sel:BYTE_0 src1_sel:DWORD
	v_cndmask_b32_e32 v32, 0, v32, vcc
	v_add_u32_e32 v26, v32, v26
	v_and_b32_e32 v32, 0xffff, v34
	s_movk_i32 s36, 0xff00
	v_and_or_b32 v33, v27, s36, v32
	v_mov_b32_e32 v27, v34
.LBB2263_94:
	s_or_b64 exec, exec, s[30:31]
	v_mov_b32_dpp v33, v33 row_shr:2 row_mask:0xf bank_mask:0xf
	v_and_b32_e32 v34, 1, v27
	v_and_b32_e32 v33, 1, v33
	v_cmp_eq_u32_e32 vcc, 1, v34
	v_mov_b32_e32 v34, 0
	v_cndmask_b32_e64 v33, v33, 1, vcc
	v_cmp_eq_u16_sdwa s[30:31], v27, v34 src0_sel:BYTE_0 src1_sel:DWORD
	v_cmp_lt_u32_e32 vcc, 1, v31
	v_mov_b32_dpp v32, v26 row_shr:2 row_mask:0xf bank_mask:0xf
	v_cndmask_b32_e32 v27, v27, v33, vcc
	s_and_b64 vcc, vcc, s[30:31]
	v_cndmask_b32_e32 v31, 0, v32, vcc
	v_add_u32_e32 v26, v31, v26
	ds_write_b32 v30, v26
	ds_write_b8 v30, v27 offset:4
.LBB2263_95:
	s_or_b64 exec, exec, s[28:29]
	v_cmp_gt_u32_e32 vcc, 64, v0
	v_cmp_lt_u32_e64 s[28:29], 63, v0
	v_mov_b32_e32 v44, 0
	v_mov_b32_e32 v45, 0
	s_waitcnt lgkmcnt(0)
	s_barrier
	s_and_saveexec_b64 s[30:31], s[28:29]
	s_cbranch_execz .LBB2263_97
; %bb.96:
	v_lshl_add_u32 v26, v1, 3, -8
	ds_read_b32 v44, v26
	ds_read_u8 v45, v26 offset:4
	v_mov_b32_e32 v27, 0
	v_and_b32_e32 v30, 1, v29
	v_cmp_eq_u16_sdwa s[28:29], v29, v27 src0_sel:BYTE_0 src1_sel:DWORD
	s_waitcnt lgkmcnt(1)
	v_cndmask_b32_e64 v26, 0, v44, s[28:29]
	v_cmp_eq_u32_e64 s[28:29], 1, v30
	v_add_u32_e32 v28, v26, v28
	s_waitcnt lgkmcnt(0)
	v_cndmask_b32_e64 v29, v45, 1, s[28:29]
.LBB2263_97:
	s_or_b64 exec, exec, s[30:31]
	v_and_b32_e32 v26, 0xff, v29
	v_add_u32_e32 v27, -1, v48
	v_and_b32_e32 v29, 64, v48
	v_cmp_lt_i32_e64 s[28:29], v27, v29
	v_cndmask_b32_e64 v27, v27, v48, s[28:29]
	v_lshlrev_b32_e32 v27, 2, v27
	ds_bpermute_b32 v46, v27, v28
	ds_bpermute_b32 v47, v27, v26
	v_cmp_eq_u32_e64 s[28:29], 0, v48
	s_and_saveexec_b64 s[36:37], vcc
	s_cbranch_execz .LBB2263_116
; %bb.98:
	v_mov_b32_e32 v29, 0
	ds_read_b64 v[26:27], v29 offset:24
	s_waitcnt lgkmcnt(0)
	v_readfirstlane_b32 s48, v27
	s_and_saveexec_b64 s[30:31], s[28:29]
	s_cbranch_execz .LBB2263_100
; %bb.99:
	s_add_i32 s38, s47, 64
	s_mov_b32 s39, 0
	s_lshl_b64 s[40:41], s[38:39], 4
	s_add_u32 s40, s44, s40
	s_addc_u32 s41, s45, s41
	s_and_b32 s57, s48, 0xff000000
	s_mov_b32 s56, s39
	s_and_b32 s59, s48, 0xff0000
	s_mov_b32 s58, s39
	s_or_b64 s[56:57], s[58:59], s[56:57]
	s_and_b32 s59, s48, 0xff00
	s_or_b64 s[56:57], s[56:57], s[58:59]
	s_and_b32 s59, s48, 0xff
	s_or_b64 s[38:39], s[56:57], s[58:59]
	v_mov_b32_e32 v27, s39
	v_mov_b32_e32 v28, 1
	v_pk_mov_b32 v[30:31], s[40:41], s[40:41] op_sel:[0,1]
	;;#ASMSTART
	global_store_dwordx4 v[30:31], v[26:29] off	
s_waitcnt vmcnt(0)
	;;#ASMEND
.LBB2263_100:
	s_or_b64 exec, exec, s[30:31]
	v_xad_u32 v34, v48, -1, s47
	v_add_u32_e32 v28, 64, v34
	v_lshlrev_b64 v[30:31], 4, v[28:29]
	v_mov_b32_e32 v27, s45
	v_add_co_u32_e32 v36, vcc, s44, v30
	v_addc_co_u32_e32 v37, vcc, v27, v31, vcc
	;;#ASMSTART
	global_load_dwordx4 v[30:33], v[36:37] off glc	
s_waitcnt vmcnt(0)
	;;#ASMEND
	v_and_b32_e32 v27, 0xff0000, v30
	v_or_b32_sdwa v27, v30, v27 dst_sel:DWORD dst_unused:UNUSED_PAD src0_sel:WORD_0 src1_sel:DWORD
	v_and_b32_e32 v28, 0xff000000, v30
	v_and_b32_e32 v30, 0xff, v31
	v_or3_b32 v31, 0, 0, v30
	v_or3_b32 v30, v27, v28, 0
	v_cmp_eq_u16_sdwa s[38:39], v32, v29 src0_sel:BYTE_0 src1_sel:DWORD
	s_and_saveexec_b64 s[30:31], s[38:39]
	s_cbranch_execz .LBB2263_104
; %bb.101:
	s_mov_b64 s[38:39], 0
	v_mov_b32_e32 v27, 0
.LBB2263_102:                           ; =>This Inner Loop Header: Depth=1
	;;#ASMSTART
	global_load_dwordx4 v[30:33], v[36:37] off glc	
s_waitcnt vmcnt(0)
	;;#ASMEND
	v_cmp_ne_u16_sdwa s[40:41], v32, v27 src0_sel:BYTE_0 src1_sel:DWORD
	s_or_b64 s[38:39], s[40:41], s[38:39]
	s_andn2_b64 exec, exec, s[38:39]
	s_cbranch_execnz .LBB2263_102
; %bb.103:
	s_or_b64 exec, exec, s[38:39]
	v_and_b32_e32 v31, 0xff, v31
.LBB2263_104:
	s_or_b64 exec, exec, s[30:31]
	v_mov_b32_e32 v27, 2
	v_cmp_eq_u16_sdwa s[30:31], v32, v27 src0_sel:BYTE_0 src1_sel:DWORD
	v_lshlrev_b64 v[28:29], v48, -1
	v_and_b32_e32 v33, s31, v29
	v_or_b32_e32 v33, 0x80000000, v33
	v_and_b32_e32 v35, s30, v28
	v_ffbl_b32_e32 v33, v33
	v_and_b32_e32 v49, 63, v48
	v_add_u32_e32 v33, 32, v33
	v_ffbl_b32_e32 v35, v35
	v_cmp_ne_u32_e32 vcc, 63, v49
	v_min_u32_e32 v33, v35, v33
	v_addc_co_u32_e32 v35, vcc, 0, v48, vcc
	v_lshlrev_b32_e32 v50, 2, v35
	ds_bpermute_b32 v35, v50, v31
	ds_bpermute_b32 v36, v50, v30
	s_mov_b32 s38, 0
	v_and_b32_e32 v37, 1, v31
	s_mov_b32 s39, 1
	s_waitcnt lgkmcnt(1)
	v_and_b32_e32 v35, 1, v35
	v_cmp_eq_u32_e32 vcc, 1, v37
	v_cndmask_b32_e64 v35, v35, 1, vcc
	v_cmp_gt_u64_e32 vcc, s[38:39], v[30:31]
	v_cmp_lt_u32_e64 s[30:31], v49, v33
	s_and_b64 vcc, s[30:31], vcc
	v_and_b32_e32 v37, 0xffff, v35
	v_cndmask_b32_e64 v56, v31, v35, s[30:31]
	s_waitcnt lgkmcnt(0)
	v_cndmask_b32_e32 v35, 0, v36, vcc
	v_cmp_gt_u32_e32 vcc, 62, v49
	v_cndmask_b32_e64 v36, 0, 1, vcc
	v_lshlrev_b32_e32 v36, 1, v36
	v_cndmask_b32_e64 v31, v31, v37, s[30:31]
	v_add_lshl_u32 v51, v36, v48, 2
	ds_bpermute_b32 v36, v51, v31
	v_add_u32_e32 v30, v35, v30
	ds_bpermute_b32 v37, v51, v30
	v_and_b32_e32 v35, 1, v56
	v_cmp_eq_u32_e32 vcc, 1, v35
	s_waitcnt lgkmcnt(1)
	v_and_b32_e32 v36, 1, v36
	v_mov_b32_e32 v35, 0
	v_add_u32_e32 v55, 2, v49
	v_cndmask_b32_e64 v36, v36, 1, vcc
	v_cmp_eq_u16_sdwa vcc, v56, v35 src0_sel:BYTE_0 src1_sel:DWORD
	v_and_b32_e32 v57, 0xffff, v36
	s_waitcnt lgkmcnt(0)
	v_cndmask_b32_e32 v37, 0, v37, vcc
	v_cmp_gt_u32_e32 vcc, v55, v33
	v_cndmask_b32_e32 v36, v36, v56, vcc
	v_cndmask_b32_e64 v37, v37, 0, vcc
	v_cndmask_b32_e32 v31, v57, v31, vcc
	v_cmp_gt_u32_e32 vcc, 60, v49
	v_cndmask_b32_e64 v56, 0, 1, vcc
	v_lshlrev_b32_e32 v56, 2, v56
	v_add_lshl_u32 v56, v56, v48, 2
	ds_bpermute_b32 v58, v56, v31
	v_add_u32_e32 v30, v37, v30
	ds_bpermute_b32 v37, v56, v30
	v_and_b32_e32 v59, 1, v36
	v_cmp_eq_u32_e32 vcc, 1, v59
	s_waitcnt lgkmcnt(1)
	v_and_b32_e32 v58, 1, v58
	v_add_u32_e32 v57, 4, v49
	v_cndmask_b32_e64 v58, v58, 1, vcc
	v_cmp_eq_u16_sdwa vcc, v36, v35 src0_sel:BYTE_0 src1_sel:DWORD
	v_and_b32_e32 v59, 0xffff, v58
	s_waitcnt lgkmcnt(0)
	v_cndmask_b32_e32 v37, 0, v37, vcc
	v_cmp_gt_u32_e32 vcc, v57, v33
	v_cndmask_b32_e32 v36, v58, v36, vcc
	v_cndmask_b32_e64 v37, v37, 0, vcc
	v_cndmask_b32_e32 v31, v59, v31, vcc
	v_cmp_gt_u32_e32 vcc, 56, v49
	v_cndmask_b32_e64 v58, 0, 1, vcc
	v_lshlrev_b32_e32 v58, 3, v58
	v_add_lshl_u32 v58, v58, v48, 2
	ds_bpermute_b32 v60, v58, v31
	v_add_u32_e32 v30, v37, v30
	ds_bpermute_b32 v37, v58, v30
	v_and_b32_e32 v61, 1, v36
	v_cmp_eq_u32_e32 vcc, 1, v61
	s_waitcnt lgkmcnt(1)
	v_and_b32_e32 v60, 1, v60
	;; [unrolled: 21-line block ×4, first 2 shown]
	v_add_u32_e32 v64, 32, v49
	v_cndmask_b32_e64 v31, v31, 1, vcc
	v_cmp_eq_u16_sdwa vcc, v36, v35 src0_sel:BYTE_0 src1_sel:DWORD
	s_waitcnt lgkmcnt(0)
	v_cndmask_b32_e32 v37, 0, v37, vcc
	v_cmp_gt_u32_e32 vcc, v64, v33
	v_cndmask_b32_e64 v33, v37, 0, vcc
	v_cndmask_b32_e32 v31, v31, v36, vcc
	v_add_u32_e32 v30, v33, v30
	s_branch .LBB2263_106
.LBB2263_105:                           ;   in Loop: Header=BB2263_106 Depth=1
	s_or_b64 exec, exec, s[30:31]
	v_cmp_eq_u16_sdwa s[30:31], v32, v27 src0_sel:BYTE_0 src1_sel:DWORD
	v_and_b32_e32 v33, s31, v29
	ds_bpermute_b32 v37, v50, v31
	v_or_b32_e32 v33, 0x80000000, v33
	v_and_b32_e32 v36, s30, v28
	v_ffbl_b32_e32 v33, v33
	v_add_u32_e32 v33, 32, v33
	v_ffbl_b32_e32 v36, v36
	v_min_u32_e32 v33, v36, v33
	ds_bpermute_b32 v36, v50, v30
	v_and_b32_e32 v65, 1, v31
	s_waitcnt lgkmcnt(1)
	v_and_b32_e32 v37, 1, v37
	v_cmp_eq_u32_e32 vcc, 1, v65
	v_cndmask_b32_e64 v37, v37, 1, vcc
	v_cmp_gt_u64_e32 vcc, s[38:39], v[30:31]
	v_and_b32_e32 v65, 0xffff, v37
	v_cmp_lt_u32_e64 s[30:31], v49, v33
	v_cndmask_b32_e64 v37, v31, v37, s[30:31]
	v_cndmask_b32_e64 v31, v31, v65, s[30:31]
	s_and_b64 vcc, s[30:31], vcc
	ds_bpermute_b32 v65, v51, v31
	s_waitcnt lgkmcnt(1)
	v_cndmask_b32_e32 v36, 0, v36, vcc
	v_add_u32_e32 v30, v36, v30
	ds_bpermute_b32 v36, v51, v30
	v_and_b32_e32 v66, 1, v37
	s_waitcnt lgkmcnt(1)
	v_and_b32_e32 v65, 1, v65
	v_cmp_eq_u32_e32 vcc, 1, v66
	v_cndmask_b32_e64 v65, v65, 1, vcc
	v_cmp_eq_u16_sdwa vcc, v37, v35 src0_sel:BYTE_0 src1_sel:DWORD
	v_and_b32_e32 v66, 0xffff, v65
	s_waitcnt lgkmcnt(0)
	v_cndmask_b32_e32 v36, 0, v36, vcc
	v_cmp_gt_u32_e32 vcc, v55, v33
	v_cndmask_b32_e32 v31, v66, v31, vcc
	v_cndmask_b32_e32 v37, v65, v37, vcc
	ds_bpermute_b32 v65, v56, v31
	v_cndmask_b32_e64 v36, v36, 0, vcc
	v_add_u32_e32 v30, v36, v30
	ds_bpermute_b32 v36, v56, v30
	v_and_b32_e32 v66, 1, v37
	s_waitcnt lgkmcnt(1)
	v_and_b32_e32 v65, 1, v65
	v_cmp_eq_u32_e32 vcc, 1, v66
	v_cndmask_b32_e64 v65, v65, 1, vcc
	v_cmp_eq_u16_sdwa vcc, v37, v35 src0_sel:BYTE_0 src1_sel:DWORD
	v_and_b32_e32 v66, 0xffff, v65
	s_waitcnt lgkmcnt(0)
	v_cndmask_b32_e32 v36, 0, v36, vcc
	v_cmp_gt_u32_e32 vcc, v57, v33
	v_cndmask_b32_e32 v31, v66, v31, vcc
	v_cndmask_b32_e32 v37, v65, v37, vcc
	ds_bpermute_b32 v65, v58, v31
	v_cndmask_b32_e64 v36, v36, 0, vcc
	;; [unrolled: 16-line block ×3, first 2 shown]
	v_add_u32_e32 v30, v36, v30
	ds_bpermute_b32 v36, v60, v30
	v_and_b32_e32 v66, 1, v37
	s_waitcnt lgkmcnt(1)
	v_and_b32_e32 v65, 1, v65
	v_cmp_eq_u32_e32 vcc, 1, v66
	v_cndmask_b32_e64 v65, v65, 1, vcc
	v_cmp_eq_u16_sdwa vcc, v37, v35 src0_sel:BYTE_0 src1_sel:DWORD
	v_and_b32_e32 v66, 0xffff, v65
	s_waitcnt lgkmcnt(0)
	v_cndmask_b32_e32 v36, 0, v36, vcc
	v_cmp_gt_u32_e32 vcc, v61, v33
	v_cndmask_b32_e64 v36, v36, 0, vcc
	v_cndmask_b32_e32 v31, v66, v31, vcc
	ds_bpermute_b32 v31, v63, v31
	v_add_u32_e32 v30, v36, v30
	ds_bpermute_b32 v36, v63, v30
	v_cndmask_b32_e32 v37, v65, v37, vcc
	v_and_b32_e32 v65, 1, v37
	v_cmp_eq_u32_e32 vcc, 1, v65
	s_waitcnt lgkmcnt(1)
	v_cndmask_b32_e64 v31, v31, 1, vcc
	v_cmp_eq_u16_sdwa vcc, v37, v35 src0_sel:BYTE_0 src1_sel:DWORD
	s_waitcnt lgkmcnt(0)
	v_cndmask_b32_e32 v36, 0, v36, vcc
	v_cmp_gt_u32_e32 vcc, v64, v33
	v_cndmask_b32_e64 v33, v36, 0, vcc
	v_cndmask_b32_e32 v31, v31, v37, vcc
	v_add_u32_e32 v30, v33, v30
	v_cmp_eq_u16_sdwa vcc, v48, v35 src0_sel:BYTE_0 src1_sel:DWORD
	v_and_b32_e32 v33, 1, v48
	v_cndmask_b32_e32 v30, 0, v30, vcc
	v_and_b32_e32 v31, 1, v31
	v_cmp_eq_u32_e32 vcc, 1, v33
	v_subrev_u32_e32 v34, 64, v34
	v_add_u32_e32 v30, v30, v62
	v_cndmask_b32_e64 v31, v31, 1, vcc
.LBB2263_106:                           ; =>This Loop Header: Depth=1
                                        ;     Child Loop BB2263_109 Depth 2
	v_cmp_ne_u16_sdwa s[30:31], v32, v27 src0_sel:BYTE_0 src1_sel:DWORD
	v_mov_b32_e32 v48, v31
	v_cndmask_b32_e64 v31, 0, 1, s[30:31]
	;;#ASMSTART
	;;#ASMEND
	v_cmp_ne_u32_e32 vcc, 0, v31
	s_cmp_lg_u64 vcc, exec
	v_mov_b32_e32 v62, v30
	s_cbranch_scc1 .LBB2263_111
; %bb.107:                              ;   in Loop: Header=BB2263_106 Depth=1
	v_lshlrev_b64 v[30:31], 4, v[34:35]
	v_mov_b32_e32 v32, s45
	v_add_co_u32_e32 v36, vcc, s44, v30
	v_addc_co_u32_e32 v37, vcc, v32, v31, vcc
	;;#ASMSTART
	global_load_dwordx4 v[30:33], v[36:37] off glc	
s_waitcnt vmcnt(0)
	;;#ASMEND
	v_and_b32_e32 v33, 0xff0000, v30
	v_or_b32_sdwa v33, v30, v33 dst_sel:DWORD dst_unused:UNUSED_PAD src0_sel:WORD_0 src1_sel:DWORD
	v_and_b32_e32 v30, 0xff000000, v30
	v_and_b32_e32 v31, 0xff, v31
	v_or3_b32 v31, 0, 0, v31
	v_or3_b32 v30, v33, v30, 0
	v_cmp_eq_u16_sdwa s[40:41], v32, v35 src0_sel:BYTE_0 src1_sel:DWORD
	s_and_saveexec_b64 s[30:31], s[40:41]
	s_cbranch_execz .LBB2263_105
; %bb.108:                              ;   in Loop: Header=BB2263_106 Depth=1
	s_mov_b64 s[40:41], 0
.LBB2263_109:                           ;   Parent Loop BB2263_106 Depth=1
                                        ; =>  This Inner Loop Header: Depth=2
	;;#ASMSTART
	global_load_dwordx4 v[30:33], v[36:37] off glc	
s_waitcnt vmcnt(0)
	;;#ASMEND
	v_cmp_ne_u16_sdwa s[56:57], v32, v35 src0_sel:BYTE_0 src1_sel:DWORD
	s_or_b64 s[40:41], s[56:57], s[40:41]
	s_andn2_b64 exec, exec, s[40:41]
	s_cbranch_execnz .LBB2263_109
; %bb.110:                              ;   in Loop: Header=BB2263_106 Depth=1
	s_or_b64 exec, exec, s[40:41]
	v_and_b32_e32 v31, 0xff, v31
	s_branch .LBB2263_105
.LBB2263_111:                           ;   in Loop: Header=BB2263_106 Depth=1
                                        ; implicit-def: $vgpr31
                                        ; implicit-def: $vgpr30
                                        ; implicit-def: $vgpr32
	s_cbranch_execz .LBB2263_106
; %bb.112:
	s_and_saveexec_b64 s[30:31], s[28:29]
	s_cbranch_execz .LBB2263_114
; %bb.113:
	s_and_b32 s38, s48, 0xff
	s_cmp_eq_u32 s38, 0
	s_cselect_b64 vcc, -1, 0
	s_bitcmp1_b32 s48, 0
	s_mov_b32 s39, 0
	s_cselect_b64 s[40:41], -1, 0
	s_add_i32 s38, s47, 64
	s_lshl_b64 s[38:39], s[38:39], 4
	v_cndmask_b32_e32 v27, 0, v62, vcc
	s_add_u32 s38, s44, s38
	v_add_u32_e32 v26, v27, v26
	v_and_b32_e32 v27, 1, v48
	s_addc_u32 s39, s45, s39
	v_mov_b32_e32 v29, 0
	v_cndmask_b32_e64 v27, v27, 1, s[40:41]
	v_mov_b32_e32 v28, 2
	v_pk_mov_b32 v[30:31], s[38:39], s[38:39] op_sel:[0,1]
	;;#ASMSTART
	global_store_dwordx4 v[30:31], v[26:29] off	
s_waitcnt vmcnt(0)
	;;#ASMEND
.LBB2263_114:
	s_or_b64 exec, exec, s[30:31]
	s_and_b64 exec, exec, s[0:1]
	s_cbranch_execz .LBB2263_116
; %bb.115:
	v_mov_b32_e32 v26, 0
	ds_write_b32 v26, v62 offset:24
	ds_write_b8 v26, v48 offset:28
.LBB2263_116:
	s_or_b64 exec, exec, s[36:37]
	v_mov_b32_e32 v28, 0
	s_waitcnt lgkmcnt(0)
	s_barrier
	ds_read_b32 v26, v28 offset:24
	v_cndmask_b32_e64 v27, v47, v45, s[28:29]
	v_cmp_eq_u16_sdwa vcc, v27, v28 src0_sel:BYTE_0 src1_sel:DWORD
	v_cndmask_b32_e64 v29, v46, v44, s[28:29]
	s_waitcnt lgkmcnt(0)
	v_cndmask_b32_e32 v27, 0, v26, vcc
	v_add_u32_e32 v27, v27, v29
	v_and_b32_e32 v29, 0xff, v41
	v_cndmask_b32_e64 v26, v27, v26, s[0:1]
	v_cmp_eq_u64_e32 vcc, 0, v[28:29]
	v_cndmask_b32_e32 v27, 0, v26, vcc
	v_add_u32_e32 v27, v27, v40
	v_cndmask_b32_e64 v28, 0, v27, s[4:5]
	v_add_u32_e32 v44, v28, v8
	v_cndmask_b32_e64 v28, 0, v44, s[6:7]
	;; [unrolled: 2-line block ×12, first 2 shown]
	v_add_u32_e32 v51, v28, v24
	s_branch .LBB2263_143
.LBB2263_117:
	s_or_b64 exec, exec, s[30:31]
                                        ; implicit-def: $vgpr14
	s_and_saveexec_b64 s[30:31], s[4:5]
	s_cbranch_execz .LBB2263_37
.LBB2263_118:
	v_add_co_u32_e32 v14, vcc, v1, v12
	v_addc_co_u32_e32 v15, vcc, 0, v48, vcc
	flat_load_dword v14, v[14:15] offset:1024
	s_or_b64 exec, exec, s[30:31]
                                        ; implicit-def: $vgpr15
	s_and_saveexec_b64 s[4:5], s[6:7]
	s_cbranch_execnz .LBB2263_38
.LBB2263_119:
	s_or_b64 exec, exec, s[4:5]
                                        ; implicit-def: $vgpr16
	s_and_saveexec_b64 s[4:5], s[8:9]
	s_cbranch_execz .LBB2263_39
.LBB2263_120:
	v_add_co_u32_e32 v16, vcc, v1, v12
	v_addc_co_u32_e32 v17, vcc, 0, v48, vcc
	flat_load_dword v16, v[16:17] offset:3072
	s_or_b64 exec, exec, s[4:5]
                                        ; implicit-def: $vgpr17
	s_and_saveexec_b64 s[4:5], s[10:11]
	s_cbranch_execnz .LBB2263_40
.LBB2263_121:
	s_or_b64 exec, exec, s[4:5]
                                        ; implicit-def: $vgpr2
	s_and_saveexec_b64 s[4:5], s[12:13]
	s_cbranch_execz .LBB2263_41
.LBB2263_122:
	v_add_co_u32_e32 v2, vcc, v1, v3
	v_addc_co_u32_e32 v3, vcc, 0, v48, vcc
	flat_load_dword v2, v[2:3]
	s_or_b64 exec, exec, s[4:5]
                                        ; implicit-def: $vgpr3
	s_and_saveexec_b64 s[4:5], s[14:15]
	s_cbranch_execnz .LBB2263_42
.LBB2263_123:
	s_or_b64 exec, exec, s[4:5]
                                        ; implicit-def: $vgpr4
	s_and_saveexec_b64 s[4:5], s[16:17]
	s_cbranch_execz .LBB2263_43
.LBB2263_124:
	v_add_co_u32_e32 v4, vcc, v1, v5
	v_addc_co_u32_e32 v5, vcc, 0, v48, vcc
	flat_load_dword v4, v[4:5]
	s_or_b64 exec, exec, s[4:5]
                                        ; implicit-def: $vgpr5
	s_and_saveexec_b64 s[4:5], s[18:19]
	s_cbranch_execnz .LBB2263_44
.LBB2263_125:
	s_or_b64 exec, exec, s[4:5]
                                        ; implicit-def: $vgpr6
	s_and_saveexec_b64 s[4:5], s[20:21]
	s_cbranch_execz .LBB2263_45
.LBB2263_126:
	v_add_co_u32_e32 v6, vcc, v1, v7
	v_addc_co_u32_e32 v7, vcc, 0, v48, vcc
	flat_load_dword v6, v[6:7]
	s_or_b64 exec, exec, s[4:5]
                                        ; implicit-def: $vgpr7
	s_and_saveexec_b64 s[4:5], s[22:23]
	s_cbranch_execnz .LBB2263_46
.LBB2263_127:
	s_or_b64 exec, exec, s[4:5]
                                        ; implicit-def: $vgpr8
	s_and_saveexec_b64 s[4:5], s[24:25]
	s_cbranch_execz .LBB2263_47
.LBB2263_128:
	v_add_co_u32_e32 v8, vcc, v1, v9
	v_addc_co_u32_e32 v9, vcc, 0, v48, vcc
	flat_load_dword v8, v[8:9]
	s_or_b64 exec, exec, s[4:5]
                                        ; implicit-def: $vgpr9
	s_and_saveexec_b64 s[4:5], s[26:27]
	s_cbranch_execz .LBB2263_49
	s_branch .LBB2263_48
.LBB2263_129:
                                        ; implicit-def: $vgpr51
                                        ; implicit-def: $vgpr49
                                        ; implicit-def: $vgpr47
                                        ; implicit-def: $vgpr45
                                        ; implicit-def: $vgpr34_vgpr35_vgpr36_vgpr37
                                        ; implicit-def: $vgpr30_vgpr31_vgpr32_vgpr33
                                        ; implicit-def: $vgpr26_vgpr27_vgpr28_vgpr29
	s_cbranch_execz .LBB2263_143
; %bb.130:
	s_cmp_lg_u64 s[52:53], 0
	s_cselect_b32 s5, s51, 0
	s_cselect_b32 s4, s50, 0
	s_mov_b32 s26, 0
	s_cmp_eq_u64 s[4:5], 0
	v_mov_b32_e32 v32, s54
	s_cbranch_scc1 .LBB2263_132
; %bb.131:
	v_mov_b32_e32 v26, 0
	global_load_dword v32, v26, s[4:5]
.LBB2263_132:
	s_mov_b32 s27, 1
	v_cmp_gt_u64_e32 vcc, s[26:27], v[8:9]
	v_cndmask_b32_e32 v27, 0, v40, vcc
	v_add_u32_e32 v27, v27, v8
	v_cmp_gt_u64_e64 s[4:5], s[26:27], v[6:7]
	v_cndmask_b32_e64 v27, 0, v27, s[4:5]
	v_add_u32_e32 v27, v27, v6
	v_cmp_gt_u64_e64 s[6:7], s[26:27], v[4:5]
	v_cndmask_b32_e64 v27, 0, v27, s[6:7]
	;; [unrolled: 3-line block ×11, first 2 shown]
	v_mov_b32_e32 v26, 0
	v_add_u32_e32 v27, v27, v24
	v_cmp_gt_u64_e64 s[26:27], s[26:27], v[42:43]
	v_or3_b32 v7, v23, v15, v7
	v_cndmask_b32_e64 v27, 0, v27, s[26:27]
	v_or3_b32 v9, v25, v17, v9
	v_and_b32_e32 v35, 1, v7
	v_mov_b32_e32 v34, v26
	v_add_u32_e32 v33, v27, v42
	v_and_b32_e32 v27, 1, v43
	v_or3_b32 v3, v19, v11, v3
	v_and_b32_e32 v31, 1, v9
	v_mov_b32_e32 v30, v26
	v_cmp_ne_u64_e64 s[28:29], 0, v[34:35]
	v_cmp_eq_u32_e64 s[26:27], 1, v27
	v_or3_b32 v5, v21, v13, v5
	v_and_b32_e32 v27, 1, v3
	v_cndmask_b32_e64 v3, 0, 1, s[28:29]
	v_cmp_ne_u64_e64 s[28:29], 0, v[30:31]
	v_and_b32_e32 v29, 1, v5
	v_mov_b32_e32 v28, v26
	v_cndmask_b32_e64 v5, 0, 1, s[28:29]
	v_lshlrev_b16_e32 v3, 2, v3
	v_lshlrev_b16_e32 v5, 3, v5
	v_cmp_ne_u64_e64 s[28:29], 0, v[28:29]
	v_or_b32_e32 v3, v5, v3
	v_cndmask_b32_e64 v5, 0, 1, s[28:29]
	v_cmp_ne_u64_e64 s[28:29], 0, v[26:27]
	v_lshlrev_b16_e32 v5, 1, v5
	v_cndmask_b32_e64 v7, 0, 1, s[28:29]
	v_or_b32_e32 v5, v7, v5
	v_and_b32_e32 v5, 3, v5
	v_or_b32_e32 v3, v5, v3
	v_and_b32_e32 v3, 15, v3
	v_cmp_ne_u16_e64 s[28:29], 0, v3
	s_or_b64 s[26:27], s[26:27], s[28:29]
	v_cndmask_b32_e64 v5, v41, 1, s[26:27]
	v_and_b32_e32 v7, 0xff, v5
	v_mov_b32_dpp v11, v33 row_shr:1 row_mask:0xf bank_mask:0xf
	v_cmp_eq_u16_e64 s[26:27], 0, v7
	v_mov_b32_dpp v13, v7 row_shr:1 row_mask:0xf bank_mask:0xf
	v_and_b32_e32 v15, 1, v5
	v_mbcnt_hi_u32_b32 v3, -1, v54
	v_cndmask_b32_e64 v11, 0, v11, s[26:27]
	v_and_b32_e32 v13, 1, v13
	v_cmp_eq_u32_e64 s[26:27], 1, v15
	v_and_b32_e32 v9, 15, v3
	v_cndmask_b32_e64 v13, v13, 1, s[26:27]
	v_and_b32_e32 v15, 0xffff, v13
	v_cmp_eq_u32_e64 s[26:27], 0, v9
	v_cndmask_b32_e64 v5, v13, v5, s[26:27]
	v_cndmask_b32_e64 v7, v15, v7, s[26:27]
	v_and_b32_e32 v17, 1, v5
	v_cndmask_b32_e64 v11, v11, 0, s[26:27]
	v_mov_b32_dpp v15, v7 row_shr:2 row_mask:0xf bank_mask:0xf
	v_and_b32_e32 v15, 1, v15
	v_cmp_eq_u32_e64 s[26:27], 1, v17
	v_cndmask_b32_e64 v15, v15, 1, s[26:27]
	v_and_b32_e32 v17, 0xffff, v15
	v_cmp_lt_u32_e64 s[26:27], 1, v9
	v_add_u32_e32 v11, v11, v33
	v_cmp_eq_u16_sdwa s[28:29], v5, v26 src0_sel:BYTE_0 src1_sel:DWORD
	v_cndmask_b32_e64 v5, v5, v15, s[26:27]
	v_cndmask_b32_e64 v7, v7, v17, s[26:27]
	v_mov_b32_dpp v13, v11 row_shr:2 row_mask:0xf bank_mask:0xf
	s_and_b64 s[26:27], s[26:27], s[28:29]
	v_mov_b32_dpp v15, v7 row_shr:4 row_mask:0xf bank_mask:0xf
	v_and_b32_e32 v17, 1, v5
	v_cndmask_b32_e64 v13, 0, v13, s[26:27]
	v_and_b32_e32 v15, 1, v15
	v_cmp_eq_u32_e64 s[26:27], 1, v17
	v_cndmask_b32_e64 v15, v15, 1, s[26:27]
	v_and_b32_e32 v17, 0xffff, v15
	v_cmp_lt_u32_e64 s[26:27], 3, v9
	v_add_u32_e32 v11, v13, v11
	v_cmp_eq_u16_sdwa s[28:29], v5, v26 src0_sel:BYTE_0 src1_sel:DWORD
	v_cndmask_b32_e64 v5, v5, v15, s[26:27]
	v_cndmask_b32_e64 v7, v7, v17, s[26:27]
	v_mov_b32_dpp v13, v11 row_shr:4 row_mask:0xf bank_mask:0xf
	s_and_b64 s[26:27], s[26:27], s[28:29]
	v_mov_b32_dpp v15, v7 row_shr:8 row_mask:0xf bank_mask:0xf
	v_and_b32_e32 v17, 1, v5
	v_cndmask_b32_e64 v13, 0, v13, s[26:27]
	v_and_b32_e32 v15, 1, v15
	v_cmp_eq_u32_e64 s[26:27], 1, v17
	v_cndmask_b32_e64 v15, v15, 1, s[26:27]
	v_add_u32_e32 v11, v13, v11
	v_cmp_eq_u16_sdwa s[28:29], v5, v26 src0_sel:BYTE_0 src1_sel:DWORD
	v_and_b32_e32 v17, 0xffff, v15
	v_cmp_lt_u32_e64 s[26:27], 7, v9
	v_mov_b32_dpp v13, v11 row_shr:8 row_mask:0xf bank_mask:0xf
	v_cndmask_b32_e64 v5, v5, v15, s[26:27]
	v_cndmask_b32_e64 v7, v7, v17, s[26:27]
	s_and_b64 s[26:27], s[26:27], s[28:29]
	v_cndmask_b32_e64 v9, 0, v13, s[26:27]
	v_add_u32_e32 v9, v9, v11
	v_mov_b32_dpp v13, v7 row_bcast:15 row_mask:0xf bank_mask:0xf
	v_cmp_eq_u16_sdwa s[26:27], v5, v26 src0_sel:BYTE_0 src1_sel:DWORD
	v_mov_b32_dpp v11, v9 row_bcast:15 row_mask:0xf bank_mask:0xf
	v_and_b32_e32 v19, 1, v5
	v_cndmask_b32_e64 v11, 0, v11, s[26:27]
	v_and_b32_e32 v13, 1, v13
	v_cmp_eq_u32_e64 s[26:27], 1, v19
	v_and_b32_e32 v17, 16, v3
	v_cndmask_b32_e64 v13, v13, 1, s[26:27]
	v_and_b32_e32 v19, 0xffff, v13
	v_cmp_eq_u32_e64 s[26:27], 0, v17
	v_cndmask_b32_e64 v5, v13, v5, s[26:27]
	v_cndmask_b32_e64 v7, v19, v7, s[26:27]
	v_bfe_i32 v15, v3, 4, 1
	v_and_b32_e32 v13, 1, v5
	v_mov_b32_dpp v7, v7 row_bcast:31 row_mask:0xf bank_mask:0xf
	v_and_b32_e32 v11, v15, v11
	v_and_b32_e32 v7, 1, v7
	v_cmp_eq_u32_e64 s[26:27], 1, v13
	v_add_u32_e32 v9, v11, v9
	v_cmp_eq_u16_sdwa s[28:29], v5, v26 src0_sel:BYTE_0 src1_sel:DWORD
	v_cndmask_b32_e64 v7, v7, 1, s[26:27]
	v_cmp_lt_u32_e64 s[26:27], 31, v3
	v_mov_b32_dpp v11, v9 row_bcast:31 row_mask:0xf bank_mask:0xf
	v_cndmask_b32_e64 v5, v5, v7, s[26:27]
	s_and_b64 s[26:27], s[26:27], s[28:29]
	v_cndmask_b32_e64 v7, 0, v11, s[26:27]
	v_add_u32_e32 v7, v7, v9
	v_cmp_eq_u32_e64 s[26:27], v53, v0
	s_and_saveexec_b64 s[28:29], s[26:27]
	s_cbranch_execz .LBB2263_134
; %bb.133:
	v_lshlrev_b32_e32 v9, 3, v1
	ds_write_b32 v9, v7
	ds_write_b8 v9, v5 offset:4
.LBB2263_134:
	s_or_b64 exec, exec, s[28:29]
	v_cmp_gt_u32_e64 s[26:27], 4, v0
	s_waitcnt lgkmcnt(0)
	s_barrier
	s_and_saveexec_b64 s[28:29], s[26:27]
	s_cbranch_execz .LBB2263_138
; %bb.135:
	v_lshlrev_b32_e32 v9, 3, v0
	ds_read_b64 v[26:27], v9
	v_and_b32_e32 v11, 3, v3
	v_cmp_ne_u32_e64 s[26:27], 0, v11
	s_waitcnt lgkmcnt(0)
	v_mov_b32_dpp v13, v26 row_shr:1 row_mask:0xf bank_mask:0xf
	v_mov_b32_dpp v17, v27 row_shr:1 row_mask:0xf bank_mask:0xf
	v_mov_b32_e32 v15, v27
	s_and_saveexec_b64 s[30:31], s[26:27]
	s_cbranch_execz .LBB2263_137
; %bb.136:
	v_and_b32_e32 v15, 1, v27
	v_and_b32_e32 v17, 1, v17
	v_cmp_eq_u32_e64 s[26:27], 1, v15
	v_mov_b32_e32 v15, 0
	v_cndmask_b32_e64 v17, v17, 1, s[26:27]
	v_cmp_eq_u16_sdwa s[26:27], v27, v15 src0_sel:BYTE_0 src1_sel:DWORD
	v_cndmask_b32_e64 v13, 0, v13, s[26:27]
	v_add_u32_e32 v26, v13, v26
	v_and_b32_e32 v13, 0xffff, v17
	s_movk_i32 s26, 0xff00
	v_and_or_b32 v15, v27, s26, v13
	v_mov_b32_e32 v27, v17
.LBB2263_137:
	s_or_b64 exec, exec, s[30:31]
	v_mov_b32_dpp v15, v15 row_shr:2 row_mask:0xf bank_mask:0xf
	v_and_b32_e32 v17, 1, v27
	v_and_b32_e32 v15, 1, v15
	v_cmp_eq_u32_e64 s[26:27], 1, v17
	v_mov_b32_e32 v17, 0
	v_cndmask_b32_e64 v15, v15, 1, s[26:27]
	v_cmp_eq_u16_sdwa s[30:31], v27, v17 src0_sel:BYTE_0 src1_sel:DWORD
	v_cmp_lt_u32_e64 s[26:27], 1, v11
	v_mov_b32_dpp v13, v26 row_shr:2 row_mask:0xf bank_mask:0xf
	v_cndmask_b32_e64 v11, v27, v15, s[26:27]
	s_and_b64 s[26:27], s[26:27], s[30:31]
	v_cndmask_b32_e64 v13, 0, v13, s[26:27]
	v_add_u32_e32 v13, v13, v26
	ds_write_b32 v9, v13
	ds_write_b8 v9, v11 offset:4
.LBB2263_138:
	s_or_b64 exec, exec, s[28:29]
	v_cmp_lt_u32_e64 s[26:27], 63, v0
	s_waitcnt vmcnt(0)
	v_mov_b32_e32 v9, v32
	s_waitcnt lgkmcnt(0)
	s_barrier
	s_and_saveexec_b64 s[28:29], s[26:27]
	s_cbranch_execz .LBB2263_140
; %bb.139:
	v_lshl_add_u32 v1, v1, 3, -8
	ds_read_u8 v9, v1 offset:4
	ds_read_b32 v1, v1
	s_waitcnt lgkmcnt(1)
	v_cmp_eq_u16_e64 s[26:27], 0, v9
	v_cndmask_b32_e64 v9, 0, v32, s[26:27]
	s_waitcnt lgkmcnt(0)
	v_add_u32_e32 v9, v9, v1
.LBB2263_140:
	s_or_b64 exec, exec, s[28:29]
	v_mov_b32_e32 v28, 0
	v_cmp_eq_u16_sdwa s[26:27], v5, v28 src0_sel:BYTE_0 src1_sel:DWORD
	v_cndmask_b32_e64 v1, 0, v9, s[26:27]
	v_add_u32_e32 v1, v1, v7
	v_add_u32_e32 v5, -1, v3
	v_and_b32_e32 v7, 64, v3
	v_cmp_lt_i32_e64 s[26:27], v5, v7
	v_cndmask_b32_e64 v5, v5, v3, s[26:27]
	v_lshlrev_b32_e32 v5, 2, v5
	ds_bpermute_b32 v1, v5, v1
	v_cmp_eq_u32_e64 s[26:27], 0, v3
	v_and_b32_e32 v29, 0xff, v41
	s_waitcnt lgkmcnt(0)
	v_cndmask_b32_e64 v26, v1, v9, s[26:27]
	v_cndmask_b32_e64 v1, v26, v32, s[0:1]
	v_cmp_eq_u64_e64 s[26:27], 0, v[28:29]
	v_cndmask_b32_e64 v1, 0, v1, s[26:27]
	v_add_u32_e32 v27, v1, v40
	v_cndmask_b32_e32 v1, 0, v27, vcc
	v_add_u32_e32 v44, v1, v8
	v_cndmask_b32_e64 v1, 0, v44, s[4:5]
	v_add_u32_e32 v45, v1, v6
	v_cndmask_b32_e64 v1, 0, v45, s[6:7]
	v_add_u32_e32 v30, v1, v4
	v_cndmask_b32_e64 v1, 0, v30, s[8:9]
	v_add_u32_e32 v31, v1, v2
	v_cndmask_b32_e64 v1, 0, v31, s[10:11]
	v_add_u32_e32 v46, v1, v16
	v_cndmask_b32_e64 v1, 0, v46, s[12:13]
	v_add_u32_e32 v47, v1, v14
	v_cndmask_b32_e64 v1, 0, v47, s[14:15]
	v_add_u32_e32 v34, v1, v12
	v_cndmask_b32_e64 v1, 0, v34, s[16:17]
	v_add_u32_e32 v35, v1, v10
	v_cndmask_b32_e64 v1, 0, v35, s[18:19]
	v_add_u32_e32 v48, v1, v18
	v_cndmask_b32_e64 v1, 0, v48, s[20:21]
	v_add_u32_e32 v49, v1, v20
	v_cndmask_b32_e64 v1, 0, v49, s[22:23]
	v_add_u32_e32 v50, v1, v22
	v_cndmask_b32_e64 v1, 0, v50, s[24:25]
	s_and_saveexec_b64 s[4:5], s[0:1]
	s_cbranch_execz .LBB2263_142
; %bb.141:
	ds_read_u8 v3, v28 offset:28
	ds_read_b32 v2, v28 offset:24
	s_add_u32 s0, s44, 0x400
	s_addc_u32 s1, s45, 0
	v_mov_b32_e32 v5, v28
	s_waitcnt lgkmcnt(1)
	v_cmp_eq_u16_e32 vcc, 0, v3
	v_cndmask_b32_e32 v4, 0, v32, vcc
	s_waitcnt lgkmcnt(0)
	v_add_u32_e32 v2, v4, v2
	v_and_b32_e32 v3, 0xffff, v3
	v_mov_b32_e32 v4, 2
	v_pk_mov_b32 v[6:7], s[0:1], s[0:1] op_sel:[0,1]
	;;#ASMSTART
	global_store_dwordx4 v[6:7], v[2:5] off	
s_waitcnt vmcnt(0)
	;;#ASMEND
	v_mov_b32_e32 v26, v32
.LBB2263_142:
	s_or_b64 exec, exec, s[4:5]
	v_add_u32_e32 v51, v1, v24
.LBB2263_143:
	s_add_u32 s0, s42, s34
	s_addc_u32 s1, s43, s35
	v_mov_b32_e32 v1, s1
	v_add_co_u32_e32 v18, vcc, s0, v38
	v_addc_co_u32_e32 v19, vcc, v1, v39, vcc
	v_mul_u32_u24_e32 v1, 14, v0
	s_and_b64 vcc, exec, s[2:3]
	v_lshlrev_b32_e32 v2, 2, v1
	s_cbranch_vccz .LBB2263_171
; %bb.144:
	s_movk_i32 s0, 0xffcc
	v_mad_i32_i24 v3, v0, s0, v2
	s_barrier
	ds_write2_b64 v2, v[26:27], v[44:45] offset1:1
	ds_write2_b64 v2, v[30:31], v[46:47] offset0:2 offset1:3
	ds_write2_b64 v2, v[34:35], v[48:49] offset0:4 offset1:5
	ds_write_b64 v2, v[50:51] offset:48
	s_waitcnt lgkmcnt(0)
	s_barrier
	ds_read2st64_b32 v[16:17], v3 offset0:4 offset1:8
	ds_read2st64_b32 v[14:15], v3 offset0:12 offset1:16
	ds_read2st64_b32 v[12:13], v3 offset0:20 offset1:24
	ds_read2st64_b32 v[10:11], v3 offset0:28 offset1:32
	ds_read2st64_b32 v[8:9], v3 offset0:36 offset1:40
	ds_read2st64_b32 v[4:5], v3 offset0:44 offset1:48
	ds_read_b32 v3, v3 offset:13312
	v_add_co_u32_e32 v6, vcc, v18, v52
	s_add_i32 s33, s33, s46
	v_addc_co_u32_e32 v7, vcc, 0, v19, vcc
	v_mov_b32_e32 v1, 0
	v_cmp_gt_u32_e32 vcc, s33, v0
	s_and_saveexec_b64 s[0:1], vcc
	s_cbranch_execz .LBB2263_146
; %bb.145:
	v_mul_i32_i24_e32 v20, 0xffffffcc, v0
	v_add_u32_e32 v20, v2, v20
	ds_read_b32 v20, v20
	s_waitcnt lgkmcnt(0)
	flat_store_dword v[6:7], v20
.LBB2263_146:
	s_or_b64 exec, exec, s[0:1]
	v_or_b32_e32 v20, 0x100, v0
	v_cmp_gt_u32_e32 vcc, s33, v20
	s_and_saveexec_b64 s[0:1], vcc
	s_cbranch_execz .LBB2263_148
; %bb.147:
	s_waitcnt lgkmcnt(0)
	flat_store_dword v[6:7], v16 offset:1024
.LBB2263_148:
	s_or_b64 exec, exec, s[0:1]
	s_waitcnt lgkmcnt(0)
	v_or_b32_e32 v16, 0x200, v0
	v_cmp_gt_u32_e32 vcc, s33, v16
	s_and_saveexec_b64 s[0:1], vcc
	s_cbranch_execz .LBB2263_150
; %bb.149:
	flat_store_dword v[6:7], v17 offset:2048
.LBB2263_150:
	s_or_b64 exec, exec, s[0:1]
	v_or_b32_e32 v16, 0x300, v0
	v_cmp_gt_u32_e32 vcc, s33, v16
	s_and_saveexec_b64 s[0:1], vcc
	s_cbranch_execz .LBB2263_152
; %bb.151:
	flat_store_dword v[6:7], v14 offset:3072
.LBB2263_152:
	s_or_b64 exec, exec, s[0:1]
	v_or_b32_e32 v14, 0x400, v0
	v_cmp_gt_u32_e32 vcc, s33, v14
	s_and_saveexec_b64 s[0:1], vcc
	s_cbranch_execz .LBB2263_154
; %bb.153:
	v_add_co_u32_e32 v16, vcc, 0x1000, v6
	v_addc_co_u32_e32 v17, vcc, 0, v7, vcc
	flat_store_dword v[16:17], v15
.LBB2263_154:
	s_or_b64 exec, exec, s[0:1]
	v_or_b32_e32 v14, 0x500, v0
	v_cmp_gt_u32_e32 vcc, s33, v14
	s_and_saveexec_b64 s[0:1], vcc
	s_cbranch_execz .LBB2263_156
; %bb.155:
	v_add_co_u32_e32 v14, vcc, 0x1000, v6
	v_addc_co_u32_e32 v15, vcc, 0, v7, vcc
	flat_store_dword v[14:15], v12 offset:1024
.LBB2263_156:
	s_or_b64 exec, exec, s[0:1]
	v_or_b32_e32 v12, 0x600, v0
	v_cmp_gt_u32_e32 vcc, s33, v12
	s_and_saveexec_b64 s[0:1], vcc
	s_cbranch_execz .LBB2263_158
; %bb.157:
	v_add_co_u32_e32 v14, vcc, 0x1000, v6
	v_addc_co_u32_e32 v15, vcc, 0, v7, vcc
	flat_store_dword v[14:15], v13 offset:2048
.LBB2263_158:
	;; [unrolled: 10-line block ×3, first 2 shown]
	s_or_b64 exec, exec, s[0:1]
	v_or_b32_e32 v10, 0x800, v0
	v_cmp_gt_u32_e32 vcc, s33, v10
	s_and_saveexec_b64 s[0:1], vcc
	s_cbranch_execz .LBB2263_162
; %bb.161:
	v_add_co_u32_e32 v12, vcc, 0x2000, v6
	v_addc_co_u32_e32 v13, vcc, 0, v7, vcc
	flat_store_dword v[12:13], v11
.LBB2263_162:
	s_or_b64 exec, exec, s[0:1]
	v_or_b32_e32 v10, 0x900, v0
	v_cmp_gt_u32_e32 vcc, s33, v10
	s_and_saveexec_b64 s[0:1], vcc
	s_cbranch_execz .LBB2263_164
; %bb.163:
	v_add_co_u32_e32 v10, vcc, 0x2000, v6
	v_addc_co_u32_e32 v11, vcc, 0, v7, vcc
	flat_store_dword v[10:11], v8 offset:1024
.LBB2263_164:
	s_or_b64 exec, exec, s[0:1]
	v_or_b32_e32 v8, 0xa00, v0
	v_cmp_gt_u32_e32 vcc, s33, v8
	s_and_saveexec_b64 s[0:1], vcc
	s_cbranch_execz .LBB2263_166
; %bb.165:
	v_add_co_u32_e32 v10, vcc, 0x2000, v6
	v_addc_co_u32_e32 v11, vcc, 0, v7, vcc
	flat_store_dword v[10:11], v9 offset:2048
.LBB2263_166:
	;; [unrolled: 10-line block ×3, first 2 shown]
	s_or_b64 exec, exec, s[0:1]
	v_or_b32_e32 v4, 0xc00, v0
	v_cmp_gt_u32_e32 vcc, s33, v4
	s_and_saveexec_b64 s[0:1], vcc
	s_cbranch_execz .LBB2263_170
; %bb.169:
	v_add_co_u32_e32 v6, vcc, 0x3000, v6
	v_addc_co_u32_e32 v7, vcc, 0, v7, vcc
	flat_store_dword v[6:7], v5
.LBB2263_170:
	s_or_b64 exec, exec, s[0:1]
	v_or_b32_e32 v4, 0xd00, v0
	v_cmp_gt_u32_e64 s[0:1], s33, v4
	s_branch .LBB2263_173
.LBB2263_171:
	s_mov_b64 s[0:1], 0
                                        ; implicit-def: $vgpr3
	s_cbranch_execz .LBB2263_173
; %bb.172:
	s_movk_i32 s2, 0xffcc
	s_waitcnt lgkmcnt(0)
	s_barrier
	ds_write2_b64 v2, v[26:27], v[44:45] offset1:1
	ds_write2_b64 v2, v[30:31], v[46:47] offset0:2 offset1:3
	ds_write2_b64 v2, v[34:35], v[48:49] offset0:4 offset1:5
	ds_write_b64 v2, v[50:51] offset:48
	v_mad_i32_i24 v2, v0, s2, v2
	v_add_co_u32_e32 v16, vcc, v18, v52
	s_waitcnt lgkmcnt(0)
	s_barrier
	ds_read2st64_b32 v[4:5], v2 offset1:4
	ds_read2st64_b32 v[6:7], v2 offset0:8 offset1:12
	ds_read2st64_b32 v[8:9], v2 offset0:16 offset1:20
	;; [unrolled: 1-line block ×6, first 2 shown]
	v_addc_co_u32_e32 v17, vcc, 0, v19, vcc
	s_movk_i32 s2, 0x1000
	s_waitcnt lgkmcnt(0)
	flat_store_dword v[16:17], v4
	flat_store_dword v[16:17], v5 offset:1024
	flat_store_dword v[16:17], v6 offset:2048
	;; [unrolled: 1-line block ×3, first 2 shown]
	v_add_co_u32_e32 v4, vcc, s2, v16
	v_addc_co_u32_e32 v5, vcc, 0, v17, vcc
	flat_store_dword v[4:5], v8
	flat_store_dword v[4:5], v9 offset:1024
	flat_store_dword v[4:5], v10 offset:2048
	;; [unrolled: 1-line block ×3, first 2 shown]
	v_add_co_u32_e32 v4, vcc, 0x2000, v16
	v_addc_co_u32_e32 v5, vcc, 0, v17, vcc
	flat_store_dword v[4:5], v12
	flat_store_dword v[4:5], v13 offset:1024
	flat_store_dword v[4:5], v14 offset:2048
	flat_store_dword v[4:5], v15 offset:3072
	v_add_co_u32_e32 v4, vcc, 0x3000, v16
	v_mov_b32_e32 v1, 0
	v_addc_co_u32_e32 v5, vcc, 0, v17, vcc
	s_or_b64 s[0:1], s[0:1], exec
	flat_store_dword v[4:5], v2
.LBB2263_173:
	s_and_saveexec_b64 s[2:3], s[0:1]
	s_cbranch_execz .LBB2263_175
; %bb.174:
	v_lshlrev_b64 v[0:1], 2, v[0:1]
	v_add_co_u32_e32 v0, vcc, v18, v0
	v_addc_co_u32_e32 v1, vcc, v19, v1, vcc
	v_add_co_u32_e32 v0, vcc, 0x3000, v0
	v_addc_co_u32_e32 v1, vcc, 0, v1, vcc
	flat_store_dword v[0:1], v3 offset:1024
	s_endpgm
.LBB2263_175:
	s_endpgm
	.section	.rodata,"a",@progbits
	.p2align	6, 0x0
	.amdhsa_kernel _ZN7rocprim17ROCPRIM_400000_NS6detail17trampoline_kernelINS0_14default_configENS1_27scan_by_key_config_selectorIiiEEZZNS1_16scan_by_key_implILNS1_25lookback_scan_determinismE0ELb1ES3_N6thrust23THRUST_200600_302600_NS10device_ptrIiEESB_SB_iNS9_4plusIvEENS9_8equal_toIvEEiEE10hipError_tPvRmT2_T3_T4_T5_mT6_T7_P12ihipStream_tbENKUlT_T0_E_clISt17integral_constantIbLb0EESV_IbLb1EEEEDaSR_SS_EUlSR_E_NS1_11comp_targetILNS1_3genE4ELNS1_11target_archE910ELNS1_3gpuE8ELNS1_3repE0EEENS1_30default_config_static_selectorELNS0_4arch9wavefront6targetE1EEEvT1_
		.amdhsa_group_segment_fixed_size 16384
		.amdhsa_private_segment_fixed_size 0
		.amdhsa_kernarg_size 112
		.amdhsa_user_sgpr_count 6
		.amdhsa_user_sgpr_private_segment_buffer 1
		.amdhsa_user_sgpr_dispatch_ptr 0
		.amdhsa_user_sgpr_queue_ptr 0
		.amdhsa_user_sgpr_kernarg_segment_ptr 1
		.amdhsa_user_sgpr_dispatch_id 0
		.amdhsa_user_sgpr_flat_scratch_init 0
		.amdhsa_user_sgpr_kernarg_preload_length 0
		.amdhsa_user_sgpr_kernarg_preload_offset 0
		.amdhsa_user_sgpr_private_segment_size 0
		.amdhsa_uses_dynamic_stack 0
		.amdhsa_system_sgpr_private_segment_wavefront_offset 0
		.amdhsa_system_sgpr_workgroup_id_x 1
		.amdhsa_system_sgpr_workgroup_id_y 0
		.amdhsa_system_sgpr_workgroup_id_z 0
		.amdhsa_system_sgpr_workgroup_info 0
		.amdhsa_system_vgpr_workitem_id 0
		.amdhsa_next_free_vgpr 67
		.amdhsa_next_free_sgpr 60
		.amdhsa_accum_offset 68
		.amdhsa_reserve_vcc 1
		.amdhsa_reserve_flat_scratch 0
		.amdhsa_float_round_mode_32 0
		.amdhsa_float_round_mode_16_64 0
		.amdhsa_float_denorm_mode_32 3
		.amdhsa_float_denorm_mode_16_64 3
		.amdhsa_dx10_clamp 1
		.amdhsa_ieee_mode 1
		.amdhsa_fp16_overflow 0
		.amdhsa_tg_split 0
		.amdhsa_exception_fp_ieee_invalid_op 0
		.amdhsa_exception_fp_denorm_src 0
		.amdhsa_exception_fp_ieee_div_zero 0
		.amdhsa_exception_fp_ieee_overflow 0
		.amdhsa_exception_fp_ieee_underflow 0
		.amdhsa_exception_fp_ieee_inexact 0
		.amdhsa_exception_int_div_zero 0
	.end_amdhsa_kernel
	.section	.text._ZN7rocprim17ROCPRIM_400000_NS6detail17trampoline_kernelINS0_14default_configENS1_27scan_by_key_config_selectorIiiEEZZNS1_16scan_by_key_implILNS1_25lookback_scan_determinismE0ELb1ES3_N6thrust23THRUST_200600_302600_NS10device_ptrIiEESB_SB_iNS9_4plusIvEENS9_8equal_toIvEEiEE10hipError_tPvRmT2_T3_T4_T5_mT6_T7_P12ihipStream_tbENKUlT_T0_E_clISt17integral_constantIbLb0EESV_IbLb1EEEEDaSR_SS_EUlSR_E_NS1_11comp_targetILNS1_3genE4ELNS1_11target_archE910ELNS1_3gpuE8ELNS1_3repE0EEENS1_30default_config_static_selectorELNS0_4arch9wavefront6targetE1EEEvT1_,"axG",@progbits,_ZN7rocprim17ROCPRIM_400000_NS6detail17trampoline_kernelINS0_14default_configENS1_27scan_by_key_config_selectorIiiEEZZNS1_16scan_by_key_implILNS1_25lookback_scan_determinismE0ELb1ES3_N6thrust23THRUST_200600_302600_NS10device_ptrIiEESB_SB_iNS9_4plusIvEENS9_8equal_toIvEEiEE10hipError_tPvRmT2_T3_T4_T5_mT6_T7_P12ihipStream_tbENKUlT_T0_E_clISt17integral_constantIbLb0EESV_IbLb1EEEEDaSR_SS_EUlSR_E_NS1_11comp_targetILNS1_3genE4ELNS1_11target_archE910ELNS1_3gpuE8ELNS1_3repE0EEENS1_30default_config_static_selectorELNS0_4arch9wavefront6targetE1EEEvT1_,comdat
.Lfunc_end2263:
	.size	_ZN7rocprim17ROCPRIM_400000_NS6detail17trampoline_kernelINS0_14default_configENS1_27scan_by_key_config_selectorIiiEEZZNS1_16scan_by_key_implILNS1_25lookback_scan_determinismE0ELb1ES3_N6thrust23THRUST_200600_302600_NS10device_ptrIiEESB_SB_iNS9_4plusIvEENS9_8equal_toIvEEiEE10hipError_tPvRmT2_T3_T4_T5_mT6_T7_P12ihipStream_tbENKUlT_T0_E_clISt17integral_constantIbLb0EESV_IbLb1EEEEDaSR_SS_EUlSR_E_NS1_11comp_targetILNS1_3genE4ELNS1_11target_archE910ELNS1_3gpuE8ELNS1_3repE0EEENS1_30default_config_static_selectorELNS0_4arch9wavefront6targetE1EEEvT1_, .Lfunc_end2263-_ZN7rocprim17ROCPRIM_400000_NS6detail17trampoline_kernelINS0_14default_configENS1_27scan_by_key_config_selectorIiiEEZZNS1_16scan_by_key_implILNS1_25lookback_scan_determinismE0ELb1ES3_N6thrust23THRUST_200600_302600_NS10device_ptrIiEESB_SB_iNS9_4plusIvEENS9_8equal_toIvEEiEE10hipError_tPvRmT2_T3_T4_T5_mT6_T7_P12ihipStream_tbENKUlT_T0_E_clISt17integral_constantIbLb0EESV_IbLb1EEEEDaSR_SS_EUlSR_E_NS1_11comp_targetILNS1_3genE4ELNS1_11target_archE910ELNS1_3gpuE8ELNS1_3repE0EEENS1_30default_config_static_selectorELNS0_4arch9wavefront6targetE1EEEvT1_
                                        ; -- End function
	.section	.AMDGPU.csdata,"",@progbits
; Kernel info:
; codeLenInByte = 11168
; NumSgprs: 64
; NumVgprs: 67
; NumAgprs: 0
; TotalNumVgprs: 67
; ScratchSize: 0
; MemoryBound: 0
; FloatMode: 240
; IeeeMode: 1
; LDSByteSize: 16384 bytes/workgroup (compile time only)
; SGPRBlocks: 7
; VGPRBlocks: 8
; NumSGPRsForWavesPerEU: 64
; NumVGPRsForWavesPerEU: 67
; AccumOffset: 68
; Occupancy: 4
; WaveLimiterHint : 1
; COMPUTE_PGM_RSRC2:SCRATCH_EN: 0
; COMPUTE_PGM_RSRC2:USER_SGPR: 6
; COMPUTE_PGM_RSRC2:TRAP_HANDLER: 0
; COMPUTE_PGM_RSRC2:TGID_X_EN: 1
; COMPUTE_PGM_RSRC2:TGID_Y_EN: 0
; COMPUTE_PGM_RSRC2:TGID_Z_EN: 0
; COMPUTE_PGM_RSRC2:TIDIG_COMP_CNT: 0
; COMPUTE_PGM_RSRC3_GFX90A:ACCUM_OFFSET: 16
; COMPUTE_PGM_RSRC3_GFX90A:TG_SPLIT: 0
	.section	.text._ZN7rocprim17ROCPRIM_400000_NS6detail17trampoline_kernelINS0_14default_configENS1_27scan_by_key_config_selectorIiiEEZZNS1_16scan_by_key_implILNS1_25lookback_scan_determinismE0ELb1ES3_N6thrust23THRUST_200600_302600_NS10device_ptrIiEESB_SB_iNS9_4plusIvEENS9_8equal_toIvEEiEE10hipError_tPvRmT2_T3_T4_T5_mT6_T7_P12ihipStream_tbENKUlT_T0_E_clISt17integral_constantIbLb0EESV_IbLb1EEEEDaSR_SS_EUlSR_E_NS1_11comp_targetILNS1_3genE3ELNS1_11target_archE908ELNS1_3gpuE7ELNS1_3repE0EEENS1_30default_config_static_selectorELNS0_4arch9wavefront6targetE1EEEvT1_,"axG",@progbits,_ZN7rocprim17ROCPRIM_400000_NS6detail17trampoline_kernelINS0_14default_configENS1_27scan_by_key_config_selectorIiiEEZZNS1_16scan_by_key_implILNS1_25lookback_scan_determinismE0ELb1ES3_N6thrust23THRUST_200600_302600_NS10device_ptrIiEESB_SB_iNS9_4plusIvEENS9_8equal_toIvEEiEE10hipError_tPvRmT2_T3_T4_T5_mT6_T7_P12ihipStream_tbENKUlT_T0_E_clISt17integral_constantIbLb0EESV_IbLb1EEEEDaSR_SS_EUlSR_E_NS1_11comp_targetILNS1_3genE3ELNS1_11target_archE908ELNS1_3gpuE7ELNS1_3repE0EEENS1_30default_config_static_selectorELNS0_4arch9wavefront6targetE1EEEvT1_,comdat
	.protected	_ZN7rocprim17ROCPRIM_400000_NS6detail17trampoline_kernelINS0_14default_configENS1_27scan_by_key_config_selectorIiiEEZZNS1_16scan_by_key_implILNS1_25lookback_scan_determinismE0ELb1ES3_N6thrust23THRUST_200600_302600_NS10device_ptrIiEESB_SB_iNS9_4plusIvEENS9_8equal_toIvEEiEE10hipError_tPvRmT2_T3_T4_T5_mT6_T7_P12ihipStream_tbENKUlT_T0_E_clISt17integral_constantIbLb0EESV_IbLb1EEEEDaSR_SS_EUlSR_E_NS1_11comp_targetILNS1_3genE3ELNS1_11target_archE908ELNS1_3gpuE7ELNS1_3repE0EEENS1_30default_config_static_selectorELNS0_4arch9wavefront6targetE1EEEvT1_ ; -- Begin function _ZN7rocprim17ROCPRIM_400000_NS6detail17trampoline_kernelINS0_14default_configENS1_27scan_by_key_config_selectorIiiEEZZNS1_16scan_by_key_implILNS1_25lookback_scan_determinismE0ELb1ES3_N6thrust23THRUST_200600_302600_NS10device_ptrIiEESB_SB_iNS9_4plusIvEENS9_8equal_toIvEEiEE10hipError_tPvRmT2_T3_T4_T5_mT6_T7_P12ihipStream_tbENKUlT_T0_E_clISt17integral_constantIbLb0EESV_IbLb1EEEEDaSR_SS_EUlSR_E_NS1_11comp_targetILNS1_3genE3ELNS1_11target_archE908ELNS1_3gpuE7ELNS1_3repE0EEENS1_30default_config_static_selectorELNS0_4arch9wavefront6targetE1EEEvT1_
	.globl	_ZN7rocprim17ROCPRIM_400000_NS6detail17trampoline_kernelINS0_14default_configENS1_27scan_by_key_config_selectorIiiEEZZNS1_16scan_by_key_implILNS1_25lookback_scan_determinismE0ELb1ES3_N6thrust23THRUST_200600_302600_NS10device_ptrIiEESB_SB_iNS9_4plusIvEENS9_8equal_toIvEEiEE10hipError_tPvRmT2_T3_T4_T5_mT6_T7_P12ihipStream_tbENKUlT_T0_E_clISt17integral_constantIbLb0EESV_IbLb1EEEEDaSR_SS_EUlSR_E_NS1_11comp_targetILNS1_3genE3ELNS1_11target_archE908ELNS1_3gpuE7ELNS1_3repE0EEENS1_30default_config_static_selectorELNS0_4arch9wavefront6targetE1EEEvT1_
	.p2align	8
	.type	_ZN7rocprim17ROCPRIM_400000_NS6detail17trampoline_kernelINS0_14default_configENS1_27scan_by_key_config_selectorIiiEEZZNS1_16scan_by_key_implILNS1_25lookback_scan_determinismE0ELb1ES3_N6thrust23THRUST_200600_302600_NS10device_ptrIiEESB_SB_iNS9_4plusIvEENS9_8equal_toIvEEiEE10hipError_tPvRmT2_T3_T4_T5_mT6_T7_P12ihipStream_tbENKUlT_T0_E_clISt17integral_constantIbLb0EESV_IbLb1EEEEDaSR_SS_EUlSR_E_NS1_11comp_targetILNS1_3genE3ELNS1_11target_archE908ELNS1_3gpuE7ELNS1_3repE0EEENS1_30default_config_static_selectorELNS0_4arch9wavefront6targetE1EEEvT1_,@function
_ZN7rocprim17ROCPRIM_400000_NS6detail17trampoline_kernelINS0_14default_configENS1_27scan_by_key_config_selectorIiiEEZZNS1_16scan_by_key_implILNS1_25lookback_scan_determinismE0ELb1ES3_N6thrust23THRUST_200600_302600_NS10device_ptrIiEESB_SB_iNS9_4plusIvEENS9_8equal_toIvEEiEE10hipError_tPvRmT2_T3_T4_T5_mT6_T7_P12ihipStream_tbENKUlT_T0_E_clISt17integral_constantIbLb0EESV_IbLb1EEEEDaSR_SS_EUlSR_E_NS1_11comp_targetILNS1_3genE3ELNS1_11target_archE908ELNS1_3gpuE7ELNS1_3repE0EEENS1_30default_config_static_selectorELNS0_4arch9wavefront6targetE1EEEvT1_: ; @_ZN7rocprim17ROCPRIM_400000_NS6detail17trampoline_kernelINS0_14default_configENS1_27scan_by_key_config_selectorIiiEEZZNS1_16scan_by_key_implILNS1_25lookback_scan_determinismE0ELb1ES3_N6thrust23THRUST_200600_302600_NS10device_ptrIiEESB_SB_iNS9_4plusIvEENS9_8equal_toIvEEiEE10hipError_tPvRmT2_T3_T4_T5_mT6_T7_P12ihipStream_tbENKUlT_T0_E_clISt17integral_constantIbLb0EESV_IbLb1EEEEDaSR_SS_EUlSR_E_NS1_11comp_targetILNS1_3genE3ELNS1_11target_archE908ELNS1_3gpuE7ELNS1_3repE0EEENS1_30default_config_static_selectorELNS0_4arch9wavefront6targetE1EEEvT1_
; %bb.0:
	.section	.rodata,"a",@progbits
	.p2align	6, 0x0
	.amdhsa_kernel _ZN7rocprim17ROCPRIM_400000_NS6detail17trampoline_kernelINS0_14default_configENS1_27scan_by_key_config_selectorIiiEEZZNS1_16scan_by_key_implILNS1_25lookback_scan_determinismE0ELb1ES3_N6thrust23THRUST_200600_302600_NS10device_ptrIiEESB_SB_iNS9_4plusIvEENS9_8equal_toIvEEiEE10hipError_tPvRmT2_T3_T4_T5_mT6_T7_P12ihipStream_tbENKUlT_T0_E_clISt17integral_constantIbLb0EESV_IbLb1EEEEDaSR_SS_EUlSR_E_NS1_11comp_targetILNS1_3genE3ELNS1_11target_archE908ELNS1_3gpuE7ELNS1_3repE0EEENS1_30default_config_static_selectorELNS0_4arch9wavefront6targetE1EEEvT1_
		.amdhsa_group_segment_fixed_size 0
		.amdhsa_private_segment_fixed_size 0
		.amdhsa_kernarg_size 112
		.amdhsa_user_sgpr_count 6
		.amdhsa_user_sgpr_private_segment_buffer 1
		.amdhsa_user_sgpr_dispatch_ptr 0
		.amdhsa_user_sgpr_queue_ptr 0
		.amdhsa_user_sgpr_kernarg_segment_ptr 1
		.amdhsa_user_sgpr_dispatch_id 0
		.amdhsa_user_sgpr_flat_scratch_init 0
		.amdhsa_user_sgpr_kernarg_preload_length 0
		.amdhsa_user_sgpr_kernarg_preload_offset 0
		.amdhsa_user_sgpr_private_segment_size 0
		.amdhsa_uses_dynamic_stack 0
		.amdhsa_system_sgpr_private_segment_wavefront_offset 0
		.amdhsa_system_sgpr_workgroup_id_x 1
		.amdhsa_system_sgpr_workgroup_id_y 0
		.amdhsa_system_sgpr_workgroup_id_z 0
		.amdhsa_system_sgpr_workgroup_info 0
		.amdhsa_system_vgpr_workitem_id 0
		.amdhsa_next_free_vgpr 1
		.amdhsa_next_free_sgpr 0
		.amdhsa_accum_offset 4
		.amdhsa_reserve_vcc 0
		.amdhsa_reserve_flat_scratch 0
		.amdhsa_float_round_mode_32 0
		.amdhsa_float_round_mode_16_64 0
		.amdhsa_float_denorm_mode_32 3
		.amdhsa_float_denorm_mode_16_64 3
		.amdhsa_dx10_clamp 1
		.amdhsa_ieee_mode 1
		.amdhsa_fp16_overflow 0
		.amdhsa_tg_split 0
		.amdhsa_exception_fp_ieee_invalid_op 0
		.amdhsa_exception_fp_denorm_src 0
		.amdhsa_exception_fp_ieee_div_zero 0
		.amdhsa_exception_fp_ieee_overflow 0
		.amdhsa_exception_fp_ieee_underflow 0
		.amdhsa_exception_fp_ieee_inexact 0
		.amdhsa_exception_int_div_zero 0
	.end_amdhsa_kernel
	.section	.text._ZN7rocprim17ROCPRIM_400000_NS6detail17trampoline_kernelINS0_14default_configENS1_27scan_by_key_config_selectorIiiEEZZNS1_16scan_by_key_implILNS1_25lookback_scan_determinismE0ELb1ES3_N6thrust23THRUST_200600_302600_NS10device_ptrIiEESB_SB_iNS9_4plusIvEENS9_8equal_toIvEEiEE10hipError_tPvRmT2_T3_T4_T5_mT6_T7_P12ihipStream_tbENKUlT_T0_E_clISt17integral_constantIbLb0EESV_IbLb1EEEEDaSR_SS_EUlSR_E_NS1_11comp_targetILNS1_3genE3ELNS1_11target_archE908ELNS1_3gpuE7ELNS1_3repE0EEENS1_30default_config_static_selectorELNS0_4arch9wavefront6targetE1EEEvT1_,"axG",@progbits,_ZN7rocprim17ROCPRIM_400000_NS6detail17trampoline_kernelINS0_14default_configENS1_27scan_by_key_config_selectorIiiEEZZNS1_16scan_by_key_implILNS1_25lookback_scan_determinismE0ELb1ES3_N6thrust23THRUST_200600_302600_NS10device_ptrIiEESB_SB_iNS9_4plusIvEENS9_8equal_toIvEEiEE10hipError_tPvRmT2_T3_T4_T5_mT6_T7_P12ihipStream_tbENKUlT_T0_E_clISt17integral_constantIbLb0EESV_IbLb1EEEEDaSR_SS_EUlSR_E_NS1_11comp_targetILNS1_3genE3ELNS1_11target_archE908ELNS1_3gpuE7ELNS1_3repE0EEENS1_30default_config_static_selectorELNS0_4arch9wavefront6targetE1EEEvT1_,comdat
.Lfunc_end2264:
	.size	_ZN7rocprim17ROCPRIM_400000_NS6detail17trampoline_kernelINS0_14default_configENS1_27scan_by_key_config_selectorIiiEEZZNS1_16scan_by_key_implILNS1_25lookback_scan_determinismE0ELb1ES3_N6thrust23THRUST_200600_302600_NS10device_ptrIiEESB_SB_iNS9_4plusIvEENS9_8equal_toIvEEiEE10hipError_tPvRmT2_T3_T4_T5_mT6_T7_P12ihipStream_tbENKUlT_T0_E_clISt17integral_constantIbLb0EESV_IbLb1EEEEDaSR_SS_EUlSR_E_NS1_11comp_targetILNS1_3genE3ELNS1_11target_archE908ELNS1_3gpuE7ELNS1_3repE0EEENS1_30default_config_static_selectorELNS0_4arch9wavefront6targetE1EEEvT1_, .Lfunc_end2264-_ZN7rocprim17ROCPRIM_400000_NS6detail17trampoline_kernelINS0_14default_configENS1_27scan_by_key_config_selectorIiiEEZZNS1_16scan_by_key_implILNS1_25lookback_scan_determinismE0ELb1ES3_N6thrust23THRUST_200600_302600_NS10device_ptrIiEESB_SB_iNS9_4plusIvEENS9_8equal_toIvEEiEE10hipError_tPvRmT2_T3_T4_T5_mT6_T7_P12ihipStream_tbENKUlT_T0_E_clISt17integral_constantIbLb0EESV_IbLb1EEEEDaSR_SS_EUlSR_E_NS1_11comp_targetILNS1_3genE3ELNS1_11target_archE908ELNS1_3gpuE7ELNS1_3repE0EEENS1_30default_config_static_selectorELNS0_4arch9wavefront6targetE1EEEvT1_
                                        ; -- End function
	.section	.AMDGPU.csdata,"",@progbits
; Kernel info:
; codeLenInByte = 0
; NumSgprs: 4
; NumVgprs: 0
; NumAgprs: 0
; TotalNumVgprs: 0
; ScratchSize: 0
; MemoryBound: 0
; FloatMode: 240
; IeeeMode: 1
; LDSByteSize: 0 bytes/workgroup (compile time only)
; SGPRBlocks: 0
; VGPRBlocks: 0
; NumSGPRsForWavesPerEU: 4
; NumVGPRsForWavesPerEU: 1
; AccumOffset: 4
; Occupancy: 8
; WaveLimiterHint : 0
; COMPUTE_PGM_RSRC2:SCRATCH_EN: 0
; COMPUTE_PGM_RSRC2:USER_SGPR: 6
; COMPUTE_PGM_RSRC2:TRAP_HANDLER: 0
; COMPUTE_PGM_RSRC2:TGID_X_EN: 1
; COMPUTE_PGM_RSRC2:TGID_Y_EN: 0
; COMPUTE_PGM_RSRC2:TGID_Z_EN: 0
; COMPUTE_PGM_RSRC2:TIDIG_COMP_CNT: 0
; COMPUTE_PGM_RSRC3_GFX90A:ACCUM_OFFSET: 0
; COMPUTE_PGM_RSRC3_GFX90A:TG_SPLIT: 0
	.section	.text._ZN7rocprim17ROCPRIM_400000_NS6detail17trampoline_kernelINS0_14default_configENS1_27scan_by_key_config_selectorIiiEEZZNS1_16scan_by_key_implILNS1_25lookback_scan_determinismE0ELb1ES3_N6thrust23THRUST_200600_302600_NS10device_ptrIiEESB_SB_iNS9_4plusIvEENS9_8equal_toIvEEiEE10hipError_tPvRmT2_T3_T4_T5_mT6_T7_P12ihipStream_tbENKUlT_T0_E_clISt17integral_constantIbLb0EESV_IbLb1EEEEDaSR_SS_EUlSR_E_NS1_11comp_targetILNS1_3genE2ELNS1_11target_archE906ELNS1_3gpuE6ELNS1_3repE0EEENS1_30default_config_static_selectorELNS0_4arch9wavefront6targetE1EEEvT1_,"axG",@progbits,_ZN7rocprim17ROCPRIM_400000_NS6detail17trampoline_kernelINS0_14default_configENS1_27scan_by_key_config_selectorIiiEEZZNS1_16scan_by_key_implILNS1_25lookback_scan_determinismE0ELb1ES3_N6thrust23THRUST_200600_302600_NS10device_ptrIiEESB_SB_iNS9_4plusIvEENS9_8equal_toIvEEiEE10hipError_tPvRmT2_T3_T4_T5_mT6_T7_P12ihipStream_tbENKUlT_T0_E_clISt17integral_constantIbLb0EESV_IbLb1EEEEDaSR_SS_EUlSR_E_NS1_11comp_targetILNS1_3genE2ELNS1_11target_archE906ELNS1_3gpuE6ELNS1_3repE0EEENS1_30default_config_static_selectorELNS0_4arch9wavefront6targetE1EEEvT1_,comdat
	.protected	_ZN7rocprim17ROCPRIM_400000_NS6detail17trampoline_kernelINS0_14default_configENS1_27scan_by_key_config_selectorIiiEEZZNS1_16scan_by_key_implILNS1_25lookback_scan_determinismE0ELb1ES3_N6thrust23THRUST_200600_302600_NS10device_ptrIiEESB_SB_iNS9_4plusIvEENS9_8equal_toIvEEiEE10hipError_tPvRmT2_T3_T4_T5_mT6_T7_P12ihipStream_tbENKUlT_T0_E_clISt17integral_constantIbLb0EESV_IbLb1EEEEDaSR_SS_EUlSR_E_NS1_11comp_targetILNS1_3genE2ELNS1_11target_archE906ELNS1_3gpuE6ELNS1_3repE0EEENS1_30default_config_static_selectorELNS0_4arch9wavefront6targetE1EEEvT1_ ; -- Begin function _ZN7rocprim17ROCPRIM_400000_NS6detail17trampoline_kernelINS0_14default_configENS1_27scan_by_key_config_selectorIiiEEZZNS1_16scan_by_key_implILNS1_25lookback_scan_determinismE0ELb1ES3_N6thrust23THRUST_200600_302600_NS10device_ptrIiEESB_SB_iNS9_4plusIvEENS9_8equal_toIvEEiEE10hipError_tPvRmT2_T3_T4_T5_mT6_T7_P12ihipStream_tbENKUlT_T0_E_clISt17integral_constantIbLb0EESV_IbLb1EEEEDaSR_SS_EUlSR_E_NS1_11comp_targetILNS1_3genE2ELNS1_11target_archE906ELNS1_3gpuE6ELNS1_3repE0EEENS1_30default_config_static_selectorELNS0_4arch9wavefront6targetE1EEEvT1_
	.globl	_ZN7rocprim17ROCPRIM_400000_NS6detail17trampoline_kernelINS0_14default_configENS1_27scan_by_key_config_selectorIiiEEZZNS1_16scan_by_key_implILNS1_25lookback_scan_determinismE0ELb1ES3_N6thrust23THRUST_200600_302600_NS10device_ptrIiEESB_SB_iNS9_4plusIvEENS9_8equal_toIvEEiEE10hipError_tPvRmT2_T3_T4_T5_mT6_T7_P12ihipStream_tbENKUlT_T0_E_clISt17integral_constantIbLb0EESV_IbLb1EEEEDaSR_SS_EUlSR_E_NS1_11comp_targetILNS1_3genE2ELNS1_11target_archE906ELNS1_3gpuE6ELNS1_3repE0EEENS1_30default_config_static_selectorELNS0_4arch9wavefront6targetE1EEEvT1_
	.p2align	8
	.type	_ZN7rocprim17ROCPRIM_400000_NS6detail17trampoline_kernelINS0_14default_configENS1_27scan_by_key_config_selectorIiiEEZZNS1_16scan_by_key_implILNS1_25lookback_scan_determinismE0ELb1ES3_N6thrust23THRUST_200600_302600_NS10device_ptrIiEESB_SB_iNS9_4plusIvEENS9_8equal_toIvEEiEE10hipError_tPvRmT2_T3_T4_T5_mT6_T7_P12ihipStream_tbENKUlT_T0_E_clISt17integral_constantIbLb0EESV_IbLb1EEEEDaSR_SS_EUlSR_E_NS1_11comp_targetILNS1_3genE2ELNS1_11target_archE906ELNS1_3gpuE6ELNS1_3repE0EEENS1_30default_config_static_selectorELNS0_4arch9wavefront6targetE1EEEvT1_,@function
_ZN7rocprim17ROCPRIM_400000_NS6detail17trampoline_kernelINS0_14default_configENS1_27scan_by_key_config_selectorIiiEEZZNS1_16scan_by_key_implILNS1_25lookback_scan_determinismE0ELb1ES3_N6thrust23THRUST_200600_302600_NS10device_ptrIiEESB_SB_iNS9_4plusIvEENS9_8equal_toIvEEiEE10hipError_tPvRmT2_T3_T4_T5_mT6_T7_P12ihipStream_tbENKUlT_T0_E_clISt17integral_constantIbLb0EESV_IbLb1EEEEDaSR_SS_EUlSR_E_NS1_11comp_targetILNS1_3genE2ELNS1_11target_archE906ELNS1_3gpuE6ELNS1_3repE0EEENS1_30default_config_static_selectorELNS0_4arch9wavefront6targetE1EEEvT1_: ; @_ZN7rocprim17ROCPRIM_400000_NS6detail17trampoline_kernelINS0_14default_configENS1_27scan_by_key_config_selectorIiiEEZZNS1_16scan_by_key_implILNS1_25lookback_scan_determinismE0ELb1ES3_N6thrust23THRUST_200600_302600_NS10device_ptrIiEESB_SB_iNS9_4plusIvEENS9_8equal_toIvEEiEE10hipError_tPvRmT2_T3_T4_T5_mT6_T7_P12ihipStream_tbENKUlT_T0_E_clISt17integral_constantIbLb0EESV_IbLb1EEEEDaSR_SS_EUlSR_E_NS1_11comp_targetILNS1_3genE2ELNS1_11target_archE906ELNS1_3gpuE6ELNS1_3repE0EEENS1_30default_config_static_selectorELNS0_4arch9wavefront6targetE1EEEvT1_
; %bb.0:
	.section	.rodata,"a",@progbits
	.p2align	6, 0x0
	.amdhsa_kernel _ZN7rocprim17ROCPRIM_400000_NS6detail17trampoline_kernelINS0_14default_configENS1_27scan_by_key_config_selectorIiiEEZZNS1_16scan_by_key_implILNS1_25lookback_scan_determinismE0ELb1ES3_N6thrust23THRUST_200600_302600_NS10device_ptrIiEESB_SB_iNS9_4plusIvEENS9_8equal_toIvEEiEE10hipError_tPvRmT2_T3_T4_T5_mT6_T7_P12ihipStream_tbENKUlT_T0_E_clISt17integral_constantIbLb0EESV_IbLb1EEEEDaSR_SS_EUlSR_E_NS1_11comp_targetILNS1_3genE2ELNS1_11target_archE906ELNS1_3gpuE6ELNS1_3repE0EEENS1_30default_config_static_selectorELNS0_4arch9wavefront6targetE1EEEvT1_
		.amdhsa_group_segment_fixed_size 0
		.amdhsa_private_segment_fixed_size 0
		.amdhsa_kernarg_size 112
		.amdhsa_user_sgpr_count 6
		.amdhsa_user_sgpr_private_segment_buffer 1
		.amdhsa_user_sgpr_dispatch_ptr 0
		.amdhsa_user_sgpr_queue_ptr 0
		.amdhsa_user_sgpr_kernarg_segment_ptr 1
		.amdhsa_user_sgpr_dispatch_id 0
		.amdhsa_user_sgpr_flat_scratch_init 0
		.amdhsa_user_sgpr_kernarg_preload_length 0
		.amdhsa_user_sgpr_kernarg_preload_offset 0
		.amdhsa_user_sgpr_private_segment_size 0
		.amdhsa_uses_dynamic_stack 0
		.amdhsa_system_sgpr_private_segment_wavefront_offset 0
		.amdhsa_system_sgpr_workgroup_id_x 1
		.amdhsa_system_sgpr_workgroup_id_y 0
		.amdhsa_system_sgpr_workgroup_id_z 0
		.amdhsa_system_sgpr_workgroup_info 0
		.amdhsa_system_vgpr_workitem_id 0
		.amdhsa_next_free_vgpr 1
		.amdhsa_next_free_sgpr 0
		.amdhsa_accum_offset 4
		.amdhsa_reserve_vcc 0
		.amdhsa_reserve_flat_scratch 0
		.amdhsa_float_round_mode_32 0
		.amdhsa_float_round_mode_16_64 0
		.amdhsa_float_denorm_mode_32 3
		.amdhsa_float_denorm_mode_16_64 3
		.amdhsa_dx10_clamp 1
		.amdhsa_ieee_mode 1
		.amdhsa_fp16_overflow 0
		.amdhsa_tg_split 0
		.amdhsa_exception_fp_ieee_invalid_op 0
		.amdhsa_exception_fp_denorm_src 0
		.amdhsa_exception_fp_ieee_div_zero 0
		.amdhsa_exception_fp_ieee_overflow 0
		.amdhsa_exception_fp_ieee_underflow 0
		.amdhsa_exception_fp_ieee_inexact 0
		.amdhsa_exception_int_div_zero 0
	.end_amdhsa_kernel
	.section	.text._ZN7rocprim17ROCPRIM_400000_NS6detail17trampoline_kernelINS0_14default_configENS1_27scan_by_key_config_selectorIiiEEZZNS1_16scan_by_key_implILNS1_25lookback_scan_determinismE0ELb1ES3_N6thrust23THRUST_200600_302600_NS10device_ptrIiEESB_SB_iNS9_4plusIvEENS9_8equal_toIvEEiEE10hipError_tPvRmT2_T3_T4_T5_mT6_T7_P12ihipStream_tbENKUlT_T0_E_clISt17integral_constantIbLb0EESV_IbLb1EEEEDaSR_SS_EUlSR_E_NS1_11comp_targetILNS1_3genE2ELNS1_11target_archE906ELNS1_3gpuE6ELNS1_3repE0EEENS1_30default_config_static_selectorELNS0_4arch9wavefront6targetE1EEEvT1_,"axG",@progbits,_ZN7rocprim17ROCPRIM_400000_NS6detail17trampoline_kernelINS0_14default_configENS1_27scan_by_key_config_selectorIiiEEZZNS1_16scan_by_key_implILNS1_25lookback_scan_determinismE0ELb1ES3_N6thrust23THRUST_200600_302600_NS10device_ptrIiEESB_SB_iNS9_4plusIvEENS9_8equal_toIvEEiEE10hipError_tPvRmT2_T3_T4_T5_mT6_T7_P12ihipStream_tbENKUlT_T0_E_clISt17integral_constantIbLb0EESV_IbLb1EEEEDaSR_SS_EUlSR_E_NS1_11comp_targetILNS1_3genE2ELNS1_11target_archE906ELNS1_3gpuE6ELNS1_3repE0EEENS1_30default_config_static_selectorELNS0_4arch9wavefront6targetE1EEEvT1_,comdat
.Lfunc_end2265:
	.size	_ZN7rocprim17ROCPRIM_400000_NS6detail17trampoline_kernelINS0_14default_configENS1_27scan_by_key_config_selectorIiiEEZZNS1_16scan_by_key_implILNS1_25lookback_scan_determinismE0ELb1ES3_N6thrust23THRUST_200600_302600_NS10device_ptrIiEESB_SB_iNS9_4plusIvEENS9_8equal_toIvEEiEE10hipError_tPvRmT2_T3_T4_T5_mT6_T7_P12ihipStream_tbENKUlT_T0_E_clISt17integral_constantIbLb0EESV_IbLb1EEEEDaSR_SS_EUlSR_E_NS1_11comp_targetILNS1_3genE2ELNS1_11target_archE906ELNS1_3gpuE6ELNS1_3repE0EEENS1_30default_config_static_selectorELNS0_4arch9wavefront6targetE1EEEvT1_, .Lfunc_end2265-_ZN7rocprim17ROCPRIM_400000_NS6detail17trampoline_kernelINS0_14default_configENS1_27scan_by_key_config_selectorIiiEEZZNS1_16scan_by_key_implILNS1_25lookback_scan_determinismE0ELb1ES3_N6thrust23THRUST_200600_302600_NS10device_ptrIiEESB_SB_iNS9_4plusIvEENS9_8equal_toIvEEiEE10hipError_tPvRmT2_T3_T4_T5_mT6_T7_P12ihipStream_tbENKUlT_T0_E_clISt17integral_constantIbLb0EESV_IbLb1EEEEDaSR_SS_EUlSR_E_NS1_11comp_targetILNS1_3genE2ELNS1_11target_archE906ELNS1_3gpuE6ELNS1_3repE0EEENS1_30default_config_static_selectorELNS0_4arch9wavefront6targetE1EEEvT1_
                                        ; -- End function
	.section	.AMDGPU.csdata,"",@progbits
; Kernel info:
; codeLenInByte = 0
; NumSgprs: 4
; NumVgprs: 0
; NumAgprs: 0
; TotalNumVgprs: 0
; ScratchSize: 0
; MemoryBound: 0
; FloatMode: 240
; IeeeMode: 1
; LDSByteSize: 0 bytes/workgroup (compile time only)
; SGPRBlocks: 0
; VGPRBlocks: 0
; NumSGPRsForWavesPerEU: 4
; NumVGPRsForWavesPerEU: 1
; AccumOffset: 4
; Occupancy: 8
; WaveLimiterHint : 0
; COMPUTE_PGM_RSRC2:SCRATCH_EN: 0
; COMPUTE_PGM_RSRC2:USER_SGPR: 6
; COMPUTE_PGM_RSRC2:TRAP_HANDLER: 0
; COMPUTE_PGM_RSRC2:TGID_X_EN: 1
; COMPUTE_PGM_RSRC2:TGID_Y_EN: 0
; COMPUTE_PGM_RSRC2:TGID_Z_EN: 0
; COMPUTE_PGM_RSRC2:TIDIG_COMP_CNT: 0
; COMPUTE_PGM_RSRC3_GFX90A:ACCUM_OFFSET: 0
; COMPUTE_PGM_RSRC3_GFX90A:TG_SPLIT: 0
	.section	.text._ZN7rocprim17ROCPRIM_400000_NS6detail17trampoline_kernelINS0_14default_configENS1_27scan_by_key_config_selectorIiiEEZZNS1_16scan_by_key_implILNS1_25lookback_scan_determinismE0ELb1ES3_N6thrust23THRUST_200600_302600_NS10device_ptrIiEESB_SB_iNS9_4plusIvEENS9_8equal_toIvEEiEE10hipError_tPvRmT2_T3_T4_T5_mT6_T7_P12ihipStream_tbENKUlT_T0_E_clISt17integral_constantIbLb0EESV_IbLb1EEEEDaSR_SS_EUlSR_E_NS1_11comp_targetILNS1_3genE10ELNS1_11target_archE1200ELNS1_3gpuE4ELNS1_3repE0EEENS1_30default_config_static_selectorELNS0_4arch9wavefront6targetE1EEEvT1_,"axG",@progbits,_ZN7rocprim17ROCPRIM_400000_NS6detail17trampoline_kernelINS0_14default_configENS1_27scan_by_key_config_selectorIiiEEZZNS1_16scan_by_key_implILNS1_25lookback_scan_determinismE0ELb1ES3_N6thrust23THRUST_200600_302600_NS10device_ptrIiEESB_SB_iNS9_4plusIvEENS9_8equal_toIvEEiEE10hipError_tPvRmT2_T3_T4_T5_mT6_T7_P12ihipStream_tbENKUlT_T0_E_clISt17integral_constantIbLb0EESV_IbLb1EEEEDaSR_SS_EUlSR_E_NS1_11comp_targetILNS1_3genE10ELNS1_11target_archE1200ELNS1_3gpuE4ELNS1_3repE0EEENS1_30default_config_static_selectorELNS0_4arch9wavefront6targetE1EEEvT1_,comdat
	.protected	_ZN7rocprim17ROCPRIM_400000_NS6detail17trampoline_kernelINS0_14default_configENS1_27scan_by_key_config_selectorIiiEEZZNS1_16scan_by_key_implILNS1_25lookback_scan_determinismE0ELb1ES3_N6thrust23THRUST_200600_302600_NS10device_ptrIiEESB_SB_iNS9_4plusIvEENS9_8equal_toIvEEiEE10hipError_tPvRmT2_T3_T4_T5_mT6_T7_P12ihipStream_tbENKUlT_T0_E_clISt17integral_constantIbLb0EESV_IbLb1EEEEDaSR_SS_EUlSR_E_NS1_11comp_targetILNS1_3genE10ELNS1_11target_archE1200ELNS1_3gpuE4ELNS1_3repE0EEENS1_30default_config_static_selectorELNS0_4arch9wavefront6targetE1EEEvT1_ ; -- Begin function _ZN7rocprim17ROCPRIM_400000_NS6detail17trampoline_kernelINS0_14default_configENS1_27scan_by_key_config_selectorIiiEEZZNS1_16scan_by_key_implILNS1_25lookback_scan_determinismE0ELb1ES3_N6thrust23THRUST_200600_302600_NS10device_ptrIiEESB_SB_iNS9_4plusIvEENS9_8equal_toIvEEiEE10hipError_tPvRmT2_T3_T4_T5_mT6_T7_P12ihipStream_tbENKUlT_T0_E_clISt17integral_constantIbLb0EESV_IbLb1EEEEDaSR_SS_EUlSR_E_NS1_11comp_targetILNS1_3genE10ELNS1_11target_archE1200ELNS1_3gpuE4ELNS1_3repE0EEENS1_30default_config_static_selectorELNS0_4arch9wavefront6targetE1EEEvT1_
	.globl	_ZN7rocprim17ROCPRIM_400000_NS6detail17trampoline_kernelINS0_14default_configENS1_27scan_by_key_config_selectorIiiEEZZNS1_16scan_by_key_implILNS1_25lookback_scan_determinismE0ELb1ES3_N6thrust23THRUST_200600_302600_NS10device_ptrIiEESB_SB_iNS9_4plusIvEENS9_8equal_toIvEEiEE10hipError_tPvRmT2_T3_T4_T5_mT6_T7_P12ihipStream_tbENKUlT_T0_E_clISt17integral_constantIbLb0EESV_IbLb1EEEEDaSR_SS_EUlSR_E_NS1_11comp_targetILNS1_3genE10ELNS1_11target_archE1200ELNS1_3gpuE4ELNS1_3repE0EEENS1_30default_config_static_selectorELNS0_4arch9wavefront6targetE1EEEvT1_
	.p2align	8
	.type	_ZN7rocprim17ROCPRIM_400000_NS6detail17trampoline_kernelINS0_14default_configENS1_27scan_by_key_config_selectorIiiEEZZNS1_16scan_by_key_implILNS1_25lookback_scan_determinismE0ELb1ES3_N6thrust23THRUST_200600_302600_NS10device_ptrIiEESB_SB_iNS9_4plusIvEENS9_8equal_toIvEEiEE10hipError_tPvRmT2_T3_T4_T5_mT6_T7_P12ihipStream_tbENKUlT_T0_E_clISt17integral_constantIbLb0EESV_IbLb1EEEEDaSR_SS_EUlSR_E_NS1_11comp_targetILNS1_3genE10ELNS1_11target_archE1200ELNS1_3gpuE4ELNS1_3repE0EEENS1_30default_config_static_selectorELNS0_4arch9wavefront6targetE1EEEvT1_,@function
_ZN7rocprim17ROCPRIM_400000_NS6detail17trampoline_kernelINS0_14default_configENS1_27scan_by_key_config_selectorIiiEEZZNS1_16scan_by_key_implILNS1_25lookback_scan_determinismE0ELb1ES3_N6thrust23THRUST_200600_302600_NS10device_ptrIiEESB_SB_iNS9_4plusIvEENS9_8equal_toIvEEiEE10hipError_tPvRmT2_T3_T4_T5_mT6_T7_P12ihipStream_tbENKUlT_T0_E_clISt17integral_constantIbLb0EESV_IbLb1EEEEDaSR_SS_EUlSR_E_NS1_11comp_targetILNS1_3genE10ELNS1_11target_archE1200ELNS1_3gpuE4ELNS1_3repE0EEENS1_30default_config_static_selectorELNS0_4arch9wavefront6targetE1EEEvT1_: ; @_ZN7rocprim17ROCPRIM_400000_NS6detail17trampoline_kernelINS0_14default_configENS1_27scan_by_key_config_selectorIiiEEZZNS1_16scan_by_key_implILNS1_25lookback_scan_determinismE0ELb1ES3_N6thrust23THRUST_200600_302600_NS10device_ptrIiEESB_SB_iNS9_4plusIvEENS9_8equal_toIvEEiEE10hipError_tPvRmT2_T3_T4_T5_mT6_T7_P12ihipStream_tbENKUlT_T0_E_clISt17integral_constantIbLb0EESV_IbLb1EEEEDaSR_SS_EUlSR_E_NS1_11comp_targetILNS1_3genE10ELNS1_11target_archE1200ELNS1_3gpuE4ELNS1_3repE0EEENS1_30default_config_static_selectorELNS0_4arch9wavefront6targetE1EEEvT1_
; %bb.0:
	.section	.rodata,"a",@progbits
	.p2align	6, 0x0
	.amdhsa_kernel _ZN7rocprim17ROCPRIM_400000_NS6detail17trampoline_kernelINS0_14default_configENS1_27scan_by_key_config_selectorIiiEEZZNS1_16scan_by_key_implILNS1_25lookback_scan_determinismE0ELb1ES3_N6thrust23THRUST_200600_302600_NS10device_ptrIiEESB_SB_iNS9_4plusIvEENS9_8equal_toIvEEiEE10hipError_tPvRmT2_T3_T4_T5_mT6_T7_P12ihipStream_tbENKUlT_T0_E_clISt17integral_constantIbLb0EESV_IbLb1EEEEDaSR_SS_EUlSR_E_NS1_11comp_targetILNS1_3genE10ELNS1_11target_archE1200ELNS1_3gpuE4ELNS1_3repE0EEENS1_30default_config_static_selectorELNS0_4arch9wavefront6targetE1EEEvT1_
		.amdhsa_group_segment_fixed_size 0
		.amdhsa_private_segment_fixed_size 0
		.amdhsa_kernarg_size 112
		.amdhsa_user_sgpr_count 6
		.amdhsa_user_sgpr_private_segment_buffer 1
		.amdhsa_user_sgpr_dispatch_ptr 0
		.amdhsa_user_sgpr_queue_ptr 0
		.amdhsa_user_sgpr_kernarg_segment_ptr 1
		.amdhsa_user_sgpr_dispatch_id 0
		.amdhsa_user_sgpr_flat_scratch_init 0
		.amdhsa_user_sgpr_kernarg_preload_length 0
		.amdhsa_user_sgpr_kernarg_preload_offset 0
		.amdhsa_user_sgpr_private_segment_size 0
		.amdhsa_uses_dynamic_stack 0
		.amdhsa_system_sgpr_private_segment_wavefront_offset 0
		.amdhsa_system_sgpr_workgroup_id_x 1
		.amdhsa_system_sgpr_workgroup_id_y 0
		.amdhsa_system_sgpr_workgroup_id_z 0
		.amdhsa_system_sgpr_workgroup_info 0
		.amdhsa_system_vgpr_workitem_id 0
		.amdhsa_next_free_vgpr 1
		.amdhsa_next_free_sgpr 0
		.amdhsa_accum_offset 4
		.amdhsa_reserve_vcc 0
		.amdhsa_reserve_flat_scratch 0
		.amdhsa_float_round_mode_32 0
		.amdhsa_float_round_mode_16_64 0
		.amdhsa_float_denorm_mode_32 3
		.amdhsa_float_denorm_mode_16_64 3
		.amdhsa_dx10_clamp 1
		.amdhsa_ieee_mode 1
		.amdhsa_fp16_overflow 0
		.amdhsa_tg_split 0
		.amdhsa_exception_fp_ieee_invalid_op 0
		.amdhsa_exception_fp_denorm_src 0
		.amdhsa_exception_fp_ieee_div_zero 0
		.amdhsa_exception_fp_ieee_overflow 0
		.amdhsa_exception_fp_ieee_underflow 0
		.amdhsa_exception_fp_ieee_inexact 0
		.amdhsa_exception_int_div_zero 0
	.end_amdhsa_kernel
	.section	.text._ZN7rocprim17ROCPRIM_400000_NS6detail17trampoline_kernelINS0_14default_configENS1_27scan_by_key_config_selectorIiiEEZZNS1_16scan_by_key_implILNS1_25lookback_scan_determinismE0ELb1ES3_N6thrust23THRUST_200600_302600_NS10device_ptrIiEESB_SB_iNS9_4plusIvEENS9_8equal_toIvEEiEE10hipError_tPvRmT2_T3_T4_T5_mT6_T7_P12ihipStream_tbENKUlT_T0_E_clISt17integral_constantIbLb0EESV_IbLb1EEEEDaSR_SS_EUlSR_E_NS1_11comp_targetILNS1_3genE10ELNS1_11target_archE1200ELNS1_3gpuE4ELNS1_3repE0EEENS1_30default_config_static_selectorELNS0_4arch9wavefront6targetE1EEEvT1_,"axG",@progbits,_ZN7rocprim17ROCPRIM_400000_NS6detail17trampoline_kernelINS0_14default_configENS1_27scan_by_key_config_selectorIiiEEZZNS1_16scan_by_key_implILNS1_25lookback_scan_determinismE0ELb1ES3_N6thrust23THRUST_200600_302600_NS10device_ptrIiEESB_SB_iNS9_4plusIvEENS9_8equal_toIvEEiEE10hipError_tPvRmT2_T3_T4_T5_mT6_T7_P12ihipStream_tbENKUlT_T0_E_clISt17integral_constantIbLb0EESV_IbLb1EEEEDaSR_SS_EUlSR_E_NS1_11comp_targetILNS1_3genE10ELNS1_11target_archE1200ELNS1_3gpuE4ELNS1_3repE0EEENS1_30default_config_static_selectorELNS0_4arch9wavefront6targetE1EEEvT1_,comdat
.Lfunc_end2266:
	.size	_ZN7rocprim17ROCPRIM_400000_NS6detail17trampoline_kernelINS0_14default_configENS1_27scan_by_key_config_selectorIiiEEZZNS1_16scan_by_key_implILNS1_25lookback_scan_determinismE0ELb1ES3_N6thrust23THRUST_200600_302600_NS10device_ptrIiEESB_SB_iNS9_4plusIvEENS9_8equal_toIvEEiEE10hipError_tPvRmT2_T3_T4_T5_mT6_T7_P12ihipStream_tbENKUlT_T0_E_clISt17integral_constantIbLb0EESV_IbLb1EEEEDaSR_SS_EUlSR_E_NS1_11comp_targetILNS1_3genE10ELNS1_11target_archE1200ELNS1_3gpuE4ELNS1_3repE0EEENS1_30default_config_static_selectorELNS0_4arch9wavefront6targetE1EEEvT1_, .Lfunc_end2266-_ZN7rocprim17ROCPRIM_400000_NS6detail17trampoline_kernelINS0_14default_configENS1_27scan_by_key_config_selectorIiiEEZZNS1_16scan_by_key_implILNS1_25lookback_scan_determinismE0ELb1ES3_N6thrust23THRUST_200600_302600_NS10device_ptrIiEESB_SB_iNS9_4plusIvEENS9_8equal_toIvEEiEE10hipError_tPvRmT2_T3_T4_T5_mT6_T7_P12ihipStream_tbENKUlT_T0_E_clISt17integral_constantIbLb0EESV_IbLb1EEEEDaSR_SS_EUlSR_E_NS1_11comp_targetILNS1_3genE10ELNS1_11target_archE1200ELNS1_3gpuE4ELNS1_3repE0EEENS1_30default_config_static_selectorELNS0_4arch9wavefront6targetE1EEEvT1_
                                        ; -- End function
	.section	.AMDGPU.csdata,"",@progbits
; Kernel info:
; codeLenInByte = 0
; NumSgprs: 4
; NumVgprs: 0
; NumAgprs: 0
; TotalNumVgprs: 0
; ScratchSize: 0
; MemoryBound: 0
; FloatMode: 240
; IeeeMode: 1
; LDSByteSize: 0 bytes/workgroup (compile time only)
; SGPRBlocks: 0
; VGPRBlocks: 0
; NumSGPRsForWavesPerEU: 4
; NumVGPRsForWavesPerEU: 1
; AccumOffset: 4
; Occupancy: 8
; WaveLimiterHint : 0
; COMPUTE_PGM_RSRC2:SCRATCH_EN: 0
; COMPUTE_PGM_RSRC2:USER_SGPR: 6
; COMPUTE_PGM_RSRC2:TRAP_HANDLER: 0
; COMPUTE_PGM_RSRC2:TGID_X_EN: 1
; COMPUTE_PGM_RSRC2:TGID_Y_EN: 0
; COMPUTE_PGM_RSRC2:TGID_Z_EN: 0
; COMPUTE_PGM_RSRC2:TIDIG_COMP_CNT: 0
; COMPUTE_PGM_RSRC3_GFX90A:ACCUM_OFFSET: 0
; COMPUTE_PGM_RSRC3_GFX90A:TG_SPLIT: 0
	.section	.text._ZN7rocprim17ROCPRIM_400000_NS6detail17trampoline_kernelINS0_14default_configENS1_27scan_by_key_config_selectorIiiEEZZNS1_16scan_by_key_implILNS1_25lookback_scan_determinismE0ELb1ES3_N6thrust23THRUST_200600_302600_NS10device_ptrIiEESB_SB_iNS9_4plusIvEENS9_8equal_toIvEEiEE10hipError_tPvRmT2_T3_T4_T5_mT6_T7_P12ihipStream_tbENKUlT_T0_E_clISt17integral_constantIbLb0EESV_IbLb1EEEEDaSR_SS_EUlSR_E_NS1_11comp_targetILNS1_3genE9ELNS1_11target_archE1100ELNS1_3gpuE3ELNS1_3repE0EEENS1_30default_config_static_selectorELNS0_4arch9wavefront6targetE1EEEvT1_,"axG",@progbits,_ZN7rocprim17ROCPRIM_400000_NS6detail17trampoline_kernelINS0_14default_configENS1_27scan_by_key_config_selectorIiiEEZZNS1_16scan_by_key_implILNS1_25lookback_scan_determinismE0ELb1ES3_N6thrust23THRUST_200600_302600_NS10device_ptrIiEESB_SB_iNS9_4plusIvEENS9_8equal_toIvEEiEE10hipError_tPvRmT2_T3_T4_T5_mT6_T7_P12ihipStream_tbENKUlT_T0_E_clISt17integral_constantIbLb0EESV_IbLb1EEEEDaSR_SS_EUlSR_E_NS1_11comp_targetILNS1_3genE9ELNS1_11target_archE1100ELNS1_3gpuE3ELNS1_3repE0EEENS1_30default_config_static_selectorELNS0_4arch9wavefront6targetE1EEEvT1_,comdat
	.protected	_ZN7rocprim17ROCPRIM_400000_NS6detail17trampoline_kernelINS0_14default_configENS1_27scan_by_key_config_selectorIiiEEZZNS1_16scan_by_key_implILNS1_25lookback_scan_determinismE0ELb1ES3_N6thrust23THRUST_200600_302600_NS10device_ptrIiEESB_SB_iNS9_4plusIvEENS9_8equal_toIvEEiEE10hipError_tPvRmT2_T3_T4_T5_mT6_T7_P12ihipStream_tbENKUlT_T0_E_clISt17integral_constantIbLb0EESV_IbLb1EEEEDaSR_SS_EUlSR_E_NS1_11comp_targetILNS1_3genE9ELNS1_11target_archE1100ELNS1_3gpuE3ELNS1_3repE0EEENS1_30default_config_static_selectorELNS0_4arch9wavefront6targetE1EEEvT1_ ; -- Begin function _ZN7rocprim17ROCPRIM_400000_NS6detail17trampoline_kernelINS0_14default_configENS1_27scan_by_key_config_selectorIiiEEZZNS1_16scan_by_key_implILNS1_25lookback_scan_determinismE0ELb1ES3_N6thrust23THRUST_200600_302600_NS10device_ptrIiEESB_SB_iNS9_4plusIvEENS9_8equal_toIvEEiEE10hipError_tPvRmT2_T3_T4_T5_mT6_T7_P12ihipStream_tbENKUlT_T0_E_clISt17integral_constantIbLb0EESV_IbLb1EEEEDaSR_SS_EUlSR_E_NS1_11comp_targetILNS1_3genE9ELNS1_11target_archE1100ELNS1_3gpuE3ELNS1_3repE0EEENS1_30default_config_static_selectorELNS0_4arch9wavefront6targetE1EEEvT1_
	.globl	_ZN7rocprim17ROCPRIM_400000_NS6detail17trampoline_kernelINS0_14default_configENS1_27scan_by_key_config_selectorIiiEEZZNS1_16scan_by_key_implILNS1_25lookback_scan_determinismE0ELb1ES3_N6thrust23THRUST_200600_302600_NS10device_ptrIiEESB_SB_iNS9_4plusIvEENS9_8equal_toIvEEiEE10hipError_tPvRmT2_T3_T4_T5_mT6_T7_P12ihipStream_tbENKUlT_T0_E_clISt17integral_constantIbLb0EESV_IbLb1EEEEDaSR_SS_EUlSR_E_NS1_11comp_targetILNS1_3genE9ELNS1_11target_archE1100ELNS1_3gpuE3ELNS1_3repE0EEENS1_30default_config_static_selectorELNS0_4arch9wavefront6targetE1EEEvT1_
	.p2align	8
	.type	_ZN7rocprim17ROCPRIM_400000_NS6detail17trampoline_kernelINS0_14default_configENS1_27scan_by_key_config_selectorIiiEEZZNS1_16scan_by_key_implILNS1_25lookback_scan_determinismE0ELb1ES3_N6thrust23THRUST_200600_302600_NS10device_ptrIiEESB_SB_iNS9_4plusIvEENS9_8equal_toIvEEiEE10hipError_tPvRmT2_T3_T4_T5_mT6_T7_P12ihipStream_tbENKUlT_T0_E_clISt17integral_constantIbLb0EESV_IbLb1EEEEDaSR_SS_EUlSR_E_NS1_11comp_targetILNS1_3genE9ELNS1_11target_archE1100ELNS1_3gpuE3ELNS1_3repE0EEENS1_30default_config_static_selectorELNS0_4arch9wavefront6targetE1EEEvT1_,@function
_ZN7rocprim17ROCPRIM_400000_NS6detail17trampoline_kernelINS0_14default_configENS1_27scan_by_key_config_selectorIiiEEZZNS1_16scan_by_key_implILNS1_25lookback_scan_determinismE0ELb1ES3_N6thrust23THRUST_200600_302600_NS10device_ptrIiEESB_SB_iNS9_4plusIvEENS9_8equal_toIvEEiEE10hipError_tPvRmT2_T3_T4_T5_mT6_T7_P12ihipStream_tbENKUlT_T0_E_clISt17integral_constantIbLb0EESV_IbLb1EEEEDaSR_SS_EUlSR_E_NS1_11comp_targetILNS1_3genE9ELNS1_11target_archE1100ELNS1_3gpuE3ELNS1_3repE0EEENS1_30default_config_static_selectorELNS0_4arch9wavefront6targetE1EEEvT1_: ; @_ZN7rocprim17ROCPRIM_400000_NS6detail17trampoline_kernelINS0_14default_configENS1_27scan_by_key_config_selectorIiiEEZZNS1_16scan_by_key_implILNS1_25lookback_scan_determinismE0ELb1ES3_N6thrust23THRUST_200600_302600_NS10device_ptrIiEESB_SB_iNS9_4plusIvEENS9_8equal_toIvEEiEE10hipError_tPvRmT2_T3_T4_T5_mT6_T7_P12ihipStream_tbENKUlT_T0_E_clISt17integral_constantIbLb0EESV_IbLb1EEEEDaSR_SS_EUlSR_E_NS1_11comp_targetILNS1_3genE9ELNS1_11target_archE1100ELNS1_3gpuE3ELNS1_3repE0EEENS1_30default_config_static_selectorELNS0_4arch9wavefront6targetE1EEEvT1_
; %bb.0:
	.section	.rodata,"a",@progbits
	.p2align	6, 0x0
	.amdhsa_kernel _ZN7rocprim17ROCPRIM_400000_NS6detail17trampoline_kernelINS0_14default_configENS1_27scan_by_key_config_selectorIiiEEZZNS1_16scan_by_key_implILNS1_25lookback_scan_determinismE0ELb1ES3_N6thrust23THRUST_200600_302600_NS10device_ptrIiEESB_SB_iNS9_4plusIvEENS9_8equal_toIvEEiEE10hipError_tPvRmT2_T3_T4_T5_mT6_T7_P12ihipStream_tbENKUlT_T0_E_clISt17integral_constantIbLb0EESV_IbLb1EEEEDaSR_SS_EUlSR_E_NS1_11comp_targetILNS1_3genE9ELNS1_11target_archE1100ELNS1_3gpuE3ELNS1_3repE0EEENS1_30default_config_static_selectorELNS0_4arch9wavefront6targetE1EEEvT1_
		.amdhsa_group_segment_fixed_size 0
		.amdhsa_private_segment_fixed_size 0
		.amdhsa_kernarg_size 112
		.amdhsa_user_sgpr_count 6
		.amdhsa_user_sgpr_private_segment_buffer 1
		.amdhsa_user_sgpr_dispatch_ptr 0
		.amdhsa_user_sgpr_queue_ptr 0
		.amdhsa_user_sgpr_kernarg_segment_ptr 1
		.amdhsa_user_sgpr_dispatch_id 0
		.amdhsa_user_sgpr_flat_scratch_init 0
		.amdhsa_user_sgpr_kernarg_preload_length 0
		.amdhsa_user_sgpr_kernarg_preload_offset 0
		.amdhsa_user_sgpr_private_segment_size 0
		.amdhsa_uses_dynamic_stack 0
		.amdhsa_system_sgpr_private_segment_wavefront_offset 0
		.amdhsa_system_sgpr_workgroup_id_x 1
		.amdhsa_system_sgpr_workgroup_id_y 0
		.amdhsa_system_sgpr_workgroup_id_z 0
		.amdhsa_system_sgpr_workgroup_info 0
		.amdhsa_system_vgpr_workitem_id 0
		.amdhsa_next_free_vgpr 1
		.amdhsa_next_free_sgpr 0
		.amdhsa_accum_offset 4
		.amdhsa_reserve_vcc 0
		.amdhsa_reserve_flat_scratch 0
		.amdhsa_float_round_mode_32 0
		.amdhsa_float_round_mode_16_64 0
		.amdhsa_float_denorm_mode_32 3
		.amdhsa_float_denorm_mode_16_64 3
		.amdhsa_dx10_clamp 1
		.amdhsa_ieee_mode 1
		.amdhsa_fp16_overflow 0
		.amdhsa_tg_split 0
		.amdhsa_exception_fp_ieee_invalid_op 0
		.amdhsa_exception_fp_denorm_src 0
		.amdhsa_exception_fp_ieee_div_zero 0
		.amdhsa_exception_fp_ieee_overflow 0
		.amdhsa_exception_fp_ieee_underflow 0
		.amdhsa_exception_fp_ieee_inexact 0
		.amdhsa_exception_int_div_zero 0
	.end_amdhsa_kernel
	.section	.text._ZN7rocprim17ROCPRIM_400000_NS6detail17trampoline_kernelINS0_14default_configENS1_27scan_by_key_config_selectorIiiEEZZNS1_16scan_by_key_implILNS1_25lookback_scan_determinismE0ELb1ES3_N6thrust23THRUST_200600_302600_NS10device_ptrIiEESB_SB_iNS9_4plusIvEENS9_8equal_toIvEEiEE10hipError_tPvRmT2_T3_T4_T5_mT6_T7_P12ihipStream_tbENKUlT_T0_E_clISt17integral_constantIbLb0EESV_IbLb1EEEEDaSR_SS_EUlSR_E_NS1_11comp_targetILNS1_3genE9ELNS1_11target_archE1100ELNS1_3gpuE3ELNS1_3repE0EEENS1_30default_config_static_selectorELNS0_4arch9wavefront6targetE1EEEvT1_,"axG",@progbits,_ZN7rocprim17ROCPRIM_400000_NS6detail17trampoline_kernelINS0_14default_configENS1_27scan_by_key_config_selectorIiiEEZZNS1_16scan_by_key_implILNS1_25lookback_scan_determinismE0ELb1ES3_N6thrust23THRUST_200600_302600_NS10device_ptrIiEESB_SB_iNS9_4plusIvEENS9_8equal_toIvEEiEE10hipError_tPvRmT2_T3_T4_T5_mT6_T7_P12ihipStream_tbENKUlT_T0_E_clISt17integral_constantIbLb0EESV_IbLb1EEEEDaSR_SS_EUlSR_E_NS1_11comp_targetILNS1_3genE9ELNS1_11target_archE1100ELNS1_3gpuE3ELNS1_3repE0EEENS1_30default_config_static_selectorELNS0_4arch9wavefront6targetE1EEEvT1_,comdat
.Lfunc_end2267:
	.size	_ZN7rocprim17ROCPRIM_400000_NS6detail17trampoline_kernelINS0_14default_configENS1_27scan_by_key_config_selectorIiiEEZZNS1_16scan_by_key_implILNS1_25lookback_scan_determinismE0ELb1ES3_N6thrust23THRUST_200600_302600_NS10device_ptrIiEESB_SB_iNS9_4plusIvEENS9_8equal_toIvEEiEE10hipError_tPvRmT2_T3_T4_T5_mT6_T7_P12ihipStream_tbENKUlT_T0_E_clISt17integral_constantIbLb0EESV_IbLb1EEEEDaSR_SS_EUlSR_E_NS1_11comp_targetILNS1_3genE9ELNS1_11target_archE1100ELNS1_3gpuE3ELNS1_3repE0EEENS1_30default_config_static_selectorELNS0_4arch9wavefront6targetE1EEEvT1_, .Lfunc_end2267-_ZN7rocprim17ROCPRIM_400000_NS6detail17trampoline_kernelINS0_14default_configENS1_27scan_by_key_config_selectorIiiEEZZNS1_16scan_by_key_implILNS1_25lookback_scan_determinismE0ELb1ES3_N6thrust23THRUST_200600_302600_NS10device_ptrIiEESB_SB_iNS9_4plusIvEENS9_8equal_toIvEEiEE10hipError_tPvRmT2_T3_T4_T5_mT6_T7_P12ihipStream_tbENKUlT_T0_E_clISt17integral_constantIbLb0EESV_IbLb1EEEEDaSR_SS_EUlSR_E_NS1_11comp_targetILNS1_3genE9ELNS1_11target_archE1100ELNS1_3gpuE3ELNS1_3repE0EEENS1_30default_config_static_selectorELNS0_4arch9wavefront6targetE1EEEvT1_
                                        ; -- End function
	.section	.AMDGPU.csdata,"",@progbits
; Kernel info:
; codeLenInByte = 0
; NumSgprs: 4
; NumVgprs: 0
; NumAgprs: 0
; TotalNumVgprs: 0
; ScratchSize: 0
; MemoryBound: 0
; FloatMode: 240
; IeeeMode: 1
; LDSByteSize: 0 bytes/workgroup (compile time only)
; SGPRBlocks: 0
; VGPRBlocks: 0
; NumSGPRsForWavesPerEU: 4
; NumVGPRsForWavesPerEU: 1
; AccumOffset: 4
; Occupancy: 8
; WaveLimiterHint : 0
; COMPUTE_PGM_RSRC2:SCRATCH_EN: 0
; COMPUTE_PGM_RSRC2:USER_SGPR: 6
; COMPUTE_PGM_RSRC2:TRAP_HANDLER: 0
; COMPUTE_PGM_RSRC2:TGID_X_EN: 1
; COMPUTE_PGM_RSRC2:TGID_Y_EN: 0
; COMPUTE_PGM_RSRC2:TGID_Z_EN: 0
; COMPUTE_PGM_RSRC2:TIDIG_COMP_CNT: 0
; COMPUTE_PGM_RSRC3_GFX90A:ACCUM_OFFSET: 0
; COMPUTE_PGM_RSRC3_GFX90A:TG_SPLIT: 0
	.section	.text._ZN7rocprim17ROCPRIM_400000_NS6detail17trampoline_kernelINS0_14default_configENS1_27scan_by_key_config_selectorIiiEEZZNS1_16scan_by_key_implILNS1_25lookback_scan_determinismE0ELb1ES3_N6thrust23THRUST_200600_302600_NS10device_ptrIiEESB_SB_iNS9_4plusIvEENS9_8equal_toIvEEiEE10hipError_tPvRmT2_T3_T4_T5_mT6_T7_P12ihipStream_tbENKUlT_T0_E_clISt17integral_constantIbLb0EESV_IbLb1EEEEDaSR_SS_EUlSR_E_NS1_11comp_targetILNS1_3genE8ELNS1_11target_archE1030ELNS1_3gpuE2ELNS1_3repE0EEENS1_30default_config_static_selectorELNS0_4arch9wavefront6targetE1EEEvT1_,"axG",@progbits,_ZN7rocprim17ROCPRIM_400000_NS6detail17trampoline_kernelINS0_14default_configENS1_27scan_by_key_config_selectorIiiEEZZNS1_16scan_by_key_implILNS1_25lookback_scan_determinismE0ELb1ES3_N6thrust23THRUST_200600_302600_NS10device_ptrIiEESB_SB_iNS9_4plusIvEENS9_8equal_toIvEEiEE10hipError_tPvRmT2_T3_T4_T5_mT6_T7_P12ihipStream_tbENKUlT_T0_E_clISt17integral_constantIbLb0EESV_IbLb1EEEEDaSR_SS_EUlSR_E_NS1_11comp_targetILNS1_3genE8ELNS1_11target_archE1030ELNS1_3gpuE2ELNS1_3repE0EEENS1_30default_config_static_selectorELNS0_4arch9wavefront6targetE1EEEvT1_,comdat
	.protected	_ZN7rocprim17ROCPRIM_400000_NS6detail17trampoline_kernelINS0_14default_configENS1_27scan_by_key_config_selectorIiiEEZZNS1_16scan_by_key_implILNS1_25lookback_scan_determinismE0ELb1ES3_N6thrust23THRUST_200600_302600_NS10device_ptrIiEESB_SB_iNS9_4plusIvEENS9_8equal_toIvEEiEE10hipError_tPvRmT2_T3_T4_T5_mT6_T7_P12ihipStream_tbENKUlT_T0_E_clISt17integral_constantIbLb0EESV_IbLb1EEEEDaSR_SS_EUlSR_E_NS1_11comp_targetILNS1_3genE8ELNS1_11target_archE1030ELNS1_3gpuE2ELNS1_3repE0EEENS1_30default_config_static_selectorELNS0_4arch9wavefront6targetE1EEEvT1_ ; -- Begin function _ZN7rocprim17ROCPRIM_400000_NS6detail17trampoline_kernelINS0_14default_configENS1_27scan_by_key_config_selectorIiiEEZZNS1_16scan_by_key_implILNS1_25lookback_scan_determinismE0ELb1ES3_N6thrust23THRUST_200600_302600_NS10device_ptrIiEESB_SB_iNS9_4plusIvEENS9_8equal_toIvEEiEE10hipError_tPvRmT2_T3_T4_T5_mT6_T7_P12ihipStream_tbENKUlT_T0_E_clISt17integral_constantIbLb0EESV_IbLb1EEEEDaSR_SS_EUlSR_E_NS1_11comp_targetILNS1_3genE8ELNS1_11target_archE1030ELNS1_3gpuE2ELNS1_3repE0EEENS1_30default_config_static_selectorELNS0_4arch9wavefront6targetE1EEEvT1_
	.globl	_ZN7rocprim17ROCPRIM_400000_NS6detail17trampoline_kernelINS0_14default_configENS1_27scan_by_key_config_selectorIiiEEZZNS1_16scan_by_key_implILNS1_25lookback_scan_determinismE0ELb1ES3_N6thrust23THRUST_200600_302600_NS10device_ptrIiEESB_SB_iNS9_4plusIvEENS9_8equal_toIvEEiEE10hipError_tPvRmT2_T3_T4_T5_mT6_T7_P12ihipStream_tbENKUlT_T0_E_clISt17integral_constantIbLb0EESV_IbLb1EEEEDaSR_SS_EUlSR_E_NS1_11comp_targetILNS1_3genE8ELNS1_11target_archE1030ELNS1_3gpuE2ELNS1_3repE0EEENS1_30default_config_static_selectorELNS0_4arch9wavefront6targetE1EEEvT1_
	.p2align	8
	.type	_ZN7rocprim17ROCPRIM_400000_NS6detail17trampoline_kernelINS0_14default_configENS1_27scan_by_key_config_selectorIiiEEZZNS1_16scan_by_key_implILNS1_25lookback_scan_determinismE0ELb1ES3_N6thrust23THRUST_200600_302600_NS10device_ptrIiEESB_SB_iNS9_4plusIvEENS9_8equal_toIvEEiEE10hipError_tPvRmT2_T3_T4_T5_mT6_T7_P12ihipStream_tbENKUlT_T0_E_clISt17integral_constantIbLb0EESV_IbLb1EEEEDaSR_SS_EUlSR_E_NS1_11comp_targetILNS1_3genE8ELNS1_11target_archE1030ELNS1_3gpuE2ELNS1_3repE0EEENS1_30default_config_static_selectorELNS0_4arch9wavefront6targetE1EEEvT1_,@function
_ZN7rocprim17ROCPRIM_400000_NS6detail17trampoline_kernelINS0_14default_configENS1_27scan_by_key_config_selectorIiiEEZZNS1_16scan_by_key_implILNS1_25lookback_scan_determinismE0ELb1ES3_N6thrust23THRUST_200600_302600_NS10device_ptrIiEESB_SB_iNS9_4plusIvEENS9_8equal_toIvEEiEE10hipError_tPvRmT2_T3_T4_T5_mT6_T7_P12ihipStream_tbENKUlT_T0_E_clISt17integral_constantIbLb0EESV_IbLb1EEEEDaSR_SS_EUlSR_E_NS1_11comp_targetILNS1_3genE8ELNS1_11target_archE1030ELNS1_3gpuE2ELNS1_3repE0EEENS1_30default_config_static_selectorELNS0_4arch9wavefront6targetE1EEEvT1_: ; @_ZN7rocprim17ROCPRIM_400000_NS6detail17trampoline_kernelINS0_14default_configENS1_27scan_by_key_config_selectorIiiEEZZNS1_16scan_by_key_implILNS1_25lookback_scan_determinismE0ELb1ES3_N6thrust23THRUST_200600_302600_NS10device_ptrIiEESB_SB_iNS9_4plusIvEENS9_8equal_toIvEEiEE10hipError_tPvRmT2_T3_T4_T5_mT6_T7_P12ihipStream_tbENKUlT_T0_E_clISt17integral_constantIbLb0EESV_IbLb1EEEEDaSR_SS_EUlSR_E_NS1_11comp_targetILNS1_3genE8ELNS1_11target_archE1030ELNS1_3gpuE2ELNS1_3repE0EEENS1_30default_config_static_selectorELNS0_4arch9wavefront6targetE1EEEvT1_
; %bb.0:
	.section	.rodata,"a",@progbits
	.p2align	6, 0x0
	.amdhsa_kernel _ZN7rocprim17ROCPRIM_400000_NS6detail17trampoline_kernelINS0_14default_configENS1_27scan_by_key_config_selectorIiiEEZZNS1_16scan_by_key_implILNS1_25lookback_scan_determinismE0ELb1ES3_N6thrust23THRUST_200600_302600_NS10device_ptrIiEESB_SB_iNS9_4plusIvEENS9_8equal_toIvEEiEE10hipError_tPvRmT2_T3_T4_T5_mT6_T7_P12ihipStream_tbENKUlT_T0_E_clISt17integral_constantIbLb0EESV_IbLb1EEEEDaSR_SS_EUlSR_E_NS1_11comp_targetILNS1_3genE8ELNS1_11target_archE1030ELNS1_3gpuE2ELNS1_3repE0EEENS1_30default_config_static_selectorELNS0_4arch9wavefront6targetE1EEEvT1_
		.amdhsa_group_segment_fixed_size 0
		.amdhsa_private_segment_fixed_size 0
		.amdhsa_kernarg_size 112
		.amdhsa_user_sgpr_count 6
		.amdhsa_user_sgpr_private_segment_buffer 1
		.amdhsa_user_sgpr_dispatch_ptr 0
		.amdhsa_user_sgpr_queue_ptr 0
		.amdhsa_user_sgpr_kernarg_segment_ptr 1
		.amdhsa_user_sgpr_dispatch_id 0
		.amdhsa_user_sgpr_flat_scratch_init 0
		.amdhsa_user_sgpr_kernarg_preload_length 0
		.amdhsa_user_sgpr_kernarg_preload_offset 0
		.amdhsa_user_sgpr_private_segment_size 0
		.amdhsa_uses_dynamic_stack 0
		.amdhsa_system_sgpr_private_segment_wavefront_offset 0
		.amdhsa_system_sgpr_workgroup_id_x 1
		.amdhsa_system_sgpr_workgroup_id_y 0
		.amdhsa_system_sgpr_workgroup_id_z 0
		.amdhsa_system_sgpr_workgroup_info 0
		.amdhsa_system_vgpr_workitem_id 0
		.amdhsa_next_free_vgpr 1
		.amdhsa_next_free_sgpr 0
		.amdhsa_accum_offset 4
		.amdhsa_reserve_vcc 0
		.amdhsa_reserve_flat_scratch 0
		.amdhsa_float_round_mode_32 0
		.amdhsa_float_round_mode_16_64 0
		.amdhsa_float_denorm_mode_32 3
		.amdhsa_float_denorm_mode_16_64 3
		.amdhsa_dx10_clamp 1
		.amdhsa_ieee_mode 1
		.amdhsa_fp16_overflow 0
		.amdhsa_tg_split 0
		.amdhsa_exception_fp_ieee_invalid_op 0
		.amdhsa_exception_fp_denorm_src 0
		.amdhsa_exception_fp_ieee_div_zero 0
		.amdhsa_exception_fp_ieee_overflow 0
		.amdhsa_exception_fp_ieee_underflow 0
		.amdhsa_exception_fp_ieee_inexact 0
		.amdhsa_exception_int_div_zero 0
	.end_amdhsa_kernel
	.section	.text._ZN7rocprim17ROCPRIM_400000_NS6detail17trampoline_kernelINS0_14default_configENS1_27scan_by_key_config_selectorIiiEEZZNS1_16scan_by_key_implILNS1_25lookback_scan_determinismE0ELb1ES3_N6thrust23THRUST_200600_302600_NS10device_ptrIiEESB_SB_iNS9_4plusIvEENS9_8equal_toIvEEiEE10hipError_tPvRmT2_T3_T4_T5_mT6_T7_P12ihipStream_tbENKUlT_T0_E_clISt17integral_constantIbLb0EESV_IbLb1EEEEDaSR_SS_EUlSR_E_NS1_11comp_targetILNS1_3genE8ELNS1_11target_archE1030ELNS1_3gpuE2ELNS1_3repE0EEENS1_30default_config_static_selectorELNS0_4arch9wavefront6targetE1EEEvT1_,"axG",@progbits,_ZN7rocprim17ROCPRIM_400000_NS6detail17trampoline_kernelINS0_14default_configENS1_27scan_by_key_config_selectorIiiEEZZNS1_16scan_by_key_implILNS1_25lookback_scan_determinismE0ELb1ES3_N6thrust23THRUST_200600_302600_NS10device_ptrIiEESB_SB_iNS9_4plusIvEENS9_8equal_toIvEEiEE10hipError_tPvRmT2_T3_T4_T5_mT6_T7_P12ihipStream_tbENKUlT_T0_E_clISt17integral_constantIbLb0EESV_IbLb1EEEEDaSR_SS_EUlSR_E_NS1_11comp_targetILNS1_3genE8ELNS1_11target_archE1030ELNS1_3gpuE2ELNS1_3repE0EEENS1_30default_config_static_selectorELNS0_4arch9wavefront6targetE1EEEvT1_,comdat
.Lfunc_end2268:
	.size	_ZN7rocprim17ROCPRIM_400000_NS6detail17trampoline_kernelINS0_14default_configENS1_27scan_by_key_config_selectorIiiEEZZNS1_16scan_by_key_implILNS1_25lookback_scan_determinismE0ELb1ES3_N6thrust23THRUST_200600_302600_NS10device_ptrIiEESB_SB_iNS9_4plusIvEENS9_8equal_toIvEEiEE10hipError_tPvRmT2_T3_T4_T5_mT6_T7_P12ihipStream_tbENKUlT_T0_E_clISt17integral_constantIbLb0EESV_IbLb1EEEEDaSR_SS_EUlSR_E_NS1_11comp_targetILNS1_3genE8ELNS1_11target_archE1030ELNS1_3gpuE2ELNS1_3repE0EEENS1_30default_config_static_selectorELNS0_4arch9wavefront6targetE1EEEvT1_, .Lfunc_end2268-_ZN7rocprim17ROCPRIM_400000_NS6detail17trampoline_kernelINS0_14default_configENS1_27scan_by_key_config_selectorIiiEEZZNS1_16scan_by_key_implILNS1_25lookback_scan_determinismE0ELb1ES3_N6thrust23THRUST_200600_302600_NS10device_ptrIiEESB_SB_iNS9_4plusIvEENS9_8equal_toIvEEiEE10hipError_tPvRmT2_T3_T4_T5_mT6_T7_P12ihipStream_tbENKUlT_T0_E_clISt17integral_constantIbLb0EESV_IbLb1EEEEDaSR_SS_EUlSR_E_NS1_11comp_targetILNS1_3genE8ELNS1_11target_archE1030ELNS1_3gpuE2ELNS1_3repE0EEENS1_30default_config_static_selectorELNS0_4arch9wavefront6targetE1EEEvT1_
                                        ; -- End function
	.section	.AMDGPU.csdata,"",@progbits
; Kernel info:
; codeLenInByte = 0
; NumSgprs: 4
; NumVgprs: 0
; NumAgprs: 0
; TotalNumVgprs: 0
; ScratchSize: 0
; MemoryBound: 0
; FloatMode: 240
; IeeeMode: 1
; LDSByteSize: 0 bytes/workgroup (compile time only)
; SGPRBlocks: 0
; VGPRBlocks: 0
; NumSGPRsForWavesPerEU: 4
; NumVGPRsForWavesPerEU: 1
; AccumOffset: 4
; Occupancy: 8
; WaveLimiterHint : 0
; COMPUTE_PGM_RSRC2:SCRATCH_EN: 0
; COMPUTE_PGM_RSRC2:USER_SGPR: 6
; COMPUTE_PGM_RSRC2:TRAP_HANDLER: 0
; COMPUTE_PGM_RSRC2:TGID_X_EN: 1
; COMPUTE_PGM_RSRC2:TGID_Y_EN: 0
; COMPUTE_PGM_RSRC2:TGID_Z_EN: 0
; COMPUTE_PGM_RSRC2:TIDIG_COMP_CNT: 0
; COMPUTE_PGM_RSRC3_GFX90A:ACCUM_OFFSET: 0
; COMPUTE_PGM_RSRC3_GFX90A:TG_SPLIT: 0
	.text
	.p2alignl 6, 3212836864
	.fill 256, 4, 3212836864
	.type	__hip_cuid_de244f1e2b9349b,@object ; @__hip_cuid_de244f1e2b9349b
	.section	.bss,"aw",@nobits
	.globl	__hip_cuid_de244f1e2b9349b
__hip_cuid_de244f1e2b9349b:
	.byte	0                               ; 0x0
	.size	__hip_cuid_de244f1e2b9349b, 1

	.ident	"AMD clang version 19.0.0git (https://github.com/RadeonOpenCompute/llvm-project roc-6.4.0 25133 c7fe45cf4b819c5991fe208aaa96edf142730f1d)"
	.section	".note.GNU-stack","",@progbits
	.addrsig
	.addrsig_sym __hip_cuid_de244f1e2b9349b
	.amdgpu_metadata
---
amdhsa.kernels:
  - .agpr_count:     0
    .args:
      - .offset:         0
        .size:           4
        .value_kind:     by_value
      - .address_space:  global
        .offset:         8
        .size:           8
        .value_kind:     global_buffer
      - .address_space:  global
        .offset:         16
        .size:           8
        .value_kind:     global_buffer
      - .address_space:  global
        .offset:         24
        .size:           8
        .value_kind:     global_buffer
    .group_segment_fixed_size: 0
    .kernarg_segment_align: 8
    .kernarg_segment_size: 32
    .language:       OpenCL C
    .language_version:
      - 2
      - 0
    .max_flat_workgroup_size: 256
    .name:           _Z24InclusiveScanByKeyKerneliPiS_S_
    .private_segment_fixed_size: 0
    .sgpr_count:     17
    .sgpr_spill_count: 0
    .symbol:         _Z24InclusiveScanByKeyKerneliPiS_S_.kd
    .uniform_work_group_size: 1
    .uses_dynamic_stack: false
    .vgpr_count:     5
    .vgpr_spill_count: 0
    .wavefront_size: 64
  - .agpr_count:     0
    .args:
      - .offset:         0
        .size:           4
        .value_kind:     by_value
      - .address_space:  global
        .offset:         8
        .size:           8
        .value_kind:     global_buffer
      - .address_space:  global
        .offset:         16
        .size:           8
        .value_kind:     global_buffer
      - .address_space:  global
        .offset:         24
        .size:           8
        .value_kind:     global_buffer
    .group_segment_fixed_size: 0
    .kernarg_segment_align: 8
    .kernarg_segment_size: 32
    .language:       OpenCL C
    .language_version:
      - 2
      - 0
    .max_flat_workgroup_size: 256
    .name:           _Z24ExclusiveScanByKeyKerneliPiS_S_
    .private_segment_fixed_size: 0
    .sgpr_count:     17
    .sgpr_spill_count: 0
    .symbol:         _Z24ExclusiveScanByKeyKerneliPiS_S_.kd
    .uniform_work_group_size: 1
    .uses_dynamic_stack: false
    .vgpr_count:     5
    .vgpr_spill_count: 0
    .wavefront_size: 64
  - .agpr_count:     0
    .args:
      - .offset:         0
        .size:           16
        .value_kind:     by_value
      - .offset:         16
        .size:           8
        .value_kind:     by_value
      - .offset:         24
        .size:           8
        .value_kind:     by_value
    .group_segment_fixed_size: 0
    .kernarg_segment_align: 8
    .kernarg_segment_size: 32
    .language:       OpenCL C
    .language_version:
      - 2
      - 0
    .max_flat_workgroup_size: 256
    .name:           _ZN6thrust23THRUST_200600_302600_NS11hip_rocprim14__parallel_for6kernelILj256ENS1_20__uninitialized_fill7functorINS0_10device_ptrIxEExEEmLj1EEEvT0_T1_SA_
    .private_segment_fixed_size: 0
    .sgpr_count:     20
    .sgpr_spill_count: 0
    .symbol:         _ZN6thrust23THRUST_200600_302600_NS11hip_rocprim14__parallel_for6kernelILj256ENS1_20__uninitialized_fill7functorINS0_10device_ptrIxEExEEmLj1EEEvT0_T1_SA_.kd
    .uniform_work_group_size: 1
    .uses_dynamic_stack: false
    .vgpr_count:     5
    .vgpr_spill_count: 0
    .wavefront_size: 64
  - .agpr_count:     0
    .args:
      - .offset:         0
        .size:           24
        .value_kind:     by_value
      - .offset:         24
        .size:           4
        .value_kind:     by_value
      - .offset:         28
        .size:           4
        .value_kind:     by_value
      - .address_space:  global
        .offset:         32
        .size:           8
        .value_kind:     global_buffer
      - .address_space:  global
        .offset:         40
        .size:           8
        .value_kind:     global_buffer
      - .actual_access:  write_only
        .address_space:  global
        .offset:         48
        .size:           8
        .value_kind:     global_buffer
      - .offset:         56
        .size:           8
        .value_kind:     by_value
      - .offset:         64
        .size:           4
        .value_kind:     by_value
      - .offset:         68
        .size:           1
        .value_kind:     by_value
      - .offset:         72
        .size:           4
        .value_kind:     hidden_block_count_x
      - .offset:         76
        .size:           4
        .value_kind:     hidden_block_count_y
      - .offset:         80
        .size:           4
        .value_kind:     hidden_block_count_z
      - .offset:         84
        .size:           2
        .value_kind:     hidden_group_size_x
      - .offset:         86
        .size:           2
        .value_kind:     hidden_group_size_y
      - .offset:         88
        .size:           2
        .value_kind:     hidden_group_size_z
      - .offset:         90
        .size:           2
        .value_kind:     hidden_remainder_x
      - .offset:         92
        .size:           2
        .value_kind:     hidden_remainder_y
      - .offset:         94
        .size:           2
        .value_kind:     hidden_remainder_z
      - .offset:         112
        .size:           8
        .value_kind:     hidden_global_offset_x
      - .offset:         120
        .size:           8
        .value_kind:     hidden_global_offset_y
      - .offset:         128
        .size:           8
        .value_kind:     hidden_global_offset_z
      - .offset:         136
        .size:           2
        .value_kind:     hidden_grid_dims
    .group_segment_fixed_size: 0
    .kernarg_segment_align: 8
    .kernarg_segment_size: 328
    .language:       OpenCL C
    .language_version:
      - 2
      - 0
    .max_flat_workgroup_size: 256
    .name:           _ZN7rocprim17ROCPRIM_400000_NS6detail30init_device_scan_by_key_kernelINS1_19lookback_scan_stateINS0_5tupleIJxbEEELb0ELb0EEEN6thrust23THRUST_200600_302600_NS6detail15normal_iteratorINS8_10device_ptrIxEEEEjNS1_16block_id_wrapperIjLb0EEEEEvT_jjPNSG_10value_typeET0_PNSt15iterator_traitsISJ_E10value_typeEmT1_T2_
    .private_segment_fixed_size: 0
    .sgpr_count:     26
    .sgpr_spill_count: 0
    .symbol:         _ZN7rocprim17ROCPRIM_400000_NS6detail30init_device_scan_by_key_kernelINS1_19lookback_scan_stateINS0_5tupleIJxbEEELb0ELb0EEEN6thrust23THRUST_200600_302600_NS6detail15normal_iteratorINS8_10device_ptrIxEEEEjNS1_16block_id_wrapperIjLb0EEEEEvT_jjPNSG_10value_typeET0_PNSt15iterator_traitsISJ_E10value_typeEmT1_T2_.kd
    .uniform_work_group_size: 1
    .uses_dynamic_stack: false
    .vgpr_count:     12
    .vgpr_spill_count: 0
    .wavefront_size: 64
  - .agpr_count:     0
    .args:
      - .offset:         0
        .size:           24
        .value_kind:     by_value
      - .offset:         24
        .size:           4
        .value_kind:     by_value
      - .offset:         28
        .size:           4
        .value_kind:     by_value
      - .address_space:  global
        .offset:         32
        .size:           8
        .value_kind:     global_buffer
      - .offset:         40
        .size:           1
        .value_kind:     by_value
      - .offset:         48
        .size:           4
        .value_kind:     hidden_block_count_x
      - .offset:         52
        .size:           4
        .value_kind:     hidden_block_count_y
      - .offset:         56
        .size:           4
        .value_kind:     hidden_block_count_z
      - .offset:         60
        .size:           2
        .value_kind:     hidden_group_size_x
      - .offset:         62
        .size:           2
        .value_kind:     hidden_group_size_y
      - .offset:         64
        .size:           2
        .value_kind:     hidden_group_size_z
      - .offset:         66
        .size:           2
        .value_kind:     hidden_remainder_x
      - .offset:         68
        .size:           2
        .value_kind:     hidden_remainder_y
      - .offset:         70
        .size:           2
        .value_kind:     hidden_remainder_z
      - .offset:         88
        .size:           8
        .value_kind:     hidden_global_offset_x
      - .offset:         96
        .size:           8
        .value_kind:     hidden_global_offset_y
      - .offset:         104
        .size:           8
        .value_kind:     hidden_global_offset_z
      - .offset:         112
        .size:           2
        .value_kind:     hidden_grid_dims
    .group_segment_fixed_size: 0
    .kernarg_segment_align: 8
    .kernarg_segment_size: 304
    .language:       OpenCL C
    .language_version:
      - 2
      - 0
    .max_flat_workgroup_size: 256
    .name:           _ZN7rocprim17ROCPRIM_400000_NS6detail30init_device_scan_by_key_kernelINS1_19lookback_scan_stateINS0_5tupleIJxbEEELb0ELb0EEENS1_16block_id_wrapperIjLb0EEEEEvT_jjPNS9_10value_typeET0_
    .private_segment_fixed_size: 0
    .sgpr_count:     20
    .sgpr_spill_count: 0
    .symbol:         _ZN7rocprim17ROCPRIM_400000_NS6detail30init_device_scan_by_key_kernelINS1_19lookback_scan_stateINS0_5tupleIJxbEEELb0ELb0EEENS1_16block_id_wrapperIjLb0EEEEEvT_jjPNS9_10value_typeET0_.kd
    .uniform_work_group_size: 1
    .uses_dynamic_stack: false
    .vgpr_count:     5
    .vgpr_spill_count: 0
    .wavefront_size: 64
  - .agpr_count:     0
    .args:
      - .offset:         0
        .size:           136
        .value_kind:     by_value
    .group_segment_fixed_size: 0
    .kernarg_segment_align: 8
    .kernarg_segment_size: 136
    .language:       OpenCL C
    .language_version:
      - 2
      - 0
    .max_flat_workgroup_size: 256
    .name:           _ZN7rocprim17ROCPRIM_400000_NS6detail17trampoline_kernelINS0_14default_configENS1_27scan_by_key_config_selectorIxxEEZZNS1_16scan_by_key_implILNS1_25lookback_scan_determinismE0ELb0ES3_N6thrust23THRUST_200600_302600_NS6detail15normal_iteratorINS9_10device_ptrIxEEEESE_SE_xNS9_4plusIvEENS9_8equal_toIvEExEE10hipError_tPvRmT2_T3_T4_T5_mT6_T7_P12ihipStream_tbENKUlT_T0_E_clISt17integral_constantIbLb0EESZ_EEDaSU_SV_EUlSU_E_NS1_11comp_targetILNS1_3genE0ELNS1_11target_archE4294967295ELNS1_3gpuE0ELNS1_3repE0EEENS1_30default_config_static_selectorELNS0_4arch9wavefront6targetE1EEEvT1_
    .private_segment_fixed_size: 0
    .sgpr_count:     4
    .sgpr_spill_count: 0
    .symbol:         _ZN7rocprim17ROCPRIM_400000_NS6detail17trampoline_kernelINS0_14default_configENS1_27scan_by_key_config_selectorIxxEEZZNS1_16scan_by_key_implILNS1_25lookback_scan_determinismE0ELb0ES3_N6thrust23THRUST_200600_302600_NS6detail15normal_iteratorINS9_10device_ptrIxEEEESE_SE_xNS9_4plusIvEENS9_8equal_toIvEExEE10hipError_tPvRmT2_T3_T4_T5_mT6_T7_P12ihipStream_tbENKUlT_T0_E_clISt17integral_constantIbLb0EESZ_EEDaSU_SV_EUlSU_E_NS1_11comp_targetILNS1_3genE0ELNS1_11target_archE4294967295ELNS1_3gpuE0ELNS1_3repE0EEENS1_30default_config_static_selectorELNS0_4arch9wavefront6targetE1EEEvT1_.kd
    .uniform_work_group_size: 1
    .uses_dynamic_stack: false
    .vgpr_count:     0
    .vgpr_spill_count: 0
    .wavefront_size: 64
  - .agpr_count:     0
    .args:
      - .offset:         0
        .size:           136
        .value_kind:     by_value
    .group_segment_fixed_size: 0
    .kernarg_segment_align: 8
    .kernarg_segment_size: 136
    .language:       OpenCL C
    .language_version:
      - 2
      - 0
    .max_flat_workgroup_size: 256
    .name:           _ZN7rocprim17ROCPRIM_400000_NS6detail17trampoline_kernelINS0_14default_configENS1_27scan_by_key_config_selectorIxxEEZZNS1_16scan_by_key_implILNS1_25lookback_scan_determinismE0ELb0ES3_N6thrust23THRUST_200600_302600_NS6detail15normal_iteratorINS9_10device_ptrIxEEEESE_SE_xNS9_4plusIvEENS9_8equal_toIvEExEE10hipError_tPvRmT2_T3_T4_T5_mT6_T7_P12ihipStream_tbENKUlT_T0_E_clISt17integral_constantIbLb0EESZ_EEDaSU_SV_EUlSU_E_NS1_11comp_targetILNS1_3genE10ELNS1_11target_archE1201ELNS1_3gpuE5ELNS1_3repE0EEENS1_30default_config_static_selectorELNS0_4arch9wavefront6targetE1EEEvT1_
    .private_segment_fixed_size: 0
    .sgpr_count:     4
    .sgpr_spill_count: 0
    .symbol:         _ZN7rocprim17ROCPRIM_400000_NS6detail17trampoline_kernelINS0_14default_configENS1_27scan_by_key_config_selectorIxxEEZZNS1_16scan_by_key_implILNS1_25lookback_scan_determinismE0ELb0ES3_N6thrust23THRUST_200600_302600_NS6detail15normal_iteratorINS9_10device_ptrIxEEEESE_SE_xNS9_4plusIvEENS9_8equal_toIvEExEE10hipError_tPvRmT2_T3_T4_T5_mT6_T7_P12ihipStream_tbENKUlT_T0_E_clISt17integral_constantIbLb0EESZ_EEDaSU_SV_EUlSU_E_NS1_11comp_targetILNS1_3genE10ELNS1_11target_archE1201ELNS1_3gpuE5ELNS1_3repE0EEENS1_30default_config_static_selectorELNS0_4arch9wavefront6targetE1EEEvT1_.kd
    .uniform_work_group_size: 1
    .uses_dynamic_stack: false
    .vgpr_count:     0
    .vgpr_spill_count: 0
    .wavefront_size: 64
  - .agpr_count:     0
    .args:
      - .offset:         0
        .size:           136
        .value_kind:     by_value
    .group_segment_fixed_size: 0
    .kernarg_segment_align: 8
    .kernarg_segment_size: 136
    .language:       OpenCL C
    .language_version:
      - 2
      - 0
    .max_flat_workgroup_size: 256
    .name:           _ZN7rocprim17ROCPRIM_400000_NS6detail17trampoline_kernelINS0_14default_configENS1_27scan_by_key_config_selectorIxxEEZZNS1_16scan_by_key_implILNS1_25lookback_scan_determinismE0ELb0ES3_N6thrust23THRUST_200600_302600_NS6detail15normal_iteratorINS9_10device_ptrIxEEEESE_SE_xNS9_4plusIvEENS9_8equal_toIvEExEE10hipError_tPvRmT2_T3_T4_T5_mT6_T7_P12ihipStream_tbENKUlT_T0_E_clISt17integral_constantIbLb0EESZ_EEDaSU_SV_EUlSU_E_NS1_11comp_targetILNS1_3genE5ELNS1_11target_archE942ELNS1_3gpuE9ELNS1_3repE0EEENS1_30default_config_static_selectorELNS0_4arch9wavefront6targetE1EEEvT1_
    .private_segment_fixed_size: 0
    .sgpr_count:     4
    .sgpr_spill_count: 0
    .symbol:         _ZN7rocprim17ROCPRIM_400000_NS6detail17trampoline_kernelINS0_14default_configENS1_27scan_by_key_config_selectorIxxEEZZNS1_16scan_by_key_implILNS1_25lookback_scan_determinismE0ELb0ES3_N6thrust23THRUST_200600_302600_NS6detail15normal_iteratorINS9_10device_ptrIxEEEESE_SE_xNS9_4plusIvEENS9_8equal_toIvEExEE10hipError_tPvRmT2_T3_T4_T5_mT6_T7_P12ihipStream_tbENKUlT_T0_E_clISt17integral_constantIbLb0EESZ_EEDaSU_SV_EUlSU_E_NS1_11comp_targetILNS1_3genE5ELNS1_11target_archE942ELNS1_3gpuE9ELNS1_3repE0EEENS1_30default_config_static_selectorELNS0_4arch9wavefront6targetE1EEEvT1_.kd
    .uniform_work_group_size: 1
    .uses_dynamic_stack: false
    .vgpr_count:     0
    .vgpr_spill_count: 0
    .wavefront_size: 64
  - .agpr_count:     0
    .args:
      - .offset:         0
        .size:           136
        .value_kind:     by_value
    .group_segment_fixed_size: 10752
    .kernarg_segment_align: 8
    .kernarg_segment_size: 136
    .language:       OpenCL C
    .language_version:
      - 2
      - 0
    .max_flat_workgroup_size: 64
    .name:           _ZN7rocprim17ROCPRIM_400000_NS6detail17trampoline_kernelINS0_14default_configENS1_27scan_by_key_config_selectorIxxEEZZNS1_16scan_by_key_implILNS1_25lookback_scan_determinismE0ELb0ES3_N6thrust23THRUST_200600_302600_NS6detail15normal_iteratorINS9_10device_ptrIxEEEESE_SE_xNS9_4plusIvEENS9_8equal_toIvEExEE10hipError_tPvRmT2_T3_T4_T5_mT6_T7_P12ihipStream_tbENKUlT_T0_E_clISt17integral_constantIbLb0EESZ_EEDaSU_SV_EUlSU_E_NS1_11comp_targetILNS1_3genE4ELNS1_11target_archE910ELNS1_3gpuE8ELNS1_3repE0EEENS1_30default_config_static_selectorELNS0_4arch9wavefront6targetE1EEEvT1_
    .private_segment_fixed_size: 0
    .sgpr_count:     82
    .sgpr_spill_count: 0
    .symbol:         _ZN7rocprim17ROCPRIM_400000_NS6detail17trampoline_kernelINS0_14default_configENS1_27scan_by_key_config_selectorIxxEEZZNS1_16scan_by_key_implILNS1_25lookback_scan_determinismE0ELb0ES3_N6thrust23THRUST_200600_302600_NS6detail15normal_iteratorINS9_10device_ptrIxEEEESE_SE_xNS9_4plusIvEENS9_8equal_toIvEExEE10hipError_tPvRmT2_T3_T4_T5_mT6_T7_P12ihipStream_tbENKUlT_T0_E_clISt17integral_constantIbLb0EESZ_EEDaSU_SV_EUlSU_E_NS1_11comp_targetILNS1_3genE4ELNS1_11target_archE910ELNS1_3gpuE8ELNS1_3repE0EEENS1_30default_config_static_selectorELNS0_4arch9wavefront6targetE1EEEvT1_.kd
    .uniform_work_group_size: 1
    .uses_dynamic_stack: false
    .vgpr_count:     128
    .vgpr_spill_count: 0
    .wavefront_size: 64
  - .agpr_count:     0
    .args:
      - .offset:         0
        .size:           136
        .value_kind:     by_value
    .group_segment_fixed_size: 0
    .kernarg_segment_align: 8
    .kernarg_segment_size: 136
    .language:       OpenCL C
    .language_version:
      - 2
      - 0
    .max_flat_workgroup_size: 256
    .name:           _ZN7rocprim17ROCPRIM_400000_NS6detail17trampoline_kernelINS0_14default_configENS1_27scan_by_key_config_selectorIxxEEZZNS1_16scan_by_key_implILNS1_25lookback_scan_determinismE0ELb0ES3_N6thrust23THRUST_200600_302600_NS6detail15normal_iteratorINS9_10device_ptrIxEEEESE_SE_xNS9_4plusIvEENS9_8equal_toIvEExEE10hipError_tPvRmT2_T3_T4_T5_mT6_T7_P12ihipStream_tbENKUlT_T0_E_clISt17integral_constantIbLb0EESZ_EEDaSU_SV_EUlSU_E_NS1_11comp_targetILNS1_3genE3ELNS1_11target_archE908ELNS1_3gpuE7ELNS1_3repE0EEENS1_30default_config_static_selectorELNS0_4arch9wavefront6targetE1EEEvT1_
    .private_segment_fixed_size: 0
    .sgpr_count:     4
    .sgpr_spill_count: 0
    .symbol:         _ZN7rocprim17ROCPRIM_400000_NS6detail17trampoline_kernelINS0_14default_configENS1_27scan_by_key_config_selectorIxxEEZZNS1_16scan_by_key_implILNS1_25lookback_scan_determinismE0ELb0ES3_N6thrust23THRUST_200600_302600_NS6detail15normal_iteratorINS9_10device_ptrIxEEEESE_SE_xNS9_4plusIvEENS9_8equal_toIvEExEE10hipError_tPvRmT2_T3_T4_T5_mT6_T7_P12ihipStream_tbENKUlT_T0_E_clISt17integral_constantIbLb0EESZ_EEDaSU_SV_EUlSU_E_NS1_11comp_targetILNS1_3genE3ELNS1_11target_archE908ELNS1_3gpuE7ELNS1_3repE0EEENS1_30default_config_static_selectorELNS0_4arch9wavefront6targetE1EEEvT1_.kd
    .uniform_work_group_size: 1
    .uses_dynamic_stack: false
    .vgpr_count:     0
    .vgpr_spill_count: 0
    .wavefront_size: 64
  - .agpr_count:     0
    .args:
      - .offset:         0
        .size:           136
        .value_kind:     by_value
    .group_segment_fixed_size: 0
    .kernarg_segment_align: 8
    .kernarg_segment_size: 136
    .language:       OpenCL C
    .language_version:
      - 2
      - 0
    .max_flat_workgroup_size: 256
    .name:           _ZN7rocprim17ROCPRIM_400000_NS6detail17trampoline_kernelINS0_14default_configENS1_27scan_by_key_config_selectorIxxEEZZNS1_16scan_by_key_implILNS1_25lookback_scan_determinismE0ELb0ES3_N6thrust23THRUST_200600_302600_NS6detail15normal_iteratorINS9_10device_ptrIxEEEESE_SE_xNS9_4plusIvEENS9_8equal_toIvEExEE10hipError_tPvRmT2_T3_T4_T5_mT6_T7_P12ihipStream_tbENKUlT_T0_E_clISt17integral_constantIbLb0EESZ_EEDaSU_SV_EUlSU_E_NS1_11comp_targetILNS1_3genE2ELNS1_11target_archE906ELNS1_3gpuE6ELNS1_3repE0EEENS1_30default_config_static_selectorELNS0_4arch9wavefront6targetE1EEEvT1_
    .private_segment_fixed_size: 0
    .sgpr_count:     4
    .sgpr_spill_count: 0
    .symbol:         _ZN7rocprim17ROCPRIM_400000_NS6detail17trampoline_kernelINS0_14default_configENS1_27scan_by_key_config_selectorIxxEEZZNS1_16scan_by_key_implILNS1_25lookback_scan_determinismE0ELb0ES3_N6thrust23THRUST_200600_302600_NS6detail15normal_iteratorINS9_10device_ptrIxEEEESE_SE_xNS9_4plusIvEENS9_8equal_toIvEExEE10hipError_tPvRmT2_T3_T4_T5_mT6_T7_P12ihipStream_tbENKUlT_T0_E_clISt17integral_constantIbLb0EESZ_EEDaSU_SV_EUlSU_E_NS1_11comp_targetILNS1_3genE2ELNS1_11target_archE906ELNS1_3gpuE6ELNS1_3repE0EEENS1_30default_config_static_selectorELNS0_4arch9wavefront6targetE1EEEvT1_.kd
    .uniform_work_group_size: 1
    .uses_dynamic_stack: false
    .vgpr_count:     0
    .vgpr_spill_count: 0
    .wavefront_size: 64
  - .agpr_count:     0
    .args:
      - .offset:         0
        .size:           136
        .value_kind:     by_value
    .group_segment_fixed_size: 0
    .kernarg_segment_align: 8
    .kernarg_segment_size: 136
    .language:       OpenCL C
    .language_version:
      - 2
      - 0
    .max_flat_workgroup_size: 256
    .name:           _ZN7rocprim17ROCPRIM_400000_NS6detail17trampoline_kernelINS0_14default_configENS1_27scan_by_key_config_selectorIxxEEZZNS1_16scan_by_key_implILNS1_25lookback_scan_determinismE0ELb0ES3_N6thrust23THRUST_200600_302600_NS6detail15normal_iteratorINS9_10device_ptrIxEEEESE_SE_xNS9_4plusIvEENS9_8equal_toIvEExEE10hipError_tPvRmT2_T3_T4_T5_mT6_T7_P12ihipStream_tbENKUlT_T0_E_clISt17integral_constantIbLb0EESZ_EEDaSU_SV_EUlSU_E_NS1_11comp_targetILNS1_3genE10ELNS1_11target_archE1200ELNS1_3gpuE4ELNS1_3repE0EEENS1_30default_config_static_selectorELNS0_4arch9wavefront6targetE1EEEvT1_
    .private_segment_fixed_size: 0
    .sgpr_count:     4
    .sgpr_spill_count: 0
    .symbol:         _ZN7rocprim17ROCPRIM_400000_NS6detail17trampoline_kernelINS0_14default_configENS1_27scan_by_key_config_selectorIxxEEZZNS1_16scan_by_key_implILNS1_25lookback_scan_determinismE0ELb0ES3_N6thrust23THRUST_200600_302600_NS6detail15normal_iteratorINS9_10device_ptrIxEEEESE_SE_xNS9_4plusIvEENS9_8equal_toIvEExEE10hipError_tPvRmT2_T3_T4_T5_mT6_T7_P12ihipStream_tbENKUlT_T0_E_clISt17integral_constantIbLb0EESZ_EEDaSU_SV_EUlSU_E_NS1_11comp_targetILNS1_3genE10ELNS1_11target_archE1200ELNS1_3gpuE4ELNS1_3repE0EEENS1_30default_config_static_selectorELNS0_4arch9wavefront6targetE1EEEvT1_.kd
    .uniform_work_group_size: 1
    .uses_dynamic_stack: false
    .vgpr_count:     0
    .vgpr_spill_count: 0
    .wavefront_size: 64
  - .agpr_count:     0
    .args:
      - .offset:         0
        .size:           136
        .value_kind:     by_value
    .group_segment_fixed_size: 0
    .kernarg_segment_align: 8
    .kernarg_segment_size: 136
    .language:       OpenCL C
    .language_version:
      - 2
      - 0
    .max_flat_workgroup_size: 256
    .name:           _ZN7rocprim17ROCPRIM_400000_NS6detail17trampoline_kernelINS0_14default_configENS1_27scan_by_key_config_selectorIxxEEZZNS1_16scan_by_key_implILNS1_25lookback_scan_determinismE0ELb0ES3_N6thrust23THRUST_200600_302600_NS6detail15normal_iteratorINS9_10device_ptrIxEEEESE_SE_xNS9_4plusIvEENS9_8equal_toIvEExEE10hipError_tPvRmT2_T3_T4_T5_mT6_T7_P12ihipStream_tbENKUlT_T0_E_clISt17integral_constantIbLb0EESZ_EEDaSU_SV_EUlSU_E_NS1_11comp_targetILNS1_3genE9ELNS1_11target_archE1100ELNS1_3gpuE3ELNS1_3repE0EEENS1_30default_config_static_selectorELNS0_4arch9wavefront6targetE1EEEvT1_
    .private_segment_fixed_size: 0
    .sgpr_count:     4
    .sgpr_spill_count: 0
    .symbol:         _ZN7rocprim17ROCPRIM_400000_NS6detail17trampoline_kernelINS0_14default_configENS1_27scan_by_key_config_selectorIxxEEZZNS1_16scan_by_key_implILNS1_25lookback_scan_determinismE0ELb0ES3_N6thrust23THRUST_200600_302600_NS6detail15normal_iteratorINS9_10device_ptrIxEEEESE_SE_xNS9_4plusIvEENS9_8equal_toIvEExEE10hipError_tPvRmT2_T3_T4_T5_mT6_T7_P12ihipStream_tbENKUlT_T0_E_clISt17integral_constantIbLb0EESZ_EEDaSU_SV_EUlSU_E_NS1_11comp_targetILNS1_3genE9ELNS1_11target_archE1100ELNS1_3gpuE3ELNS1_3repE0EEENS1_30default_config_static_selectorELNS0_4arch9wavefront6targetE1EEEvT1_.kd
    .uniform_work_group_size: 1
    .uses_dynamic_stack: false
    .vgpr_count:     0
    .vgpr_spill_count: 0
    .wavefront_size: 64
  - .agpr_count:     0
    .args:
      - .offset:         0
        .size:           136
        .value_kind:     by_value
    .group_segment_fixed_size: 0
    .kernarg_segment_align: 8
    .kernarg_segment_size: 136
    .language:       OpenCL C
    .language_version:
      - 2
      - 0
    .max_flat_workgroup_size: 256
    .name:           _ZN7rocprim17ROCPRIM_400000_NS6detail17trampoline_kernelINS0_14default_configENS1_27scan_by_key_config_selectorIxxEEZZNS1_16scan_by_key_implILNS1_25lookback_scan_determinismE0ELb0ES3_N6thrust23THRUST_200600_302600_NS6detail15normal_iteratorINS9_10device_ptrIxEEEESE_SE_xNS9_4plusIvEENS9_8equal_toIvEExEE10hipError_tPvRmT2_T3_T4_T5_mT6_T7_P12ihipStream_tbENKUlT_T0_E_clISt17integral_constantIbLb0EESZ_EEDaSU_SV_EUlSU_E_NS1_11comp_targetILNS1_3genE8ELNS1_11target_archE1030ELNS1_3gpuE2ELNS1_3repE0EEENS1_30default_config_static_selectorELNS0_4arch9wavefront6targetE1EEEvT1_
    .private_segment_fixed_size: 0
    .sgpr_count:     4
    .sgpr_spill_count: 0
    .symbol:         _ZN7rocprim17ROCPRIM_400000_NS6detail17trampoline_kernelINS0_14default_configENS1_27scan_by_key_config_selectorIxxEEZZNS1_16scan_by_key_implILNS1_25lookback_scan_determinismE0ELb0ES3_N6thrust23THRUST_200600_302600_NS6detail15normal_iteratorINS9_10device_ptrIxEEEESE_SE_xNS9_4plusIvEENS9_8equal_toIvEExEE10hipError_tPvRmT2_T3_T4_T5_mT6_T7_P12ihipStream_tbENKUlT_T0_E_clISt17integral_constantIbLb0EESZ_EEDaSU_SV_EUlSU_E_NS1_11comp_targetILNS1_3genE8ELNS1_11target_archE1030ELNS1_3gpuE2ELNS1_3repE0EEENS1_30default_config_static_selectorELNS0_4arch9wavefront6targetE1EEEvT1_.kd
    .uniform_work_group_size: 1
    .uses_dynamic_stack: false
    .vgpr_count:     0
    .vgpr_spill_count: 0
    .wavefront_size: 64
  - .agpr_count:     0
    .args:
      - .offset:         0
        .size:           24
        .value_kind:     by_value
      - .offset:         24
        .size:           4
        .value_kind:     by_value
      - .offset:         28
        .size:           4
        .value_kind:     by_value
      - .address_space:  global
        .offset:         32
        .size:           8
        .value_kind:     global_buffer
      - .address_space:  global
        .offset:         40
        .size:           8
        .value_kind:     global_buffer
      - .actual_access:  write_only
        .address_space:  global
        .offset:         48
        .size:           8
        .value_kind:     global_buffer
      - .offset:         56
        .size:           8
        .value_kind:     by_value
      - .offset:         64
        .size:           4
        .value_kind:     by_value
      - .address_space:  global
        .offset:         72
        .size:           8
        .value_kind:     global_buffer
      - .offset:         80
        .size:           4
        .value_kind:     hidden_block_count_x
      - .offset:         84
        .size:           4
        .value_kind:     hidden_block_count_y
      - .offset:         88
        .size:           4
        .value_kind:     hidden_block_count_z
      - .offset:         92
        .size:           2
        .value_kind:     hidden_group_size_x
      - .offset:         94
        .size:           2
        .value_kind:     hidden_group_size_y
      - .offset:         96
        .size:           2
        .value_kind:     hidden_group_size_z
      - .offset:         98
        .size:           2
        .value_kind:     hidden_remainder_x
      - .offset:         100
        .size:           2
        .value_kind:     hidden_remainder_y
      - .offset:         102
        .size:           2
        .value_kind:     hidden_remainder_z
      - .offset:         120
        .size:           8
        .value_kind:     hidden_global_offset_x
      - .offset:         128
        .size:           8
        .value_kind:     hidden_global_offset_y
      - .offset:         136
        .size:           8
        .value_kind:     hidden_global_offset_z
      - .offset:         144
        .size:           2
        .value_kind:     hidden_grid_dims
    .group_segment_fixed_size: 0
    .kernarg_segment_align: 8
    .kernarg_segment_size: 336
    .language:       OpenCL C
    .language_version:
      - 2
      - 0
    .max_flat_workgroup_size: 256
    .name:           _ZN7rocprim17ROCPRIM_400000_NS6detail30init_device_scan_by_key_kernelINS1_19lookback_scan_stateINS0_5tupleIJxbEEELb1ELb0EEEN6thrust23THRUST_200600_302600_NS6detail15normal_iteratorINS8_10device_ptrIxEEEEjNS1_16block_id_wrapperIjLb1EEEEEvT_jjPNSG_10value_typeET0_PNSt15iterator_traitsISJ_E10value_typeEmT1_T2_
    .private_segment_fixed_size: 0
    .sgpr_count:     28
    .sgpr_spill_count: 0
    .symbol:         _ZN7rocprim17ROCPRIM_400000_NS6detail30init_device_scan_by_key_kernelINS1_19lookback_scan_stateINS0_5tupleIJxbEEELb1ELb0EEEN6thrust23THRUST_200600_302600_NS6detail15normal_iteratorINS8_10device_ptrIxEEEEjNS1_16block_id_wrapperIjLb1EEEEEvT_jjPNSG_10value_typeET0_PNSt15iterator_traitsISJ_E10value_typeEmT1_T2_.kd
    .uniform_work_group_size: 1
    .uses_dynamic_stack: false
    .vgpr_count:     12
    .vgpr_spill_count: 0
    .wavefront_size: 64
  - .agpr_count:     0
    .args:
      - .offset:         0
        .size:           24
        .value_kind:     by_value
      - .offset:         24
        .size:           4
        .value_kind:     by_value
      - .offset:         28
        .size:           4
        .value_kind:     by_value
      - .address_space:  global
        .offset:         32
        .size:           8
        .value_kind:     global_buffer
      - .address_space:  global
        .offset:         40
        .size:           8
        .value_kind:     global_buffer
      - .offset:         48
        .size:           4
        .value_kind:     hidden_block_count_x
      - .offset:         52
        .size:           4
        .value_kind:     hidden_block_count_y
      - .offset:         56
        .size:           4
        .value_kind:     hidden_block_count_z
      - .offset:         60
        .size:           2
        .value_kind:     hidden_group_size_x
      - .offset:         62
        .size:           2
        .value_kind:     hidden_group_size_y
      - .offset:         64
        .size:           2
        .value_kind:     hidden_group_size_z
      - .offset:         66
        .size:           2
        .value_kind:     hidden_remainder_x
      - .offset:         68
        .size:           2
        .value_kind:     hidden_remainder_y
      - .offset:         70
        .size:           2
        .value_kind:     hidden_remainder_z
      - .offset:         88
        .size:           8
        .value_kind:     hidden_global_offset_x
      - .offset:         96
        .size:           8
        .value_kind:     hidden_global_offset_y
      - .offset:         104
        .size:           8
        .value_kind:     hidden_global_offset_z
      - .offset:         112
        .size:           2
        .value_kind:     hidden_grid_dims
    .group_segment_fixed_size: 0
    .kernarg_segment_align: 8
    .kernarg_segment_size: 304
    .language:       OpenCL C
    .language_version:
      - 2
      - 0
    .max_flat_workgroup_size: 256
    .name:           _ZN7rocprim17ROCPRIM_400000_NS6detail30init_device_scan_by_key_kernelINS1_19lookback_scan_stateINS0_5tupleIJxbEEELb1ELb0EEENS1_16block_id_wrapperIjLb1EEEEEvT_jjPNS9_10value_typeET0_
    .private_segment_fixed_size: 0
    .sgpr_count:     24
    .sgpr_spill_count: 0
    .symbol:         _ZN7rocprim17ROCPRIM_400000_NS6detail30init_device_scan_by_key_kernelINS1_19lookback_scan_stateINS0_5tupleIJxbEEELb1ELb0EEENS1_16block_id_wrapperIjLb1EEEEEvT_jjPNS9_10value_typeET0_.kd
    .uniform_work_group_size: 1
    .uses_dynamic_stack: false
    .vgpr_count:     5
    .vgpr_spill_count: 0
    .wavefront_size: 64
  - .agpr_count:     0
    .args:
      - .offset:         0
        .size:           136
        .value_kind:     by_value
    .group_segment_fixed_size: 0
    .kernarg_segment_align: 8
    .kernarg_segment_size: 136
    .language:       OpenCL C
    .language_version:
      - 2
      - 0
    .max_flat_workgroup_size: 256
    .name:           _ZN7rocprim17ROCPRIM_400000_NS6detail17trampoline_kernelINS0_14default_configENS1_27scan_by_key_config_selectorIxxEEZZNS1_16scan_by_key_implILNS1_25lookback_scan_determinismE0ELb0ES3_N6thrust23THRUST_200600_302600_NS6detail15normal_iteratorINS9_10device_ptrIxEEEESE_SE_xNS9_4plusIvEENS9_8equal_toIvEExEE10hipError_tPvRmT2_T3_T4_T5_mT6_T7_P12ihipStream_tbENKUlT_T0_E_clISt17integral_constantIbLb1EESZ_EEDaSU_SV_EUlSU_E_NS1_11comp_targetILNS1_3genE0ELNS1_11target_archE4294967295ELNS1_3gpuE0ELNS1_3repE0EEENS1_30default_config_static_selectorELNS0_4arch9wavefront6targetE1EEEvT1_
    .private_segment_fixed_size: 0
    .sgpr_count:     4
    .sgpr_spill_count: 0
    .symbol:         _ZN7rocprim17ROCPRIM_400000_NS6detail17trampoline_kernelINS0_14default_configENS1_27scan_by_key_config_selectorIxxEEZZNS1_16scan_by_key_implILNS1_25lookback_scan_determinismE0ELb0ES3_N6thrust23THRUST_200600_302600_NS6detail15normal_iteratorINS9_10device_ptrIxEEEESE_SE_xNS9_4plusIvEENS9_8equal_toIvEExEE10hipError_tPvRmT2_T3_T4_T5_mT6_T7_P12ihipStream_tbENKUlT_T0_E_clISt17integral_constantIbLb1EESZ_EEDaSU_SV_EUlSU_E_NS1_11comp_targetILNS1_3genE0ELNS1_11target_archE4294967295ELNS1_3gpuE0ELNS1_3repE0EEENS1_30default_config_static_selectorELNS0_4arch9wavefront6targetE1EEEvT1_.kd
    .uniform_work_group_size: 1
    .uses_dynamic_stack: false
    .vgpr_count:     0
    .vgpr_spill_count: 0
    .wavefront_size: 64
  - .agpr_count:     0
    .args:
      - .offset:         0
        .size:           136
        .value_kind:     by_value
    .group_segment_fixed_size: 0
    .kernarg_segment_align: 8
    .kernarg_segment_size: 136
    .language:       OpenCL C
    .language_version:
      - 2
      - 0
    .max_flat_workgroup_size: 256
    .name:           _ZN7rocprim17ROCPRIM_400000_NS6detail17trampoline_kernelINS0_14default_configENS1_27scan_by_key_config_selectorIxxEEZZNS1_16scan_by_key_implILNS1_25lookback_scan_determinismE0ELb0ES3_N6thrust23THRUST_200600_302600_NS6detail15normal_iteratorINS9_10device_ptrIxEEEESE_SE_xNS9_4plusIvEENS9_8equal_toIvEExEE10hipError_tPvRmT2_T3_T4_T5_mT6_T7_P12ihipStream_tbENKUlT_T0_E_clISt17integral_constantIbLb1EESZ_EEDaSU_SV_EUlSU_E_NS1_11comp_targetILNS1_3genE10ELNS1_11target_archE1201ELNS1_3gpuE5ELNS1_3repE0EEENS1_30default_config_static_selectorELNS0_4arch9wavefront6targetE1EEEvT1_
    .private_segment_fixed_size: 0
    .sgpr_count:     4
    .sgpr_spill_count: 0
    .symbol:         _ZN7rocprim17ROCPRIM_400000_NS6detail17trampoline_kernelINS0_14default_configENS1_27scan_by_key_config_selectorIxxEEZZNS1_16scan_by_key_implILNS1_25lookback_scan_determinismE0ELb0ES3_N6thrust23THRUST_200600_302600_NS6detail15normal_iteratorINS9_10device_ptrIxEEEESE_SE_xNS9_4plusIvEENS9_8equal_toIvEExEE10hipError_tPvRmT2_T3_T4_T5_mT6_T7_P12ihipStream_tbENKUlT_T0_E_clISt17integral_constantIbLb1EESZ_EEDaSU_SV_EUlSU_E_NS1_11comp_targetILNS1_3genE10ELNS1_11target_archE1201ELNS1_3gpuE5ELNS1_3repE0EEENS1_30default_config_static_selectorELNS0_4arch9wavefront6targetE1EEEvT1_.kd
    .uniform_work_group_size: 1
    .uses_dynamic_stack: false
    .vgpr_count:     0
    .vgpr_spill_count: 0
    .wavefront_size: 64
  - .agpr_count:     0
    .args:
      - .offset:         0
        .size:           136
        .value_kind:     by_value
    .group_segment_fixed_size: 0
    .kernarg_segment_align: 8
    .kernarg_segment_size: 136
    .language:       OpenCL C
    .language_version:
      - 2
      - 0
    .max_flat_workgroup_size: 256
    .name:           _ZN7rocprim17ROCPRIM_400000_NS6detail17trampoline_kernelINS0_14default_configENS1_27scan_by_key_config_selectorIxxEEZZNS1_16scan_by_key_implILNS1_25lookback_scan_determinismE0ELb0ES3_N6thrust23THRUST_200600_302600_NS6detail15normal_iteratorINS9_10device_ptrIxEEEESE_SE_xNS9_4plusIvEENS9_8equal_toIvEExEE10hipError_tPvRmT2_T3_T4_T5_mT6_T7_P12ihipStream_tbENKUlT_T0_E_clISt17integral_constantIbLb1EESZ_EEDaSU_SV_EUlSU_E_NS1_11comp_targetILNS1_3genE5ELNS1_11target_archE942ELNS1_3gpuE9ELNS1_3repE0EEENS1_30default_config_static_selectorELNS0_4arch9wavefront6targetE1EEEvT1_
    .private_segment_fixed_size: 0
    .sgpr_count:     4
    .sgpr_spill_count: 0
    .symbol:         _ZN7rocprim17ROCPRIM_400000_NS6detail17trampoline_kernelINS0_14default_configENS1_27scan_by_key_config_selectorIxxEEZZNS1_16scan_by_key_implILNS1_25lookback_scan_determinismE0ELb0ES3_N6thrust23THRUST_200600_302600_NS6detail15normal_iteratorINS9_10device_ptrIxEEEESE_SE_xNS9_4plusIvEENS9_8equal_toIvEExEE10hipError_tPvRmT2_T3_T4_T5_mT6_T7_P12ihipStream_tbENKUlT_T0_E_clISt17integral_constantIbLb1EESZ_EEDaSU_SV_EUlSU_E_NS1_11comp_targetILNS1_3genE5ELNS1_11target_archE942ELNS1_3gpuE9ELNS1_3repE0EEENS1_30default_config_static_selectorELNS0_4arch9wavefront6targetE1EEEvT1_.kd
    .uniform_work_group_size: 1
    .uses_dynamic_stack: false
    .vgpr_count:     0
    .vgpr_spill_count: 0
    .wavefront_size: 64
  - .agpr_count:     0
    .args:
      - .offset:         0
        .size:           136
        .value_kind:     by_value
    .group_segment_fixed_size: 10752
    .kernarg_segment_align: 8
    .kernarg_segment_size: 136
    .language:       OpenCL C
    .language_version:
      - 2
      - 0
    .max_flat_workgroup_size: 64
    .name:           _ZN7rocprim17ROCPRIM_400000_NS6detail17trampoline_kernelINS0_14default_configENS1_27scan_by_key_config_selectorIxxEEZZNS1_16scan_by_key_implILNS1_25lookback_scan_determinismE0ELb0ES3_N6thrust23THRUST_200600_302600_NS6detail15normal_iteratorINS9_10device_ptrIxEEEESE_SE_xNS9_4plusIvEENS9_8equal_toIvEExEE10hipError_tPvRmT2_T3_T4_T5_mT6_T7_P12ihipStream_tbENKUlT_T0_E_clISt17integral_constantIbLb1EESZ_EEDaSU_SV_EUlSU_E_NS1_11comp_targetILNS1_3genE4ELNS1_11target_archE910ELNS1_3gpuE8ELNS1_3repE0EEENS1_30default_config_static_selectorELNS0_4arch9wavefront6targetE1EEEvT1_
    .private_segment_fixed_size: 0
    .sgpr_count:     86
    .sgpr_spill_count: 0
    .symbol:         _ZN7rocprim17ROCPRIM_400000_NS6detail17trampoline_kernelINS0_14default_configENS1_27scan_by_key_config_selectorIxxEEZZNS1_16scan_by_key_implILNS1_25lookback_scan_determinismE0ELb0ES3_N6thrust23THRUST_200600_302600_NS6detail15normal_iteratorINS9_10device_ptrIxEEEESE_SE_xNS9_4plusIvEENS9_8equal_toIvEExEE10hipError_tPvRmT2_T3_T4_T5_mT6_T7_P12ihipStream_tbENKUlT_T0_E_clISt17integral_constantIbLb1EESZ_EEDaSU_SV_EUlSU_E_NS1_11comp_targetILNS1_3genE4ELNS1_11target_archE910ELNS1_3gpuE8ELNS1_3repE0EEENS1_30default_config_static_selectorELNS0_4arch9wavefront6targetE1EEEvT1_.kd
    .uniform_work_group_size: 1
    .uses_dynamic_stack: false
    .vgpr_count:     128
    .vgpr_spill_count: 0
    .wavefront_size: 64
  - .agpr_count:     0
    .args:
      - .offset:         0
        .size:           136
        .value_kind:     by_value
    .group_segment_fixed_size: 0
    .kernarg_segment_align: 8
    .kernarg_segment_size: 136
    .language:       OpenCL C
    .language_version:
      - 2
      - 0
    .max_flat_workgroup_size: 256
    .name:           _ZN7rocprim17ROCPRIM_400000_NS6detail17trampoline_kernelINS0_14default_configENS1_27scan_by_key_config_selectorIxxEEZZNS1_16scan_by_key_implILNS1_25lookback_scan_determinismE0ELb0ES3_N6thrust23THRUST_200600_302600_NS6detail15normal_iteratorINS9_10device_ptrIxEEEESE_SE_xNS9_4plusIvEENS9_8equal_toIvEExEE10hipError_tPvRmT2_T3_T4_T5_mT6_T7_P12ihipStream_tbENKUlT_T0_E_clISt17integral_constantIbLb1EESZ_EEDaSU_SV_EUlSU_E_NS1_11comp_targetILNS1_3genE3ELNS1_11target_archE908ELNS1_3gpuE7ELNS1_3repE0EEENS1_30default_config_static_selectorELNS0_4arch9wavefront6targetE1EEEvT1_
    .private_segment_fixed_size: 0
    .sgpr_count:     4
    .sgpr_spill_count: 0
    .symbol:         _ZN7rocprim17ROCPRIM_400000_NS6detail17trampoline_kernelINS0_14default_configENS1_27scan_by_key_config_selectorIxxEEZZNS1_16scan_by_key_implILNS1_25lookback_scan_determinismE0ELb0ES3_N6thrust23THRUST_200600_302600_NS6detail15normal_iteratorINS9_10device_ptrIxEEEESE_SE_xNS9_4plusIvEENS9_8equal_toIvEExEE10hipError_tPvRmT2_T3_T4_T5_mT6_T7_P12ihipStream_tbENKUlT_T0_E_clISt17integral_constantIbLb1EESZ_EEDaSU_SV_EUlSU_E_NS1_11comp_targetILNS1_3genE3ELNS1_11target_archE908ELNS1_3gpuE7ELNS1_3repE0EEENS1_30default_config_static_selectorELNS0_4arch9wavefront6targetE1EEEvT1_.kd
    .uniform_work_group_size: 1
    .uses_dynamic_stack: false
    .vgpr_count:     0
    .vgpr_spill_count: 0
    .wavefront_size: 64
  - .agpr_count:     0
    .args:
      - .offset:         0
        .size:           136
        .value_kind:     by_value
    .group_segment_fixed_size: 0
    .kernarg_segment_align: 8
    .kernarg_segment_size: 136
    .language:       OpenCL C
    .language_version:
      - 2
      - 0
    .max_flat_workgroup_size: 256
    .name:           _ZN7rocprim17ROCPRIM_400000_NS6detail17trampoline_kernelINS0_14default_configENS1_27scan_by_key_config_selectorIxxEEZZNS1_16scan_by_key_implILNS1_25lookback_scan_determinismE0ELb0ES3_N6thrust23THRUST_200600_302600_NS6detail15normal_iteratorINS9_10device_ptrIxEEEESE_SE_xNS9_4plusIvEENS9_8equal_toIvEExEE10hipError_tPvRmT2_T3_T4_T5_mT6_T7_P12ihipStream_tbENKUlT_T0_E_clISt17integral_constantIbLb1EESZ_EEDaSU_SV_EUlSU_E_NS1_11comp_targetILNS1_3genE2ELNS1_11target_archE906ELNS1_3gpuE6ELNS1_3repE0EEENS1_30default_config_static_selectorELNS0_4arch9wavefront6targetE1EEEvT1_
    .private_segment_fixed_size: 0
    .sgpr_count:     4
    .sgpr_spill_count: 0
    .symbol:         _ZN7rocprim17ROCPRIM_400000_NS6detail17trampoline_kernelINS0_14default_configENS1_27scan_by_key_config_selectorIxxEEZZNS1_16scan_by_key_implILNS1_25lookback_scan_determinismE0ELb0ES3_N6thrust23THRUST_200600_302600_NS6detail15normal_iteratorINS9_10device_ptrIxEEEESE_SE_xNS9_4plusIvEENS9_8equal_toIvEExEE10hipError_tPvRmT2_T3_T4_T5_mT6_T7_P12ihipStream_tbENKUlT_T0_E_clISt17integral_constantIbLb1EESZ_EEDaSU_SV_EUlSU_E_NS1_11comp_targetILNS1_3genE2ELNS1_11target_archE906ELNS1_3gpuE6ELNS1_3repE0EEENS1_30default_config_static_selectorELNS0_4arch9wavefront6targetE1EEEvT1_.kd
    .uniform_work_group_size: 1
    .uses_dynamic_stack: false
    .vgpr_count:     0
    .vgpr_spill_count: 0
    .wavefront_size: 64
  - .agpr_count:     0
    .args:
      - .offset:         0
        .size:           136
        .value_kind:     by_value
    .group_segment_fixed_size: 0
    .kernarg_segment_align: 8
    .kernarg_segment_size: 136
    .language:       OpenCL C
    .language_version:
      - 2
      - 0
    .max_flat_workgroup_size: 256
    .name:           _ZN7rocprim17ROCPRIM_400000_NS6detail17trampoline_kernelINS0_14default_configENS1_27scan_by_key_config_selectorIxxEEZZNS1_16scan_by_key_implILNS1_25lookback_scan_determinismE0ELb0ES3_N6thrust23THRUST_200600_302600_NS6detail15normal_iteratorINS9_10device_ptrIxEEEESE_SE_xNS9_4plusIvEENS9_8equal_toIvEExEE10hipError_tPvRmT2_T3_T4_T5_mT6_T7_P12ihipStream_tbENKUlT_T0_E_clISt17integral_constantIbLb1EESZ_EEDaSU_SV_EUlSU_E_NS1_11comp_targetILNS1_3genE10ELNS1_11target_archE1200ELNS1_3gpuE4ELNS1_3repE0EEENS1_30default_config_static_selectorELNS0_4arch9wavefront6targetE1EEEvT1_
    .private_segment_fixed_size: 0
    .sgpr_count:     4
    .sgpr_spill_count: 0
    .symbol:         _ZN7rocprim17ROCPRIM_400000_NS6detail17trampoline_kernelINS0_14default_configENS1_27scan_by_key_config_selectorIxxEEZZNS1_16scan_by_key_implILNS1_25lookback_scan_determinismE0ELb0ES3_N6thrust23THRUST_200600_302600_NS6detail15normal_iteratorINS9_10device_ptrIxEEEESE_SE_xNS9_4plusIvEENS9_8equal_toIvEExEE10hipError_tPvRmT2_T3_T4_T5_mT6_T7_P12ihipStream_tbENKUlT_T0_E_clISt17integral_constantIbLb1EESZ_EEDaSU_SV_EUlSU_E_NS1_11comp_targetILNS1_3genE10ELNS1_11target_archE1200ELNS1_3gpuE4ELNS1_3repE0EEENS1_30default_config_static_selectorELNS0_4arch9wavefront6targetE1EEEvT1_.kd
    .uniform_work_group_size: 1
    .uses_dynamic_stack: false
    .vgpr_count:     0
    .vgpr_spill_count: 0
    .wavefront_size: 64
  - .agpr_count:     0
    .args:
      - .offset:         0
        .size:           136
        .value_kind:     by_value
    .group_segment_fixed_size: 0
    .kernarg_segment_align: 8
    .kernarg_segment_size: 136
    .language:       OpenCL C
    .language_version:
      - 2
      - 0
    .max_flat_workgroup_size: 256
    .name:           _ZN7rocprim17ROCPRIM_400000_NS6detail17trampoline_kernelINS0_14default_configENS1_27scan_by_key_config_selectorIxxEEZZNS1_16scan_by_key_implILNS1_25lookback_scan_determinismE0ELb0ES3_N6thrust23THRUST_200600_302600_NS6detail15normal_iteratorINS9_10device_ptrIxEEEESE_SE_xNS9_4plusIvEENS9_8equal_toIvEExEE10hipError_tPvRmT2_T3_T4_T5_mT6_T7_P12ihipStream_tbENKUlT_T0_E_clISt17integral_constantIbLb1EESZ_EEDaSU_SV_EUlSU_E_NS1_11comp_targetILNS1_3genE9ELNS1_11target_archE1100ELNS1_3gpuE3ELNS1_3repE0EEENS1_30default_config_static_selectorELNS0_4arch9wavefront6targetE1EEEvT1_
    .private_segment_fixed_size: 0
    .sgpr_count:     4
    .sgpr_spill_count: 0
    .symbol:         _ZN7rocprim17ROCPRIM_400000_NS6detail17trampoline_kernelINS0_14default_configENS1_27scan_by_key_config_selectorIxxEEZZNS1_16scan_by_key_implILNS1_25lookback_scan_determinismE0ELb0ES3_N6thrust23THRUST_200600_302600_NS6detail15normal_iteratorINS9_10device_ptrIxEEEESE_SE_xNS9_4plusIvEENS9_8equal_toIvEExEE10hipError_tPvRmT2_T3_T4_T5_mT6_T7_P12ihipStream_tbENKUlT_T0_E_clISt17integral_constantIbLb1EESZ_EEDaSU_SV_EUlSU_E_NS1_11comp_targetILNS1_3genE9ELNS1_11target_archE1100ELNS1_3gpuE3ELNS1_3repE0EEENS1_30default_config_static_selectorELNS0_4arch9wavefront6targetE1EEEvT1_.kd
    .uniform_work_group_size: 1
    .uses_dynamic_stack: false
    .vgpr_count:     0
    .vgpr_spill_count: 0
    .wavefront_size: 64
  - .agpr_count:     0
    .args:
      - .offset:         0
        .size:           136
        .value_kind:     by_value
    .group_segment_fixed_size: 0
    .kernarg_segment_align: 8
    .kernarg_segment_size: 136
    .language:       OpenCL C
    .language_version:
      - 2
      - 0
    .max_flat_workgroup_size: 256
    .name:           _ZN7rocprim17ROCPRIM_400000_NS6detail17trampoline_kernelINS0_14default_configENS1_27scan_by_key_config_selectorIxxEEZZNS1_16scan_by_key_implILNS1_25lookback_scan_determinismE0ELb0ES3_N6thrust23THRUST_200600_302600_NS6detail15normal_iteratorINS9_10device_ptrIxEEEESE_SE_xNS9_4plusIvEENS9_8equal_toIvEExEE10hipError_tPvRmT2_T3_T4_T5_mT6_T7_P12ihipStream_tbENKUlT_T0_E_clISt17integral_constantIbLb1EESZ_EEDaSU_SV_EUlSU_E_NS1_11comp_targetILNS1_3genE8ELNS1_11target_archE1030ELNS1_3gpuE2ELNS1_3repE0EEENS1_30default_config_static_selectorELNS0_4arch9wavefront6targetE1EEEvT1_
    .private_segment_fixed_size: 0
    .sgpr_count:     4
    .sgpr_spill_count: 0
    .symbol:         _ZN7rocprim17ROCPRIM_400000_NS6detail17trampoline_kernelINS0_14default_configENS1_27scan_by_key_config_selectorIxxEEZZNS1_16scan_by_key_implILNS1_25lookback_scan_determinismE0ELb0ES3_N6thrust23THRUST_200600_302600_NS6detail15normal_iteratorINS9_10device_ptrIxEEEESE_SE_xNS9_4plusIvEENS9_8equal_toIvEExEE10hipError_tPvRmT2_T3_T4_T5_mT6_T7_P12ihipStream_tbENKUlT_T0_E_clISt17integral_constantIbLb1EESZ_EEDaSU_SV_EUlSU_E_NS1_11comp_targetILNS1_3genE8ELNS1_11target_archE1030ELNS1_3gpuE2ELNS1_3repE0EEENS1_30default_config_static_selectorELNS0_4arch9wavefront6targetE1EEEvT1_.kd
    .uniform_work_group_size: 1
    .uses_dynamic_stack: false
    .vgpr_count:     0
    .vgpr_spill_count: 0
    .wavefront_size: 64
  - .agpr_count:     0
    .args:
      - .offset:         0
        .size:           24
        .value_kind:     by_value
      - .offset:         24
        .size:           4
        .value_kind:     by_value
      - .offset:         28
        .size:           4
        .value_kind:     by_value
      - .address_space:  global
        .offset:         32
        .size:           8
        .value_kind:     global_buffer
      - .address_space:  global
        .offset:         40
        .size:           8
        .value_kind:     global_buffer
      - .actual_access:  write_only
        .address_space:  global
        .offset:         48
        .size:           8
        .value_kind:     global_buffer
      - .offset:         56
        .size:           8
        .value_kind:     by_value
      - .offset:         64
        .size:           4
        .value_kind:     by_value
      - .offset:         68
        .size:           1
        .value_kind:     by_value
      - .offset:         72
        .size:           4
        .value_kind:     hidden_block_count_x
      - .offset:         76
        .size:           4
        .value_kind:     hidden_block_count_y
      - .offset:         80
        .size:           4
        .value_kind:     hidden_block_count_z
      - .offset:         84
        .size:           2
        .value_kind:     hidden_group_size_x
      - .offset:         86
        .size:           2
        .value_kind:     hidden_group_size_y
      - .offset:         88
        .size:           2
        .value_kind:     hidden_group_size_z
      - .offset:         90
        .size:           2
        .value_kind:     hidden_remainder_x
      - .offset:         92
        .size:           2
        .value_kind:     hidden_remainder_y
      - .offset:         94
        .size:           2
        .value_kind:     hidden_remainder_z
      - .offset:         112
        .size:           8
        .value_kind:     hidden_global_offset_x
      - .offset:         120
        .size:           8
        .value_kind:     hidden_global_offset_y
      - .offset:         128
        .size:           8
        .value_kind:     hidden_global_offset_z
      - .offset:         136
        .size:           2
        .value_kind:     hidden_grid_dims
    .group_segment_fixed_size: 0
    .kernarg_segment_align: 8
    .kernarg_segment_size: 328
    .language:       OpenCL C
    .language_version:
      - 2
      - 0
    .max_flat_workgroup_size: 256
    .name:           _ZN7rocprim17ROCPRIM_400000_NS6detail30init_device_scan_by_key_kernelINS1_19lookback_scan_stateINS0_5tupleIJxbEEELb1ELb0EEEN6thrust23THRUST_200600_302600_NS6detail15normal_iteratorINS8_10device_ptrIxEEEEjNS1_16block_id_wrapperIjLb0EEEEEvT_jjPNSG_10value_typeET0_PNSt15iterator_traitsISJ_E10value_typeEmT1_T2_
    .private_segment_fixed_size: 0
    .sgpr_count:     28
    .sgpr_spill_count: 0
    .symbol:         _ZN7rocprim17ROCPRIM_400000_NS6detail30init_device_scan_by_key_kernelINS1_19lookback_scan_stateINS0_5tupleIJxbEEELb1ELb0EEEN6thrust23THRUST_200600_302600_NS6detail15normal_iteratorINS8_10device_ptrIxEEEEjNS1_16block_id_wrapperIjLb0EEEEEvT_jjPNSG_10value_typeET0_PNSt15iterator_traitsISJ_E10value_typeEmT1_T2_.kd
    .uniform_work_group_size: 1
    .uses_dynamic_stack: false
    .vgpr_count:     12
    .vgpr_spill_count: 0
    .wavefront_size: 64
  - .agpr_count:     0
    .args:
      - .offset:         0
        .size:           24
        .value_kind:     by_value
      - .offset:         24
        .size:           4
        .value_kind:     by_value
      - .offset:         28
        .size:           4
        .value_kind:     by_value
      - .address_space:  global
        .offset:         32
        .size:           8
        .value_kind:     global_buffer
      - .offset:         40
        .size:           1
        .value_kind:     by_value
      - .offset:         48
        .size:           4
        .value_kind:     hidden_block_count_x
      - .offset:         52
        .size:           4
        .value_kind:     hidden_block_count_y
      - .offset:         56
        .size:           4
        .value_kind:     hidden_block_count_z
      - .offset:         60
        .size:           2
        .value_kind:     hidden_group_size_x
      - .offset:         62
        .size:           2
        .value_kind:     hidden_group_size_y
      - .offset:         64
        .size:           2
        .value_kind:     hidden_group_size_z
      - .offset:         66
        .size:           2
        .value_kind:     hidden_remainder_x
      - .offset:         68
        .size:           2
        .value_kind:     hidden_remainder_y
      - .offset:         70
        .size:           2
        .value_kind:     hidden_remainder_z
      - .offset:         88
        .size:           8
        .value_kind:     hidden_global_offset_x
      - .offset:         96
        .size:           8
        .value_kind:     hidden_global_offset_y
      - .offset:         104
        .size:           8
        .value_kind:     hidden_global_offset_z
      - .offset:         112
        .size:           2
        .value_kind:     hidden_grid_dims
    .group_segment_fixed_size: 0
    .kernarg_segment_align: 8
    .kernarg_segment_size: 304
    .language:       OpenCL C
    .language_version:
      - 2
      - 0
    .max_flat_workgroup_size: 256
    .name:           _ZN7rocprim17ROCPRIM_400000_NS6detail30init_device_scan_by_key_kernelINS1_19lookback_scan_stateINS0_5tupleIJxbEEELb1ELb0EEENS1_16block_id_wrapperIjLb0EEEEEvT_jjPNS9_10value_typeET0_
    .private_segment_fixed_size: 0
    .sgpr_count:     22
    .sgpr_spill_count: 0
    .symbol:         _ZN7rocprim17ROCPRIM_400000_NS6detail30init_device_scan_by_key_kernelINS1_19lookback_scan_stateINS0_5tupleIJxbEEELb1ELb0EEENS1_16block_id_wrapperIjLb0EEEEEvT_jjPNS9_10value_typeET0_.kd
    .uniform_work_group_size: 1
    .uses_dynamic_stack: false
    .vgpr_count:     5
    .vgpr_spill_count: 0
    .wavefront_size: 64
  - .agpr_count:     0
    .args:
      - .offset:         0
        .size:           136
        .value_kind:     by_value
    .group_segment_fixed_size: 0
    .kernarg_segment_align: 8
    .kernarg_segment_size: 136
    .language:       OpenCL C
    .language_version:
      - 2
      - 0
    .max_flat_workgroup_size: 256
    .name:           _ZN7rocprim17ROCPRIM_400000_NS6detail17trampoline_kernelINS0_14default_configENS1_27scan_by_key_config_selectorIxxEEZZNS1_16scan_by_key_implILNS1_25lookback_scan_determinismE0ELb0ES3_N6thrust23THRUST_200600_302600_NS6detail15normal_iteratorINS9_10device_ptrIxEEEESE_SE_xNS9_4plusIvEENS9_8equal_toIvEExEE10hipError_tPvRmT2_T3_T4_T5_mT6_T7_P12ihipStream_tbENKUlT_T0_E_clISt17integral_constantIbLb1EESY_IbLb0EEEEDaSU_SV_EUlSU_E_NS1_11comp_targetILNS1_3genE0ELNS1_11target_archE4294967295ELNS1_3gpuE0ELNS1_3repE0EEENS1_30default_config_static_selectorELNS0_4arch9wavefront6targetE1EEEvT1_
    .private_segment_fixed_size: 0
    .sgpr_count:     4
    .sgpr_spill_count: 0
    .symbol:         _ZN7rocprim17ROCPRIM_400000_NS6detail17trampoline_kernelINS0_14default_configENS1_27scan_by_key_config_selectorIxxEEZZNS1_16scan_by_key_implILNS1_25lookback_scan_determinismE0ELb0ES3_N6thrust23THRUST_200600_302600_NS6detail15normal_iteratorINS9_10device_ptrIxEEEESE_SE_xNS9_4plusIvEENS9_8equal_toIvEExEE10hipError_tPvRmT2_T3_T4_T5_mT6_T7_P12ihipStream_tbENKUlT_T0_E_clISt17integral_constantIbLb1EESY_IbLb0EEEEDaSU_SV_EUlSU_E_NS1_11comp_targetILNS1_3genE0ELNS1_11target_archE4294967295ELNS1_3gpuE0ELNS1_3repE0EEENS1_30default_config_static_selectorELNS0_4arch9wavefront6targetE1EEEvT1_.kd
    .uniform_work_group_size: 1
    .uses_dynamic_stack: false
    .vgpr_count:     0
    .vgpr_spill_count: 0
    .wavefront_size: 64
  - .agpr_count:     0
    .args:
      - .offset:         0
        .size:           136
        .value_kind:     by_value
    .group_segment_fixed_size: 0
    .kernarg_segment_align: 8
    .kernarg_segment_size: 136
    .language:       OpenCL C
    .language_version:
      - 2
      - 0
    .max_flat_workgroup_size: 256
    .name:           _ZN7rocprim17ROCPRIM_400000_NS6detail17trampoline_kernelINS0_14default_configENS1_27scan_by_key_config_selectorIxxEEZZNS1_16scan_by_key_implILNS1_25lookback_scan_determinismE0ELb0ES3_N6thrust23THRUST_200600_302600_NS6detail15normal_iteratorINS9_10device_ptrIxEEEESE_SE_xNS9_4plusIvEENS9_8equal_toIvEExEE10hipError_tPvRmT2_T3_T4_T5_mT6_T7_P12ihipStream_tbENKUlT_T0_E_clISt17integral_constantIbLb1EESY_IbLb0EEEEDaSU_SV_EUlSU_E_NS1_11comp_targetILNS1_3genE10ELNS1_11target_archE1201ELNS1_3gpuE5ELNS1_3repE0EEENS1_30default_config_static_selectorELNS0_4arch9wavefront6targetE1EEEvT1_
    .private_segment_fixed_size: 0
    .sgpr_count:     4
    .sgpr_spill_count: 0
    .symbol:         _ZN7rocprim17ROCPRIM_400000_NS6detail17trampoline_kernelINS0_14default_configENS1_27scan_by_key_config_selectorIxxEEZZNS1_16scan_by_key_implILNS1_25lookback_scan_determinismE0ELb0ES3_N6thrust23THRUST_200600_302600_NS6detail15normal_iteratorINS9_10device_ptrIxEEEESE_SE_xNS9_4plusIvEENS9_8equal_toIvEExEE10hipError_tPvRmT2_T3_T4_T5_mT6_T7_P12ihipStream_tbENKUlT_T0_E_clISt17integral_constantIbLb1EESY_IbLb0EEEEDaSU_SV_EUlSU_E_NS1_11comp_targetILNS1_3genE10ELNS1_11target_archE1201ELNS1_3gpuE5ELNS1_3repE0EEENS1_30default_config_static_selectorELNS0_4arch9wavefront6targetE1EEEvT1_.kd
    .uniform_work_group_size: 1
    .uses_dynamic_stack: false
    .vgpr_count:     0
    .vgpr_spill_count: 0
    .wavefront_size: 64
  - .agpr_count:     0
    .args:
      - .offset:         0
        .size:           136
        .value_kind:     by_value
    .group_segment_fixed_size: 0
    .kernarg_segment_align: 8
    .kernarg_segment_size: 136
    .language:       OpenCL C
    .language_version:
      - 2
      - 0
    .max_flat_workgroup_size: 256
    .name:           _ZN7rocprim17ROCPRIM_400000_NS6detail17trampoline_kernelINS0_14default_configENS1_27scan_by_key_config_selectorIxxEEZZNS1_16scan_by_key_implILNS1_25lookback_scan_determinismE0ELb0ES3_N6thrust23THRUST_200600_302600_NS6detail15normal_iteratorINS9_10device_ptrIxEEEESE_SE_xNS9_4plusIvEENS9_8equal_toIvEExEE10hipError_tPvRmT2_T3_T4_T5_mT6_T7_P12ihipStream_tbENKUlT_T0_E_clISt17integral_constantIbLb1EESY_IbLb0EEEEDaSU_SV_EUlSU_E_NS1_11comp_targetILNS1_3genE5ELNS1_11target_archE942ELNS1_3gpuE9ELNS1_3repE0EEENS1_30default_config_static_selectorELNS0_4arch9wavefront6targetE1EEEvT1_
    .private_segment_fixed_size: 0
    .sgpr_count:     4
    .sgpr_spill_count: 0
    .symbol:         _ZN7rocprim17ROCPRIM_400000_NS6detail17trampoline_kernelINS0_14default_configENS1_27scan_by_key_config_selectorIxxEEZZNS1_16scan_by_key_implILNS1_25lookback_scan_determinismE0ELb0ES3_N6thrust23THRUST_200600_302600_NS6detail15normal_iteratorINS9_10device_ptrIxEEEESE_SE_xNS9_4plusIvEENS9_8equal_toIvEExEE10hipError_tPvRmT2_T3_T4_T5_mT6_T7_P12ihipStream_tbENKUlT_T0_E_clISt17integral_constantIbLb1EESY_IbLb0EEEEDaSU_SV_EUlSU_E_NS1_11comp_targetILNS1_3genE5ELNS1_11target_archE942ELNS1_3gpuE9ELNS1_3repE0EEENS1_30default_config_static_selectorELNS0_4arch9wavefront6targetE1EEEvT1_.kd
    .uniform_work_group_size: 1
    .uses_dynamic_stack: false
    .vgpr_count:     0
    .vgpr_spill_count: 0
    .wavefront_size: 64
  - .agpr_count:     0
    .args:
      - .offset:         0
        .size:           136
        .value_kind:     by_value
    .group_segment_fixed_size: 10752
    .kernarg_segment_align: 8
    .kernarg_segment_size: 136
    .language:       OpenCL C
    .language_version:
      - 2
      - 0
    .max_flat_workgroup_size: 64
    .name:           _ZN7rocprim17ROCPRIM_400000_NS6detail17trampoline_kernelINS0_14default_configENS1_27scan_by_key_config_selectorIxxEEZZNS1_16scan_by_key_implILNS1_25lookback_scan_determinismE0ELb0ES3_N6thrust23THRUST_200600_302600_NS6detail15normal_iteratorINS9_10device_ptrIxEEEESE_SE_xNS9_4plusIvEENS9_8equal_toIvEExEE10hipError_tPvRmT2_T3_T4_T5_mT6_T7_P12ihipStream_tbENKUlT_T0_E_clISt17integral_constantIbLb1EESY_IbLb0EEEEDaSU_SV_EUlSU_E_NS1_11comp_targetILNS1_3genE4ELNS1_11target_archE910ELNS1_3gpuE8ELNS1_3repE0EEENS1_30default_config_static_selectorELNS0_4arch9wavefront6targetE1EEEvT1_
    .private_segment_fixed_size: 0
    .sgpr_count:     82
    .sgpr_spill_count: 0
    .symbol:         _ZN7rocprim17ROCPRIM_400000_NS6detail17trampoline_kernelINS0_14default_configENS1_27scan_by_key_config_selectorIxxEEZZNS1_16scan_by_key_implILNS1_25lookback_scan_determinismE0ELb0ES3_N6thrust23THRUST_200600_302600_NS6detail15normal_iteratorINS9_10device_ptrIxEEEESE_SE_xNS9_4plusIvEENS9_8equal_toIvEExEE10hipError_tPvRmT2_T3_T4_T5_mT6_T7_P12ihipStream_tbENKUlT_T0_E_clISt17integral_constantIbLb1EESY_IbLb0EEEEDaSU_SV_EUlSU_E_NS1_11comp_targetILNS1_3genE4ELNS1_11target_archE910ELNS1_3gpuE8ELNS1_3repE0EEENS1_30default_config_static_selectorELNS0_4arch9wavefront6targetE1EEEvT1_.kd
    .uniform_work_group_size: 1
    .uses_dynamic_stack: false
    .vgpr_count:     128
    .vgpr_spill_count: 0
    .wavefront_size: 64
  - .agpr_count:     0
    .args:
      - .offset:         0
        .size:           136
        .value_kind:     by_value
    .group_segment_fixed_size: 0
    .kernarg_segment_align: 8
    .kernarg_segment_size: 136
    .language:       OpenCL C
    .language_version:
      - 2
      - 0
    .max_flat_workgroup_size: 256
    .name:           _ZN7rocprim17ROCPRIM_400000_NS6detail17trampoline_kernelINS0_14default_configENS1_27scan_by_key_config_selectorIxxEEZZNS1_16scan_by_key_implILNS1_25lookback_scan_determinismE0ELb0ES3_N6thrust23THRUST_200600_302600_NS6detail15normal_iteratorINS9_10device_ptrIxEEEESE_SE_xNS9_4plusIvEENS9_8equal_toIvEExEE10hipError_tPvRmT2_T3_T4_T5_mT6_T7_P12ihipStream_tbENKUlT_T0_E_clISt17integral_constantIbLb1EESY_IbLb0EEEEDaSU_SV_EUlSU_E_NS1_11comp_targetILNS1_3genE3ELNS1_11target_archE908ELNS1_3gpuE7ELNS1_3repE0EEENS1_30default_config_static_selectorELNS0_4arch9wavefront6targetE1EEEvT1_
    .private_segment_fixed_size: 0
    .sgpr_count:     4
    .sgpr_spill_count: 0
    .symbol:         _ZN7rocprim17ROCPRIM_400000_NS6detail17trampoline_kernelINS0_14default_configENS1_27scan_by_key_config_selectorIxxEEZZNS1_16scan_by_key_implILNS1_25lookback_scan_determinismE0ELb0ES3_N6thrust23THRUST_200600_302600_NS6detail15normal_iteratorINS9_10device_ptrIxEEEESE_SE_xNS9_4plusIvEENS9_8equal_toIvEExEE10hipError_tPvRmT2_T3_T4_T5_mT6_T7_P12ihipStream_tbENKUlT_T0_E_clISt17integral_constantIbLb1EESY_IbLb0EEEEDaSU_SV_EUlSU_E_NS1_11comp_targetILNS1_3genE3ELNS1_11target_archE908ELNS1_3gpuE7ELNS1_3repE0EEENS1_30default_config_static_selectorELNS0_4arch9wavefront6targetE1EEEvT1_.kd
    .uniform_work_group_size: 1
    .uses_dynamic_stack: false
    .vgpr_count:     0
    .vgpr_spill_count: 0
    .wavefront_size: 64
  - .agpr_count:     0
    .args:
      - .offset:         0
        .size:           136
        .value_kind:     by_value
    .group_segment_fixed_size: 0
    .kernarg_segment_align: 8
    .kernarg_segment_size: 136
    .language:       OpenCL C
    .language_version:
      - 2
      - 0
    .max_flat_workgroup_size: 256
    .name:           _ZN7rocprim17ROCPRIM_400000_NS6detail17trampoline_kernelINS0_14default_configENS1_27scan_by_key_config_selectorIxxEEZZNS1_16scan_by_key_implILNS1_25lookback_scan_determinismE0ELb0ES3_N6thrust23THRUST_200600_302600_NS6detail15normal_iteratorINS9_10device_ptrIxEEEESE_SE_xNS9_4plusIvEENS9_8equal_toIvEExEE10hipError_tPvRmT2_T3_T4_T5_mT6_T7_P12ihipStream_tbENKUlT_T0_E_clISt17integral_constantIbLb1EESY_IbLb0EEEEDaSU_SV_EUlSU_E_NS1_11comp_targetILNS1_3genE2ELNS1_11target_archE906ELNS1_3gpuE6ELNS1_3repE0EEENS1_30default_config_static_selectorELNS0_4arch9wavefront6targetE1EEEvT1_
    .private_segment_fixed_size: 0
    .sgpr_count:     4
    .sgpr_spill_count: 0
    .symbol:         _ZN7rocprim17ROCPRIM_400000_NS6detail17trampoline_kernelINS0_14default_configENS1_27scan_by_key_config_selectorIxxEEZZNS1_16scan_by_key_implILNS1_25lookback_scan_determinismE0ELb0ES3_N6thrust23THRUST_200600_302600_NS6detail15normal_iteratorINS9_10device_ptrIxEEEESE_SE_xNS9_4plusIvEENS9_8equal_toIvEExEE10hipError_tPvRmT2_T3_T4_T5_mT6_T7_P12ihipStream_tbENKUlT_T0_E_clISt17integral_constantIbLb1EESY_IbLb0EEEEDaSU_SV_EUlSU_E_NS1_11comp_targetILNS1_3genE2ELNS1_11target_archE906ELNS1_3gpuE6ELNS1_3repE0EEENS1_30default_config_static_selectorELNS0_4arch9wavefront6targetE1EEEvT1_.kd
    .uniform_work_group_size: 1
    .uses_dynamic_stack: false
    .vgpr_count:     0
    .vgpr_spill_count: 0
    .wavefront_size: 64
  - .agpr_count:     0
    .args:
      - .offset:         0
        .size:           136
        .value_kind:     by_value
    .group_segment_fixed_size: 0
    .kernarg_segment_align: 8
    .kernarg_segment_size: 136
    .language:       OpenCL C
    .language_version:
      - 2
      - 0
    .max_flat_workgroup_size: 256
    .name:           _ZN7rocprim17ROCPRIM_400000_NS6detail17trampoline_kernelINS0_14default_configENS1_27scan_by_key_config_selectorIxxEEZZNS1_16scan_by_key_implILNS1_25lookback_scan_determinismE0ELb0ES3_N6thrust23THRUST_200600_302600_NS6detail15normal_iteratorINS9_10device_ptrIxEEEESE_SE_xNS9_4plusIvEENS9_8equal_toIvEExEE10hipError_tPvRmT2_T3_T4_T5_mT6_T7_P12ihipStream_tbENKUlT_T0_E_clISt17integral_constantIbLb1EESY_IbLb0EEEEDaSU_SV_EUlSU_E_NS1_11comp_targetILNS1_3genE10ELNS1_11target_archE1200ELNS1_3gpuE4ELNS1_3repE0EEENS1_30default_config_static_selectorELNS0_4arch9wavefront6targetE1EEEvT1_
    .private_segment_fixed_size: 0
    .sgpr_count:     4
    .sgpr_spill_count: 0
    .symbol:         _ZN7rocprim17ROCPRIM_400000_NS6detail17trampoline_kernelINS0_14default_configENS1_27scan_by_key_config_selectorIxxEEZZNS1_16scan_by_key_implILNS1_25lookback_scan_determinismE0ELb0ES3_N6thrust23THRUST_200600_302600_NS6detail15normal_iteratorINS9_10device_ptrIxEEEESE_SE_xNS9_4plusIvEENS9_8equal_toIvEExEE10hipError_tPvRmT2_T3_T4_T5_mT6_T7_P12ihipStream_tbENKUlT_T0_E_clISt17integral_constantIbLb1EESY_IbLb0EEEEDaSU_SV_EUlSU_E_NS1_11comp_targetILNS1_3genE10ELNS1_11target_archE1200ELNS1_3gpuE4ELNS1_3repE0EEENS1_30default_config_static_selectorELNS0_4arch9wavefront6targetE1EEEvT1_.kd
    .uniform_work_group_size: 1
    .uses_dynamic_stack: false
    .vgpr_count:     0
    .vgpr_spill_count: 0
    .wavefront_size: 64
  - .agpr_count:     0
    .args:
      - .offset:         0
        .size:           136
        .value_kind:     by_value
    .group_segment_fixed_size: 0
    .kernarg_segment_align: 8
    .kernarg_segment_size: 136
    .language:       OpenCL C
    .language_version:
      - 2
      - 0
    .max_flat_workgroup_size: 256
    .name:           _ZN7rocprim17ROCPRIM_400000_NS6detail17trampoline_kernelINS0_14default_configENS1_27scan_by_key_config_selectorIxxEEZZNS1_16scan_by_key_implILNS1_25lookback_scan_determinismE0ELb0ES3_N6thrust23THRUST_200600_302600_NS6detail15normal_iteratorINS9_10device_ptrIxEEEESE_SE_xNS9_4plusIvEENS9_8equal_toIvEExEE10hipError_tPvRmT2_T3_T4_T5_mT6_T7_P12ihipStream_tbENKUlT_T0_E_clISt17integral_constantIbLb1EESY_IbLb0EEEEDaSU_SV_EUlSU_E_NS1_11comp_targetILNS1_3genE9ELNS1_11target_archE1100ELNS1_3gpuE3ELNS1_3repE0EEENS1_30default_config_static_selectorELNS0_4arch9wavefront6targetE1EEEvT1_
    .private_segment_fixed_size: 0
    .sgpr_count:     4
    .sgpr_spill_count: 0
    .symbol:         _ZN7rocprim17ROCPRIM_400000_NS6detail17trampoline_kernelINS0_14default_configENS1_27scan_by_key_config_selectorIxxEEZZNS1_16scan_by_key_implILNS1_25lookback_scan_determinismE0ELb0ES3_N6thrust23THRUST_200600_302600_NS6detail15normal_iteratorINS9_10device_ptrIxEEEESE_SE_xNS9_4plusIvEENS9_8equal_toIvEExEE10hipError_tPvRmT2_T3_T4_T5_mT6_T7_P12ihipStream_tbENKUlT_T0_E_clISt17integral_constantIbLb1EESY_IbLb0EEEEDaSU_SV_EUlSU_E_NS1_11comp_targetILNS1_3genE9ELNS1_11target_archE1100ELNS1_3gpuE3ELNS1_3repE0EEENS1_30default_config_static_selectorELNS0_4arch9wavefront6targetE1EEEvT1_.kd
    .uniform_work_group_size: 1
    .uses_dynamic_stack: false
    .vgpr_count:     0
    .vgpr_spill_count: 0
    .wavefront_size: 64
  - .agpr_count:     0
    .args:
      - .offset:         0
        .size:           136
        .value_kind:     by_value
    .group_segment_fixed_size: 0
    .kernarg_segment_align: 8
    .kernarg_segment_size: 136
    .language:       OpenCL C
    .language_version:
      - 2
      - 0
    .max_flat_workgroup_size: 256
    .name:           _ZN7rocprim17ROCPRIM_400000_NS6detail17trampoline_kernelINS0_14default_configENS1_27scan_by_key_config_selectorIxxEEZZNS1_16scan_by_key_implILNS1_25lookback_scan_determinismE0ELb0ES3_N6thrust23THRUST_200600_302600_NS6detail15normal_iteratorINS9_10device_ptrIxEEEESE_SE_xNS9_4plusIvEENS9_8equal_toIvEExEE10hipError_tPvRmT2_T3_T4_T5_mT6_T7_P12ihipStream_tbENKUlT_T0_E_clISt17integral_constantIbLb1EESY_IbLb0EEEEDaSU_SV_EUlSU_E_NS1_11comp_targetILNS1_3genE8ELNS1_11target_archE1030ELNS1_3gpuE2ELNS1_3repE0EEENS1_30default_config_static_selectorELNS0_4arch9wavefront6targetE1EEEvT1_
    .private_segment_fixed_size: 0
    .sgpr_count:     4
    .sgpr_spill_count: 0
    .symbol:         _ZN7rocprim17ROCPRIM_400000_NS6detail17trampoline_kernelINS0_14default_configENS1_27scan_by_key_config_selectorIxxEEZZNS1_16scan_by_key_implILNS1_25lookback_scan_determinismE0ELb0ES3_N6thrust23THRUST_200600_302600_NS6detail15normal_iteratorINS9_10device_ptrIxEEEESE_SE_xNS9_4plusIvEENS9_8equal_toIvEExEE10hipError_tPvRmT2_T3_T4_T5_mT6_T7_P12ihipStream_tbENKUlT_T0_E_clISt17integral_constantIbLb1EESY_IbLb0EEEEDaSU_SV_EUlSU_E_NS1_11comp_targetILNS1_3genE8ELNS1_11target_archE1030ELNS1_3gpuE2ELNS1_3repE0EEENS1_30default_config_static_selectorELNS0_4arch9wavefront6targetE1EEEvT1_.kd
    .uniform_work_group_size: 1
    .uses_dynamic_stack: false
    .vgpr_count:     0
    .vgpr_spill_count: 0
    .wavefront_size: 64
  - .agpr_count:     0
    .args:
      - .offset:         0
        .size:           24
        .value_kind:     by_value
      - .offset:         24
        .size:           4
        .value_kind:     by_value
      - .offset:         28
        .size:           4
        .value_kind:     by_value
      - .address_space:  global
        .offset:         32
        .size:           8
        .value_kind:     global_buffer
      - .address_space:  global
        .offset:         40
        .size:           8
        .value_kind:     global_buffer
      - .actual_access:  write_only
        .address_space:  global
        .offset:         48
        .size:           8
        .value_kind:     global_buffer
      - .offset:         56
        .size:           8
        .value_kind:     by_value
      - .offset:         64
        .size:           4
        .value_kind:     by_value
      - .address_space:  global
        .offset:         72
        .size:           8
        .value_kind:     global_buffer
      - .offset:         80
        .size:           4
        .value_kind:     hidden_block_count_x
      - .offset:         84
        .size:           4
        .value_kind:     hidden_block_count_y
      - .offset:         88
        .size:           4
        .value_kind:     hidden_block_count_z
      - .offset:         92
        .size:           2
        .value_kind:     hidden_group_size_x
      - .offset:         94
        .size:           2
        .value_kind:     hidden_group_size_y
      - .offset:         96
        .size:           2
        .value_kind:     hidden_group_size_z
      - .offset:         98
        .size:           2
        .value_kind:     hidden_remainder_x
      - .offset:         100
        .size:           2
        .value_kind:     hidden_remainder_y
      - .offset:         102
        .size:           2
        .value_kind:     hidden_remainder_z
      - .offset:         120
        .size:           8
        .value_kind:     hidden_global_offset_x
      - .offset:         128
        .size:           8
        .value_kind:     hidden_global_offset_y
      - .offset:         136
        .size:           8
        .value_kind:     hidden_global_offset_z
      - .offset:         144
        .size:           2
        .value_kind:     hidden_grid_dims
    .group_segment_fixed_size: 0
    .kernarg_segment_align: 8
    .kernarg_segment_size: 336
    .language:       OpenCL C
    .language_version:
      - 2
      - 0
    .max_flat_workgroup_size: 256
    .name:           _ZN7rocprim17ROCPRIM_400000_NS6detail30init_device_scan_by_key_kernelINS1_19lookback_scan_stateINS0_5tupleIJxbEEELb0ELb0EEEN6thrust23THRUST_200600_302600_NS6detail15normal_iteratorINS8_10device_ptrIxEEEEjNS1_16block_id_wrapperIjLb1EEEEEvT_jjPNSG_10value_typeET0_PNSt15iterator_traitsISJ_E10value_typeEmT1_T2_
    .private_segment_fixed_size: 0
    .sgpr_count:     26
    .sgpr_spill_count: 0
    .symbol:         _ZN7rocprim17ROCPRIM_400000_NS6detail30init_device_scan_by_key_kernelINS1_19lookback_scan_stateINS0_5tupleIJxbEEELb0ELb0EEEN6thrust23THRUST_200600_302600_NS6detail15normal_iteratorINS8_10device_ptrIxEEEEjNS1_16block_id_wrapperIjLb1EEEEEvT_jjPNSG_10value_typeET0_PNSt15iterator_traitsISJ_E10value_typeEmT1_T2_.kd
    .uniform_work_group_size: 1
    .uses_dynamic_stack: false
    .vgpr_count:     12
    .vgpr_spill_count: 0
    .wavefront_size: 64
  - .agpr_count:     0
    .args:
      - .offset:         0
        .size:           24
        .value_kind:     by_value
      - .offset:         24
        .size:           4
        .value_kind:     by_value
      - .offset:         28
        .size:           4
        .value_kind:     by_value
      - .address_space:  global
        .offset:         32
        .size:           8
        .value_kind:     global_buffer
      - .address_space:  global
        .offset:         40
        .size:           8
        .value_kind:     global_buffer
      - .offset:         48
        .size:           4
        .value_kind:     hidden_block_count_x
      - .offset:         52
        .size:           4
        .value_kind:     hidden_block_count_y
      - .offset:         56
        .size:           4
        .value_kind:     hidden_block_count_z
      - .offset:         60
        .size:           2
        .value_kind:     hidden_group_size_x
      - .offset:         62
        .size:           2
        .value_kind:     hidden_group_size_y
      - .offset:         64
        .size:           2
        .value_kind:     hidden_group_size_z
      - .offset:         66
        .size:           2
        .value_kind:     hidden_remainder_x
      - .offset:         68
        .size:           2
        .value_kind:     hidden_remainder_y
      - .offset:         70
        .size:           2
        .value_kind:     hidden_remainder_z
      - .offset:         88
        .size:           8
        .value_kind:     hidden_global_offset_x
      - .offset:         96
        .size:           8
        .value_kind:     hidden_global_offset_y
      - .offset:         104
        .size:           8
        .value_kind:     hidden_global_offset_z
      - .offset:         112
        .size:           2
        .value_kind:     hidden_grid_dims
    .group_segment_fixed_size: 0
    .kernarg_segment_align: 8
    .kernarg_segment_size: 304
    .language:       OpenCL C
    .language_version:
      - 2
      - 0
    .max_flat_workgroup_size: 256
    .name:           _ZN7rocprim17ROCPRIM_400000_NS6detail30init_device_scan_by_key_kernelINS1_19lookback_scan_stateINS0_5tupleIJxbEEELb0ELb0EEENS1_16block_id_wrapperIjLb1EEEEEvT_jjPNS9_10value_typeET0_
    .private_segment_fixed_size: 0
    .sgpr_count:     22
    .sgpr_spill_count: 0
    .symbol:         _ZN7rocprim17ROCPRIM_400000_NS6detail30init_device_scan_by_key_kernelINS1_19lookback_scan_stateINS0_5tupleIJxbEEELb0ELb0EEENS1_16block_id_wrapperIjLb1EEEEEvT_jjPNS9_10value_typeET0_.kd
    .uniform_work_group_size: 1
    .uses_dynamic_stack: false
    .vgpr_count:     5
    .vgpr_spill_count: 0
    .wavefront_size: 64
  - .agpr_count:     0
    .args:
      - .offset:         0
        .size:           136
        .value_kind:     by_value
    .group_segment_fixed_size: 0
    .kernarg_segment_align: 8
    .kernarg_segment_size: 136
    .language:       OpenCL C
    .language_version:
      - 2
      - 0
    .max_flat_workgroup_size: 256
    .name:           _ZN7rocprim17ROCPRIM_400000_NS6detail17trampoline_kernelINS0_14default_configENS1_27scan_by_key_config_selectorIxxEEZZNS1_16scan_by_key_implILNS1_25lookback_scan_determinismE0ELb0ES3_N6thrust23THRUST_200600_302600_NS6detail15normal_iteratorINS9_10device_ptrIxEEEESE_SE_xNS9_4plusIvEENS9_8equal_toIvEExEE10hipError_tPvRmT2_T3_T4_T5_mT6_T7_P12ihipStream_tbENKUlT_T0_E_clISt17integral_constantIbLb0EESY_IbLb1EEEEDaSU_SV_EUlSU_E_NS1_11comp_targetILNS1_3genE0ELNS1_11target_archE4294967295ELNS1_3gpuE0ELNS1_3repE0EEENS1_30default_config_static_selectorELNS0_4arch9wavefront6targetE1EEEvT1_
    .private_segment_fixed_size: 0
    .sgpr_count:     4
    .sgpr_spill_count: 0
    .symbol:         _ZN7rocprim17ROCPRIM_400000_NS6detail17trampoline_kernelINS0_14default_configENS1_27scan_by_key_config_selectorIxxEEZZNS1_16scan_by_key_implILNS1_25lookback_scan_determinismE0ELb0ES3_N6thrust23THRUST_200600_302600_NS6detail15normal_iteratorINS9_10device_ptrIxEEEESE_SE_xNS9_4plusIvEENS9_8equal_toIvEExEE10hipError_tPvRmT2_T3_T4_T5_mT6_T7_P12ihipStream_tbENKUlT_T0_E_clISt17integral_constantIbLb0EESY_IbLb1EEEEDaSU_SV_EUlSU_E_NS1_11comp_targetILNS1_3genE0ELNS1_11target_archE4294967295ELNS1_3gpuE0ELNS1_3repE0EEENS1_30default_config_static_selectorELNS0_4arch9wavefront6targetE1EEEvT1_.kd
    .uniform_work_group_size: 1
    .uses_dynamic_stack: false
    .vgpr_count:     0
    .vgpr_spill_count: 0
    .wavefront_size: 64
  - .agpr_count:     0
    .args:
      - .offset:         0
        .size:           136
        .value_kind:     by_value
    .group_segment_fixed_size: 0
    .kernarg_segment_align: 8
    .kernarg_segment_size: 136
    .language:       OpenCL C
    .language_version:
      - 2
      - 0
    .max_flat_workgroup_size: 256
    .name:           _ZN7rocprim17ROCPRIM_400000_NS6detail17trampoline_kernelINS0_14default_configENS1_27scan_by_key_config_selectorIxxEEZZNS1_16scan_by_key_implILNS1_25lookback_scan_determinismE0ELb0ES3_N6thrust23THRUST_200600_302600_NS6detail15normal_iteratorINS9_10device_ptrIxEEEESE_SE_xNS9_4plusIvEENS9_8equal_toIvEExEE10hipError_tPvRmT2_T3_T4_T5_mT6_T7_P12ihipStream_tbENKUlT_T0_E_clISt17integral_constantIbLb0EESY_IbLb1EEEEDaSU_SV_EUlSU_E_NS1_11comp_targetILNS1_3genE10ELNS1_11target_archE1201ELNS1_3gpuE5ELNS1_3repE0EEENS1_30default_config_static_selectorELNS0_4arch9wavefront6targetE1EEEvT1_
    .private_segment_fixed_size: 0
    .sgpr_count:     4
    .sgpr_spill_count: 0
    .symbol:         _ZN7rocprim17ROCPRIM_400000_NS6detail17trampoline_kernelINS0_14default_configENS1_27scan_by_key_config_selectorIxxEEZZNS1_16scan_by_key_implILNS1_25lookback_scan_determinismE0ELb0ES3_N6thrust23THRUST_200600_302600_NS6detail15normal_iteratorINS9_10device_ptrIxEEEESE_SE_xNS9_4plusIvEENS9_8equal_toIvEExEE10hipError_tPvRmT2_T3_T4_T5_mT6_T7_P12ihipStream_tbENKUlT_T0_E_clISt17integral_constantIbLb0EESY_IbLb1EEEEDaSU_SV_EUlSU_E_NS1_11comp_targetILNS1_3genE10ELNS1_11target_archE1201ELNS1_3gpuE5ELNS1_3repE0EEENS1_30default_config_static_selectorELNS0_4arch9wavefront6targetE1EEEvT1_.kd
    .uniform_work_group_size: 1
    .uses_dynamic_stack: false
    .vgpr_count:     0
    .vgpr_spill_count: 0
    .wavefront_size: 64
  - .agpr_count:     0
    .args:
      - .offset:         0
        .size:           136
        .value_kind:     by_value
    .group_segment_fixed_size: 0
    .kernarg_segment_align: 8
    .kernarg_segment_size: 136
    .language:       OpenCL C
    .language_version:
      - 2
      - 0
    .max_flat_workgroup_size: 256
    .name:           _ZN7rocprim17ROCPRIM_400000_NS6detail17trampoline_kernelINS0_14default_configENS1_27scan_by_key_config_selectorIxxEEZZNS1_16scan_by_key_implILNS1_25lookback_scan_determinismE0ELb0ES3_N6thrust23THRUST_200600_302600_NS6detail15normal_iteratorINS9_10device_ptrIxEEEESE_SE_xNS9_4plusIvEENS9_8equal_toIvEExEE10hipError_tPvRmT2_T3_T4_T5_mT6_T7_P12ihipStream_tbENKUlT_T0_E_clISt17integral_constantIbLb0EESY_IbLb1EEEEDaSU_SV_EUlSU_E_NS1_11comp_targetILNS1_3genE5ELNS1_11target_archE942ELNS1_3gpuE9ELNS1_3repE0EEENS1_30default_config_static_selectorELNS0_4arch9wavefront6targetE1EEEvT1_
    .private_segment_fixed_size: 0
    .sgpr_count:     4
    .sgpr_spill_count: 0
    .symbol:         _ZN7rocprim17ROCPRIM_400000_NS6detail17trampoline_kernelINS0_14default_configENS1_27scan_by_key_config_selectorIxxEEZZNS1_16scan_by_key_implILNS1_25lookback_scan_determinismE0ELb0ES3_N6thrust23THRUST_200600_302600_NS6detail15normal_iteratorINS9_10device_ptrIxEEEESE_SE_xNS9_4plusIvEENS9_8equal_toIvEExEE10hipError_tPvRmT2_T3_T4_T5_mT6_T7_P12ihipStream_tbENKUlT_T0_E_clISt17integral_constantIbLb0EESY_IbLb1EEEEDaSU_SV_EUlSU_E_NS1_11comp_targetILNS1_3genE5ELNS1_11target_archE942ELNS1_3gpuE9ELNS1_3repE0EEENS1_30default_config_static_selectorELNS0_4arch9wavefront6targetE1EEEvT1_.kd
    .uniform_work_group_size: 1
    .uses_dynamic_stack: false
    .vgpr_count:     0
    .vgpr_spill_count: 0
    .wavefront_size: 64
  - .agpr_count:     0
    .args:
      - .offset:         0
        .size:           136
        .value_kind:     by_value
    .group_segment_fixed_size: 10752
    .kernarg_segment_align: 8
    .kernarg_segment_size: 136
    .language:       OpenCL C
    .language_version:
      - 2
      - 0
    .max_flat_workgroup_size: 64
    .name:           _ZN7rocprim17ROCPRIM_400000_NS6detail17trampoline_kernelINS0_14default_configENS1_27scan_by_key_config_selectorIxxEEZZNS1_16scan_by_key_implILNS1_25lookback_scan_determinismE0ELb0ES3_N6thrust23THRUST_200600_302600_NS6detail15normal_iteratorINS9_10device_ptrIxEEEESE_SE_xNS9_4plusIvEENS9_8equal_toIvEExEE10hipError_tPvRmT2_T3_T4_T5_mT6_T7_P12ihipStream_tbENKUlT_T0_E_clISt17integral_constantIbLb0EESY_IbLb1EEEEDaSU_SV_EUlSU_E_NS1_11comp_targetILNS1_3genE4ELNS1_11target_archE910ELNS1_3gpuE8ELNS1_3repE0EEENS1_30default_config_static_selectorELNS0_4arch9wavefront6targetE1EEEvT1_
    .private_segment_fixed_size: 0
    .sgpr_count:     86
    .sgpr_spill_count: 0
    .symbol:         _ZN7rocprim17ROCPRIM_400000_NS6detail17trampoline_kernelINS0_14default_configENS1_27scan_by_key_config_selectorIxxEEZZNS1_16scan_by_key_implILNS1_25lookback_scan_determinismE0ELb0ES3_N6thrust23THRUST_200600_302600_NS6detail15normal_iteratorINS9_10device_ptrIxEEEESE_SE_xNS9_4plusIvEENS9_8equal_toIvEExEE10hipError_tPvRmT2_T3_T4_T5_mT6_T7_P12ihipStream_tbENKUlT_T0_E_clISt17integral_constantIbLb0EESY_IbLb1EEEEDaSU_SV_EUlSU_E_NS1_11comp_targetILNS1_3genE4ELNS1_11target_archE910ELNS1_3gpuE8ELNS1_3repE0EEENS1_30default_config_static_selectorELNS0_4arch9wavefront6targetE1EEEvT1_.kd
    .uniform_work_group_size: 1
    .uses_dynamic_stack: false
    .vgpr_count:     128
    .vgpr_spill_count: 0
    .wavefront_size: 64
  - .agpr_count:     0
    .args:
      - .offset:         0
        .size:           136
        .value_kind:     by_value
    .group_segment_fixed_size: 0
    .kernarg_segment_align: 8
    .kernarg_segment_size: 136
    .language:       OpenCL C
    .language_version:
      - 2
      - 0
    .max_flat_workgroup_size: 256
    .name:           _ZN7rocprim17ROCPRIM_400000_NS6detail17trampoline_kernelINS0_14default_configENS1_27scan_by_key_config_selectorIxxEEZZNS1_16scan_by_key_implILNS1_25lookback_scan_determinismE0ELb0ES3_N6thrust23THRUST_200600_302600_NS6detail15normal_iteratorINS9_10device_ptrIxEEEESE_SE_xNS9_4plusIvEENS9_8equal_toIvEExEE10hipError_tPvRmT2_T3_T4_T5_mT6_T7_P12ihipStream_tbENKUlT_T0_E_clISt17integral_constantIbLb0EESY_IbLb1EEEEDaSU_SV_EUlSU_E_NS1_11comp_targetILNS1_3genE3ELNS1_11target_archE908ELNS1_3gpuE7ELNS1_3repE0EEENS1_30default_config_static_selectorELNS0_4arch9wavefront6targetE1EEEvT1_
    .private_segment_fixed_size: 0
    .sgpr_count:     4
    .sgpr_spill_count: 0
    .symbol:         _ZN7rocprim17ROCPRIM_400000_NS6detail17trampoline_kernelINS0_14default_configENS1_27scan_by_key_config_selectorIxxEEZZNS1_16scan_by_key_implILNS1_25lookback_scan_determinismE0ELb0ES3_N6thrust23THRUST_200600_302600_NS6detail15normal_iteratorINS9_10device_ptrIxEEEESE_SE_xNS9_4plusIvEENS9_8equal_toIvEExEE10hipError_tPvRmT2_T3_T4_T5_mT6_T7_P12ihipStream_tbENKUlT_T0_E_clISt17integral_constantIbLb0EESY_IbLb1EEEEDaSU_SV_EUlSU_E_NS1_11comp_targetILNS1_3genE3ELNS1_11target_archE908ELNS1_3gpuE7ELNS1_3repE0EEENS1_30default_config_static_selectorELNS0_4arch9wavefront6targetE1EEEvT1_.kd
    .uniform_work_group_size: 1
    .uses_dynamic_stack: false
    .vgpr_count:     0
    .vgpr_spill_count: 0
    .wavefront_size: 64
  - .agpr_count:     0
    .args:
      - .offset:         0
        .size:           136
        .value_kind:     by_value
    .group_segment_fixed_size: 0
    .kernarg_segment_align: 8
    .kernarg_segment_size: 136
    .language:       OpenCL C
    .language_version:
      - 2
      - 0
    .max_flat_workgroup_size: 256
    .name:           _ZN7rocprim17ROCPRIM_400000_NS6detail17trampoline_kernelINS0_14default_configENS1_27scan_by_key_config_selectorIxxEEZZNS1_16scan_by_key_implILNS1_25lookback_scan_determinismE0ELb0ES3_N6thrust23THRUST_200600_302600_NS6detail15normal_iteratorINS9_10device_ptrIxEEEESE_SE_xNS9_4plusIvEENS9_8equal_toIvEExEE10hipError_tPvRmT2_T3_T4_T5_mT6_T7_P12ihipStream_tbENKUlT_T0_E_clISt17integral_constantIbLb0EESY_IbLb1EEEEDaSU_SV_EUlSU_E_NS1_11comp_targetILNS1_3genE2ELNS1_11target_archE906ELNS1_3gpuE6ELNS1_3repE0EEENS1_30default_config_static_selectorELNS0_4arch9wavefront6targetE1EEEvT1_
    .private_segment_fixed_size: 0
    .sgpr_count:     4
    .sgpr_spill_count: 0
    .symbol:         _ZN7rocprim17ROCPRIM_400000_NS6detail17trampoline_kernelINS0_14default_configENS1_27scan_by_key_config_selectorIxxEEZZNS1_16scan_by_key_implILNS1_25lookback_scan_determinismE0ELb0ES3_N6thrust23THRUST_200600_302600_NS6detail15normal_iteratorINS9_10device_ptrIxEEEESE_SE_xNS9_4plusIvEENS9_8equal_toIvEExEE10hipError_tPvRmT2_T3_T4_T5_mT6_T7_P12ihipStream_tbENKUlT_T0_E_clISt17integral_constantIbLb0EESY_IbLb1EEEEDaSU_SV_EUlSU_E_NS1_11comp_targetILNS1_3genE2ELNS1_11target_archE906ELNS1_3gpuE6ELNS1_3repE0EEENS1_30default_config_static_selectorELNS0_4arch9wavefront6targetE1EEEvT1_.kd
    .uniform_work_group_size: 1
    .uses_dynamic_stack: false
    .vgpr_count:     0
    .vgpr_spill_count: 0
    .wavefront_size: 64
  - .agpr_count:     0
    .args:
      - .offset:         0
        .size:           136
        .value_kind:     by_value
    .group_segment_fixed_size: 0
    .kernarg_segment_align: 8
    .kernarg_segment_size: 136
    .language:       OpenCL C
    .language_version:
      - 2
      - 0
    .max_flat_workgroup_size: 256
    .name:           _ZN7rocprim17ROCPRIM_400000_NS6detail17trampoline_kernelINS0_14default_configENS1_27scan_by_key_config_selectorIxxEEZZNS1_16scan_by_key_implILNS1_25lookback_scan_determinismE0ELb0ES3_N6thrust23THRUST_200600_302600_NS6detail15normal_iteratorINS9_10device_ptrIxEEEESE_SE_xNS9_4plusIvEENS9_8equal_toIvEExEE10hipError_tPvRmT2_T3_T4_T5_mT6_T7_P12ihipStream_tbENKUlT_T0_E_clISt17integral_constantIbLb0EESY_IbLb1EEEEDaSU_SV_EUlSU_E_NS1_11comp_targetILNS1_3genE10ELNS1_11target_archE1200ELNS1_3gpuE4ELNS1_3repE0EEENS1_30default_config_static_selectorELNS0_4arch9wavefront6targetE1EEEvT1_
    .private_segment_fixed_size: 0
    .sgpr_count:     4
    .sgpr_spill_count: 0
    .symbol:         _ZN7rocprim17ROCPRIM_400000_NS6detail17trampoline_kernelINS0_14default_configENS1_27scan_by_key_config_selectorIxxEEZZNS1_16scan_by_key_implILNS1_25lookback_scan_determinismE0ELb0ES3_N6thrust23THRUST_200600_302600_NS6detail15normal_iteratorINS9_10device_ptrIxEEEESE_SE_xNS9_4plusIvEENS9_8equal_toIvEExEE10hipError_tPvRmT2_T3_T4_T5_mT6_T7_P12ihipStream_tbENKUlT_T0_E_clISt17integral_constantIbLb0EESY_IbLb1EEEEDaSU_SV_EUlSU_E_NS1_11comp_targetILNS1_3genE10ELNS1_11target_archE1200ELNS1_3gpuE4ELNS1_3repE0EEENS1_30default_config_static_selectorELNS0_4arch9wavefront6targetE1EEEvT1_.kd
    .uniform_work_group_size: 1
    .uses_dynamic_stack: false
    .vgpr_count:     0
    .vgpr_spill_count: 0
    .wavefront_size: 64
  - .agpr_count:     0
    .args:
      - .offset:         0
        .size:           136
        .value_kind:     by_value
    .group_segment_fixed_size: 0
    .kernarg_segment_align: 8
    .kernarg_segment_size: 136
    .language:       OpenCL C
    .language_version:
      - 2
      - 0
    .max_flat_workgroup_size: 256
    .name:           _ZN7rocprim17ROCPRIM_400000_NS6detail17trampoline_kernelINS0_14default_configENS1_27scan_by_key_config_selectorIxxEEZZNS1_16scan_by_key_implILNS1_25lookback_scan_determinismE0ELb0ES3_N6thrust23THRUST_200600_302600_NS6detail15normal_iteratorINS9_10device_ptrIxEEEESE_SE_xNS9_4plusIvEENS9_8equal_toIvEExEE10hipError_tPvRmT2_T3_T4_T5_mT6_T7_P12ihipStream_tbENKUlT_T0_E_clISt17integral_constantIbLb0EESY_IbLb1EEEEDaSU_SV_EUlSU_E_NS1_11comp_targetILNS1_3genE9ELNS1_11target_archE1100ELNS1_3gpuE3ELNS1_3repE0EEENS1_30default_config_static_selectorELNS0_4arch9wavefront6targetE1EEEvT1_
    .private_segment_fixed_size: 0
    .sgpr_count:     4
    .sgpr_spill_count: 0
    .symbol:         _ZN7rocprim17ROCPRIM_400000_NS6detail17trampoline_kernelINS0_14default_configENS1_27scan_by_key_config_selectorIxxEEZZNS1_16scan_by_key_implILNS1_25lookback_scan_determinismE0ELb0ES3_N6thrust23THRUST_200600_302600_NS6detail15normal_iteratorINS9_10device_ptrIxEEEESE_SE_xNS9_4plusIvEENS9_8equal_toIvEExEE10hipError_tPvRmT2_T3_T4_T5_mT6_T7_P12ihipStream_tbENKUlT_T0_E_clISt17integral_constantIbLb0EESY_IbLb1EEEEDaSU_SV_EUlSU_E_NS1_11comp_targetILNS1_3genE9ELNS1_11target_archE1100ELNS1_3gpuE3ELNS1_3repE0EEENS1_30default_config_static_selectorELNS0_4arch9wavefront6targetE1EEEvT1_.kd
    .uniform_work_group_size: 1
    .uses_dynamic_stack: false
    .vgpr_count:     0
    .vgpr_spill_count: 0
    .wavefront_size: 64
  - .agpr_count:     0
    .args:
      - .offset:         0
        .size:           136
        .value_kind:     by_value
    .group_segment_fixed_size: 0
    .kernarg_segment_align: 8
    .kernarg_segment_size: 136
    .language:       OpenCL C
    .language_version:
      - 2
      - 0
    .max_flat_workgroup_size: 256
    .name:           _ZN7rocprim17ROCPRIM_400000_NS6detail17trampoline_kernelINS0_14default_configENS1_27scan_by_key_config_selectorIxxEEZZNS1_16scan_by_key_implILNS1_25lookback_scan_determinismE0ELb0ES3_N6thrust23THRUST_200600_302600_NS6detail15normal_iteratorINS9_10device_ptrIxEEEESE_SE_xNS9_4plusIvEENS9_8equal_toIvEExEE10hipError_tPvRmT2_T3_T4_T5_mT6_T7_P12ihipStream_tbENKUlT_T0_E_clISt17integral_constantIbLb0EESY_IbLb1EEEEDaSU_SV_EUlSU_E_NS1_11comp_targetILNS1_3genE8ELNS1_11target_archE1030ELNS1_3gpuE2ELNS1_3repE0EEENS1_30default_config_static_selectorELNS0_4arch9wavefront6targetE1EEEvT1_
    .private_segment_fixed_size: 0
    .sgpr_count:     4
    .sgpr_spill_count: 0
    .symbol:         _ZN7rocprim17ROCPRIM_400000_NS6detail17trampoline_kernelINS0_14default_configENS1_27scan_by_key_config_selectorIxxEEZZNS1_16scan_by_key_implILNS1_25lookback_scan_determinismE0ELb0ES3_N6thrust23THRUST_200600_302600_NS6detail15normal_iteratorINS9_10device_ptrIxEEEESE_SE_xNS9_4plusIvEENS9_8equal_toIvEExEE10hipError_tPvRmT2_T3_T4_T5_mT6_T7_P12ihipStream_tbENKUlT_T0_E_clISt17integral_constantIbLb0EESY_IbLb1EEEEDaSU_SV_EUlSU_E_NS1_11comp_targetILNS1_3genE8ELNS1_11target_archE1030ELNS1_3gpuE2ELNS1_3repE0EEENS1_30default_config_static_selectorELNS0_4arch9wavefront6targetE1EEEvT1_.kd
    .uniform_work_group_size: 1
    .uses_dynamic_stack: false
    .vgpr_count:     0
    .vgpr_spill_count: 0
    .wavefront_size: 64
  - .agpr_count:     0
    .args:
      - .offset:         0
        .size:           136
        .value_kind:     by_value
    .group_segment_fixed_size: 0
    .kernarg_segment_align: 8
    .kernarg_segment_size: 136
    .language:       OpenCL C
    .language_version:
      - 2
      - 0
    .max_flat_workgroup_size: 256
    .name:           _ZN7rocprim17ROCPRIM_400000_NS6detail17trampoline_kernelINS0_14default_configENS1_27scan_by_key_config_selectorIxxEEZZNS1_16scan_by_key_implILNS1_25lookback_scan_determinismE0ELb0ES3_N6thrust23THRUST_200600_302600_NS6detail15normal_iteratorINS9_10device_ptrIxEEEESE_SE_xNS9_10multipliesIxEENS9_8equal_toIxEExEE10hipError_tPvRmT2_T3_T4_T5_mT6_T7_P12ihipStream_tbENKUlT_T0_E_clISt17integral_constantIbLb0EESZ_EEDaSU_SV_EUlSU_E_NS1_11comp_targetILNS1_3genE0ELNS1_11target_archE4294967295ELNS1_3gpuE0ELNS1_3repE0EEENS1_30default_config_static_selectorELNS0_4arch9wavefront6targetE1EEEvT1_
    .private_segment_fixed_size: 0
    .sgpr_count:     4
    .sgpr_spill_count: 0
    .symbol:         _ZN7rocprim17ROCPRIM_400000_NS6detail17trampoline_kernelINS0_14default_configENS1_27scan_by_key_config_selectorIxxEEZZNS1_16scan_by_key_implILNS1_25lookback_scan_determinismE0ELb0ES3_N6thrust23THRUST_200600_302600_NS6detail15normal_iteratorINS9_10device_ptrIxEEEESE_SE_xNS9_10multipliesIxEENS9_8equal_toIxEExEE10hipError_tPvRmT2_T3_T4_T5_mT6_T7_P12ihipStream_tbENKUlT_T0_E_clISt17integral_constantIbLb0EESZ_EEDaSU_SV_EUlSU_E_NS1_11comp_targetILNS1_3genE0ELNS1_11target_archE4294967295ELNS1_3gpuE0ELNS1_3repE0EEENS1_30default_config_static_selectorELNS0_4arch9wavefront6targetE1EEEvT1_.kd
    .uniform_work_group_size: 1
    .uses_dynamic_stack: false
    .vgpr_count:     0
    .vgpr_spill_count: 0
    .wavefront_size: 64
  - .agpr_count:     0
    .args:
      - .offset:         0
        .size:           136
        .value_kind:     by_value
    .group_segment_fixed_size: 0
    .kernarg_segment_align: 8
    .kernarg_segment_size: 136
    .language:       OpenCL C
    .language_version:
      - 2
      - 0
    .max_flat_workgroup_size: 256
    .name:           _ZN7rocprim17ROCPRIM_400000_NS6detail17trampoline_kernelINS0_14default_configENS1_27scan_by_key_config_selectorIxxEEZZNS1_16scan_by_key_implILNS1_25lookback_scan_determinismE0ELb0ES3_N6thrust23THRUST_200600_302600_NS6detail15normal_iteratorINS9_10device_ptrIxEEEESE_SE_xNS9_10multipliesIxEENS9_8equal_toIxEExEE10hipError_tPvRmT2_T3_T4_T5_mT6_T7_P12ihipStream_tbENKUlT_T0_E_clISt17integral_constantIbLb0EESZ_EEDaSU_SV_EUlSU_E_NS1_11comp_targetILNS1_3genE10ELNS1_11target_archE1201ELNS1_3gpuE5ELNS1_3repE0EEENS1_30default_config_static_selectorELNS0_4arch9wavefront6targetE1EEEvT1_
    .private_segment_fixed_size: 0
    .sgpr_count:     4
    .sgpr_spill_count: 0
    .symbol:         _ZN7rocprim17ROCPRIM_400000_NS6detail17trampoline_kernelINS0_14default_configENS1_27scan_by_key_config_selectorIxxEEZZNS1_16scan_by_key_implILNS1_25lookback_scan_determinismE0ELb0ES3_N6thrust23THRUST_200600_302600_NS6detail15normal_iteratorINS9_10device_ptrIxEEEESE_SE_xNS9_10multipliesIxEENS9_8equal_toIxEExEE10hipError_tPvRmT2_T3_T4_T5_mT6_T7_P12ihipStream_tbENKUlT_T0_E_clISt17integral_constantIbLb0EESZ_EEDaSU_SV_EUlSU_E_NS1_11comp_targetILNS1_3genE10ELNS1_11target_archE1201ELNS1_3gpuE5ELNS1_3repE0EEENS1_30default_config_static_selectorELNS0_4arch9wavefront6targetE1EEEvT1_.kd
    .uniform_work_group_size: 1
    .uses_dynamic_stack: false
    .vgpr_count:     0
    .vgpr_spill_count: 0
    .wavefront_size: 64
  - .agpr_count:     0
    .args:
      - .offset:         0
        .size:           136
        .value_kind:     by_value
    .group_segment_fixed_size: 0
    .kernarg_segment_align: 8
    .kernarg_segment_size: 136
    .language:       OpenCL C
    .language_version:
      - 2
      - 0
    .max_flat_workgroup_size: 256
    .name:           _ZN7rocprim17ROCPRIM_400000_NS6detail17trampoline_kernelINS0_14default_configENS1_27scan_by_key_config_selectorIxxEEZZNS1_16scan_by_key_implILNS1_25lookback_scan_determinismE0ELb0ES3_N6thrust23THRUST_200600_302600_NS6detail15normal_iteratorINS9_10device_ptrIxEEEESE_SE_xNS9_10multipliesIxEENS9_8equal_toIxEExEE10hipError_tPvRmT2_T3_T4_T5_mT6_T7_P12ihipStream_tbENKUlT_T0_E_clISt17integral_constantIbLb0EESZ_EEDaSU_SV_EUlSU_E_NS1_11comp_targetILNS1_3genE5ELNS1_11target_archE942ELNS1_3gpuE9ELNS1_3repE0EEENS1_30default_config_static_selectorELNS0_4arch9wavefront6targetE1EEEvT1_
    .private_segment_fixed_size: 0
    .sgpr_count:     4
    .sgpr_spill_count: 0
    .symbol:         _ZN7rocprim17ROCPRIM_400000_NS6detail17trampoline_kernelINS0_14default_configENS1_27scan_by_key_config_selectorIxxEEZZNS1_16scan_by_key_implILNS1_25lookback_scan_determinismE0ELb0ES3_N6thrust23THRUST_200600_302600_NS6detail15normal_iteratorINS9_10device_ptrIxEEEESE_SE_xNS9_10multipliesIxEENS9_8equal_toIxEExEE10hipError_tPvRmT2_T3_T4_T5_mT6_T7_P12ihipStream_tbENKUlT_T0_E_clISt17integral_constantIbLb0EESZ_EEDaSU_SV_EUlSU_E_NS1_11comp_targetILNS1_3genE5ELNS1_11target_archE942ELNS1_3gpuE9ELNS1_3repE0EEENS1_30default_config_static_selectorELNS0_4arch9wavefront6targetE1EEEvT1_.kd
    .uniform_work_group_size: 1
    .uses_dynamic_stack: false
    .vgpr_count:     0
    .vgpr_spill_count: 0
    .wavefront_size: 64
  - .agpr_count:     0
    .args:
      - .offset:         0
        .size:           136
        .value_kind:     by_value
    .group_segment_fixed_size: 10752
    .kernarg_segment_align: 8
    .kernarg_segment_size: 136
    .language:       OpenCL C
    .language_version:
      - 2
      - 0
    .max_flat_workgroup_size: 64
    .name:           _ZN7rocprim17ROCPRIM_400000_NS6detail17trampoline_kernelINS0_14default_configENS1_27scan_by_key_config_selectorIxxEEZZNS1_16scan_by_key_implILNS1_25lookback_scan_determinismE0ELb0ES3_N6thrust23THRUST_200600_302600_NS6detail15normal_iteratorINS9_10device_ptrIxEEEESE_SE_xNS9_10multipliesIxEENS9_8equal_toIxEExEE10hipError_tPvRmT2_T3_T4_T5_mT6_T7_P12ihipStream_tbENKUlT_T0_E_clISt17integral_constantIbLb0EESZ_EEDaSU_SV_EUlSU_E_NS1_11comp_targetILNS1_3genE4ELNS1_11target_archE910ELNS1_3gpuE8ELNS1_3repE0EEENS1_30default_config_static_selectorELNS0_4arch9wavefront6targetE1EEEvT1_
    .private_segment_fixed_size: 0
    .sgpr_count:     82
    .sgpr_spill_count: 0
    .symbol:         _ZN7rocprim17ROCPRIM_400000_NS6detail17trampoline_kernelINS0_14default_configENS1_27scan_by_key_config_selectorIxxEEZZNS1_16scan_by_key_implILNS1_25lookback_scan_determinismE0ELb0ES3_N6thrust23THRUST_200600_302600_NS6detail15normal_iteratorINS9_10device_ptrIxEEEESE_SE_xNS9_10multipliesIxEENS9_8equal_toIxEExEE10hipError_tPvRmT2_T3_T4_T5_mT6_T7_P12ihipStream_tbENKUlT_T0_E_clISt17integral_constantIbLb0EESZ_EEDaSU_SV_EUlSU_E_NS1_11comp_targetILNS1_3genE4ELNS1_11target_archE910ELNS1_3gpuE8ELNS1_3repE0EEENS1_30default_config_static_selectorELNS0_4arch9wavefront6targetE1EEEvT1_.kd
    .uniform_work_group_size: 1
    .uses_dynamic_stack: false
    .vgpr_count:     128
    .vgpr_spill_count: 0
    .wavefront_size: 64
  - .agpr_count:     0
    .args:
      - .offset:         0
        .size:           136
        .value_kind:     by_value
    .group_segment_fixed_size: 0
    .kernarg_segment_align: 8
    .kernarg_segment_size: 136
    .language:       OpenCL C
    .language_version:
      - 2
      - 0
    .max_flat_workgroup_size: 256
    .name:           _ZN7rocprim17ROCPRIM_400000_NS6detail17trampoline_kernelINS0_14default_configENS1_27scan_by_key_config_selectorIxxEEZZNS1_16scan_by_key_implILNS1_25lookback_scan_determinismE0ELb0ES3_N6thrust23THRUST_200600_302600_NS6detail15normal_iteratorINS9_10device_ptrIxEEEESE_SE_xNS9_10multipliesIxEENS9_8equal_toIxEExEE10hipError_tPvRmT2_T3_T4_T5_mT6_T7_P12ihipStream_tbENKUlT_T0_E_clISt17integral_constantIbLb0EESZ_EEDaSU_SV_EUlSU_E_NS1_11comp_targetILNS1_3genE3ELNS1_11target_archE908ELNS1_3gpuE7ELNS1_3repE0EEENS1_30default_config_static_selectorELNS0_4arch9wavefront6targetE1EEEvT1_
    .private_segment_fixed_size: 0
    .sgpr_count:     4
    .sgpr_spill_count: 0
    .symbol:         _ZN7rocprim17ROCPRIM_400000_NS6detail17trampoline_kernelINS0_14default_configENS1_27scan_by_key_config_selectorIxxEEZZNS1_16scan_by_key_implILNS1_25lookback_scan_determinismE0ELb0ES3_N6thrust23THRUST_200600_302600_NS6detail15normal_iteratorINS9_10device_ptrIxEEEESE_SE_xNS9_10multipliesIxEENS9_8equal_toIxEExEE10hipError_tPvRmT2_T3_T4_T5_mT6_T7_P12ihipStream_tbENKUlT_T0_E_clISt17integral_constantIbLb0EESZ_EEDaSU_SV_EUlSU_E_NS1_11comp_targetILNS1_3genE3ELNS1_11target_archE908ELNS1_3gpuE7ELNS1_3repE0EEENS1_30default_config_static_selectorELNS0_4arch9wavefront6targetE1EEEvT1_.kd
    .uniform_work_group_size: 1
    .uses_dynamic_stack: false
    .vgpr_count:     0
    .vgpr_spill_count: 0
    .wavefront_size: 64
  - .agpr_count:     0
    .args:
      - .offset:         0
        .size:           136
        .value_kind:     by_value
    .group_segment_fixed_size: 0
    .kernarg_segment_align: 8
    .kernarg_segment_size: 136
    .language:       OpenCL C
    .language_version:
      - 2
      - 0
    .max_flat_workgroup_size: 256
    .name:           _ZN7rocprim17ROCPRIM_400000_NS6detail17trampoline_kernelINS0_14default_configENS1_27scan_by_key_config_selectorIxxEEZZNS1_16scan_by_key_implILNS1_25lookback_scan_determinismE0ELb0ES3_N6thrust23THRUST_200600_302600_NS6detail15normal_iteratorINS9_10device_ptrIxEEEESE_SE_xNS9_10multipliesIxEENS9_8equal_toIxEExEE10hipError_tPvRmT2_T3_T4_T5_mT6_T7_P12ihipStream_tbENKUlT_T0_E_clISt17integral_constantIbLb0EESZ_EEDaSU_SV_EUlSU_E_NS1_11comp_targetILNS1_3genE2ELNS1_11target_archE906ELNS1_3gpuE6ELNS1_3repE0EEENS1_30default_config_static_selectorELNS0_4arch9wavefront6targetE1EEEvT1_
    .private_segment_fixed_size: 0
    .sgpr_count:     4
    .sgpr_spill_count: 0
    .symbol:         _ZN7rocprim17ROCPRIM_400000_NS6detail17trampoline_kernelINS0_14default_configENS1_27scan_by_key_config_selectorIxxEEZZNS1_16scan_by_key_implILNS1_25lookback_scan_determinismE0ELb0ES3_N6thrust23THRUST_200600_302600_NS6detail15normal_iteratorINS9_10device_ptrIxEEEESE_SE_xNS9_10multipliesIxEENS9_8equal_toIxEExEE10hipError_tPvRmT2_T3_T4_T5_mT6_T7_P12ihipStream_tbENKUlT_T0_E_clISt17integral_constantIbLb0EESZ_EEDaSU_SV_EUlSU_E_NS1_11comp_targetILNS1_3genE2ELNS1_11target_archE906ELNS1_3gpuE6ELNS1_3repE0EEENS1_30default_config_static_selectorELNS0_4arch9wavefront6targetE1EEEvT1_.kd
    .uniform_work_group_size: 1
    .uses_dynamic_stack: false
    .vgpr_count:     0
    .vgpr_spill_count: 0
    .wavefront_size: 64
  - .agpr_count:     0
    .args:
      - .offset:         0
        .size:           136
        .value_kind:     by_value
    .group_segment_fixed_size: 0
    .kernarg_segment_align: 8
    .kernarg_segment_size: 136
    .language:       OpenCL C
    .language_version:
      - 2
      - 0
    .max_flat_workgroup_size: 256
    .name:           _ZN7rocprim17ROCPRIM_400000_NS6detail17trampoline_kernelINS0_14default_configENS1_27scan_by_key_config_selectorIxxEEZZNS1_16scan_by_key_implILNS1_25lookback_scan_determinismE0ELb0ES3_N6thrust23THRUST_200600_302600_NS6detail15normal_iteratorINS9_10device_ptrIxEEEESE_SE_xNS9_10multipliesIxEENS9_8equal_toIxEExEE10hipError_tPvRmT2_T3_T4_T5_mT6_T7_P12ihipStream_tbENKUlT_T0_E_clISt17integral_constantIbLb0EESZ_EEDaSU_SV_EUlSU_E_NS1_11comp_targetILNS1_3genE10ELNS1_11target_archE1200ELNS1_3gpuE4ELNS1_3repE0EEENS1_30default_config_static_selectorELNS0_4arch9wavefront6targetE1EEEvT1_
    .private_segment_fixed_size: 0
    .sgpr_count:     4
    .sgpr_spill_count: 0
    .symbol:         _ZN7rocprim17ROCPRIM_400000_NS6detail17trampoline_kernelINS0_14default_configENS1_27scan_by_key_config_selectorIxxEEZZNS1_16scan_by_key_implILNS1_25lookback_scan_determinismE0ELb0ES3_N6thrust23THRUST_200600_302600_NS6detail15normal_iteratorINS9_10device_ptrIxEEEESE_SE_xNS9_10multipliesIxEENS9_8equal_toIxEExEE10hipError_tPvRmT2_T3_T4_T5_mT6_T7_P12ihipStream_tbENKUlT_T0_E_clISt17integral_constantIbLb0EESZ_EEDaSU_SV_EUlSU_E_NS1_11comp_targetILNS1_3genE10ELNS1_11target_archE1200ELNS1_3gpuE4ELNS1_3repE0EEENS1_30default_config_static_selectorELNS0_4arch9wavefront6targetE1EEEvT1_.kd
    .uniform_work_group_size: 1
    .uses_dynamic_stack: false
    .vgpr_count:     0
    .vgpr_spill_count: 0
    .wavefront_size: 64
  - .agpr_count:     0
    .args:
      - .offset:         0
        .size:           136
        .value_kind:     by_value
    .group_segment_fixed_size: 0
    .kernarg_segment_align: 8
    .kernarg_segment_size: 136
    .language:       OpenCL C
    .language_version:
      - 2
      - 0
    .max_flat_workgroup_size: 256
    .name:           _ZN7rocprim17ROCPRIM_400000_NS6detail17trampoline_kernelINS0_14default_configENS1_27scan_by_key_config_selectorIxxEEZZNS1_16scan_by_key_implILNS1_25lookback_scan_determinismE0ELb0ES3_N6thrust23THRUST_200600_302600_NS6detail15normal_iteratorINS9_10device_ptrIxEEEESE_SE_xNS9_10multipliesIxEENS9_8equal_toIxEExEE10hipError_tPvRmT2_T3_T4_T5_mT6_T7_P12ihipStream_tbENKUlT_T0_E_clISt17integral_constantIbLb0EESZ_EEDaSU_SV_EUlSU_E_NS1_11comp_targetILNS1_3genE9ELNS1_11target_archE1100ELNS1_3gpuE3ELNS1_3repE0EEENS1_30default_config_static_selectorELNS0_4arch9wavefront6targetE1EEEvT1_
    .private_segment_fixed_size: 0
    .sgpr_count:     4
    .sgpr_spill_count: 0
    .symbol:         _ZN7rocprim17ROCPRIM_400000_NS6detail17trampoline_kernelINS0_14default_configENS1_27scan_by_key_config_selectorIxxEEZZNS1_16scan_by_key_implILNS1_25lookback_scan_determinismE0ELb0ES3_N6thrust23THRUST_200600_302600_NS6detail15normal_iteratorINS9_10device_ptrIxEEEESE_SE_xNS9_10multipliesIxEENS9_8equal_toIxEExEE10hipError_tPvRmT2_T3_T4_T5_mT6_T7_P12ihipStream_tbENKUlT_T0_E_clISt17integral_constantIbLb0EESZ_EEDaSU_SV_EUlSU_E_NS1_11comp_targetILNS1_3genE9ELNS1_11target_archE1100ELNS1_3gpuE3ELNS1_3repE0EEENS1_30default_config_static_selectorELNS0_4arch9wavefront6targetE1EEEvT1_.kd
    .uniform_work_group_size: 1
    .uses_dynamic_stack: false
    .vgpr_count:     0
    .vgpr_spill_count: 0
    .wavefront_size: 64
  - .agpr_count:     0
    .args:
      - .offset:         0
        .size:           136
        .value_kind:     by_value
    .group_segment_fixed_size: 0
    .kernarg_segment_align: 8
    .kernarg_segment_size: 136
    .language:       OpenCL C
    .language_version:
      - 2
      - 0
    .max_flat_workgroup_size: 256
    .name:           _ZN7rocprim17ROCPRIM_400000_NS6detail17trampoline_kernelINS0_14default_configENS1_27scan_by_key_config_selectorIxxEEZZNS1_16scan_by_key_implILNS1_25lookback_scan_determinismE0ELb0ES3_N6thrust23THRUST_200600_302600_NS6detail15normal_iteratorINS9_10device_ptrIxEEEESE_SE_xNS9_10multipliesIxEENS9_8equal_toIxEExEE10hipError_tPvRmT2_T3_T4_T5_mT6_T7_P12ihipStream_tbENKUlT_T0_E_clISt17integral_constantIbLb0EESZ_EEDaSU_SV_EUlSU_E_NS1_11comp_targetILNS1_3genE8ELNS1_11target_archE1030ELNS1_3gpuE2ELNS1_3repE0EEENS1_30default_config_static_selectorELNS0_4arch9wavefront6targetE1EEEvT1_
    .private_segment_fixed_size: 0
    .sgpr_count:     4
    .sgpr_spill_count: 0
    .symbol:         _ZN7rocprim17ROCPRIM_400000_NS6detail17trampoline_kernelINS0_14default_configENS1_27scan_by_key_config_selectorIxxEEZZNS1_16scan_by_key_implILNS1_25lookback_scan_determinismE0ELb0ES3_N6thrust23THRUST_200600_302600_NS6detail15normal_iteratorINS9_10device_ptrIxEEEESE_SE_xNS9_10multipliesIxEENS9_8equal_toIxEExEE10hipError_tPvRmT2_T3_T4_T5_mT6_T7_P12ihipStream_tbENKUlT_T0_E_clISt17integral_constantIbLb0EESZ_EEDaSU_SV_EUlSU_E_NS1_11comp_targetILNS1_3genE8ELNS1_11target_archE1030ELNS1_3gpuE2ELNS1_3repE0EEENS1_30default_config_static_selectorELNS0_4arch9wavefront6targetE1EEEvT1_.kd
    .uniform_work_group_size: 1
    .uses_dynamic_stack: false
    .vgpr_count:     0
    .vgpr_spill_count: 0
    .wavefront_size: 64
  - .agpr_count:     0
    .args:
      - .offset:         0
        .size:           136
        .value_kind:     by_value
    .group_segment_fixed_size: 0
    .kernarg_segment_align: 8
    .kernarg_segment_size: 136
    .language:       OpenCL C
    .language_version:
      - 2
      - 0
    .max_flat_workgroup_size: 256
    .name:           _ZN7rocprim17ROCPRIM_400000_NS6detail17trampoline_kernelINS0_14default_configENS1_27scan_by_key_config_selectorIxxEEZZNS1_16scan_by_key_implILNS1_25lookback_scan_determinismE0ELb0ES3_N6thrust23THRUST_200600_302600_NS6detail15normal_iteratorINS9_10device_ptrIxEEEESE_SE_xNS9_10multipliesIxEENS9_8equal_toIxEExEE10hipError_tPvRmT2_T3_T4_T5_mT6_T7_P12ihipStream_tbENKUlT_T0_E_clISt17integral_constantIbLb1EESZ_EEDaSU_SV_EUlSU_E_NS1_11comp_targetILNS1_3genE0ELNS1_11target_archE4294967295ELNS1_3gpuE0ELNS1_3repE0EEENS1_30default_config_static_selectorELNS0_4arch9wavefront6targetE1EEEvT1_
    .private_segment_fixed_size: 0
    .sgpr_count:     4
    .sgpr_spill_count: 0
    .symbol:         _ZN7rocprim17ROCPRIM_400000_NS6detail17trampoline_kernelINS0_14default_configENS1_27scan_by_key_config_selectorIxxEEZZNS1_16scan_by_key_implILNS1_25lookback_scan_determinismE0ELb0ES3_N6thrust23THRUST_200600_302600_NS6detail15normal_iteratorINS9_10device_ptrIxEEEESE_SE_xNS9_10multipliesIxEENS9_8equal_toIxEExEE10hipError_tPvRmT2_T3_T4_T5_mT6_T7_P12ihipStream_tbENKUlT_T0_E_clISt17integral_constantIbLb1EESZ_EEDaSU_SV_EUlSU_E_NS1_11comp_targetILNS1_3genE0ELNS1_11target_archE4294967295ELNS1_3gpuE0ELNS1_3repE0EEENS1_30default_config_static_selectorELNS0_4arch9wavefront6targetE1EEEvT1_.kd
    .uniform_work_group_size: 1
    .uses_dynamic_stack: false
    .vgpr_count:     0
    .vgpr_spill_count: 0
    .wavefront_size: 64
  - .agpr_count:     0
    .args:
      - .offset:         0
        .size:           136
        .value_kind:     by_value
    .group_segment_fixed_size: 0
    .kernarg_segment_align: 8
    .kernarg_segment_size: 136
    .language:       OpenCL C
    .language_version:
      - 2
      - 0
    .max_flat_workgroup_size: 256
    .name:           _ZN7rocprim17ROCPRIM_400000_NS6detail17trampoline_kernelINS0_14default_configENS1_27scan_by_key_config_selectorIxxEEZZNS1_16scan_by_key_implILNS1_25lookback_scan_determinismE0ELb0ES3_N6thrust23THRUST_200600_302600_NS6detail15normal_iteratorINS9_10device_ptrIxEEEESE_SE_xNS9_10multipliesIxEENS9_8equal_toIxEExEE10hipError_tPvRmT2_T3_T4_T5_mT6_T7_P12ihipStream_tbENKUlT_T0_E_clISt17integral_constantIbLb1EESZ_EEDaSU_SV_EUlSU_E_NS1_11comp_targetILNS1_3genE10ELNS1_11target_archE1201ELNS1_3gpuE5ELNS1_3repE0EEENS1_30default_config_static_selectorELNS0_4arch9wavefront6targetE1EEEvT1_
    .private_segment_fixed_size: 0
    .sgpr_count:     4
    .sgpr_spill_count: 0
    .symbol:         _ZN7rocprim17ROCPRIM_400000_NS6detail17trampoline_kernelINS0_14default_configENS1_27scan_by_key_config_selectorIxxEEZZNS1_16scan_by_key_implILNS1_25lookback_scan_determinismE0ELb0ES3_N6thrust23THRUST_200600_302600_NS6detail15normal_iteratorINS9_10device_ptrIxEEEESE_SE_xNS9_10multipliesIxEENS9_8equal_toIxEExEE10hipError_tPvRmT2_T3_T4_T5_mT6_T7_P12ihipStream_tbENKUlT_T0_E_clISt17integral_constantIbLb1EESZ_EEDaSU_SV_EUlSU_E_NS1_11comp_targetILNS1_3genE10ELNS1_11target_archE1201ELNS1_3gpuE5ELNS1_3repE0EEENS1_30default_config_static_selectorELNS0_4arch9wavefront6targetE1EEEvT1_.kd
    .uniform_work_group_size: 1
    .uses_dynamic_stack: false
    .vgpr_count:     0
    .vgpr_spill_count: 0
    .wavefront_size: 64
  - .agpr_count:     0
    .args:
      - .offset:         0
        .size:           136
        .value_kind:     by_value
    .group_segment_fixed_size: 0
    .kernarg_segment_align: 8
    .kernarg_segment_size: 136
    .language:       OpenCL C
    .language_version:
      - 2
      - 0
    .max_flat_workgroup_size: 256
    .name:           _ZN7rocprim17ROCPRIM_400000_NS6detail17trampoline_kernelINS0_14default_configENS1_27scan_by_key_config_selectorIxxEEZZNS1_16scan_by_key_implILNS1_25lookback_scan_determinismE0ELb0ES3_N6thrust23THRUST_200600_302600_NS6detail15normal_iteratorINS9_10device_ptrIxEEEESE_SE_xNS9_10multipliesIxEENS9_8equal_toIxEExEE10hipError_tPvRmT2_T3_T4_T5_mT6_T7_P12ihipStream_tbENKUlT_T0_E_clISt17integral_constantIbLb1EESZ_EEDaSU_SV_EUlSU_E_NS1_11comp_targetILNS1_3genE5ELNS1_11target_archE942ELNS1_3gpuE9ELNS1_3repE0EEENS1_30default_config_static_selectorELNS0_4arch9wavefront6targetE1EEEvT1_
    .private_segment_fixed_size: 0
    .sgpr_count:     4
    .sgpr_spill_count: 0
    .symbol:         _ZN7rocprim17ROCPRIM_400000_NS6detail17trampoline_kernelINS0_14default_configENS1_27scan_by_key_config_selectorIxxEEZZNS1_16scan_by_key_implILNS1_25lookback_scan_determinismE0ELb0ES3_N6thrust23THRUST_200600_302600_NS6detail15normal_iteratorINS9_10device_ptrIxEEEESE_SE_xNS9_10multipliesIxEENS9_8equal_toIxEExEE10hipError_tPvRmT2_T3_T4_T5_mT6_T7_P12ihipStream_tbENKUlT_T0_E_clISt17integral_constantIbLb1EESZ_EEDaSU_SV_EUlSU_E_NS1_11comp_targetILNS1_3genE5ELNS1_11target_archE942ELNS1_3gpuE9ELNS1_3repE0EEENS1_30default_config_static_selectorELNS0_4arch9wavefront6targetE1EEEvT1_.kd
    .uniform_work_group_size: 1
    .uses_dynamic_stack: false
    .vgpr_count:     0
    .vgpr_spill_count: 0
    .wavefront_size: 64
  - .agpr_count:     0
    .args:
      - .offset:         0
        .size:           136
        .value_kind:     by_value
    .group_segment_fixed_size: 10752
    .kernarg_segment_align: 8
    .kernarg_segment_size: 136
    .language:       OpenCL C
    .language_version:
      - 2
      - 0
    .max_flat_workgroup_size: 64
    .name:           _ZN7rocprim17ROCPRIM_400000_NS6detail17trampoline_kernelINS0_14default_configENS1_27scan_by_key_config_selectorIxxEEZZNS1_16scan_by_key_implILNS1_25lookback_scan_determinismE0ELb0ES3_N6thrust23THRUST_200600_302600_NS6detail15normal_iteratorINS9_10device_ptrIxEEEESE_SE_xNS9_10multipliesIxEENS9_8equal_toIxEExEE10hipError_tPvRmT2_T3_T4_T5_mT6_T7_P12ihipStream_tbENKUlT_T0_E_clISt17integral_constantIbLb1EESZ_EEDaSU_SV_EUlSU_E_NS1_11comp_targetILNS1_3genE4ELNS1_11target_archE910ELNS1_3gpuE8ELNS1_3repE0EEENS1_30default_config_static_selectorELNS0_4arch9wavefront6targetE1EEEvT1_
    .private_segment_fixed_size: 0
    .sgpr_count:     86
    .sgpr_spill_count: 0
    .symbol:         _ZN7rocprim17ROCPRIM_400000_NS6detail17trampoline_kernelINS0_14default_configENS1_27scan_by_key_config_selectorIxxEEZZNS1_16scan_by_key_implILNS1_25lookback_scan_determinismE0ELb0ES3_N6thrust23THRUST_200600_302600_NS6detail15normal_iteratorINS9_10device_ptrIxEEEESE_SE_xNS9_10multipliesIxEENS9_8equal_toIxEExEE10hipError_tPvRmT2_T3_T4_T5_mT6_T7_P12ihipStream_tbENKUlT_T0_E_clISt17integral_constantIbLb1EESZ_EEDaSU_SV_EUlSU_E_NS1_11comp_targetILNS1_3genE4ELNS1_11target_archE910ELNS1_3gpuE8ELNS1_3repE0EEENS1_30default_config_static_selectorELNS0_4arch9wavefront6targetE1EEEvT1_.kd
    .uniform_work_group_size: 1
    .uses_dynamic_stack: false
    .vgpr_count:     128
    .vgpr_spill_count: 0
    .wavefront_size: 64
  - .agpr_count:     0
    .args:
      - .offset:         0
        .size:           136
        .value_kind:     by_value
    .group_segment_fixed_size: 0
    .kernarg_segment_align: 8
    .kernarg_segment_size: 136
    .language:       OpenCL C
    .language_version:
      - 2
      - 0
    .max_flat_workgroup_size: 256
    .name:           _ZN7rocprim17ROCPRIM_400000_NS6detail17trampoline_kernelINS0_14default_configENS1_27scan_by_key_config_selectorIxxEEZZNS1_16scan_by_key_implILNS1_25lookback_scan_determinismE0ELb0ES3_N6thrust23THRUST_200600_302600_NS6detail15normal_iteratorINS9_10device_ptrIxEEEESE_SE_xNS9_10multipliesIxEENS9_8equal_toIxEExEE10hipError_tPvRmT2_T3_T4_T5_mT6_T7_P12ihipStream_tbENKUlT_T0_E_clISt17integral_constantIbLb1EESZ_EEDaSU_SV_EUlSU_E_NS1_11comp_targetILNS1_3genE3ELNS1_11target_archE908ELNS1_3gpuE7ELNS1_3repE0EEENS1_30default_config_static_selectorELNS0_4arch9wavefront6targetE1EEEvT1_
    .private_segment_fixed_size: 0
    .sgpr_count:     4
    .sgpr_spill_count: 0
    .symbol:         _ZN7rocprim17ROCPRIM_400000_NS6detail17trampoline_kernelINS0_14default_configENS1_27scan_by_key_config_selectorIxxEEZZNS1_16scan_by_key_implILNS1_25lookback_scan_determinismE0ELb0ES3_N6thrust23THRUST_200600_302600_NS6detail15normal_iteratorINS9_10device_ptrIxEEEESE_SE_xNS9_10multipliesIxEENS9_8equal_toIxEExEE10hipError_tPvRmT2_T3_T4_T5_mT6_T7_P12ihipStream_tbENKUlT_T0_E_clISt17integral_constantIbLb1EESZ_EEDaSU_SV_EUlSU_E_NS1_11comp_targetILNS1_3genE3ELNS1_11target_archE908ELNS1_3gpuE7ELNS1_3repE0EEENS1_30default_config_static_selectorELNS0_4arch9wavefront6targetE1EEEvT1_.kd
    .uniform_work_group_size: 1
    .uses_dynamic_stack: false
    .vgpr_count:     0
    .vgpr_spill_count: 0
    .wavefront_size: 64
  - .agpr_count:     0
    .args:
      - .offset:         0
        .size:           136
        .value_kind:     by_value
    .group_segment_fixed_size: 0
    .kernarg_segment_align: 8
    .kernarg_segment_size: 136
    .language:       OpenCL C
    .language_version:
      - 2
      - 0
    .max_flat_workgroup_size: 256
    .name:           _ZN7rocprim17ROCPRIM_400000_NS6detail17trampoline_kernelINS0_14default_configENS1_27scan_by_key_config_selectorIxxEEZZNS1_16scan_by_key_implILNS1_25lookback_scan_determinismE0ELb0ES3_N6thrust23THRUST_200600_302600_NS6detail15normal_iteratorINS9_10device_ptrIxEEEESE_SE_xNS9_10multipliesIxEENS9_8equal_toIxEExEE10hipError_tPvRmT2_T3_T4_T5_mT6_T7_P12ihipStream_tbENKUlT_T0_E_clISt17integral_constantIbLb1EESZ_EEDaSU_SV_EUlSU_E_NS1_11comp_targetILNS1_3genE2ELNS1_11target_archE906ELNS1_3gpuE6ELNS1_3repE0EEENS1_30default_config_static_selectorELNS0_4arch9wavefront6targetE1EEEvT1_
    .private_segment_fixed_size: 0
    .sgpr_count:     4
    .sgpr_spill_count: 0
    .symbol:         _ZN7rocprim17ROCPRIM_400000_NS6detail17trampoline_kernelINS0_14default_configENS1_27scan_by_key_config_selectorIxxEEZZNS1_16scan_by_key_implILNS1_25lookback_scan_determinismE0ELb0ES3_N6thrust23THRUST_200600_302600_NS6detail15normal_iteratorINS9_10device_ptrIxEEEESE_SE_xNS9_10multipliesIxEENS9_8equal_toIxEExEE10hipError_tPvRmT2_T3_T4_T5_mT6_T7_P12ihipStream_tbENKUlT_T0_E_clISt17integral_constantIbLb1EESZ_EEDaSU_SV_EUlSU_E_NS1_11comp_targetILNS1_3genE2ELNS1_11target_archE906ELNS1_3gpuE6ELNS1_3repE0EEENS1_30default_config_static_selectorELNS0_4arch9wavefront6targetE1EEEvT1_.kd
    .uniform_work_group_size: 1
    .uses_dynamic_stack: false
    .vgpr_count:     0
    .vgpr_spill_count: 0
    .wavefront_size: 64
  - .agpr_count:     0
    .args:
      - .offset:         0
        .size:           136
        .value_kind:     by_value
    .group_segment_fixed_size: 0
    .kernarg_segment_align: 8
    .kernarg_segment_size: 136
    .language:       OpenCL C
    .language_version:
      - 2
      - 0
    .max_flat_workgroup_size: 256
    .name:           _ZN7rocprim17ROCPRIM_400000_NS6detail17trampoline_kernelINS0_14default_configENS1_27scan_by_key_config_selectorIxxEEZZNS1_16scan_by_key_implILNS1_25lookback_scan_determinismE0ELb0ES3_N6thrust23THRUST_200600_302600_NS6detail15normal_iteratorINS9_10device_ptrIxEEEESE_SE_xNS9_10multipliesIxEENS9_8equal_toIxEExEE10hipError_tPvRmT2_T3_T4_T5_mT6_T7_P12ihipStream_tbENKUlT_T0_E_clISt17integral_constantIbLb1EESZ_EEDaSU_SV_EUlSU_E_NS1_11comp_targetILNS1_3genE10ELNS1_11target_archE1200ELNS1_3gpuE4ELNS1_3repE0EEENS1_30default_config_static_selectorELNS0_4arch9wavefront6targetE1EEEvT1_
    .private_segment_fixed_size: 0
    .sgpr_count:     4
    .sgpr_spill_count: 0
    .symbol:         _ZN7rocprim17ROCPRIM_400000_NS6detail17trampoline_kernelINS0_14default_configENS1_27scan_by_key_config_selectorIxxEEZZNS1_16scan_by_key_implILNS1_25lookback_scan_determinismE0ELb0ES3_N6thrust23THRUST_200600_302600_NS6detail15normal_iteratorINS9_10device_ptrIxEEEESE_SE_xNS9_10multipliesIxEENS9_8equal_toIxEExEE10hipError_tPvRmT2_T3_T4_T5_mT6_T7_P12ihipStream_tbENKUlT_T0_E_clISt17integral_constantIbLb1EESZ_EEDaSU_SV_EUlSU_E_NS1_11comp_targetILNS1_3genE10ELNS1_11target_archE1200ELNS1_3gpuE4ELNS1_3repE0EEENS1_30default_config_static_selectorELNS0_4arch9wavefront6targetE1EEEvT1_.kd
    .uniform_work_group_size: 1
    .uses_dynamic_stack: false
    .vgpr_count:     0
    .vgpr_spill_count: 0
    .wavefront_size: 64
  - .agpr_count:     0
    .args:
      - .offset:         0
        .size:           136
        .value_kind:     by_value
    .group_segment_fixed_size: 0
    .kernarg_segment_align: 8
    .kernarg_segment_size: 136
    .language:       OpenCL C
    .language_version:
      - 2
      - 0
    .max_flat_workgroup_size: 256
    .name:           _ZN7rocprim17ROCPRIM_400000_NS6detail17trampoline_kernelINS0_14default_configENS1_27scan_by_key_config_selectorIxxEEZZNS1_16scan_by_key_implILNS1_25lookback_scan_determinismE0ELb0ES3_N6thrust23THRUST_200600_302600_NS6detail15normal_iteratorINS9_10device_ptrIxEEEESE_SE_xNS9_10multipliesIxEENS9_8equal_toIxEExEE10hipError_tPvRmT2_T3_T4_T5_mT6_T7_P12ihipStream_tbENKUlT_T0_E_clISt17integral_constantIbLb1EESZ_EEDaSU_SV_EUlSU_E_NS1_11comp_targetILNS1_3genE9ELNS1_11target_archE1100ELNS1_3gpuE3ELNS1_3repE0EEENS1_30default_config_static_selectorELNS0_4arch9wavefront6targetE1EEEvT1_
    .private_segment_fixed_size: 0
    .sgpr_count:     4
    .sgpr_spill_count: 0
    .symbol:         _ZN7rocprim17ROCPRIM_400000_NS6detail17trampoline_kernelINS0_14default_configENS1_27scan_by_key_config_selectorIxxEEZZNS1_16scan_by_key_implILNS1_25lookback_scan_determinismE0ELb0ES3_N6thrust23THRUST_200600_302600_NS6detail15normal_iteratorINS9_10device_ptrIxEEEESE_SE_xNS9_10multipliesIxEENS9_8equal_toIxEExEE10hipError_tPvRmT2_T3_T4_T5_mT6_T7_P12ihipStream_tbENKUlT_T0_E_clISt17integral_constantIbLb1EESZ_EEDaSU_SV_EUlSU_E_NS1_11comp_targetILNS1_3genE9ELNS1_11target_archE1100ELNS1_3gpuE3ELNS1_3repE0EEENS1_30default_config_static_selectorELNS0_4arch9wavefront6targetE1EEEvT1_.kd
    .uniform_work_group_size: 1
    .uses_dynamic_stack: false
    .vgpr_count:     0
    .vgpr_spill_count: 0
    .wavefront_size: 64
  - .agpr_count:     0
    .args:
      - .offset:         0
        .size:           136
        .value_kind:     by_value
    .group_segment_fixed_size: 0
    .kernarg_segment_align: 8
    .kernarg_segment_size: 136
    .language:       OpenCL C
    .language_version:
      - 2
      - 0
    .max_flat_workgroup_size: 256
    .name:           _ZN7rocprim17ROCPRIM_400000_NS6detail17trampoline_kernelINS0_14default_configENS1_27scan_by_key_config_selectorIxxEEZZNS1_16scan_by_key_implILNS1_25lookback_scan_determinismE0ELb0ES3_N6thrust23THRUST_200600_302600_NS6detail15normal_iteratorINS9_10device_ptrIxEEEESE_SE_xNS9_10multipliesIxEENS9_8equal_toIxEExEE10hipError_tPvRmT2_T3_T4_T5_mT6_T7_P12ihipStream_tbENKUlT_T0_E_clISt17integral_constantIbLb1EESZ_EEDaSU_SV_EUlSU_E_NS1_11comp_targetILNS1_3genE8ELNS1_11target_archE1030ELNS1_3gpuE2ELNS1_3repE0EEENS1_30default_config_static_selectorELNS0_4arch9wavefront6targetE1EEEvT1_
    .private_segment_fixed_size: 0
    .sgpr_count:     4
    .sgpr_spill_count: 0
    .symbol:         _ZN7rocprim17ROCPRIM_400000_NS6detail17trampoline_kernelINS0_14default_configENS1_27scan_by_key_config_selectorIxxEEZZNS1_16scan_by_key_implILNS1_25lookback_scan_determinismE0ELb0ES3_N6thrust23THRUST_200600_302600_NS6detail15normal_iteratorINS9_10device_ptrIxEEEESE_SE_xNS9_10multipliesIxEENS9_8equal_toIxEExEE10hipError_tPvRmT2_T3_T4_T5_mT6_T7_P12ihipStream_tbENKUlT_T0_E_clISt17integral_constantIbLb1EESZ_EEDaSU_SV_EUlSU_E_NS1_11comp_targetILNS1_3genE8ELNS1_11target_archE1030ELNS1_3gpuE2ELNS1_3repE0EEENS1_30default_config_static_selectorELNS0_4arch9wavefront6targetE1EEEvT1_.kd
    .uniform_work_group_size: 1
    .uses_dynamic_stack: false
    .vgpr_count:     0
    .vgpr_spill_count: 0
    .wavefront_size: 64
  - .agpr_count:     0
    .args:
      - .offset:         0
        .size:           136
        .value_kind:     by_value
    .group_segment_fixed_size: 0
    .kernarg_segment_align: 8
    .kernarg_segment_size: 136
    .language:       OpenCL C
    .language_version:
      - 2
      - 0
    .max_flat_workgroup_size: 256
    .name:           _ZN7rocprim17ROCPRIM_400000_NS6detail17trampoline_kernelINS0_14default_configENS1_27scan_by_key_config_selectorIxxEEZZNS1_16scan_by_key_implILNS1_25lookback_scan_determinismE0ELb0ES3_N6thrust23THRUST_200600_302600_NS6detail15normal_iteratorINS9_10device_ptrIxEEEESE_SE_xNS9_10multipliesIxEENS9_8equal_toIxEExEE10hipError_tPvRmT2_T3_T4_T5_mT6_T7_P12ihipStream_tbENKUlT_T0_E_clISt17integral_constantIbLb1EESY_IbLb0EEEEDaSU_SV_EUlSU_E_NS1_11comp_targetILNS1_3genE0ELNS1_11target_archE4294967295ELNS1_3gpuE0ELNS1_3repE0EEENS1_30default_config_static_selectorELNS0_4arch9wavefront6targetE1EEEvT1_
    .private_segment_fixed_size: 0
    .sgpr_count:     4
    .sgpr_spill_count: 0
    .symbol:         _ZN7rocprim17ROCPRIM_400000_NS6detail17trampoline_kernelINS0_14default_configENS1_27scan_by_key_config_selectorIxxEEZZNS1_16scan_by_key_implILNS1_25lookback_scan_determinismE0ELb0ES3_N6thrust23THRUST_200600_302600_NS6detail15normal_iteratorINS9_10device_ptrIxEEEESE_SE_xNS9_10multipliesIxEENS9_8equal_toIxEExEE10hipError_tPvRmT2_T3_T4_T5_mT6_T7_P12ihipStream_tbENKUlT_T0_E_clISt17integral_constantIbLb1EESY_IbLb0EEEEDaSU_SV_EUlSU_E_NS1_11comp_targetILNS1_3genE0ELNS1_11target_archE4294967295ELNS1_3gpuE0ELNS1_3repE0EEENS1_30default_config_static_selectorELNS0_4arch9wavefront6targetE1EEEvT1_.kd
    .uniform_work_group_size: 1
    .uses_dynamic_stack: false
    .vgpr_count:     0
    .vgpr_spill_count: 0
    .wavefront_size: 64
  - .agpr_count:     0
    .args:
      - .offset:         0
        .size:           136
        .value_kind:     by_value
    .group_segment_fixed_size: 0
    .kernarg_segment_align: 8
    .kernarg_segment_size: 136
    .language:       OpenCL C
    .language_version:
      - 2
      - 0
    .max_flat_workgroup_size: 256
    .name:           _ZN7rocprim17ROCPRIM_400000_NS6detail17trampoline_kernelINS0_14default_configENS1_27scan_by_key_config_selectorIxxEEZZNS1_16scan_by_key_implILNS1_25lookback_scan_determinismE0ELb0ES3_N6thrust23THRUST_200600_302600_NS6detail15normal_iteratorINS9_10device_ptrIxEEEESE_SE_xNS9_10multipliesIxEENS9_8equal_toIxEExEE10hipError_tPvRmT2_T3_T4_T5_mT6_T7_P12ihipStream_tbENKUlT_T0_E_clISt17integral_constantIbLb1EESY_IbLb0EEEEDaSU_SV_EUlSU_E_NS1_11comp_targetILNS1_3genE10ELNS1_11target_archE1201ELNS1_3gpuE5ELNS1_3repE0EEENS1_30default_config_static_selectorELNS0_4arch9wavefront6targetE1EEEvT1_
    .private_segment_fixed_size: 0
    .sgpr_count:     4
    .sgpr_spill_count: 0
    .symbol:         _ZN7rocprim17ROCPRIM_400000_NS6detail17trampoline_kernelINS0_14default_configENS1_27scan_by_key_config_selectorIxxEEZZNS1_16scan_by_key_implILNS1_25lookback_scan_determinismE0ELb0ES3_N6thrust23THRUST_200600_302600_NS6detail15normal_iteratorINS9_10device_ptrIxEEEESE_SE_xNS9_10multipliesIxEENS9_8equal_toIxEExEE10hipError_tPvRmT2_T3_T4_T5_mT6_T7_P12ihipStream_tbENKUlT_T0_E_clISt17integral_constantIbLb1EESY_IbLb0EEEEDaSU_SV_EUlSU_E_NS1_11comp_targetILNS1_3genE10ELNS1_11target_archE1201ELNS1_3gpuE5ELNS1_3repE0EEENS1_30default_config_static_selectorELNS0_4arch9wavefront6targetE1EEEvT1_.kd
    .uniform_work_group_size: 1
    .uses_dynamic_stack: false
    .vgpr_count:     0
    .vgpr_spill_count: 0
    .wavefront_size: 64
  - .agpr_count:     0
    .args:
      - .offset:         0
        .size:           136
        .value_kind:     by_value
    .group_segment_fixed_size: 0
    .kernarg_segment_align: 8
    .kernarg_segment_size: 136
    .language:       OpenCL C
    .language_version:
      - 2
      - 0
    .max_flat_workgroup_size: 256
    .name:           _ZN7rocprim17ROCPRIM_400000_NS6detail17trampoline_kernelINS0_14default_configENS1_27scan_by_key_config_selectorIxxEEZZNS1_16scan_by_key_implILNS1_25lookback_scan_determinismE0ELb0ES3_N6thrust23THRUST_200600_302600_NS6detail15normal_iteratorINS9_10device_ptrIxEEEESE_SE_xNS9_10multipliesIxEENS9_8equal_toIxEExEE10hipError_tPvRmT2_T3_T4_T5_mT6_T7_P12ihipStream_tbENKUlT_T0_E_clISt17integral_constantIbLb1EESY_IbLb0EEEEDaSU_SV_EUlSU_E_NS1_11comp_targetILNS1_3genE5ELNS1_11target_archE942ELNS1_3gpuE9ELNS1_3repE0EEENS1_30default_config_static_selectorELNS0_4arch9wavefront6targetE1EEEvT1_
    .private_segment_fixed_size: 0
    .sgpr_count:     4
    .sgpr_spill_count: 0
    .symbol:         _ZN7rocprim17ROCPRIM_400000_NS6detail17trampoline_kernelINS0_14default_configENS1_27scan_by_key_config_selectorIxxEEZZNS1_16scan_by_key_implILNS1_25lookback_scan_determinismE0ELb0ES3_N6thrust23THRUST_200600_302600_NS6detail15normal_iteratorINS9_10device_ptrIxEEEESE_SE_xNS9_10multipliesIxEENS9_8equal_toIxEExEE10hipError_tPvRmT2_T3_T4_T5_mT6_T7_P12ihipStream_tbENKUlT_T0_E_clISt17integral_constantIbLb1EESY_IbLb0EEEEDaSU_SV_EUlSU_E_NS1_11comp_targetILNS1_3genE5ELNS1_11target_archE942ELNS1_3gpuE9ELNS1_3repE0EEENS1_30default_config_static_selectorELNS0_4arch9wavefront6targetE1EEEvT1_.kd
    .uniform_work_group_size: 1
    .uses_dynamic_stack: false
    .vgpr_count:     0
    .vgpr_spill_count: 0
    .wavefront_size: 64
  - .agpr_count:     0
    .args:
      - .offset:         0
        .size:           136
        .value_kind:     by_value
    .group_segment_fixed_size: 10752
    .kernarg_segment_align: 8
    .kernarg_segment_size: 136
    .language:       OpenCL C
    .language_version:
      - 2
      - 0
    .max_flat_workgroup_size: 64
    .name:           _ZN7rocprim17ROCPRIM_400000_NS6detail17trampoline_kernelINS0_14default_configENS1_27scan_by_key_config_selectorIxxEEZZNS1_16scan_by_key_implILNS1_25lookback_scan_determinismE0ELb0ES3_N6thrust23THRUST_200600_302600_NS6detail15normal_iteratorINS9_10device_ptrIxEEEESE_SE_xNS9_10multipliesIxEENS9_8equal_toIxEExEE10hipError_tPvRmT2_T3_T4_T5_mT6_T7_P12ihipStream_tbENKUlT_T0_E_clISt17integral_constantIbLb1EESY_IbLb0EEEEDaSU_SV_EUlSU_E_NS1_11comp_targetILNS1_3genE4ELNS1_11target_archE910ELNS1_3gpuE8ELNS1_3repE0EEENS1_30default_config_static_selectorELNS0_4arch9wavefront6targetE1EEEvT1_
    .private_segment_fixed_size: 0
    .sgpr_count:     82
    .sgpr_spill_count: 0
    .symbol:         _ZN7rocprim17ROCPRIM_400000_NS6detail17trampoline_kernelINS0_14default_configENS1_27scan_by_key_config_selectorIxxEEZZNS1_16scan_by_key_implILNS1_25lookback_scan_determinismE0ELb0ES3_N6thrust23THRUST_200600_302600_NS6detail15normal_iteratorINS9_10device_ptrIxEEEESE_SE_xNS9_10multipliesIxEENS9_8equal_toIxEExEE10hipError_tPvRmT2_T3_T4_T5_mT6_T7_P12ihipStream_tbENKUlT_T0_E_clISt17integral_constantIbLb1EESY_IbLb0EEEEDaSU_SV_EUlSU_E_NS1_11comp_targetILNS1_3genE4ELNS1_11target_archE910ELNS1_3gpuE8ELNS1_3repE0EEENS1_30default_config_static_selectorELNS0_4arch9wavefront6targetE1EEEvT1_.kd
    .uniform_work_group_size: 1
    .uses_dynamic_stack: false
    .vgpr_count:     128
    .vgpr_spill_count: 0
    .wavefront_size: 64
  - .agpr_count:     0
    .args:
      - .offset:         0
        .size:           136
        .value_kind:     by_value
    .group_segment_fixed_size: 0
    .kernarg_segment_align: 8
    .kernarg_segment_size: 136
    .language:       OpenCL C
    .language_version:
      - 2
      - 0
    .max_flat_workgroup_size: 256
    .name:           _ZN7rocprim17ROCPRIM_400000_NS6detail17trampoline_kernelINS0_14default_configENS1_27scan_by_key_config_selectorIxxEEZZNS1_16scan_by_key_implILNS1_25lookback_scan_determinismE0ELb0ES3_N6thrust23THRUST_200600_302600_NS6detail15normal_iteratorINS9_10device_ptrIxEEEESE_SE_xNS9_10multipliesIxEENS9_8equal_toIxEExEE10hipError_tPvRmT2_T3_T4_T5_mT6_T7_P12ihipStream_tbENKUlT_T0_E_clISt17integral_constantIbLb1EESY_IbLb0EEEEDaSU_SV_EUlSU_E_NS1_11comp_targetILNS1_3genE3ELNS1_11target_archE908ELNS1_3gpuE7ELNS1_3repE0EEENS1_30default_config_static_selectorELNS0_4arch9wavefront6targetE1EEEvT1_
    .private_segment_fixed_size: 0
    .sgpr_count:     4
    .sgpr_spill_count: 0
    .symbol:         _ZN7rocprim17ROCPRIM_400000_NS6detail17trampoline_kernelINS0_14default_configENS1_27scan_by_key_config_selectorIxxEEZZNS1_16scan_by_key_implILNS1_25lookback_scan_determinismE0ELb0ES3_N6thrust23THRUST_200600_302600_NS6detail15normal_iteratorINS9_10device_ptrIxEEEESE_SE_xNS9_10multipliesIxEENS9_8equal_toIxEExEE10hipError_tPvRmT2_T3_T4_T5_mT6_T7_P12ihipStream_tbENKUlT_T0_E_clISt17integral_constantIbLb1EESY_IbLb0EEEEDaSU_SV_EUlSU_E_NS1_11comp_targetILNS1_3genE3ELNS1_11target_archE908ELNS1_3gpuE7ELNS1_3repE0EEENS1_30default_config_static_selectorELNS0_4arch9wavefront6targetE1EEEvT1_.kd
    .uniform_work_group_size: 1
    .uses_dynamic_stack: false
    .vgpr_count:     0
    .vgpr_spill_count: 0
    .wavefront_size: 64
  - .agpr_count:     0
    .args:
      - .offset:         0
        .size:           136
        .value_kind:     by_value
    .group_segment_fixed_size: 0
    .kernarg_segment_align: 8
    .kernarg_segment_size: 136
    .language:       OpenCL C
    .language_version:
      - 2
      - 0
    .max_flat_workgroup_size: 256
    .name:           _ZN7rocprim17ROCPRIM_400000_NS6detail17trampoline_kernelINS0_14default_configENS1_27scan_by_key_config_selectorIxxEEZZNS1_16scan_by_key_implILNS1_25lookback_scan_determinismE0ELb0ES3_N6thrust23THRUST_200600_302600_NS6detail15normal_iteratorINS9_10device_ptrIxEEEESE_SE_xNS9_10multipliesIxEENS9_8equal_toIxEExEE10hipError_tPvRmT2_T3_T4_T5_mT6_T7_P12ihipStream_tbENKUlT_T0_E_clISt17integral_constantIbLb1EESY_IbLb0EEEEDaSU_SV_EUlSU_E_NS1_11comp_targetILNS1_3genE2ELNS1_11target_archE906ELNS1_3gpuE6ELNS1_3repE0EEENS1_30default_config_static_selectorELNS0_4arch9wavefront6targetE1EEEvT1_
    .private_segment_fixed_size: 0
    .sgpr_count:     4
    .sgpr_spill_count: 0
    .symbol:         _ZN7rocprim17ROCPRIM_400000_NS6detail17trampoline_kernelINS0_14default_configENS1_27scan_by_key_config_selectorIxxEEZZNS1_16scan_by_key_implILNS1_25lookback_scan_determinismE0ELb0ES3_N6thrust23THRUST_200600_302600_NS6detail15normal_iteratorINS9_10device_ptrIxEEEESE_SE_xNS9_10multipliesIxEENS9_8equal_toIxEExEE10hipError_tPvRmT2_T3_T4_T5_mT6_T7_P12ihipStream_tbENKUlT_T0_E_clISt17integral_constantIbLb1EESY_IbLb0EEEEDaSU_SV_EUlSU_E_NS1_11comp_targetILNS1_3genE2ELNS1_11target_archE906ELNS1_3gpuE6ELNS1_3repE0EEENS1_30default_config_static_selectorELNS0_4arch9wavefront6targetE1EEEvT1_.kd
    .uniform_work_group_size: 1
    .uses_dynamic_stack: false
    .vgpr_count:     0
    .vgpr_spill_count: 0
    .wavefront_size: 64
  - .agpr_count:     0
    .args:
      - .offset:         0
        .size:           136
        .value_kind:     by_value
    .group_segment_fixed_size: 0
    .kernarg_segment_align: 8
    .kernarg_segment_size: 136
    .language:       OpenCL C
    .language_version:
      - 2
      - 0
    .max_flat_workgroup_size: 256
    .name:           _ZN7rocprim17ROCPRIM_400000_NS6detail17trampoline_kernelINS0_14default_configENS1_27scan_by_key_config_selectorIxxEEZZNS1_16scan_by_key_implILNS1_25lookback_scan_determinismE0ELb0ES3_N6thrust23THRUST_200600_302600_NS6detail15normal_iteratorINS9_10device_ptrIxEEEESE_SE_xNS9_10multipliesIxEENS9_8equal_toIxEExEE10hipError_tPvRmT2_T3_T4_T5_mT6_T7_P12ihipStream_tbENKUlT_T0_E_clISt17integral_constantIbLb1EESY_IbLb0EEEEDaSU_SV_EUlSU_E_NS1_11comp_targetILNS1_3genE10ELNS1_11target_archE1200ELNS1_3gpuE4ELNS1_3repE0EEENS1_30default_config_static_selectorELNS0_4arch9wavefront6targetE1EEEvT1_
    .private_segment_fixed_size: 0
    .sgpr_count:     4
    .sgpr_spill_count: 0
    .symbol:         _ZN7rocprim17ROCPRIM_400000_NS6detail17trampoline_kernelINS0_14default_configENS1_27scan_by_key_config_selectorIxxEEZZNS1_16scan_by_key_implILNS1_25lookback_scan_determinismE0ELb0ES3_N6thrust23THRUST_200600_302600_NS6detail15normal_iteratorINS9_10device_ptrIxEEEESE_SE_xNS9_10multipliesIxEENS9_8equal_toIxEExEE10hipError_tPvRmT2_T3_T4_T5_mT6_T7_P12ihipStream_tbENKUlT_T0_E_clISt17integral_constantIbLb1EESY_IbLb0EEEEDaSU_SV_EUlSU_E_NS1_11comp_targetILNS1_3genE10ELNS1_11target_archE1200ELNS1_3gpuE4ELNS1_3repE0EEENS1_30default_config_static_selectorELNS0_4arch9wavefront6targetE1EEEvT1_.kd
    .uniform_work_group_size: 1
    .uses_dynamic_stack: false
    .vgpr_count:     0
    .vgpr_spill_count: 0
    .wavefront_size: 64
  - .agpr_count:     0
    .args:
      - .offset:         0
        .size:           136
        .value_kind:     by_value
    .group_segment_fixed_size: 0
    .kernarg_segment_align: 8
    .kernarg_segment_size: 136
    .language:       OpenCL C
    .language_version:
      - 2
      - 0
    .max_flat_workgroup_size: 256
    .name:           _ZN7rocprim17ROCPRIM_400000_NS6detail17trampoline_kernelINS0_14default_configENS1_27scan_by_key_config_selectorIxxEEZZNS1_16scan_by_key_implILNS1_25lookback_scan_determinismE0ELb0ES3_N6thrust23THRUST_200600_302600_NS6detail15normal_iteratorINS9_10device_ptrIxEEEESE_SE_xNS9_10multipliesIxEENS9_8equal_toIxEExEE10hipError_tPvRmT2_T3_T4_T5_mT6_T7_P12ihipStream_tbENKUlT_T0_E_clISt17integral_constantIbLb1EESY_IbLb0EEEEDaSU_SV_EUlSU_E_NS1_11comp_targetILNS1_3genE9ELNS1_11target_archE1100ELNS1_3gpuE3ELNS1_3repE0EEENS1_30default_config_static_selectorELNS0_4arch9wavefront6targetE1EEEvT1_
    .private_segment_fixed_size: 0
    .sgpr_count:     4
    .sgpr_spill_count: 0
    .symbol:         _ZN7rocprim17ROCPRIM_400000_NS6detail17trampoline_kernelINS0_14default_configENS1_27scan_by_key_config_selectorIxxEEZZNS1_16scan_by_key_implILNS1_25lookback_scan_determinismE0ELb0ES3_N6thrust23THRUST_200600_302600_NS6detail15normal_iteratorINS9_10device_ptrIxEEEESE_SE_xNS9_10multipliesIxEENS9_8equal_toIxEExEE10hipError_tPvRmT2_T3_T4_T5_mT6_T7_P12ihipStream_tbENKUlT_T0_E_clISt17integral_constantIbLb1EESY_IbLb0EEEEDaSU_SV_EUlSU_E_NS1_11comp_targetILNS1_3genE9ELNS1_11target_archE1100ELNS1_3gpuE3ELNS1_3repE0EEENS1_30default_config_static_selectorELNS0_4arch9wavefront6targetE1EEEvT1_.kd
    .uniform_work_group_size: 1
    .uses_dynamic_stack: false
    .vgpr_count:     0
    .vgpr_spill_count: 0
    .wavefront_size: 64
  - .agpr_count:     0
    .args:
      - .offset:         0
        .size:           136
        .value_kind:     by_value
    .group_segment_fixed_size: 0
    .kernarg_segment_align: 8
    .kernarg_segment_size: 136
    .language:       OpenCL C
    .language_version:
      - 2
      - 0
    .max_flat_workgroup_size: 256
    .name:           _ZN7rocprim17ROCPRIM_400000_NS6detail17trampoline_kernelINS0_14default_configENS1_27scan_by_key_config_selectorIxxEEZZNS1_16scan_by_key_implILNS1_25lookback_scan_determinismE0ELb0ES3_N6thrust23THRUST_200600_302600_NS6detail15normal_iteratorINS9_10device_ptrIxEEEESE_SE_xNS9_10multipliesIxEENS9_8equal_toIxEExEE10hipError_tPvRmT2_T3_T4_T5_mT6_T7_P12ihipStream_tbENKUlT_T0_E_clISt17integral_constantIbLb1EESY_IbLb0EEEEDaSU_SV_EUlSU_E_NS1_11comp_targetILNS1_3genE8ELNS1_11target_archE1030ELNS1_3gpuE2ELNS1_3repE0EEENS1_30default_config_static_selectorELNS0_4arch9wavefront6targetE1EEEvT1_
    .private_segment_fixed_size: 0
    .sgpr_count:     4
    .sgpr_spill_count: 0
    .symbol:         _ZN7rocprim17ROCPRIM_400000_NS6detail17trampoline_kernelINS0_14default_configENS1_27scan_by_key_config_selectorIxxEEZZNS1_16scan_by_key_implILNS1_25lookback_scan_determinismE0ELb0ES3_N6thrust23THRUST_200600_302600_NS6detail15normal_iteratorINS9_10device_ptrIxEEEESE_SE_xNS9_10multipliesIxEENS9_8equal_toIxEExEE10hipError_tPvRmT2_T3_T4_T5_mT6_T7_P12ihipStream_tbENKUlT_T0_E_clISt17integral_constantIbLb1EESY_IbLb0EEEEDaSU_SV_EUlSU_E_NS1_11comp_targetILNS1_3genE8ELNS1_11target_archE1030ELNS1_3gpuE2ELNS1_3repE0EEENS1_30default_config_static_selectorELNS0_4arch9wavefront6targetE1EEEvT1_.kd
    .uniform_work_group_size: 1
    .uses_dynamic_stack: false
    .vgpr_count:     0
    .vgpr_spill_count: 0
    .wavefront_size: 64
  - .agpr_count:     0
    .args:
      - .offset:         0
        .size:           136
        .value_kind:     by_value
    .group_segment_fixed_size: 0
    .kernarg_segment_align: 8
    .kernarg_segment_size: 136
    .language:       OpenCL C
    .language_version:
      - 2
      - 0
    .max_flat_workgroup_size: 256
    .name:           _ZN7rocprim17ROCPRIM_400000_NS6detail17trampoline_kernelINS0_14default_configENS1_27scan_by_key_config_selectorIxxEEZZNS1_16scan_by_key_implILNS1_25lookback_scan_determinismE0ELb0ES3_N6thrust23THRUST_200600_302600_NS6detail15normal_iteratorINS9_10device_ptrIxEEEESE_SE_xNS9_10multipliesIxEENS9_8equal_toIxEExEE10hipError_tPvRmT2_T3_T4_T5_mT6_T7_P12ihipStream_tbENKUlT_T0_E_clISt17integral_constantIbLb0EESY_IbLb1EEEEDaSU_SV_EUlSU_E_NS1_11comp_targetILNS1_3genE0ELNS1_11target_archE4294967295ELNS1_3gpuE0ELNS1_3repE0EEENS1_30default_config_static_selectorELNS0_4arch9wavefront6targetE1EEEvT1_
    .private_segment_fixed_size: 0
    .sgpr_count:     4
    .sgpr_spill_count: 0
    .symbol:         _ZN7rocprim17ROCPRIM_400000_NS6detail17trampoline_kernelINS0_14default_configENS1_27scan_by_key_config_selectorIxxEEZZNS1_16scan_by_key_implILNS1_25lookback_scan_determinismE0ELb0ES3_N6thrust23THRUST_200600_302600_NS6detail15normal_iteratorINS9_10device_ptrIxEEEESE_SE_xNS9_10multipliesIxEENS9_8equal_toIxEExEE10hipError_tPvRmT2_T3_T4_T5_mT6_T7_P12ihipStream_tbENKUlT_T0_E_clISt17integral_constantIbLb0EESY_IbLb1EEEEDaSU_SV_EUlSU_E_NS1_11comp_targetILNS1_3genE0ELNS1_11target_archE4294967295ELNS1_3gpuE0ELNS1_3repE0EEENS1_30default_config_static_selectorELNS0_4arch9wavefront6targetE1EEEvT1_.kd
    .uniform_work_group_size: 1
    .uses_dynamic_stack: false
    .vgpr_count:     0
    .vgpr_spill_count: 0
    .wavefront_size: 64
  - .agpr_count:     0
    .args:
      - .offset:         0
        .size:           136
        .value_kind:     by_value
    .group_segment_fixed_size: 0
    .kernarg_segment_align: 8
    .kernarg_segment_size: 136
    .language:       OpenCL C
    .language_version:
      - 2
      - 0
    .max_flat_workgroup_size: 256
    .name:           _ZN7rocprim17ROCPRIM_400000_NS6detail17trampoline_kernelINS0_14default_configENS1_27scan_by_key_config_selectorIxxEEZZNS1_16scan_by_key_implILNS1_25lookback_scan_determinismE0ELb0ES3_N6thrust23THRUST_200600_302600_NS6detail15normal_iteratorINS9_10device_ptrIxEEEESE_SE_xNS9_10multipliesIxEENS9_8equal_toIxEExEE10hipError_tPvRmT2_T3_T4_T5_mT6_T7_P12ihipStream_tbENKUlT_T0_E_clISt17integral_constantIbLb0EESY_IbLb1EEEEDaSU_SV_EUlSU_E_NS1_11comp_targetILNS1_3genE10ELNS1_11target_archE1201ELNS1_3gpuE5ELNS1_3repE0EEENS1_30default_config_static_selectorELNS0_4arch9wavefront6targetE1EEEvT1_
    .private_segment_fixed_size: 0
    .sgpr_count:     4
    .sgpr_spill_count: 0
    .symbol:         _ZN7rocprim17ROCPRIM_400000_NS6detail17trampoline_kernelINS0_14default_configENS1_27scan_by_key_config_selectorIxxEEZZNS1_16scan_by_key_implILNS1_25lookback_scan_determinismE0ELb0ES3_N6thrust23THRUST_200600_302600_NS6detail15normal_iteratorINS9_10device_ptrIxEEEESE_SE_xNS9_10multipliesIxEENS9_8equal_toIxEExEE10hipError_tPvRmT2_T3_T4_T5_mT6_T7_P12ihipStream_tbENKUlT_T0_E_clISt17integral_constantIbLb0EESY_IbLb1EEEEDaSU_SV_EUlSU_E_NS1_11comp_targetILNS1_3genE10ELNS1_11target_archE1201ELNS1_3gpuE5ELNS1_3repE0EEENS1_30default_config_static_selectorELNS0_4arch9wavefront6targetE1EEEvT1_.kd
    .uniform_work_group_size: 1
    .uses_dynamic_stack: false
    .vgpr_count:     0
    .vgpr_spill_count: 0
    .wavefront_size: 64
  - .agpr_count:     0
    .args:
      - .offset:         0
        .size:           136
        .value_kind:     by_value
    .group_segment_fixed_size: 0
    .kernarg_segment_align: 8
    .kernarg_segment_size: 136
    .language:       OpenCL C
    .language_version:
      - 2
      - 0
    .max_flat_workgroup_size: 256
    .name:           _ZN7rocprim17ROCPRIM_400000_NS6detail17trampoline_kernelINS0_14default_configENS1_27scan_by_key_config_selectorIxxEEZZNS1_16scan_by_key_implILNS1_25lookback_scan_determinismE0ELb0ES3_N6thrust23THRUST_200600_302600_NS6detail15normal_iteratorINS9_10device_ptrIxEEEESE_SE_xNS9_10multipliesIxEENS9_8equal_toIxEExEE10hipError_tPvRmT2_T3_T4_T5_mT6_T7_P12ihipStream_tbENKUlT_T0_E_clISt17integral_constantIbLb0EESY_IbLb1EEEEDaSU_SV_EUlSU_E_NS1_11comp_targetILNS1_3genE5ELNS1_11target_archE942ELNS1_3gpuE9ELNS1_3repE0EEENS1_30default_config_static_selectorELNS0_4arch9wavefront6targetE1EEEvT1_
    .private_segment_fixed_size: 0
    .sgpr_count:     4
    .sgpr_spill_count: 0
    .symbol:         _ZN7rocprim17ROCPRIM_400000_NS6detail17trampoline_kernelINS0_14default_configENS1_27scan_by_key_config_selectorIxxEEZZNS1_16scan_by_key_implILNS1_25lookback_scan_determinismE0ELb0ES3_N6thrust23THRUST_200600_302600_NS6detail15normal_iteratorINS9_10device_ptrIxEEEESE_SE_xNS9_10multipliesIxEENS9_8equal_toIxEExEE10hipError_tPvRmT2_T3_T4_T5_mT6_T7_P12ihipStream_tbENKUlT_T0_E_clISt17integral_constantIbLb0EESY_IbLb1EEEEDaSU_SV_EUlSU_E_NS1_11comp_targetILNS1_3genE5ELNS1_11target_archE942ELNS1_3gpuE9ELNS1_3repE0EEENS1_30default_config_static_selectorELNS0_4arch9wavefront6targetE1EEEvT1_.kd
    .uniform_work_group_size: 1
    .uses_dynamic_stack: false
    .vgpr_count:     0
    .vgpr_spill_count: 0
    .wavefront_size: 64
  - .agpr_count:     0
    .args:
      - .offset:         0
        .size:           136
        .value_kind:     by_value
    .group_segment_fixed_size: 10752
    .kernarg_segment_align: 8
    .kernarg_segment_size: 136
    .language:       OpenCL C
    .language_version:
      - 2
      - 0
    .max_flat_workgroup_size: 64
    .name:           _ZN7rocprim17ROCPRIM_400000_NS6detail17trampoline_kernelINS0_14default_configENS1_27scan_by_key_config_selectorIxxEEZZNS1_16scan_by_key_implILNS1_25lookback_scan_determinismE0ELb0ES3_N6thrust23THRUST_200600_302600_NS6detail15normal_iteratorINS9_10device_ptrIxEEEESE_SE_xNS9_10multipliesIxEENS9_8equal_toIxEExEE10hipError_tPvRmT2_T3_T4_T5_mT6_T7_P12ihipStream_tbENKUlT_T0_E_clISt17integral_constantIbLb0EESY_IbLb1EEEEDaSU_SV_EUlSU_E_NS1_11comp_targetILNS1_3genE4ELNS1_11target_archE910ELNS1_3gpuE8ELNS1_3repE0EEENS1_30default_config_static_selectorELNS0_4arch9wavefront6targetE1EEEvT1_
    .private_segment_fixed_size: 0
    .sgpr_count:     86
    .sgpr_spill_count: 0
    .symbol:         _ZN7rocprim17ROCPRIM_400000_NS6detail17trampoline_kernelINS0_14default_configENS1_27scan_by_key_config_selectorIxxEEZZNS1_16scan_by_key_implILNS1_25lookback_scan_determinismE0ELb0ES3_N6thrust23THRUST_200600_302600_NS6detail15normal_iteratorINS9_10device_ptrIxEEEESE_SE_xNS9_10multipliesIxEENS9_8equal_toIxEExEE10hipError_tPvRmT2_T3_T4_T5_mT6_T7_P12ihipStream_tbENKUlT_T0_E_clISt17integral_constantIbLb0EESY_IbLb1EEEEDaSU_SV_EUlSU_E_NS1_11comp_targetILNS1_3genE4ELNS1_11target_archE910ELNS1_3gpuE8ELNS1_3repE0EEENS1_30default_config_static_selectorELNS0_4arch9wavefront6targetE1EEEvT1_.kd
    .uniform_work_group_size: 1
    .uses_dynamic_stack: false
    .vgpr_count:     128
    .vgpr_spill_count: 0
    .wavefront_size: 64
  - .agpr_count:     0
    .args:
      - .offset:         0
        .size:           136
        .value_kind:     by_value
    .group_segment_fixed_size: 0
    .kernarg_segment_align: 8
    .kernarg_segment_size: 136
    .language:       OpenCL C
    .language_version:
      - 2
      - 0
    .max_flat_workgroup_size: 256
    .name:           _ZN7rocprim17ROCPRIM_400000_NS6detail17trampoline_kernelINS0_14default_configENS1_27scan_by_key_config_selectorIxxEEZZNS1_16scan_by_key_implILNS1_25lookback_scan_determinismE0ELb0ES3_N6thrust23THRUST_200600_302600_NS6detail15normal_iteratorINS9_10device_ptrIxEEEESE_SE_xNS9_10multipliesIxEENS9_8equal_toIxEExEE10hipError_tPvRmT2_T3_T4_T5_mT6_T7_P12ihipStream_tbENKUlT_T0_E_clISt17integral_constantIbLb0EESY_IbLb1EEEEDaSU_SV_EUlSU_E_NS1_11comp_targetILNS1_3genE3ELNS1_11target_archE908ELNS1_3gpuE7ELNS1_3repE0EEENS1_30default_config_static_selectorELNS0_4arch9wavefront6targetE1EEEvT1_
    .private_segment_fixed_size: 0
    .sgpr_count:     4
    .sgpr_spill_count: 0
    .symbol:         _ZN7rocprim17ROCPRIM_400000_NS6detail17trampoline_kernelINS0_14default_configENS1_27scan_by_key_config_selectorIxxEEZZNS1_16scan_by_key_implILNS1_25lookback_scan_determinismE0ELb0ES3_N6thrust23THRUST_200600_302600_NS6detail15normal_iteratorINS9_10device_ptrIxEEEESE_SE_xNS9_10multipliesIxEENS9_8equal_toIxEExEE10hipError_tPvRmT2_T3_T4_T5_mT6_T7_P12ihipStream_tbENKUlT_T0_E_clISt17integral_constantIbLb0EESY_IbLb1EEEEDaSU_SV_EUlSU_E_NS1_11comp_targetILNS1_3genE3ELNS1_11target_archE908ELNS1_3gpuE7ELNS1_3repE0EEENS1_30default_config_static_selectorELNS0_4arch9wavefront6targetE1EEEvT1_.kd
    .uniform_work_group_size: 1
    .uses_dynamic_stack: false
    .vgpr_count:     0
    .vgpr_spill_count: 0
    .wavefront_size: 64
  - .agpr_count:     0
    .args:
      - .offset:         0
        .size:           136
        .value_kind:     by_value
    .group_segment_fixed_size: 0
    .kernarg_segment_align: 8
    .kernarg_segment_size: 136
    .language:       OpenCL C
    .language_version:
      - 2
      - 0
    .max_flat_workgroup_size: 256
    .name:           _ZN7rocprim17ROCPRIM_400000_NS6detail17trampoline_kernelINS0_14default_configENS1_27scan_by_key_config_selectorIxxEEZZNS1_16scan_by_key_implILNS1_25lookback_scan_determinismE0ELb0ES3_N6thrust23THRUST_200600_302600_NS6detail15normal_iteratorINS9_10device_ptrIxEEEESE_SE_xNS9_10multipliesIxEENS9_8equal_toIxEExEE10hipError_tPvRmT2_T3_T4_T5_mT6_T7_P12ihipStream_tbENKUlT_T0_E_clISt17integral_constantIbLb0EESY_IbLb1EEEEDaSU_SV_EUlSU_E_NS1_11comp_targetILNS1_3genE2ELNS1_11target_archE906ELNS1_3gpuE6ELNS1_3repE0EEENS1_30default_config_static_selectorELNS0_4arch9wavefront6targetE1EEEvT1_
    .private_segment_fixed_size: 0
    .sgpr_count:     4
    .sgpr_spill_count: 0
    .symbol:         _ZN7rocprim17ROCPRIM_400000_NS6detail17trampoline_kernelINS0_14default_configENS1_27scan_by_key_config_selectorIxxEEZZNS1_16scan_by_key_implILNS1_25lookback_scan_determinismE0ELb0ES3_N6thrust23THRUST_200600_302600_NS6detail15normal_iteratorINS9_10device_ptrIxEEEESE_SE_xNS9_10multipliesIxEENS9_8equal_toIxEExEE10hipError_tPvRmT2_T3_T4_T5_mT6_T7_P12ihipStream_tbENKUlT_T0_E_clISt17integral_constantIbLb0EESY_IbLb1EEEEDaSU_SV_EUlSU_E_NS1_11comp_targetILNS1_3genE2ELNS1_11target_archE906ELNS1_3gpuE6ELNS1_3repE0EEENS1_30default_config_static_selectorELNS0_4arch9wavefront6targetE1EEEvT1_.kd
    .uniform_work_group_size: 1
    .uses_dynamic_stack: false
    .vgpr_count:     0
    .vgpr_spill_count: 0
    .wavefront_size: 64
  - .agpr_count:     0
    .args:
      - .offset:         0
        .size:           136
        .value_kind:     by_value
    .group_segment_fixed_size: 0
    .kernarg_segment_align: 8
    .kernarg_segment_size: 136
    .language:       OpenCL C
    .language_version:
      - 2
      - 0
    .max_flat_workgroup_size: 256
    .name:           _ZN7rocprim17ROCPRIM_400000_NS6detail17trampoline_kernelINS0_14default_configENS1_27scan_by_key_config_selectorIxxEEZZNS1_16scan_by_key_implILNS1_25lookback_scan_determinismE0ELb0ES3_N6thrust23THRUST_200600_302600_NS6detail15normal_iteratorINS9_10device_ptrIxEEEESE_SE_xNS9_10multipliesIxEENS9_8equal_toIxEExEE10hipError_tPvRmT2_T3_T4_T5_mT6_T7_P12ihipStream_tbENKUlT_T0_E_clISt17integral_constantIbLb0EESY_IbLb1EEEEDaSU_SV_EUlSU_E_NS1_11comp_targetILNS1_3genE10ELNS1_11target_archE1200ELNS1_3gpuE4ELNS1_3repE0EEENS1_30default_config_static_selectorELNS0_4arch9wavefront6targetE1EEEvT1_
    .private_segment_fixed_size: 0
    .sgpr_count:     4
    .sgpr_spill_count: 0
    .symbol:         _ZN7rocprim17ROCPRIM_400000_NS6detail17trampoline_kernelINS0_14default_configENS1_27scan_by_key_config_selectorIxxEEZZNS1_16scan_by_key_implILNS1_25lookback_scan_determinismE0ELb0ES3_N6thrust23THRUST_200600_302600_NS6detail15normal_iteratorINS9_10device_ptrIxEEEESE_SE_xNS9_10multipliesIxEENS9_8equal_toIxEExEE10hipError_tPvRmT2_T3_T4_T5_mT6_T7_P12ihipStream_tbENKUlT_T0_E_clISt17integral_constantIbLb0EESY_IbLb1EEEEDaSU_SV_EUlSU_E_NS1_11comp_targetILNS1_3genE10ELNS1_11target_archE1200ELNS1_3gpuE4ELNS1_3repE0EEENS1_30default_config_static_selectorELNS0_4arch9wavefront6targetE1EEEvT1_.kd
    .uniform_work_group_size: 1
    .uses_dynamic_stack: false
    .vgpr_count:     0
    .vgpr_spill_count: 0
    .wavefront_size: 64
  - .agpr_count:     0
    .args:
      - .offset:         0
        .size:           136
        .value_kind:     by_value
    .group_segment_fixed_size: 0
    .kernarg_segment_align: 8
    .kernarg_segment_size: 136
    .language:       OpenCL C
    .language_version:
      - 2
      - 0
    .max_flat_workgroup_size: 256
    .name:           _ZN7rocprim17ROCPRIM_400000_NS6detail17trampoline_kernelINS0_14default_configENS1_27scan_by_key_config_selectorIxxEEZZNS1_16scan_by_key_implILNS1_25lookback_scan_determinismE0ELb0ES3_N6thrust23THRUST_200600_302600_NS6detail15normal_iteratorINS9_10device_ptrIxEEEESE_SE_xNS9_10multipliesIxEENS9_8equal_toIxEExEE10hipError_tPvRmT2_T3_T4_T5_mT6_T7_P12ihipStream_tbENKUlT_T0_E_clISt17integral_constantIbLb0EESY_IbLb1EEEEDaSU_SV_EUlSU_E_NS1_11comp_targetILNS1_3genE9ELNS1_11target_archE1100ELNS1_3gpuE3ELNS1_3repE0EEENS1_30default_config_static_selectorELNS0_4arch9wavefront6targetE1EEEvT1_
    .private_segment_fixed_size: 0
    .sgpr_count:     4
    .sgpr_spill_count: 0
    .symbol:         _ZN7rocprim17ROCPRIM_400000_NS6detail17trampoline_kernelINS0_14default_configENS1_27scan_by_key_config_selectorIxxEEZZNS1_16scan_by_key_implILNS1_25lookback_scan_determinismE0ELb0ES3_N6thrust23THRUST_200600_302600_NS6detail15normal_iteratorINS9_10device_ptrIxEEEESE_SE_xNS9_10multipliesIxEENS9_8equal_toIxEExEE10hipError_tPvRmT2_T3_T4_T5_mT6_T7_P12ihipStream_tbENKUlT_T0_E_clISt17integral_constantIbLb0EESY_IbLb1EEEEDaSU_SV_EUlSU_E_NS1_11comp_targetILNS1_3genE9ELNS1_11target_archE1100ELNS1_3gpuE3ELNS1_3repE0EEENS1_30default_config_static_selectorELNS0_4arch9wavefront6targetE1EEEvT1_.kd
    .uniform_work_group_size: 1
    .uses_dynamic_stack: false
    .vgpr_count:     0
    .vgpr_spill_count: 0
    .wavefront_size: 64
  - .agpr_count:     0
    .args:
      - .offset:         0
        .size:           136
        .value_kind:     by_value
    .group_segment_fixed_size: 0
    .kernarg_segment_align: 8
    .kernarg_segment_size: 136
    .language:       OpenCL C
    .language_version:
      - 2
      - 0
    .max_flat_workgroup_size: 256
    .name:           _ZN7rocprim17ROCPRIM_400000_NS6detail17trampoline_kernelINS0_14default_configENS1_27scan_by_key_config_selectorIxxEEZZNS1_16scan_by_key_implILNS1_25lookback_scan_determinismE0ELb0ES3_N6thrust23THRUST_200600_302600_NS6detail15normal_iteratorINS9_10device_ptrIxEEEESE_SE_xNS9_10multipliesIxEENS9_8equal_toIxEExEE10hipError_tPvRmT2_T3_T4_T5_mT6_T7_P12ihipStream_tbENKUlT_T0_E_clISt17integral_constantIbLb0EESY_IbLb1EEEEDaSU_SV_EUlSU_E_NS1_11comp_targetILNS1_3genE8ELNS1_11target_archE1030ELNS1_3gpuE2ELNS1_3repE0EEENS1_30default_config_static_selectorELNS0_4arch9wavefront6targetE1EEEvT1_
    .private_segment_fixed_size: 0
    .sgpr_count:     4
    .sgpr_spill_count: 0
    .symbol:         _ZN7rocprim17ROCPRIM_400000_NS6detail17trampoline_kernelINS0_14default_configENS1_27scan_by_key_config_selectorIxxEEZZNS1_16scan_by_key_implILNS1_25lookback_scan_determinismE0ELb0ES3_N6thrust23THRUST_200600_302600_NS6detail15normal_iteratorINS9_10device_ptrIxEEEESE_SE_xNS9_10multipliesIxEENS9_8equal_toIxEExEE10hipError_tPvRmT2_T3_T4_T5_mT6_T7_P12ihipStream_tbENKUlT_T0_E_clISt17integral_constantIbLb0EESY_IbLb1EEEEDaSU_SV_EUlSU_E_NS1_11comp_targetILNS1_3genE8ELNS1_11target_archE1030ELNS1_3gpuE2ELNS1_3repE0EEENS1_30default_config_static_selectorELNS0_4arch9wavefront6targetE1EEEvT1_.kd
    .uniform_work_group_size: 1
    .uses_dynamic_stack: false
    .vgpr_count:     0
    .vgpr_spill_count: 0
    .wavefront_size: 64
  - .agpr_count:     0
    .args:
      - .offset:         0
        .size:           136
        .value_kind:     by_value
    .group_segment_fixed_size: 0
    .kernarg_segment_align: 8
    .kernarg_segment_size: 136
    .language:       OpenCL C
    .language_version:
      - 2
      - 0
    .max_flat_workgroup_size: 256
    .name:           _ZN7rocprim17ROCPRIM_400000_NS6detail17trampoline_kernelINS0_14default_configENS1_27scan_by_key_config_selectorIxxEEZZNS1_16scan_by_key_implILNS1_25lookback_scan_determinismE0ELb0ES3_N6thrust23THRUST_200600_302600_NS6detail15normal_iteratorINS9_10device_ptrIxEEEESE_SE_xNS9_4plusIvEENS9_8equal_toIxEExEE10hipError_tPvRmT2_T3_T4_T5_mT6_T7_P12ihipStream_tbENKUlT_T0_E_clISt17integral_constantIbLb0EESZ_EEDaSU_SV_EUlSU_E_NS1_11comp_targetILNS1_3genE0ELNS1_11target_archE4294967295ELNS1_3gpuE0ELNS1_3repE0EEENS1_30default_config_static_selectorELNS0_4arch9wavefront6targetE1EEEvT1_
    .private_segment_fixed_size: 0
    .sgpr_count:     4
    .sgpr_spill_count: 0
    .symbol:         _ZN7rocprim17ROCPRIM_400000_NS6detail17trampoline_kernelINS0_14default_configENS1_27scan_by_key_config_selectorIxxEEZZNS1_16scan_by_key_implILNS1_25lookback_scan_determinismE0ELb0ES3_N6thrust23THRUST_200600_302600_NS6detail15normal_iteratorINS9_10device_ptrIxEEEESE_SE_xNS9_4plusIvEENS9_8equal_toIxEExEE10hipError_tPvRmT2_T3_T4_T5_mT6_T7_P12ihipStream_tbENKUlT_T0_E_clISt17integral_constantIbLb0EESZ_EEDaSU_SV_EUlSU_E_NS1_11comp_targetILNS1_3genE0ELNS1_11target_archE4294967295ELNS1_3gpuE0ELNS1_3repE0EEENS1_30default_config_static_selectorELNS0_4arch9wavefront6targetE1EEEvT1_.kd
    .uniform_work_group_size: 1
    .uses_dynamic_stack: false
    .vgpr_count:     0
    .vgpr_spill_count: 0
    .wavefront_size: 64
  - .agpr_count:     0
    .args:
      - .offset:         0
        .size:           136
        .value_kind:     by_value
    .group_segment_fixed_size: 0
    .kernarg_segment_align: 8
    .kernarg_segment_size: 136
    .language:       OpenCL C
    .language_version:
      - 2
      - 0
    .max_flat_workgroup_size: 256
    .name:           _ZN7rocprim17ROCPRIM_400000_NS6detail17trampoline_kernelINS0_14default_configENS1_27scan_by_key_config_selectorIxxEEZZNS1_16scan_by_key_implILNS1_25lookback_scan_determinismE0ELb0ES3_N6thrust23THRUST_200600_302600_NS6detail15normal_iteratorINS9_10device_ptrIxEEEESE_SE_xNS9_4plusIvEENS9_8equal_toIxEExEE10hipError_tPvRmT2_T3_T4_T5_mT6_T7_P12ihipStream_tbENKUlT_T0_E_clISt17integral_constantIbLb0EESZ_EEDaSU_SV_EUlSU_E_NS1_11comp_targetILNS1_3genE10ELNS1_11target_archE1201ELNS1_3gpuE5ELNS1_3repE0EEENS1_30default_config_static_selectorELNS0_4arch9wavefront6targetE1EEEvT1_
    .private_segment_fixed_size: 0
    .sgpr_count:     4
    .sgpr_spill_count: 0
    .symbol:         _ZN7rocprim17ROCPRIM_400000_NS6detail17trampoline_kernelINS0_14default_configENS1_27scan_by_key_config_selectorIxxEEZZNS1_16scan_by_key_implILNS1_25lookback_scan_determinismE0ELb0ES3_N6thrust23THRUST_200600_302600_NS6detail15normal_iteratorINS9_10device_ptrIxEEEESE_SE_xNS9_4plusIvEENS9_8equal_toIxEExEE10hipError_tPvRmT2_T3_T4_T5_mT6_T7_P12ihipStream_tbENKUlT_T0_E_clISt17integral_constantIbLb0EESZ_EEDaSU_SV_EUlSU_E_NS1_11comp_targetILNS1_3genE10ELNS1_11target_archE1201ELNS1_3gpuE5ELNS1_3repE0EEENS1_30default_config_static_selectorELNS0_4arch9wavefront6targetE1EEEvT1_.kd
    .uniform_work_group_size: 1
    .uses_dynamic_stack: false
    .vgpr_count:     0
    .vgpr_spill_count: 0
    .wavefront_size: 64
  - .agpr_count:     0
    .args:
      - .offset:         0
        .size:           136
        .value_kind:     by_value
    .group_segment_fixed_size: 0
    .kernarg_segment_align: 8
    .kernarg_segment_size: 136
    .language:       OpenCL C
    .language_version:
      - 2
      - 0
    .max_flat_workgroup_size: 256
    .name:           _ZN7rocprim17ROCPRIM_400000_NS6detail17trampoline_kernelINS0_14default_configENS1_27scan_by_key_config_selectorIxxEEZZNS1_16scan_by_key_implILNS1_25lookback_scan_determinismE0ELb0ES3_N6thrust23THRUST_200600_302600_NS6detail15normal_iteratorINS9_10device_ptrIxEEEESE_SE_xNS9_4plusIvEENS9_8equal_toIxEExEE10hipError_tPvRmT2_T3_T4_T5_mT6_T7_P12ihipStream_tbENKUlT_T0_E_clISt17integral_constantIbLb0EESZ_EEDaSU_SV_EUlSU_E_NS1_11comp_targetILNS1_3genE5ELNS1_11target_archE942ELNS1_3gpuE9ELNS1_3repE0EEENS1_30default_config_static_selectorELNS0_4arch9wavefront6targetE1EEEvT1_
    .private_segment_fixed_size: 0
    .sgpr_count:     4
    .sgpr_spill_count: 0
    .symbol:         _ZN7rocprim17ROCPRIM_400000_NS6detail17trampoline_kernelINS0_14default_configENS1_27scan_by_key_config_selectorIxxEEZZNS1_16scan_by_key_implILNS1_25lookback_scan_determinismE0ELb0ES3_N6thrust23THRUST_200600_302600_NS6detail15normal_iteratorINS9_10device_ptrIxEEEESE_SE_xNS9_4plusIvEENS9_8equal_toIxEExEE10hipError_tPvRmT2_T3_T4_T5_mT6_T7_P12ihipStream_tbENKUlT_T0_E_clISt17integral_constantIbLb0EESZ_EEDaSU_SV_EUlSU_E_NS1_11comp_targetILNS1_3genE5ELNS1_11target_archE942ELNS1_3gpuE9ELNS1_3repE0EEENS1_30default_config_static_selectorELNS0_4arch9wavefront6targetE1EEEvT1_.kd
    .uniform_work_group_size: 1
    .uses_dynamic_stack: false
    .vgpr_count:     0
    .vgpr_spill_count: 0
    .wavefront_size: 64
  - .agpr_count:     0
    .args:
      - .offset:         0
        .size:           136
        .value_kind:     by_value
    .group_segment_fixed_size: 10752
    .kernarg_segment_align: 8
    .kernarg_segment_size: 136
    .language:       OpenCL C
    .language_version:
      - 2
      - 0
    .max_flat_workgroup_size: 64
    .name:           _ZN7rocprim17ROCPRIM_400000_NS6detail17trampoline_kernelINS0_14default_configENS1_27scan_by_key_config_selectorIxxEEZZNS1_16scan_by_key_implILNS1_25lookback_scan_determinismE0ELb0ES3_N6thrust23THRUST_200600_302600_NS6detail15normal_iteratorINS9_10device_ptrIxEEEESE_SE_xNS9_4plusIvEENS9_8equal_toIxEExEE10hipError_tPvRmT2_T3_T4_T5_mT6_T7_P12ihipStream_tbENKUlT_T0_E_clISt17integral_constantIbLb0EESZ_EEDaSU_SV_EUlSU_E_NS1_11comp_targetILNS1_3genE4ELNS1_11target_archE910ELNS1_3gpuE8ELNS1_3repE0EEENS1_30default_config_static_selectorELNS0_4arch9wavefront6targetE1EEEvT1_
    .private_segment_fixed_size: 0
    .sgpr_count:     82
    .sgpr_spill_count: 0
    .symbol:         _ZN7rocprim17ROCPRIM_400000_NS6detail17trampoline_kernelINS0_14default_configENS1_27scan_by_key_config_selectorIxxEEZZNS1_16scan_by_key_implILNS1_25lookback_scan_determinismE0ELb0ES3_N6thrust23THRUST_200600_302600_NS6detail15normal_iteratorINS9_10device_ptrIxEEEESE_SE_xNS9_4plusIvEENS9_8equal_toIxEExEE10hipError_tPvRmT2_T3_T4_T5_mT6_T7_P12ihipStream_tbENKUlT_T0_E_clISt17integral_constantIbLb0EESZ_EEDaSU_SV_EUlSU_E_NS1_11comp_targetILNS1_3genE4ELNS1_11target_archE910ELNS1_3gpuE8ELNS1_3repE0EEENS1_30default_config_static_selectorELNS0_4arch9wavefront6targetE1EEEvT1_.kd
    .uniform_work_group_size: 1
    .uses_dynamic_stack: false
    .vgpr_count:     128
    .vgpr_spill_count: 0
    .wavefront_size: 64
  - .agpr_count:     0
    .args:
      - .offset:         0
        .size:           136
        .value_kind:     by_value
    .group_segment_fixed_size: 0
    .kernarg_segment_align: 8
    .kernarg_segment_size: 136
    .language:       OpenCL C
    .language_version:
      - 2
      - 0
    .max_flat_workgroup_size: 256
    .name:           _ZN7rocprim17ROCPRIM_400000_NS6detail17trampoline_kernelINS0_14default_configENS1_27scan_by_key_config_selectorIxxEEZZNS1_16scan_by_key_implILNS1_25lookback_scan_determinismE0ELb0ES3_N6thrust23THRUST_200600_302600_NS6detail15normal_iteratorINS9_10device_ptrIxEEEESE_SE_xNS9_4plusIvEENS9_8equal_toIxEExEE10hipError_tPvRmT2_T3_T4_T5_mT6_T7_P12ihipStream_tbENKUlT_T0_E_clISt17integral_constantIbLb0EESZ_EEDaSU_SV_EUlSU_E_NS1_11comp_targetILNS1_3genE3ELNS1_11target_archE908ELNS1_3gpuE7ELNS1_3repE0EEENS1_30default_config_static_selectorELNS0_4arch9wavefront6targetE1EEEvT1_
    .private_segment_fixed_size: 0
    .sgpr_count:     4
    .sgpr_spill_count: 0
    .symbol:         _ZN7rocprim17ROCPRIM_400000_NS6detail17trampoline_kernelINS0_14default_configENS1_27scan_by_key_config_selectorIxxEEZZNS1_16scan_by_key_implILNS1_25lookback_scan_determinismE0ELb0ES3_N6thrust23THRUST_200600_302600_NS6detail15normal_iteratorINS9_10device_ptrIxEEEESE_SE_xNS9_4plusIvEENS9_8equal_toIxEExEE10hipError_tPvRmT2_T3_T4_T5_mT6_T7_P12ihipStream_tbENKUlT_T0_E_clISt17integral_constantIbLb0EESZ_EEDaSU_SV_EUlSU_E_NS1_11comp_targetILNS1_3genE3ELNS1_11target_archE908ELNS1_3gpuE7ELNS1_3repE0EEENS1_30default_config_static_selectorELNS0_4arch9wavefront6targetE1EEEvT1_.kd
    .uniform_work_group_size: 1
    .uses_dynamic_stack: false
    .vgpr_count:     0
    .vgpr_spill_count: 0
    .wavefront_size: 64
  - .agpr_count:     0
    .args:
      - .offset:         0
        .size:           136
        .value_kind:     by_value
    .group_segment_fixed_size: 0
    .kernarg_segment_align: 8
    .kernarg_segment_size: 136
    .language:       OpenCL C
    .language_version:
      - 2
      - 0
    .max_flat_workgroup_size: 256
    .name:           _ZN7rocprim17ROCPRIM_400000_NS6detail17trampoline_kernelINS0_14default_configENS1_27scan_by_key_config_selectorIxxEEZZNS1_16scan_by_key_implILNS1_25lookback_scan_determinismE0ELb0ES3_N6thrust23THRUST_200600_302600_NS6detail15normal_iteratorINS9_10device_ptrIxEEEESE_SE_xNS9_4plusIvEENS9_8equal_toIxEExEE10hipError_tPvRmT2_T3_T4_T5_mT6_T7_P12ihipStream_tbENKUlT_T0_E_clISt17integral_constantIbLb0EESZ_EEDaSU_SV_EUlSU_E_NS1_11comp_targetILNS1_3genE2ELNS1_11target_archE906ELNS1_3gpuE6ELNS1_3repE0EEENS1_30default_config_static_selectorELNS0_4arch9wavefront6targetE1EEEvT1_
    .private_segment_fixed_size: 0
    .sgpr_count:     4
    .sgpr_spill_count: 0
    .symbol:         _ZN7rocprim17ROCPRIM_400000_NS6detail17trampoline_kernelINS0_14default_configENS1_27scan_by_key_config_selectorIxxEEZZNS1_16scan_by_key_implILNS1_25lookback_scan_determinismE0ELb0ES3_N6thrust23THRUST_200600_302600_NS6detail15normal_iteratorINS9_10device_ptrIxEEEESE_SE_xNS9_4plusIvEENS9_8equal_toIxEExEE10hipError_tPvRmT2_T3_T4_T5_mT6_T7_P12ihipStream_tbENKUlT_T0_E_clISt17integral_constantIbLb0EESZ_EEDaSU_SV_EUlSU_E_NS1_11comp_targetILNS1_3genE2ELNS1_11target_archE906ELNS1_3gpuE6ELNS1_3repE0EEENS1_30default_config_static_selectorELNS0_4arch9wavefront6targetE1EEEvT1_.kd
    .uniform_work_group_size: 1
    .uses_dynamic_stack: false
    .vgpr_count:     0
    .vgpr_spill_count: 0
    .wavefront_size: 64
  - .agpr_count:     0
    .args:
      - .offset:         0
        .size:           136
        .value_kind:     by_value
    .group_segment_fixed_size: 0
    .kernarg_segment_align: 8
    .kernarg_segment_size: 136
    .language:       OpenCL C
    .language_version:
      - 2
      - 0
    .max_flat_workgroup_size: 256
    .name:           _ZN7rocprim17ROCPRIM_400000_NS6detail17trampoline_kernelINS0_14default_configENS1_27scan_by_key_config_selectorIxxEEZZNS1_16scan_by_key_implILNS1_25lookback_scan_determinismE0ELb0ES3_N6thrust23THRUST_200600_302600_NS6detail15normal_iteratorINS9_10device_ptrIxEEEESE_SE_xNS9_4plusIvEENS9_8equal_toIxEExEE10hipError_tPvRmT2_T3_T4_T5_mT6_T7_P12ihipStream_tbENKUlT_T0_E_clISt17integral_constantIbLb0EESZ_EEDaSU_SV_EUlSU_E_NS1_11comp_targetILNS1_3genE10ELNS1_11target_archE1200ELNS1_3gpuE4ELNS1_3repE0EEENS1_30default_config_static_selectorELNS0_4arch9wavefront6targetE1EEEvT1_
    .private_segment_fixed_size: 0
    .sgpr_count:     4
    .sgpr_spill_count: 0
    .symbol:         _ZN7rocprim17ROCPRIM_400000_NS6detail17trampoline_kernelINS0_14default_configENS1_27scan_by_key_config_selectorIxxEEZZNS1_16scan_by_key_implILNS1_25lookback_scan_determinismE0ELb0ES3_N6thrust23THRUST_200600_302600_NS6detail15normal_iteratorINS9_10device_ptrIxEEEESE_SE_xNS9_4plusIvEENS9_8equal_toIxEExEE10hipError_tPvRmT2_T3_T4_T5_mT6_T7_P12ihipStream_tbENKUlT_T0_E_clISt17integral_constantIbLb0EESZ_EEDaSU_SV_EUlSU_E_NS1_11comp_targetILNS1_3genE10ELNS1_11target_archE1200ELNS1_3gpuE4ELNS1_3repE0EEENS1_30default_config_static_selectorELNS0_4arch9wavefront6targetE1EEEvT1_.kd
    .uniform_work_group_size: 1
    .uses_dynamic_stack: false
    .vgpr_count:     0
    .vgpr_spill_count: 0
    .wavefront_size: 64
  - .agpr_count:     0
    .args:
      - .offset:         0
        .size:           136
        .value_kind:     by_value
    .group_segment_fixed_size: 0
    .kernarg_segment_align: 8
    .kernarg_segment_size: 136
    .language:       OpenCL C
    .language_version:
      - 2
      - 0
    .max_flat_workgroup_size: 256
    .name:           _ZN7rocprim17ROCPRIM_400000_NS6detail17trampoline_kernelINS0_14default_configENS1_27scan_by_key_config_selectorIxxEEZZNS1_16scan_by_key_implILNS1_25lookback_scan_determinismE0ELb0ES3_N6thrust23THRUST_200600_302600_NS6detail15normal_iteratorINS9_10device_ptrIxEEEESE_SE_xNS9_4plusIvEENS9_8equal_toIxEExEE10hipError_tPvRmT2_T3_T4_T5_mT6_T7_P12ihipStream_tbENKUlT_T0_E_clISt17integral_constantIbLb0EESZ_EEDaSU_SV_EUlSU_E_NS1_11comp_targetILNS1_3genE9ELNS1_11target_archE1100ELNS1_3gpuE3ELNS1_3repE0EEENS1_30default_config_static_selectorELNS0_4arch9wavefront6targetE1EEEvT1_
    .private_segment_fixed_size: 0
    .sgpr_count:     4
    .sgpr_spill_count: 0
    .symbol:         _ZN7rocprim17ROCPRIM_400000_NS6detail17trampoline_kernelINS0_14default_configENS1_27scan_by_key_config_selectorIxxEEZZNS1_16scan_by_key_implILNS1_25lookback_scan_determinismE0ELb0ES3_N6thrust23THRUST_200600_302600_NS6detail15normal_iteratorINS9_10device_ptrIxEEEESE_SE_xNS9_4plusIvEENS9_8equal_toIxEExEE10hipError_tPvRmT2_T3_T4_T5_mT6_T7_P12ihipStream_tbENKUlT_T0_E_clISt17integral_constantIbLb0EESZ_EEDaSU_SV_EUlSU_E_NS1_11comp_targetILNS1_3genE9ELNS1_11target_archE1100ELNS1_3gpuE3ELNS1_3repE0EEENS1_30default_config_static_selectorELNS0_4arch9wavefront6targetE1EEEvT1_.kd
    .uniform_work_group_size: 1
    .uses_dynamic_stack: false
    .vgpr_count:     0
    .vgpr_spill_count: 0
    .wavefront_size: 64
  - .agpr_count:     0
    .args:
      - .offset:         0
        .size:           136
        .value_kind:     by_value
    .group_segment_fixed_size: 0
    .kernarg_segment_align: 8
    .kernarg_segment_size: 136
    .language:       OpenCL C
    .language_version:
      - 2
      - 0
    .max_flat_workgroup_size: 256
    .name:           _ZN7rocprim17ROCPRIM_400000_NS6detail17trampoline_kernelINS0_14default_configENS1_27scan_by_key_config_selectorIxxEEZZNS1_16scan_by_key_implILNS1_25lookback_scan_determinismE0ELb0ES3_N6thrust23THRUST_200600_302600_NS6detail15normal_iteratorINS9_10device_ptrIxEEEESE_SE_xNS9_4plusIvEENS9_8equal_toIxEExEE10hipError_tPvRmT2_T3_T4_T5_mT6_T7_P12ihipStream_tbENKUlT_T0_E_clISt17integral_constantIbLb0EESZ_EEDaSU_SV_EUlSU_E_NS1_11comp_targetILNS1_3genE8ELNS1_11target_archE1030ELNS1_3gpuE2ELNS1_3repE0EEENS1_30default_config_static_selectorELNS0_4arch9wavefront6targetE1EEEvT1_
    .private_segment_fixed_size: 0
    .sgpr_count:     4
    .sgpr_spill_count: 0
    .symbol:         _ZN7rocprim17ROCPRIM_400000_NS6detail17trampoline_kernelINS0_14default_configENS1_27scan_by_key_config_selectorIxxEEZZNS1_16scan_by_key_implILNS1_25lookback_scan_determinismE0ELb0ES3_N6thrust23THRUST_200600_302600_NS6detail15normal_iteratorINS9_10device_ptrIxEEEESE_SE_xNS9_4plusIvEENS9_8equal_toIxEExEE10hipError_tPvRmT2_T3_T4_T5_mT6_T7_P12ihipStream_tbENKUlT_T0_E_clISt17integral_constantIbLb0EESZ_EEDaSU_SV_EUlSU_E_NS1_11comp_targetILNS1_3genE8ELNS1_11target_archE1030ELNS1_3gpuE2ELNS1_3repE0EEENS1_30default_config_static_selectorELNS0_4arch9wavefront6targetE1EEEvT1_.kd
    .uniform_work_group_size: 1
    .uses_dynamic_stack: false
    .vgpr_count:     0
    .vgpr_spill_count: 0
    .wavefront_size: 64
  - .agpr_count:     0
    .args:
      - .offset:         0
        .size:           136
        .value_kind:     by_value
    .group_segment_fixed_size: 0
    .kernarg_segment_align: 8
    .kernarg_segment_size: 136
    .language:       OpenCL C
    .language_version:
      - 2
      - 0
    .max_flat_workgroup_size: 256
    .name:           _ZN7rocprim17ROCPRIM_400000_NS6detail17trampoline_kernelINS0_14default_configENS1_27scan_by_key_config_selectorIxxEEZZNS1_16scan_by_key_implILNS1_25lookback_scan_determinismE0ELb0ES3_N6thrust23THRUST_200600_302600_NS6detail15normal_iteratorINS9_10device_ptrIxEEEESE_SE_xNS9_4plusIvEENS9_8equal_toIxEExEE10hipError_tPvRmT2_T3_T4_T5_mT6_T7_P12ihipStream_tbENKUlT_T0_E_clISt17integral_constantIbLb1EESZ_EEDaSU_SV_EUlSU_E_NS1_11comp_targetILNS1_3genE0ELNS1_11target_archE4294967295ELNS1_3gpuE0ELNS1_3repE0EEENS1_30default_config_static_selectorELNS0_4arch9wavefront6targetE1EEEvT1_
    .private_segment_fixed_size: 0
    .sgpr_count:     4
    .sgpr_spill_count: 0
    .symbol:         _ZN7rocprim17ROCPRIM_400000_NS6detail17trampoline_kernelINS0_14default_configENS1_27scan_by_key_config_selectorIxxEEZZNS1_16scan_by_key_implILNS1_25lookback_scan_determinismE0ELb0ES3_N6thrust23THRUST_200600_302600_NS6detail15normal_iteratorINS9_10device_ptrIxEEEESE_SE_xNS9_4plusIvEENS9_8equal_toIxEExEE10hipError_tPvRmT2_T3_T4_T5_mT6_T7_P12ihipStream_tbENKUlT_T0_E_clISt17integral_constantIbLb1EESZ_EEDaSU_SV_EUlSU_E_NS1_11comp_targetILNS1_3genE0ELNS1_11target_archE4294967295ELNS1_3gpuE0ELNS1_3repE0EEENS1_30default_config_static_selectorELNS0_4arch9wavefront6targetE1EEEvT1_.kd
    .uniform_work_group_size: 1
    .uses_dynamic_stack: false
    .vgpr_count:     0
    .vgpr_spill_count: 0
    .wavefront_size: 64
  - .agpr_count:     0
    .args:
      - .offset:         0
        .size:           136
        .value_kind:     by_value
    .group_segment_fixed_size: 0
    .kernarg_segment_align: 8
    .kernarg_segment_size: 136
    .language:       OpenCL C
    .language_version:
      - 2
      - 0
    .max_flat_workgroup_size: 256
    .name:           _ZN7rocprim17ROCPRIM_400000_NS6detail17trampoline_kernelINS0_14default_configENS1_27scan_by_key_config_selectorIxxEEZZNS1_16scan_by_key_implILNS1_25lookback_scan_determinismE0ELb0ES3_N6thrust23THRUST_200600_302600_NS6detail15normal_iteratorINS9_10device_ptrIxEEEESE_SE_xNS9_4plusIvEENS9_8equal_toIxEExEE10hipError_tPvRmT2_T3_T4_T5_mT6_T7_P12ihipStream_tbENKUlT_T0_E_clISt17integral_constantIbLb1EESZ_EEDaSU_SV_EUlSU_E_NS1_11comp_targetILNS1_3genE10ELNS1_11target_archE1201ELNS1_3gpuE5ELNS1_3repE0EEENS1_30default_config_static_selectorELNS0_4arch9wavefront6targetE1EEEvT1_
    .private_segment_fixed_size: 0
    .sgpr_count:     4
    .sgpr_spill_count: 0
    .symbol:         _ZN7rocprim17ROCPRIM_400000_NS6detail17trampoline_kernelINS0_14default_configENS1_27scan_by_key_config_selectorIxxEEZZNS1_16scan_by_key_implILNS1_25lookback_scan_determinismE0ELb0ES3_N6thrust23THRUST_200600_302600_NS6detail15normal_iteratorINS9_10device_ptrIxEEEESE_SE_xNS9_4plusIvEENS9_8equal_toIxEExEE10hipError_tPvRmT2_T3_T4_T5_mT6_T7_P12ihipStream_tbENKUlT_T0_E_clISt17integral_constantIbLb1EESZ_EEDaSU_SV_EUlSU_E_NS1_11comp_targetILNS1_3genE10ELNS1_11target_archE1201ELNS1_3gpuE5ELNS1_3repE0EEENS1_30default_config_static_selectorELNS0_4arch9wavefront6targetE1EEEvT1_.kd
    .uniform_work_group_size: 1
    .uses_dynamic_stack: false
    .vgpr_count:     0
    .vgpr_spill_count: 0
    .wavefront_size: 64
  - .agpr_count:     0
    .args:
      - .offset:         0
        .size:           136
        .value_kind:     by_value
    .group_segment_fixed_size: 0
    .kernarg_segment_align: 8
    .kernarg_segment_size: 136
    .language:       OpenCL C
    .language_version:
      - 2
      - 0
    .max_flat_workgroup_size: 256
    .name:           _ZN7rocprim17ROCPRIM_400000_NS6detail17trampoline_kernelINS0_14default_configENS1_27scan_by_key_config_selectorIxxEEZZNS1_16scan_by_key_implILNS1_25lookback_scan_determinismE0ELb0ES3_N6thrust23THRUST_200600_302600_NS6detail15normal_iteratorINS9_10device_ptrIxEEEESE_SE_xNS9_4plusIvEENS9_8equal_toIxEExEE10hipError_tPvRmT2_T3_T4_T5_mT6_T7_P12ihipStream_tbENKUlT_T0_E_clISt17integral_constantIbLb1EESZ_EEDaSU_SV_EUlSU_E_NS1_11comp_targetILNS1_3genE5ELNS1_11target_archE942ELNS1_3gpuE9ELNS1_3repE0EEENS1_30default_config_static_selectorELNS0_4arch9wavefront6targetE1EEEvT1_
    .private_segment_fixed_size: 0
    .sgpr_count:     4
    .sgpr_spill_count: 0
    .symbol:         _ZN7rocprim17ROCPRIM_400000_NS6detail17trampoline_kernelINS0_14default_configENS1_27scan_by_key_config_selectorIxxEEZZNS1_16scan_by_key_implILNS1_25lookback_scan_determinismE0ELb0ES3_N6thrust23THRUST_200600_302600_NS6detail15normal_iteratorINS9_10device_ptrIxEEEESE_SE_xNS9_4plusIvEENS9_8equal_toIxEExEE10hipError_tPvRmT2_T3_T4_T5_mT6_T7_P12ihipStream_tbENKUlT_T0_E_clISt17integral_constantIbLb1EESZ_EEDaSU_SV_EUlSU_E_NS1_11comp_targetILNS1_3genE5ELNS1_11target_archE942ELNS1_3gpuE9ELNS1_3repE0EEENS1_30default_config_static_selectorELNS0_4arch9wavefront6targetE1EEEvT1_.kd
    .uniform_work_group_size: 1
    .uses_dynamic_stack: false
    .vgpr_count:     0
    .vgpr_spill_count: 0
    .wavefront_size: 64
  - .agpr_count:     0
    .args:
      - .offset:         0
        .size:           136
        .value_kind:     by_value
    .group_segment_fixed_size: 10752
    .kernarg_segment_align: 8
    .kernarg_segment_size: 136
    .language:       OpenCL C
    .language_version:
      - 2
      - 0
    .max_flat_workgroup_size: 64
    .name:           _ZN7rocprim17ROCPRIM_400000_NS6detail17trampoline_kernelINS0_14default_configENS1_27scan_by_key_config_selectorIxxEEZZNS1_16scan_by_key_implILNS1_25lookback_scan_determinismE0ELb0ES3_N6thrust23THRUST_200600_302600_NS6detail15normal_iteratorINS9_10device_ptrIxEEEESE_SE_xNS9_4plusIvEENS9_8equal_toIxEExEE10hipError_tPvRmT2_T3_T4_T5_mT6_T7_P12ihipStream_tbENKUlT_T0_E_clISt17integral_constantIbLb1EESZ_EEDaSU_SV_EUlSU_E_NS1_11comp_targetILNS1_3genE4ELNS1_11target_archE910ELNS1_3gpuE8ELNS1_3repE0EEENS1_30default_config_static_selectorELNS0_4arch9wavefront6targetE1EEEvT1_
    .private_segment_fixed_size: 0
    .sgpr_count:     86
    .sgpr_spill_count: 0
    .symbol:         _ZN7rocprim17ROCPRIM_400000_NS6detail17trampoline_kernelINS0_14default_configENS1_27scan_by_key_config_selectorIxxEEZZNS1_16scan_by_key_implILNS1_25lookback_scan_determinismE0ELb0ES3_N6thrust23THRUST_200600_302600_NS6detail15normal_iteratorINS9_10device_ptrIxEEEESE_SE_xNS9_4plusIvEENS9_8equal_toIxEExEE10hipError_tPvRmT2_T3_T4_T5_mT6_T7_P12ihipStream_tbENKUlT_T0_E_clISt17integral_constantIbLb1EESZ_EEDaSU_SV_EUlSU_E_NS1_11comp_targetILNS1_3genE4ELNS1_11target_archE910ELNS1_3gpuE8ELNS1_3repE0EEENS1_30default_config_static_selectorELNS0_4arch9wavefront6targetE1EEEvT1_.kd
    .uniform_work_group_size: 1
    .uses_dynamic_stack: false
    .vgpr_count:     128
    .vgpr_spill_count: 0
    .wavefront_size: 64
  - .agpr_count:     0
    .args:
      - .offset:         0
        .size:           136
        .value_kind:     by_value
    .group_segment_fixed_size: 0
    .kernarg_segment_align: 8
    .kernarg_segment_size: 136
    .language:       OpenCL C
    .language_version:
      - 2
      - 0
    .max_flat_workgroup_size: 256
    .name:           _ZN7rocprim17ROCPRIM_400000_NS6detail17trampoline_kernelINS0_14default_configENS1_27scan_by_key_config_selectorIxxEEZZNS1_16scan_by_key_implILNS1_25lookback_scan_determinismE0ELb0ES3_N6thrust23THRUST_200600_302600_NS6detail15normal_iteratorINS9_10device_ptrIxEEEESE_SE_xNS9_4plusIvEENS9_8equal_toIxEExEE10hipError_tPvRmT2_T3_T4_T5_mT6_T7_P12ihipStream_tbENKUlT_T0_E_clISt17integral_constantIbLb1EESZ_EEDaSU_SV_EUlSU_E_NS1_11comp_targetILNS1_3genE3ELNS1_11target_archE908ELNS1_3gpuE7ELNS1_3repE0EEENS1_30default_config_static_selectorELNS0_4arch9wavefront6targetE1EEEvT1_
    .private_segment_fixed_size: 0
    .sgpr_count:     4
    .sgpr_spill_count: 0
    .symbol:         _ZN7rocprim17ROCPRIM_400000_NS6detail17trampoline_kernelINS0_14default_configENS1_27scan_by_key_config_selectorIxxEEZZNS1_16scan_by_key_implILNS1_25lookback_scan_determinismE0ELb0ES3_N6thrust23THRUST_200600_302600_NS6detail15normal_iteratorINS9_10device_ptrIxEEEESE_SE_xNS9_4plusIvEENS9_8equal_toIxEExEE10hipError_tPvRmT2_T3_T4_T5_mT6_T7_P12ihipStream_tbENKUlT_T0_E_clISt17integral_constantIbLb1EESZ_EEDaSU_SV_EUlSU_E_NS1_11comp_targetILNS1_3genE3ELNS1_11target_archE908ELNS1_3gpuE7ELNS1_3repE0EEENS1_30default_config_static_selectorELNS0_4arch9wavefront6targetE1EEEvT1_.kd
    .uniform_work_group_size: 1
    .uses_dynamic_stack: false
    .vgpr_count:     0
    .vgpr_spill_count: 0
    .wavefront_size: 64
  - .agpr_count:     0
    .args:
      - .offset:         0
        .size:           136
        .value_kind:     by_value
    .group_segment_fixed_size: 0
    .kernarg_segment_align: 8
    .kernarg_segment_size: 136
    .language:       OpenCL C
    .language_version:
      - 2
      - 0
    .max_flat_workgroup_size: 256
    .name:           _ZN7rocprim17ROCPRIM_400000_NS6detail17trampoline_kernelINS0_14default_configENS1_27scan_by_key_config_selectorIxxEEZZNS1_16scan_by_key_implILNS1_25lookback_scan_determinismE0ELb0ES3_N6thrust23THRUST_200600_302600_NS6detail15normal_iteratorINS9_10device_ptrIxEEEESE_SE_xNS9_4plusIvEENS9_8equal_toIxEExEE10hipError_tPvRmT2_T3_T4_T5_mT6_T7_P12ihipStream_tbENKUlT_T0_E_clISt17integral_constantIbLb1EESZ_EEDaSU_SV_EUlSU_E_NS1_11comp_targetILNS1_3genE2ELNS1_11target_archE906ELNS1_3gpuE6ELNS1_3repE0EEENS1_30default_config_static_selectorELNS0_4arch9wavefront6targetE1EEEvT1_
    .private_segment_fixed_size: 0
    .sgpr_count:     4
    .sgpr_spill_count: 0
    .symbol:         _ZN7rocprim17ROCPRIM_400000_NS6detail17trampoline_kernelINS0_14default_configENS1_27scan_by_key_config_selectorIxxEEZZNS1_16scan_by_key_implILNS1_25lookback_scan_determinismE0ELb0ES3_N6thrust23THRUST_200600_302600_NS6detail15normal_iteratorINS9_10device_ptrIxEEEESE_SE_xNS9_4plusIvEENS9_8equal_toIxEExEE10hipError_tPvRmT2_T3_T4_T5_mT6_T7_P12ihipStream_tbENKUlT_T0_E_clISt17integral_constantIbLb1EESZ_EEDaSU_SV_EUlSU_E_NS1_11comp_targetILNS1_3genE2ELNS1_11target_archE906ELNS1_3gpuE6ELNS1_3repE0EEENS1_30default_config_static_selectorELNS0_4arch9wavefront6targetE1EEEvT1_.kd
    .uniform_work_group_size: 1
    .uses_dynamic_stack: false
    .vgpr_count:     0
    .vgpr_spill_count: 0
    .wavefront_size: 64
  - .agpr_count:     0
    .args:
      - .offset:         0
        .size:           136
        .value_kind:     by_value
    .group_segment_fixed_size: 0
    .kernarg_segment_align: 8
    .kernarg_segment_size: 136
    .language:       OpenCL C
    .language_version:
      - 2
      - 0
    .max_flat_workgroup_size: 256
    .name:           _ZN7rocprim17ROCPRIM_400000_NS6detail17trampoline_kernelINS0_14default_configENS1_27scan_by_key_config_selectorIxxEEZZNS1_16scan_by_key_implILNS1_25lookback_scan_determinismE0ELb0ES3_N6thrust23THRUST_200600_302600_NS6detail15normal_iteratorINS9_10device_ptrIxEEEESE_SE_xNS9_4plusIvEENS9_8equal_toIxEExEE10hipError_tPvRmT2_T3_T4_T5_mT6_T7_P12ihipStream_tbENKUlT_T0_E_clISt17integral_constantIbLb1EESZ_EEDaSU_SV_EUlSU_E_NS1_11comp_targetILNS1_3genE10ELNS1_11target_archE1200ELNS1_3gpuE4ELNS1_3repE0EEENS1_30default_config_static_selectorELNS0_4arch9wavefront6targetE1EEEvT1_
    .private_segment_fixed_size: 0
    .sgpr_count:     4
    .sgpr_spill_count: 0
    .symbol:         _ZN7rocprim17ROCPRIM_400000_NS6detail17trampoline_kernelINS0_14default_configENS1_27scan_by_key_config_selectorIxxEEZZNS1_16scan_by_key_implILNS1_25lookback_scan_determinismE0ELb0ES3_N6thrust23THRUST_200600_302600_NS6detail15normal_iteratorINS9_10device_ptrIxEEEESE_SE_xNS9_4plusIvEENS9_8equal_toIxEExEE10hipError_tPvRmT2_T3_T4_T5_mT6_T7_P12ihipStream_tbENKUlT_T0_E_clISt17integral_constantIbLb1EESZ_EEDaSU_SV_EUlSU_E_NS1_11comp_targetILNS1_3genE10ELNS1_11target_archE1200ELNS1_3gpuE4ELNS1_3repE0EEENS1_30default_config_static_selectorELNS0_4arch9wavefront6targetE1EEEvT1_.kd
    .uniform_work_group_size: 1
    .uses_dynamic_stack: false
    .vgpr_count:     0
    .vgpr_spill_count: 0
    .wavefront_size: 64
  - .agpr_count:     0
    .args:
      - .offset:         0
        .size:           136
        .value_kind:     by_value
    .group_segment_fixed_size: 0
    .kernarg_segment_align: 8
    .kernarg_segment_size: 136
    .language:       OpenCL C
    .language_version:
      - 2
      - 0
    .max_flat_workgroup_size: 256
    .name:           _ZN7rocprim17ROCPRIM_400000_NS6detail17trampoline_kernelINS0_14default_configENS1_27scan_by_key_config_selectorIxxEEZZNS1_16scan_by_key_implILNS1_25lookback_scan_determinismE0ELb0ES3_N6thrust23THRUST_200600_302600_NS6detail15normal_iteratorINS9_10device_ptrIxEEEESE_SE_xNS9_4plusIvEENS9_8equal_toIxEExEE10hipError_tPvRmT2_T3_T4_T5_mT6_T7_P12ihipStream_tbENKUlT_T0_E_clISt17integral_constantIbLb1EESZ_EEDaSU_SV_EUlSU_E_NS1_11comp_targetILNS1_3genE9ELNS1_11target_archE1100ELNS1_3gpuE3ELNS1_3repE0EEENS1_30default_config_static_selectorELNS0_4arch9wavefront6targetE1EEEvT1_
    .private_segment_fixed_size: 0
    .sgpr_count:     4
    .sgpr_spill_count: 0
    .symbol:         _ZN7rocprim17ROCPRIM_400000_NS6detail17trampoline_kernelINS0_14default_configENS1_27scan_by_key_config_selectorIxxEEZZNS1_16scan_by_key_implILNS1_25lookback_scan_determinismE0ELb0ES3_N6thrust23THRUST_200600_302600_NS6detail15normal_iteratorINS9_10device_ptrIxEEEESE_SE_xNS9_4plusIvEENS9_8equal_toIxEExEE10hipError_tPvRmT2_T3_T4_T5_mT6_T7_P12ihipStream_tbENKUlT_T0_E_clISt17integral_constantIbLb1EESZ_EEDaSU_SV_EUlSU_E_NS1_11comp_targetILNS1_3genE9ELNS1_11target_archE1100ELNS1_3gpuE3ELNS1_3repE0EEENS1_30default_config_static_selectorELNS0_4arch9wavefront6targetE1EEEvT1_.kd
    .uniform_work_group_size: 1
    .uses_dynamic_stack: false
    .vgpr_count:     0
    .vgpr_spill_count: 0
    .wavefront_size: 64
  - .agpr_count:     0
    .args:
      - .offset:         0
        .size:           136
        .value_kind:     by_value
    .group_segment_fixed_size: 0
    .kernarg_segment_align: 8
    .kernarg_segment_size: 136
    .language:       OpenCL C
    .language_version:
      - 2
      - 0
    .max_flat_workgroup_size: 256
    .name:           _ZN7rocprim17ROCPRIM_400000_NS6detail17trampoline_kernelINS0_14default_configENS1_27scan_by_key_config_selectorIxxEEZZNS1_16scan_by_key_implILNS1_25lookback_scan_determinismE0ELb0ES3_N6thrust23THRUST_200600_302600_NS6detail15normal_iteratorINS9_10device_ptrIxEEEESE_SE_xNS9_4plusIvEENS9_8equal_toIxEExEE10hipError_tPvRmT2_T3_T4_T5_mT6_T7_P12ihipStream_tbENKUlT_T0_E_clISt17integral_constantIbLb1EESZ_EEDaSU_SV_EUlSU_E_NS1_11comp_targetILNS1_3genE8ELNS1_11target_archE1030ELNS1_3gpuE2ELNS1_3repE0EEENS1_30default_config_static_selectorELNS0_4arch9wavefront6targetE1EEEvT1_
    .private_segment_fixed_size: 0
    .sgpr_count:     4
    .sgpr_spill_count: 0
    .symbol:         _ZN7rocprim17ROCPRIM_400000_NS6detail17trampoline_kernelINS0_14default_configENS1_27scan_by_key_config_selectorIxxEEZZNS1_16scan_by_key_implILNS1_25lookback_scan_determinismE0ELb0ES3_N6thrust23THRUST_200600_302600_NS6detail15normal_iteratorINS9_10device_ptrIxEEEESE_SE_xNS9_4plusIvEENS9_8equal_toIxEExEE10hipError_tPvRmT2_T3_T4_T5_mT6_T7_P12ihipStream_tbENKUlT_T0_E_clISt17integral_constantIbLb1EESZ_EEDaSU_SV_EUlSU_E_NS1_11comp_targetILNS1_3genE8ELNS1_11target_archE1030ELNS1_3gpuE2ELNS1_3repE0EEENS1_30default_config_static_selectorELNS0_4arch9wavefront6targetE1EEEvT1_.kd
    .uniform_work_group_size: 1
    .uses_dynamic_stack: false
    .vgpr_count:     0
    .vgpr_spill_count: 0
    .wavefront_size: 64
  - .agpr_count:     0
    .args:
      - .offset:         0
        .size:           136
        .value_kind:     by_value
    .group_segment_fixed_size: 0
    .kernarg_segment_align: 8
    .kernarg_segment_size: 136
    .language:       OpenCL C
    .language_version:
      - 2
      - 0
    .max_flat_workgroup_size: 256
    .name:           _ZN7rocprim17ROCPRIM_400000_NS6detail17trampoline_kernelINS0_14default_configENS1_27scan_by_key_config_selectorIxxEEZZNS1_16scan_by_key_implILNS1_25lookback_scan_determinismE0ELb0ES3_N6thrust23THRUST_200600_302600_NS6detail15normal_iteratorINS9_10device_ptrIxEEEESE_SE_xNS9_4plusIvEENS9_8equal_toIxEExEE10hipError_tPvRmT2_T3_T4_T5_mT6_T7_P12ihipStream_tbENKUlT_T0_E_clISt17integral_constantIbLb1EESY_IbLb0EEEEDaSU_SV_EUlSU_E_NS1_11comp_targetILNS1_3genE0ELNS1_11target_archE4294967295ELNS1_3gpuE0ELNS1_3repE0EEENS1_30default_config_static_selectorELNS0_4arch9wavefront6targetE1EEEvT1_
    .private_segment_fixed_size: 0
    .sgpr_count:     4
    .sgpr_spill_count: 0
    .symbol:         _ZN7rocprim17ROCPRIM_400000_NS6detail17trampoline_kernelINS0_14default_configENS1_27scan_by_key_config_selectorIxxEEZZNS1_16scan_by_key_implILNS1_25lookback_scan_determinismE0ELb0ES3_N6thrust23THRUST_200600_302600_NS6detail15normal_iteratorINS9_10device_ptrIxEEEESE_SE_xNS9_4plusIvEENS9_8equal_toIxEExEE10hipError_tPvRmT2_T3_T4_T5_mT6_T7_P12ihipStream_tbENKUlT_T0_E_clISt17integral_constantIbLb1EESY_IbLb0EEEEDaSU_SV_EUlSU_E_NS1_11comp_targetILNS1_3genE0ELNS1_11target_archE4294967295ELNS1_3gpuE0ELNS1_3repE0EEENS1_30default_config_static_selectorELNS0_4arch9wavefront6targetE1EEEvT1_.kd
    .uniform_work_group_size: 1
    .uses_dynamic_stack: false
    .vgpr_count:     0
    .vgpr_spill_count: 0
    .wavefront_size: 64
  - .agpr_count:     0
    .args:
      - .offset:         0
        .size:           136
        .value_kind:     by_value
    .group_segment_fixed_size: 0
    .kernarg_segment_align: 8
    .kernarg_segment_size: 136
    .language:       OpenCL C
    .language_version:
      - 2
      - 0
    .max_flat_workgroup_size: 256
    .name:           _ZN7rocprim17ROCPRIM_400000_NS6detail17trampoline_kernelINS0_14default_configENS1_27scan_by_key_config_selectorIxxEEZZNS1_16scan_by_key_implILNS1_25lookback_scan_determinismE0ELb0ES3_N6thrust23THRUST_200600_302600_NS6detail15normal_iteratorINS9_10device_ptrIxEEEESE_SE_xNS9_4plusIvEENS9_8equal_toIxEExEE10hipError_tPvRmT2_T3_T4_T5_mT6_T7_P12ihipStream_tbENKUlT_T0_E_clISt17integral_constantIbLb1EESY_IbLb0EEEEDaSU_SV_EUlSU_E_NS1_11comp_targetILNS1_3genE10ELNS1_11target_archE1201ELNS1_3gpuE5ELNS1_3repE0EEENS1_30default_config_static_selectorELNS0_4arch9wavefront6targetE1EEEvT1_
    .private_segment_fixed_size: 0
    .sgpr_count:     4
    .sgpr_spill_count: 0
    .symbol:         _ZN7rocprim17ROCPRIM_400000_NS6detail17trampoline_kernelINS0_14default_configENS1_27scan_by_key_config_selectorIxxEEZZNS1_16scan_by_key_implILNS1_25lookback_scan_determinismE0ELb0ES3_N6thrust23THRUST_200600_302600_NS6detail15normal_iteratorINS9_10device_ptrIxEEEESE_SE_xNS9_4plusIvEENS9_8equal_toIxEExEE10hipError_tPvRmT2_T3_T4_T5_mT6_T7_P12ihipStream_tbENKUlT_T0_E_clISt17integral_constantIbLb1EESY_IbLb0EEEEDaSU_SV_EUlSU_E_NS1_11comp_targetILNS1_3genE10ELNS1_11target_archE1201ELNS1_3gpuE5ELNS1_3repE0EEENS1_30default_config_static_selectorELNS0_4arch9wavefront6targetE1EEEvT1_.kd
    .uniform_work_group_size: 1
    .uses_dynamic_stack: false
    .vgpr_count:     0
    .vgpr_spill_count: 0
    .wavefront_size: 64
  - .agpr_count:     0
    .args:
      - .offset:         0
        .size:           136
        .value_kind:     by_value
    .group_segment_fixed_size: 0
    .kernarg_segment_align: 8
    .kernarg_segment_size: 136
    .language:       OpenCL C
    .language_version:
      - 2
      - 0
    .max_flat_workgroup_size: 256
    .name:           _ZN7rocprim17ROCPRIM_400000_NS6detail17trampoline_kernelINS0_14default_configENS1_27scan_by_key_config_selectorIxxEEZZNS1_16scan_by_key_implILNS1_25lookback_scan_determinismE0ELb0ES3_N6thrust23THRUST_200600_302600_NS6detail15normal_iteratorINS9_10device_ptrIxEEEESE_SE_xNS9_4plusIvEENS9_8equal_toIxEExEE10hipError_tPvRmT2_T3_T4_T5_mT6_T7_P12ihipStream_tbENKUlT_T0_E_clISt17integral_constantIbLb1EESY_IbLb0EEEEDaSU_SV_EUlSU_E_NS1_11comp_targetILNS1_3genE5ELNS1_11target_archE942ELNS1_3gpuE9ELNS1_3repE0EEENS1_30default_config_static_selectorELNS0_4arch9wavefront6targetE1EEEvT1_
    .private_segment_fixed_size: 0
    .sgpr_count:     4
    .sgpr_spill_count: 0
    .symbol:         _ZN7rocprim17ROCPRIM_400000_NS6detail17trampoline_kernelINS0_14default_configENS1_27scan_by_key_config_selectorIxxEEZZNS1_16scan_by_key_implILNS1_25lookback_scan_determinismE0ELb0ES3_N6thrust23THRUST_200600_302600_NS6detail15normal_iteratorINS9_10device_ptrIxEEEESE_SE_xNS9_4plusIvEENS9_8equal_toIxEExEE10hipError_tPvRmT2_T3_T4_T5_mT6_T7_P12ihipStream_tbENKUlT_T0_E_clISt17integral_constantIbLb1EESY_IbLb0EEEEDaSU_SV_EUlSU_E_NS1_11comp_targetILNS1_3genE5ELNS1_11target_archE942ELNS1_3gpuE9ELNS1_3repE0EEENS1_30default_config_static_selectorELNS0_4arch9wavefront6targetE1EEEvT1_.kd
    .uniform_work_group_size: 1
    .uses_dynamic_stack: false
    .vgpr_count:     0
    .vgpr_spill_count: 0
    .wavefront_size: 64
  - .agpr_count:     0
    .args:
      - .offset:         0
        .size:           136
        .value_kind:     by_value
    .group_segment_fixed_size: 10752
    .kernarg_segment_align: 8
    .kernarg_segment_size: 136
    .language:       OpenCL C
    .language_version:
      - 2
      - 0
    .max_flat_workgroup_size: 64
    .name:           _ZN7rocprim17ROCPRIM_400000_NS6detail17trampoline_kernelINS0_14default_configENS1_27scan_by_key_config_selectorIxxEEZZNS1_16scan_by_key_implILNS1_25lookback_scan_determinismE0ELb0ES3_N6thrust23THRUST_200600_302600_NS6detail15normal_iteratorINS9_10device_ptrIxEEEESE_SE_xNS9_4plusIvEENS9_8equal_toIxEExEE10hipError_tPvRmT2_T3_T4_T5_mT6_T7_P12ihipStream_tbENKUlT_T0_E_clISt17integral_constantIbLb1EESY_IbLb0EEEEDaSU_SV_EUlSU_E_NS1_11comp_targetILNS1_3genE4ELNS1_11target_archE910ELNS1_3gpuE8ELNS1_3repE0EEENS1_30default_config_static_selectorELNS0_4arch9wavefront6targetE1EEEvT1_
    .private_segment_fixed_size: 0
    .sgpr_count:     82
    .sgpr_spill_count: 0
    .symbol:         _ZN7rocprim17ROCPRIM_400000_NS6detail17trampoline_kernelINS0_14default_configENS1_27scan_by_key_config_selectorIxxEEZZNS1_16scan_by_key_implILNS1_25lookback_scan_determinismE0ELb0ES3_N6thrust23THRUST_200600_302600_NS6detail15normal_iteratorINS9_10device_ptrIxEEEESE_SE_xNS9_4plusIvEENS9_8equal_toIxEExEE10hipError_tPvRmT2_T3_T4_T5_mT6_T7_P12ihipStream_tbENKUlT_T0_E_clISt17integral_constantIbLb1EESY_IbLb0EEEEDaSU_SV_EUlSU_E_NS1_11comp_targetILNS1_3genE4ELNS1_11target_archE910ELNS1_3gpuE8ELNS1_3repE0EEENS1_30default_config_static_selectorELNS0_4arch9wavefront6targetE1EEEvT1_.kd
    .uniform_work_group_size: 1
    .uses_dynamic_stack: false
    .vgpr_count:     128
    .vgpr_spill_count: 0
    .wavefront_size: 64
  - .agpr_count:     0
    .args:
      - .offset:         0
        .size:           136
        .value_kind:     by_value
    .group_segment_fixed_size: 0
    .kernarg_segment_align: 8
    .kernarg_segment_size: 136
    .language:       OpenCL C
    .language_version:
      - 2
      - 0
    .max_flat_workgroup_size: 256
    .name:           _ZN7rocprim17ROCPRIM_400000_NS6detail17trampoline_kernelINS0_14default_configENS1_27scan_by_key_config_selectorIxxEEZZNS1_16scan_by_key_implILNS1_25lookback_scan_determinismE0ELb0ES3_N6thrust23THRUST_200600_302600_NS6detail15normal_iteratorINS9_10device_ptrIxEEEESE_SE_xNS9_4plusIvEENS9_8equal_toIxEExEE10hipError_tPvRmT2_T3_T4_T5_mT6_T7_P12ihipStream_tbENKUlT_T0_E_clISt17integral_constantIbLb1EESY_IbLb0EEEEDaSU_SV_EUlSU_E_NS1_11comp_targetILNS1_3genE3ELNS1_11target_archE908ELNS1_3gpuE7ELNS1_3repE0EEENS1_30default_config_static_selectorELNS0_4arch9wavefront6targetE1EEEvT1_
    .private_segment_fixed_size: 0
    .sgpr_count:     4
    .sgpr_spill_count: 0
    .symbol:         _ZN7rocprim17ROCPRIM_400000_NS6detail17trampoline_kernelINS0_14default_configENS1_27scan_by_key_config_selectorIxxEEZZNS1_16scan_by_key_implILNS1_25lookback_scan_determinismE0ELb0ES3_N6thrust23THRUST_200600_302600_NS6detail15normal_iteratorINS9_10device_ptrIxEEEESE_SE_xNS9_4plusIvEENS9_8equal_toIxEExEE10hipError_tPvRmT2_T3_T4_T5_mT6_T7_P12ihipStream_tbENKUlT_T0_E_clISt17integral_constantIbLb1EESY_IbLb0EEEEDaSU_SV_EUlSU_E_NS1_11comp_targetILNS1_3genE3ELNS1_11target_archE908ELNS1_3gpuE7ELNS1_3repE0EEENS1_30default_config_static_selectorELNS0_4arch9wavefront6targetE1EEEvT1_.kd
    .uniform_work_group_size: 1
    .uses_dynamic_stack: false
    .vgpr_count:     0
    .vgpr_spill_count: 0
    .wavefront_size: 64
  - .agpr_count:     0
    .args:
      - .offset:         0
        .size:           136
        .value_kind:     by_value
    .group_segment_fixed_size: 0
    .kernarg_segment_align: 8
    .kernarg_segment_size: 136
    .language:       OpenCL C
    .language_version:
      - 2
      - 0
    .max_flat_workgroup_size: 256
    .name:           _ZN7rocprim17ROCPRIM_400000_NS6detail17trampoline_kernelINS0_14default_configENS1_27scan_by_key_config_selectorIxxEEZZNS1_16scan_by_key_implILNS1_25lookback_scan_determinismE0ELb0ES3_N6thrust23THRUST_200600_302600_NS6detail15normal_iteratorINS9_10device_ptrIxEEEESE_SE_xNS9_4plusIvEENS9_8equal_toIxEExEE10hipError_tPvRmT2_T3_T4_T5_mT6_T7_P12ihipStream_tbENKUlT_T0_E_clISt17integral_constantIbLb1EESY_IbLb0EEEEDaSU_SV_EUlSU_E_NS1_11comp_targetILNS1_3genE2ELNS1_11target_archE906ELNS1_3gpuE6ELNS1_3repE0EEENS1_30default_config_static_selectorELNS0_4arch9wavefront6targetE1EEEvT1_
    .private_segment_fixed_size: 0
    .sgpr_count:     4
    .sgpr_spill_count: 0
    .symbol:         _ZN7rocprim17ROCPRIM_400000_NS6detail17trampoline_kernelINS0_14default_configENS1_27scan_by_key_config_selectorIxxEEZZNS1_16scan_by_key_implILNS1_25lookback_scan_determinismE0ELb0ES3_N6thrust23THRUST_200600_302600_NS6detail15normal_iteratorINS9_10device_ptrIxEEEESE_SE_xNS9_4plusIvEENS9_8equal_toIxEExEE10hipError_tPvRmT2_T3_T4_T5_mT6_T7_P12ihipStream_tbENKUlT_T0_E_clISt17integral_constantIbLb1EESY_IbLb0EEEEDaSU_SV_EUlSU_E_NS1_11comp_targetILNS1_3genE2ELNS1_11target_archE906ELNS1_3gpuE6ELNS1_3repE0EEENS1_30default_config_static_selectorELNS0_4arch9wavefront6targetE1EEEvT1_.kd
    .uniform_work_group_size: 1
    .uses_dynamic_stack: false
    .vgpr_count:     0
    .vgpr_spill_count: 0
    .wavefront_size: 64
  - .agpr_count:     0
    .args:
      - .offset:         0
        .size:           136
        .value_kind:     by_value
    .group_segment_fixed_size: 0
    .kernarg_segment_align: 8
    .kernarg_segment_size: 136
    .language:       OpenCL C
    .language_version:
      - 2
      - 0
    .max_flat_workgroup_size: 256
    .name:           _ZN7rocprim17ROCPRIM_400000_NS6detail17trampoline_kernelINS0_14default_configENS1_27scan_by_key_config_selectorIxxEEZZNS1_16scan_by_key_implILNS1_25lookback_scan_determinismE0ELb0ES3_N6thrust23THRUST_200600_302600_NS6detail15normal_iteratorINS9_10device_ptrIxEEEESE_SE_xNS9_4plusIvEENS9_8equal_toIxEExEE10hipError_tPvRmT2_T3_T4_T5_mT6_T7_P12ihipStream_tbENKUlT_T0_E_clISt17integral_constantIbLb1EESY_IbLb0EEEEDaSU_SV_EUlSU_E_NS1_11comp_targetILNS1_3genE10ELNS1_11target_archE1200ELNS1_3gpuE4ELNS1_3repE0EEENS1_30default_config_static_selectorELNS0_4arch9wavefront6targetE1EEEvT1_
    .private_segment_fixed_size: 0
    .sgpr_count:     4
    .sgpr_spill_count: 0
    .symbol:         _ZN7rocprim17ROCPRIM_400000_NS6detail17trampoline_kernelINS0_14default_configENS1_27scan_by_key_config_selectorIxxEEZZNS1_16scan_by_key_implILNS1_25lookback_scan_determinismE0ELb0ES3_N6thrust23THRUST_200600_302600_NS6detail15normal_iteratorINS9_10device_ptrIxEEEESE_SE_xNS9_4plusIvEENS9_8equal_toIxEExEE10hipError_tPvRmT2_T3_T4_T5_mT6_T7_P12ihipStream_tbENKUlT_T0_E_clISt17integral_constantIbLb1EESY_IbLb0EEEEDaSU_SV_EUlSU_E_NS1_11comp_targetILNS1_3genE10ELNS1_11target_archE1200ELNS1_3gpuE4ELNS1_3repE0EEENS1_30default_config_static_selectorELNS0_4arch9wavefront6targetE1EEEvT1_.kd
    .uniform_work_group_size: 1
    .uses_dynamic_stack: false
    .vgpr_count:     0
    .vgpr_spill_count: 0
    .wavefront_size: 64
  - .agpr_count:     0
    .args:
      - .offset:         0
        .size:           136
        .value_kind:     by_value
    .group_segment_fixed_size: 0
    .kernarg_segment_align: 8
    .kernarg_segment_size: 136
    .language:       OpenCL C
    .language_version:
      - 2
      - 0
    .max_flat_workgroup_size: 256
    .name:           _ZN7rocprim17ROCPRIM_400000_NS6detail17trampoline_kernelINS0_14default_configENS1_27scan_by_key_config_selectorIxxEEZZNS1_16scan_by_key_implILNS1_25lookback_scan_determinismE0ELb0ES3_N6thrust23THRUST_200600_302600_NS6detail15normal_iteratorINS9_10device_ptrIxEEEESE_SE_xNS9_4plusIvEENS9_8equal_toIxEExEE10hipError_tPvRmT2_T3_T4_T5_mT6_T7_P12ihipStream_tbENKUlT_T0_E_clISt17integral_constantIbLb1EESY_IbLb0EEEEDaSU_SV_EUlSU_E_NS1_11comp_targetILNS1_3genE9ELNS1_11target_archE1100ELNS1_3gpuE3ELNS1_3repE0EEENS1_30default_config_static_selectorELNS0_4arch9wavefront6targetE1EEEvT1_
    .private_segment_fixed_size: 0
    .sgpr_count:     4
    .sgpr_spill_count: 0
    .symbol:         _ZN7rocprim17ROCPRIM_400000_NS6detail17trampoline_kernelINS0_14default_configENS1_27scan_by_key_config_selectorIxxEEZZNS1_16scan_by_key_implILNS1_25lookback_scan_determinismE0ELb0ES3_N6thrust23THRUST_200600_302600_NS6detail15normal_iteratorINS9_10device_ptrIxEEEESE_SE_xNS9_4plusIvEENS9_8equal_toIxEExEE10hipError_tPvRmT2_T3_T4_T5_mT6_T7_P12ihipStream_tbENKUlT_T0_E_clISt17integral_constantIbLb1EESY_IbLb0EEEEDaSU_SV_EUlSU_E_NS1_11comp_targetILNS1_3genE9ELNS1_11target_archE1100ELNS1_3gpuE3ELNS1_3repE0EEENS1_30default_config_static_selectorELNS0_4arch9wavefront6targetE1EEEvT1_.kd
    .uniform_work_group_size: 1
    .uses_dynamic_stack: false
    .vgpr_count:     0
    .vgpr_spill_count: 0
    .wavefront_size: 64
  - .agpr_count:     0
    .args:
      - .offset:         0
        .size:           136
        .value_kind:     by_value
    .group_segment_fixed_size: 0
    .kernarg_segment_align: 8
    .kernarg_segment_size: 136
    .language:       OpenCL C
    .language_version:
      - 2
      - 0
    .max_flat_workgroup_size: 256
    .name:           _ZN7rocprim17ROCPRIM_400000_NS6detail17trampoline_kernelINS0_14default_configENS1_27scan_by_key_config_selectorIxxEEZZNS1_16scan_by_key_implILNS1_25lookback_scan_determinismE0ELb0ES3_N6thrust23THRUST_200600_302600_NS6detail15normal_iteratorINS9_10device_ptrIxEEEESE_SE_xNS9_4plusIvEENS9_8equal_toIxEExEE10hipError_tPvRmT2_T3_T4_T5_mT6_T7_P12ihipStream_tbENKUlT_T0_E_clISt17integral_constantIbLb1EESY_IbLb0EEEEDaSU_SV_EUlSU_E_NS1_11comp_targetILNS1_3genE8ELNS1_11target_archE1030ELNS1_3gpuE2ELNS1_3repE0EEENS1_30default_config_static_selectorELNS0_4arch9wavefront6targetE1EEEvT1_
    .private_segment_fixed_size: 0
    .sgpr_count:     4
    .sgpr_spill_count: 0
    .symbol:         _ZN7rocprim17ROCPRIM_400000_NS6detail17trampoline_kernelINS0_14default_configENS1_27scan_by_key_config_selectorIxxEEZZNS1_16scan_by_key_implILNS1_25lookback_scan_determinismE0ELb0ES3_N6thrust23THRUST_200600_302600_NS6detail15normal_iteratorINS9_10device_ptrIxEEEESE_SE_xNS9_4plusIvEENS9_8equal_toIxEExEE10hipError_tPvRmT2_T3_T4_T5_mT6_T7_P12ihipStream_tbENKUlT_T0_E_clISt17integral_constantIbLb1EESY_IbLb0EEEEDaSU_SV_EUlSU_E_NS1_11comp_targetILNS1_3genE8ELNS1_11target_archE1030ELNS1_3gpuE2ELNS1_3repE0EEENS1_30default_config_static_selectorELNS0_4arch9wavefront6targetE1EEEvT1_.kd
    .uniform_work_group_size: 1
    .uses_dynamic_stack: false
    .vgpr_count:     0
    .vgpr_spill_count: 0
    .wavefront_size: 64
  - .agpr_count:     0
    .args:
      - .offset:         0
        .size:           136
        .value_kind:     by_value
    .group_segment_fixed_size: 0
    .kernarg_segment_align: 8
    .kernarg_segment_size: 136
    .language:       OpenCL C
    .language_version:
      - 2
      - 0
    .max_flat_workgroup_size: 256
    .name:           _ZN7rocprim17ROCPRIM_400000_NS6detail17trampoline_kernelINS0_14default_configENS1_27scan_by_key_config_selectorIxxEEZZNS1_16scan_by_key_implILNS1_25lookback_scan_determinismE0ELb0ES3_N6thrust23THRUST_200600_302600_NS6detail15normal_iteratorINS9_10device_ptrIxEEEESE_SE_xNS9_4plusIvEENS9_8equal_toIxEExEE10hipError_tPvRmT2_T3_T4_T5_mT6_T7_P12ihipStream_tbENKUlT_T0_E_clISt17integral_constantIbLb0EESY_IbLb1EEEEDaSU_SV_EUlSU_E_NS1_11comp_targetILNS1_3genE0ELNS1_11target_archE4294967295ELNS1_3gpuE0ELNS1_3repE0EEENS1_30default_config_static_selectorELNS0_4arch9wavefront6targetE1EEEvT1_
    .private_segment_fixed_size: 0
    .sgpr_count:     4
    .sgpr_spill_count: 0
    .symbol:         _ZN7rocprim17ROCPRIM_400000_NS6detail17trampoline_kernelINS0_14default_configENS1_27scan_by_key_config_selectorIxxEEZZNS1_16scan_by_key_implILNS1_25lookback_scan_determinismE0ELb0ES3_N6thrust23THRUST_200600_302600_NS6detail15normal_iteratorINS9_10device_ptrIxEEEESE_SE_xNS9_4plusIvEENS9_8equal_toIxEExEE10hipError_tPvRmT2_T3_T4_T5_mT6_T7_P12ihipStream_tbENKUlT_T0_E_clISt17integral_constantIbLb0EESY_IbLb1EEEEDaSU_SV_EUlSU_E_NS1_11comp_targetILNS1_3genE0ELNS1_11target_archE4294967295ELNS1_3gpuE0ELNS1_3repE0EEENS1_30default_config_static_selectorELNS0_4arch9wavefront6targetE1EEEvT1_.kd
    .uniform_work_group_size: 1
    .uses_dynamic_stack: false
    .vgpr_count:     0
    .vgpr_spill_count: 0
    .wavefront_size: 64
  - .agpr_count:     0
    .args:
      - .offset:         0
        .size:           136
        .value_kind:     by_value
    .group_segment_fixed_size: 0
    .kernarg_segment_align: 8
    .kernarg_segment_size: 136
    .language:       OpenCL C
    .language_version:
      - 2
      - 0
    .max_flat_workgroup_size: 256
    .name:           _ZN7rocprim17ROCPRIM_400000_NS6detail17trampoline_kernelINS0_14default_configENS1_27scan_by_key_config_selectorIxxEEZZNS1_16scan_by_key_implILNS1_25lookback_scan_determinismE0ELb0ES3_N6thrust23THRUST_200600_302600_NS6detail15normal_iteratorINS9_10device_ptrIxEEEESE_SE_xNS9_4plusIvEENS9_8equal_toIxEExEE10hipError_tPvRmT2_T3_T4_T5_mT6_T7_P12ihipStream_tbENKUlT_T0_E_clISt17integral_constantIbLb0EESY_IbLb1EEEEDaSU_SV_EUlSU_E_NS1_11comp_targetILNS1_3genE10ELNS1_11target_archE1201ELNS1_3gpuE5ELNS1_3repE0EEENS1_30default_config_static_selectorELNS0_4arch9wavefront6targetE1EEEvT1_
    .private_segment_fixed_size: 0
    .sgpr_count:     4
    .sgpr_spill_count: 0
    .symbol:         _ZN7rocprim17ROCPRIM_400000_NS6detail17trampoline_kernelINS0_14default_configENS1_27scan_by_key_config_selectorIxxEEZZNS1_16scan_by_key_implILNS1_25lookback_scan_determinismE0ELb0ES3_N6thrust23THRUST_200600_302600_NS6detail15normal_iteratorINS9_10device_ptrIxEEEESE_SE_xNS9_4plusIvEENS9_8equal_toIxEExEE10hipError_tPvRmT2_T3_T4_T5_mT6_T7_P12ihipStream_tbENKUlT_T0_E_clISt17integral_constantIbLb0EESY_IbLb1EEEEDaSU_SV_EUlSU_E_NS1_11comp_targetILNS1_3genE10ELNS1_11target_archE1201ELNS1_3gpuE5ELNS1_3repE0EEENS1_30default_config_static_selectorELNS0_4arch9wavefront6targetE1EEEvT1_.kd
    .uniform_work_group_size: 1
    .uses_dynamic_stack: false
    .vgpr_count:     0
    .vgpr_spill_count: 0
    .wavefront_size: 64
  - .agpr_count:     0
    .args:
      - .offset:         0
        .size:           136
        .value_kind:     by_value
    .group_segment_fixed_size: 0
    .kernarg_segment_align: 8
    .kernarg_segment_size: 136
    .language:       OpenCL C
    .language_version:
      - 2
      - 0
    .max_flat_workgroup_size: 256
    .name:           _ZN7rocprim17ROCPRIM_400000_NS6detail17trampoline_kernelINS0_14default_configENS1_27scan_by_key_config_selectorIxxEEZZNS1_16scan_by_key_implILNS1_25lookback_scan_determinismE0ELb0ES3_N6thrust23THRUST_200600_302600_NS6detail15normal_iteratorINS9_10device_ptrIxEEEESE_SE_xNS9_4plusIvEENS9_8equal_toIxEExEE10hipError_tPvRmT2_T3_T4_T5_mT6_T7_P12ihipStream_tbENKUlT_T0_E_clISt17integral_constantIbLb0EESY_IbLb1EEEEDaSU_SV_EUlSU_E_NS1_11comp_targetILNS1_3genE5ELNS1_11target_archE942ELNS1_3gpuE9ELNS1_3repE0EEENS1_30default_config_static_selectorELNS0_4arch9wavefront6targetE1EEEvT1_
    .private_segment_fixed_size: 0
    .sgpr_count:     4
    .sgpr_spill_count: 0
    .symbol:         _ZN7rocprim17ROCPRIM_400000_NS6detail17trampoline_kernelINS0_14default_configENS1_27scan_by_key_config_selectorIxxEEZZNS1_16scan_by_key_implILNS1_25lookback_scan_determinismE0ELb0ES3_N6thrust23THRUST_200600_302600_NS6detail15normal_iteratorINS9_10device_ptrIxEEEESE_SE_xNS9_4plusIvEENS9_8equal_toIxEExEE10hipError_tPvRmT2_T3_T4_T5_mT6_T7_P12ihipStream_tbENKUlT_T0_E_clISt17integral_constantIbLb0EESY_IbLb1EEEEDaSU_SV_EUlSU_E_NS1_11comp_targetILNS1_3genE5ELNS1_11target_archE942ELNS1_3gpuE9ELNS1_3repE0EEENS1_30default_config_static_selectorELNS0_4arch9wavefront6targetE1EEEvT1_.kd
    .uniform_work_group_size: 1
    .uses_dynamic_stack: false
    .vgpr_count:     0
    .vgpr_spill_count: 0
    .wavefront_size: 64
  - .agpr_count:     0
    .args:
      - .offset:         0
        .size:           136
        .value_kind:     by_value
    .group_segment_fixed_size: 10752
    .kernarg_segment_align: 8
    .kernarg_segment_size: 136
    .language:       OpenCL C
    .language_version:
      - 2
      - 0
    .max_flat_workgroup_size: 64
    .name:           _ZN7rocprim17ROCPRIM_400000_NS6detail17trampoline_kernelINS0_14default_configENS1_27scan_by_key_config_selectorIxxEEZZNS1_16scan_by_key_implILNS1_25lookback_scan_determinismE0ELb0ES3_N6thrust23THRUST_200600_302600_NS6detail15normal_iteratorINS9_10device_ptrIxEEEESE_SE_xNS9_4plusIvEENS9_8equal_toIxEExEE10hipError_tPvRmT2_T3_T4_T5_mT6_T7_P12ihipStream_tbENKUlT_T0_E_clISt17integral_constantIbLb0EESY_IbLb1EEEEDaSU_SV_EUlSU_E_NS1_11comp_targetILNS1_3genE4ELNS1_11target_archE910ELNS1_3gpuE8ELNS1_3repE0EEENS1_30default_config_static_selectorELNS0_4arch9wavefront6targetE1EEEvT1_
    .private_segment_fixed_size: 0
    .sgpr_count:     86
    .sgpr_spill_count: 0
    .symbol:         _ZN7rocprim17ROCPRIM_400000_NS6detail17trampoline_kernelINS0_14default_configENS1_27scan_by_key_config_selectorIxxEEZZNS1_16scan_by_key_implILNS1_25lookback_scan_determinismE0ELb0ES3_N6thrust23THRUST_200600_302600_NS6detail15normal_iteratorINS9_10device_ptrIxEEEESE_SE_xNS9_4plusIvEENS9_8equal_toIxEExEE10hipError_tPvRmT2_T3_T4_T5_mT6_T7_P12ihipStream_tbENKUlT_T0_E_clISt17integral_constantIbLb0EESY_IbLb1EEEEDaSU_SV_EUlSU_E_NS1_11comp_targetILNS1_3genE4ELNS1_11target_archE910ELNS1_3gpuE8ELNS1_3repE0EEENS1_30default_config_static_selectorELNS0_4arch9wavefront6targetE1EEEvT1_.kd
    .uniform_work_group_size: 1
    .uses_dynamic_stack: false
    .vgpr_count:     128
    .vgpr_spill_count: 0
    .wavefront_size: 64
  - .agpr_count:     0
    .args:
      - .offset:         0
        .size:           136
        .value_kind:     by_value
    .group_segment_fixed_size: 0
    .kernarg_segment_align: 8
    .kernarg_segment_size: 136
    .language:       OpenCL C
    .language_version:
      - 2
      - 0
    .max_flat_workgroup_size: 256
    .name:           _ZN7rocprim17ROCPRIM_400000_NS6detail17trampoline_kernelINS0_14default_configENS1_27scan_by_key_config_selectorIxxEEZZNS1_16scan_by_key_implILNS1_25lookback_scan_determinismE0ELb0ES3_N6thrust23THRUST_200600_302600_NS6detail15normal_iteratorINS9_10device_ptrIxEEEESE_SE_xNS9_4plusIvEENS9_8equal_toIxEExEE10hipError_tPvRmT2_T3_T4_T5_mT6_T7_P12ihipStream_tbENKUlT_T0_E_clISt17integral_constantIbLb0EESY_IbLb1EEEEDaSU_SV_EUlSU_E_NS1_11comp_targetILNS1_3genE3ELNS1_11target_archE908ELNS1_3gpuE7ELNS1_3repE0EEENS1_30default_config_static_selectorELNS0_4arch9wavefront6targetE1EEEvT1_
    .private_segment_fixed_size: 0
    .sgpr_count:     4
    .sgpr_spill_count: 0
    .symbol:         _ZN7rocprim17ROCPRIM_400000_NS6detail17trampoline_kernelINS0_14default_configENS1_27scan_by_key_config_selectorIxxEEZZNS1_16scan_by_key_implILNS1_25lookback_scan_determinismE0ELb0ES3_N6thrust23THRUST_200600_302600_NS6detail15normal_iteratorINS9_10device_ptrIxEEEESE_SE_xNS9_4plusIvEENS9_8equal_toIxEExEE10hipError_tPvRmT2_T3_T4_T5_mT6_T7_P12ihipStream_tbENKUlT_T0_E_clISt17integral_constantIbLb0EESY_IbLb1EEEEDaSU_SV_EUlSU_E_NS1_11comp_targetILNS1_3genE3ELNS1_11target_archE908ELNS1_3gpuE7ELNS1_3repE0EEENS1_30default_config_static_selectorELNS0_4arch9wavefront6targetE1EEEvT1_.kd
    .uniform_work_group_size: 1
    .uses_dynamic_stack: false
    .vgpr_count:     0
    .vgpr_spill_count: 0
    .wavefront_size: 64
  - .agpr_count:     0
    .args:
      - .offset:         0
        .size:           136
        .value_kind:     by_value
    .group_segment_fixed_size: 0
    .kernarg_segment_align: 8
    .kernarg_segment_size: 136
    .language:       OpenCL C
    .language_version:
      - 2
      - 0
    .max_flat_workgroup_size: 256
    .name:           _ZN7rocprim17ROCPRIM_400000_NS6detail17trampoline_kernelINS0_14default_configENS1_27scan_by_key_config_selectorIxxEEZZNS1_16scan_by_key_implILNS1_25lookback_scan_determinismE0ELb0ES3_N6thrust23THRUST_200600_302600_NS6detail15normal_iteratorINS9_10device_ptrIxEEEESE_SE_xNS9_4plusIvEENS9_8equal_toIxEExEE10hipError_tPvRmT2_T3_T4_T5_mT6_T7_P12ihipStream_tbENKUlT_T0_E_clISt17integral_constantIbLb0EESY_IbLb1EEEEDaSU_SV_EUlSU_E_NS1_11comp_targetILNS1_3genE2ELNS1_11target_archE906ELNS1_3gpuE6ELNS1_3repE0EEENS1_30default_config_static_selectorELNS0_4arch9wavefront6targetE1EEEvT1_
    .private_segment_fixed_size: 0
    .sgpr_count:     4
    .sgpr_spill_count: 0
    .symbol:         _ZN7rocprim17ROCPRIM_400000_NS6detail17trampoline_kernelINS0_14default_configENS1_27scan_by_key_config_selectorIxxEEZZNS1_16scan_by_key_implILNS1_25lookback_scan_determinismE0ELb0ES3_N6thrust23THRUST_200600_302600_NS6detail15normal_iteratorINS9_10device_ptrIxEEEESE_SE_xNS9_4plusIvEENS9_8equal_toIxEExEE10hipError_tPvRmT2_T3_T4_T5_mT6_T7_P12ihipStream_tbENKUlT_T0_E_clISt17integral_constantIbLb0EESY_IbLb1EEEEDaSU_SV_EUlSU_E_NS1_11comp_targetILNS1_3genE2ELNS1_11target_archE906ELNS1_3gpuE6ELNS1_3repE0EEENS1_30default_config_static_selectorELNS0_4arch9wavefront6targetE1EEEvT1_.kd
    .uniform_work_group_size: 1
    .uses_dynamic_stack: false
    .vgpr_count:     0
    .vgpr_spill_count: 0
    .wavefront_size: 64
  - .agpr_count:     0
    .args:
      - .offset:         0
        .size:           136
        .value_kind:     by_value
    .group_segment_fixed_size: 0
    .kernarg_segment_align: 8
    .kernarg_segment_size: 136
    .language:       OpenCL C
    .language_version:
      - 2
      - 0
    .max_flat_workgroup_size: 256
    .name:           _ZN7rocprim17ROCPRIM_400000_NS6detail17trampoline_kernelINS0_14default_configENS1_27scan_by_key_config_selectorIxxEEZZNS1_16scan_by_key_implILNS1_25lookback_scan_determinismE0ELb0ES3_N6thrust23THRUST_200600_302600_NS6detail15normal_iteratorINS9_10device_ptrIxEEEESE_SE_xNS9_4plusIvEENS9_8equal_toIxEExEE10hipError_tPvRmT2_T3_T4_T5_mT6_T7_P12ihipStream_tbENKUlT_T0_E_clISt17integral_constantIbLb0EESY_IbLb1EEEEDaSU_SV_EUlSU_E_NS1_11comp_targetILNS1_3genE10ELNS1_11target_archE1200ELNS1_3gpuE4ELNS1_3repE0EEENS1_30default_config_static_selectorELNS0_4arch9wavefront6targetE1EEEvT1_
    .private_segment_fixed_size: 0
    .sgpr_count:     4
    .sgpr_spill_count: 0
    .symbol:         _ZN7rocprim17ROCPRIM_400000_NS6detail17trampoline_kernelINS0_14default_configENS1_27scan_by_key_config_selectorIxxEEZZNS1_16scan_by_key_implILNS1_25lookback_scan_determinismE0ELb0ES3_N6thrust23THRUST_200600_302600_NS6detail15normal_iteratorINS9_10device_ptrIxEEEESE_SE_xNS9_4plusIvEENS9_8equal_toIxEExEE10hipError_tPvRmT2_T3_T4_T5_mT6_T7_P12ihipStream_tbENKUlT_T0_E_clISt17integral_constantIbLb0EESY_IbLb1EEEEDaSU_SV_EUlSU_E_NS1_11comp_targetILNS1_3genE10ELNS1_11target_archE1200ELNS1_3gpuE4ELNS1_3repE0EEENS1_30default_config_static_selectorELNS0_4arch9wavefront6targetE1EEEvT1_.kd
    .uniform_work_group_size: 1
    .uses_dynamic_stack: false
    .vgpr_count:     0
    .vgpr_spill_count: 0
    .wavefront_size: 64
  - .agpr_count:     0
    .args:
      - .offset:         0
        .size:           136
        .value_kind:     by_value
    .group_segment_fixed_size: 0
    .kernarg_segment_align: 8
    .kernarg_segment_size: 136
    .language:       OpenCL C
    .language_version:
      - 2
      - 0
    .max_flat_workgroup_size: 256
    .name:           _ZN7rocprim17ROCPRIM_400000_NS6detail17trampoline_kernelINS0_14default_configENS1_27scan_by_key_config_selectorIxxEEZZNS1_16scan_by_key_implILNS1_25lookback_scan_determinismE0ELb0ES3_N6thrust23THRUST_200600_302600_NS6detail15normal_iteratorINS9_10device_ptrIxEEEESE_SE_xNS9_4plusIvEENS9_8equal_toIxEExEE10hipError_tPvRmT2_T3_T4_T5_mT6_T7_P12ihipStream_tbENKUlT_T0_E_clISt17integral_constantIbLb0EESY_IbLb1EEEEDaSU_SV_EUlSU_E_NS1_11comp_targetILNS1_3genE9ELNS1_11target_archE1100ELNS1_3gpuE3ELNS1_3repE0EEENS1_30default_config_static_selectorELNS0_4arch9wavefront6targetE1EEEvT1_
    .private_segment_fixed_size: 0
    .sgpr_count:     4
    .sgpr_spill_count: 0
    .symbol:         _ZN7rocprim17ROCPRIM_400000_NS6detail17trampoline_kernelINS0_14default_configENS1_27scan_by_key_config_selectorIxxEEZZNS1_16scan_by_key_implILNS1_25lookback_scan_determinismE0ELb0ES3_N6thrust23THRUST_200600_302600_NS6detail15normal_iteratorINS9_10device_ptrIxEEEESE_SE_xNS9_4plusIvEENS9_8equal_toIxEExEE10hipError_tPvRmT2_T3_T4_T5_mT6_T7_P12ihipStream_tbENKUlT_T0_E_clISt17integral_constantIbLb0EESY_IbLb1EEEEDaSU_SV_EUlSU_E_NS1_11comp_targetILNS1_3genE9ELNS1_11target_archE1100ELNS1_3gpuE3ELNS1_3repE0EEENS1_30default_config_static_selectorELNS0_4arch9wavefront6targetE1EEEvT1_.kd
    .uniform_work_group_size: 1
    .uses_dynamic_stack: false
    .vgpr_count:     0
    .vgpr_spill_count: 0
    .wavefront_size: 64
  - .agpr_count:     0
    .args:
      - .offset:         0
        .size:           136
        .value_kind:     by_value
    .group_segment_fixed_size: 0
    .kernarg_segment_align: 8
    .kernarg_segment_size: 136
    .language:       OpenCL C
    .language_version:
      - 2
      - 0
    .max_flat_workgroup_size: 256
    .name:           _ZN7rocprim17ROCPRIM_400000_NS6detail17trampoline_kernelINS0_14default_configENS1_27scan_by_key_config_selectorIxxEEZZNS1_16scan_by_key_implILNS1_25lookback_scan_determinismE0ELb0ES3_N6thrust23THRUST_200600_302600_NS6detail15normal_iteratorINS9_10device_ptrIxEEEESE_SE_xNS9_4plusIvEENS9_8equal_toIxEExEE10hipError_tPvRmT2_T3_T4_T5_mT6_T7_P12ihipStream_tbENKUlT_T0_E_clISt17integral_constantIbLb0EESY_IbLb1EEEEDaSU_SV_EUlSU_E_NS1_11comp_targetILNS1_3genE8ELNS1_11target_archE1030ELNS1_3gpuE2ELNS1_3repE0EEENS1_30default_config_static_selectorELNS0_4arch9wavefront6targetE1EEEvT1_
    .private_segment_fixed_size: 0
    .sgpr_count:     4
    .sgpr_spill_count: 0
    .symbol:         _ZN7rocprim17ROCPRIM_400000_NS6detail17trampoline_kernelINS0_14default_configENS1_27scan_by_key_config_selectorIxxEEZZNS1_16scan_by_key_implILNS1_25lookback_scan_determinismE0ELb0ES3_N6thrust23THRUST_200600_302600_NS6detail15normal_iteratorINS9_10device_ptrIxEEEESE_SE_xNS9_4plusIvEENS9_8equal_toIxEExEE10hipError_tPvRmT2_T3_T4_T5_mT6_T7_P12ihipStream_tbENKUlT_T0_E_clISt17integral_constantIbLb0EESY_IbLb1EEEEDaSU_SV_EUlSU_E_NS1_11comp_targetILNS1_3genE8ELNS1_11target_archE1030ELNS1_3gpuE2ELNS1_3repE0EEENS1_30default_config_static_selectorELNS0_4arch9wavefront6targetE1EEEvT1_.kd
    .uniform_work_group_size: 1
    .uses_dynamic_stack: false
    .vgpr_count:     0
    .vgpr_spill_count: 0
    .wavefront_size: 64
  - .agpr_count:     0
    .args:
      - .offset:         0
        .size:           16
        .value_kind:     by_value
      - .offset:         16
        .size:           8
        .value_kind:     by_value
      - .offset:         24
        .size:           8
        .value_kind:     by_value
    .group_segment_fixed_size: 0
    .kernarg_segment_align: 8
    .kernarg_segment_size: 32
    .language:       OpenCL C
    .language_version:
      - 2
      - 0
    .max_flat_workgroup_size: 256
    .name:           _ZN6thrust23THRUST_200600_302600_NS11hip_rocprim14__parallel_for6kernelILj256ENS1_20__uninitialized_fill7functorINS0_10device_ptrIiEEiEEmLj1EEEvT0_T1_SA_
    .private_segment_fixed_size: 0
    .sgpr_count:     16
    .sgpr_spill_count: 0
    .symbol:         _ZN6thrust23THRUST_200600_302600_NS11hip_rocprim14__parallel_for6kernelILj256ENS1_20__uninitialized_fill7functorINS0_10device_ptrIiEEiEEmLj1EEEvT0_T1_SA_.kd
    .uniform_work_group_size: 1
    .uses_dynamic_stack: false
    .vgpr_count:     4
    .vgpr_spill_count: 0
    .wavefront_size: 64
  - .agpr_count:     0
    .args:
      - .address_space:  global
        .offset:         0
        .size:           8
        .value_kind:     global_buffer
      - .offset:         8
        .size:           4
        .value_kind:     by_value
      - .offset:         12
        .size:           4
        .value_kind:     by_value
      - .address_space:  global
        .offset:         16
        .size:           8
        .value_kind:     global_buffer
      - .address_space:  global
        .offset:         24
        .size:           8
        .value_kind:     global_buffer
      - .actual_access:  write_only
        .address_space:  global
        .offset:         32
        .size:           8
        .value_kind:     global_buffer
      - .offset:         40
        .size:           8
        .value_kind:     by_value
      - .offset:         48
        .size:           4
        .value_kind:     by_value
      - .offset:         52
        .size:           1
        .value_kind:     by_value
      - .offset:         56
        .size:           4
        .value_kind:     hidden_block_count_x
      - .offset:         60
        .size:           4
        .value_kind:     hidden_block_count_y
      - .offset:         64
        .size:           4
        .value_kind:     hidden_block_count_z
      - .offset:         68
        .size:           2
        .value_kind:     hidden_group_size_x
      - .offset:         70
        .size:           2
        .value_kind:     hidden_group_size_y
      - .offset:         72
        .size:           2
        .value_kind:     hidden_group_size_z
      - .offset:         74
        .size:           2
        .value_kind:     hidden_remainder_x
      - .offset:         76
        .size:           2
        .value_kind:     hidden_remainder_y
      - .offset:         78
        .size:           2
        .value_kind:     hidden_remainder_z
      - .offset:         96
        .size:           8
        .value_kind:     hidden_global_offset_x
      - .offset:         104
        .size:           8
        .value_kind:     hidden_global_offset_y
      - .offset:         112
        .size:           8
        .value_kind:     hidden_global_offset_z
      - .offset:         120
        .size:           2
        .value_kind:     hidden_grid_dims
    .group_segment_fixed_size: 0
    .kernarg_segment_align: 8
    .kernarg_segment_size: 312
    .language:       OpenCL C
    .language_version:
      - 2
      - 0
    .max_flat_workgroup_size: 256
    .name:           _ZN7rocprim17ROCPRIM_400000_NS6detail30init_device_scan_by_key_kernelINS1_19lookback_scan_stateINS0_5tupleIJibEEELb0ELb1EEEN6thrust23THRUST_200600_302600_NS6detail15normal_iteratorINS8_10device_ptrIiEEEEjNS1_16block_id_wrapperIjLb0EEEEEvT_jjPNSG_10value_typeET0_PNSt15iterator_traitsISJ_E10value_typeEmT1_T2_
    .private_segment_fixed_size: 0
    .sgpr_count:     24
    .sgpr_spill_count: 0
    .symbol:         _ZN7rocprim17ROCPRIM_400000_NS6detail30init_device_scan_by_key_kernelINS1_19lookback_scan_stateINS0_5tupleIJibEEELb0ELb1EEEN6thrust23THRUST_200600_302600_NS6detail15normal_iteratorINS8_10device_ptrIiEEEEjNS1_16block_id_wrapperIjLb0EEEEEvT_jjPNSG_10value_typeET0_PNSt15iterator_traitsISJ_E10value_typeEmT1_T2_.kd
    .uniform_work_group_size: 1
    .uses_dynamic_stack: false
    .vgpr_count:     10
    .vgpr_spill_count: 0
    .wavefront_size: 64
  - .agpr_count:     0
    .args:
      - .address_space:  global
        .offset:         0
        .size:           8
        .value_kind:     global_buffer
      - .offset:         8
        .size:           4
        .value_kind:     by_value
      - .offset:         12
        .size:           4
        .value_kind:     by_value
      - .address_space:  global
        .offset:         16
        .size:           8
        .value_kind:     global_buffer
      - .offset:         24
        .size:           1
        .value_kind:     by_value
      - .offset:         32
        .size:           4
        .value_kind:     hidden_block_count_x
      - .offset:         36
        .size:           4
        .value_kind:     hidden_block_count_y
      - .offset:         40
        .size:           4
        .value_kind:     hidden_block_count_z
      - .offset:         44
        .size:           2
        .value_kind:     hidden_group_size_x
      - .offset:         46
        .size:           2
        .value_kind:     hidden_group_size_y
      - .offset:         48
        .size:           2
        .value_kind:     hidden_group_size_z
      - .offset:         50
        .size:           2
        .value_kind:     hidden_remainder_x
      - .offset:         52
        .size:           2
        .value_kind:     hidden_remainder_y
      - .offset:         54
        .size:           2
        .value_kind:     hidden_remainder_z
      - .offset:         72
        .size:           8
        .value_kind:     hidden_global_offset_x
      - .offset:         80
        .size:           8
        .value_kind:     hidden_global_offset_y
      - .offset:         88
        .size:           8
        .value_kind:     hidden_global_offset_z
      - .offset:         96
        .size:           2
        .value_kind:     hidden_grid_dims
    .group_segment_fixed_size: 0
    .kernarg_segment_align: 8
    .kernarg_segment_size: 288
    .language:       OpenCL C
    .language_version:
      - 2
      - 0
    .max_flat_workgroup_size: 256
    .name:           _ZN7rocprim17ROCPRIM_400000_NS6detail30init_device_scan_by_key_kernelINS1_19lookback_scan_stateINS0_5tupleIJibEEELb0ELb1EEENS1_16block_id_wrapperIjLb0EEEEEvT_jjPNS9_10value_typeET0_
    .private_segment_fixed_size: 0
    .sgpr_count:     18
    .sgpr_spill_count: 0
    .symbol:         _ZN7rocprim17ROCPRIM_400000_NS6detail30init_device_scan_by_key_kernelINS1_19lookback_scan_stateINS0_5tupleIJibEEELb0ELb1EEENS1_16block_id_wrapperIjLb0EEEEEvT_jjPNS9_10value_typeET0_.kd
    .uniform_work_group_size: 1
    .uses_dynamic_stack: false
    .vgpr_count:     10
    .vgpr_spill_count: 0
    .wavefront_size: 64
  - .agpr_count:     0
    .args:
      - .offset:         0
        .size:           112
        .value_kind:     by_value
    .group_segment_fixed_size: 0
    .kernarg_segment_align: 8
    .kernarg_segment_size: 112
    .language:       OpenCL C
    .language_version:
      - 2
      - 0
    .max_flat_workgroup_size: 256
    .name:           _ZN7rocprim17ROCPRIM_400000_NS6detail17trampoline_kernelINS0_14default_configENS1_27scan_by_key_config_selectorIiiEEZZNS1_16scan_by_key_implILNS1_25lookback_scan_determinismE0ELb0ES3_N6thrust23THRUST_200600_302600_NS6detail15normal_iteratorINS9_10device_ptrIiEEEESE_SE_iNS9_4plusIvEENS9_8equal_toIvEEiEE10hipError_tPvRmT2_T3_T4_T5_mT6_T7_P12ihipStream_tbENKUlT_T0_E_clISt17integral_constantIbLb0EESZ_EEDaSU_SV_EUlSU_E_NS1_11comp_targetILNS1_3genE0ELNS1_11target_archE4294967295ELNS1_3gpuE0ELNS1_3repE0EEENS1_30default_config_static_selectorELNS0_4arch9wavefront6targetE1EEEvT1_
    .private_segment_fixed_size: 0
    .sgpr_count:     4
    .sgpr_spill_count: 0
    .symbol:         _ZN7rocprim17ROCPRIM_400000_NS6detail17trampoline_kernelINS0_14default_configENS1_27scan_by_key_config_selectorIiiEEZZNS1_16scan_by_key_implILNS1_25lookback_scan_determinismE0ELb0ES3_N6thrust23THRUST_200600_302600_NS6detail15normal_iteratorINS9_10device_ptrIiEEEESE_SE_iNS9_4plusIvEENS9_8equal_toIvEEiEE10hipError_tPvRmT2_T3_T4_T5_mT6_T7_P12ihipStream_tbENKUlT_T0_E_clISt17integral_constantIbLb0EESZ_EEDaSU_SV_EUlSU_E_NS1_11comp_targetILNS1_3genE0ELNS1_11target_archE4294967295ELNS1_3gpuE0ELNS1_3repE0EEENS1_30default_config_static_selectorELNS0_4arch9wavefront6targetE1EEEvT1_.kd
    .uniform_work_group_size: 1
    .uses_dynamic_stack: false
    .vgpr_count:     0
    .vgpr_spill_count: 0
    .wavefront_size: 64
  - .agpr_count:     0
    .args:
      - .offset:         0
        .size:           112
        .value_kind:     by_value
    .group_segment_fixed_size: 0
    .kernarg_segment_align: 8
    .kernarg_segment_size: 112
    .language:       OpenCL C
    .language_version:
      - 2
      - 0
    .max_flat_workgroup_size: 256
    .name:           _ZN7rocprim17ROCPRIM_400000_NS6detail17trampoline_kernelINS0_14default_configENS1_27scan_by_key_config_selectorIiiEEZZNS1_16scan_by_key_implILNS1_25lookback_scan_determinismE0ELb0ES3_N6thrust23THRUST_200600_302600_NS6detail15normal_iteratorINS9_10device_ptrIiEEEESE_SE_iNS9_4plusIvEENS9_8equal_toIvEEiEE10hipError_tPvRmT2_T3_T4_T5_mT6_T7_P12ihipStream_tbENKUlT_T0_E_clISt17integral_constantIbLb0EESZ_EEDaSU_SV_EUlSU_E_NS1_11comp_targetILNS1_3genE10ELNS1_11target_archE1201ELNS1_3gpuE5ELNS1_3repE0EEENS1_30default_config_static_selectorELNS0_4arch9wavefront6targetE1EEEvT1_
    .private_segment_fixed_size: 0
    .sgpr_count:     4
    .sgpr_spill_count: 0
    .symbol:         _ZN7rocprim17ROCPRIM_400000_NS6detail17trampoline_kernelINS0_14default_configENS1_27scan_by_key_config_selectorIiiEEZZNS1_16scan_by_key_implILNS1_25lookback_scan_determinismE0ELb0ES3_N6thrust23THRUST_200600_302600_NS6detail15normal_iteratorINS9_10device_ptrIiEEEESE_SE_iNS9_4plusIvEENS9_8equal_toIvEEiEE10hipError_tPvRmT2_T3_T4_T5_mT6_T7_P12ihipStream_tbENKUlT_T0_E_clISt17integral_constantIbLb0EESZ_EEDaSU_SV_EUlSU_E_NS1_11comp_targetILNS1_3genE10ELNS1_11target_archE1201ELNS1_3gpuE5ELNS1_3repE0EEENS1_30default_config_static_selectorELNS0_4arch9wavefront6targetE1EEEvT1_.kd
    .uniform_work_group_size: 1
    .uses_dynamic_stack: false
    .vgpr_count:     0
    .vgpr_spill_count: 0
    .wavefront_size: 64
  - .agpr_count:     0
    .args:
      - .offset:         0
        .size:           112
        .value_kind:     by_value
    .group_segment_fixed_size: 0
    .kernarg_segment_align: 8
    .kernarg_segment_size: 112
    .language:       OpenCL C
    .language_version:
      - 2
      - 0
    .max_flat_workgroup_size: 256
    .name:           _ZN7rocprim17ROCPRIM_400000_NS6detail17trampoline_kernelINS0_14default_configENS1_27scan_by_key_config_selectorIiiEEZZNS1_16scan_by_key_implILNS1_25lookback_scan_determinismE0ELb0ES3_N6thrust23THRUST_200600_302600_NS6detail15normal_iteratorINS9_10device_ptrIiEEEESE_SE_iNS9_4plusIvEENS9_8equal_toIvEEiEE10hipError_tPvRmT2_T3_T4_T5_mT6_T7_P12ihipStream_tbENKUlT_T0_E_clISt17integral_constantIbLb0EESZ_EEDaSU_SV_EUlSU_E_NS1_11comp_targetILNS1_3genE5ELNS1_11target_archE942ELNS1_3gpuE9ELNS1_3repE0EEENS1_30default_config_static_selectorELNS0_4arch9wavefront6targetE1EEEvT1_
    .private_segment_fixed_size: 0
    .sgpr_count:     4
    .sgpr_spill_count: 0
    .symbol:         _ZN7rocprim17ROCPRIM_400000_NS6detail17trampoline_kernelINS0_14default_configENS1_27scan_by_key_config_selectorIiiEEZZNS1_16scan_by_key_implILNS1_25lookback_scan_determinismE0ELb0ES3_N6thrust23THRUST_200600_302600_NS6detail15normal_iteratorINS9_10device_ptrIiEEEESE_SE_iNS9_4plusIvEENS9_8equal_toIvEEiEE10hipError_tPvRmT2_T3_T4_T5_mT6_T7_P12ihipStream_tbENKUlT_T0_E_clISt17integral_constantIbLb0EESZ_EEDaSU_SV_EUlSU_E_NS1_11comp_targetILNS1_3genE5ELNS1_11target_archE942ELNS1_3gpuE9ELNS1_3repE0EEENS1_30default_config_static_selectorELNS0_4arch9wavefront6targetE1EEEvT1_.kd
    .uniform_work_group_size: 1
    .uses_dynamic_stack: false
    .vgpr_count:     0
    .vgpr_spill_count: 0
    .wavefront_size: 64
  - .agpr_count:     0
    .args:
      - .offset:         0
        .size:           112
        .value_kind:     by_value
    .group_segment_fixed_size: 16384
    .kernarg_segment_align: 8
    .kernarg_segment_size: 112
    .language:       OpenCL C
    .language_version:
      - 2
      - 0
    .max_flat_workgroup_size: 256
    .name:           _ZN7rocprim17ROCPRIM_400000_NS6detail17trampoline_kernelINS0_14default_configENS1_27scan_by_key_config_selectorIiiEEZZNS1_16scan_by_key_implILNS1_25lookback_scan_determinismE0ELb0ES3_N6thrust23THRUST_200600_302600_NS6detail15normal_iteratorINS9_10device_ptrIiEEEESE_SE_iNS9_4plusIvEENS9_8equal_toIvEEiEE10hipError_tPvRmT2_T3_T4_T5_mT6_T7_P12ihipStream_tbENKUlT_T0_E_clISt17integral_constantIbLb0EESZ_EEDaSU_SV_EUlSU_E_NS1_11comp_targetILNS1_3genE4ELNS1_11target_archE910ELNS1_3gpuE8ELNS1_3repE0EEENS1_30default_config_static_selectorELNS0_4arch9wavefront6targetE1EEEvT1_
    .private_segment_fixed_size: 0
    .sgpr_count:     65
    .sgpr_spill_count: 0
    .symbol:         _ZN7rocprim17ROCPRIM_400000_NS6detail17trampoline_kernelINS0_14default_configENS1_27scan_by_key_config_selectorIiiEEZZNS1_16scan_by_key_implILNS1_25lookback_scan_determinismE0ELb0ES3_N6thrust23THRUST_200600_302600_NS6detail15normal_iteratorINS9_10device_ptrIiEEEESE_SE_iNS9_4plusIvEENS9_8equal_toIvEEiEE10hipError_tPvRmT2_T3_T4_T5_mT6_T7_P12ihipStream_tbENKUlT_T0_E_clISt17integral_constantIbLb0EESZ_EEDaSU_SV_EUlSU_E_NS1_11comp_targetILNS1_3genE4ELNS1_11target_archE910ELNS1_3gpuE8ELNS1_3repE0EEENS1_30default_config_static_selectorELNS0_4arch9wavefront6targetE1EEEvT1_.kd
    .uniform_work_group_size: 1
    .uses_dynamic_stack: false
    .vgpr_count:     65
    .vgpr_spill_count: 0
    .wavefront_size: 64
  - .agpr_count:     0
    .args:
      - .offset:         0
        .size:           112
        .value_kind:     by_value
    .group_segment_fixed_size: 0
    .kernarg_segment_align: 8
    .kernarg_segment_size: 112
    .language:       OpenCL C
    .language_version:
      - 2
      - 0
    .max_flat_workgroup_size: 256
    .name:           _ZN7rocprim17ROCPRIM_400000_NS6detail17trampoline_kernelINS0_14default_configENS1_27scan_by_key_config_selectorIiiEEZZNS1_16scan_by_key_implILNS1_25lookback_scan_determinismE0ELb0ES3_N6thrust23THRUST_200600_302600_NS6detail15normal_iteratorINS9_10device_ptrIiEEEESE_SE_iNS9_4plusIvEENS9_8equal_toIvEEiEE10hipError_tPvRmT2_T3_T4_T5_mT6_T7_P12ihipStream_tbENKUlT_T0_E_clISt17integral_constantIbLb0EESZ_EEDaSU_SV_EUlSU_E_NS1_11comp_targetILNS1_3genE3ELNS1_11target_archE908ELNS1_3gpuE7ELNS1_3repE0EEENS1_30default_config_static_selectorELNS0_4arch9wavefront6targetE1EEEvT1_
    .private_segment_fixed_size: 0
    .sgpr_count:     4
    .sgpr_spill_count: 0
    .symbol:         _ZN7rocprim17ROCPRIM_400000_NS6detail17trampoline_kernelINS0_14default_configENS1_27scan_by_key_config_selectorIiiEEZZNS1_16scan_by_key_implILNS1_25lookback_scan_determinismE0ELb0ES3_N6thrust23THRUST_200600_302600_NS6detail15normal_iteratorINS9_10device_ptrIiEEEESE_SE_iNS9_4plusIvEENS9_8equal_toIvEEiEE10hipError_tPvRmT2_T3_T4_T5_mT6_T7_P12ihipStream_tbENKUlT_T0_E_clISt17integral_constantIbLb0EESZ_EEDaSU_SV_EUlSU_E_NS1_11comp_targetILNS1_3genE3ELNS1_11target_archE908ELNS1_3gpuE7ELNS1_3repE0EEENS1_30default_config_static_selectorELNS0_4arch9wavefront6targetE1EEEvT1_.kd
    .uniform_work_group_size: 1
    .uses_dynamic_stack: false
    .vgpr_count:     0
    .vgpr_spill_count: 0
    .wavefront_size: 64
  - .agpr_count:     0
    .args:
      - .offset:         0
        .size:           112
        .value_kind:     by_value
    .group_segment_fixed_size: 0
    .kernarg_segment_align: 8
    .kernarg_segment_size: 112
    .language:       OpenCL C
    .language_version:
      - 2
      - 0
    .max_flat_workgroup_size: 256
    .name:           _ZN7rocprim17ROCPRIM_400000_NS6detail17trampoline_kernelINS0_14default_configENS1_27scan_by_key_config_selectorIiiEEZZNS1_16scan_by_key_implILNS1_25lookback_scan_determinismE0ELb0ES3_N6thrust23THRUST_200600_302600_NS6detail15normal_iteratorINS9_10device_ptrIiEEEESE_SE_iNS9_4plusIvEENS9_8equal_toIvEEiEE10hipError_tPvRmT2_T3_T4_T5_mT6_T7_P12ihipStream_tbENKUlT_T0_E_clISt17integral_constantIbLb0EESZ_EEDaSU_SV_EUlSU_E_NS1_11comp_targetILNS1_3genE2ELNS1_11target_archE906ELNS1_3gpuE6ELNS1_3repE0EEENS1_30default_config_static_selectorELNS0_4arch9wavefront6targetE1EEEvT1_
    .private_segment_fixed_size: 0
    .sgpr_count:     4
    .sgpr_spill_count: 0
    .symbol:         _ZN7rocprim17ROCPRIM_400000_NS6detail17trampoline_kernelINS0_14default_configENS1_27scan_by_key_config_selectorIiiEEZZNS1_16scan_by_key_implILNS1_25lookback_scan_determinismE0ELb0ES3_N6thrust23THRUST_200600_302600_NS6detail15normal_iteratorINS9_10device_ptrIiEEEESE_SE_iNS9_4plusIvEENS9_8equal_toIvEEiEE10hipError_tPvRmT2_T3_T4_T5_mT6_T7_P12ihipStream_tbENKUlT_T0_E_clISt17integral_constantIbLb0EESZ_EEDaSU_SV_EUlSU_E_NS1_11comp_targetILNS1_3genE2ELNS1_11target_archE906ELNS1_3gpuE6ELNS1_3repE0EEENS1_30default_config_static_selectorELNS0_4arch9wavefront6targetE1EEEvT1_.kd
    .uniform_work_group_size: 1
    .uses_dynamic_stack: false
    .vgpr_count:     0
    .vgpr_spill_count: 0
    .wavefront_size: 64
  - .agpr_count:     0
    .args:
      - .offset:         0
        .size:           112
        .value_kind:     by_value
    .group_segment_fixed_size: 0
    .kernarg_segment_align: 8
    .kernarg_segment_size: 112
    .language:       OpenCL C
    .language_version:
      - 2
      - 0
    .max_flat_workgroup_size: 256
    .name:           _ZN7rocprim17ROCPRIM_400000_NS6detail17trampoline_kernelINS0_14default_configENS1_27scan_by_key_config_selectorIiiEEZZNS1_16scan_by_key_implILNS1_25lookback_scan_determinismE0ELb0ES3_N6thrust23THRUST_200600_302600_NS6detail15normal_iteratorINS9_10device_ptrIiEEEESE_SE_iNS9_4plusIvEENS9_8equal_toIvEEiEE10hipError_tPvRmT2_T3_T4_T5_mT6_T7_P12ihipStream_tbENKUlT_T0_E_clISt17integral_constantIbLb0EESZ_EEDaSU_SV_EUlSU_E_NS1_11comp_targetILNS1_3genE10ELNS1_11target_archE1200ELNS1_3gpuE4ELNS1_3repE0EEENS1_30default_config_static_selectorELNS0_4arch9wavefront6targetE1EEEvT1_
    .private_segment_fixed_size: 0
    .sgpr_count:     4
    .sgpr_spill_count: 0
    .symbol:         _ZN7rocprim17ROCPRIM_400000_NS6detail17trampoline_kernelINS0_14default_configENS1_27scan_by_key_config_selectorIiiEEZZNS1_16scan_by_key_implILNS1_25lookback_scan_determinismE0ELb0ES3_N6thrust23THRUST_200600_302600_NS6detail15normal_iteratorINS9_10device_ptrIiEEEESE_SE_iNS9_4plusIvEENS9_8equal_toIvEEiEE10hipError_tPvRmT2_T3_T4_T5_mT6_T7_P12ihipStream_tbENKUlT_T0_E_clISt17integral_constantIbLb0EESZ_EEDaSU_SV_EUlSU_E_NS1_11comp_targetILNS1_3genE10ELNS1_11target_archE1200ELNS1_3gpuE4ELNS1_3repE0EEENS1_30default_config_static_selectorELNS0_4arch9wavefront6targetE1EEEvT1_.kd
    .uniform_work_group_size: 1
    .uses_dynamic_stack: false
    .vgpr_count:     0
    .vgpr_spill_count: 0
    .wavefront_size: 64
  - .agpr_count:     0
    .args:
      - .offset:         0
        .size:           112
        .value_kind:     by_value
    .group_segment_fixed_size: 0
    .kernarg_segment_align: 8
    .kernarg_segment_size: 112
    .language:       OpenCL C
    .language_version:
      - 2
      - 0
    .max_flat_workgroup_size: 256
    .name:           _ZN7rocprim17ROCPRIM_400000_NS6detail17trampoline_kernelINS0_14default_configENS1_27scan_by_key_config_selectorIiiEEZZNS1_16scan_by_key_implILNS1_25lookback_scan_determinismE0ELb0ES3_N6thrust23THRUST_200600_302600_NS6detail15normal_iteratorINS9_10device_ptrIiEEEESE_SE_iNS9_4plusIvEENS9_8equal_toIvEEiEE10hipError_tPvRmT2_T3_T4_T5_mT6_T7_P12ihipStream_tbENKUlT_T0_E_clISt17integral_constantIbLb0EESZ_EEDaSU_SV_EUlSU_E_NS1_11comp_targetILNS1_3genE9ELNS1_11target_archE1100ELNS1_3gpuE3ELNS1_3repE0EEENS1_30default_config_static_selectorELNS0_4arch9wavefront6targetE1EEEvT1_
    .private_segment_fixed_size: 0
    .sgpr_count:     4
    .sgpr_spill_count: 0
    .symbol:         _ZN7rocprim17ROCPRIM_400000_NS6detail17trampoline_kernelINS0_14default_configENS1_27scan_by_key_config_selectorIiiEEZZNS1_16scan_by_key_implILNS1_25lookback_scan_determinismE0ELb0ES3_N6thrust23THRUST_200600_302600_NS6detail15normal_iteratorINS9_10device_ptrIiEEEESE_SE_iNS9_4plusIvEENS9_8equal_toIvEEiEE10hipError_tPvRmT2_T3_T4_T5_mT6_T7_P12ihipStream_tbENKUlT_T0_E_clISt17integral_constantIbLb0EESZ_EEDaSU_SV_EUlSU_E_NS1_11comp_targetILNS1_3genE9ELNS1_11target_archE1100ELNS1_3gpuE3ELNS1_3repE0EEENS1_30default_config_static_selectorELNS0_4arch9wavefront6targetE1EEEvT1_.kd
    .uniform_work_group_size: 1
    .uses_dynamic_stack: false
    .vgpr_count:     0
    .vgpr_spill_count: 0
    .wavefront_size: 64
  - .agpr_count:     0
    .args:
      - .offset:         0
        .size:           112
        .value_kind:     by_value
    .group_segment_fixed_size: 0
    .kernarg_segment_align: 8
    .kernarg_segment_size: 112
    .language:       OpenCL C
    .language_version:
      - 2
      - 0
    .max_flat_workgroup_size: 256
    .name:           _ZN7rocprim17ROCPRIM_400000_NS6detail17trampoline_kernelINS0_14default_configENS1_27scan_by_key_config_selectorIiiEEZZNS1_16scan_by_key_implILNS1_25lookback_scan_determinismE0ELb0ES3_N6thrust23THRUST_200600_302600_NS6detail15normal_iteratorINS9_10device_ptrIiEEEESE_SE_iNS9_4plusIvEENS9_8equal_toIvEEiEE10hipError_tPvRmT2_T3_T4_T5_mT6_T7_P12ihipStream_tbENKUlT_T0_E_clISt17integral_constantIbLb0EESZ_EEDaSU_SV_EUlSU_E_NS1_11comp_targetILNS1_3genE8ELNS1_11target_archE1030ELNS1_3gpuE2ELNS1_3repE0EEENS1_30default_config_static_selectorELNS0_4arch9wavefront6targetE1EEEvT1_
    .private_segment_fixed_size: 0
    .sgpr_count:     4
    .sgpr_spill_count: 0
    .symbol:         _ZN7rocprim17ROCPRIM_400000_NS6detail17trampoline_kernelINS0_14default_configENS1_27scan_by_key_config_selectorIiiEEZZNS1_16scan_by_key_implILNS1_25lookback_scan_determinismE0ELb0ES3_N6thrust23THRUST_200600_302600_NS6detail15normal_iteratorINS9_10device_ptrIiEEEESE_SE_iNS9_4plusIvEENS9_8equal_toIvEEiEE10hipError_tPvRmT2_T3_T4_T5_mT6_T7_P12ihipStream_tbENKUlT_T0_E_clISt17integral_constantIbLb0EESZ_EEDaSU_SV_EUlSU_E_NS1_11comp_targetILNS1_3genE8ELNS1_11target_archE1030ELNS1_3gpuE2ELNS1_3repE0EEENS1_30default_config_static_selectorELNS0_4arch9wavefront6targetE1EEEvT1_.kd
    .uniform_work_group_size: 1
    .uses_dynamic_stack: false
    .vgpr_count:     0
    .vgpr_spill_count: 0
    .wavefront_size: 64
  - .agpr_count:     0
    .args:
      - .address_space:  global
        .offset:         0
        .size:           8
        .value_kind:     global_buffer
      - .offset:         8
        .size:           4
        .value_kind:     by_value
      - .offset:         12
        .size:           4
        .value_kind:     by_value
      - .address_space:  global
        .offset:         16
        .size:           8
        .value_kind:     global_buffer
      - .address_space:  global
        .offset:         24
        .size:           8
        .value_kind:     global_buffer
      - .actual_access:  write_only
        .address_space:  global
        .offset:         32
        .size:           8
        .value_kind:     global_buffer
      - .offset:         40
        .size:           8
        .value_kind:     by_value
      - .offset:         48
        .size:           4
        .value_kind:     by_value
      - .address_space:  global
        .offset:         56
        .size:           8
        .value_kind:     global_buffer
      - .offset:         64
        .size:           4
        .value_kind:     hidden_block_count_x
      - .offset:         68
        .size:           4
        .value_kind:     hidden_block_count_y
      - .offset:         72
        .size:           4
        .value_kind:     hidden_block_count_z
      - .offset:         76
        .size:           2
        .value_kind:     hidden_group_size_x
      - .offset:         78
        .size:           2
        .value_kind:     hidden_group_size_y
      - .offset:         80
        .size:           2
        .value_kind:     hidden_group_size_z
      - .offset:         82
        .size:           2
        .value_kind:     hidden_remainder_x
      - .offset:         84
        .size:           2
        .value_kind:     hidden_remainder_y
      - .offset:         86
        .size:           2
        .value_kind:     hidden_remainder_z
      - .offset:         104
        .size:           8
        .value_kind:     hidden_global_offset_x
      - .offset:         112
        .size:           8
        .value_kind:     hidden_global_offset_y
      - .offset:         120
        .size:           8
        .value_kind:     hidden_global_offset_z
      - .offset:         128
        .size:           2
        .value_kind:     hidden_grid_dims
    .group_segment_fixed_size: 0
    .kernarg_segment_align: 8
    .kernarg_segment_size: 320
    .language:       OpenCL C
    .language_version:
      - 2
      - 0
    .max_flat_workgroup_size: 256
    .name:           _ZN7rocprim17ROCPRIM_400000_NS6detail30init_device_scan_by_key_kernelINS1_19lookback_scan_stateINS0_5tupleIJibEEELb1ELb1EEEN6thrust23THRUST_200600_302600_NS6detail15normal_iteratorINS8_10device_ptrIiEEEEjNS1_16block_id_wrapperIjLb1EEEEEvT_jjPNSG_10value_typeET0_PNSt15iterator_traitsISJ_E10value_typeEmT1_T2_
    .private_segment_fixed_size: 0
    .sgpr_count:     24
    .sgpr_spill_count: 0
    .symbol:         _ZN7rocprim17ROCPRIM_400000_NS6detail30init_device_scan_by_key_kernelINS1_19lookback_scan_stateINS0_5tupleIJibEEELb1ELb1EEEN6thrust23THRUST_200600_302600_NS6detail15normal_iteratorINS8_10device_ptrIiEEEEjNS1_16block_id_wrapperIjLb1EEEEEvT_jjPNSG_10value_typeET0_PNSt15iterator_traitsISJ_E10value_typeEmT1_T2_.kd
    .uniform_work_group_size: 1
    .uses_dynamic_stack: false
    .vgpr_count:     10
    .vgpr_spill_count: 0
    .wavefront_size: 64
  - .agpr_count:     0
    .args:
      - .address_space:  global
        .offset:         0
        .size:           8
        .value_kind:     global_buffer
      - .offset:         8
        .size:           4
        .value_kind:     by_value
      - .offset:         12
        .size:           4
        .value_kind:     by_value
      - .address_space:  global
        .offset:         16
        .size:           8
        .value_kind:     global_buffer
      - .address_space:  global
        .offset:         24
        .size:           8
        .value_kind:     global_buffer
      - .offset:         32
        .size:           4
        .value_kind:     hidden_block_count_x
      - .offset:         36
        .size:           4
        .value_kind:     hidden_block_count_y
      - .offset:         40
        .size:           4
        .value_kind:     hidden_block_count_z
      - .offset:         44
        .size:           2
        .value_kind:     hidden_group_size_x
      - .offset:         46
        .size:           2
        .value_kind:     hidden_group_size_y
      - .offset:         48
        .size:           2
        .value_kind:     hidden_group_size_z
      - .offset:         50
        .size:           2
        .value_kind:     hidden_remainder_x
      - .offset:         52
        .size:           2
        .value_kind:     hidden_remainder_y
      - .offset:         54
        .size:           2
        .value_kind:     hidden_remainder_z
      - .offset:         72
        .size:           8
        .value_kind:     hidden_global_offset_x
      - .offset:         80
        .size:           8
        .value_kind:     hidden_global_offset_y
      - .offset:         88
        .size:           8
        .value_kind:     hidden_global_offset_z
      - .offset:         96
        .size:           2
        .value_kind:     hidden_grid_dims
    .group_segment_fixed_size: 0
    .kernarg_segment_align: 8
    .kernarg_segment_size: 288
    .language:       OpenCL C
    .language_version:
      - 2
      - 0
    .max_flat_workgroup_size: 256
    .name:           _ZN7rocprim17ROCPRIM_400000_NS6detail30init_device_scan_by_key_kernelINS1_19lookback_scan_stateINS0_5tupleIJibEEELb1ELb1EEENS1_16block_id_wrapperIjLb1EEEEEvT_jjPNS9_10value_typeET0_
    .private_segment_fixed_size: 0
    .sgpr_count:     20
    .sgpr_spill_count: 0
    .symbol:         _ZN7rocprim17ROCPRIM_400000_NS6detail30init_device_scan_by_key_kernelINS1_19lookback_scan_stateINS0_5tupleIJibEEELb1ELb1EEENS1_16block_id_wrapperIjLb1EEEEEvT_jjPNS9_10value_typeET0_.kd
    .uniform_work_group_size: 1
    .uses_dynamic_stack: false
    .vgpr_count:     10
    .vgpr_spill_count: 0
    .wavefront_size: 64
  - .agpr_count:     0
    .args:
      - .offset:         0
        .size:           112
        .value_kind:     by_value
    .group_segment_fixed_size: 0
    .kernarg_segment_align: 8
    .kernarg_segment_size: 112
    .language:       OpenCL C
    .language_version:
      - 2
      - 0
    .max_flat_workgroup_size: 256
    .name:           _ZN7rocprim17ROCPRIM_400000_NS6detail17trampoline_kernelINS0_14default_configENS1_27scan_by_key_config_selectorIiiEEZZNS1_16scan_by_key_implILNS1_25lookback_scan_determinismE0ELb0ES3_N6thrust23THRUST_200600_302600_NS6detail15normal_iteratorINS9_10device_ptrIiEEEESE_SE_iNS9_4plusIvEENS9_8equal_toIvEEiEE10hipError_tPvRmT2_T3_T4_T5_mT6_T7_P12ihipStream_tbENKUlT_T0_E_clISt17integral_constantIbLb1EESZ_EEDaSU_SV_EUlSU_E_NS1_11comp_targetILNS1_3genE0ELNS1_11target_archE4294967295ELNS1_3gpuE0ELNS1_3repE0EEENS1_30default_config_static_selectorELNS0_4arch9wavefront6targetE1EEEvT1_
    .private_segment_fixed_size: 0
    .sgpr_count:     4
    .sgpr_spill_count: 0
    .symbol:         _ZN7rocprim17ROCPRIM_400000_NS6detail17trampoline_kernelINS0_14default_configENS1_27scan_by_key_config_selectorIiiEEZZNS1_16scan_by_key_implILNS1_25lookback_scan_determinismE0ELb0ES3_N6thrust23THRUST_200600_302600_NS6detail15normal_iteratorINS9_10device_ptrIiEEEESE_SE_iNS9_4plusIvEENS9_8equal_toIvEEiEE10hipError_tPvRmT2_T3_T4_T5_mT6_T7_P12ihipStream_tbENKUlT_T0_E_clISt17integral_constantIbLb1EESZ_EEDaSU_SV_EUlSU_E_NS1_11comp_targetILNS1_3genE0ELNS1_11target_archE4294967295ELNS1_3gpuE0ELNS1_3repE0EEENS1_30default_config_static_selectorELNS0_4arch9wavefront6targetE1EEEvT1_.kd
    .uniform_work_group_size: 1
    .uses_dynamic_stack: false
    .vgpr_count:     0
    .vgpr_spill_count: 0
    .wavefront_size: 64
  - .agpr_count:     0
    .args:
      - .offset:         0
        .size:           112
        .value_kind:     by_value
    .group_segment_fixed_size: 0
    .kernarg_segment_align: 8
    .kernarg_segment_size: 112
    .language:       OpenCL C
    .language_version:
      - 2
      - 0
    .max_flat_workgroup_size: 256
    .name:           _ZN7rocprim17ROCPRIM_400000_NS6detail17trampoline_kernelINS0_14default_configENS1_27scan_by_key_config_selectorIiiEEZZNS1_16scan_by_key_implILNS1_25lookback_scan_determinismE0ELb0ES3_N6thrust23THRUST_200600_302600_NS6detail15normal_iteratorINS9_10device_ptrIiEEEESE_SE_iNS9_4plusIvEENS9_8equal_toIvEEiEE10hipError_tPvRmT2_T3_T4_T5_mT6_T7_P12ihipStream_tbENKUlT_T0_E_clISt17integral_constantIbLb1EESZ_EEDaSU_SV_EUlSU_E_NS1_11comp_targetILNS1_3genE10ELNS1_11target_archE1201ELNS1_3gpuE5ELNS1_3repE0EEENS1_30default_config_static_selectorELNS0_4arch9wavefront6targetE1EEEvT1_
    .private_segment_fixed_size: 0
    .sgpr_count:     4
    .sgpr_spill_count: 0
    .symbol:         _ZN7rocprim17ROCPRIM_400000_NS6detail17trampoline_kernelINS0_14default_configENS1_27scan_by_key_config_selectorIiiEEZZNS1_16scan_by_key_implILNS1_25lookback_scan_determinismE0ELb0ES3_N6thrust23THRUST_200600_302600_NS6detail15normal_iteratorINS9_10device_ptrIiEEEESE_SE_iNS9_4plusIvEENS9_8equal_toIvEEiEE10hipError_tPvRmT2_T3_T4_T5_mT6_T7_P12ihipStream_tbENKUlT_T0_E_clISt17integral_constantIbLb1EESZ_EEDaSU_SV_EUlSU_E_NS1_11comp_targetILNS1_3genE10ELNS1_11target_archE1201ELNS1_3gpuE5ELNS1_3repE0EEENS1_30default_config_static_selectorELNS0_4arch9wavefront6targetE1EEEvT1_.kd
    .uniform_work_group_size: 1
    .uses_dynamic_stack: false
    .vgpr_count:     0
    .vgpr_spill_count: 0
    .wavefront_size: 64
  - .agpr_count:     0
    .args:
      - .offset:         0
        .size:           112
        .value_kind:     by_value
    .group_segment_fixed_size: 0
    .kernarg_segment_align: 8
    .kernarg_segment_size: 112
    .language:       OpenCL C
    .language_version:
      - 2
      - 0
    .max_flat_workgroup_size: 256
    .name:           _ZN7rocprim17ROCPRIM_400000_NS6detail17trampoline_kernelINS0_14default_configENS1_27scan_by_key_config_selectorIiiEEZZNS1_16scan_by_key_implILNS1_25lookback_scan_determinismE0ELb0ES3_N6thrust23THRUST_200600_302600_NS6detail15normal_iteratorINS9_10device_ptrIiEEEESE_SE_iNS9_4plusIvEENS9_8equal_toIvEEiEE10hipError_tPvRmT2_T3_T4_T5_mT6_T7_P12ihipStream_tbENKUlT_T0_E_clISt17integral_constantIbLb1EESZ_EEDaSU_SV_EUlSU_E_NS1_11comp_targetILNS1_3genE5ELNS1_11target_archE942ELNS1_3gpuE9ELNS1_3repE0EEENS1_30default_config_static_selectorELNS0_4arch9wavefront6targetE1EEEvT1_
    .private_segment_fixed_size: 0
    .sgpr_count:     4
    .sgpr_spill_count: 0
    .symbol:         _ZN7rocprim17ROCPRIM_400000_NS6detail17trampoline_kernelINS0_14default_configENS1_27scan_by_key_config_selectorIiiEEZZNS1_16scan_by_key_implILNS1_25lookback_scan_determinismE0ELb0ES3_N6thrust23THRUST_200600_302600_NS6detail15normal_iteratorINS9_10device_ptrIiEEEESE_SE_iNS9_4plusIvEENS9_8equal_toIvEEiEE10hipError_tPvRmT2_T3_T4_T5_mT6_T7_P12ihipStream_tbENKUlT_T0_E_clISt17integral_constantIbLb1EESZ_EEDaSU_SV_EUlSU_E_NS1_11comp_targetILNS1_3genE5ELNS1_11target_archE942ELNS1_3gpuE9ELNS1_3repE0EEENS1_30default_config_static_selectorELNS0_4arch9wavefront6targetE1EEEvT1_.kd
    .uniform_work_group_size: 1
    .uses_dynamic_stack: false
    .vgpr_count:     0
    .vgpr_spill_count: 0
    .wavefront_size: 64
  - .agpr_count:     0
    .args:
      - .offset:         0
        .size:           112
        .value_kind:     by_value
    .group_segment_fixed_size: 16384
    .kernarg_segment_align: 8
    .kernarg_segment_size: 112
    .language:       OpenCL C
    .language_version:
      - 2
      - 0
    .max_flat_workgroup_size: 256
    .name:           _ZN7rocprim17ROCPRIM_400000_NS6detail17trampoline_kernelINS0_14default_configENS1_27scan_by_key_config_selectorIiiEEZZNS1_16scan_by_key_implILNS1_25lookback_scan_determinismE0ELb0ES3_N6thrust23THRUST_200600_302600_NS6detail15normal_iteratorINS9_10device_ptrIiEEEESE_SE_iNS9_4plusIvEENS9_8equal_toIvEEiEE10hipError_tPvRmT2_T3_T4_T5_mT6_T7_P12ihipStream_tbENKUlT_T0_E_clISt17integral_constantIbLb1EESZ_EEDaSU_SV_EUlSU_E_NS1_11comp_targetILNS1_3genE4ELNS1_11target_archE910ELNS1_3gpuE8ELNS1_3repE0EEENS1_30default_config_static_selectorELNS0_4arch9wavefront6targetE1EEEvT1_
    .private_segment_fixed_size: 0
    .sgpr_count:     69
    .sgpr_spill_count: 0
    .symbol:         _ZN7rocprim17ROCPRIM_400000_NS6detail17trampoline_kernelINS0_14default_configENS1_27scan_by_key_config_selectorIiiEEZZNS1_16scan_by_key_implILNS1_25lookback_scan_determinismE0ELb0ES3_N6thrust23THRUST_200600_302600_NS6detail15normal_iteratorINS9_10device_ptrIiEEEESE_SE_iNS9_4plusIvEENS9_8equal_toIvEEiEE10hipError_tPvRmT2_T3_T4_T5_mT6_T7_P12ihipStream_tbENKUlT_T0_E_clISt17integral_constantIbLb1EESZ_EEDaSU_SV_EUlSU_E_NS1_11comp_targetILNS1_3genE4ELNS1_11target_archE910ELNS1_3gpuE8ELNS1_3repE0EEENS1_30default_config_static_selectorELNS0_4arch9wavefront6targetE1EEEvT1_.kd
    .uniform_work_group_size: 1
    .uses_dynamic_stack: false
    .vgpr_count:     65
    .vgpr_spill_count: 0
    .wavefront_size: 64
  - .agpr_count:     0
    .args:
      - .offset:         0
        .size:           112
        .value_kind:     by_value
    .group_segment_fixed_size: 0
    .kernarg_segment_align: 8
    .kernarg_segment_size: 112
    .language:       OpenCL C
    .language_version:
      - 2
      - 0
    .max_flat_workgroup_size: 256
    .name:           _ZN7rocprim17ROCPRIM_400000_NS6detail17trampoline_kernelINS0_14default_configENS1_27scan_by_key_config_selectorIiiEEZZNS1_16scan_by_key_implILNS1_25lookback_scan_determinismE0ELb0ES3_N6thrust23THRUST_200600_302600_NS6detail15normal_iteratorINS9_10device_ptrIiEEEESE_SE_iNS9_4plusIvEENS9_8equal_toIvEEiEE10hipError_tPvRmT2_T3_T4_T5_mT6_T7_P12ihipStream_tbENKUlT_T0_E_clISt17integral_constantIbLb1EESZ_EEDaSU_SV_EUlSU_E_NS1_11comp_targetILNS1_3genE3ELNS1_11target_archE908ELNS1_3gpuE7ELNS1_3repE0EEENS1_30default_config_static_selectorELNS0_4arch9wavefront6targetE1EEEvT1_
    .private_segment_fixed_size: 0
    .sgpr_count:     4
    .sgpr_spill_count: 0
    .symbol:         _ZN7rocprim17ROCPRIM_400000_NS6detail17trampoline_kernelINS0_14default_configENS1_27scan_by_key_config_selectorIiiEEZZNS1_16scan_by_key_implILNS1_25lookback_scan_determinismE0ELb0ES3_N6thrust23THRUST_200600_302600_NS6detail15normal_iteratorINS9_10device_ptrIiEEEESE_SE_iNS9_4plusIvEENS9_8equal_toIvEEiEE10hipError_tPvRmT2_T3_T4_T5_mT6_T7_P12ihipStream_tbENKUlT_T0_E_clISt17integral_constantIbLb1EESZ_EEDaSU_SV_EUlSU_E_NS1_11comp_targetILNS1_3genE3ELNS1_11target_archE908ELNS1_3gpuE7ELNS1_3repE0EEENS1_30default_config_static_selectorELNS0_4arch9wavefront6targetE1EEEvT1_.kd
    .uniform_work_group_size: 1
    .uses_dynamic_stack: false
    .vgpr_count:     0
    .vgpr_spill_count: 0
    .wavefront_size: 64
  - .agpr_count:     0
    .args:
      - .offset:         0
        .size:           112
        .value_kind:     by_value
    .group_segment_fixed_size: 0
    .kernarg_segment_align: 8
    .kernarg_segment_size: 112
    .language:       OpenCL C
    .language_version:
      - 2
      - 0
    .max_flat_workgroup_size: 256
    .name:           _ZN7rocprim17ROCPRIM_400000_NS6detail17trampoline_kernelINS0_14default_configENS1_27scan_by_key_config_selectorIiiEEZZNS1_16scan_by_key_implILNS1_25lookback_scan_determinismE0ELb0ES3_N6thrust23THRUST_200600_302600_NS6detail15normal_iteratorINS9_10device_ptrIiEEEESE_SE_iNS9_4plusIvEENS9_8equal_toIvEEiEE10hipError_tPvRmT2_T3_T4_T5_mT6_T7_P12ihipStream_tbENKUlT_T0_E_clISt17integral_constantIbLb1EESZ_EEDaSU_SV_EUlSU_E_NS1_11comp_targetILNS1_3genE2ELNS1_11target_archE906ELNS1_3gpuE6ELNS1_3repE0EEENS1_30default_config_static_selectorELNS0_4arch9wavefront6targetE1EEEvT1_
    .private_segment_fixed_size: 0
    .sgpr_count:     4
    .sgpr_spill_count: 0
    .symbol:         _ZN7rocprim17ROCPRIM_400000_NS6detail17trampoline_kernelINS0_14default_configENS1_27scan_by_key_config_selectorIiiEEZZNS1_16scan_by_key_implILNS1_25lookback_scan_determinismE0ELb0ES3_N6thrust23THRUST_200600_302600_NS6detail15normal_iteratorINS9_10device_ptrIiEEEESE_SE_iNS9_4plusIvEENS9_8equal_toIvEEiEE10hipError_tPvRmT2_T3_T4_T5_mT6_T7_P12ihipStream_tbENKUlT_T0_E_clISt17integral_constantIbLb1EESZ_EEDaSU_SV_EUlSU_E_NS1_11comp_targetILNS1_3genE2ELNS1_11target_archE906ELNS1_3gpuE6ELNS1_3repE0EEENS1_30default_config_static_selectorELNS0_4arch9wavefront6targetE1EEEvT1_.kd
    .uniform_work_group_size: 1
    .uses_dynamic_stack: false
    .vgpr_count:     0
    .vgpr_spill_count: 0
    .wavefront_size: 64
  - .agpr_count:     0
    .args:
      - .offset:         0
        .size:           112
        .value_kind:     by_value
    .group_segment_fixed_size: 0
    .kernarg_segment_align: 8
    .kernarg_segment_size: 112
    .language:       OpenCL C
    .language_version:
      - 2
      - 0
    .max_flat_workgroup_size: 256
    .name:           _ZN7rocprim17ROCPRIM_400000_NS6detail17trampoline_kernelINS0_14default_configENS1_27scan_by_key_config_selectorIiiEEZZNS1_16scan_by_key_implILNS1_25lookback_scan_determinismE0ELb0ES3_N6thrust23THRUST_200600_302600_NS6detail15normal_iteratorINS9_10device_ptrIiEEEESE_SE_iNS9_4plusIvEENS9_8equal_toIvEEiEE10hipError_tPvRmT2_T3_T4_T5_mT6_T7_P12ihipStream_tbENKUlT_T0_E_clISt17integral_constantIbLb1EESZ_EEDaSU_SV_EUlSU_E_NS1_11comp_targetILNS1_3genE10ELNS1_11target_archE1200ELNS1_3gpuE4ELNS1_3repE0EEENS1_30default_config_static_selectorELNS0_4arch9wavefront6targetE1EEEvT1_
    .private_segment_fixed_size: 0
    .sgpr_count:     4
    .sgpr_spill_count: 0
    .symbol:         _ZN7rocprim17ROCPRIM_400000_NS6detail17trampoline_kernelINS0_14default_configENS1_27scan_by_key_config_selectorIiiEEZZNS1_16scan_by_key_implILNS1_25lookback_scan_determinismE0ELb0ES3_N6thrust23THRUST_200600_302600_NS6detail15normal_iteratorINS9_10device_ptrIiEEEESE_SE_iNS9_4plusIvEENS9_8equal_toIvEEiEE10hipError_tPvRmT2_T3_T4_T5_mT6_T7_P12ihipStream_tbENKUlT_T0_E_clISt17integral_constantIbLb1EESZ_EEDaSU_SV_EUlSU_E_NS1_11comp_targetILNS1_3genE10ELNS1_11target_archE1200ELNS1_3gpuE4ELNS1_3repE0EEENS1_30default_config_static_selectorELNS0_4arch9wavefront6targetE1EEEvT1_.kd
    .uniform_work_group_size: 1
    .uses_dynamic_stack: false
    .vgpr_count:     0
    .vgpr_spill_count: 0
    .wavefront_size: 64
  - .agpr_count:     0
    .args:
      - .offset:         0
        .size:           112
        .value_kind:     by_value
    .group_segment_fixed_size: 0
    .kernarg_segment_align: 8
    .kernarg_segment_size: 112
    .language:       OpenCL C
    .language_version:
      - 2
      - 0
    .max_flat_workgroup_size: 256
    .name:           _ZN7rocprim17ROCPRIM_400000_NS6detail17trampoline_kernelINS0_14default_configENS1_27scan_by_key_config_selectorIiiEEZZNS1_16scan_by_key_implILNS1_25lookback_scan_determinismE0ELb0ES3_N6thrust23THRUST_200600_302600_NS6detail15normal_iteratorINS9_10device_ptrIiEEEESE_SE_iNS9_4plusIvEENS9_8equal_toIvEEiEE10hipError_tPvRmT2_T3_T4_T5_mT6_T7_P12ihipStream_tbENKUlT_T0_E_clISt17integral_constantIbLb1EESZ_EEDaSU_SV_EUlSU_E_NS1_11comp_targetILNS1_3genE9ELNS1_11target_archE1100ELNS1_3gpuE3ELNS1_3repE0EEENS1_30default_config_static_selectorELNS0_4arch9wavefront6targetE1EEEvT1_
    .private_segment_fixed_size: 0
    .sgpr_count:     4
    .sgpr_spill_count: 0
    .symbol:         _ZN7rocprim17ROCPRIM_400000_NS6detail17trampoline_kernelINS0_14default_configENS1_27scan_by_key_config_selectorIiiEEZZNS1_16scan_by_key_implILNS1_25lookback_scan_determinismE0ELb0ES3_N6thrust23THRUST_200600_302600_NS6detail15normal_iteratorINS9_10device_ptrIiEEEESE_SE_iNS9_4plusIvEENS9_8equal_toIvEEiEE10hipError_tPvRmT2_T3_T4_T5_mT6_T7_P12ihipStream_tbENKUlT_T0_E_clISt17integral_constantIbLb1EESZ_EEDaSU_SV_EUlSU_E_NS1_11comp_targetILNS1_3genE9ELNS1_11target_archE1100ELNS1_3gpuE3ELNS1_3repE0EEENS1_30default_config_static_selectorELNS0_4arch9wavefront6targetE1EEEvT1_.kd
    .uniform_work_group_size: 1
    .uses_dynamic_stack: false
    .vgpr_count:     0
    .vgpr_spill_count: 0
    .wavefront_size: 64
  - .agpr_count:     0
    .args:
      - .offset:         0
        .size:           112
        .value_kind:     by_value
    .group_segment_fixed_size: 0
    .kernarg_segment_align: 8
    .kernarg_segment_size: 112
    .language:       OpenCL C
    .language_version:
      - 2
      - 0
    .max_flat_workgroup_size: 256
    .name:           _ZN7rocprim17ROCPRIM_400000_NS6detail17trampoline_kernelINS0_14default_configENS1_27scan_by_key_config_selectorIiiEEZZNS1_16scan_by_key_implILNS1_25lookback_scan_determinismE0ELb0ES3_N6thrust23THRUST_200600_302600_NS6detail15normal_iteratorINS9_10device_ptrIiEEEESE_SE_iNS9_4plusIvEENS9_8equal_toIvEEiEE10hipError_tPvRmT2_T3_T4_T5_mT6_T7_P12ihipStream_tbENKUlT_T0_E_clISt17integral_constantIbLb1EESZ_EEDaSU_SV_EUlSU_E_NS1_11comp_targetILNS1_3genE8ELNS1_11target_archE1030ELNS1_3gpuE2ELNS1_3repE0EEENS1_30default_config_static_selectorELNS0_4arch9wavefront6targetE1EEEvT1_
    .private_segment_fixed_size: 0
    .sgpr_count:     4
    .sgpr_spill_count: 0
    .symbol:         _ZN7rocprim17ROCPRIM_400000_NS6detail17trampoline_kernelINS0_14default_configENS1_27scan_by_key_config_selectorIiiEEZZNS1_16scan_by_key_implILNS1_25lookback_scan_determinismE0ELb0ES3_N6thrust23THRUST_200600_302600_NS6detail15normal_iteratorINS9_10device_ptrIiEEEESE_SE_iNS9_4plusIvEENS9_8equal_toIvEEiEE10hipError_tPvRmT2_T3_T4_T5_mT6_T7_P12ihipStream_tbENKUlT_T0_E_clISt17integral_constantIbLb1EESZ_EEDaSU_SV_EUlSU_E_NS1_11comp_targetILNS1_3genE8ELNS1_11target_archE1030ELNS1_3gpuE2ELNS1_3repE0EEENS1_30default_config_static_selectorELNS0_4arch9wavefront6targetE1EEEvT1_.kd
    .uniform_work_group_size: 1
    .uses_dynamic_stack: false
    .vgpr_count:     0
    .vgpr_spill_count: 0
    .wavefront_size: 64
  - .agpr_count:     0
    .args:
      - .address_space:  global
        .offset:         0
        .size:           8
        .value_kind:     global_buffer
      - .offset:         8
        .size:           4
        .value_kind:     by_value
      - .offset:         12
        .size:           4
        .value_kind:     by_value
      - .address_space:  global
        .offset:         16
        .size:           8
        .value_kind:     global_buffer
      - .address_space:  global
        .offset:         24
        .size:           8
        .value_kind:     global_buffer
      - .actual_access:  write_only
        .address_space:  global
        .offset:         32
        .size:           8
        .value_kind:     global_buffer
      - .offset:         40
        .size:           8
        .value_kind:     by_value
      - .offset:         48
        .size:           4
        .value_kind:     by_value
      - .offset:         52
        .size:           1
        .value_kind:     by_value
      - .offset:         56
        .size:           4
        .value_kind:     hidden_block_count_x
      - .offset:         60
        .size:           4
        .value_kind:     hidden_block_count_y
      - .offset:         64
        .size:           4
        .value_kind:     hidden_block_count_z
      - .offset:         68
        .size:           2
        .value_kind:     hidden_group_size_x
      - .offset:         70
        .size:           2
        .value_kind:     hidden_group_size_y
      - .offset:         72
        .size:           2
        .value_kind:     hidden_group_size_z
      - .offset:         74
        .size:           2
        .value_kind:     hidden_remainder_x
      - .offset:         76
        .size:           2
        .value_kind:     hidden_remainder_y
      - .offset:         78
        .size:           2
        .value_kind:     hidden_remainder_z
      - .offset:         96
        .size:           8
        .value_kind:     hidden_global_offset_x
      - .offset:         104
        .size:           8
        .value_kind:     hidden_global_offset_y
      - .offset:         112
        .size:           8
        .value_kind:     hidden_global_offset_z
      - .offset:         120
        .size:           2
        .value_kind:     hidden_grid_dims
    .group_segment_fixed_size: 0
    .kernarg_segment_align: 8
    .kernarg_segment_size: 312
    .language:       OpenCL C
    .language_version:
      - 2
      - 0
    .max_flat_workgroup_size: 256
    .name:           _ZN7rocprim17ROCPRIM_400000_NS6detail30init_device_scan_by_key_kernelINS1_19lookback_scan_stateINS0_5tupleIJibEEELb1ELb1EEEN6thrust23THRUST_200600_302600_NS6detail15normal_iteratorINS8_10device_ptrIiEEEEjNS1_16block_id_wrapperIjLb0EEEEEvT_jjPNSG_10value_typeET0_PNSt15iterator_traitsISJ_E10value_typeEmT1_T2_
    .private_segment_fixed_size: 0
    .sgpr_count:     24
    .sgpr_spill_count: 0
    .symbol:         _ZN7rocprim17ROCPRIM_400000_NS6detail30init_device_scan_by_key_kernelINS1_19lookback_scan_stateINS0_5tupleIJibEEELb1ELb1EEEN6thrust23THRUST_200600_302600_NS6detail15normal_iteratorINS8_10device_ptrIiEEEEjNS1_16block_id_wrapperIjLb0EEEEEvT_jjPNSG_10value_typeET0_PNSt15iterator_traitsISJ_E10value_typeEmT1_T2_.kd
    .uniform_work_group_size: 1
    .uses_dynamic_stack: false
    .vgpr_count:     10
    .vgpr_spill_count: 0
    .wavefront_size: 64
  - .agpr_count:     0
    .args:
      - .address_space:  global
        .offset:         0
        .size:           8
        .value_kind:     global_buffer
      - .offset:         8
        .size:           4
        .value_kind:     by_value
      - .offset:         12
        .size:           4
        .value_kind:     by_value
      - .address_space:  global
        .offset:         16
        .size:           8
        .value_kind:     global_buffer
      - .offset:         24
        .size:           1
        .value_kind:     by_value
      - .offset:         32
        .size:           4
        .value_kind:     hidden_block_count_x
      - .offset:         36
        .size:           4
        .value_kind:     hidden_block_count_y
      - .offset:         40
        .size:           4
        .value_kind:     hidden_block_count_z
      - .offset:         44
        .size:           2
        .value_kind:     hidden_group_size_x
      - .offset:         46
        .size:           2
        .value_kind:     hidden_group_size_y
      - .offset:         48
        .size:           2
        .value_kind:     hidden_group_size_z
      - .offset:         50
        .size:           2
        .value_kind:     hidden_remainder_x
      - .offset:         52
        .size:           2
        .value_kind:     hidden_remainder_y
      - .offset:         54
        .size:           2
        .value_kind:     hidden_remainder_z
      - .offset:         72
        .size:           8
        .value_kind:     hidden_global_offset_x
      - .offset:         80
        .size:           8
        .value_kind:     hidden_global_offset_y
      - .offset:         88
        .size:           8
        .value_kind:     hidden_global_offset_z
      - .offset:         96
        .size:           2
        .value_kind:     hidden_grid_dims
    .group_segment_fixed_size: 0
    .kernarg_segment_align: 8
    .kernarg_segment_size: 288
    .language:       OpenCL C
    .language_version:
      - 2
      - 0
    .max_flat_workgroup_size: 256
    .name:           _ZN7rocprim17ROCPRIM_400000_NS6detail30init_device_scan_by_key_kernelINS1_19lookback_scan_stateINS0_5tupleIJibEEELb1ELb1EEENS1_16block_id_wrapperIjLb0EEEEEvT_jjPNS9_10value_typeET0_
    .private_segment_fixed_size: 0
    .sgpr_count:     18
    .sgpr_spill_count: 0
    .symbol:         _ZN7rocprim17ROCPRIM_400000_NS6detail30init_device_scan_by_key_kernelINS1_19lookback_scan_stateINS0_5tupleIJibEEELb1ELb1EEENS1_16block_id_wrapperIjLb0EEEEEvT_jjPNS9_10value_typeET0_.kd
    .uniform_work_group_size: 1
    .uses_dynamic_stack: false
    .vgpr_count:     10
    .vgpr_spill_count: 0
    .wavefront_size: 64
  - .agpr_count:     0
    .args:
      - .offset:         0
        .size:           112
        .value_kind:     by_value
    .group_segment_fixed_size: 0
    .kernarg_segment_align: 8
    .kernarg_segment_size: 112
    .language:       OpenCL C
    .language_version:
      - 2
      - 0
    .max_flat_workgroup_size: 256
    .name:           _ZN7rocprim17ROCPRIM_400000_NS6detail17trampoline_kernelINS0_14default_configENS1_27scan_by_key_config_selectorIiiEEZZNS1_16scan_by_key_implILNS1_25lookback_scan_determinismE0ELb0ES3_N6thrust23THRUST_200600_302600_NS6detail15normal_iteratorINS9_10device_ptrIiEEEESE_SE_iNS9_4plusIvEENS9_8equal_toIvEEiEE10hipError_tPvRmT2_T3_T4_T5_mT6_T7_P12ihipStream_tbENKUlT_T0_E_clISt17integral_constantIbLb1EESY_IbLb0EEEEDaSU_SV_EUlSU_E_NS1_11comp_targetILNS1_3genE0ELNS1_11target_archE4294967295ELNS1_3gpuE0ELNS1_3repE0EEENS1_30default_config_static_selectorELNS0_4arch9wavefront6targetE1EEEvT1_
    .private_segment_fixed_size: 0
    .sgpr_count:     4
    .sgpr_spill_count: 0
    .symbol:         _ZN7rocprim17ROCPRIM_400000_NS6detail17trampoline_kernelINS0_14default_configENS1_27scan_by_key_config_selectorIiiEEZZNS1_16scan_by_key_implILNS1_25lookback_scan_determinismE0ELb0ES3_N6thrust23THRUST_200600_302600_NS6detail15normal_iteratorINS9_10device_ptrIiEEEESE_SE_iNS9_4plusIvEENS9_8equal_toIvEEiEE10hipError_tPvRmT2_T3_T4_T5_mT6_T7_P12ihipStream_tbENKUlT_T0_E_clISt17integral_constantIbLb1EESY_IbLb0EEEEDaSU_SV_EUlSU_E_NS1_11comp_targetILNS1_3genE0ELNS1_11target_archE4294967295ELNS1_3gpuE0ELNS1_3repE0EEENS1_30default_config_static_selectorELNS0_4arch9wavefront6targetE1EEEvT1_.kd
    .uniform_work_group_size: 1
    .uses_dynamic_stack: false
    .vgpr_count:     0
    .vgpr_spill_count: 0
    .wavefront_size: 64
  - .agpr_count:     0
    .args:
      - .offset:         0
        .size:           112
        .value_kind:     by_value
    .group_segment_fixed_size: 0
    .kernarg_segment_align: 8
    .kernarg_segment_size: 112
    .language:       OpenCL C
    .language_version:
      - 2
      - 0
    .max_flat_workgroup_size: 256
    .name:           _ZN7rocprim17ROCPRIM_400000_NS6detail17trampoline_kernelINS0_14default_configENS1_27scan_by_key_config_selectorIiiEEZZNS1_16scan_by_key_implILNS1_25lookback_scan_determinismE0ELb0ES3_N6thrust23THRUST_200600_302600_NS6detail15normal_iteratorINS9_10device_ptrIiEEEESE_SE_iNS9_4plusIvEENS9_8equal_toIvEEiEE10hipError_tPvRmT2_T3_T4_T5_mT6_T7_P12ihipStream_tbENKUlT_T0_E_clISt17integral_constantIbLb1EESY_IbLb0EEEEDaSU_SV_EUlSU_E_NS1_11comp_targetILNS1_3genE10ELNS1_11target_archE1201ELNS1_3gpuE5ELNS1_3repE0EEENS1_30default_config_static_selectorELNS0_4arch9wavefront6targetE1EEEvT1_
    .private_segment_fixed_size: 0
    .sgpr_count:     4
    .sgpr_spill_count: 0
    .symbol:         _ZN7rocprim17ROCPRIM_400000_NS6detail17trampoline_kernelINS0_14default_configENS1_27scan_by_key_config_selectorIiiEEZZNS1_16scan_by_key_implILNS1_25lookback_scan_determinismE0ELb0ES3_N6thrust23THRUST_200600_302600_NS6detail15normal_iteratorINS9_10device_ptrIiEEEESE_SE_iNS9_4plusIvEENS9_8equal_toIvEEiEE10hipError_tPvRmT2_T3_T4_T5_mT6_T7_P12ihipStream_tbENKUlT_T0_E_clISt17integral_constantIbLb1EESY_IbLb0EEEEDaSU_SV_EUlSU_E_NS1_11comp_targetILNS1_3genE10ELNS1_11target_archE1201ELNS1_3gpuE5ELNS1_3repE0EEENS1_30default_config_static_selectorELNS0_4arch9wavefront6targetE1EEEvT1_.kd
    .uniform_work_group_size: 1
    .uses_dynamic_stack: false
    .vgpr_count:     0
    .vgpr_spill_count: 0
    .wavefront_size: 64
  - .agpr_count:     0
    .args:
      - .offset:         0
        .size:           112
        .value_kind:     by_value
    .group_segment_fixed_size: 0
    .kernarg_segment_align: 8
    .kernarg_segment_size: 112
    .language:       OpenCL C
    .language_version:
      - 2
      - 0
    .max_flat_workgroup_size: 256
    .name:           _ZN7rocprim17ROCPRIM_400000_NS6detail17trampoline_kernelINS0_14default_configENS1_27scan_by_key_config_selectorIiiEEZZNS1_16scan_by_key_implILNS1_25lookback_scan_determinismE0ELb0ES3_N6thrust23THRUST_200600_302600_NS6detail15normal_iteratorINS9_10device_ptrIiEEEESE_SE_iNS9_4plusIvEENS9_8equal_toIvEEiEE10hipError_tPvRmT2_T3_T4_T5_mT6_T7_P12ihipStream_tbENKUlT_T0_E_clISt17integral_constantIbLb1EESY_IbLb0EEEEDaSU_SV_EUlSU_E_NS1_11comp_targetILNS1_3genE5ELNS1_11target_archE942ELNS1_3gpuE9ELNS1_3repE0EEENS1_30default_config_static_selectorELNS0_4arch9wavefront6targetE1EEEvT1_
    .private_segment_fixed_size: 0
    .sgpr_count:     4
    .sgpr_spill_count: 0
    .symbol:         _ZN7rocprim17ROCPRIM_400000_NS6detail17trampoline_kernelINS0_14default_configENS1_27scan_by_key_config_selectorIiiEEZZNS1_16scan_by_key_implILNS1_25lookback_scan_determinismE0ELb0ES3_N6thrust23THRUST_200600_302600_NS6detail15normal_iteratorINS9_10device_ptrIiEEEESE_SE_iNS9_4plusIvEENS9_8equal_toIvEEiEE10hipError_tPvRmT2_T3_T4_T5_mT6_T7_P12ihipStream_tbENKUlT_T0_E_clISt17integral_constantIbLb1EESY_IbLb0EEEEDaSU_SV_EUlSU_E_NS1_11comp_targetILNS1_3genE5ELNS1_11target_archE942ELNS1_3gpuE9ELNS1_3repE0EEENS1_30default_config_static_selectorELNS0_4arch9wavefront6targetE1EEEvT1_.kd
    .uniform_work_group_size: 1
    .uses_dynamic_stack: false
    .vgpr_count:     0
    .vgpr_spill_count: 0
    .wavefront_size: 64
  - .agpr_count:     0
    .args:
      - .offset:         0
        .size:           112
        .value_kind:     by_value
    .group_segment_fixed_size: 16384
    .kernarg_segment_align: 8
    .kernarg_segment_size: 112
    .language:       OpenCL C
    .language_version:
      - 2
      - 0
    .max_flat_workgroup_size: 256
    .name:           _ZN7rocprim17ROCPRIM_400000_NS6detail17trampoline_kernelINS0_14default_configENS1_27scan_by_key_config_selectorIiiEEZZNS1_16scan_by_key_implILNS1_25lookback_scan_determinismE0ELb0ES3_N6thrust23THRUST_200600_302600_NS6detail15normal_iteratorINS9_10device_ptrIiEEEESE_SE_iNS9_4plusIvEENS9_8equal_toIvEEiEE10hipError_tPvRmT2_T3_T4_T5_mT6_T7_P12ihipStream_tbENKUlT_T0_E_clISt17integral_constantIbLb1EESY_IbLb0EEEEDaSU_SV_EUlSU_E_NS1_11comp_targetILNS1_3genE4ELNS1_11target_archE910ELNS1_3gpuE8ELNS1_3repE0EEENS1_30default_config_static_selectorELNS0_4arch9wavefront6targetE1EEEvT1_
    .private_segment_fixed_size: 0
    .sgpr_count:     65
    .sgpr_spill_count: 0
    .symbol:         _ZN7rocprim17ROCPRIM_400000_NS6detail17trampoline_kernelINS0_14default_configENS1_27scan_by_key_config_selectorIiiEEZZNS1_16scan_by_key_implILNS1_25lookback_scan_determinismE0ELb0ES3_N6thrust23THRUST_200600_302600_NS6detail15normal_iteratorINS9_10device_ptrIiEEEESE_SE_iNS9_4plusIvEENS9_8equal_toIvEEiEE10hipError_tPvRmT2_T3_T4_T5_mT6_T7_P12ihipStream_tbENKUlT_T0_E_clISt17integral_constantIbLb1EESY_IbLb0EEEEDaSU_SV_EUlSU_E_NS1_11comp_targetILNS1_3genE4ELNS1_11target_archE910ELNS1_3gpuE8ELNS1_3repE0EEENS1_30default_config_static_selectorELNS0_4arch9wavefront6targetE1EEEvT1_.kd
    .uniform_work_group_size: 1
    .uses_dynamic_stack: false
    .vgpr_count:     65
    .vgpr_spill_count: 0
    .wavefront_size: 64
  - .agpr_count:     0
    .args:
      - .offset:         0
        .size:           112
        .value_kind:     by_value
    .group_segment_fixed_size: 0
    .kernarg_segment_align: 8
    .kernarg_segment_size: 112
    .language:       OpenCL C
    .language_version:
      - 2
      - 0
    .max_flat_workgroup_size: 256
    .name:           _ZN7rocprim17ROCPRIM_400000_NS6detail17trampoline_kernelINS0_14default_configENS1_27scan_by_key_config_selectorIiiEEZZNS1_16scan_by_key_implILNS1_25lookback_scan_determinismE0ELb0ES3_N6thrust23THRUST_200600_302600_NS6detail15normal_iteratorINS9_10device_ptrIiEEEESE_SE_iNS9_4plusIvEENS9_8equal_toIvEEiEE10hipError_tPvRmT2_T3_T4_T5_mT6_T7_P12ihipStream_tbENKUlT_T0_E_clISt17integral_constantIbLb1EESY_IbLb0EEEEDaSU_SV_EUlSU_E_NS1_11comp_targetILNS1_3genE3ELNS1_11target_archE908ELNS1_3gpuE7ELNS1_3repE0EEENS1_30default_config_static_selectorELNS0_4arch9wavefront6targetE1EEEvT1_
    .private_segment_fixed_size: 0
    .sgpr_count:     4
    .sgpr_spill_count: 0
    .symbol:         _ZN7rocprim17ROCPRIM_400000_NS6detail17trampoline_kernelINS0_14default_configENS1_27scan_by_key_config_selectorIiiEEZZNS1_16scan_by_key_implILNS1_25lookback_scan_determinismE0ELb0ES3_N6thrust23THRUST_200600_302600_NS6detail15normal_iteratorINS9_10device_ptrIiEEEESE_SE_iNS9_4plusIvEENS9_8equal_toIvEEiEE10hipError_tPvRmT2_T3_T4_T5_mT6_T7_P12ihipStream_tbENKUlT_T0_E_clISt17integral_constantIbLb1EESY_IbLb0EEEEDaSU_SV_EUlSU_E_NS1_11comp_targetILNS1_3genE3ELNS1_11target_archE908ELNS1_3gpuE7ELNS1_3repE0EEENS1_30default_config_static_selectorELNS0_4arch9wavefront6targetE1EEEvT1_.kd
    .uniform_work_group_size: 1
    .uses_dynamic_stack: false
    .vgpr_count:     0
    .vgpr_spill_count: 0
    .wavefront_size: 64
  - .agpr_count:     0
    .args:
      - .offset:         0
        .size:           112
        .value_kind:     by_value
    .group_segment_fixed_size: 0
    .kernarg_segment_align: 8
    .kernarg_segment_size: 112
    .language:       OpenCL C
    .language_version:
      - 2
      - 0
    .max_flat_workgroup_size: 256
    .name:           _ZN7rocprim17ROCPRIM_400000_NS6detail17trampoline_kernelINS0_14default_configENS1_27scan_by_key_config_selectorIiiEEZZNS1_16scan_by_key_implILNS1_25lookback_scan_determinismE0ELb0ES3_N6thrust23THRUST_200600_302600_NS6detail15normal_iteratorINS9_10device_ptrIiEEEESE_SE_iNS9_4plusIvEENS9_8equal_toIvEEiEE10hipError_tPvRmT2_T3_T4_T5_mT6_T7_P12ihipStream_tbENKUlT_T0_E_clISt17integral_constantIbLb1EESY_IbLb0EEEEDaSU_SV_EUlSU_E_NS1_11comp_targetILNS1_3genE2ELNS1_11target_archE906ELNS1_3gpuE6ELNS1_3repE0EEENS1_30default_config_static_selectorELNS0_4arch9wavefront6targetE1EEEvT1_
    .private_segment_fixed_size: 0
    .sgpr_count:     4
    .sgpr_spill_count: 0
    .symbol:         _ZN7rocprim17ROCPRIM_400000_NS6detail17trampoline_kernelINS0_14default_configENS1_27scan_by_key_config_selectorIiiEEZZNS1_16scan_by_key_implILNS1_25lookback_scan_determinismE0ELb0ES3_N6thrust23THRUST_200600_302600_NS6detail15normal_iteratorINS9_10device_ptrIiEEEESE_SE_iNS9_4plusIvEENS9_8equal_toIvEEiEE10hipError_tPvRmT2_T3_T4_T5_mT6_T7_P12ihipStream_tbENKUlT_T0_E_clISt17integral_constantIbLb1EESY_IbLb0EEEEDaSU_SV_EUlSU_E_NS1_11comp_targetILNS1_3genE2ELNS1_11target_archE906ELNS1_3gpuE6ELNS1_3repE0EEENS1_30default_config_static_selectorELNS0_4arch9wavefront6targetE1EEEvT1_.kd
    .uniform_work_group_size: 1
    .uses_dynamic_stack: false
    .vgpr_count:     0
    .vgpr_spill_count: 0
    .wavefront_size: 64
  - .agpr_count:     0
    .args:
      - .offset:         0
        .size:           112
        .value_kind:     by_value
    .group_segment_fixed_size: 0
    .kernarg_segment_align: 8
    .kernarg_segment_size: 112
    .language:       OpenCL C
    .language_version:
      - 2
      - 0
    .max_flat_workgroup_size: 256
    .name:           _ZN7rocprim17ROCPRIM_400000_NS6detail17trampoline_kernelINS0_14default_configENS1_27scan_by_key_config_selectorIiiEEZZNS1_16scan_by_key_implILNS1_25lookback_scan_determinismE0ELb0ES3_N6thrust23THRUST_200600_302600_NS6detail15normal_iteratorINS9_10device_ptrIiEEEESE_SE_iNS9_4plusIvEENS9_8equal_toIvEEiEE10hipError_tPvRmT2_T3_T4_T5_mT6_T7_P12ihipStream_tbENKUlT_T0_E_clISt17integral_constantIbLb1EESY_IbLb0EEEEDaSU_SV_EUlSU_E_NS1_11comp_targetILNS1_3genE10ELNS1_11target_archE1200ELNS1_3gpuE4ELNS1_3repE0EEENS1_30default_config_static_selectorELNS0_4arch9wavefront6targetE1EEEvT1_
    .private_segment_fixed_size: 0
    .sgpr_count:     4
    .sgpr_spill_count: 0
    .symbol:         _ZN7rocprim17ROCPRIM_400000_NS6detail17trampoline_kernelINS0_14default_configENS1_27scan_by_key_config_selectorIiiEEZZNS1_16scan_by_key_implILNS1_25lookback_scan_determinismE0ELb0ES3_N6thrust23THRUST_200600_302600_NS6detail15normal_iteratorINS9_10device_ptrIiEEEESE_SE_iNS9_4plusIvEENS9_8equal_toIvEEiEE10hipError_tPvRmT2_T3_T4_T5_mT6_T7_P12ihipStream_tbENKUlT_T0_E_clISt17integral_constantIbLb1EESY_IbLb0EEEEDaSU_SV_EUlSU_E_NS1_11comp_targetILNS1_3genE10ELNS1_11target_archE1200ELNS1_3gpuE4ELNS1_3repE0EEENS1_30default_config_static_selectorELNS0_4arch9wavefront6targetE1EEEvT1_.kd
    .uniform_work_group_size: 1
    .uses_dynamic_stack: false
    .vgpr_count:     0
    .vgpr_spill_count: 0
    .wavefront_size: 64
  - .agpr_count:     0
    .args:
      - .offset:         0
        .size:           112
        .value_kind:     by_value
    .group_segment_fixed_size: 0
    .kernarg_segment_align: 8
    .kernarg_segment_size: 112
    .language:       OpenCL C
    .language_version:
      - 2
      - 0
    .max_flat_workgroup_size: 256
    .name:           _ZN7rocprim17ROCPRIM_400000_NS6detail17trampoline_kernelINS0_14default_configENS1_27scan_by_key_config_selectorIiiEEZZNS1_16scan_by_key_implILNS1_25lookback_scan_determinismE0ELb0ES3_N6thrust23THRUST_200600_302600_NS6detail15normal_iteratorINS9_10device_ptrIiEEEESE_SE_iNS9_4plusIvEENS9_8equal_toIvEEiEE10hipError_tPvRmT2_T3_T4_T5_mT6_T7_P12ihipStream_tbENKUlT_T0_E_clISt17integral_constantIbLb1EESY_IbLb0EEEEDaSU_SV_EUlSU_E_NS1_11comp_targetILNS1_3genE9ELNS1_11target_archE1100ELNS1_3gpuE3ELNS1_3repE0EEENS1_30default_config_static_selectorELNS0_4arch9wavefront6targetE1EEEvT1_
    .private_segment_fixed_size: 0
    .sgpr_count:     4
    .sgpr_spill_count: 0
    .symbol:         _ZN7rocprim17ROCPRIM_400000_NS6detail17trampoline_kernelINS0_14default_configENS1_27scan_by_key_config_selectorIiiEEZZNS1_16scan_by_key_implILNS1_25lookback_scan_determinismE0ELb0ES3_N6thrust23THRUST_200600_302600_NS6detail15normal_iteratorINS9_10device_ptrIiEEEESE_SE_iNS9_4plusIvEENS9_8equal_toIvEEiEE10hipError_tPvRmT2_T3_T4_T5_mT6_T7_P12ihipStream_tbENKUlT_T0_E_clISt17integral_constantIbLb1EESY_IbLb0EEEEDaSU_SV_EUlSU_E_NS1_11comp_targetILNS1_3genE9ELNS1_11target_archE1100ELNS1_3gpuE3ELNS1_3repE0EEENS1_30default_config_static_selectorELNS0_4arch9wavefront6targetE1EEEvT1_.kd
    .uniform_work_group_size: 1
    .uses_dynamic_stack: false
    .vgpr_count:     0
    .vgpr_spill_count: 0
    .wavefront_size: 64
  - .agpr_count:     0
    .args:
      - .offset:         0
        .size:           112
        .value_kind:     by_value
    .group_segment_fixed_size: 0
    .kernarg_segment_align: 8
    .kernarg_segment_size: 112
    .language:       OpenCL C
    .language_version:
      - 2
      - 0
    .max_flat_workgroup_size: 256
    .name:           _ZN7rocprim17ROCPRIM_400000_NS6detail17trampoline_kernelINS0_14default_configENS1_27scan_by_key_config_selectorIiiEEZZNS1_16scan_by_key_implILNS1_25lookback_scan_determinismE0ELb0ES3_N6thrust23THRUST_200600_302600_NS6detail15normal_iteratorINS9_10device_ptrIiEEEESE_SE_iNS9_4plusIvEENS9_8equal_toIvEEiEE10hipError_tPvRmT2_T3_T4_T5_mT6_T7_P12ihipStream_tbENKUlT_T0_E_clISt17integral_constantIbLb1EESY_IbLb0EEEEDaSU_SV_EUlSU_E_NS1_11comp_targetILNS1_3genE8ELNS1_11target_archE1030ELNS1_3gpuE2ELNS1_3repE0EEENS1_30default_config_static_selectorELNS0_4arch9wavefront6targetE1EEEvT1_
    .private_segment_fixed_size: 0
    .sgpr_count:     4
    .sgpr_spill_count: 0
    .symbol:         _ZN7rocprim17ROCPRIM_400000_NS6detail17trampoline_kernelINS0_14default_configENS1_27scan_by_key_config_selectorIiiEEZZNS1_16scan_by_key_implILNS1_25lookback_scan_determinismE0ELb0ES3_N6thrust23THRUST_200600_302600_NS6detail15normal_iteratorINS9_10device_ptrIiEEEESE_SE_iNS9_4plusIvEENS9_8equal_toIvEEiEE10hipError_tPvRmT2_T3_T4_T5_mT6_T7_P12ihipStream_tbENKUlT_T0_E_clISt17integral_constantIbLb1EESY_IbLb0EEEEDaSU_SV_EUlSU_E_NS1_11comp_targetILNS1_3genE8ELNS1_11target_archE1030ELNS1_3gpuE2ELNS1_3repE0EEENS1_30default_config_static_selectorELNS0_4arch9wavefront6targetE1EEEvT1_.kd
    .uniform_work_group_size: 1
    .uses_dynamic_stack: false
    .vgpr_count:     0
    .vgpr_spill_count: 0
    .wavefront_size: 64
  - .agpr_count:     0
    .args:
      - .address_space:  global
        .offset:         0
        .size:           8
        .value_kind:     global_buffer
      - .offset:         8
        .size:           4
        .value_kind:     by_value
      - .offset:         12
        .size:           4
        .value_kind:     by_value
      - .address_space:  global
        .offset:         16
        .size:           8
        .value_kind:     global_buffer
      - .address_space:  global
        .offset:         24
        .size:           8
        .value_kind:     global_buffer
      - .actual_access:  write_only
        .address_space:  global
        .offset:         32
        .size:           8
        .value_kind:     global_buffer
      - .offset:         40
        .size:           8
        .value_kind:     by_value
      - .offset:         48
        .size:           4
        .value_kind:     by_value
      - .address_space:  global
        .offset:         56
        .size:           8
        .value_kind:     global_buffer
      - .offset:         64
        .size:           4
        .value_kind:     hidden_block_count_x
      - .offset:         68
        .size:           4
        .value_kind:     hidden_block_count_y
      - .offset:         72
        .size:           4
        .value_kind:     hidden_block_count_z
      - .offset:         76
        .size:           2
        .value_kind:     hidden_group_size_x
      - .offset:         78
        .size:           2
        .value_kind:     hidden_group_size_y
      - .offset:         80
        .size:           2
        .value_kind:     hidden_group_size_z
      - .offset:         82
        .size:           2
        .value_kind:     hidden_remainder_x
      - .offset:         84
        .size:           2
        .value_kind:     hidden_remainder_y
      - .offset:         86
        .size:           2
        .value_kind:     hidden_remainder_z
      - .offset:         104
        .size:           8
        .value_kind:     hidden_global_offset_x
      - .offset:         112
        .size:           8
        .value_kind:     hidden_global_offset_y
      - .offset:         120
        .size:           8
        .value_kind:     hidden_global_offset_z
      - .offset:         128
        .size:           2
        .value_kind:     hidden_grid_dims
    .group_segment_fixed_size: 0
    .kernarg_segment_align: 8
    .kernarg_segment_size: 320
    .language:       OpenCL C
    .language_version:
      - 2
      - 0
    .max_flat_workgroup_size: 256
    .name:           _ZN7rocprim17ROCPRIM_400000_NS6detail30init_device_scan_by_key_kernelINS1_19lookback_scan_stateINS0_5tupleIJibEEELb0ELb1EEEN6thrust23THRUST_200600_302600_NS6detail15normal_iteratorINS8_10device_ptrIiEEEEjNS1_16block_id_wrapperIjLb1EEEEEvT_jjPNSG_10value_typeET0_PNSt15iterator_traitsISJ_E10value_typeEmT1_T2_
    .private_segment_fixed_size: 0
    .sgpr_count:     24
    .sgpr_spill_count: 0
    .symbol:         _ZN7rocprim17ROCPRIM_400000_NS6detail30init_device_scan_by_key_kernelINS1_19lookback_scan_stateINS0_5tupleIJibEEELb0ELb1EEEN6thrust23THRUST_200600_302600_NS6detail15normal_iteratorINS8_10device_ptrIiEEEEjNS1_16block_id_wrapperIjLb1EEEEEvT_jjPNSG_10value_typeET0_PNSt15iterator_traitsISJ_E10value_typeEmT1_T2_.kd
    .uniform_work_group_size: 1
    .uses_dynamic_stack: false
    .vgpr_count:     10
    .vgpr_spill_count: 0
    .wavefront_size: 64
  - .agpr_count:     0
    .args:
      - .address_space:  global
        .offset:         0
        .size:           8
        .value_kind:     global_buffer
      - .offset:         8
        .size:           4
        .value_kind:     by_value
      - .offset:         12
        .size:           4
        .value_kind:     by_value
      - .address_space:  global
        .offset:         16
        .size:           8
        .value_kind:     global_buffer
      - .address_space:  global
        .offset:         24
        .size:           8
        .value_kind:     global_buffer
      - .offset:         32
        .size:           4
        .value_kind:     hidden_block_count_x
      - .offset:         36
        .size:           4
        .value_kind:     hidden_block_count_y
      - .offset:         40
        .size:           4
        .value_kind:     hidden_block_count_z
      - .offset:         44
        .size:           2
        .value_kind:     hidden_group_size_x
      - .offset:         46
        .size:           2
        .value_kind:     hidden_group_size_y
      - .offset:         48
        .size:           2
        .value_kind:     hidden_group_size_z
      - .offset:         50
        .size:           2
        .value_kind:     hidden_remainder_x
      - .offset:         52
        .size:           2
        .value_kind:     hidden_remainder_y
      - .offset:         54
        .size:           2
        .value_kind:     hidden_remainder_z
      - .offset:         72
        .size:           8
        .value_kind:     hidden_global_offset_x
      - .offset:         80
        .size:           8
        .value_kind:     hidden_global_offset_y
      - .offset:         88
        .size:           8
        .value_kind:     hidden_global_offset_z
      - .offset:         96
        .size:           2
        .value_kind:     hidden_grid_dims
    .group_segment_fixed_size: 0
    .kernarg_segment_align: 8
    .kernarg_segment_size: 288
    .language:       OpenCL C
    .language_version:
      - 2
      - 0
    .max_flat_workgroup_size: 256
    .name:           _ZN7rocprim17ROCPRIM_400000_NS6detail30init_device_scan_by_key_kernelINS1_19lookback_scan_stateINS0_5tupleIJibEEELb0ELb1EEENS1_16block_id_wrapperIjLb1EEEEEvT_jjPNS9_10value_typeET0_
    .private_segment_fixed_size: 0
    .sgpr_count:     20
    .sgpr_spill_count: 0
    .symbol:         _ZN7rocprim17ROCPRIM_400000_NS6detail30init_device_scan_by_key_kernelINS1_19lookback_scan_stateINS0_5tupleIJibEEELb0ELb1EEENS1_16block_id_wrapperIjLb1EEEEEvT_jjPNS9_10value_typeET0_.kd
    .uniform_work_group_size: 1
    .uses_dynamic_stack: false
    .vgpr_count:     10
    .vgpr_spill_count: 0
    .wavefront_size: 64
  - .agpr_count:     0
    .args:
      - .offset:         0
        .size:           112
        .value_kind:     by_value
    .group_segment_fixed_size: 0
    .kernarg_segment_align: 8
    .kernarg_segment_size: 112
    .language:       OpenCL C
    .language_version:
      - 2
      - 0
    .max_flat_workgroup_size: 256
    .name:           _ZN7rocprim17ROCPRIM_400000_NS6detail17trampoline_kernelINS0_14default_configENS1_27scan_by_key_config_selectorIiiEEZZNS1_16scan_by_key_implILNS1_25lookback_scan_determinismE0ELb0ES3_N6thrust23THRUST_200600_302600_NS6detail15normal_iteratorINS9_10device_ptrIiEEEESE_SE_iNS9_4plusIvEENS9_8equal_toIvEEiEE10hipError_tPvRmT2_T3_T4_T5_mT6_T7_P12ihipStream_tbENKUlT_T0_E_clISt17integral_constantIbLb0EESY_IbLb1EEEEDaSU_SV_EUlSU_E_NS1_11comp_targetILNS1_3genE0ELNS1_11target_archE4294967295ELNS1_3gpuE0ELNS1_3repE0EEENS1_30default_config_static_selectorELNS0_4arch9wavefront6targetE1EEEvT1_
    .private_segment_fixed_size: 0
    .sgpr_count:     4
    .sgpr_spill_count: 0
    .symbol:         _ZN7rocprim17ROCPRIM_400000_NS6detail17trampoline_kernelINS0_14default_configENS1_27scan_by_key_config_selectorIiiEEZZNS1_16scan_by_key_implILNS1_25lookback_scan_determinismE0ELb0ES3_N6thrust23THRUST_200600_302600_NS6detail15normal_iteratorINS9_10device_ptrIiEEEESE_SE_iNS9_4plusIvEENS9_8equal_toIvEEiEE10hipError_tPvRmT2_T3_T4_T5_mT6_T7_P12ihipStream_tbENKUlT_T0_E_clISt17integral_constantIbLb0EESY_IbLb1EEEEDaSU_SV_EUlSU_E_NS1_11comp_targetILNS1_3genE0ELNS1_11target_archE4294967295ELNS1_3gpuE0ELNS1_3repE0EEENS1_30default_config_static_selectorELNS0_4arch9wavefront6targetE1EEEvT1_.kd
    .uniform_work_group_size: 1
    .uses_dynamic_stack: false
    .vgpr_count:     0
    .vgpr_spill_count: 0
    .wavefront_size: 64
  - .agpr_count:     0
    .args:
      - .offset:         0
        .size:           112
        .value_kind:     by_value
    .group_segment_fixed_size: 0
    .kernarg_segment_align: 8
    .kernarg_segment_size: 112
    .language:       OpenCL C
    .language_version:
      - 2
      - 0
    .max_flat_workgroup_size: 256
    .name:           _ZN7rocprim17ROCPRIM_400000_NS6detail17trampoline_kernelINS0_14default_configENS1_27scan_by_key_config_selectorIiiEEZZNS1_16scan_by_key_implILNS1_25lookback_scan_determinismE0ELb0ES3_N6thrust23THRUST_200600_302600_NS6detail15normal_iteratorINS9_10device_ptrIiEEEESE_SE_iNS9_4plusIvEENS9_8equal_toIvEEiEE10hipError_tPvRmT2_T3_T4_T5_mT6_T7_P12ihipStream_tbENKUlT_T0_E_clISt17integral_constantIbLb0EESY_IbLb1EEEEDaSU_SV_EUlSU_E_NS1_11comp_targetILNS1_3genE10ELNS1_11target_archE1201ELNS1_3gpuE5ELNS1_3repE0EEENS1_30default_config_static_selectorELNS0_4arch9wavefront6targetE1EEEvT1_
    .private_segment_fixed_size: 0
    .sgpr_count:     4
    .sgpr_spill_count: 0
    .symbol:         _ZN7rocprim17ROCPRIM_400000_NS6detail17trampoline_kernelINS0_14default_configENS1_27scan_by_key_config_selectorIiiEEZZNS1_16scan_by_key_implILNS1_25lookback_scan_determinismE0ELb0ES3_N6thrust23THRUST_200600_302600_NS6detail15normal_iteratorINS9_10device_ptrIiEEEESE_SE_iNS9_4plusIvEENS9_8equal_toIvEEiEE10hipError_tPvRmT2_T3_T4_T5_mT6_T7_P12ihipStream_tbENKUlT_T0_E_clISt17integral_constantIbLb0EESY_IbLb1EEEEDaSU_SV_EUlSU_E_NS1_11comp_targetILNS1_3genE10ELNS1_11target_archE1201ELNS1_3gpuE5ELNS1_3repE0EEENS1_30default_config_static_selectorELNS0_4arch9wavefront6targetE1EEEvT1_.kd
    .uniform_work_group_size: 1
    .uses_dynamic_stack: false
    .vgpr_count:     0
    .vgpr_spill_count: 0
    .wavefront_size: 64
  - .agpr_count:     0
    .args:
      - .offset:         0
        .size:           112
        .value_kind:     by_value
    .group_segment_fixed_size: 0
    .kernarg_segment_align: 8
    .kernarg_segment_size: 112
    .language:       OpenCL C
    .language_version:
      - 2
      - 0
    .max_flat_workgroup_size: 256
    .name:           _ZN7rocprim17ROCPRIM_400000_NS6detail17trampoline_kernelINS0_14default_configENS1_27scan_by_key_config_selectorIiiEEZZNS1_16scan_by_key_implILNS1_25lookback_scan_determinismE0ELb0ES3_N6thrust23THRUST_200600_302600_NS6detail15normal_iteratorINS9_10device_ptrIiEEEESE_SE_iNS9_4plusIvEENS9_8equal_toIvEEiEE10hipError_tPvRmT2_T3_T4_T5_mT6_T7_P12ihipStream_tbENKUlT_T0_E_clISt17integral_constantIbLb0EESY_IbLb1EEEEDaSU_SV_EUlSU_E_NS1_11comp_targetILNS1_3genE5ELNS1_11target_archE942ELNS1_3gpuE9ELNS1_3repE0EEENS1_30default_config_static_selectorELNS0_4arch9wavefront6targetE1EEEvT1_
    .private_segment_fixed_size: 0
    .sgpr_count:     4
    .sgpr_spill_count: 0
    .symbol:         _ZN7rocprim17ROCPRIM_400000_NS6detail17trampoline_kernelINS0_14default_configENS1_27scan_by_key_config_selectorIiiEEZZNS1_16scan_by_key_implILNS1_25lookback_scan_determinismE0ELb0ES3_N6thrust23THRUST_200600_302600_NS6detail15normal_iteratorINS9_10device_ptrIiEEEESE_SE_iNS9_4plusIvEENS9_8equal_toIvEEiEE10hipError_tPvRmT2_T3_T4_T5_mT6_T7_P12ihipStream_tbENKUlT_T0_E_clISt17integral_constantIbLb0EESY_IbLb1EEEEDaSU_SV_EUlSU_E_NS1_11comp_targetILNS1_3genE5ELNS1_11target_archE942ELNS1_3gpuE9ELNS1_3repE0EEENS1_30default_config_static_selectorELNS0_4arch9wavefront6targetE1EEEvT1_.kd
    .uniform_work_group_size: 1
    .uses_dynamic_stack: false
    .vgpr_count:     0
    .vgpr_spill_count: 0
    .wavefront_size: 64
  - .agpr_count:     0
    .args:
      - .offset:         0
        .size:           112
        .value_kind:     by_value
    .group_segment_fixed_size: 16384
    .kernarg_segment_align: 8
    .kernarg_segment_size: 112
    .language:       OpenCL C
    .language_version:
      - 2
      - 0
    .max_flat_workgroup_size: 256
    .name:           _ZN7rocprim17ROCPRIM_400000_NS6detail17trampoline_kernelINS0_14default_configENS1_27scan_by_key_config_selectorIiiEEZZNS1_16scan_by_key_implILNS1_25lookback_scan_determinismE0ELb0ES3_N6thrust23THRUST_200600_302600_NS6detail15normal_iteratorINS9_10device_ptrIiEEEESE_SE_iNS9_4plusIvEENS9_8equal_toIvEEiEE10hipError_tPvRmT2_T3_T4_T5_mT6_T7_P12ihipStream_tbENKUlT_T0_E_clISt17integral_constantIbLb0EESY_IbLb1EEEEDaSU_SV_EUlSU_E_NS1_11comp_targetILNS1_3genE4ELNS1_11target_archE910ELNS1_3gpuE8ELNS1_3repE0EEENS1_30default_config_static_selectorELNS0_4arch9wavefront6targetE1EEEvT1_
    .private_segment_fixed_size: 0
    .sgpr_count:     69
    .sgpr_spill_count: 0
    .symbol:         _ZN7rocprim17ROCPRIM_400000_NS6detail17trampoline_kernelINS0_14default_configENS1_27scan_by_key_config_selectorIiiEEZZNS1_16scan_by_key_implILNS1_25lookback_scan_determinismE0ELb0ES3_N6thrust23THRUST_200600_302600_NS6detail15normal_iteratorINS9_10device_ptrIiEEEESE_SE_iNS9_4plusIvEENS9_8equal_toIvEEiEE10hipError_tPvRmT2_T3_T4_T5_mT6_T7_P12ihipStream_tbENKUlT_T0_E_clISt17integral_constantIbLb0EESY_IbLb1EEEEDaSU_SV_EUlSU_E_NS1_11comp_targetILNS1_3genE4ELNS1_11target_archE910ELNS1_3gpuE8ELNS1_3repE0EEENS1_30default_config_static_selectorELNS0_4arch9wavefront6targetE1EEEvT1_.kd
    .uniform_work_group_size: 1
    .uses_dynamic_stack: false
    .vgpr_count:     65
    .vgpr_spill_count: 0
    .wavefront_size: 64
  - .agpr_count:     0
    .args:
      - .offset:         0
        .size:           112
        .value_kind:     by_value
    .group_segment_fixed_size: 0
    .kernarg_segment_align: 8
    .kernarg_segment_size: 112
    .language:       OpenCL C
    .language_version:
      - 2
      - 0
    .max_flat_workgroup_size: 256
    .name:           _ZN7rocprim17ROCPRIM_400000_NS6detail17trampoline_kernelINS0_14default_configENS1_27scan_by_key_config_selectorIiiEEZZNS1_16scan_by_key_implILNS1_25lookback_scan_determinismE0ELb0ES3_N6thrust23THRUST_200600_302600_NS6detail15normal_iteratorINS9_10device_ptrIiEEEESE_SE_iNS9_4plusIvEENS9_8equal_toIvEEiEE10hipError_tPvRmT2_T3_T4_T5_mT6_T7_P12ihipStream_tbENKUlT_T0_E_clISt17integral_constantIbLb0EESY_IbLb1EEEEDaSU_SV_EUlSU_E_NS1_11comp_targetILNS1_3genE3ELNS1_11target_archE908ELNS1_3gpuE7ELNS1_3repE0EEENS1_30default_config_static_selectorELNS0_4arch9wavefront6targetE1EEEvT1_
    .private_segment_fixed_size: 0
    .sgpr_count:     4
    .sgpr_spill_count: 0
    .symbol:         _ZN7rocprim17ROCPRIM_400000_NS6detail17trampoline_kernelINS0_14default_configENS1_27scan_by_key_config_selectorIiiEEZZNS1_16scan_by_key_implILNS1_25lookback_scan_determinismE0ELb0ES3_N6thrust23THRUST_200600_302600_NS6detail15normal_iteratorINS9_10device_ptrIiEEEESE_SE_iNS9_4plusIvEENS9_8equal_toIvEEiEE10hipError_tPvRmT2_T3_T4_T5_mT6_T7_P12ihipStream_tbENKUlT_T0_E_clISt17integral_constantIbLb0EESY_IbLb1EEEEDaSU_SV_EUlSU_E_NS1_11comp_targetILNS1_3genE3ELNS1_11target_archE908ELNS1_3gpuE7ELNS1_3repE0EEENS1_30default_config_static_selectorELNS0_4arch9wavefront6targetE1EEEvT1_.kd
    .uniform_work_group_size: 1
    .uses_dynamic_stack: false
    .vgpr_count:     0
    .vgpr_spill_count: 0
    .wavefront_size: 64
  - .agpr_count:     0
    .args:
      - .offset:         0
        .size:           112
        .value_kind:     by_value
    .group_segment_fixed_size: 0
    .kernarg_segment_align: 8
    .kernarg_segment_size: 112
    .language:       OpenCL C
    .language_version:
      - 2
      - 0
    .max_flat_workgroup_size: 256
    .name:           _ZN7rocprim17ROCPRIM_400000_NS6detail17trampoline_kernelINS0_14default_configENS1_27scan_by_key_config_selectorIiiEEZZNS1_16scan_by_key_implILNS1_25lookback_scan_determinismE0ELb0ES3_N6thrust23THRUST_200600_302600_NS6detail15normal_iteratorINS9_10device_ptrIiEEEESE_SE_iNS9_4plusIvEENS9_8equal_toIvEEiEE10hipError_tPvRmT2_T3_T4_T5_mT6_T7_P12ihipStream_tbENKUlT_T0_E_clISt17integral_constantIbLb0EESY_IbLb1EEEEDaSU_SV_EUlSU_E_NS1_11comp_targetILNS1_3genE2ELNS1_11target_archE906ELNS1_3gpuE6ELNS1_3repE0EEENS1_30default_config_static_selectorELNS0_4arch9wavefront6targetE1EEEvT1_
    .private_segment_fixed_size: 0
    .sgpr_count:     4
    .sgpr_spill_count: 0
    .symbol:         _ZN7rocprim17ROCPRIM_400000_NS6detail17trampoline_kernelINS0_14default_configENS1_27scan_by_key_config_selectorIiiEEZZNS1_16scan_by_key_implILNS1_25lookback_scan_determinismE0ELb0ES3_N6thrust23THRUST_200600_302600_NS6detail15normal_iteratorINS9_10device_ptrIiEEEESE_SE_iNS9_4plusIvEENS9_8equal_toIvEEiEE10hipError_tPvRmT2_T3_T4_T5_mT6_T7_P12ihipStream_tbENKUlT_T0_E_clISt17integral_constantIbLb0EESY_IbLb1EEEEDaSU_SV_EUlSU_E_NS1_11comp_targetILNS1_3genE2ELNS1_11target_archE906ELNS1_3gpuE6ELNS1_3repE0EEENS1_30default_config_static_selectorELNS0_4arch9wavefront6targetE1EEEvT1_.kd
    .uniform_work_group_size: 1
    .uses_dynamic_stack: false
    .vgpr_count:     0
    .vgpr_spill_count: 0
    .wavefront_size: 64
  - .agpr_count:     0
    .args:
      - .offset:         0
        .size:           112
        .value_kind:     by_value
    .group_segment_fixed_size: 0
    .kernarg_segment_align: 8
    .kernarg_segment_size: 112
    .language:       OpenCL C
    .language_version:
      - 2
      - 0
    .max_flat_workgroup_size: 256
    .name:           _ZN7rocprim17ROCPRIM_400000_NS6detail17trampoline_kernelINS0_14default_configENS1_27scan_by_key_config_selectorIiiEEZZNS1_16scan_by_key_implILNS1_25lookback_scan_determinismE0ELb0ES3_N6thrust23THRUST_200600_302600_NS6detail15normal_iteratorINS9_10device_ptrIiEEEESE_SE_iNS9_4plusIvEENS9_8equal_toIvEEiEE10hipError_tPvRmT2_T3_T4_T5_mT6_T7_P12ihipStream_tbENKUlT_T0_E_clISt17integral_constantIbLb0EESY_IbLb1EEEEDaSU_SV_EUlSU_E_NS1_11comp_targetILNS1_3genE10ELNS1_11target_archE1200ELNS1_3gpuE4ELNS1_3repE0EEENS1_30default_config_static_selectorELNS0_4arch9wavefront6targetE1EEEvT1_
    .private_segment_fixed_size: 0
    .sgpr_count:     4
    .sgpr_spill_count: 0
    .symbol:         _ZN7rocprim17ROCPRIM_400000_NS6detail17trampoline_kernelINS0_14default_configENS1_27scan_by_key_config_selectorIiiEEZZNS1_16scan_by_key_implILNS1_25lookback_scan_determinismE0ELb0ES3_N6thrust23THRUST_200600_302600_NS6detail15normal_iteratorINS9_10device_ptrIiEEEESE_SE_iNS9_4plusIvEENS9_8equal_toIvEEiEE10hipError_tPvRmT2_T3_T4_T5_mT6_T7_P12ihipStream_tbENKUlT_T0_E_clISt17integral_constantIbLb0EESY_IbLb1EEEEDaSU_SV_EUlSU_E_NS1_11comp_targetILNS1_3genE10ELNS1_11target_archE1200ELNS1_3gpuE4ELNS1_3repE0EEENS1_30default_config_static_selectorELNS0_4arch9wavefront6targetE1EEEvT1_.kd
    .uniform_work_group_size: 1
    .uses_dynamic_stack: false
    .vgpr_count:     0
    .vgpr_spill_count: 0
    .wavefront_size: 64
  - .agpr_count:     0
    .args:
      - .offset:         0
        .size:           112
        .value_kind:     by_value
    .group_segment_fixed_size: 0
    .kernarg_segment_align: 8
    .kernarg_segment_size: 112
    .language:       OpenCL C
    .language_version:
      - 2
      - 0
    .max_flat_workgroup_size: 256
    .name:           _ZN7rocprim17ROCPRIM_400000_NS6detail17trampoline_kernelINS0_14default_configENS1_27scan_by_key_config_selectorIiiEEZZNS1_16scan_by_key_implILNS1_25lookback_scan_determinismE0ELb0ES3_N6thrust23THRUST_200600_302600_NS6detail15normal_iteratorINS9_10device_ptrIiEEEESE_SE_iNS9_4plusIvEENS9_8equal_toIvEEiEE10hipError_tPvRmT2_T3_T4_T5_mT6_T7_P12ihipStream_tbENKUlT_T0_E_clISt17integral_constantIbLb0EESY_IbLb1EEEEDaSU_SV_EUlSU_E_NS1_11comp_targetILNS1_3genE9ELNS1_11target_archE1100ELNS1_3gpuE3ELNS1_3repE0EEENS1_30default_config_static_selectorELNS0_4arch9wavefront6targetE1EEEvT1_
    .private_segment_fixed_size: 0
    .sgpr_count:     4
    .sgpr_spill_count: 0
    .symbol:         _ZN7rocprim17ROCPRIM_400000_NS6detail17trampoline_kernelINS0_14default_configENS1_27scan_by_key_config_selectorIiiEEZZNS1_16scan_by_key_implILNS1_25lookback_scan_determinismE0ELb0ES3_N6thrust23THRUST_200600_302600_NS6detail15normal_iteratorINS9_10device_ptrIiEEEESE_SE_iNS9_4plusIvEENS9_8equal_toIvEEiEE10hipError_tPvRmT2_T3_T4_T5_mT6_T7_P12ihipStream_tbENKUlT_T0_E_clISt17integral_constantIbLb0EESY_IbLb1EEEEDaSU_SV_EUlSU_E_NS1_11comp_targetILNS1_3genE9ELNS1_11target_archE1100ELNS1_3gpuE3ELNS1_3repE0EEENS1_30default_config_static_selectorELNS0_4arch9wavefront6targetE1EEEvT1_.kd
    .uniform_work_group_size: 1
    .uses_dynamic_stack: false
    .vgpr_count:     0
    .vgpr_spill_count: 0
    .wavefront_size: 64
  - .agpr_count:     0
    .args:
      - .offset:         0
        .size:           112
        .value_kind:     by_value
    .group_segment_fixed_size: 0
    .kernarg_segment_align: 8
    .kernarg_segment_size: 112
    .language:       OpenCL C
    .language_version:
      - 2
      - 0
    .max_flat_workgroup_size: 256
    .name:           _ZN7rocprim17ROCPRIM_400000_NS6detail17trampoline_kernelINS0_14default_configENS1_27scan_by_key_config_selectorIiiEEZZNS1_16scan_by_key_implILNS1_25lookback_scan_determinismE0ELb0ES3_N6thrust23THRUST_200600_302600_NS6detail15normal_iteratorINS9_10device_ptrIiEEEESE_SE_iNS9_4plusIvEENS9_8equal_toIvEEiEE10hipError_tPvRmT2_T3_T4_T5_mT6_T7_P12ihipStream_tbENKUlT_T0_E_clISt17integral_constantIbLb0EESY_IbLb1EEEEDaSU_SV_EUlSU_E_NS1_11comp_targetILNS1_3genE8ELNS1_11target_archE1030ELNS1_3gpuE2ELNS1_3repE0EEENS1_30default_config_static_selectorELNS0_4arch9wavefront6targetE1EEEvT1_
    .private_segment_fixed_size: 0
    .sgpr_count:     4
    .sgpr_spill_count: 0
    .symbol:         _ZN7rocprim17ROCPRIM_400000_NS6detail17trampoline_kernelINS0_14default_configENS1_27scan_by_key_config_selectorIiiEEZZNS1_16scan_by_key_implILNS1_25lookback_scan_determinismE0ELb0ES3_N6thrust23THRUST_200600_302600_NS6detail15normal_iteratorINS9_10device_ptrIiEEEESE_SE_iNS9_4plusIvEENS9_8equal_toIvEEiEE10hipError_tPvRmT2_T3_T4_T5_mT6_T7_P12ihipStream_tbENKUlT_T0_E_clISt17integral_constantIbLb0EESY_IbLb1EEEEDaSU_SV_EUlSU_E_NS1_11comp_targetILNS1_3genE8ELNS1_11target_archE1030ELNS1_3gpuE2ELNS1_3repE0EEENS1_30default_config_static_selectorELNS0_4arch9wavefront6targetE1EEEvT1_.kd
    .uniform_work_group_size: 1
    .uses_dynamic_stack: false
    .vgpr_count:     0
    .vgpr_spill_count: 0
    .wavefront_size: 64
  - .agpr_count:     0
    .args:
      - .offset:         0
        .size:           112
        .value_kind:     by_value
    .group_segment_fixed_size: 0
    .kernarg_segment_align: 8
    .kernarg_segment_size: 112
    .language:       OpenCL C
    .language_version:
      - 2
      - 0
    .max_flat_workgroup_size: 256
    .name:           _ZN7rocprim17ROCPRIM_400000_NS6detail17trampoline_kernelINS0_14default_configENS1_27scan_by_key_config_selectorIiiEEZZNS1_16scan_by_key_implILNS1_25lookback_scan_determinismE0ELb0ES3_N6thrust23THRUST_200600_302600_NS6detail15normal_iteratorINS9_10device_ptrIiEEEESE_SE_iNS9_10multipliesIiEENS9_8equal_toIiEEiEE10hipError_tPvRmT2_T3_T4_T5_mT6_T7_P12ihipStream_tbENKUlT_T0_E_clISt17integral_constantIbLb0EESZ_EEDaSU_SV_EUlSU_E_NS1_11comp_targetILNS1_3genE0ELNS1_11target_archE4294967295ELNS1_3gpuE0ELNS1_3repE0EEENS1_30default_config_static_selectorELNS0_4arch9wavefront6targetE1EEEvT1_
    .private_segment_fixed_size: 0
    .sgpr_count:     4
    .sgpr_spill_count: 0
    .symbol:         _ZN7rocprim17ROCPRIM_400000_NS6detail17trampoline_kernelINS0_14default_configENS1_27scan_by_key_config_selectorIiiEEZZNS1_16scan_by_key_implILNS1_25lookback_scan_determinismE0ELb0ES3_N6thrust23THRUST_200600_302600_NS6detail15normal_iteratorINS9_10device_ptrIiEEEESE_SE_iNS9_10multipliesIiEENS9_8equal_toIiEEiEE10hipError_tPvRmT2_T3_T4_T5_mT6_T7_P12ihipStream_tbENKUlT_T0_E_clISt17integral_constantIbLb0EESZ_EEDaSU_SV_EUlSU_E_NS1_11comp_targetILNS1_3genE0ELNS1_11target_archE4294967295ELNS1_3gpuE0ELNS1_3repE0EEENS1_30default_config_static_selectorELNS0_4arch9wavefront6targetE1EEEvT1_.kd
    .uniform_work_group_size: 1
    .uses_dynamic_stack: false
    .vgpr_count:     0
    .vgpr_spill_count: 0
    .wavefront_size: 64
  - .agpr_count:     0
    .args:
      - .offset:         0
        .size:           112
        .value_kind:     by_value
    .group_segment_fixed_size: 0
    .kernarg_segment_align: 8
    .kernarg_segment_size: 112
    .language:       OpenCL C
    .language_version:
      - 2
      - 0
    .max_flat_workgroup_size: 256
    .name:           _ZN7rocprim17ROCPRIM_400000_NS6detail17trampoline_kernelINS0_14default_configENS1_27scan_by_key_config_selectorIiiEEZZNS1_16scan_by_key_implILNS1_25lookback_scan_determinismE0ELb0ES3_N6thrust23THRUST_200600_302600_NS6detail15normal_iteratorINS9_10device_ptrIiEEEESE_SE_iNS9_10multipliesIiEENS9_8equal_toIiEEiEE10hipError_tPvRmT2_T3_T4_T5_mT6_T7_P12ihipStream_tbENKUlT_T0_E_clISt17integral_constantIbLb0EESZ_EEDaSU_SV_EUlSU_E_NS1_11comp_targetILNS1_3genE10ELNS1_11target_archE1201ELNS1_3gpuE5ELNS1_3repE0EEENS1_30default_config_static_selectorELNS0_4arch9wavefront6targetE1EEEvT1_
    .private_segment_fixed_size: 0
    .sgpr_count:     4
    .sgpr_spill_count: 0
    .symbol:         _ZN7rocprim17ROCPRIM_400000_NS6detail17trampoline_kernelINS0_14default_configENS1_27scan_by_key_config_selectorIiiEEZZNS1_16scan_by_key_implILNS1_25lookback_scan_determinismE0ELb0ES3_N6thrust23THRUST_200600_302600_NS6detail15normal_iteratorINS9_10device_ptrIiEEEESE_SE_iNS9_10multipliesIiEENS9_8equal_toIiEEiEE10hipError_tPvRmT2_T3_T4_T5_mT6_T7_P12ihipStream_tbENKUlT_T0_E_clISt17integral_constantIbLb0EESZ_EEDaSU_SV_EUlSU_E_NS1_11comp_targetILNS1_3genE10ELNS1_11target_archE1201ELNS1_3gpuE5ELNS1_3repE0EEENS1_30default_config_static_selectorELNS0_4arch9wavefront6targetE1EEEvT1_.kd
    .uniform_work_group_size: 1
    .uses_dynamic_stack: false
    .vgpr_count:     0
    .vgpr_spill_count: 0
    .wavefront_size: 64
  - .agpr_count:     0
    .args:
      - .offset:         0
        .size:           112
        .value_kind:     by_value
    .group_segment_fixed_size: 0
    .kernarg_segment_align: 8
    .kernarg_segment_size: 112
    .language:       OpenCL C
    .language_version:
      - 2
      - 0
    .max_flat_workgroup_size: 256
    .name:           _ZN7rocprim17ROCPRIM_400000_NS6detail17trampoline_kernelINS0_14default_configENS1_27scan_by_key_config_selectorIiiEEZZNS1_16scan_by_key_implILNS1_25lookback_scan_determinismE0ELb0ES3_N6thrust23THRUST_200600_302600_NS6detail15normal_iteratorINS9_10device_ptrIiEEEESE_SE_iNS9_10multipliesIiEENS9_8equal_toIiEEiEE10hipError_tPvRmT2_T3_T4_T5_mT6_T7_P12ihipStream_tbENKUlT_T0_E_clISt17integral_constantIbLb0EESZ_EEDaSU_SV_EUlSU_E_NS1_11comp_targetILNS1_3genE5ELNS1_11target_archE942ELNS1_3gpuE9ELNS1_3repE0EEENS1_30default_config_static_selectorELNS0_4arch9wavefront6targetE1EEEvT1_
    .private_segment_fixed_size: 0
    .sgpr_count:     4
    .sgpr_spill_count: 0
    .symbol:         _ZN7rocprim17ROCPRIM_400000_NS6detail17trampoline_kernelINS0_14default_configENS1_27scan_by_key_config_selectorIiiEEZZNS1_16scan_by_key_implILNS1_25lookback_scan_determinismE0ELb0ES3_N6thrust23THRUST_200600_302600_NS6detail15normal_iteratorINS9_10device_ptrIiEEEESE_SE_iNS9_10multipliesIiEENS9_8equal_toIiEEiEE10hipError_tPvRmT2_T3_T4_T5_mT6_T7_P12ihipStream_tbENKUlT_T0_E_clISt17integral_constantIbLb0EESZ_EEDaSU_SV_EUlSU_E_NS1_11comp_targetILNS1_3genE5ELNS1_11target_archE942ELNS1_3gpuE9ELNS1_3repE0EEENS1_30default_config_static_selectorELNS0_4arch9wavefront6targetE1EEEvT1_.kd
    .uniform_work_group_size: 1
    .uses_dynamic_stack: false
    .vgpr_count:     0
    .vgpr_spill_count: 0
    .wavefront_size: 64
  - .agpr_count:     0
    .args:
      - .offset:         0
        .size:           112
        .value_kind:     by_value
    .group_segment_fixed_size: 16384
    .kernarg_segment_align: 8
    .kernarg_segment_size: 112
    .language:       OpenCL C
    .language_version:
      - 2
      - 0
    .max_flat_workgroup_size: 256
    .name:           _ZN7rocprim17ROCPRIM_400000_NS6detail17trampoline_kernelINS0_14default_configENS1_27scan_by_key_config_selectorIiiEEZZNS1_16scan_by_key_implILNS1_25lookback_scan_determinismE0ELb0ES3_N6thrust23THRUST_200600_302600_NS6detail15normal_iteratorINS9_10device_ptrIiEEEESE_SE_iNS9_10multipliesIiEENS9_8equal_toIiEEiEE10hipError_tPvRmT2_T3_T4_T5_mT6_T7_P12ihipStream_tbENKUlT_T0_E_clISt17integral_constantIbLb0EESZ_EEDaSU_SV_EUlSU_E_NS1_11comp_targetILNS1_3genE4ELNS1_11target_archE910ELNS1_3gpuE8ELNS1_3repE0EEENS1_30default_config_static_selectorELNS0_4arch9wavefront6targetE1EEEvT1_
    .private_segment_fixed_size: 0
    .sgpr_count:     65
    .sgpr_spill_count: 0
    .symbol:         _ZN7rocprim17ROCPRIM_400000_NS6detail17trampoline_kernelINS0_14default_configENS1_27scan_by_key_config_selectorIiiEEZZNS1_16scan_by_key_implILNS1_25lookback_scan_determinismE0ELb0ES3_N6thrust23THRUST_200600_302600_NS6detail15normal_iteratorINS9_10device_ptrIiEEEESE_SE_iNS9_10multipliesIiEENS9_8equal_toIiEEiEE10hipError_tPvRmT2_T3_T4_T5_mT6_T7_P12ihipStream_tbENKUlT_T0_E_clISt17integral_constantIbLb0EESZ_EEDaSU_SV_EUlSU_E_NS1_11comp_targetILNS1_3genE4ELNS1_11target_archE910ELNS1_3gpuE8ELNS1_3repE0EEENS1_30default_config_static_selectorELNS0_4arch9wavefront6targetE1EEEvT1_.kd
    .uniform_work_group_size: 1
    .uses_dynamic_stack: false
    .vgpr_count:     63
    .vgpr_spill_count: 0
    .wavefront_size: 64
  - .agpr_count:     0
    .args:
      - .offset:         0
        .size:           112
        .value_kind:     by_value
    .group_segment_fixed_size: 0
    .kernarg_segment_align: 8
    .kernarg_segment_size: 112
    .language:       OpenCL C
    .language_version:
      - 2
      - 0
    .max_flat_workgroup_size: 256
    .name:           _ZN7rocprim17ROCPRIM_400000_NS6detail17trampoline_kernelINS0_14default_configENS1_27scan_by_key_config_selectorIiiEEZZNS1_16scan_by_key_implILNS1_25lookback_scan_determinismE0ELb0ES3_N6thrust23THRUST_200600_302600_NS6detail15normal_iteratorINS9_10device_ptrIiEEEESE_SE_iNS9_10multipliesIiEENS9_8equal_toIiEEiEE10hipError_tPvRmT2_T3_T4_T5_mT6_T7_P12ihipStream_tbENKUlT_T0_E_clISt17integral_constantIbLb0EESZ_EEDaSU_SV_EUlSU_E_NS1_11comp_targetILNS1_3genE3ELNS1_11target_archE908ELNS1_3gpuE7ELNS1_3repE0EEENS1_30default_config_static_selectorELNS0_4arch9wavefront6targetE1EEEvT1_
    .private_segment_fixed_size: 0
    .sgpr_count:     4
    .sgpr_spill_count: 0
    .symbol:         _ZN7rocprim17ROCPRIM_400000_NS6detail17trampoline_kernelINS0_14default_configENS1_27scan_by_key_config_selectorIiiEEZZNS1_16scan_by_key_implILNS1_25lookback_scan_determinismE0ELb0ES3_N6thrust23THRUST_200600_302600_NS6detail15normal_iteratorINS9_10device_ptrIiEEEESE_SE_iNS9_10multipliesIiEENS9_8equal_toIiEEiEE10hipError_tPvRmT2_T3_T4_T5_mT6_T7_P12ihipStream_tbENKUlT_T0_E_clISt17integral_constantIbLb0EESZ_EEDaSU_SV_EUlSU_E_NS1_11comp_targetILNS1_3genE3ELNS1_11target_archE908ELNS1_3gpuE7ELNS1_3repE0EEENS1_30default_config_static_selectorELNS0_4arch9wavefront6targetE1EEEvT1_.kd
    .uniform_work_group_size: 1
    .uses_dynamic_stack: false
    .vgpr_count:     0
    .vgpr_spill_count: 0
    .wavefront_size: 64
  - .agpr_count:     0
    .args:
      - .offset:         0
        .size:           112
        .value_kind:     by_value
    .group_segment_fixed_size: 0
    .kernarg_segment_align: 8
    .kernarg_segment_size: 112
    .language:       OpenCL C
    .language_version:
      - 2
      - 0
    .max_flat_workgroup_size: 256
    .name:           _ZN7rocprim17ROCPRIM_400000_NS6detail17trampoline_kernelINS0_14default_configENS1_27scan_by_key_config_selectorIiiEEZZNS1_16scan_by_key_implILNS1_25lookback_scan_determinismE0ELb0ES3_N6thrust23THRUST_200600_302600_NS6detail15normal_iteratorINS9_10device_ptrIiEEEESE_SE_iNS9_10multipliesIiEENS9_8equal_toIiEEiEE10hipError_tPvRmT2_T3_T4_T5_mT6_T7_P12ihipStream_tbENKUlT_T0_E_clISt17integral_constantIbLb0EESZ_EEDaSU_SV_EUlSU_E_NS1_11comp_targetILNS1_3genE2ELNS1_11target_archE906ELNS1_3gpuE6ELNS1_3repE0EEENS1_30default_config_static_selectorELNS0_4arch9wavefront6targetE1EEEvT1_
    .private_segment_fixed_size: 0
    .sgpr_count:     4
    .sgpr_spill_count: 0
    .symbol:         _ZN7rocprim17ROCPRIM_400000_NS6detail17trampoline_kernelINS0_14default_configENS1_27scan_by_key_config_selectorIiiEEZZNS1_16scan_by_key_implILNS1_25lookback_scan_determinismE0ELb0ES3_N6thrust23THRUST_200600_302600_NS6detail15normal_iteratorINS9_10device_ptrIiEEEESE_SE_iNS9_10multipliesIiEENS9_8equal_toIiEEiEE10hipError_tPvRmT2_T3_T4_T5_mT6_T7_P12ihipStream_tbENKUlT_T0_E_clISt17integral_constantIbLb0EESZ_EEDaSU_SV_EUlSU_E_NS1_11comp_targetILNS1_3genE2ELNS1_11target_archE906ELNS1_3gpuE6ELNS1_3repE0EEENS1_30default_config_static_selectorELNS0_4arch9wavefront6targetE1EEEvT1_.kd
    .uniform_work_group_size: 1
    .uses_dynamic_stack: false
    .vgpr_count:     0
    .vgpr_spill_count: 0
    .wavefront_size: 64
  - .agpr_count:     0
    .args:
      - .offset:         0
        .size:           112
        .value_kind:     by_value
    .group_segment_fixed_size: 0
    .kernarg_segment_align: 8
    .kernarg_segment_size: 112
    .language:       OpenCL C
    .language_version:
      - 2
      - 0
    .max_flat_workgroup_size: 256
    .name:           _ZN7rocprim17ROCPRIM_400000_NS6detail17trampoline_kernelINS0_14default_configENS1_27scan_by_key_config_selectorIiiEEZZNS1_16scan_by_key_implILNS1_25lookback_scan_determinismE0ELb0ES3_N6thrust23THRUST_200600_302600_NS6detail15normal_iteratorINS9_10device_ptrIiEEEESE_SE_iNS9_10multipliesIiEENS9_8equal_toIiEEiEE10hipError_tPvRmT2_T3_T4_T5_mT6_T7_P12ihipStream_tbENKUlT_T0_E_clISt17integral_constantIbLb0EESZ_EEDaSU_SV_EUlSU_E_NS1_11comp_targetILNS1_3genE10ELNS1_11target_archE1200ELNS1_3gpuE4ELNS1_3repE0EEENS1_30default_config_static_selectorELNS0_4arch9wavefront6targetE1EEEvT1_
    .private_segment_fixed_size: 0
    .sgpr_count:     4
    .sgpr_spill_count: 0
    .symbol:         _ZN7rocprim17ROCPRIM_400000_NS6detail17trampoline_kernelINS0_14default_configENS1_27scan_by_key_config_selectorIiiEEZZNS1_16scan_by_key_implILNS1_25lookback_scan_determinismE0ELb0ES3_N6thrust23THRUST_200600_302600_NS6detail15normal_iteratorINS9_10device_ptrIiEEEESE_SE_iNS9_10multipliesIiEENS9_8equal_toIiEEiEE10hipError_tPvRmT2_T3_T4_T5_mT6_T7_P12ihipStream_tbENKUlT_T0_E_clISt17integral_constantIbLb0EESZ_EEDaSU_SV_EUlSU_E_NS1_11comp_targetILNS1_3genE10ELNS1_11target_archE1200ELNS1_3gpuE4ELNS1_3repE0EEENS1_30default_config_static_selectorELNS0_4arch9wavefront6targetE1EEEvT1_.kd
    .uniform_work_group_size: 1
    .uses_dynamic_stack: false
    .vgpr_count:     0
    .vgpr_spill_count: 0
    .wavefront_size: 64
  - .agpr_count:     0
    .args:
      - .offset:         0
        .size:           112
        .value_kind:     by_value
    .group_segment_fixed_size: 0
    .kernarg_segment_align: 8
    .kernarg_segment_size: 112
    .language:       OpenCL C
    .language_version:
      - 2
      - 0
    .max_flat_workgroup_size: 256
    .name:           _ZN7rocprim17ROCPRIM_400000_NS6detail17trampoline_kernelINS0_14default_configENS1_27scan_by_key_config_selectorIiiEEZZNS1_16scan_by_key_implILNS1_25lookback_scan_determinismE0ELb0ES3_N6thrust23THRUST_200600_302600_NS6detail15normal_iteratorINS9_10device_ptrIiEEEESE_SE_iNS9_10multipliesIiEENS9_8equal_toIiEEiEE10hipError_tPvRmT2_T3_T4_T5_mT6_T7_P12ihipStream_tbENKUlT_T0_E_clISt17integral_constantIbLb0EESZ_EEDaSU_SV_EUlSU_E_NS1_11comp_targetILNS1_3genE9ELNS1_11target_archE1100ELNS1_3gpuE3ELNS1_3repE0EEENS1_30default_config_static_selectorELNS0_4arch9wavefront6targetE1EEEvT1_
    .private_segment_fixed_size: 0
    .sgpr_count:     4
    .sgpr_spill_count: 0
    .symbol:         _ZN7rocprim17ROCPRIM_400000_NS6detail17trampoline_kernelINS0_14default_configENS1_27scan_by_key_config_selectorIiiEEZZNS1_16scan_by_key_implILNS1_25lookback_scan_determinismE0ELb0ES3_N6thrust23THRUST_200600_302600_NS6detail15normal_iteratorINS9_10device_ptrIiEEEESE_SE_iNS9_10multipliesIiEENS9_8equal_toIiEEiEE10hipError_tPvRmT2_T3_T4_T5_mT6_T7_P12ihipStream_tbENKUlT_T0_E_clISt17integral_constantIbLb0EESZ_EEDaSU_SV_EUlSU_E_NS1_11comp_targetILNS1_3genE9ELNS1_11target_archE1100ELNS1_3gpuE3ELNS1_3repE0EEENS1_30default_config_static_selectorELNS0_4arch9wavefront6targetE1EEEvT1_.kd
    .uniform_work_group_size: 1
    .uses_dynamic_stack: false
    .vgpr_count:     0
    .vgpr_spill_count: 0
    .wavefront_size: 64
  - .agpr_count:     0
    .args:
      - .offset:         0
        .size:           112
        .value_kind:     by_value
    .group_segment_fixed_size: 0
    .kernarg_segment_align: 8
    .kernarg_segment_size: 112
    .language:       OpenCL C
    .language_version:
      - 2
      - 0
    .max_flat_workgroup_size: 256
    .name:           _ZN7rocprim17ROCPRIM_400000_NS6detail17trampoline_kernelINS0_14default_configENS1_27scan_by_key_config_selectorIiiEEZZNS1_16scan_by_key_implILNS1_25lookback_scan_determinismE0ELb0ES3_N6thrust23THRUST_200600_302600_NS6detail15normal_iteratorINS9_10device_ptrIiEEEESE_SE_iNS9_10multipliesIiEENS9_8equal_toIiEEiEE10hipError_tPvRmT2_T3_T4_T5_mT6_T7_P12ihipStream_tbENKUlT_T0_E_clISt17integral_constantIbLb0EESZ_EEDaSU_SV_EUlSU_E_NS1_11comp_targetILNS1_3genE8ELNS1_11target_archE1030ELNS1_3gpuE2ELNS1_3repE0EEENS1_30default_config_static_selectorELNS0_4arch9wavefront6targetE1EEEvT1_
    .private_segment_fixed_size: 0
    .sgpr_count:     4
    .sgpr_spill_count: 0
    .symbol:         _ZN7rocprim17ROCPRIM_400000_NS6detail17trampoline_kernelINS0_14default_configENS1_27scan_by_key_config_selectorIiiEEZZNS1_16scan_by_key_implILNS1_25lookback_scan_determinismE0ELb0ES3_N6thrust23THRUST_200600_302600_NS6detail15normal_iteratorINS9_10device_ptrIiEEEESE_SE_iNS9_10multipliesIiEENS9_8equal_toIiEEiEE10hipError_tPvRmT2_T3_T4_T5_mT6_T7_P12ihipStream_tbENKUlT_T0_E_clISt17integral_constantIbLb0EESZ_EEDaSU_SV_EUlSU_E_NS1_11comp_targetILNS1_3genE8ELNS1_11target_archE1030ELNS1_3gpuE2ELNS1_3repE0EEENS1_30default_config_static_selectorELNS0_4arch9wavefront6targetE1EEEvT1_.kd
    .uniform_work_group_size: 1
    .uses_dynamic_stack: false
    .vgpr_count:     0
    .vgpr_spill_count: 0
    .wavefront_size: 64
  - .agpr_count:     0
    .args:
      - .offset:         0
        .size:           112
        .value_kind:     by_value
    .group_segment_fixed_size: 0
    .kernarg_segment_align: 8
    .kernarg_segment_size: 112
    .language:       OpenCL C
    .language_version:
      - 2
      - 0
    .max_flat_workgroup_size: 256
    .name:           _ZN7rocprim17ROCPRIM_400000_NS6detail17trampoline_kernelINS0_14default_configENS1_27scan_by_key_config_selectorIiiEEZZNS1_16scan_by_key_implILNS1_25lookback_scan_determinismE0ELb0ES3_N6thrust23THRUST_200600_302600_NS6detail15normal_iteratorINS9_10device_ptrIiEEEESE_SE_iNS9_10multipliesIiEENS9_8equal_toIiEEiEE10hipError_tPvRmT2_T3_T4_T5_mT6_T7_P12ihipStream_tbENKUlT_T0_E_clISt17integral_constantIbLb1EESZ_EEDaSU_SV_EUlSU_E_NS1_11comp_targetILNS1_3genE0ELNS1_11target_archE4294967295ELNS1_3gpuE0ELNS1_3repE0EEENS1_30default_config_static_selectorELNS0_4arch9wavefront6targetE1EEEvT1_
    .private_segment_fixed_size: 0
    .sgpr_count:     4
    .sgpr_spill_count: 0
    .symbol:         _ZN7rocprim17ROCPRIM_400000_NS6detail17trampoline_kernelINS0_14default_configENS1_27scan_by_key_config_selectorIiiEEZZNS1_16scan_by_key_implILNS1_25lookback_scan_determinismE0ELb0ES3_N6thrust23THRUST_200600_302600_NS6detail15normal_iteratorINS9_10device_ptrIiEEEESE_SE_iNS9_10multipliesIiEENS9_8equal_toIiEEiEE10hipError_tPvRmT2_T3_T4_T5_mT6_T7_P12ihipStream_tbENKUlT_T0_E_clISt17integral_constantIbLb1EESZ_EEDaSU_SV_EUlSU_E_NS1_11comp_targetILNS1_3genE0ELNS1_11target_archE4294967295ELNS1_3gpuE0ELNS1_3repE0EEENS1_30default_config_static_selectorELNS0_4arch9wavefront6targetE1EEEvT1_.kd
    .uniform_work_group_size: 1
    .uses_dynamic_stack: false
    .vgpr_count:     0
    .vgpr_spill_count: 0
    .wavefront_size: 64
  - .agpr_count:     0
    .args:
      - .offset:         0
        .size:           112
        .value_kind:     by_value
    .group_segment_fixed_size: 0
    .kernarg_segment_align: 8
    .kernarg_segment_size: 112
    .language:       OpenCL C
    .language_version:
      - 2
      - 0
    .max_flat_workgroup_size: 256
    .name:           _ZN7rocprim17ROCPRIM_400000_NS6detail17trampoline_kernelINS0_14default_configENS1_27scan_by_key_config_selectorIiiEEZZNS1_16scan_by_key_implILNS1_25lookback_scan_determinismE0ELb0ES3_N6thrust23THRUST_200600_302600_NS6detail15normal_iteratorINS9_10device_ptrIiEEEESE_SE_iNS9_10multipliesIiEENS9_8equal_toIiEEiEE10hipError_tPvRmT2_T3_T4_T5_mT6_T7_P12ihipStream_tbENKUlT_T0_E_clISt17integral_constantIbLb1EESZ_EEDaSU_SV_EUlSU_E_NS1_11comp_targetILNS1_3genE10ELNS1_11target_archE1201ELNS1_3gpuE5ELNS1_3repE0EEENS1_30default_config_static_selectorELNS0_4arch9wavefront6targetE1EEEvT1_
    .private_segment_fixed_size: 0
    .sgpr_count:     4
    .sgpr_spill_count: 0
    .symbol:         _ZN7rocprim17ROCPRIM_400000_NS6detail17trampoline_kernelINS0_14default_configENS1_27scan_by_key_config_selectorIiiEEZZNS1_16scan_by_key_implILNS1_25lookback_scan_determinismE0ELb0ES3_N6thrust23THRUST_200600_302600_NS6detail15normal_iteratorINS9_10device_ptrIiEEEESE_SE_iNS9_10multipliesIiEENS9_8equal_toIiEEiEE10hipError_tPvRmT2_T3_T4_T5_mT6_T7_P12ihipStream_tbENKUlT_T0_E_clISt17integral_constantIbLb1EESZ_EEDaSU_SV_EUlSU_E_NS1_11comp_targetILNS1_3genE10ELNS1_11target_archE1201ELNS1_3gpuE5ELNS1_3repE0EEENS1_30default_config_static_selectorELNS0_4arch9wavefront6targetE1EEEvT1_.kd
    .uniform_work_group_size: 1
    .uses_dynamic_stack: false
    .vgpr_count:     0
    .vgpr_spill_count: 0
    .wavefront_size: 64
  - .agpr_count:     0
    .args:
      - .offset:         0
        .size:           112
        .value_kind:     by_value
    .group_segment_fixed_size: 0
    .kernarg_segment_align: 8
    .kernarg_segment_size: 112
    .language:       OpenCL C
    .language_version:
      - 2
      - 0
    .max_flat_workgroup_size: 256
    .name:           _ZN7rocprim17ROCPRIM_400000_NS6detail17trampoline_kernelINS0_14default_configENS1_27scan_by_key_config_selectorIiiEEZZNS1_16scan_by_key_implILNS1_25lookback_scan_determinismE0ELb0ES3_N6thrust23THRUST_200600_302600_NS6detail15normal_iteratorINS9_10device_ptrIiEEEESE_SE_iNS9_10multipliesIiEENS9_8equal_toIiEEiEE10hipError_tPvRmT2_T3_T4_T5_mT6_T7_P12ihipStream_tbENKUlT_T0_E_clISt17integral_constantIbLb1EESZ_EEDaSU_SV_EUlSU_E_NS1_11comp_targetILNS1_3genE5ELNS1_11target_archE942ELNS1_3gpuE9ELNS1_3repE0EEENS1_30default_config_static_selectorELNS0_4arch9wavefront6targetE1EEEvT1_
    .private_segment_fixed_size: 0
    .sgpr_count:     4
    .sgpr_spill_count: 0
    .symbol:         _ZN7rocprim17ROCPRIM_400000_NS6detail17trampoline_kernelINS0_14default_configENS1_27scan_by_key_config_selectorIiiEEZZNS1_16scan_by_key_implILNS1_25lookback_scan_determinismE0ELb0ES3_N6thrust23THRUST_200600_302600_NS6detail15normal_iteratorINS9_10device_ptrIiEEEESE_SE_iNS9_10multipliesIiEENS9_8equal_toIiEEiEE10hipError_tPvRmT2_T3_T4_T5_mT6_T7_P12ihipStream_tbENKUlT_T0_E_clISt17integral_constantIbLb1EESZ_EEDaSU_SV_EUlSU_E_NS1_11comp_targetILNS1_3genE5ELNS1_11target_archE942ELNS1_3gpuE9ELNS1_3repE0EEENS1_30default_config_static_selectorELNS0_4arch9wavefront6targetE1EEEvT1_.kd
    .uniform_work_group_size: 1
    .uses_dynamic_stack: false
    .vgpr_count:     0
    .vgpr_spill_count: 0
    .wavefront_size: 64
  - .agpr_count:     0
    .args:
      - .offset:         0
        .size:           112
        .value_kind:     by_value
    .group_segment_fixed_size: 16384
    .kernarg_segment_align: 8
    .kernarg_segment_size: 112
    .language:       OpenCL C
    .language_version:
      - 2
      - 0
    .max_flat_workgroup_size: 256
    .name:           _ZN7rocprim17ROCPRIM_400000_NS6detail17trampoline_kernelINS0_14default_configENS1_27scan_by_key_config_selectorIiiEEZZNS1_16scan_by_key_implILNS1_25lookback_scan_determinismE0ELb0ES3_N6thrust23THRUST_200600_302600_NS6detail15normal_iteratorINS9_10device_ptrIiEEEESE_SE_iNS9_10multipliesIiEENS9_8equal_toIiEEiEE10hipError_tPvRmT2_T3_T4_T5_mT6_T7_P12ihipStream_tbENKUlT_T0_E_clISt17integral_constantIbLb1EESZ_EEDaSU_SV_EUlSU_E_NS1_11comp_targetILNS1_3genE4ELNS1_11target_archE910ELNS1_3gpuE8ELNS1_3repE0EEENS1_30default_config_static_selectorELNS0_4arch9wavefront6targetE1EEEvT1_
    .private_segment_fixed_size: 0
    .sgpr_count:     69
    .sgpr_spill_count: 0
    .symbol:         _ZN7rocprim17ROCPRIM_400000_NS6detail17trampoline_kernelINS0_14default_configENS1_27scan_by_key_config_selectorIiiEEZZNS1_16scan_by_key_implILNS1_25lookback_scan_determinismE0ELb0ES3_N6thrust23THRUST_200600_302600_NS6detail15normal_iteratorINS9_10device_ptrIiEEEESE_SE_iNS9_10multipliesIiEENS9_8equal_toIiEEiEE10hipError_tPvRmT2_T3_T4_T5_mT6_T7_P12ihipStream_tbENKUlT_T0_E_clISt17integral_constantIbLb1EESZ_EEDaSU_SV_EUlSU_E_NS1_11comp_targetILNS1_3genE4ELNS1_11target_archE910ELNS1_3gpuE8ELNS1_3repE0EEENS1_30default_config_static_selectorELNS0_4arch9wavefront6targetE1EEEvT1_.kd
    .uniform_work_group_size: 1
    .uses_dynamic_stack: false
    .vgpr_count:     63
    .vgpr_spill_count: 0
    .wavefront_size: 64
  - .agpr_count:     0
    .args:
      - .offset:         0
        .size:           112
        .value_kind:     by_value
    .group_segment_fixed_size: 0
    .kernarg_segment_align: 8
    .kernarg_segment_size: 112
    .language:       OpenCL C
    .language_version:
      - 2
      - 0
    .max_flat_workgroup_size: 256
    .name:           _ZN7rocprim17ROCPRIM_400000_NS6detail17trampoline_kernelINS0_14default_configENS1_27scan_by_key_config_selectorIiiEEZZNS1_16scan_by_key_implILNS1_25lookback_scan_determinismE0ELb0ES3_N6thrust23THRUST_200600_302600_NS6detail15normal_iteratorINS9_10device_ptrIiEEEESE_SE_iNS9_10multipliesIiEENS9_8equal_toIiEEiEE10hipError_tPvRmT2_T3_T4_T5_mT6_T7_P12ihipStream_tbENKUlT_T0_E_clISt17integral_constantIbLb1EESZ_EEDaSU_SV_EUlSU_E_NS1_11comp_targetILNS1_3genE3ELNS1_11target_archE908ELNS1_3gpuE7ELNS1_3repE0EEENS1_30default_config_static_selectorELNS0_4arch9wavefront6targetE1EEEvT1_
    .private_segment_fixed_size: 0
    .sgpr_count:     4
    .sgpr_spill_count: 0
    .symbol:         _ZN7rocprim17ROCPRIM_400000_NS6detail17trampoline_kernelINS0_14default_configENS1_27scan_by_key_config_selectorIiiEEZZNS1_16scan_by_key_implILNS1_25lookback_scan_determinismE0ELb0ES3_N6thrust23THRUST_200600_302600_NS6detail15normal_iteratorINS9_10device_ptrIiEEEESE_SE_iNS9_10multipliesIiEENS9_8equal_toIiEEiEE10hipError_tPvRmT2_T3_T4_T5_mT6_T7_P12ihipStream_tbENKUlT_T0_E_clISt17integral_constantIbLb1EESZ_EEDaSU_SV_EUlSU_E_NS1_11comp_targetILNS1_3genE3ELNS1_11target_archE908ELNS1_3gpuE7ELNS1_3repE0EEENS1_30default_config_static_selectorELNS0_4arch9wavefront6targetE1EEEvT1_.kd
    .uniform_work_group_size: 1
    .uses_dynamic_stack: false
    .vgpr_count:     0
    .vgpr_spill_count: 0
    .wavefront_size: 64
  - .agpr_count:     0
    .args:
      - .offset:         0
        .size:           112
        .value_kind:     by_value
    .group_segment_fixed_size: 0
    .kernarg_segment_align: 8
    .kernarg_segment_size: 112
    .language:       OpenCL C
    .language_version:
      - 2
      - 0
    .max_flat_workgroup_size: 256
    .name:           _ZN7rocprim17ROCPRIM_400000_NS6detail17trampoline_kernelINS0_14default_configENS1_27scan_by_key_config_selectorIiiEEZZNS1_16scan_by_key_implILNS1_25lookback_scan_determinismE0ELb0ES3_N6thrust23THRUST_200600_302600_NS6detail15normal_iteratorINS9_10device_ptrIiEEEESE_SE_iNS9_10multipliesIiEENS9_8equal_toIiEEiEE10hipError_tPvRmT2_T3_T4_T5_mT6_T7_P12ihipStream_tbENKUlT_T0_E_clISt17integral_constantIbLb1EESZ_EEDaSU_SV_EUlSU_E_NS1_11comp_targetILNS1_3genE2ELNS1_11target_archE906ELNS1_3gpuE6ELNS1_3repE0EEENS1_30default_config_static_selectorELNS0_4arch9wavefront6targetE1EEEvT1_
    .private_segment_fixed_size: 0
    .sgpr_count:     4
    .sgpr_spill_count: 0
    .symbol:         _ZN7rocprim17ROCPRIM_400000_NS6detail17trampoline_kernelINS0_14default_configENS1_27scan_by_key_config_selectorIiiEEZZNS1_16scan_by_key_implILNS1_25lookback_scan_determinismE0ELb0ES3_N6thrust23THRUST_200600_302600_NS6detail15normal_iteratorINS9_10device_ptrIiEEEESE_SE_iNS9_10multipliesIiEENS9_8equal_toIiEEiEE10hipError_tPvRmT2_T3_T4_T5_mT6_T7_P12ihipStream_tbENKUlT_T0_E_clISt17integral_constantIbLb1EESZ_EEDaSU_SV_EUlSU_E_NS1_11comp_targetILNS1_3genE2ELNS1_11target_archE906ELNS1_3gpuE6ELNS1_3repE0EEENS1_30default_config_static_selectorELNS0_4arch9wavefront6targetE1EEEvT1_.kd
    .uniform_work_group_size: 1
    .uses_dynamic_stack: false
    .vgpr_count:     0
    .vgpr_spill_count: 0
    .wavefront_size: 64
  - .agpr_count:     0
    .args:
      - .offset:         0
        .size:           112
        .value_kind:     by_value
    .group_segment_fixed_size: 0
    .kernarg_segment_align: 8
    .kernarg_segment_size: 112
    .language:       OpenCL C
    .language_version:
      - 2
      - 0
    .max_flat_workgroup_size: 256
    .name:           _ZN7rocprim17ROCPRIM_400000_NS6detail17trampoline_kernelINS0_14default_configENS1_27scan_by_key_config_selectorIiiEEZZNS1_16scan_by_key_implILNS1_25lookback_scan_determinismE0ELb0ES3_N6thrust23THRUST_200600_302600_NS6detail15normal_iteratorINS9_10device_ptrIiEEEESE_SE_iNS9_10multipliesIiEENS9_8equal_toIiEEiEE10hipError_tPvRmT2_T3_T4_T5_mT6_T7_P12ihipStream_tbENKUlT_T0_E_clISt17integral_constantIbLb1EESZ_EEDaSU_SV_EUlSU_E_NS1_11comp_targetILNS1_3genE10ELNS1_11target_archE1200ELNS1_3gpuE4ELNS1_3repE0EEENS1_30default_config_static_selectorELNS0_4arch9wavefront6targetE1EEEvT1_
    .private_segment_fixed_size: 0
    .sgpr_count:     4
    .sgpr_spill_count: 0
    .symbol:         _ZN7rocprim17ROCPRIM_400000_NS6detail17trampoline_kernelINS0_14default_configENS1_27scan_by_key_config_selectorIiiEEZZNS1_16scan_by_key_implILNS1_25lookback_scan_determinismE0ELb0ES3_N6thrust23THRUST_200600_302600_NS6detail15normal_iteratorINS9_10device_ptrIiEEEESE_SE_iNS9_10multipliesIiEENS9_8equal_toIiEEiEE10hipError_tPvRmT2_T3_T4_T5_mT6_T7_P12ihipStream_tbENKUlT_T0_E_clISt17integral_constantIbLb1EESZ_EEDaSU_SV_EUlSU_E_NS1_11comp_targetILNS1_3genE10ELNS1_11target_archE1200ELNS1_3gpuE4ELNS1_3repE0EEENS1_30default_config_static_selectorELNS0_4arch9wavefront6targetE1EEEvT1_.kd
    .uniform_work_group_size: 1
    .uses_dynamic_stack: false
    .vgpr_count:     0
    .vgpr_spill_count: 0
    .wavefront_size: 64
  - .agpr_count:     0
    .args:
      - .offset:         0
        .size:           112
        .value_kind:     by_value
    .group_segment_fixed_size: 0
    .kernarg_segment_align: 8
    .kernarg_segment_size: 112
    .language:       OpenCL C
    .language_version:
      - 2
      - 0
    .max_flat_workgroup_size: 256
    .name:           _ZN7rocprim17ROCPRIM_400000_NS6detail17trampoline_kernelINS0_14default_configENS1_27scan_by_key_config_selectorIiiEEZZNS1_16scan_by_key_implILNS1_25lookback_scan_determinismE0ELb0ES3_N6thrust23THRUST_200600_302600_NS6detail15normal_iteratorINS9_10device_ptrIiEEEESE_SE_iNS9_10multipliesIiEENS9_8equal_toIiEEiEE10hipError_tPvRmT2_T3_T4_T5_mT6_T7_P12ihipStream_tbENKUlT_T0_E_clISt17integral_constantIbLb1EESZ_EEDaSU_SV_EUlSU_E_NS1_11comp_targetILNS1_3genE9ELNS1_11target_archE1100ELNS1_3gpuE3ELNS1_3repE0EEENS1_30default_config_static_selectorELNS0_4arch9wavefront6targetE1EEEvT1_
    .private_segment_fixed_size: 0
    .sgpr_count:     4
    .sgpr_spill_count: 0
    .symbol:         _ZN7rocprim17ROCPRIM_400000_NS6detail17trampoline_kernelINS0_14default_configENS1_27scan_by_key_config_selectorIiiEEZZNS1_16scan_by_key_implILNS1_25lookback_scan_determinismE0ELb0ES3_N6thrust23THRUST_200600_302600_NS6detail15normal_iteratorINS9_10device_ptrIiEEEESE_SE_iNS9_10multipliesIiEENS9_8equal_toIiEEiEE10hipError_tPvRmT2_T3_T4_T5_mT6_T7_P12ihipStream_tbENKUlT_T0_E_clISt17integral_constantIbLb1EESZ_EEDaSU_SV_EUlSU_E_NS1_11comp_targetILNS1_3genE9ELNS1_11target_archE1100ELNS1_3gpuE3ELNS1_3repE0EEENS1_30default_config_static_selectorELNS0_4arch9wavefront6targetE1EEEvT1_.kd
    .uniform_work_group_size: 1
    .uses_dynamic_stack: false
    .vgpr_count:     0
    .vgpr_spill_count: 0
    .wavefront_size: 64
  - .agpr_count:     0
    .args:
      - .offset:         0
        .size:           112
        .value_kind:     by_value
    .group_segment_fixed_size: 0
    .kernarg_segment_align: 8
    .kernarg_segment_size: 112
    .language:       OpenCL C
    .language_version:
      - 2
      - 0
    .max_flat_workgroup_size: 256
    .name:           _ZN7rocprim17ROCPRIM_400000_NS6detail17trampoline_kernelINS0_14default_configENS1_27scan_by_key_config_selectorIiiEEZZNS1_16scan_by_key_implILNS1_25lookback_scan_determinismE0ELb0ES3_N6thrust23THRUST_200600_302600_NS6detail15normal_iteratorINS9_10device_ptrIiEEEESE_SE_iNS9_10multipliesIiEENS9_8equal_toIiEEiEE10hipError_tPvRmT2_T3_T4_T5_mT6_T7_P12ihipStream_tbENKUlT_T0_E_clISt17integral_constantIbLb1EESZ_EEDaSU_SV_EUlSU_E_NS1_11comp_targetILNS1_3genE8ELNS1_11target_archE1030ELNS1_3gpuE2ELNS1_3repE0EEENS1_30default_config_static_selectorELNS0_4arch9wavefront6targetE1EEEvT1_
    .private_segment_fixed_size: 0
    .sgpr_count:     4
    .sgpr_spill_count: 0
    .symbol:         _ZN7rocprim17ROCPRIM_400000_NS6detail17trampoline_kernelINS0_14default_configENS1_27scan_by_key_config_selectorIiiEEZZNS1_16scan_by_key_implILNS1_25lookback_scan_determinismE0ELb0ES3_N6thrust23THRUST_200600_302600_NS6detail15normal_iteratorINS9_10device_ptrIiEEEESE_SE_iNS9_10multipliesIiEENS9_8equal_toIiEEiEE10hipError_tPvRmT2_T3_T4_T5_mT6_T7_P12ihipStream_tbENKUlT_T0_E_clISt17integral_constantIbLb1EESZ_EEDaSU_SV_EUlSU_E_NS1_11comp_targetILNS1_3genE8ELNS1_11target_archE1030ELNS1_3gpuE2ELNS1_3repE0EEENS1_30default_config_static_selectorELNS0_4arch9wavefront6targetE1EEEvT1_.kd
    .uniform_work_group_size: 1
    .uses_dynamic_stack: false
    .vgpr_count:     0
    .vgpr_spill_count: 0
    .wavefront_size: 64
  - .agpr_count:     0
    .args:
      - .offset:         0
        .size:           112
        .value_kind:     by_value
    .group_segment_fixed_size: 0
    .kernarg_segment_align: 8
    .kernarg_segment_size: 112
    .language:       OpenCL C
    .language_version:
      - 2
      - 0
    .max_flat_workgroup_size: 256
    .name:           _ZN7rocprim17ROCPRIM_400000_NS6detail17trampoline_kernelINS0_14default_configENS1_27scan_by_key_config_selectorIiiEEZZNS1_16scan_by_key_implILNS1_25lookback_scan_determinismE0ELb0ES3_N6thrust23THRUST_200600_302600_NS6detail15normal_iteratorINS9_10device_ptrIiEEEESE_SE_iNS9_10multipliesIiEENS9_8equal_toIiEEiEE10hipError_tPvRmT2_T3_T4_T5_mT6_T7_P12ihipStream_tbENKUlT_T0_E_clISt17integral_constantIbLb1EESY_IbLb0EEEEDaSU_SV_EUlSU_E_NS1_11comp_targetILNS1_3genE0ELNS1_11target_archE4294967295ELNS1_3gpuE0ELNS1_3repE0EEENS1_30default_config_static_selectorELNS0_4arch9wavefront6targetE1EEEvT1_
    .private_segment_fixed_size: 0
    .sgpr_count:     4
    .sgpr_spill_count: 0
    .symbol:         _ZN7rocprim17ROCPRIM_400000_NS6detail17trampoline_kernelINS0_14default_configENS1_27scan_by_key_config_selectorIiiEEZZNS1_16scan_by_key_implILNS1_25lookback_scan_determinismE0ELb0ES3_N6thrust23THRUST_200600_302600_NS6detail15normal_iteratorINS9_10device_ptrIiEEEESE_SE_iNS9_10multipliesIiEENS9_8equal_toIiEEiEE10hipError_tPvRmT2_T3_T4_T5_mT6_T7_P12ihipStream_tbENKUlT_T0_E_clISt17integral_constantIbLb1EESY_IbLb0EEEEDaSU_SV_EUlSU_E_NS1_11comp_targetILNS1_3genE0ELNS1_11target_archE4294967295ELNS1_3gpuE0ELNS1_3repE0EEENS1_30default_config_static_selectorELNS0_4arch9wavefront6targetE1EEEvT1_.kd
    .uniform_work_group_size: 1
    .uses_dynamic_stack: false
    .vgpr_count:     0
    .vgpr_spill_count: 0
    .wavefront_size: 64
  - .agpr_count:     0
    .args:
      - .offset:         0
        .size:           112
        .value_kind:     by_value
    .group_segment_fixed_size: 0
    .kernarg_segment_align: 8
    .kernarg_segment_size: 112
    .language:       OpenCL C
    .language_version:
      - 2
      - 0
    .max_flat_workgroup_size: 256
    .name:           _ZN7rocprim17ROCPRIM_400000_NS6detail17trampoline_kernelINS0_14default_configENS1_27scan_by_key_config_selectorIiiEEZZNS1_16scan_by_key_implILNS1_25lookback_scan_determinismE0ELb0ES3_N6thrust23THRUST_200600_302600_NS6detail15normal_iteratorINS9_10device_ptrIiEEEESE_SE_iNS9_10multipliesIiEENS9_8equal_toIiEEiEE10hipError_tPvRmT2_T3_T4_T5_mT6_T7_P12ihipStream_tbENKUlT_T0_E_clISt17integral_constantIbLb1EESY_IbLb0EEEEDaSU_SV_EUlSU_E_NS1_11comp_targetILNS1_3genE10ELNS1_11target_archE1201ELNS1_3gpuE5ELNS1_3repE0EEENS1_30default_config_static_selectorELNS0_4arch9wavefront6targetE1EEEvT1_
    .private_segment_fixed_size: 0
    .sgpr_count:     4
    .sgpr_spill_count: 0
    .symbol:         _ZN7rocprim17ROCPRIM_400000_NS6detail17trampoline_kernelINS0_14default_configENS1_27scan_by_key_config_selectorIiiEEZZNS1_16scan_by_key_implILNS1_25lookback_scan_determinismE0ELb0ES3_N6thrust23THRUST_200600_302600_NS6detail15normal_iteratorINS9_10device_ptrIiEEEESE_SE_iNS9_10multipliesIiEENS9_8equal_toIiEEiEE10hipError_tPvRmT2_T3_T4_T5_mT6_T7_P12ihipStream_tbENKUlT_T0_E_clISt17integral_constantIbLb1EESY_IbLb0EEEEDaSU_SV_EUlSU_E_NS1_11comp_targetILNS1_3genE10ELNS1_11target_archE1201ELNS1_3gpuE5ELNS1_3repE0EEENS1_30default_config_static_selectorELNS0_4arch9wavefront6targetE1EEEvT1_.kd
    .uniform_work_group_size: 1
    .uses_dynamic_stack: false
    .vgpr_count:     0
    .vgpr_spill_count: 0
    .wavefront_size: 64
  - .agpr_count:     0
    .args:
      - .offset:         0
        .size:           112
        .value_kind:     by_value
    .group_segment_fixed_size: 0
    .kernarg_segment_align: 8
    .kernarg_segment_size: 112
    .language:       OpenCL C
    .language_version:
      - 2
      - 0
    .max_flat_workgroup_size: 256
    .name:           _ZN7rocprim17ROCPRIM_400000_NS6detail17trampoline_kernelINS0_14default_configENS1_27scan_by_key_config_selectorIiiEEZZNS1_16scan_by_key_implILNS1_25lookback_scan_determinismE0ELb0ES3_N6thrust23THRUST_200600_302600_NS6detail15normal_iteratorINS9_10device_ptrIiEEEESE_SE_iNS9_10multipliesIiEENS9_8equal_toIiEEiEE10hipError_tPvRmT2_T3_T4_T5_mT6_T7_P12ihipStream_tbENKUlT_T0_E_clISt17integral_constantIbLb1EESY_IbLb0EEEEDaSU_SV_EUlSU_E_NS1_11comp_targetILNS1_3genE5ELNS1_11target_archE942ELNS1_3gpuE9ELNS1_3repE0EEENS1_30default_config_static_selectorELNS0_4arch9wavefront6targetE1EEEvT1_
    .private_segment_fixed_size: 0
    .sgpr_count:     4
    .sgpr_spill_count: 0
    .symbol:         _ZN7rocprim17ROCPRIM_400000_NS6detail17trampoline_kernelINS0_14default_configENS1_27scan_by_key_config_selectorIiiEEZZNS1_16scan_by_key_implILNS1_25lookback_scan_determinismE0ELb0ES3_N6thrust23THRUST_200600_302600_NS6detail15normal_iteratorINS9_10device_ptrIiEEEESE_SE_iNS9_10multipliesIiEENS9_8equal_toIiEEiEE10hipError_tPvRmT2_T3_T4_T5_mT6_T7_P12ihipStream_tbENKUlT_T0_E_clISt17integral_constantIbLb1EESY_IbLb0EEEEDaSU_SV_EUlSU_E_NS1_11comp_targetILNS1_3genE5ELNS1_11target_archE942ELNS1_3gpuE9ELNS1_3repE0EEENS1_30default_config_static_selectorELNS0_4arch9wavefront6targetE1EEEvT1_.kd
    .uniform_work_group_size: 1
    .uses_dynamic_stack: false
    .vgpr_count:     0
    .vgpr_spill_count: 0
    .wavefront_size: 64
  - .agpr_count:     0
    .args:
      - .offset:         0
        .size:           112
        .value_kind:     by_value
    .group_segment_fixed_size: 16384
    .kernarg_segment_align: 8
    .kernarg_segment_size: 112
    .language:       OpenCL C
    .language_version:
      - 2
      - 0
    .max_flat_workgroup_size: 256
    .name:           _ZN7rocprim17ROCPRIM_400000_NS6detail17trampoline_kernelINS0_14default_configENS1_27scan_by_key_config_selectorIiiEEZZNS1_16scan_by_key_implILNS1_25lookback_scan_determinismE0ELb0ES3_N6thrust23THRUST_200600_302600_NS6detail15normal_iteratorINS9_10device_ptrIiEEEESE_SE_iNS9_10multipliesIiEENS9_8equal_toIiEEiEE10hipError_tPvRmT2_T3_T4_T5_mT6_T7_P12ihipStream_tbENKUlT_T0_E_clISt17integral_constantIbLb1EESY_IbLb0EEEEDaSU_SV_EUlSU_E_NS1_11comp_targetILNS1_3genE4ELNS1_11target_archE910ELNS1_3gpuE8ELNS1_3repE0EEENS1_30default_config_static_selectorELNS0_4arch9wavefront6targetE1EEEvT1_
    .private_segment_fixed_size: 0
    .sgpr_count:     65
    .sgpr_spill_count: 0
    .symbol:         _ZN7rocprim17ROCPRIM_400000_NS6detail17trampoline_kernelINS0_14default_configENS1_27scan_by_key_config_selectorIiiEEZZNS1_16scan_by_key_implILNS1_25lookback_scan_determinismE0ELb0ES3_N6thrust23THRUST_200600_302600_NS6detail15normal_iteratorINS9_10device_ptrIiEEEESE_SE_iNS9_10multipliesIiEENS9_8equal_toIiEEiEE10hipError_tPvRmT2_T3_T4_T5_mT6_T7_P12ihipStream_tbENKUlT_T0_E_clISt17integral_constantIbLb1EESY_IbLb0EEEEDaSU_SV_EUlSU_E_NS1_11comp_targetILNS1_3genE4ELNS1_11target_archE910ELNS1_3gpuE8ELNS1_3repE0EEENS1_30default_config_static_selectorELNS0_4arch9wavefront6targetE1EEEvT1_.kd
    .uniform_work_group_size: 1
    .uses_dynamic_stack: false
    .vgpr_count:     63
    .vgpr_spill_count: 0
    .wavefront_size: 64
  - .agpr_count:     0
    .args:
      - .offset:         0
        .size:           112
        .value_kind:     by_value
    .group_segment_fixed_size: 0
    .kernarg_segment_align: 8
    .kernarg_segment_size: 112
    .language:       OpenCL C
    .language_version:
      - 2
      - 0
    .max_flat_workgroup_size: 256
    .name:           _ZN7rocprim17ROCPRIM_400000_NS6detail17trampoline_kernelINS0_14default_configENS1_27scan_by_key_config_selectorIiiEEZZNS1_16scan_by_key_implILNS1_25lookback_scan_determinismE0ELb0ES3_N6thrust23THRUST_200600_302600_NS6detail15normal_iteratorINS9_10device_ptrIiEEEESE_SE_iNS9_10multipliesIiEENS9_8equal_toIiEEiEE10hipError_tPvRmT2_T3_T4_T5_mT6_T7_P12ihipStream_tbENKUlT_T0_E_clISt17integral_constantIbLb1EESY_IbLb0EEEEDaSU_SV_EUlSU_E_NS1_11comp_targetILNS1_3genE3ELNS1_11target_archE908ELNS1_3gpuE7ELNS1_3repE0EEENS1_30default_config_static_selectorELNS0_4arch9wavefront6targetE1EEEvT1_
    .private_segment_fixed_size: 0
    .sgpr_count:     4
    .sgpr_spill_count: 0
    .symbol:         _ZN7rocprim17ROCPRIM_400000_NS6detail17trampoline_kernelINS0_14default_configENS1_27scan_by_key_config_selectorIiiEEZZNS1_16scan_by_key_implILNS1_25lookback_scan_determinismE0ELb0ES3_N6thrust23THRUST_200600_302600_NS6detail15normal_iteratorINS9_10device_ptrIiEEEESE_SE_iNS9_10multipliesIiEENS9_8equal_toIiEEiEE10hipError_tPvRmT2_T3_T4_T5_mT6_T7_P12ihipStream_tbENKUlT_T0_E_clISt17integral_constantIbLb1EESY_IbLb0EEEEDaSU_SV_EUlSU_E_NS1_11comp_targetILNS1_3genE3ELNS1_11target_archE908ELNS1_3gpuE7ELNS1_3repE0EEENS1_30default_config_static_selectorELNS0_4arch9wavefront6targetE1EEEvT1_.kd
    .uniform_work_group_size: 1
    .uses_dynamic_stack: false
    .vgpr_count:     0
    .vgpr_spill_count: 0
    .wavefront_size: 64
  - .agpr_count:     0
    .args:
      - .offset:         0
        .size:           112
        .value_kind:     by_value
    .group_segment_fixed_size: 0
    .kernarg_segment_align: 8
    .kernarg_segment_size: 112
    .language:       OpenCL C
    .language_version:
      - 2
      - 0
    .max_flat_workgroup_size: 256
    .name:           _ZN7rocprim17ROCPRIM_400000_NS6detail17trampoline_kernelINS0_14default_configENS1_27scan_by_key_config_selectorIiiEEZZNS1_16scan_by_key_implILNS1_25lookback_scan_determinismE0ELb0ES3_N6thrust23THRUST_200600_302600_NS6detail15normal_iteratorINS9_10device_ptrIiEEEESE_SE_iNS9_10multipliesIiEENS9_8equal_toIiEEiEE10hipError_tPvRmT2_T3_T4_T5_mT6_T7_P12ihipStream_tbENKUlT_T0_E_clISt17integral_constantIbLb1EESY_IbLb0EEEEDaSU_SV_EUlSU_E_NS1_11comp_targetILNS1_3genE2ELNS1_11target_archE906ELNS1_3gpuE6ELNS1_3repE0EEENS1_30default_config_static_selectorELNS0_4arch9wavefront6targetE1EEEvT1_
    .private_segment_fixed_size: 0
    .sgpr_count:     4
    .sgpr_spill_count: 0
    .symbol:         _ZN7rocprim17ROCPRIM_400000_NS6detail17trampoline_kernelINS0_14default_configENS1_27scan_by_key_config_selectorIiiEEZZNS1_16scan_by_key_implILNS1_25lookback_scan_determinismE0ELb0ES3_N6thrust23THRUST_200600_302600_NS6detail15normal_iteratorINS9_10device_ptrIiEEEESE_SE_iNS9_10multipliesIiEENS9_8equal_toIiEEiEE10hipError_tPvRmT2_T3_T4_T5_mT6_T7_P12ihipStream_tbENKUlT_T0_E_clISt17integral_constantIbLb1EESY_IbLb0EEEEDaSU_SV_EUlSU_E_NS1_11comp_targetILNS1_3genE2ELNS1_11target_archE906ELNS1_3gpuE6ELNS1_3repE0EEENS1_30default_config_static_selectorELNS0_4arch9wavefront6targetE1EEEvT1_.kd
    .uniform_work_group_size: 1
    .uses_dynamic_stack: false
    .vgpr_count:     0
    .vgpr_spill_count: 0
    .wavefront_size: 64
  - .agpr_count:     0
    .args:
      - .offset:         0
        .size:           112
        .value_kind:     by_value
    .group_segment_fixed_size: 0
    .kernarg_segment_align: 8
    .kernarg_segment_size: 112
    .language:       OpenCL C
    .language_version:
      - 2
      - 0
    .max_flat_workgroup_size: 256
    .name:           _ZN7rocprim17ROCPRIM_400000_NS6detail17trampoline_kernelINS0_14default_configENS1_27scan_by_key_config_selectorIiiEEZZNS1_16scan_by_key_implILNS1_25lookback_scan_determinismE0ELb0ES3_N6thrust23THRUST_200600_302600_NS6detail15normal_iteratorINS9_10device_ptrIiEEEESE_SE_iNS9_10multipliesIiEENS9_8equal_toIiEEiEE10hipError_tPvRmT2_T3_T4_T5_mT6_T7_P12ihipStream_tbENKUlT_T0_E_clISt17integral_constantIbLb1EESY_IbLb0EEEEDaSU_SV_EUlSU_E_NS1_11comp_targetILNS1_3genE10ELNS1_11target_archE1200ELNS1_3gpuE4ELNS1_3repE0EEENS1_30default_config_static_selectorELNS0_4arch9wavefront6targetE1EEEvT1_
    .private_segment_fixed_size: 0
    .sgpr_count:     4
    .sgpr_spill_count: 0
    .symbol:         _ZN7rocprim17ROCPRIM_400000_NS6detail17trampoline_kernelINS0_14default_configENS1_27scan_by_key_config_selectorIiiEEZZNS1_16scan_by_key_implILNS1_25lookback_scan_determinismE0ELb0ES3_N6thrust23THRUST_200600_302600_NS6detail15normal_iteratorINS9_10device_ptrIiEEEESE_SE_iNS9_10multipliesIiEENS9_8equal_toIiEEiEE10hipError_tPvRmT2_T3_T4_T5_mT6_T7_P12ihipStream_tbENKUlT_T0_E_clISt17integral_constantIbLb1EESY_IbLb0EEEEDaSU_SV_EUlSU_E_NS1_11comp_targetILNS1_3genE10ELNS1_11target_archE1200ELNS1_3gpuE4ELNS1_3repE0EEENS1_30default_config_static_selectorELNS0_4arch9wavefront6targetE1EEEvT1_.kd
    .uniform_work_group_size: 1
    .uses_dynamic_stack: false
    .vgpr_count:     0
    .vgpr_spill_count: 0
    .wavefront_size: 64
  - .agpr_count:     0
    .args:
      - .offset:         0
        .size:           112
        .value_kind:     by_value
    .group_segment_fixed_size: 0
    .kernarg_segment_align: 8
    .kernarg_segment_size: 112
    .language:       OpenCL C
    .language_version:
      - 2
      - 0
    .max_flat_workgroup_size: 256
    .name:           _ZN7rocprim17ROCPRIM_400000_NS6detail17trampoline_kernelINS0_14default_configENS1_27scan_by_key_config_selectorIiiEEZZNS1_16scan_by_key_implILNS1_25lookback_scan_determinismE0ELb0ES3_N6thrust23THRUST_200600_302600_NS6detail15normal_iteratorINS9_10device_ptrIiEEEESE_SE_iNS9_10multipliesIiEENS9_8equal_toIiEEiEE10hipError_tPvRmT2_T3_T4_T5_mT6_T7_P12ihipStream_tbENKUlT_T0_E_clISt17integral_constantIbLb1EESY_IbLb0EEEEDaSU_SV_EUlSU_E_NS1_11comp_targetILNS1_3genE9ELNS1_11target_archE1100ELNS1_3gpuE3ELNS1_3repE0EEENS1_30default_config_static_selectorELNS0_4arch9wavefront6targetE1EEEvT1_
    .private_segment_fixed_size: 0
    .sgpr_count:     4
    .sgpr_spill_count: 0
    .symbol:         _ZN7rocprim17ROCPRIM_400000_NS6detail17trampoline_kernelINS0_14default_configENS1_27scan_by_key_config_selectorIiiEEZZNS1_16scan_by_key_implILNS1_25lookback_scan_determinismE0ELb0ES3_N6thrust23THRUST_200600_302600_NS6detail15normal_iteratorINS9_10device_ptrIiEEEESE_SE_iNS9_10multipliesIiEENS9_8equal_toIiEEiEE10hipError_tPvRmT2_T3_T4_T5_mT6_T7_P12ihipStream_tbENKUlT_T0_E_clISt17integral_constantIbLb1EESY_IbLb0EEEEDaSU_SV_EUlSU_E_NS1_11comp_targetILNS1_3genE9ELNS1_11target_archE1100ELNS1_3gpuE3ELNS1_3repE0EEENS1_30default_config_static_selectorELNS0_4arch9wavefront6targetE1EEEvT1_.kd
    .uniform_work_group_size: 1
    .uses_dynamic_stack: false
    .vgpr_count:     0
    .vgpr_spill_count: 0
    .wavefront_size: 64
  - .agpr_count:     0
    .args:
      - .offset:         0
        .size:           112
        .value_kind:     by_value
    .group_segment_fixed_size: 0
    .kernarg_segment_align: 8
    .kernarg_segment_size: 112
    .language:       OpenCL C
    .language_version:
      - 2
      - 0
    .max_flat_workgroup_size: 256
    .name:           _ZN7rocprim17ROCPRIM_400000_NS6detail17trampoline_kernelINS0_14default_configENS1_27scan_by_key_config_selectorIiiEEZZNS1_16scan_by_key_implILNS1_25lookback_scan_determinismE0ELb0ES3_N6thrust23THRUST_200600_302600_NS6detail15normal_iteratorINS9_10device_ptrIiEEEESE_SE_iNS9_10multipliesIiEENS9_8equal_toIiEEiEE10hipError_tPvRmT2_T3_T4_T5_mT6_T7_P12ihipStream_tbENKUlT_T0_E_clISt17integral_constantIbLb1EESY_IbLb0EEEEDaSU_SV_EUlSU_E_NS1_11comp_targetILNS1_3genE8ELNS1_11target_archE1030ELNS1_3gpuE2ELNS1_3repE0EEENS1_30default_config_static_selectorELNS0_4arch9wavefront6targetE1EEEvT1_
    .private_segment_fixed_size: 0
    .sgpr_count:     4
    .sgpr_spill_count: 0
    .symbol:         _ZN7rocprim17ROCPRIM_400000_NS6detail17trampoline_kernelINS0_14default_configENS1_27scan_by_key_config_selectorIiiEEZZNS1_16scan_by_key_implILNS1_25lookback_scan_determinismE0ELb0ES3_N6thrust23THRUST_200600_302600_NS6detail15normal_iteratorINS9_10device_ptrIiEEEESE_SE_iNS9_10multipliesIiEENS9_8equal_toIiEEiEE10hipError_tPvRmT2_T3_T4_T5_mT6_T7_P12ihipStream_tbENKUlT_T0_E_clISt17integral_constantIbLb1EESY_IbLb0EEEEDaSU_SV_EUlSU_E_NS1_11comp_targetILNS1_3genE8ELNS1_11target_archE1030ELNS1_3gpuE2ELNS1_3repE0EEENS1_30default_config_static_selectorELNS0_4arch9wavefront6targetE1EEEvT1_.kd
    .uniform_work_group_size: 1
    .uses_dynamic_stack: false
    .vgpr_count:     0
    .vgpr_spill_count: 0
    .wavefront_size: 64
  - .agpr_count:     0
    .args:
      - .offset:         0
        .size:           112
        .value_kind:     by_value
    .group_segment_fixed_size: 0
    .kernarg_segment_align: 8
    .kernarg_segment_size: 112
    .language:       OpenCL C
    .language_version:
      - 2
      - 0
    .max_flat_workgroup_size: 256
    .name:           _ZN7rocprim17ROCPRIM_400000_NS6detail17trampoline_kernelINS0_14default_configENS1_27scan_by_key_config_selectorIiiEEZZNS1_16scan_by_key_implILNS1_25lookback_scan_determinismE0ELb0ES3_N6thrust23THRUST_200600_302600_NS6detail15normal_iteratorINS9_10device_ptrIiEEEESE_SE_iNS9_10multipliesIiEENS9_8equal_toIiEEiEE10hipError_tPvRmT2_T3_T4_T5_mT6_T7_P12ihipStream_tbENKUlT_T0_E_clISt17integral_constantIbLb0EESY_IbLb1EEEEDaSU_SV_EUlSU_E_NS1_11comp_targetILNS1_3genE0ELNS1_11target_archE4294967295ELNS1_3gpuE0ELNS1_3repE0EEENS1_30default_config_static_selectorELNS0_4arch9wavefront6targetE1EEEvT1_
    .private_segment_fixed_size: 0
    .sgpr_count:     4
    .sgpr_spill_count: 0
    .symbol:         _ZN7rocprim17ROCPRIM_400000_NS6detail17trampoline_kernelINS0_14default_configENS1_27scan_by_key_config_selectorIiiEEZZNS1_16scan_by_key_implILNS1_25lookback_scan_determinismE0ELb0ES3_N6thrust23THRUST_200600_302600_NS6detail15normal_iteratorINS9_10device_ptrIiEEEESE_SE_iNS9_10multipliesIiEENS9_8equal_toIiEEiEE10hipError_tPvRmT2_T3_T4_T5_mT6_T7_P12ihipStream_tbENKUlT_T0_E_clISt17integral_constantIbLb0EESY_IbLb1EEEEDaSU_SV_EUlSU_E_NS1_11comp_targetILNS1_3genE0ELNS1_11target_archE4294967295ELNS1_3gpuE0ELNS1_3repE0EEENS1_30default_config_static_selectorELNS0_4arch9wavefront6targetE1EEEvT1_.kd
    .uniform_work_group_size: 1
    .uses_dynamic_stack: false
    .vgpr_count:     0
    .vgpr_spill_count: 0
    .wavefront_size: 64
  - .agpr_count:     0
    .args:
      - .offset:         0
        .size:           112
        .value_kind:     by_value
    .group_segment_fixed_size: 0
    .kernarg_segment_align: 8
    .kernarg_segment_size: 112
    .language:       OpenCL C
    .language_version:
      - 2
      - 0
    .max_flat_workgroup_size: 256
    .name:           _ZN7rocprim17ROCPRIM_400000_NS6detail17trampoline_kernelINS0_14default_configENS1_27scan_by_key_config_selectorIiiEEZZNS1_16scan_by_key_implILNS1_25lookback_scan_determinismE0ELb0ES3_N6thrust23THRUST_200600_302600_NS6detail15normal_iteratorINS9_10device_ptrIiEEEESE_SE_iNS9_10multipliesIiEENS9_8equal_toIiEEiEE10hipError_tPvRmT2_T3_T4_T5_mT6_T7_P12ihipStream_tbENKUlT_T0_E_clISt17integral_constantIbLb0EESY_IbLb1EEEEDaSU_SV_EUlSU_E_NS1_11comp_targetILNS1_3genE10ELNS1_11target_archE1201ELNS1_3gpuE5ELNS1_3repE0EEENS1_30default_config_static_selectorELNS0_4arch9wavefront6targetE1EEEvT1_
    .private_segment_fixed_size: 0
    .sgpr_count:     4
    .sgpr_spill_count: 0
    .symbol:         _ZN7rocprim17ROCPRIM_400000_NS6detail17trampoline_kernelINS0_14default_configENS1_27scan_by_key_config_selectorIiiEEZZNS1_16scan_by_key_implILNS1_25lookback_scan_determinismE0ELb0ES3_N6thrust23THRUST_200600_302600_NS6detail15normal_iteratorINS9_10device_ptrIiEEEESE_SE_iNS9_10multipliesIiEENS9_8equal_toIiEEiEE10hipError_tPvRmT2_T3_T4_T5_mT6_T7_P12ihipStream_tbENKUlT_T0_E_clISt17integral_constantIbLb0EESY_IbLb1EEEEDaSU_SV_EUlSU_E_NS1_11comp_targetILNS1_3genE10ELNS1_11target_archE1201ELNS1_3gpuE5ELNS1_3repE0EEENS1_30default_config_static_selectorELNS0_4arch9wavefront6targetE1EEEvT1_.kd
    .uniform_work_group_size: 1
    .uses_dynamic_stack: false
    .vgpr_count:     0
    .vgpr_spill_count: 0
    .wavefront_size: 64
  - .agpr_count:     0
    .args:
      - .offset:         0
        .size:           112
        .value_kind:     by_value
    .group_segment_fixed_size: 0
    .kernarg_segment_align: 8
    .kernarg_segment_size: 112
    .language:       OpenCL C
    .language_version:
      - 2
      - 0
    .max_flat_workgroup_size: 256
    .name:           _ZN7rocprim17ROCPRIM_400000_NS6detail17trampoline_kernelINS0_14default_configENS1_27scan_by_key_config_selectorIiiEEZZNS1_16scan_by_key_implILNS1_25lookback_scan_determinismE0ELb0ES3_N6thrust23THRUST_200600_302600_NS6detail15normal_iteratorINS9_10device_ptrIiEEEESE_SE_iNS9_10multipliesIiEENS9_8equal_toIiEEiEE10hipError_tPvRmT2_T3_T4_T5_mT6_T7_P12ihipStream_tbENKUlT_T0_E_clISt17integral_constantIbLb0EESY_IbLb1EEEEDaSU_SV_EUlSU_E_NS1_11comp_targetILNS1_3genE5ELNS1_11target_archE942ELNS1_3gpuE9ELNS1_3repE0EEENS1_30default_config_static_selectorELNS0_4arch9wavefront6targetE1EEEvT1_
    .private_segment_fixed_size: 0
    .sgpr_count:     4
    .sgpr_spill_count: 0
    .symbol:         _ZN7rocprim17ROCPRIM_400000_NS6detail17trampoline_kernelINS0_14default_configENS1_27scan_by_key_config_selectorIiiEEZZNS1_16scan_by_key_implILNS1_25lookback_scan_determinismE0ELb0ES3_N6thrust23THRUST_200600_302600_NS6detail15normal_iteratorINS9_10device_ptrIiEEEESE_SE_iNS9_10multipliesIiEENS9_8equal_toIiEEiEE10hipError_tPvRmT2_T3_T4_T5_mT6_T7_P12ihipStream_tbENKUlT_T0_E_clISt17integral_constantIbLb0EESY_IbLb1EEEEDaSU_SV_EUlSU_E_NS1_11comp_targetILNS1_3genE5ELNS1_11target_archE942ELNS1_3gpuE9ELNS1_3repE0EEENS1_30default_config_static_selectorELNS0_4arch9wavefront6targetE1EEEvT1_.kd
    .uniform_work_group_size: 1
    .uses_dynamic_stack: false
    .vgpr_count:     0
    .vgpr_spill_count: 0
    .wavefront_size: 64
  - .agpr_count:     0
    .args:
      - .offset:         0
        .size:           112
        .value_kind:     by_value
    .group_segment_fixed_size: 16384
    .kernarg_segment_align: 8
    .kernarg_segment_size: 112
    .language:       OpenCL C
    .language_version:
      - 2
      - 0
    .max_flat_workgroup_size: 256
    .name:           _ZN7rocprim17ROCPRIM_400000_NS6detail17trampoline_kernelINS0_14default_configENS1_27scan_by_key_config_selectorIiiEEZZNS1_16scan_by_key_implILNS1_25lookback_scan_determinismE0ELb0ES3_N6thrust23THRUST_200600_302600_NS6detail15normal_iteratorINS9_10device_ptrIiEEEESE_SE_iNS9_10multipliesIiEENS9_8equal_toIiEEiEE10hipError_tPvRmT2_T3_T4_T5_mT6_T7_P12ihipStream_tbENKUlT_T0_E_clISt17integral_constantIbLb0EESY_IbLb1EEEEDaSU_SV_EUlSU_E_NS1_11comp_targetILNS1_3genE4ELNS1_11target_archE910ELNS1_3gpuE8ELNS1_3repE0EEENS1_30default_config_static_selectorELNS0_4arch9wavefront6targetE1EEEvT1_
    .private_segment_fixed_size: 0
    .sgpr_count:     69
    .sgpr_spill_count: 0
    .symbol:         _ZN7rocprim17ROCPRIM_400000_NS6detail17trampoline_kernelINS0_14default_configENS1_27scan_by_key_config_selectorIiiEEZZNS1_16scan_by_key_implILNS1_25lookback_scan_determinismE0ELb0ES3_N6thrust23THRUST_200600_302600_NS6detail15normal_iteratorINS9_10device_ptrIiEEEESE_SE_iNS9_10multipliesIiEENS9_8equal_toIiEEiEE10hipError_tPvRmT2_T3_T4_T5_mT6_T7_P12ihipStream_tbENKUlT_T0_E_clISt17integral_constantIbLb0EESY_IbLb1EEEEDaSU_SV_EUlSU_E_NS1_11comp_targetILNS1_3genE4ELNS1_11target_archE910ELNS1_3gpuE8ELNS1_3repE0EEENS1_30default_config_static_selectorELNS0_4arch9wavefront6targetE1EEEvT1_.kd
    .uniform_work_group_size: 1
    .uses_dynamic_stack: false
    .vgpr_count:     63
    .vgpr_spill_count: 0
    .wavefront_size: 64
  - .agpr_count:     0
    .args:
      - .offset:         0
        .size:           112
        .value_kind:     by_value
    .group_segment_fixed_size: 0
    .kernarg_segment_align: 8
    .kernarg_segment_size: 112
    .language:       OpenCL C
    .language_version:
      - 2
      - 0
    .max_flat_workgroup_size: 256
    .name:           _ZN7rocprim17ROCPRIM_400000_NS6detail17trampoline_kernelINS0_14default_configENS1_27scan_by_key_config_selectorIiiEEZZNS1_16scan_by_key_implILNS1_25lookback_scan_determinismE0ELb0ES3_N6thrust23THRUST_200600_302600_NS6detail15normal_iteratorINS9_10device_ptrIiEEEESE_SE_iNS9_10multipliesIiEENS9_8equal_toIiEEiEE10hipError_tPvRmT2_T3_T4_T5_mT6_T7_P12ihipStream_tbENKUlT_T0_E_clISt17integral_constantIbLb0EESY_IbLb1EEEEDaSU_SV_EUlSU_E_NS1_11comp_targetILNS1_3genE3ELNS1_11target_archE908ELNS1_3gpuE7ELNS1_3repE0EEENS1_30default_config_static_selectorELNS0_4arch9wavefront6targetE1EEEvT1_
    .private_segment_fixed_size: 0
    .sgpr_count:     4
    .sgpr_spill_count: 0
    .symbol:         _ZN7rocprim17ROCPRIM_400000_NS6detail17trampoline_kernelINS0_14default_configENS1_27scan_by_key_config_selectorIiiEEZZNS1_16scan_by_key_implILNS1_25lookback_scan_determinismE0ELb0ES3_N6thrust23THRUST_200600_302600_NS6detail15normal_iteratorINS9_10device_ptrIiEEEESE_SE_iNS9_10multipliesIiEENS9_8equal_toIiEEiEE10hipError_tPvRmT2_T3_T4_T5_mT6_T7_P12ihipStream_tbENKUlT_T0_E_clISt17integral_constantIbLb0EESY_IbLb1EEEEDaSU_SV_EUlSU_E_NS1_11comp_targetILNS1_3genE3ELNS1_11target_archE908ELNS1_3gpuE7ELNS1_3repE0EEENS1_30default_config_static_selectorELNS0_4arch9wavefront6targetE1EEEvT1_.kd
    .uniform_work_group_size: 1
    .uses_dynamic_stack: false
    .vgpr_count:     0
    .vgpr_spill_count: 0
    .wavefront_size: 64
  - .agpr_count:     0
    .args:
      - .offset:         0
        .size:           112
        .value_kind:     by_value
    .group_segment_fixed_size: 0
    .kernarg_segment_align: 8
    .kernarg_segment_size: 112
    .language:       OpenCL C
    .language_version:
      - 2
      - 0
    .max_flat_workgroup_size: 256
    .name:           _ZN7rocprim17ROCPRIM_400000_NS6detail17trampoline_kernelINS0_14default_configENS1_27scan_by_key_config_selectorIiiEEZZNS1_16scan_by_key_implILNS1_25lookback_scan_determinismE0ELb0ES3_N6thrust23THRUST_200600_302600_NS6detail15normal_iteratorINS9_10device_ptrIiEEEESE_SE_iNS9_10multipliesIiEENS9_8equal_toIiEEiEE10hipError_tPvRmT2_T3_T4_T5_mT6_T7_P12ihipStream_tbENKUlT_T0_E_clISt17integral_constantIbLb0EESY_IbLb1EEEEDaSU_SV_EUlSU_E_NS1_11comp_targetILNS1_3genE2ELNS1_11target_archE906ELNS1_3gpuE6ELNS1_3repE0EEENS1_30default_config_static_selectorELNS0_4arch9wavefront6targetE1EEEvT1_
    .private_segment_fixed_size: 0
    .sgpr_count:     4
    .sgpr_spill_count: 0
    .symbol:         _ZN7rocprim17ROCPRIM_400000_NS6detail17trampoline_kernelINS0_14default_configENS1_27scan_by_key_config_selectorIiiEEZZNS1_16scan_by_key_implILNS1_25lookback_scan_determinismE0ELb0ES3_N6thrust23THRUST_200600_302600_NS6detail15normal_iteratorINS9_10device_ptrIiEEEESE_SE_iNS9_10multipliesIiEENS9_8equal_toIiEEiEE10hipError_tPvRmT2_T3_T4_T5_mT6_T7_P12ihipStream_tbENKUlT_T0_E_clISt17integral_constantIbLb0EESY_IbLb1EEEEDaSU_SV_EUlSU_E_NS1_11comp_targetILNS1_3genE2ELNS1_11target_archE906ELNS1_3gpuE6ELNS1_3repE0EEENS1_30default_config_static_selectorELNS0_4arch9wavefront6targetE1EEEvT1_.kd
    .uniform_work_group_size: 1
    .uses_dynamic_stack: false
    .vgpr_count:     0
    .vgpr_spill_count: 0
    .wavefront_size: 64
  - .agpr_count:     0
    .args:
      - .offset:         0
        .size:           112
        .value_kind:     by_value
    .group_segment_fixed_size: 0
    .kernarg_segment_align: 8
    .kernarg_segment_size: 112
    .language:       OpenCL C
    .language_version:
      - 2
      - 0
    .max_flat_workgroup_size: 256
    .name:           _ZN7rocprim17ROCPRIM_400000_NS6detail17trampoline_kernelINS0_14default_configENS1_27scan_by_key_config_selectorIiiEEZZNS1_16scan_by_key_implILNS1_25lookback_scan_determinismE0ELb0ES3_N6thrust23THRUST_200600_302600_NS6detail15normal_iteratorINS9_10device_ptrIiEEEESE_SE_iNS9_10multipliesIiEENS9_8equal_toIiEEiEE10hipError_tPvRmT2_T3_T4_T5_mT6_T7_P12ihipStream_tbENKUlT_T0_E_clISt17integral_constantIbLb0EESY_IbLb1EEEEDaSU_SV_EUlSU_E_NS1_11comp_targetILNS1_3genE10ELNS1_11target_archE1200ELNS1_3gpuE4ELNS1_3repE0EEENS1_30default_config_static_selectorELNS0_4arch9wavefront6targetE1EEEvT1_
    .private_segment_fixed_size: 0
    .sgpr_count:     4
    .sgpr_spill_count: 0
    .symbol:         _ZN7rocprim17ROCPRIM_400000_NS6detail17trampoline_kernelINS0_14default_configENS1_27scan_by_key_config_selectorIiiEEZZNS1_16scan_by_key_implILNS1_25lookback_scan_determinismE0ELb0ES3_N6thrust23THRUST_200600_302600_NS6detail15normal_iteratorINS9_10device_ptrIiEEEESE_SE_iNS9_10multipliesIiEENS9_8equal_toIiEEiEE10hipError_tPvRmT2_T3_T4_T5_mT6_T7_P12ihipStream_tbENKUlT_T0_E_clISt17integral_constantIbLb0EESY_IbLb1EEEEDaSU_SV_EUlSU_E_NS1_11comp_targetILNS1_3genE10ELNS1_11target_archE1200ELNS1_3gpuE4ELNS1_3repE0EEENS1_30default_config_static_selectorELNS0_4arch9wavefront6targetE1EEEvT1_.kd
    .uniform_work_group_size: 1
    .uses_dynamic_stack: false
    .vgpr_count:     0
    .vgpr_spill_count: 0
    .wavefront_size: 64
  - .agpr_count:     0
    .args:
      - .offset:         0
        .size:           112
        .value_kind:     by_value
    .group_segment_fixed_size: 0
    .kernarg_segment_align: 8
    .kernarg_segment_size: 112
    .language:       OpenCL C
    .language_version:
      - 2
      - 0
    .max_flat_workgroup_size: 256
    .name:           _ZN7rocprim17ROCPRIM_400000_NS6detail17trampoline_kernelINS0_14default_configENS1_27scan_by_key_config_selectorIiiEEZZNS1_16scan_by_key_implILNS1_25lookback_scan_determinismE0ELb0ES3_N6thrust23THRUST_200600_302600_NS6detail15normal_iteratorINS9_10device_ptrIiEEEESE_SE_iNS9_10multipliesIiEENS9_8equal_toIiEEiEE10hipError_tPvRmT2_T3_T4_T5_mT6_T7_P12ihipStream_tbENKUlT_T0_E_clISt17integral_constantIbLb0EESY_IbLb1EEEEDaSU_SV_EUlSU_E_NS1_11comp_targetILNS1_3genE9ELNS1_11target_archE1100ELNS1_3gpuE3ELNS1_3repE0EEENS1_30default_config_static_selectorELNS0_4arch9wavefront6targetE1EEEvT1_
    .private_segment_fixed_size: 0
    .sgpr_count:     4
    .sgpr_spill_count: 0
    .symbol:         _ZN7rocprim17ROCPRIM_400000_NS6detail17trampoline_kernelINS0_14default_configENS1_27scan_by_key_config_selectorIiiEEZZNS1_16scan_by_key_implILNS1_25lookback_scan_determinismE0ELb0ES3_N6thrust23THRUST_200600_302600_NS6detail15normal_iteratorINS9_10device_ptrIiEEEESE_SE_iNS9_10multipliesIiEENS9_8equal_toIiEEiEE10hipError_tPvRmT2_T3_T4_T5_mT6_T7_P12ihipStream_tbENKUlT_T0_E_clISt17integral_constantIbLb0EESY_IbLb1EEEEDaSU_SV_EUlSU_E_NS1_11comp_targetILNS1_3genE9ELNS1_11target_archE1100ELNS1_3gpuE3ELNS1_3repE0EEENS1_30default_config_static_selectorELNS0_4arch9wavefront6targetE1EEEvT1_.kd
    .uniform_work_group_size: 1
    .uses_dynamic_stack: false
    .vgpr_count:     0
    .vgpr_spill_count: 0
    .wavefront_size: 64
  - .agpr_count:     0
    .args:
      - .offset:         0
        .size:           112
        .value_kind:     by_value
    .group_segment_fixed_size: 0
    .kernarg_segment_align: 8
    .kernarg_segment_size: 112
    .language:       OpenCL C
    .language_version:
      - 2
      - 0
    .max_flat_workgroup_size: 256
    .name:           _ZN7rocprim17ROCPRIM_400000_NS6detail17trampoline_kernelINS0_14default_configENS1_27scan_by_key_config_selectorIiiEEZZNS1_16scan_by_key_implILNS1_25lookback_scan_determinismE0ELb0ES3_N6thrust23THRUST_200600_302600_NS6detail15normal_iteratorINS9_10device_ptrIiEEEESE_SE_iNS9_10multipliesIiEENS9_8equal_toIiEEiEE10hipError_tPvRmT2_T3_T4_T5_mT6_T7_P12ihipStream_tbENKUlT_T0_E_clISt17integral_constantIbLb0EESY_IbLb1EEEEDaSU_SV_EUlSU_E_NS1_11comp_targetILNS1_3genE8ELNS1_11target_archE1030ELNS1_3gpuE2ELNS1_3repE0EEENS1_30default_config_static_selectorELNS0_4arch9wavefront6targetE1EEEvT1_
    .private_segment_fixed_size: 0
    .sgpr_count:     4
    .sgpr_spill_count: 0
    .symbol:         _ZN7rocprim17ROCPRIM_400000_NS6detail17trampoline_kernelINS0_14default_configENS1_27scan_by_key_config_selectorIiiEEZZNS1_16scan_by_key_implILNS1_25lookback_scan_determinismE0ELb0ES3_N6thrust23THRUST_200600_302600_NS6detail15normal_iteratorINS9_10device_ptrIiEEEESE_SE_iNS9_10multipliesIiEENS9_8equal_toIiEEiEE10hipError_tPvRmT2_T3_T4_T5_mT6_T7_P12ihipStream_tbENKUlT_T0_E_clISt17integral_constantIbLb0EESY_IbLb1EEEEDaSU_SV_EUlSU_E_NS1_11comp_targetILNS1_3genE8ELNS1_11target_archE1030ELNS1_3gpuE2ELNS1_3repE0EEENS1_30default_config_static_selectorELNS0_4arch9wavefront6targetE1EEEvT1_.kd
    .uniform_work_group_size: 1
    .uses_dynamic_stack: false
    .vgpr_count:     0
    .vgpr_spill_count: 0
    .wavefront_size: 64
  - .agpr_count:     0
    .args:
      - .offset:         0
        .size:           112
        .value_kind:     by_value
    .group_segment_fixed_size: 0
    .kernarg_segment_align: 8
    .kernarg_segment_size: 112
    .language:       OpenCL C
    .language_version:
      - 2
      - 0
    .max_flat_workgroup_size: 256
    .name:           _ZN7rocprim17ROCPRIM_400000_NS6detail17trampoline_kernelINS0_14default_configENS1_27scan_by_key_config_selectorIiiEEZZNS1_16scan_by_key_implILNS1_25lookback_scan_determinismE0ELb0ES3_N6thrust23THRUST_200600_302600_NS6detail15normal_iteratorINS9_10device_ptrIiEEEESE_SE_iNS9_4plusIvEENS9_8equal_toIiEEiEE10hipError_tPvRmT2_T3_T4_T5_mT6_T7_P12ihipStream_tbENKUlT_T0_E_clISt17integral_constantIbLb0EESZ_EEDaSU_SV_EUlSU_E_NS1_11comp_targetILNS1_3genE0ELNS1_11target_archE4294967295ELNS1_3gpuE0ELNS1_3repE0EEENS1_30default_config_static_selectorELNS0_4arch9wavefront6targetE1EEEvT1_
    .private_segment_fixed_size: 0
    .sgpr_count:     4
    .sgpr_spill_count: 0
    .symbol:         _ZN7rocprim17ROCPRIM_400000_NS6detail17trampoline_kernelINS0_14default_configENS1_27scan_by_key_config_selectorIiiEEZZNS1_16scan_by_key_implILNS1_25lookback_scan_determinismE0ELb0ES3_N6thrust23THRUST_200600_302600_NS6detail15normal_iteratorINS9_10device_ptrIiEEEESE_SE_iNS9_4plusIvEENS9_8equal_toIiEEiEE10hipError_tPvRmT2_T3_T4_T5_mT6_T7_P12ihipStream_tbENKUlT_T0_E_clISt17integral_constantIbLb0EESZ_EEDaSU_SV_EUlSU_E_NS1_11comp_targetILNS1_3genE0ELNS1_11target_archE4294967295ELNS1_3gpuE0ELNS1_3repE0EEENS1_30default_config_static_selectorELNS0_4arch9wavefront6targetE1EEEvT1_.kd
    .uniform_work_group_size: 1
    .uses_dynamic_stack: false
    .vgpr_count:     0
    .vgpr_spill_count: 0
    .wavefront_size: 64
  - .agpr_count:     0
    .args:
      - .offset:         0
        .size:           112
        .value_kind:     by_value
    .group_segment_fixed_size: 0
    .kernarg_segment_align: 8
    .kernarg_segment_size: 112
    .language:       OpenCL C
    .language_version:
      - 2
      - 0
    .max_flat_workgroup_size: 256
    .name:           _ZN7rocprim17ROCPRIM_400000_NS6detail17trampoline_kernelINS0_14default_configENS1_27scan_by_key_config_selectorIiiEEZZNS1_16scan_by_key_implILNS1_25lookback_scan_determinismE0ELb0ES3_N6thrust23THRUST_200600_302600_NS6detail15normal_iteratorINS9_10device_ptrIiEEEESE_SE_iNS9_4plusIvEENS9_8equal_toIiEEiEE10hipError_tPvRmT2_T3_T4_T5_mT6_T7_P12ihipStream_tbENKUlT_T0_E_clISt17integral_constantIbLb0EESZ_EEDaSU_SV_EUlSU_E_NS1_11comp_targetILNS1_3genE10ELNS1_11target_archE1201ELNS1_3gpuE5ELNS1_3repE0EEENS1_30default_config_static_selectorELNS0_4arch9wavefront6targetE1EEEvT1_
    .private_segment_fixed_size: 0
    .sgpr_count:     4
    .sgpr_spill_count: 0
    .symbol:         _ZN7rocprim17ROCPRIM_400000_NS6detail17trampoline_kernelINS0_14default_configENS1_27scan_by_key_config_selectorIiiEEZZNS1_16scan_by_key_implILNS1_25lookback_scan_determinismE0ELb0ES3_N6thrust23THRUST_200600_302600_NS6detail15normal_iteratorINS9_10device_ptrIiEEEESE_SE_iNS9_4plusIvEENS9_8equal_toIiEEiEE10hipError_tPvRmT2_T3_T4_T5_mT6_T7_P12ihipStream_tbENKUlT_T0_E_clISt17integral_constantIbLb0EESZ_EEDaSU_SV_EUlSU_E_NS1_11comp_targetILNS1_3genE10ELNS1_11target_archE1201ELNS1_3gpuE5ELNS1_3repE0EEENS1_30default_config_static_selectorELNS0_4arch9wavefront6targetE1EEEvT1_.kd
    .uniform_work_group_size: 1
    .uses_dynamic_stack: false
    .vgpr_count:     0
    .vgpr_spill_count: 0
    .wavefront_size: 64
  - .agpr_count:     0
    .args:
      - .offset:         0
        .size:           112
        .value_kind:     by_value
    .group_segment_fixed_size: 0
    .kernarg_segment_align: 8
    .kernarg_segment_size: 112
    .language:       OpenCL C
    .language_version:
      - 2
      - 0
    .max_flat_workgroup_size: 256
    .name:           _ZN7rocprim17ROCPRIM_400000_NS6detail17trampoline_kernelINS0_14default_configENS1_27scan_by_key_config_selectorIiiEEZZNS1_16scan_by_key_implILNS1_25lookback_scan_determinismE0ELb0ES3_N6thrust23THRUST_200600_302600_NS6detail15normal_iteratorINS9_10device_ptrIiEEEESE_SE_iNS9_4plusIvEENS9_8equal_toIiEEiEE10hipError_tPvRmT2_T3_T4_T5_mT6_T7_P12ihipStream_tbENKUlT_T0_E_clISt17integral_constantIbLb0EESZ_EEDaSU_SV_EUlSU_E_NS1_11comp_targetILNS1_3genE5ELNS1_11target_archE942ELNS1_3gpuE9ELNS1_3repE0EEENS1_30default_config_static_selectorELNS0_4arch9wavefront6targetE1EEEvT1_
    .private_segment_fixed_size: 0
    .sgpr_count:     4
    .sgpr_spill_count: 0
    .symbol:         _ZN7rocprim17ROCPRIM_400000_NS6detail17trampoline_kernelINS0_14default_configENS1_27scan_by_key_config_selectorIiiEEZZNS1_16scan_by_key_implILNS1_25lookback_scan_determinismE0ELb0ES3_N6thrust23THRUST_200600_302600_NS6detail15normal_iteratorINS9_10device_ptrIiEEEESE_SE_iNS9_4plusIvEENS9_8equal_toIiEEiEE10hipError_tPvRmT2_T3_T4_T5_mT6_T7_P12ihipStream_tbENKUlT_T0_E_clISt17integral_constantIbLb0EESZ_EEDaSU_SV_EUlSU_E_NS1_11comp_targetILNS1_3genE5ELNS1_11target_archE942ELNS1_3gpuE9ELNS1_3repE0EEENS1_30default_config_static_selectorELNS0_4arch9wavefront6targetE1EEEvT1_.kd
    .uniform_work_group_size: 1
    .uses_dynamic_stack: false
    .vgpr_count:     0
    .vgpr_spill_count: 0
    .wavefront_size: 64
  - .agpr_count:     0
    .args:
      - .offset:         0
        .size:           112
        .value_kind:     by_value
    .group_segment_fixed_size: 16384
    .kernarg_segment_align: 8
    .kernarg_segment_size: 112
    .language:       OpenCL C
    .language_version:
      - 2
      - 0
    .max_flat_workgroup_size: 256
    .name:           _ZN7rocprim17ROCPRIM_400000_NS6detail17trampoline_kernelINS0_14default_configENS1_27scan_by_key_config_selectorIiiEEZZNS1_16scan_by_key_implILNS1_25lookback_scan_determinismE0ELb0ES3_N6thrust23THRUST_200600_302600_NS6detail15normal_iteratorINS9_10device_ptrIiEEEESE_SE_iNS9_4plusIvEENS9_8equal_toIiEEiEE10hipError_tPvRmT2_T3_T4_T5_mT6_T7_P12ihipStream_tbENKUlT_T0_E_clISt17integral_constantIbLb0EESZ_EEDaSU_SV_EUlSU_E_NS1_11comp_targetILNS1_3genE4ELNS1_11target_archE910ELNS1_3gpuE8ELNS1_3repE0EEENS1_30default_config_static_selectorELNS0_4arch9wavefront6targetE1EEEvT1_
    .private_segment_fixed_size: 0
    .sgpr_count:     65
    .sgpr_spill_count: 0
    .symbol:         _ZN7rocprim17ROCPRIM_400000_NS6detail17trampoline_kernelINS0_14default_configENS1_27scan_by_key_config_selectorIiiEEZZNS1_16scan_by_key_implILNS1_25lookback_scan_determinismE0ELb0ES3_N6thrust23THRUST_200600_302600_NS6detail15normal_iteratorINS9_10device_ptrIiEEEESE_SE_iNS9_4plusIvEENS9_8equal_toIiEEiEE10hipError_tPvRmT2_T3_T4_T5_mT6_T7_P12ihipStream_tbENKUlT_T0_E_clISt17integral_constantIbLb0EESZ_EEDaSU_SV_EUlSU_E_NS1_11comp_targetILNS1_3genE4ELNS1_11target_archE910ELNS1_3gpuE8ELNS1_3repE0EEENS1_30default_config_static_selectorELNS0_4arch9wavefront6targetE1EEEvT1_.kd
    .uniform_work_group_size: 1
    .uses_dynamic_stack: false
    .vgpr_count:     65
    .vgpr_spill_count: 0
    .wavefront_size: 64
  - .agpr_count:     0
    .args:
      - .offset:         0
        .size:           112
        .value_kind:     by_value
    .group_segment_fixed_size: 0
    .kernarg_segment_align: 8
    .kernarg_segment_size: 112
    .language:       OpenCL C
    .language_version:
      - 2
      - 0
    .max_flat_workgroup_size: 256
    .name:           _ZN7rocprim17ROCPRIM_400000_NS6detail17trampoline_kernelINS0_14default_configENS1_27scan_by_key_config_selectorIiiEEZZNS1_16scan_by_key_implILNS1_25lookback_scan_determinismE0ELb0ES3_N6thrust23THRUST_200600_302600_NS6detail15normal_iteratorINS9_10device_ptrIiEEEESE_SE_iNS9_4plusIvEENS9_8equal_toIiEEiEE10hipError_tPvRmT2_T3_T4_T5_mT6_T7_P12ihipStream_tbENKUlT_T0_E_clISt17integral_constantIbLb0EESZ_EEDaSU_SV_EUlSU_E_NS1_11comp_targetILNS1_3genE3ELNS1_11target_archE908ELNS1_3gpuE7ELNS1_3repE0EEENS1_30default_config_static_selectorELNS0_4arch9wavefront6targetE1EEEvT1_
    .private_segment_fixed_size: 0
    .sgpr_count:     4
    .sgpr_spill_count: 0
    .symbol:         _ZN7rocprim17ROCPRIM_400000_NS6detail17trampoline_kernelINS0_14default_configENS1_27scan_by_key_config_selectorIiiEEZZNS1_16scan_by_key_implILNS1_25lookback_scan_determinismE0ELb0ES3_N6thrust23THRUST_200600_302600_NS6detail15normal_iteratorINS9_10device_ptrIiEEEESE_SE_iNS9_4plusIvEENS9_8equal_toIiEEiEE10hipError_tPvRmT2_T3_T4_T5_mT6_T7_P12ihipStream_tbENKUlT_T0_E_clISt17integral_constantIbLb0EESZ_EEDaSU_SV_EUlSU_E_NS1_11comp_targetILNS1_3genE3ELNS1_11target_archE908ELNS1_3gpuE7ELNS1_3repE0EEENS1_30default_config_static_selectorELNS0_4arch9wavefront6targetE1EEEvT1_.kd
    .uniform_work_group_size: 1
    .uses_dynamic_stack: false
    .vgpr_count:     0
    .vgpr_spill_count: 0
    .wavefront_size: 64
  - .agpr_count:     0
    .args:
      - .offset:         0
        .size:           112
        .value_kind:     by_value
    .group_segment_fixed_size: 0
    .kernarg_segment_align: 8
    .kernarg_segment_size: 112
    .language:       OpenCL C
    .language_version:
      - 2
      - 0
    .max_flat_workgroup_size: 256
    .name:           _ZN7rocprim17ROCPRIM_400000_NS6detail17trampoline_kernelINS0_14default_configENS1_27scan_by_key_config_selectorIiiEEZZNS1_16scan_by_key_implILNS1_25lookback_scan_determinismE0ELb0ES3_N6thrust23THRUST_200600_302600_NS6detail15normal_iteratorINS9_10device_ptrIiEEEESE_SE_iNS9_4plusIvEENS9_8equal_toIiEEiEE10hipError_tPvRmT2_T3_T4_T5_mT6_T7_P12ihipStream_tbENKUlT_T0_E_clISt17integral_constantIbLb0EESZ_EEDaSU_SV_EUlSU_E_NS1_11comp_targetILNS1_3genE2ELNS1_11target_archE906ELNS1_3gpuE6ELNS1_3repE0EEENS1_30default_config_static_selectorELNS0_4arch9wavefront6targetE1EEEvT1_
    .private_segment_fixed_size: 0
    .sgpr_count:     4
    .sgpr_spill_count: 0
    .symbol:         _ZN7rocprim17ROCPRIM_400000_NS6detail17trampoline_kernelINS0_14default_configENS1_27scan_by_key_config_selectorIiiEEZZNS1_16scan_by_key_implILNS1_25lookback_scan_determinismE0ELb0ES3_N6thrust23THRUST_200600_302600_NS6detail15normal_iteratorINS9_10device_ptrIiEEEESE_SE_iNS9_4plusIvEENS9_8equal_toIiEEiEE10hipError_tPvRmT2_T3_T4_T5_mT6_T7_P12ihipStream_tbENKUlT_T0_E_clISt17integral_constantIbLb0EESZ_EEDaSU_SV_EUlSU_E_NS1_11comp_targetILNS1_3genE2ELNS1_11target_archE906ELNS1_3gpuE6ELNS1_3repE0EEENS1_30default_config_static_selectorELNS0_4arch9wavefront6targetE1EEEvT1_.kd
    .uniform_work_group_size: 1
    .uses_dynamic_stack: false
    .vgpr_count:     0
    .vgpr_spill_count: 0
    .wavefront_size: 64
  - .agpr_count:     0
    .args:
      - .offset:         0
        .size:           112
        .value_kind:     by_value
    .group_segment_fixed_size: 0
    .kernarg_segment_align: 8
    .kernarg_segment_size: 112
    .language:       OpenCL C
    .language_version:
      - 2
      - 0
    .max_flat_workgroup_size: 256
    .name:           _ZN7rocprim17ROCPRIM_400000_NS6detail17trampoline_kernelINS0_14default_configENS1_27scan_by_key_config_selectorIiiEEZZNS1_16scan_by_key_implILNS1_25lookback_scan_determinismE0ELb0ES3_N6thrust23THRUST_200600_302600_NS6detail15normal_iteratorINS9_10device_ptrIiEEEESE_SE_iNS9_4plusIvEENS9_8equal_toIiEEiEE10hipError_tPvRmT2_T3_T4_T5_mT6_T7_P12ihipStream_tbENKUlT_T0_E_clISt17integral_constantIbLb0EESZ_EEDaSU_SV_EUlSU_E_NS1_11comp_targetILNS1_3genE10ELNS1_11target_archE1200ELNS1_3gpuE4ELNS1_3repE0EEENS1_30default_config_static_selectorELNS0_4arch9wavefront6targetE1EEEvT1_
    .private_segment_fixed_size: 0
    .sgpr_count:     4
    .sgpr_spill_count: 0
    .symbol:         _ZN7rocprim17ROCPRIM_400000_NS6detail17trampoline_kernelINS0_14default_configENS1_27scan_by_key_config_selectorIiiEEZZNS1_16scan_by_key_implILNS1_25lookback_scan_determinismE0ELb0ES3_N6thrust23THRUST_200600_302600_NS6detail15normal_iteratorINS9_10device_ptrIiEEEESE_SE_iNS9_4plusIvEENS9_8equal_toIiEEiEE10hipError_tPvRmT2_T3_T4_T5_mT6_T7_P12ihipStream_tbENKUlT_T0_E_clISt17integral_constantIbLb0EESZ_EEDaSU_SV_EUlSU_E_NS1_11comp_targetILNS1_3genE10ELNS1_11target_archE1200ELNS1_3gpuE4ELNS1_3repE0EEENS1_30default_config_static_selectorELNS0_4arch9wavefront6targetE1EEEvT1_.kd
    .uniform_work_group_size: 1
    .uses_dynamic_stack: false
    .vgpr_count:     0
    .vgpr_spill_count: 0
    .wavefront_size: 64
  - .agpr_count:     0
    .args:
      - .offset:         0
        .size:           112
        .value_kind:     by_value
    .group_segment_fixed_size: 0
    .kernarg_segment_align: 8
    .kernarg_segment_size: 112
    .language:       OpenCL C
    .language_version:
      - 2
      - 0
    .max_flat_workgroup_size: 256
    .name:           _ZN7rocprim17ROCPRIM_400000_NS6detail17trampoline_kernelINS0_14default_configENS1_27scan_by_key_config_selectorIiiEEZZNS1_16scan_by_key_implILNS1_25lookback_scan_determinismE0ELb0ES3_N6thrust23THRUST_200600_302600_NS6detail15normal_iteratorINS9_10device_ptrIiEEEESE_SE_iNS9_4plusIvEENS9_8equal_toIiEEiEE10hipError_tPvRmT2_T3_T4_T5_mT6_T7_P12ihipStream_tbENKUlT_T0_E_clISt17integral_constantIbLb0EESZ_EEDaSU_SV_EUlSU_E_NS1_11comp_targetILNS1_3genE9ELNS1_11target_archE1100ELNS1_3gpuE3ELNS1_3repE0EEENS1_30default_config_static_selectorELNS0_4arch9wavefront6targetE1EEEvT1_
    .private_segment_fixed_size: 0
    .sgpr_count:     4
    .sgpr_spill_count: 0
    .symbol:         _ZN7rocprim17ROCPRIM_400000_NS6detail17trampoline_kernelINS0_14default_configENS1_27scan_by_key_config_selectorIiiEEZZNS1_16scan_by_key_implILNS1_25lookback_scan_determinismE0ELb0ES3_N6thrust23THRUST_200600_302600_NS6detail15normal_iteratorINS9_10device_ptrIiEEEESE_SE_iNS9_4plusIvEENS9_8equal_toIiEEiEE10hipError_tPvRmT2_T3_T4_T5_mT6_T7_P12ihipStream_tbENKUlT_T0_E_clISt17integral_constantIbLb0EESZ_EEDaSU_SV_EUlSU_E_NS1_11comp_targetILNS1_3genE9ELNS1_11target_archE1100ELNS1_3gpuE3ELNS1_3repE0EEENS1_30default_config_static_selectorELNS0_4arch9wavefront6targetE1EEEvT1_.kd
    .uniform_work_group_size: 1
    .uses_dynamic_stack: false
    .vgpr_count:     0
    .vgpr_spill_count: 0
    .wavefront_size: 64
  - .agpr_count:     0
    .args:
      - .offset:         0
        .size:           112
        .value_kind:     by_value
    .group_segment_fixed_size: 0
    .kernarg_segment_align: 8
    .kernarg_segment_size: 112
    .language:       OpenCL C
    .language_version:
      - 2
      - 0
    .max_flat_workgroup_size: 256
    .name:           _ZN7rocprim17ROCPRIM_400000_NS6detail17trampoline_kernelINS0_14default_configENS1_27scan_by_key_config_selectorIiiEEZZNS1_16scan_by_key_implILNS1_25lookback_scan_determinismE0ELb0ES3_N6thrust23THRUST_200600_302600_NS6detail15normal_iteratorINS9_10device_ptrIiEEEESE_SE_iNS9_4plusIvEENS9_8equal_toIiEEiEE10hipError_tPvRmT2_T3_T4_T5_mT6_T7_P12ihipStream_tbENKUlT_T0_E_clISt17integral_constantIbLb0EESZ_EEDaSU_SV_EUlSU_E_NS1_11comp_targetILNS1_3genE8ELNS1_11target_archE1030ELNS1_3gpuE2ELNS1_3repE0EEENS1_30default_config_static_selectorELNS0_4arch9wavefront6targetE1EEEvT1_
    .private_segment_fixed_size: 0
    .sgpr_count:     4
    .sgpr_spill_count: 0
    .symbol:         _ZN7rocprim17ROCPRIM_400000_NS6detail17trampoline_kernelINS0_14default_configENS1_27scan_by_key_config_selectorIiiEEZZNS1_16scan_by_key_implILNS1_25lookback_scan_determinismE0ELb0ES3_N6thrust23THRUST_200600_302600_NS6detail15normal_iteratorINS9_10device_ptrIiEEEESE_SE_iNS9_4plusIvEENS9_8equal_toIiEEiEE10hipError_tPvRmT2_T3_T4_T5_mT6_T7_P12ihipStream_tbENKUlT_T0_E_clISt17integral_constantIbLb0EESZ_EEDaSU_SV_EUlSU_E_NS1_11comp_targetILNS1_3genE8ELNS1_11target_archE1030ELNS1_3gpuE2ELNS1_3repE0EEENS1_30default_config_static_selectorELNS0_4arch9wavefront6targetE1EEEvT1_.kd
    .uniform_work_group_size: 1
    .uses_dynamic_stack: false
    .vgpr_count:     0
    .vgpr_spill_count: 0
    .wavefront_size: 64
  - .agpr_count:     0
    .args:
      - .offset:         0
        .size:           112
        .value_kind:     by_value
    .group_segment_fixed_size: 0
    .kernarg_segment_align: 8
    .kernarg_segment_size: 112
    .language:       OpenCL C
    .language_version:
      - 2
      - 0
    .max_flat_workgroup_size: 256
    .name:           _ZN7rocprim17ROCPRIM_400000_NS6detail17trampoline_kernelINS0_14default_configENS1_27scan_by_key_config_selectorIiiEEZZNS1_16scan_by_key_implILNS1_25lookback_scan_determinismE0ELb0ES3_N6thrust23THRUST_200600_302600_NS6detail15normal_iteratorINS9_10device_ptrIiEEEESE_SE_iNS9_4plusIvEENS9_8equal_toIiEEiEE10hipError_tPvRmT2_T3_T4_T5_mT6_T7_P12ihipStream_tbENKUlT_T0_E_clISt17integral_constantIbLb1EESZ_EEDaSU_SV_EUlSU_E_NS1_11comp_targetILNS1_3genE0ELNS1_11target_archE4294967295ELNS1_3gpuE0ELNS1_3repE0EEENS1_30default_config_static_selectorELNS0_4arch9wavefront6targetE1EEEvT1_
    .private_segment_fixed_size: 0
    .sgpr_count:     4
    .sgpr_spill_count: 0
    .symbol:         _ZN7rocprim17ROCPRIM_400000_NS6detail17trampoline_kernelINS0_14default_configENS1_27scan_by_key_config_selectorIiiEEZZNS1_16scan_by_key_implILNS1_25lookback_scan_determinismE0ELb0ES3_N6thrust23THRUST_200600_302600_NS6detail15normal_iteratorINS9_10device_ptrIiEEEESE_SE_iNS9_4plusIvEENS9_8equal_toIiEEiEE10hipError_tPvRmT2_T3_T4_T5_mT6_T7_P12ihipStream_tbENKUlT_T0_E_clISt17integral_constantIbLb1EESZ_EEDaSU_SV_EUlSU_E_NS1_11comp_targetILNS1_3genE0ELNS1_11target_archE4294967295ELNS1_3gpuE0ELNS1_3repE0EEENS1_30default_config_static_selectorELNS0_4arch9wavefront6targetE1EEEvT1_.kd
    .uniform_work_group_size: 1
    .uses_dynamic_stack: false
    .vgpr_count:     0
    .vgpr_spill_count: 0
    .wavefront_size: 64
  - .agpr_count:     0
    .args:
      - .offset:         0
        .size:           112
        .value_kind:     by_value
    .group_segment_fixed_size: 0
    .kernarg_segment_align: 8
    .kernarg_segment_size: 112
    .language:       OpenCL C
    .language_version:
      - 2
      - 0
    .max_flat_workgroup_size: 256
    .name:           _ZN7rocprim17ROCPRIM_400000_NS6detail17trampoline_kernelINS0_14default_configENS1_27scan_by_key_config_selectorIiiEEZZNS1_16scan_by_key_implILNS1_25lookback_scan_determinismE0ELb0ES3_N6thrust23THRUST_200600_302600_NS6detail15normal_iteratorINS9_10device_ptrIiEEEESE_SE_iNS9_4plusIvEENS9_8equal_toIiEEiEE10hipError_tPvRmT2_T3_T4_T5_mT6_T7_P12ihipStream_tbENKUlT_T0_E_clISt17integral_constantIbLb1EESZ_EEDaSU_SV_EUlSU_E_NS1_11comp_targetILNS1_3genE10ELNS1_11target_archE1201ELNS1_3gpuE5ELNS1_3repE0EEENS1_30default_config_static_selectorELNS0_4arch9wavefront6targetE1EEEvT1_
    .private_segment_fixed_size: 0
    .sgpr_count:     4
    .sgpr_spill_count: 0
    .symbol:         _ZN7rocprim17ROCPRIM_400000_NS6detail17trampoline_kernelINS0_14default_configENS1_27scan_by_key_config_selectorIiiEEZZNS1_16scan_by_key_implILNS1_25lookback_scan_determinismE0ELb0ES3_N6thrust23THRUST_200600_302600_NS6detail15normal_iteratorINS9_10device_ptrIiEEEESE_SE_iNS9_4plusIvEENS9_8equal_toIiEEiEE10hipError_tPvRmT2_T3_T4_T5_mT6_T7_P12ihipStream_tbENKUlT_T0_E_clISt17integral_constantIbLb1EESZ_EEDaSU_SV_EUlSU_E_NS1_11comp_targetILNS1_3genE10ELNS1_11target_archE1201ELNS1_3gpuE5ELNS1_3repE0EEENS1_30default_config_static_selectorELNS0_4arch9wavefront6targetE1EEEvT1_.kd
    .uniform_work_group_size: 1
    .uses_dynamic_stack: false
    .vgpr_count:     0
    .vgpr_spill_count: 0
    .wavefront_size: 64
  - .agpr_count:     0
    .args:
      - .offset:         0
        .size:           112
        .value_kind:     by_value
    .group_segment_fixed_size: 0
    .kernarg_segment_align: 8
    .kernarg_segment_size: 112
    .language:       OpenCL C
    .language_version:
      - 2
      - 0
    .max_flat_workgroup_size: 256
    .name:           _ZN7rocprim17ROCPRIM_400000_NS6detail17trampoline_kernelINS0_14default_configENS1_27scan_by_key_config_selectorIiiEEZZNS1_16scan_by_key_implILNS1_25lookback_scan_determinismE0ELb0ES3_N6thrust23THRUST_200600_302600_NS6detail15normal_iteratorINS9_10device_ptrIiEEEESE_SE_iNS9_4plusIvEENS9_8equal_toIiEEiEE10hipError_tPvRmT2_T3_T4_T5_mT6_T7_P12ihipStream_tbENKUlT_T0_E_clISt17integral_constantIbLb1EESZ_EEDaSU_SV_EUlSU_E_NS1_11comp_targetILNS1_3genE5ELNS1_11target_archE942ELNS1_3gpuE9ELNS1_3repE0EEENS1_30default_config_static_selectorELNS0_4arch9wavefront6targetE1EEEvT1_
    .private_segment_fixed_size: 0
    .sgpr_count:     4
    .sgpr_spill_count: 0
    .symbol:         _ZN7rocprim17ROCPRIM_400000_NS6detail17trampoline_kernelINS0_14default_configENS1_27scan_by_key_config_selectorIiiEEZZNS1_16scan_by_key_implILNS1_25lookback_scan_determinismE0ELb0ES3_N6thrust23THRUST_200600_302600_NS6detail15normal_iteratorINS9_10device_ptrIiEEEESE_SE_iNS9_4plusIvEENS9_8equal_toIiEEiEE10hipError_tPvRmT2_T3_T4_T5_mT6_T7_P12ihipStream_tbENKUlT_T0_E_clISt17integral_constantIbLb1EESZ_EEDaSU_SV_EUlSU_E_NS1_11comp_targetILNS1_3genE5ELNS1_11target_archE942ELNS1_3gpuE9ELNS1_3repE0EEENS1_30default_config_static_selectorELNS0_4arch9wavefront6targetE1EEEvT1_.kd
    .uniform_work_group_size: 1
    .uses_dynamic_stack: false
    .vgpr_count:     0
    .vgpr_spill_count: 0
    .wavefront_size: 64
  - .agpr_count:     0
    .args:
      - .offset:         0
        .size:           112
        .value_kind:     by_value
    .group_segment_fixed_size: 16384
    .kernarg_segment_align: 8
    .kernarg_segment_size: 112
    .language:       OpenCL C
    .language_version:
      - 2
      - 0
    .max_flat_workgroup_size: 256
    .name:           _ZN7rocprim17ROCPRIM_400000_NS6detail17trampoline_kernelINS0_14default_configENS1_27scan_by_key_config_selectorIiiEEZZNS1_16scan_by_key_implILNS1_25lookback_scan_determinismE0ELb0ES3_N6thrust23THRUST_200600_302600_NS6detail15normal_iteratorINS9_10device_ptrIiEEEESE_SE_iNS9_4plusIvEENS9_8equal_toIiEEiEE10hipError_tPvRmT2_T3_T4_T5_mT6_T7_P12ihipStream_tbENKUlT_T0_E_clISt17integral_constantIbLb1EESZ_EEDaSU_SV_EUlSU_E_NS1_11comp_targetILNS1_3genE4ELNS1_11target_archE910ELNS1_3gpuE8ELNS1_3repE0EEENS1_30default_config_static_selectorELNS0_4arch9wavefront6targetE1EEEvT1_
    .private_segment_fixed_size: 0
    .sgpr_count:     69
    .sgpr_spill_count: 0
    .symbol:         _ZN7rocprim17ROCPRIM_400000_NS6detail17trampoline_kernelINS0_14default_configENS1_27scan_by_key_config_selectorIiiEEZZNS1_16scan_by_key_implILNS1_25lookback_scan_determinismE0ELb0ES3_N6thrust23THRUST_200600_302600_NS6detail15normal_iteratorINS9_10device_ptrIiEEEESE_SE_iNS9_4plusIvEENS9_8equal_toIiEEiEE10hipError_tPvRmT2_T3_T4_T5_mT6_T7_P12ihipStream_tbENKUlT_T0_E_clISt17integral_constantIbLb1EESZ_EEDaSU_SV_EUlSU_E_NS1_11comp_targetILNS1_3genE4ELNS1_11target_archE910ELNS1_3gpuE8ELNS1_3repE0EEENS1_30default_config_static_selectorELNS0_4arch9wavefront6targetE1EEEvT1_.kd
    .uniform_work_group_size: 1
    .uses_dynamic_stack: false
    .vgpr_count:     65
    .vgpr_spill_count: 0
    .wavefront_size: 64
  - .agpr_count:     0
    .args:
      - .offset:         0
        .size:           112
        .value_kind:     by_value
    .group_segment_fixed_size: 0
    .kernarg_segment_align: 8
    .kernarg_segment_size: 112
    .language:       OpenCL C
    .language_version:
      - 2
      - 0
    .max_flat_workgroup_size: 256
    .name:           _ZN7rocprim17ROCPRIM_400000_NS6detail17trampoline_kernelINS0_14default_configENS1_27scan_by_key_config_selectorIiiEEZZNS1_16scan_by_key_implILNS1_25lookback_scan_determinismE0ELb0ES3_N6thrust23THRUST_200600_302600_NS6detail15normal_iteratorINS9_10device_ptrIiEEEESE_SE_iNS9_4plusIvEENS9_8equal_toIiEEiEE10hipError_tPvRmT2_T3_T4_T5_mT6_T7_P12ihipStream_tbENKUlT_T0_E_clISt17integral_constantIbLb1EESZ_EEDaSU_SV_EUlSU_E_NS1_11comp_targetILNS1_3genE3ELNS1_11target_archE908ELNS1_3gpuE7ELNS1_3repE0EEENS1_30default_config_static_selectorELNS0_4arch9wavefront6targetE1EEEvT1_
    .private_segment_fixed_size: 0
    .sgpr_count:     4
    .sgpr_spill_count: 0
    .symbol:         _ZN7rocprim17ROCPRIM_400000_NS6detail17trampoline_kernelINS0_14default_configENS1_27scan_by_key_config_selectorIiiEEZZNS1_16scan_by_key_implILNS1_25lookback_scan_determinismE0ELb0ES3_N6thrust23THRUST_200600_302600_NS6detail15normal_iteratorINS9_10device_ptrIiEEEESE_SE_iNS9_4plusIvEENS9_8equal_toIiEEiEE10hipError_tPvRmT2_T3_T4_T5_mT6_T7_P12ihipStream_tbENKUlT_T0_E_clISt17integral_constantIbLb1EESZ_EEDaSU_SV_EUlSU_E_NS1_11comp_targetILNS1_3genE3ELNS1_11target_archE908ELNS1_3gpuE7ELNS1_3repE0EEENS1_30default_config_static_selectorELNS0_4arch9wavefront6targetE1EEEvT1_.kd
    .uniform_work_group_size: 1
    .uses_dynamic_stack: false
    .vgpr_count:     0
    .vgpr_spill_count: 0
    .wavefront_size: 64
  - .agpr_count:     0
    .args:
      - .offset:         0
        .size:           112
        .value_kind:     by_value
    .group_segment_fixed_size: 0
    .kernarg_segment_align: 8
    .kernarg_segment_size: 112
    .language:       OpenCL C
    .language_version:
      - 2
      - 0
    .max_flat_workgroup_size: 256
    .name:           _ZN7rocprim17ROCPRIM_400000_NS6detail17trampoline_kernelINS0_14default_configENS1_27scan_by_key_config_selectorIiiEEZZNS1_16scan_by_key_implILNS1_25lookback_scan_determinismE0ELb0ES3_N6thrust23THRUST_200600_302600_NS6detail15normal_iteratorINS9_10device_ptrIiEEEESE_SE_iNS9_4plusIvEENS9_8equal_toIiEEiEE10hipError_tPvRmT2_T3_T4_T5_mT6_T7_P12ihipStream_tbENKUlT_T0_E_clISt17integral_constantIbLb1EESZ_EEDaSU_SV_EUlSU_E_NS1_11comp_targetILNS1_3genE2ELNS1_11target_archE906ELNS1_3gpuE6ELNS1_3repE0EEENS1_30default_config_static_selectorELNS0_4arch9wavefront6targetE1EEEvT1_
    .private_segment_fixed_size: 0
    .sgpr_count:     4
    .sgpr_spill_count: 0
    .symbol:         _ZN7rocprim17ROCPRIM_400000_NS6detail17trampoline_kernelINS0_14default_configENS1_27scan_by_key_config_selectorIiiEEZZNS1_16scan_by_key_implILNS1_25lookback_scan_determinismE0ELb0ES3_N6thrust23THRUST_200600_302600_NS6detail15normal_iteratorINS9_10device_ptrIiEEEESE_SE_iNS9_4plusIvEENS9_8equal_toIiEEiEE10hipError_tPvRmT2_T3_T4_T5_mT6_T7_P12ihipStream_tbENKUlT_T0_E_clISt17integral_constantIbLb1EESZ_EEDaSU_SV_EUlSU_E_NS1_11comp_targetILNS1_3genE2ELNS1_11target_archE906ELNS1_3gpuE6ELNS1_3repE0EEENS1_30default_config_static_selectorELNS0_4arch9wavefront6targetE1EEEvT1_.kd
    .uniform_work_group_size: 1
    .uses_dynamic_stack: false
    .vgpr_count:     0
    .vgpr_spill_count: 0
    .wavefront_size: 64
  - .agpr_count:     0
    .args:
      - .offset:         0
        .size:           112
        .value_kind:     by_value
    .group_segment_fixed_size: 0
    .kernarg_segment_align: 8
    .kernarg_segment_size: 112
    .language:       OpenCL C
    .language_version:
      - 2
      - 0
    .max_flat_workgroup_size: 256
    .name:           _ZN7rocprim17ROCPRIM_400000_NS6detail17trampoline_kernelINS0_14default_configENS1_27scan_by_key_config_selectorIiiEEZZNS1_16scan_by_key_implILNS1_25lookback_scan_determinismE0ELb0ES3_N6thrust23THRUST_200600_302600_NS6detail15normal_iteratorINS9_10device_ptrIiEEEESE_SE_iNS9_4plusIvEENS9_8equal_toIiEEiEE10hipError_tPvRmT2_T3_T4_T5_mT6_T7_P12ihipStream_tbENKUlT_T0_E_clISt17integral_constantIbLb1EESZ_EEDaSU_SV_EUlSU_E_NS1_11comp_targetILNS1_3genE10ELNS1_11target_archE1200ELNS1_3gpuE4ELNS1_3repE0EEENS1_30default_config_static_selectorELNS0_4arch9wavefront6targetE1EEEvT1_
    .private_segment_fixed_size: 0
    .sgpr_count:     4
    .sgpr_spill_count: 0
    .symbol:         _ZN7rocprim17ROCPRIM_400000_NS6detail17trampoline_kernelINS0_14default_configENS1_27scan_by_key_config_selectorIiiEEZZNS1_16scan_by_key_implILNS1_25lookback_scan_determinismE0ELb0ES3_N6thrust23THRUST_200600_302600_NS6detail15normal_iteratorINS9_10device_ptrIiEEEESE_SE_iNS9_4plusIvEENS9_8equal_toIiEEiEE10hipError_tPvRmT2_T3_T4_T5_mT6_T7_P12ihipStream_tbENKUlT_T0_E_clISt17integral_constantIbLb1EESZ_EEDaSU_SV_EUlSU_E_NS1_11comp_targetILNS1_3genE10ELNS1_11target_archE1200ELNS1_3gpuE4ELNS1_3repE0EEENS1_30default_config_static_selectorELNS0_4arch9wavefront6targetE1EEEvT1_.kd
    .uniform_work_group_size: 1
    .uses_dynamic_stack: false
    .vgpr_count:     0
    .vgpr_spill_count: 0
    .wavefront_size: 64
  - .agpr_count:     0
    .args:
      - .offset:         0
        .size:           112
        .value_kind:     by_value
    .group_segment_fixed_size: 0
    .kernarg_segment_align: 8
    .kernarg_segment_size: 112
    .language:       OpenCL C
    .language_version:
      - 2
      - 0
    .max_flat_workgroup_size: 256
    .name:           _ZN7rocprim17ROCPRIM_400000_NS6detail17trampoline_kernelINS0_14default_configENS1_27scan_by_key_config_selectorIiiEEZZNS1_16scan_by_key_implILNS1_25lookback_scan_determinismE0ELb0ES3_N6thrust23THRUST_200600_302600_NS6detail15normal_iteratorINS9_10device_ptrIiEEEESE_SE_iNS9_4plusIvEENS9_8equal_toIiEEiEE10hipError_tPvRmT2_T3_T4_T5_mT6_T7_P12ihipStream_tbENKUlT_T0_E_clISt17integral_constantIbLb1EESZ_EEDaSU_SV_EUlSU_E_NS1_11comp_targetILNS1_3genE9ELNS1_11target_archE1100ELNS1_3gpuE3ELNS1_3repE0EEENS1_30default_config_static_selectorELNS0_4arch9wavefront6targetE1EEEvT1_
    .private_segment_fixed_size: 0
    .sgpr_count:     4
    .sgpr_spill_count: 0
    .symbol:         _ZN7rocprim17ROCPRIM_400000_NS6detail17trampoline_kernelINS0_14default_configENS1_27scan_by_key_config_selectorIiiEEZZNS1_16scan_by_key_implILNS1_25lookback_scan_determinismE0ELb0ES3_N6thrust23THRUST_200600_302600_NS6detail15normal_iteratorINS9_10device_ptrIiEEEESE_SE_iNS9_4plusIvEENS9_8equal_toIiEEiEE10hipError_tPvRmT2_T3_T4_T5_mT6_T7_P12ihipStream_tbENKUlT_T0_E_clISt17integral_constantIbLb1EESZ_EEDaSU_SV_EUlSU_E_NS1_11comp_targetILNS1_3genE9ELNS1_11target_archE1100ELNS1_3gpuE3ELNS1_3repE0EEENS1_30default_config_static_selectorELNS0_4arch9wavefront6targetE1EEEvT1_.kd
    .uniform_work_group_size: 1
    .uses_dynamic_stack: false
    .vgpr_count:     0
    .vgpr_spill_count: 0
    .wavefront_size: 64
  - .agpr_count:     0
    .args:
      - .offset:         0
        .size:           112
        .value_kind:     by_value
    .group_segment_fixed_size: 0
    .kernarg_segment_align: 8
    .kernarg_segment_size: 112
    .language:       OpenCL C
    .language_version:
      - 2
      - 0
    .max_flat_workgroup_size: 256
    .name:           _ZN7rocprim17ROCPRIM_400000_NS6detail17trampoline_kernelINS0_14default_configENS1_27scan_by_key_config_selectorIiiEEZZNS1_16scan_by_key_implILNS1_25lookback_scan_determinismE0ELb0ES3_N6thrust23THRUST_200600_302600_NS6detail15normal_iteratorINS9_10device_ptrIiEEEESE_SE_iNS9_4plusIvEENS9_8equal_toIiEEiEE10hipError_tPvRmT2_T3_T4_T5_mT6_T7_P12ihipStream_tbENKUlT_T0_E_clISt17integral_constantIbLb1EESZ_EEDaSU_SV_EUlSU_E_NS1_11comp_targetILNS1_3genE8ELNS1_11target_archE1030ELNS1_3gpuE2ELNS1_3repE0EEENS1_30default_config_static_selectorELNS0_4arch9wavefront6targetE1EEEvT1_
    .private_segment_fixed_size: 0
    .sgpr_count:     4
    .sgpr_spill_count: 0
    .symbol:         _ZN7rocprim17ROCPRIM_400000_NS6detail17trampoline_kernelINS0_14default_configENS1_27scan_by_key_config_selectorIiiEEZZNS1_16scan_by_key_implILNS1_25lookback_scan_determinismE0ELb0ES3_N6thrust23THRUST_200600_302600_NS6detail15normal_iteratorINS9_10device_ptrIiEEEESE_SE_iNS9_4plusIvEENS9_8equal_toIiEEiEE10hipError_tPvRmT2_T3_T4_T5_mT6_T7_P12ihipStream_tbENKUlT_T0_E_clISt17integral_constantIbLb1EESZ_EEDaSU_SV_EUlSU_E_NS1_11comp_targetILNS1_3genE8ELNS1_11target_archE1030ELNS1_3gpuE2ELNS1_3repE0EEENS1_30default_config_static_selectorELNS0_4arch9wavefront6targetE1EEEvT1_.kd
    .uniform_work_group_size: 1
    .uses_dynamic_stack: false
    .vgpr_count:     0
    .vgpr_spill_count: 0
    .wavefront_size: 64
  - .agpr_count:     0
    .args:
      - .offset:         0
        .size:           112
        .value_kind:     by_value
    .group_segment_fixed_size: 0
    .kernarg_segment_align: 8
    .kernarg_segment_size: 112
    .language:       OpenCL C
    .language_version:
      - 2
      - 0
    .max_flat_workgroup_size: 256
    .name:           _ZN7rocprim17ROCPRIM_400000_NS6detail17trampoline_kernelINS0_14default_configENS1_27scan_by_key_config_selectorIiiEEZZNS1_16scan_by_key_implILNS1_25lookback_scan_determinismE0ELb0ES3_N6thrust23THRUST_200600_302600_NS6detail15normal_iteratorINS9_10device_ptrIiEEEESE_SE_iNS9_4plusIvEENS9_8equal_toIiEEiEE10hipError_tPvRmT2_T3_T4_T5_mT6_T7_P12ihipStream_tbENKUlT_T0_E_clISt17integral_constantIbLb1EESY_IbLb0EEEEDaSU_SV_EUlSU_E_NS1_11comp_targetILNS1_3genE0ELNS1_11target_archE4294967295ELNS1_3gpuE0ELNS1_3repE0EEENS1_30default_config_static_selectorELNS0_4arch9wavefront6targetE1EEEvT1_
    .private_segment_fixed_size: 0
    .sgpr_count:     4
    .sgpr_spill_count: 0
    .symbol:         _ZN7rocprim17ROCPRIM_400000_NS6detail17trampoline_kernelINS0_14default_configENS1_27scan_by_key_config_selectorIiiEEZZNS1_16scan_by_key_implILNS1_25lookback_scan_determinismE0ELb0ES3_N6thrust23THRUST_200600_302600_NS6detail15normal_iteratorINS9_10device_ptrIiEEEESE_SE_iNS9_4plusIvEENS9_8equal_toIiEEiEE10hipError_tPvRmT2_T3_T4_T5_mT6_T7_P12ihipStream_tbENKUlT_T0_E_clISt17integral_constantIbLb1EESY_IbLb0EEEEDaSU_SV_EUlSU_E_NS1_11comp_targetILNS1_3genE0ELNS1_11target_archE4294967295ELNS1_3gpuE0ELNS1_3repE0EEENS1_30default_config_static_selectorELNS0_4arch9wavefront6targetE1EEEvT1_.kd
    .uniform_work_group_size: 1
    .uses_dynamic_stack: false
    .vgpr_count:     0
    .vgpr_spill_count: 0
    .wavefront_size: 64
  - .agpr_count:     0
    .args:
      - .offset:         0
        .size:           112
        .value_kind:     by_value
    .group_segment_fixed_size: 0
    .kernarg_segment_align: 8
    .kernarg_segment_size: 112
    .language:       OpenCL C
    .language_version:
      - 2
      - 0
    .max_flat_workgroup_size: 256
    .name:           _ZN7rocprim17ROCPRIM_400000_NS6detail17trampoline_kernelINS0_14default_configENS1_27scan_by_key_config_selectorIiiEEZZNS1_16scan_by_key_implILNS1_25lookback_scan_determinismE0ELb0ES3_N6thrust23THRUST_200600_302600_NS6detail15normal_iteratorINS9_10device_ptrIiEEEESE_SE_iNS9_4plusIvEENS9_8equal_toIiEEiEE10hipError_tPvRmT2_T3_T4_T5_mT6_T7_P12ihipStream_tbENKUlT_T0_E_clISt17integral_constantIbLb1EESY_IbLb0EEEEDaSU_SV_EUlSU_E_NS1_11comp_targetILNS1_3genE10ELNS1_11target_archE1201ELNS1_3gpuE5ELNS1_3repE0EEENS1_30default_config_static_selectorELNS0_4arch9wavefront6targetE1EEEvT1_
    .private_segment_fixed_size: 0
    .sgpr_count:     4
    .sgpr_spill_count: 0
    .symbol:         _ZN7rocprim17ROCPRIM_400000_NS6detail17trampoline_kernelINS0_14default_configENS1_27scan_by_key_config_selectorIiiEEZZNS1_16scan_by_key_implILNS1_25lookback_scan_determinismE0ELb0ES3_N6thrust23THRUST_200600_302600_NS6detail15normal_iteratorINS9_10device_ptrIiEEEESE_SE_iNS9_4plusIvEENS9_8equal_toIiEEiEE10hipError_tPvRmT2_T3_T4_T5_mT6_T7_P12ihipStream_tbENKUlT_T0_E_clISt17integral_constantIbLb1EESY_IbLb0EEEEDaSU_SV_EUlSU_E_NS1_11comp_targetILNS1_3genE10ELNS1_11target_archE1201ELNS1_3gpuE5ELNS1_3repE0EEENS1_30default_config_static_selectorELNS0_4arch9wavefront6targetE1EEEvT1_.kd
    .uniform_work_group_size: 1
    .uses_dynamic_stack: false
    .vgpr_count:     0
    .vgpr_spill_count: 0
    .wavefront_size: 64
  - .agpr_count:     0
    .args:
      - .offset:         0
        .size:           112
        .value_kind:     by_value
    .group_segment_fixed_size: 0
    .kernarg_segment_align: 8
    .kernarg_segment_size: 112
    .language:       OpenCL C
    .language_version:
      - 2
      - 0
    .max_flat_workgroup_size: 256
    .name:           _ZN7rocprim17ROCPRIM_400000_NS6detail17trampoline_kernelINS0_14default_configENS1_27scan_by_key_config_selectorIiiEEZZNS1_16scan_by_key_implILNS1_25lookback_scan_determinismE0ELb0ES3_N6thrust23THRUST_200600_302600_NS6detail15normal_iteratorINS9_10device_ptrIiEEEESE_SE_iNS9_4plusIvEENS9_8equal_toIiEEiEE10hipError_tPvRmT2_T3_T4_T5_mT6_T7_P12ihipStream_tbENKUlT_T0_E_clISt17integral_constantIbLb1EESY_IbLb0EEEEDaSU_SV_EUlSU_E_NS1_11comp_targetILNS1_3genE5ELNS1_11target_archE942ELNS1_3gpuE9ELNS1_3repE0EEENS1_30default_config_static_selectorELNS0_4arch9wavefront6targetE1EEEvT1_
    .private_segment_fixed_size: 0
    .sgpr_count:     4
    .sgpr_spill_count: 0
    .symbol:         _ZN7rocprim17ROCPRIM_400000_NS6detail17trampoline_kernelINS0_14default_configENS1_27scan_by_key_config_selectorIiiEEZZNS1_16scan_by_key_implILNS1_25lookback_scan_determinismE0ELb0ES3_N6thrust23THRUST_200600_302600_NS6detail15normal_iteratorINS9_10device_ptrIiEEEESE_SE_iNS9_4plusIvEENS9_8equal_toIiEEiEE10hipError_tPvRmT2_T3_T4_T5_mT6_T7_P12ihipStream_tbENKUlT_T0_E_clISt17integral_constantIbLb1EESY_IbLb0EEEEDaSU_SV_EUlSU_E_NS1_11comp_targetILNS1_3genE5ELNS1_11target_archE942ELNS1_3gpuE9ELNS1_3repE0EEENS1_30default_config_static_selectorELNS0_4arch9wavefront6targetE1EEEvT1_.kd
    .uniform_work_group_size: 1
    .uses_dynamic_stack: false
    .vgpr_count:     0
    .vgpr_spill_count: 0
    .wavefront_size: 64
  - .agpr_count:     0
    .args:
      - .offset:         0
        .size:           112
        .value_kind:     by_value
    .group_segment_fixed_size: 16384
    .kernarg_segment_align: 8
    .kernarg_segment_size: 112
    .language:       OpenCL C
    .language_version:
      - 2
      - 0
    .max_flat_workgroup_size: 256
    .name:           _ZN7rocprim17ROCPRIM_400000_NS6detail17trampoline_kernelINS0_14default_configENS1_27scan_by_key_config_selectorIiiEEZZNS1_16scan_by_key_implILNS1_25lookback_scan_determinismE0ELb0ES3_N6thrust23THRUST_200600_302600_NS6detail15normal_iteratorINS9_10device_ptrIiEEEESE_SE_iNS9_4plusIvEENS9_8equal_toIiEEiEE10hipError_tPvRmT2_T3_T4_T5_mT6_T7_P12ihipStream_tbENKUlT_T0_E_clISt17integral_constantIbLb1EESY_IbLb0EEEEDaSU_SV_EUlSU_E_NS1_11comp_targetILNS1_3genE4ELNS1_11target_archE910ELNS1_3gpuE8ELNS1_3repE0EEENS1_30default_config_static_selectorELNS0_4arch9wavefront6targetE1EEEvT1_
    .private_segment_fixed_size: 0
    .sgpr_count:     65
    .sgpr_spill_count: 0
    .symbol:         _ZN7rocprim17ROCPRIM_400000_NS6detail17trampoline_kernelINS0_14default_configENS1_27scan_by_key_config_selectorIiiEEZZNS1_16scan_by_key_implILNS1_25lookback_scan_determinismE0ELb0ES3_N6thrust23THRUST_200600_302600_NS6detail15normal_iteratorINS9_10device_ptrIiEEEESE_SE_iNS9_4plusIvEENS9_8equal_toIiEEiEE10hipError_tPvRmT2_T3_T4_T5_mT6_T7_P12ihipStream_tbENKUlT_T0_E_clISt17integral_constantIbLb1EESY_IbLb0EEEEDaSU_SV_EUlSU_E_NS1_11comp_targetILNS1_3genE4ELNS1_11target_archE910ELNS1_3gpuE8ELNS1_3repE0EEENS1_30default_config_static_selectorELNS0_4arch9wavefront6targetE1EEEvT1_.kd
    .uniform_work_group_size: 1
    .uses_dynamic_stack: false
    .vgpr_count:     65
    .vgpr_spill_count: 0
    .wavefront_size: 64
  - .agpr_count:     0
    .args:
      - .offset:         0
        .size:           112
        .value_kind:     by_value
    .group_segment_fixed_size: 0
    .kernarg_segment_align: 8
    .kernarg_segment_size: 112
    .language:       OpenCL C
    .language_version:
      - 2
      - 0
    .max_flat_workgroup_size: 256
    .name:           _ZN7rocprim17ROCPRIM_400000_NS6detail17trampoline_kernelINS0_14default_configENS1_27scan_by_key_config_selectorIiiEEZZNS1_16scan_by_key_implILNS1_25lookback_scan_determinismE0ELb0ES3_N6thrust23THRUST_200600_302600_NS6detail15normal_iteratorINS9_10device_ptrIiEEEESE_SE_iNS9_4plusIvEENS9_8equal_toIiEEiEE10hipError_tPvRmT2_T3_T4_T5_mT6_T7_P12ihipStream_tbENKUlT_T0_E_clISt17integral_constantIbLb1EESY_IbLb0EEEEDaSU_SV_EUlSU_E_NS1_11comp_targetILNS1_3genE3ELNS1_11target_archE908ELNS1_3gpuE7ELNS1_3repE0EEENS1_30default_config_static_selectorELNS0_4arch9wavefront6targetE1EEEvT1_
    .private_segment_fixed_size: 0
    .sgpr_count:     4
    .sgpr_spill_count: 0
    .symbol:         _ZN7rocprim17ROCPRIM_400000_NS6detail17trampoline_kernelINS0_14default_configENS1_27scan_by_key_config_selectorIiiEEZZNS1_16scan_by_key_implILNS1_25lookback_scan_determinismE0ELb0ES3_N6thrust23THRUST_200600_302600_NS6detail15normal_iteratorINS9_10device_ptrIiEEEESE_SE_iNS9_4plusIvEENS9_8equal_toIiEEiEE10hipError_tPvRmT2_T3_T4_T5_mT6_T7_P12ihipStream_tbENKUlT_T0_E_clISt17integral_constantIbLb1EESY_IbLb0EEEEDaSU_SV_EUlSU_E_NS1_11comp_targetILNS1_3genE3ELNS1_11target_archE908ELNS1_3gpuE7ELNS1_3repE0EEENS1_30default_config_static_selectorELNS0_4arch9wavefront6targetE1EEEvT1_.kd
    .uniform_work_group_size: 1
    .uses_dynamic_stack: false
    .vgpr_count:     0
    .vgpr_spill_count: 0
    .wavefront_size: 64
  - .agpr_count:     0
    .args:
      - .offset:         0
        .size:           112
        .value_kind:     by_value
    .group_segment_fixed_size: 0
    .kernarg_segment_align: 8
    .kernarg_segment_size: 112
    .language:       OpenCL C
    .language_version:
      - 2
      - 0
    .max_flat_workgroup_size: 256
    .name:           _ZN7rocprim17ROCPRIM_400000_NS6detail17trampoline_kernelINS0_14default_configENS1_27scan_by_key_config_selectorIiiEEZZNS1_16scan_by_key_implILNS1_25lookback_scan_determinismE0ELb0ES3_N6thrust23THRUST_200600_302600_NS6detail15normal_iteratorINS9_10device_ptrIiEEEESE_SE_iNS9_4plusIvEENS9_8equal_toIiEEiEE10hipError_tPvRmT2_T3_T4_T5_mT6_T7_P12ihipStream_tbENKUlT_T0_E_clISt17integral_constantIbLb1EESY_IbLb0EEEEDaSU_SV_EUlSU_E_NS1_11comp_targetILNS1_3genE2ELNS1_11target_archE906ELNS1_3gpuE6ELNS1_3repE0EEENS1_30default_config_static_selectorELNS0_4arch9wavefront6targetE1EEEvT1_
    .private_segment_fixed_size: 0
    .sgpr_count:     4
    .sgpr_spill_count: 0
    .symbol:         _ZN7rocprim17ROCPRIM_400000_NS6detail17trampoline_kernelINS0_14default_configENS1_27scan_by_key_config_selectorIiiEEZZNS1_16scan_by_key_implILNS1_25lookback_scan_determinismE0ELb0ES3_N6thrust23THRUST_200600_302600_NS6detail15normal_iteratorINS9_10device_ptrIiEEEESE_SE_iNS9_4plusIvEENS9_8equal_toIiEEiEE10hipError_tPvRmT2_T3_T4_T5_mT6_T7_P12ihipStream_tbENKUlT_T0_E_clISt17integral_constantIbLb1EESY_IbLb0EEEEDaSU_SV_EUlSU_E_NS1_11comp_targetILNS1_3genE2ELNS1_11target_archE906ELNS1_3gpuE6ELNS1_3repE0EEENS1_30default_config_static_selectorELNS0_4arch9wavefront6targetE1EEEvT1_.kd
    .uniform_work_group_size: 1
    .uses_dynamic_stack: false
    .vgpr_count:     0
    .vgpr_spill_count: 0
    .wavefront_size: 64
  - .agpr_count:     0
    .args:
      - .offset:         0
        .size:           112
        .value_kind:     by_value
    .group_segment_fixed_size: 0
    .kernarg_segment_align: 8
    .kernarg_segment_size: 112
    .language:       OpenCL C
    .language_version:
      - 2
      - 0
    .max_flat_workgroup_size: 256
    .name:           _ZN7rocprim17ROCPRIM_400000_NS6detail17trampoline_kernelINS0_14default_configENS1_27scan_by_key_config_selectorIiiEEZZNS1_16scan_by_key_implILNS1_25lookback_scan_determinismE0ELb0ES3_N6thrust23THRUST_200600_302600_NS6detail15normal_iteratorINS9_10device_ptrIiEEEESE_SE_iNS9_4plusIvEENS9_8equal_toIiEEiEE10hipError_tPvRmT2_T3_T4_T5_mT6_T7_P12ihipStream_tbENKUlT_T0_E_clISt17integral_constantIbLb1EESY_IbLb0EEEEDaSU_SV_EUlSU_E_NS1_11comp_targetILNS1_3genE10ELNS1_11target_archE1200ELNS1_3gpuE4ELNS1_3repE0EEENS1_30default_config_static_selectorELNS0_4arch9wavefront6targetE1EEEvT1_
    .private_segment_fixed_size: 0
    .sgpr_count:     4
    .sgpr_spill_count: 0
    .symbol:         _ZN7rocprim17ROCPRIM_400000_NS6detail17trampoline_kernelINS0_14default_configENS1_27scan_by_key_config_selectorIiiEEZZNS1_16scan_by_key_implILNS1_25lookback_scan_determinismE0ELb0ES3_N6thrust23THRUST_200600_302600_NS6detail15normal_iteratorINS9_10device_ptrIiEEEESE_SE_iNS9_4plusIvEENS9_8equal_toIiEEiEE10hipError_tPvRmT2_T3_T4_T5_mT6_T7_P12ihipStream_tbENKUlT_T0_E_clISt17integral_constantIbLb1EESY_IbLb0EEEEDaSU_SV_EUlSU_E_NS1_11comp_targetILNS1_3genE10ELNS1_11target_archE1200ELNS1_3gpuE4ELNS1_3repE0EEENS1_30default_config_static_selectorELNS0_4arch9wavefront6targetE1EEEvT1_.kd
    .uniform_work_group_size: 1
    .uses_dynamic_stack: false
    .vgpr_count:     0
    .vgpr_spill_count: 0
    .wavefront_size: 64
  - .agpr_count:     0
    .args:
      - .offset:         0
        .size:           112
        .value_kind:     by_value
    .group_segment_fixed_size: 0
    .kernarg_segment_align: 8
    .kernarg_segment_size: 112
    .language:       OpenCL C
    .language_version:
      - 2
      - 0
    .max_flat_workgroup_size: 256
    .name:           _ZN7rocprim17ROCPRIM_400000_NS6detail17trampoline_kernelINS0_14default_configENS1_27scan_by_key_config_selectorIiiEEZZNS1_16scan_by_key_implILNS1_25lookback_scan_determinismE0ELb0ES3_N6thrust23THRUST_200600_302600_NS6detail15normal_iteratorINS9_10device_ptrIiEEEESE_SE_iNS9_4plusIvEENS9_8equal_toIiEEiEE10hipError_tPvRmT2_T3_T4_T5_mT6_T7_P12ihipStream_tbENKUlT_T0_E_clISt17integral_constantIbLb1EESY_IbLb0EEEEDaSU_SV_EUlSU_E_NS1_11comp_targetILNS1_3genE9ELNS1_11target_archE1100ELNS1_3gpuE3ELNS1_3repE0EEENS1_30default_config_static_selectorELNS0_4arch9wavefront6targetE1EEEvT1_
    .private_segment_fixed_size: 0
    .sgpr_count:     4
    .sgpr_spill_count: 0
    .symbol:         _ZN7rocprim17ROCPRIM_400000_NS6detail17trampoline_kernelINS0_14default_configENS1_27scan_by_key_config_selectorIiiEEZZNS1_16scan_by_key_implILNS1_25lookback_scan_determinismE0ELb0ES3_N6thrust23THRUST_200600_302600_NS6detail15normal_iteratorINS9_10device_ptrIiEEEESE_SE_iNS9_4plusIvEENS9_8equal_toIiEEiEE10hipError_tPvRmT2_T3_T4_T5_mT6_T7_P12ihipStream_tbENKUlT_T0_E_clISt17integral_constantIbLb1EESY_IbLb0EEEEDaSU_SV_EUlSU_E_NS1_11comp_targetILNS1_3genE9ELNS1_11target_archE1100ELNS1_3gpuE3ELNS1_3repE0EEENS1_30default_config_static_selectorELNS0_4arch9wavefront6targetE1EEEvT1_.kd
    .uniform_work_group_size: 1
    .uses_dynamic_stack: false
    .vgpr_count:     0
    .vgpr_spill_count: 0
    .wavefront_size: 64
  - .agpr_count:     0
    .args:
      - .offset:         0
        .size:           112
        .value_kind:     by_value
    .group_segment_fixed_size: 0
    .kernarg_segment_align: 8
    .kernarg_segment_size: 112
    .language:       OpenCL C
    .language_version:
      - 2
      - 0
    .max_flat_workgroup_size: 256
    .name:           _ZN7rocprim17ROCPRIM_400000_NS6detail17trampoline_kernelINS0_14default_configENS1_27scan_by_key_config_selectorIiiEEZZNS1_16scan_by_key_implILNS1_25lookback_scan_determinismE0ELb0ES3_N6thrust23THRUST_200600_302600_NS6detail15normal_iteratorINS9_10device_ptrIiEEEESE_SE_iNS9_4plusIvEENS9_8equal_toIiEEiEE10hipError_tPvRmT2_T3_T4_T5_mT6_T7_P12ihipStream_tbENKUlT_T0_E_clISt17integral_constantIbLb1EESY_IbLb0EEEEDaSU_SV_EUlSU_E_NS1_11comp_targetILNS1_3genE8ELNS1_11target_archE1030ELNS1_3gpuE2ELNS1_3repE0EEENS1_30default_config_static_selectorELNS0_4arch9wavefront6targetE1EEEvT1_
    .private_segment_fixed_size: 0
    .sgpr_count:     4
    .sgpr_spill_count: 0
    .symbol:         _ZN7rocprim17ROCPRIM_400000_NS6detail17trampoline_kernelINS0_14default_configENS1_27scan_by_key_config_selectorIiiEEZZNS1_16scan_by_key_implILNS1_25lookback_scan_determinismE0ELb0ES3_N6thrust23THRUST_200600_302600_NS6detail15normal_iteratorINS9_10device_ptrIiEEEESE_SE_iNS9_4plusIvEENS9_8equal_toIiEEiEE10hipError_tPvRmT2_T3_T4_T5_mT6_T7_P12ihipStream_tbENKUlT_T0_E_clISt17integral_constantIbLb1EESY_IbLb0EEEEDaSU_SV_EUlSU_E_NS1_11comp_targetILNS1_3genE8ELNS1_11target_archE1030ELNS1_3gpuE2ELNS1_3repE0EEENS1_30default_config_static_selectorELNS0_4arch9wavefront6targetE1EEEvT1_.kd
    .uniform_work_group_size: 1
    .uses_dynamic_stack: false
    .vgpr_count:     0
    .vgpr_spill_count: 0
    .wavefront_size: 64
  - .agpr_count:     0
    .args:
      - .offset:         0
        .size:           112
        .value_kind:     by_value
    .group_segment_fixed_size: 0
    .kernarg_segment_align: 8
    .kernarg_segment_size: 112
    .language:       OpenCL C
    .language_version:
      - 2
      - 0
    .max_flat_workgroup_size: 256
    .name:           _ZN7rocprim17ROCPRIM_400000_NS6detail17trampoline_kernelINS0_14default_configENS1_27scan_by_key_config_selectorIiiEEZZNS1_16scan_by_key_implILNS1_25lookback_scan_determinismE0ELb0ES3_N6thrust23THRUST_200600_302600_NS6detail15normal_iteratorINS9_10device_ptrIiEEEESE_SE_iNS9_4plusIvEENS9_8equal_toIiEEiEE10hipError_tPvRmT2_T3_T4_T5_mT6_T7_P12ihipStream_tbENKUlT_T0_E_clISt17integral_constantIbLb0EESY_IbLb1EEEEDaSU_SV_EUlSU_E_NS1_11comp_targetILNS1_3genE0ELNS1_11target_archE4294967295ELNS1_3gpuE0ELNS1_3repE0EEENS1_30default_config_static_selectorELNS0_4arch9wavefront6targetE1EEEvT1_
    .private_segment_fixed_size: 0
    .sgpr_count:     4
    .sgpr_spill_count: 0
    .symbol:         _ZN7rocprim17ROCPRIM_400000_NS6detail17trampoline_kernelINS0_14default_configENS1_27scan_by_key_config_selectorIiiEEZZNS1_16scan_by_key_implILNS1_25lookback_scan_determinismE0ELb0ES3_N6thrust23THRUST_200600_302600_NS6detail15normal_iteratorINS9_10device_ptrIiEEEESE_SE_iNS9_4plusIvEENS9_8equal_toIiEEiEE10hipError_tPvRmT2_T3_T4_T5_mT6_T7_P12ihipStream_tbENKUlT_T0_E_clISt17integral_constantIbLb0EESY_IbLb1EEEEDaSU_SV_EUlSU_E_NS1_11comp_targetILNS1_3genE0ELNS1_11target_archE4294967295ELNS1_3gpuE0ELNS1_3repE0EEENS1_30default_config_static_selectorELNS0_4arch9wavefront6targetE1EEEvT1_.kd
    .uniform_work_group_size: 1
    .uses_dynamic_stack: false
    .vgpr_count:     0
    .vgpr_spill_count: 0
    .wavefront_size: 64
  - .agpr_count:     0
    .args:
      - .offset:         0
        .size:           112
        .value_kind:     by_value
    .group_segment_fixed_size: 0
    .kernarg_segment_align: 8
    .kernarg_segment_size: 112
    .language:       OpenCL C
    .language_version:
      - 2
      - 0
    .max_flat_workgroup_size: 256
    .name:           _ZN7rocprim17ROCPRIM_400000_NS6detail17trampoline_kernelINS0_14default_configENS1_27scan_by_key_config_selectorIiiEEZZNS1_16scan_by_key_implILNS1_25lookback_scan_determinismE0ELb0ES3_N6thrust23THRUST_200600_302600_NS6detail15normal_iteratorINS9_10device_ptrIiEEEESE_SE_iNS9_4plusIvEENS9_8equal_toIiEEiEE10hipError_tPvRmT2_T3_T4_T5_mT6_T7_P12ihipStream_tbENKUlT_T0_E_clISt17integral_constantIbLb0EESY_IbLb1EEEEDaSU_SV_EUlSU_E_NS1_11comp_targetILNS1_3genE10ELNS1_11target_archE1201ELNS1_3gpuE5ELNS1_3repE0EEENS1_30default_config_static_selectorELNS0_4arch9wavefront6targetE1EEEvT1_
    .private_segment_fixed_size: 0
    .sgpr_count:     4
    .sgpr_spill_count: 0
    .symbol:         _ZN7rocprim17ROCPRIM_400000_NS6detail17trampoline_kernelINS0_14default_configENS1_27scan_by_key_config_selectorIiiEEZZNS1_16scan_by_key_implILNS1_25lookback_scan_determinismE0ELb0ES3_N6thrust23THRUST_200600_302600_NS6detail15normal_iteratorINS9_10device_ptrIiEEEESE_SE_iNS9_4plusIvEENS9_8equal_toIiEEiEE10hipError_tPvRmT2_T3_T4_T5_mT6_T7_P12ihipStream_tbENKUlT_T0_E_clISt17integral_constantIbLb0EESY_IbLb1EEEEDaSU_SV_EUlSU_E_NS1_11comp_targetILNS1_3genE10ELNS1_11target_archE1201ELNS1_3gpuE5ELNS1_3repE0EEENS1_30default_config_static_selectorELNS0_4arch9wavefront6targetE1EEEvT1_.kd
    .uniform_work_group_size: 1
    .uses_dynamic_stack: false
    .vgpr_count:     0
    .vgpr_spill_count: 0
    .wavefront_size: 64
  - .agpr_count:     0
    .args:
      - .offset:         0
        .size:           112
        .value_kind:     by_value
    .group_segment_fixed_size: 0
    .kernarg_segment_align: 8
    .kernarg_segment_size: 112
    .language:       OpenCL C
    .language_version:
      - 2
      - 0
    .max_flat_workgroup_size: 256
    .name:           _ZN7rocprim17ROCPRIM_400000_NS6detail17trampoline_kernelINS0_14default_configENS1_27scan_by_key_config_selectorIiiEEZZNS1_16scan_by_key_implILNS1_25lookback_scan_determinismE0ELb0ES3_N6thrust23THRUST_200600_302600_NS6detail15normal_iteratorINS9_10device_ptrIiEEEESE_SE_iNS9_4plusIvEENS9_8equal_toIiEEiEE10hipError_tPvRmT2_T3_T4_T5_mT6_T7_P12ihipStream_tbENKUlT_T0_E_clISt17integral_constantIbLb0EESY_IbLb1EEEEDaSU_SV_EUlSU_E_NS1_11comp_targetILNS1_3genE5ELNS1_11target_archE942ELNS1_3gpuE9ELNS1_3repE0EEENS1_30default_config_static_selectorELNS0_4arch9wavefront6targetE1EEEvT1_
    .private_segment_fixed_size: 0
    .sgpr_count:     4
    .sgpr_spill_count: 0
    .symbol:         _ZN7rocprim17ROCPRIM_400000_NS6detail17trampoline_kernelINS0_14default_configENS1_27scan_by_key_config_selectorIiiEEZZNS1_16scan_by_key_implILNS1_25lookback_scan_determinismE0ELb0ES3_N6thrust23THRUST_200600_302600_NS6detail15normal_iteratorINS9_10device_ptrIiEEEESE_SE_iNS9_4plusIvEENS9_8equal_toIiEEiEE10hipError_tPvRmT2_T3_T4_T5_mT6_T7_P12ihipStream_tbENKUlT_T0_E_clISt17integral_constantIbLb0EESY_IbLb1EEEEDaSU_SV_EUlSU_E_NS1_11comp_targetILNS1_3genE5ELNS1_11target_archE942ELNS1_3gpuE9ELNS1_3repE0EEENS1_30default_config_static_selectorELNS0_4arch9wavefront6targetE1EEEvT1_.kd
    .uniform_work_group_size: 1
    .uses_dynamic_stack: false
    .vgpr_count:     0
    .vgpr_spill_count: 0
    .wavefront_size: 64
  - .agpr_count:     0
    .args:
      - .offset:         0
        .size:           112
        .value_kind:     by_value
    .group_segment_fixed_size: 16384
    .kernarg_segment_align: 8
    .kernarg_segment_size: 112
    .language:       OpenCL C
    .language_version:
      - 2
      - 0
    .max_flat_workgroup_size: 256
    .name:           _ZN7rocprim17ROCPRIM_400000_NS6detail17trampoline_kernelINS0_14default_configENS1_27scan_by_key_config_selectorIiiEEZZNS1_16scan_by_key_implILNS1_25lookback_scan_determinismE0ELb0ES3_N6thrust23THRUST_200600_302600_NS6detail15normal_iteratorINS9_10device_ptrIiEEEESE_SE_iNS9_4plusIvEENS9_8equal_toIiEEiEE10hipError_tPvRmT2_T3_T4_T5_mT6_T7_P12ihipStream_tbENKUlT_T0_E_clISt17integral_constantIbLb0EESY_IbLb1EEEEDaSU_SV_EUlSU_E_NS1_11comp_targetILNS1_3genE4ELNS1_11target_archE910ELNS1_3gpuE8ELNS1_3repE0EEENS1_30default_config_static_selectorELNS0_4arch9wavefront6targetE1EEEvT1_
    .private_segment_fixed_size: 0
    .sgpr_count:     69
    .sgpr_spill_count: 0
    .symbol:         _ZN7rocprim17ROCPRIM_400000_NS6detail17trampoline_kernelINS0_14default_configENS1_27scan_by_key_config_selectorIiiEEZZNS1_16scan_by_key_implILNS1_25lookback_scan_determinismE0ELb0ES3_N6thrust23THRUST_200600_302600_NS6detail15normal_iteratorINS9_10device_ptrIiEEEESE_SE_iNS9_4plusIvEENS9_8equal_toIiEEiEE10hipError_tPvRmT2_T3_T4_T5_mT6_T7_P12ihipStream_tbENKUlT_T0_E_clISt17integral_constantIbLb0EESY_IbLb1EEEEDaSU_SV_EUlSU_E_NS1_11comp_targetILNS1_3genE4ELNS1_11target_archE910ELNS1_3gpuE8ELNS1_3repE0EEENS1_30default_config_static_selectorELNS0_4arch9wavefront6targetE1EEEvT1_.kd
    .uniform_work_group_size: 1
    .uses_dynamic_stack: false
    .vgpr_count:     65
    .vgpr_spill_count: 0
    .wavefront_size: 64
  - .agpr_count:     0
    .args:
      - .offset:         0
        .size:           112
        .value_kind:     by_value
    .group_segment_fixed_size: 0
    .kernarg_segment_align: 8
    .kernarg_segment_size: 112
    .language:       OpenCL C
    .language_version:
      - 2
      - 0
    .max_flat_workgroup_size: 256
    .name:           _ZN7rocprim17ROCPRIM_400000_NS6detail17trampoline_kernelINS0_14default_configENS1_27scan_by_key_config_selectorIiiEEZZNS1_16scan_by_key_implILNS1_25lookback_scan_determinismE0ELb0ES3_N6thrust23THRUST_200600_302600_NS6detail15normal_iteratorINS9_10device_ptrIiEEEESE_SE_iNS9_4plusIvEENS9_8equal_toIiEEiEE10hipError_tPvRmT2_T3_T4_T5_mT6_T7_P12ihipStream_tbENKUlT_T0_E_clISt17integral_constantIbLb0EESY_IbLb1EEEEDaSU_SV_EUlSU_E_NS1_11comp_targetILNS1_3genE3ELNS1_11target_archE908ELNS1_3gpuE7ELNS1_3repE0EEENS1_30default_config_static_selectorELNS0_4arch9wavefront6targetE1EEEvT1_
    .private_segment_fixed_size: 0
    .sgpr_count:     4
    .sgpr_spill_count: 0
    .symbol:         _ZN7rocprim17ROCPRIM_400000_NS6detail17trampoline_kernelINS0_14default_configENS1_27scan_by_key_config_selectorIiiEEZZNS1_16scan_by_key_implILNS1_25lookback_scan_determinismE0ELb0ES3_N6thrust23THRUST_200600_302600_NS6detail15normal_iteratorINS9_10device_ptrIiEEEESE_SE_iNS9_4plusIvEENS9_8equal_toIiEEiEE10hipError_tPvRmT2_T3_T4_T5_mT6_T7_P12ihipStream_tbENKUlT_T0_E_clISt17integral_constantIbLb0EESY_IbLb1EEEEDaSU_SV_EUlSU_E_NS1_11comp_targetILNS1_3genE3ELNS1_11target_archE908ELNS1_3gpuE7ELNS1_3repE0EEENS1_30default_config_static_selectorELNS0_4arch9wavefront6targetE1EEEvT1_.kd
    .uniform_work_group_size: 1
    .uses_dynamic_stack: false
    .vgpr_count:     0
    .vgpr_spill_count: 0
    .wavefront_size: 64
  - .agpr_count:     0
    .args:
      - .offset:         0
        .size:           112
        .value_kind:     by_value
    .group_segment_fixed_size: 0
    .kernarg_segment_align: 8
    .kernarg_segment_size: 112
    .language:       OpenCL C
    .language_version:
      - 2
      - 0
    .max_flat_workgroup_size: 256
    .name:           _ZN7rocprim17ROCPRIM_400000_NS6detail17trampoline_kernelINS0_14default_configENS1_27scan_by_key_config_selectorIiiEEZZNS1_16scan_by_key_implILNS1_25lookback_scan_determinismE0ELb0ES3_N6thrust23THRUST_200600_302600_NS6detail15normal_iteratorINS9_10device_ptrIiEEEESE_SE_iNS9_4plusIvEENS9_8equal_toIiEEiEE10hipError_tPvRmT2_T3_T4_T5_mT6_T7_P12ihipStream_tbENKUlT_T0_E_clISt17integral_constantIbLb0EESY_IbLb1EEEEDaSU_SV_EUlSU_E_NS1_11comp_targetILNS1_3genE2ELNS1_11target_archE906ELNS1_3gpuE6ELNS1_3repE0EEENS1_30default_config_static_selectorELNS0_4arch9wavefront6targetE1EEEvT1_
    .private_segment_fixed_size: 0
    .sgpr_count:     4
    .sgpr_spill_count: 0
    .symbol:         _ZN7rocprim17ROCPRIM_400000_NS6detail17trampoline_kernelINS0_14default_configENS1_27scan_by_key_config_selectorIiiEEZZNS1_16scan_by_key_implILNS1_25lookback_scan_determinismE0ELb0ES3_N6thrust23THRUST_200600_302600_NS6detail15normal_iteratorINS9_10device_ptrIiEEEESE_SE_iNS9_4plusIvEENS9_8equal_toIiEEiEE10hipError_tPvRmT2_T3_T4_T5_mT6_T7_P12ihipStream_tbENKUlT_T0_E_clISt17integral_constantIbLb0EESY_IbLb1EEEEDaSU_SV_EUlSU_E_NS1_11comp_targetILNS1_3genE2ELNS1_11target_archE906ELNS1_3gpuE6ELNS1_3repE0EEENS1_30default_config_static_selectorELNS0_4arch9wavefront6targetE1EEEvT1_.kd
    .uniform_work_group_size: 1
    .uses_dynamic_stack: false
    .vgpr_count:     0
    .vgpr_spill_count: 0
    .wavefront_size: 64
  - .agpr_count:     0
    .args:
      - .offset:         0
        .size:           112
        .value_kind:     by_value
    .group_segment_fixed_size: 0
    .kernarg_segment_align: 8
    .kernarg_segment_size: 112
    .language:       OpenCL C
    .language_version:
      - 2
      - 0
    .max_flat_workgroup_size: 256
    .name:           _ZN7rocprim17ROCPRIM_400000_NS6detail17trampoline_kernelINS0_14default_configENS1_27scan_by_key_config_selectorIiiEEZZNS1_16scan_by_key_implILNS1_25lookback_scan_determinismE0ELb0ES3_N6thrust23THRUST_200600_302600_NS6detail15normal_iteratorINS9_10device_ptrIiEEEESE_SE_iNS9_4plusIvEENS9_8equal_toIiEEiEE10hipError_tPvRmT2_T3_T4_T5_mT6_T7_P12ihipStream_tbENKUlT_T0_E_clISt17integral_constantIbLb0EESY_IbLb1EEEEDaSU_SV_EUlSU_E_NS1_11comp_targetILNS1_3genE10ELNS1_11target_archE1200ELNS1_3gpuE4ELNS1_3repE0EEENS1_30default_config_static_selectorELNS0_4arch9wavefront6targetE1EEEvT1_
    .private_segment_fixed_size: 0
    .sgpr_count:     4
    .sgpr_spill_count: 0
    .symbol:         _ZN7rocprim17ROCPRIM_400000_NS6detail17trampoline_kernelINS0_14default_configENS1_27scan_by_key_config_selectorIiiEEZZNS1_16scan_by_key_implILNS1_25lookback_scan_determinismE0ELb0ES3_N6thrust23THRUST_200600_302600_NS6detail15normal_iteratorINS9_10device_ptrIiEEEESE_SE_iNS9_4plusIvEENS9_8equal_toIiEEiEE10hipError_tPvRmT2_T3_T4_T5_mT6_T7_P12ihipStream_tbENKUlT_T0_E_clISt17integral_constantIbLb0EESY_IbLb1EEEEDaSU_SV_EUlSU_E_NS1_11comp_targetILNS1_3genE10ELNS1_11target_archE1200ELNS1_3gpuE4ELNS1_3repE0EEENS1_30default_config_static_selectorELNS0_4arch9wavefront6targetE1EEEvT1_.kd
    .uniform_work_group_size: 1
    .uses_dynamic_stack: false
    .vgpr_count:     0
    .vgpr_spill_count: 0
    .wavefront_size: 64
  - .agpr_count:     0
    .args:
      - .offset:         0
        .size:           112
        .value_kind:     by_value
    .group_segment_fixed_size: 0
    .kernarg_segment_align: 8
    .kernarg_segment_size: 112
    .language:       OpenCL C
    .language_version:
      - 2
      - 0
    .max_flat_workgroup_size: 256
    .name:           _ZN7rocprim17ROCPRIM_400000_NS6detail17trampoline_kernelINS0_14default_configENS1_27scan_by_key_config_selectorIiiEEZZNS1_16scan_by_key_implILNS1_25lookback_scan_determinismE0ELb0ES3_N6thrust23THRUST_200600_302600_NS6detail15normal_iteratorINS9_10device_ptrIiEEEESE_SE_iNS9_4plusIvEENS9_8equal_toIiEEiEE10hipError_tPvRmT2_T3_T4_T5_mT6_T7_P12ihipStream_tbENKUlT_T0_E_clISt17integral_constantIbLb0EESY_IbLb1EEEEDaSU_SV_EUlSU_E_NS1_11comp_targetILNS1_3genE9ELNS1_11target_archE1100ELNS1_3gpuE3ELNS1_3repE0EEENS1_30default_config_static_selectorELNS0_4arch9wavefront6targetE1EEEvT1_
    .private_segment_fixed_size: 0
    .sgpr_count:     4
    .sgpr_spill_count: 0
    .symbol:         _ZN7rocprim17ROCPRIM_400000_NS6detail17trampoline_kernelINS0_14default_configENS1_27scan_by_key_config_selectorIiiEEZZNS1_16scan_by_key_implILNS1_25lookback_scan_determinismE0ELb0ES3_N6thrust23THRUST_200600_302600_NS6detail15normal_iteratorINS9_10device_ptrIiEEEESE_SE_iNS9_4plusIvEENS9_8equal_toIiEEiEE10hipError_tPvRmT2_T3_T4_T5_mT6_T7_P12ihipStream_tbENKUlT_T0_E_clISt17integral_constantIbLb0EESY_IbLb1EEEEDaSU_SV_EUlSU_E_NS1_11comp_targetILNS1_3genE9ELNS1_11target_archE1100ELNS1_3gpuE3ELNS1_3repE0EEENS1_30default_config_static_selectorELNS0_4arch9wavefront6targetE1EEEvT1_.kd
    .uniform_work_group_size: 1
    .uses_dynamic_stack: false
    .vgpr_count:     0
    .vgpr_spill_count: 0
    .wavefront_size: 64
  - .agpr_count:     0
    .args:
      - .offset:         0
        .size:           112
        .value_kind:     by_value
    .group_segment_fixed_size: 0
    .kernarg_segment_align: 8
    .kernarg_segment_size: 112
    .language:       OpenCL C
    .language_version:
      - 2
      - 0
    .max_flat_workgroup_size: 256
    .name:           _ZN7rocprim17ROCPRIM_400000_NS6detail17trampoline_kernelINS0_14default_configENS1_27scan_by_key_config_selectorIiiEEZZNS1_16scan_by_key_implILNS1_25lookback_scan_determinismE0ELb0ES3_N6thrust23THRUST_200600_302600_NS6detail15normal_iteratorINS9_10device_ptrIiEEEESE_SE_iNS9_4plusIvEENS9_8equal_toIiEEiEE10hipError_tPvRmT2_T3_T4_T5_mT6_T7_P12ihipStream_tbENKUlT_T0_E_clISt17integral_constantIbLb0EESY_IbLb1EEEEDaSU_SV_EUlSU_E_NS1_11comp_targetILNS1_3genE8ELNS1_11target_archE1030ELNS1_3gpuE2ELNS1_3repE0EEENS1_30default_config_static_selectorELNS0_4arch9wavefront6targetE1EEEvT1_
    .private_segment_fixed_size: 0
    .sgpr_count:     4
    .sgpr_spill_count: 0
    .symbol:         _ZN7rocprim17ROCPRIM_400000_NS6detail17trampoline_kernelINS0_14default_configENS1_27scan_by_key_config_selectorIiiEEZZNS1_16scan_by_key_implILNS1_25lookback_scan_determinismE0ELb0ES3_N6thrust23THRUST_200600_302600_NS6detail15normal_iteratorINS9_10device_ptrIiEEEESE_SE_iNS9_4plusIvEENS9_8equal_toIiEEiEE10hipError_tPvRmT2_T3_T4_T5_mT6_T7_P12ihipStream_tbENKUlT_T0_E_clISt17integral_constantIbLb0EESY_IbLb1EEEEDaSU_SV_EUlSU_E_NS1_11comp_targetILNS1_3genE8ELNS1_11target_archE1030ELNS1_3gpuE2ELNS1_3repE0EEENS1_30default_config_static_selectorELNS0_4arch9wavefront6targetE1EEEvT1_.kd
    .uniform_work_group_size: 1
    .uses_dynamic_stack: false
    .vgpr_count:     0
    .vgpr_spill_count: 0
    .wavefront_size: 64
  - .agpr_count:     0
    .args:
      - .offset:         0
        .size:           16
        .value_kind:     by_value
      - .offset:         16
        .size:           8
        .value_kind:     by_value
      - .offset:         24
        .size:           8
        .value_kind:     by_value
    .group_segment_fixed_size: 0
    .kernarg_segment_align: 8
    .kernarg_segment_size: 32
    .language:       OpenCL C
    .language_version:
      - 2
      - 0
    .max_flat_workgroup_size: 256
    .name:           _ZN6thrust23THRUST_200600_302600_NS11hip_rocprim14__parallel_for6kernelILj256ENS1_20__uninitialized_fill7functorINS0_10device_ptrIsEEsEEmLj1EEEvT0_T1_SA_
    .private_segment_fixed_size: 0
    .sgpr_count:     16
    .sgpr_spill_count: 0
    .symbol:         _ZN6thrust23THRUST_200600_302600_NS11hip_rocprim14__parallel_for6kernelILj256ENS1_20__uninitialized_fill7functorINS0_10device_ptrIsEEsEEmLj1EEEvT0_T1_SA_.kd
    .uniform_work_group_size: 1
    .uses_dynamic_stack: false
    .vgpr_count:     4
    .vgpr_spill_count: 0
    .wavefront_size: 64
  - .agpr_count:     0
    .args:
      - .address_space:  global
        .offset:         0
        .size:           8
        .value_kind:     global_buffer
      - .offset:         8
        .size:           4
        .value_kind:     by_value
      - .offset:         12
        .size:           4
        .value_kind:     by_value
      - .address_space:  global
        .offset:         16
        .size:           8
        .value_kind:     global_buffer
      - .address_space:  global
        .offset:         24
        .size:           8
        .value_kind:     global_buffer
      - .actual_access:  write_only
        .address_space:  global
        .offset:         32
        .size:           8
        .value_kind:     global_buffer
      - .offset:         40
        .size:           8
        .value_kind:     by_value
      - .offset:         48
        .size:           4
        .value_kind:     by_value
      - .offset:         52
        .size:           1
        .value_kind:     by_value
      - .offset:         56
        .size:           4
        .value_kind:     hidden_block_count_x
      - .offset:         60
        .size:           4
        .value_kind:     hidden_block_count_y
      - .offset:         64
        .size:           4
        .value_kind:     hidden_block_count_z
      - .offset:         68
        .size:           2
        .value_kind:     hidden_group_size_x
      - .offset:         70
        .size:           2
        .value_kind:     hidden_group_size_y
      - .offset:         72
        .size:           2
        .value_kind:     hidden_group_size_z
      - .offset:         74
        .size:           2
        .value_kind:     hidden_remainder_x
      - .offset:         76
        .size:           2
        .value_kind:     hidden_remainder_y
      - .offset:         78
        .size:           2
        .value_kind:     hidden_remainder_z
      - .offset:         96
        .size:           8
        .value_kind:     hidden_global_offset_x
      - .offset:         104
        .size:           8
        .value_kind:     hidden_global_offset_y
      - .offset:         112
        .size:           8
        .value_kind:     hidden_global_offset_z
      - .offset:         120
        .size:           2
        .value_kind:     hidden_grid_dims
    .group_segment_fixed_size: 0
    .kernarg_segment_align: 8
    .kernarg_segment_size: 312
    .language:       OpenCL C
    .language_version:
      - 2
      - 0
    .max_flat_workgroup_size: 256
    .name:           _ZN7rocprim17ROCPRIM_400000_NS6detail30init_device_scan_by_key_kernelINS1_19lookback_scan_stateINS0_5tupleIJsbEEELb0ELb1EEEN6thrust23THRUST_200600_302600_NS6detail15normal_iteratorINS8_10device_ptrIsEEEEjNS1_16block_id_wrapperIjLb0EEEEEvT_jjPNSG_10value_typeET0_PNSt15iterator_traitsISJ_E10value_typeEmT1_T2_
    .private_segment_fixed_size: 0
    .sgpr_count:     21
    .sgpr_spill_count: 0
    .symbol:         _ZN7rocprim17ROCPRIM_400000_NS6detail30init_device_scan_by_key_kernelINS1_19lookback_scan_stateINS0_5tupleIJsbEEELb0ELb1EEEN6thrust23THRUST_200600_302600_NS6detail15normal_iteratorINS8_10device_ptrIsEEEEjNS1_16block_id_wrapperIjLb0EEEEEvT_jjPNSG_10value_typeET0_PNSt15iterator_traitsISJ_E10value_typeEmT1_T2_.kd
    .uniform_work_group_size: 1
    .uses_dynamic_stack: false
    .vgpr_count:     10
    .vgpr_spill_count: 0
    .wavefront_size: 64
  - .agpr_count:     0
    .args:
      - .address_space:  global
        .offset:         0
        .size:           8
        .value_kind:     global_buffer
      - .offset:         8
        .size:           4
        .value_kind:     by_value
      - .offset:         12
        .size:           4
        .value_kind:     by_value
      - .address_space:  global
        .offset:         16
        .size:           8
        .value_kind:     global_buffer
      - .offset:         24
        .size:           1
        .value_kind:     by_value
      - .offset:         32
        .size:           4
        .value_kind:     hidden_block_count_x
      - .offset:         36
        .size:           4
        .value_kind:     hidden_block_count_y
      - .offset:         40
        .size:           4
        .value_kind:     hidden_block_count_z
      - .offset:         44
        .size:           2
        .value_kind:     hidden_group_size_x
      - .offset:         46
        .size:           2
        .value_kind:     hidden_group_size_y
      - .offset:         48
        .size:           2
        .value_kind:     hidden_group_size_z
      - .offset:         50
        .size:           2
        .value_kind:     hidden_remainder_x
      - .offset:         52
        .size:           2
        .value_kind:     hidden_remainder_y
      - .offset:         54
        .size:           2
        .value_kind:     hidden_remainder_z
      - .offset:         72
        .size:           8
        .value_kind:     hidden_global_offset_x
      - .offset:         80
        .size:           8
        .value_kind:     hidden_global_offset_y
      - .offset:         88
        .size:           8
        .value_kind:     hidden_global_offset_z
      - .offset:         96
        .size:           2
        .value_kind:     hidden_grid_dims
    .group_segment_fixed_size: 0
    .kernarg_segment_align: 8
    .kernarg_segment_size: 288
    .language:       OpenCL C
    .language_version:
      - 2
      - 0
    .max_flat_workgroup_size: 256
    .name:           _ZN7rocprim17ROCPRIM_400000_NS6detail30init_device_scan_by_key_kernelINS1_19lookback_scan_stateINS0_5tupleIJsbEEELb0ELb1EEENS1_16block_id_wrapperIjLb0EEEEEvT_jjPNS9_10value_typeET0_
    .private_segment_fixed_size: 0
    .sgpr_count:     14
    .sgpr_spill_count: 0
    .symbol:         _ZN7rocprim17ROCPRIM_400000_NS6detail30init_device_scan_by_key_kernelINS1_19lookback_scan_stateINS0_5tupleIJsbEEELb0ELb1EEENS1_16block_id_wrapperIjLb0EEEEEvT_jjPNS9_10value_typeET0_.kd
    .uniform_work_group_size: 1
    .uses_dynamic_stack: false
    .vgpr_count:     6
    .vgpr_spill_count: 0
    .wavefront_size: 64
  - .agpr_count:     0
    .args:
      - .offset:         0
        .size:           112
        .value_kind:     by_value
    .group_segment_fixed_size: 0
    .kernarg_segment_align: 8
    .kernarg_segment_size: 112
    .language:       OpenCL C
    .language_version:
      - 2
      - 0
    .max_flat_workgroup_size: 256
    .name:           _ZN7rocprim17ROCPRIM_400000_NS6detail17trampoline_kernelINS0_14default_configENS1_27scan_by_key_config_selectorIssEEZZNS1_16scan_by_key_implILNS1_25lookback_scan_determinismE0ELb0ES3_N6thrust23THRUST_200600_302600_NS6detail15normal_iteratorINS9_10device_ptrIsEEEESE_SE_sNS9_4plusIvEENS9_8equal_toIvEEsEE10hipError_tPvRmT2_T3_T4_T5_mT6_T7_P12ihipStream_tbENKUlT_T0_E_clISt17integral_constantIbLb0EESZ_EEDaSU_SV_EUlSU_E_NS1_11comp_targetILNS1_3genE0ELNS1_11target_archE4294967295ELNS1_3gpuE0ELNS1_3repE0EEENS1_30default_config_static_selectorELNS0_4arch9wavefront6targetE1EEEvT1_
    .private_segment_fixed_size: 0
    .sgpr_count:     4
    .sgpr_spill_count: 0
    .symbol:         _ZN7rocprim17ROCPRIM_400000_NS6detail17trampoline_kernelINS0_14default_configENS1_27scan_by_key_config_selectorIssEEZZNS1_16scan_by_key_implILNS1_25lookback_scan_determinismE0ELb0ES3_N6thrust23THRUST_200600_302600_NS6detail15normal_iteratorINS9_10device_ptrIsEEEESE_SE_sNS9_4plusIvEENS9_8equal_toIvEEsEE10hipError_tPvRmT2_T3_T4_T5_mT6_T7_P12ihipStream_tbENKUlT_T0_E_clISt17integral_constantIbLb0EESZ_EEDaSU_SV_EUlSU_E_NS1_11comp_targetILNS1_3genE0ELNS1_11target_archE4294967295ELNS1_3gpuE0ELNS1_3repE0EEENS1_30default_config_static_selectorELNS0_4arch9wavefront6targetE1EEEvT1_.kd
    .uniform_work_group_size: 1
    .uses_dynamic_stack: false
    .vgpr_count:     0
    .vgpr_spill_count: 0
    .wavefront_size: 64
  - .agpr_count:     0
    .args:
      - .offset:         0
        .size:           112
        .value_kind:     by_value
    .group_segment_fixed_size: 0
    .kernarg_segment_align: 8
    .kernarg_segment_size: 112
    .language:       OpenCL C
    .language_version:
      - 2
      - 0
    .max_flat_workgroup_size: 128
    .name:           _ZN7rocprim17ROCPRIM_400000_NS6detail17trampoline_kernelINS0_14default_configENS1_27scan_by_key_config_selectorIssEEZZNS1_16scan_by_key_implILNS1_25lookback_scan_determinismE0ELb0ES3_N6thrust23THRUST_200600_302600_NS6detail15normal_iteratorINS9_10device_ptrIsEEEESE_SE_sNS9_4plusIvEENS9_8equal_toIvEEsEE10hipError_tPvRmT2_T3_T4_T5_mT6_T7_P12ihipStream_tbENKUlT_T0_E_clISt17integral_constantIbLb0EESZ_EEDaSU_SV_EUlSU_E_NS1_11comp_targetILNS1_3genE10ELNS1_11target_archE1201ELNS1_3gpuE5ELNS1_3repE0EEENS1_30default_config_static_selectorELNS0_4arch9wavefront6targetE1EEEvT1_
    .private_segment_fixed_size: 0
    .sgpr_count:     4
    .sgpr_spill_count: 0
    .symbol:         _ZN7rocprim17ROCPRIM_400000_NS6detail17trampoline_kernelINS0_14default_configENS1_27scan_by_key_config_selectorIssEEZZNS1_16scan_by_key_implILNS1_25lookback_scan_determinismE0ELb0ES3_N6thrust23THRUST_200600_302600_NS6detail15normal_iteratorINS9_10device_ptrIsEEEESE_SE_sNS9_4plusIvEENS9_8equal_toIvEEsEE10hipError_tPvRmT2_T3_T4_T5_mT6_T7_P12ihipStream_tbENKUlT_T0_E_clISt17integral_constantIbLb0EESZ_EEDaSU_SV_EUlSU_E_NS1_11comp_targetILNS1_3genE10ELNS1_11target_archE1201ELNS1_3gpuE5ELNS1_3repE0EEENS1_30default_config_static_selectorELNS0_4arch9wavefront6targetE1EEEvT1_.kd
    .uniform_work_group_size: 1
    .uses_dynamic_stack: false
    .vgpr_count:     0
    .vgpr_spill_count: 0
    .wavefront_size: 64
  - .agpr_count:     0
    .args:
      - .offset:         0
        .size:           112
        .value_kind:     by_value
    .group_segment_fixed_size: 0
    .kernarg_segment_align: 8
    .kernarg_segment_size: 112
    .language:       OpenCL C
    .language_version:
      - 2
      - 0
    .max_flat_workgroup_size: 256
    .name:           _ZN7rocprim17ROCPRIM_400000_NS6detail17trampoline_kernelINS0_14default_configENS1_27scan_by_key_config_selectorIssEEZZNS1_16scan_by_key_implILNS1_25lookback_scan_determinismE0ELb0ES3_N6thrust23THRUST_200600_302600_NS6detail15normal_iteratorINS9_10device_ptrIsEEEESE_SE_sNS9_4plusIvEENS9_8equal_toIvEEsEE10hipError_tPvRmT2_T3_T4_T5_mT6_T7_P12ihipStream_tbENKUlT_T0_E_clISt17integral_constantIbLb0EESZ_EEDaSU_SV_EUlSU_E_NS1_11comp_targetILNS1_3genE5ELNS1_11target_archE942ELNS1_3gpuE9ELNS1_3repE0EEENS1_30default_config_static_selectorELNS0_4arch9wavefront6targetE1EEEvT1_
    .private_segment_fixed_size: 0
    .sgpr_count:     4
    .sgpr_spill_count: 0
    .symbol:         _ZN7rocprim17ROCPRIM_400000_NS6detail17trampoline_kernelINS0_14default_configENS1_27scan_by_key_config_selectorIssEEZZNS1_16scan_by_key_implILNS1_25lookback_scan_determinismE0ELb0ES3_N6thrust23THRUST_200600_302600_NS6detail15normal_iteratorINS9_10device_ptrIsEEEESE_SE_sNS9_4plusIvEENS9_8equal_toIvEEsEE10hipError_tPvRmT2_T3_T4_T5_mT6_T7_P12ihipStream_tbENKUlT_T0_E_clISt17integral_constantIbLb0EESZ_EEDaSU_SV_EUlSU_E_NS1_11comp_targetILNS1_3genE5ELNS1_11target_archE942ELNS1_3gpuE9ELNS1_3repE0EEENS1_30default_config_static_selectorELNS0_4arch9wavefront6targetE1EEEvT1_.kd
    .uniform_work_group_size: 1
    .uses_dynamic_stack: false
    .vgpr_count:     0
    .vgpr_spill_count: 0
    .wavefront_size: 64
  - .agpr_count:     0
    .args:
      - .offset:         0
        .size:           112
        .value_kind:     by_value
    .group_segment_fixed_size: 12288
    .kernarg_segment_align: 8
    .kernarg_segment_size: 112
    .language:       OpenCL C
    .language_version:
      - 2
      - 0
    .max_flat_workgroup_size: 256
    .name:           _ZN7rocprim17ROCPRIM_400000_NS6detail17trampoline_kernelINS0_14default_configENS1_27scan_by_key_config_selectorIssEEZZNS1_16scan_by_key_implILNS1_25lookback_scan_determinismE0ELb0ES3_N6thrust23THRUST_200600_302600_NS6detail15normal_iteratorINS9_10device_ptrIsEEEESE_SE_sNS9_4plusIvEENS9_8equal_toIvEEsEE10hipError_tPvRmT2_T3_T4_T5_mT6_T7_P12ihipStream_tbENKUlT_T0_E_clISt17integral_constantIbLb0EESZ_EEDaSU_SV_EUlSU_E_NS1_11comp_targetILNS1_3genE4ELNS1_11target_archE910ELNS1_3gpuE8ELNS1_3repE0EEENS1_30default_config_static_selectorELNS0_4arch9wavefront6targetE1EEEvT1_
    .private_segment_fixed_size: 0
    .sgpr_count:     82
    .sgpr_spill_count: 0
    .symbol:         _ZN7rocprim17ROCPRIM_400000_NS6detail17trampoline_kernelINS0_14default_configENS1_27scan_by_key_config_selectorIssEEZZNS1_16scan_by_key_implILNS1_25lookback_scan_determinismE0ELb0ES3_N6thrust23THRUST_200600_302600_NS6detail15normal_iteratorINS9_10device_ptrIsEEEESE_SE_sNS9_4plusIvEENS9_8equal_toIvEEsEE10hipError_tPvRmT2_T3_T4_T5_mT6_T7_P12ihipStream_tbENKUlT_T0_E_clISt17integral_constantIbLb0EESZ_EEDaSU_SV_EUlSU_E_NS1_11comp_targetILNS1_3genE4ELNS1_11target_archE910ELNS1_3gpuE8ELNS1_3repE0EEENS1_30default_config_static_selectorELNS0_4arch9wavefront6targetE1EEEvT1_.kd
    .uniform_work_group_size: 1
    .uses_dynamic_stack: false
    .vgpr_count:     58
    .vgpr_spill_count: 0
    .wavefront_size: 64
  - .agpr_count:     0
    .args:
      - .offset:         0
        .size:           112
        .value_kind:     by_value
    .group_segment_fixed_size: 0
    .kernarg_segment_align: 8
    .kernarg_segment_size: 112
    .language:       OpenCL C
    .language_version:
      - 2
      - 0
    .max_flat_workgroup_size: 256
    .name:           _ZN7rocprim17ROCPRIM_400000_NS6detail17trampoline_kernelINS0_14default_configENS1_27scan_by_key_config_selectorIssEEZZNS1_16scan_by_key_implILNS1_25lookback_scan_determinismE0ELb0ES3_N6thrust23THRUST_200600_302600_NS6detail15normal_iteratorINS9_10device_ptrIsEEEESE_SE_sNS9_4plusIvEENS9_8equal_toIvEEsEE10hipError_tPvRmT2_T3_T4_T5_mT6_T7_P12ihipStream_tbENKUlT_T0_E_clISt17integral_constantIbLb0EESZ_EEDaSU_SV_EUlSU_E_NS1_11comp_targetILNS1_3genE3ELNS1_11target_archE908ELNS1_3gpuE7ELNS1_3repE0EEENS1_30default_config_static_selectorELNS0_4arch9wavefront6targetE1EEEvT1_
    .private_segment_fixed_size: 0
    .sgpr_count:     4
    .sgpr_spill_count: 0
    .symbol:         _ZN7rocprim17ROCPRIM_400000_NS6detail17trampoline_kernelINS0_14default_configENS1_27scan_by_key_config_selectorIssEEZZNS1_16scan_by_key_implILNS1_25lookback_scan_determinismE0ELb0ES3_N6thrust23THRUST_200600_302600_NS6detail15normal_iteratorINS9_10device_ptrIsEEEESE_SE_sNS9_4plusIvEENS9_8equal_toIvEEsEE10hipError_tPvRmT2_T3_T4_T5_mT6_T7_P12ihipStream_tbENKUlT_T0_E_clISt17integral_constantIbLb0EESZ_EEDaSU_SV_EUlSU_E_NS1_11comp_targetILNS1_3genE3ELNS1_11target_archE908ELNS1_3gpuE7ELNS1_3repE0EEENS1_30default_config_static_selectorELNS0_4arch9wavefront6targetE1EEEvT1_.kd
    .uniform_work_group_size: 1
    .uses_dynamic_stack: false
    .vgpr_count:     0
    .vgpr_spill_count: 0
    .wavefront_size: 64
  - .agpr_count:     0
    .args:
      - .offset:         0
        .size:           112
        .value_kind:     by_value
    .group_segment_fixed_size: 0
    .kernarg_segment_align: 8
    .kernarg_segment_size: 112
    .language:       OpenCL C
    .language_version:
      - 2
      - 0
    .max_flat_workgroup_size: 64
    .name:           _ZN7rocprim17ROCPRIM_400000_NS6detail17trampoline_kernelINS0_14default_configENS1_27scan_by_key_config_selectorIssEEZZNS1_16scan_by_key_implILNS1_25lookback_scan_determinismE0ELb0ES3_N6thrust23THRUST_200600_302600_NS6detail15normal_iteratorINS9_10device_ptrIsEEEESE_SE_sNS9_4plusIvEENS9_8equal_toIvEEsEE10hipError_tPvRmT2_T3_T4_T5_mT6_T7_P12ihipStream_tbENKUlT_T0_E_clISt17integral_constantIbLb0EESZ_EEDaSU_SV_EUlSU_E_NS1_11comp_targetILNS1_3genE2ELNS1_11target_archE906ELNS1_3gpuE6ELNS1_3repE0EEENS1_30default_config_static_selectorELNS0_4arch9wavefront6targetE1EEEvT1_
    .private_segment_fixed_size: 0
    .sgpr_count:     4
    .sgpr_spill_count: 0
    .symbol:         _ZN7rocprim17ROCPRIM_400000_NS6detail17trampoline_kernelINS0_14default_configENS1_27scan_by_key_config_selectorIssEEZZNS1_16scan_by_key_implILNS1_25lookback_scan_determinismE0ELb0ES3_N6thrust23THRUST_200600_302600_NS6detail15normal_iteratorINS9_10device_ptrIsEEEESE_SE_sNS9_4plusIvEENS9_8equal_toIvEEsEE10hipError_tPvRmT2_T3_T4_T5_mT6_T7_P12ihipStream_tbENKUlT_T0_E_clISt17integral_constantIbLb0EESZ_EEDaSU_SV_EUlSU_E_NS1_11comp_targetILNS1_3genE2ELNS1_11target_archE906ELNS1_3gpuE6ELNS1_3repE0EEENS1_30default_config_static_selectorELNS0_4arch9wavefront6targetE1EEEvT1_.kd
    .uniform_work_group_size: 1
    .uses_dynamic_stack: false
    .vgpr_count:     0
    .vgpr_spill_count: 0
    .wavefront_size: 64
  - .agpr_count:     0
    .args:
      - .offset:         0
        .size:           112
        .value_kind:     by_value
    .group_segment_fixed_size: 0
    .kernarg_segment_align: 8
    .kernarg_segment_size: 112
    .language:       OpenCL C
    .language_version:
      - 2
      - 0
    .max_flat_workgroup_size: 256
    .name:           _ZN7rocprim17ROCPRIM_400000_NS6detail17trampoline_kernelINS0_14default_configENS1_27scan_by_key_config_selectorIssEEZZNS1_16scan_by_key_implILNS1_25lookback_scan_determinismE0ELb0ES3_N6thrust23THRUST_200600_302600_NS6detail15normal_iteratorINS9_10device_ptrIsEEEESE_SE_sNS9_4plusIvEENS9_8equal_toIvEEsEE10hipError_tPvRmT2_T3_T4_T5_mT6_T7_P12ihipStream_tbENKUlT_T0_E_clISt17integral_constantIbLb0EESZ_EEDaSU_SV_EUlSU_E_NS1_11comp_targetILNS1_3genE10ELNS1_11target_archE1200ELNS1_3gpuE4ELNS1_3repE0EEENS1_30default_config_static_selectorELNS0_4arch9wavefront6targetE1EEEvT1_
    .private_segment_fixed_size: 0
    .sgpr_count:     4
    .sgpr_spill_count: 0
    .symbol:         _ZN7rocprim17ROCPRIM_400000_NS6detail17trampoline_kernelINS0_14default_configENS1_27scan_by_key_config_selectorIssEEZZNS1_16scan_by_key_implILNS1_25lookback_scan_determinismE0ELb0ES3_N6thrust23THRUST_200600_302600_NS6detail15normal_iteratorINS9_10device_ptrIsEEEESE_SE_sNS9_4plusIvEENS9_8equal_toIvEEsEE10hipError_tPvRmT2_T3_T4_T5_mT6_T7_P12ihipStream_tbENKUlT_T0_E_clISt17integral_constantIbLb0EESZ_EEDaSU_SV_EUlSU_E_NS1_11comp_targetILNS1_3genE10ELNS1_11target_archE1200ELNS1_3gpuE4ELNS1_3repE0EEENS1_30default_config_static_selectorELNS0_4arch9wavefront6targetE1EEEvT1_.kd
    .uniform_work_group_size: 1
    .uses_dynamic_stack: false
    .vgpr_count:     0
    .vgpr_spill_count: 0
    .wavefront_size: 64
  - .agpr_count:     0
    .args:
      - .offset:         0
        .size:           112
        .value_kind:     by_value
    .group_segment_fixed_size: 0
    .kernarg_segment_align: 8
    .kernarg_segment_size: 112
    .language:       OpenCL C
    .language_version:
      - 2
      - 0
    .max_flat_workgroup_size: 256
    .name:           _ZN7rocprim17ROCPRIM_400000_NS6detail17trampoline_kernelINS0_14default_configENS1_27scan_by_key_config_selectorIssEEZZNS1_16scan_by_key_implILNS1_25lookback_scan_determinismE0ELb0ES3_N6thrust23THRUST_200600_302600_NS6detail15normal_iteratorINS9_10device_ptrIsEEEESE_SE_sNS9_4plusIvEENS9_8equal_toIvEEsEE10hipError_tPvRmT2_T3_T4_T5_mT6_T7_P12ihipStream_tbENKUlT_T0_E_clISt17integral_constantIbLb0EESZ_EEDaSU_SV_EUlSU_E_NS1_11comp_targetILNS1_3genE9ELNS1_11target_archE1100ELNS1_3gpuE3ELNS1_3repE0EEENS1_30default_config_static_selectorELNS0_4arch9wavefront6targetE1EEEvT1_
    .private_segment_fixed_size: 0
    .sgpr_count:     4
    .sgpr_spill_count: 0
    .symbol:         _ZN7rocprim17ROCPRIM_400000_NS6detail17trampoline_kernelINS0_14default_configENS1_27scan_by_key_config_selectorIssEEZZNS1_16scan_by_key_implILNS1_25lookback_scan_determinismE0ELb0ES3_N6thrust23THRUST_200600_302600_NS6detail15normal_iteratorINS9_10device_ptrIsEEEESE_SE_sNS9_4plusIvEENS9_8equal_toIvEEsEE10hipError_tPvRmT2_T3_T4_T5_mT6_T7_P12ihipStream_tbENKUlT_T0_E_clISt17integral_constantIbLb0EESZ_EEDaSU_SV_EUlSU_E_NS1_11comp_targetILNS1_3genE9ELNS1_11target_archE1100ELNS1_3gpuE3ELNS1_3repE0EEENS1_30default_config_static_selectorELNS0_4arch9wavefront6targetE1EEEvT1_.kd
    .uniform_work_group_size: 1
    .uses_dynamic_stack: false
    .vgpr_count:     0
    .vgpr_spill_count: 0
    .wavefront_size: 64
  - .agpr_count:     0
    .args:
      - .offset:         0
        .size:           112
        .value_kind:     by_value
    .group_segment_fixed_size: 0
    .kernarg_segment_align: 8
    .kernarg_segment_size: 112
    .language:       OpenCL C
    .language_version:
      - 2
      - 0
    .max_flat_workgroup_size: 64
    .name:           _ZN7rocprim17ROCPRIM_400000_NS6detail17trampoline_kernelINS0_14default_configENS1_27scan_by_key_config_selectorIssEEZZNS1_16scan_by_key_implILNS1_25lookback_scan_determinismE0ELb0ES3_N6thrust23THRUST_200600_302600_NS6detail15normal_iteratorINS9_10device_ptrIsEEEESE_SE_sNS9_4plusIvEENS9_8equal_toIvEEsEE10hipError_tPvRmT2_T3_T4_T5_mT6_T7_P12ihipStream_tbENKUlT_T0_E_clISt17integral_constantIbLb0EESZ_EEDaSU_SV_EUlSU_E_NS1_11comp_targetILNS1_3genE8ELNS1_11target_archE1030ELNS1_3gpuE2ELNS1_3repE0EEENS1_30default_config_static_selectorELNS0_4arch9wavefront6targetE1EEEvT1_
    .private_segment_fixed_size: 0
    .sgpr_count:     4
    .sgpr_spill_count: 0
    .symbol:         _ZN7rocprim17ROCPRIM_400000_NS6detail17trampoline_kernelINS0_14default_configENS1_27scan_by_key_config_selectorIssEEZZNS1_16scan_by_key_implILNS1_25lookback_scan_determinismE0ELb0ES3_N6thrust23THRUST_200600_302600_NS6detail15normal_iteratorINS9_10device_ptrIsEEEESE_SE_sNS9_4plusIvEENS9_8equal_toIvEEsEE10hipError_tPvRmT2_T3_T4_T5_mT6_T7_P12ihipStream_tbENKUlT_T0_E_clISt17integral_constantIbLb0EESZ_EEDaSU_SV_EUlSU_E_NS1_11comp_targetILNS1_3genE8ELNS1_11target_archE1030ELNS1_3gpuE2ELNS1_3repE0EEENS1_30default_config_static_selectorELNS0_4arch9wavefront6targetE1EEEvT1_.kd
    .uniform_work_group_size: 1
    .uses_dynamic_stack: false
    .vgpr_count:     0
    .vgpr_spill_count: 0
    .wavefront_size: 64
  - .agpr_count:     0
    .args:
      - .address_space:  global
        .offset:         0
        .size:           8
        .value_kind:     global_buffer
      - .offset:         8
        .size:           4
        .value_kind:     by_value
      - .offset:         12
        .size:           4
        .value_kind:     by_value
      - .address_space:  global
        .offset:         16
        .size:           8
        .value_kind:     global_buffer
      - .address_space:  global
        .offset:         24
        .size:           8
        .value_kind:     global_buffer
      - .actual_access:  write_only
        .address_space:  global
        .offset:         32
        .size:           8
        .value_kind:     global_buffer
      - .offset:         40
        .size:           8
        .value_kind:     by_value
      - .offset:         48
        .size:           4
        .value_kind:     by_value
      - .address_space:  global
        .offset:         56
        .size:           8
        .value_kind:     global_buffer
      - .offset:         64
        .size:           4
        .value_kind:     hidden_block_count_x
      - .offset:         68
        .size:           4
        .value_kind:     hidden_block_count_y
      - .offset:         72
        .size:           4
        .value_kind:     hidden_block_count_z
      - .offset:         76
        .size:           2
        .value_kind:     hidden_group_size_x
      - .offset:         78
        .size:           2
        .value_kind:     hidden_group_size_y
      - .offset:         80
        .size:           2
        .value_kind:     hidden_group_size_z
      - .offset:         82
        .size:           2
        .value_kind:     hidden_remainder_x
      - .offset:         84
        .size:           2
        .value_kind:     hidden_remainder_y
      - .offset:         86
        .size:           2
        .value_kind:     hidden_remainder_z
      - .offset:         104
        .size:           8
        .value_kind:     hidden_global_offset_x
      - .offset:         112
        .size:           8
        .value_kind:     hidden_global_offset_y
      - .offset:         120
        .size:           8
        .value_kind:     hidden_global_offset_z
      - .offset:         128
        .size:           2
        .value_kind:     hidden_grid_dims
    .group_segment_fixed_size: 0
    .kernarg_segment_align: 8
    .kernarg_segment_size: 320
    .language:       OpenCL C
    .language_version:
      - 2
      - 0
    .max_flat_workgroup_size: 256
    .name:           _ZN7rocprim17ROCPRIM_400000_NS6detail30init_device_scan_by_key_kernelINS1_19lookback_scan_stateINS0_5tupleIJsbEEELb1ELb1EEEN6thrust23THRUST_200600_302600_NS6detail15normal_iteratorINS8_10device_ptrIsEEEEjNS1_16block_id_wrapperIjLb1EEEEEvT_jjPNSG_10value_typeET0_PNSt15iterator_traitsISJ_E10value_typeEmT1_T2_
    .private_segment_fixed_size: 0
    .sgpr_count:     24
    .sgpr_spill_count: 0
    .symbol:         _ZN7rocprim17ROCPRIM_400000_NS6detail30init_device_scan_by_key_kernelINS1_19lookback_scan_stateINS0_5tupleIJsbEEELb1ELb1EEEN6thrust23THRUST_200600_302600_NS6detail15normal_iteratorINS8_10device_ptrIsEEEEjNS1_16block_id_wrapperIjLb1EEEEEvT_jjPNSG_10value_typeET0_PNSt15iterator_traitsISJ_E10value_typeEmT1_T2_.kd
    .uniform_work_group_size: 1
    .uses_dynamic_stack: false
    .vgpr_count:     10
    .vgpr_spill_count: 0
    .wavefront_size: 64
  - .agpr_count:     0
    .args:
      - .address_space:  global
        .offset:         0
        .size:           8
        .value_kind:     global_buffer
      - .offset:         8
        .size:           4
        .value_kind:     by_value
      - .offset:         12
        .size:           4
        .value_kind:     by_value
      - .address_space:  global
        .offset:         16
        .size:           8
        .value_kind:     global_buffer
      - .address_space:  global
        .offset:         24
        .size:           8
        .value_kind:     global_buffer
      - .offset:         32
        .size:           4
        .value_kind:     hidden_block_count_x
      - .offset:         36
        .size:           4
        .value_kind:     hidden_block_count_y
      - .offset:         40
        .size:           4
        .value_kind:     hidden_block_count_z
      - .offset:         44
        .size:           2
        .value_kind:     hidden_group_size_x
      - .offset:         46
        .size:           2
        .value_kind:     hidden_group_size_y
      - .offset:         48
        .size:           2
        .value_kind:     hidden_group_size_z
      - .offset:         50
        .size:           2
        .value_kind:     hidden_remainder_x
      - .offset:         52
        .size:           2
        .value_kind:     hidden_remainder_y
      - .offset:         54
        .size:           2
        .value_kind:     hidden_remainder_z
      - .offset:         72
        .size:           8
        .value_kind:     hidden_global_offset_x
      - .offset:         80
        .size:           8
        .value_kind:     hidden_global_offset_y
      - .offset:         88
        .size:           8
        .value_kind:     hidden_global_offset_z
      - .offset:         96
        .size:           2
        .value_kind:     hidden_grid_dims
    .group_segment_fixed_size: 0
    .kernarg_segment_align: 8
    .kernarg_segment_size: 288
    .language:       OpenCL C
    .language_version:
      - 2
      - 0
    .max_flat_workgroup_size: 256
    .name:           _ZN7rocprim17ROCPRIM_400000_NS6detail30init_device_scan_by_key_kernelINS1_19lookback_scan_stateINS0_5tupleIJsbEEELb1ELb1EEENS1_16block_id_wrapperIjLb1EEEEEvT_jjPNS9_10value_typeET0_
    .private_segment_fixed_size: 0
    .sgpr_count:     20
    .sgpr_spill_count: 0
    .symbol:         _ZN7rocprim17ROCPRIM_400000_NS6detail30init_device_scan_by_key_kernelINS1_19lookback_scan_stateINS0_5tupleIJsbEEELb1ELb1EEENS1_16block_id_wrapperIjLb1EEEEEvT_jjPNS9_10value_typeET0_.kd
    .uniform_work_group_size: 1
    .uses_dynamic_stack: false
    .vgpr_count:     6
    .vgpr_spill_count: 0
    .wavefront_size: 64
  - .agpr_count:     0
    .args:
      - .offset:         0
        .size:           112
        .value_kind:     by_value
    .group_segment_fixed_size: 0
    .kernarg_segment_align: 8
    .kernarg_segment_size: 112
    .language:       OpenCL C
    .language_version:
      - 2
      - 0
    .max_flat_workgroup_size: 256
    .name:           _ZN7rocprim17ROCPRIM_400000_NS6detail17trampoline_kernelINS0_14default_configENS1_27scan_by_key_config_selectorIssEEZZNS1_16scan_by_key_implILNS1_25lookback_scan_determinismE0ELb0ES3_N6thrust23THRUST_200600_302600_NS6detail15normal_iteratorINS9_10device_ptrIsEEEESE_SE_sNS9_4plusIvEENS9_8equal_toIvEEsEE10hipError_tPvRmT2_T3_T4_T5_mT6_T7_P12ihipStream_tbENKUlT_T0_E_clISt17integral_constantIbLb1EESZ_EEDaSU_SV_EUlSU_E_NS1_11comp_targetILNS1_3genE0ELNS1_11target_archE4294967295ELNS1_3gpuE0ELNS1_3repE0EEENS1_30default_config_static_selectorELNS0_4arch9wavefront6targetE1EEEvT1_
    .private_segment_fixed_size: 0
    .sgpr_count:     4
    .sgpr_spill_count: 0
    .symbol:         _ZN7rocprim17ROCPRIM_400000_NS6detail17trampoline_kernelINS0_14default_configENS1_27scan_by_key_config_selectorIssEEZZNS1_16scan_by_key_implILNS1_25lookback_scan_determinismE0ELb0ES3_N6thrust23THRUST_200600_302600_NS6detail15normal_iteratorINS9_10device_ptrIsEEEESE_SE_sNS9_4plusIvEENS9_8equal_toIvEEsEE10hipError_tPvRmT2_T3_T4_T5_mT6_T7_P12ihipStream_tbENKUlT_T0_E_clISt17integral_constantIbLb1EESZ_EEDaSU_SV_EUlSU_E_NS1_11comp_targetILNS1_3genE0ELNS1_11target_archE4294967295ELNS1_3gpuE0ELNS1_3repE0EEENS1_30default_config_static_selectorELNS0_4arch9wavefront6targetE1EEEvT1_.kd
    .uniform_work_group_size: 1
    .uses_dynamic_stack: false
    .vgpr_count:     0
    .vgpr_spill_count: 0
    .wavefront_size: 64
  - .agpr_count:     0
    .args:
      - .offset:         0
        .size:           112
        .value_kind:     by_value
    .group_segment_fixed_size: 0
    .kernarg_segment_align: 8
    .kernarg_segment_size: 112
    .language:       OpenCL C
    .language_version:
      - 2
      - 0
    .max_flat_workgroup_size: 128
    .name:           _ZN7rocprim17ROCPRIM_400000_NS6detail17trampoline_kernelINS0_14default_configENS1_27scan_by_key_config_selectorIssEEZZNS1_16scan_by_key_implILNS1_25lookback_scan_determinismE0ELb0ES3_N6thrust23THRUST_200600_302600_NS6detail15normal_iteratorINS9_10device_ptrIsEEEESE_SE_sNS9_4plusIvEENS9_8equal_toIvEEsEE10hipError_tPvRmT2_T3_T4_T5_mT6_T7_P12ihipStream_tbENKUlT_T0_E_clISt17integral_constantIbLb1EESZ_EEDaSU_SV_EUlSU_E_NS1_11comp_targetILNS1_3genE10ELNS1_11target_archE1201ELNS1_3gpuE5ELNS1_3repE0EEENS1_30default_config_static_selectorELNS0_4arch9wavefront6targetE1EEEvT1_
    .private_segment_fixed_size: 0
    .sgpr_count:     4
    .sgpr_spill_count: 0
    .symbol:         _ZN7rocprim17ROCPRIM_400000_NS6detail17trampoline_kernelINS0_14default_configENS1_27scan_by_key_config_selectorIssEEZZNS1_16scan_by_key_implILNS1_25lookback_scan_determinismE0ELb0ES3_N6thrust23THRUST_200600_302600_NS6detail15normal_iteratorINS9_10device_ptrIsEEEESE_SE_sNS9_4plusIvEENS9_8equal_toIvEEsEE10hipError_tPvRmT2_T3_T4_T5_mT6_T7_P12ihipStream_tbENKUlT_T0_E_clISt17integral_constantIbLb1EESZ_EEDaSU_SV_EUlSU_E_NS1_11comp_targetILNS1_3genE10ELNS1_11target_archE1201ELNS1_3gpuE5ELNS1_3repE0EEENS1_30default_config_static_selectorELNS0_4arch9wavefront6targetE1EEEvT1_.kd
    .uniform_work_group_size: 1
    .uses_dynamic_stack: false
    .vgpr_count:     0
    .vgpr_spill_count: 0
    .wavefront_size: 64
  - .agpr_count:     0
    .args:
      - .offset:         0
        .size:           112
        .value_kind:     by_value
    .group_segment_fixed_size: 0
    .kernarg_segment_align: 8
    .kernarg_segment_size: 112
    .language:       OpenCL C
    .language_version:
      - 2
      - 0
    .max_flat_workgroup_size: 256
    .name:           _ZN7rocprim17ROCPRIM_400000_NS6detail17trampoline_kernelINS0_14default_configENS1_27scan_by_key_config_selectorIssEEZZNS1_16scan_by_key_implILNS1_25lookback_scan_determinismE0ELb0ES3_N6thrust23THRUST_200600_302600_NS6detail15normal_iteratorINS9_10device_ptrIsEEEESE_SE_sNS9_4plusIvEENS9_8equal_toIvEEsEE10hipError_tPvRmT2_T3_T4_T5_mT6_T7_P12ihipStream_tbENKUlT_T0_E_clISt17integral_constantIbLb1EESZ_EEDaSU_SV_EUlSU_E_NS1_11comp_targetILNS1_3genE5ELNS1_11target_archE942ELNS1_3gpuE9ELNS1_3repE0EEENS1_30default_config_static_selectorELNS0_4arch9wavefront6targetE1EEEvT1_
    .private_segment_fixed_size: 0
    .sgpr_count:     4
    .sgpr_spill_count: 0
    .symbol:         _ZN7rocprim17ROCPRIM_400000_NS6detail17trampoline_kernelINS0_14default_configENS1_27scan_by_key_config_selectorIssEEZZNS1_16scan_by_key_implILNS1_25lookback_scan_determinismE0ELb0ES3_N6thrust23THRUST_200600_302600_NS6detail15normal_iteratorINS9_10device_ptrIsEEEESE_SE_sNS9_4plusIvEENS9_8equal_toIvEEsEE10hipError_tPvRmT2_T3_T4_T5_mT6_T7_P12ihipStream_tbENKUlT_T0_E_clISt17integral_constantIbLb1EESZ_EEDaSU_SV_EUlSU_E_NS1_11comp_targetILNS1_3genE5ELNS1_11target_archE942ELNS1_3gpuE9ELNS1_3repE0EEENS1_30default_config_static_selectorELNS0_4arch9wavefront6targetE1EEEvT1_.kd
    .uniform_work_group_size: 1
    .uses_dynamic_stack: false
    .vgpr_count:     0
    .vgpr_spill_count: 0
    .wavefront_size: 64
  - .agpr_count:     0
    .args:
      - .offset:         0
        .size:           112
        .value_kind:     by_value
    .group_segment_fixed_size: 12288
    .kernarg_segment_align: 8
    .kernarg_segment_size: 112
    .language:       OpenCL C
    .language_version:
      - 2
      - 0
    .max_flat_workgroup_size: 256
    .name:           _ZN7rocprim17ROCPRIM_400000_NS6detail17trampoline_kernelINS0_14default_configENS1_27scan_by_key_config_selectorIssEEZZNS1_16scan_by_key_implILNS1_25lookback_scan_determinismE0ELb0ES3_N6thrust23THRUST_200600_302600_NS6detail15normal_iteratorINS9_10device_ptrIsEEEESE_SE_sNS9_4plusIvEENS9_8equal_toIvEEsEE10hipError_tPvRmT2_T3_T4_T5_mT6_T7_P12ihipStream_tbENKUlT_T0_E_clISt17integral_constantIbLb1EESZ_EEDaSU_SV_EUlSU_E_NS1_11comp_targetILNS1_3genE4ELNS1_11target_archE910ELNS1_3gpuE8ELNS1_3repE0EEENS1_30default_config_static_selectorELNS0_4arch9wavefront6targetE1EEEvT1_
    .private_segment_fixed_size: 0
    .sgpr_count:     86
    .sgpr_spill_count: 0
    .symbol:         _ZN7rocprim17ROCPRIM_400000_NS6detail17trampoline_kernelINS0_14default_configENS1_27scan_by_key_config_selectorIssEEZZNS1_16scan_by_key_implILNS1_25lookback_scan_determinismE0ELb0ES3_N6thrust23THRUST_200600_302600_NS6detail15normal_iteratorINS9_10device_ptrIsEEEESE_SE_sNS9_4plusIvEENS9_8equal_toIvEEsEE10hipError_tPvRmT2_T3_T4_T5_mT6_T7_P12ihipStream_tbENKUlT_T0_E_clISt17integral_constantIbLb1EESZ_EEDaSU_SV_EUlSU_E_NS1_11comp_targetILNS1_3genE4ELNS1_11target_archE910ELNS1_3gpuE8ELNS1_3repE0EEENS1_30default_config_static_selectorELNS0_4arch9wavefront6targetE1EEEvT1_.kd
    .uniform_work_group_size: 1
    .uses_dynamic_stack: false
    .vgpr_count:     58
    .vgpr_spill_count: 0
    .wavefront_size: 64
  - .agpr_count:     0
    .args:
      - .offset:         0
        .size:           112
        .value_kind:     by_value
    .group_segment_fixed_size: 0
    .kernarg_segment_align: 8
    .kernarg_segment_size: 112
    .language:       OpenCL C
    .language_version:
      - 2
      - 0
    .max_flat_workgroup_size: 256
    .name:           _ZN7rocprim17ROCPRIM_400000_NS6detail17trampoline_kernelINS0_14default_configENS1_27scan_by_key_config_selectorIssEEZZNS1_16scan_by_key_implILNS1_25lookback_scan_determinismE0ELb0ES3_N6thrust23THRUST_200600_302600_NS6detail15normal_iteratorINS9_10device_ptrIsEEEESE_SE_sNS9_4plusIvEENS9_8equal_toIvEEsEE10hipError_tPvRmT2_T3_T4_T5_mT6_T7_P12ihipStream_tbENKUlT_T0_E_clISt17integral_constantIbLb1EESZ_EEDaSU_SV_EUlSU_E_NS1_11comp_targetILNS1_3genE3ELNS1_11target_archE908ELNS1_3gpuE7ELNS1_3repE0EEENS1_30default_config_static_selectorELNS0_4arch9wavefront6targetE1EEEvT1_
    .private_segment_fixed_size: 0
    .sgpr_count:     4
    .sgpr_spill_count: 0
    .symbol:         _ZN7rocprim17ROCPRIM_400000_NS6detail17trampoline_kernelINS0_14default_configENS1_27scan_by_key_config_selectorIssEEZZNS1_16scan_by_key_implILNS1_25lookback_scan_determinismE0ELb0ES3_N6thrust23THRUST_200600_302600_NS6detail15normal_iteratorINS9_10device_ptrIsEEEESE_SE_sNS9_4plusIvEENS9_8equal_toIvEEsEE10hipError_tPvRmT2_T3_T4_T5_mT6_T7_P12ihipStream_tbENKUlT_T0_E_clISt17integral_constantIbLb1EESZ_EEDaSU_SV_EUlSU_E_NS1_11comp_targetILNS1_3genE3ELNS1_11target_archE908ELNS1_3gpuE7ELNS1_3repE0EEENS1_30default_config_static_selectorELNS0_4arch9wavefront6targetE1EEEvT1_.kd
    .uniform_work_group_size: 1
    .uses_dynamic_stack: false
    .vgpr_count:     0
    .vgpr_spill_count: 0
    .wavefront_size: 64
  - .agpr_count:     0
    .args:
      - .offset:         0
        .size:           112
        .value_kind:     by_value
    .group_segment_fixed_size: 0
    .kernarg_segment_align: 8
    .kernarg_segment_size: 112
    .language:       OpenCL C
    .language_version:
      - 2
      - 0
    .max_flat_workgroup_size: 64
    .name:           _ZN7rocprim17ROCPRIM_400000_NS6detail17trampoline_kernelINS0_14default_configENS1_27scan_by_key_config_selectorIssEEZZNS1_16scan_by_key_implILNS1_25lookback_scan_determinismE0ELb0ES3_N6thrust23THRUST_200600_302600_NS6detail15normal_iteratorINS9_10device_ptrIsEEEESE_SE_sNS9_4plusIvEENS9_8equal_toIvEEsEE10hipError_tPvRmT2_T3_T4_T5_mT6_T7_P12ihipStream_tbENKUlT_T0_E_clISt17integral_constantIbLb1EESZ_EEDaSU_SV_EUlSU_E_NS1_11comp_targetILNS1_3genE2ELNS1_11target_archE906ELNS1_3gpuE6ELNS1_3repE0EEENS1_30default_config_static_selectorELNS0_4arch9wavefront6targetE1EEEvT1_
    .private_segment_fixed_size: 0
    .sgpr_count:     4
    .sgpr_spill_count: 0
    .symbol:         _ZN7rocprim17ROCPRIM_400000_NS6detail17trampoline_kernelINS0_14default_configENS1_27scan_by_key_config_selectorIssEEZZNS1_16scan_by_key_implILNS1_25lookback_scan_determinismE0ELb0ES3_N6thrust23THRUST_200600_302600_NS6detail15normal_iteratorINS9_10device_ptrIsEEEESE_SE_sNS9_4plusIvEENS9_8equal_toIvEEsEE10hipError_tPvRmT2_T3_T4_T5_mT6_T7_P12ihipStream_tbENKUlT_T0_E_clISt17integral_constantIbLb1EESZ_EEDaSU_SV_EUlSU_E_NS1_11comp_targetILNS1_3genE2ELNS1_11target_archE906ELNS1_3gpuE6ELNS1_3repE0EEENS1_30default_config_static_selectorELNS0_4arch9wavefront6targetE1EEEvT1_.kd
    .uniform_work_group_size: 1
    .uses_dynamic_stack: false
    .vgpr_count:     0
    .vgpr_spill_count: 0
    .wavefront_size: 64
  - .agpr_count:     0
    .args:
      - .offset:         0
        .size:           112
        .value_kind:     by_value
    .group_segment_fixed_size: 0
    .kernarg_segment_align: 8
    .kernarg_segment_size: 112
    .language:       OpenCL C
    .language_version:
      - 2
      - 0
    .max_flat_workgroup_size: 256
    .name:           _ZN7rocprim17ROCPRIM_400000_NS6detail17trampoline_kernelINS0_14default_configENS1_27scan_by_key_config_selectorIssEEZZNS1_16scan_by_key_implILNS1_25lookback_scan_determinismE0ELb0ES3_N6thrust23THRUST_200600_302600_NS6detail15normal_iteratorINS9_10device_ptrIsEEEESE_SE_sNS9_4plusIvEENS9_8equal_toIvEEsEE10hipError_tPvRmT2_T3_T4_T5_mT6_T7_P12ihipStream_tbENKUlT_T0_E_clISt17integral_constantIbLb1EESZ_EEDaSU_SV_EUlSU_E_NS1_11comp_targetILNS1_3genE10ELNS1_11target_archE1200ELNS1_3gpuE4ELNS1_3repE0EEENS1_30default_config_static_selectorELNS0_4arch9wavefront6targetE1EEEvT1_
    .private_segment_fixed_size: 0
    .sgpr_count:     4
    .sgpr_spill_count: 0
    .symbol:         _ZN7rocprim17ROCPRIM_400000_NS6detail17trampoline_kernelINS0_14default_configENS1_27scan_by_key_config_selectorIssEEZZNS1_16scan_by_key_implILNS1_25lookback_scan_determinismE0ELb0ES3_N6thrust23THRUST_200600_302600_NS6detail15normal_iteratorINS9_10device_ptrIsEEEESE_SE_sNS9_4plusIvEENS9_8equal_toIvEEsEE10hipError_tPvRmT2_T3_T4_T5_mT6_T7_P12ihipStream_tbENKUlT_T0_E_clISt17integral_constantIbLb1EESZ_EEDaSU_SV_EUlSU_E_NS1_11comp_targetILNS1_3genE10ELNS1_11target_archE1200ELNS1_3gpuE4ELNS1_3repE0EEENS1_30default_config_static_selectorELNS0_4arch9wavefront6targetE1EEEvT1_.kd
    .uniform_work_group_size: 1
    .uses_dynamic_stack: false
    .vgpr_count:     0
    .vgpr_spill_count: 0
    .wavefront_size: 64
  - .agpr_count:     0
    .args:
      - .offset:         0
        .size:           112
        .value_kind:     by_value
    .group_segment_fixed_size: 0
    .kernarg_segment_align: 8
    .kernarg_segment_size: 112
    .language:       OpenCL C
    .language_version:
      - 2
      - 0
    .max_flat_workgroup_size: 256
    .name:           _ZN7rocprim17ROCPRIM_400000_NS6detail17trampoline_kernelINS0_14default_configENS1_27scan_by_key_config_selectorIssEEZZNS1_16scan_by_key_implILNS1_25lookback_scan_determinismE0ELb0ES3_N6thrust23THRUST_200600_302600_NS6detail15normal_iteratorINS9_10device_ptrIsEEEESE_SE_sNS9_4plusIvEENS9_8equal_toIvEEsEE10hipError_tPvRmT2_T3_T4_T5_mT6_T7_P12ihipStream_tbENKUlT_T0_E_clISt17integral_constantIbLb1EESZ_EEDaSU_SV_EUlSU_E_NS1_11comp_targetILNS1_3genE9ELNS1_11target_archE1100ELNS1_3gpuE3ELNS1_3repE0EEENS1_30default_config_static_selectorELNS0_4arch9wavefront6targetE1EEEvT1_
    .private_segment_fixed_size: 0
    .sgpr_count:     4
    .sgpr_spill_count: 0
    .symbol:         _ZN7rocprim17ROCPRIM_400000_NS6detail17trampoline_kernelINS0_14default_configENS1_27scan_by_key_config_selectorIssEEZZNS1_16scan_by_key_implILNS1_25lookback_scan_determinismE0ELb0ES3_N6thrust23THRUST_200600_302600_NS6detail15normal_iteratorINS9_10device_ptrIsEEEESE_SE_sNS9_4plusIvEENS9_8equal_toIvEEsEE10hipError_tPvRmT2_T3_T4_T5_mT6_T7_P12ihipStream_tbENKUlT_T0_E_clISt17integral_constantIbLb1EESZ_EEDaSU_SV_EUlSU_E_NS1_11comp_targetILNS1_3genE9ELNS1_11target_archE1100ELNS1_3gpuE3ELNS1_3repE0EEENS1_30default_config_static_selectorELNS0_4arch9wavefront6targetE1EEEvT1_.kd
    .uniform_work_group_size: 1
    .uses_dynamic_stack: false
    .vgpr_count:     0
    .vgpr_spill_count: 0
    .wavefront_size: 64
  - .agpr_count:     0
    .args:
      - .offset:         0
        .size:           112
        .value_kind:     by_value
    .group_segment_fixed_size: 0
    .kernarg_segment_align: 8
    .kernarg_segment_size: 112
    .language:       OpenCL C
    .language_version:
      - 2
      - 0
    .max_flat_workgroup_size: 64
    .name:           _ZN7rocprim17ROCPRIM_400000_NS6detail17trampoline_kernelINS0_14default_configENS1_27scan_by_key_config_selectorIssEEZZNS1_16scan_by_key_implILNS1_25lookback_scan_determinismE0ELb0ES3_N6thrust23THRUST_200600_302600_NS6detail15normal_iteratorINS9_10device_ptrIsEEEESE_SE_sNS9_4plusIvEENS9_8equal_toIvEEsEE10hipError_tPvRmT2_T3_T4_T5_mT6_T7_P12ihipStream_tbENKUlT_T0_E_clISt17integral_constantIbLb1EESZ_EEDaSU_SV_EUlSU_E_NS1_11comp_targetILNS1_3genE8ELNS1_11target_archE1030ELNS1_3gpuE2ELNS1_3repE0EEENS1_30default_config_static_selectorELNS0_4arch9wavefront6targetE1EEEvT1_
    .private_segment_fixed_size: 0
    .sgpr_count:     4
    .sgpr_spill_count: 0
    .symbol:         _ZN7rocprim17ROCPRIM_400000_NS6detail17trampoline_kernelINS0_14default_configENS1_27scan_by_key_config_selectorIssEEZZNS1_16scan_by_key_implILNS1_25lookback_scan_determinismE0ELb0ES3_N6thrust23THRUST_200600_302600_NS6detail15normal_iteratorINS9_10device_ptrIsEEEESE_SE_sNS9_4plusIvEENS9_8equal_toIvEEsEE10hipError_tPvRmT2_T3_T4_T5_mT6_T7_P12ihipStream_tbENKUlT_T0_E_clISt17integral_constantIbLb1EESZ_EEDaSU_SV_EUlSU_E_NS1_11comp_targetILNS1_3genE8ELNS1_11target_archE1030ELNS1_3gpuE2ELNS1_3repE0EEENS1_30default_config_static_selectorELNS0_4arch9wavefront6targetE1EEEvT1_.kd
    .uniform_work_group_size: 1
    .uses_dynamic_stack: false
    .vgpr_count:     0
    .vgpr_spill_count: 0
    .wavefront_size: 64
  - .agpr_count:     0
    .args:
      - .address_space:  global
        .offset:         0
        .size:           8
        .value_kind:     global_buffer
      - .offset:         8
        .size:           4
        .value_kind:     by_value
      - .offset:         12
        .size:           4
        .value_kind:     by_value
      - .address_space:  global
        .offset:         16
        .size:           8
        .value_kind:     global_buffer
      - .address_space:  global
        .offset:         24
        .size:           8
        .value_kind:     global_buffer
      - .actual_access:  write_only
        .address_space:  global
        .offset:         32
        .size:           8
        .value_kind:     global_buffer
      - .offset:         40
        .size:           8
        .value_kind:     by_value
      - .offset:         48
        .size:           4
        .value_kind:     by_value
      - .offset:         52
        .size:           1
        .value_kind:     by_value
      - .offset:         56
        .size:           4
        .value_kind:     hidden_block_count_x
      - .offset:         60
        .size:           4
        .value_kind:     hidden_block_count_y
      - .offset:         64
        .size:           4
        .value_kind:     hidden_block_count_z
      - .offset:         68
        .size:           2
        .value_kind:     hidden_group_size_x
      - .offset:         70
        .size:           2
        .value_kind:     hidden_group_size_y
      - .offset:         72
        .size:           2
        .value_kind:     hidden_group_size_z
      - .offset:         74
        .size:           2
        .value_kind:     hidden_remainder_x
      - .offset:         76
        .size:           2
        .value_kind:     hidden_remainder_y
      - .offset:         78
        .size:           2
        .value_kind:     hidden_remainder_z
      - .offset:         96
        .size:           8
        .value_kind:     hidden_global_offset_x
      - .offset:         104
        .size:           8
        .value_kind:     hidden_global_offset_y
      - .offset:         112
        .size:           8
        .value_kind:     hidden_global_offset_z
      - .offset:         120
        .size:           2
        .value_kind:     hidden_grid_dims
    .group_segment_fixed_size: 0
    .kernarg_segment_align: 8
    .kernarg_segment_size: 312
    .language:       OpenCL C
    .language_version:
      - 2
      - 0
    .max_flat_workgroup_size: 256
    .name:           _ZN7rocprim17ROCPRIM_400000_NS6detail30init_device_scan_by_key_kernelINS1_19lookback_scan_stateINS0_5tupleIJsbEEELb1ELb1EEEN6thrust23THRUST_200600_302600_NS6detail15normal_iteratorINS8_10device_ptrIsEEEEjNS1_16block_id_wrapperIjLb0EEEEEvT_jjPNSG_10value_typeET0_PNSt15iterator_traitsISJ_E10value_typeEmT1_T2_
    .private_segment_fixed_size: 0
    .sgpr_count:     24
    .sgpr_spill_count: 0
    .symbol:         _ZN7rocprim17ROCPRIM_400000_NS6detail30init_device_scan_by_key_kernelINS1_19lookback_scan_stateINS0_5tupleIJsbEEELb1ELb1EEEN6thrust23THRUST_200600_302600_NS6detail15normal_iteratorINS8_10device_ptrIsEEEEjNS1_16block_id_wrapperIjLb0EEEEEvT_jjPNSG_10value_typeET0_PNSt15iterator_traitsISJ_E10value_typeEmT1_T2_.kd
    .uniform_work_group_size: 1
    .uses_dynamic_stack: false
    .vgpr_count:     10
    .vgpr_spill_count: 0
    .wavefront_size: 64
  - .agpr_count:     0
    .args:
      - .address_space:  global
        .offset:         0
        .size:           8
        .value_kind:     global_buffer
      - .offset:         8
        .size:           4
        .value_kind:     by_value
      - .offset:         12
        .size:           4
        .value_kind:     by_value
      - .address_space:  global
        .offset:         16
        .size:           8
        .value_kind:     global_buffer
      - .offset:         24
        .size:           1
        .value_kind:     by_value
      - .offset:         32
        .size:           4
        .value_kind:     hidden_block_count_x
      - .offset:         36
        .size:           4
        .value_kind:     hidden_block_count_y
      - .offset:         40
        .size:           4
        .value_kind:     hidden_block_count_z
      - .offset:         44
        .size:           2
        .value_kind:     hidden_group_size_x
      - .offset:         46
        .size:           2
        .value_kind:     hidden_group_size_y
      - .offset:         48
        .size:           2
        .value_kind:     hidden_group_size_z
      - .offset:         50
        .size:           2
        .value_kind:     hidden_remainder_x
      - .offset:         52
        .size:           2
        .value_kind:     hidden_remainder_y
      - .offset:         54
        .size:           2
        .value_kind:     hidden_remainder_z
      - .offset:         72
        .size:           8
        .value_kind:     hidden_global_offset_x
      - .offset:         80
        .size:           8
        .value_kind:     hidden_global_offset_y
      - .offset:         88
        .size:           8
        .value_kind:     hidden_global_offset_z
      - .offset:         96
        .size:           2
        .value_kind:     hidden_grid_dims
    .group_segment_fixed_size: 0
    .kernarg_segment_align: 8
    .kernarg_segment_size: 288
    .language:       OpenCL C
    .language_version:
      - 2
      - 0
    .max_flat_workgroup_size: 256
    .name:           _ZN7rocprim17ROCPRIM_400000_NS6detail30init_device_scan_by_key_kernelINS1_19lookback_scan_stateINS0_5tupleIJsbEEELb1ELb1EEENS1_16block_id_wrapperIjLb0EEEEEvT_jjPNS9_10value_typeET0_
    .private_segment_fixed_size: 0
    .sgpr_count:     16
    .sgpr_spill_count: 0
    .symbol:         _ZN7rocprim17ROCPRIM_400000_NS6detail30init_device_scan_by_key_kernelINS1_19lookback_scan_stateINS0_5tupleIJsbEEELb1ELb1EEENS1_16block_id_wrapperIjLb0EEEEEvT_jjPNS9_10value_typeET0_.kd
    .uniform_work_group_size: 1
    .uses_dynamic_stack: false
    .vgpr_count:     6
    .vgpr_spill_count: 0
    .wavefront_size: 64
  - .agpr_count:     0
    .args:
      - .offset:         0
        .size:           112
        .value_kind:     by_value
    .group_segment_fixed_size: 0
    .kernarg_segment_align: 8
    .kernarg_segment_size: 112
    .language:       OpenCL C
    .language_version:
      - 2
      - 0
    .max_flat_workgroup_size: 256
    .name:           _ZN7rocprim17ROCPRIM_400000_NS6detail17trampoline_kernelINS0_14default_configENS1_27scan_by_key_config_selectorIssEEZZNS1_16scan_by_key_implILNS1_25lookback_scan_determinismE0ELb0ES3_N6thrust23THRUST_200600_302600_NS6detail15normal_iteratorINS9_10device_ptrIsEEEESE_SE_sNS9_4plusIvEENS9_8equal_toIvEEsEE10hipError_tPvRmT2_T3_T4_T5_mT6_T7_P12ihipStream_tbENKUlT_T0_E_clISt17integral_constantIbLb1EESY_IbLb0EEEEDaSU_SV_EUlSU_E_NS1_11comp_targetILNS1_3genE0ELNS1_11target_archE4294967295ELNS1_3gpuE0ELNS1_3repE0EEENS1_30default_config_static_selectorELNS0_4arch9wavefront6targetE1EEEvT1_
    .private_segment_fixed_size: 0
    .sgpr_count:     4
    .sgpr_spill_count: 0
    .symbol:         _ZN7rocprim17ROCPRIM_400000_NS6detail17trampoline_kernelINS0_14default_configENS1_27scan_by_key_config_selectorIssEEZZNS1_16scan_by_key_implILNS1_25lookback_scan_determinismE0ELb0ES3_N6thrust23THRUST_200600_302600_NS6detail15normal_iteratorINS9_10device_ptrIsEEEESE_SE_sNS9_4plusIvEENS9_8equal_toIvEEsEE10hipError_tPvRmT2_T3_T4_T5_mT6_T7_P12ihipStream_tbENKUlT_T0_E_clISt17integral_constantIbLb1EESY_IbLb0EEEEDaSU_SV_EUlSU_E_NS1_11comp_targetILNS1_3genE0ELNS1_11target_archE4294967295ELNS1_3gpuE0ELNS1_3repE0EEENS1_30default_config_static_selectorELNS0_4arch9wavefront6targetE1EEEvT1_.kd
    .uniform_work_group_size: 1
    .uses_dynamic_stack: false
    .vgpr_count:     0
    .vgpr_spill_count: 0
    .wavefront_size: 64
  - .agpr_count:     0
    .args:
      - .offset:         0
        .size:           112
        .value_kind:     by_value
    .group_segment_fixed_size: 0
    .kernarg_segment_align: 8
    .kernarg_segment_size: 112
    .language:       OpenCL C
    .language_version:
      - 2
      - 0
    .max_flat_workgroup_size: 128
    .name:           _ZN7rocprim17ROCPRIM_400000_NS6detail17trampoline_kernelINS0_14default_configENS1_27scan_by_key_config_selectorIssEEZZNS1_16scan_by_key_implILNS1_25lookback_scan_determinismE0ELb0ES3_N6thrust23THRUST_200600_302600_NS6detail15normal_iteratorINS9_10device_ptrIsEEEESE_SE_sNS9_4plusIvEENS9_8equal_toIvEEsEE10hipError_tPvRmT2_T3_T4_T5_mT6_T7_P12ihipStream_tbENKUlT_T0_E_clISt17integral_constantIbLb1EESY_IbLb0EEEEDaSU_SV_EUlSU_E_NS1_11comp_targetILNS1_3genE10ELNS1_11target_archE1201ELNS1_3gpuE5ELNS1_3repE0EEENS1_30default_config_static_selectorELNS0_4arch9wavefront6targetE1EEEvT1_
    .private_segment_fixed_size: 0
    .sgpr_count:     4
    .sgpr_spill_count: 0
    .symbol:         _ZN7rocprim17ROCPRIM_400000_NS6detail17trampoline_kernelINS0_14default_configENS1_27scan_by_key_config_selectorIssEEZZNS1_16scan_by_key_implILNS1_25lookback_scan_determinismE0ELb0ES3_N6thrust23THRUST_200600_302600_NS6detail15normal_iteratorINS9_10device_ptrIsEEEESE_SE_sNS9_4plusIvEENS9_8equal_toIvEEsEE10hipError_tPvRmT2_T3_T4_T5_mT6_T7_P12ihipStream_tbENKUlT_T0_E_clISt17integral_constantIbLb1EESY_IbLb0EEEEDaSU_SV_EUlSU_E_NS1_11comp_targetILNS1_3genE10ELNS1_11target_archE1201ELNS1_3gpuE5ELNS1_3repE0EEENS1_30default_config_static_selectorELNS0_4arch9wavefront6targetE1EEEvT1_.kd
    .uniform_work_group_size: 1
    .uses_dynamic_stack: false
    .vgpr_count:     0
    .vgpr_spill_count: 0
    .wavefront_size: 64
  - .agpr_count:     0
    .args:
      - .offset:         0
        .size:           112
        .value_kind:     by_value
    .group_segment_fixed_size: 0
    .kernarg_segment_align: 8
    .kernarg_segment_size: 112
    .language:       OpenCL C
    .language_version:
      - 2
      - 0
    .max_flat_workgroup_size: 256
    .name:           _ZN7rocprim17ROCPRIM_400000_NS6detail17trampoline_kernelINS0_14default_configENS1_27scan_by_key_config_selectorIssEEZZNS1_16scan_by_key_implILNS1_25lookback_scan_determinismE0ELb0ES3_N6thrust23THRUST_200600_302600_NS6detail15normal_iteratorINS9_10device_ptrIsEEEESE_SE_sNS9_4plusIvEENS9_8equal_toIvEEsEE10hipError_tPvRmT2_T3_T4_T5_mT6_T7_P12ihipStream_tbENKUlT_T0_E_clISt17integral_constantIbLb1EESY_IbLb0EEEEDaSU_SV_EUlSU_E_NS1_11comp_targetILNS1_3genE5ELNS1_11target_archE942ELNS1_3gpuE9ELNS1_3repE0EEENS1_30default_config_static_selectorELNS0_4arch9wavefront6targetE1EEEvT1_
    .private_segment_fixed_size: 0
    .sgpr_count:     4
    .sgpr_spill_count: 0
    .symbol:         _ZN7rocprim17ROCPRIM_400000_NS6detail17trampoline_kernelINS0_14default_configENS1_27scan_by_key_config_selectorIssEEZZNS1_16scan_by_key_implILNS1_25lookback_scan_determinismE0ELb0ES3_N6thrust23THRUST_200600_302600_NS6detail15normal_iteratorINS9_10device_ptrIsEEEESE_SE_sNS9_4plusIvEENS9_8equal_toIvEEsEE10hipError_tPvRmT2_T3_T4_T5_mT6_T7_P12ihipStream_tbENKUlT_T0_E_clISt17integral_constantIbLb1EESY_IbLb0EEEEDaSU_SV_EUlSU_E_NS1_11comp_targetILNS1_3genE5ELNS1_11target_archE942ELNS1_3gpuE9ELNS1_3repE0EEENS1_30default_config_static_selectorELNS0_4arch9wavefront6targetE1EEEvT1_.kd
    .uniform_work_group_size: 1
    .uses_dynamic_stack: false
    .vgpr_count:     0
    .vgpr_spill_count: 0
    .wavefront_size: 64
  - .agpr_count:     0
    .args:
      - .offset:         0
        .size:           112
        .value_kind:     by_value
    .group_segment_fixed_size: 12288
    .kernarg_segment_align: 8
    .kernarg_segment_size: 112
    .language:       OpenCL C
    .language_version:
      - 2
      - 0
    .max_flat_workgroup_size: 256
    .name:           _ZN7rocprim17ROCPRIM_400000_NS6detail17trampoline_kernelINS0_14default_configENS1_27scan_by_key_config_selectorIssEEZZNS1_16scan_by_key_implILNS1_25lookback_scan_determinismE0ELb0ES3_N6thrust23THRUST_200600_302600_NS6detail15normal_iteratorINS9_10device_ptrIsEEEESE_SE_sNS9_4plusIvEENS9_8equal_toIvEEsEE10hipError_tPvRmT2_T3_T4_T5_mT6_T7_P12ihipStream_tbENKUlT_T0_E_clISt17integral_constantIbLb1EESY_IbLb0EEEEDaSU_SV_EUlSU_E_NS1_11comp_targetILNS1_3genE4ELNS1_11target_archE910ELNS1_3gpuE8ELNS1_3repE0EEENS1_30default_config_static_selectorELNS0_4arch9wavefront6targetE1EEEvT1_
    .private_segment_fixed_size: 0
    .sgpr_count:     82
    .sgpr_spill_count: 0
    .symbol:         _ZN7rocprim17ROCPRIM_400000_NS6detail17trampoline_kernelINS0_14default_configENS1_27scan_by_key_config_selectorIssEEZZNS1_16scan_by_key_implILNS1_25lookback_scan_determinismE0ELb0ES3_N6thrust23THRUST_200600_302600_NS6detail15normal_iteratorINS9_10device_ptrIsEEEESE_SE_sNS9_4plusIvEENS9_8equal_toIvEEsEE10hipError_tPvRmT2_T3_T4_T5_mT6_T7_P12ihipStream_tbENKUlT_T0_E_clISt17integral_constantIbLb1EESY_IbLb0EEEEDaSU_SV_EUlSU_E_NS1_11comp_targetILNS1_3genE4ELNS1_11target_archE910ELNS1_3gpuE8ELNS1_3repE0EEENS1_30default_config_static_selectorELNS0_4arch9wavefront6targetE1EEEvT1_.kd
    .uniform_work_group_size: 1
    .uses_dynamic_stack: false
    .vgpr_count:     58
    .vgpr_spill_count: 0
    .wavefront_size: 64
  - .agpr_count:     0
    .args:
      - .offset:         0
        .size:           112
        .value_kind:     by_value
    .group_segment_fixed_size: 0
    .kernarg_segment_align: 8
    .kernarg_segment_size: 112
    .language:       OpenCL C
    .language_version:
      - 2
      - 0
    .max_flat_workgroup_size: 256
    .name:           _ZN7rocprim17ROCPRIM_400000_NS6detail17trampoline_kernelINS0_14default_configENS1_27scan_by_key_config_selectorIssEEZZNS1_16scan_by_key_implILNS1_25lookback_scan_determinismE0ELb0ES3_N6thrust23THRUST_200600_302600_NS6detail15normal_iteratorINS9_10device_ptrIsEEEESE_SE_sNS9_4plusIvEENS9_8equal_toIvEEsEE10hipError_tPvRmT2_T3_T4_T5_mT6_T7_P12ihipStream_tbENKUlT_T0_E_clISt17integral_constantIbLb1EESY_IbLb0EEEEDaSU_SV_EUlSU_E_NS1_11comp_targetILNS1_3genE3ELNS1_11target_archE908ELNS1_3gpuE7ELNS1_3repE0EEENS1_30default_config_static_selectorELNS0_4arch9wavefront6targetE1EEEvT1_
    .private_segment_fixed_size: 0
    .sgpr_count:     4
    .sgpr_spill_count: 0
    .symbol:         _ZN7rocprim17ROCPRIM_400000_NS6detail17trampoline_kernelINS0_14default_configENS1_27scan_by_key_config_selectorIssEEZZNS1_16scan_by_key_implILNS1_25lookback_scan_determinismE0ELb0ES3_N6thrust23THRUST_200600_302600_NS6detail15normal_iteratorINS9_10device_ptrIsEEEESE_SE_sNS9_4plusIvEENS9_8equal_toIvEEsEE10hipError_tPvRmT2_T3_T4_T5_mT6_T7_P12ihipStream_tbENKUlT_T0_E_clISt17integral_constantIbLb1EESY_IbLb0EEEEDaSU_SV_EUlSU_E_NS1_11comp_targetILNS1_3genE3ELNS1_11target_archE908ELNS1_3gpuE7ELNS1_3repE0EEENS1_30default_config_static_selectorELNS0_4arch9wavefront6targetE1EEEvT1_.kd
    .uniform_work_group_size: 1
    .uses_dynamic_stack: false
    .vgpr_count:     0
    .vgpr_spill_count: 0
    .wavefront_size: 64
  - .agpr_count:     0
    .args:
      - .offset:         0
        .size:           112
        .value_kind:     by_value
    .group_segment_fixed_size: 0
    .kernarg_segment_align: 8
    .kernarg_segment_size: 112
    .language:       OpenCL C
    .language_version:
      - 2
      - 0
    .max_flat_workgroup_size: 64
    .name:           _ZN7rocprim17ROCPRIM_400000_NS6detail17trampoline_kernelINS0_14default_configENS1_27scan_by_key_config_selectorIssEEZZNS1_16scan_by_key_implILNS1_25lookback_scan_determinismE0ELb0ES3_N6thrust23THRUST_200600_302600_NS6detail15normal_iteratorINS9_10device_ptrIsEEEESE_SE_sNS9_4plusIvEENS9_8equal_toIvEEsEE10hipError_tPvRmT2_T3_T4_T5_mT6_T7_P12ihipStream_tbENKUlT_T0_E_clISt17integral_constantIbLb1EESY_IbLb0EEEEDaSU_SV_EUlSU_E_NS1_11comp_targetILNS1_3genE2ELNS1_11target_archE906ELNS1_3gpuE6ELNS1_3repE0EEENS1_30default_config_static_selectorELNS0_4arch9wavefront6targetE1EEEvT1_
    .private_segment_fixed_size: 0
    .sgpr_count:     4
    .sgpr_spill_count: 0
    .symbol:         _ZN7rocprim17ROCPRIM_400000_NS6detail17trampoline_kernelINS0_14default_configENS1_27scan_by_key_config_selectorIssEEZZNS1_16scan_by_key_implILNS1_25lookback_scan_determinismE0ELb0ES3_N6thrust23THRUST_200600_302600_NS6detail15normal_iteratorINS9_10device_ptrIsEEEESE_SE_sNS9_4plusIvEENS9_8equal_toIvEEsEE10hipError_tPvRmT2_T3_T4_T5_mT6_T7_P12ihipStream_tbENKUlT_T0_E_clISt17integral_constantIbLb1EESY_IbLb0EEEEDaSU_SV_EUlSU_E_NS1_11comp_targetILNS1_3genE2ELNS1_11target_archE906ELNS1_3gpuE6ELNS1_3repE0EEENS1_30default_config_static_selectorELNS0_4arch9wavefront6targetE1EEEvT1_.kd
    .uniform_work_group_size: 1
    .uses_dynamic_stack: false
    .vgpr_count:     0
    .vgpr_spill_count: 0
    .wavefront_size: 64
  - .agpr_count:     0
    .args:
      - .offset:         0
        .size:           112
        .value_kind:     by_value
    .group_segment_fixed_size: 0
    .kernarg_segment_align: 8
    .kernarg_segment_size: 112
    .language:       OpenCL C
    .language_version:
      - 2
      - 0
    .max_flat_workgroup_size: 256
    .name:           _ZN7rocprim17ROCPRIM_400000_NS6detail17trampoline_kernelINS0_14default_configENS1_27scan_by_key_config_selectorIssEEZZNS1_16scan_by_key_implILNS1_25lookback_scan_determinismE0ELb0ES3_N6thrust23THRUST_200600_302600_NS6detail15normal_iteratorINS9_10device_ptrIsEEEESE_SE_sNS9_4plusIvEENS9_8equal_toIvEEsEE10hipError_tPvRmT2_T3_T4_T5_mT6_T7_P12ihipStream_tbENKUlT_T0_E_clISt17integral_constantIbLb1EESY_IbLb0EEEEDaSU_SV_EUlSU_E_NS1_11comp_targetILNS1_3genE10ELNS1_11target_archE1200ELNS1_3gpuE4ELNS1_3repE0EEENS1_30default_config_static_selectorELNS0_4arch9wavefront6targetE1EEEvT1_
    .private_segment_fixed_size: 0
    .sgpr_count:     4
    .sgpr_spill_count: 0
    .symbol:         _ZN7rocprim17ROCPRIM_400000_NS6detail17trampoline_kernelINS0_14default_configENS1_27scan_by_key_config_selectorIssEEZZNS1_16scan_by_key_implILNS1_25lookback_scan_determinismE0ELb0ES3_N6thrust23THRUST_200600_302600_NS6detail15normal_iteratorINS9_10device_ptrIsEEEESE_SE_sNS9_4plusIvEENS9_8equal_toIvEEsEE10hipError_tPvRmT2_T3_T4_T5_mT6_T7_P12ihipStream_tbENKUlT_T0_E_clISt17integral_constantIbLb1EESY_IbLb0EEEEDaSU_SV_EUlSU_E_NS1_11comp_targetILNS1_3genE10ELNS1_11target_archE1200ELNS1_3gpuE4ELNS1_3repE0EEENS1_30default_config_static_selectorELNS0_4arch9wavefront6targetE1EEEvT1_.kd
    .uniform_work_group_size: 1
    .uses_dynamic_stack: false
    .vgpr_count:     0
    .vgpr_spill_count: 0
    .wavefront_size: 64
  - .agpr_count:     0
    .args:
      - .offset:         0
        .size:           112
        .value_kind:     by_value
    .group_segment_fixed_size: 0
    .kernarg_segment_align: 8
    .kernarg_segment_size: 112
    .language:       OpenCL C
    .language_version:
      - 2
      - 0
    .max_flat_workgroup_size: 256
    .name:           _ZN7rocprim17ROCPRIM_400000_NS6detail17trampoline_kernelINS0_14default_configENS1_27scan_by_key_config_selectorIssEEZZNS1_16scan_by_key_implILNS1_25lookback_scan_determinismE0ELb0ES3_N6thrust23THRUST_200600_302600_NS6detail15normal_iteratorINS9_10device_ptrIsEEEESE_SE_sNS9_4plusIvEENS9_8equal_toIvEEsEE10hipError_tPvRmT2_T3_T4_T5_mT6_T7_P12ihipStream_tbENKUlT_T0_E_clISt17integral_constantIbLb1EESY_IbLb0EEEEDaSU_SV_EUlSU_E_NS1_11comp_targetILNS1_3genE9ELNS1_11target_archE1100ELNS1_3gpuE3ELNS1_3repE0EEENS1_30default_config_static_selectorELNS0_4arch9wavefront6targetE1EEEvT1_
    .private_segment_fixed_size: 0
    .sgpr_count:     4
    .sgpr_spill_count: 0
    .symbol:         _ZN7rocprim17ROCPRIM_400000_NS6detail17trampoline_kernelINS0_14default_configENS1_27scan_by_key_config_selectorIssEEZZNS1_16scan_by_key_implILNS1_25lookback_scan_determinismE0ELb0ES3_N6thrust23THRUST_200600_302600_NS6detail15normal_iteratorINS9_10device_ptrIsEEEESE_SE_sNS9_4plusIvEENS9_8equal_toIvEEsEE10hipError_tPvRmT2_T3_T4_T5_mT6_T7_P12ihipStream_tbENKUlT_T0_E_clISt17integral_constantIbLb1EESY_IbLb0EEEEDaSU_SV_EUlSU_E_NS1_11comp_targetILNS1_3genE9ELNS1_11target_archE1100ELNS1_3gpuE3ELNS1_3repE0EEENS1_30default_config_static_selectorELNS0_4arch9wavefront6targetE1EEEvT1_.kd
    .uniform_work_group_size: 1
    .uses_dynamic_stack: false
    .vgpr_count:     0
    .vgpr_spill_count: 0
    .wavefront_size: 64
  - .agpr_count:     0
    .args:
      - .offset:         0
        .size:           112
        .value_kind:     by_value
    .group_segment_fixed_size: 0
    .kernarg_segment_align: 8
    .kernarg_segment_size: 112
    .language:       OpenCL C
    .language_version:
      - 2
      - 0
    .max_flat_workgroup_size: 64
    .name:           _ZN7rocprim17ROCPRIM_400000_NS6detail17trampoline_kernelINS0_14default_configENS1_27scan_by_key_config_selectorIssEEZZNS1_16scan_by_key_implILNS1_25lookback_scan_determinismE0ELb0ES3_N6thrust23THRUST_200600_302600_NS6detail15normal_iteratorINS9_10device_ptrIsEEEESE_SE_sNS9_4plusIvEENS9_8equal_toIvEEsEE10hipError_tPvRmT2_T3_T4_T5_mT6_T7_P12ihipStream_tbENKUlT_T0_E_clISt17integral_constantIbLb1EESY_IbLb0EEEEDaSU_SV_EUlSU_E_NS1_11comp_targetILNS1_3genE8ELNS1_11target_archE1030ELNS1_3gpuE2ELNS1_3repE0EEENS1_30default_config_static_selectorELNS0_4arch9wavefront6targetE1EEEvT1_
    .private_segment_fixed_size: 0
    .sgpr_count:     4
    .sgpr_spill_count: 0
    .symbol:         _ZN7rocprim17ROCPRIM_400000_NS6detail17trampoline_kernelINS0_14default_configENS1_27scan_by_key_config_selectorIssEEZZNS1_16scan_by_key_implILNS1_25lookback_scan_determinismE0ELb0ES3_N6thrust23THRUST_200600_302600_NS6detail15normal_iteratorINS9_10device_ptrIsEEEESE_SE_sNS9_4plusIvEENS9_8equal_toIvEEsEE10hipError_tPvRmT2_T3_T4_T5_mT6_T7_P12ihipStream_tbENKUlT_T0_E_clISt17integral_constantIbLb1EESY_IbLb0EEEEDaSU_SV_EUlSU_E_NS1_11comp_targetILNS1_3genE8ELNS1_11target_archE1030ELNS1_3gpuE2ELNS1_3repE0EEENS1_30default_config_static_selectorELNS0_4arch9wavefront6targetE1EEEvT1_.kd
    .uniform_work_group_size: 1
    .uses_dynamic_stack: false
    .vgpr_count:     0
    .vgpr_spill_count: 0
    .wavefront_size: 64
  - .agpr_count:     0
    .args:
      - .address_space:  global
        .offset:         0
        .size:           8
        .value_kind:     global_buffer
      - .offset:         8
        .size:           4
        .value_kind:     by_value
      - .offset:         12
        .size:           4
        .value_kind:     by_value
      - .address_space:  global
        .offset:         16
        .size:           8
        .value_kind:     global_buffer
      - .address_space:  global
        .offset:         24
        .size:           8
        .value_kind:     global_buffer
      - .actual_access:  write_only
        .address_space:  global
        .offset:         32
        .size:           8
        .value_kind:     global_buffer
      - .offset:         40
        .size:           8
        .value_kind:     by_value
      - .offset:         48
        .size:           4
        .value_kind:     by_value
      - .address_space:  global
        .offset:         56
        .size:           8
        .value_kind:     global_buffer
      - .offset:         64
        .size:           4
        .value_kind:     hidden_block_count_x
      - .offset:         68
        .size:           4
        .value_kind:     hidden_block_count_y
      - .offset:         72
        .size:           4
        .value_kind:     hidden_block_count_z
      - .offset:         76
        .size:           2
        .value_kind:     hidden_group_size_x
      - .offset:         78
        .size:           2
        .value_kind:     hidden_group_size_y
      - .offset:         80
        .size:           2
        .value_kind:     hidden_group_size_z
      - .offset:         82
        .size:           2
        .value_kind:     hidden_remainder_x
      - .offset:         84
        .size:           2
        .value_kind:     hidden_remainder_y
      - .offset:         86
        .size:           2
        .value_kind:     hidden_remainder_z
      - .offset:         104
        .size:           8
        .value_kind:     hidden_global_offset_x
      - .offset:         112
        .size:           8
        .value_kind:     hidden_global_offset_y
      - .offset:         120
        .size:           8
        .value_kind:     hidden_global_offset_z
      - .offset:         128
        .size:           2
        .value_kind:     hidden_grid_dims
    .group_segment_fixed_size: 0
    .kernarg_segment_align: 8
    .kernarg_segment_size: 320
    .language:       OpenCL C
    .language_version:
      - 2
      - 0
    .max_flat_workgroup_size: 256
    .name:           _ZN7rocprim17ROCPRIM_400000_NS6detail30init_device_scan_by_key_kernelINS1_19lookback_scan_stateINS0_5tupleIJsbEEELb0ELb1EEEN6thrust23THRUST_200600_302600_NS6detail15normal_iteratorINS8_10device_ptrIsEEEEjNS1_16block_id_wrapperIjLb1EEEEEvT_jjPNSG_10value_typeET0_PNSt15iterator_traitsISJ_E10value_typeEmT1_T2_
    .private_segment_fixed_size: 0
    .sgpr_count:     21
    .sgpr_spill_count: 0
    .symbol:         _ZN7rocprim17ROCPRIM_400000_NS6detail30init_device_scan_by_key_kernelINS1_19lookback_scan_stateINS0_5tupleIJsbEEELb0ELb1EEEN6thrust23THRUST_200600_302600_NS6detail15normal_iteratorINS8_10device_ptrIsEEEEjNS1_16block_id_wrapperIjLb1EEEEEvT_jjPNSG_10value_typeET0_PNSt15iterator_traitsISJ_E10value_typeEmT1_T2_.kd
    .uniform_work_group_size: 1
    .uses_dynamic_stack: false
    .vgpr_count:     10
    .vgpr_spill_count: 0
    .wavefront_size: 64
  - .agpr_count:     0
    .args:
      - .address_space:  global
        .offset:         0
        .size:           8
        .value_kind:     global_buffer
      - .offset:         8
        .size:           4
        .value_kind:     by_value
      - .offset:         12
        .size:           4
        .value_kind:     by_value
      - .address_space:  global
        .offset:         16
        .size:           8
        .value_kind:     global_buffer
      - .address_space:  global
        .offset:         24
        .size:           8
        .value_kind:     global_buffer
      - .offset:         32
        .size:           4
        .value_kind:     hidden_block_count_x
      - .offset:         36
        .size:           4
        .value_kind:     hidden_block_count_y
      - .offset:         40
        .size:           4
        .value_kind:     hidden_block_count_z
      - .offset:         44
        .size:           2
        .value_kind:     hidden_group_size_x
      - .offset:         46
        .size:           2
        .value_kind:     hidden_group_size_y
      - .offset:         48
        .size:           2
        .value_kind:     hidden_group_size_z
      - .offset:         50
        .size:           2
        .value_kind:     hidden_remainder_x
      - .offset:         52
        .size:           2
        .value_kind:     hidden_remainder_y
      - .offset:         54
        .size:           2
        .value_kind:     hidden_remainder_z
      - .offset:         72
        .size:           8
        .value_kind:     hidden_global_offset_x
      - .offset:         80
        .size:           8
        .value_kind:     hidden_global_offset_y
      - .offset:         88
        .size:           8
        .value_kind:     hidden_global_offset_z
      - .offset:         96
        .size:           2
        .value_kind:     hidden_grid_dims
    .group_segment_fixed_size: 0
    .kernarg_segment_align: 8
    .kernarg_segment_size: 288
    .language:       OpenCL C
    .language_version:
      - 2
      - 0
    .max_flat_workgroup_size: 256
    .name:           _ZN7rocprim17ROCPRIM_400000_NS6detail30init_device_scan_by_key_kernelINS1_19lookback_scan_stateINS0_5tupleIJsbEEELb0ELb1EEENS1_16block_id_wrapperIjLb1EEEEEvT_jjPNS9_10value_typeET0_
    .private_segment_fixed_size: 0
    .sgpr_count:     20
    .sgpr_spill_count: 0
    .symbol:         _ZN7rocprim17ROCPRIM_400000_NS6detail30init_device_scan_by_key_kernelINS1_19lookback_scan_stateINS0_5tupleIJsbEEELb0ELb1EEENS1_16block_id_wrapperIjLb1EEEEEvT_jjPNS9_10value_typeET0_.kd
    .uniform_work_group_size: 1
    .uses_dynamic_stack: false
    .vgpr_count:     6
    .vgpr_spill_count: 0
    .wavefront_size: 64
  - .agpr_count:     0
    .args:
      - .offset:         0
        .size:           112
        .value_kind:     by_value
    .group_segment_fixed_size: 0
    .kernarg_segment_align: 8
    .kernarg_segment_size: 112
    .language:       OpenCL C
    .language_version:
      - 2
      - 0
    .max_flat_workgroup_size: 256
    .name:           _ZN7rocprim17ROCPRIM_400000_NS6detail17trampoline_kernelINS0_14default_configENS1_27scan_by_key_config_selectorIssEEZZNS1_16scan_by_key_implILNS1_25lookback_scan_determinismE0ELb0ES3_N6thrust23THRUST_200600_302600_NS6detail15normal_iteratorINS9_10device_ptrIsEEEESE_SE_sNS9_4plusIvEENS9_8equal_toIvEEsEE10hipError_tPvRmT2_T3_T4_T5_mT6_T7_P12ihipStream_tbENKUlT_T0_E_clISt17integral_constantIbLb0EESY_IbLb1EEEEDaSU_SV_EUlSU_E_NS1_11comp_targetILNS1_3genE0ELNS1_11target_archE4294967295ELNS1_3gpuE0ELNS1_3repE0EEENS1_30default_config_static_selectorELNS0_4arch9wavefront6targetE1EEEvT1_
    .private_segment_fixed_size: 0
    .sgpr_count:     4
    .sgpr_spill_count: 0
    .symbol:         _ZN7rocprim17ROCPRIM_400000_NS6detail17trampoline_kernelINS0_14default_configENS1_27scan_by_key_config_selectorIssEEZZNS1_16scan_by_key_implILNS1_25lookback_scan_determinismE0ELb0ES3_N6thrust23THRUST_200600_302600_NS6detail15normal_iteratorINS9_10device_ptrIsEEEESE_SE_sNS9_4plusIvEENS9_8equal_toIvEEsEE10hipError_tPvRmT2_T3_T4_T5_mT6_T7_P12ihipStream_tbENKUlT_T0_E_clISt17integral_constantIbLb0EESY_IbLb1EEEEDaSU_SV_EUlSU_E_NS1_11comp_targetILNS1_3genE0ELNS1_11target_archE4294967295ELNS1_3gpuE0ELNS1_3repE0EEENS1_30default_config_static_selectorELNS0_4arch9wavefront6targetE1EEEvT1_.kd
    .uniform_work_group_size: 1
    .uses_dynamic_stack: false
    .vgpr_count:     0
    .vgpr_spill_count: 0
    .wavefront_size: 64
  - .agpr_count:     0
    .args:
      - .offset:         0
        .size:           112
        .value_kind:     by_value
    .group_segment_fixed_size: 0
    .kernarg_segment_align: 8
    .kernarg_segment_size: 112
    .language:       OpenCL C
    .language_version:
      - 2
      - 0
    .max_flat_workgroup_size: 128
    .name:           _ZN7rocprim17ROCPRIM_400000_NS6detail17trampoline_kernelINS0_14default_configENS1_27scan_by_key_config_selectorIssEEZZNS1_16scan_by_key_implILNS1_25lookback_scan_determinismE0ELb0ES3_N6thrust23THRUST_200600_302600_NS6detail15normal_iteratorINS9_10device_ptrIsEEEESE_SE_sNS9_4plusIvEENS9_8equal_toIvEEsEE10hipError_tPvRmT2_T3_T4_T5_mT6_T7_P12ihipStream_tbENKUlT_T0_E_clISt17integral_constantIbLb0EESY_IbLb1EEEEDaSU_SV_EUlSU_E_NS1_11comp_targetILNS1_3genE10ELNS1_11target_archE1201ELNS1_3gpuE5ELNS1_3repE0EEENS1_30default_config_static_selectorELNS0_4arch9wavefront6targetE1EEEvT1_
    .private_segment_fixed_size: 0
    .sgpr_count:     4
    .sgpr_spill_count: 0
    .symbol:         _ZN7rocprim17ROCPRIM_400000_NS6detail17trampoline_kernelINS0_14default_configENS1_27scan_by_key_config_selectorIssEEZZNS1_16scan_by_key_implILNS1_25lookback_scan_determinismE0ELb0ES3_N6thrust23THRUST_200600_302600_NS6detail15normal_iteratorINS9_10device_ptrIsEEEESE_SE_sNS9_4plusIvEENS9_8equal_toIvEEsEE10hipError_tPvRmT2_T3_T4_T5_mT6_T7_P12ihipStream_tbENKUlT_T0_E_clISt17integral_constantIbLb0EESY_IbLb1EEEEDaSU_SV_EUlSU_E_NS1_11comp_targetILNS1_3genE10ELNS1_11target_archE1201ELNS1_3gpuE5ELNS1_3repE0EEENS1_30default_config_static_selectorELNS0_4arch9wavefront6targetE1EEEvT1_.kd
    .uniform_work_group_size: 1
    .uses_dynamic_stack: false
    .vgpr_count:     0
    .vgpr_spill_count: 0
    .wavefront_size: 64
  - .agpr_count:     0
    .args:
      - .offset:         0
        .size:           112
        .value_kind:     by_value
    .group_segment_fixed_size: 0
    .kernarg_segment_align: 8
    .kernarg_segment_size: 112
    .language:       OpenCL C
    .language_version:
      - 2
      - 0
    .max_flat_workgroup_size: 256
    .name:           _ZN7rocprim17ROCPRIM_400000_NS6detail17trampoline_kernelINS0_14default_configENS1_27scan_by_key_config_selectorIssEEZZNS1_16scan_by_key_implILNS1_25lookback_scan_determinismE0ELb0ES3_N6thrust23THRUST_200600_302600_NS6detail15normal_iteratorINS9_10device_ptrIsEEEESE_SE_sNS9_4plusIvEENS9_8equal_toIvEEsEE10hipError_tPvRmT2_T3_T4_T5_mT6_T7_P12ihipStream_tbENKUlT_T0_E_clISt17integral_constantIbLb0EESY_IbLb1EEEEDaSU_SV_EUlSU_E_NS1_11comp_targetILNS1_3genE5ELNS1_11target_archE942ELNS1_3gpuE9ELNS1_3repE0EEENS1_30default_config_static_selectorELNS0_4arch9wavefront6targetE1EEEvT1_
    .private_segment_fixed_size: 0
    .sgpr_count:     4
    .sgpr_spill_count: 0
    .symbol:         _ZN7rocprim17ROCPRIM_400000_NS6detail17trampoline_kernelINS0_14default_configENS1_27scan_by_key_config_selectorIssEEZZNS1_16scan_by_key_implILNS1_25lookback_scan_determinismE0ELb0ES3_N6thrust23THRUST_200600_302600_NS6detail15normal_iteratorINS9_10device_ptrIsEEEESE_SE_sNS9_4plusIvEENS9_8equal_toIvEEsEE10hipError_tPvRmT2_T3_T4_T5_mT6_T7_P12ihipStream_tbENKUlT_T0_E_clISt17integral_constantIbLb0EESY_IbLb1EEEEDaSU_SV_EUlSU_E_NS1_11comp_targetILNS1_3genE5ELNS1_11target_archE942ELNS1_3gpuE9ELNS1_3repE0EEENS1_30default_config_static_selectorELNS0_4arch9wavefront6targetE1EEEvT1_.kd
    .uniform_work_group_size: 1
    .uses_dynamic_stack: false
    .vgpr_count:     0
    .vgpr_spill_count: 0
    .wavefront_size: 64
  - .agpr_count:     0
    .args:
      - .offset:         0
        .size:           112
        .value_kind:     by_value
    .group_segment_fixed_size: 12288
    .kernarg_segment_align: 8
    .kernarg_segment_size: 112
    .language:       OpenCL C
    .language_version:
      - 2
      - 0
    .max_flat_workgroup_size: 256
    .name:           _ZN7rocprim17ROCPRIM_400000_NS6detail17trampoline_kernelINS0_14default_configENS1_27scan_by_key_config_selectorIssEEZZNS1_16scan_by_key_implILNS1_25lookback_scan_determinismE0ELb0ES3_N6thrust23THRUST_200600_302600_NS6detail15normal_iteratorINS9_10device_ptrIsEEEESE_SE_sNS9_4plusIvEENS9_8equal_toIvEEsEE10hipError_tPvRmT2_T3_T4_T5_mT6_T7_P12ihipStream_tbENKUlT_T0_E_clISt17integral_constantIbLb0EESY_IbLb1EEEEDaSU_SV_EUlSU_E_NS1_11comp_targetILNS1_3genE4ELNS1_11target_archE910ELNS1_3gpuE8ELNS1_3repE0EEENS1_30default_config_static_selectorELNS0_4arch9wavefront6targetE1EEEvT1_
    .private_segment_fixed_size: 0
    .sgpr_count:     86
    .sgpr_spill_count: 0
    .symbol:         _ZN7rocprim17ROCPRIM_400000_NS6detail17trampoline_kernelINS0_14default_configENS1_27scan_by_key_config_selectorIssEEZZNS1_16scan_by_key_implILNS1_25lookback_scan_determinismE0ELb0ES3_N6thrust23THRUST_200600_302600_NS6detail15normal_iteratorINS9_10device_ptrIsEEEESE_SE_sNS9_4plusIvEENS9_8equal_toIvEEsEE10hipError_tPvRmT2_T3_T4_T5_mT6_T7_P12ihipStream_tbENKUlT_T0_E_clISt17integral_constantIbLb0EESY_IbLb1EEEEDaSU_SV_EUlSU_E_NS1_11comp_targetILNS1_3genE4ELNS1_11target_archE910ELNS1_3gpuE8ELNS1_3repE0EEENS1_30default_config_static_selectorELNS0_4arch9wavefront6targetE1EEEvT1_.kd
    .uniform_work_group_size: 1
    .uses_dynamic_stack: false
    .vgpr_count:     58
    .vgpr_spill_count: 0
    .wavefront_size: 64
  - .agpr_count:     0
    .args:
      - .offset:         0
        .size:           112
        .value_kind:     by_value
    .group_segment_fixed_size: 0
    .kernarg_segment_align: 8
    .kernarg_segment_size: 112
    .language:       OpenCL C
    .language_version:
      - 2
      - 0
    .max_flat_workgroup_size: 256
    .name:           _ZN7rocprim17ROCPRIM_400000_NS6detail17trampoline_kernelINS0_14default_configENS1_27scan_by_key_config_selectorIssEEZZNS1_16scan_by_key_implILNS1_25lookback_scan_determinismE0ELb0ES3_N6thrust23THRUST_200600_302600_NS6detail15normal_iteratorINS9_10device_ptrIsEEEESE_SE_sNS9_4plusIvEENS9_8equal_toIvEEsEE10hipError_tPvRmT2_T3_T4_T5_mT6_T7_P12ihipStream_tbENKUlT_T0_E_clISt17integral_constantIbLb0EESY_IbLb1EEEEDaSU_SV_EUlSU_E_NS1_11comp_targetILNS1_3genE3ELNS1_11target_archE908ELNS1_3gpuE7ELNS1_3repE0EEENS1_30default_config_static_selectorELNS0_4arch9wavefront6targetE1EEEvT1_
    .private_segment_fixed_size: 0
    .sgpr_count:     4
    .sgpr_spill_count: 0
    .symbol:         _ZN7rocprim17ROCPRIM_400000_NS6detail17trampoline_kernelINS0_14default_configENS1_27scan_by_key_config_selectorIssEEZZNS1_16scan_by_key_implILNS1_25lookback_scan_determinismE0ELb0ES3_N6thrust23THRUST_200600_302600_NS6detail15normal_iteratorINS9_10device_ptrIsEEEESE_SE_sNS9_4plusIvEENS9_8equal_toIvEEsEE10hipError_tPvRmT2_T3_T4_T5_mT6_T7_P12ihipStream_tbENKUlT_T0_E_clISt17integral_constantIbLb0EESY_IbLb1EEEEDaSU_SV_EUlSU_E_NS1_11comp_targetILNS1_3genE3ELNS1_11target_archE908ELNS1_3gpuE7ELNS1_3repE0EEENS1_30default_config_static_selectorELNS0_4arch9wavefront6targetE1EEEvT1_.kd
    .uniform_work_group_size: 1
    .uses_dynamic_stack: false
    .vgpr_count:     0
    .vgpr_spill_count: 0
    .wavefront_size: 64
  - .agpr_count:     0
    .args:
      - .offset:         0
        .size:           112
        .value_kind:     by_value
    .group_segment_fixed_size: 0
    .kernarg_segment_align: 8
    .kernarg_segment_size: 112
    .language:       OpenCL C
    .language_version:
      - 2
      - 0
    .max_flat_workgroup_size: 64
    .name:           _ZN7rocprim17ROCPRIM_400000_NS6detail17trampoline_kernelINS0_14default_configENS1_27scan_by_key_config_selectorIssEEZZNS1_16scan_by_key_implILNS1_25lookback_scan_determinismE0ELb0ES3_N6thrust23THRUST_200600_302600_NS6detail15normal_iteratorINS9_10device_ptrIsEEEESE_SE_sNS9_4plusIvEENS9_8equal_toIvEEsEE10hipError_tPvRmT2_T3_T4_T5_mT6_T7_P12ihipStream_tbENKUlT_T0_E_clISt17integral_constantIbLb0EESY_IbLb1EEEEDaSU_SV_EUlSU_E_NS1_11comp_targetILNS1_3genE2ELNS1_11target_archE906ELNS1_3gpuE6ELNS1_3repE0EEENS1_30default_config_static_selectorELNS0_4arch9wavefront6targetE1EEEvT1_
    .private_segment_fixed_size: 0
    .sgpr_count:     4
    .sgpr_spill_count: 0
    .symbol:         _ZN7rocprim17ROCPRIM_400000_NS6detail17trampoline_kernelINS0_14default_configENS1_27scan_by_key_config_selectorIssEEZZNS1_16scan_by_key_implILNS1_25lookback_scan_determinismE0ELb0ES3_N6thrust23THRUST_200600_302600_NS6detail15normal_iteratorINS9_10device_ptrIsEEEESE_SE_sNS9_4plusIvEENS9_8equal_toIvEEsEE10hipError_tPvRmT2_T3_T4_T5_mT6_T7_P12ihipStream_tbENKUlT_T0_E_clISt17integral_constantIbLb0EESY_IbLb1EEEEDaSU_SV_EUlSU_E_NS1_11comp_targetILNS1_3genE2ELNS1_11target_archE906ELNS1_3gpuE6ELNS1_3repE0EEENS1_30default_config_static_selectorELNS0_4arch9wavefront6targetE1EEEvT1_.kd
    .uniform_work_group_size: 1
    .uses_dynamic_stack: false
    .vgpr_count:     0
    .vgpr_spill_count: 0
    .wavefront_size: 64
  - .agpr_count:     0
    .args:
      - .offset:         0
        .size:           112
        .value_kind:     by_value
    .group_segment_fixed_size: 0
    .kernarg_segment_align: 8
    .kernarg_segment_size: 112
    .language:       OpenCL C
    .language_version:
      - 2
      - 0
    .max_flat_workgroup_size: 256
    .name:           _ZN7rocprim17ROCPRIM_400000_NS6detail17trampoline_kernelINS0_14default_configENS1_27scan_by_key_config_selectorIssEEZZNS1_16scan_by_key_implILNS1_25lookback_scan_determinismE0ELb0ES3_N6thrust23THRUST_200600_302600_NS6detail15normal_iteratorINS9_10device_ptrIsEEEESE_SE_sNS9_4plusIvEENS9_8equal_toIvEEsEE10hipError_tPvRmT2_T3_T4_T5_mT6_T7_P12ihipStream_tbENKUlT_T0_E_clISt17integral_constantIbLb0EESY_IbLb1EEEEDaSU_SV_EUlSU_E_NS1_11comp_targetILNS1_3genE10ELNS1_11target_archE1200ELNS1_3gpuE4ELNS1_3repE0EEENS1_30default_config_static_selectorELNS0_4arch9wavefront6targetE1EEEvT1_
    .private_segment_fixed_size: 0
    .sgpr_count:     4
    .sgpr_spill_count: 0
    .symbol:         _ZN7rocprim17ROCPRIM_400000_NS6detail17trampoline_kernelINS0_14default_configENS1_27scan_by_key_config_selectorIssEEZZNS1_16scan_by_key_implILNS1_25lookback_scan_determinismE0ELb0ES3_N6thrust23THRUST_200600_302600_NS6detail15normal_iteratorINS9_10device_ptrIsEEEESE_SE_sNS9_4plusIvEENS9_8equal_toIvEEsEE10hipError_tPvRmT2_T3_T4_T5_mT6_T7_P12ihipStream_tbENKUlT_T0_E_clISt17integral_constantIbLb0EESY_IbLb1EEEEDaSU_SV_EUlSU_E_NS1_11comp_targetILNS1_3genE10ELNS1_11target_archE1200ELNS1_3gpuE4ELNS1_3repE0EEENS1_30default_config_static_selectorELNS0_4arch9wavefront6targetE1EEEvT1_.kd
    .uniform_work_group_size: 1
    .uses_dynamic_stack: false
    .vgpr_count:     0
    .vgpr_spill_count: 0
    .wavefront_size: 64
  - .agpr_count:     0
    .args:
      - .offset:         0
        .size:           112
        .value_kind:     by_value
    .group_segment_fixed_size: 0
    .kernarg_segment_align: 8
    .kernarg_segment_size: 112
    .language:       OpenCL C
    .language_version:
      - 2
      - 0
    .max_flat_workgroup_size: 256
    .name:           _ZN7rocprim17ROCPRIM_400000_NS6detail17trampoline_kernelINS0_14default_configENS1_27scan_by_key_config_selectorIssEEZZNS1_16scan_by_key_implILNS1_25lookback_scan_determinismE0ELb0ES3_N6thrust23THRUST_200600_302600_NS6detail15normal_iteratorINS9_10device_ptrIsEEEESE_SE_sNS9_4plusIvEENS9_8equal_toIvEEsEE10hipError_tPvRmT2_T3_T4_T5_mT6_T7_P12ihipStream_tbENKUlT_T0_E_clISt17integral_constantIbLb0EESY_IbLb1EEEEDaSU_SV_EUlSU_E_NS1_11comp_targetILNS1_3genE9ELNS1_11target_archE1100ELNS1_3gpuE3ELNS1_3repE0EEENS1_30default_config_static_selectorELNS0_4arch9wavefront6targetE1EEEvT1_
    .private_segment_fixed_size: 0
    .sgpr_count:     4
    .sgpr_spill_count: 0
    .symbol:         _ZN7rocprim17ROCPRIM_400000_NS6detail17trampoline_kernelINS0_14default_configENS1_27scan_by_key_config_selectorIssEEZZNS1_16scan_by_key_implILNS1_25lookback_scan_determinismE0ELb0ES3_N6thrust23THRUST_200600_302600_NS6detail15normal_iteratorINS9_10device_ptrIsEEEESE_SE_sNS9_4plusIvEENS9_8equal_toIvEEsEE10hipError_tPvRmT2_T3_T4_T5_mT6_T7_P12ihipStream_tbENKUlT_T0_E_clISt17integral_constantIbLb0EESY_IbLb1EEEEDaSU_SV_EUlSU_E_NS1_11comp_targetILNS1_3genE9ELNS1_11target_archE1100ELNS1_3gpuE3ELNS1_3repE0EEENS1_30default_config_static_selectorELNS0_4arch9wavefront6targetE1EEEvT1_.kd
    .uniform_work_group_size: 1
    .uses_dynamic_stack: false
    .vgpr_count:     0
    .vgpr_spill_count: 0
    .wavefront_size: 64
  - .agpr_count:     0
    .args:
      - .offset:         0
        .size:           112
        .value_kind:     by_value
    .group_segment_fixed_size: 0
    .kernarg_segment_align: 8
    .kernarg_segment_size: 112
    .language:       OpenCL C
    .language_version:
      - 2
      - 0
    .max_flat_workgroup_size: 64
    .name:           _ZN7rocprim17ROCPRIM_400000_NS6detail17trampoline_kernelINS0_14default_configENS1_27scan_by_key_config_selectorIssEEZZNS1_16scan_by_key_implILNS1_25lookback_scan_determinismE0ELb0ES3_N6thrust23THRUST_200600_302600_NS6detail15normal_iteratorINS9_10device_ptrIsEEEESE_SE_sNS9_4plusIvEENS9_8equal_toIvEEsEE10hipError_tPvRmT2_T3_T4_T5_mT6_T7_P12ihipStream_tbENKUlT_T0_E_clISt17integral_constantIbLb0EESY_IbLb1EEEEDaSU_SV_EUlSU_E_NS1_11comp_targetILNS1_3genE8ELNS1_11target_archE1030ELNS1_3gpuE2ELNS1_3repE0EEENS1_30default_config_static_selectorELNS0_4arch9wavefront6targetE1EEEvT1_
    .private_segment_fixed_size: 0
    .sgpr_count:     4
    .sgpr_spill_count: 0
    .symbol:         _ZN7rocprim17ROCPRIM_400000_NS6detail17trampoline_kernelINS0_14default_configENS1_27scan_by_key_config_selectorIssEEZZNS1_16scan_by_key_implILNS1_25lookback_scan_determinismE0ELb0ES3_N6thrust23THRUST_200600_302600_NS6detail15normal_iteratorINS9_10device_ptrIsEEEESE_SE_sNS9_4plusIvEENS9_8equal_toIvEEsEE10hipError_tPvRmT2_T3_T4_T5_mT6_T7_P12ihipStream_tbENKUlT_T0_E_clISt17integral_constantIbLb0EESY_IbLb1EEEEDaSU_SV_EUlSU_E_NS1_11comp_targetILNS1_3genE8ELNS1_11target_archE1030ELNS1_3gpuE2ELNS1_3repE0EEENS1_30default_config_static_selectorELNS0_4arch9wavefront6targetE1EEEvT1_.kd
    .uniform_work_group_size: 1
    .uses_dynamic_stack: false
    .vgpr_count:     0
    .vgpr_spill_count: 0
    .wavefront_size: 64
  - .agpr_count:     0
    .args:
      - .offset:         0
        .size:           112
        .value_kind:     by_value
    .group_segment_fixed_size: 0
    .kernarg_segment_align: 8
    .kernarg_segment_size: 112
    .language:       OpenCL C
    .language_version:
      - 2
      - 0
    .max_flat_workgroup_size: 256
    .name:           _ZN7rocprim17ROCPRIM_400000_NS6detail17trampoline_kernelINS0_14default_configENS1_27scan_by_key_config_selectorIssEEZZNS1_16scan_by_key_implILNS1_25lookback_scan_determinismE0ELb0ES3_N6thrust23THRUST_200600_302600_NS6detail15normal_iteratorINS9_10device_ptrIsEEEESE_SE_sNS9_10multipliesIsEENS9_8equal_toIsEEsEE10hipError_tPvRmT2_T3_T4_T5_mT6_T7_P12ihipStream_tbENKUlT_T0_E_clISt17integral_constantIbLb0EESZ_EEDaSU_SV_EUlSU_E_NS1_11comp_targetILNS1_3genE0ELNS1_11target_archE4294967295ELNS1_3gpuE0ELNS1_3repE0EEENS1_30default_config_static_selectorELNS0_4arch9wavefront6targetE1EEEvT1_
    .private_segment_fixed_size: 0
    .sgpr_count:     4
    .sgpr_spill_count: 0
    .symbol:         _ZN7rocprim17ROCPRIM_400000_NS6detail17trampoline_kernelINS0_14default_configENS1_27scan_by_key_config_selectorIssEEZZNS1_16scan_by_key_implILNS1_25lookback_scan_determinismE0ELb0ES3_N6thrust23THRUST_200600_302600_NS6detail15normal_iteratorINS9_10device_ptrIsEEEESE_SE_sNS9_10multipliesIsEENS9_8equal_toIsEEsEE10hipError_tPvRmT2_T3_T4_T5_mT6_T7_P12ihipStream_tbENKUlT_T0_E_clISt17integral_constantIbLb0EESZ_EEDaSU_SV_EUlSU_E_NS1_11comp_targetILNS1_3genE0ELNS1_11target_archE4294967295ELNS1_3gpuE0ELNS1_3repE0EEENS1_30default_config_static_selectorELNS0_4arch9wavefront6targetE1EEEvT1_.kd
    .uniform_work_group_size: 1
    .uses_dynamic_stack: false
    .vgpr_count:     0
    .vgpr_spill_count: 0
    .wavefront_size: 64
  - .agpr_count:     0
    .args:
      - .offset:         0
        .size:           112
        .value_kind:     by_value
    .group_segment_fixed_size: 0
    .kernarg_segment_align: 8
    .kernarg_segment_size: 112
    .language:       OpenCL C
    .language_version:
      - 2
      - 0
    .max_flat_workgroup_size: 128
    .name:           _ZN7rocprim17ROCPRIM_400000_NS6detail17trampoline_kernelINS0_14default_configENS1_27scan_by_key_config_selectorIssEEZZNS1_16scan_by_key_implILNS1_25lookback_scan_determinismE0ELb0ES3_N6thrust23THRUST_200600_302600_NS6detail15normal_iteratorINS9_10device_ptrIsEEEESE_SE_sNS9_10multipliesIsEENS9_8equal_toIsEEsEE10hipError_tPvRmT2_T3_T4_T5_mT6_T7_P12ihipStream_tbENKUlT_T0_E_clISt17integral_constantIbLb0EESZ_EEDaSU_SV_EUlSU_E_NS1_11comp_targetILNS1_3genE10ELNS1_11target_archE1201ELNS1_3gpuE5ELNS1_3repE0EEENS1_30default_config_static_selectorELNS0_4arch9wavefront6targetE1EEEvT1_
    .private_segment_fixed_size: 0
    .sgpr_count:     4
    .sgpr_spill_count: 0
    .symbol:         _ZN7rocprim17ROCPRIM_400000_NS6detail17trampoline_kernelINS0_14default_configENS1_27scan_by_key_config_selectorIssEEZZNS1_16scan_by_key_implILNS1_25lookback_scan_determinismE0ELb0ES3_N6thrust23THRUST_200600_302600_NS6detail15normal_iteratorINS9_10device_ptrIsEEEESE_SE_sNS9_10multipliesIsEENS9_8equal_toIsEEsEE10hipError_tPvRmT2_T3_T4_T5_mT6_T7_P12ihipStream_tbENKUlT_T0_E_clISt17integral_constantIbLb0EESZ_EEDaSU_SV_EUlSU_E_NS1_11comp_targetILNS1_3genE10ELNS1_11target_archE1201ELNS1_3gpuE5ELNS1_3repE0EEENS1_30default_config_static_selectorELNS0_4arch9wavefront6targetE1EEEvT1_.kd
    .uniform_work_group_size: 1
    .uses_dynamic_stack: false
    .vgpr_count:     0
    .vgpr_spill_count: 0
    .wavefront_size: 64
  - .agpr_count:     0
    .args:
      - .offset:         0
        .size:           112
        .value_kind:     by_value
    .group_segment_fixed_size: 0
    .kernarg_segment_align: 8
    .kernarg_segment_size: 112
    .language:       OpenCL C
    .language_version:
      - 2
      - 0
    .max_flat_workgroup_size: 256
    .name:           _ZN7rocprim17ROCPRIM_400000_NS6detail17trampoline_kernelINS0_14default_configENS1_27scan_by_key_config_selectorIssEEZZNS1_16scan_by_key_implILNS1_25lookback_scan_determinismE0ELb0ES3_N6thrust23THRUST_200600_302600_NS6detail15normal_iteratorINS9_10device_ptrIsEEEESE_SE_sNS9_10multipliesIsEENS9_8equal_toIsEEsEE10hipError_tPvRmT2_T3_T4_T5_mT6_T7_P12ihipStream_tbENKUlT_T0_E_clISt17integral_constantIbLb0EESZ_EEDaSU_SV_EUlSU_E_NS1_11comp_targetILNS1_3genE5ELNS1_11target_archE942ELNS1_3gpuE9ELNS1_3repE0EEENS1_30default_config_static_selectorELNS0_4arch9wavefront6targetE1EEEvT1_
    .private_segment_fixed_size: 0
    .sgpr_count:     4
    .sgpr_spill_count: 0
    .symbol:         _ZN7rocprim17ROCPRIM_400000_NS6detail17trampoline_kernelINS0_14default_configENS1_27scan_by_key_config_selectorIssEEZZNS1_16scan_by_key_implILNS1_25lookback_scan_determinismE0ELb0ES3_N6thrust23THRUST_200600_302600_NS6detail15normal_iteratorINS9_10device_ptrIsEEEESE_SE_sNS9_10multipliesIsEENS9_8equal_toIsEEsEE10hipError_tPvRmT2_T3_T4_T5_mT6_T7_P12ihipStream_tbENKUlT_T0_E_clISt17integral_constantIbLb0EESZ_EEDaSU_SV_EUlSU_E_NS1_11comp_targetILNS1_3genE5ELNS1_11target_archE942ELNS1_3gpuE9ELNS1_3repE0EEENS1_30default_config_static_selectorELNS0_4arch9wavefront6targetE1EEEvT1_.kd
    .uniform_work_group_size: 1
    .uses_dynamic_stack: false
    .vgpr_count:     0
    .vgpr_spill_count: 0
    .wavefront_size: 64
  - .agpr_count:     0
    .args:
      - .offset:         0
        .size:           112
        .value_kind:     by_value
    .group_segment_fixed_size: 12288
    .kernarg_segment_align: 8
    .kernarg_segment_size: 112
    .language:       OpenCL C
    .language_version:
      - 2
      - 0
    .max_flat_workgroup_size: 256
    .name:           _ZN7rocprim17ROCPRIM_400000_NS6detail17trampoline_kernelINS0_14default_configENS1_27scan_by_key_config_selectorIssEEZZNS1_16scan_by_key_implILNS1_25lookback_scan_determinismE0ELb0ES3_N6thrust23THRUST_200600_302600_NS6detail15normal_iteratorINS9_10device_ptrIsEEEESE_SE_sNS9_10multipliesIsEENS9_8equal_toIsEEsEE10hipError_tPvRmT2_T3_T4_T5_mT6_T7_P12ihipStream_tbENKUlT_T0_E_clISt17integral_constantIbLb0EESZ_EEDaSU_SV_EUlSU_E_NS1_11comp_targetILNS1_3genE4ELNS1_11target_archE910ELNS1_3gpuE8ELNS1_3repE0EEENS1_30default_config_static_selectorELNS0_4arch9wavefront6targetE1EEEvT1_
    .private_segment_fixed_size: 0
    .sgpr_count:     82
    .sgpr_spill_count: 0
    .symbol:         _ZN7rocprim17ROCPRIM_400000_NS6detail17trampoline_kernelINS0_14default_configENS1_27scan_by_key_config_selectorIssEEZZNS1_16scan_by_key_implILNS1_25lookback_scan_determinismE0ELb0ES3_N6thrust23THRUST_200600_302600_NS6detail15normal_iteratorINS9_10device_ptrIsEEEESE_SE_sNS9_10multipliesIsEENS9_8equal_toIsEEsEE10hipError_tPvRmT2_T3_T4_T5_mT6_T7_P12ihipStream_tbENKUlT_T0_E_clISt17integral_constantIbLb0EESZ_EEDaSU_SV_EUlSU_E_NS1_11comp_targetILNS1_3genE4ELNS1_11target_archE910ELNS1_3gpuE8ELNS1_3repE0EEENS1_30default_config_static_selectorELNS0_4arch9wavefront6targetE1EEEvT1_.kd
    .uniform_work_group_size: 1
    .uses_dynamic_stack: false
    .vgpr_count:     58
    .vgpr_spill_count: 0
    .wavefront_size: 64
  - .agpr_count:     0
    .args:
      - .offset:         0
        .size:           112
        .value_kind:     by_value
    .group_segment_fixed_size: 0
    .kernarg_segment_align: 8
    .kernarg_segment_size: 112
    .language:       OpenCL C
    .language_version:
      - 2
      - 0
    .max_flat_workgroup_size: 256
    .name:           _ZN7rocprim17ROCPRIM_400000_NS6detail17trampoline_kernelINS0_14default_configENS1_27scan_by_key_config_selectorIssEEZZNS1_16scan_by_key_implILNS1_25lookback_scan_determinismE0ELb0ES3_N6thrust23THRUST_200600_302600_NS6detail15normal_iteratorINS9_10device_ptrIsEEEESE_SE_sNS9_10multipliesIsEENS9_8equal_toIsEEsEE10hipError_tPvRmT2_T3_T4_T5_mT6_T7_P12ihipStream_tbENKUlT_T0_E_clISt17integral_constantIbLb0EESZ_EEDaSU_SV_EUlSU_E_NS1_11comp_targetILNS1_3genE3ELNS1_11target_archE908ELNS1_3gpuE7ELNS1_3repE0EEENS1_30default_config_static_selectorELNS0_4arch9wavefront6targetE1EEEvT1_
    .private_segment_fixed_size: 0
    .sgpr_count:     4
    .sgpr_spill_count: 0
    .symbol:         _ZN7rocprim17ROCPRIM_400000_NS6detail17trampoline_kernelINS0_14default_configENS1_27scan_by_key_config_selectorIssEEZZNS1_16scan_by_key_implILNS1_25lookback_scan_determinismE0ELb0ES3_N6thrust23THRUST_200600_302600_NS6detail15normal_iteratorINS9_10device_ptrIsEEEESE_SE_sNS9_10multipliesIsEENS9_8equal_toIsEEsEE10hipError_tPvRmT2_T3_T4_T5_mT6_T7_P12ihipStream_tbENKUlT_T0_E_clISt17integral_constantIbLb0EESZ_EEDaSU_SV_EUlSU_E_NS1_11comp_targetILNS1_3genE3ELNS1_11target_archE908ELNS1_3gpuE7ELNS1_3repE0EEENS1_30default_config_static_selectorELNS0_4arch9wavefront6targetE1EEEvT1_.kd
    .uniform_work_group_size: 1
    .uses_dynamic_stack: false
    .vgpr_count:     0
    .vgpr_spill_count: 0
    .wavefront_size: 64
  - .agpr_count:     0
    .args:
      - .offset:         0
        .size:           112
        .value_kind:     by_value
    .group_segment_fixed_size: 0
    .kernarg_segment_align: 8
    .kernarg_segment_size: 112
    .language:       OpenCL C
    .language_version:
      - 2
      - 0
    .max_flat_workgroup_size: 64
    .name:           _ZN7rocprim17ROCPRIM_400000_NS6detail17trampoline_kernelINS0_14default_configENS1_27scan_by_key_config_selectorIssEEZZNS1_16scan_by_key_implILNS1_25lookback_scan_determinismE0ELb0ES3_N6thrust23THRUST_200600_302600_NS6detail15normal_iteratorINS9_10device_ptrIsEEEESE_SE_sNS9_10multipliesIsEENS9_8equal_toIsEEsEE10hipError_tPvRmT2_T3_T4_T5_mT6_T7_P12ihipStream_tbENKUlT_T0_E_clISt17integral_constantIbLb0EESZ_EEDaSU_SV_EUlSU_E_NS1_11comp_targetILNS1_3genE2ELNS1_11target_archE906ELNS1_3gpuE6ELNS1_3repE0EEENS1_30default_config_static_selectorELNS0_4arch9wavefront6targetE1EEEvT1_
    .private_segment_fixed_size: 0
    .sgpr_count:     4
    .sgpr_spill_count: 0
    .symbol:         _ZN7rocprim17ROCPRIM_400000_NS6detail17trampoline_kernelINS0_14default_configENS1_27scan_by_key_config_selectorIssEEZZNS1_16scan_by_key_implILNS1_25lookback_scan_determinismE0ELb0ES3_N6thrust23THRUST_200600_302600_NS6detail15normal_iteratorINS9_10device_ptrIsEEEESE_SE_sNS9_10multipliesIsEENS9_8equal_toIsEEsEE10hipError_tPvRmT2_T3_T4_T5_mT6_T7_P12ihipStream_tbENKUlT_T0_E_clISt17integral_constantIbLb0EESZ_EEDaSU_SV_EUlSU_E_NS1_11comp_targetILNS1_3genE2ELNS1_11target_archE906ELNS1_3gpuE6ELNS1_3repE0EEENS1_30default_config_static_selectorELNS0_4arch9wavefront6targetE1EEEvT1_.kd
    .uniform_work_group_size: 1
    .uses_dynamic_stack: false
    .vgpr_count:     0
    .vgpr_spill_count: 0
    .wavefront_size: 64
  - .agpr_count:     0
    .args:
      - .offset:         0
        .size:           112
        .value_kind:     by_value
    .group_segment_fixed_size: 0
    .kernarg_segment_align: 8
    .kernarg_segment_size: 112
    .language:       OpenCL C
    .language_version:
      - 2
      - 0
    .max_flat_workgroup_size: 256
    .name:           _ZN7rocprim17ROCPRIM_400000_NS6detail17trampoline_kernelINS0_14default_configENS1_27scan_by_key_config_selectorIssEEZZNS1_16scan_by_key_implILNS1_25lookback_scan_determinismE0ELb0ES3_N6thrust23THRUST_200600_302600_NS6detail15normal_iteratorINS9_10device_ptrIsEEEESE_SE_sNS9_10multipliesIsEENS9_8equal_toIsEEsEE10hipError_tPvRmT2_T3_T4_T5_mT6_T7_P12ihipStream_tbENKUlT_T0_E_clISt17integral_constantIbLb0EESZ_EEDaSU_SV_EUlSU_E_NS1_11comp_targetILNS1_3genE10ELNS1_11target_archE1200ELNS1_3gpuE4ELNS1_3repE0EEENS1_30default_config_static_selectorELNS0_4arch9wavefront6targetE1EEEvT1_
    .private_segment_fixed_size: 0
    .sgpr_count:     4
    .sgpr_spill_count: 0
    .symbol:         _ZN7rocprim17ROCPRIM_400000_NS6detail17trampoline_kernelINS0_14default_configENS1_27scan_by_key_config_selectorIssEEZZNS1_16scan_by_key_implILNS1_25lookback_scan_determinismE0ELb0ES3_N6thrust23THRUST_200600_302600_NS6detail15normal_iteratorINS9_10device_ptrIsEEEESE_SE_sNS9_10multipliesIsEENS9_8equal_toIsEEsEE10hipError_tPvRmT2_T3_T4_T5_mT6_T7_P12ihipStream_tbENKUlT_T0_E_clISt17integral_constantIbLb0EESZ_EEDaSU_SV_EUlSU_E_NS1_11comp_targetILNS1_3genE10ELNS1_11target_archE1200ELNS1_3gpuE4ELNS1_3repE0EEENS1_30default_config_static_selectorELNS0_4arch9wavefront6targetE1EEEvT1_.kd
    .uniform_work_group_size: 1
    .uses_dynamic_stack: false
    .vgpr_count:     0
    .vgpr_spill_count: 0
    .wavefront_size: 64
  - .agpr_count:     0
    .args:
      - .offset:         0
        .size:           112
        .value_kind:     by_value
    .group_segment_fixed_size: 0
    .kernarg_segment_align: 8
    .kernarg_segment_size: 112
    .language:       OpenCL C
    .language_version:
      - 2
      - 0
    .max_flat_workgroup_size: 256
    .name:           _ZN7rocprim17ROCPRIM_400000_NS6detail17trampoline_kernelINS0_14default_configENS1_27scan_by_key_config_selectorIssEEZZNS1_16scan_by_key_implILNS1_25lookback_scan_determinismE0ELb0ES3_N6thrust23THRUST_200600_302600_NS6detail15normal_iteratorINS9_10device_ptrIsEEEESE_SE_sNS9_10multipliesIsEENS9_8equal_toIsEEsEE10hipError_tPvRmT2_T3_T4_T5_mT6_T7_P12ihipStream_tbENKUlT_T0_E_clISt17integral_constantIbLb0EESZ_EEDaSU_SV_EUlSU_E_NS1_11comp_targetILNS1_3genE9ELNS1_11target_archE1100ELNS1_3gpuE3ELNS1_3repE0EEENS1_30default_config_static_selectorELNS0_4arch9wavefront6targetE1EEEvT1_
    .private_segment_fixed_size: 0
    .sgpr_count:     4
    .sgpr_spill_count: 0
    .symbol:         _ZN7rocprim17ROCPRIM_400000_NS6detail17trampoline_kernelINS0_14default_configENS1_27scan_by_key_config_selectorIssEEZZNS1_16scan_by_key_implILNS1_25lookback_scan_determinismE0ELb0ES3_N6thrust23THRUST_200600_302600_NS6detail15normal_iteratorINS9_10device_ptrIsEEEESE_SE_sNS9_10multipliesIsEENS9_8equal_toIsEEsEE10hipError_tPvRmT2_T3_T4_T5_mT6_T7_P12ihipStream_tbENKUlT_T0_E_clISt17integral_constantIbLb0EESZ_EEDaSU_SV_EUlSU_E_NS1_11comp_targetILNS1_3genE9ELNS1_11target_archE1100ELNS1_3gpuE3ELNS1_3repE0EEENS1_30default_config_static_selectorELNS0_4arch9wavefront6targetE1EEEvT1_.kd
    .uniform_work_group_size: 1
    .uses_dynamic_stack: false
    .vgpr_count:     0
    .vgpr_spill_count: 0
    .wavefront_size: 64
  - .agpr_count:     0
    .args:
      - .offset:         0
        .size:           112
        .value_kind:     by_value
    .group_segment_fixed_size: 0
    .kernarg_segment_align: 8
    .kernarg_segment_size: 112
    .language:       OpenCL C
    .language_version:
      - 2
      - 0
    .max_flat_workgroup_size: 64
    .name:           _ZN7rocprim17ROCPRIM_400000_NS6detail17trampoline_kernelINS0_14default_configENS1_27scan_by_key_config_selectorIssEEZZNS1_16scan_by_key_implILNS1_25lookback_scan_determinismE0ELb0ES3_N6thrust23THRUST_200600_302600_NS6detail15normal_iteratorINS9_10device_ptrIsEEEESE_SE_sNS9_10multipliesIsEENS9_8equal_toIsEEsEE10hipError_tPvRmT2_T3_T4_T5_mT6_T7_P12ihipStream_tbENKUlT_T0_E_clISt17integral_constantIbLb0EESZ_EEDaSU_SV_EUlSU_E_NS1_11comp_targetILNS1_3genE8ELNS1_11target_archE1030ELNS1_3gpuE2ELNS1_3repE0EEENS1_30default_config_static_selectorELNS0_4arch9wavefront6targetE1EEEvT1_
    .private_segment_fixed_size: 0
    .sgpr_count:     4
    .sgpr_spill_count: 0
    .symbol:         _ZN7rocprim17ROCPRIM_400000_NS6detail17trampoline_kernelINS0_14default_configENS1_27scan_by_key_config_selectorIssEEZZNS1_16scan_by_key_implILNS1_25lookback_scan_determinismE0ELb0ES3_N6thrust23THRUST_200600_302600_NS6detail15normal_iteratorINS9_10device_ptrIsEEEESE_SE_sNS9_10multipliesIsEENS9_8equal_toIsEEsEE10hipError_tPvRmT2_T3_T4_T5_mT6_T7_P12ihipStream_tbENKUlT_T0_E_clISt17integral_constantIbLb0EESZ_EEDaSU_SV_EUlSU_E_NS1_11comp_targetILNS1_3genE8ELNS1_11target_archE1030ELNS1_3gpuE2ELNS1_3repE0EEENS1_30default_config_static_selectorELNS0_4arch9wavefront6targetE1EEEvT1_.kd
    .uniform_work_group_size: 1
    .uses_dynamic_stack: false
    .vgpr_count:     0
    .vgpr_spill_count: 0
    .wavefront_size: 64
  - .agpr_count:     0
    .args:
      - .offset:         0
        .size:           112
        .value_kind:     by_value
    .group_segment_fixed_size: 0
    .kernarg_segment_align: 8
    .kernarg_segment_size: 112
    .language:       OpenCL C
    .language_version:
      - 2
      - 0
    .max_flat_workgroup_size: 256
    .name:           _ZN7rocprim17ROCPRIM_400000_NS6detail17trampoline_kernelINS0_14default_configENS1_27scan_by_key_config_selectorIssEEZZNS1_16scan_by_key_implILNS1_25lookback_scan_determinismE0ELb0ES3_N6thrust23THRUST_200600_302600_NS6detail15normal_iteratorINS9_10device_ptrIsEEEESE_SE_sNS9_10multipliesIsEENS9_8equal_toIsEEsEE10hipError_tPvRmT2_T3_T4_T5_mT6_T7_P12ihipStream_tbENKUlT_T0_E_clISt17integral_constantIbLb1EESZ_EEDaSU_SV_EUlSU_E_NS1_11comp_targetILNS1_3genE0ELNS1_11target_archE4294967295ELNS1_3gpuE0ELNS1_3repE0EEENS1_30default_config_static_selectorELNS0_4arch9wavefront6targetE1EEEvT1_
    .private_segment_fixed_size: 0
    .sgpr_count:     4
    .sgpr_spill_count: 0
    .symbol:         _ZN7rocprim17ROCPRIM_400000_NS6detail17trampoline_kernelINS0_14default_configENS1_27scan_by_key_config_selectorIssEEZZNS1_16scan_by_key_implILNS1_25lookback_scan_determinismE0ELb0ES3_N6thrust23THRUST_200600_302600_NS6detail15normal_iteratorINS9_10device_ptrIsEEEESE_SE_sNS9_10multipliesIsEENS9_8equal_toIsEEsEE10hipError_tPvRmT2_T3_T4_T5_mT6_T7_P12ihipStream_tbENKUlT_T0_E_clISt17integral_constantIbLb1EESZ_EEDaSU_SV_EUlSU_E_NS1_11comp_targetILNS1_3genE0ELNS1_11target_archE4294967295ELNS1_3gpuE0ELNS1_3repE0EEENS1_30default_config_static_selectorELNS0_4arch9wavefront6targetE1EEEvT1_.kd
    .uniform_work_group_size: 1
    .uses_dynamic_stack: false
    .vgpr_count:     0
    .vgpr_spill_count: 0
    .wavefront_size: 64
  - .agpr_count:     0
    .args:
      - .offset:         0
        .size:           112
        .value_kind:     by_value
    .group_segment_fixed_size: 0
    .kernarg_segment_align: 8
    .kernarg_segment_size: 112
    .language:       OpenCL C
    .language_version:
      - 2
      - 0
    .max_flat_workgroup_size: 128
    .name:           _ZN7rocprim17ROCPRIM_400000_NS6detail17trampoline_kernelINS0_14default_configENS1_27scan_by_key_config_selectorIssEEZZNS1_16scan_by_key_implILNS1_25lookback_scan_determinismE0ELb0ES3_N6thrust23THRUST_200600_302600_NS6detail15normal_iteratorINS9_10device_ptrIsEEEESE_SE_sNS9_10multipliesIsEENS9_8equal_toIsEEsEE10hipError_tPvRmT2_T3_T4_T5_mT6_T7_P12ihipStream_tbENKUlT_T0_E_clISt17integral_constantIbLb1EESZ_EEDaSU_SV_EUlSU_E_NS1_11comp_targetILNS1_3genE10ELNS1_11target_archE1201ELNS1_3gpuE5ELNS1_3repE0EEENS1_30default_config_static_selectorELNS0_4arch9wavefront6targetE1EEEvT1_
    .private_segment_fixed_size: 0
    .sgpr_count:     4
    .sgpr_spill_count: 0
    .symbol:         _ZN7rocprim17ROCPRIM_400000_NS6detail17trampoline_kernelINS0_14default_configENS1_27scan_by_key_config_selectorIssEEZZNS1_16scan_by_key_implILNS1_25lookback_scan_determinismE0ELb0ES3_N6thrust23THRUST_200600_302600_NS6detail15normal_iteratorINS9_10device_ptrIsEEEESE_SE_sNS9_10multipliesIsEENS9_8equal_toIsEEsEE10hipError_tPvRmT2_T3_T4_T5_mT6_T7_P12ihipStream_tbENKUlT_T0_E_clISt17integral_constantIbLb1EESZ_EEDaSU_SV_EUlSU_E_NS1_11comp_targetILNS1_3genE10ELNS1_11target_archE1201ELNS1_3gpuE5ELNS1_3repE0EEENS1_30default_config_static_selectorELNS0_4arch9wavefront6targetE1EEEvT1_.kd
    .uniform_work_group_size: 1
    .uses_dynamic_stack: false
    .vgpr_count:     0
    .vgpr_spill_count: 0
    .wavefront_size: 64
  - .agpr_count:     0
    .args:
      - .offset:         0
        .size:           112
        .value_kind:     by_value
    .group_segment_fixed_size: 0
    .kernarg_segment_align: 8
    .kernarg_segment_size: 112
    .language:       OpenCL C
    .language_version:
      - 2
      - 0
    .max_flat_workgroup_size: 256
    .name:           _ZN7rocprim17ROCPRIM_400000_NS6detail17trampoline_kernelINS0_14default_configENS1_27scan_by_key_config_selectorIssEEZZNS1_16scan_by_key_implILNS1_25lookback_scan_determinismE0ELb0ES3_N6thrust23THRUST_200600_302600_NS6detail15normal_iteratorINS9_10device_ptrIsEEEESE_SE_sNS9_10multipliesIsEENS9_8equal_toIsEEsEE10hipError_tPvRmT2_T3_T4_T5_mT6_T7_P12ihipStream_tbENKUlT_T0_E_clISt17integral_constantIbLb1EESZ_EEDaSU_SV_EUlSU_E_NS1_11comp_targetILNS1_3genE5ELNS1_11target_archE942ELNS1_3gpuE9ELNS1_3repE0EEENS1_30default_config_static_selectorELNS0_4arch9wavefront6targetE1EEEvT1_
    .private_segment_fixed_size: 0
    .sgpr_count:     4
    .sgpr_spill_count: 0
    .symbol:         _ZN7rocprim17ROCPRIM_400000_NS6detail17trampoline_kernelINS0_14default_configENS1_27scan_by_key_config_selectorIssEEZZNS1_16scan_by_key_implILNS1_25lookback_scan_determinismE0ELb0ES3_N6thrust23THRUST_200600_302600_NS6detail15normal_iteratorINS9_10device_ptrIsEEEESE_SE_sNS9_10multipliesIsEENS9_8equal_toIsEEsEE10hipError_tPvRmT2_T3_T4_T5_mT6_T7_P12ihipStream_tbENKUlT_T0_E_clISt17integral_constantIbLb1EESZ_EEDaSU_SV_EUlSU_E_NS1_11comp_targetILNS1_3genE5ELNS1_11target_archE942ELNS1_3gpuE9ELNS1_3repE0EEENS1_30default_config_static_selectorELNS0_4arch9wavefront6targetE1EEEvT1_.kd
    .uniform_work_group_size: 1
    .uses_dynamic_stack: false
    .vgpr_count:     0
    .vgpr_spill_count: 0
    .wavefront_size: 64
  - .agpr_count:     0
    .args:
      - .offset:         0
        .size:           112
        .value_kind:     by_value
    .group_segment_fixed_size: 12288
    .kernarg_segment_align: 8
    .kernarg_segment_size: 112
    .language:       OpenCL C
    .language_version:
      - 2
      - 0
    .max_flat_workgroup_size: 256
    .name:           _ZN7rocprim17ROCPRIM_400000_NS6detail17trampoline_kernelINS0_14default_configENS1_27scan_by_key_config_selectorIssEEZZNS1_16scan_by_key_implILNS1_25lookback_scan_determinismE0ELb0ES3_N6thrust23THRUST_200600_302600_NS6detail15normal_iteratorINS9_10device_ptrIsEEEESE_SE_sNS9_10multipliesIsEENS9_8equal_toIsEEsEE10hipError_tPvRmT2_T3_T4_T5_mT6_T7_P12ihipStream_tbENKUlT_T0_E_clISt17integral_constantIbLb1EESZ_EEDaSU_SV_EUlSU_E_NS1_11comp_targetILNS1_3genE4ELNS1_11target_archE910ELNS1_3gpuE8ELNS1_3repE0EEENS1_30default_config_static_selectorELNS0_4arch9wavefront6targetE1EEEvT1_
    .private_segment_fixed_size: 0
    .sgpr_count:     86
    .sgpr_spill_count: 0
    .symbol:         _ZN7rocprim17ROCPRIM_400000_NS6detail17trampoline_kernelINS0_14default_configENS1_27scan_by_key_config_selectorIssEEZZNS1_16scan_by_key_implILNS1_25lookback_scan_determinismE0ELb0ES3_N6thrust23THRUST_200600_302600_NS6detail15normal_iteratorINS9_10device_ptrIsEEEESE_SE_sNS9_10multipliesIsEENS9_8equal_toIsEEsEE10hipError_tPvRmT2_T3_T4_T5_mT6_T7_P12ihipStream_tbENKUlT_T0_E_clISt17integral_constantIbLb1EESZ_EEDaSU_SV_EUlSU_E_NS1_11comp_targetILNS1_3genE4ELNS1_11target_archE910ELNS1_3gpuE8ELNS1_3repE0EEENS1_30default_config_static_selectorELNS0_4arch9wavefront6targetE1EEEvT1_.kd
    .uniform_work_group_size: 1
    .uses_dynamic_stack: false
    .vgpr_count:     58
    .vgpr_spill_count: 0
    .wavefront_size: 64
  - .agpr_count:     0
    .args:
      - .offset:         0
        .size:           112
        .value_kind:     by_value
    .group_segment_fixed_size: 0
    .kernarg_segment_align: 8
    .kernarg_segment_size: 112
    .language:       OpenCL C
    .language_version:
      - 2
      - 0
    .max_flat_workgroup_size: 256
    .name:           _ZN7rocprim17ROCPRIM_400000_NS6detail17trampoline_kernelINS0_14default_configENS1_27scan_by_key_config_selectorIssEEZZNS1_16scan_by_key_implILNS1_25lookback_scan_determinismE0ELb0ES3_N6thrust23THRUST_200600_302600_NS6detail15normal_iteratorINS9_10device_ptrIsEEEESE_SE_sNS9_10multipliesIsEENS9_8equal_toIsEEsEE10hipError_tPvRmT2_T3_T4_T5_mT6_T7_P12ihipStream_tbENKUlT_T0_E_clISt17integral_constantIbLb1EESZ_EEDaSU_SV_EUlSU_E_NS1_11comp_targetILNS1_3genE3ELNS1_11target_archE908ELNS1_3gpuE7ELNS1_3repE0EEENS1_30default_config_static_selectorELNS0_4arch9wavefront6targetE1EEEvT1_
    .private_segment_fixed_size: 0
    .sgpr_count:     4
    .sgpr_spill_count: 0
    .symbol:         _ZN7rocprim17ROCPRIM_400000_NS6detail17trampoline_kernelINS0_14default_configENS1_27scan_by_key_config_selectorIssEEZZNS1_16scan_by_key_implILNS1_25lookback_scan_determinismE0ELb0ES3_N6thrust23THRUST_200600_302600_NS6detail15normal_iteratorINS9_10device_ptrIsEEEESE_SE_sNS9_10multipliesIsEENS9_8equal_toIsEEsEE10hipError_tPvRmT2_T3_T4_T5_mT6_T7_P12ihipStream_tbENKUlT_T0_E_clISt17integral_constantIbLb1EESZ_EEDaSU_SV_EUlSU_E_NS1_11comp_targetILNS1_3genE3ELNS1_11target_archE908ELNS1_3gpuE7ELNS1_3repE0EEENS1_30default_config_static_selectorELNS0_4arch9wavefront6targetE1EEEvT1_.kd
    .uniform_work_group_size: 1
    .uses_dynamic_stack: false
    .vgpr_count:     0
    .vgpr_spill_count: 0
    .wavefront_size: 64
  - .agpr_count:     0
    .args:
      - .offset:         0
        .size:           112
        .value_kind:     by_value
    .group_segment_fixed_size: 0
    .kernarg_segment_align: 8
    .kernarg_segment_size: 112
    .language:       OpenCL C
    .language_version:
      - 2
      - 0
    .max_flat_workgroup_size: 64
    .name:           _ZN7rocprim17ROCPRIM_400000_NS6detail17trampoline_kernelINS0_14default_configENS1_27scan_by_key_config_selectorIssEEZZNS1_16scan_by_key_implILNS1_25lookback_scan_determinismE0ELb0ES3_N6thrust23THRUST_200600_302600_NS6detail15normal_iteratorINS9_10device_ptrIsEEEESE_SE_sNS9_10multipliesIsEENS9_8equal_toIsEEsEE10hipError_tPvRmT2_T3_T4_T5_mT6_T7_P12ihipStream_tbENKUlT_T0_E_clISt17integral_constantIbLb1EESZ_EEDaSU_SV_EUlSU_E_NS1_11comp_targetILNS1_3genE2ELNS1_11target_archE906ELNS1_3gpuE6ELNS1_3repE0EEENS1_30default_config_static_selectorELNS0_4arch9wavefront6targetE1EEEvT1_
    .private_segment_fixed_size: 0
    .sgpr_count:     4
    .sgpr_spill_count: 0
    .symbol:         _ZN7rocprim17ROCPRIM_400000_NS6detail17trampoline_kernelINS0_14default_configENS1_27scan_by_key_config_selectorIssEEZZNS1_16scan_by_key_implILNS1_25lookback_scan_determinismE0ELb0ES3_N6thrust23THRUST_200600_302600_NS6detail15normal_iteratorINS9_10device_ptrIsEEEESE_SE_sNS9_10multipliesIsEENS9_8equal_toIsEEsEE10hipError_tPvRmT2_T3_T4_T5_mT6_T7_P12ihipStream_tbENKUlT_T0_E_clISt17integral_constantIbLb1EESZ_EEDaSU_SV_EUlSU_E_NS1_11comp_targetILNS1_3genE2ELNS1_11target_archE906ELNS1_3gpuE6ELNS1_3repE0EEENS1_30default_config_static_selectorELNS0_4arch9wavefront6targetE1EEEvT1_.kd
    .uniform_work_group_size: 1
    .uses_dynamic_stack: false
    .vgpr_count:     0
    .vgpr_spill_count: 0
    .wavefront_size: 64
  - .agpr_count:     0
    .args:
      - .offset:         0
        .size:           112
        .value_kind:     by_value
    .group_segment_fixed_size: 0
    .kernarg_segment_align: 8
    .kernarg_segment_size: 112
    .language:       OpenCL C
    .language_version:
      - 2
      - 0
    .max_flat_workgroup_size: 256
    .name:           _ZN7rocprim17ROCPRIM_400000_NS6detail17trampoline_kernelINS0_14default_configENS1_27scan_by_key_config_selectorIssEEZZNS1_16scan_by_key_implILNS1_25lookback_scan_determinismE0ELb0ES3_N6thrust23THRUST_200600_302600_NS6detail15normal_iteratorINS9_10device_ptrIsEEEESE_SE_sNS9_10multipliesIsEENS9_8equal_toIsEEsEE10hipError_tPvRmT2_T3_T4_T5_mT6_T7_P12ihipStream_tbENKUlT_T0_E_clISt17integral_constantIbLb1EESZ_EEDaSU_SV_EUlSU_E_NS1_11comp_targetILNS1_3genE10ELNS1_11target_archE1200ELNS1_3gpuE4ELNS1_3repE0EEENS1_30default_config_static_selectorELNS0_4arch9wavefront6targetE1EEEvT1_
    .private_segment_fixed_size: 0
    .sgpr_count:     4
    .sgpr_spill_count: 0
    .symbol:         _ZN7rocprim17ROCPRIM_400000_NS6detail17trampoline_kernelINS0_14default_configENS1_27scan_by_key_config_selectorIssEEZZNS1_16scan_by_key_implILNS1_25lookback_scan_determinismE0ELb0ES3_N6thrust23THRUST_200600_302600_NS6detail15normal_iteratorINS9_10device_ptrIsEEEESE_SE_sNS9_10multipliesIsEENS9_8equal_toIsEEsEE10hipError_tPvRmT2_T3_T4_T5_mT6_T7_P12ihipStream_tbENKUlT_T0_E_clISt17integral_constantIbLb1EESZ_EEDaSU_SV_EUlSU_E_NS1_11comp_targetILNS1_3genE10ELNS1_11target_archE1200ELNS1_3gpuE4ELNS1_3repE0EEENS1_30default_config_static_selectorELNS0_4arch9wavefront6targetE1EEEvT1_.kd
    .uniform_work_group_size: 1
    .uses_dynamic_stack: false
    .vgpr_count:     0
    .vgpr_spill_count: 0
    .wavefront_size: 64
  - .agpr_count:     0
    .args:
      - .offset:         0
        .size:           112
        .value_kind:     by_value
    .group_segment_fixed_size: 0
    .kernarg_segment_align: 8
    .kernarg_segment_size: 112
    .language:       OpenCL C
    .language_version:
      - 2
      - 0
    .max_flat_workgroup_size: 256
    .name:           _ZN7rocprim17ROCPRIM_400000_NS6detail17trampoline_kernelINS0_14default_configENS1_27scan_by_key_config_selectorIssEEZZNS1_16scan_by_key_implILNS1_25lookback_scan_determinismE0ELb0ES3_N6thrust23THRUST_200600_302600_NS6detail15normal_iteratorINS9_10device_ptrIsEEEESE_SE_sNS9_10multipliesIsEENS9_8equal_toIsEEsEE10hipError_tPvRmT2_T3_T4_T5_mT6_T7_P12ihipStream_tbENKUlT_T0_E_clISt17integral_constantIbLb1EESZ_EEDaSU_SV_EUlSU_E_NS1_11comp_targetILNS1_3genE9ELNS1_11target_archE1100ELNS1_3gpuE3ELNS1_3repE0EEENS1_30default_config_static_selectorELNS0_4arch9wavefront6targetE1EEEvT1_
    .private_segment_fixed_size: 0
    .sgpr_count:     4
    .sgpr_spill_count: 0
    .symbol:         _ZN7rocprim17ROCPRIM_400000_NS6detail17trampoline_kernelINS0_14default_configENS1_27scan_by_key_config_selectorIssEEZZNS1_16scan_by_key_implILNS1_25lookback_scan_determinismE0ELb0ES3_N6thrust23THRUST_200600_302600_NS6detail15normal_iteratorINS9_10device_ptrIsEEEESE_SE_sNS9_10multipliesIsEENS9_8equal_toIsEEsEE10hipError_tPvRmT2_T3_T4_T5_mT6_T7_P12ihipStream_tbENKUlT_T0_E_clISt17integral_constantIbLb1EESZ_EEDaSU_SV_EUlSU_E_NS1_11comp_targetILNS1_3genE9ELNS1_11target_archE1100ELNS1_3gpuE3ELNS1_3repE0EEENS1_30default_config_static_selectorELNS0_4arch9wavefront6targetE1EEEvT1_.kd
    .uniform_work_group_size: 1
    .uses_dynamic_stack: false
    .vgpr_count:     0
    .vgpr_spill_count: 0
    .wavefront_size: 64
  - .agpr_count:     0
    .args:
      - .offset:         0
        .size:           112
        .value_kind:     by_value
    .group_segment_fixed_size: 0
    .kernarg_segment_align: 8
    .kernarg_segment_size: 112
    .language:       OpenCL C
    .language_version:
      - 2
      - 0
    .max_flat_workgroup_size: 64
    .name:           _ZN7rocprim17ROCPRIM_400000_NS6detail17trampoline_kernelINS0_14default_configENS1_27scan_by_key_config_selectorIssEEZZNS1_16scan_by_key_implILNS1_25lookback_scan_determinismE0ELb0ES3_N6thrust23THRUST_200600_302600_NS6detail15normal_iteratorINS9_10device_ptrIsEEEESE_SE_sNS9_10multipliesIsEENS9_8equal_toIsEEsEE10hipError_tPvRmT2_T3_T4_T5_mT6_T7_P12ihipStream_tbENKUlT_T0_E_clISt17integral_constantIbLb1EESZ_EEDaSU_SV_EUlSU_E_NS1_11comp_targetILNS1_3genE8ELNS1_11target_archE1030ELNS1_3gpuE2ELNS1_3repE0EEENS1_30default_config_static_selectorELNS0_4arch9wavefront6targetE1EEEvT1_
    .private_segment_fixed_size: 0
    .sgpr_count:     4
    .sgpr_spill_count: 0
    .symbol:         _ZN7rocprim17ROCPRIM_400000_NS6detail17trampoline_kernelINS0_14default_configENS1_27scan_by_key_config_selectorIssEEZZNS1_16scan_by_key_implILNS1_25lookback_scan_determinismE0ELb0ES3_N6thrust23THRUST_200600_302600_NS6detail15normal_iteratorINS9_10device_ptrIsEEEESE_SE_sNS9_10multipliesIsEENS9_8equal_toIsEEsEE10hipError_tPvRmT2_T3_T4_T5_mT6_T7_P12ihipStream_tbENKUlT_T0_E_clISt17integral_constantIbLb1EESZ_EEDaSU_SV_EUlSU_E_NS1_11comp_targetILNS1_3genE8ELNS1_11target_archE1030ELNS1_3gpuE2ELNS1_3repE0EEENS1_30default_config_static_selectorELNS0_4arch9wavefront6targetE1EEEvT1_.kd
    .uniform_work_group_size: 1
    .uses_dynamic_stack: false
    .vgpr_count:     0
    .vgpr_spill_count: 0
    .wavefront_size: 64
  - .agpr_count:     0
    .args:
      - .offset:         0
        .size:           112
        .value_kind:     by_value
    .group_segment_fixed_size: 0
    .kernarg_segment_align: 8
    .kernarg_segment_size: 112
    .language:       OpenCL C
    .language_version:
      - 2
      - 0
    .max_flat_workgroup_size: 256
    .name:           _ZN7rocprim17ROCPRIM_400000_NS6detail17trampoline_kernelINS0_14default_configENS1_27scan_by_key_config_selectorIssEEZZNS1_16scan_by_key_implILNS1_25lookback_scan_determinismE0ELb0ES3_N6thrust23THRUST_200600_302600_NS6detail15normal_iteratorINS9_10device_ptrIsEEEESE_SE_sNS9_10multipliesIsEENS9_8equal_toIsEEsEE10hipError_tPvRmT2_T3_T4_T5_mT6_T7_P12ihipStream_tbENKUlT_T0_E_clISt17integral_constantIbLb1EESY_IbLb0EEEEDaSU_SV_EUlSU_E_NS1_11comp_targetILNS1_3genE0ELNS1_11target_archE4294967295ELNS1_3gpuE0ELNS1_3repE0EEENS1_30default_config_static_selectorELNS0_4arch9wavefront6targetE1EEEvT1_
    .private_segment_fixed_size: 0
    .sgpr_count:     4
    .sgpr_spill_count: 0
    .symbol:         _ZN7rocprim17ROCPRIM_400000_NS6detail17trampoline_kernelINS0_14default_configENS1_27scan_by_key_config_selectorIssEEZZNS1_16scan_by_key_implILNS1_25lookback_scan_determinismE0ELb0ES3_N6thrust23THRUST_200600_302600_NS6detail15normal_iteratorINS9_10device_ptrIsEEEESE_SE_sNS9_10multipliesIsEENS9_8equal_toIsEEsEE10hipError_tPvRmT2_T3_T4_T5_mT6_T7_P12ihipStream_tbENKUlT_T0_E_clISt17integral_constantIbLb1EESY_IbLb0EEEEDaSU_SV_EUlSU_E_NS1_11comp_targetILNS1_3genE0ELNS1_11target_archE4294967295ELNS1_3gpuE0ELNS1_3repE0EEENS1_30default_config_static_selectorELNS0_4arch9wavefront6targetE1EEEvT1_.kd
    .uniform_work_group_size: 1
    .uses_dynamic_stack: false
    .vgpr_count:     0
    .vgpr_spill_count: 0
    .wavefront_size: 64
  - .agpr_count:     0
    .args:
      - .offset:         0
        .size:           112
        .value_kind:     by_value
    .group_segment_fixed_size: 0
    .kernarg_segment_align: 8
    .kernarg_segment_size: 112
    .language:       OpenCL C
    .language_version:
      - 2
      - 0
    .max_flat_workgroup_size: 128
    .name:           _ZN7rocprim17ROCPRIM_400000_NS6detail17trampoline_kernelINS0_14default_configENS1_27scan_by_key_config_selectorIssEEZZNS1_16scan_by_key_implILNS1_25lookback_scan_determinismE0ELb0ES3_N6thrust23THRUST_200600_302600_NS6detail15normal_iteratorINS9_10device_ptrIsEEEESE_SE_sNS9_10multipliesIsEENS9_8equal_toIsEEsEE10hipError_tPvRmT2_T3_T4_T5_mT6_T7_P12ihipStream_tbENKUlT_T0_E_clISt17integral_constantIbLb1EESY_IbLb0EEEEDaSU_SV_EUlSU_E_NS1_11comp_targetILNS1_3genE10ELNS1_11target_archE1201ELNS1_3gpuE5ELNS1_3repE0EEENS1_30default_config_static_selectorELNS0_4arch9wavefront6targetE1EEEvT1_
    .private_segment_fixed_size: 0
    .sgpr_count:     4
    .sgpr_spill_count: 0
    .symbol:         _ZN7rocprim17ROCPRIM_400000_NS6detail17trampoline_kernelINS0_14default_configENS1_27scan_by_key_config_selectorIssEEZZNS1_16scan_by_key_implILNS1_25lookback_scan_determinismE0ELb0ES3_N6thrust23THRUST_200600_302600_NS6detail15normal_iteratorINS9_10device_ptrIsEEEESE_SE_sNS9_10multipliesIsEENS9_8equal_toIsEEsEE10hipError_tPvRmT2_T3_T4_T5_mT6_T7_P12ihipStream_tbENKUlT_T0_E_clISt17integral_constantIbLb1EESY_IbLb0EEEEDaSU_SV_EUlSU_E_NS1_11comp_targetILNS1_3genE10ELNS1_11target_archE1201ELNS1_3gpuE5ELNS1_3repE0EEENS1_30default_config_static_selectorELNS0_4arch9wavefront6targetE1EEEvT1_.kd
    .uniform_work_group_size: 1
    .uses_dynamic_stack: false
    .vgpr_count:     0
    .vgpr_spill_count: 0
    .wavefront_size: 64
  - .agpr_count:     0
    .args:
      - .offset:         0
        .size:           112
        .value_kind:     by_value
    .group_segment_fixed_size: 0
    .kernarg_segment_align: 8
    .kernarg_segment_size: 112
    .language:       OpenCL C
    .language_version:
      - 2
      - 0
    .max_flat_workgroup_size: 256
    .name:           _ZN7rocprim17ROCPRIM_400000_NS6detail17trampoline_kernelINS0_14default_configENS1_27scan_by_key_config_selectorIssEEZZNS1_16scan_by_key_implILNS1_25lookback_scan_determinismE0ELb0ES3_N6thrust23THRUST_200600_302600_NS6detail15normal_iteratorINS9_10device_ptrIsEEEESE_SE_sNS9_10multipliesIsEENS9_8equal_toIsEEsEE10hipError_tPvRmT2_T3_T4_T5_mT6_T7_P12ihipStream_tbENKUlT_T0_E_clISt17integral_constantIbLb1EESY_IbLb0EEEEDaSU_SV_EUlSU_E_NS1_11comp_targetILNS1_3genE5ELNS1_11target_archE942ELNS1_3gpuE9ELNS1_3repE0EEENS1_30default_config_static_selectorELNS0_4arch9wavefront6targetE1EEEvT1_
    .private_segment_fixed_size: 0
    .sgpr_count:     4
    .sgpr_spill_count: 0
    .symbol:         _ZN7rocprim17ROCPRIM_400000_NS6detail17trampoline_kernelINS0_14default_configENS1_27scan_by_key_config_selectorIssEEZZNS1_16scan_by_key_implILNS1_25lookback_scan_determinismE0ELb0ES3_N6thrust23THRUST_200600_302600_NS6detail15normal_iteratorINS9_10device_ptrIsEEEESE_SE_sNS9_10multipliesIsEENS9_8equal_toIsEEsEE10hipError_tPvRmT2_T3_T4_T5_mT6_T7_P12ihipStream_tbENKUlT_T0_E_clISt17integral_constantIbLb1EESY_IbLb0EEEEDaSU_SV_EUlSU_E_NS1_11comp_targetILNS1_3genE5ELNS1_11target_archE942ELNS1_3gpuE9ELNS1_3repE0EEENS1_30default_config_static_selectorELNS0_4arch9wavefront6targetE1EEEvT1_.kd
    .uniform_work_group_size: 1
    .uses_dynamic_stack: false
    .vgpr_count:     0
    .vgpr_spill_count: 0
    .wavefront_size: 64
  - .agpr_count:     0
    .args:
      - .offset:         0
        .size:           112
        .value_kind:     by_value
    .group_segment_fixed_size: 12288
    .kernarg_segment_align: 8
    .kernarg_segment_size: 112
    .language:       OpenCL C
    .language_version:
      - 2
      - 0
    .max_flat_workgroup_size: 256
    .name:           _ZN7rocprim17ROCPRIM_400000_NS6detail17trampoline_kernelINS0_14default_configENS1_27scan_by_key_config_selectorIssEEZZNS1_16scan_by_key_implILNS1_25lookback_scan_determinismE0ELb0ES3_N6thrust23THRUST_200600_302600_NS6detail15normal_iteratorINS9_10device_ptrIsEEEESE_SE_sNS9_10multipliesIsEENS9_8equal_toIsEEsEE10hipError_tPvRmT2_T3_T4_T5_mT6_T7_P12ihipStream_tbENKUlT_T0_E_clISt17integral_constantIbLb1EESY_IbLb0EEEEDaSU_SV_EUlSU_E_NS1_11comp_targetILNS1_3genE4ELNS1_11target_archE910ELNS1_3gpuE8ELNS1_3repE0EEENS1_30default_config_static_selectorELNS0_4arch9wavefront6targetE1EEEvT1_
    .private_segment_fixed_size: 0
    .sgpr_count:     82
    .sgpr_spill_count: 0
    .symbol:         _ZN7rocprim17ROCPRIM_400000_NS6detail17trampoline_kernelINS0_14default_configENS1_27scan_by_key_config_selectorIssEEZZNS1_16scan_by_key_implILNS1_25lookback_scan_determinismE0ELb0ES3_N6thrust23THRUST_200600_302600_NS6detail15normal_iteratorINS9_10device_ptrIsEEEESE_SE_sNS9_10multipliesIsEENS9_8equal_toIsEEsEE10hipError_tPvRmT2_T3_T4_T5_mT6_T7_P12ihipStream_tbENKUlT_T0_E_clISt17integral_constantIbLb1EESY_IbLb0EEEEDaSU_SV_EUlSU_E_NS1_11comp_targetILNS1_3genE4ELNS1_11target_archE910ELNS1_3gpuE8ELNS1_3repE0EEENS1_30default_config_static_selectorELNS0_4arch9wavefront6targetE1EEEvT1_.kd
    .uniform_work_group_size: 1
    .uses_dynamic_stack: false
    .vgpr_count:     58
    .vgpr_spill_count: 0
    .wavefront_size: 64
  - .agpr_count:     0
    .args:
      - .offset:         0
        .size:           112
        .value_kind:     by_value
    .group_segment_fixed_size: 0
    .kernarg_segment_align: 8
    .kernarg_segment_size: 112
    .language:       OpenCL C
    .language_version:
      - 2
      - 0
    .max_flat_workgroup_size: 256
    .name:           _ZN7rocprim17ROCPRIM_400000_NS6detail17trampoline_kernelINS0_14default_configENS1_27scan_by_key_config_selectorIssEEZZNS1_16scan_by_key_implILNS1_25lookback_scan_determinismE0ELb0ES3_N6thrust23THRUST_200600_302600_NS6detail15normal_iteratorINS9_10device_ptrIsEEEESE_SE_sNS9_10multipliesIsEENS9_8equal_toIsEEsEE10hipError_tPvRmT2_T3_T4_T5_mT6_T7_P12ihipStream_tbENKUlT_T0_E_clISt17integral_constantIbLb1EESY_IbLb0EEEEDaSU_SV_EUlSU_E_NS1_11comp_targetILNS1_3genE3ELNS1_11target_archE908ELNS1_3gpuE7ELNS1_3repE0EEENS1_30default_config_static_selectorELNS0_4arch9wavefront6targetE1EEEvT1_
    .private_segment_fixed_size: 0
    .sgpr_count:     4
    .sgpr_spill_count: 0
    .symbol:         _ZN7rocprim17ROCPRIM_400000_NS6detail17trampoline_kernelINS0_14default_configENS1_27scan_by_key_config_selectorIssEEZZNS1_16scan_by_key_implILNS1_25lookback_scan_determinismE0ELb0ES3_N6thrust23THRUST_200600_302600_NS6detail15normal_iteratorINS9_10device_ptrIsEEEESE_SE_sNS9_10multipliesIsEENS9_8equal_toIsEEsEE10hipError_tPvRmT2_T3_T4_T5_mT6_T7_P12ihipStream_tbENKUlT_T0_E_clISt17integral_constantIbLb1EESY_IbLb0EEEEDaSU_SV_EUlSU_E_NS1_11comp_targetILNS1_3genE3ELNS1_11target_archE908ELNS1_3gpuE7ELNS1_3repE0EEENS1_30default_config_static_selectorELNS0_4arch9wavefront6targetE1EEEvT1_.kd
    .uniform_work_group_size: 1
    .uses_dynamic_stack: false
    .vgpr_count:     0
    .vgpr_spill_count: 0
    .wavefront_size: 64
  - .agpr_count:     0
    .args:
      - .offset:         0
        .size:           112
        .value_kind:     by_value
    .group_segment_fixed_size: 0
    .kernarg_segment_align: 8
    .kernarg_segment_size: 112
    .language:       OpenCL C
    .language_version:
      - 2
      - 0
    .max_flat_workgroup_size: 64
    .name:           _ZN7rocprim17ROCPRIM_400000_NS6detail17trampoline_kernelINS0_14default_configENS1_27scan_by_key_config_selectorIssEEZZNS1_16scan_by_key_implILNS1_25lookback_scan_determinismE0ELb0ES3_N6thrust23THRUST_200600_302600_NS6detail15normal_iteratorINS9_10device_ptrIsEEEESE_SE_sNS9_10multipliesIsEENS9_8equal_toIsEEsEE10hipError_tPvRmT2_T3_T4_T5_mT6_T7_P12ihipStream_tbENKUlT_T0_E_clISt17integral_constantIbLb1EESY_IbLb0EEEEDaSU_SV_EUlSU_E_NS1_11comp_targetILNS1_3genE2ELNS1_11target_archE906ELNS1_3gpuE6ELNS1_3repE0EEENS1_30default_config_static_selectorELNS0_4arch9wavefront6targetE1EEEvT1_
    .private_segment_fixed_size: 0
    .sgpr_count:     4
    .sgpr_spill_count: 0
    .symbol:         _ZN7rocprim17ROCPRIM_400000_NS6detail17trampoline_kernelINS0_14default_configENS1_27scan_by_key_config_selectorIssEEZZNS1_16scan_by_key_implILNS1_25lookback_scan_determinismE0ELb0ES3_N6thrust23THRUST_200600_302600_NS6detail15normal_iteratorINS9_10device_ptrIsEEEESE_SE_sNS9_10multipliesIsEENS9_8equal_toIsEEsEE10hipError_tPvRmT2_T3_T4_T5_mT6_T7_P12ihipStream_tbENKUlT_T0_E_clISt17integral_constantIbLb1EESY_IbLb0EEEEDaSU_SV_EUlSU_E_NS1_11comp_targetILNS1_3genE2ELNS1_11target_archE906ELNS1_3gpuE6ELNS1_3repE0EEENS1_30default_config_static_selectorELNS0_4arch9wavefront6targetE1EEEvT1_.kd
    .uniform_work_group_size: 1
    .uses_dynamic_stack: false
    .vgpr_count:     0
    .vgpr_spill_count: 0
    .wavefront_size: 64
  - .agpr_count:     0
    .args:
      - .offset:         0
        .size:           112
        .value_kind:     by_value
    .group_segment_fixed_size: 0
    .kernarg_segment_align: 8
    .kernarg_segment_size: 112
    .language:       OpenCL C
    .language_version:
      - 2
      - 0
    .max_flat_workgroup_size: 256
    .name:           _ZN7rocprim17ROCPRIM_400000_NS6detail17trampoline_kernelINS0_14default_configENS1_27scan_by_key_config_selectorIssEEZZNS1_16scan_by_key_implILNS1_25lookback_scan_determinismE0ELb0ES3_N6thrust23THRUST_200600_302600_NS6detail15normal_iteratorINS9_10device_ptrIsEEEESE_SE_sNS9_10multipliesIsEENS9_8equal_toIsEEsEE10hipError_tPvRmT2_T3_T4_T5_mT6_T7_P12ihipStream_tbENKUlT_T0_E_clISt17integral_constantIbLb1EESY_IbLb0EEEEDaSU_SV_EUlSU_E_NS1_11comp_targetILNS1_3genE10ELNS1_11target_archE1200ELNS1_3gpuE4ELNS1_3repE0EEENS1_30default_config_static_selectorELNS0_4arch9wavefront6targetE1EEEvT1_
    .private_segment_fixed_size: 0
    .sgpr_count:     4
    .sgpr_spill_count: 0
    .symbol:         _ZN7rocprim17ROCPRIM_400000_NS6detail17trampoline_kernelINS0_14default_configENS1_27scan_by_key_config_selectorIssEEZZNS1_16scan_by_key_implILNS1_25lookback_scan_determinismE0ELb0ES3_N6thrust23THRUST_200600_302600_NS6detail15normal_iteratorINS9_10device_ptrIsEEEESE_SE_sNS9_10multipliesIsEENS9_8equal_toIsEEsEE10hipError_tPvRmT2_T3_T4_T5_mT6_T7_P12ihipStream_tbENKUlT_T0_E_clISt17integral_constantIbLb1EESY_IbLb0EEEEDaSU_SV_EUlSU_E_NS1_11comp_targetILNS1_3genE10ELNS1_11target_archE1200ELNS1_3gpuE4ELNS1_3repE0EEENS1_30default_config_static_selectorELNS0_4arch9wavefront6targetE1EEEvT1_.kd
    .uniform_work_group_size: 1
    .uses_dynamic_stack: false
    .vgpr_count:     0
    .vgpr_spill_count: 0
    .wavefront_size: 64
  - .agpr_count:     0
    .args:
      - .offset:         0
        .size:           112
        .value_kind:     by_value
    .group_segment_fixed_size: 0
    .kernarg_segment_align: 8
    .kernarg_segment_size: 112
    .language:       OpenCL C
    .language_version:
      - 2
      - 0
    .max_flat_workgroup_size: 256
    .name:           _ZN7rocprim17ROCPRIM_400000_NS6detail17trampoline_kernelINS0_14default_configENS1_27scan_by_key_config_selectorIssEEZZNS1_16scan_by_key_implILNS1_25lookback_scan_determinismE0ELb0ES3_N6thrust23THRUST_200600_302600_NS6detail15normal_iteratorINS9_10device_ptrIsEEEESE_SE_sNS9_10multipliesIsEENS9_8equal_toIsEEsEE10hipError_tPvRmT2_T3_T4_T5_mT6_T7_P12ihipStream_tbENKUlT_T0_E_clISt17integral_constantIbLb1EESY_IbLb0EEEEDaSU_SV_EUlSU_E_NS1_11comp_targetILNS1_3genE9ELNS1_11target_archE1100ELNS1_3gpuE3ELNS1_3repE0EEENS1_30default_config_static_selectorELNS0_4arch9wavefront6targetE1EEEvT1_
    .private_segment_fixed_size: 0
    .sgpr_count:     4
    .sgpr_spill_count: 0
    .symbol:         _ZN7rocprim17ROCPRIM_400000_NS6detail17trampoline_kernelINS0_14default_configENS1_27scan_by_key_config_selectorIssEEZZNS1_16scan_by_key_implILNS1_25lookback_scan_determinismE0ELb0ES3_N6thrust23THRUST_200600_302600_NS6detail15normal_iteratorINS9_10device_ptrIsEEEESE_SE_sNS9_10multipliesIsEENS9_8equal_toIsEEsEE10hipError_tPvRmT2_T3_T4_T5_mT6_T7_P12ihipStream_tbENKUlT_T0_E_clISt17integral_constantIbLb1EESY_IbLb0EEEEDaSU_SV_EUlSU_E_NS1_11comp_targetILNS1_3genE9ELNS1_11target_archE1100ELNS1_3gpuE3ELNS1_3repE0EEENS1_30default_config_static_selectorELNS0_4arch9wavefront6targetE1EEEvT1_.kd
    .uniform_work_group_size: 1
    .uses_dynamic_stack: false
    .vgpr_count:     0
    .vgpr_spill_count: 0
    .wavefront_size: 64
  - .agpr_count:     0
    .args:
      - .offset:         0
        .size:           112
        .value_kind:     by_value
    .group_segment_fixed_size: 0
    .kernarg_segment_align: 8
    .kernarg_segment_size: 112
    .language:       OpenCL C
    .language_version:
      - 2
      - 0
    .max_flat_workgroup_size: 64
    .name:           _ZN7rocprim17ROCPRIM_400000_NS6detail17trampoline_kernelINS0_14default_configENS1_27scan_by_key_config_selectorIssEEZZNS1_16scan_by_key_implILNS1_25lookback_scan_determinismE0ELb0ES3_N6thrust23THRUST_200600_302600_NS6detail15normal_iteratorINS9_10device_ptrIsEEEESE_SE_sNS9_10multipliesIsEENS9_8equal_toIsEEsEE10hipError_tPvRmT2_T3_T4_T5_mT6_T7_P12ihipStream_tbENKUlT_T0_E_clISt17integral_constantIbLb1EESY_IbLb0EEEEDaSU_SV_EUlSU_E_NS1_11comp_targetILNS1_3genE8ELNS1_11target_archE1030ELNS1_3gpuE2ELNS1_3repE0EEENS1_30default_config_static_selectorELNS0_4arch9wavefront6targetE1EEEvT1_
    .private_segment_fixed_size: 0
    .sgpr_count:     4
    .sgpr_spill_count: 0
    .symbol:         _ZN7rocprim17ROCPRIM_400000_NS6detail17trampoline_kernelINS0_14default_configENS1_27scan_by_key_config_selectorIssEEZZNS1_16scan_by_key_implILNS1_25lookback_scan_determinismE0ELb0ES3_N6thrust23THRUST_200600_302600_NS6detail15normal_iteratorINS9_10device_ptrIsEEEESE_SE_sNS9_10multipliesIsEENS9_8equal_toIsEEsEE10hipError_tPvRmT2_T3_T4_T5_mT6_T7_P12ihipStream_tbENKUlT_T0_E_clISt17integral_constantIbLb1EESY_IbLb0EEEEDaSU_SV_EUlSU_E_NS1_11comp_targetILNS1_3genE8ELNS1_11target_archE1030ELNS1_3gpuE2ELNS1_3repE0EEENS1_30default_config_static_selectorELNS0_4arch9wavefront6targetE1EEEvT1_.kd
    .uniform_work_group_size: 1
    .uses_dynamic_stack: false
    .vgpr_count:     0
    .vgpr_spill_count: 0
    .wavefront_size: 64
  - .agpr_count:     0
    .args:
      - .offset:         0
        .size:           112
        .value_kind:     by_value
    .group_segment_fixed_size: 0
    .kernarg_segment_align: 8
    .kernarg_segment_size: 112
    .language:       OpenCL C
    .language_version:
      - 2
      - 0
    .max_flat_workgroup_size: 256
    .name:           _ZN7rocprim17ROCPRIM_400000_NS6detail17trampoline_kernelINS0_14default_configENS1_27scan_by_key_config_selectorIssEEZZNS1_16scan_by_key_implILNS1_25lookback_scan_determinismE0ELb0ES3_N6thrust23THRUST_200600_302600_NS6detail15normal_iteratorINS9_10device_ptrIsEEEESE_SE_sNS9_10multipliesIsEENS9_8equal_toIsEEsEE10hipError_tPvRmT2_T3_T4_T5_mT6_T7_P12ihipStream_tbENKUlT_T0_E_clISt17integral_constantIbLb0EESY_IbLb1EEEEDaSU_SV_EUlSU_E_NS1_11comp_targetILNS1_3genE0ELNS1_11target_archE4294967295ELNS1_3gpuE0ELNS1_3repE0EEENS1_30default_config_static_selectorELNS0_4arch9wavefront6targetE1EEEvT1_
    .private_segment_fixed_size: 0
    .sgpr_count:     4
    .sgpr_spill_count: 0
    .symbol:         _ZN7rocprim17ROCPRIM_400000_NS6detail17trampoline_kernelINS0_14default_configENS1_27scan_by_key_config_selectorIssEEZZNS1_16scan_by_key_implILNS1_25lookback_scan_determinismE0ELb0ES3_N6thrust23THRUST_200600_302600_NS6detail15normal_iteratorINS9_10device_ptrIsEEEESE_SE_sNS9_10multipliesIsEENS9_8equal_toIsEEsEE10hipError_tPvRmT2_T3_T4_T5_mT6_T7_P12ihipStream_tbENKUlT_T0_E_clISt17integral_constantIbLb0EESY_IbLb1EEEEDaSU_SV_EUlSU_E_NS1_11comp_targetILNS1_3genE0ELNS1_11target_archE4294967295ELNS1_3gpuE0ELNS1_3repE0EEENS1_30default_config_static_selectorELNS0_4arch9wavefront6targetE1EEEvT1_.kd
    .uniform_work_group_size: 1
    .uses_dynamic_stack: false
    .vgpr_count:     0
    .vgpr_spill_count: 0
    .wavefront_size: 64
  - .agpr_count:     0
    .args:
      - .offset:         0
        .size:           112
        .value_kind:     by_value
    .group_segment_fixed_size: 0
    .kernarg_segment_align: 8
    .kernarg_segment_size: 112
    .language:       OpenCL C
    .language_version:
      - 2
      - 0
    .max_flat_workgroup_size: 128
    .name:           _ZN7rocprim17ROCPRIM_400000_NS6detail17trampoline_kernelINS0_14default_configENS1_27scan_by_key_config_selectorIssEEZZNS1_16scan_by_key_implILNS1_25lookback_scan_determinismE0ELb0ES3_N6thrust23THRUST_200600_302600_NS6detail15normal_iteratorINS9_10device_ptrIsEEEESE_SE_sNS9_10multipliesIsEENS9_8equal_toIsEEsEE10hipError_tPvRmT2_T3_T4_T5_mT6_T7_P12ihipStream_tbENKUlT_T0_E_clISt17integral_constantIbLb0EESY_IbLb1EEEEDaSU_SV_EUlSU_E_NS1_11comp_targetILNS1_3genE10ELNS1_11target_archE1201ELNS1_3gpuE5ELNS1_3repE0EEENS1_30default_config_static_selectorELNS0_4arch9wavefront6targetE1EEEvT1_
    .private_segment_fixed_size: 0
    .sgpr_count:     4
    .sgpr_spill_count: 0
    .symbol:         _ZN7rocprim17ROCPRIM_400000_NS6detail17trampoline_kernelINS0_14default_configENS1_27scan_by_key_config_selectorIssEEZZNS1_16scan_by_key_implILNS1_25lookback_scan_determinismE0ELb0ES3_N6thrust23THRUST_200600_302600_NS6detail15normal_iteratorINS9_10device_ptrIsEEEESE_SE_sNS9_10multipliesIsEENS9_8equal_toIsEEsEE10hipError_tPvRmT2_T3_T4_T5_mT6_T7_P12ihipStream_tbENKUlT_T0_E_clISt17integral_constantIbLb0EESY_IbLb1EEEEDaSU_SV_EUlSU_E_NS1_11comp_targetILNS1_3genE10ELNS1_11target_archE1201ELNS1_3gpuE5ELNS1_3repE0EEENS1_30default_config_static_selectorELNS0_4arch9wavefront6targetE1EEEvT1_.kd
    .uniform_work_group_size: 1
    .uses_dynamic_stack: false
    .vgpr_count:     0
    .vgpr_spill_count: 0
    .wavefront_size: 64
  - .agpr_count:     0
    .args:
      - .offset:         0
        .size:           112
        .value_kind:     by_value
    .group_segment_fixed_size: 0
    .kernarg_segment_align: 8
    .kernarg_segment_size: 112
    .language:       OpenCL C
    .language_version:
      - 2
      - 0
    .max_flat_workgroup_size: 256
    .name:           _ZN7rocprim17ROCPRIM_400000_NS6detail17trampoline_kernelINS0_14default_configENS1_27scan_by_key_config_selectorIssEEZZNS1_16scan_by_key_implILNS1_25lookback_scan_determinismE0ELb0ES3_N6thrust23THRUST_200600_302600_NS6detail15normal_iteratorINS9_10device_ptrIsEEEESE_SE_sNS9_10multipliesIsEENS9_8equal_toIsEEsEE10hipError_tPvRmT2_T3_T4_T5_mT6_T7_P12ihipStream_tbENKUlT_T0_E_clISt17integral_constantIbLb0EESY_IbLb1EEEEDaSU_SV_EUlSU_E_NS1_11comp_targetILNS1_3genE5ELNS1_11target_archE942ELNS1_3gpuE9ELNS1_3repE0EEENS1_30default_config_static_selectorELNS0_4arch9wavefront6targetE1EEEvT1_
    .private_segment_fixed_size: 0
    .sgpr_count:     4
    .sgpr_spill_count: 0
    .symbol:         _ZN7rocprim17ROCPRIM_400000_NS6detail17trampoline_kernelINS0_14default_configENS1_27scan_by_key_config_selectorIssEEZZNS1_16scan_by_key_implILNS1_25lookback_scan_determinismE0ELb0ES3_N6thrust23THRUST_200600_302600_NS6detail15normal_iteratorINS9_10device_ptrIsEEEESE_SE_sNS9_10multipliesIsEENS9_8equal_toIsEEsEE10hipError_tPvRmT2_T3_T4_T5_mT6_T7_P12ihipStream_tbENKUlT_T0_E_clISt17integral_constantIbLb0EESY_IbLb1EEEEDaSU_SV_EUlSU_E_NS1_11comp_targetILNS1_3genE5ELNS1_11target_archE942ELNS1_3gpuE9ELNS1_3repE0EEENS1_30default_config_static_selectorELNS0_4arch9wavefront6targetE1EEEvT1_.kd
    .uniform_work_group_size: 1
    .uses_dynamic_stack: false
    .vgpr_count:     0
    .vgpr_spill_count: 0
    .wavefront_size: 64
  - .agpr_count:     0
    .args:
      - .offset:         0
        .size:           112
        .value_kind:     by_value
    .group_segment_fixed_size: 12288
    .kernarg_segment_align: 8
    .kernarg_segment_size: 112
    .language:       OpenCL C
    .language_version:
      - 2
      - 0
    .max_flat_workgroup_size: 256
    .name:           _ZN7rocprim17ROCPRIM_400000_NS6detail17trampoline_kernelINS0_14default_configENS1_27scan_by_key_config_selectorIssEEZZNS1_16scan_by_key_implILNS1_25lookback_scan_determinismE0ELb0ES3_N6thrust23THRUST_200600_302600_NS6detail15normal_iteratorINS9_10device_ptrIsEEEESE_SE_sNS9_10multipliesIsEENS9_8equal_toIsEEsEE10hipError_tPvRmT2_T3_T4_T5_mT6_T7_P12ihipStream_tbENKUlT_T0_E_clISt17integral_constantIbLb0EESY_IbLb1EEEEDaSU_SV_EUlSU_E_NS1_11comp_targetILNS1_3genE4ELNS1_11target_archE910ELNS1_3gpuE8ELNS1_3repE0EEENS1_30default_config_static_selectorELNS0_4arch9wavefront6targetE1EEEvT1_
    .private_segment_fixed_size: 0
    .sgpr_count:     86
    .sgpr_spill_count: 0
    .symbol:         _ZN7rocprim17ROCPRIM_400000_NS6detail17trampoline_kernelINS0_14default_configENS1_27scan_by_key_config_selectorIssEEZZNS1_16scan_by_key_implILNS1_25lookback_scan_determinismE0ELb0ES3_N6thrust23THRUST_200600_302600_NS6detail15normal_iteratorINS9_10device_ptrIsEEEESE_SE_sNS9_10multipliesIsEENS9_8equal_toIsEEsEE10hipError_tPvRmT2_T3_T4_T5_mT6_T7_P12ihipStream_tbENKUlT_T0_E_clISt17integral_constantIbLb0EESY_IbLb1EEEEDaSU_SV_EUlSU_E_NS1_11comp_targetILNS1_3genE4ELNS1_11target_archE910ELNS1_3gpuE8ELNS1_3repE0EEENS1_30default_config_static_selectorELNS0_4arch9wavefront6targetE1EEEvT1_.kd
    .uniform_work_group_size: 1
    .uses_dynamic_stack: false
    .vgpr_count:     58
    .vgpr_spill_count: 0
    .wavefront_size: 64
  - .agpr_count:     0
    .args:
      - .offset:         0
        .size:           112
        .value_kind:     by_value
    .group_segment_fixed_size: 0
    .kernarg_segment_align: 8
    .kernarg_segment_size: 112
    .language:       OpenCL C
    .language_version:
      - 2
      - 0
    .max_flat_workgroup_size: 256
    .name:           _ZN7rocprim17ROCPRIM_400000_NS6detail17trampoline_kernelINS0_14default_configENS1_27scan_by_key_config_selectorIssEEZZNS1_16scan_by_key_implILNS1_25lookback_scan_determinismE0ELb0ES3_N6thrust23THRUST_200600_302600_NS6detail15normal_iteratorINS9_10device_ptrIsEEEESE_SE_sNS9_10multipliesIsEENS9_8equal_toIsEEsEE10hipError_tPvRmT2_T3_T4_T5_mT6_T7_P12ihipStream_tbENKUlT_T0_E_clISt17integral_constantIbLb0EESY_IbLb1EEEEDaSU_SV_EUlSU_E_NS1_11comp_targetILNS1_3genE3ELNS1_11target_archE908ELNS1_3gpuE7ELNS1_3repE0EEENS1_30default_config_static_selectorELNS0_4arch9wavefront6targetE1EEEvT1_
    .private_segment_fixed_size: 0
    .sgpr_count:     4
    .sgpr_spill_count: 0
    .symbol:         _ZN7rocprim17ROCPRIM_400000_NS6detail17trampoline_kernelINS0_14default_configENS1_27scan_by_key_config_selectorIssEEZZNS1_16scan_by_key_implILNS1_25lookback_scan_determinismE0ELb0ES3_N6thrust23THRUST_200600_302600_NS6detail15normal_iteratorINS9_10device_ptrIsEEEESE_SE_sNS9_10multipliesIsEENS9_8equal_toIsEEsEE10hipError_tPvRmT2_T3_T4_T5_mT6_T7_P12ihipStream_tbENKUlT_T0_E_clISt17integral_constantIbLb0EESY_IbLb1EEEEDaSU_SV_EUlSU_E_NS1_11comp_targetILNS1_3genE3ELNS1_11target_archE908ELNS1_3gpuE7ELNS1_3repE0EEENS1_30default_config_static_selectorELNS0_4arch9wavefront6targetE1EEEvT1_.kd
    .uniform_work_group_size: 1
    .uses_dynamic_stack: false
    .vgpr_count:     0
    .vgpr_spill_count: 0
    .wavefront_size: 64
  - .agpr_count:     0
    .args:
      - .offset:         0
        .size:           112
        .value_kind:     by_value
    .group_segment_fixed_size: 0
    .kernarg_segment_align: 8
    .kernarg_segment_size: 112
    .language:       OpenCL C
    .language_version:
      - 2
      - 0
    .max_flat_workgroup_size: 64
    .name:           _ZN7rocprim17ROCPRIM_400000_NS6detail17trampoline_kernelINS0_14default_configENS1_27scan_by_key_config_selectorIssEEZZNS1_16scan_by_key_implILNS1_25lookback_scan_determinismE0ELb0ES3_N6thrust23THRUST_200600_302600_NS6detail15normal_iteratorINS9_10device_ptrIsEEEESE_SE_sNS9_10multipliesIsEENS9_8equal_toIsEEsEE10hipError_tPvRmT2_T3_T4_T5_mT6_T7_P12ihipStream_tbENKUlT_T0_E_clISt17integral_constantIbLb0EESY_IbLb1EEEEDaSU_SV_EUlSU_E_NS1_11comp_targetILNS1_3genE2ELNS1_11target_archE906ELNS1_3gpuE6ELNS1_3repE0EEENS1_30default_config_static_selectorELNS0_4arch9wavefront6targetE1EEEvT1_
    .private_segment_fixed_size: 0
    .sgpr_count:     4
    .sgpr_spill_count: 0
    .symbol:         _ZN7rocprim17ROCPRIM_400000_NS6detail17trampoline_kernelINS0_14default_configENS1_27scan_by_key_config_selectorIssEEZZNS1_16scan_by_key_implILNS1_25lookback_scan_determinismE0ELb0ES3_N6thrust23THRUST_200600_302600_NS6detail15normal_iteratorINS9_10device_ptrIsEEEESE_SE_sNS9_10multipliesIsEENS9_8equal_toIsEEsEE10hipError_tPvRmT2_T3_T4_T5_mT6_T7_P12ihipStream_tbENKUlT_T0_E_clISt17integral_constantIbLb0EESY_IbLb1EEEEDaSU_SV_EUlSU_E_NS1_11comp_targetILNS1_3genE2ELNS1_11target_archE906ELNS1_3gpuE6ELNS1_3repE0EEENS1_30default_config_static_selectorELNS0_4arch9wavefront6targetE1EEEvT1_.kd
    .uniform_work_group_size: 1
    .uses_dynamic_stack: false
    .vgpr_count:     0
    .vgpr_spill_count: 0
    .wavefront_size: 64
  - .agpr_count:     0
    .args:
      - .offset:         0
        .size:           112
        .value_kind:     by_value
    .group_segment_fixed_size: 0
    .kernarg_segment_align: 8
    .kernarg_segment_size: 112
    .language:       OpenCL C
    .language_version:
      - 2
      - 0
    .max_flat_workgroup_size: 256
    .name:           _ZN7rocprim17ROCPRIM_400000_NS6detail17trampoline_kernelINS0_14default_configENS1_27scan_by_key_config_selectorIssEEZZNS1_16scan_by_key_implILNS1_25lookback_scan_determinismE0ELb0ES3_N6thrust23THRUST_200600_302600_NS6detail15normal_iteratorINS9_10device_ptrIsEEEESE_SE_sNS9_10multipliesIsEENS9_8equal_toIsEEsEE10hipError_tPvRmT2_T3_T4_T5_mT6_T7_P12ihipStream_tbENKUlT_T0_E_clISt17integral_constantIbLb0EESY_IbLb1EEEEDaSU_SV_EUlSU_E_NS1_11comp_targetILNS1_3genE10ELNS1_11target_archE1200ELNS1_3gpuE4ELNS1_3repE0EEENS1_30default_config_static_selectorELNS0_4arch9wavefront6targetE1EEEvT1_
    .private_segment_fixed_size: 0
    .sgpr_count:     4
    .sgpr_spill_count: 0
    .symbol:         _ZN7rocprim17ROCPRIM_400000_NS6detail17trampoline_kernelINS0_14default_configENS1_27scan_by_key_config_selectorIssEEZZNS1_16scan_by_key_implILNS1_25lookback_scan_determinismE0ELb0ES3_N6thrust23THRUST_200600_302600_NS6detail15normal_iteratorINS9_10device_ptrIsEEEESE_SE_sNS9_10multipliesIsEENS9_8equal_toIsEEsEE10hipError_tPvRmT2_T3_T4_T5_mT6_T7_P12ihipStream_tbENKUlT_T0_E_clISt17integral_constantIbLb0EESY_IbLb1EEEEDaSU_SV_EUlSU_E_NS1_11comp_targetILNS1_3genE10ELNS1_11target_archE1200ELNS1_3gpuE4ELNS1_3repE0EEENS1_30default_config_static_selectorELNS0_4arch9wavefront6targetE1EEEvT1_.kd
    .uniform_work_group_size: 1
    .uses_dynamic_stack: false
    .vgpr_count:     0
    .vgpr_spill_count: 0
    .wavefront_size: 64
  - .agpr_count:     0
    .args:
      - .offset:         0
        .size:           112
        .value_kind:     by_value
    .group_segment_fixed_size: 0
    .kernarg_segment_align: 8
    .kernarg_segment_size: 112
    .language:       OpenCL C
    .language_version:
      - 2
      - 0
    .max_flat_workgroup_size: 256
    .name:           _ZN7rocprim17ROCPRIM_400000_NS6detail17trampoline_kernelINS0_14default_configENS1_27scan_by_key_config_selectorIssEEZZNS1_16scan_by_key_implILNS1_25lookback_scan_determinismE0ELb0ES3_N6thrust23THRUST_200600_302600_NS6detail15normal_iteratorINS9_10device_ptrIsEEEESE_SE_sNS9_10multipliesIsEENS9_8equal_toIsEEsEE10hipError_tPvRmT2_T3_T4_T5_mT6_T7_P12ihipStream_tbENKUlT_T0_E_clISt17integral_constantIbLb0EESY_IbLb1EEEEDaSU_SV_EUlSU_E_NS1_11comp_targetILNS1_3genE9ELNS1_11target_archE1100ELNS1_3gpuE3ELNS1_3repE0EEENS1_30default_config_static_selectorELNS0_4arch9wavefront6targetE1EEEvT1_
    .private_segment_fixed_size: 0
    .sgpr_count:     4
    .sgpr_spill_count: 0
    .symbol:         _ZN7rocprim17ROCPRIM_400000_NS6detail17trampoline_kernelINS0_14default_configENS1_27scan_by_key_config_selectorIssEEZZNS1_16scan_by_key_implILNS1_25lookback_scan_determinismE0ELb0ES3_N6thrust23THRUST_200600_302600_NS6detail15normal_iteratorINS9_10device_ptrIsEEEESE_SE_sNS9_10multipliesIsEENS9_8equal_toIsEEsEE10hipError_tPvRmT2_T3_T4_T5_mT6_T7_P12ihipStream_tbENKUlT_T0_E_clISt17integral_constantIbLb0EESY_IbLb1EEEEDaSU_SV_EUlSU_E_NS1_11comp_targetILNS1_3genE9ELNS1_11target_archE1100ELNS1_3gpuE3ELNS1_3repE0EEENS1_30default_config_static_selectorELNS0_4arch9wavefront6targetE1EEEvT1_.kd
    .uniform_work_group_size: 1
    .uses_dynamic_stack: false
    .vgpr_count:     0
    .vgpr_spill_count: 0
    .wavefront_size: 64
  - .agpr_count:     0
    .args:
      - .offset:         0
        .size:           112
        .value_kind:     by_value
    .group_segment_fixed_size: 0
    .kernarg_segment_align: 8
    .kernarg_segment_size: 112
    .language:       OpenCL C
    .language_version:
      - 2
      - 0
    .max_flat_workgroup_size: 64
    .name:           _ZN7rocprim17ROCPRIM_400000_NS6detail17trampoline_kernelINS0_14default_configENS1_27scan_by_key_config_selectorIssEEZZNS1_16scan_by_key_implILNS1_25lookback_scan_determinismE0ELb0ES3_N6thrust23THRUST_200600_302600_NS6detail15normal_iteratorINS9_10device_ptrIsEEEESE_SE_sNS9_10multipliesIsEENS9_8equal_toIsEEsEE10hipError_tPvRmT2_T3_T4_T5_mT6_T7_P12ihipStream_tbENKUlT_T0_E_clISt17integral_constantIbLb0EESY_IbLb1EEEEDaSU_SV_EUlSU_E_NS1_11comp_targetILNS1_3genE8ELNS1_11target_archE1030ELNS1_3gpuE2ELNS1_3repE0EEENS1_30default_config_static_selectorELNS0_4arch9wavefront6targetE1EEEvT1_
    .private_segment_fixed_size: 0
    .sgpr_count:     4
    .sgpr_spill_count: 0
    .symbol:         _ZN7rocprim17ROCPRIM_400000_NS6detail17trampoline_kernelINS0_14default_configENS1_27scan_by_key_config_selectorIssEEZZNS1_16scan_by_key_implILNS1_25lookback_scan_determinismE0ELb0ES3_N6thrust23THRUST_200600_302600_NS6detail15normal_iteratorINS9_10device_ptrIsEEEESE_SE_sNS9_10multipliesIsEENS9_8equal_toIsEEsEE10hipError_tPvRmT2_T3_T4_T5_mT6_T7_P12ihipStream_tbENKUlT_T0_E_clISt17integral_constantIbLb0EESY_IbLb1EEEEDaSU_SV_EUlSU_E_NS1_11comp_targetILNS1_3genE8ELNS1_11target_archE1030ELNS1_3gpuE2ELNS1_3repE0EEENS1_30default_config_static_selectorELNS0_4arch9wavefront6targetE1EEEvT1_.kd
    .uniform_work_group_size: 1
    .uses_dynamic_stack: false
    .vgpr_count:     0
    .vgpr_spill_count: 0
    .wavefront_size: 64
  - .agpr_count:     0
    .args:
      - .offset:         0
        .size:           112
        .value_kind:     by_value
    .group_segment_fixed_size: 0
    .kernarg_segment_align: 8
    .kernarg_segment_size: 112
    .language:       OpenCL C
    .language_version:
      - 2
      - 0
    .max_flat_workgroup_size: 256
    .name:           _ZN7rocprim17ROCPRIM_400000_NS6detail17trampoline_kernelINS0_14default_configENS1_27scan_by_key_config_selectorIssEEZZNS1_16scan_by_key_implILNS1_25lookback_scan_determinismE0ELb0ES3_N6thrust23THRUST_200600_302600_NS6detail15normal_iteratorINS9_10device_ptrIsEEEESE_SE_sNS9_4plusIvEENS9_8equal_toIsEEsEE10hipError_tPvRmT2_T3_T4_T5_mT6_T7_P12ihipStream_tbENKUlT_T0_E_clISt17integral_constantIbLb0EESZ_EEDaSU_SV_EUlSU_E_NS1_11comp_targetILNS1_3genE0ELNS1_11target_archE4294967295ELNS1_3gpuE0ELNS1_3repE0EEENS1_30default_config_static_selectorELNS0_4arch9wavefront6targetE1EEEvT1_
    .private_segment_fixed_size: 0
    .sgpr_count:     4
    .sgpr_spill_count: 0
    .symbol:         _ZN7rocprim17ROCPRIM_400000_NS6detail17trampoline_kernelINS0_14default_configENS1_27scan_by_key_config_selectorIssEEZZNS1_16scan_by_key_implILNS1_25lookback_scan_determinismE0ELb0ES3_N6thrust23THRUST_200600_302600_NS6detail15normal_iteratorINS9_10device_ptrIsEEEESE_SE_sNS9_4plusIvEENS9_8equal_toIsEEsEE10hipError_tPvRmT2_T3_T4_T5_mT6_T7_P12ihipStream_tbENKUlT_T0_E_clISt17integral_constantIbLb0EESZ_EEDaSU_SV_EUlSU_E_NS1_11comp_targetILNS1_3genE0ELNS1_11target_archE4294967295ELNS1_3gpuE0ELNS1_3repE0EEENS1_30default_config_static_selectorELNS0_4arch9wavefront6targetE1EEEvT1_.kd
    .uniform_work_group_size: 1
    .uses_dynamic_stack: false
    .vgpr_count:     0
    .vgpr_spill_count: 0
    .wavefront_size: 64
  - .agpr_count:     0
    .args:
      - .offset:         0
        .size:           112
        .value_kind:     by_value
    .group_segment_fixed_size: 0
    .kernarg_segment_align: 8
    .kernarg_segment_size: 112
    .language:       OpenCL C
    .language_version:
      - 2
      - 0
    .max_flat_workgroup_size: 128
    .name:           _ZN7rocprim17ROCPRIM_400000_NS6detail17trampoline_kernelINS0_14default_configENS1_27scan_by_key_config_selectorIssEEZZNS1_16scan_by_key_implILNS1_25lookback_scan_determinismE0ELb0ES3_N6thrust23THRUST_200600_302600_NS6detail15normal_iteratorINS9_10device_ptrIsEEEESE_SE_sNS9_4plusIvEENS9_8equal_toIsEEsEE10hipError_tPvRmT2_T3_T4_T5_mT6_T7_P12ihipStream_tbENKUlT_T0_E_clISt17integral_constantIbLb0EESZ_EEDaSU_SV_EUlSU_E_NS1_11comp_targetILNS1_3genE10ELNS1_11target_archE1201ELNS1_3gpuE5ELNS1_3repE0EEENS1_30default_config_static_selectorELNS0_4arch9wavefront6targetE1EEEvT1_
    .private_segment_fixed_size: 0
    .sgpr_count:     4
    .sgpr_spill_count: 0
    .symbol:         _ZN7rocprim17ROCPRIM_400000_NS6detail17trampoline_kernelINS0_14default_configENS1_27scan_by_key_config_selectorIssEEZZNS1_16scan_by_key_implILNS1_25lookback_scan_determinismE0ELb0ES3_N6thrust23THRUST_200600_302600_NS6detail15normal_iteratorINS9_10device_ptrIsEEEESE_SE_sNS9_4plusIvEENS9_8equal_toIsEEsEE10hipError_tPvRmT2_T3_T4_T5_mT6_T7_P12ihipStream_tbENKUlT_T0_E_clISt17integral_constantIbLb0EESZ_EEDaSU_SV_EUlSU_E_NS1_11comp_targetILNS1_3genE10ELNS1_11target_archE1201ELNS1_3gpuE5ELNS1_3repE0EEENS1_30default_config_static_selectorELNS0_4arch9wavefront6targetE1EEEvT1_.kd
    .uniform_work_group_size: 1
    .uses_dynamic_stack: false
    .vgpr_count:     0
    .vgpr_spill_count: 0
    .wavefront_size: 64
  - .agpr_count:     0
    .args:
      - .offset:         0
        .size:           112
        .value_kind:     by_value
    .group_segment_fixed_size: 0
    .kernarg_segment_align: 8
    .kernarg_segment_size: 112
    .language:       OpenCL C
    .language_version:
      - 2
      - 0
    .max_flat_workgroup_size: 256
    .name:           _ZN7rocprim17ROCPRIM_400000_NS6detail17trampoline_kernelINS0_14default_configENS1_27scan_by_key_config_selectorIssEEZZNS1_16scan_by_key_implILNS1_25lookback_scan_determinismE0ELb0ES3_N6thrust23THRUST_200600_302600_NS6detail15normal_iteratorINS9_10device_ptrIsEEEESE_SE_sNS9_4plusIvEENS9_8equal_toIsEEsEE10hipError_tPvRmT2_T3_T4_T5_mT6_T7_P12ihipStream_tbENKUlT_T0_E_clISt17integral_constantIbLb0EESZ_EEDaSU_SV_EUlSU_E_NS1_11comp_targetILNS1_3genE5ELNS1_11target_archE942ELNS1_3gpuE9ELNS1_3repE0EEENS1_30default_config_static_selectorELNS0_4arch9wavefront6targetE1EEEvT1_
    .private_segment_fixed_size: 0
    .sgpr_count:     4
    .sgpr_spill_count: 0
    .symbol:         _ZN7rocprim17ROCPRIM_400000_NS6detail17trampoline_kernelINS0_14default_configENS1_27scan_by_key_config_selectorIssEEZZNS1_16scan_by_key_implILNS1_25lookback_scan_determinismE0ELb0ES3_N6thrust23THRUST_200600_302600_NS6detail15normal_iteratorINS9_10device_ptrIsEEEESE_SE_sNS9_4plusIvEENS9_8equal_toIsEEsEE10hipError_tPvRmT2_T3_T4_T5_mT6_T7_P12ihipStream_tbENKUlT_T0_E_clISt17integral_constantIbLb0EESZ_EEDaSU_SV_EUlSU_E_NS1_11comp_targetILNS1_3genE5ELNS1_11target_archE942ELNS1_3gpuE9ELNS1_3repE0EEENS1_30default_config_static_selectorELNS0_4arch9wavefront6targetE1EEEvT1_.kd
    .uniform_work_group_size: 1
    .uses_dynamic_stack: false
    .vgpr_count:     0
    .vgpr_spill_count: 0
    .wavefront_size: 64
  - .agpr_count:     0
    .args:
      - .offset:         0
        .size:           112
        .value_kind:     by_value
    .group_segment_fixed_size: 12288
    .kernarg_segment_align: 8
    .kernarg_segment_size: 112
    .language:       OpenCL C
    .language_version:
      - 2
      - 0
    .max_flat_workgroup_size: 256
    .name:           _ZN7rocprim17ROCPRIM_400000_NS6detail17trampoline_kernelINS0_14default_configENS1_27scan_by_key_config_selectorIssEEZZNS1_16scan_by_key_implILNS1_25lookback_scan_determinismE0ELb0ES3_N6thrust23THRUST_200600_302600_NS6detail15normal_iteratorINS9_10device_ptrIsEEEESE_SE_sNS9_4plusIvEENS9_8equal_toIsEEsEE10hipError_tPvRmT2_T3_T4_T5_mT6_T7_P12ihipStream_tbENKUlT_T0_E_clISt17integral_constantIbLb0EESZ_EEDaSU_SV_EUlSU_E_NS1_11comp_targetILNS1_3genE4ELNS1_11target_archE910ELNS1_3gpuE8ELNS1_3repE0EEENS1_30default_config_static_selectorELNS0_4arch9wavefront6targetE1EEEvT1_
    .private_segment_fixed_size: 0
    .sgpr_count:     82
    .sgpr_spill_count: 0
    .symbol:         _ZN7rocprim17ROCPRIM_400000_NS6detail17trampoline_kernelINS0_14default_configENS1_27scan_by_key_config_selectorIssEEZZNS1_16scan_by_key_implILNS1_25lookback_scan_determinismE0ELb0ES3_N6thrust23THRUST_200600_302600_NS6detail15normal_iteratorINS9_10device_ptrIsEEEESE_SE_sNS9_4plusIvEENS9_8equal_toIsEEsEE10hipError_tPvRmT2_T3_T4_T5_mT6_T7_P12ihipStream_tbENKUlT_T0_E_clISt17integral_constantIbLb0EESZ_EEDaSU_SV_EUlSU_E_NS1_11comp_targetILNS1_3genE4ELNS1_11target_archE910ELNS1_3gpuE8ELNS1_3repE0EEENS1_30default_config_static_selectorELNS0_4arch9wavefront6targetE1EEEvT1_.kd
    .uniform_work_group_size: 1
    .uses_dynamic_stack: false
    .vgpr_count:     58
    .vgpr_spill_count: 0
    .wavefront_size: 64
  - .agpr_count:     0
    .args:
      - .offset:         0
        .size:           112
        .value_kind:     by_value
    .group_segment_fixed_size: 0
    .kernarg_segment_align: 8
    .kernarg_segment_size: 112
    .language:       OpenCL C
    .language_version:
      - 2
      - 0
    .max_flat_workgroup_size: 256
    .name:           _ZN7rocprim17ROCPRIM_400000_NS6detail17trampoline_kernelINS0_14default_configENS1_27scan_by_key_config_selectorIssEEZZNS1_16scan_by_key_implILNS1_25lookback_scan_determinismE0ELb0ES3_N6thrust23THRUST_200600_302600_NS6detail15normal_iteratorINS9_10device_ptrIsEEEESE_SE_sNS9_4plusIvEENS9_8equal_toIsEEsEE10hipError_tPvRmT2_T3_T4_T5_mT6_T7_P12ihipStream_tbENKUlT_T0_E_clISt17integral_constantIbLb0EESZ_EEDaSU_SV_EUlSU_E_NS1_11comp_targetILNS1_3genE3ELNS1_11target_archE908ELNS1_3gpuE7ELNS1_3repE0EEENS1_30default_config_static_selectorELNS0_4arch9wavefront6targetE1EEEvT1_
    .private_segment_fixed_size: 0
    .sgpr_count:     4
    .sgpr_spill_count: 0
    .symbol:         _ZN7rocprim17ROCPRIM_400000_NS6detail17trampoline_kernelINS0_14default_configENS1_27scan_by_key_config_selectorIssEEZZNS1_16scan_by_key_implILNS1_25lookback_scan_determinismE0ELb0ES3_N6thrust23THRUST_200600_302600_NS6detail15normal_iteratorINS9_10device_ptrIsEEEESE_SE_sNS9_4plusIvEENS9_8equal_toIsEEsEE10hipError_tPvRmT2_T3_T4_T5_mT6_T7_P12ihipStream_tbENKUlT_T0_E_clISt17integral_constantIbLb0EESZ_EEDaSU_SV_EUlSU_E_NS1_11comp_targetILNS1_3genE3ELNS1_11target_archE908ELNS1_3gpuE7ELNS1_3repE0EEENS1_30default_config_static_selectorELNS0_4arch9wavefront6targetE1EEEvT1_.kd
    .uniform_work_group_size: 1
    .uses_dynamic_stack: false
    .vgpr_count:     0
    .vgpr_spill_count: 0
    .wavefront_size: 64
  - .agpr_count:     0
    .args:
      - .offset:         0
        .size:           112
        .value_kind:     by_value
    .group_segment_fixed_size: 0
    .kernarg_segment_align: 8
    .kernarg_segment_size: 112
    .language:       OpenCL C
    .language_version:
      - 2
      - 0
    .max_flat_workgroup_size: 64
    .name:           _ZN7rocprim17ROCPRIM_400000_NS6detail17trampoline_kernelINS0_14default_configENS1_27scan_by_key_config_selectorIssEEZZNS1_16scan_by_key_implILNS1_25lookback_scan_determinismE0ELb0ES3_N6thrust23THRUST_200600_302600_NS6detail15normal_iteratorINS9_10device_ptrIsEEEESE_SE_sNS9_4plusIvEENS9_8equal_toIsEEsEE10hipError_tPvRmT2_T3_T4_T5_mT6_T7_P12ihipStream_tbENKUlT_T0_E_clISt17integral_constantIbLb0EESZ_EEDaSU_SV_EUlSU_E_NS1_11comp_targetILNS1_3genE2ELNS1_11target_archE906ELNS1_3gpuE6ELNS1_3repE0EEENS1_30default_config_static_selectorELNS0_4arch9wavefront6targetE1EEEvT1_
    .private_segment_fixed_size: 0
    .sgpr_count:     4
    .sgpr_spill_count: 0
    .symbol:         _ZN7rocprim17ROCPRIM_400000_NS6detail17trampoline_kernelINS0_14default_configENS1_27scan_by_key_config_selectorIssEEZZNS1_16scan_by_key_implILNS1_25lookback_scan_determinismE0ELb0ES3_N6thrust23THRUST_200600_302600_NS6detail15normal_iteratorINS9_10device_ptrIsEEEESE_SE_sNS9_4plusIvEENS9_8equal_toIsEEsEE10hipError_tPvRmT2_T3_T4_T5_mT6_T7_P12ihipStream_tbENKUlT_T0_E_clISt17integral_constantIbLb0EESZ_EEDaSU_SV_EUlSU_E_NS1_11comp_targetILNS1_3genE2ELNS1_11target_archE906ELNS1_3gpuE6ELNS1_3repE0EEENS1_30default_config_static_selectorELNS0_4arch9wavefront6targetE1EEEvT1_.kd
    .uniform_work_group_size: 1
    .uses_dynamic_stack: false
    .vgpr_count:     0
    .vgpr_spill_count: 0
    .wavefront_size: 64
  - .agpr_count:     0
    .args:
      - .offset:         0
        .size:           112
        .value_kind:     by_value
    .group_segment_fixed_size: 0
    .kernarg_segment_align: 8
    .kernarg_segment_size: 112
    .language:       OpenCL C
    .language_version:
      - 2
      - 0
    .max_flat_workgroup_size: 256
    .name:           _ZN7rocprim17ROCPRIM_400000_NS6detail17trampoline_kernelINS0_14default_configENS1_27scan_by_key_config_selectorIssEEZZNS1_16scan_by_key_implILNS1_25lookback_scan_determinismE0ELb0ES3_N6thrust23THRUST_200600_302600_NS6detail15normal_iteratorINS9_10device_ptrIsEEEESE_SE_sNS9_4plusIvEENS9_8equal_toIsEEsEE10hipError_tPvRmT2_T3_T4_T5_mT6_T7_P12ihipStream_tbENKUlT_T0_E_clISt17integral_constantIbLb0EESZ_EEDaSU_SV_EUlSU_E_NS1_11comp_targetILNS1_3genE10ELNS1_11target_archE1200ELNS1_3gpuE4ELNS1_3repE0EEENS1_30default_config_static_selectorELNS0_4arch9wavefront6targetE1EEEvT1_
    .private_segment_fixed_size: 0
    .sgpr_count:     4
    .sgpr_spill_count: 0
    .symbol:         _ZN7rocprim17ROCPRIM_400000_NS6detail17trampoline_kernelINS0_14default_configENS1_27scan_by_key_config_selectorIssEEZZNS1_16scan_by_key_implILNS1_25lookback_scan_determinismE0ELb0ES3_N6thrust23THRUST_200600_302600_NS6detail15normal_iteratorINS9_10device_ptrIsEEEESE_SE_sNS9_4plusIvEENS9_8equal_toIsEEsEE10hipError_tPvRmT2_T3_T4_T5_mT6_T7_P12ihipStream_tbENKUlT_T0_E_clISt17integral_constantIbLb0EESZ_EEDaSU_SV_EUlSU_E_NS1_11comp_targetILNS1_3genE10ELNS1_11target_archE1200ELNS1_3gpuE4ELNS1_3repE0EEENS1_30default_config_static_selectorELNS0_4arch9wavefront6targetE1EEEvT1_.kd
    .uniform_work_group_size: 1
    .uses_dynamic_stack: false
    .vgpr_count:     0
    .vgpr_spill_count: 0
    .wavefront_size: 64
  - .agpr_count:     0
    .args:
      - .offset:         0
        .size:           112
        .value_kind:     by_value
    .group_segment_fixed_size: 0
    .kernarg_segment_align: 8
    .kernarg_segment_size: 112
    .language:       OpenCL C
    .language_version:
      - 2
      - 0
    .max_flat_workgroup_size: 256
    .name:           _ZN7rocprim17ROCPRIM_400000_NS6detail17trampoline_kernelINS0_14default_configENS1_27scan_by_key_config_selectorIssEEZZNS1_16scan_by_key_implILNS1_25lookback_scan_determinismE0ELb0ES3_N6thrust23THRUST_200600_302600_NS6detail15normal_iteratorINS9_10device_ptrIsEEEESE_SE_sNS9_4plusIvEENS9_8equal_toIsEEsEE10hipError_tPvRmT2_T3_T4_T5_mT6_T7_P12ihipStream_tbENKUlT_T0_E_clISt17integral_constantIbLb0EESZ_EEDaSU_SV_EUlSU_E_NS1_11comp_targetILNS1_3genE9ELNS1_11target_archE1100ELNS1_3gpuE3ELNS1_3repE0EEENS1_30default_config_static_selectorELNS0_4arch9wavefront6targetE1EEEvT1_
    .private_segment_fixed_size: 0
    .sgpr_count:     4
    .sgpr_spill_count: 0
    .symbol:         _ZN7rocprim17ROCPRIM_400000_NS6detail17trampoline_kernelINS0_14default_configENS1_27scan_by_key_config_selectorIssEEZZNS1_16scan_by_key_implILNS1_25lookback_scan_determinismE0ELb0ES3_N6thrust23THRUST_200600_302600_NS6detail15normal_iteratorINS9_10device_ptrIsEEEESE_SE_sNS9_4plusIvEENS9_8equal_toIsEEsEE10hipError_tPvRmT2_T3_T4_T5_mT6_T7_P12ihipStream_tbENKUlT_T0_E_clISt17integral_constantIbLb0EESZ_EEDaSU_SV_EUlSU_E_NS1_11comp_targetILNS1_3genE9ELNS1_11target_archE1100ELNS1_3gpuE3ELNS1_3repE0EEENS1_30default_config_static_selectorELNS0_4arch9wavefront6targetE1EEEvT1_.kd
    .uniform_work_group_size: 1
    .uses_dynamic_stack: false
    .vgpr_count:     0
    .vgpr_spill_count: 0
    .wavefront_size: 64
  - .agpr_count:     0
    .args:
      - .offset:         0
        .size:           112
        .value_kind:     by_value
    .group_segment_fixed_size: 0
    .kernarg_segment_align: 8
    .kernarg_segment_size: 112
    .language:       OpenCL C
    .language_version:
      - 2
      - 0
    .max_flat_workgroup_size: 64
    .name:           _ZN7rocprim17ROCPRIM_400000_NS6detail17trampoline_kernelINS0_14default_configENS1_27scan_by_key_config_selectorIssEEZZNS1_16scan_by_key_implILNS1_25lookback_scan_determinismE0ELb0ES3_N6thrust23THRUST_200600_302600_NS6detail15normal_iteratorINS9_10device_ptrIsEEEESE_SE_sNS9_4plusIvEENS9_8equal_toIsEEsEE10hipError_tPvRmT2_T3_T4_T5_mT6_T7_P12ihipStream_tbENKUlT_T0_E_clISt17integral_constantIbLb0EESZ_EEDaSU_SV_EUlSU_E_NS1_11comp_targetILNS1_3genE8ELNS1_11target_archE1030ELNS1_3gpuE2ELNS1_3repE0EEENS1_30default_config_static_selectorELNS0_4arch9wavefront6targetE1EEEvT1_
    .private_segment_fixed_size: 0
    .sgpr_count:     4
    .sgpr_spill_count: 0
    .symbol:         _ZN7rocprim17ROCPRIM_400000_NS6detail17trampoline_kernelINS0_14default_configENS1_27scan_by_key_config_selectorIssEEZZNS1_16scan_by_key_implILNS1_25lookback_scan_determinismE0ELb0ES3_N6thrust23THRUST_200600_302600_NS6detail15normal_iteratorINS9_10device_ptrIsEEEESE_SE_sNS9_4plusIvEENS9_8equal_toIsEEsEE10hipError_tPvRmT2_T3_T4_T5_mT6_T7_P12ihipStream_tbENKUlT_T0_E_clISt17integral_constantIbLb0EESZ_EEDaSU_SV_EUlSU_E_NS1_11comp_targetILNS1_3genE8ELNS1_11target_archE1030ELNS1_3gpuE2ELNS1_3repE0EEENS1_30default_config_static_selectorELNS0_4arch9wavefront6targetE1EEEvT1_.kd
    .uniform_work_group_size: 1
    .uses_dynamic_stack: false
    .vgpr_count:     0
    .vgpr_spill_count: 0
    .wavefront_size: 64
  - .agpr_count:     0
    .args:
      - .offset:         0
        .size:           112
        .value_kind:     by_value
    .group_segment_fixed_size: 0
    .kernarg_segment_align: 8
    .kernarg_segment_size: 112
    .language:       OpenCL C
    .language_version:
      - 2
      - 0
    .max_flat_workgroup_size: 256
    .name:           _ZN7rocprim17ROCPRIM_400000_NS6detail17trampoline_kernelINS0_14default_configENS1_27scan_by_key_config_selectorIssEEZZNS1_16scan_by_key_implILNS1_25lookback_scan_determinismE0ELb0ES3_N6thrust23THRUST_200600_302600_NS6detail15normal_iteratorINS9_10device_ptrIsEEEESE_SE_sNS9_4plusIvEENS9_8equal_toIsEEsEE10hipError_tPvRmT2_T3_T4_T5_mT6_T7_P12ihipStream_tbENKUlT_T0_E_clISt17integral_constantIbLb1EESZ_EEDaSU_SV_EUlSU_E_NS1_11comp_targetILNS1_3genE0ELNS1_11target_archE4294967295ELNS1_3gpuE0ELNS1_3repE0EEENS1_30default_config_static_selectorELNS0_4arch9wavefront6targetE1EEEvT1_
    .private_segment_fixed_size: 0
    .sgpr_count:     4
    .sgpr_spill_count: 0
    .symbol:         _ZN7rocprim17ROCPRIM_400000_NS6detail17trampoline_kernelINS0_14default_configENS1_27scan_by_key_config_selectorIssEEZZNS1_16scan_by_key_implILNS1_25lookback_scan_determinismE0ELb0ES3_N6thrust23THRUST_200600_302600_NS6detail15normal_iteratorINS9_10device_ptrIsEEEESE_SE_sNS9_4plusIvEENS9_8equal_toIsEEsEE10hipError_tPvRmT2_T3_T4_T5_mT6_T7_P12ihipStream_tbENKUlT_T0_E_clISt17integral_constantIbLb1EESZ_EEDaSU_SV_EUlSU_E_NS1_11comp_targetILNS1_3genE0ELNS1_11target_archE4294967295ELNS1_3gpuE0ELNS1_3repE0EEENS1_30default_config_static_selectorELNS0_4arch9wavefront6targetE1EEEvT1_.kd
    .uniform_work_group_size: 1
    .uses_dynamic_stack: false
    .vgpr_count:     0
    .vgpr_spill_count: 0
    .wavefront_size: 64
  - .agpr_count:     0
    .args:
      - .offset:         0
        .size:           112
        .value_kind:     by_value
    .group_segment_fixed_size: 0
    .kernarg_segment_align: 8
    .kernarg_segment_size: 112
    .language:       OpenCL C
    .language_version:
      - 2
      - 0
    .max_flat_workgroup_size: 128
    .name:           _ZN7rocprim17ROCPRIM_400000_NS6detail17trampoline_kernelINS0_14default_configENS1_27scan_by_key_config_selectorIssEEZZNS1_16scan_by_key_implILNS1_25lookback_scan_determinismE0ELb0ES3_N6thrust23THRUST_200600_302600_NS6detail15normal_iteratorINS9_10device_ptrIsEEEESE_SE_sNS9_4plusIvEENS9_8equal_toIsEEsEE10hipError_tPvRmT2_T3_T4_T5_mT6_T7_P12ihipStream_tbENKUlT_T0_E_clISt17integral_constantIbLb1EESZ_EEDaSU_SV_EUlSU_E_NS1_11comp_targetILNS1_3genE10ELNS1_11target_archE1201ELNS1_3gpuE5ELNS1_3repE0EEENS1_30default_config_static_selectorELNS0_4arch9wavefront6targetE1EEEvT1_
    .private_segment_fixed_size: 0
    .sgpr_count:     4
    .sgpr_spill_count: 0
    .symbol:         _ZN7rocprim17ROCPRIM_400000_NS6detail17trampoline_kernelINS0_14default_configENS1_27scan_by_key_config_selectorIssEEZZNS1_16scan_by_key_implILNS1_25lookback_scan_determinismE0ELb0ES3_N6thrust23THRUST_200600_302600_NS6detail15normal_iteratorINS9_10device_ptrIsEEEESE_SE_sNS9_4plusIvEENS9_8equal_toIsEEsEE10hipError_tPvRmT2_T3_T4_T5_mT6_T7_P12ihipStream_tbENKUlT_T0_E_clISt17integral_constantIbLb1EESZ_EEDaSU_SV_EUlSU_E_NS1_11comp_targetILNS1_3genE10ELNS1_11target_archE1201ELNS1_3gpuE5ELNS1_3repE0EEENS1_30default_config_static_selectorELNS0_4arch9wavefront6targetE1EEEvT1_.kd
    .uniform_work_group_size: 1
    .uses_dynamic_stack: false
    .vgpr_count:     0
    .vgpr_spill_count: 0
    .wavefront_size: 64
  - .agpr_count:     0
    .args:
      - .offset:         0
        .size:           112
        .value_kind:     by_value
    .group_segment_fixed_size: 0
    .kernarg_segment_align: 8
    .kernarg_segment_size: 112
    .language:       OpenCL C
    .language_version:
      - 2
      - 0
    .max_flat_workgroup_size: 256
    .name:           _ZN7rocprim17ROCPRIM_400000_NS6detail17trampoline_kernelINS0_14default_configENS1_27scan_by_key_config_selectorIssEEZZNS1_16scan_by_key_implILNS1_25lookback_scan_determinismE0ELb0ES3_N6thrust23THRUST_200600_302600_NS6detail15normal_iteratorINS9_10device_ptrIsEEEESE_SE_sNS9_4plusIvEENS9_8equal_toIsEEsEE10hipError_tPvRmT2_T3_T4_T5_mT6_T7_P12ihipStream_tbENKUlT_T0_E_clISt17integral_constantIbLb1EESZ_EEDaSU_SV_EUlSU_E_NS1_11comp_targetILNS1_3genE5ELNS1_11target_archE942ELNS1_3gpuE9ELNS1_3repE0EEENS1_30default_config_static_selectorELNS0_4arch9wavefront6targetE1EEEvT1_
    .private_segment_fixed_size: 0
    .sgpr_count:     4
    .sgpr_spill_count: 0
    .symbol:         _ZN7rocprim17ROCPRIM_400000_NS6detail17trampoline_kernelINS0_14default_configENS1_27scan_by_key_config_selectorIssEEZZNS1_16scan_by_key_implILNS1_25lookback_scan_determinismE0ELb0ES3_N6thrust23THRUST_200600_302600_NS6detail15normal_iteratorINS9_10device_ptrIsEEEESE_SE_sNS9_4plusIvEENS9_8equal_toIsEEsEE10hipError_tPvRmT2_T3_T4_T5_mT6_T7_P12ihipStream_tbENKUlT_T0_E_clISt17integral_constantIbLb1EESZ_EEDaSU_SV_EUlSU_E_NS1_11comp_targetILNS1_3genE5ELNS1_11target_archE942ELNS1_3gpuE9ELNS1_3repE0EEENS1_30default_config_static_selectorELNS0_4arch9wavefront6targetE1EEEvT1_.kd
    .uniform_work_group_size: 1
    .uses_dynamic_stack: false
    .vgpr_count:     0
    .vgpr_spill_count: 0
    .wavefront_size: 64
  - .agpr_count:     0
    .args:
      - .offset:         0
        .size:           112
        .value_kind:     by_value
    .group_segment_fixed_size: 12288
    .kernarg_segment_align: 8
    .kernarg_segment_size: 112
    .language:       OpenCL C
    .language_version:
      - 2
      - 0
    .max_flat_workgroup_size: 256
    .name:           _ZN7rocprim17ROCPRIM_400000_NS6detail17trampoline_kernelINS0_14default_configENS1_27scan_by_key_config_selectorIssEEZZNS1_16scan_by_key_implILNS1_25lookback_scan_determinismE0ELb0ES3_N6thrust23THRUST_200600_302600_NS6detail15normal_iteratorINS9_10device_ptrIsEEEESE_SE_sNS9_4plusIvEENS9_8equal_toIsEEsEE10hipError_tPvRmT2_T3_T4_T5_mT6_T7_P12ihipStream_tbENKUlT_T0_E_clISt17integral_constantIbLb1EESZ_EEDaSU_SV_EUlSU_E_NS1_11comp_targetILNS1_3genE4ELNS1_11target_archE910ELNS1_3gpuE8ELNS1_3repE0EEENS1_30default_config_static_selectorELNS0_4arch9wavefront6targetE1EEEvT1_
    .private_segment_fixed_size: 0
    .sgpr_count:     86
    .sgpr_spill_count: 0
    .symbol:         _ZN7rocprim17ROCPRIM_400000_NS6detail17trampoline_kernelINS0_14default_configENS1_27scan_by_key_config_selectorIssEEZZNS1_16scan_by_key_implILNS1_25lookback_scan_determinismE0ELb0ES3_N6thrust23THRUST_200600_302600_NS6detail15normal_iteratorINS9_10device_ptrIsEEEESE_SE_sNS9_4plusIvEENS9_8equal_toIsEEsEE10hipError_tPvRmT2_T3_T4_T5_mT6_T7_P12ihipStream_tbENKUlT_T0_E_clISt17integral_constantIbLb1EESZ_EEDaSU_SV_EUlSU_E_NS1_11comp_targetILNS1_3genE4ELNS1_11target_archE910ELNS1_3gpuE8ELNS1_3repE0EEENS1_30default_config_static_selectorELNS0_4arch9wavefront6targetE1EEEvT1_.kd
    .uniform_work_group_size: 1
    .uses_dynamic_stack: false
    .vgpr_count:     58
    .vgpr_spill_count: 0
    .wavefront_size: 64
  - .agpr_count:     0
    .args:
      - .offset:         0
        .size:           112
        .value_kind:     by_value
    .group_segment_fixed_size: 0
    .kernarg_segment_align: 8
    .kernarg_segment_size: 112
    .language:       OpenCL C
    .language_version:
      - 2
      - 0
    .max_flat_workgroup_size: 256
    .name:           _ZN7rocprim17ROCPRIM_400000_NS6detail17trampoline_kernelINS0_14default_configENS1_27scan_by_key_config_selectorIssEEZZNS1_16scan_by_key_implILNS1_25lookback_scan_determinismE0ELb0ES3_N6thrust23THRUST_200600_302600_NS6detail15normal_iteratorINS9_10device_ptrIsEEEESE_SE_sNS9_4plusIvEENS9_8equal_toIsEEsEE10hipError_tPvRmT2_T3_T4_T5_mT6_T7_P12ihipStream_tbENKUlT_T0_E_clISt17integral_constantIbLb1EESZ_EEDaSU_SV_EUlSU_E_NS1_11comp_targetILNS1_3genE3ELNS1_11target_archE908ELNS1_3gpuE7ELNS1_3repE0EEENS1_30default_config_static_selectorELNS0_4arch9wavefront6targetE1EEEvT1_
    .private_segment_fixed_size: 0
    .sgpr_count:     4
    .sgpr_spill_count: 0
    .symbol:         _ZN7rocprim17ROCPRIM_400000_NS6detail17trampoline_kernelINS0_14default_configENS1_27scan_by_key_config_selectorIssEEZZNS1_16scan_by_key_implILNS1_25lookback_scan_determinismE0ELb0ES3_N6thrust23THRUST_200600_302600_NS6detail15normal_iteratorINS9_10device_ptrIsEEEESE_SE_sNS9_4plusIvEENS9_8equal_toIsEEsEE10hipError_tPvRmT2_T3_T4_T5_mT6_T7_P12ihipStream_tbENKUlT_T0_E_clISt17integral_constantIbLb1EESZ_EEDaSU_SV_EUlSU_E_NS1_11comp_targetILNS1_3genE3ELNS1_11target_archE908ELNS1_3gpuE7ELNS1_3repE0EEENS1_30default_config_static_selectorELNS0_4arch9wavefront6targetE1EEEvT1_.kd
    .uniform_work_group_size: 1
    .uses_dynamic_stack: false
    .vgpr_count:     0
    .vgpr_spill_count: 0
    .wavefront_size: 64
  - .agpr_count:     0
    .args:
      - .offset:         0
        .size:           112
        .value_kind:     by_value
    .group_segment_fixed_size: 0
    .kernarg_segment_align: 8
    .kernarg_segment_size: 112
    .language:       OpenCL C
    .language_version:
      - 2
      - 0
    .max_flat_workgroup_size: 64
    .name:           _ZN7rocprim17ROCPRIM_400000_NS6detail17trampoline_kernelINS0_14default_configENS1_27scan_by_key_config_selectorIssEEZZNS1_16scan_by_key_implILNS1_25lookback_scan_determinismE0ELb0ES3_N6thrust23THRUST_200600_302600_NS6detail15normal_iteratorINS9_10device_ptrIsEEEESE_SE_sNS9_4plusIvEENS9_8equal_toIsEEsEE10hipError_tPvRmT2_T3_T4_T5_mT6_T7_P12ihipStream_tbENKUlT_T0_E_clISt17integral_constantIbLb1EESZ_EEDaSU_SV_EUlSU_E_NS1_11comp_targetILNS1_3genE2ELNS1_11target_archE906ELNS1_3gpuE6ELNS1_3repE0EEENS1_30default_config_static_selectorELNS0_4arch9wavefront6targetE1EEEvT1_
    .private_segment_fixed_size: 0
    .sgpr_count:     4
    .sgpr_spill_count: 0
    .symbol:         _ZN7rocprim17ROCPRIM_400000_NS6detail17trampoline_kernelINS0_14default_configENS1_27scan_by_key_config_selectorIssEEZZNS1_16scan_by_key_implILNS1_25lookback_scan_determinismE0ELb0ES3_N6thrust23THRUST_200600_302600_NS6detail15normal_iteratorINS9_10device_ptrIsEEEESE_SE_sNS9_4plusIvEENS9_8equal_toIsEEsEE10hipError_tPvRmT2_T3_T4_T5_mT6_T7_P12ihipStream_tbENKUlT_T0_E_clISt17integral_constantIbLb1EESZ_EEDaSU_SV_EUlSU_E_NS1_11comp_targetILNS1_3genE2ELNS1_11target_archE906ELNS1_3gpuE6ELNS1_3repE0EEENS1_30default_config_static_selectorELNS0_4arch9wavefront6targetE1EEEvT1_.kd
    .uniform_work_group_size: 1
    .uses_dynamic_stack: false
    .vgpr_count:     0
    .vgpr_spill_count: 0
    .wavefront_size: 64
  - .agpr_count:     0
    .args:
      - .offset:         0
        .size:           112
        .value_kind:     by_value
    .group_segment_fixed_size: 0
    .kernarg_segment_align: 8
    .kernarg_segment_size: 112
    .language:       OpenCL C
    .language_version:
      - 2
      - 0
    .max_flat_workgroup_size: 256
    .name:           _ZN7rocprim17ROCPRIM_400000_NS6detail17trampoline_kernelINS0_14default_configENS1_27scan_by_key_config_selectorIssEEZZNS1_16scan_by_key_implILNS1_25lookback_scan_determinismE0ELb0ES3_N6thrust23THRUST_200600_302600_NS6detail15normal_iteratorINS9_10device_ptrIsEEEESE_SE_sNS9_4plusIvEENS9_8equal_toIsEEsEE10hipError_tPvRmT2_T3_T4_T5_mT6_T7_P12ihipStream_tbENKUlT_T0_E_clISt17integral_constantIbLb1EESZ_EEDaSU_SV_EUlSU_E_NS1_11comp_targetILNS1_3genE10ELNS1_11target_archE1200ELNS1_3gpuE4ELNS1_3repE0EEENS1_30default_config_static_selectorELNS0_4arch9wavefront6targetE1EEEvT1_
    .private_segment_fixed_size: 0
    .sgpr_count:     4
    .sgpr_spill_count: 0
    .symbol:         _ZN7rocprim17ROCPRIM_400000_NS6detail17trampoline_kernelINS0_14default_configENS1_27scan_by_key_config_selectorIssEEZZNS1_16scan_by_key_implILNS1_25lookback_scan_determinismE0ELb0ES3_N6thrust23THRUST_200600_302600_NS6detail15normal_iteratorINS9_10device_ptrIsEEEESE_SE_sNS9_4plusIvEENS9_8equal_toIsEEsEE10hipError_tPvRmT2_T3_T4_T5_mT6_T7_P12ihipStream_tbENKUlT_T0_E_clISt17integral_constantIbLb1EESZ_EEDaSU_SV_EUlSU_E_NS1_11comp_targetILNS1_3genE10ELNS1_11target_archE1200ELNS1_3gpuE4ELNS1_3repE0EEENS1_30default_config_static_selectorELNS0_4arch9wavefront6targetE1EEEvT1_.kd
    .uniform_work_group_size: 1
    .uses_dynamic_stack: false
    .vgpr_count:     0
    .vgpr_spill_count: 0
    .wavefront_size: 64
  - .agpr_count:     0
    .args:
      - .offset:         0
        .size:           112
        .value_kind:     by_value
    .group_segment_fixed_size: 0
    .kernarg_segment_align: 8
    .kernarg_segment_size: 112
    .language:       OpenCL C
    .language_version:
      - 2
      - 0
    .max_flat_workgroup_size: 256
    .name:           _ZN7rocprim17ROCPRIM_400000_NS6detail17trampoline_kernelINS0_14default_configENS1_27scan_by_key_config_selectorIssEEZZNS1_16scan_by_key_implILNS1_25lookback_scan_determinismE0ELb0ES3_N6thrust23THRUST_200600_302600_NS6detail15normal_iteratorINS9_10device_ptrIsEEEESE_SE_sNS9_4plusIvEENS9_8equal_toIsEEsEE10hipError_tPvRmT2_T3_T4_T5_mT6_T7_P12ihipStream_tbENKUlT_T0_E_clISt17integral_constantIbLb1EESZ_EEDaSU_SV_EUlSU_E_NS1_11comp_targetILNS1_3genE9ELNS1_11target_archE1100ELNS1_3gpuE3ELNS1_3repE0EEENS1_30default_config_static_selectorELNS0_4arch9wavefront6targetE1EEEvT1_
    .private_segment_fixed_size: 0
    .sgpr_count:     4
    .sgpr_spill_count: 0
    .symbol:         _ZN7rocprim17ROCPRIM_400000_NS6detail17trampoline_kernelINS0_14default_configENS1_27scan_by_key_config_selectorIssEEZZNS1_16scan_by_key_implILNS1_25lookback_scan_determinismE0ELb0ES3_N6thrust23THRUST_200600_302600_NS6detail15normal_iteratorINS9_10device_ptrIsEEEESE_SE_sNS9_4plusIvEENS9_8equal_toIsEEsEE10hipError_tPvRmT2_T3_T4_T5_mT6_T7_P12ihipStream_tbENKUlT_T0_E_clISt17integral_constantIbLb1EESZ_EEDaSU_SV_EUlSU_E_NS1_11comp_targetILNS1_3genE9ELNS1_11target_archE1100ELNS1_3gpuE3ELNS1_3repE0EEENS1_30default_config_static_selectorELNS0_4arch9wavefront6targetE1EEEvT1_.kd
    .uniform_work_group_size: 1
    .uses_dynamic_stack: false
    .vgpr_count:     0
    .vgpr_spill_count: 0
    .wavefront_size: 64
  - .agpr_count:     0
    .args:
      - .offset:         0
        .size:           112
        .value_kind:     by_value
    .group_segment_fixed_size: 0
    .kernarg_segment_align: 8
    .kernarg_segment_size: 112
    .language:       OpenCL C
    .language_version:
      - 2
      - 0
    .max_flat_workgroup_size: 64
    .name:           _ZN7rocprim17ROCPRIM_400000_NS6detail17trampoline_kernelINS0_14default_configENS1_27scan_by_key_config_selectorIssEEZZNS1_16scan_by_key_implILNS1_25lookback_scan_determinismE0ELb0ES3_N6thrust23THRUST_200600_302600_NS6detail15normal_iteratorINS9_10device_ptrIsEEEESE_SE_sNS9_4plusIvEENS9_8equal_toIsEEsEE10hipError_tPvRmT2_T3_T4_T5_mT6_T7_P12ihipStream_tbENKUlT_T0_E_clISt17integral_constantIbLb1EESZ_EEDaSU_SV_EUlSU_E_NS1_11comp_targetILNS1_3genE8ELNS1_11target_archE1030ELNS1_3gpuE2ELNS1_3repE0EEENS1_30default_config_static_selectorELNS0_4arch9wavefront6targetE1EEEvT1_
    .private_segment_fixed_size: 0
    .sgpr_count:     4
    .sgpr_spill_count: 0
    .symbol:         _ZN7rocprim17ROCPRIM_400000_NS6detail17trampoline_kernelINS0_14default_configENS1_27scan_by_key_config_selectorIssEEZZNS1_16scan_by_key_implILNS1_25lookback_scan_determinismE0ELb0ES3_N6thrust23THRUST_200600_302600_NS6detail15normal_iteratorINS9_10device_ptrIsEEEESE_SE_sNS9_4plusIvEENS9_8equal_toIsEEsEE10hipError_tPvRmT2_T3_T4_T5_mT6_T7_P12ihipStream_tbENKUlT_T0_E_clISt17integral_constantIbLb1EESZ_EEDaSU_SV_EUlSU_E_NS1_11comp_targetILNS1_3genE8ELNS1_11target_archE1030ELNS1_3gpuE2ELNS1_3repE0EEENS1_30default_config_static_selectorELNS0_4arch9wavefront6targetE1EEEvT1_.kd
    .uniform_work_group_size: 1
    .uses_dynamic_stack: false
    .vgpr_count:     0
    .vgpr_spill_count: 0
    .wavefront_size: 64
  - .agpr_count:     0
    .args:
      - .offset:         0
        .size:           112
        .value_kind:     by_value
    .group_segment_fixed_size: 0
    .kernarg_segment_align: 8
    .kernarg_segment_size: 112
    .language:       OpenCL C
    .language_version:
      - 2
      - 0
    .max_flat_workgroup_size: 256
    .name:           _ZN7rocprim17ROCPRIM_400000_NS6detail17trampoline_kernelINS0_14default_configENS1_27scan_by_key_config_selectorIssEEZZNS1_16scan_by_key_implILNS1_25lookback_scan_determinismE0ELb0ES3_N6thrust23THRUST_200600_302600_NS6detail15normal_iteratorINS9_10device_ptrIsEEEESE_SE_sNS9_4plusIvEENS9_8equal_toIsEEsEE10hipError_tPvRmT2_T3_T4_T5_mT6_T7_P12ihipStream_tbENKUlT_T0_E_clISt17integral_constantIbLb1EESY_IbLb0EEEEDaSU_SV_EUlSU_E_NS1_11comp_targetILNS1_3genE0ELNS1_11target_archE4294967295ELNS1_3gpuE0ELNS1_3repE0EEENS1_30default_config_static_selectorELNS0_4arch9wavefront6targetE1EEEvT1_
    .private_segment_fixed_size: 0
    .sgpr_count:     4
    .sgpr_spill_count: 0
    .symbol:         _ZN7rocprim17ROCPRIM_400000_NS6detail17trampoline_kernelINS0_14default_configENS1_27scan_by_key_config_selectorIssEEZZNS1_16scan_by_key_implILNS1_25lookback_scan_determinismE0ELb0ES3_N6thrust23THRUST_200600_302600_NS6detail15normal_iteratorINS9_10device_ptrIsEEEESE_SE_sNS9_4plusIvEENS9_8equal_toIsEEsEE10hipError_tPvRmT2_T3_T4_T5_mT6_T7_P12ihipStream_tbENKUlT_T0_E_clISt17integral_constantIbLb1EESY_IbLb0EEEEDaSU_SV_EUlSU_E_NS1_11comp_targetILNS1_3genE0ELNS1_11target_archE4294967295ELNS1_3gpuE0ELNS1_3repE0EEENS1_30default_config_static_selectorELNS0_4arch9wavefront6targetE1EEEvT1_.kd
    .uniform_work_group_size: 1
    .uses_dynamic_stack: false
    .vgpr_count:     0
    .vgpr_spill_count: 0
    .wavefront_size: 64
  - .agpr_count:     0
    .args:
      - .offset:         0
        .size:           112
        .value_kind:     by_value
    .group_segment_fixed_size: 0
    .kernarg_segment_align: 8
    .kernarg_segment_size: 112
    .language:       OpenCL C
    .language_version:
      - 2
      - 0
    .max_flat_workgroup_size: 128
    .name:           _ZN7rocprim17ROCPRIM_400000_NS6detail17trampoline_kernelINS0_14default_configENS1_27scan_by_key_config_selectorIssEEZZNS1_16scan_by_key_implILNS1_25lookback_scan_determinismE0ELb0ES3_N6thrust23THRUST_200600_302600_NS6detail15normal_iteratorINS9_10device_ptrIsEEEESE_SE_sNS9_4plusIvEENS9_8equal_toIsEEsEE10hipError_tPvRmT2_T3_T4_T5_mT6_T7_P12ihipStream_tbENKUlT_T0_E_clISt17integral_constantIbLb1EESY_IbLb0EEEEDaSU_SV_EUlSU_E_NS1_11comp_targetILNS1_3genE10ELNS1_11target_archE1201ELNS1_3gpuE5ELNS1_3repE0EEENS1_30default_config_static_selectorELNS0_4arch9wavefront6targetE1EEEvT1_
    .private_segment_fixed_size: 0
    .sgpr_count:     4
    .sgpr_spill_count: 0
    .symbol:         _ZN7rocprim17ROCPRIM_400000_NS6detail17trampoline_kernelINS0_14default_configENS1_27scan_by_key_config_selectorIssEEZZNS1_16scan_by_key_implILNS1_25lookback_scan_determinismE0ELb0ES3_N6thrust23THRUST_200600_302600_NS6detail15normal_iteratorINS9_10device_ptrIsEEEESE_SE_sNS9_4plusIvEENS9_8equal_toIsEEsEE10hipError_tPvRmT2_T3_T4_T5_mT6_T7_P12ihipStream_tbENKUlT_T0_E_clISt17integral_constantIbLb1EESY_IbLb0EEEEDaSU_SV_EUlSU_E_NS1_11comp_targetILNS1_3genE10ELNS1_11target_archE1201ELNS1_3gpuE5ELNS1_3repE0EEENS1_30default_config_static_selectorELNS0_4arch9wavefront6targetE1EEEvT1_.kd
    .uniform_work_group_size: 1
    .uses_dynamic_stack: false
    .vgpr_count:     0
    .vgpr_spill_count: 0
    .wavefront_size: 64
  - .agpr_count:     0
    .args:
      - .offset:         0
        .size:           112
        .value_kind:     by_value
    .group_segment_fixed_size: 0
    .kernarg_segment_align: 8
    .kernarg_segment_size: 112
    .language:       OpenCL C
    .language_version:
      - 2
      - 0
    .max_flat_workgroup_size: 256
    .name:           _ZN7rocprim17ROCPRIM_400000_NS6detail17trampoline_kernelINS0_14default_configENS1_27scan_by_key_config_selectorIssEEZZNS1_16scan_by_key_implILNS1_25lookback_scan_determinismE0ELb0ES3_N6thrust23THRUST_200600_302600_NS6detail15normal_iteratorINS9_10device_ptrIsEEEESE_SE_sNS9_4plusIvEENS9_8equal_toIsEEsEE10hipError_tPvRmT2_T3_T4_T5_mT6_T7_P12ihipStream_tbENKUlT_T0_E_clISt17integral_constantIbLb1EESY_IbLb0EEEEDaSU_SV_EUlSU_E_NS1_11comp_targetILNS1_3genE5ELNS1_11target_archE942ELNS1_3gpuE9ELNS1_3repE0EEENS1_30default_config_static_selectorELNS0_4arch9wavefront6targetE1EEEvT1_
    .private_segment_fixed_size: 0
    .sgpr_count:     4
    .sgpr_spill_count: 0
    .symbol:         _ZN7rocprim17ROCPRIM_400000_NS6detail17trampoline_kernelINS0_14default_configENS1_27scan_by_key_config_selectorIssEEZZNS1_16scan_by_key_implILNS1_25lookback_scan_determinismE0ELb0ES3_N6thrust23THRUST_200600_302600_NS6detail15normal_iteratorINS9_10device_ptrIsEEEESE_SE_sNS9_4plusIvEENS9_8equal_toIsEEsEE10hipError_tPvRmT2_T3_T4_T5_mT6_T7_P12ihipStream_tbENKUlT_T0_E_clISt17integral_constantIbLb1EESY_IbLb0EEEEDaSU_SV_EUlSU_E_NS1_11comp_targetILNS1_3genE5ELNS1_11target_archE942ELNS1_3gpuE9ELNS1_3repE0EEENS1_30default_config_static_selectorELNS0_4arch9wavefront6targetE1EEEvT1_.kd
    .uniform_work_group_size: 1
    .uses_dynamic_stack: false
    .vgpr_count:     0
    .vgpr_spill_count: 0
    .wavefront_size: 64
  - .agpr_count:     0
    .args:
      - .offset:         0
        .size:           112
        .value_kind:     by_value
    .group_segment_fixed_size: 12288
    .kernarg_segment_align: 8
    .kernarg_segment_size: 112
    .language:       OpenCL C
    .language_version:
      - 2
      - 0
    .max_flat_workgroup_size: 256
    .name:           _ZN7rocprim17ROCPRIM_400000_NS6detail17trampoline_kernelINS0_14default_configENS1_27scan_by_key_config_selectorIssEEZZNS1_16scan_by_key_implILNS1_25lookback_scan_determinismE0ELb0ES3_N6thrust23THRUST_200600_302600_NS6detail15normal_iteratorINS9_10device_ptrIsEEEESE_SE_sNS9_4plusIvEENS9_8equal_toIsEEsEE10hipError_tPvRmT2_T3_T4_T5_mT6_T7_P12ihipStream_tbENKUlT_T0_E_clISt17integral_constantIbLb1EESY_IbLb0EEEEDaSU_SV_EUlSU_E_NS1_11comp_targetILNS1_3genE4ELNS1_11target_archE910ELNS1_3gpuE8ELNS1_3repE0EEENS1_30default_config_static_selectorELNS0_4arch9wavefront6targetE1EEEvT1_
    .private_segment_fixed_size: 0
    .sgpr_count:     82
    .sgpr_spill_count: 0
    .symbol:         _ZN7rocprim17ROCPRIM_400000_NS6detail17trampoline_kernelINS0_14default_configENS1_27scan_by_key_config_selectorIssEEZZNS1_16scan_by_key_implILNS1_25lookback_scan_determinismE0ELb0ES3_N6thrust23THRUST_200600_302600_NS6detail15normal_iteratorINS9_10device_ptrIsEEEESE_SE_sNS9_4plusIvEENS9_8equal_toIsEEsEE10hipError_tPvRmT2_T3_T4_T5_mT6_T7_P12ihipStream_tbENKUlT_T0_E_clISt17integral_constantIbLb1EESY_IbLb0EEEEDaSU_SV_EUlSU_E_NS1_11comp_targetILNS1_3genE4ELNS1_11target_archE910ELNS1_3gpuE8ELNS1_3repE0EEENS1_30default_config_static_selectorELNS0_4arch9wavefront6targetE1EEEvT1_.kd
    .uniform_work_group_size: 1
    .uses_dynamic_stack: false
    .vgpr_count:     58
    .vgpr_spill_count: 0
    .wavefront_size: 64
  - .agpr_count:     0
    .args:
      - .offset:         0
        .size:           112
        .value_kind:     by_value
    .group_segment_fixed_size: 0
    .kernarg_segment_align: 8
    .kernarg_segment_size: 112
    .language:       OpenCL C
    .language_version:
      - 2
      - 0
    .max_flat_workgroup_size: 256
    .name:           _ZN7rocprim17ROCPRIM_400000_NS6detail17trampoline_kernelINS0_14default_configENS1_27scan_by_key_config_selectorIssEEZZNS1_16scan_by_key_implILNS1_25lookback_scan_determinismE0ELb0ES3_N6thrust23THRUST_200600_302600_NS6detail15normal_iteratorINS9_10device_ptrIsEEEESE_SE_sNS9_4plusIvEENS9_8equal_toIsEEsEE10hipError_tPvRmT2_T3_T4_T5_mT6_T7_P12ihipStream_tbENKUlT_T0_E_clISt17integral_constantIbLb1EESY_IbLb0EEEEDaSU_SV_EUlSU_E_NS1_11comp_targetILNS1_3genE3ELNS1_11target_archE908ELNS1_3gpuE7ELNS1_3repE0EEENS1_30default_config_static_selectorELNS0_4arch9wavefront6targetE1EEEvT1_
    .private_segment_fixed_size: 0
    .sgpr_count:     4
    .sgpr_spill_count: 0
    .symbol:         _ZN7rocprim17ROCPRIM_400000_NS6detail17trampoline_kernelINS0_14default_configENS1_27scan_by_key_config_selectorIssEEZZNS1_16scan_by_key_implILNS1_25lookback_scan_determinismE0ELb0ES3_N6thrust23THRUST_200600_302600_NS6detail15normal_iteratorINS9_10device_ptrIsEEEESE_SE_sNS9_4plusIvEENS9_8equal_toIsEEsEE10hipError_tPvRmT2_T3_T4_T5_mT6_T7_P12ihipStream_tbENKUlT_T0_E_clISt17integral_constantIbLb1EESY_IbLb0EEEEDaSU_SV_EUlSU_E_NS1_11comp_targetILNS1_3genE3ELNS1_11target_archE908ELNS1_3gpuE7ELNS1_3repE0EEENS1_30default_config_static_selectorELNS0_4arch9wavefront6targetE1EEEvT1_.kd
    .uniform_work_group_size: 1
    .uses_dynamic_stack: false
    .vgpr_count:     0
    .vgpr_spill_count: 0
    .wavefront_size: 64
  - .agpr_count:     0
    .args:
      - .offset:         0
        .size:           112
        .value_kind:     by_value
    .group_segment_fixed_size: 0
    .kernarg_segment_align: 8
    .kernarg_segment_size: 112
    .language:       OpenCL C
    .language_version:
      - 2
      - 0
    .max_flat_workgroup_size: 64
    .name:           _ZN7rocprim17ROCPRIM_400000_NS6detail17trampoline_kernelINS0_14default_configENS1_27scan_by_key_config_selectorIssEEZZNS1_16scan_by_key_implILNS1_25lookback_scan_determinismE0ELb0ES3_N6thrust23THRUST_200600_302600_NS6detail15normal_iteratorINS9_10device_ptrIsEEEESE_SE_sNS9_4plusIvEENS9_8equal_toIsEEsEE10hipError_tPvRmT2_T3_T4_T5_mT6_T7_P12ihipStream_tbENKUlT_T0_E_clISt17integral_constantIbLb1EESY_IbLb0EEEEDaSU_SV_EUlSU_E_NS1_11comp_targetILNS1_3genE2ELNS1_11target_archE906ELNS1_3gpuE6ELNS1_3repE0EEENS1_30default_config_static_selectorELNS0_4arch9wavefront6targetE1EEEvT1_
    .private_segment_fixed_size: 0
    .sgpr_count:     4
    .sgpr_spill_count: 0
    .symbol:         _ZN7rocprim17ROCPRIM_400000_NS6detail17trampoline_kernelINS0_14default_configENS1_27scan_by_key_config_selectorIssEEZZNS1_16scan_by_key_implILNS1_25lookback_scan_determinismE0ELb0ES3_N6thrust23THRUST_200600_302600_NS6detail15normal_iteratorINS9_10device_ptrIsEEEESE_SE_sNS9_4plusIvEENS9_8equal_toIsEEsEE10hipError_tPvRmT2_T3_T4_T5_mT6_T7_P12ihipStream_tbENKUlT_T0_E_clISt17integral_constantIbLb1EESY_IbLb0EEEEDaSU_SV_EUlSU_E_NS1_11comp_targetILNS1_3genE2ELNS1_11target_archE906ELNS1_3gpuE6ELNS1_3repE0EEENS1_30default_config_static_selectorELNS0_4arch9wavefront6targetE1EEEvT1_.kd
    .uniform_work_group_size: 1
    .uses_dynamic_stack: false
    .vgpr_count:     0
    .vgpr_spill_count: 0
    .wavefront_size: 64
  - .agpr_count:     0
    .args:
      - .offset:         0
        .size:           112
        .value_kind:     by_value
    .group_segment_fixed_size: 0
    .kernarg_segment_align: 8
    .kernarg_segment_size: 112
    .language:       OpenCL C
    .language_version:
      - 2
      - 0
    .max_flat_workgroup_size: 256
    .name:           _ZN7rocprim17ROCPRIM_400000_NS6detail17trampoline_kernelINS0_14default_configENS1_27scan_by_key_config_selectorIssEEZZNS1_16scan_by_key_implILNS1_25lookback_scan_determinismE0ELb0ES3_N6thrust23THRUST_200600_302600_NS6detail15normal_iteratorINS9_10device_ptrIsEEEESE_SE_sNS9_4plusIvEENS9_8equal_toIsEEsEE10hipError_tPvRmT2_T3_T4_T5_mT6_T7_P12ihipStream_tbENKUlT_T0_E_clISt17integral_constantIbLb1EESY_IbLb0EEEEDaSU_SV_EUlSU_E_NS1_11comp_targetILNS1_3genE10ELNS1_11target_archE1200ELNS1_3gpuE4ELNS1_3repE0EEENS1_30default_config_static_selectorELNS0_4arch9wavefront6targetE1EEEvT1_
    .private_segment_fixed_size: 0
    .sgpr_count:     4
    .sgpr_spill_count: 0
    .symbol:         _ZN7rocprim17ROCPRIM_400000_NS6detail17trampoline_kernelINS0_14default_configENS1_27scan_by_key_config_selectorIssEEZZNS1_16scan_by_key_implILNS1_25lookback_scan_determinismE0ELb0ES3_N6thrust23THRUST_200600_302600_NS6detail15normal_iteratorINS9_10device_ptrIsEEEESE_SE_sNS9_4plusIvEENS9_8equal_toIsEEsEE10hipError_tPvRmT2_T3_T4_T5_mT6_T7_P12ihipStream_tbENKUlT_T0_E_clISt17integral_constantIbLb1EESY_IbLb0EEEEDaSU_SV_EUlSU_E_NS1_11comp_targetILNS1_3genE10ELNS1_11target_archE1200ELNS1_3gpuE4ELNS1_3repE0EEENS1_30default_config_static_selectorELNS0_4arch9wavefront6targetE1EEEvT1_.kd
    .uniform_work_group_size: 1
    .uses_dynamic_stack: false
    .vgpr_count:     0
    .vgpr_spill_count: 0
    .wavefront_size: 64
  - .agpr_count:     0
    .args:
      - .offset:         0
        .size:           112
        .value_kind:     by_value
    .group_segment_fixed_size: 0
    .kernarg_segment_align: 8
    .kernarg_segment_size: 112
    .language:       OpenCL C
    .language_version:
      - 2
      - 0
    .max_flat_workgroup_size: 256
    .name:           _ZN7rocprim17ROCPRIM_400000_NS6detail17trampoline_kernelINS0_14default_configENS1_27scan_by_key_config_selectorIssEEZZNS1_16scan_by_key_implILNS1_25lookback_scan_determinismE0ELb0ES3_N6thrust23THRUST_200600_302600_NS6detail15normal_iteratorINS9_10device_ptrIsEEEESE_SE_sNS9_4plusIvEENS9_8equal_toIsEEsEE10hipError_tPvRmT2_T3_T4_T5_mT6_T7_P12ihipStream_tbENKUlT_T0_E_clISt17integral_constantIbLb1EESY_IbLb0EEEEDaSU_SV_EUlSU_E_NS1_11comp_targetILNS1_3genE9ELNS1_11target_archE1100ELNS1_3gpuE3ELNS1_3repE0EEENS1_30default_config_static_selectorELNS0_4arch9wavefront6targetE1EEEvT1_
    .private_segment_fixed_size: 0
    .sgpr_count:     4
    .sgpr_spill_count: 0
    .symbol:         _ZN7rocprim17ROCPRIM_400000_NS6detail17trampoline_kernelINS0_14default_configENS1_27scan_by_key_config_selectorIssEEZZNS1_16scan_by_key_implILNS1_25lookback_scan_determinismE0ELb0ES3_N6thrust23THRUST_200600_302600_NS6detail15normal_iteratorINS9_10device_ptrIsEEEESE_SE_sNS9_4plusIvEENS9_8equal_toIsEEsEE10hipError_tPvRmT2_T3_T4_T5_mT6_T7_P12ihipStream_tbENKUlT_T0_E_clISt17integral_constantIbLb1EESY_IbLb0EEEEDaSU_SV_EUlSU_E_NS1_11comp_targetILNS1_3genE9ELNS1_11target_archE1100ELNS1_3gpuE3ELNS1_3repE0EEENS1_30default_config_static_selectorELNS0_4arch9wavefront6targetE1EEEvT1_.kd
    .uniform_work_group_size: 1
    .uses_dynamic_stack: false
    .vgpr_count:     0
    .vgpr_spill_count: 0
    .wavefront_size: 64
  - .agpr_count:     0
    .args:
      - .offset:         0
        .size:           112
        .value_kind:     by_value
    .group_segment_fixed_size: 0
    .kernarg_segment_align: 8
    .kernarg_segment_size: 112
    .language:       OpenCL C
    .language_version:
      - 2
      - 0
    .max_flat_workgroup_size: 64
    .name:           _ZN7rocprim17ROCPRIM_400000_NS6detail17trampoline_kernelINS0_14default_configENS1_27scan_by_key_config_selectorIssEEZZNS1_16scan_by_key_implILNS1_25lookback_scan_determinismE0ELb0ES3_N6thrust23THRUST_200600_302600_NS6detail15normal_iteratorINS9_10device_ptrIsEEEESE_SE_sNS9_4plusIvEENS9_8equal_toIsEEsEE10hipError_tPvRmT2_T3_T4_T5_mT6_T7_P12ihipStream_tbENKUlT_T0_E_clISt17integral_constantIbLb1EESY_IbLb0EEEEDaSU_SV_EUlSU_E_NS1_11comp_targetILNS1_3genE8ELNS1_11target_archE1030ELNS1_3gpuE2ELNS1_3repE0EEENS1_30default_config_static_selectorELNS0_4arch9wavefront6targetE1EEEvT1_
    .private_segment_fixed_size: 0
    .sgpr_count:     4
    .sgpr_spill_count: 0
    .symbol:         _ZN7rocprim17ROCPRIM_400000_NS6detail17trampoline_kernelINS0_14default_configENS1_27scan_by_key_config_selectorIssEEZZNS1_16scan_by_key_implILNS1_25lookback_scan_determinismE0ELb0ES3_N6thrust23THRUST_200600_302600_NS6detail15normal_iteratorINS9_10device_ptrIsEEEESE_SE_sNS9_4plusIvEENS9_8equal_toIsEEsEE10hipError_tPvRmT2_T3_T4_T5_mT6_T7_P12ihipStream_tbENKUlT_T0_E_clISt17integral_constantIbLb1EESY_IbLb0EEEEDaSU_SV_EUlSU_E_NS1_11comp_targetILNS1_3genE8ELNS1_11target_archE1030ELNS1_3gpuE2ELNS1_3repE0EEENS1_30default_config_static_selectorELNS0_4arch9wavefront6targetE1EEEvT1_.kd
    .uniform_work_group_size: 1
    .uses_dynamic_stack: false
    .vgpr_count:     0
    .vgpr_spill_count: 0
    .wavefront_size: 64
  - .agpr_count:     0
    .args:
      - .offset:         0
        .size:           112
        .value_kind:     by_value
    .group_segment_fixed_size: 0
    .kernarg_segment_align: 8
    .kernarg_segment_size: 112
    .language:       OpenCL C
    .language_version:
      - 2
      - 0
    .max_flat_workgroup_size: 256
    .name:           _ZN7rocprim17ROCPRIM_400000_NS6detail17trampoline_kernelINS0_14default_configENS1_27scan_by_key_config_selectorIssEEZZNS1_16scan_by_key_implILNS1_25lookback_scan_determinismE0ELb0ES3_N6thrust23THRUST_200600_302600_NS6detail15normal_iteratorINS9_10device_ptrIsEEEESE_SE_sNS9_4plusIvEENS9_8equal_toIsEEsEE10hipError_tPvRmT2_T3_T4_T5_mT6_T7_P12ihipStream_tbENKUlT_T0_E_clISt17integral_constantIbLb0EESY_IbLb1EEEEDaSU_SV_EUlSU_E_NS1_11comp_targetILNS1_3genE0ELNS1_11target_archE4294967295ELNS1_3gpuE0ELNS1_3repE0EEENS1_30default_config_static_selectorELNS0_4arch9wavefront6targetE1EEEvT1_
    .private_segment_fixed_size: 0
    .sgpr_count:     4
    .sgpr_spill_count: 0
    .symbol:         _ZN7rocprim17ROCPRIM_400000_NS6detail17trampoline_kernelINS0_14default_configENS1_27scan_by_key_config_selectorIssEEZZNS1_16scan_by_key_implILNS1_25lookback_scan_determinismE0ELb0ES3_N6thrust23THRUST_200600_302600_NS6detail15normal_iteratorINS9_10device_ptrIsEEEESE_SE_sNS9_4plusIvEENS9_8equal_toIsEEsEE10hipError_tPvRmT2_T3_T4_T5_mT6_T7_P12ihipStream_tbENKUlT_T0_E_clISt17integral_constantIbLb0EESY_IbLb1EEEEDaSU_SV_EUlSU_E_NS1_11comp_targetILNS1_3genE0ELNS1_11target_archE4294967295ELNS1_3gpuE0ELNS1_3repE0EEENS1_30default_config_static_selectorELNS0_4arch9wavefront6targetE1EEEvT1_.kd
    .uniform_work_group_size: 1
    .uses_dynamic_stack: false
    .vgpr_count:     0
    .vgpr_spill_count: 0
    .wavefront_size: 64
  - .agpr_count:     0
    .args:
      - .offset:         0
        .size:           112
        .value_kind:     by_value
    .group_segment_fixed_size: 0
    .kernarg_segment_align: 8
    .kernarg_segment_size: 112
    .language:       OpenCL C
    .language_version:
      - 2
      - 0
    .max_flat_workgroup_size: 128
    .name:           _ZN7rocprim17ROCPRIM_400000_NS6detail17trampoline_kernelINS0_14default_configENS1_27scan_by_key_config_selectorIssEEZZNS1_16scan_by_key_implILNS1_25lookback_scan_determinismE0ELb0ES3_N6thrust23THRUST_200600_302600_NS6detail15normal_iteratorINS9_10device_ptrIsEEEESE_SE_sNS9_4plusIvEENS9_8equal_toIsEEsEE10hipError_tPvRmT2_T3_T4_T5_mT6_T7_P12ihipStream_tbENKUlT_T0_E_clISt17integral_constantIbLb0EESY_IbLb1EEEEDaSU_SV_EUlSU_E_NS1_11comp_targetILNS1_3genE10ELNS1_11target_archE1201ELNS1_3gpuE5ELNS1_3repE0EEENS1_30default_config_static_selectorELNS0_4arch9wavefront6targetE1EEEvT1_
    .private_segment_fixed_size: 0
    .sgpr_count:     4
    .sgpr_spill_count: 0
    .symbol:         _ZN7rocprim17ROCPRIM_400000_NS6detail17trampoline_kernelINS0_14default_configENS1_27scan_by_key_config_selectorIssEEZZNS1_16scan_by_key_implILNS1_25lookback_scan_determinismE0ELb0ES3_N6thrust23THRUST_200600_302600_NS6detail15normal_iteratorINS9_10device_ptrIsEEEESE_SE_sNS9_4plusIvEENS9_8equal_toIsEEsEE10hipError_tPvRmT2_T3_T4_T5_mT6_T7_P12ihipStream_tbENKUlT_T0_E_clISt17integral_constantIbLb0EESY_IbLb1EEEEDaSU_SV_EUlSU_E_NS1_11comp_targetILNS1_3genE10ELNS1_11target_archE1201ELNS1_3gpuE5ELNS1_3repE0EEENS1_30default_config_static_selectorELNS0_4arch9wavefront6targetE1EEEvT1_.kd
    .uniform_work_group_size: 1
    .uses_dynamic_stack: false
    .vgpr_count:     0
    .vgpr_spill_count: 0
    .wavefront_size: 64
  - .agpr_count:     0
    .args:
      - .offset:         0
        .size:           112
        .value_kind:     by_value
    .group_segment_fixed_size: 0
    .kernarg_segment_align: 8
    .kernarg_segment_size: 112
    .language:       OpenCL C
    .language_version:
      - 2
      - 0
    .max_flat_workgroup_size: 256
    .name:           _ZN7rocprim17ROCPRIM_400000_NS6detail17trampoline_kernelINS0_14default_configENS1_27scan_by_key_config_selectorIssEEZZNS1_16scan_by_key_implILNS1_25lookback_scan_determinismE0ELb0ES3_N6thrust23THRUST_200600_302600_NS6detail15normal_iteratorINS9_10device_ptrIsEEEESE_SE_sNS9_4plusIvEENS9_8equal_toIsEEsEE10hipError_tPvRmT2_T3_T4_T5_mT6_T7_P12ihipStream_tbENKUlT_T0_E_clISt17integral_constantIbLb0EESY_IbLb1EEEEDaSU_SV_EUlSU_E_NS1_11comp_targetILNS1_3genE5ELNS1_11target_archE942ELNS1_3gpuE9ELNS1_3repE0EEENS1_30default_config_static_selectorELNS0_4arch9wavefront6targetE1EEEvT1_
    .private_segment_fixed_size: 0
    .sgpr_count:     4
    .sgpr_spill_count: 0
    .symbol:         _ZN7rocprim17ROCPRIM_400000_NS6detail17trampoline_kernelINS0_14default_configENS1_27scan_by_key_config_selectorIssEEZZNS1_16scan_by_key_implILNS1_25lookback_scan_determinismE0ELb0ES3_N6thrust23THRUST_200600_302600_NS6detail15normal_iteratorINS9_10device_ptrIsEEEESE_SE_sNS9_4plusIvEENS9_8equal_toIsEEsEE10hipError_tPvRmT2_T3_T4_T5_mT6_T7_P12ihipStream_tbENKUlT_T0_E_clISt17integral_constantIbLb0EESY_IbLb1EEEEDaSU_SV_EUlSU_E_NS1_11comp_targetILNS1_3genE5ELNS1_11target_archE942ELNS1_3gpuE9ELNS1_3repE0EEENS1_30default_config_static_selectorELNS0_4arch9wavefront6targetE1EEEvT1_.kd
    .uniform_work_group_size: 1
    .uses_dynamic_stack: false
    .vgpr_count:     0
    .vgpr_spill_count: 0
    .wavefront_size: 64
  - .agpr_count:     0
    .args:
      - .offset:         0
        .size:           112
        .value_kind:     by_value
    .group_segment_fixed_size: 12288
    .kernarg_segment_align: 8
    .kernarg_segment_size: 112
    .language:       OpenCL C
    .language_version:
      - 2
      - 0
    .max_flat_workgroup_size: 256
    .name:           _ZN7rocprim17ROCPRIM_400000_NS6detail17trampoline_kernelINS0_14default_configENS1_27scan_by_key_config_selectorIssEEZZNS1_16scan_by_key_implILNS1_25lookback_scan_determinismE0ELb0ES3_N6thrust23THRUST_200600_302600_NS6detail15normal_iteratorINS9_10device_ptrIsEEEESE_SE_sNS9_4plusIvEENS9_8equal_toIsEEsEE10hipError_tPvRmT2_T3_T4_T5_mT6_T7_P12ihipStream_tbENKUlT_T0_E_clISt17integral_constantIbLb0EESY_IbLb1EEEEDaSU_SV_EUlSU_E_NS1_11comp_targetILNS1_3genE4ELNS1_11target_archE910ELNS1_3gpuE8ELNS1_3repE0EEENS1_30default_config_static_selectorELNS0_4arch9wavefront6targetE1EEEvT1_
    .private_segment_fixed_size: 0
    .sgpr_count:     86
    .sgpr_spill_count: 0
    .symbol:         _ZN7rocprim17ROCPRIM_400000_NS6detail17trampoline_kernelINS0_14default_configENS1_27scan_by_key_config_selectorIssEEZZNS1_16scan_by_key_implILNS1_25lookback_scan_determinismE0ELb0ES3_N6thrust23THRUST_200600_302600_NS6detail15normal_iteratorINS9_10device_ptrIsEEEESE_SE_sNS9_4plusIvEENS9_8equal_toIsEEsEE10hipError_tPvRmT2_T3_T4_T5_mT6_T7_P12ihipStream_tbENKUlT_T0_E_clISt17integral_constantIbLb0EESY_IbLb1EEEEDaSU_SV_EUlSU_E_NS1_11comp_targetILNS1_3genE4ELNS1_11target_archE910ELNS1_3gpuE8ELNS1_3repE0EEENS1_30default_config_static_selectorELNS0_4arch9wavefront6targetE1EEEvT1_.kd
    .uniform_work_group_size: 1
    .uses_dynamic_stack: false
    .vgpr_count:     58
    .vgpr_spill_count: 0
    .wavefront_size: 64
  - .agpr_count:     0
    .args:
      - .offset:         0
        .size:           112
        .value_kind:     by_value
    .group_segment_fixed_size: 0
    .kernarg_segment_align: 8
    .kernarg_segment_size: 112
    .language:       OpenCL C
    .language_version:
      - 2
      - 0
    .max_flat_workgroup_size: 256
    .name:           _ZN7rocprim17ROCPRIM_400000_NS6detail17trampoline_kernelINS0_14default_configENS1_27scan_by_key_config_selectorIssEEZZNS1_16scan_by_key_implILNS1_25lookback_scan_determinismE0ELb0ES3_N6thrust23THRUST_200600_302600_NS6detail15normal_iteratorINS9_10device_ptrIsEEEESE_SE_sNS9_4plusIvEENS9_8equal_toIsEEsEE10hipError_tPvRmT2_T3_T4_T5_mT6_T7_P12ihipStream_tbENKUlT_T0_E_clISt17integral_constantIbLb0EESY_IbLb1EEEEDaSU_SV_EUlSU_E_NS1_11comp_targetILNS1_3genE3ELNS1_11target_archE908ELNS1_3gpuE7ELNS1_3repE0EEENS1_30default_config_static_selectorELNS0_4arch9wavefront6targetE1EEEvT1_
    .private_segment_fixed_size: 0
    .sgpr_count:     4
    .sgpr_spill_count: 0
    .symbol:         _ZN7rocprim17ROCPRIM_400000_NS6detail17trampoline_kernelINS0_14default_configENS1_27scan_by_key_config_selectorIssEEZZNS1_16scan_by_key_implILNS1_25lookback_scan_determinismE0ELb0ES3_N6thrust23THRUST_200600_302600_NS6detail15normal_iteratorINS9_10device_ptrIsEEEESE_SE_sNS9_4plusIvEENS9_8equal_toIsEEsEE10hipError_tPvRmT2_T3_T4_T5_mT6_T7_P12ihipStream_tbENKUlT_T0_E_clISt17integral_constantIbLb0EESY_IbLb1EEEEDaSU_SV_EUlSU_E_NS1_11comp_targetILNS1_3genE3ELNS1_11target_archE908ELNS1_3gpuE7ELNS1_3repE0EEENS1_30default_config_static_selectorELNS0_4arch9wavefront6targetE1EEEvT1_.kd
    .uniform_work_group_size: 1
    .uses_dynamic_stack: false
    .vgpr_count:     0
    .vgpr_spill_count: 0
    .wavefront_size: 64
  - .agpr_count:     0
    .args:
      - .offset:         0
        .size:           112
        .value_kind:     by_value
    .group_segment_fixed_size: 0
    .kernarg_segment_align: 8
    .kernarg_segment_size: 112
    .language:       OpenCL C
    .language_version:
      - 2
      - 0
    .max_flat_workgroup_size: 64
    .name:           _ZN7rocprim17ROCPRIM_400000_NS6detail17trampoline_kernelINS0_14default_configENS1_27scan_by_key_config_selectorIssEEZZNS1_16scan_by_key_implILNS1_25lookback_scan_determinismE0ELb0ES3_N6thrust23THRUST_200600_302600_NS6detail15normal_iteratorINS9_10device_ptrIsEEEESE_SE_sNS9_4plusIvEENS9_8equal_toIsEEsEE10hipError_tPvRmT2_T3_T4_T5_mT6_T7_P12ihipStream_tbENKUlT_T0_E_clISt17integral_constantIbLb0EESY_IbLb1EEEEDaSU_SV_EUlSU_E_NS1_11comp_targetILNS1_3genE2ELNS1_11target_archE906ELNS1_3gpuE6ELNS1_3repE0EEENS1_30default_config_static_selectorELNS0_4arch9wavefront6targetE1EEEvT1_
    .private_segment_fixed_size: 0
    .sgpr_count:     4
    .sgpr_spill_count: 0
    .symbol:         _ZN7rocprim17ROCPRIM_400000_NS6detail17trampoline_kernelINS0_14default_configENS1_27scan_by_key_config_selectorIssEEZZNS1_16scan_by_key_implILNS1_25lookback_scan_determinismE0ELb0ES3_N6thrust23THRUST_200600_302600_NS6detail15normal_iteratorINS9_10device_ptrIsEEEESE_SE_sNS9_4plusIvEENS9_8equal_toIsEEsEE10hipError_tPvRmT2_T3_T4_T5_mT6_T7_P12ihipStream_tbENKUlT_T0_E_clISt17integral_constantIbLb0EESY_IbLb1EEEEDaSU_SV_EUlSU_E_NS1_11comp_targetILNS1_3genE2ELNS1_11target_archE906ELNS1_3gpuE6ELNS1_3repE0EEENS1_30default_config_static_selectorELNS0_4arch9wavefront6targetE1EEEvT1_.kd
    .uniform_work_group_size: 1
    .uses_dynamic_stack: false
    .vgpr_count:     0
    .vgpr_spill_count: 0
    .wavefront_size: 64
  - .agpr_count:     0
    .args:
      - .offset:         0
        .size:           112
        .value_kind:     by_value
    .group_segment_fixed_size: 0
    .kernarg_segment_align: 8
    .kernarg_segment_size: 112
    .language:       OpenCL C
    .language_version:
      - 2
      - 0
    .max_flat_workgroup_size: 256
    .name:           _ZN7rocprim17ROCPRIM_400000_NS6detail17trampoline_kernelINS0_14default_configENS1_27scan_by_key_config_selectorIssEEZZNS1_16scan_by_key_implILNS1_25lookback_scan_determinismE0ELb0ES3_N6thrust23THRUST_200600_302600_NS6detail15normal_iteratorINS9_10device_ptrIsEEEESE_SE_sNS9_4plusIvEENS9_8equal_toIsEEsEE10hipError_tPvRmT2_T3_T4_T5_mT6_T7_P12ihipStream_tbENKUlT_T0_E_clISt17integral_constantIbLb0EESY_IbLb1EEEEDaSU_SV_EUlSU_E_NS1_11comp_targetILNS1_3genE10ELNS1_11target_archE1200ELNS1_3gpuE4ELNS1_3repE0EEENS1_30default_config_static_selectorELNS0_4arch9wavefront6targetE1EEEvT1_
    .private_segment_fixed_size: 0
    .sgpr_count:     4
    .sgpr_spill_count: 0
    .symbol:         _ZN7rocprim17ROCPRIM_400000_NS6detail17trampoline_kernelINS0_14default_configENS1_27scan_by_key_config_selectorIssEEZZNS1_16scan_by_key_implILNS1_25lookback_scan_determinismE0ELb0ES3_N6thrust23THRUST_200600_302600_NS6detail15normal_iteratorINS9_10device_ptrIsEEEESE_SE_sNS9_4plusIvEENS9_8equal_toIsEEsEE10hipError_tPvRmT2_T3_T4_T5_mT6_T7_P12ihipStream_tbENKUlT_T0_E_clISt17integral_constantIbLb0EESY_IbLb1EEEEDaSU_SV_EUlSU_E_NS1_11comp_targetILNS1_3genE10ELNS1_11target_archE1200ELNS1_3gpuE4ELNS1_3repE0EEENS1_30default_config_static_selectorELNS0_4arch9wavefront6targetE1EEEvT1_.kd
    .uniform_work_group_size: 1
    .uses_dynamic_stack: false
    .vgpr_count:     0
    .vgpr_spill_count: 0
    .wavefront_size: 64
  - .agpr_count:     0
    .args:
      - .offset:         0
        .size:           112
        .value_kind:     by_value
    .group_segment_fixed_size: 0
    .kernarg_segment_align: 8
    .kernarg_segment_size: 112
    .language:       OpenCL C
    .language_version:
      - 2
      - 0
    .max_flat_workgroup_size: 256
    .name:           _ZN7rocprim17ROCPRIM_400000_NS6detail17trampoline_kernelINS0_14default_configENS1_27scan_by_key_config_selectorIssEEZZNS1_16scan_by_key_implILNS1_25lookback_scan_determinismE0ELb0ES3_N6thrust23THRUST_200600_302600_NS6detail15normal_iteratorINS9_10device_ptrIsEEEESE_SE_sNS9_4plusIvEENS9_8equal_toIsEEsEE10hipError_tPvRmT2_T3_T4_T5_mT6_T7_P12ihipStream_tbENKUlT_T0_E_clISt17integral_constantIbLb0EESY_IbLb1EEEEDaSU_SV_EUlSU_E_NS1_11comp_targetILNS1_3genE9ELNS1_11target_archE1100ELNS1_3gpuE3ELNS1_3repE0EEENS1_30default_config_static_selectorELNS0_4arch9wavefront6targetE1EEEvT1_
    .private_segment_fixed_size: 0
    .sgpr_count:     4
    .sgpr_spill_count: 0
    .symbol:         _ZN7rocprim17ROCPRIM_400000_NS6detail17trampoline_kernelINS0_14default_configENS1_27scan_by_key_config_selectorIssEEZZNS1_16scan_by_key_implILNS1_25lookback_scan_determinismE0ELb0ES3_N6thrust23THRUST_200600_302600_NS6detail15normal_iteratorINS9_10device_ptrIsEEEESE_SE_sNS9_4plusIvEENS9_8equal_toIsEEsEE10hipError_tPvRmT2_T3_T4_T5_mT6_T7_P12ihipStream_tbENKUlT_T0_E_clISt17integral_constantIbLb0EESY_IbLb1EEEEDaSU_SV_EUlSU_E_NS1_11comp_targetILNS1_3genE9ELNS1_11target_archE1100ELNS1_3gpuE3ELNS1_3repE0EEENS1_30default_config_static_selectorELNS0_4arch9wavefront6targetE1EEEvT1_.kd
    .uniform_work_group_size: 1
    .uses_dynamic_stack: false
    .vgpr_count:     0
    .vgpr_spill_count: 0
    .wavefront_size: 64
  - .agpr_count:     0
    .args:
      - .offset:         0
        .size:           112
        .value_kind:     by_value
    .group_segment_fixed_size: 0
    .kernarg_segment_align: 8
    .kernarg_segment_size: 112
    .language:       OpenCL C
    .language_version:
      - 2
      - 0
    .max_flat_workgroup_size: 64
    .name:           _ZN7rocprim17ROCPRIM_400000_NS6detail17trampoline_kernelINS0_14default_configENS1_27scan_by_key_config_selectorIssEEZZNS1_16scan_by_key_implILNS1_25lookback_scan_determinismE0ELb0ES3_N6thrust23THRUST_200600_302600_NS6detail15normal_iteratorINS9_10device_ptrIsEEEESE_SE_sNS9_4plusIvEENS9_8equal_toIsEEsEE10hipError_tPvRmT2_T3_T4_T5_mT6_T7_P12ihipStream_tbENKUlT_T0_E_clISt17integral_constantIbLb0EESY_IbLb1EEEEDaSU_SV_EUlSU_E_NS1_11comp_targetILNS1_3genE8ELNS1_11target_archE1030ELNS1_3gpuE2ELNS1_3repE0EEENS1_30default_config_static_selectorELNS0_4arch9wavefront6targetE1EEEvT1_
    .private_segment_fixed_size: 0
    .sgpr_count:     4
    .sgpr_spill_count: 0
    .symbol:         _ZN7rocprim17ROCPRIM_400000_NS6detail17trampoline_kernelINS0_14default_configENS1_27scan_by_key_config_selectorIssEEZZNS1_16scan_by_key_implILNS1_25lookback_scan_determinismE0ELb0ES3_N6thrust23THRUST_200600_302600_NS6detail15normal_iteratorINS9_10device_ptrIsEEEESE_SE_sNS9_4plusIvEENS9_8equal_toIsEEsEE10hipError_tPvRmT2_T3_T4_T5_mT6_T7_P12ihipStream_tbENKUlT_T0_E_clISt17integral_constantIbLb0EESY_IbLb1EEEEDaSU_SV_EUlSU_E_NS1_11comp_targetILNS1_3genE8ELNS1_11target_archE1030ELNS1_3gpuE2ELNS1_3repE0EEENS1_30default_config_static_selectorELNS0_4arch9wavefront6targetE1EEEvT1_.kd
    .uniform_work_group_size: 1
    .uses_dynamic_stack: false
    .vgpr_count:     0
    .vgpr_spill_count: 0
    .wavefront_size: 64
  - .agpr_count:     0
    .args:
      - .offset:         0
        .size:           136
        .value_kind:     by_value
    .group_segment_fixed_size: 0
    .kernarg_segment_align: 8
    .kernarg_segment_size: 136
    .language:       OpenCL C
    .language_version:
      - 2
      - 0
    .max_flat_workgroup_size: 256
    .name:           _ZN7rocprim17ROCPRIM_400000_NS6detail17trampoline_kernelINS0_14default_configENS1_27scan_by_key_config_selectorIxxEEZZNS1_16scan_by_key_implILNS1_25lookback_scan_determinismE0ELb1ES3_N6thrust23THRUST_200600_302600_NS6detail15normal_iteratorINS9_10device_ptrIxEEEESE_SE_xNS9_4plusIvEENS9_8equal_toIvEExEE10hipError_tPvRmT2_T3_T4_T5_mT6_T7_P12ihipStream_tbENKUlT_T0_E_clISt17integral_constantIbLb0EESZ_EEDaSU_SV_EUlSU_E_NS1_11comp_targetILNS1_3genE0ELNS1_11target_archE4294967295ELNS1_3gpuE0ELNS1_3repE0EEENS1_30default_config_static_selectorELNS0_4arch9wavefront6targetE1EEEvT1_
    .private_segment_fixed_size: 0
    .sgpr_count:     4
    .sgpr_spill_count: 0
    .symbol:         _ZN7rocprim17ROCPRIM_400000_NS6detail17trampoline_kernelINS0_14default_configENS1_27scan_by_key_config_selectorIxxEEZZNS1_16scan_by_key_implILNS1_25lookback_scan_determinismE0ELb1ES3_N6thrust23THRUST_200600_302600_NS6detail15normal_iteratorINS9_10device_ptrIxEEEESE_SE_xNS9_4plusIvEENS9_8equal_toIvEExEE10hipError_tPvRmT2_T3_T4_T5_mT6_T7_P12ihipStream_tbENKUlT_T0_E_clISt17integral_constantIbLb0EESZ_EEDaSU_SV_EUlSU_E_NS1_11comp_targetILNS1_3genE0ELNS1_11target_archE4294967295ELNS1_3gpuE0ELNS1_3repE0EEENS1_30default_config_static_selectorELNS0_4arch9wavefront6targetE1EEEvT1_.kd
    .uniform_work_group_size: 1
    .uses_dynamic_stack: false
    .vgpr_count:     0
    .vgpr_spill_count: 0
    .wavefront_size: 64
  - .agpr_count:     0
    .args:
      - .offset:         0
        .size:           136
        .value_kind:     by_value
    .group_segment_fixed_size: 0
    .kernarg_segment_align: 8
    .kernarg_segment_size: 136
    .language:       OpenCL C
    .language_version:
      - 2
      - 0
    .max_flat_workgroup_size: 256
    .name:           _ZN7rocprim17ROCPRIM_400000_NS6detail17trampoline_kernelINS0_14default_configENS1_27scan_by_key_config_selectorIxxEEZZNS1_16scan_by_key_implILNS1_25lookback_scan_determinismE0ELb1ES3_N6thrust23THRUST_200600_302600_NS6detail15normal_iteratorINS9_10device_ptrIxEEEESE_SE_xNS9_4plusIvEENS9_8equal_toIvEExEE10hipError_tPvRmT2_T3_T4_T5_mT6_T7_P12ihipStream_tbENKUlT_T0_E_clISt17integral_constantIbLb0EESZ_EEDaSU_SV_EUlSU_E_NS1_11comp_targetILNS1_3genE10ELNS1_11target_archE1201ELNS1_3gpuE5ELNS1_3repE0EEENS1_30default_config_static_selectorELNS0_4arch9wavefront6targetE1EEEvT1_
    .private_segment_fixed_size: 0
    .sgpr_count:     4
    .sgpr_spill_count: 0
    .symbol:         _ZN7rocprim17ROCPRIM_400000_NS6detail17trampoline_kernelINS0_14default_configENS1_27scan_by_key_config_selectorIxxEEZZNS1_16scan_by_key_implILNS1_25lookback_scan_determinismE0ELb1ES3_N6thrust23THRUST_200600_302600_NS6detail15normal_iteratorINS9_10device_ptrIxEEEESE_SE_xNS9_4plusIvEENS9_8equal_toIvEExEE10hipError_tPvRmT2_T3_T4_T5_mT6_T7_P12ihipStream_tbENKUlT_T0_E_clISt17integral_constantIbLb0EESZ_EEDaSU_SV_EUlSU_E_NS1_11comp_targetILNS1_3genE10ELNS1_11target_archE1201ELNS1_3gpuE5ELNS1_3repE0EEENS1_30default_config_static_selectorELNS0_4arch9wavefront6targetE1EEEvT1_.kd
    .uniform_work_group_size: 1
    .uses_dynamic_stack: false
    .vgpr_count:     0
    .vgpr_spill_count: 0
    .wavefront_size: 64
  - .agpr_count:     0
    .args:
      - .offset:         0
        .size:           136
        .value_kind:     by_value
    .group_segment_fixed_size: 0
    .kernarg_segment_align: 8
    .kernarg_segment_size: 136
    .language:       OpenCL C
    .language_version:
      - 2
      - 0
    .max_flat_workgroup_size: 256
    .name:           _ZN7rocprim17ROCPRIM_400000_NS6detail17trampoline_kernelINS0_14default_configENS1_27scan_by_key_config_selectorIxxEEZZNS1_16scan_by_key_implILNS1_25lookback_scan_determinismE0ELb1ES3_N6thrust23THRUST_200600_302600_NS6detail15normal_iteratorINS9_10device_ptrIxEEEESE_SE_xNS9_4plusIvEENS9_8equal_toIvEExEE10hipError_tPvRmT2_T3_T4_T5_mT6_T7_P12ihipStream_tbENKUlT_T0_E_clISt17integral_constantIbLb0EESZ_EEDaSU_SV_EUlSU_E_NS1_11comp_targetILNS1_3genE5ELNS1_11target_archE942ELNS1_3gpuE9ELNS1_3repE0EEENS1_30default_config_static_selectorELNS0_4arch9wavefront6targetE1EEEvT1_
    .private_segment_fixed_size: 0
    .sgpr_count:     4
    .sgpr_spill_count: 0
    .symbol:         _ZN7rocprim17ROCPRIM_400000_NS6detail17trampoline_kernelINS0_14default_configENS1_27scan_by_key_config_selectorIxxEEZZNS1_16scan_by_key_implILNS1_25lookback_scan_determinismE0ELb1ES3_N6thrust23THRUST_200600_302600_NS6detail15normal_iteratorINS9_10device_ptrIxEEEESE_SE_xNS9_4plusIvEENS9_8equal_toIvEExEE10hipError_tPvRmT2_T3_T4_T5_mT6_T7_P12ihipStream_tbENKUlT_T0_E_clISt17integral_constantIbLb0EESZ_EEDaSU_SV_EUlSU_E_NS1_11comp_targetILNS1_3genE5ELNS1_11target_archE942ELNS1_3gpuE9ELNS1_3repE0EEENS1_30default_config_static_selectorELNS0_4arch9wavefront6targetE1EEEvT1_.kd
    .uniform_work_group_size: 1
    .uses_dynamic_stack: false
    .vgpr_count:     0
    .vgpr_spill_count: 0
    .wavefront_size: 64
  - .agpr_count:     0
    .args:
      - .offset:         0
        .size:           136
        .value_kind:     by_value
    .group_segment_fixed_size: 10752
    .kernarg_segment_align: 8
    .kernarg_segment_size: 136
    .language:       OpenCL C
    .language_version:
      - 2
      - 0
    .max_flat_workgroup_size: 64
    .name:           _ZN7rocprim17ROCPRIM_400000_NS6detail17trampoline_kernelINS0_14default_configENS1_27scan_by_key_config_selectorIxxEEZZNS1_16scan_by_key_implILNS1_25lookback_scan_determinismE0ELb1ES3_N6thrust23THRUST_200600_302600_NS6detail15normal_iteratorINS9_10device_ptrIxEEEESE_SE_xNS9_4plusIvEENS9_8equal_toIvEExEE10hipError_tPvRmT2_T3_T4_T5_mT6_T7_P12ihipStream_tbENKUlT_T0_E_clISt17integral_constantIbLb0EESZ_EEDaSU_SV_EUlSU_E_NS1_11comp_targetILNS1_3genE4ELNS1_11target_archE910ELNS1_3gpuE8ELNS1_3repE0EEENS1_30default_config_static_selectorELNS0_4arch9wavefront6targetE1EEEvT1_
    .private_segment_fixed_size: 0
    .sgpr_count:     77
    .sgpr_spill_count: 0
    .symbol:         _ZN7rocprim17ROCPRIM_400000_NS6detail17trampoline_kernelINS0_14default_configENS1_27scan_by_key_config_selectorIxxEEZZNS1_16scan_by_key_implILNS1_25lookback_scan_determinismE0ELb1ES3_N6thrust23THRUST_200600_302600_NS6detail15normal_iteratorINS9_10device_ptrIxEEEESE_SE_xNS9_4plusIvEENS9_8equal_toIvEExEE10hipError_tPvRmT2_T3_T4_T5_mT6_T7_P12ihipStream_tbENKUlT_T0_E_clISt17integral_constantIbLb0EESZ_EEDaSU_SV_EUlSU_E_NS1_11comp_targetILNS1_3genE4ELNS1_11target_archE910ELNS1_3gpuE8ELNS1_3repE0EEENS1_30default_config_static_selectorELNS0_4arch9wavefront6targetE1EEEvT1_.kd
    .uniform_work_group_size: 1
    .uses_dynamic_stack: false
    .vgpr_count:     117
    .vgpr_spill_count: 0
    .wavefront_size: 64
  - .agpr_count:     0
    .args:
      - .offset:         0
        .size:           136
        .value_kind:     by_value
    .group_segment_fixed_size: 0
    .kernarg_segment_align: 8
    .kernarg_segment_size: 136
    .language:       OpenCL C
    .language_version:
      - 2
      - 0
    .max_flat_workgroup_size: 256
    .name:           _ZN7rocprim17ROCPRIM_400000_NS6detail17trampoline_kernelINS0_14default_configENS1_27scan_by_key_config_selectorIxxEEZZNS1_16scan_by_key_implILNS1_25lookback_scan_determinismE0ELb1ES3_N6thrust23THRUST_200600_302600_NS6detail15normal_iteratorINS9_10device_ptrIxEEEESE_SE_xNS9_4plusIvEENS9_8equal_toIvEExEE10hipError_tPvRmT2_T3_T4_T5_mT6_T7_P12ihipStream_tbENKUlT_T0_E_clISt17integral_constantIbLb0EESZ_EEDaSU_SV_EUlSU_E_NS1_11comp_targetILNS1_3genE3ELNS1_11target_archE908ELNS1_3gpuE7ELNS1_3repE0EEENS1_30default_config_static_selectorELNS0_4arch9wavefront6targetE1EEEvT1_
    .private_segment_fixed_size: 0
    .sgpr_count:     4
    .sgpr_spill_count: 0
    .symbol:         _ZN7rocprim17ROCPRIM_400000_NS6detail17trampoline_kernelINS0_14default_configENS1_27scan_by_key_config_selectorIxxEEZZNS1_16scan_by_key_implILNS1_25lookback_scan_determinismE0ELb1ES3_N6thrust23THRUST_200600_302600_NS6detail15normal_iteratorINS9_10device_ptrIxEEEESE_SE_xNS9_4plusIvEENS9_8equal_toIvEExEE10hipError_tPvRmT2_T3_T4_T5_mT6_T7_P12ihipStream_tbENKUlT_T0_E_clISt17integral_constantIbLb0EESZ_EEDaSU_SV_EUlSU_E_NS1_11comp_targetILNS1_3genE3ELNS1_11target_archE908ELNS1_3gpuE7ELNS1_3repE0EEENS1_30default_config_static_selectorELNS0_4arch9wavefront6targetE1EEEvT1_.kd
    .uniform_work_group_size: 1
    .uses_dynamic_stack: false
    .vgpr_count:     0
    .vgpr_spill_count: 0
    .wavefront_size: 64
  - .agpr_count:     0
    .args:
      - .offset:         0
        .size:           136
        .value_kind:     by_value
    .group_segment_fixed_size: 0
    .kernarg_segment_align: 8
    .kernarg_segment_size: 136
    .language:       OpenCL C
    .language_version:
      - 2
      - 0
    .max_flat_workgroup_size: 256
    .name:           _ZN7rocprim17ROCPRIM_400000_NS6detail17trampoline_kernelINS0_14default_configENS1_27scan_by_key_config_selectorIxxEEZZNS1_16scan_by_key_implILNS1_25lookback_scan_determinismE0ELb1ES3_N6thrust23THRUST_200600_302600_NS6detail15normal_iteratorINS9_10device_ptrIxEEEESE_SE_xNS9_4plusIvEENS9_8equal_toIvEExEE10hipError_tPvRmT2_T3_T4_T5_mT6_T7_P12ihipStream_tbENKUlT_T0_E_clISt17integral_constantIbLb0EESZ_EEDaSU_SV_EUlSU_E_NS1_11comp_targetILNS1_3genE2ELNS1_11target_archE906ELNS1_3gpuE6ELNS1_3repE0EEENS1_30default_config_static_selectorELNS0_4arch9wavefront6targetE1EEEvT1_
    .private_segment_fixed_size: 0
    .sgpr_count:     4
    .sgpr_spill_count: 0
    .symbol:         _ZN7rocprim17ROCPRIM_400000_NS6detail17trampoline_kernelINS0_14default_configENS1_27scan_by_key_config_selectorIxxEEZZNS1_16scan_by_key_implILNS1_25lookback_scan_determinismE0ELb1ES3_N6thrust23THRUST_200600_302600_NS6detail15normal_iteratorINS9_10device_ptrIxEEEESE_SE_xNS9_4plusIvEENS9_8equal_toIvEExEE10hipError_tPvRmT2_T3_T4_T5_mT6_T7_P12ihipStream_tbENKUlT_T0_E_clISt17integral_constantIbLb0EESZ_EEDaSU_SV_EUlSU_E_NS1_11comp_targetILNS1_3genE2ELNS1_11target_archE906ELNS1_3gpuE6ELNS1_3repE0EEENS1_30default_config_static_selectorELNS0_4arch9wavefront6targetE1EEEvT1_.kd
    .uniform_work_group_size: 1
    .uses_dynamic_stack: false
    .vgpr_count:     0
    .vgpr_spill_count: 0
    .wavefront_size: 64
  - .agpr_count:     0
    .args:
      - .offset:         0
        .size:           136
        .value_kind:     by_value
    .group_segment_fixed_size: 0
    .kernarg_segment_align: 8
    .kernarg_segment_size: 136
    .language:       OpenCL C
    .language_version:
      - 2
      - 0
    .max_flat_workgroup_size: 256
    .name:           _ZN7rocprim17ROCPRIM_400000_NS6detail17trampoline_kernelINS0_14default_configENS1_27scan_by_key_config_selectorIxxEEZZNS1_16scan_by_key_implILNS1_25lookback_scan_determinismE0ELb1ES3_N6thrust23THRUST_200600_302600_NS6detail15normal_iteratorINS9_10device_ptrIxEEEESE_SE_xNS9_4plusIvEENS9_8equal_toIvEExEE10hipError_tPvRmT2_T3_T4_T5_mT6_T7_P12ihipStream_tbENKUlT_T0_E_clISt17integral_constantIbLb0EESZ_EEDaSU_SV_EUlSU_E_NS1_11comp_targetILNS1_3genE10ELNS1_11target_archE1200ELNS1_3gpuE4ELNS1_3repE0EEENS1_30default_config_static_selectorELNS0_4arch9wavefront6targetE1EEEvT1_
    .private_segment_fixed_size: 0
    .sgpr_count:     4
    .sgpr_spill_count: 0
    .symbol:         _ZN7rocprim17ROCPRIM_400000_NS6detail17trampoline_kernelINS0_14default_configENS1_27scan_by_key_config_selectorIxxEEZZNS1_16scan_by_key_implILNS1_25lookback_scan_determinismE0ELb1ES3_N6thrust23THRUST_200600_302600_NS6detail15normal_iteratorINS9_10device_ptrIxEEEESE_SE_xNS9_4plusIvEENS9_8equal_toIvEExEE10hipError_tPvRmT2_T3_T4_T5_mT6_T7_P12ihipStream_tbENKUlT_T0_E_clISt17integral_constantIbLb0EESZ_EEDaSU_SV_EUlSU_E_NS1_11comp_targetILNS1_3genE10ELNS1_11target_archE1200ELNS1_3gpuE4ELNS1_3repE0EEENS1_30default_config_static_selectorELNS0_4arch9wavefront6targetE1EEEvT1_.kd
    .uniform_work_group_size: 1
    .uses_dynamic_stack: false
    .vgpr_count:     0
    .vgpr_spill_count: 0
    .wavefront_size: 64
  - .agpr_count:     0
    .args:
      - .offset:         0
        .size:           136
        .value_kind:     by_value
    .group_segment_fixed_size: 0
    .kernarg_segment_align: 8
    .kernarg_segment_size: 136
    .language:       OpenCL C
    .language_version:
      - 2
      - 0
    .max_flat_workgroup_size: 256
    .name:           _ZN7rocprim17ROCPRIM_400000_NS6detail17trampoline_kernelINS0_14default_configENS1_27scan_by_key_config_selectorIxxEEZZNS1_16scan_by_key_implILNS1_25lookback_scan_determinismE0ELb1ES3_N6thrust23THRUST_200600_302600_NS6detail15normal_iteratorINS9_10device_ptrIxEEEESE_SE_xNS9_4plusIvEENS9_8equal_toIvEExEE10hipError_tPvRmT2_T3_T4_T5_mT6_T7_P12ihipStream_tbENKUlT_T0_E_clISt17integral_constantIbLb0EESZ_EEDaSU_SV_EUlSU_E_NS1_11comp_targetILNS1_3genE9ELNS1_11target_archE1100ELNS1_3gpuE3ELNS1_3repE0EEENS1_30default_config_static_selectorELNS0_4arch9wavefront6targetE1EEEvT1_
    .private_segment_fixed_size: 0
    .sgpr_count:     4
    .sgpr_spill_count: 0
    .symbol:         _ZN7rocprim17ROCPRIM_400000_NS6detail17trampoline_kernelINS0_14default_configENS1_27scan_by_key_config_selectorIxxEEZZNS1_16scan_by_key_implILNS1_25lookback_scan_determinismE0ELb1ES3_N6thrust23THRUST_200600_302600_NS6detail15normal_iteratorINS9_10device_ptrIxEEEESE_SE_xNS9_4plusIvEENS9_8equal_toIvEExEE10hipError_tPvRmT2_T3_T4_T5_mT6_T7_P12ihipStream_tbENKUlT_T0_E_clISt17integral_constantIbLb0EESZ_EEDaSU_SV_EUlSU_E_NS1_11comp_targetILNS1_3genE9ELNS1_11target_archE1100ELNS1_3gpuE3ELNS1_3repE0EEENS1_30default_config_static_selectorELNS0_4arch9wavefront6targetE1EEEvT1_.kd
    .uniform_work_group_size: 1
    .uses_dynamic_stack: false
    .vgpr_count:     0
    .vgpr_spill_count: 0
    .wavefront_size: 64
  - .agpr_count:     0
    .args:
      - .offset:         0
        .size:           136
        .value_kind:     by_value
    .group_segment_fixed_size: 0
    .kernarg_segment_align: 8
    .kernarg_segment_size: 136
    .language:       OpenCL C
    .language_version:
      - 2
      - 0
    .max_flat_workgroup_size: 256
    .name:           _ZN7rocprim17ROCPRIM_400000_NS6detail17trampoline_kernelINS0_14default_configENS1_27scan_by_key_config_selectorIxxEEZZNS1_16scan_by_key_implILNS1_25lookback_scan_determinismE0ELb1ES3_N6thrust23THRUST_200600_302600_NS6detail15normal_iteratorINS9_10device_ptrIxEEEESE_SE_xNS9_4plusIvEENS9_8equal_toIvEExEE10hipError_tPvRmT2_T3_T4_T5_mT6_T7_P12ihipStream_tbENKUlT_T0_E_clISt17integral_constantIbLb0EESZ_EEDaSU_SV_EUlSU_E_NS1_11comp_targetILNS1_3genE8ELNS1_11target_archE1030ELNS1_3gpuE2ELNS1_3repE0EEENS1_30default_config_static_selectorELNS0_4arch9wavefront6targetE1EEEvT1_
    .private_segment_fixed_size: 0
    .sgpr_count:     4
    .sgpr_spill_count: 0
    .symbol:         _ZN7rocprim17ROCPRIM_400000_NS6detail17trampoline_kernelINS0_14default_configENS1_27scan_by_key_config_selectorIxxEEZZNS1_16scan_by_key_implILNS1_25lookback_scan_determinismE0ELb1ES3_N6thrust23THRUST_200600_302600_NS6detail15normal_iteratorINS9_10device_ptrIxEEEESE_SE_xNS9_4plusIvEENS9_8equal_toIvEExEE10hipError_tPvRmT2_T3_T4_T5_mT6_T7_P12ihipStream_tbENKUlT_T0_E_clISt17integral_constantIbLb0EESZ_EEDaSU_SV_EUlSU_E_NS1_11comp_targetILNS1_3genE8ELNS1_11target_archE1030ELNS1_3gpuE2ELNS1_3repE0EEENS1_30default_config_static_selectorELNS0_4arch9wavefront6targetE1EEEvT1_.kd
    .uniform_work_group_size: 1
    .uses_dynamic_stack: false
    .vgpr_count:     0
    .vgpr_spill_count: 0
    .wavefront_size: 64
  - .agpr_count:     0
    .args:
      - .offset:         0
        .size:           136
        .value_kind:     by_value
    .group_segment_fixed_size: 0
    .kernarg_segment_align: 8
    .kernarg_segment_size: 136
    .language:       OpenCL C
    .language_version:
      - 2
      - 0
    .max_flat_workgroup_size: 256
    .name:           _ZN7rocprim17ROCPRIM_400000_NS6detail17trampoline_kernelINS0_14default_configENS1_27scan_by_key_config_selectorIxxEEZZNS1_16scan_by_key_implILNS1_25lookback_scan_determinismE0ELb1ES3_N6thrust23THRUST_200600_302600_NS6detail15normal_iteratorINS9_10device_ptrIxEEEESE_SE_xNS9_4plusIvEENS9_8equal_toIvEExEE10hipError_tPvRmT2_T3_T4_T5_mT6_T7_P12ihipStream_tbENKUlT_T0_E_clISt17integral_constantIbLb1EESZ_EEDaSU_SV_EUlSU_E_NS1_11comp_targetILNS1_3genE0ELNS1_11target_archE4294967295ELNS1_3gpuE0ELNS1_3repE0EEENS1_30default_config_static_selectorELNS0_4arch9wavefront6targetE1EEEvT1_
    .private_segment_fixed_size: 0
    .sgpr_count:     4
    .sgpr_spill_count: 0
    .symbol:         _ZN7rocprim17ROCPRIM_400000_NS6detail17trampoline_kernelINS0_14default_configENS1_27scan_by_key_config_selectorIxxEEZZNS1_16scan_by_key_implILNS1_25lookback_scan_determinismE0ELb1ES3_N6thrust23THRUST_200600_302600_NS6detail15normal_iteratorINS9_10device_ptrIxEEEESE_SE_xNS9_4plusIvEENS9_8equal_toIvEExEE10hipError_tPvRmT2_T3_T4_T5_mT6_T7_P12ihipStream_tbENKUlT_T0_E_clISt17integral_constantIbLb1EESZ_EEDaSU_SV_EUlSU_E_NS1_11comp_targetILNS1_3genE0ELNS1_11target_archE4294967295ELNS1_3gpuE0ELNS1_3repE0EEENS1_30default_config_static_selectorELNS0_4arch9wavefront6targetE1EEEvT1_.kd
    .uniform_work_group_size: 1
    .uses_dynamic_stack: false
    .vgpr_count:     0
    .vgpr_spill_count: 0
    .wavefront_size: 64
  - .agpr_count:     0
    .args:
      - .offset:         0
        .size:           136
        .value_kind:     by_value
    .group_segment_fixed_size: 0
    .kernarg_segment_align: 8
    .kernarg_segment_size: 136
    .language:       OpenCL C
    .language_version:
      - 2
      - 0
    .max_flat_workgroup_size: 256
    .name:           _ZN7rocprim17ROCPRIM_400000_NS6detail17trampoline_kernelINS0_14default_configENS1_27scan_by_key_config_selectorIxxEEZZNS1_16scan_by_key_implILNS1_25lookback_scan_determinismE0ELb1ES3_N6thrust23THRUST_200600_302600_NS6detail15normal_iteratorINS9_10device_ptrIxEEEESE_SE_xNS9_4plusIvEENS9_8equal_toIvEExEE10hipError_tPvRmT2_T3_T4_T5_mT6_T7_P12ihipStream_tbENKUlT_T0_E_clISt17integral_constantIbLb1EESZ_EEDaSU_SV_EUlSU_E_NS1_11comp_targetILNS1_3genE10ELNS1_11target_archE1201ELNS1_3gpuE5ELNS1_3repE0EEENS1_30default_config_static_selectorELNS0_4arch9wavefront6targetE1EEEvT1_
    .private_segment_fixed_size: 0
    .sgpr_count:     4
    .sgpr_spill_count: 0
    .symbol:         _ZN7rocprim17ROCPRIM_400000_NS6detail17trampoline_kernelINS0_14default_configENS1_27scan_by_key_config_selectorIxxEEZZNS1_16scan_by_key_implILNS1_25lookback_scan_determinismE0ELb1ES3_N6thrust23THRUST_200600_302600_NS6detail15normal_iteratorINS9_10device_ptrIxEEEESE_SE_xNS9_4plusIvEENS9_8equal_toIvEExEE10hipError_tPvRmT2_T3_T4_T5_mT6_T7_P12ihipStream_tbENKUlT_T0_E_clISt17integral_constantIbLb1EESZ_EEDaSU_SV_EUlSU_E_NS1_11comp_targetILNS1_3genE10ELNS1_11target_archE1201ELNS1_3gpuE5ELNS1_3repE0EEENS1_30default_config_static_selectorELNS0_4arch9wavefront6targetE1EEEvT1_.kd
    .uniform_work_group_size: 1
    .uses_dynamic_stack: false
    .vgpr_count:     0
    .vgpr_spill_count: 0
    .wavefront_size: 64
  - .agpr_count:     0
    .args:
      - .offset:         0
        .size:           136
        .value_kind:     by_value
    .group_segment_fixed_size: 0
    .kernarg_segment_align: 8
    .kernarg_segment_size: 136
    .language:       OpenCL C
    .language_version:
      - 2
      - 0
    .max_flat_workgroup_size: 256
    .name:           _ZN7rocprim17ROCPRIM_400000_NS6detail17trampoline_kernelINS0_14default_configENS1_27scan_by_key_config_selectorIxxEEZZNS1_16scan_by_key_implILNS1_25lookback_scan_determinismE0ELb1ES3_N6thrust23THRUST_200600_302600_NS6detail15normal_iteratorINS9_10device_ptrIxEEEESE_SE_xNS9_4plusIvEENS9_8equal_toIvEExEE10hipError_tPvRmT2_T3_T4_T5_mT6_T7_P12ihipStream_tbENKUlT_T0_E_clISt17integral_constantIbLb1EESZ_EEDaSU_SV_EUlSU_E_NS1_11comp_targetILNS1_3genE5ELNS1_11target_archE942ELNS1_3gpuE9ELNS1_3repE0EEENS1_30default_config_static_selectorELNS0_4arch9wavefront6targetE1EEEvT1_
    .private_segment_fixed_size: 0
    .sgpr_count:     4
    .sgpr_spill_count: 0
    .symbol:         _ZN7rocprim17ROCPRIM_400000_NS6detail17trampoline_kernelINS0_14default_configENS1_27scan_by_key_config_selectorIxxEEZZNS1_16scan_by_key_implILNS1_25lookback_scan_determinismE0ELb1ES3_N6thrust23THRUST_200600_302600_NS6detail15normal_iteratorINS9_10device_ptrIxEEEESE_SE_xNS9_4plusIvEENS9_8equal_toIvEExEE10hipError_tPvRmT2_T3_T4_T5_mT6_T7_P12ihipStream_tbENKUlT_T0_E_clISt17integral_constantIbLb1EESZ_EEDaSU_SV_EUlSU_E_NS1_11comp_targetILNS1_3genE5ELNS1_11target_archE942ELNS1_3gpuE9ELNS1_3repE0EEENS1_30default_config_static_selectorELNS0_4arch9wavefront6targetE1EEEvT1_.kd
    .uniform_work_group_size: 1
    .uses_dynamic_stack: false
    .vgpr_count:     0
    .vgpr_spill_count: 0
    .wavefront_size: 64
  - .agpr_count:     0
    .args:
      - .offset:         0
        .size:           136
        .value_kind:     by_value
    .group_segment_fixed_size: 10752
    .kernarg_segment_align: 8
    .kernarg_segment_size: 136
    .language:       OpenCL C
    .language_version:
      - 2
      - 0
    .max_flat_workgroup_size: 64
    .name:           _ZN7rocprim17ROCPRIM_400000_NS6detail17trampoline_kernelINS0_14default_configENS1_27scan_by_key_config_selectorIxxEEZZNS1_16scan_by_key_implILNS1_25lookback_scan_determinismE0ELb1ES3_N6thrust23THRUST_200600_302600_NS6detail15normal_iteratorINS9_10device_ptrIxEEEESE_SE_xNS9_4plusIvEENS9_8equal_toIvEExEE10hipError_tPvRmT2_T3_T4_T5_mT6_T7_P12ihipStream_tbENKUlT_T0_E_clISt17integral_constantIbLb1EESZ_EEDaSU_SV_EUlSU_E_NS1_11comp_targetILNS1_3genE4ELNS1_11target_archE910ELNS1_3gpuE8ELNS1_3repE0EEENS1_30default_config_static_selectorELNS0_4arch9wavefront6targetE1EEEvT1_
    .private_segment_fixed_size: 0
    .sgpr_count:     74
    .sgpr_spill_count: 0
    .symbol:         _ZN7rocprim17ROCPRIM_400000_NS6detail17trampoline_kernelINS0_14default_configENS1_27scan_by_key_config_selectorIxxEEZZNS1_16scan_by_key_implILNS1_25lookback_scan_determinismE0ELb1ES3_N6thrust23THRUST_200600_302600_NS6detail15normal_iteratorINS9_10device_ptrIxEEEESE_SE_xNS9_4plusIvEENS9_8equal_toIvEExEE10hipError_tPvRmT2_T3_T4_T5_mT6_T7_P12ihipStream_tbENKUlT_T0_E_clISt17integral_constantIbLb1EESZ_EEDaSU_SV_EUlSU_E_NS1_11comp_targetILNS1_3genE4ELNS1_11target_archE910ELNS1_3gpuE8ELNS1_3repE0EEENS1_30default_config_static_selectorELNS0_4arch9wavefront6targetE1EEEvT1_.kd
    .uniform_work_group_size: 1
    .uses_dynamic_stack: false
    .vgpr_count:     119
    .vgpr_spill_count: 0
    .wavefront_size: 64
  - .agpr_count:     0
    .args:
      - .offset:         0
        .size:           136
        .value_kind:     by_value
    .group_segment_fixed_size: 0
    .kernarg_segment_align: 8
    .kernarg_segment_size: 136
    .language:       OpenCL C
    .language_version:
      - 2
      - 0
    .max_flat_workgroup_size: 256
    .name:           _ZN7rocprim17ROCPRIM_400000_NS6detail17trampoline_kernelINS0_14default_configENS1_27scan_by_key_config_selectorIxxEEZZNS1_16scan_by_key_implILNS1_25lookback_scan_determinismE0ELb1ES3_N6thrust23THRUST_200600_302600_NS6detail15normal_iteratorINS9_10device_ptrIxEEEESE_SE_xNS9_4plusIvEENS9_8equal_toIvEExEE10hipError_tPvRmT2_T3_T4_T5_mT6_T7_P12ihipStream_tbENKUlT_T0_E_clISt17integral_constantIbLb1EESZ_EEDaSU_SV_EUlSU_E_NS1_11comp_targetILNS1_3genE3ELNS1_11target_archE908ELNS1_3gpuE7ELNS1_3repE0EEENS1_30default_config_static_selectorELNS0_4arch9wavefront6targetE1EEEvT1_
    .private_segment_fixed_size: 0
    .sgpr_count:     4
    .sgpr_spill_count: 0
    .symbol:         _ZN7rocprim17ROCPRIM_400000_NS6detail17trampoline_kernelINS0_14default_configENS1_27scan_by_key_config_selectorIxxEEZZNS1_16scan_by_key_implILNS1_25lookback_scan_determinismE0ELb1ES3_N6thrust23THRUST_200600_302600_NS6detail15normal_iteratorINS9_10device_ptrIxEEEESE_SE_xNS9_4plusIvEENS9_8equal_toIvEExEE10hipError_tPvRmT2_T3_T4_T5_mT6_T7_P12ihipStream_tbENKUlT_T0_E_clISt17integral_constantIbLb1EESZ_EEDaSU_SV_EUlSU_E_NS1_11comp_targetILNS1_3genE3ELNS1_11target_archE908ELNS1_3gpuE7ELNS1_3repE0EEENS1_30default_config_static_selectorELNS0_4arch9wavefront6targetE1EEEvT1_.kd
    .uniform_work_group_size: 1
    .uses_dynamic_stack: false
    .vgpr_count:     0
    .vgpr_spill_count: 0
    .wavefront_size: 64
  - .agpr_count:     0
    .args:
      - .offset:         0
        .size:           136
        .value_kind:     by_value
    .group_segment_fixed_size: 0
    .kernarg_segment_align: 8
    .kernarg_segment_size: 136
    .language:       OpenCL C
    .language_version:
      - 2
      - 0
    .max_flat_workgroup_size: 256
    .name:           _ZN7rocprim17ROCPRIM_400000_NS6detail17trampoline_kernelINS0_14default_configENS1_27scan_by_key_config_selectorIxxEEZZNS1_16scan_by_key_implILNS1_25lookback_scan_determinismE0ELb1ES3_N6thrust23THRUST_200600_302600_NS6detail15normal_iteratorINS9_10device_ptrIxEEEESE_SE_xNS9_4plusIvEENS9_8equal_toIvEExEE10hipError_tPvRmT2_T3_T4_T5_mT6_T7_P12ihipStream_tbENKUlT_T0_E_clISt17integral_constantIbLb1EESZ_EEDaSU_SV_EUlSU_E_NS1_11comp_targetILNS1_3genE2ELNS1_11target_archE906ELNS1_3gpuE6ELNS1_3repE0EEENS1_30default_config_static_selectorELNS0_4arch9wavefront6targetE1EEEvT1_
    .private_segment_fixed_size: 0
    .sgpr_count:     4
    .sgpr_spill_count: 0
    .symbol:         _ZN7rocprim17ROCPRIM_400000_NS6detail17trampoline_kernelINS0_14default_configENS1_27scan_by_key_config_selectorIxxEEZZNS1_16scan_by_key_implILNS1_25lookback_scan_determinismE0ELb1ES3_N6thrust23THRUST_200600_302600_NS6detail15normal_iteratorINS9_10device_ptrIxEEEESE_SE_xNS9_4plusIvEENS9_8equal_toIvEExEE10hipError_tPvRmT2_T3_T4_T5_mT6_T7_P12ihipStream_tbENKUlT_T0_E_clISt17integral_constantIbLb1EESZ_EEDaSU_SV_EUlSU_E_NS1_11comp_targetILNS1_3genE2ELNS1_11target_archE906ELNS1_3gpuE6ELNS1_3repE0EEENS1_30default_config_static_selectorELNS0_4arch9wavefront6targetE1EEEvT1_.kd
    .uniform_work_group_size: 1
    .uses_dynamic_stack: false
    .vgpr_count:     0
    .vgpr_spill_count: 0
    .wavefront_size: 64
  - .agpr_count:     0
    .args:
      - .offset:         0
        .size:           136
        .value_kind:     by_value
    .group_segment_fixed_size: 0
    .kernarg_segment_align: 8
    .kernarg_segment_size: 136
    .language:       OpenCL C
    .language_version:
      - 2
      - 0
    .max_flat_workgroup_size: 256
    .name:           _ZN7rocprim17ROCPRIM_400000_NS6detail17trampoline_kernelINS0_14default_configENS1_27scan_by_key_config_selectorIxxEEZZNS1_16scan_by_key_implILNS1_25lookback_scan_determinismE0ELb1ES3_N6thrust23THRUST_200600_302600_NS6detail15normal_iteratorINS9_10device_ptrIxEEEESE_SE_xNS9_4plusIvEENS9_8equal_toIvEExEE10hipError_tPvRmT2_T3_T4_T5_mT6_T7_P12ihipStream_tbENKUlT_T0_E_clISt17integral_constantIbLb1EESZ_EEDaSU_SV_EUlSU_E_NS1_11comp_targetILNS1_3genE10ELNS1_11target_archE1200ELNS1_3gpuE4ELNS1_3repE0EEENS1_30default_config_static_selectorELNS0_4arch9wavefront6targetE1EEEvT1_
    .private_segment_fixed_size: 0
    .sgpr_count:     4
    .sgpr_spill_count: 0
    .symbol:         _ZN7rocprim17ROCPRIM_400000_NS6detail17trampoline_kernelINS0_14default_configENS1_27scan_by_key_config_selectorIxxEEZZNS1_16scan_by_key_implILNS1_25lookback_scan_determinismE0ELb1ES3_N6thrust23THRUST_200600_302600_NS6detail15normal_iteratorINS9_10device_ptrIxEEEESE_SE_xNS9_4plusIvEENS9_8equal_toIvEExEE10hipError_tPvRmT2_T3_T4_T5_mT6_T7_P12ihipStream_tbENKUlT_T0_E_clISt17integral_constantIbLb1EESZ_EEDaSU_SV_EUlSU_E_NS1_11comp_targetILNS1_3genE10ELNS1_11target_archE1200ELNS1_3gpuE4ELNS1_3repE0EEENS1_30default_config_static_selectorELNS0_4arch9wavefront6targetE1EEEvT1_.kd
    .uniform_work_group_size: 1
    .uses_dynamic_stack: false
    .vgpr_count:     0
    .vgpr_spill_count: 0
    .wavefront_size: 64
  - .agpr_count:     0
    .args:
      - .offset:         0
        .size:           136
        .value_kind:     by_value
    .group_segment_fixed_size: 0
    .kernarg_segment_align: 8
    .kernarg_segment_size: 136
    .language:       OpenCL C
    .language_version:
      - 2
      - 0
    .max_flat_workgroup_size: 256
    .name:           _ZN7rocprim17ROCPRIM_400000_NS6detail17trampoline_kernelINS0_14default_configENS1_27scan_by_key_config_selectorIxxEEZZNS1_16scan_by_key_implILNS1_25lookback_scan_determinismE0ELb1ES3_N6thrust23THRUST_200600_302600_NS6detail15normal_iteratorINS9_10device_ptrIxEEEESE_SE_xNS9_4plusIvEENS9_8equal_toIvEExEE10hipError_tPvRmT2_T3_T4_T5_mT6_T7_P12ihipStream_tbENKUlT_T0_E_clISt17integral_constantIbLb1EESZ_EEDaSU_SV_EUlSU_E_NS1_11comp_targetILNS1_3genE9ELNS1_11target_archE1100ELNS1_3gpuE3ELNS1_3repE0EEENS1_30default_config_static_selectorELNS0_4arch9wavefront6targetE1EEEvT1_
    .private_segment_fixed_size: 0
    .sgpr_count:     4
    .sgpr_spill_count: 0
    .symbol:         _ZN7rocprim17ROCPRIM_400000_NS6detail17trampoline_kernelINS0_14default_configENS1_27scan_by_key_config_selectorIxxEEZZNS1_16scan_by_key_implILNS1_25lookback_scan_determinismE0ELb1ES3_N6thrust23THRUST_200600_302600_NS6detail15normal_iteratorINS9_10device_ptrIxEEEESE_SE_xNS9_4plusIvEENS9_8equal_toIvEExEE10hipError_tPvRmT2_T3_T4_T5_mT6_T7_P12ihipStream_tbENKUlT_T0_E_clISt17integral_constantIbLb1EESZ_EEDaSU_SV_EUlSU_E_NS1_11comp_targetILNS1_3genE9ELNS1_11target_archE1100ELNS1_3gpuE3ELNS1_3repE0EEENS1_30default_config_static_selectorELNS0_4arch9wavefront6targetE1EEEvT1_.kd
    .uniform_work_group_size: 1
    .uses_dynamic_stack: false
    .vgpr_count:     0
    .vgpr_spill_count: 0
    .wavefront_size: 64
  - .agpr_count:     0
    .args:
      - .offset:         0
        .size:           136
        .value_kind:     by_value
    .group_segment_fixed_size: 0
    .kernarg_segment_align: 8
    .kernarg_segment_size: 136
    .language:       OpenCL C
    .language_version:
      - 2
      - 0
    .max_flat_workgroup_size: 256
    .name:           _ZN7rocprim17ROCPRIM_400000_NS6detail17trampoline_kernelINS0_14default_configENS1_27scan_by_key_config_selectorIxxEEZZNS1_16scan_by_key_implILNS1_25lookback_scan_determinismE0ELb1ES3_N6thrust23THRUST_200600_302600_NS6detail15normal_iteratorINS9_10device_ptrIxEEEESE_SE_xNS9_4plusIvEENS9_8equal_toIvEExEE10hipError_tPvRmT2_T3_T4_T5_mT6_T7_P12ihipStream_tbENKUlT_T0_E_clISt17integral_constantIbLb1EESZ_EEDaSU_SV_EUlSU_E_NS1_11comp_targetILNS1_3genE8ELNS1_11target_archE1030ELNS1_3gpuE2ELNS1_3repE0EEENS1_30default_config_static_selectorELNS0_4arch9wavefront6targetE1EEEvT1_
    .private_segment_fixed_size: 0
    .sgpr_count:     4
    .sgpr_spill_count: 0
    .symbol:         _ZN7rocprim17ROCPRIM_400000_NS6detail17trampoline_kernelINS0_14default_configENS1_27scan_by_key_config_selectorIxxEEZZNS1_16scan_by_key_implILNS1_25lookback_scan_determinismE0ELb1ES3_N6thrust23THRUST_200600_302600_NS6detail15normal_iteratorINS9_10device_ptrIxEEEESE_SE_xNS9_4plusIvEENS9_8equal_toIvEExEE10hipError_tPvRmT2_T3_T4_T5_mT6_T7_P12ihipStream_tbENKUlT_T0_E_clISt17integral_constantIbLb1EESZ_EEDaSU_SV_EUlSU_E_NS1_11comp_targetILNS1_3genE8ELNS1_11target_archE1030ELNS1_3gpuE2ELNS1_3repE0EEENS1_30default_config_static_selectorELNS0_4arch9wavefront6targetE1EEEvT1_.kd
    .uniform_work_group_size: 1
    .uses_dynamic_stack: false
    .vgpr_count:     0
    .vgpr_spill_count: 0
    .wavefront_size: 64
  - .agpr_count:     0
    .args:
      - .offset:         0
        .size:           136
        .value_kind:     by_value
    .group_segment_fixed_size: 0
    .kernarg_segment_align: 8
    .kernarg_segment_size: 136
    .language:       OpenCL C
    .language_version:
      - 2
      - 0
    .max_flat_workgroup_size: 256
    .name:           _ZN7rocprim17ROCPRIM_400000_NS6detail17trampoline_kernelINS0_14default_configENS1_27scan_by_key_config_selectorIxxEEZZNS1_16scan_by_key_implILNS1_25lookback_scan_determinismE0ELb1ES3_N6thrust23THRUST_200600_302600_NS6detail15normal_iteratorINS9_10device_ptrIxEEEESE_SE_xNS9_4plusIvEENS9_8equal_toIvEExEE10hipError_tPvRmT2_T3_T4_T5_mT6_T7_P12ihipStream_tbENKUlT_T0_E_clISt17integral_constantIbLb1EESY_IbLb0EEEEDaSU_SV_EUlSU_E_NS1_11comp_targetILNS1_3genE0ELNS1_11target_archE4294967295ELNS1_3gpuE0ELNS1_3repE0EEENS1_30default_config_static_selectorELNS0_4arch9wavefront6targetE1EEEvT1_
    .private_segment_fixed_size: 0
    .sgpr_count:     4
    .sgpr_spill_count: 0
    .symbol:         _ZN7rocprim17ROCPRIM_400000_NS6detail17trampoline_kernelINS0_14default_configENS1_27scan_by_key_config_selectorIxxEEZZNS1_16scan_by_key_implILNS1_25lookback_scan_determinismE0ELb1ES3_N6thrust23THRUST_200600_302600_NS6detail15normal_iteratorINS9_10device_ptrIxEEEESE_SE_xNS9_4plusIvEENS9_8equal_toIvEExEE10hipError_tPvRmT2_T3_T4_T5_mT6_T7_P12ihipStream_tbENKUlT_T0_E_clISt17integral_constantIbLb1EESY_IbLb0EEEEDaSU_SV_EUlSU_E_NS1_11comp_targetILNS1_3genE0ELNS1_11target_archE4294967295ELNS1_3gpuE0ELNS1_3repE0EEENS1_30default_config_static_selectorELNS0_4arch9wavefront6targetE1EEEvT1_.kd
    .uniform_work_group_size: 1
    .uses_dynamic_stack: false
    .vgpr_count:     0
    .vgpr_spill_count: 0
    .wavefront_size: 64
  - .agpr_count:     0
    .args:
      - .offset:         0
        .size:           136
        .value_kind:     by_value
    .group_segment_fixed_size: 0
    .kernarg_segment_align: 8
    .kernarg_segment_size: 136
    .language:       OpenCL C
    .language_version:
      - 2
      - 0
    .max_flat_workgroup_size: 256
    .name:           _ZN7rocprim17ROCPRIM_400000_NS6detail17trampoline_kernelINS0_14default_configENS1_27scan_by_key_config_selectorIxxEEZZNS1_16scan_by_key_implILNS1_25lookback_scan_determinismE0ELb1ES3_N6thrust23THRUST_200600_302600_NS6detail15normal_iteratorINS9_10device_ptrIxEEEESE_SE_xNS9_4plusIvEENS9_8equal_toIvEExEE10hipError_tPvRmT2_T3_T4_T5_mT6_T7_P12ihipStream_tbENKUlT_T0_E_clISt17integral_constantIbLb1EESY_IbLb0EEEEDaSU_SV_EUlSU_E_NS1_11comp_targetILNS1_3genE10ELNS1_11target_archE1201ELNS1_3gpuE5ELNS1_3repE0EEENS1_30default_config_static_selectorELNS0_4arch9wavefront6targetE1EEEvT1_
    .private_segment_fixed_size: 0
    .sgpr_count:     4
    .sgpr_spill_count: 0
    .symbol:         _ZN7rocprim17ROCPRIM_400000_NS6detail17trampoline_kernelINS0_14default_configENS1_27scan_by_key_config_selectorIxxEEZZNS1_16scan_by_key_implILNS1_25lookback_scan_determinismE0ELb1ES3_N6thrust23THRUST_200600_302600_NS6detail15normal_iteratorINS9_10device_ptrIxEEEESE_SE_xNS9_4plusIvEENS9_8equal_toIvEExEE10hipError_tPvRmT2_T3_T4_T5_mT6_T7_P12ihipStream_tbENKUlT_T0_E_clISt17integral_constantIbLb1EESY_IbLb0EEEEDaSU_SV_EUlSU_E_NS1_11comp_targetILNS1_3genE10ELNS1_11target_archE1201ELNS1_3gpuE5ELNS1_3repE0EEENS1_30default_config_static_selectorELNS0_4arch9wavefront6targetE1EEEvT1_.kd
    .uniform_work_group_size: 1
    .uses_dynamic_stack: false
    .vgpr_count:     0
    .vgpr_spill_count: 0
    .wavefront_size: 64
  - .agpr_count:     0
    .args:
      - .offset:         0
        .size:           136
        .value_kind:     by_value
    .group_segment_fixed_size: 0
    .kernarg_segment_align: 8
    .kernarg_segment_size: 136
    .language:       OpenCL C
    .language_version:
      - 2
      - 0
    .max_flat_workgroup_size: 256
    .name:           _ZN7rocprim17ROCPRIM_400000_NS6detail17trampoline_kernelINS0_14default_configENS1_27scan_by_key_config_selectorIxxEEZZNS1_16scan_by_key_implILNS1_25lookback_scan_determinismE0ELb1ES3_N6thrust23THRUST_200600_302600_NS6detail15normal_iteratorINS9_10device_ptrIxEEEESE_SE_xNS9_4plusIvEENS9_8equal_toIvEExEE10hipError_tPvRmT2_T3_T4_T5_mT6_T7_P12ihipStream_tbENKUlT_T0_E_clISt17integral_constantIbLb1EESY_IbLb0EEEEDaSU_SV_EUlSU_E_NS1_11comp_targetILNS1_3genE5ELNS1_11target_archE942ELNS1_3gpuE9ELNS1_3repE0EEENS1_30default_config_static_selectorELNS0_4arch9wavefront6targetE1EEEvT1_
    .private_segment_fixed_size: 0
    .sgpr_count:     4
    .sgpr_spill_count: 0
    .symbol:         _ZN7rocprim17ROCPRIM_400000_NS6detail17trampoline_kernelINS0_14default_configENS1_27scan_by_key_config_selectorIxxEEZZNS1_16scan_by_key_implILNS1_25lookback_scan_determinismE0ELb1ES3_N6thrust23THRUST_200600_302600_NS6detail15normal_iteratorINS9_10device_ptrIxEEEESE_SE_xNS9_4plusIvEENS9_8equal_toIvEExEE10hipError_tPvRmT2_T3_T4_T5_mT6_T7_P12ihipStream_tbENKUlT_T0_E_clISt17integral_constantIbLb1EESY_IbLb0EEEEDaSU_SV_EUlSU_E_NS1_11comp_targetILNS1_3genE5ELNS1_11target_archE942ELNS1_3gpuE9ELNS1_3repE0EEENS1_30default_config_static_selectorELNS0_4arch9wavefront6targetE1EEEvT1_.kd
    .uniform_work_group_size: 1
    .uses_dynamic_stack: false
    .vgpr_count:     0
    .vgpr_spill_count: 0
    .wavefront_size: 64
  - .agpr_count:     0
    .args:
      - .offset:         0
        .size:           136
        .value_kind:     by_value
    .group_segment_fixed_size: 10752
    .kernarg_segment_align: 8
    .kernarg_segment_size: 136
    .language:       OpenCL C
    .language_version:
      - 2
      - 0
    .max_flat_workgroup_size: 64
    .name:           _ZN7rocprim17ROCPRIM_400000_NS6detail17trampoline_kernelINS0_14default_configENS1_27scan_by_key_config_selectorIxxEEZZNS1_16scan_by_key_implILNS1_25lookback_scan_determinismE0ELb1ES3_N6thrust23THRUST_200600_302600_NS6detail15normal_iteratorINS9_10device_ptrIxEEEESE_SE_xNS9_4plusIvEENS9_8equal_toIvEExEE10hipError_tPvRmT2_T3_T4_T5_mT6_T7_P12ihipStream_tbENKUlT_T0_E_clISt17integral_constantIbLb1EESY_IbLb0EEEEDaSU_SV_EUlSU_E_NS1_11comp_targetILNS1_3genE4ELNS1_11target_archE910ELNS1_3gpuE8ELNS1_3repE0EEENS1_30default_config_static_selectorELNS0_4arch9wavefront6targetE1EEEvT1_
    .private_segment_fixed_size: 0
    .sgpr_count:     77
    .sgpr_spill_count: 0
    .symbol:         _ZN7rocprim17ROCPRIM_400000_NS6detail17trampoline_kernelINS0_14default_configENS1_27scan_by_key_config_selectorIxxEEZZNS1_16scan_by_key_implILNS1_25lookback_scan_determinismE0ELb1ES3_N6thrust23THRUST_200600_302600_NS6detail15normal_iteratorINS9_10device_ptrIxEEEESE_SE_xNS9_4plusIvEENS9_8equal_toIvEExEE10hipError_tPvRmT2_T3_T4_T5_mT6_T7_P12ihipStream_tbENKUlT_T0_E_clISt17integral_constantIbLb1EESY_IbLb0EEEEDaSU_SV_EUlSU_E_NS1_11comp_targetILNS1_3genE4ELNS1_11target_archE910ELNS1_3gpuE8ELNS1_3repE0EEENS1_30default_config_static_selectorELNS0_4arch9wavefront6targetE1EEEvT1_.kd
    .uniform_work_group_size: 1
    .uses_dynamic_stack: false
    .vgpr_count:     117
    .vgpr_spill_count: 0
    .wavefront_size: 64
  - .agpr_count:     0
    .args:
      - .offset:         0
        .size:           136
        .value_kind:     by_value
    .group_segment_fixed_size: 0
    .kernarg_segment_align: 8
    .kernarg_segment_size: 136
    .language:       OpenCL C
    .language_version:
      - 2
      - 0
    .max_flat_workgroup_size: 256
    .name:           _ZN7rocprim17ROCPRIM_400000_NS6detail17trampoline_kernelINS0_14default_configENS1_27scan_by_key_config_selectorIxxEEZZNS1_16scan_by_key_implILNS1_25lookback_scan_determinismE0ELb1ES3_N6thrust23THRUST_200600_302600_NS6detail15normal_iteratorINS9_10device_ptrIxEEEESE_SE_xNS9_4plusIvEENS9_8equal_toIvEExEE10hipError_tPvRmT2_T3_T4_T5_mT6_T7_P12ihipStream_tbENKUlT_T0_E_clISt17integral_constantIbLb1EESY_IbLb0EEEEDaSU_SV_EUlSU_E_NS1_11comp_targetILNS1_3genE3ELNS1_11target_archE908ELNS1_3gpuE7ELNS1_3repE0EEENS1_30default_config_static_selectorELNS0_4arch9wavefront6targetE1EEEvT1_
    .private_segment_fixed_size: 0
    .sgpr_count:     4
    .sgpr_spill_count: 0
    .symbol:         _ZN7rocprim17ROCPRIM_400000_NS6detail17trampoline_kernelINS0_14default_configENS1_27scan_by_key_config_selectorIxxEEZZNS1_16scan_by_key_implILNS1_25lookback_scan_determinismE0ELb1ES3_N6thrust23THRUST_200600_302600_NS6detail15normal_iteratorINS9_10device_ptrIxEEEESE_SE_xNS9_4plusIvEENS9_8equal_toIvEExEE10hipError_tPvRmT2_T3_T4_T5_mT6_T7_P12ihipStream_tbENKUlT_T0_E_clISt17integral_constantIbLb1EESY_IbLb0EEEEDaSU_SV_EUlSU_E_NS1_11comp_targetILNS1_3genE3ELNS1_11target_archE908ELNS1_3gpuE7ELNS1_3repE0EEENS1_30default_config_static_selectorELNS0_4arch9wavefront6targetE1EEEvT1_.kd
    .uniform_work_group_size: 1
    .uses_dynamic_stack: false
    .vgpr_count:     0
    .vgpr_spill_count: 0
    .wavefront_size: 64
  - .agpr_count:     0
    .args:
      - .offset:         0
        .size:           136
        .value_kind:     by_value
    .group_segment_fixed_size: 0
    .kernarg_segment_align: 8
    .kernarg_segment_size: 136
    .language:       OpenCL C
    .language_version:
      - 2
      - 0
    .max_flat_workgroup_size: 256
    .name:           _ZN7rocprim17ROCPRIM_400000_NS6detail17trampoline_kernelINS0_14default_configENS1_27scan_by_key_config_selectorIxxEEZZNS1_16scan_by_key_implILNS1_25lookback_scan_determinismE0ELb1ES3_N6thrust23THRUST_200600_302600_NS6detail15normal_iteratorINS9_10device_ptrIxEEEESE_SE_xNS9_4plusIvEENS9_8equal_toIvEExEE10hipError_tPvRmT2_T3_T4_T5_mT6_T7_P12ihipStream_tbENKUlT_T0_E_clISt17integral_constantIbLb1EESY_IbLb0EEEEDaSU_SV_EUlSU_E_NS1_11comp_targetILNS1_3genE2ELNS1_11target_archE906ELNS1_3gpuE6ELNS1_3repE0EEENS1_30default_config_static_selectorELNS0_4arch9wavefront6targetE1EEEvT1_
    .private_segment_fixed_size: 0
    .sgpr_count:     4
    .sgpr_spill_count: 0
    .symbol:         _ZN7rocprim17ROCPRIM_400000_NS6detail17trampoline_kernelINS0_14default_configENS1_27scan_by_key_config_selectorIxxEEZZNS1_16scan_by_key_implILNS1_25lookback_scan_determinismE0ELb1ES3_N6thrust23THRUST_200600_302600_NS6detail15normal_iteratorINS9_10device_ptrIxEEEESE_SE_xNS9_4plusIvEENS9_8equal_toIvEExEE10hipError_tPvRmT2_T3_T4_T5_mT6_T7_P12ihipStream_tbENKUlT_T0_E_clISt17integral_constantIbLb1EESY_IbLb0EEEEDaSU_SV_EUlSU_E_NS1_11comp_targetILNS1_3genE2ELNS1_11target_archE906ELNS1_3gpuE6ELNS1_3repE0EEENS1_30default_config_static_selectorELNS0_4arch9wavefront6targetE1EEEvT1_.kd
    .uniform_work_group_size: 1
    .uses_dynamic_stack: false
    .vgpr_count:     0
    .vgpr_spill_count: 0
    .wavefront_size: 64
  - .agpr_count:     0
    .args:
      - .offset:         0
        .size:           136
        .value_kind:     by_value
    .group_segment_fixed_size: 0
    .kernarg_segment_align: 8
    .kernarg_segment_size: 136
    .language:       OpenCL C
    .language_version:
      - 2
      - 0
    .max_flat_workgroup_size: 256
    .name:           _ZN7rocprim17ROCPRIM_400000_NS6detail17trampoline_kernelINS0_14default_configENS1_27scan_by_key_config_selectorIxxEEZZNS1_16scan_by_key_implILNS1_25lookback_scan_determinismE0ELb1ES3_N6thrust23THRUST_200600_302600_NS6detail15normal_iteratorINS9_10device_ptrIxEEEESE_SE_xNS9_4plusIvEENS9_8equal_toIvEExEE10hipError_tPvRmT2_T3_T4_T5_mT6_T7_P12ihipStream_tbENKUlT_T0_E_clISt17integral_constantIbLb1EESY_IbLb0EEEEDaSU_SV_EUlSU_E_NS1_11comp_targetILNS1_3genE10ELNS1_11target_archE1200ELNS1_3gpuE4ELNS1_3repE0EEENS1_30default_config_static_selectorELNS0_4arch9wavefront6targetE1EEEvT1_
    .private_segment_fixed_size: 0
    .sgpr_count:     4
    .sgpr_spill_count: 0
    .symbol:         _ZN7rocprim17ROCPRIM_400000_NS6detail17trampoline_kernelINS0_14default_configENS1_27scan_by_key_config_selectorIxxEEZZNS1_16scan_by_key_implILNS1_25lookback_scan_determinismE0ELb1ES3_N6thrust23THRUST_200600_302600_NS6detail15normal_iteratorINS9_10device_ptrIxEEEESE_SE_xNS9_4plusIvEENS9_8equal_toIvEExEE10hipError_tPvRmT2_T3_T4_T5_mT6_T7_P12ihipStream_tbENKUlT_T0_E_clISt17integral_constantIbLb1EESY_IbLb0EEEEDaSU_SV_EUlSU_E_NS1_11comp_targetILNS1_3genE10ELNS1_11target_archE1200ELNS1_3gpuE4ELNS1_3repE0EEENS1_30default_config_static_selectorELNS0_4arch9wavefront6targetE1EEEvT1_.kd
    .uniform_work_group_size: 1
    .uses_dynamic_stack: false
    .vgpr_count:     0
    .vgpr_spill_count: 0
    .wavefront_size: 64
  - .agpr_count:     0
    .args:
      - .offset:         0
        .size:           136
        .value_kind:     by_value
    .group_segment_fixed_size: 0
    .kernarg_segment_align: 8
    .kernarg_segment_size: 136
    .language:       OpenCL C
    .language_version:
      - 2
      - 0
    .max_flat_workgroup_size: 256
    .name:           _ZN7rocprim17ROCPRIM_400000_NS6detail17trampoline_kernelINS0_14default_configENS1_27scan_by_key_config_selectorIxxEEZZNS1_16scan_by_key_implILNS1_25lookback_scan_determinismE0ELb1ES3_N6thrust23THRUST_200600_302600_NS6detail15normal_iteratorINS9_10device_ptrIxEEEESE_SE_xNS9_4plusIvEENS9_8equal_toIvEExEE10hipError_tPvRmT2_T3_T4_T5_mT6_T7_P12ihipStream_tbENKUlT_T0_E_clISt17integral_constantIbLb1EESY_IbLb0EEEEDaSU_SV_EUlSU_E_NS1_11comp_targetILNS1_3genE9ELNS1_11target_archE1100ELNS1_3gpuE3ELNS1_3repE0EEENS1_30default_config_static_selectorELNS0_4arch9wavefront6targetE1EEEvT1_
    .private_segment_fixed_size: 0
    .sgpr_count:     4
    .sgpr_spill_count: 0
    .symbol:         _ZN7rocprim17ROCPRIM_400000_NS6detail17trampoline_kernelINS0_14default_configENS1_27scan_by_key_config_selectorIxxEEZZNS1_16scan_by_key_implILNS1_25lookback_scan_determinismE0ELb1ES3_N6thrust23THRUST_200600_302600_NS6detail15normal_iteratorINS9_10device_ptrIxEEEESE_SE_xNS9_4plusIvEENS9_8equal_toIvEExEE10hipError_tPvRmT2_T3_T4_T5_mT6_T7_P12ihipStream_tbENKUlT_T0_E_clISt17integral_constantIbLb1EESY_IbLb0EEEEDaSU_SV_EUlSU_E_NS1_11comp_targetILNS1_3genE9ELNS1_11target_archE1100ELNS1_3gpuE3ELNS1_3repE0EEENS1_30default_config_static_selectorELNS0_4arch9wavefront6targetE1EEEvT1_.kd
    .uniform_work_group_size: 1
    .uses_dynamic_stack: false
    .vgpr_count:     0
    .vgpr_spill_count: 0
    .wavefront_size: 64
  - .agpr_count:     0
    .args:
      - .offset:         0
        .size:           136
        .value_kind:     by_value
    .group_segment_fixed_size: 0
    .kernarg_segment_align: 8
    .kernarg_segment_size: 136
    .language:       OpenCL C
    .language_version:
      - 2
      - 0
    .max_flat_workgroup_size: 256
    .name:           _ZN7rocprim17ROCPRIM_400000_NS6detail17trampoline_kernelINS0_14default_configENS1_27scan_by_key_config_selectorIxxEEZZNS1_16scan_by_key_implILNS1_25lookback_scan_determinismE0ELb1ES3_N6thrust23THRUST_200600_302600_NS6detail15normal_iteratorINS9_10device_ptrIxEEEESE_SE_xNS9_4plusIvEENS9_8equal_toIvEExEE10hipError_tPvRmT2_T3_T4_T5_mT6_T7_P12ihipStream_tbENKUlT_T0_E_clISt17integral_constantIbLb1EESY_IbLb0EEEEDaSU_SV_EUlSU_E_NS1_11comp_targetILNS1_3genE8ELNS1_11target_archE1030ELNS1_3gpuE2ELNS1_3repE0EEENS1_30default_config_static_selectorELNS0_4arch9wavefront6targetE1EEEvT1_
    .private_segment_fixed_size: 0
    .sgpr_count:     4
    .sgpr_spill_count: 0
    .symbol:         _ZN7rocprim17ROCPRIM_400000_NS6detail17trampoline_kernelINS0_14default_configENS1_27scan_by_key_config_selectorIxxEEZZNS1_16scan_by_key_implILNS1_25lookback_scan_determinismE0ELb1ES3_N6thrust23THRUST_200600_302600_NS6detail15normal_iteratorINS9_10device_ptrIxEEEESE_SE_xNS9_4plusIvEENS9_8equal_toIvEExEE10hipError_tPvRmT2_T3_T4_T5_mT6_T7_P12ihipStream_tbENKUlT_T0_E_clISt17integral_constantIbLb1EESY_IbLb0EEEEDaSU_SV_EUlSU_E_NS1_11comp_targetILNS1_3genE8ELNS1_11target_archE1030ELNS1_3gpuE2ELNS1_3repE0EEENS1_30default_config_static_selectorELNS0_4arch9wavefront6targetE1EEEvT1_.kd
    .uniform_work_group_size: 1
    .uses_dynamic_stack: false
    .vgpr_count:     0
    .vgpr_spill_count: 0
    .wavefront_size: 64
  - .agpr_count:     0
    .args:
      - .offset:         0
        .size:           136
        .value_kind:     by_value
    .group_segment_fixed_size: 0
    .kernarg_segment_align: 8
    .kernarg_segment_size: 136
    .language:       OpenCL C
    .language_version:
      - 2
      - 0
    .max_flat_workgroup_size: 256
    .name:           _ZN7rocprim17ROCPRIM_400000_NS6detail17trampoline_kernelINS0_14default_configENS1_27scan_by_key_config_selectorIxxEEZZNS1_16scan_by_key_implILNS1_25lookback_scan_determinismE0ELb1ES3_N6thrust23THRUST_200600_302600_NS6detail15normal_iteratorINS9_10device_ptrIxEEEESE_SE_xNS9_4plusIvEENS9_8equal_toIvEExEE10hipError_tPvRmT2_T3_T4_T5_mT6_T7_P12ihipStream_tbENKUlT_T0_E_clISt17integral_constantIbLb0EESY_IbLb1EEEEDaSU_SV_EUlSU_E_NS1_11comp_targetILNS1_3genE0ELNS1_11target_archE4294967295ELNS1_3gpuE0ELNS1_3repE0EEENS1_30default_config_static_selectorELNS0_4arch9wavefront6targetE1EEEvT1_
    .private_segment_fixed_size: 0
    .sgpr_count:     4
    .sgpr_spill_count: 0
    .symbol:         _ZN7rocprim17ROCPRIM_400000_NS6detail17trampoline_kernelINS0_14default_configENS1_27scan_by_key_config_selectorIxxEEZZNS1_16scan_by_key_implILNS1_25lookback_scan_determinismE0ELb1ES3_N6thrust23THRUST_200600_302600_NS6detail15normal_iteratorINS9_10device_ptrIxEEEESE_SE_xNS9_4plusIvEENS9_8equal_toIvEExEE10hipError_tPvRmT2_T3_T4_T5_mT6_T7_P12ihipStream_tbENKUlT_T0_E_clISt17integral_constantIbLb0EESY_IbLb1EEEEDaSU_SV_EUlSU_E_NS1_11comp_targetILNS1_3genE0ELNS1_11target_archE4294967295ELNS1_3gpuE0ELNS1_3repE0EEENS1_30default_config_static_selectorELNS0_4arch9wavefront6targetE1EEEvT1_.kd
    .uniform_work_group_size: 1
    .uses_dynamic_stack: false
    .vgpr_count:     0
    .vgpr_spill_count: 0
    .wavefront_size: 64
  - .agpr_count:     0
    .args:
      - .offset:         0
        .size:           136
        .value_kind:     by_value
    .group_segment_fixed_size: 0
    .kernarg_segment_align: 8
    .kernarg_segment_size: 136
    .language:       OpenCL C
    .language_version:
      - 2
      - 0
    .max_flat_workgroup_size: 256
    .name:           _ZN7rocprim17ROCPRIM_400000_NS6detail17trampoline_kernelINS0_14default_configENS1_27scan_by_key_config_selectorIxxEEZZNS1_16scan_by_key_implILNS1_25lookback_scan_determinismE0ELb1ES3_N6thrust23THRUST_200600_302600_NS6detail15normal_iteratorINS9_10device_ptrIxEEEESE_SE_xNS9_4plusIvEENS9_8equal_toIvEExEE10hipError_tPvRmT2_T3_T4_T5_mT6_T7_P12ihipStream_tbENKUlT_T0_E_clISt17integral_constantIbLb0EESY_IbLb1EEEEDaSU_SV_EUlSU_E_NS1_11comp_targetILNS1_3genE10ELNS1_11target_archE1201ELNS1_3gpuE5ELNS1_3repE0EEENS1_30default_config_static_selectorELNS0_4arch9wavefront6targetE1EEEvT1_
    .private_segment_fixed_size: 0
    .sgpr_count:     4
    .sgpr_spill_count: 0
    .symbol:         _ZN7rocprim17ROCPRIM_400000_NS6detail17trampoline_kernelINS0_14default_configENS1_27scan_by_key_config_selectorIxxEEZZNS1_16scan_by_key_implILNS1_25lookback_scan_determinismE0ELb1ES3_N6thrust23THRUST_200600_302600_NS6detail15normal_iteratorINS9_10device_ptrIxEEEESE_SE_xNS9_4plusIvEENS9_8equal_toIvEExEE10hipError_tPvRmT2_T3_T4_T5_mT6_T7_P12ihipStream_tbENKUlT_T0_E_clISt17integral_constantIbLb0EESY_IbLb1EEEEDaSU_SV_EUlSU_E_NS1_11comp_targetILNS1_3genE10ELNS1_11target_archE1201ELNS1_3gpuE5ELNS1_3repE0EEENS1_30default_config_static_selectorELNS0_4arch9wavefront6targetE1EEEvT1_.kd
    .uniform_work_group_size: 1
    .uses_dynamic_stack: false
    .vgpr_count:     0
    .vgpr_spill_count: 0
    .wavefront_size: 64
  - .agpr_count:     0
    .args:
      - .offset:         0
        .size:           136
        .value_kind:     by_value
    .group_segment_fixed_size: 0
    .kernarg_segment_align: 8
    .kernarg_segment_size: 136
    .language:       OpenCL C
    .language_version:
      - 2
      - 0
    .max_flat_workgroup_size: 256
    .name:           _ZN7rocprim17ROCPRIM_400000_NS6detail17trampoline_kernelINS0_14default_configENS1_27scan_by_key_config_selectorIxxEEZZNS1_16scan_by_key_implILNS1_25lookback_scan_determinismE0ELb1ES3_N6thrust23THRUST_200600_302600_NS6detail15normal_iteratorINS9_10device_ptrIxEEEESE_SE_xNS9_4plusIvEENS9_8equal_toIvEExEE10hipError_tPvRmT2_T3_T4_T5_mT6_T7_P12ihipStream_tbENKUlT_T0_E_clISt17integral_constantIbLb0EESY_IbLb1EEEEDaSU_SV_EUlSU_E_NS1_11comp_targetILNS1_3genE5ELNS1_11target_archE942ELNS1_3gpuE9ELNS1_3repE0EEENS1_30default_config_static_selectorELNS0_4arch9wavefront6targetE1EEEvT1_
    .private_segment_fixed_size: 0
    .sgpr_count:     4
    .sgpr_spill_count: 0
    .symbol:         _ZN7rocprim17ROCPRIM_400000_NS6detail17trampoline_kernelINS0_14default_configENS1_27scan_by_key_config_selectorIxxEEZZNS1_16scan_by_key_implILNS1_25lookback_scan_determinismE0ELb1ES3_N6thrust23THRUST_200600_302600_NS6detail15normal_iteratorINS9_10device_ptrIxEEEESE_SE_xNS9_4plusIvEENS9_8equal_toIvEExEE10hipError_tPvRmT2_T3_T4_T5_mT6_T7_P12ihipStream_tbENKUlT_T0_E_clISt17integral_constantIbLb0EESY_IbLb1EEEEDaSU_SV_EUlSU_E_NS1_11comp_targetILNS1_3genE5ELNS1_11target_archE942ELNS1_3gpuE9ELNS1_3repE0EEENS1_30default_config_static_selectorELNS0_4arch9wavefront6targetE1EEEvT1_.kd
    .uniform_work_group_size: 1
    .uses_dynamic_stack: false
    .vgpr_count:     0
    .vgpr_spill_count: 0
    .wavefront_size: 64
  - .agpr_count:     0
    .args:
      - .offset:         0
        .size:           136
        .value_kind:     by_value
    .group_segment_fixed_size: 10752
    .kernarg_segment_align: 8
    .kernarg_segment_size: 136
    .language:       OpenCL C
    .language_version:
      - 2
      - 0
    .max_flat_workgroup_size: 64
    .name:           _ZN7rocprim17ROCPRIM_400000_NS6detail17trampoline_kernelINS0_14default_configENS1_27scan_by_key_config_selectorIxxEEZZNS1_16scan_by_key_implILNS1_25lookback_scan_determinismE0ELb1ES3_N6thrust23THRUST_200600_302600_NS6detail15normal_iteratorINS9_10device_ptrIxEEEESE_SE_xNS9_4plusIvEENS9_8equal_toIvEExEE10hipError_tPvRmT2_T3_T4_T5_mT6_T7_P12ihipStream_tbENKUlT_T0_E_clISt17integral_constantIbLb0EESY_IbLb1EEEEDaSU_SV_EUlSU_E_NS1_11comp_targetILNS1_3genE4ELNS1_11target_archE910ELNS1_3gpuE8ELNS1_3repE0EEENS1_30default_config_static_selectorELNS0_4arch9wavefront6targetE1EEEvT1_
    .private_segment_fixed_size: 0
    .sgpr_count:     73
    .sgpr_spill_count: 0
    .symbol:         _ZN7rocprim17ROCPRIM_400000_NS6detail17trampoline_kernelINS0_14default_configENS1_27scan_by_key_config_selectorIxxEEZZNS1_16scan_by_key_implILNS1_25lookback_scan_determinismE0ELb1ES3_N6thrust23THRUST_200600_302600_NS6detail15normal_iteratorINS9_10device_ptrIxEEEESE_SE_xNS9_4plusIvEENS9_8equal_toIvEExEE10hipError_tPvRmT2_T3_T4_T5_mT6_T7_P12ihipStream_tbENKUlT_T0_E_clISt17integral_constantIbLb0EESY_IbLb1EEEEDaSU_SV_EUlSU_E_NS1_11comp_targetILNS1_3genE4ELNS1_11target_archE910ELNS1_3gpuE8ELNS1_3repE0EEENS1_30default_config_static_selectorELNS0_4arch9wavefront6targetE1EEEvT1_.kd
    .uniform_work_group_size: 1
    .uses_dynamic_stack: false
    .vgpr_count:     119
    .vgpr_spill_count: 0
    .wavefront_size: 64
  - .agpr_count:     0
    .args:
      - .offset:         0
        .size:           136
        .value_kind:     by_value
    .group_segment_fixed_size: 0
    .kernarg_segment_align: 8
    .kernarg_segment_size: 136
    .language:       OpenCL C
    .language_version:
      - 2
      - 0
    .max_flat_workgroup_size: 256
    .name:           _ZN7rocprim17ROCPRIM_400000_NS6detail17trampoline_kernelINS0_14default_configENS1_27scan_by_key_config_selectorIxxEEZZNS1_16scan_by_key_implILNS1_25lookback_scan_determinismE0ELb1ES3_N6thrust23THRUST_200600_302600_NS6detail15normal_iteratorINS9_10device_ptrIxEEEESE_SE_xNS9_4plusIvEENS9_8equal_toIvEExEE10hipError_tPvRmT2_T3_T4_T5_mT6_T7_P12ihipStream_tbENKUlT_T0_E_clISt17integral_constantIbLb0EESY_IbLb1EEEEDaSU_SV_EUlSU_E_NS1_11comp_targetILNS1_3genE3ELNS1_11target_archE908ELNS1_3gpuE7ELNS1_3repE0EEENS1_30default_config_static_selectorELNS0_4arch9wavefront6targetE1EEEvT1_
    .private_segment_fixed_size: 0
    .sgpr_count:     4
    .sgpr_spill_count: 0
    .symbol:         _ZN7rocprim17ROCPRIM_400000_NS6detail17trampoline_kernelINS0_14default_configENS1_27scan_by_key_config_selectorIxxEEZZNS1_16scan_by_key_implILNS1_25lookback_scan_determinismE0ELb1ES3_N6thrust23THRUST_200600_302600_NS6detail15normal_iteratorINS9_10device_ptrIxEEEESE_SE_xNS9_4plusIvEENS9_8equal_toIvEExEE10hipError_tPvRmT2_T3_T4_T5_mT6_T7_P12ihipStream_tbENKUlT_T0_E_clISt17integral_constantIbLb0EESY_IbLb1EEEEDaSU_SV_EUlSU_E_NS1_11comp_targetILNS1_3genE3ELNS1_11target_archE908ELNS1_3gpuE7ELNS1_3repE0EEENS1_30default_config_static_selectorELNS0_4arch9wavefront6targetE1EEEvT1_.kd
    .uniform_work_group_size: 1
    .uses_dynamic_stack: false
    .vgpr_count:     0
    .vgpr_spill_count: 0
    .wavefront_size: 64
  - .agpr_count:     0
    .args:
      - .offset:         0
        .size:           136
        .value_kind:     by_value
    .group_segment_fixed_size: 0
    .kernarg_segment_align: 8
    .kernarg_segment_size: 136
    .language:       OpenCL C
    .language_version:
      - 2
      - 0
    .max_flat_workgroup_size: 256
    .name:           _ZN7rocprim17ROCPRIM_400000_NS6detail17trampoline_kernelINS0_14default_configENS1_27scan_by_key_config_selectorIxxEEZZNS1_16scan_by_key_implILNS1_25lookback_scan_determinismE0ELb1ES3_N6thrust23THRUST_200600_302600_NS6detail15normal_iteratorINS9_10device_ptrIxEEEESE_SE_xNS9_4plusIvEENS9_8equal_toIvEExEE10hipError_tPvRmT2_T3_T4_T5_mT6_T7_P12ihipStream_tbENKUlT_T0_E_clISt17integral_constantIbLb0EESY_IbLb1EEEEDaSU_SV_EUlSU_E_NS1_11comp_targetILNS1_3genE2ELNS1_11target_archE906ELNS1_3gpuE6ELNS1_3repE0EEENS1_30default_config_static_selectorELNS0_4arch9wavefront6targetE1EEEvT1_
    .private_segment_fixed_size: 0
    .sgpr_count:     4
    .sgpr_spill_count: 0
    .symbol:         _ZN7rocprim17ROCPRIM_400000_NS6detail17trampoline_kernelINS0_14default_configENS1_27scan_by_key_config_selectorIxxEEZZNS1_16scan_by_key_implILNS1_25lookback_scan_determinismE0ELb1ES3_N6thrust23THRUST_200600_302600_NS6detail15normal_iteratorINS9_10device_ptrIxEEEESE_SE_xNS9_4plusIvEENS9_8equal_toIvEExEE10hipError_tPvRmT2_T3_T4_T5_mT6_T7_P12ihipStream_tbENKUlT_T0_E_clISt17integral_constantIbLb0EESY_IbLb1EEEEDaSU_SV_EUlSU_E_NS1_11comp_targetILNS1_3genE2ELNS1_11target_archE906ELNS1_3gpuE6ELNS1_3repE0EEENS1_30default_config_static_selectorELNS0_4arch9wavefront6targetE1EEEvT1_.kd
    .uniform_work_group_size: 1
    .uses_dynamic_stack: false
    .vgpr_count:     0
    .vgpr_spill_count: 0
    .wavefront_size: 64
  - .agpr_count:     0
    .args:
      - .offset:         0
        .size:           136
        .value_kind:     by_value
    .group_segment_fixed_size: 0
    .kernarg_segment_align: 8
    .kernarg_segment_size: 136
    .language:       OpenCL C
    .language_version:
      - 2
      - 0
    .max_flat_workgroup_size: 256
    .name:           _ZN7rocprim17ROCPRIM_400000_NS6detail17trampoline_kernelINS0_14default_configENS1_27scan_by_key_config_selectorIxxEEZZNS1_16scan_by_key_implILNS1_25lookback_scan_determinismE0ELb1ES3_N6thrust23THRUST_200600_302600_NS6detail15normal_iteratorINS9_10device_ptrIxEEEESE_SE_xNS9_4plusIvEENS9_8equal_toIvEExEE10hipError_tPvRmT2_T3_T4_T5_mT6_T7_P12ihipStream_tbENKUlT_T0_E_clISt17integral_constantIbLb0EESY_IbLb1EEEEDaSU_SV_EUlSU_E_NS1_11comp_targetILNS1_3genE10ELNS1_11target_archE1200ELNS1_3gpuE4ELNS1_3repE0EEENS1_30default_config_static_selectorELNS0_4arch9wavefront6targetE1EEEvT1_
    .private_segment_fixed_size: 0
    .sgpr_count:     4
    .sgpr_spill_count: 0
    .symbol:         _ZN7rocprim17ROCPRIM_400000_NS6detail17trampoline_kernelINS0_14default_configENS1_27scan_by_key_config_selectorIxxEEZZNS1_16scan_by_key_implILNS1_25lookback_scan_determinismE0ELb1ES3_N6thrust23THRUST_200600_302600_NS6detail15normal_iteratorINS9_10device_ptrIxEEEESE_SE_xNS9_4plusIvEENS9_8equal_toIvEExEE10hipError_tPvRmT2_T3_T4_T5_mT6_T7_P12ihipStream_tbENKUlT_T0_E_clISt17integral_constantIbLb0EESY_IbLb1EEEEDaSU_SV_EUlSU_E_NS1_11comp_targetILNS1_3genE10ELNS1_11target_archE1200ELNS1_3gpuE4ELNS1_3repE0EEENS1_30default_config_static_selectorELNS0_4arch9wavefront6targetE1EEEvT1_.kd
    .uniform_work_group_size: 1
    .uses_dynamic_stack: false
    .vgpr_count:     0
    .vgpr_spill_count: 0
    .wavefront_size: 64
  - .agpr_count:     0
    .args:
      - .offset:         0
        .size:           136
        .value_kind:     by_value
    .group_segment_fixed_size: 0
    .kernarg_segment_align: 8
    .kernarg_segment_size: 136
    .language:       OpenCL C
    .language_version:
      - 2
      - 0
    .max_flat_workgroup_size: 256
    .name:           _ZN7rocprim17ROCPRIM_400000_NS6detail17trampoline_kernelINS0_14default_configENS1_27scan_by_key_config_selectorIxxEEZZNS1_16scan_by_key_implILNS1_25lookback_scan_determinismE0ELb1ES3_N6thrust23THRUST_200600_302600_NS6detail15normal_iteratorINS9_10device_ptrIxEEEESE_SE_xNS9_4plusIvEENS9_8equal_toIvEExEE10hipError_tPvRmT2_T3_T4_T5_mT6_T7_P12ihipStream_tbENKUlT_T0_E_clISt17integral_constantIbLb0EESY_IbLb1EEEEDaSU_SV_EUlSU_E_NS1_11comp_targetILNS1_3genE9ELNS1_11target_archE1100ELNS1_3gpuE3ELNS1_3repE0EEENS1_30default_config_static_selectorELNS0_4arch9wavefront6targetE1EEEvT1_
    .private_segment_fixed_size: 0
    .sgpr_count:     4
    .sgpr_spill_count: 0
    .symbol:         _ZN7rocprim17ROCPRIM_400000_NS6detail17trampoline_kernelINS0_14default_configENS1_27scan_by_key_config_selectorIxxEEZZNS1_16scan_by_key_implILNS1_25lookback_scan_determinismE0ELb1ES3_N6thrust23THRUST_200600_302600_NS6detail15normal_iteratorINS9_10device_ptrIxEEEESE_SE_xNS9_4plusIvEENS9_8equal_toIvEExEE10hipError_tPvRmT2_T3_T4_T5_mT6_T7_P12ihipStream_tbENKUlT_T0_E_clISt17integral_constantIbLb0EESY_IbLb1EEEEDaSU_SV_EUlSU_E_NS1_11comp_targetILNS1_3genE9ELNS1_11target_archE1100ELNS1_3gpuE3ELNS1_3repE0EEENS1_30default_config_static_selectorELNS0_4arch9wavefront6targetE1EEEvT1_.kd
    .uniform_work_group_size: 1
    .uses_dynamic_stack: false
    .vgpr_count:     0
    .vgpr_spill_count: 0
    .wavefront_size: 64
  - .agpr_count:     0
    .args:
      - .offset:         0
        .size:           136
        .value_kind:     by_value
    .group_segment_fixed_size: 0
    .kernarg_segment_align: 8
    .kernarg_segment_size: 136
    .language:       OpenCL C
    .language_version:
      - 2
      - 0
    .max_flat_workgroup_size: 256
    .name:           _ZN7rocprim17ROCPRIM_400000_NS6detail17trampoline_kernelINS0_14default_configENS1_27scan_by_key_config_selectorIxxEEZZNS1_16scan_by_key_implILNS1_25lookback_scan_determinismE0ELb1ES3_N6thrust23THRUST_200600_302600_NS6detail15normal_iteratorINS9_10device_ptrIxEEEESE_SE_xNS9_4plusIvEENS9_8equal_toIvEExEE10hipError_tPvRmT2_T3_T4_T5_mT6_T7_P12ihipStream_tbENKUlT_T0_E_clISt17integral_constantIbLb0EESY_IbLb1EEEEDaSU_SV_EUlSU_E_NS1_11comp_targetILNS1_3genE8ELNS1_11target_archE1030ELNS1_3gpuE2ELNS1_3repE0EEENS1_30default_config_static_selectorELNS0_4arch9wavefront6targetE1EEEvT1_
    .private_segment_fixed_size: 0
    .sgpr_count:     4
    .sgpr_spill_count: 0
    .symbol:         _ZN7rocprim17ROCPRIM_400000_NS6detail17trampoline_kernelINS0_14default_configENS1_27scan_by_key_config_selectorIxxEEZZNS1_16scan_by_key_implILNS1_25lookback_scan_determinismE0ELb1ES3_N6thrust23THRUST_200600_302600_NS6detail15normal_iteratorINS9_10device_ptrIxEEEESE_SE_xNS9_4plusIvEENS9_8equal_toIvEExEE10hipError_tPvRmT2_T3_T4_T5_mT6_T7_P12ihipStream_tbENKUlT_T0_E_clISt17integral_constantIbLb0EESY_IbLb1EEEEDaSU_SV_EUlSU_E_NS1_11comp_targetILNS1_3genE8ELNS1_11target_archE1030ELNS1_3gpuE2ELNS1_3repE0EEENS1_30default_config_static_selectorELNS0_4arch9wavefront6targetE1EEEvT1_.kd
    .uniform_work_group_size: 1
    .uses_dynamic_stack: false
    .vgpr_count:     0
    .vgpr_spill_count: 0
    .wavefront_size: 64
  - .agpr_count:     0
    .args:
      - .offset:         0
        .size:           136
        .value_kind:     by_value
    .group_segment_fixed_size: 0
    .kernarg_segment_align: 8
    .kernarg_segment_size: 136
    .language:       OpenCL C
    .language_version:
      - 2
      - 0
    .max_flat_workgroup_size: 256
    .name:           _ZN7rocprim17ROCPRIM_400000_NS6detail17trampoline_kernelINS0_14default_configENS1_27scan_by_key_config_selectorIxxEEZZNS1_16scan_by_key_implILNS1_25lookback_scan_determinismE0ELb1ES3_N6thrust23THRUST_200600_302600_NS6detail15normal_iteratorINS9_10device_ptrIxEEEESE_SE_xNS9_10multipliesIxEENS9_8equal_toIxEExEE10hipError_tPvRmT2_T3_T4_T5_mT6_T7_P12ihipStream_tbENKUlT_T0_E_clISt17integral_constantIbLb0EESZ_EEDaSU_SV_EUlSU_E_NS1_11comp_targetILNS1_3genE0ELNS1_11target_archE4294967295ELNS1_3gpuE0ELNS1_3repE0EEENS1_30default_config_static_selectorELNS0_4arch9wavefront6targetE1EEEvT1_
    .private_segment_fixed_size: 0
    .sgpr_count:     4
    .sgpr_spill_count: 0
    .symbol:         _ZN7rocprim17ROCPRIM_400000_NS6detail17trampoline_kernelINS0_14default_configENS1_27scan_by_key_config_selectorIxxEEZZNS1_16scan_by_key_implILNS1_25lookback_scan_determinismE0ELb1ES3_N6thrust23THRUST_200600_302600_NS6detail15normal_iteratorINS9_10device_ptrIxEEEESE_SE_xNS9_10multipliesIxEENS9_8equal_toIxEExEE10hipError_tPvRmT2_T3_T4_T5_mT6_T7_P12ihipStream_tbENKUlT_T0_E_clISt17integral_constantIbLb0EESZ_EEDaSU_SV_EUlSU_E_NS1_11comp_targetILNS1_3genE0ELNS1_11target_archE4294967295ELNS1_3gpuE0ELNS1_3repE0EEENS1_30default_config_static_selectorELNS0_4arch9wavefront6targetE1EEEvT1_.kd
    .uniform_work_group_size: 1
    .uses_dynamic_stack: false
    .vgpr_count:     0
    .vgpr_spill_count: 0
    .wavefront_size: 64
  - .agpr_count:     0
    .args:
      - .offset:         0
        .size:           136
        .value_kind:     by_value
    .group_segment_fixed_size: 0
    .kernarg_segment_align: 8
    .kernarg_segment_size: 136
    .language:       OpenCL C
    .language_version:
      - 2
      - 0
    .max_flat_workgroup_size: 256
    .name:           _ZN7rocprim17ROCPRIM_400000_NS6detail17trampoline_kernelINS0_14default_configENS1_27scan_by_key_config_selectorIxxEEZZNS1_16scan_by_key_implILNS1_25lookback_scan_determinismE0ELb1ES3_N6thrust23THRUST_200600_302600_NS6detail15normal_iteratorINS9_10device_ptrIxEEEESE_SE_xNS9_10multipliesIxEENS9_8equal_toIxEExEE10hipError_tPvRmT2_T3_T4_T5_mT6_T7_P12ihipStream_tbENKUlT_T0_E_clISt17integral_constantIbLb0EESZ_EEDaSU_SV_EUlSU_E_NS1_11comp_targetILNS1_3genE10ELNS1_11target_archE1201ELNS1_3gpuE5ELNS1_3repE0EEENS1_30default_config_static_selectorELNS0_4arch9wavefront6targetE1EEEvT1_
    .private_segment_fixed_size: 0
    .sgpr_count:     4
    .sgpr_spill_count: 0
    .symbol:         _ZN7rocprim17ROCPRIM_400000_NS6detail17trampoline_kernelINS0_14default_configENS1_27scan_by_key_config_selectorIxxEEZZNS1_16scan_by_key_implILNS1_25lookback_scan_determinismE0ELb1ES3_N6thrust23THRUST_200600_302600_NS6detail15normal_iteratorINS9_10device_ptrIxEEEESE_SE_xNS9_10multipliesIxEENS9_8equal_toIxEExEE10hipError_tPvRmT2_T3_T4_T5_mT6_T7_P12ihipStream_tbENKUlT_T0_E_clISt17integral_constantIbLb0EESZ_EEDaSU_SV_EUlSU_E_NS1_11comp_targetILNS1_3genE10ELNS1_11target_archE1201ELNS1_3gpuE5ELNS1_3repE0EEENS1_30default_config_static_selectorELNS0_4arch9wavefront6targetE1EEEvT1_.kd
    .uniform_work_group_size: 1
    .uses_dynamic_stack: false
    .vgpr_count:     0
    .vgpr_spill_count: 0
    .wavefront_size: 64
  - .agpr_count:     0
    .args:
      - .offset:         0
        .size:           136
        .value_kind:     by_value
    .group_segment_fixed_size: 0
    .kernarg_segment_align: 8
    .kernarg_segment_size: 136
    .language:       OpenCL C
    .language_version:
      - 2
      - 0
    .max_flat_workgroup_size: 256
    .name:           _ZN7rocprim17ROCPRIM_400000_NS6detail17trampoline_kernelINS0_14default_configENS1_27scan_by_key_config_selectorIxxEEZZNS1_16scan_by_key_implILNS1_25lookback_scan_determinismE0ELb1ES3_N6thrust23THRUST_200600_302600_NS6detail15normal_iteratorINS9_10device_ptrIxEEEESE_SE_xNS9_10multipliesIxEENS9_8equal_toIxEExEE10hipError_tPvRmT2_T3_T4_T5_mT6_T7_P12ihipStream_tbENKUlT_T0_E_clISt17integral_constantIbLb0EESZ_EEDaSU_SV_EUlSU_E_NS1_11comp_targetILNS1_3genE5ELNS1_11target_archE942ELNS1_3gpuE9ELNS1_3repE0EEENS1_30default_config_static_selectorELNS0_4arch9wavefront6targetE1EEEvT1_
    .private_segment_fixed_size: 0
    .sgpr_count:     4
    .sgpr_spill_count: 0
    .symbol:         _ZN7rocprim17ROCPRIM_400000_NS6detail17trampoline_kernelINS0_14default_configENS1_27scan_by_key_config_selectorIxxEEZZNS1_16scan_by_key_implILNS1_25lookback_scan_determinismE0ELb1ES3_N6thrust23THRUST_200600_302600_NS6detail15normal_iteratorINS9_10device_ptrIxEEEESE_SE_xNS9_10multipliesIxEENS9_8equal_toIxEExEE10hipError_tPvRmT2_T3_T4_T5_mT6_T7_P12ihipStream_tbENKUlT_T0_E_clISt17integral_constantIbLb0EESZ_EEDaSU_SV_EUlSU_E_NS1_11comp_targetILNS1_3genE5ELNS1_11target_archE942ELNS1_3gpuE9ELNS1_3repE0EEENS1_30default_config_static_selectorELNS0_4arch9wavefront6targetE1EEEvT1_.kd
    .uniform_work_group_size: 1
    .uses_dynamic_stack: false
    .vgpr_count:     0
    .vgpr_spill_count: 0
    .wavefront_size: 64
  - .agpr_count:     0
    .args:
      - .offset:         0
        .size:           136
        .value_kind:     by_value
    .group_segment_fixed_size: 10752
    .kernarg_segment_align: 8
    .kernarg_segment_size: 136
    .language:       OpenCL C
    .language_version:
      - 2
      - 0
    .max_flat_workgroup_size: 64
    .name:           _ZN7rocprim17ROCPRIM_400000_NS6detail17trampoline_kernelINS0_14default_configENS1_27scan_by_key_config_selectorIxxEEZZNS1_16scan_by_key_implILNS1_25lookback_scan_determinismE0ELb1ES3_N6thrust23THRUST_200600_302600_NS6detail15normal_iteratorINS9_10device_ptrIxEEEESE_SE_xNS9_10multipliesIxEENS9_8equal_toIxEExEE10hipError_tPvRmT2_T3_T4_T5_mT6_T7_P12ihipStream_tbENKUlT_T0_E_clISt17integral_constantIbLb0EESZ_EEDaSU_SV_EUlSU_E_NS1_11comp_targetILNS1_3genE4ELNS1_11target_archE910ELNS1_3gpuE8ELNS1_3repE0EEENS1_30default_config_static_selectorELNS0_4arch9wavefront6targetE1EEEvT1_
    .private_segment_fixed_size: 0
    .sgpr_count:     77
    .sgpr_spill_count: 0
    .symbol:         _ZN7rocprim17ROCPRIM_400000_NS6detail17trampoline_kernelINS0_14default_configENS1_27scan_by_key_config_selectorIxxEEZZNS1_16scan_by_key_implILNS1_25lookback_scan_determinismE0ELb1ES3_N6thrust23THRUST_200600_302600_NS6detail15normal_iteratorINS9_10device_ptrIxEEEESE_SE_xNS9_10multipliesIxEENS9_8equal_toIxEExEE10hipError_tPvRmT2_T3_T4_T5_mT6_T7_P12ihipStream_tbENKUlT_T0_E_clISt17integral_constantIbLb0EESZ_EEDaSU_SV_EUlSU_E_NS1_11comp_targetILNS1_3genE4ELNS1_11target_archE910ELNS1_3gpuE8ELNS1_3repE0EEENS1_30default_config_static_selectorELNS0_4arch9wavefront6targetE1EEEvT1_.kd
    .uniform_work_group_size: 1
    .uses_dynamic_stack: false
    .vgpr_count:     117
    .vgpr_spill_count: 0
    .wavefront_size: 64
  - .agpr_count:     0
    .args:
      - .offset:         0
        .size:           136
        .value_kind:     by_value
    .group_segment_fixed_size: 0
    .kernarg_segment_align: 8
    .kernarg_segment_size: 136
    .language:       OpenCL C
    .language_version:
      - 2
      - 0
    .max_flat_workgroup_size: 256
    .name:           _ZN7rocprim17ROCPRIM_400000_NS6detail17trampoline_kernelINS0_14default_configENS1_27scan_by_key_config_selectorIxxEEZZNS1_16scan_by_key_implILNS1_25lookback_scan_determinismE0ELb1ES3_N6thrust23THRUST_200600_302600_NS6detail15normal_iteratorINS9_10device_ptrIxEEEESE_SE_xNS9_10multipliesIxEENS9_8equal_toIxEExEE10hipError_tPvRmT2_T3_T4_T5_mT6_T7_P12ihipStream_tbENKUlT_T0_E_clISt17integral_constantIbLb0EESZ_EEDaSU_SV_EUlSU_E_NS1_11comp_targetILNS1_3genE3ELNS1_11target_archE908ELNS1_3gpuE7ELNS1_3repE0EEENS1_30default_config_static_selectorELNS0_4arch9wavefront6targetE1EEEvT1_
    .private_segment_fixed_size: 0
    .sgpr_count:     4
    .sgpr_spill_count: 0
    .symbol:         _ZN7rocprim17ROCPRIM_400000_NS6detail17trampoline_kernelINS0_14default_configENS1_27scan_by_key_config_selectorIxxEEZZNS1_16scan_by_key_implILNS1_25lookback_scan_determinismE0ELb1ES3_N6thrust23THRUST_200600_302600_NS6detail15normal_iteratorINS9_10device_ptrIxEEEESE_SE_xNS9_10multipliesIxEENS9_8equal_toIxEExEE10hipError_tPvRmT2_T3_T4_T5_mT6_T7_P12ihipStream_tbENKUlT_T0_E_clISt17integral_constantIbLb0EESZ_EEDaSU_SV_EUlSU_E_NS1_11comp_targetILNS1_3genE3ELNS1_11target_archE908ELNS1_3gpuE7ELNS1_3repE0EEENS1_30default_config_static_selectorELNS0_4arch9wavefront6targetE1EEEvT1_.kd
    .uniform_work_group_size: 1
    .uses_dynamic_stack: false
    .vgpr_count:     0
    .vgpr_spill_count: 0
    .wavefront_size: 64
  - .agpr_count:     0
    .args:
      - .offset:         0
        .size:           136
        .value_kind:     by_value
    .group_segment_fixed_size: 0
    .kernarg_segment_align: 8
    .kernarg_segment_size: 136
    .language:       OpenCL C
    .language_version:
      - 2
      - 0
    .max_flat_workgroup_size: 256
    .name:           _ZN7rocprim17ROCPRIM_400000_NS6detail17trampoline_kernelINS0_14default_configENS1_27scan_by_key_config_selectorIxxEEZZNS1_16scan_by_key_implILNS1_25lookback_scan_determinismE0ELb1ES3_N6thrust23THRUST_200600_302600_NS6detail15normal_iteratorINS9_10device_ptrIxEEEESE_SE_xNS9_10multipliesIxEENS9_8equal_toIxEExEE10hipError_tPvRmT2_T3_T4_T5_mT6_T7_P12ihipStream_tbENKUlT_T0_E_clISt17integral_constantIbLb0EESZ_EEDaSU_SV_EUlSU_E_NS1_11comp_targetILNS1_3genE2ELNS1_11target_archE906ELNS1_3gpuE6ELNS1_3repE0EEENS1_30default_config_static_selectorELNS0_4arch9wavefront6targetE1EEEvT1_
    .private_segment_fixed_size: 0
    .sgpr_count:     4
    .sgpr_spill_count: 0
    .symbol:         _ZN7rocprim17ROCPRIM_400000_NS6detail17trampoline_kernelINS0_14default_configENS1_27scan_by_key_config_selectorIxxEEZZNS1_16scan_by_key_implILNS1_25lookback_scan_determinismE0ELb1ES3_N6thrust23THRUST_200600_302600_NS6detail15normal_iteratorINS9_10device_ptrIxEEEESE_SE_xNS9_10multipliesIxEENS9_8equal_toIxEExEE10hipError_tPvRmT2_T3_T4_T5_mT6_T7_P12ihipStream_tbENKUlT_T0_E_clISt17integral_constantIbLb0EESZ_EEDaSU_SV_EUlSU_E_NS1_11comp_targetILNS1_3genE2ELNS1_11target_archE906ELNS1_3gpuE6ELNS1_3repE0EEENS1_30default_config_static_selectorELNS0_4arch9wavefront6targetE1EEEvT1_.kd
    .uniform_work_group_size: 1
    .uses_dynamic_stack: false
    .vgpr_count:     0
    .vgpr_spill_count: 0
    .wavefront_size: 64
  - .agpr_count:     0
    .args:
      - .offset:         0
        .size:           136
        .value_kind:     by_value
    .group_segment_fixed_size: 0
    .kernarg_segment_align: 8
    .kernarg_segment_size: 136
    .language:       OpenCL C
    .language_version:
      - 2
      - 0
    .max_flat_workgroup_size: 256
    .name:           _ZN7rocprim17ROCPRIM_400000_NS6detail17trampoline_kernelINS0_14default_configENS1_27scan_by_key_config_selectorIxxEEZZNS1_16scan_by_key_implILNS1_25lookback_scan_determinismE0ELb1ES3_N6thrust23THRUST_200600_302600_NS6detail15normal_iteratorINS9_10device_ptrIxEEEESE_SE_xNS9_10multipliesIxEENS9_8equal_toIxEExEE10hipError_tPvRmT2_T3_T4_T5_mT6_T7_P12ihipStream_tbENKUlT_T0_E_clISt17integral_constantIbLb0EESZ_EEDaSU_SV_EUlSU_E_NS1_11comp_targetILNS1_3genE10ELNS1_11target_archE1200ELNS1_3gpuE4ELNS1_3repE0EEENS1_30default_config_static_selectorELNS0_4arch9wavefront6targetE1EEEvT1_
    .private_segment_fixed_size: 0
    .sgpr_count:     4
    .sgpr_spill_count: 0
    .symbol:         _ZN7rocprim17ROCPRIM_400000_NS6detail17trampoline_kernelINS0_14default_configENS1_27scan_by_key_config_selectorIxxEEZZNS1_16scan_by_key_implILNS1_25lookback_scan_determinismE0ELb1ES3_N6thrust23THRUST_200600_302600_NS6detail15normal_iteratorINS9_10device_ptrIxEEEESE_SE_xNS9_10multipliesIxEENS9_8equal_toIxEExEE10hipError_tPvRmT2_T3_T4_T5_mT6_T7_P12ihipStream_tbENKUlT_T0_E_clISt17integral_constantIbLb0EESZ_EEDaSU_SV_EUlSU_E_NS1_11comp_targetILNS1_3genE10ELNS1_11target_archE1200ELNS1_3gpuE4ELNS1_3repE0EEENS1_30default_config_static_selectorELNS0_4arch9wavefront6targetE1EEEvT1_.kd
    .uniform_work_group_size: 1
    .uses_dynamic_stack: false
    .vgpr_count:     0
    .vgpr_spill_count: 0
    .wavefront_size: 64
  - .agpr_count:     0
    .args:
      - .offset:         0
        .size:           136
        .value_kind:     by_value
    .group_segment_fixed_size: 0
    .kernarg_segment_align: 8
    .kernarg_segment_size: 136
    .language:       OpenCL C
    .language_version:
      - 2
      - 0
    .max_flat_workgroup_size: 256
    .name:           _ZN7rocprim17ROCPRIM_400000_NS6detail17trampoline_kernelINS0_14default_configENS1_27scan_by_key_config_selectorIxxEEZZNS1_16scan_by_key_implILNS1_25lookback_scan_determinismE0ELb1ES3_N6thrust23THRUST_200600_302600_NS6detail15normal_iteratorINS9_10device_ptrIxEEEESE_SE_xNS9_10multipliesIxEENS9_8equal_toIxEExEE10hipError_tPvRmT2_T3_T4_T5_mT6_T7_P12ihipStream_tbENKUlT_T0_E_clISt17integral_constantIbLb0EESZ_EEDaSU_SV_EUlSU_E_NS1_11comp_targetILNS1_3genE9ELNS1_11target_archE1100ELNS1_3gpuE3ELNS1_3repE0EEENS1_30default_config_static_selectorELNS0_4arch9wavefront6targetE1EEEvT1_
    .private_segment_fixed_size: 0
    .sgpr_count:     4
    .sgpr_spill_count: 0
    .symbol:         _ZN7rocprim17ROCPRIM_400000_NS6detail17trampoline_kernelINS0_14default_configENS1_27scan_by_key_config_selectorIxxEEZZNS1_16scan_by_key_implILNS1_25lookback_scan_determinismE0ELb1ES3_N6thrust23THRUST_200600_302600_NS6detail15normal_iteratorINS9_10device_ptrIxEEEESE_SE_xNS9_10multipliesIxEENS9_8equal_toIxEExEE10hipError_tPvRmT2_T3_T4_T5_mT6_T7_P12ihipStream_tbENKUlT_T0_E_clISt17integral_constantIbLb0EESZ_EEDaSU_SV_EUlSU_E_NS1_11comp_targetILNS1_3genE9ELNS1_11target_archE1100ELNS1_3gpuE3ELNS1_3repE0EEENS1_30default_config_static_selectorELNS0_4arch9wavefront6targetE1EEEvT1_.kd
    .uniform_work_group_size: 1
    .uses_dynamic_stack: false
    .vgpr_count:     0
    .vgpr_spill_count: 0
    .wavefront_size: 64
  - .agpr_count:     0
    .args:
      - .offset:         0
        .size:           136
        .value_kind:     by_value
    .group_segment_fixed_size: 0
    .kernarg_segment_align: 8
    .kernarg_segment_size: 136
    .language:       OpenCL C
    .language_version:
      - 2
      - 0
    .max_flat_workgroup_size: 256
    .name:           _ZN7rocprim17ROCPRIM_400000_NS6detail17trampoline_kernelINS0_14default_configENS1_27scan_by_key_config_selectorIxxEEZZNS1_16scan_by_key_implILNS1_25lookback_scan_determinismE0ELb1ES3_N6thrust23THRUST_200600_302600_NS6detail15normal_iteratorINS9_10device_ptrIxEEEESE_SE_xNS9_10multipliesIxEENS9_8equal_toIxEExEE10hipError_tPvRmT2_T3_T4_T5_mT6_T7_P12ihipStream_tbENKUlT_T0_E_clISt17integral_constantIbLb0EESZ_EEDaSU_SV_EUlSU_E_NS1_11comp_targetILNS1_3genE8ELNS1_11target_archE1030ELNS1_3gpuE2ELNS1_3repE0EEENS1_30default_config_static_selectorELNS0_4arch9wavefront6targetE1EEEvT1_
    .private_segment_fixed_size: 0
    .sgpr_count:     4
    .sgpr_spill_count: 0
    .symbol:         _ZN7rocprim17ROCPRIM_400000_NS6detail17trampoline_kernelINS0_14default_configENS1_27scan_by_key_config_selectorIxxEEZZNS1_16scan_by_key_implILNS1_25lookback_scan_determinismE0ELb1ES3_N6thrust23THRUST_200600_302600_NS6detail15normal_iteratorINS9_10device_ptrIxEEEESE_SE_xNS9_10multipliesIxEENS9_8equal_toIxEExEE10hipError_tPvRmT2_T3_T4_T5_mT6_T7_P12ihipStream_tbENKUlT_T0_E_clISt17integral_constantIbLb0EESZ_EEDaSU_SV_EUlSU_E_NS1_11comp_targetILNS1_3genE8ELNS1_11target_archE1030ELNS1_3gpuE2ELNS1_3repE0EEENS1_30default_config_static_selectorELNS0_4arch9wavefront6targetE1EEEvT1_.kd
    .uniform_work_group_size: 1
    .uses_dynamic_stack: false
    .vgpr_count:     0
    .vgpr_spill_count: 0
    .wavefront_size: 64
  - .agpr_count:     0
    .args:
      - .offset:         0
        .size:           136
        .value_kind:     by_value
    .group_segment_fixed_size: 0
    .kernarg_segment_align: 8
    .kernarg_segment_size: 136
    .language:       OpenCL C
    .language_version:
      - 2
      - 0
    .max_flat_workgroup_size: 256
    .name:           _ZN7rocprim17ROCPRIM_400000_NS6detail17trampoline_kernelINS0_14default_configENS1_27scan_by_key_config_selectorIxxEEZZNS1_16scan_by_key_implILNS1_25lookback_scan_determinismE0ELb1ES3_N6thrust23THRUST_200600_302600_NS6detail15normal_iteratorINS9_10device_ptrIxEEEESE_SE_xNS9_10multipliesIxEENS9_8equal_toIxEExEE10hipError_tPvRmT2_T3_T4_T5_mT6_T7_P12ihipStream_tbENKUlT_T0_E_clISt17integral_constantIbLb1EESZ_EEDaSU_SV_EUlSU_E_NS1_11comp_targetILNS1_3genE0ELNS1_11target_archE4294967295ELNS1_3gpuE0ELNS1_3repE0EEENS1_30default_config_static_selectorELNS0_4arch9wavefront6targetE1EEEvT1_
    .private_segment_fixed_size: 0
    .sgpr_count:     4
    .sgpr_spill_count: 0
    .symbol:         _ZN7rocprim17ROCPRIM_400000_NS6detail17trampoline_kernelINS0_14default_configENS1_27scan_by_key_config_selectorIxxEEZZNS1_16scan_by_key_implILNS1_25lookback_scan_determinismE0ELb1ES3_N6thrust23THRUST_200600_302600_NS6detail15normal_iteratorINS9_10device_ptrIxEEEESE_SE_xNS9_10multipliesIxEENS9_8equal_toIxEExEE10hipError_tPvRmT2_T3_T4_T5_mT6_T7_P12ihipStream_tbENKUlT_T0_E_clISt17integral_constantIbLb1EESZ_EEDaSU_SV_EUlSU_E_NS1_11comp_targetILNS1_3genE0ELNS1_11target_archE4294967295ELNS1_3gpuE0ELNS1_3repE0EEENS1_30default_config_static_selectorELNS0_4arch9wavefront6targetE1EEEvT1_.kd
    .uniform_work_group_size: 1
    .uses_dynamic_stack: false
    .vgpr_count:     0
    .vgpr_spill_count: 0
    .wavefront_size: 64
  - .agpr_count:     0
    .args:
      - .offset:         0
        .size:           136
        .value_kind:     by_value
    .group_segment_fixed_size: 0
    .kernarg_segment_align: 8
    .kernarg_segment_size: 136
    .language:       OpenCL C
    .language_version:
      - 2
      - 0
    .max_flat_workgroup_size: 256
    .name:           _ZN7rocprim17ROCPRIM_400000_NS6detail17trampoline_kernelINS0_14default_configENS1_27scan_by_key_config_selectorIxxEEZZNS1_16scan_by_key_implILNS1_25lookback_scan_determinismE0ELb1ES3_N6thrust23THRUST_200600_302600_NS6detail15normal_iteratorINS9_10device_ptrIxEEEESE_SE_xNS9_10multipliesIxEENS9_8equal_toIxEExEE10hipError_tPvRmT2_T3_T4_T5_mT6_T7_P12ihipStream_tbENKUlT_T0_E_clISt17integral_constantIbLb1EESZ_EEDaSU_SV_EUlSU_E_NS1_11comp_targetILNS1_3genE10ELNS1_11target_archE1201ELNS1_3gpuE5ELNS1_3repE0EEENS1_30default_config_static_selectorELNS0_4arch9wavefront6targetE1EEEvT1_
    .private_segment_fixed_size: 0
    .sgpr_count:     4
    .sgpr_spill_count: 0
    .symbol:         _ZN7rocprim17ROCPRIM_400000_NS6detail17trampoline_kernelINS0_14default_configENS1_27scan_by_key_config_selectorIxxEEZZNS1_16scan_by_key_implILNS1_25lookback_scan_determinismE0ELb1ES3_N6thrust23THRUST_200600_302600_NS6detail15normal_iteratorINS9_10device_ptrIxEEEESE_SE_xNS9_10multipliesIxEENS9_8equal_toIxEExEE10hipError_tPvRmT2_T3_T4_T5_mT6_T7_P12ihipStream_tbENKUlT_T0_E_clISt17integral_constantIbLb1EESZ_EEDaSU_SV_EUlSU_E_NS1_11comp_targetILNS1_3genE10ELNS1_11target_archE1201ELNS1_3gpuE5ELNS1_3repE0EEENS1_30default_config_static_selectorELNS0_4arch9wavefront6targetE1EEEvT1_.kd
    .uniform_work_group_size: 1
    .uses_dynamic_stack: false
    .vgpr_count:     0
    .vgpr_spill_count: 0
    .wavefront_size: 64
  - .agpr_count:     0
    .args:
      - .offset:         0
        .size:           136
        .value_kind:     by_value
    .group_segment_fixed_size: 0
    .kernarg_segment_align: 8
    .kernarg_segment_size: 136
    .language:       OpenCL C
    .language_version:
      - 2
      - 0
    .max_flat_workgroup_size: 256
    .name:           _ZN7rocprim17ROCPRIM_400000_NS6detail17trampoline_kernelINS0_14default_configENS1_27scan_by_key_config_selectorIxxEEZZNS1_16scan_by_key_implILNS1_25lookback_scan_determinismE0ELb1ES3_N6thrust23THRUST_200600_302600_NS6detail15normal_iteratorINS9_10device_ptrIxEEEESE_SE_xNS9_10multipliesIxEENS9_8equal_toIxEExEE10hipError_tPvRmT2_T3_T4_T5_mT6_T7_P12ihipStream_tbENKUlT_T0_E_clISt17integral_constantIbLb1EESZ_EEDaSU_SV_EUlSU_E_NS1_11comp_targetILNS1_3genE5ELNS1_11target_archE942ELNS1_3gpuE9ELNS1_3repE0EEENS1_30default_config_static_selectorELNS0_4arch9wavefront6targetE1EEEvT1_
    .private_segment_fixed_size: 0
    .sgpr_count:     4
    .sgpr_spill_count: 0
    .symbol:         _ZN7rocprim17ROCPRIM_400000_NS6detail17trampoline_kernelINS0_14default_configENS1_27scan_by_key_config_selectorIxxEEZZNS1_16scan_by_key_implILNS1_25lookback_scan_determinismE0ELb1ES3_N6thrust23THRUST_200600_302600_NS6detail15normal_iteratorINS9_10device_ptrIxEEEESE_SE_xNS9_10multipliesIxEENS9_8equal_toIxEExEE10hipError_tPvRmT2_T3_T4_T5_mT6_T7_P12ihipStream_tbENKUlT_T0_E_clISt17integral_constantIbLb1EESZ_EEDaSU_SV_EUlSU_E_NS1_11comp_targetILNS1_3genE5ELNS1_11target_archE942ELNS1_3gpuE9ELNS1_3repE0EEENS1_30default_config_static_selectorELNS0_4arch9wavefront6targetE1EEEvT1_.kd
    .uniform_work_group_size: 1
    .uses_dynamic_stack: false
    .vgpr_count:     0
    .vgpr_spill_count: 0
    .wavefront_size: 64
  - .agpr_count:     0
    .args:
      - .offset:         0
        .size:           136
        .value_kind:     by_value
    .group_segment_fixed_size: 10752
    .kernarg_segment_align: 8
    .kernarg_segment_size: 136
    .language:       OpenCL C
    .language_version:
      - 2
      - 0
    .max_flat_workgroup_size: 64
    .name:           _ZN7rocprim17ROCPRIM_400000_NS6detail17trampoline_kernelINS0_14default_configENS1_27scan_by_key_config_selectorIxxEEZZNS1_16scan_by_key_implILNS1_25lookback_scan_determinismE0ELb1ES3_N6thrust23THRUST_200600_302600_NS6detail15normal_iteratorINS9_10device_ptrIxEEEESE_SE_xNS9_10multipliesIxEENS9_8equal_toIxEExEE10hipError_tPvRmT2_T3_T4_T5_mT6_T7_P12ihipStream_tbENKUlT_T0_E_clISt17integral_constantIbLb1EESZ_EEDaSU_SV_EUlSU_E_NS1_11comp_targetILNS1_3genE4ELNS1_11target_archE910ELNS1_3gpuE8ELNS1_3repE0EEENS1_30default_config_static_selectorELNS0_4arch9wavefront6targetE1EEEvT1_
    .private_segment_fixed_size: 0
    .sgpr_count:     76
    .sgpr_spill_count: 0
    .symbol:         _ZN7rocprim17ROCPRIM_400000_NS6detail17trampoline_kernelINS0_14default_configENS1_27scan_by_key_config_selectorIxxEEZZNS1_16scan_by_key_implILNS1_25lookback_scan_determinismE0ELb1ES3_N6thrust23THRUST_200600_302600_NS6detail15normal_iteratorINS9_10device_ptrIxEEEESE_SE_xNS9_10multipliesIxEENS9_8equal_toIxEExEE10hipError_tPvRmT2_T3_T4_T5_mT6_T7_P12ihipStream_tbENKUlT_T0_E_clISt17integral_constantIbLb1EESZ_EEDaSU_SV_EUlSU_E_NS1_11comp_targetILNS1_3genE4ELNS1_11target_archE910ELNS1_3gpuE8ELNS1_3repE0EEENS1_30default_config_static_selectorELNS0_4arch9wavefront6targetE1EEEvT1_.kd
    .uniform_work_group_size: 1
    .uses_dynamic_stack: false
    .vgpr_count:     119
    .vgpr_spill_count: 0
    .wavefront_size: 64
  - .agpr_count:     0
    .args:
      - .offset:         0
        .size:           136
        .value_kind:     by_value
    .group_segment_fixed_size: 0
    .kernarg_segment_align: 8
    .kernarg_segment_size: 136
    .language:       OpenCL C
    .language_version:
      - 2
      - 0
    .max_flat_workgroup_size: 256
    .name:           _ZN7rocprim17ROCPRIM_400000_NS6detail17trampoline_kernelINS0_14default_configENS1_27scan_by_key_config_selectorIxxEEZZNS1_16scan_by_key_implILNS1_25lookback_scan_determinismE0ELb1ES3_N6thrust23THRUST_200600_302600_NS6detail15normal_iteratorINS9_10device_ptrIxEEEESE_SE_xNS9_10multipliesIxEENS9_8equal_toIxEExEE10hipError_tPvRmT2_T3_T4_T5_mT6_T7_P12ihipStream_tbENKUlT_T0_E_clISt17integral_constantIbLb1EESZ_EEDaSU_SV_EUlSU_E_NS1_11comp_targetILNS1_3genE3ELNS1_11target_archE908ELNS1_3gpuE7ELNS1_3repE0EEENS1_30default_config_static_selectorELNS0_4arch9wavefront6targetE1EEEvT1_
    .private_segment_fixed_size: 0
    .sgpr_count:     4
    .sgpr_spill_count: 0
    .symbol:         _ZN7rocprim17ROCPRIM_400000_NS6detail17trampoline_kernelINS0_14default_configENS1_27scan_by_key_config_selectorIxxEEZZNS1_16scan_by_key_implILNS1_25lookback_scan_determinismE0ELb1ES3_N6thrust23THRUST_200600_302600_NS6detail15normal_iteratorINS9_10device_ptrIxEEEESE_SE_xNS9_10multipliesIxEENS9_8equal_toIxEExEE10hipError_tPvRmT2_T3_T4_T5_mT6_T7_P12ihipStream_tbENKUlT_T0_E_clISt17integral_constantIbLb1EESZ_EEDaSU_SV_EUlSU_E_NS1_11comp_targetILNS1_3genE3ELNS1_11target_archE908ELNS1_3gpuE7ELNS1_3repE0EEENS1_30default_config_static_selectorELNS0_4arch9wavefront6targetE1EEEvT1_.kd
    .uniform_work_group_size: 1
    .uses_dynamic_stack: false
    .vgpr_count:     0
    .vgpr_spill_count: 0
    .wavefront_size: 64
  - .agpr_count:     0
    .args:
      - .offset:         0
        .size:           136
        .value_kind:     by_value
    .group_segment_fixed_size: 0
    .kernarg_segment_align: 8
    .kernarg_segment_size: 136
    .language:       OpenCL C
    .language_version:
      - 2
      - 0
    .max_flat_workgroup_size: 256
    .name:           _ZN7rocprim17ROCPRIM_400000_NS6detail17trampoline_kernelINS0_14default_configENS1_27scan_by_key_config_selectorIxxEEZZNS1_16scan_by_key_implILNS1_25lookback_scan_determinismE0ELb1ES3_N6thrust23THRUST_200600_302600_NS6detail15normal_iteratorINS9_10device_ptrIxEEEESE_SE_xNS9_10multipliesIxEENS9_8equal_toIxEExEE10hipError_tPvRmT2_T3_T4_T5_mT6_T7_P12ihipStream_tbENKUlT_T0_E_clISt17integral_constantIbLb1EESZ_EEDaSU_SV_EUlSU_E_NS1_11comp_targetILNS1_3genE2ELNS1_11target_archE906ELNS1_3gpuE6ELNS1_3repE0EEENS1_30default_config_static_selectorELNS0_4arch9wavefront6targetE1EEEvT1_
    .private_segment_fixed_size: 0
    .sgpr_count:     4
    .sgpr_spill_count: 0
    .symbol:         _ZN7rocprim17ROCPRIM_400000_NS6detail17trampoline_kernelINS0_14default_configENS1_27scan_by_key_config_selectorIxxEEZZNS1_16scan_by_key_implILNS1_25lookback_scan_determinismE0ELb1ES3_N6thrust23THRUST_200600_302600_NS6detail15normal_iteratorINS9_10device_ptrIxEEEESE_SE_xNS9_10multipliesIxEENS9_8equal_toIxEExEE10hipError_tPvRmT2_T3_T4_T5_mT6_T7_P12ihipStream_tbENKUlT_T0_E_clISt17integral_constantIbLb1EESZ_EEDaSU_SV_EUlSU_E_NS1_11comp_targetILNS1_3genE2ELNS1_11target_archE906ELNS1_3gpuE6ELNS1_3repE0EEENS1_30default_config_static_selectorELNS0_4arch9wavefront6targetE1EEEvT1_.kd
    .uniform_work_group_size: 1
    .uses_dynamic_stack: false
    .vgpr_count:     0
    .vgpr_spill_count: 0
    .wavefront_size: 64
  - .agpr_count:     0
    .args:
      - .offset:         0
        .size:           136
        .value_kind:     by_value
    .group_segment_fixed_size: 0
    .kernarg_segment_align: 8
    .kernarg_segment_size: 136
    .language:       OpenCL C
    .language_version:
      - 2
      - 0
    .max_flat_workgroup_size: 256
    .name:           _ZN7rocprim17ROCPRIM_400000_NS6detail17trampoline_kernelINS0_14default_configENS1_27scan_by_key_config_selectorIxxEEZZNS1_16scan_by_key_implILNS1_25lookback_scan_determinismE0ELb1ES3_N6thrust23THRUST_200600_302600_NS6detail15normal_iteratorINS9_10device_ptrIxEEEESE_SE_xNS9_10multipliesIxEENS9_8equal_toIxEExEE10hipError_tPvRmT2_T3_T4_T5_mT6_T7_P12ihipStream_tbENKUlT_T0_E_clISt17integral_constantIbLb1EESZ_EEDaSU_SV_EUlSU_E_NS1_11comp_targetILNS1_3genE10ELNS1_11target_archE1200ELNS1_3gpuE4ELNS1_3repE0EEENS1_30default_config_static_selectorELNS0_4arch9wavefront6targetE1EEEvT1_
    .private_segment_fixed_size: 0
    .sgpr_count:     4
    .sgpr_spill_count: 0
    .symbol:         _ZN7rocprim17ROCPRIM_400000_NS6detail17trampoline_kernelINS0_14default_configENS1_27scan_by_key_config_selectorIxxEEZZNS1_16scan_by_key_implILNS1_25lookback_scan_determinismE0ELb1ES3_N6thrust23THRUST_200600_302600_NS6detail15normal_iteratorINS9_10device_ptrIxEEEESE_SE_xNS9_10multipliesIxEENS9_8equal_toIxEExEE10hipError_tPvRmT2_T3_T4_T5_mT6_T7_P12ihipStream_tbENKUlT_T0_E_clISt17integral_constantIbLb1EESZ_EEDaSU_SV_EUlSU_E_NS1_11comp_targetILNS1_3genE10ELNS1_11target_archE1200ELNS1_3gpuE4ELNS1_3repE0EEENS1_30default_config_static_selectorELNS0_4arch9wavefront6targetE1EEEvT1_.kd
    .uniform_work_group_size: 1
    .uses_dynamic_stack: false
    .vgpr_count:     0
    .vgpr_spill_count: 0
    .wavefront_size: 64
  - .agpr_count:     0
    .args:
      - .offset:         0
        .size:           136
        .value_kind:     by_value
    .group_segment_fixed_size: 0
    .kernarg_segment_align: 8
    .kernarg_segment_size: 136
    .language:       OpenCL C
    .language_version:
      - 2
      - 0
    .max_flat_workgroup_size: 256
    .name:           _ZN7rocprim17ROCPRIM_400000_NS6detail17trampoline_kernelINS0_14default_configENS1_27scan_by_key_config_selectorIxxEEZZNS1_16scan_by_key_implILNS1_25lookback_scan_determinismE0ELb1ES3_N6thrust23THRUST_200600_302600_NS6detail15normal_iteratorINS9_10device_ptrIxEEEESE_SE_xNS9_10multipliesIxEENS9_8equal_toIxEExEE10hipError_tPvRmT2_T3_T4_T5_mT6_T7_P12ihipStream_tbENKUlT_T0_E_clISt17integral_constantIbLb1EESZ_EEDaSU_SV_EUlSU_E_NS1_11comp_targetILNS1_3genE9ELNS1_11target_archE1100ELNS1_3gpuE3ELNS1_3repE0EEENS1_30default_config_static_selectorELNS0_4arch9wavefront6targetE1EEEvT1_
    .private_segment_fixed_size: 0
    .sgpr_count:     4
    .sgpr_spill_count: 0
    .symbol:         _ZN7rocprim17ROCPRIM_400000_NS6detail17trampoline_kernelINS0_14default_configENS1_27scan_by_key_config_selectorIxxEEZZNS1_16scan_by_key_implILNS1_25lookback_scan_determinismE0ELb1ES3_N6thrust23THRUST_200600_302600_NS6detail15normal_iteratorINS9_10device_ptrIxEEEESE_SE_xNS9_10multipliesIxEENS9_8equal_toIxEExEE10hipError_tPvRmT2_T3_T4_T5_mT6_T7_P12ihipStream_tbENKUlT_T0_E_clISt17integral_constantIbLb1EESZ_EEDaSU_SV_EUlSU_E_NS1_11comp_targetILNS1_3genE9ELNS1_11target_archE1100ELNS1_3gpuE3ELNS1_3repE0EEENS1_30default_config_static_selectorELNS0_4arch9wavefront6targetE1EEEvT1_.kd
    .uniform_work_group_size: 1
    .uses_dynamic_stack: false
    .vgpr_count:     0
    .vgpr_spill_count: 0
    .wavefront_size: 64
  - .agpr_count:     0
    .args:
      - .offset:         0
        .size:           136
        .value_kind:     by_value
    .group_segment_fixed_size: 0
    .kernarg_segment_align: 8
    .kernarg_segment_size: 136
    .language:       OpenCL C
    .language_version:
      - 2
      - 0
    .max_flat_workgroup_size: 256
    .name:           _ZN7rocprim17ROCPRIM_400000_NS6detail17trampoline_kernelINS0_14default_configENS1_27scan_by_key_config_selectorIxxEEZZNS1_16scan_by_key_implILNS1_25lookback_scan_determinismE0ELb1ES3_N6thrust23THRUST_200600_302600_NS6detail15normal_iteratorINS9_10device_ptrIxEEEESE_SE_xNS9_10multipliesIxEENS9_8equal_toIxEExEE10hipError_tPvRmT2_T3_T4_T5_mT6_T7_P12ihipStream_tbENKUlT_T0_E_clISt17integral_constantIbLb1EESZ_EEDaSU_SV_EUlSU_E_NS1_11comp_targetILNS1_3genE8ELNS1_11target_archE1030ELNS1_3gpuE2ELNS1_3repE0EEENS1_30default_config_static_selectorELNS0_4arch9wavefront6targetE1EEEvT1_
    .private_segment_fixed_size: 0
    .sgpr_count:     4
    .sgpr_spill_count: 0
    .symbol:         _ZN7rocprim17ROCPRIM_400000_NS6detail17trampoline_kernelINS0_14default_configENS1_27scan_by_key_config_selectorIxxEEZZNS1_16scan_by_key_implILNS1_25lookback_scan_determinismE0ELb1ES3_N6thrust23THRUST_200600_302600_NS6detail15normal_iteratorINS9_10device_ptrIxEEEESE_SE_xNS9_10multipliesIxEENS9_8equal_toIxEExEE10hipError_tPvRmT2_T3_T4_T5_mT6_T7_P12ihipStream_tbENKUlT_T0_E_clISt17integral_constantIbLb1EESZ_EEDaSU_SV_EUlSU_E_NS1_11comp_targetILNS1_3genE8ELNS1_11target_archE1030ELNS1_3gpuE2ELNS1_3repE0EEENS1_30default_config_static_selectorELNS0_4arch9wavefront6targetE1EEEvT1_.kd
    .uniform_work_group_size: 1
    .uses_dynamic_stack: false
    .vgpr_count:     0
    .vgpr_spill_count: 0
    .wavefront_size: 64
  - .agpr_count:     0
    .args:
      - .offset:         0
        .size:           136
        .value_kind:     by_value
    .group_segment_fixed_size: 0
    .kernarg_segment_align: 8
    .kernarg_segment_size: 136
    .language:       OpenCL C
    .language_version:
      - 2
      - 0
    .max_flat_workgroup_size: 256
    .name:           _ZN7rocprim17ROCPRIM_400000_NS6detail17trampoline_kernelINS0_14default_configENS1_27scan_by_key_config_selectorIxxEEZZNS1_16scan_by_key_implILNS1_25lookback_scan_determinismE0ELb1ES3_N6thrust23THRUST_200600_302600_NS6detail15normal_iteratorINS9_10device_ptrIxEEEESE_SE_xNS9_10multipliesIxEENS9_8equal_toIxEExEE10hipError_tPvRmT2_T3_T4_T5_mT6_T7_P12ihipStream_tbENKUlT_T0_E_clISt17integral_constantIbLb1EESY_IbLb0EEEEDaSU_SV_EUlSU_E_NS1_11comp_targetILNS1_3genE0ELNS1_11target_archE4294967295ELNS1_3gpuE0ELNS1_3repE0EEENS1_30default_config_static_selectorELNS0_4arch9wavefront6targetE1EEEvT1_
    .private_segment_fixed_size: 0
    .sgpr_count:     4
    .sgpr_spill_count: 0
    .symbol:         _ZN7rocprim17ROCPRIM_400000_NS6detail17trampoline_kernelINS0_14default_configENS1_27scan_by_key_config_selectorIxxEEZZNS1_16scan_by_key_implILNS1_25lookback_scan_determinismE0ELb1ES3_N6thrust23THRUST_200600_302600_NS6detail15normal_iteratorINS9_10device_ptrIxEEEESE_SE_xNS9_10multipliesIxEENS9_8equal_toIxEExEE10hipError_tPvRmT2_T3_T4_T5_mT6_T7_P12ihipStream_tbENKUlT_T0_E_clISt17integral_constantIbLb1EESY_IbLb0EEEEDaSU_SV_EUlSU_E_NS1_11comp_targetILNS1_3genE0ELNS1_11target_archE4294967295ELNS1_3gpuE0ELNS1_3repE0EEENS1_30default_config_static_selectorELNS0_4arch9wavefront6targetE1EEEvT1_.kd
    .uniform_work_group_size: 1
    .uses_dynamic_stack: false
    .vgpr_count:     0
    .vgpr_spill_count: 0
    .wavefront_size: 64
  - .agpr_count:     0
    .args:
      - .offset:         0
        .size:           136
        .value_kind:     by_value
    .group_segment_fixed_size: 0
    .kernarg_segment_align: 8
    .kernarg_segment_size: 136
    .language:       OpenCL C
    .language_version:
      - 2
      - 0
    .max_flat_workgroup_size: 256
    .name:           _ZN7rocprim17ROCPRIM_400000_NS6detail17trampoline_kernelINS0_14default_configENS1_27scan_by_key_config_selectorIxxEEZZNS1_16scan_by_key_implILNS1_25lookback_scan_determinismE0ELb1ES3_N6thrust23THRUST_200600_302600_NS6detail15normal_iteratorINS9_10device_ptrIxEEEESE_SE_xNS9_10multipliesIxEENS9_8equal_toIxEExEE10hipError_tPvRmT2_T3_T4_T5_mT6_T7_P12ihipStream_tbENKUlT_T0_E_clISt17integral_constantIbLb1EESY_IbLb0EEEEDaSU_SV_EUlSU_E_NS1_11comp_targetILNS1_3genE10ELNS1_11target_archE1201ELNS1_3gpuE5ELNS1_3repE0EEENS1_30default_config_static_selectorELNS0_4arch9wavefront6targetE1EEEvT1_
    .private_segment_fixed_size: 0
    .sgpr_count:     4
    .sgpr_spill_count: 0
    .symbol:         _ZN7rocprim17ROCPRIM_400000_NS6detail17trampoline_kernelINS0_14default_configENS1_27scan_by_key_config_selectorIxxEEZZNS1_16scan_by_key_implILNS1_25lookback_scan_determinismE0ELb1ES3_N6thrust23THRUST_200600_302600_NS6detail15normal_iteratorINS9_10device_ptrIxEEEESE_SE_xNS9_10multipliesIxEENS9_8equal_toIxEExEE10hipError_tPvRmT2_T3_T4_T5_mT6_T7_P12ihipStream_tbENKUlT_T0_E_clISt17integral_constantIbLb1EESY_IbLb0EEEEDaSU_SV_EUlSU_E_NS1_11comp_targetILNS1_3genE10ELNS1_11target_archE1201ELNS1_3gpuE5ELNS1_3repE0EEENS1_30default_config_static_selectorELNS0_4arch9wavefront6targetE1EEEvT1_.kd
    .uniform_work_group_size: 1
    .uses_dynamic_stack: false
    .vgpr_count:     0
    .vgpr_spill_count: 0
    .wavefront_size: 64
  - .agpr_count:     0
    .args:
      - .offset:         0
        .size:           136
        .value_kind:     by_value
    .group_segment_fixed_size: 0
    .kernarg_segment_align: 8
    .kernarg_segment_size: 136
    .language:       OpenCL C
    .language_version:
      - 2
      - 0
    .max_flat_workgroup_size: 256
    .name:           _ZN7rocprim17ROCPRIM_400000_NS6detail17trampoline_kernelINS0_14default_configENS1_27scan_by_key_config_selectorIxxEEZZNS1_16scan_by_key_implILNS1_25lookback_scan_determinismE0ELb1ES3_N6thrust23THRUST_200600_302600_NS6detail15normal_iteratorINS9_10device_ptrIxEEEESE_SE_xNS9_10multipliesIxEENS9_8equal_toIxEExEE10hipError_tPvRmT2_T3_T4_T5_mT6_T7_P12ihipStream_tbENKUlT_T0_E_clISt17integral_constantIbLb1EESY_IbLb0EEEEDaSU_SV_EUlSU_E_NS1_11comp_targetILNS1_3genE5ELNS1_11target_archE942ELNS1_3gpuE9ELNS1_3repE0EEENS1_30default_config_static_selectorELNS0_4arch9wavefront6targetE1EEEvT1_
    .private_segment_fixed_size: 0
    .sgpr_count:     4
    .sgpr_spill_count: 0
    .symbol:         _ZN7rocprim17ROCPRIM_400000_NS6detail17trampoline_kernelINS0_14default_configENS1_27scan_by_key_config_selectorIxxEEZZNS1_16scan_by_key_implILNS1_25lookback_scan_determinismE0ELb1ES3_N6thrust23THRUST_200600_302600_NS6detail15normal_iteratorINS9_10device_ptrIxEEEESE_SE_xNS9_10multipliesIxEENS9_8equal_toIxEExEE10hipError_tPvRmT2_T3_T4_T5_mT6_T7_P12ihipStream_tbENKUlT_T0_E_clISt17integral_constantIbLb1EESY_IbLb0EEEEDaSU_SV_EUlSU_E_NS1_11comp_targetILNS1_3genE5ELNS1_11target_archE942ELNS1_3gpuE9ELNS1_3repE0EEENS1_30default_config_static_selectorELNS0_4arch9wavefront6targetE1EEEvT1_.kd
    .uniform_work_group_size: 1
    .uses_dynamic_stack: false
    .vgpr_count:     0
    .vgpr_spill_count: 0
    .wavefront_size: 64
  - .agpr_count:     0
    .args:
      - .offset:         0
        .size:           136
        .value_kind:     by_value
    .group_segment_fixed_size: 10752
    .kernarg_segment_align: 8
    .kernarg_segment_size: 136
    .language:       OpenCL C
    .language_version:
      - 2
      - 0
    .max_flat_workgroup_size: 64
    .name:           _ZN7rocprim17ROCPRIM_400000_NS6detail17trampoline_kernelINS0_14default_configENS1_27scan_by_key_config_selectorIxxEEZZNS1_16scan_by_key_implILNS1_25lookback_scan_determinismE0ELb1ES3_N6thrust23THRUST_200600_302600_NS6detail15normal_iteratorINS9_10device_ptrIxEEEESE_SE_xNS9_10multipliesIxEENS9_8equal_toIxEExEE10hipError_tPvRmT2_T3_T4_T5_mT6_T7_P12ihipStream_tbENKUlT_T0_E_clISt17integral_constantIbLb1EESY_IbLb0EEEEDaSU_SV_EUlSU_E_NS1_11comp_targetILNS1_3genE4ELNS1_11target_archE910ELNS1_3gpuE8ELNS1_3repE0EEENS1_30default_config_static_selectorELNS0_4arch9wavefront6targetE1EEEvT1_
    .private_segment_fixed_size: 0
    .sgpr_count:     77
    .sgpr_spill_count: 0
    .symbol:         _ZN7rocprim17ROCPRIM_400000_NS6detail17trampoline_kernelINS0_14default_configENS1_27scan_by_key_config_selectorIxxEEZZNS1_16scan_by_key_implILNS1_25lookback_scan_determinismE0ELb1ES3_N6thrust23THRUST_200600_302600_NS6detail15normal_iteratorINS9_10device_ptrIxEEEESE_SE_xNS9_10multipliesIxEENS9_8equal_toIxEExEE10hipError_tPvRmT2_T3_T4_T5_mT6_T7_P12ihipStream_tbENKUlT_T0_E_clISt17integral_constantIbLb1EESY_IbLb0EEEEDaSU_SV_EUlSU_E_NS1_11comp_targetILNS1_3genE4ELNS1_11target_archE910ELNS1_3gpuE8ELNS1_3repE0EEENS1_30default_config_static_selectorELNS0_4arch9wavefront6targetE1EEEvT1_.kd
    .uniform_work_group_size: 1
    .uses_dynamic_stack: false
    .vgpr_count:     117
    .vgpr_spill_count: 0
    .wavefront_size: 64
  - .agpr_count:     0
    .args:
      - .offset:         0
        .size:           136
        .value_kind:     by_value
    .group_segment_fixed_size: 0
    .kernarg_segment_align: 8
    .kernarg_segment_size: 136
    .language:       OpenCL C
    .language_version:
      - 2
      - 0
    .max_flat_workgroup_size: 256
    .name:           _ZN7rocprim17ROCPRIM_400000_NS6detail17trampoline_kernelINS0_14default_configENS1_27scan_by_key_config_selectorIxxEEZZNS1_16scan_by_key_implILNS1_25lookback_scan_determinismE0ELb1ES3_N6thrust23THRUST_200600_302600_NS6detail15normal_iteratorINS9_10device_ptrIxEEEESE_SE_xNS9_10multipliesIxEENS9_8equal_toIxEExEE10hipError_tPvRmT2_T3_T4_T5_mT6_T7_P12ihipStream_tbENKUlT_T0_E_clISt17integral_constantIbLb1EESY_IbLb0EEEEDaSU_SV_EUlSU_E_NS1_11comp_targetILNS1_3genE3ELNS1_11target_archE908ELNS1_3gpuE7ELNS1_3repE0EEENS1_30default_config_static_selectorELNS0_4arch9wavefront6targetE1EEEvT1_
    .private_segment_fixed_size: 0
    .sgpr_count:     4
    .sgpr_spill_count: 0
    .symbol:         _ZN7rocprim17ROCPRIM_400000_NS6detail17trampoline_kernelINS0_14default_configENS1_27scan_by_key_config_selectorIxxEEZZNS1_16scan_by_key_implILNS1_25lookback_scan_determinismE0ELb1ES3_N6thrust23THRUST_200600_302600_NS6detail15normal_iteratorINS9_10device_ptrIxEEEESE_SE_xNS9_10multipliesIxEENS9_8equal_toIxEExEE10hipError_tPvRmT2_T3_T4_T5_mT6_T7_P12ihipStream_tbENKUlT_T0_E_clISt17integral_constantIbLb1EESY_IbLb0EEEEDaSU_SV_EUlSU_E_NS1_11comp_targetILNS1_3genE3ELNS1_11target_archE908ELNS1_3gpuE7ELNS1_3repE0EEENS1_30default_config_static_selectorELNS0_4arch9wavefront6targetE1EEEvT1_.kd
    .uniform_work_group_size: 1
    .uses_dynamic_stack: false
    .vgpr_count:     0
    .vgpr_spill_count: 0
    .wavefront_size: 64
  - .agpr_count:     0
    .args:
      - .offset:         0
        .size:           136
        .value_kind:     by_value
    .group_segment_fixed_size: 0
    .kernarg_segment_align: 8
    .kernarg_segment_size: 136
    .language:       OpenCL C
    .language_version:
      - 2
      - 0
    .max_flat_workgroup_size: 256
    .name:           _ZN7rocprim17ROCPRIM_400000_NS6detail17trampoline_kernelINS0_14default_configENS1_27scan_by_key_config_selectorIxxEEZZNS1_16scan_by_key_implILNS1_25lookback_scan_determinismE0ELb1ES3_N6thrust23THRUST_200600_302600_NS6detail15normal_iteratorINS9_10device_ptrIxEEEESE_SE_xNS9_10multipliesIxEENS9_8equal_toIxEExEE10hipError_tPvRmT2_T3_T4_T5_mT6_T7_P12ihipStream_tbENKUlT_T0_E_clISt17integral_constantIbLb1EESY_IbLb0EEEEDaSU_SV_EUlSU_E_NS1_11comp_targetILNS1_3genE2ELNS1_11target_archE906ELNS1_3gpuE6ELNS1_3repE0EEENS1_30default_config_static_selectorELNS0_4arch9wavefront6targetE1EEEvT1_
    .private_segment_fixed_size: 0
    .sgpr_count:     4
    .sgpr_spill_count: 0
    .symbol:         _ZN7rocprim17ROCPRIM_400000_NS6detail17trampoline_kernelINS0_14default_configENS1_27scan_by_key_config_selectorIxxEEZZNS1_16scan_by_key_implILNS1_25lookback_scan_determinismE0ELb1ES3_N6thrust23THRUST_200600_302600_NS6detail15normal_iteratorINS9_10device_ptrIxEEEESE_SE_xNS9_10multipliesIxEENS9_8equal_toIxEExEE10hipError_tPvRmT2_T3_T4_T5_mT6_T7_P12ihipStream_tbENKUlT_T0_E_clISt17integral_constantIbLb1EESY_IbLb0EEEEDaSU_SV_EUlSU_E_NS1_11comp_targetILNS1_3genE2ELNS1_11target_archE906ELNS1_3gpuE6ELNS1_3repE0EEENS1_30default_config_static_selectorELNS0_4arch9wavefront6targetE1EEEvT1_.kd
    .uniform_work_group_size: 1
    .uses_dynamic_stack: false
    .vgpr_count:     0
    .vgpr_spill_count: 0
    .wavefront_size: 64
  - .agpr_count:     0
    .args:
      - .offset:         0
        .size:           136
        .value_kind:     by_value
    .group_segment_fixed_size: 0
    .kernarg_segment_align: 8
    .kernarg_segment_size: 136
    .language:       OpenCL C
    .language_version:
      - 2
      - 0
    .max_flat_workgroup_size: 256
    .name:           _ZN7rocprim17ROCPRIM_400000_NS6detail17trampoline_kernelINS0_14default_configENS1_27scan_by_key_config_selectorIxxEEZZNS1_16scan_by_key_implILNS1_25lookback_scan_determinismE0ELb1ES3_N6thrust23THRUST_200600_302600_NS6detail15normal_iteratorINS9_10device_ptrIxEEEESE_SE_xNS9_10multipliesIxEENS9_8equal_toIxEExEE10hipError_tPvRmT2_T3_T4_T5_mT6_T7_P12ihipStream_tbENKUlT_T0_E_clISt17integral_constantIbLb1EESY_IbLb0EEEEDaSU_SV_EUlSU_E_NS1_11comp_targetILNS1_3genE10ELNS1_11target_archE1200ELNS1_3gpuE4ELNS1_3repE0EEENS1_30default_config_static_selectorELNS0_4arch9wavefront6targetE1EEEvT1_
    .private_segment_fixed_size: 0
    .sgpr_count:     4
    .sgpr_spill_count: 0
    .symbol:         _ZN7rocprim17ROCPRIM_400000_NS6detail17trampoline_kernelINS0_14default_configENS1_27scan_by_key_config_selectorIxxEEZZNS1_16scan_by_key_implILNS1_25lookback_scan_determinismE0ELb1ES3_N6thrust23THRUST_200600_302600_NS6detail15normal_iteratorINS9_10device_ptrIxEEEESE_SE_xNS9_10multipliesIxEENS9_8equal_toIxEExEE10hipError_tPvRmT2_T3_T4_T5_mT6_T7_P12ihipStream_tbENKUlT_T0_E_clISt17integral_constantIbLb1EESY_IbLb0EEEEDaSU_SV_EUlSU_E_NS1_11comp_targetILNS1_3genE10ELNS1_11target_archE1200ELNS1_3gpuE4ELNS1_3repE0EEENS1_30default_config_static_selectorELNS0_4arch9wavefront6targetE1EEEvT1_.kd
    .uniform_work_group_size: 1
    .uses_dynamic_stack: false
    .vgpr_count:     0
    .vgpr_spill_count: 0
    .wavefront_size: 64
  - .agpr_count:     0
    .args:
      - .offset:         0
        .size:           136
        .value_kind:     by_value
    .group_segment_fixed_size: 0
    .kernarg_segment_align: 8
    .kernarg_segment_size: 136
    .language:       OpenCL C
    .language_version:
      - 2
      - 0
    .max_flat_workgroup_size: 256
    .name:           _ZN7rocprim17ROCPRIM_400000_NS6detail17trampoline_kernelINS0_14default_configENS1_27scan_by_key_config_selectorIxxEEZZNS1_16scan_by_key_implILNS1_25lookback_scan_determinismE0ELb1ES3_N6thrust23THRUST_200600_302600_NS6detail15normal_iteratorINS9_10device_ptrIxEEEESE_SE_xNS9_10multipliesIxEENS9_8equal_toIxEExEE10hipError_tPvRmT2_T3_T4_T5_mT6_T7_P12ihipStream_tbENKUlT_T0_E_clISt17integral_constantIbLb1EESY_IbLb0EEEEDaSU_SV_EUlSU_E_NS1_11comp_targetILNS1_3genE9ELNS1_11target_archE1100ELNS1_3gpuE3ELNS1_3repE0EEENS1_30default_config_static_selectorELNS0_4arch9wavefront6targetE1EEEvT1_
    .private_segment_fixed_size: 0
    .sgpr_count:     4
    .sgpr_spill_count: 0
    .symbol:         _ZN7rocprim17ROCPRIM_400000_NS6detail17trampoline_kernelINS0_14default_configENS1_27scan_by_key_config_selectorIxxEEZZNS1_16scan_by_key_implILNS1_25lookback_scan_determinismE0ELb1ES3_N6thrust23THRUST_200600_302600_NS6detail15normal_iteratorINS9_10device_ptrIxEEEESE_SE_xNS9_10multipliesIxEENS9_8equal_toIxEExEE10hipError_tPvRmT2_T3_T4_T5_mT6_T7_P12ihipStream_tbENKUlT_T0_E_clISt17integral_constantIbLb1EESY_IbLb0EEEEDaSU_SV_EUlSU_E_NS1_11comp_targetILNS1_3genE9ELNS1_11target_archE1100ELNS1_3gpuE3ELNS1_3repE0EEENS1_30default_config_static_selectorELNS0_4arch9wavefront6targetE1EEEvT1_.kd
    .uniform_work_group_size: 1
    .uses_dynamic_stack: false
    .vgpr_count:     0
    .vgpr_spill_count: 0
    .wavefront_size: 64
  - .agpr_count:     0
    .args:
      - .offset:         0
        .size:           136
        .value_kind:     by_value
    .group_segment_fixed_size: 0
    .kernarg_segment_align: 8
    .kernarg_segment_size: 136
    .language:       OpenCL C
    .language_version:
      - 2
      - 0
    .max_flat_workgroup_size: 256
    .name:           _ZN7rocprim17ROCPRIM_400000_NS6detail17trampoline_kernelINS0_14default_configENS1_27scan_by_key_config_selectorIxxEEZZNS1_16scan_by_key_implILNS1_25lookback_scan_determinismE0ELb1ES3_N6thrust23THRUST_200600_302600_NS6detail15normal_iteratorINS9_10device_ptrIxEEEESE_SE_xNS9_10multipliesIxEENS9_8equal_toIxEExEE10hipError_tPvRmT2_T3_T4_T5_mT6_T7_P12ihipStream_tbENKUlT_T0_E_clISt17integral_constantIbLb1EESY_IbLb0EEEEDaSU_SV_EUlSU_E_NS1_11comp_targetILNS1_3genE8ELNS1_11target_archE1030ELNS1_3gpuE2ELNS1_3repE0EEENS1_30default_config_static_selectorELNS0_4arch9wavefront6targetE1EEEvT1_
    .private_segment_fixed_size: 0
    .sgpr_count:     4
    .sgpr_spill_count: 0
    .symbol:         _ZN7rocprim17ROCPRIM_400000_NS6detail17trampoline_kernelINS0_14default_configENS1_27scan_by_key_config_selectorIxxEEZZNS1_16scan_by_key_implILNS1_25lookback_scan_determinismE0ELb1ES3_N6thrust23THRUST_200600_302600_NS6detail15normal_iteratorINS9_10device_ptrIxEEEESE_SE_xNS9_10multipliesIxEENS9_8equal_toIxEExEE10hipError_tPvRmT2_T3_T4_T5_mT6_T7_P12ihipStream_tbENKUlT_T0_E_clISt17integral_constantIbLb1EESY_IbLb0EEEEDaSU_SV_EUlSU_E_NS1_11comp_targetILNS1_3genE8ELNS1_11target_archE1030ELNS1_3gpuE2ELNS1_3repE0EEENS1_30default_config_static_selectorELNS0_4arch9wavefront6targetE1EEEvT1_.kd
    .uniform_work_group_size: 1
    .uses_dynamic_stack: false
    .vgpr_count:     0
    .vgpr_spill_count: 0
    .wavefront_size: 64
  - .agpr_count:     0
    .args:
      - .offset:         0
        .size:           136
        .value_kind:     by_value
    .group_segment_fixed_size: 0
    .kernarg_segment_align: 8
    .kernarg_segment_size: 136
    .language:       OpenCL C
    .language_version:
      - 2
      - 0
    .max_flat_workgroup_size: 256
    .name:           _ZN7rocprim17ROCPRIM_400000_NS6detail17trampoline_kernelINS0_14default_configENS1_27scan_by_key_config_selectorIxxEEZZNS1_16scan_by_key_implILNS1_25lookback_scan_determinismE0ELb1ES3_N6thrust23THRUST_200600_302600_NS6detail15normal_iteratorINS9_10device_ptrIxEEEESE_SE_xNS9_10multipliesIxEENS9_8equal_toIxEExEE10hipError_tPvRmT2_T3_T4_T5_mT6_T7_P12ihipStream_tbENKUlT_T0_E_clISt17integral_constantIbLb0EESY_IbLb1EEEEDaSU_SV_EUlSU_E_NS1_11comp_targetILNS1_3genE0ELNS1_11target_archE4294967295ELNS1_3gpuE0ELNS1_3repE0EEENS1_30default_config_static_selectorELNS0_4arch9wavefront6targetE1EEEvT1_
    .private_segment_fixed_size: 0
    .sgpr_count:     4
    .sgpr_spill_count: 0
    .symbol:         _ZN7rocprim17ROCPRIM_400000_NS6detail17trampoline_kernelINS0_14default_configENS1_27scan_by_key_config_selectorIxxEEZZNS1_16scan_by_key_implILNS1_25lookback_scan_determinismE0ELb1ES3_N6thrust23THRUST_200600_302600_NS6detail15normal_iteratorINS9_10device_ptrIxEEEESE_SE_xNS9_10multipliesIxEENS9_8equal_toIxEExEE10hipError_tPvRmT2_T3_T4_T5_mT6_T7_P12ihipStream_tbENKUlT_T0_E_clISt17integral_constantIbLb0EESY_IbLb1EEEEDaSU_SV_EUlSU_E_NS1_11comp_targetILNS1_3genE0ELNS1_11target_archE4294967295ELNS1_3gpuE0ELNS1_3repE0EEENS1_30default_config_static_selectorELNS0_4arch9wavefront6targetE1EEEvT1_.kd
    .uniform_work_group_size: 1
    .uses_dynamic_stack: false
    .vgpr_count:     0
    .vgpr_spill_count: 0
    .wavefront_size: 64
  - .agpr_count:     0
    .args:
      - .offset:         0
        .size:           136
        .value_kind:     by_value
    .group_segment_fixed_size: 0
    .kernarg_segment_align: 8
    .kernarg_segment_size: 136
    .language:       OpenCL C
    .language_version:
      - 2
      - 0
    .max_flat_workgroup_size: 256
    .name:           _ZN7rocprim17ROCPRIM_400000_NS6detail17trampoline_kernelINS0_14default_configENS1_27scan_by_key_config_selectorIxxEEZZNS1_16scan_by_key_implILNS1_25lookback_scan_determinismE0ELb1ES3_N6thrust23THRUST_200600_302600_NS6detail15normal_iteratorINS9_10device_ptrIxEEEESE_SE_xNS9_10multipliesIxEENS9_8equal_toIxEExEE10hipError_tPvRmT2_T3_T4_T5_mT6_T7_P12ihipStream_tbENKUlT_T0_E_clISt17integral_constantIbLb0EESY_IbLb1EEEEDaSU_SV_EUlSU_E_NS1_11comp_targetILNS1_3genE10ELNS1_11target_archE1201ELNS1_3gpuE5ELNS1_3repE0EEENS1_30default_config_static_selectorELNS0_4arch9wavefront6targetE1EEEvT1_
    .private_segment_fixed_size: 0
    .sgpr_count:     4
    .sgpr_spill_count: 0
    .symbol:         _ZN7rocprim17ROCPRIM_400000_NS6detail17trampoline_kernelINS0_14default_configENS1_27scan_by_key_config_selectorIxxEEZZNS1_16scan_by_key_implILNS1_25lookback_scan_determinismE0ELb1ES3_N6thrust23THRUST_200600_302600_NS6detail15normal_iteratorINS9_10device_ptrIxEEEESE_SE_xNS9_10multipliesIxEENS9_8equal_toIxEExEE10hipError_tPvRmT2_T3_T4_T5_mT6_T7_P12ihipStream_tbENKUlT_T0_E_clISt17integral_constantIbLb0EESY_IbLb1EEEEDaSU_SV_EUlSU_E_NS1_11comp_targetILNS1_3genE10ELNS1_11target_archE1201ELNS1_3gpuE5ELNS1_3repE0EEENS1_30default_config_static_selectorELNS0_4arch9wavefront6targetE1EEEvT1_.kd
    .uniform_work_group_size: 1
    .uses_dynamic_stack: false
    .vgpr_count:     0
    .vgpr_spill_count: 0
    .wavefront_size: 64
  - .agpr_count:     0
    .args:
      - .offset:         0
        .size:           136
        .value_kind:     by_value
    .group_segment_fixed_size: 0
    .kernarg_segment_align: 8
    .kernarg_segment_size: 136
    .language:       OpenCL C
    .language_version:
      - 2
      - 0
    .max_flat_workgroup_size: 256
    .name:           _ZN7rocprim17ROCPRIM_400000_NS6detail17trampoline_kernelINS0_14default_configENS1_27scan_by_key_config_selectorIxxEEZZNS1_16scan_by_key_implILNS1_25lookback_scan_determinismE0ELb1ES3_N6thrust23THRUST_200600_302600_NS6detail15normal_iteratorINS9_10device_ptrIxEEEESE_SE_xNS9_10multipliesIxEENS9_8equal_toIxEExEE10hipError_tPvRmT2_T3_T4_T5_mT6_T7_P12ihipStream_tbENKUlT_T0_E_clISt17integral_constantIbLb0EESY_IbLb1EEEEDaSU_SV_EUlSU_E_NS1_11comp_targetILNS1_3genE5ELNS1_11target_archE942ELNS1_3gpuE9ELNS1_3repE0EEENS1_30default_config_static_selectorELNS0_4arch9wavefront6targetE1EEEvT1_
    .private_segment_fixed_size: 0
    .sgpr_count:     4
    .sgpr_spill_count: 0
    .symbol:         _ZN7rocprim17ROCPRIM_400000_NS6detail17trampoline_kernelINS0_14default_configENS1_27scan_by_key_config_selectorIxxEEZZNS1_16scan_by_key_implILNS1_25lookback_scan_determinismE0ELb1ES3_N6thrust23THRUST_200600_302600_NS6detail15normal_iteratorINS9_10device_ptrIxEEEESE_SE_xNS9_10multipliesIxEENS9_8equal_toIxEExEE10hipError_tPvRmT2_T3_T4_T5_mT6_T7_P12ihipStream_tbENKUlT_T0_E_clISt17integral_constantIbLb0EESY_IbLb1EEEEDaSU_SV_EUlSU_E_NS1_11comp_targetILNS1_3genE5ELNS1_11target_archE942ELNS1_3gpuE9ELNS1_3repE0EEENS1_30default_config_static_selectorELNS0_4arch9wavefront6targetE1EEEvT1_.kd
    .uniform_work_group_size: 1
    .uses_dynamic_stack: false
    .vgpr_count:     0
    .vgpr_spill_count: 0
    .wavefront_size: 64
  - .agpr_count:     0
    .args:
      - .offset:         0
        .size:           136
        .value_kind:     by_value
    .group_segment_fixed_size: 10752
    .kernarg_segment_align: 8
    .kernarg_segment_size: 136
    .language:       OpenCL C
    .language_version:
      - 2
      - 0
    .max_flat_workgroup_size: 64
    .name:           _ZN7rocprim17ROCPRIM_400000_NS6detail17trampoline_kernelINS0_14default_configENS1_27scan_by_key_config_selectorIxxEEZZNS1_16scan_by_key_implILNS1_25lookback_scan_determinismE0ELb1ES3_N6thrust23THRUST_200600_302600_NS6detail15normal_iteratorINS9_10device_ptrIxEEEESE_SE_xNS9_10multipliesIxEENS9_8equal_toIxEExEE10hipError_tPvRmT2_T3_T4_T5_mT6_T7_P12ihipStream_tbENKUlT_T0_E_clISt17integral_constantIbLb0EESY_IbLb1EEEEDaSU_SV_EUlSU_E_NS1_11comp_targetILNS1_3genE4ELNS1_11target_archE910ELNS1_3gpuE8ELNS1_3repE0EEENS1_30default_config_static_selectorELNS0_4arch9wavefront6targetE1EEEvT1_
    .private_segment_fixed_size: 0
    .sgpr_count:     76
    .sgpr_spill_count: 0
    .symbol:         _ZN7rocprim17ROCPRIM_400000_NS6detail17trampoline_kernelINS0_14default_configENS1_27scan_by_key_config_selectorIxxEEZZNS1_16scan_by_key_implILNS1_25lookback_scan_determinismE0ELb1ES3_N6thrust23THRUST_200600_302600_NS6detail15normal_iteratorINS9_10device_ptrIxEEEESE_SE_xNS9_10multipliesIxEENS9_8equal_toIxEExEE10hipError_tPvRmT2_T3_T4_T5_mT6_T7_P12ihipStream_tbENKUlT_T0_E_clISt17integral_constantIbLb0EESY_IbLb1EEEEDaSU_SV_EUlSU_E_NS1_11comp_targetILNS1_3genE4ELNS1_11target_archE910ELNS1_3gpuE8ELNS1_3repE0EEENS1_30default_config_static_selectorELNS0_4arch9wavefront6targetE1EEEvT1_.kd
    .uniform_work_group_size: 1
    .uses_dynamic_stack: false
    .vgpr_count:     119
    .vgpr_spill_count: 0
    .wavefront_size: 64
  - .agpr_count:     0
    .args:
      - .offset:         0
        .size:           136
        .value_kind:     by_value
    .group_segment_fixed_size: 0
    .kernarg_segment_align: 8
    .kernarg_segment_size: 136
    .language:       OpenCL C
    .language_version:
      - 2
      - 0
    .max_flat_workgroup_size: 256
    .name:           _ZN7rocprim17ROCPRIM_400000_NS6detail17trampoline_kernelINS0_14default_configENS1_27scan_by_key_config_selectorIxxEEZZNS1_16scan_by_key_implILNS1_25lookback_scan_determinismE0ELb1ES3_N6thrust23THRUST_200600_302600_NS6detail15normal_iteratorINS9_10device_ptrIxEEEESE_SE_xNS9_10multipliesIxEENS9_8equal_toIxEExEE10hipError_tPvRmT2_T3_T4_T5_mT6_T7_P12ihipStream_tbENKUlT_T0_E_clISt17integral_constantIbLb0EESY_IbLb1EEEEDaSU_SV_EUlSU_E_NS1_11comp_targetILNS1_3genE3ELNS1_11target_archE908ELNS1_3gpuE7ELNS1_3repE0EEENS1_30default_config_static_selectorELNS0_4arch9wavefront6targetE1EEEvT1_
    .private_segment_fixed_size: 0
    .sgpr_count:     4
    .sgpr_spill_count: 0
    .symbol:         _ZN7rocprim17ROCPRIM_400000_NS6detail17trampoline_kernelINS0_14default_configENS1_27scan_by_key_config_selectorIxxEEZZNS1_16scan_by_key_implILNS1_25lookback_scan_determinismE0ELb1ES3_N6thrust23THRUST_200600_302600_NS6detail15normal_iteratorINS9_10device_ptrIxEEEESE_SE_xNS9_10multipliesIxEENS9_8equal_toIxEExEE10hipError_tPvRmT2_T3_T4_T5_mT6_T7_P12ihipStream_tbENKUlT_T0_E_clISt17integral_constantIbLb0EESY_IbLb1EEEEDaSU_SV_EUlSU_E_NS1_11comp_targetILNS1_3genE3ELNS1_11target_archE908ELNS1_3gpuE7ELNS1_3repE0EEENS1_30default_config_static_selectorELNS0_4arch9wavefront6targetE1EEEvT1_.kd
    .uniform_work_group_size: 1
    .uses_dynamic_stack: false
    .vgpr_count:     0
    .vgpr_spill_count: 0
    .wavefront_size: 64
  - .agpr_count:     0
    .args:
      - .offset:         0
        .size:           136
        .value_kind:     by_value
    .group_segment_fixed_size: 0
    .kernarg_segment_align: 8
    .kernarg_segment_size: 136
    .language:       OpenCL C
    .language_version:
      - 2
      - 0
    .max_flat_workgroup_size: 256
    .name:           _ZN7rocprim17ROCPRIM_400000_NS6detail17trampoline_kernelINS0_14default_configENS1_27scan_by_key_config_selectorIxxEEZZNS1_16scan_by_key_implILNS1_25lookback_scan_determinismE0ELb1ES3_N6thrust23THRUST_200600_302600_NS6detail15normal_iteratorINS9_10device_ptrIxEEEESE_SE_xNS9_10multipliesIxEENS9_8equal_toIxEExEE10hipError_tPvRmT2_T3_T4_T5_mT6_T7_P12ihipStream_tbENKUlT_T0_E_clISt17integral_constantIbLb0EESY_IbLb1EEEEDaSU_SV_EUlSU_E_NS1_11comp_targetILNS1_3genE2ELNS1_11target_archE906ELNS1_3gpuE6ELNS1_3repE0EEENS1_30default_config_static_selectorELNS0_4arch9wavefront6targetE1EEEvT1_
    .private_segment_fixed_size: 0
    .sgpr_count:     4
    .sgpr_spill_count: 0
    .symbol:         _ZN7rocprim17ROCPRIM_400000_NS6detail17trampoline_kernelINS0_14default_configENS1_27scan_by_key_config_selectorIxxEEZZNS1_16scan_by_key_implILNS1_25lookback_scan_determinismE0ELb1ES3_N6thrust23THRUST_200600_302600_NS6detail15normal_iteratorINS9_10device_ptrIxEEEESE_SE_xNS9_10multipliesIxEENS9_8equal_toIxEExEE10hipError_tPvRmT2_T3_T4_T5_mT6_T7_P12ihipStream_tbENKUlT_T0_E_clISt17integral_constantIbLb0EESY_IbLb1EEEEDaSU_SV_EUlSU_E_NS1_11comp_targetILNS1_3genE2ELNS1_11target_archE906ELNS1_3gpuE6ELNS1_3repE0EEENS1_30default_config_static_selectorELNS0_4arch9wavefront6targetE1EEEvT1_.kd
    .uniform_work_group_size: 1
    .uses_dynamic_stack: false
    .vgpr_count:     0
    .vgpr_spill_count: 0
    .wavefront_size: 64
  - .agpr_count:     0
    .args:
      - .offset:         0
        .size:           136
        .value_kind:     by_value
    .group_segment_fixed_size: 0
    .kernarg_segment_align: 8
    .kernarg_segment_size: 136
    .language:       OpenCL C
    .language_version:
      - 2
      - 0
    .max_flat_workgroup_size: 256
    .name:           _ZN7rocprim17ROCPRIM_400000_NS6detail17trampoline_kernelINS0_14default_configENS1_27scan_by_key_config_selectorIxxEEZZNS1_16scan_by_key_implILNS1_25lookback_scan_determinismE0ELb1ES3_N6thrust23THRUST_200600_302600_NS6detail15normal_iteratorINS9_10device_ptrIxEEEESE_SE_xNS9_10multipliesIxEENS9_8equal_toIxEExEE10hipError_tPvRmT2_T3_T4_T5_mT6_T7_P12ihipStream_tbENKUlT_T0_E_clISt17integral_constantIbLb0EESY_IbLb1EEEEDaSU_SV_EUlSU_E_NS1_11comp_targetILNS1_3genE10ELNS1_11target_archE1200ELNS1_3gpuE4ELNS1_3repE0EEENS1_30default_config_static_selectorELNS0_4arch9wavefront6targetE1EEEvT1_
    .private_segment_fixed_size: 0
    .sgpr_count:     4
    .sgpr_spill_count: 0
    .symbol:         _ZN7rocprim17ROCPRIM_400000_NS6detail17trampoline_kernelINS0_14default_configENS1_27scan_by_key_config_selectorIxxEEZZNS1_16scan_by_key_implILNS1_25lookback_scan_determinismE0ELb1ES3_N6thrust23THRUST_200600_302600_NS6detail15normal_iteratorINS9_10device_ptrIxEEEESE_SE_xNS9_10multipliesIxEENS9_8equal_toIxEExEE10hipError_tPvRmT2_T3_T4_T5_mT6_T7_P12ihipStream_tbENKUlT_T0_E_clISt17integral_constantIbLb0EESY_IbLb1EEEEDaSU_SV_EUlSU_E_NS1_11comp_targetILNS1_3genE10ELNS1_11target_archE1200ELNS1_3gpuE4ELNS1_3repE0EEENS1_30default_config_static_selectorELNS0_4arch9wavefront6targetE1EEEvT1_.kd
    .uniform_work_group_size: 1
    .uses_dynamic_stack: false
    .vgpr_count:     0
    .vgpr_spill_count: 0
    .wavefront_size: 64
  - .agpr_count:     0
    .args:
      - .offset:         0
        .size:           136
        .value_kind:     by_value
    .group_segment_fixed_size: 0
    .kernarg_segment_align: 8
    .kernarg_segment_size: 136
    .language:       OpenCL C
    .language_version:
      - 2
      - 0
    .max_flat_workgroup_size: 256
    .name:           _ZN7rocprim17ROCPRIM_400000_NS6detail17trampoline_kernelINS0_14default_configENS1_27scan_by_key_config_selectorIxxEEZZNS1_16scan_by_key_implILNS1_25lookback_scan_determinismE0ELb1ES3_N6thrust23THRUST_200600_302600_NS6detail15normal_iteratorINS9_10device_ptrIxEEEESE_SE_xNS9_10multipliesIxEENS9_8equal_toIxEExEE10hipError_tPvRmT2_T3_T4_T5_mT6_T7_P12ihipStream_tbENKUlT_T0_E_clISt17integral_constantIbLb0EESY_IbLb1EEEEDaSU_SV_EUlSU_E_NS1_11comp_targetILNS1_3genE9ELNS1_11target_archE1100ELNS1_3gpuE3ELNS1_3repE0EEENS1_30default_config_static_selectorELNS0_4arch9wavefront6targetE1EEEvT1_
    .private_segment_fixed_size: 0
    .sgpr_count:     4
    .sgpr_spill_count: 0
    .symbol:         _ZN7rocprim17ROCPRIM_400000_NS6detail17trampoline_kernelINS0_14default_configENS1_27scan_by_key_config_selectorIxxEEZZNS1_16scan_by_key_implILNS1_25lookback_scan_determinismE0ELb1ES3_N6thrust23THRUST_200600_302600_NS6detail15normal_iteratorINS9_10device_ptrIxEEEESE_SE_xNS9_10multipliesIxEENS9_8equal_toIxEExEE10hipError_tPvRmT2_T3_T4_T5_mT6_T7_P12ihipStream_tbENKUlT_T0_E_clISt17integral_constantIbLb0EESY_IbLb1EEEEDaSU_SV_EUlSU_E_NS1_11comp_targetILNS1_3genE9ELNS1_11target_archE1100ELNS1_3gpuE3ELNS1_3repE0EEENS1_30default_config_static_selectorELNS0_4arch9wavefront6targetE1EEEvT1_.kd
    .uniform_work_group_size: 1
    .uses_dynamic_stack: false
    .vgpr_count:     0
    .vgpr_spill_count: 0
    .wavefront_size: 64
  - .agpr_count:     0
    .args:
      - .offset:         0
        .size:           136
        .value_kind:     by_value
    .group_segment_fixed_size: 0
    .kernarg_segment_align: 8
    .kernarg_segment_size: 136
    .language:       OpenCL C
    .language_version:
      - 2
      - 0
    .max_flat_workgroup_size: 256
    .name:           _ZN7rocprim17ROCPRIM_400000_NS6detail17trampoline_kernelINS0_14default_configENS1_27scan_by_key_config_selectorIxxEEZZNS1_16scan_by_key_implILNS1_25lookback_scan_determinismE0ELb1ES3_N6thrust23THRUST_200600_302600_NS6detail15normal_iteratorINS9_10device_ptrIxEEEESE_SE_xNS9_10multipliesIxEENS9_8equal_toIxEExEE10hipError_tPvRmT2_T3_T4_T5_mT6_T7_P12ihipStream_tbENKUlT_T0_E_clISt17integral_constantIbLb0EESY_IbLb1EEEEDaSU_SV_EUlSU_E_NS1_11comp_targetILNS1_3genE8ELNS1_11target_archE1030ELNS1_3gpuE2ELNS1_3repE0EEENS1_30default_config_static_selectorELNS0_4arch9wavefront6targetE1EEEvT1_
    .private_segment_fixed_size: 0
    .sgpr_count:     4
    .sgpr_spill_count: 0
    .symbol:         _ZN7rocprim17ROCPRIM_400000_NS6detail17trampoline_kernelINS0_14default_configENS1_27scan_by_key_config_selectorIxxEEZZNS1_16scan_by_key_implILNS1_25lookback_scan_determinismE0ELb1ES3_N6thrust23THRUST_200600_302600_NS6detail15normal_iteratorINS9_10device_ptrIxEEEESE_SE_xNS9_10multipliesIxEENS9_8equal_toIxEExEE10hipError_tPvRmT2_T3_T4_T5_mT6_T7_P12ihipStream_tbENKUlT_T0_E_clISt17integral_constantIbLb0EESY_IbLb1EEEEDaSU_SV_EUlSU_E_NS1_11comp_targetILNS1_3genE8ELNS1_11target_archE1030ELNS1_3gpuE2ELNS1_3repE0EEENS1_30default_config_static_selectorELNS0_4arch9wavefront6targetE1EEEvT1_.kd
    .uniform_work_group_size: 1
    .uses_dynamic_stack: false
    .vgpr_count:     0
    .vgpr_spill_count: 0
    .wavefront_size: 64
  - .agpr_count:     0
    .args:
      - .offset:         0
        .size:           136
        .value_kind:     by_value
    .group_segment_fixed_size: 0
    .kernarg_segment_align: 8
    .kernarg_segment_size: 136
    .language:       OpenCL C
    .language_version:
      - 2
      - 0
    .max_flat_workgroup_size: 256
    .name:           _ZN7rocprim17ROCPRIM_400000_NS6detail17trampoline_kernelINS0_14default_configENS1_27scan_by_key_config_selectorIxxEEZZNS1_16scan_by_key_implILNS1_25lookback_scan_determinismE0ELb1ES3_N6thrust23THRUST_200600_302600_NS6detail15normal_iteratorINS9_10device_ptrIxEEEESE_SE_xNS9_4plusIvEENS9_8equal_toIxEExEE10hipError_tPvRmT2_T3_T4_T5_mT6_T7_P12ihipStream_tbENKUlT_T0_E_clISt17integral_constantIbLb0EESZ_EEDaSU_SV_EUlSU_E_NS1_11comp_targetILNS1_3genE0ELNS1_11target_archE4294967295ELNS1_3gpuE0ELNS1_3repE0EEENS1_30default_config_static_selectorELNS0_4arch9wavefront6targetE1EEEvT1_
    .private_segment_fixed_size: 0
    .sgpr_count:     4
    .sgpr_spill_count: 0
    .symbol:         _ZN7rocprim17ROCPRIM_400000_NS6detail17trampoline_kernelINS0_14default_configENS1_27scan_by_key_config_selectorIxxEEZZNS1_16scan_by_key_implILNS1_25lookback_scan_determinismE0ELb1ES3_N6thrust23THRUST_200600_302600_NS6detail15normal_iteratorINS9_10device_ptrIxEEEESE_SE_xNS9_4plusIvEENS9_8equal_toIxEExEE10hipError_tPvRmT2_T3_T4_T5_mT6_T7_P12ihipStream_tbENKUlT_T0_E_clISt17integral_constantIbLb0EESZ_EEDaSU_SV_EUlSU_E_NS1_11comp_targetILNS1_3genE0ELNS1_11target_archE4294967295ELNS1_3gpuE0ELNS1_3repE0EEENS1_30default_config_static_selectorELNS0_4arch9wavefront6targetE1EEEvT1_.kd
    .uniform_work_group_size: 1
    .uses_dynamic_stack: false
    .vgpr_count:     0
    .vgpr_spill_count: 0
    .wavefront_size: 64
  - .agpr_count:     0
    .args:
      - .offset:         0
        .size:           136
        .value_kind:     by_value
    .group_segment_fixed_size: 0
    .kernarg_segment_align: 8
    .kernarg_segment_size: 136
    .language:       OpenCL C
    .language_version:
      - 2
      - 0
    .max_flat_workgroup_size: 256
    .name:           _ZN7rocprim17ROCPRIM_400000_NS6detail17trampoline_kernelINS0_14default_configENS1_27scan_by_key_config_selectorIxxEEZZNS1_16scan_by_key_implILNS1_25lookback_scan_determinismE0ELb1ES3_N6thrust23THRUST_200600_302600_NS6detail15normal_iteratorINS9_10device_ptrIxEEEESE_SE_xNS9_4plusIvEENS9_8equal_toIxEExEE10hipError_tPvRmT2_T3_T4_T5_mT6_T7_P12ihipStream_tbENKUlT_T0_E_clISt17integral_constantIbLb0EESZ_EEDaSU_SV_EUlSU_E_NS1_11comp_targetILNS1_3genE10ELNS1_11target_archE1201ELNS1_3gpuE5ELNS1_3repE0EEENS1_30default_config_static_selectorELNS0_4arch9wavefront6targetE1EEEvT1_
    .private_segment_fixed_size: 0
    .sgpr_count:     4
    .sgpr_spill_count: 0
    .symbol:         _ZN7rocprim17ROCPRIM_400000_NS6detail17trampoline_kernelINS0_14default_configENS1_27scan_by_key_config_selectorIxxEEZZNS1_16scan_by_key_implILNS1_25lookback_scan_determinismE0ELb1ES3_N6thrust23THRUST_200600_302600_NS6detail15normal_iteratorINS9_10device_ptrIxEEEESE_SE_xNS9_4plusIvEENS9_8equal_toIxEExEE10hipError_tPvRmT2_T3_T4_T5_mT6_T7_P12ihipStream_tbENKUlT_T0_E_clISt17integral_constantIbLb0EESZ_EEDaSU_SV_EUlSU_E_NS1_11comp_targetILNS1_3genE10ELNS1_11target_archE1201ELNS1_3gpuE5ELNS1_3repE0EEENS1_30default_config_static_selectorELNS0_4arch9wavefront6targetE1EEEvT1_.kd
    .uniform_work_group_size: 1
    .uses_dynamic_stack: false
    .vgpr_count:     0
    .vgpr_spill_count: 0
    .wavefront_size: 64
  - .agpr_count:     0
    .args:
      - .offset:         0
        .size:           136
        .value_kind:     by_value
    .group_segment_fixed_size: 0
    .kernarg_segment_align: 8
    .kernarg_segment_size: 136
    .language:       OpenCL C
    .language_version:
      - 2
      - 0
    .max_flat_workgroup_size: 256
    .name:           _ZN7rocprim17ROCPRIM_400000_NS6detail17trampoline_kernelINS0_14default_configENS1_27scan_by_key_config_selectorIxxEEZZNS1_16scan_by_key_implILNS1_25lookback_scan_determinismE0ELb1ES3_N6thrust23THRUST_200600_302600_NS6detail15normal_iteratorINS9_10device_ptrIxEEEESE_SE_xNS9_4plusIvEENS9_8equal_toIxEExEE10hipError_tPvRmT2_T3_T4_T5_mT6_T7_P12ihipStream_tbENKUlT_T0_E_clISt17integral_constantIbLb0EESZ_EEDaSU_SV_EUlSU_E_NS1_11comp_targetILNS1_3genE5ELNS1_11target_archE942ELNS1_3gpuE9ELNS1_3repE0EEENS1_30default_config_static_selectorELNS0_4arch9wavefront6targetE1EEEvT1_
    .private_segment_fixed_size: 0
    .sgpr_count:     4
    .sgpr_spill_count: 0
    .symbol:         _ZN7rocprim17ROCPRIM_400000_NS6detail17trampoline_kernelINS0_14default_configENS1_27scan_by_key_config_selectorIxxEEZZNS1_16scan_by_key_implILNS1_25lookback_scan_determinismE0ELb1ES3_N6thrust23THRUST_200600_302600_NS6detail15normal_iteratorINS9_10device_ptrIxEEEESE_SE_xNS9_4plusIvEENS9_8equal_toIxEExEE10hipError_tPvRmT2_T3_T4_T5_mT6_T7_P12ihipStream_tbENKUlT_T0_E_clISt17integral_constantIbLb0EESZ_EEDaSU_SV_EUlSU_E_NS1_11comp_targetILNS1_3genE5ELNS1_11target_archE942ELNS1_3gpuE9ELNS1_3repE0EEENS1_30default_config_static_selectorELNS0_4arch9wavefront6targetE1EEEvT1_.kd
    .uniform_work_group_size: 1
    .uses_dynamic_stack: false
    .vgpr_count:     0
    .vgpr_spill_count: 0
    .wavefront_size: 64
  - .agpr_count:     0
    .args:
      - .offset:         0
        .size:           136
        .value_kind:     by_value
    .group_segment_fixed_size: 10752
    .kernarg_segment_align: 8
    .kernarg_segment_size: 136
    .language:       OpenCL C
    .language_version:
      - 2
      - 0
    .max_flat_workgroup_size: 64
    .name:           _ZN7rocprim17ROCPRIM_400000_NS6detail17trampoline_kernelINS0_14default_configENS1_27scan_by_key_config_selectorIxxEEZZNS1_16scan_by_key_implILNS1_25lookback_scan_determinismE0ELb1ES3_N6thrust23THRUST_200600_302600_NS6detail15normal_iteratorINS9_10device_ptrIxEEEESE_SE_xNS9_4plusIvEENS9_8equal_toIxEExEE10hipError_tPvRmT2_T3_T4_T5_mT6_T7_P12ihipStream_tbENKUlT_T0_E_clISt17integral_constantIbLb0EESZ_EEDaSU_SV_EUlSU_E_NS1_11comp_targetILNS1_3genE4ELNS1_11target_archE910ELNS1_3gpuE8ELNS1_3repE0EEENS1_30default_config_static_selectorELNS0_4arch9wavefront6targetE1EEEvT1_
    .private_segment_fixed_size: 0
    .sgpr_count:     77
    .sgpr_spill_count: 0
    .symbol:         _ZN7rocprim17ROCPRIM_400000_NS6detail17trampoline_kernelINS0_14default_configENS1_27scan_by_key_config_selectorIxxEEZZNS1_16scan_by_key_implILNS1_25lookback_scan_determinismE0ELb1ES3_N6thrust23THRUST_200600_302600_NS6detail15normal_iteratorINS9_10device_ptrIxEEEESE_SE_xNS9_4plusIvEENS9_8equal_toIxEExEE10hipError_tPvRmT2_T3_T4_T5_mT6_T7_P12ihipStream_tbENKUlT_T0_E_clISt17integral_constantIbLb0EESZ_EEDaSU_SV_EUlSU_E_NS1_11comp_targetILNS1_3genE4ELNS1_11target_archE910ELNS1_3gpuE8ELNS1_3repE0EEENS1_30default_config_static_selectorELNS0_4arch9wavefront6targetE1EEEvT1_.kd
    .uniform_work_group_size: 1
    .uses_dynamic_stack: false
    .vgpr_count:     117
    .vgpr_spill_count: 0
    .wavefront_size: 64
  - .agpr_count:     0
    .args:
      - .offset:         0
        .size:           136
        .value_kind:     by_value
    .group_segment_fixed_size: 0
    .kernarg_segment_align: 8
    .kernarg_segment_size: 136
    .language:       OpenCL C
    .language_version:
      - 2
      - 0
    .max_flat_workgroup_size: 256
    .name:           _ZN7rocprim17ROCPRIM_400000_NS6detail17trampoline_kernelINS0_14default_configENS1_27scan_by_key_config_selectorIxxEEZZNS1_16scan_by_key_implILNS1_25lookback_scan_determinismE0ELb1ES3_N6thrust23THRUST_200600_302600_NS6detail15normal_iteratorINS9_10device_ptrIxEEEESE_SE_xNS9_4plusIvEENS9_8equal_toIxEExEE10hipError_tPvRmT2_T3_T4_T5_mT6_T7_P12ihipStream_tbENKUlT_T0_E_clISt17integral_constantIbLb0EESZ_EEDaSU_SV_EUlSU_E_NS1_11comp_targetILNS1_3genE3ELNS1_11target_archE908ELNS1_3gpuE7ELNS1_3repE0EEENS1_30default_config_static_selectorELNS0_4arch9wavefront6targetE1EEEvT1_
    .private_segment_fixed_size: 0
    .sgpr_count:     4
    .sgpr_spill_count: 0
    .symbol:         _ZN7rocprim17ROCPRIM_400000_NS6detail17trampoline_kernelINS0_14default_configENS1_27scan_by_key_config_selectorIxxEEZZNS1_16scan_by_key_implILNS1_25lookback_scan_determinismE0ELb1ES3_N6thrust23THRUST_200600_302600_NS6detail15normal_iteratorINS9_10device_ptrIxEEEESE_SE_xNS9_4plusIvEENS9_8equal_toIxEExEE10hipError_tPvRmT2_T3_T4_T5_mT6_T7_P12ihipStream_tbENKUlT_T0_E_clISt17integral_constantIbLb0EESZ_EEDaSU_SV_EUlSU_E_NS1_11comp_targetILNS1_3genE3ELNS1_11target_archE908ELNS1_3gpuE7ELNS1_3repE0EEENS1_30default_config_static_selectorELNS0_4arch9wavefront6targetE1EEEvT1_.kd
    .uniform_work_group_size: 1
    .uses_dynamic_stack: false
    .vgpr_count:     0
    .vgpr_spill_count: 0
    .wavefront_size: 64
  - .agpr_count:     0
    .args:
      - .offset:         0
        .size:           136
        .value_kind:     by_value
    .group_segment_fixed_size: 0
    .kernarg_segment_align: 8
    .kernarg_segment_size: 136
    .language:       OpenCL C
    .language_version:
      - 2
      - 0
    .max_flat_workgroup_size: 256
    .name:           _ZN7rocprim17ROCPRIM_400000_NS6detail17trampoline_kernelINS0_14default_configENS1_27scan_by_key_config_selectorIxxEEZZNS1_16scan_by_key_implILNS1_25lookback_scan_determinismE0ELb1ES3_N6thrust23THRUST_200600_302600_NS6detail15normal_iteratorINS9_10device_ptrIxEEEESE_SE_xNS9_4plusIvEENS9_8equal_toIxEExEE10hipError_tPvRmT2_T3_T4_T5_mT6_T7_P12ihipStream_tbENKUlT_T0_E_clISt17integral_constantIbLb0EESZ_EEDaSU_SV_EUlSU_E_NS1_11comp_targetILNS1_3genE2ELNS1_11target_archE906ELNS1_3gpuE6ELNS1_3repE0EEENS1_30default_config_static_selectorELNS0_4arch9wavefront6targetE1EEEvT1_
    .private_segment_fixed_size: 0
    .sgpr_count:     4
    .sgpr_spill_count: 0
    .symbol:         _ZN7rocprim17ROCPRIM_400000_NS6detail17trampoline_kernelINS0_14default_configENS1_27scan_by_key_config_selectorIxxEEZZNS1_16scan_by_key_implILNS1_25lookback_scan_determinismE0ELb1ES3_N6thrust23THRUST_200600_302600_NS6detail15normal_iteratorINS9_10device_ptrIxEEEESE_SE_xNS9_4plusIvEENS9_8equal_toIxEExEE10hipError_tPvRmT2_T3_T4_T5_mT6_T7_P12ihipStream_tbENKUlT_T0_E_clISt17integral_constantIbLb0EESZ_EEDaSU_SV_EUlSU_E_NS1_11comp_targetILNS1_3genE2ELNS1_11target_archE906ELNS1_3gpuE6ELNS1_3repE0EEENS1_30default_config_static_selectorELNS0_4arch9wavefront6targetE1EEEvT1_.kd
    .uniform_work_group_size: 1
    .uses_dynamic_stack: false
    .vgpr_count:     0
    .vgpr_spill_count: 0
    .wavefront_size: 64
  - .agpr_count:     0
    .args:
      - .offset:         0
        .size:           136
        .value_kind:     by_value
    .group_segment_fixed_size: 0
    .kernarg_segment_align: 8
    .kernarg_segment_size: 136
    .language:       OpenCL C
    .language_version:
      - 2
      - 0
    .max_flat_workgroup_size: 256
    .name:           _ZN7rocprim17ROCPRIM_400000_NS6detail17trampoline_kernelINS0_14default_configENS1_27scan_by_key_config_selectorIxxEEZZNS1_16scan_by_key_implILNS1_25lookback_scan_determinismE0ELb1ES3_N6thrust23THRUST_200600_302600_NS6detail15normal_iteratorINS9_10device_ptrIxEEEESE_SE_xNS9_4plusIvEENS9_8equal_toIxEExEE10hipError_tPvRmT2_T3_T4_T5_mT6_T7_P12ihipStream_tbENKUlT_T0_E_clISt17integral_constantIbLb0EESZ_EEDaSU_SV_EUlSU_E_NS1_11comp_targetILNS1_3genE10ELNS1_11target_archE1200ELNS1_3gpuE4ELNS1_3repE0EEENS1_30default_config_static_selectorELNS0_4arch9wavefront6targetE1EEEvT1_
    .private_segment_fixed_size: 0
    .sgpr_count:     4
    .sgpr_spill_count: 0
    .symbol:         _ZN7rocprim17ROCPRIM_400000_NS6detail17trampoline_kernelINS0_14default_configENS1_27scan_by_key_config_selectorIxxEEZZNS1_16scan_by_key_implILNS1_25lookback_scan_determinismE0ELb1ES3_N6thrust23THRUST_200600_302600_NS6detail15normal_iteratorINS9_10device_ptrIxEEEESE_SE_xNS9_4plusIvEENS9_8equal_toIxEExEE10hipError_tPvRmT2_T3_T4_T5_mT6_T7_P12ihipStream_tbENKUlT_T0_E_clISt17integral_constantIbLb0EESZ_EEDaSU_SV_EUlSU_E_NS1_11comp_targetILNS1_3genE10ELNS1_11target_archE1200ELNS1_3gpuE4ELNS1_3repE0EEENS1_30default_config_static_selectorELNS0_4arch9wavefront6targetE1EEEvT1_.kd
    .uniform_work_group_size: 1
    .uses_dynamic_stack: false
    .vgpr_count:     0
    .vgpr_spill_count: 0
    .wavefront_size: 64
  - .agpr_count:     0
    .args:
      - .offset:         0
        .size:           136
        .value_kind:     by_value
    .group_segment_fixed_size: 0
    .kernarg_segment_align: 8
    .kernarg_segment_size: 136
    .language:       OpenCL C
    .language_version:
      - 2
      - 0
    .max_flat_workgroup_size: 256
    .name:           _ZN7rocprim17ROCPRIM_400000_NS6detail17trampoline_kernelINS0_14default_configENS1_27scan_by_key_config_selectorIxxEEZZNS1_16scan_by_key_implILNS1_25lookback_scan_determinismE0ELb1ES3_N6thrust23THRUST_200600_302600_NS6detail15normal_iteratorINS9_10device_ptrIxEEEESE_SE_xNS9_4plusIvEENS9_8equal_toIxEExEE10hipError_tPvRmT2_T3_T4_T5_mT6_T7_P12ihipStream_tbENKUlT_T0_E_clISt17integral_constantIbLb0EESZ_EEDaSU_SV_EUlSU_E_NS1_11comp_targetILNS1_3genE9ELNS1_11target_archE1100ELNS1_3gpuE3ELNS1_3repE0EEENS1_30default_config_static_selectorELNS0_4arch9wavefront6targetE1EEEvT1_
    .private_segment_fixed_size: 0
    .sgpr_count:     4
    .sgpr_spill_count: 0
    .symbol:         _ZN7rocprim17ROCPRIM_400000_NS6detail17trampoline_kernelINS0_14default_configENS1_27scan_by_key_config_selectorIxxEEZZNS1_16scan_by_key_implILNS1_25lookback_scan_determinismE0ELb1ES3_N6thrust23THRUST_200600_302600_NS6detail15normal_iteratorINS9_10device_ptrIxEEEESE_SE_xNS9_4plusIvEENS9_8equal_toIxEExEE10hipError_tPvRmT2_T3_T4_T5_mT6_T7_P12ihipStream_tbENKUlT_T0_E_clISt17integral_constantIbLb0EESZ_EEDaSU_SV_EUlSU_E_NS1_11comp_targetILNS1_3genE9ELNS1_11target_archE1100ELNS1_3gpuE3ELNS1_3repE0EEENS1_30default_config_static_selectorELNS0_4arch9wavefront6targetE1EEEvT1_.kd
    .uniform_work_group_size: 1
    .uses_dynamic_stack: false
    .vgpr_count:     0
    .vgpr_spill_count: 0
    .wavefront_size: 64
  - .agpr_count:     0
    .args:
      - .offset:         0
        .size:           136
        .value_kind:     by_value
    .group_segment_fixed_size: 0
    .kernarg_segment_align: 8
    .kernarg_segment_size: 136
    .language:       OpenCL C
    .language_version:
      - 2
      - 0
    .max_flat_workgroup_size: 256
    .name:           _ZN7rocprim17ROCPRIM_400000_NS6detail17trampoline_kernelINS0_14default_configENS1_27scan_by_key_config_selectorIxxEEZZNS1_16scan_by_key_implILNS1_25lookback_scan_determinismE0ELb1ES3_N6thrust23THRUST_200600_302600_NS6detail15normal_iteratorINS9_10device_ptrIxEEEESE_SE_xNS9_4plusIvEENS9_8equal_toIxEExEE10hipError_tPvRmT2_T3_T4_T5_mT6_T7_P12ihipStream_tbENKUlT_T0_E_clISt17integral_constantIbLb0EESZ_EEDaSU_SV_EUlSU_E_NS1_11comp_targetILNS1_3genE8ELNS1_11target_archE1030ELNS1_3gpuE2ELNS1_3repE0EEENS1_30default_config_static_selectorELNS0_4arch9wavefront6targetE1EEEvT1_
    .private_segment_fixed_size: 0
    .sgpr_count:     4
    .sgpr_spill_count: 0
    .symbol:         _ZN7rocprim17ROCPRIM_400000_NS6detail17trampoline_kernelINS0_14default_configENS1_27scan_by_key_config_selectorIxxEEZZNS1_16scan_by_key_implILNS1_25lookback_scan_determinismE0ELb1ES3_N6thrust23THRUST_200600_302600_NS6detail15normal_iteratorINS9_10device_ptrIxEEEESE_SE_xNS9_4plusIvEENS9_8equal_toIxEExEE10hipError_tPvRmT2_T3_T4_T5_mT6_T7_P12ihipStream_tbENKUlT_T0_E_clISt17integral_constantIbLb0EESZ_EEDaSU_SV_EUlSU_E_NS1_11comp_targetILNS1_3genE8ELNS1_11target_archE1030ELNS1_3gpuE2ELNS1_3repE0EEENS1_30default_config_static_selectorELNS0_4arch9wavefront6targetE1EEEvT1_.kd
    .uniform_work_group_size: 1
    .uses_dynamic_stack: false
    .vgpr_count:     0
    .vgpr_spill_count: 0
    .wavefront_size: 64
  - .agpr_count:     0
    .args:
      - .offset:         0
        .size:           136
        .value_kind:     by_value
    .group_segment_fixed_size: 0
    .kernarg_segment_align: 8
    .kernarg_segment_size: 136
    .language:       OpenCL C
    .language_version:
      - 2
      - 0
    .max_flat_workgroup_size: 256
    .name:           _ZN7rocprim17ROCPRIM_400000_NS6detail17trampoline_kernelINS0_14default_configENS1_27scan_by_key_config_selectorIxxEEZZNS1_16scan_by_key_implILNS1_25lookback_scan_determinismE0ELb1ES3_N6thrust23THRUST_200600_302600_NS6detail15normal_iteratorINS9_10device_ptrIxEEEESE_SE_xNS9_4plusIvEENS9_8equal_toIxEExEE10hipError_tPvRmT2_T3_T4_T5_mT6_T7_P12ihipStream_tbENKUlT_T0_E_clISt17integral_constantIbLb1EESZ_EEDaSU_SV_EUlSU_E_NS1_11comp_targetILNS1_3genE0ELNS1_11target_archE4294967295ELNS1_3gpuE0ELNS1_3repE0EEENS1_30default_config_static_selectorELNS0_4arch9wavefront6targetE1EEEvT1_
    .private_segment_fixed_size: 0
    .sgpr_count:     4
    .sgpr_spill_count: 0
    .symbol:         _ZN7rocprim17ROCPRIM_400000_NS6detail17trampoline_kernelINS0_14default_configENS1_27scan_by_key_config_selectorIxxEEZZNS1_16scan_by_key_implILNS1_25lookback_scan_determinismE0ELb1ES3_N6thrust23THRUST_200600_302600_NS6detail15normal_iteratorINS9_10device_ptrIxEEEESE_SE_xNS9_4plusIvEENS9_8equal_toIxEExEE10hipError_tPvRmT2_T3_T4_T5_mT6_T7_P12ihipStream_tbENKUlT_T0_E_clISt17integral_constantIbLb1EESZ_EEDaSU_SV_EUlSU_E_NS1_11comp_targetILNS1_3genE0ELNS1_11target_archE4294967295ELNS1_3gpuE0ELNS1_3repE0EEENS1_30default_config_static_selectorELNS0_4arch9wavefront6targetE1EEEvT1_.kd
    .uniform_work_group_size: 1
    .uses_dynamic_stack: false
    .vgpr_count:     0
    .vgpr_spill_count: 0
    .wavefront_size: 64
  - .agpr_count:     0
    .args:
      - .offset:         0
        .size:           136
        .value_kind:     by_value
    .group_segment_fixed_size: 0
    .kernarg_segment_align: 8
    .kernarg_segment_size: 136
    .language:       OpenCL C
    .language_version:
      - 2
      - 0
    .max_flat_workgroup_size: 256
    .name:           _ZN7rocprim17ROCPRIM_400000_NS6detail17trampoline_kernelINS0_14default_configENS1_27scan_by_key_config_selectorIxxEEZZNS1_16scan_by_key_implILNS1_25lookback_scan_determinismE0ELb1ES3_N6thrust23THRUST_200600_302600_NS6detail15normal_iteratorINS9_10device_ptrIxEEEESE_SE_xNS9_4plusIvEENS9_8equal_toIxEExEE10hipError_tPvRmT2_T3_T4_T5_mT6_T7_P12ihipStream_tbENKUlT_T0_E_clISt17integral_constantIbLb1EESZ_EEDaSU_SV_EUlSU_E_NS1_11comp_targetILNS1_3genE10ELNS1_11target_archE1201ELNS1_3gpuE5ELNS1_3repE0EEENS1_30default_config_static_selectorELNS0_4arch9wavefront6targetE1EEEvT1_
    .private_segment_fixed_size: 0
    .sgpr_count:     4
    .sgpr_spill_count: 0
    .symbol:         _ZN7rocprim17ROCPRIM_400000_NS6detail17trampoline_kernelINS0_14default_configENS1_27scan_by_key_config_selectorIxxEEZZNS1_16scan_by_key_implILNS1_25lookback_scan_determinismE0ELb1ES3_N6thrust23THRUST_200600_302600_NS6detail15normal_iteratorINS9_10device_ptrIxEEEESE_SE_xNS9_4plusIvEENS9_8equal_toIxEExEE10hipError_tPvRmT2_T3_T4_T5_mT6_T7_P12ihipStream_tbENKUlT_T0_E_clISt17integral_constantIbLb1EESZ_EEDaSU_SV_EUlSU_E_NS1_11comp_targetILNS1_3genE10ELNS1_11target_archE1201ELNS1_3gpuE5ELNS1_3repE0EEENS1_30default_config_static_selectorELNS0_4arch9wavefront6targetE1EEEvT1_.kd
    .uniform_work_group_size: 1
    .uses_dynamic_stack: false
    .vgpr_count:     0
    .vgpr_spill_count: 0
    .wavefront_size: 64
  - .agpr_count:     0
    .args:
      - .offset:         0
        .size:           136
        .value_kind:     by_value
    .group_segment_fixed_size: 0
    .kernarg_segment_align: 8
    .kernarg_segment_size: 136
    .language:       OpenCL C
    .language_version:
      - 2
      - 0
    .max_flat_workgroup_size: 256
    .name:           _ZN7rocprim17ROCPRIM_400000_NS6detail17trampoline_kernelINS0_14default_configENS1_27scan_by_key_config_selectorIxxEEZZNS1_16scan_by_key_implILNS1_25lookback_scan_determinismE0ELb1ES3_N6thrust23THRUST_200600_302600_NS6detail15normal_iteratorINS9_10device_ptrIxEEEESE_SE_xNS9_4plusIvEENS9_8equal_toIxEExEE10hipError_tPvRmT2_T3_T4_T5_mT6_T7_P12ihipStream_tbENKUlT_T0_E_clISt17integral_constantIbLb1EESZ_EEDaSU_SV_EUlSU_E_NS1_11comp_targetILNS1_3genE5ELNS1_11target_archE942ELNS1_3gpuE9ELNS1_3repE0EEENS1_30default_config_static_selectorELNS0_4arch9wavefront6targetE1EEEvT1_
    .private_segment_fixed_size: 0
    .sgpr_count:     4
    .sgpr_spill_count: 0
    .symbol:         _ZN7rocprim17ROCPRIM_400000_NS6detail17trampoline_kernelINS0_14default_configENS1_27scan_by_key_config_selectorIxxEEZZNS1_16scan_by_key_implILNS1_25lookback_scan_determinismE0ELb1ES3_N6thrust23THRUST_200600_302600_NS6detail15normal_iteratorINS9_10device_ptrIxEEEESE_SE_xNS9_4plusIvEENS9_8equal_toIxEExEE10hipError_tPvRmT2_T3_T4_T5_mT6_T7_P12ihipStream_tbENKUlT_T0_E_clISt17integral_constantIbLb1EESZ_EEDaSU_SV_EUlSU_E_NS1_11comp_targetILNS1_3genE5ELNS1_11target_archE942ELNS1_3gpuE9ELNS1_3repE0EEENS1_30default_config_static_selectorELNS0_4arch9wavefront6targetE1EEEvT1_.kd
    .uniform_work_group_size: 1
    .uses_dynamic_stack: false
    .vgpr_count:     0
    .vgpr_spill_count: 0
    .wavefront_size: 64
  - .agpr_count:     0
    .args:
      - .offset:         0
        .size:           136
        .value_kind:     by_value
    .group_segment_fixed_size: 10752
    .kernarg_segment_align: 8
    .kernarg_segment_size: 136
    .language:       OpenCL C
    .language_version:
      - 2
      - 0
    .max_flat_workgroup_size: 64
    .name:           _ZN7rocprim17ROCPRIM_400000_NS6detail17trampoline_kernelINS0_14default_configENS1_27scan_by_key_config_selectorIxxEEZZNS1_16scan_by_key_implILNS1_25lookback_scan_determinismE0ELb1ES3_N6thrust23THRUST_200600_302600_NS6detail15normal_iteratorINS9_10device_ptrIxEEEESE_SE_xNS9_4plusIvEENS9_8equal_toIxEExEE10hipError_tPvRmT2_T3_T4_T5_mT6_T7_P12ihipStream_tbENKUlT_T0_E_clISt17integral_constantIbLb1EESZ_EEDaSU_SV_EUlSU_E_NS1_11comp_targetILNS1_3genE4ELNS1_11target_archE910ELNS1_3gpuE8ELNS1_3repE0EEENS1_30default_config_static_selectorELNS0_4arch9wavefront6targetE1EEEvT1_
    .private_segment_fixed_size: 0
    .sgpr_count:     74
    .sgpr_spill_count: 0
    .symbol:         _ZN7rocprim17ROCPRIM_400000_NS6detail17trampoline_kernelINS0_14default_configENS1_27scan_by_key_config_selectorIxxEEZZNS1_16scan_by_key_implILNS1_25lookback_scan_determinismE0ELb1ES3_N6thrust23THRUST_200600_302600_NS6detail15normal_iteratorINS9_10device_ptrIxEEEESE_SE_xNS9_4plusIvEENS9_8equal_toIxEExEE10hipError_tPvRmT2_T3_T4_T5_mT6_T7_P12ihipStream_tbENKUlT_T0_E_clISt17integral_constantIbLb1EESZ_EEDaSU_SV_EUlSU_E_NS1_11comp_targetILNS1_3genE4ELNS1_11target_archE910ELNS1_3gpuE8ELNS1_3repE0EEENS1_30default_config_static_selectorELNS0_4arch9wavefront6targetE1EEEvT1_.kd
    .uniform_work_group_size: 1
    .uses_dynamic_stack: false
    .vgpr_count:     119
    .vgpr_spill_count: 0
    .wavefront_size: 64
  - .agpr_count:     0
    .args:
      - .offset:         0
        .size:           136
        .value_kind:     by_value
    .group_segment_fixed_size: 0
    .kernarg_segment_align: 8
    .kernarg_segment_size: 136
    .language:       OpenCL C
    .language_version:
      - 2
      - 0
    .max_flat_workgroup_size: 256
    .name:           _ZN7rocprim17ROCPRIM_400000_NS6detail17trampoline_kernelINS0_14default_configENS1_27scan_by_key_config_selectorIxxEEZZNS1_16scan_by_key_implILNS1_25lookback_scan_determinismE0ELb1ES3_N6thrust23THRUST_200600_302600_NS6detail15normal_iteratorINS9_10device_ptrIxEEEESE_SE_xNS9_4plusIvEENS9_8equal_toIxEExEE10hipError_tPvRmT2_T3_T4_T5_mT6_T7_P12ihipStream_tbENKUlT_T0_E_clISt17integral_constantIbLb1EESZ_EEDaSU_SV_EUlSU_E_NS1_11comp_targetILNS1_3genE3ELNS1_11target_archE908ELNS1_3gpuE7ELNS1_3repE0EEENS1_30default_config_static_selectorELNS0_4arch9wavefront6targetE1EEEvT1_
    .private_segment_fixed_size: 0
    .sgpr_count:     4
    .sgpr_spill_count: 0
    .symbol:         _ZN7rocprim17ROCPRIM_400000_NS6detail17trampoline_kernelINS0_14default_configENS1_27scan_by_key_config_selectorIxxEEZZNS1_16scan_by_key_implILNS1_25lookback_scan_determinismE0ELb1ES3_N6thrust23THRUST_200600_302600_NS6detail15normal_iteratorINS9_10device_ptrIxEEEESE_SE_xNS9_4plusIvEENS9_8equal_toIxEExEE10hipError_tPvRmT2_T3_T4_T5_mT6_T7_P12ihipStream_tbENKUlT_T0_E_clISt17integral_constantIbLb1EESZ_EEDaSU_SV_EUlSU_E_NS1_11comp_targetILNS1_3genE3ELNS1_11target_archE908ELNS1_3gpuE7ELNS1_3repE0EEENS1_30default_config_static_selectorELNS0_4arch9wavefront6targetE1EEEvT1_.kd
    .uniform_work_group_size: 1
    .uses_dynamic_stack: false
    .vgpr_count:     0
    .vgpr_spill_count: 0
    .wavefront_size: 64
  - .agpr_count:     0
    .args:
      - .offset:         0
        .size:           136
        .value_kind:     by_value
    .group_segment_fixed_size: 0
    .kernarg_segment_align: 8
    .kernarg_segment_size: 136
    .language:       OpenCL C
    .language_version:
      - 2
      - 0
    .max_flat_workgroup_size: 256
    .name:           _ZN7rocprim17ROCPRIM_400000_NS6detail17trampoline_kernelINS0_14default_configENS1_27scan_by_key_config_selectorIxxEEZZNS1_16scan_by_key_implILNS1_25lookback_scan_determinismE0ELb1ES3_N6thrust23THRUST_200600_302600_NS6detail15normal_iteratorINS9_10device_ptrIxEEEESE_SE_xNS9_4plusIvEENS9_8equal_toIxEExEE10hipError_tPvRmT2_T3_T4_T5_mT6_T7_P12ihipStream_tbENKUlT_T0_E_clISt17integral_constantIbLb1EESZ_EEDaSU_SV_EUlSU_E_NS1_11comp_targetILNS1_3genE2ELNS1_11target_archE906ELNS1_3gpuE6ELNS1_3repE0EEENS1_30default_config_static_selectorELNS0_4arch9wavefront6targetE1EEEvT1_
    .private_segment_fixed_size: 0
    .sgpr_count:     4
    .sgpr_spill_count: 0
    .symbol:         _ZN7rocprim17ROCPRIM_400000_NS6detail17trampoline_kernelINS0_14default_configENS1_27scan_by_key_config_selectorIxxEEZZNS1_16scan_by_key_implILNS1_25lookback_scan_determinismE0ELb1ES3_N6thrust23THRUST_200600_302600_NS6detail15normal_iteratorINS9_10device_ptrIxEEEESE_SE_xNS9_4plusIvEENS9_8equal_toIxEExEE10hipError_tPvRmT2_T3_T4_T5_mT6_T7_P12ihipStream_tbENKUlT_T0_E_clISt17integral_constantIbLb1EESZ_EEDaSU_SV_EUlSU_E_NS1_11comp_targetILNS1_3genE2ELNS1_11target_archE906ELNS1_3gpuE6ELNS1_3repE0EEENS1_30default_config_static_selectorELNS0_4arch9wavefront6targetE1EEEvT1_.kd
    .uniform_work_group_size: 1
    .uses_dynamic_stack: false
    .vgpr_count:     0
    .vgpr_spill_count: 0
    .wavefront_size: 64
  - .agpr_count:     0
    .args:
      - .offset:         0
        .size:           136
        .value_kind:     by_value
    .group_segment_fixed_size: 0
    .kernarg_segment_align: 8
    .kernarg_segment_size: 136
    .language:       OpenCL C
    .language_version:
      - 2
      - 0
    .max_flat_workgroup_size: 256
    .name:           _ZN7rocprim17ROCPRIM_400000_NS6detail17trampoline_kernelINS0_14default_configENS1_27scan_by_key_config_selectorIxxEEZZNS1_16scan_by_key_implILNS1_25lookback_scan_determinismE0ELb1ES3_N6thrust23THRUST_200600_302600_NS6detail15normal_iteratorINS9_10device_ptrIxEEEESE_SE_xNS9_4plusIvEENS9_8equal_toIxEExEE10hipError_tPvRmT2_T3_T4_T5_mT6_T7_P12ihipStream_tbENKUlT_T0_E_clISt17integral_constantIbLb1EESZ_EEDaSU_SV_EUlSU_E_NS1_11comp_targetILNS1_3genE10ELNS1_11target_archE1200ELNS1_3gpuE4ELNS1_3repE0EEENS1_30default_config_static_selectorELNS0_4arch9wavefront6targetE1EEEvT1_
    .private_segment_fixed_size: 0
    .sgpr_count:     4
    .sgpr_spill_count: 0
    .symbol:         _ZN7rocprim17ROCPRIM_400000_NS6detail17trampoline_kernelINS0_14default_configENS1_27scan_by_key_config_selectorIxxEEZZNS1_16scan_by_key_implILNS1_25lookback_scan_determinismE0ELb1ES3_N6thrust23THRUST_200600_302600_NS6detail15normal_iteratorINS9_10device_ptrIxEEEESE_SE_xNS9_4plusIvEENS9_8equal_toIxEExEE10hipError_tPvRmT2_T3_T4_T5_mT6_T7_P12ihipStream_tbENKUlT_T0_E_clISt17integral_constantIbLb1EESZ_EEDaSU_SV_EUlSU_E_NS1_11comp_targetILNS1_3genE10ELNS1_11target_archE1200ELNS1_3gpuE4ELNS1_3repE0EEENS1_30default_config_static_selectorELNS0_4arch9wavefront6targetE1EEEvT1_.kd
    .uniform_work_group_size: 1
    .uses_dynamic_stack: false
    .vgpr_count:     0
    .vgpr_spill_count: 0
    .wavefront_size: 64
  - .agpr_count:     0
    .args:
      - .offset:         0
        .size:           136
        .value_kind:     by_value
    .group_segment_fixed_size: 0
    .kernarg_segment_align: 8
    .kernarg_segment_size: 136
    .language:       OpenCL C
    .language_version:
      - 2
      - 0
    .max_flat_workgroup_size: 256
    .name:           _ZN7rocprim17ROCPRIM_400000_NS6detail17trampoline_kernelINS0_14default_configENS1_27scan_by_key_config_selectorIxxEEZZNS1_16scan_by_key_implILNS1_25lookback_scan_determinismE0ELb1ES3_N6thrust23THRUST_200600_302600_NS6detail15normal_iteratorINS9_10device_ptrIxEEEESE_SE_xNS9_4plusIvEENS9_8equal_toIxEExEE10hipError_tPvRmT2_T3_T4_T5_mT6_T7_P12ihipStream_tbENKUlT_T0_E_clISt17integral_constantIbLb1EESZ_EEDaSU_SV_EUlSU_E_NS1_11comp_targetILNS1_3genE9ELNS1_11target_archE1100ELNS1_3gpuE3ELNS1_3repE0EEENS1_30default_config_static_selectorELNS0_4arch9wavefront6targetE1EEEvT1_
    .private_segment_fixed_size: 0
    .sgpr_count:     4
    .sgpr_spill_count: 0
    .symbol:         _ZN7rocprim17ROCPRIM_400000_NS6detail17trampoline_kernelINS0_14default_configENS1_27scan_by_key_config_selectorIxxEEZZNS1_16scan_by_key_implILNS1_25lookback_scan_determinismE0ELb1ES3_N6thrust23THRUST_200600_302600_NS6detail15normal_iteratorINS9_10device_ptrIxEEEESE_SE_xNS9_4plusIvEENS9_8equal_toIxEExEE10hipError_tPvRmT2_T3_T4_T5_mT6_T7_P12ihipStream_tbENKUlT_T0_E_clISt17integral_constantIbLb1EESZ_EEDaSU_SV_EUlSU_E_NS1_11comp_targetILNS1_3genE9ELNS1_11target_archE1100ELNS1_3gpuE3ELNS1_3repE0EEENS1_30default_config_static_selectorELNS0_4arch9wavefront6targetE1EEEvT1_.kd
    .uniform_work_group_size: 1
    .uses_dynamic_stack: false
    .vgpr_count:     0
    .vgpr_spill_count: 0
    .wavefront_size: 64
  - .agpr_count:     0
    .args:
      - .offset:         0
        .size:           136
        .value_kind:     by_value
    .group_segment_fixed_size: 0
    .kernarg_segment_align: 8
    .kernarg_segment_size: 136
    .language:       OpenCL C
    .language_version:
      - 2
      - 0
    .max_flat_workgroup_size: 256
    .name:           _ZN7rocprim17ROCPRIM_400000_NS6detail17trampoline_kernelINS0_14default_configENS1_27scan_by_key_config_selectorIxxEEZZNS1_16scan_by_key_implILNS1_25lookback_scan_determinismE0ELb1ES3_N6thrust23THRUST_200600_302600_NS6detail15normal_iteratorINS9_10device_ptrIxEEEESE_SE_xNS9_4plusIvEENS9_8equal_toIxEExEE10hipError_tPvRmT2_T3_T4_T5_mT6_T7_P12ihipStream_tbENKUlT_T0_E_clISt17integral_constantIbLb1EESZ_EEDaSU_SV_EUlSU_E_NS1_11comp_targetILNS1_3genE8ELNS1_11target_archE1030ELNS1_3gpuE2ELNS1_3repE0EEENS1_30default_config_static_selectorELNS0_4arch9wavefront6targetE1EEEvT1_
    .private_segment_fixed_size: 0
    .sgpr_count:     4
    .sgpr_spill_count: 0
    .symbol:         _ZN7rocprim17ROCPRIM_400000_NS6detail17trampoline_kernelINS0_14default_configENS1_27scan_by_key_config_selectorIxxEEZZNS1_16scan_by_key_implILNS1_25lookback_scan_determinismE0ELb1ES3_N6thrust23THRUST_200600_302600_NS6detail15normal_iteratorINS9_10device_ptrIxEEEESE_SE_xNS9_4plusIvEENS9_8equal_toIxEExEE10hipError_tPvRmT2_T3_T4_T5_mT6_T7_P12ihipStream_tbENKUlT_T0_E_clISt17integral_constantIbLb1EESZ_EEDaSU_SV_EUlSU_E_NS1_11comp_targetILNS1_3genE8ELNS1_11target_archE1030ELNS1_3gpuE2ELNS1_3repE0EEENS1_30default_config_static_selectorELNS0_4arch9wavefront6targetE1EEEvT1_.kd
    .uniform_work_group_size: 1
    .uses_dynamic_stack: false
    .vgpr_count:     0
    .vgpr_spill_count: 0
    .wavefront_size: 64
  - .agpr_count:     0
    .args:
      - .offset:         0
        .size:           136
        .value_kind:     by_value
    .group_segment_fixed_size: 0
    .kernarg_segment_align: 8
    .kernarg_segment_size: 136
    .language:       OpenCL C
    .language_version:
      - 2
      - 0
    .max_flat_workgroup_size: 256
    .name:           _ZN7rocprim17ROCPRIM_400000_NS6detail17trampoline_kernelINS0_14default_configENS1_27scan_by_key_config_selectorIxxEEZZNS1_16scan_by_key_implILNS1_25lookback_scan_determinismE0ELb1ES3_N6thrust23THRUST_200600_302600_NS6detail15normal_iteratorINS9_10device_ptrIxEEEESE_SE_xNS9_4plusIvEENS9_8equal_toIxEExEE10hipError_tPvRmT2_T3_T4_T5_mT6_T7_P12ihipStream_tbENKUlT_T0_E_clISt17integral_constantIbLb1EESY_IbLb0EEEEDaSU_SV_EUlSU_E_NS1_11comp_targetILNS1_3genE0ELNS1_11target_archE4294967295ELNS1_3gpuE0ELNS1_3repE0EEENS1_30default_config_static_selectorELNS0_4arch9wavefront6targetE1EEEvT1_
    .private_segment_fixed_size: 0
    .sgpr_count:     4
    .sgpr_spill_count: 0
    .symbol:         _ZN7rocprim17ROCPRIM_400000_NS6detail17trampoline_kernelINS0_14default_configENS1_27scan_by_key_config_selectorIxxEEZZNS1_16scan_by_key_implILNS1_25lookback_scan_determinismE0ELb1ES3_N6thrust23THRUST_200600_302600_NS6detail15normal_iteratorINS9_10device_ptrIxEEEESE_SE_xNS9_4plusIvEENS9_8equal_toIxEExEE10hipError_tPvRmT2_T3_T4_T5_mT6_T7_P12ihipStream_tbENKUlT_T0_E_clISt17integral_constantIbLb1EESY_IbLb0EEEEDaSU_SV_EUlSU_E_NS1_11comp_targetILNS1_3genE0ELNS1_11target_archE4294967295ELNS1_3gpuE0ELNS1_3repE0EEENS1_30default_config_static_selectorELNS0_4arch9wavefront6targetE1EEEvT1_.kd
    .uniform_work_group_size: 1
    .uses_dynamic_stack: false
    .vgpr_count:     0
    .vgpr_spill_count: 0
    .wavefront_size: 64
  - .agpr_count:     0
    .args:
      - .offset:         0
        .size:           136
        .value_kind:     by_value
    .group_segment_fixed_size: 0
    .kernarg_segment_align: 8
    .kernarg_segment_size: 136
    .language:       OpenCL C
    .language_version:
      - 2
      - 0
    .max_flat_workgroup_size: 256
    .name:           _ZN7rocprim17ROCPRIM_400000_NS6detail17trampoline_kernelINS0_14default_configENS1_27scan_by_key_config_selectorIxxEEZZNS1_16scan_by_key_implILNS1_25lookback_scan_determinismE0ELb1ES3_N6thrust23THRUST_200600_302600_NS6detail15normal_iteratorINS9_10device_ptrIxEEEESE_SE_xNS9_4plusIvEENS9_8equal_toIxEExEE10hipError_tPvRmT2_T3_T4_T5_mT6_T7_P12ihipStream_tbENKUlT_T0_E_clISt17integral_constantIbLb1EESY_IbLb0EEEEDaSU_SV_EUlSU_E_NS1_11comp_targetILNS1_3genE10ELNS1_11target_archE1201ELNS1_3gpuE5ELNS1_3repE0EEENS1_30default_config_static_selectorELNS0_4arch9wavefront6targetE1EEEvT1_
    .private_segment_fixed_size: 0
    .sgpr_count:     4
    .sgpr_spill_count: 0
    .symbol:         _ZN7rocprim17ROCPRIM_400000_NS6detail17trampoline_kernelINS0_14default_configENS1_27scan_by_key_config_selectorIxxEEZZNS1_16scan_by_key_implILNS1_25lookback_scan_determinismE0ELb1ES3_N6thrust23THRUST_200600_302600_NS6detail15normal_iteratorINS9_10device_ptrIxEEEESE_SE_xNS9_4plusIvEENS9_8equal_toIxEExEE10hipError_tPvRmT2_T3_T4_T5_mT6_T7_P12ihipStream_tbENKUlT_T0_E_clISt17integral_constantIbLb1EESY_IbLb0EEEEDaSU_SV_EUlSU_E_NS1_11comp_targetILNS1_3genE10ELNS1_11target_archE1201ELNS1_3gpuE5ELNS1_3repE0EEENS1_30default_config_static_selectorELNS0_4arch9wavefront6targetE1EEEvT1_.kd
    .uniform_work_group_size: 1
    .uses_dynamic_stack: false
    .vgpr_count:     0
    .vgpr_spill_count: 0
    .wavefront_size: 64
  - .agpr_count:     0
    .args:
      - .offset:         0
        .size:           136
        .value_kind:     by_value
    .group_segment_fixed_size: 0
    .kernarg_segment_align: 8
    .kernarg_segment_size: 136
    .language:       OpenCL C
    .language_version:
      - 2
      - 0
    .max_flat_workgroup_size: 256
    .name:           _ZN7rocprim17ROCPRIM_400000_NS6detail17trampoline_kernelINS0_14default_configENS1_27scan_by_key_config_selectorIxxEEZZNS1_16scan_by_key_implILNS1_25lookback_scan_determinismE0ELb1ES3_N6thrust23THRUST_200600_302600_NS6detail15normal_iteratorINS9_10device_ptrIxEEEESE_SE_xNS9_4plusIvEENS9_8equal_toIxEExEE10hipError_tPvRmT2_T3_T4_T5_mT6_T7_P12ihipStream_tbENKUlT_T0_E_clISt17integral_constantIbLb1EESY_IbLb0EEEEDaSU_SV_EUlSU_E_NS1_11comp_targetILNS1_3genE5ELNS1_11target_archE942ELNS1_3gpuE9ELNS1_3repE0EEENS1_30default_config_static_selectorELNS0_4arch9wavefront6targetE1EEEvT1_
    .private_segment_fixed_size: 0
    .sgpr_count:     4
    .sgpr_spill_count: 0
    .symbol:         _ZN7rocprim17ROCPRIM_400000_NS6detail17trampoline_kernelINS0_14default_configENS1_27scan_by_key_config_selectorIxxEEZZNS1_16scan_by_key_implILNS1_25lookback_scan_determinismE0ELb1ES3_N6thrust23THRUST_200600_302600_NS6detail15normal_iteratorINS9_10device_ptrIxEEEESE_SE_xNS9_4plusIvEENS9_8equal_toIxEExEE10hipError_tPvRmT2_T3_T4_T5_mT6_T7_P12ihipStream_tbENKUlT_T0_E_clISt17integral_constantIbLb1EESY_IbLb0EEEEDaSU_SV_EUlSU_E_NS1_11comp_targetILNS1_3genE5ELNS1_11target_archE942ELNS1_3gpuE9ELNS1_3repE0EEENS1_30default_config_static_selectorELNS0_4arch9wavefront6targetE1EEEvT1_.kd
    .uniform_work_group_size: 1
    .uses_dynamic_stack: false
    .vgpr_count:     0
    .vgpr_spill_count: 0
    .wavefront_size: 64
  - .agpr_count:     0
    .args:
      - .offset:         0
        .size:           136
        .value_kind:     by_value
    .group_segment_fixed_size: 10752
    .kernarg_segment_align: 8
    .kernarg_segment_size: 136
    .language:       OpenCL C
    .language_version:
      - 2
      - 0
    .max_flat_workgroup_size: 64
    .name:           _ZN7rocprim17ROCPRIM_400000_NS6detail17trampoline_kernelINS0_14default_configENS1_27scan_by_key_config_selectorIxxEEZZNS1_16scan_by_key_implILNS1_25lookback_scan_determinismE0ELb1ES3_N6thrust23THRUST_200600_302600_NS6detail15normal_iteratorINS9_10device_ptrIxEEEESE_SE_xNS9_4plusIvEENS9_8equal_toIxEExEE10hipError_tPvRmT2_T3_T4_T5_mT6_T7_P12ihipStream_tbENKUlT_T0_E_clISt17integral_constantIbLb1EESY_IbLb0EEEEDaSU_SV_EUlSU_E_NS1_11comp_targetILNS1_3genE4ELNS1_11target_archE910ELNS1_3gpuE8ELNS1_3repE0EEENS1_30default_config_static_selectorELNS0_4arch9wavefront6targetE1EEEvT1_
    .private_segment_fixed_size: 0
    .sgpr_count:     77
    .sgpr_spill_count: 0
    .symbol:         _ZN7rocprim17ROCPRIM_400000_NS6detail17trampoline_kernelINS0_14default_configENS1_27scan_by_key_config_selectorIxxEEZZNS1_16scan_by_key_implILNS1_25lookback_scan_determinismE0ELb1ES3_N6thrust23THRUST_200600_302600_NS6detail15normal_iteratorINS9_10device_ptrIxEEEESE_SE_xNS9_4plusIvEENS9_8equal_toIxEExEE10hipError_tPvRmT2_T3_T4_T5_mT6_T7_P12ihipStream_tbENKUlT_T0_E_clISt17integral_constantIbLb1EESY_IbLb0EEEEDaSU_SV_EUlSU_E_NS1_11comp_targetILNS1_3genE4ELNS1_11target_archE910ELNS1_3gpuE8ELNS1_3repE0EEENS1_30default_config_static_selectorELNS0_4arch9wavefront6targetE1EEEvT1_.kd
    .uniform_work_group_size: 1
    .uses_dynamic_stack: false
    .vgpr_count:     117
    .vgpr_spill_count: 0
    .wavefront_size: 64
  - .agpr_count:     0
    .args:
      - .offset:         0
        .size:           136
        .value_kind:     by_value
    .group_segment_fixed_size: 0
    .kernarg_segment_align: 8
    .kernarg_segment_size: 136
    .language:       OpenCL C
    .language_version:
      - 2
      - 0
    .max_flat_workgroup_size: 256
    .name:           _ZN7rocprim17ROCPRIM_400000_NS6detail17trampoline_kernelINS0_14default_configENS1_27scan_by_key_config_selectorIxxEEZZNS1_16scan_by_key_implILNS1_25lookback_scan_determinismE0ELb1ES3_N6thrust23THRUST_200600_302600_NS6detail15normal_iteratorINS9_10device_ptrIxEEEESE_SE_xNS9_4plusIvEENS9_8equal_toIxEExEE10hipError_tPvRmT2_T3_T4_T5_mT6_T7_P12ihipStream_tbENKUlT_T0_E_clISt17integral_constantIbLb1EESY_IbLb0EEEEDaSU_SV_EUlSU_E_NS1_11comp_targetILNS1_3genE3ELNS1_11target_archE908ELNS1_3gpuE7ELNS1_3repE0EEENS1_30default_config_static_selectorELNS0_4arch9wavefront6targetE1EEEvT1_
    .private_segment_fixed_size: 0
    .sgpr_count:     4
    .sgpr_spill_count: 0
    .symbol:         _ZN7rocprim17ROCPRIM_400000_NS6detail17trampoline_kernelINS0_14default_configENS1_27scan_by_key_config_selectorIxxEEZZNS1_16scan_by_key_implILNS1_25lookback_scan_determinismE0ELb1ES3_N6thrust23THRUST_200600_302600_NS6detail15normal_iteratorINS9_10device_ptrIxEEEESE_SE_xNS9_4plusIvEENS9_8equal_toIxEExEE10hipError_tPvRmT2_T3_T4_T5_mT6_T7_P12ihipStream_tbENKUlT_T0_E_clISt17integral_constantIbLb1EESY_IbLb0EEEEDaSU_SV_EUlSU_E_NS1_11comp_targetILNS1_3genE3ELNS1_11target_archE908ELNS1_3gpuE7ELNS1_3repE0EEENS1_30default_config_static_selectorELNS0_4arch9wavefront6targetE1EEEvT1_.kd
    .uniform_work_group_size: 1
    .uses_dynamic_stack: false
    .vgpr_count:     0
    .vgpr_spill_count: 0
    .wavefront_size: 64
  - .agpr_count:     0
    .args:
      - .offset:         0
        .size:           136
        .value_kind:     by_value
    .group_segment_fixed_size: 0
    .kernarg_segment_align: 8
    .kernarg_segment_size: 136
    .language:       OpenCL C
    .language_version:
      - 2
      - 0
    .max_flat_workgroup_size: 256
    .name:           _ZN7rocprim17ROCPRIM_400000_NS6detail17trampoline_kernelINS0_14default_configENS1_27scan_by_key_config_selectorIxxEEZZNS1_16scan_by_key_implILNS1_25lookback_scan_determinismE0ELb1ES3_N6thrust23THRUST_200600_302600_NS6detail15normal_iteratorINS9_10device_ptrIxEEEESE_SE_xNS9_4plusIvEENS9_8equal_toIxEExEE10hipError_tPvRmT2_T3_T4_T5_mT6_T7_P12ihipStream_tbENKUlT_T0_E_clISt17integral_constantIbLb1EESY_IbLb0EEEEDaSU_SV_EUlSU_E_NS1_11comp_targetILNS1_3genE2ELNS1_11target_archE906ELNS1_3gpuE6ELNS1_3repE0EEENS1_30default_config_static_selectorELNS0_4arch9wavefront6targetE1EEEvT1_
    .private_segment_fixed_size: 0
    .sgpr_count:     4
    .sgpr_spill_count: 0
    .symbol:         _ZN7rocprim17ROCPRIM_400000_NS6detail17trampoline_kernelINS0_14default_configENS1_27scan_by_key_config_selectorIxxEEZZNS1_16scan_by_key_implILNS1_25lookback_scan_determinismE0ELb1ES3_N6thrust23THRUST_200600_302600_NS6detail15normal_iteratorINS9_10device_ptrIxEEEESE_SE_xNS9_4plusIvEENS9_8equal_toIxEExEE10hipError_tPvRmT2_T3_T4_T5_mT6_T7_P12ihipStream_tbENKUlT_T0_E_clISt17integral_constantIbLb1EESY_IbLb0EEEEDaSU_SV_EUlSU_E_NS1_11comp_targetILNS1_3genE2ELNS1_11target_archE906ELNS1_3gpuE6ELNS1_3repE0EEENS1_30default_config_static_selectorELNS0_4arch9wavefront6targetE1EEEvT1_.kd
    .uniform_work_group_size: 1
    .uses_dynamic_stack: false
    .vgpr_count:     0
    .vgpr_spill_count: 0
    .wavefront_size: 64
  - .agpr_count:     0
    .args:
      - .offset:         0
        .size:           136
        .value_kind:     by_value
    .group_segment_fixed_size: 0
    .kernarg_segment_align: 8
    .kernarg_segment_size: 136
    .language:       OpenCL C
    .language_version:
      - 2
      - 0
    .max_flat_workgroup_size: 256
    .name:           _ZN7rocprim17ROCPRIM_400000_NS6detail17trampoline_kernelINS0_14default_configENS1_27scan_by_key_config_selectorIxxEEZZNS1_16scan_by_key_implILNS1_25lookback_scan_determinismE0ELb1ES3_N6thrust23THRUST_200600_302600_NS6detail15normal_iteratorINS9_10device_ptrIxEEEESE_SE_xNS9_4plusIvEENS9_8equal_toIxEExEE10hipError_tPvRmT2_T3_T4_T5_mT6_T7_P12ihipStream_tbENKUlT_T0_E_clISt17integral_constantIbLb1EESY_IbLb0EEEEDaSU_SV_EUlSU_E_NS1_11comp_targetILNS1_3genE10ELNS1_11target_archE1200ELNS1_3gpuE4ELNS1_3repE0EEENS1_30default_config_static_selectorELNS0_4arch9wavefront6targetE1EEEvT1_
    .private_segment_fixed_size: 0
    .sgpr_count:     4
    .sgpr_spill_count: 0
    .symbol:         _ZN7rocprim17ROCPRIM_400000_NS6detail17trampoline_kernelINS0_14default_configENS1_27scan_by_key_config_selectorIxxEEZZNS1_16scan_by_key_implILNS1_25lookback_scan_determinismE0ELb1ES3_N6thrust23THRUST_200600_302600_NS6detail15normal_iteratorINS9_10device_ptrIxEEEESE_SE_xNS9_4plusIvEENS9_8equal_toIxEExEE10hipError_tPvRmT2_T3_T4_T5_mT6_T7_P12ihipStream_tbENKUlT_T0_E_clISt17integral_constantIbLb1EESY_IbLb0EEEEDaSU_SV_EUlSU_E_NS1_11comp_targetILNS1_3genE10ELNS1_11target_archE1200ELNS1_3gpuE4ELNS1_3repE0EEENS1_30default_config_static_selectorELNS0_4arch9wavefront6targetE1EEEvT1_.kd
    .uniform_work_group_size: 1
    .uses_dynamic_stack: false
    .vgpr_count:     0
    .vgpr_spill_count: 0
    .wavefront_size: 64
  - .agpr_count:     0
    .args:
      - .offset:         0
        .size:           136
        .value_kind:     by_value
    .group_segment_fixed_size: 0
    .kernarg_segment_align: 8
    .kernarg_segment_size: 136
    .language:       OpenCL C
    .language_version:
      - 2
      - 0
    .max_flat_workgroup_size: 256
    .name:           _ZN7rocprim17ROCPRIM_400000_NS6detail17trampoline_kernelINS0_14default_configENS1_27scan_by_key_config_selectorIxxEEZZNS1_16scan_by_key_implILNS1_25lookback_scan_determinismE0ELb1ES3_N6thrust23THRUST_200600_302600_NS6detail15normal_iteratorINS9_10device_ptrIxEEEESE_SE_xNS9_4plusIvEENS9_8equal_toIxEExEE10hipError_tPvRmT2_T3_T4_T5_mT6_T7_P12ihipStream_tbENKUlT_T0_E_clISt17integral_constantIbLb1EESY_IbLb0EEEEDaSU_SV_EUlSU_E_NS1_11comp_targetILNS1_3genE9ELNS1_11target_archE1100ELNS1_3gpuE3ELNS1_3repE0EEENS1_30default_config_static_selectorELNS0_4arch9wavefront6targetE1EEEvT1_
    .private_segment_fixed_size: 0
    .sgpr_count:     4
    .sgpr_spill_count: 0
    .symbol:         _ZN7rocprim17ROCPRIM_400000_NS6detail17trampoline_kernelINS0_14default_configENS1_27scan_by_key_config_selectorIxxEEZZNS1_16scan_by_key_implILNS1_25lookback_scan_determinismE0ELb1ES3_N6thrust23THRUST_200600_302600_NS6detail15normal_iteratorINS9_10device_ptrIxEEEESE_SE_xNS9_4plusIvEENS9_8equal_toIxEExEE10hipError_tPvRmT2_T3_T4_T5_mT6_T7_P12ihipStream_tbENKUlT_T0_E_clISt17integral_constantIbLb1EESY_IbLb0EEEEDaSU_SV_EUlSU_E_NS1_11comp_targetILNS1_3genE9ELNS1_11target_archE1100ELNS1_3gpuE3ELNS1_3repE0EEENS1_30default_config_static_selectorELNS0_4arch9wavefront6targetE1EEEvT1_.kd
    .uniform_work_group_size: 1
    .uses_dynamic_stack: false
    .vgpr_count:     0
    .vgpr_spill_count: 0
    .wavefront_size: 64
  - .agpr_count:     0
    .args:
      - .offset:         0
        .size:           136
        .value_kind:     by_value
    .group_segment_fixed_size: 0
    .kernarg_segment_align: 8
    .kernarg_segment_size: 136
    .language:       OpenCL C
    .language_version:
      - 2
      - 0
    .max_flat_workgroup_size: 256
    .name:           _ZN7rocprim17ROCPRIM_400000_NS6detail17trampoline_kernelINS0_14default_configENS1_27scan_by_key_config_selectorIxxEEZZNS1_16scan_by_key_implILNS1_25lookback_scan_determinismE0ELb1ES3_N6thrust23THRUST_200600_302600_NS6detail15normal_iteratorINS9_10device_ptrIxEEEESE_SE_xNS9_4plusIvEENS9_8equal_toIxEExEE10hipError_tPvRmT2_T3_T4_T5_mT6_T7_P12ihipStream_tbENKUlT_T0_E_clISt17integral_constantIbLb1EESY_IbLb0EEEEDaSU_SV_EUlSU_E_NS1_11comp_targetILNS1_3genE8ELNS1_11target_archE1030ELNS1_3gpuE2ELNS1_3repE0EEENS1_30default_config_static_selectorELNS0_4arch9wavefront6targetE1EEEvT1_
    .private_segment_fixed_size: 0
    .sgpr_count:     4
    .sgpr_spill_count: 0
    .symbol:         _ZN7rocprim17ROCPRIM_400000_NS6detail17trampoline_kernelINS0_14default_configENS1_27scan_by_key_config_selectorIxxEEZZNS1_16scan_by_key_implILNS1_25lookback_scan_determinismE0ELb1ES3_N6thrust23THRUST_200600_302600_NS6detail15normal_iteratorINS9_10device_ptrIxEEEESE_SE_xNS9_4plusIvEENS9_8equal_toIxEExEE10hipError_tPvRmT2_T3_T4_T5_mT6_T7_P12ihipStream_tbENKUlT_T0_E_clISt17integral_constantIbLb1EESY_IbLb0EEEEDaSU_SV_EUlSU_E_NS1_11comp_targetILNS1_3genE8ELNS1_11target_archE1030ELNS1_3gpuE2ELNS1_3repE0EEENS1_30default_config_static_selectorELNS0_4arch9wavefront6targetE1EEEvT1_.kd
    .uniform_work_group_size: 1
    .uses_dynamic_stack: false
    .vgpr_count:     0
    .vgpr_spill_count: 0
    .wavefront_size: 64
  - .agpr_count:     0
    .args:
      - .offset:         0
        .size:           136
        .value_kind:     by_value
    .group_segment_fixed_size: 0
    .kernarg_segment_align: 8
    .kernarg_segment_size: 136
    .language:       OpenCL C
    .language_version:
      - 2
      - 0
    .max_flat_workgroup_size: 256
    .name:           _ZN7rocprim17ROCPRIM_400000_NS6detail17trampoline_kernelINS0_14default_configENS1_27scan_by_key_config_selectorIxxEEZZNS1_16scan_by_key_implILNS1_25lookback_scan_determinismE0ELb1ES3_N6thrust23THRUST_200600_302600_NS6detail15normal_iteratorINS9_10device_ptrIxEEEESE_SE_xNS9_4plusIvEENS9_8equal_toIxEExEE10hipError_tPvRmT2_T3_T4_T5_mT6_T7_P12ihipStream_tbENKUlT_T0_E_clISt17integral_constantIbLb0EESY_IbLb1EEEEDaSU_SV_EUlSU_E_NS1_11comp_targetILNS1_3genE0ELNS1_11target_archE4294967295ELNS1_3gpuE0ELNS1_3repE0EEENS1_30default_config_static_selectorELNS0_4arch9wavefront6targetE1EEEvT1_
    .private_segment_fixed_size: 0
    .sgpr_count:     4
    .sgpr_spill_count: 0
    .symbol:         _ZN7rocprim17ROCPRIM_400000_NS6detail17trampoline_kernelINS0_14default_configENS1_27scan_by_key_config_selectorIxxEEZZNS1_16scan_by_key_implILNS1_25lookback_scan_determinismE0ELb1ES3_N6thrust23THRUST_200600_302600_NS6detail15normal_iteratorINS9_10device_ptrIxEEEESE_SE_xNS9_4plusIvEENS9_8equal_toIxEExEE10hipError_tPvRmT2_T3_T4_T5_mT6_T7_P12ihipStream_tbENKUlT_T0_E_clISt17integral_constantIbLb0EESY_IbLb1EEEEDaSU_SV_EUlSU_E_NS1_11comp_targetILNS1_3genE0ELNS1_11target_archE4294967295ELNS1_3gpuE0ELNS1_3repE0EEENS1_30default_config_static_selectorELNS0_4arch9wavefront6targetE1EEEvT1_.kd
    .uniform_work_group_size: 1
    .uses_dynamic_stack: false
    .vgpr_count:     0
    .vgpr_spill_count: 0
    .wavefront_size: 64
  - .agpr_count:     0
    .args:
      - .offset:         0
        .size:           136
        .value_kind:     by_value
    .group_segment_fixed_size: 0
    .kernarg_segment_align: 8
    .kernarg_segment_size: 136
    .language:       OpenCL C
    .language_version:
      - 2
      - 0
    .max_flat_workgroup_size: 256
    .name:           _ZN7rocprim17ROCPRIM_400000_NS6detail17trampoline_kernelINS0_14default_configENS1_27scan_by_key_config_selectorIxxEEZZNS1_16scan_by_key_implILNS1_25lookback_scan_determinismE0ELb1ES3_N6thrust23THRUST_200600_302600_NS6detail15normal_iteratorINS9_10device_ptrIxEEEESE_SE_xNS9_4plusIvEENS9_8equal_toIxEExEE10hipError_tPvRmT2_T3_T4_T5_mT6_T7_P12ihipStream_tbENKUlT_T0_E_clISt17integral_constantIbLb0EESY_IbLb1EEEEDaSU_SV_EUlSU_E_NS1_11comp_targetILNS1_3genE10ELNS1_11target_archE1201ELNS1_3gpuE5ELNS1_3repE0EEENS1_30default_config_static_selectorELNS0_4arch9wavefront6targetE1EEEvT1_
    .private_segment_fixed_size: 0
    .sgpr_count:     4
    .sgpr_spill_count: 0
    .symbol:         _ZN7rocprim17ROCPRIM_400000_NS6detail17trampoline_kernelINS0_14default_configENS1_27scan_by_key_config_selectorIxxEEZZNS1_16scan_by_key_implILNS1_25lookback_scan_determinismE0ELb1ES3_N6thrust23THRUST_200600_302600_NS6detail15normal_iteratorINS9_10device_ptrIxEEEESE_SE_xNS9_4plusIvEENS9_8equal_toIxEExEE10hipError_tPvRmT2_T3_T4_T5_mT6_T7_P12ihipStream_tbENKUlT_T0_E_clISt17integral_constantIbLb0EESY_IbLb1EEEEDaSU_SV_EUlSU_E_NS1_11comp_targetILNS1_3genE10ELNS1_11target_archE1201ELNS1_3gpuE5ELNS1_3repE0EEENS1_30default_config_static_selectorELNS0_4arch9wavefront6targetE1EEEvT1_.kd
    .uniform_work_group_size: 1
    .uses_dynamic_stack: false
    .vgpr_count:     0
    .vgpr_spill_count: 0
    .wavefront_size: 64
  - .agpr_count:     0
    .args:
      - .offset:         0
        .size:           136
        .value_kind:     by_value
    .group_segment_fixed_size: 0
    .kernarg_segment_align: 8
    .kernarg_segment_size: 136
    .language:       OpenCL C
    .language_version:
      - 2
      - 0
    .max_flat_workgroup_size: 256
    .name:           _ZN7rocprim17ROCPRIM_400000_NS6detail17trampoline_kernelINS0_14default_configENS1_27scan_by_key_config_selectorIxxEEZZNS1_16scan_by_key_implILNS1_25lookback_scan_determinismE0ELb1ES3_N6thrust23THRUST_200600_302600_NS6detail15normal_iteratorINS9_10device_ptrIxEEEESE_SE_xNS9_4plusIvEENS9_8equal_toIxEExEE10hipError_tPvRmT2_T3_T4_T5_mT6_T7_P12ihipStream_tbENKUlT_T0_E_clISt17integral_constantIbLb0EESY_IbLb1EEEEDaSU_SV_EUlSU_E_NS1_11comp_targetILNS1_3genE5ELNS1_11target_archE942ELNS1_3gpuE9ELNS1_3repE0EEENS1_30default_config_static_selectorELNS0_4arch9wavefront6targetE1EEEvT1_
    .private_segment_fixed_size: 0
    .sgpr_count:     4
    .sgpr_spill_count: 0
    .symbol:         _ZN7rocprim17ROCPRIM_400000_NS6detail17trampoline_kernelINS0_14default_configENS1_27scan_by_key_config_selectorIxxEEZZNS1_16scan_by_key_implILNS1_25lookback_scan_determinismE0ELb1ES3_N6thrust23THRUST_200600_302600_NS6detail15normal_iteratorINS9_10device_ptrIxEEEESE_SE_xNS9_4plusIvEENS9_8equal_toIxEExEE10hipError_tPvRmT2_T3_T4_T5_mT6_T7_P12ihipStream_tbENKUlT_T0_E_clISt17integral_constantIbLb0EESY_IbLb1EEEEDaSU_SV_EUlSU_E_NS1_11comp_targetILNS1_3genE5ELNS1_11target_archE942ELNS1_3gpuE9ELNS1_3repE0EEENS1_30default_config_static_selectorELNS0_4arch9wavefront6targetE1EEEvT1_.kd
    .uniform_work_group_size: 1
    .uses_dynamic_stack: false
    .vgpr_count:     0
    .vgpr_spill_count: 0
    .wavefront_size: 64
  - .agpr_count:     0
    .args:
      - .offset:         0
        .size:           136
        .value_kind:     by_value
    .group_segment_fixed_size: 10752
    .kernarg_segment_align: 8
    .kernarg_segment_size: 136
    .language:       OpenCL C
    .language_version:
      - 2
      - 0
    .max_flat_workgroup_size: 64
    .name:           _ZN7rocprim17ROCPRIM_400000_NS6detail17trampoline_kernelINS0_14default_configENS1_27scan_by_key_config_selectorIxxEEZZNS1_16scan_by_key_implILNS1_25lookback_scan_determinismE0ELb1ES3_N6thrust23THRUST_200600_302600_NS6detail15normal_iteratorINS9_10device_ptrIxEEEESE_SE_xNS9_4plusIvEENS9_8equal_toIxEExEE10hipError_tPvRmT2_T3_T4_T5_mT6_T7_P12ihipStream_tbENKUlT_T0_E_clISt17integral_constantIbLb0EESY_IbLb1EEEEDaSU_SV_EUlSU_E_NS1_11comp_targetILNS1_3genE4ELNS1_11target_archE910ELNS1_3gpuE8ELNS1_3repE0EEENS1_30default_config_static_selectorELNS0_4arch9wavefront6targetE1EEEvT1_
    .private_segment_fixed_size: 0
    .sgpr_count:     73
    .sgpr_spill_count: 0
    .symbol:         _ZN7rocprim17ROCPRIM_400000_NS6detail17trampoline_kernelINS0_14default_configENS1_27scan_by_key_config_selectorIxxEEZZNS1_16scan_by_key_implILNS1_25lookback_scan_determinismE0ELb1ES3_N6thrust23THRUST_200600_302600_NS6detail15normal_iteratorINS9_10device_ptrIxEEEESE_SE_xNS9_4plusIvEENS9_8equal_toIxEExEE10hipError_tPvRmT2_T3_T4_T5_mT6_T7_P12ihipStream_tbENKUlT_T0_E_clISt17integral_constantIbLb0EESY_IbLb1EEEEDaSU_SV_EUlSU_E_NS1_11comp_targetILNS1_3genE4ELNS1_11target_archE910ELNS1_3gpuE8ELNS1_3repE0EEENS1_30default_config_static_selectorELNS0_4arch9wavefront6targetE1EEEvT1_.kd
    .uniform_work_group_size: 1
    .uses_dynamic_stack: false
    .vgpr_count:     119
    .vgpr_spill_count: 0
    .wavefront_size: 64
  - .agpr_count:     0
    .args:
      - .offset:         0
        .size:           136
        .value_kind:     by_value
    .group_segment_fixed_size: 0
    .kernarg_segment_align: 8
    .kernarg_segment_size: 136
    .language:       OpenCL C
    .language_version:
      - 2
      - 0
    .max_flat_workgroup_size: 256
    .name:           _ZN7rocprim17ROCPRIM_400000_NS6detail17trampoline_kernelINS0_14default_configENS1_27scan_by_key_config_selectorIxxEEZZNS1_16scan_by_key_implILNS1_25lookback_scan_determinismE0ELb1ES3_N6thrust23THRUST_200600_302600_NS6detail15normal_iteratorINS9_10device_ptrIxEEEESE_SE_xNS9_4plusIvEENS9_8equal_toIxEExEE10hipError_tPvRmT2_T3_T4_T5_mT6_T7_P12ihipStream_tbENKUlT_T0_E_clISt17integral_constantIbLb0EESY_IbLb1EEEEDaSU_SV_EUlSU_E_NS1_11comp_targetILNS1_3genE3ELNS1_11target_archE908ELNS1_3gpuE7ELNS1_3repE0EEENS1_30default_config_static_selectorELNS0_4arch9wavefront6targetE1EEEvT1_
    .private_segment_fixed_size: 0
    .sgpr_count:     4
    .sgpr_spill_count: 0
    .symbol:         _ZN7rocprim17ROCPRIM_400000_NS6detail17trampoline_kernelINS0_14default_configENS1_27scan_by_key_config_selectorIxxEEZZNS1_16scan_by_key_implILNS1_25lookback_scan_determinismE0ELb1ES3_N6thrust23THRUST_200600_302600_NS6detail15normal_iteratorINS9_10device_ptrIxEEEESE_SE_xNS9_4plusIvEENS9_8equal_toIxEExEE10hipError_tPvRmT2_T3_T4_T5_mT6_T7_P12ihipStream_tbENKUlT_T0_E_clISt17integral_constantIbLb0EESY_IbLb1EEEEDaSU_SV_EUlSU_E_NS1_11comp_targetILNS1_3genE3ELNS1_11target_archE908ELNS1_3gpuE7ELNS1_3repE0EEENS1_30default_config_static_selectorELNS0_4arch9wavefront6targetE1EEEvT1_.kd
    .uniform_work_group_size: 1
    .uses_dynamic_stack: false
    .vgpr_count:     0
    .vgpr_spill_count: 0
    .wavefront_size: 64
  - .agpr_count:     0
    .args:
      - .offset:         0
        .size:           136
        .value_kind:     by_value
    .group_segment_fixed_size: 0
    .kernarg_segment_align: 8
    .kernarg_segment_size: 136
    .language:       OpenCL C
    .language_version:
      - 2
      - 0
    .max_flat_workgroup_size: 256
    .name:           _ZN7rocprim17ROCPRIM_400000_NS6detail17trampoline_kernelINS0_14default_configENS1_27scan_by_key_config_selectorIxxEEZZNS1_16scan_by_key_implILNS1_25lookback_scan_determinismE0ELb1ES3_N6thrust23THRUST_200600_302600_NS6detail15normal_iteratorINS9_10device_ptrIxEEEESE_SE_xNS9_4plusIvEENS9_8equal_toIxEExEE10hipError_tPvRmT2_T3_T4_T5_mT6_T7_P12ihipStream_tbENKUlT_T0_E_clISt17integral_constantIbLb0EESY_IbLb1EEEEDaSU_SV_EUlSU_E_NS1_11comp_targetILNS1_3genE2ELNS1_11target_archE906ELNS1_3gpuE6ELNS1_3repE0EEENS1_30default_config_static_selectorELNS0_4arch9wavefront6targetE1EEEvT1_
    .private_segment_fixed_size: 0
    .sgpr_count:     4
    .sgpr_spill_count: 0
    .symbol:         _ZN7rocprim17ROCPRIM_400000_NS6detail17trampoline_kernelINS0_14default_configENS1_27scan_by_key_config_selectorIxxEEZZNS1_16scan_by_key_implILNS1_25lookback_scan_determinismE0ELb1ES3_N6thrust23THRUST_200600_302600_NS6detail15normal_iteratorINS9_10device_ptrIxEEEESE_SE_xNS9_4plusIvEENS9_8equal_toIxEExEE10hipError_tPvRmT2_T3_T4_T5_mT6_T7_P12ihipStream_tbENKUlT_T0_E_clISt17integral_constantIbLb0EESY_IbLb1EEEEDaSU_SV_EUlSU_E_NS1_11comp_targetILNS1_3genE2ELNS1_11target_archE906ELNS1_3gpuE6ELNS1_3repE0EEENS1_30default_config_static_selectorELNS0_4arch9wavefront6targetE1EEEvT1_.kd
    .uniform_work_group_size: 1
    .uses_dynamic_stack: false
    .vgpr_count:     0
    .vgpr_spill_count: 0
    .wavefront_size: 64
  - .agpr_count:     0
    .args:
      - .offset:         0
        .size:           136
        .value_kind:     by_value
    .group_segment_fixed_size: 0
    .kernarg_segment_align: 8
    .kernarg_segment_size: 136
    .language:       OpenCL C
    .language_version:
      - 2
      - 0
    .max_flat_workgroup_size: 256
    .name:           _ZN7rocprim17ROCPRIM_400000_NS6detail17trampoline_kernelINS0_14default_configENS1_27scan_by_key_config_selectorIxxEEZZNS1_16scan_by_key_implILNS1_25lookback_scan_determinismE0ELb1ES3_N6thrust23THRUST_200600_302600_NS6detail15normal_iteratorINS9_10device_ptrIxEEEESE_SE_xNS9_4plusIvEENS9_8equal_toIxEExEE10hipError_tPvRmT2_T3_T4_T5_mT6_T7_P12ihipStream_tbENKUlT_T0_E_clISt17integral_constantIbLb0EESY_IbLb1EEEEDaSU_SV_EUlSU_E_NS1_11comp_targetILNS1_3genE10ELNS1_11target_archE1200ELNS1_3gpuE4ELNS1_3repE0EEENS1_30default_config_static_selectorELNS0_4arch9wavefront6targetE1EEEvT1_
    .private_segment_fixed_size: 0
    .sgpr_count:     4
    .sgpr_spill_count: 0
    .symbol:         _ZN7rocprim17ROCPRIM_400000_NS6detail17trampoline_kernelINS0_14default_configENS1_27scan_by_key_config_selectorIxxEEZZNS1_16scan_by_key_implILNS1_25lookback_scan_determinismE0ELb1ES3_N6thrust23THRUST_200600_302600_NS6detail15normal_iteratorINS9_10device_ptrIxEEEESE_SE_xNS9_4plusIvEENS9_8equal_toIxEExEE10hipError_tPvRmT2_T3_T4_T5_mT6_T7_P12ihipStream_tbENKUlT_T0_E_clISt17integral_constantIbLb0EESY_IbLb1EEEEDaSU_SV_EUlSU_E_NS1_11comp_targetILNS1_3genE10ELNS1_11target_archE1200ELNS1_3gpuE4ELNS1_3repE0EEENS1_30default_config_static_selectorELNS0_4arch9wavefront6targetE1EEEvT1_.kd
    .uniform_work_group_size: 1
    .uses_dynamic_stack: false
    .vgpr_count:     0
    .vgpr_spill_count: 0
    .wavefront_size: 64
  - .agpr_count:     0
    .args:
      - .offset:         0
        .size:           136
        .value_kind:     by_value
    .group_segment_fixed_size: 0
    .kernarg_segment_align: 8
    .kernarg_segment_size: 136
    .language:       OpenCL C
    .language_version:
      - 2
      - 0
    .max_flat_workgroup_size: 256
    .name:           _ZN7rocprim17ROCPRIM_400000_NS6detail17trampoline_kernelINS0_14default_configENS1_27scan_by_key_config_selectorIxxEEZZNS1_16scan_by_key_implILNS1_25lookback_scan_determinismE0ELb1ES3_N6thrust23THRUST_200600_302600_NS6detail15normal_iteratorINS9_10device_ptrIxEEEESE_SE_xNS9_4plusIvEENS9_8equal_toIxEExEE10hipError_tPvRmT2_T3_T4_T5_mT6_T7_P12ihipStream_tbENKUlT_T0_E_clISt17integral_constantIbLb0EESY_IbLb1EEEEDaSU_SV_EUlSU_E_NS1_11comp_targetILNS1_3genE9ELNS1_11target_archE1100ELNS1_3gpuE3ELNS1_3repE0EEENS1_30default_config_static_selectorELNS0_4arch9wavefront6targetE1EEEvT1_
    .private_segment_fixed_size: 0
    .sgpr_count:     4
    .sgpr_spill_count: 0
    .symbol:         _ZN7rocprim17ROCPRIM_400000_NS6detail17trampoline_kernelINS0_14default_configENS1_27scan_by_key_config_selectorIxxEEZZNS1_16scan_by_key_implILNS1_25lookback_scan_determinismE0ELb1ES3_N6thrust23THRUST_200600_302600_NS6detail15normal_iteratorINS9_10device_ptrIxEEEESE_SE_xNS9_4plusIvEENS9_8equal_toIxEExEE10hipError_tPvRmT2_T3_T4_T5_mT6_T7_P12ihipStream_tbENKUlT_T0_E_clISt17integral_constantIbLb0EESY_IbLb1EEEEDaSU_SV_EUlSU_E_NS1_11comp_targetILNS1_3genE9ELNS1_11target_archE1100ELNS1_3gpuE3ELNS1_3repE0EEENS1_30default_config_static_selectorELNS0_4arch9wavefront6targetE1EEEvT1_.kd
    .uniform_work_group_size: 1
    .uses_dynamic_stack: false
    .vgpr_count:     0
    .vgpr_spill_count: 0
    .wavefront_size: 64
  - .agpr_count:     0
    .args:
      - .offset:         0
        .size:           136
        .value_kind:     by_value
    .group_segment_fixed_size: 0
    .kernarg_segment_align: 8
    .kernarg_segment_size: 136
    .language:       OpenCL C
    .language_version:
      - 2
      - 0
    .max_flat_workgroup_size: 256
    .name:           _ZN7rocprim17ROCPRIM_400000_NS6detail17trampoline_kernelINS0_14default_configENS1_27scan_by_key_config_selectorIxxEEZZNS1_16scan_by_key_implILNS1_25lookback_scan_determinismE0ELb1ES3_N6thrust23THRUST_200600_302600_NS6detail15normal_iteratorINS9_10device_ptrIxEEEESE_SE_xNS9_4plusIvEENS9_8equal_toIxEExEE10hipError_tPvRmT2_T3_T4_T5_mT6_T7_P12ihipStream_tbENKUlT_T0_E_clISt17integral_constantIbLb0EESY_IbLb1EEEEDaSU_SV_EUlSU_E_NS1_11comp_targetILNS1_3genE8ELNS1_11target_archE1030ELNS1_3gpuE2ELNS1_3repE0EEENS1_30default_config_static_selectorELNS0_4arch9wavefront6targetE1EEEvT1_
    .private_segment_fixed_size: 0
    .sgpr_count:     4
    .sgpr_spill_count: 0
    .symbol:         _ZN7rocprim17ROCPRIM_400000_NS6detail17trampoline_kernelINS0_14default_configENS1_27scan_by_key_config_selectorIxxEEZZNS1_16scan_by_key_implILNS1_25lookback_scan_determinismE0ELb1ES3_N6thrust23THRUST_200600_302600_NS6detail15normal_iteratorINS9_10device_ptrIxEEEESE_SE_xNS9_4plusIvEENS9_8equal_toIxEExEE10hipError_tPvRmT2_T3_T4_T5_mT6_T7_P12ihipStream_tbENKUlT_T0_E_clISt17integral_constantIbLb0EESY_IbLb1EEEEDaSU_SV_EUlSU_E_NS1_11comp_targetILNS1_3genE8ELNS1_11target_archE1030ELNS1_3gpuE2ELNS1_3repE0EEENS1_30default_config_static_selectorELNS0_4arch9wavefront6targetE1EEEvT1_.kd
    .uniform_work_group_size: 1
    .uses_dynamic_stack: false
    .vgpr_count:     0
    .vgpr_spill_count: 0
    .wavefront_size: 64
  - .agpr_count:     0
    .args:
      - .offset:         0
        .size:           112
        .value_kind:     by_value
    .group_segment_fixed_size: 0
    .kernarg_segment_align: 8
    .kernarg_segment_size: 112
    .language:       OpenCL C
    .language_version:
      - 2
      - 0
    .max_flat_workgroup_size: 256
    .name:           _ZN7rocprim17ROCPRIM_400000_NS6detail17trampoline_kernelINS0_14default_configENS1_27scan_by_key_config_selectorIiiEEZZNS1_16scan_by_key_implILNS1_25lookback_scan_determinismE0ELb1ES3_N6thrust23THRUST_200600_302600_NS6detail15normal_iteratorINS9_10device_ptrIiEEEESE_SE_iNS9_4plusIvEENS9_8equal_toIvEEiEE10hipError_tPvRmT2_T3_T4_T5_mT6_T7_P12ihipStream_tbENKUlT_T0_E_clISt17integral_constantIbLb0EESZ_EEDaSU_SV_EUlSU_E_NS1_11comp_targetILNS1_3genE0ELNS1_11target_archE4294967295ELNS1_3gpuE0ELNS1_3repE0EEENS1_30default_config_static_selectorELNS0_4arch9wavefront6targetE1EEEvT1_
    .private_segment_fixed_size: 0
    .sgpr_count:     4
    .sgpr_spill_count: 0
    .symbol:         _ZN7rocprim17ROCPRIM_400000_NS6detail17trampoline_kernelINS0_14default_configENS1_27scan_by_key_config_selectorIiiEEZZNS1_16scan_by_key_implILNS1_25lookback_scan_determinismE0ELb1ES3_N6thrust23THRUST_200600_302600_NS6detail15normal_iteratorINS9_10device_ptrIiEEEESE_SE_iNS9_4plusIvEENS9_8equal_toIvEEiEE10hipError_tPvRmT2_T3_T4_T5_mT6_T7_P12ihipStream_tbENKUlT_T0_E_clISt17integral_constantIbLb0EESZ_EEDaSU_SV_EUlSU_E_NS1_11comp_targetILNS1_3genE0ELNS1_11target_archE4294967295ELNS1_3gpuE0ELNS1_3repE0EEENS1_30default_config_static_selectorELNS0_4arch9wavefront6targetE1EEEvT1_.kd
    .uniform_work_group_size: 1
    .uses_dynamic_stack: false
    .vgpr_count:     0
    .vgpr_spill_count: 0
    .wavefront_size: 64
  - .agpr_count:     0
    .args:
      - .offset:         0
        .size:           112
        .value_kind:     by_value
    .group_segment_fixed_size: 0
    .kernarg_segment_align: 8
    .kernarg_segment_size: 112
    .language:       OpenCL C
    .language_version:
      - 2
      - 0
    .max_flat_workgroup_size: 256
    .name:           _ZN7rocprim17ROCPRIM_400000_NS6detail17trampoline_kernelINS0_14default_configENS1_27scan_by_key_config_selectorIiiEEZZNS1_16scan_by_key_implILNS1_25lookback_scan_determinismE0ELb1ES3_N6thrust23THRUST_200600_302600_NS6detail15normal_iteratorINS9_10device_ptrIiEEEESE_SE_iNS9_4plusIvEENS9_8equal_toIvEEiEE10hipError_tPvRmT2_T3_T4_T5_mT6_T7_P12ihipStream_tbENKUlT_T0_E_clISt17integral_constantIbLb0EESZ_EEDaSU_SV_EUlSU_E_NS1_11comp_targetILNS1_3genE10ELNS1_11target_archE1201ELNS1_3gpuE5ELNS1_3repE0EEENS1_30default_config_static_selectorELNS0_4arch9wavefront6targetE1EEEvT1_
    .private_segment_fixed_size: 0
    .sgpr_count:     4
    .sgpr_spill_count: 0
    .symbol:         _ZN7rocprim17ROCPRIM_400000_NS6detail17trampoline_kernelINS0_14default_configENS1_27scan_by_key_config_selectorIiiEEZZNS1_16scan_by_key_implILNS1_25lookback_scan_determinismE0ELb1ES3_N6thrust23THRUST_200600_302600_NS6detail15normal_iteratorINS9_10device_ptrIiEEEESE_SE_iNS9_4plusIvEENS9_8equal_toIvEEiEE10hipError_tPvRmT2_T3_T4_T5_mT6_T7_P12ihipStream_tbENKUlT_T0_E_clISt17integral_constantIbLb0EESZ_EEDaSU_SV_EUlSU_E_NS1_11comp_targetILNS1_3genE10ELNS1_11target_archE1201ELNS1_3gpuE5ELNS1_3repE0EEENS1_30default_config_static_selectorELNS0_4arch9wavefront6targetE1EEEvT1_.kd
    .uniform_work_group_size: 1
    .uses_dynamic_stack: false
    .vgpr_count:     0
    .vgpr_spill_count: 0
    .wavefront_size: 64
  - .agpr_count:     0
    .args:
      - .offset:         0
        .size:           112
        .value_kind:     by_value
    .group_segment_fixed_size: 0
    .kernarg_segment_align: 8
    .kernarg_segment_size: 112
    .language:       OpenCL C
    .language_version:
      - 2
      - 0
    .max_flat_workgroup_size: 256
    .name:           _ZN7rocprim17ROCPRIM_400000_NS6detail17trampoline_kernelINS0_14default_configENS1_27scan_by_key_config_selectorIiiEEZZNS1_16scan_by_key_implILNS1_25lookback_scan_determinismE0ELb1ES3_N6thrust23THRUST_200600_302600_NS6detail15normal_iteratorINS9_10device_ptrIiEEEESE_SE_iNS9_4plusIvEENS9_8equal_toIvEEiEE10hipError_tPvRmT2_T3_T4_T5_mT6_T7_P12ihipStream_tbENKUlT_T0_E_clISt17integral_constantIbLb0EESZ_EEDaSU_SV_EUlSU_E_NS1_11comp_targetILNS1_3genE5ELNS1_11target_archE942ELNS1_3gpuE9ELNS1_3repE0EEENS1_30default_config_static_selectorELNS0_4arch9wavefront6targetE1EEEvT1_
    .private_segment_fixed_size: 0
    .sgpr_count:     4
    .sgpr_spill_count: 0
    .symbol:         _ZN7rocprim17ROCPRIM_400000_NS6detail17trampoline_kernelINS0_14default_configENS1_27scan_by_key_config_selectorIiiEEZZNS1_16scan_by_key_implILNS1_25lookback_scan_determinismE0ELb1ES3_N6thrust23THRUST_200600_302600_NS6detail15normal_iteratorINS9_10device_ptrIiEEEESE_SE_iNS9_4plusIvEENS9_8equal_toIvEEiEE10hipError_tPvRmT2_T3_T4_T5_mT6_T7_P12ihipStream_tbENKUlT_T0_E_clISt17integral_constantIbLb0EESZ_EEDaSU_SV_EUlSU_E_NS1_11comp_targetILNS1_3genE5ELNS1_11target_archE942ELNS1_3gpuE9ELNS1_3repE0EEENS1_30default_config_static_selectorELNS0_4arch9wavefront6targetE1EEEvT1_.kd
    .uniform_work_group_size: 1
    .uses_dynamic_stack: false
    .vgpr_count:     0
    .vgpr_spill_count: 0
    .wavefront_size: 64
  - .agpr_count:     0
    .args:
      - .offset:         0
        .size:           112
        .value_kind:     by_value
    .group_segment_fixed_size: 16384
    .kernarg_segment_align: 8
    .kernarg_segment_size: 112
    .language:       OpenCL C
    .language_version:
      - 2
      - 0
    .max_flat_workgroup_size: 256
    .name:           _ZN7rocprim17ROCPRIM_400000_NS6detail17trampoline_kernelINS0_14default_configENS1_27scan_by_key_config_selectorIiiEEZZNS1_16scan_by_key_implILNS1_25lookback_scan_determinismE0ELb1ES3_N6thrust23THRUST_200600_302600_NS6detail15normal_iteratorINS9_10device_ptrIiEEEESE_SE_iNS9_4plusIvEENS9_8equal_toIvEEiEE10hipError_tPvRmT2_T3_T4_T5_mT6_T7_P12ihipStream_tbENKUlT_T0_E_clISt17integral_constantIbLb0EESZ_EEDaSU_SV_EUlSU_E_NS1_11comp_targetILNS1_3genE4ELNS1_11target_archE910ELNS1_3gpuE8ELNS1_3repE0EEENS1_30default_config_static_selectorELNS0_4arch9wavefront6targetE1EEEvT1_
    .private_segment_fixed_size: 0
    .sgpr_count:     64
    .sgpr_spill_count: 0
    .symbol:         _ZN7rocprim17ROCPRIM_400000_NS6detail17trampoline_kernelINS0_14default_configENS1_27scan_by_key_config_selectorIiiEEZZNS1_16scan_by_key_implILNS1_25lookback_scan_determinismE0ELb1ES3_N6thrust23THRUST_200600_302600_NS6detail15normal_iteratorINS9_10device_ptrIiEEEESE_SE_iNS9_4plusIvEENS9_8equal_toIvEEiEE10hipError_tPvRmT2_T3_T4_T5_mT6_T7_P12ihipStream_tbENKUlT_T0_E_clISt17integral_constantIbLb0EESZ_EEDaSU_SV_EUlSU_E_NS1_11comp_targetILNS1_3genE4ELNS1_11target_archE910ELNS1_3gpuE8ELNS1_3repE0EEENS1_30default_config_static_selectorELNS0_4arch9wavefront6targetE1EEEvT1_.kd
    .uniform_work_group_size: 1
    .uses_dynamic_stack: false
    .vgpr_count:     65
    .vgpr_spill_count: 0
    .wavefront_size: 64
  - .agpr_count:     0
    .args:
      - .offset:         0
        .size:           112
        .value_kind:     by_value
    .group_segment_fixed_size: 0
    .kernarg_segment_align: 8
    .kernarg_segment_size: 112
    .language:       OpenCL C
    .language_version:
      - 2
      - 0
    .max_flat_workgroup_size: 256
    .name:           _ZN7rocprim17ROCPRIM_400000_NS6detail17trampoline_kernelINS0_14default_configENS1_27scan_by_key_config_selectorIiiEEZZNS1_16scan_by_key_implILNS1_25lookback_scan_determinismE0ELb1ES3_N6thrust23THRUST_200600_302600_NS6detail15normal_iteratorINS9_10device_ptrIiEEEESE_SE_iNS9_4plusIvEENS9_8equal_toIvEEiEE10hipError_tPvRmT2_T3_T4_T5_mT6_T7_P12ihipStream_tbENKUlT_T0_E_clISt17integral_constantIbLb0EESZ_EEDaSU_SV_EUlSU_E_NS1_11comp_targetILNS1_3genE3ELNS1_11target_archE908ELNS1_3gpuE7ELNS1_3repE0EEENS1_30default_config_static_selectorELNS0_4arch9wavefront6targetE1EEEvT1_
    .private_segment_fixed_size: 0
    .sgpr_count:     4
    .sgpr_spill_count: 0
    .symbol:         _ZN7rocprim17ROCPRIM_400000_NS6detail17trampoline_kernelINS0_14default_configENS1_27scan_by_key_config_selectorIiiEEZZNS1_16scan_by_key_implILNS1_25lookback_scan_determinismE0ELb1ES3_N6thrust23THRUST_200600_302600_NS6detail15normal_iteratorINS9_10device_ptrIiEEEESE_SE_iNS9_4plusIvEENS9_8equal_toIvEEiEE10hipError_tPvRmT2_T3_T4_T5_mT6_T7_P12ihipStream_tbENKUlT_T0_E_clISt17integral_constantIbLb0EESZ_EEDaSU_SV_EUlSU_E_NS1_11comp_targetILNS1_3genE3ELNS1_11target_archE908ELNS1_3gpuE7ELNS1_3repE0EEENS1_30default_config_static_selectorELNS0_4arch9wavefront6targetE1EEEvT1_.kd
    .uniform_work_group_size: 1
    .uses_dynamic_stack: false
    .vgpr_count:     0
    .vgpr_spill_count: 0
    .wavefront_size: 64
  - .agpr_count:     0
    .args:
      - .offset:         0
        .size:           112
        .value_kind:     by_value
    .group_segment_fixed_size: 0
    .kernarg_segment_align: 8
    .kernarg_segment_size: 112
    .language:       OpenCL C
    .language_version:
      - 2
      - 0
    .max_flat_workgroup_size: 256
    .name:           _ZN7rocprim17ROCPRIM_400000_NS6detail17trampoline_kernelINS0_14default_configENS1_27scan_by_key_config_selectorIiiEEZZNS1_16scan_by_key_implILNS1_25lookback_scan_determinismE0ELb1ES3_N6thrust23THRUST_200600_302600_NS6detail15normal_iteratorINS9_10device_ptrIiEEEESE_SE_iNS9_4plusIvEENS9_8equal_toIvEEiEE10hipError_tPvRmT2_T3_T4_T5_mT6_T7_P12ihipStream_tbENKUlT_T0_E_clISt17integral_constantIbLb0EESZ_EEDaSU_SV_EUlSU_E_NS1_11comp_targetILNS1_3genE2ELNS1_11target_archE906ELNS1_3gpuE6ELNS1_3repE0EEENS1_30default_config_static_selectorELNS0_4arch9wavefront6targetE1EEEvT1_
    .private_segment_fixed_size: 0
    .sgpr_count:     4
    .sgpr_spill_count: 0
    .symbol:         _ZN7rocprim17ROCPRIM_400000_NS6detail17trampoline_kernelINS0_14default_configENS1_27scan_by_key_config_selectorIiiEEZZNS1_16scan_by_key_implILNS1_25lookback_scan_determinismE0ELb1ES3_N6thrust23THRUST_200600_302600_NS6detail15normal_iteratorINS9_10device_ptrIiEEEESE_SE_iNS9_4plusIvEENS9_8equal_toIvEEiEE10hipError_tPvRmT2_T3_T4_T5_mT6_T7_P12ihipStream_tbENKUlT_T0_E_clISt17integral_constantIbLb0EESZ_EEDaSU_SV_EUlSU_E_NS1_11comp_targetILNS1_3genE2ELNS1_11target_archE906ELNS1_3gpuE6ELNS1_3repE0EEENS1_30default_config_static_selectorELNS0_4arch9wavefront6targetE1EEEvT1_.kd
    .uniform_work_group_size: 1
    .uses_dynamic_stack: false
    .vgpr_count:     0
    .vgpr_spill_count: 0
    .wavefront_size: 64
  - .agpr_count:     0
    .args:
      - .offset:         0
        .size:           112
        .value_kind:     by_value
    .group_segment_fixed_size: 0
    .kernarg_segment_align: 8
    .kernarg_segment_size: 112
    .language:       OpenCL C
    .language_version:
      - 2
      - 0
    .max_flat_workgroup_size: 256
    .name:           _ZN7rocprim17ROCPRIM_400000_NS6detail17trampoline_kernelINS0_14default_configENS1_27scan_by_key_config_selectorIiiEEZZNS1_16scan_by_key_implILNS1_25lookback_scan_determinismE0ELb1ES3_N6thrust23THRUST_200600_302600_NS6detail15normal_iteratorINS9_10device_ptrIiEEEESE_SE_iNS9_4plusIvEENS9_8equal_toIvEEiEE10hipError_tPvRmT2_T3_T4_T5_mT6_T7_P12ihipStream_tbENKUlT_T0_E_clISt17integral_constantIbLb0EESZ_EEDaSU_SV_EUlSU_E_NS1_11comp_targetILNS1_3genE10ELNS1_11target_archE1200ELNS1_3gpuE4ELNS1_3repE0EEENS1_30default_config_static_selectorELNS0_4arch9wavefront6targetE1EEEvT1_
    .private_segment_fixed_size: 0
    .sgpr_count:     4
    .sgpr_spill_count: 0
    .symbol:         _ZN7rocprim17ROCPRIM_400000_NS6detail17trampoline_kernelINS0_14default_configENS1_27scan_by_key_config_selectorIiiEEZZNS1_16scan_by_key_implILNS1_25lookback_scan_determinismE0ELb1ES3_N6thrust23THRUST_200600_302600_NS6detail15normal_iteratorINS9_10device_ptrIiEEEESE_SE_iNS9_4plusIvEENS9_8equal_toIvEEiEE10hipError_tPvRmT2_T3_T4_T5_mT6_T7_P12ihipStream_tbENKUlT_T0_E_clISt17integral_constantIbLb0EESZ_EEDaSU_SV_EUlSU_E_NS1_11comp_targetILNS1_3genE10ELNS1_11target_archE1200ELNS1_3gpuE4ELNS1_3repE0EEENS1_30default_config_static_selectorELNS0_4arch9wavefront6targetE1EEEvT1_.kd
    .uniform_work_group_size: 1
    .uses_dynamic_stack: false
    .vgpr_count:     0
    .vgpr_spill_count: 0
    .wavefront_size: 64
  - .agpr_count:     0
    .args:
      - .offset:         0
        .size:           112
        .value_kind:     by_value
    .group_segment_fixed_size: 0
    .kernarg_segment_align: 8
    .kernarg_segment_size: 112
    .language:       OpenCL C
    .language_version:
      - 2
      - 0
    .max_flat_workgroup_size: 256
    .name:           _ZN7rocprim17ROCPRIM_400000_NS6detail17trampoline_kernelINS0_14default_configENS1_27scan_by_key_config_selectorIiiEEZZNS1_16scan_by_key_implILNS1_25lookback_scan_determinismE0ELb1ES3_N6thrust23THRUST_200600_302600_NS6detail15normal_iteratorINS9_10device_ptrIiEEEESE_SE_iNS9_4plusIvEENS9_8equal_toIvEEiEE10hipError_tPvRmT2_T3_T4_T5_mT6_T7_P12ihipStream_tbENKUlT_T0_E_clISt17integral_constantIbLb0EESZ_EEDaSU_SV_EUlSU_E_NS1_11comp_targetILNS1_3genE9ELNS1_11target_archE1100ELNS1_3gpuE3ELNS1_3repE0EEENS1_30default_config_static_selectorELNS0_4arch9wavefront6targetE1EEEvT1_
    .private_segment_fixed_size: 0
    .sgpr_count:     4
    .sgpr_spill_count: 0
    .symbol:         _ZN7rocprim17ROCPRIM_400000_NS6detail17trampoline_kernelINS0_14default_configENS1_27scan_by_key_config_selectorIiiEEZZNS1_16scan_by_key_implILNS1_25lookback_scan_determinismE0ELb1ES3_N6thrust23THRUST_200600_302600_NS6detail15normal_iteratorINS9_10device_ptrIiEEEESE_SE_iNS9_4plusIvEENS9_8equal_toIvEEiEE10hipError_tPvRmT2_T3_T4_T5_mT6_T7_P12ihipStream_tbENKUlT_T0_E_clISt17integral_constantIbLb0EESZ_EEDaSU_SV_EUlSU_E_NS1_11comp_targetILNS1_3genE9ELNS1_11target_archE1100ELNS1_3gpuE3ELNS1_3repE0EEENS1_30default_config_static_selectorELNS0_4arch9wavefront6targetE1EEEvT1_.kd
    .uniform_work_group_size: 1
    .uses_dynamic_stack: false
    .vgpr_count:     0
    .vgpr_spill_count: 0
    .wavefront_size: 64
  - .agpr_count:     0
    .args:
      - .offset:         0
        .size:           112
        .value_kind:     by_value
    .group_segment_fixed_size: 0
    .kernarg_segment_align: 8
    .kernarg_segment_size: 112
    .language:       OpenCL C
    .language_version:
      - 2
      - 0
    .max_flat_workgroup_size: 256
    .name:           _ZN7rocprim17ROCPRIM_400000_NS6detail17trampoline_kernelINS0_14default_configENS1_27scan_by_key_config_selectorIiiEEZZNS1_16scan_by_key_implILNS1_25lookback_scan_determinismE0ELb1ES3_N6thrust23THRUST_200600_302600_NS6detail15normal_iteratorINS9_10device_ptrIiEEEESE_SE_iNS9_4plusIvEENS9_8equal_toIvEEiEE10hipError_tPvRmT2_T3_T4_T5_mT6_T7_P12ihipStream_tbENKUlT_T0_E_clISt17integral_constantIbLb0EESZ_EEDaSU_SV_EUlSU_E_NS1_11comp_targetILNS1_3genE8ELNS1_11target_archE1030ELNS1_3gpuE2ELNS1_3repE0EEENS1_30default_config_static_selectorELNS0_4arch9wavefront6targetE1EEEvT1_
    .private_segment_fixed_size: 0
    .sgpr_count:     4
    .sgpr_spill_count: 0
    .symbol:         _ZN7rocprim17ROCPRIM_400000_NS6detail17trampoline_kernelINS0_14default_configENS1_27scan_by_key_config_selectorIiiEEZZNS1_16scan_by_key_implILNS1_25lookback_scan_determinismE0ELb1ES3_N6thrust23THRUST_200600_302600_NS6detail15normal_iteratorINS9_10device_ptrIiEEEESE_SE_iNS9_4plusIvEENS9_8equal_toIvEEiEE10hipError_tPvRmT2_T3_T4_T5_mT6_T7_P12ihipStream_tbENKUlT_T0_E_clISt17integral_constantIbLb0EESZ_EEDaSU_SV_EUlSU_E_NS1_11comp_targetILNS1_3genE8ELNS1_11target_archE1030ELNS1_3gpuE2ELNS1_3repE0EEENS1_30default_config_static_selectorELNS0_4arch9wavefront6targetE1EEEvT1_.kd
    .uniform_work_group_size: 1
    .uses_dynamic_stack: false
    .vgpr_count:     0
    .vgpr_spill_count: 0
    .wavefront_size: 64
  - .agpr_count:     0
    .args:
      - .offset:         0
        .size:           112
        .value_kind:     by_value
    .group_segment_fixed_size: 0
    .kernarg_segment_align: 8
    .kernarg_segment_size: 112
    .language:       OpenCL C
    .language_version:
      - 2
      - 0
    .max_flat_workgroup_size: 256
    .name:           _ZN7rocprim17ROCPRIM_400000_NS6detail17trampoline_kernelINS0_14default_configENS1_27scan_by_key_config_selectorIiiEEZZNS1_16scan_by_key_implILNS1_25lookback_scan_determinismE0ELb1ES3_N6thrust23THRUST_200600_302600_NS6detail15normal_iteratorINS9_10device_ptrIiEEEESE_SE_iNS9_4plusIvEENS9_8equal_toIvEEiEE10hipError_tPvRmT2_T3_T4_T5_mT6_T7_P12ihipStream_tbENKUlT_T0_E_clISt17integral_constantIbLb1EESZ_EEDaSU_SV_EUlSU_E_NS1_11comp_targetILNS1_3genE0ELNS1_11target_archE4294967295ELNS1_3gpuE0ELNS1_3repE0EEENS1_30default_config_static_selectorELNS0_4arch9wavefront6targetE1EEEvT1_
    .private_segment_fixed_size: 0
    .sgpr_count:     4
    .sgpr_spill_count: 0
    .symbol:         _ZN7rocprim17ROCPRIM_400000_NS6detail17trampoline_kernelINS0_14default_configENS1_27scan_by_key_config_selectorIiiEEZZNS1_16scan_by_key_implILNS1_25lookback_scan_determinismE0ELb1ES3_N6thrust23THRUST_200600_302600_NS6detail15normal_iteratorINS9_10device_ptrIiEEEESE_SE_iNS9_4plusIvEENS9_8equal_toIvEEiEE10hipError_tPvRmT2_T3_T4_T5_mT6_T7_P12ihipStream_tbENKUlT_T0_E_clISt17integral_constantIbLb1EESZ_EEDaSU_SV_EUlSU_E_NS1_11comp_targetILNS1_3genE0ELNS1_11target_archE4294967295ELNS1_3gpuE0ELNS1_3repE0EEENS1_30default_config_static_selectorELNS0_4arch9wavefront6targetE1EEEvT1_.kd
    .uniform_work_group_size: 1
    .uses_dynamic_stack: false
    .vgpr_count:     0
    .vgpr_spill_count: 0
    .wavefront_size: 64
  - .agpr_count:     0
    .args:
      - .offset:         0
        .size:           112
        .value_kind:     by_value
    .group_segment_fixed_size: 0
    .kernarg_segment_align: 8
    .kernarg_segment_size: 112
    .language:       OpenCL C
    .language_version:
      - 2
      - 0
    .max_flat_workgroup_size: 256
    .name:           _ZN7rocprim17ROCPRIM_400000_NS6detail17trampoline_kernelINS0_14default_configENS1_27scan_by_key_config_selectorIiiEEZZNS1_16scan_by_key_implILNS1_25lookback_scan_determinismE0ELb1ES3_N6thrust23THRUST_200600_302600_NS6detail15normal_iteratorINS9_10device_ptrIiEEEESE_SE_iNS9_4plusIvEENS9_8equal_toIvEEiEE10hipError_tPvRmT2_T3_T4_T5_mT6_T7_P12ihipStream_tbENKUlT_T0_E_clISt17integral_constantIbLb1EESZ_EEDaSU_SV_EUlSU_E_NS1_11comp_targetILNS1_3genE10ELNS1_11target_archE1201ELNS1_3gpuE5ELNS1_3repE0EEENS1_30default_config_static_selectorELNS0_4arch9wavefront6targetE1EEEvT1_
    .private_segment_fixed_size: 0
    .sgpr_count:     4
    .sgpr_spill_count: 0
    .symbol:         _ZN7rocprim17ROCPRIM_400000_NS6detail17trampoline_kernelINS0_14default_configENS1_27scan_by_key_config_selectorIiiEEZZNS1_16scan_by_key_implILNS1_25lookback_scan_determinismE0ELb1ES3_N6thrust23THRUST_200600_302600_NS6detail15normal_iteratorINS9_10device_ptrIiEEEESE_SE_iNS9_4plusIvEENS9_8equal_toIvEEiEE10hipError_tPvRmT2_T3_T4_T5_mT6_T7_P12ihipStream_tbENKUlT_T0_E_clISt17integral_constantIbLb1EESZ_EEDaSU_SV_EUlSU_E_NS1_11comp_targetILNS1_3genE10ELNS1_11target_archE1201ELNS1_3gpuE5ELNS1_3repE0EEENS1_30default_config_static_selectorELNS0_4arch9wavefront6targetE1EEEvT1_.kd
    .uniform_work_group_size: 1
    .uses_dynamic_stack: false
    .vgpr_count:     0
    .vgpr_spill_count: 0
    .wavefront_size: 64
  - .agpr_count:     0
    .args:
      - .offset:         0
        .size:           112
        .value_kind:     by_value
    .group_segment_fixed_size: 0
    .kernarg_segment_align: 8
    .kernarg_segment_size: 112
    .language:       OpenCL C
    .language_version:
      - 2
      - 0
    .max_flat_workgroup_size: 256
    .name:           _ZN7rocprim17ROCPRIM_400000_NS6detail17trampoline_kernelINS0_14default_configENS1_27scan_by_key_config_selectorIiiEEZZNS1_16scan_by_key_implILNS1_25lookback_scan_determinismE0ELb1ES3_N6thrust23THRUST_200600_302600_NS6detail15normal_iteratorINS9_10device_ptrIiEEEESE_SE_iNS9_4plusIvEENS9_8equal_toIvEEiEE10hipError_tPvRmT2_T3_T4_T5_mT6_T7_P12ihipStream_tbENKUlT_T0_E_clISt17integral_constantIbLb1EESZ_EEDaSU_SV_EUlSU_E_NS1_11comp_targetILNS1_3genE5ELNS1_11target_archE942ELNS1_3gpuE9ELNS1_3repE0EEENS1_30default_config_static_selectorELNS0_4arch9wavefront6targetE1EEEvT1_
    .private_segment_fixed_size: 0
    .sgpr_count:     4
    .sgpr_spill_count: 0
    .symbol:         _ZN7rocprim17ROCPRIM_400000_NS6detail17trampoline_kernelINS0_14default_configENS1_27scan_by_key_config_selectorIiiEEZZNS1_16scan_by_key_implILNS1_25lookback_scan_determinismE0ELb1ES3_N6thrust23THRUST_200600_302600_NS6detail15normal_iteratorINS9_10device_ptrIiEEEESE_SE_iNS9_4plusIvEENS9_8equal_toIvEEiEE10hipError_tPvRmT2_T3_T4_T5_mT6_T7_P12ihipStream_tbENKUlT_T0_E_clISt17integral_constantIbLb1EESZ_EEDaSU_SV_EUlSU_E_NS1_11comp_targetILNS1_3genE5ELNS1_11target_archE942ELNS1_3gpuE9ELNS1_3repE0EEENS1_30default_config_static_selectorELNS0_4arch9wavefront6targetE1EEEvT1_.kd
    .uniform_work_group_size: 1
    .uses_dynamic_stack: false
    .vgpr_count:     0
    .vgpr_spill_count: 0
    .wavefront_size: 64
  - .agpr_count:     0
    .args:
      - .offset:         0
        .size:           112
        .value_kind:     by_value
    .group_segment_fixed_size: 16384
    .kernarg_segment_align: 8
    .kernarg_segment_size: 112
    .language:       OpenCL C
    .language_version:
      - 2
      - 0
    .max_flat_workgroup_size: 256
    .name:           _ZN7rocprim17ROCPRIM_400000_NS6detail17trampoline_kernelINS0_14default_configENS1_27scan_by_key_config_selectorIiiEEZZNS1_16scan_by_key_implILNS1_25lookback_scan_determinismE0ELb1ES3_N6thrust23THRUST_200600_302600_NS6detail15normal_iteratorINS9_10device_ptrIiEEEESE_SE_iNS9_4plusIvEENS9_8equal_toIvEEiEE10hipError_tPvRmT2_T3_T4_T5_mT6_T7_P12ihipStream_tbENKUlT_T0_E_clISt17integral_constantIbLb1EESZ_EEDaSU_SV_EUlSU_E_NS1_11comp_targetILNS1_3genE4ELNS1_11target_archE910ELNS1_3gpuE8ELNS1_3repE0EEENS1_30default_config_static_selectorELNS0_4arch9wavefront6targetE1EEEvT1_
    .private_segment_fixed_size: 0
    .sgpr_count:     64
    .sgpr_spill_count: 0
    .symbol:         _ZN7rocprim17ROCPRIM_400000_NS6detail17trampoline_kernelINS0_14default_configENS1_27scan_by_key_config_selectorIiiEEZZNS1_16scan_by_key_implILNS1_25lookback_scan_determinismE0ELb1ES3_N6thrust23THRUST_200600_302600_NS6detail15normal_iteratorINS9_10device_ptrIiEEEESE_SE_iNS9_4plusIvEENS9_8equal_toIvEEiEE10hipError_tPvRmT2_T3_T4_T5_mT6_T7_P12ihipStream_tbENKUlT_T0_E_clISt17integral_constantIbLb1EESZ_EEDaSU_SV_EUlSU_E_NS1_11comp_targetILNS1_3genE4ELNS1_11target_archE910ELNS1_3gpuE8ELNS1_3repE0EEENS1_30default_config_static_selectorELNS0_4arch9wavefront6targetE1EEEvT1_.kd
    .uniform_work_group_size: 1
    .uses_dynamic_stack: false
    .vgpr_count:     67
    .vgpr_spill_count: 0
    .wavefront_size: 64
  - .agpr_count:     0
    .args:
      - .offset:         0
        .size:           112
        .value_kind:     by_value
    .group_segment_fixed_size: 0
    .kernarg_segment_align: 8
    .kernarg_segment_size: 112
    .language:       OpenCL C
    .language_version:
      - 2
      - 0
    .max_flat_workgroup_size: 256
    .name:           _ZN7rocprim17ROCPRIM_400000_NS6detail17trampoline_kernelINS0_14default_configENS1_27scan_by_key_config_selectorIiiEEZZNS1_16scan_by_key_implILNS1_25lookback_scan_determinismE0ELb1ES3_N6thrust23THRUST_200600_302600_NS6detail15normal_iteratorINS9_10device_ptrIiEEEESE_SE_iNS9_4plusIvEENS9_8equal_toIvEEiEE10hipError_tPvRmT2_T3_T4_T5_mT6_T7_P12ihipStream_tbENKUlT_T0_E_clISt17integral_constantIbLb1EESZ_EEDaSU_SV_EUlSU_E_NS1_11comp_targetILNS1_3genE3ELNS1_11target_archE908ELNS1_3gpuE7ELNS1_3repE0EEENS1_30default_config_static_selectorELNS0_4arch9wavefront6targetE1EEEvT1_
    .private_segment_fixed_size: 0
    .sgpr_count:     4
    .sgpr_spill_count: 0
    .symbol:         _ZN7rocprim17ROCPRIM_400000_NS6detail17trampoline_kernelINS0_14default_configENS1_27scan_by_key_config_selectorIiiEEZZNS1_16scan_by_key_implILNS1_25lookback_scan_determinismE0ELb1ES3_N6thrust23THRUST_200600_302600_NS6detail15normal_iteratorINS9_10device_ptrIiEEEESE_SE_iNS9_4plusIvEENS9_8equal_toIvEEiEE10hipError_tPvRmT2_T3_T4_T5_mT6_T7_P12ihipStream_tbENKUlT_T0_E_clISt17integral_constantIbLb1EESZ_EEDaSU_SV_EUlSU_E_NS1_11comp_targetILNS1_3genE3ELNS1_11target_archE908ELNS1_3gpuE7ELNS1_3repE0EEENS1_30default_config_static_selectorELNS0_4arch9wavefront6targetE1EEEvT1_.kd
    .uniform_work_group_size: 1
    .uses_dynamic_stack: false
    .vgpr_count:     0
    .vgpr_spill_count: 0
    .wavefront_size: 64
  - .agpr_count:     0
    .args:
      - .offset:         0
        .size:           112
        .value_kind:     by_value
    .group_segment_fixed_size: 0
    .kernarg_segment_align: 8
    .kernarg_segment_size: 112
    .language:       OpenCL C
    .language_version:
      - 2
      - 0
    .max_flat_workgroup_size: 256
    .name:           _ZN7rocprim17ROCPRIM_400000_NS6detail17trampoline_kernelINS0_14default_configENS1_27scan_by_key_config_selectorIiiEEZZNS1_16scan_by_key_implILNS1_25lookback_scan_determinismE0ELb1ES3_N6thrust23THRUST_200600_302600_NS6detail15normal_iteratorINS9_10device_ptrIiEEEESE_SE_iNS9_4plusIvEENS9_8equal_toIvEEiEE10hipError_tPvRmT2_T3_T4_T5_mT6_T7_P12ihipStream_tbENKUlT_T0_E_clISt17integral_constantIbLb1EESZ_EEDaSU_SV_EUlSU_E_NS1_11comp_targetILNS1_3genE2ELNS1_11target_archE906ELNS1_3gpuE6ELNS1_3repE0EEENS1_30default_config_static_selectorELNS0_4arch9wavefront6targetE1EEEvT1_
    .private_segment_fixed_size: 0
    .sgpr_count:     4
    .sgpr_spill_count: 0
    .symbol:         _ZN7rocprim17ROCPRIM_400000_NS6detail17trampoline_kernelINS0_14default_configENS1_27scan_by_key_config_selectorIiiEEZZNS1_16scan_by_key_implILNS1_25lookback_scan_determinismE0ELb1ES3_N6thrust23THRUST_200600_302600_NS6detail15normal_iteratorINS9_10device_ptrIiEEEESE_SE_iNS9_4plusIvEENS9_8equal_toIvEEiEE10hipError_tPvRmT2_T3_T4_T5_mT6_T7_P12ihipStream_tbENKUlT_T0_E_clISt17integral_constantIbLb1EESZ_EEDaSU_SV_EUlSU_E_NS1_11comp_targetILNS1_3genE2ELNS1_11target_archE906ELNS1_3gpuE6ELNS1_3repE0EEENS1_30default_config_static_selectorELNS0_4arch9wavefront6targetE1EEEvT1_.kd
    .uniform_work_group_size: 1
    .uses_dynamic_stack: false
    .vgpr_count:     0
    .vgpr_spill_count: 0
    .wavefront_size: 64
  - .agpr_count:     0
    .args:
      - .offset:         0
        .size:           112
        .value_kind:     by_value
    .group_segment_fixed_size: 0
    .kernarg_segment_align: 8
    .kernarg_segment_size: 112
    .language:       OpenCL C
    .language_version:
      - 2
      - 0
    .max_flat_workgroup_size: 256
    .name:           _ZN7rocprim17ROCPRIM_400000_NS6detail17trampoline_kernelINS0_14default_configENS1_27scan_by_key_config_selectorIiiEEZZNS1_16scan_by_key_implILNS1_25lookback_scan_determinismE0ELb1ES3_N6thrust23THRUST_200600_302600_NS6detail15normal_iteratorINS9_10device_ptrIiEEEESE_SE_iNS9_4plusIvEENS9_8equal_toIvEEiEE10hipError_tPvRmT2_T3_T4_T5_mT6_T7_P12ihipStream_tbENKUlT_T0_E_clISt17integral_constantIbLb1EESZ_EEDaSU_SV_EUlSU_E_NS1_11comp_targetILNS1_3genE10ELNS1_11target_archE1200ELNS1_3gpuE4ELNS1_3repE0EEENS1_30default_config_static_selectorELNS0_4arch9wavefront6targetE1EEEvT1_
    .private_segment_fixed_size: 0
    .sgpr_count:     4
    .sgpr_spill_count: 0
    .symbol:         _ZN7rocprim17ROCPRIM_400000_NS6detail17trampoline_kernelINS0_14default_configENS1_27scan_by_key_config_selectorIiiEEZZNS1_16scan_by_key_implILNS1_25lookback_scan_determinismE0ELb1ES3_N6thrust23THRUST_200600_302600_NS6detail15normal_iteratorINS9_10device_ptrIiEEEESE_SE_iNS9_4plusIvEENS9_8equal_toIvEEiEE10hipError_tPvRmT2_T3_T4_T5_mT6_T7_P12ihipStream_tbENKUlT_T0_E_clISt17integral_constantIbLb1EESZ_EEDaSU_SV_EUlSU_E_NS1_11comp_targetILNS1_3genE10ELNS1_11target_archE1200ELNS1_3gpuE4ELNS1_3repE0EEENS1_30default_config_static_selectorELNS0_4arch9wavefront6targetE1EEEvT1_.kd
    .uniform_work_group_size: 1
    .uses_dynamic_stack: false
    .vgpr_count:     0
    .vgpr_spill_count: 0
    .wavefront_size: 64
  - .agpr_count:     0
    .args:
      - .offset:         0
        .size:           112
        .value_kind:     by_value
    .group_segment_fixed_size: 0
    .kernarg_segment_align: 8
    .kernarg_segment_size: 112
    .language:       OpenCL C
    .language_version:
      - 2
      - 0
    .max_flat_workgroup_size: 256
    .name:           _ZN7rocprim17ROCPRIM_400000_NS6detail17trampoline_kernelINS0_14default_configENS1_27scan_by_key_config_selectorIiiEEZZNS1_16scan_by_key_implILNS1_25lookback_scan_determinismE0ELb1ES3_N6thrust23THRUST_200600_302600_NS6detail15normal_iteratorINS9_10device_ptrIiEEEESE_SE_iNS9_4plusIvEENS9_8equal_toIvEEiEE10hipError_tPvRmT2_T3_T4_T5_mT6_T7_P12ihipStream_tbENKUlT_T0_E_clISt17integral_constantIbLb1EESZ_EEDaSU_SV_EUlSU_E_NS1_11comp_targetILNS1_3genE9ELNS1_11target_archE1100ELNS1_3gpuE3ELNS1_3repE0EEENS1_30default_config_static_selectorELNS0_4arch9wavefront6targetE1EEEvT1_
    .private_segment_fixed_size: 0
    .sgpr_count:     4
    .sgpr_spill_count: 0
    .symbol:         _ZN7rocprim17ROCPRIM_400000_NS6detail17trampoline_kernelINS0_14default_configENS1_27scan_by_key_config_selectorIiiEEZZNS1_16scan_by_key_implILNS1_25lookback_scan_determinismE0ELb1ES3_N6thrust23THRUST_200600_302600_NS6detail15normal_iteratorINS9_10device_ptrIiEEEESE_SE_iNS9_4plusIvEENS9_8equal_toIvEEiEE10hipError_tPvRmT2_T3_T4_T5_mT6_T7_P12ihipStream_tbENKUlT_T0_E_clISt17integral_constantIbLb1EESZ_EEDaSU_SV_EUlSU_E_NS1_11comp_targetILNS1_3genE9ELNS1_11target_archE1100ELNS1_3gpuE3ELNS1_3repE0EEENS1_30default_config_static_selectorELNS0_4arch9wavefront6targetE1EEEvT1_.kd
    .uniform_work_group_size: 1
    .uses_dynamic_stack: false
    .vgpr_count:     0
    .vgpr_spill_count: 0
    .wavefront_size: 64
  - .agpr_count:     0
    .args:
      - .offset:         0
        .size:           112
        .value_kind:     by_value
    .group_segment_fixed_size: 0
    .kernarg_segment_align: 8
    .kernarg_segment_size: 112
    .language:       OpenCL C
    .language_version:
      - 2
      - 0
    .max_flat_workgroup_size: 256
    .name:           _ZN7rocprim17ROCPRIM_400000_NS6detail17trampoline_kernelINS0_14default_configENS1_27scan_by_key_config_selectorIiiEEZZNS1_16scan_by_key_implILNS1_25lookback_scan_determinismE0ELb1ES3_N6thrust23THRUST_200600_302600_NS6detail15normal_iteratorINS9_10device_ptrIiEEEESE_SE_iNS9_4plusIvEENS9_8equal_toIvEEiEE10hipError_tPvRmT2_T3_T4_T5_mT6_T7_P12ihipStream_tbENKUlT_T0_E_clISt17integral_constantIbLb1EESZ_EEDaSU_SV_EUlSU_E_NS1_11comp_targetILNS1_3genE8ELNS1_11target_archE1030ELNS1_3gpuE2ELNS1_3repE0EEENS1_30default_config_static_selectorELNS0_4arch9wavefront6targetE1EEEvT1_
    .private_segment_fixed_size: 0
    .sgpr_count:     4
    .sgpr_spill_count: 0
    .symbol:         _ZN7rocprim17ROCPRIM_400000_NS6detail17trampoline_kernelINS0_14default_configENS1_27scan_by_key_config_selectorIiiEEZZNS1_16scan_by_key_implILNS1_25lookback_scan_determinismE0ELb1ES3_N6thrust23THRUST_200600_302600_NS6detail15normal_iteratorINS9_10device_ptrIiEEEESE_SE_iNS9_4plusIvEENS9_8equal_toIvEEiEE10hipError_tPvRmT2_T3_T4_T5_mT6_T7_P12ihipStream_tbENKUlT_T0_E_clISt17integral_constantIbLb1EESZ_EEDaSU_SV_EUlSU_E_NS1_11comp_targetILNS1_3genE8ELNS1_11target_archE1030ELNS1_3gpuE2ELNS1_3repE0EEENS1_30default_config_static_selectorELNS0_4arch9wavefront6targetE1EEEvT1_.kd
    .uniform_work_group_size: 1
    .uses_dynamic_stack: false
    .vgpr_count:     0
    .vgpr_spill_count: 0
    .wavefront_size: 64
  - .agpr_count:     0
    .args:
      - .offset:         0
        .size:           112
        .value_kind:     by_value
    .group_segment_fixed_size: 0
    .kernarg_segment_align: 8
    .kernarg_segment_size: 112
    .language:       OpenCL C
    .language_version:
      - 2
      - 0
    .max_flat_workgroup_size: 256
    .name:           _ZN7rocprim17ROCPRIM_400000_NS6detail17trampoline_kernelINS0_14default_configENS1_27scan_by_key_config_selectorIiiEEZZNS1_16scan_by_key_implILNS1_25lookback_scan_determinismE0ELb1ES3_N6thrust23THRUST_200600_302600_NS6detail15normal_iteratorINS9_10device_ptrIiEEEESE_SE_iNS9_4plusIvEENS9_8equal_toIvEEiEE10hipError_tPvRmT2_T3_T4_T5_mT6_T7_P12ihipStream_tbENKUlT_T0_E_clISt17integral_constantIbLb1EESY_IbLb0EEEEDaSU_SV_EUlSU_E_NS1_11comp_targetILNS1_3genE0ELNS1_11target_archE4294967295ELNS1_3gpuE0ELNS1_3repE0EEENS1_30default_config_static_selectorELNS0_4arch9wavefront6targetE1EEEvT1_
    .private_segment_fixed_size: 0
    .sgpr_count:     4
    .sgpr_spill_count: 0
    .symbol:         _ZN7rocprim17ROCPRIM_400000_NS6detail17trampoline_kernelINS0_14default_configENS1_27scan_by_key_config_selectorIiiEEZZNS1_16scan_by_key_implILNS1_25lookback_scan_determinismE0ELb1ES3_N6thrust23THRUST_200600_302600_NS6detail15normal_iteratorINS9_10device_ptrIiEEEESE_SE_iNS9_4plusIvEENS9_8equal_toIvEEiEE10hipError_tPvRmT2_T3_T4_T5_mT6_T7_P12ihipStream_tbENKUlT_T0_E_clISt17integral_constantIbLb1EESY_IbLb0EEEEDaSU_SV_EUlSU_E_NS1_11comp_targetILNS1_3genE0ELNS1_11target_archE4294967295ELNS1_3gpuE0ELNS1_3repE0EEENS1_30default_config_static_selectorELNS0_4arch9wavefront6targetE1EEEvT1_.kd
    .uniform_work_group_size: 1
    .uses_dynamic_stack: false
    .vgpr_count:     0
    .vgpr_spill_count: 0
    .wavefront_size: 64
  - .agpr_count:     0
    .args:
      - .offset:         0
        .size:           112
        .value_kind:     by_value
    .group_segment_fixed_size: 0
    .kernarg_segment_align: 8
    .kernarg_segment_size: 112
    .language:       OpenCL C
    .language_version:
      - 2
      - 0
    .max_flat_workgroup_size: 256
    .name:           _ZN7rocprim17ROCPRIM_400000_NS6detail17trampoline_kernelINS0_14default_configENS1_27scan_by_key_config_selectorIiiEEZZNS1_16scan_by_key_implILNS1_25lookback_scan_determinismE0ELb1ES3_N6thrust23THRUST_200600_302600_NS6detail15normal_iteratorINS9_10device_ptrIiEEEESE_SE_iNS9_4plusIvEENS9_8equal_toIvEEiEE10hipError_tPvRmT2_T3_T4_T5_mT6_T7_P12ihipStream_tbENKUlT_T0_E_clISt17integral_constantIbLb1EESY_IbLb0EEEEDaSU_SV_EUlSU_E_NS1_11comp_targetILNS1_3genE10ELNS1_11target_archE1201ELNS1_3gpuE5ELNS1_3repE0EEENS1_30default_config_static_selectorELNS0_4arch9wavefront6targetE1EEEvT1_
    .private_segment_fixed_size: 0
    .sgpr_count:     4
    .sgpr_spill_count: 0
    .symbol:         _ZN7rocprim17ROCPRIM_400000_NS6detail17trampoline_kernelINS0_14default_configENS1_27scan_by_key_config_selectorIiiEEZZNS1_16scan_by_key_implILNS1_25lookback_scan_determinismE0ELb1ES3_N6thrust23THRUST_200600_302600_NS6detail15normal_iteratorINS9_10device_ptrIiEEEESE_SE_iNS9_4plusIvEENS9_8equal_toIvEEiEE10hipError_tPvRmT2_T3_T4_T5_mT6_T7_P12ihipStream_tbENKUlT_T0_E_clISt17integral_constantIbLb1EESY_IbLb0EEEEDaSU_SV_EUlSU_E_NS1_11comp_targetILNS1_3genE10ELNS1_11target_archE1201ELNS1_3gpuE5ELNS1_3repE0EEENS1_30default_config_static_selectorELNS0_4arch9wavefront6targetE1EEEvT1_.kd
    .uniform_work_group_size: 1
    .uses_dynamic_stack: false
    .vgpr_count:     0
    .vgpr_spill_count: 0
    .wavefront_size: 64
  - .agpr_count:     0
    .args:
      - .offset:         0
        .size:           112
        .value_kind:     by_value
    .group_segment_fixed_size: 0
    .kernarg_segment_align: 8
    .kernarg_segment_size: 112
    .language:       OpenCL C
    .language_version:
      - 2
      - 0
    .max_flat_workgroup_size: 256
    .name:           _ZN7rocprim17ROCPRIM_400000_NS6detail17trampoline_kernelINS0_14default_configENS1_27scan_by_key_config_selectorIiiEEZZNS1_16scan_by_key_implILNS1_25lookback_scan_determinismE0ELb1ES3_N6thrust23THRUST_200600_302600_NS6detail15normal_iteratorINS9_10device_ptrIiEEEESE_SE_iNS9_4plusIvEENS9_8equal_toIvEEiEE10hipError_tPvRmT2_T3_T4_T5_mT6_T7_P12ihipStream_tbENKUlT_T0_E_clISt17integral_constantIbLb1EESY_IbLb0EEEEDaSU_SV_EUlSU_E_NS1_11comp_targetILNS1_3genE5ELNS1_11target_archE942ELNS1_3gpuE9ELNS1_3repE0EEENS1_30default_config_static_selectorELNS0_4arch9wavefront6targetE1EEEvT1_
    .private_segment_fixed_size: 0
    .sgpr_count:     4
    .sgpr_spill_count: 0
    .symbol:         _ZN7rocprim17ROCPRIM_400000_NS6detail17trampoline_kernelINS0_14default_configENS1_27scan_by_key_config_selectorIiiEEZZNS1_16scan_by_key_implILNS1_25lookback_scan_determinismE0ELb1ES3_N6thrust23THRUST_200600_302600_NS6detail15normal_iteratorINS9_10device_ptrIiEEEESE_SE_iNS9_4plusIvEENS9_8equal_toIvEEiEE10hipError_tPvRmT2_T3_T4_T5_mT6_T7_P12ihipStream_tbENKUlT_T0_E_clISt17integral_constantIbLb1EESY_IbLb0EEEEDaSU_SV_EUlSU_E_NS1_11comp_targetILNS1_3genE5ELNS1_11target_archE942ELNS1_3gpuE9ELNS1_3repE0EEENS1_30default_config_static_selectorELNS0_4arch9wavefront6targetE1EEEvT1_.kd
    .uniform_work_group_size: 1
    .uses_dynamic_stack: false
    .vgpr_count:     0
    .vgpr_spill_count: 0
    .wavefront_size: 64
  - .agpr_count:     0
    .args:
      - .offset:         0
        .size:           112
        .value_kind:     by_value
    .group_segment_fixed_size: 16384
    .kernarg_segment_align: 8
    .kernarg_segment_size: 112
    .language:       OpenCL C
    .language_version:
      - 2
      - 0
    .max_flat_workgroup_size: 256
    .name:           _ZN7rocprim17ROCPRIM_400000_NS6detail17trampoline_kernelINS0_14default_configENS1_27scan_by_key_config_selectorIiiEEZZNS1_16scan_by_key_implILNS1_25lookback_scan_determinismE0ELb1ES3_N6thrust23THRUST_200600_302600_NS6detail15normal_iteratorINS9_10device_ptrIiEEEESE_SE_iNS9_4plusIvEENS9_8equal_toIvEEiEE10hipError_tPvRmT2_T3_T4_T5_mT6_T7_P12ihipStream_tbENKUlT_T0_E_clISt17integral_constantIbLb1EESY_IbLb0EEEEDaSU_SV_EUlSU_E_NS1_11comp_targetILNS1_3genE4ELNS1_11target_archE910ELNS1_3gpuE8ELNS1_3repE0EEENS1_30default_config_static_selectorELNS0_4arch9wavefront6targetE1EEEvT1_
    .private_segment_fixed_size: 0
    .sgpr_count:     64
    .sgpr_spill_count: 0
    .symbol:         _ZN7rocprim17ROCPRIM_400000_NS6detail17trampoline_kernelINS0_14default_configENS1_27scan_by_key_config_selectorIiiEEZZNS1_16scan_by_key_implILNS1_25lookback_scan_determinismE0ELb1ES3_N6thrust23THRUST_200600_302600_NS6detail15normal_iteratorINS9_10device_ptrIiEEEESE_SE_iNS9_4plusIvEENS9_8equal_toIvEEiEE10hipError_tPvRmT2_T3_T4_T5_mT6_T7_P12ihipStream_tbENKUlT_T0_E_clISt17integral_constantIbLb1EESY_IbLb0EEEEDaSU_SV_EUlSU_E_NS1_11comp_targetILNS1_3genE4ELNS1_11target_archE910ELNS1_3gpuE8ELNS1_3repE0EEENS1_30default_config_static_selectorELNS0_4arch9wavefront6targetE1EEEvT1_.kd
    .uniform_work_group_size: 1
    .uses_dynamic_stack: false
    .vgpr_count:     65
    .vgpr_spill_count: 0
    .wavefront_size: 64
  - .agpr_count:     0
    .args:
      - .offset:         0
        .size:           112
        .value_kind:     by_value
    .group_segment_fixed_size: 0
    .kernarg_segment_align: 8
    .kernarg_segment_size: 112
    .language:       OpenCL C
    .language_version:
      - 2
      - 0
    .max_flat_workgroup_size: 256
    .name:           _ZN7rocprim17ROCPRIM_400000_NS6detail17trampoline_kernelINS0_14default_configENS1_27scan_by_key_config_selectorIiiEEZZNS1_16scan_by_key_implILNS1_25lookback_scan_determinismE0ELb1ES3_N6thrust23THRUST_200600_302600_NS6detail15normal_iteratorINS9_10device_ptrIiEEEESE_SE_iNS9_4plusIvEENS9_8equal_toIvEEiEE10hipError_tPvRmT2_T3_T4_T5_mT6_T7_P12ihipStream_tbENKUlT_T0_E_clISt17integral_constantIbLb1EESY_IbLb0EEEEDaSU_SV_EUlSU_E_NS1_11comp_targetILNS1_3genE3ELNS1_11target_archE908ELNS1_3gpuE7ELNS1_3repE0EEENS1_30default_config_static_selectorELNS0_4arch9wavefront6targetE1EEEvT1_
    .private_segment_fixed_size: 0
    .sgpr_count:     4
    .sgpr_spill_count: 0
    .symbol:         _ZN7rocprim17ROCPRIM_400000_NS6detail17trampoline_kernelINS0_14default_configENS1_27scan_by_key_config_selectorIiiEEZZNS1_16scan_by_key_implILNS1_25lookback_scan_determinismE0ELb1ES3_N6thrust23THRUST_200600_302600_NS6detail15normal_iteratorINS9_10device_ptrIiEEEESE_SE_iNS9_4plusIvEENS9_8equal_toIvEEiEE10hipError_tPvRmT2_T3_T4_T5_mT6_T7_P12ihipStream_tbENKUlT_T0_E_clISt17integral_constantIbLb1EESY_IbLb0EEEEDaSU_SV_EUlSU_E_NS1_11comp_targetILNS1_3genE3ELNS1_11target_archE908ELNS1_3gpuE7ELNS1_3repE0EEENS1_30default_config_static_selectorELNS0_4arch9wavefront6targetE1EEEvT1_.kd
    .uniform_work_group_size: 1
    .uses_dynamic_stack: false
    .vgpr_count:     0
    .vgpr_spill_count: 0
    .wavefront_size: 64
  - .agpr_count:     0
    .args:
      - .offset:         0
        .size:           112
        .value_kind:     by_value
    .group_segment_fixed_size: 0
    .kernarg_segment_align: 8
    .kernarg_segment_size: 112
    .language:       OpenCL C
    .language_version:
      - 2
      - 0
    .max_flat_workgroup_size: 256
    .name:           _ZN7rocprim17ROCPRIM_400000_NS6detail17trampoline_kernelINS0_14default_configENS1_27scan_by_key_config_selectorIiiEEZZNS1_16scan_by_key_implILNS1_25lookback_scan_determinismE0ELb1ES3_N6thrust23THRUST_200600_302600_NS6detail15normal_iteratorINS9_10device_ptrIiEEEESE_SE_iNS9_4plusIvEENS9_8equal_toIvEEiEE10hipError_tPvRmT2_T3_T4_T5_mT6_T7_P12ihipStream_tbENKUlT_T0_E_clISt17integral_constantIbLb1EESY_IbLb0EEEEDaSU_SV_EUlSU_E_NS1_11comp_targetILNS1_3genE2ELNS1_11target_archE906ELNS1_3gpuE6ELNS1_3repE0EEENS1_30default_config_static_selectorELNS0_4arch9wavefront6targetE1EEEvT1_
    .private_segment_fixed_size: 0
    .sgpr_count:     4
    .sgpr_spill_count: 0
    .symbol:         _ZN7rocprim17ROCPRIM_400000_NS6detail17trampoline_kernelINS0_14default_configENS1_27scan_by_key_config_selectorIiiEEZZNS1_16scan_by_key_implILNS1_25lookback_scan_determinismE0ELb1ES3_N6thrust23THRUST_200600_302600_NS6detail15normal_iteratorINS9_10device_ptrIiEEEESE_SE_iNS9_4plusIvEENS9_8equal_toIvEEiEE10hipError_tPvRmT2_T3_T4_T5_mT6_T7_P12ihipStream_tbENKUlT_T0_E_clISt17integral_constantIbLb1EESY_IbLb0EEEEDaSU_SV_EUlSU_E_NS1_11comp_targetILNS1_3genE2ELNS1_11target_archE906ELNS1_3gpuE6ELNS1_3repE0EEENS1_30default_config_static_selectorELNS0_4arch9wavefront6targetE1EEEvT1_.kd
    .uniform_work_group_size: 1
    .uses_dynamic_stack: false
    .vgpr_count:     0
    .vgpr_spill_count: 0
    .wavefront_size: 64
  - .agpr_count:     0
    .args:
      - .offset:         0
        .size:           112
        .value_kind:     by_value
    .group_segment_fixed_size: 0
    .kernarg_segment_align: 8
    .kernarg_segment_size: 112
    .language:       OpenCL C
    .language_version:
      - 2
      - 0
    .max_flat_workgroup_size: 256
    .name:           _ZN7rocprim17ROCPRIM_400000_NS6detail17trampoline_kernelINS0_14default_configENS1_27scan_by_key_config_selectorIiiEEZZNS1_16scan_by_key_implILNS1_25lookback_scan_determinismE0ELb1ES3_N6thrust23THRUST_200600_302600_NS6detail15normal_iteratorINS9_10device_ptrIiEEEESE_SE_iNS9_4plusIvEENS9_8equal_toIvEEiEE10hipError_tPvRmT2_T3_T4_T5_mT6_T7_P12ihipStream_tbENKUlT_T0_E_clISt17integral_constantIbLb1EESY_IbLb0EEEEDaSU_SV_EUlSU_E_NS1_11comp_targetILNS1_3genE10ELNS1_11target_archE1200ELNS1_3gpuE4ELNS1_3repE0EEENS1_30default_config_static_selectorELNS0_4arch9wavefront6targetE1EEEvT1_
    .private_segment_fixed_size: 0
    .sgpr_count:     4
    .sgpr_spill_count: 0
    .symbol:         _ZN7rocprim17ROCPRIM_400000_NS6detail17trampoline_kernelINS0_14default_configENS1_27scan_by_key_config_selectorIiiEEZZNS1_16scan_by_key_implILNS1_25lookback_scan_determinismE0ELb1ES3_N6thrust23THRUST_200600_302600_NS6detail15normal_iteratorINS9_10device_ptrIiEEEESE_SE_iNS9_4plusIvEENS9_8equal_toIvEEiEE10hipError_tPvRmT2_T3_T4_T5_mT6_T7_P12ihipStream_tbENKUlT_T0_E_clISt17integral_constantIbLb1EESY_IbLb0EEEEDaSU_SV_EUlSU_E_NS1_11comp_targetILNS1_3genE10ELNS1_11target_archE1200ELNS1_3gpuE4ELNS1_3repE0EEENS1_30default_config_static_selectorELNS0_4arch9wavefront6targetE1EEEvT1_.kd
    .uniform_work_group_size: 1
    .uses_dynamic_stack: false
    .vgpr_count:     0
    .vgpr_spill_count: 0
    .wavefront_size: 64
  - .agpr_count:     0
    .args:
      - .offset:         0
        .size:           112
        .value_kind:     by_value
    .group_segment_fixed_size: 0
    .kernarg_segment_align: 8
    .kernarg_segment_size: 112
    .language:       OpenCL C
    .language_version:
      - 2
      - 0
    .max_flat_workgroup_size: 256
    .name:           _ZN7rocprim17ROCPRIM_400000_NS6detail17trampoline_kernelINS0_14default_configENS1_27scan_by_key_config_selectorIiiEEZZNS1_16scan_by_key_implILNS1_25lookback_scan_determinismE0ELb1ES3_N6thrust23THRUST_200600_302600_NS6detail15normal_iteratorINS9_10device_ptrIiEEEESE_SE_iNS9_4plusIvEENS9_8equal_toIvEEiEE10hipError_tPvRmT2_T3_T4_T5_mT6_T7_P12ihipStream_tbENKUlT_T0_E_clISt17integral_constantIbLb1EESY_IbLb0EEEEDaSU_SV_EUlSU_E_NS1_11comp_targetILNS1_3genE9ELNS1_11target_archE1100ELNS1_3gpuE3ELNS1_3repE0EEENS1_30default_config_static_selectorELNS0_4arch9wavefront6targetE1EEEvT1_
    .private_segment_fixed_size: 0
    .sgpr_count:     4
    .sgpr_spill_count: 0
    .symbol:         _ZN7rocprim17ROCPRIM_400000_NS6detail17trampoline_kernelINS0_14default_configENS1_27scan_by_key_config_selectorIiiEEZZNS1_16scan_by_key_implILNS1_25lookback_scan_determinismE0ELb1ES3_N6thrust23THRUST_200600_302600_NS6detail15normal_iteratorINS9_10device_ptrIiEEEESE_SE_iNS9_4plusIvEENS9_8equal_toIvEEiEE10hipError_tPvRmT2_T3_T4_T5_mT6_T7_P12ihipStream_tbENKUlT_T0_E_clISt17integral_constantIbLb1EESY_IbLb0EEEEDaSU_SV_EUlSU_E_NS1_11comp_targetILNS1_3genE9ELNS1_11target_archE1100ELNS1_3gpuE3ELNS1_3repE0EEENS1_30default_config_static_selectorELNS0_4arch9wavefront6targetE1EEEvT1_.kd
    .uniform_work_group_size: 1
    .uses_dynamic_stack: false
    .vgpr_count:     0
    .vgpr_spill_count: 0
    .wavefront_size: 64
  - .agpr_count:     0
    .args:
      - .offset:         0
        .size:           112
        .value_kind:     by_value
    .group_segment_fixed_size: 0
    .kernarg_segment_align: 8
    .kernarg_segment_size: 112
    .language:       OpenCL C
    .language_version:
      - 2
      - 0
    .max_flat_workgroup_size: 256
    .name:           _ZN7rocprim17ROCPRIM_400000_NS6detail17trampoline_kernelINS0_14default_configENS1_27scan_by_key_config_selectorIiiEEZZNS1_16scan_by_key_implILNS1_25lookback_scan_determinismE0ELb1ES3_N6thrust23THRUST_200600_302600_NS6detail15normal_iteratorINS9_10device_ptrIiEEEESE_SE_iNS9_4plusIvEENS9_8equal_toIvEEiEE10hipError_tPvRmT2_T3_T4_T5_mT6_T7_P12ihipStream_tbENKUlT_T0_E_clISt17integral_constantIbLb1EESY_IbLb0EEEEDaSU_SV_EUlSU_E_NS1_11comp_targetILNS1_3genE8ELNS1_11target_archE1030ELNS1_3gpuE2ELNS1_3repE0EEENS1_30default_config_static_selectorELNS0_4arch9wavefront6targetE1EEEvT1_
    .private_segment_fixed_size: 0
    .sgpr_count:     4
    .sgpr_spill_count: 0
    .symbol:         _ZN7rocprim17ROCPRIM_400000_NS6detail17trampoline_kernelINS0_14default_configENS1_27scan_by_key_config_selectorIiiEEZZNS1_16scan_by_key_implILNS1_25lookback_scan_determinismE0ELb1ES3_N6thrust23THRUST_200600_302600_NS6detail15normal_iteratorINS9_10device_ptrIiEEEESE_SE_iNS9_4plusIvEENS9_8equal_toIvEEiEE10hipError_tPvRmT2_T3_T4_T5_mT6_T7_P12ihipStream_tbENKUlT_T0_E_clISt17integral_constantIbLb1EESY_IbLb0EEEEDaSU_SV_EUlSU_E_NS1_11comp_targetILNS1_3genE8ELNS1_11target_archE1030ELNS1_3gpuE2ELNS1_3repE0EEENS1_30default_config_static_selectorELNS0_4arch9wavefront6targetE1EEEvT1_.kd
    .uniform_work_group_size: 1
    .uses_dynamic_stack: false
    .vgpr_count:     0
    .vgpr_spill_count: 0
    .wavefront_size: 64
  - .agpr_count:     0
    .args:
      - .offset:         0
        .size:           112
        .value_kind:     by_value
    .group_segment_fixed_size: 0
    .kernarg_segment_align: 8
    .kernarg_segment_size: 112
    .language:       OpenCL C
    .language_version:
      - 2
      - 0
    .max_flat_workgroup_size: 256
    .name:           _ZN7rocprim17ROCPRIM_400000_NS6detail17trampoline_kernelINS0_14default_configENS1_27scan_by_key_config_selectorIiiEEZZNS1_16scan_by_key_implILNS1_25lookback_scan_determinismE0ELb1ES3_N6thrust23THRUST_200600_302600_NS6detail15normal_iteratorINS9_10device_ptrIiEEEESE_SE_iNS9_4plusIvEENS9_8equal_toIvEEiEE10hipError_tPvRmT2_T3_T4_T5_mT6_T7_P12ihipStream_tbENKUlT_T0_E_clISt17integral_constantIbLb0EESY_IbLb1EEEEDaSU_SV_EUlSU_E_NS1_11comp_targetILNS1_3genE0ELNS1_11target_archE4294967295ELNS1_3gpuE0ELNS1_3repE0EEENS1_30default_config_static_selectorELNS0_4arch9wavefront6targetE1EEEvT1_
    .private_segment_fixed_size: 0
    .sgpr_count:     4
    .sgpr_spill_count: 0
    .symbol:         _ZN7rocprim17ROCPRIM_400000_NS6detail17trampoline_kernelINS0_14default_configENS1_27scan_by_key_config_selectorIiiEEZZNS1_16scan_by_key_implILNS1_25lookback_scan_determinismE0ELb1ES3_N6thrust23THRUST_200600_302600_NS6detail15normal_iteratorINS9_10device_ptrIiEEEESE_SE_iNS9_4plusIvEENS9_8equal_toIvEEiEE10hipError_tPvRmT2_T3_T4_T5_mT6_T7_P12ihipStream_tbENKUlT_T0_E_clISt17integral_constantIbLb0EESY_IbLb1EEEEDaSU_SV_EUlSU_E_NS1_11comp_targetILNS1_3genE0ELNS1_11target_archE4294967295ELNS1_3gpuE0ELNS1_3repE0EEENS1_30default_config_static_selectorELNS0_4arch9wavefront6targetE1EEEvT1_.kd
    .uniform_work_group_size: 1
    .uses_dynamic_stack: false
    .vgpr_count:     0
    .vgpr_spill_count: 0
    .wavefront_size: 64
  - .agpr_count:     0
    .args:
      - .offset:         0
        .size:           112
        .value_kind:     by_value
    .group_segment_fixed_size: 0
    .kernarg_segment_align: 8
    .kernarg_segment_size: 112
    .language:       OpenCL C
    .language_version:
      - 2
      - 0
    .max_flat_workgroup_size: 256
    .name:           _ZN7rocprim17ROCPRIM_400000_NS6detail17trampoline_kernelINS0_14default_configENS1_27scan_by_key_config_selectorIiiEEZZNS1_16scan_by_key_implILNS1_25lookback_scan_determinismE0ELb1ES3_N6thrust23THRUST_200600_302600_NS6detail15normal_iteratorINS9_10device_ptrIiEEEESE_SE_iNS9_4plusIvEENS9_8equal_toIvEEiEE10hipError_tPvRmT2_T3_T4_T5_mT6_T7_P12ihipStream_tbENKUlT_T0_E_clISt17integral_constantIbLb0EESY_IbLb1EEEEDaSU_SV_EUlSU_E_NS1_11comp_targetILNS1_3genE10ELNS1_11target_archE1201ELNS1_3gpuE5ELNS1_3repE0EEENS1_30default_config_static_selectorELNS0_4arch9wavefront6targetE1EEEvT1_
    .private_segment_fixed_size: 0
    .sgpr_count:     4
    .sgpr_spill_count: 0
    .symbol:         _ZN7rocprim17ROCPRIM_400000_NS6detail17trampoline_kernelINS0_14default_configENS1_27scan_by_key_config_selectorIiiEEZZNS1_16scan_by_key_implILNS1_25lookback_scan_determinismE0ELb1ES3_N6thrust23THRUST_200600_302600_NS6detail15normal_iteratorINS9_10device_ptrIiEEEESE_SE_iNS9_4plusIvEENS9_8equal_toIvEEiEE10hipError_tPvRmT2_T3_T4_T5_mT6_T7_P12ihipStream_tbENKUlT_T0_E_clISt17integral_constantIbLb0EESY_IbLb1EEEEDaSU_SV_EUlSU_E_NS1_11comp_targetILNS1_3genE10ELNS1_11target_archE1201ELNS1_3gpuE5ELNS1_3repE0EEENS1_30default_config_static_selectorELNS0_4arch9wavefront6targetE1EEEvT1_.kd
    .uniform_work_group_size: 1
    .uses_dynamic_stack: false
    .vgpr_count:     0
    .vgpr_spill_count: 0
    .wavefront_size: 64
  - .agpr_count:     0
    .args:
      - .offset:         0
        .size:           112
        .value_kind:     by_value
    .group_segment_fixed_size: 0
    .kernarg_segment_align: 8
    .kernarg_segment_size: 112
    .language:       OpenCL C
    .language_version:
      - 2
      - 0
    .max_flat_workgroup_size: 256
    .name:           _ZN7rocprim17ROCPRIM_400000_NS6detail17trampoline_kernelINS0_14default_configENS1_27scan_by_key_config_selectorIiiEEZZNS1_16scan_by_key_implILNS1_25lookback_scan_determinismE0ELb1ES3_N6thrust23THRUST_200600_302600_NS6detail15normal_iteratorINS9_10device_ptrIiEEEESE_SE_iNS9_4plusIvEENS9_8equal_toIvEEiEE10hipError_tPvRmT2_T3_T4_T5_mT6_T7_P12ihipStream_tbENKUlT_T0_E_clISt17integral_constantIbLb0EESY_IbLb1EEEEDaSU_SV_EUlSU_E_NS1_11comp_targetILNS1_3genE5ELNS1_11target_archE942ELNS1_3gpuE9ELNS1_3repE0EEENS1_30default_config_static_selectorELNS0_4arch9wavefront6targetE1EEEvT1_
    .private_segment_fixed_size: 0
    .sgpr_count:     4
    .sgpr_spill_count: 0
    .symbol:         _ZN7rocprim17ROCPRIM_400000_NS6detail17trampoline_kernelINS0_14default_configENS1_27scan_by_key_config_selectorIiiEEZZNS1_16scan_by_key_implILNS1_25lookback_scan_determinismE0ELb1ES3_N6thrust23THRUST_200600_302600_NS6detail15normal_iteratorINS9_10device_ptrIiEEEESE_SE_iNS9_4plusIvEENS9_8equal_toIvEEiEE10hipError_tPvRmT2_T3_T4_T5_mT6_T7_P12ihipStream_tbENKUlT_T0_E_clISt17integral_constantIbLb0EESY_IbLb1EEEEDaSU_SV_EUlSU_E_NS1_11comp_targetILNS1_3genE5ELNS1_11target_archE942ELNS1_3gpuE9ELNS1_3repE0EEENS1_30default_config_static_selectorELNS0_4arch9wavefront6targetE1EEEvT1_.kd
    .uniform_work_group_size: 1
    .uses_dynamic_stack: false
    .vgpr_count:     0
    .vgpr_spill_count: 0
    .wavefront_size: 64
  - .agpr_count:     0
    .args:
      - .offset:         0
        .size:           112
        .value_kind:     by_value
    .group_segment_fixed_size: 16384
    .kernarg_segment_align: 8
    .kernarg_segment_size: 112
    .language:       OpenCL C
    .language_version:
      - 2
      - 0
    .max_flat_workgroup_size: 256
    .name:           _ZN7rocprim17ROCPRIM_400000_NS6detail17trampoline_kernelINS0_14default_configENS1_27scan_by_key_config_selectorIiiEEZZNS1_16scan_by_key_implILNS1_25lookback_scan_determinismE0ELb1ES3_N6thrust23THRUST_200600_302600_NS6detail15normal_iteratorINS9_10device_ptrIiEEEESE_SE_iNS9_4plusIvEENS9_8equal_toIvEEiEE10hipError_tPvRmT2_T3_T4_T5_mT6_T7_P12ihipStream_tbENKUlT_T0_E_clISt17integral_constantIbLb0EESY_IbLb1EEEEDaSU_SV_EUlSU_E_NS1_11comp_targetILNS1_3genE4ELNS1_11target_archE910ELNS1_3gpuE8ELNS1_3repE0EEENS1_30default_config_static_selectorELNS0_4arch9wavefront6targetE1EEEvT1_
    .private_segment_fixed_size: 0
    .sgpr_count:     64
    .sgpr_spill_count: 0
    .symbol:         _ZN7rocprim17ROCPRIM_400000_NS6detail17trampoline_kernelINS0_14default_configENS1_27scan_by_key_config_selectorIiiEEZZNS1_16scan_by_key_implILNS1_25lookback_scan_determinismE0ELb1ES3_N6thrust23THRUST_200600_302600_NS6detail15normal_iteratorINS9_10device_ptrIiEEEESE_SE_iNS9_4plusIvEENS9_8equal_toIvEEiEE10hipError_tPvRmT2_T3_T4_T5_mT6_T7_P12ihipStream_tbENKUlT_T0_E_clISt17integral_constantIbLb0EESY_IbLb1EEEEDaSU_SV_EUlSU_E_NS1_11comp_targetILNS1_3genE4ELNS1_11target_archE910ELNS1_3gpuE8ELNS1_3repE0EEENS1_30default_config_static_selectorELNS0_4arch9wavefront6targetE1EEEvT1_.kd
    .uniform_work_group_size: 1
    .uses_dynamic_stack: false
    .vgpr_count:     67
    .vgpr_spill_count: 0
    .wavefront_size: 64
  - .agpr_count:     0
    .args:
      - .offset:         0
        .size:           112
        .value_kind:     by_value
    .group_segment_fixed_size: 0
    .kernarg_segment_align: 8
    .kernarg_segment_size: 112
    .language:       OpenCL C
    .language_version:
      - 2
      - 0
    .max_flat_workgroup_size: 256
    .name:           _ZN7rocprim17ROCPRIM_400000_NS6detail17trampoline_kernelINS0_14default_configENS1_27scan_by_key_config_selectorIiiEEZZNS1_16scan_by_key_implILNS1_25lookback_scan_determinismE0ELb1ES3_N6thrust23THRUST_200600_302600_NS6detail15normal_iteratorINS9_10device_ptrIiEEEESE_SE_iNS9_4plusIvEENS9_8equal_toIvEEiEE10hipError_tPvRmT2_T3_T4_T5_mT6_T7_P12ihipStream_tbENKUlT_T0_E_clISt17integral_constantIbLb0EESY_IbLb1EEEEDaSU_SV_EUlSU_E_NS1_11comp_targetILNS1_3genE3ELNS1_11target_archE908ELNS1_3gpuE7ELNS1_3repE0EEENS1_30default_config_static_selectorELNS0_4arch9wavefront6targetE1EEEvT1_
    .private_segment_fixed_size: 0
    .sgpr_count:     4
    .sgpr_spill_count: 0
    .symbol:         _ZN7rocprim17ROCPRIM_400000_NS6detail17trampoline_kernelINS0_14default_configENS1_27scan_by_key_config_selectorIiiEEZZNS1_16scan_by_key_implILNS1_25lookback_scan_determinismE0ELb1ES3_N6thrust23THRUST_200600_302600_NS6detail15normal_iteratorINS9_10device_ptrIiEEEESE_SE_iNS9_4plusIvEENS9_8equal_toIvEEiEE10hipError_tPvRmT2_T3_T4_T5_mT6_T7_P12ihipStream_tbENKUlT_T0_E_clISt17integral_constantIbLb0EESY_IbLb1EEEEDaSU_SV_EUlSU_E_NS1_11comp_targetILNS1_3genE3ELNS1_11target_archE908ELNS1_3gpuE7ELNS1_3repE0EEENS1_30default_config_static_selectorELNS0_4arch9wavefront6targetE1EEEvT1_.kd
    .uniform_work_group_size: 1
    .uses_dynamic_stack: false
    .vgpr_count:     0
    .vgpr_spill_count: 0
    .wavefront_size: 64
  - .agpr_count:     0
    .args:
      - .offset:         0
        .size:           112
        .value_kind:     by_value
    .group_segment_fixed_size: 0
    .kernarg_segment_align: 8
    .kernarg_segment_size: 112
    .language:       OpenCL C
    .language_version:
      - 2
      - 0
    .max_flat_workgroup_size: 256
    .name:           _ZN7rocprim17ROCPRIM_400000_NS6detail17trampoline_kernelINS0_14default_configENS1_27scan_by_key_config_selectorIiiEEZZNS1_16scan_by_key_implILNS1_25lookback_scan_determinismE0ELb1ES3_N6thrust23THRUST_200600_302600_NS6detail15normal_iteratorINS9_10device_ptrIiEEEESE_SE_iNS9_4plusIvEENS9_8equal_toIvEEiEE10hipError_tPvRmT2_T3_T4_T5_mT6_T7_P12ihipStream_tbENKUlT_T0_E_clISt17integral_constantIbLb0EESY_IbLb1EEEEDaSU_SV_EUlSU_E_NS1_11comp_targetILNS1_3genE2ELNS1_11target_archE906ELNS1_3gpuE6ELNS1_3repE0EEENS1_30default_config_static_selectorELNS0_4arch9wavefront6targetE1EEEvT1_
    .private_segment_fixed_size: 0
    .sgpr_count:     4
    .sgpr_spill_count: 0
    .symbol:         _ZN7rocprim17ROCPRIM_400000_NS6detail17trampoline_kernelINS0_14default_configENS1_27scan_by_key_config_selectorIiiEEZZNS1_16scan_by_key_implILNS1_25lookback_scan_determinismE0ELb1ES3_N6thrust23THRUST_200600_302600_NS6detail15normal_iteratorINS9_10device_ptrIiEEEESE_SE_iNS9_4plusIvEENS9_8equal_toIvEEiEE10hipError_tPvRmT2_T3_T4_T5_mT6_T7_P12ihipStream_tbENKUlT_T0_E_clISt17integral_constantIbLb0EESY_IbLb1EEEEDaSU_SV_EUlSU_E_NS1_11comp_targetILNS1_3genE2ELNS1_11target_archE906ELNS1_3gpuE6ELNS1_3repE0EEENS1_30default_config_static_selectorELNS0_4arch9wavefront6targetE1EEEvT1_.kd
    .uniform_work_group_size: 1
    .uses_dynamic_stack: false
    .vgpr_count:     0
    .vgpr_spill_count: 0
    .wavefront_size: 64
  - .agpr_count:     0
    .args:
      - .offset:         0
        .size:           112
        .value_kind:     by_value
    .group_segment_fixed_size: 0
    .kernarg_segment_align: 8
    .kernarg_segment_size: 112
    .language:       OpenCL C
    .language_version:
      - 2
      - 0
    .max_flat_workgroup_size: 256
    .name:           _ZN7rocprim17ROCPRIM_400000_NS6detail17trampoline_kernelINS0_14default_configENS1_27scan_by_key_config_selectorIiiEEZZNS1_16scan_by_key_implILNS1_25lookback_scan_determinismE0ELb1ES3_N6thrust23THRUST_200600_302600_NS6detail15normal_iteratorINS9_10device_ptrIiEEEESE_SE_iNS9_4plusIvEENS9_8equal_toIvEEiEE10hipError_tPvRmT2_T3_T4_T5_mT6_T7_P12ihipStream_tbENKUlT_T0_E_clISt17integral_constantIbLb0EESY_IbLb1EEEEDaSU_SV_EUlSU_E_NS1_11comp_targetILNS1_3genE10ELNS1_11target_archE1200ELNS1_3gpuE4ELNS1_3repE0EEENS1_30default_config_static_selectorELNS0_4arch9wavefront6targetE1EEEvT1_
    .private_segment_fixed_size: 0
    .sgpr_count:     4
    .sgpr_spill_count: 0
    .symbol:         _ZN7rocprim17ROCPRIM_400000_NS6detail17trampoline_kernelINS0_14default_configENS1_27scan_by_key_config_selectorIiiEEZZNS1_16scan_by_key_implILNS1_25lookback_scan_determinismE0ELb1ES3_N6thrust23THRUST_200600_302600_NS6detail15normal_iteratorINS9_10device_ptrIiEEEESE_SE_iNS9_4plusIvEENS9_8equal_toIvEEiEE10hipError_tPvRmT2_T3_T4_T5_mT6_T7_P12ihipStream_tbENKUlT_T0_E_clISt17integral_constantIbLb0EESY_IbLb1EEEEDaSU_SV_EUlSU_E_NS1_11comp_targetILNS1_3genE10ELNS1_11target_archE1200ELNS1_3gpuE4ELNS1_3repE0EEENS1_30default_config_static_selectorELNS0_4arch9wavefront6targetE1EEEvT1_.kd
    .uniform_work_group_size: 1
    .uses_dynamic_stack: false
    .vgpr_count:     0
    .vgpr_spill_count: 0
    .wavefront_size: 64
  - .agpr_count:     0
    .args:
      - .offset:         0
        .size:           112
        .value_kind:     by_value
    .group_segment_fixed_size: 0
    .kernarg_segment_align: 8
    .kernarg_segment_size: 112
    .language:       OpenCL C
    .language_version:
      - 2
      - 0
    .max_flat_workgroup_size: 256
    .name:           _ZN7rocprim17ROCPRIM_400000_NS6detail17trampoline_kernelINS0_14default_configENS1_27scan_by_key_config_selectorIiiEEZZNS1_16scan_by_key_implILNS1_25lookback_scan_determinismE0ELb1ES3_N6thrust23THRUST_200600_302600_NS6detail15normal_iteratorINS9_10device_ptrIiEEEESE_SE_iNS9_4plusIvEENS9_8equal_toIvEEiEE10hipError_tPvRmT2_T3_T4_T5_mT6_T7_P12ihipStream_tbENKUlT_T0_E_clISt17integral_constantIbLb0EESY_IbLb1EEEEDaSU_SV_EUlSU_E_NS1_11comp_targetILNS1_3genE9ELNS1_11target_archE1100ELNS1_3gpuE3ELNS1_3repE0EEENS1_30default_config_static_selectorELNS0_4arch9wavefront6targetE1EEEvT1_
    .private_segment_fixed_size: 0
    .sgpr_count:     4
    .sgpr_spill_count: 0
    .symbol:         _ZN7rocprim17ROCPRIM_400000_NS6detail17trampoline_kernelINS0_14default_configENS1_27scan_by_key_config_selectorIiiEEZZNS1_16scan_by_key_implILNS1_25lookback_scan_determinismE0ELb1ES3_N6thrust23THRUST_200600_302600_NS6detail15normal_iteratorINS9_10device_ptrIiEEEESE_SE_iNS9_4plusIvEENS9_8equal_toIvEEiEE10hipError_tPvRmT2_T3_T4_T5_mT6_T7_P12ihipStream_tbENKUlT_T0_E_clISt17integral_constantIbLb0EESY_IbLb1EEEEDaSU_SV_EUlSU_E_NS1_11comp_targetILNS1_3genE9ELNS1_11target_archE1100ELNS1_3gpuE3ELNS1_3repE0EEENS1_30default_config_static_selectorELNS0_4arch9wavefront6targetE1EEEvT1_.kd
    .uniform_work_group_size: 1
    .uses_dynamic_stack: false
    .vgpr_count:     0
    .vgpr_spill_count: 0
    .wavefront_size: 64
  - .agpr_count:     0
    .args:
      - .offset:         0
        .size:           112
        .value_kind:     by_value
    .group_segment_fixed_size: 0
    .kernarg_segment_align: 8
    .kernarg_segment_size: 112
    .language:       OpenCL C
    .language_version:
      - 2
      - 0
    .max_flat_workgroup_size: 256
    .name:           _ZN7rocprim17ROCPRIM_400000_NS6detail17trampoline_kernelINS0_14default_configENS1_27scan_by_key_config_selectorIiiEEZZNS1_16scan_by_key_implILNS1_25lookback_scan_determinismE0ELb1ES3_N6thrust23THRUST_200600_302600_NS6detail15normal_iteratorINS9_10device_ptrIiEEEESE_SE_iNS9_4plusIvEENS9_8equal_toIvEEiEE10hipError_tPvRmT2_T3_T4_T5_mT6_T7_P12ihipStream_tbENKUlT_T0_E_clISt17integral_constantIbLb0EESY_IbLb1EEEEDaSU_SV_EUlSU_E_NS1_11comp_targetILNS1_3genE8ELNS1_11target_archE1030ELNS1_3gpuE2ELNS1_3repE0EEENS1_30default_config_static_selectorELNS0_4arch9wavefront6targetE1EEEvT1_
    .private_segment_fixed_size: 0
    .sgpr_count:     4
    .sgpr_spill_count: 0
    .symbol:         _ZN7rocprim17ROCPRIM_400000_NS6detail17trampoline_kernelINS0_14default_configENS1_27scan_by_key_config_selectorIiiEEZZNS1_16scan_by_key_implILNS1_25lookback_scan_determinismE0ELb1ES3_N6thrust23THRUST_200600_302600_NS6detail15normal_iteratorINS9_10device_ptrIiEEEESE_SE_iNS9_4plusIvEENS9_8equal_toIvEEiEE10hipError_tPvRmT2_T3_T4_T5_mT6_T7_P12ihipStream_tbENKUlT_T0_E_clISt17integral_constantIbLb0EESY_IbLb1EEEEDaSU_SV_EUlSU_E_NS1_11comp_targetILNS1_3genE8ELNS1_11target_archE1030ELNS1_3gpuE2ELNS1_3repE0EEENS1_30default_config_static_selectorELNS0_4arch9wavefront6targetE1EEEvT1_.kd
    .uniform_work_group_size: 1
    .uses_dynamic_stack: false
    .vgpr_count:     0
    .vgpr_spill_count: 0
    .wavefront_size: 64
  - .agpr_count:     0
    .args:
      - .offset:         0
        .size:           112
        .value_kind:     by_value
    .group_segment_fixed_size: 0
    .kernarg_segment_align: 8
    .kernarg_segment_size: 112
    .language:       OpenCL C
    .language_version:
      - 2
      - 0
    .max_flat_workgroup_size: 256
    .name:           _ZN7rocprim17ROCPRIM_400000_NS6detail17trampoline_kernelINS0_14default_configENS1_27scan_by_key_config_selectorIiiEEZZNS1_16scan_by_key_implILNS1_25lookback_scan_determinismE0ELb1ES3_N6thrust23THRUST_200600_302600_NS6detail15normal_iteratorINS9_10device_ptrIiEEEESE_SE_iNS9_10multipliesIiEENS9_8equal_toIiEEiEE10hipError_tPvRmT2_T3_T4_T5_mT6_T7_P12ihipStream_tbENKUlT_T0_E_clISt17integral_constantIbLb0EESZ_EEDaSU_SV_EUlSU_E_NS1_11comp_targetILNS1_3genE0ELNS1_11target_archE4294967295ELNS1_3gpuE0ELNS1_3repE0EEENS1_30default_config_static_selectorELNS0_4arch9wavefront6targetE1EEEvT1_
    .private_segment_fixed_size: 0
    .sgpr_count:     4
    .sgpr_spill_count: 0
    .symbol:         _ZN7rocprim17ROCPRIM_400000_NS6detail17trampoline_kernelINS0_14default_configENS1_27scan_by_key_config_selectorIiiEEZZNS1_16scan_by_key_implILNS1_25lookback_scan_determinismE0ELb1ES3_N6thrust23THRUST_200600_302600_NS6detail15normal_iteratorINS9_10device_ptrIiEEEESE_SE_iNS9_10multipliesIiEENS9_8equal_toIiEEiEE10hipError_tPvRmT2_T3_T4_T5_mT6_T7_P12ihipStream_tbENKUlT_T0_E_clISt17integral_constantIbLb0EESZ_EEDaSU_SV_EUlSU_E_NS1_11comp_targetILNS1_3genE0ELNS1_11target_archE4294967295ELNS1_3gpuE0ELNS1_3repE0EEENS1_30default_config_static_selectorELNS0_4arch9wavefront6targetE1EEEvT1_.kd
    .uniform_work_group_size: 1
    .uses_dynamic_stack: false
    .vgpr_count:     0
    .vgpr_spill_count: 0
    .wavefront_size: 64
  - .agpr_count:     0
    .args:
      - .offset:         0
        .size:           112
        .value_kind:     by_value
    .group_segment_fixed_size: 0
    .kernarg_segment_align: 8
    .kernarg_segment_size: 112
    .language:       OpenCL C
    .language_version:
      - 2
      - 0
    .max_flat_workgroup_size: 256
    .name:           _ZN7rocprim17ROCPRIM_400000_NS6detail17trampoline_kernelINS0_14default_configENS1_27scan_by_key_config_selectorIiiEEZZNS1_16scan_by_key_implILNS1_25lookback_scan_determinismE0ELb1ES3_N6thrust23THRUST_200600_302600_NS6detail15normal_iteratorINS9_10device_ptrIiEEEESE_SE_iNS9_10multipliesIiEENS9_8equal_toIiEEiEE10hipError_tPvRmT2_T3_T4_T5_mT6_T7_P12ihipStream_tbENKUlT_T0_E_clISt17integral_constantIbLb0EESZ_EEDaSU_SV_EUlSU_E_NS1_11comp_targetILNS1_3genE10ELNS1_11target_archE1201ELNS1_3gpuE5ELNS1_3repE0EEENS1_30default_config_static_selectorELNS0_4arch9wavefront6targetE1EEEvT1_
    .private_segment_fixed_size: 0
    .sgpr_count:     4
    .sgpr_spill_count: 0
    .symbol:         _ZN7rocprim17ROCPRIM_400000_NS6detail17trampoline_kernelINS0_14default_configENS1_27scan_by_key_config_selectorIiiEEZZNS1_16scan_by_key_implILNS1_25lookback_scan_determinismE0ELb1ES3_N6thrust23THRUST_200600_302600_NS6detail15normal_iteratorINS9_10device_ptrIiEEEESE_SE_iNS9_10multipliesIiEENS9_8equal_toIiEEiEE10hipError_tPvRmT2_T3_T4_T5_mT6_T7_P12ihipStream_tbENKUlT_T0_E_clISt17integral_constantIbLb0EESZ_EEDaSU_SV_EUlSU_E_NS1_11comp_targetILNS1_3genE10ELNS1_11target_archE1201ELNS1_3gpuE5ELNS1_3repE0EEENS1_30default_config_static_selectorELNS0_4arch9wavefront6targetE1EEEvT1_.kd
    .uniform_work_group_size: 1
    .uses_dynamic_stack: false
    .vgpr_count:     0
    .vgpr_spill_count: 0
    .wavefront_size: 64
  - .agpr_count:     0
    .args:
      - .offset:         0
        .size:           112
        .value_kind:     by_value
    .group_segment_fixed_size: 0
    .kernarg_segment_align: 8
    .kernarg_segment_size: 112
    .language:       OpenCL C
    .language_version:
      - 2
      - 0
    .max_flat_workgroup_size: 256
    .name:           _ZN7rocprim17ROCPRIM_400000_NS6detail17trampoline_kernelINS0_14default_configENS1_27scan_by_key_config_selectorIiiEEZZNS1_16scan_by_key_implILNS1_25lookback_scan_determinismE0ELb1ES3_N6thrust23THRUST_200600_302600_NS6detail15normal_iteratorINS9_10device_ptrIiEEEESE_SE_iNS9_10multipliesIiEENS9_8equal_toIiEEiEE10hipError_tPvRmT2_T3_T4_T5_mT6_T7_P12ihipStream_tbENKUlT_T0_E_clISt17integral_constantIbLb0EESZ_EEDaSU_SV_EUlSU_E_NS1_11comp_targetILNS1_3genE5ELNS1_11target_archE942ELNS1_3gpuE9ELNS1_3repE0EEENS1_30default_config_static_selectorELNS0_4arch9wavefront6targetE1EEEvT1_
    .private_segment_fixed_size: 0
    .sgpr_count:     4
    .sgpr_spill_count: 0
    .symbol:         _ZN7rocprim17ROCPRIM_400000_NS6detail17trampoline_kernelINS0_14default_configENS1_27scan_by_key_config_selectorIiiEEZZNS1_16scan_by_key_implILNS1_25lookback_scan_determinismE0ELb1ES3_N6thrust23THRUST_200600_302600_NS6detail15normal_iteratorINS9_10device_ptrIiEEEESE_SE_iNS9_10multipliesIiEENS9_8equal_toIiEEiEE10hipError_tPvRmT2_T3_T4_T5_mT6_T7_P12ihipStream_tbENKUlT_T0_E_clISt17integral_constantIbLb0EESZ_EEDaSU_SV_EUlSU_E_NS1_11comp_targetILNS1_3genE5ELNS1_11target_archE942ELNS1_3gpuE9ELNS1_3repE0EEENS1_30default_config_static_selectorELNS0_4arch9wavefront6targetE1EEEvT1_.kd
    .uniform_work_group_size: 1
    .uses_dynamic_stack: false
    .vgpr_count:     0
    .vgpr_spill_count: 0
    .wavefront_size: 64
  - .agpr_count:     0
    .args:
      - .offset:         0
        .size:           112
        .value_kind:     by_value
    .group_segment_fixed_size: 16384
    .kernarg_segment_align: 8
    .kernarg_segment_size: 112
    .language:       OpenCL C
    .language_version:
      - 2
      - 0
    .max_flat_workgroup_size: 256
    .name:           _ZN7rocprim17ROCPRIM_400000_NS6detail17trampoline_kernelINS0_14default_configENS1_27scan_by_key_config_selectorIiiEEZZNS1_16scan_by_key_implILNS1_25lookback_scan_determinismE0ELb1ES3_N6thrust23THRUST_200600_302600_NS6detail15normal_iteratorINS9_10device_ptrIiEEEESE_SE_iNS9_10multipliesIiEENS9_8equal_toIiEEiEE10hipError_tPvRmT2_T3_T4_T5_mT6_T7_P12ihipStream_tbENKUlT_T0_E_clISt17integral_constantIbLb0EESZ_EEDaSU_SV_EUlSU_E_NS1_11comp_targetILNS1_3genE4ELNS1_11target_archE910ELNS1_3gpuE8ELNS1_3repE0EEENS1_30default_config_static_selectorELNS0_4arch9wavefront6targetE1EEEvT1_
    .private_segment_fixed_size: 0
    .sgpr_count:     64
    .sgpr_spill_count: 0
    .symbol:         _ZN7rocprim17ROCPRIM_400000_NS6detail17trampoline_kernelINS0_14default_configENS1_27scan_by_key_config_selectorIiiEEZZNS1_16scan_by_key_implILNS1_25lookback_scan_determinismE0ELb1ES3_N6thrust23THRUST_200600_302600_NS6detail15normal_iteratorINS9_10device_ptrIiEEEESE_SE_iNS9_10multipliesIiEENS9_8equal_toIiEEiEE10hipError_tPvRmT2_T3_T4_T5_mT6_T7_P12ihipStream_tbENKUlT_T0_E_clISt17integral_constantIbLb0EESZ_EEDaSU_SV_EUlSU_E_NS1_11comp_targetILNS1_3genE4ELNS1_11target_archE910ELNS1_3gpuE8ELNS1_3repE0EEENS1_30default_config_static_selectorELNS0_4arch9wavefront6targetE1EEEvT1_.kd
    .uniform_work_group_size: 1
    .uses_dynamic_stack: false
    .vgpr_count:     62
    .vgpr_spill_count: 0
    .wavefront_size: 64
  - .agpr_count:     0
    .args:
      - .offset:         0
        .size:           112
        .value_kind:     by_value
    .group_segment_fixed_size: 0
    .kernarg_segment_align: 8
    .kernarg_segment_size: 112
    .language:       OpenCL C
    .language_version:
      - 2
      - 0
    .max_flat_workgroup_size: 256
    .name:           _ZN7rocprim17ROCPRIM_400000_NS6detail17trampoline_kernelINS0_14default_configENS1_27scan_by_key_config_selectorIiiEEZZNS1_16scan_by_key_implILNS1_25lookback_scan_determinismE0ELb1ES3_N6thrust23THRUST_200600_302600_NS6detail15normal_iteratorINS9_10device_ptrIiEEEESE_SE_iNS9_10multipliesIiEENS9_8equal_toIiEEiEE10hipError_tPvRmT2_T3_T4_T5_mT6_T7_P12ihipStream_tbENKUlT_T0_E_clISt17integral_constantIbLb0EESZ_EEDaSU_SV_EUlSU_E_NS1_11comp_targetILNS1_3genE3ELNS1_11target_archE908ELNS1_3gpuE7ELNS1_3repE0EEENS1_30default_config_static_selectorELNS0_4arch9wavefront6targetE1EEEvT1_
    .private_segment_fixed_size: 0
    .sgpr_count:     4
    .sgpr_spill_count: 0
    .symbol:         _ZN7rocprim17ROCPRIM_400000_NS6detail17trampoline_kernelINS0_14default_configENS1_27scan_by_key_config_selectorIiiEEZZNS1_16scan_by_key_implILNS1_25lookback_scan_determinismE0ELb1ES3_N6thrust23THRUST_200600_302600_NS6detail15normal_iteratorINS9_10device_ptrIiEEEESE_SE_iNS9_10multipliesIiEENS9_8equal_toIiEEiEE10hipError_tPvRmT2_T3_T4_T5_mT6_T7_P12ihipStream_tbENKUlT_T0_E_clISt17integral_constantIbLb0EESZ_EEDaSU_SV_EUlSU_E_NS1_11comp_targetILNS1_3genE3ELNS1_11target_archE908ELNS1_3gpuE7ELNS1_3repE0EEENS1_30default_config_static_selectorELNS0_4arch9wavefront6targetE1EEEvT1_.kd
    .uniform_work_group_size: 1
    .uses_dynamic_stack: false
    .vgpr_count:     0
    .vgpr_spill_count: 0
    .wavefront_size: 64
  - .agpr_count:     0
    .args:
      - .offset:         0
        .size:           112
        .value_kind:     by_value
    .group_segment_fixed_size: 0
    .kernarg_segment_align: 8
    .kernarg_segment_size: 112
    .language:       OpenCL C
    .language_version:
      - 2
      - 0
    .max_flat_workgroup_size: 256
    .name:           _ZN7rocprim17ROCPRIM_400000_NS6detail17trampoline_kernelINS0_14default_configENS1_27scan_by_key_config_selectorIiiEEZZNS1_16scan_by_key_implILNS1_25lookback_scan_determinismE0ELb1ES3_N6thrust23THRUST_200600_302600_NS6detail15normal_iteratorINS9_10device_ptrIiEEEESE_SE_iNS9_10multipliesIiEENS9_8equal_toIiEEiEE10hipError_tPvRmT2_T3_T4_T5_mT6_T7_P12ihipStream_tbENKUlT_T0_E_clISt17integral_constantIbLb0EESZ_EEDaSU_SV_EUlSU_E_NS1_11comp_targetILNS1_3genE2ELNS1_11target_archE906ELNS1_3gpuE6ELNS1_3repE0EEENS1_30default_config_static_selectorELNS0_4arch9wavefront6targetE1EEEvT1_
    .private_segment_fixed_size: 0
    .sgpr_count:     4
    .sgpr_spill_count: 0
    .symbol:         _ZN7rocprim17ROCPRIM_400000_NS6detail17trampoline_kernelINS0_14default_configENS1_27scan_by_key_config_selectorIiiEEZZNS1_16scan_by_key_implILNS1_25lookback_scan_determinismE0ELb1ES3_N6thrust23THRUST_200600_302600_NS6detail15normal_iteratorINS9_10device_ptrIiEEEESE_SE_iNS9_10multipliesIiEENS9_8equal_toIiEEiEE10hipError_tPvRmT2_T3_T4_T5_mT6_T7_P12ihipStream_tbENKUlT_T0_E_clISt17integral_constantIbLb0EESZ_EEDaSU_SV_EUlSU_E_NS1_11comp_targetILNS1_3genE2ELNS1_11target_archE906ELNS1_3gpuE6ELNS1_3repE0EEENS1_30default_config_static_selectorELNS0_4arch9wavefront6targetE1EEEvT1_.kd
    .uniform_work_group_size: 1
    .uses_dynamic_stack: false
    .vgpr_count:     0
    .vgpr_spill_count: 0
    .wavefront_size: 64
  - .agpr_count:     0
    .args:
      - .offset:         0
        .size:           112
        .value_kind:     by_value
    .group_segment_fixed_size: 0
    .kernarg_segment_align: 8
    .kernarg_segment_size: 112
    .language:       OpenCL C
    .language_version:
      - 2
      - 0
    .max_flat_workgroup_size: 256
    .name:           _ZN7rocprim17ROCPRIM_400000_NS6detail17trampoline_kernelINS0_14default_configENS1_27scan_by_key_config_selectorIiiEEZZNS1_16scan_by_key_implILNS1_25lookback_scan_determinismE0ELb1ES3_N6thrust23THRUST_200600_302600_NS6detail15normal_iteratorINS9_10device_ptrIiEEEESE_SE_iNS9_10multipliesIiEENS9_8equal_toIiEEiEE10hipError_tPvRmT2_T3_T4_T5_mT6_T7_P12ihipStream_tbENKUlT_T0_E_clISt17integral_constantIbLb0EESZ_EEDaSU_SV_EUlSU_E_NS1_11comp_targetILNS1_3genE10ELNS1_11target_archE1200ELNS1_3gpuE4ELNS1_3repE0EEENS1_30default_config_static_selectorELNS0_4arch9wavefront6targetE1EEEvT1_
    .private_segment_fixed_size: 0
    .sgpr_count:     4
    .sgpr_spill_count: 0
    .symbol:         _ZN7rocprim17ROCPRIM_400000_NS6detail17trampoline_kernelINS0_14default_configENS1_27scan_by_key_config_selectorIiiEEZZNS1_16scan_by_key_implILNS1_25lookback_scan_determinismE0ELb1ES3_N6thrust23THRUST_200600_302600_NS6detail15normal_iteratorINS9_10device_ptrIiEEEESE_SE_iNS9_10multipliesIiEENS9_8equal_toIiEEiEE10hipError_tPvRmT2_T3_T4_T5_mT6_T7_P12ihipStream_tbENKUlT_T0_E_clISt17integral_constantIbLb0EESZ_EEDaSU_SV_EUlSU_E_NS1_11comp_targetILNS1_3genE10ELNS1_11target_archE1200ELNS1_3gpuE4ELNS1_3repE0EEENS1_30default_config_static_selectorELNS0_4arch9wavefront6targetE1EEEvT1_.kd
    .uniform_work_group_size: 1
    .uses_dynamic_stack: false
    .vgpr_count:     0
    .vgpr_spill_count: 0
    .wavefront_size: 64
  - .agpr_count:     0
    .args:
      - .offset:         0
        .size:           112
        .value_kind:     by_value
    .group_segment_fixed_size: 0
    .kernarg_segment_align: 8
    .kernarg_segment_size: 112
    .language:       OpenCL C
    .language_version:
      - 2
      - 0
    .max_flat_workgroup_size: 256
    .name:           _ZN7rocprim17ROCPRIM_400000_NS6detail17trampoline_kernelINS0_14default_configENS1_27scan_by_key_config_selectorIiiEEZZNS1_16scan_by_key_implILNS1_25lookback_scan_determinismE0ELb1ES3_N6thrust23THRUST_200600_302600_NS6detail15normal_iteratorINS9_10device_ptrIiEEEESE_SE_iNS9_10multipliesIiEENS9_8equal_toIiEEiEE10hipError_tPvRmT2_T3_T4_T5_mT6_T7_P12ihipStream_tbENKUlT_T0_E_clISt17integral_constantIbLb0EESZ_EEDaSU_SV_EUlSU_E_NS1_11comp_targetILNS1_3genE9ELNS1_11target_archE1100ELNS1_3gpuE3ELNS1_3repE0EEENS1_30default_config_static_selectorELNS0_4arch9wavefront6targetE1EEEvT1_
    .private_segment_fixed_size: 0
    .sgpr_count:     4
    .sgpr_spill_count: 0
    .symbol:         _ZN7rocprim17ROCPRIM_400000_NS6detail17trampoline_kernelINS0_14default_configENS1_27scan_by_key_config_selectorIiiEEZZNS1_16scan_by_key_implILNS1_25lookback_scan_determinismE0ELb1ES3_N6thrust23THRUST_200600_302600_NS6detail15normal_iteratorINS9_10device_ptrIiEEEESE_SE_iNS9_10multipliesIiEENS9_8equal_toIiEEiEE10hipError_tPvRmT2_T3_T4_T5_mT6_T7_P12ihipStream_tbENKUlT_T0_E_clISt17integral_constantIbLb0EESZ_EEDaSU_SV_EUlSU_E_NS1_11comp_targetILNS1_3genE9ELNS1_11target_archE1100ELNS1_3gpuE3ELNS1_3repE0EEENS1_30default_config_static_selectorELNS0_4arch9wavefront6targetE1EEEvT1_.kd
    .uniform_work_group_size: 1
    .uses_dynamic_stack: false
    .vgpr_count:     0
    .vgpr_spill_count: 0
    .wavefront_size: 64
  - .agpr_count:     0
    .args:
      - .offset:         0
        .size:           112
        .value_kind:     by_value
    .group_segment_fixed_size: 0
    .kernarg_segment_align: 8
    .kernarg_segment_size: 112
    .language:       OpenCL C
    .language_version:
      - 2
      - 0
    .max_flat_workgroup_size: 256
    .name:           _ZN7rocprim17ROCPRIM_400000_NS6detail17trampoline_kernelINS0_14default_configENS1_27scan_by_key_config_selectorIiiEEZZNS1_16scan_by_key_implILNS1_25lookback_scan_determinismE0ELb1ES3_N6thrust23THRUST_200600_302600_NS6detail15normal_iteratorINS9_10device_ptrIiEEEESE_SE_iNS9_10multipliesIiEENS9_8equal_toIiEEiEE10hipError_tPvRmT2_T3_T4_T5_mT6_T7_P12ihipStream_tbENKUlT_T0_E_clISt17integral_constantIbLb0EESZ_EEDaSU_SV_EUlSU_E_NS1_11comp_targetILNS1_3genE8ELNS1_11target_archE1030ELNS1_3gpuE2ELNS1_3repE0EEENS1_30default_config_static_selectorELNS0_4arch9wavefront6targetE1EEEvT1_
    .private_segment_fixed_size: 0
    .sgpr_count:     4
    .sgpr_spill_count: 0
    .symbol:         _ZN7rocprim17ROCPRIM_400000_NS6detail17trampoline_kernelINS0_14default_configENS1_27scan_by_key_config_selectorIiiEEZZNS1_16scan_by_key_implILNS1_25lookback_scan_determinismE0ELb1ES3_N6thrust23THRUST_200600_302600_NS6detail15normal_iteratorINS9_10device_ptrIiEEEESE_SE_iNS9_10multipliesIiEENS9_8equal_toIiEEiEE10hipError_tPvRmT2_T3_T4_T5_mT6_T7_P12ihipStream_tbENKUlT_T0_E_clISt17integral_constantIbLb0EESZ_EEDaSU_SV_EUlSU_E_NS1_11comp_targetILNS1_3genE8ELNS1_11target_archE1030ELNS1_3gpuE2ELNS1_3repE0EEENS1_30default_config_static_selectorELNS0_4arch9wavefront6targetE1EEEvT1_.kd
    .uniform_work_group_size: 1
    .uses_dynamic_stack: false
    .vgpr_count:     0
    .vgpr_spill_count: 0
    .wavefront_size: 64
  - .agpr_count:     0
    .args:
      - .offset:         0
        .size:           112
        .value_kind:     by_value
    .group_segment_fixed_size: 0
    .kernarg_segment_align: 8
    .kernarg_segment_size: 112
    .language:       OpenCL C
    .language_version:
      - 2
      - 0
    .max_flat_workgroup_size: 256
    .name:           _ZN7rocprim17ROCPRIM_400000_NS6detail17trampoline_kernelINS0_14default_configENS1_27scan_by_key_config_selectorIiiEEZZNS1_16scan_by_key_implILNS1_25lookback_scan_determinismE0ELb1ES3_N6thrust23THRUST_200600_302600_NS6detail15normal_iteratorINS9_10device_ptrIiEEEESE_SE_iNS9_10multipliesIiEENS9_8equal_toIiEEiEE10hipError_tPvRmT2_T3_T4_T5_mT6_T7_P12ihipStream_tbENKUlT_T0_E_clISt17integral_constantIbLb1EESZ_EEDaSU_SV_EUlSU_E_NS1_11comp_targetILNS1_3genE0ELNS1_11target_archE4294967295ELNS1_3gpuE0ELNS1_3repE0EEENS1_30default_config_static_selectorELNS0_4arch9wavefront6targetE1EEEvT1_
    .private_segment_fixed_size: 0
    .sgpr_count:     4
    .sgpr_spill_count: 0
    .symbol:         _ZN7rocprim17ROCPRIM_400000_NS6detail17trampoline_kernelINS0_14default_configENS1_27scan_by_key_config_selectorIiiEEZZNS1_16scan_by_key_implILNS1_25lookback_scan_determinismE0ELb1ES3_N6thrust23THRUST_200600_302600_NS6detail15normal_iteratorINS9_10device_ptrIiEEEESE_SE_iNS9_10multipliesIiEENS9_8equal_toIiEEiEE10hipError_tPvRmT2_T3_T4_T5_mT6_T7_P12ihipStream_tbENKUlT_T0_E_clISt17integral_constantIbLb1EESZ_EEDaSU_SV_EUlSU_E_NS1_11comp_targetILNS1_3genE0ELNS1_11target_archE4294967295ELNS1_3gpuE0ELNS1_3repE0EEENS1_30default_config_static_selectorELNS0_4arch9wavefront6targetE1EEEvT1_.kd
    .uniform_work_group_size: 1
    .uses_dynamic_stack: false
    .vgpr_count:     0
    .vgpr_spill_count: 0
    .wavefront_size: 64
  - .agpr_count:     0
    .args:
      - .offset:         0
        .size:           112
        .value_kind:     by_value
    .group_segment_fixed_size: 0
    .kernarg_segment_align: 8
    .kernarg_segment_size: 112
    .language:       OpenCL C
    .language_version:
      - 2
      - 0
    .max_flat_workgroup_size: 256
    .name:           _ZN7rocprim17ROCPRIM_400000_NS6detail17trampoline_kernelINS0_14default_configENS1_27scan_by_key_config_selectorIiiEEZZNS1_16scan_by_key_implILNS1_25lookback_scan_determinismE0ELb1ES3_N6thrust23THRUST_200600_302600_NS6detail15normal_iteratorINS9_10device_ptrIiEEEESE_SE_iNS9_10multipliesIiEENS9_8equal_toIiEEiEE10hipError_tPvRmT2_T3_T4_T5_mT6_T7_P12ihipStream_tbENKUlT_T0_E_clISt17integral_constantIbLb1EESZ_EEDaSU_SV_EUlSU_E_NS1_11comp_targetILNS1_3genE10ELNS1_11target_archE1201ELNS1_3gpuE5ELNS1_3repE0EEENS1_30default_config_static_selectorELNS0_4arch9wavefront6targetE1EEEvT1_
    .private_segment_fixed_size: 0
    .sgpr_count:     4
    .sgpr_spill_count: 0
    .symbol:         _ZN7rocprim17ROCPRIM_400000_NS6detail17trampoline_kernelINS0_14default_configENS1_27scan_by_key_config_selectorIiiEEZZNS1_16scan_by_key_implILNS1_25lookback_scan_determinismE0ELb1ES3_N6thrust23THRUST_200600_302600_NS6detail15normal_iteratorINS9_10device_ptrIiEEEESE_SE_iNS9_10multipliesIiEENS9_8equal_toIiEEiEE10hipError_tPvRmT2_T3_T4_T5_mT6_T7_P12ihipStream_tbENKUlT_T0_E_clISt17integral_constantIbLb1EESZ_EEDaSU_SV_EUlSU_E_NS1_11comp_targetILNS1_3genE10ELNS1_11target_archE1201ELNS1_3gpuE5ELNS1_3repE0EEENS1_30default_config_static_selectorELNS0_4arch9wavefront6targetE1EEEvT1_.kd
    .uniform_work_group_size: 1
    .uses_dynamic_stack: false
    .vgpr_count:     0
    .vgpr_spill_count: 0
    .wavefront_size: 64
  - .agpr_count:     0
    .args:
      - .offset:         0
        .size:           112
        .value_kind:     by_value
    .group_segment_fixed_size: 0
    .kernarg_segment_align: 8
    .kernarg_segment_size: 112
    .language:       OpenCL C
    .language_version:
      - 2
      - 0
    .max_flat_workgroup_size: 256
    .name:           _ZN7rocprim17ROCPRIM_400000_NS6detail17trampoline_kernelINS0_14default_configENS1_27scan_by_key_config_selectorIiiEEZZNS1_16scan_by_key_implILNS1_25lookback_scan_determinismE0ELb1ES3_N6thrust23THRUST_200600_302600_NS6detail15normal_iteratorINS9_10device_ptrIiEEEESE_SE_iNS9_10multipliesIiEENS9_8equal_toIiEEiEE10hipError_tPvRmT2_T3_T4_T5_mT6_T7_P12ihipStream_tbENKUlT_T0_E_clISt17integral_constantIbLb1EESZ_EEDaSU_SV_EUlSU_E_NS1_11comp_targetILNS1_3genE5ELNS1_11target_archE942ELNS1_3gpuE9ELNS1_3repE0EEENS1_30default_config_static_selectorELNS0_4arch9wavefront6targetE1EEEvT1_
    .private_segment_fixed_size: 0
    .sgpr_count:     4
    .sgpr_spill_count: 0
    .symbol:         _ZN7rocprim17ROCPRIM_400000_NS6detail17trampoline_kernelINS0_14default_configENS1_27scan_by_key_config_selectorIiiEEZZNS1_16scan_by_key_implILNS1_25lookback_scan_determinismE0ELb1ES3_N6thrust23THRUST_200600_302600_NS6detail15normal_iteratorINS9_10device_ptrIiEEEESE_SE_iNS9_10multipliesIiEENS9_8equal_toIiEEiEE10hipError_tPvRmT2_T3_T4_T5_mT6_T7_P12ihipStream_tbENKUlT_T0_E_clISt17integral_constantIbLb1EESZ_EEDaSU_SV_EUlSU_E_NS1_11comp_targetILNS1_3genE5ELNS1_11target_archE942ELNS1_3gpuE9ELNS1_3repE0EEENS1_30default_config_static_selectorELNS0_4arch9wavefront6targetE1EEEvT1_.kd
    .uniform_work_group_size: 1
    .uses_dynamic_stack: false
    .vgpr_count:     0
    .vgpr_spill_count: 0
    .wavefront_size: 64
  - .agpr_count:     0
    .args:
      - .offset:         0
        .size:           112
        .value_kind:     by_value
    .group_segment_fixed_size: 16384
    .kernarg_segment_align: 8
    .kernarg_segment_size: 112
    .language:       OpenCL C
    .language_version:
      - 2
      - 0
    .max_flat_workgroup_size: 256
    .name:           _ZN7rocprim17ROCPRIM_400000_NS6detail17trampoline_kernelINS0_14default_configENS1_27scan_by_key_config_selectorIiiEEZZNS1_16scan_by_key_implILNS1_25lookback_scan_determinismE0ELb1ES3_N6thrust23THRUST_200600_302600_NS6detail15normal_iteratorINS9_10device_ptrIiEEEESE_SE_iNS9_10multipliesIiEENS9_8equal_toIiEEiEE10hipError_tPvRmT2_T3_T4_T5_mT6_T7_P12ihipStream_tbENKUlT_T0_E_clISt17integral_constantIbLb1EESZ_EEDaSU_SV_EUlSU_E_NS1_11comp_targetILNS1_3genE4ELNS1_11target_archE910ELNS1_3gpuE8ELNS1_3repE0EEENS1_30default_config_static_selectorELNS0_4arch9wavefront6targetE1EEEvT1_
    .private_segment_fixed_size: 0
    .sgpr_count:     64
    .sgpr_spill_count: 0
    .symbol:         _ZN7rocprim17ROCPRIM_400000_NS6detail17trampoline_kernelINS0_14default_configENS1_27scan_by_key_config_selectorIiiEEZZNS1_16scan_by_key_implILNS1_25lookback_scan_determinismE0ELb1ES3_N6thrust23THRUST_200600_302600_NS6detail15normal_iteratorINS9_10device_ptrIiEEEESE_SE_iNS9_10multipliesIiEENS9_8equal_toIiEEiEE10hipError_tPvRmT2_T3_T4_T5_mT6_T7_P12ihipStream_tbENKUlT_T0_E_clISt17integral_constantIbLb1EESZ_EEDaSU_SV_EUlSU_E_NS1_11comp_targetILNS1_3genE4ELNS1_11target_archE910ELNS1_3gpuE8ELNS1_3repE0EEENS1_30default_config_static_selectorELNS0_4arch9wavefront6targetE1EEEvT1_.kd
    .uniform_work_group_size: 1
    .uses_dynamic_stack: false
    .vgpr_count:     64
    .vgpr_spill_count: 0
    .wavefront_size: 64
  - .agpr_count:     0
    .args:
      - .offset:         0
        .size:           112
        .value_kind:     by_value
    .group_segment_fixed_size: 0
    .kernarg_segment_align: 8
    .kernarg_segment_size: 112
    .language:       OpenCL C
    .language_version:
      - 2
      - 0
    .max_flat_workgroup_size: 256
    .name:           _ZN7rocprim17ROCPRIM_400000_NS6detail17trampoline_kernelINS0_14default_configENS1_27scan_by_key_config_selectorIiiEEZZNS1_16scan_by_key_implILNS1_25lookback_scan_determinismE0ELb1ES3_N6thrust23THRUST_200600_302600_NS6detail15normal_iteratorINS9_10device_ptrIiEEEESE_SE_iNS9_10multipliesIiEENS9_8equal_toIiEEiEE10hipError_tPvRmT2_T3_T4_T5_mT6_T7_P12ihipStream_tbENKUlT_T0_E_clISt17integral_constantIbLb1EESZ_EEDaSU_SV_EUlSU_E_NS1_11comp_targetILNS1_3genE3ELNS1_11target_archE908ELNS1_3gpuE7ELNS1_3repE0EEENS1_30default_config_static_selectorELNS0_4arch9wavefront6targetE1EEEvT1_
    .private_segment_fixed_size: 0
    .sgpr_count:     4
    .sgpr_spill_count: 0
    .symbol:         _ZN7rocprim17ROCPRIM_400000_NS6detail17trampoline_kernelINS0_14default_configENS1_27scan_by_key_config_selectorIiiEEZZNS1_16scan_by_key_implILNS1_25lookback_scan_determinismE0ELb1ES3_N6thrust23THRUST_200600_302600_NS6detail15normal_iteratorINS9_10device_ptrIiEEEESE_SE_iNS9_10multipliesIiEENS9_8equal_toIiEEiEE10hipError_tPvRmT2_T3_T4_T5_mT6_T7_P12ihipStream_tbENKUlT_T0_E_clISt17integral_constantIbLb1EESZ_EEDaSU_SV_EUlSU_E_NS1_11comp_targetILNS1_3genE3ELNS1_11target_archE908ELNS1_3gpuE7ELNS1_3repE0EEENS1_30default_config_static_selectorELNS0_4arch9wavefront6targetE1EEEvT1_.kd
    .uniform_work_group_size: 1
    .uses_dynamic_stack: false
    .vgpr_count:     0
    .vgpr_spill_count: 0
    .wavefront_size: 64
  - .agpr_count:     0
    .args:
      - .offset:         0
        .size:           112
        .value_kind:     by_value
    .group_segment_fixed_size: 0
    .kernarg_segment_align: 8
    .kernarg_segment_size: 112
    .language:       OpenCL C
    .language_version:
      - 2
      - 0
    .max_flat_workgroup_size: 256
    .name:           _ZN7rocprim17ROCPRIM_400000_NS6detail17trampoline_kernelINS0_14default_configENS1_27scan_by_key_config_selectorIiiEEZZNS1_16scan_by_key_implILNS1_25lookback_scan_determinismE0ELb1ES3_N6thrust23THRUST_200600_302600_NS6detail15normal_iteratorINS9_10device_ptrIiEEEESE_SE_iNS9_10multipliesIiEENS9_8equal_toIiEEiEE10hipError_tPvRmT2_T3_T4_T5_mT6_T7_P12ihipStream_tbENKUlT_T0_E_clISt17integral_constantIbLb1EESZ_EEDaSU_SV_EUlSU_E_NS1_11comp_targetILNS1_3genE2ELNS1_11target_archE906ELNS1_3gpuE6ELNS1_3repE0EEENS1_30default_config_static_selectorELNS0_4arch9wavefront6targetE1EEEvT1_
    .private_segment_fixed_size: 0
    .sgpr_count:     4
    .sgpr_spill_count: 0
    .symbol:         _ZN7rocprim17ROCPRIM_400000_NS6detail17trampoline_kernelINS0_14default_configENS1_27scan_by_key_config_selectorIiiEEZZNS1_16scan_by_key_implILNS1_25lookback_scan_determinismE0ELb1ES3_N6thrust23THRUST_200600_302600_NS6detail15normal_iteratorINS9_10device_ptrIiEEEESE_SE_iNS9_10multipliesIiEENS9_8equal_toIiEEiEE10hipError_tPvRmT2_T3_T4_T5_mT6_T7_P12ihipStream_tbENKUlT_T0_E_clISt17integral_constantIbLb1EESZ_EEDaSU_SV_EUlSU_E_NS1_11comp_targetILNS1_3genE2ELNS1_11target_archE906ELNS1_3gpuE6ELNS1_3repE0EEENS1_30default_config_static_selectorELNS0_4arch9wavefront6targetE1EEEvT1_.kd
    .uniform_work_group_size: 1
    .uses_dynamic_stack: false
    .vgpr_count:     0
    .vgpr_spill_count: 0
    .wavefront_size: 64
  - .agpr_count:     0
    .args:
      - .offset:         0
        .size:           112
        .value_kind:     by_value
    .group_segment_fixed_size: 0
    .kernarg_segment_align: 8
    .kernarg_segment_size: 112
    .language:       OpenCL C
    .language_version:
      - 2
      - 0
    .max_flat_workgroup_size: 256
    .name:           _ZN7rocprim17ROCPRIM_400000_NS6detail17trampoline_kernelINS0_14default_configENS1_27scan_by_key_config_selectorIiiEEZZNS1_16scan_by_key_implILNS1_25lookback_scan_determinismE0ELb1ES3_N6thrust23THRUST_200600_302600_NS6detail15normal_iteratorINS9_10device_ptrIiEEEESE_SE_iNS9_10multipliesIiEENS9_8equal_toIiEEiEE10hipError_tPvRmT2_T3_T4_T5_mT6_T7_P12ihipStream_tbENKUlT_T0_E_clISt17integral_constantIbLb1EESZ_EEDaSU_SV_EUlSU_E_NS1_11comp_targetILNS1_3genE10ELNS1_11target_archE1200ELNS1_3gpuE4ELNS1_3repE0EEENS1_30default_config_static_selectorELNS0_4arch9wavefront6targetE1EEEvT1_
    .private_segment_fixed_size: 0
    .sgpr_count:     4
    .sgpr_spill_count: 0
    .symbol:         _ZN7rocprim17ROCPRIM_400000_NS6detail17trampoline_kernelINS0_14default_configENS1_27scan_by_key_config_selectorIiiEEZZNS1_16scan_by_key_implILNS1_25lookback_scan_determinismE0ELb1ES3_N6thrust23THRUST_200600_302600_NS6detail15normal_iteratorINS9_10device_ptrIiEEEESE_SE_iNS9_10multipliesIiEENS9_8equal_toIiEEiEE10hipError_tPvRmT2_T3_T4_T5_mT6_T7_P12ihipStream_tbENKUlT_T0_E_clISt17integral_constantIbLb1EESZ_EEDaSU_SV_EUlSU_E_NS1_11comp_targetILNS1_3genE10ELNS1_11target_archE1200ELNS1_3gpuE4ELNS1_3repE0EEENS1_30default_config_static_selectorELNS0_4arch9wavefront6targetE1EEEvT1_.kd
    .uniform_work_group_size: 1
    .uses_dynamic_stack: false
    .vgpr_count:     0
    .vgpr_spill_count: 0
    .wavefront_size: 64
  - .agpr_count:     0
    .args:
      - .offset:         0
        .size:           112
        .value_kind:     by_value
    .group_segment_fixed_size: 0
    .kernarg_segment_align: 8
    .kernarg_segment_size: 112
    .language:       OpenCL C
    .language_version:
      - 2
      - 0
    .max_flat_workgroup_size: 256
    .name:           _ZN7rocprim17ROCPRIM_400000_NS6detail17trampoline_kernelINS0_14default_configENS1_27scan_by_key_config_selectorIiiEEZZNS1_16scan_by_key_implILNS1_25lookback_scan_determinismE0ELb1ES3_N6thrust23THRUST_200600_302600_NS6detail15normal_iteratorINS9_10device_ptrIiEEEESE_SE_iNS9_10multipliesIiEENS9_8equal_toIiEEiEE10hipError_tPvRmT2_T3_T4_T5_mT6_T7_P12ihipStream_tbENKUlT_T0_E_clISt17integral_constantIbLb1EESZ_EEDaSU_SV_EUlSU_E_NS1_11comp_targetILNS1_3genE9ELNS1_11target_archE1100ELNS1_3gpuE3ELNS1_3repE0EEENS1_30default_config_static_selectorELNS0_4arch9wavefront6targetE1EEEvT1_
    .private_segment_fixed_size: 0
    .sgpr_count:     4
    .sgpr_spill_count: 0
    .symbol:         _ZN7rocprim17ROCPRIM_400000_NS6detail17trampoline_kernelINS0_14default_configENS1_27scan_by_key_config_selectorIiiEEZZNS1_16scan_by_key_implILNS1_25lookback_scan_determinismE0ELb1ES3_N6thrust23THRUST_200600_302600_NS6detail15normal_iteratorINS9_10device_ptrIiEEEESE_SE_iNS9_10multipliesIiEENS9_8equal_toIiEEiEE10hipError_tPvRmT2_T3_T4_T5_mT6_T7_P12ihipStream_tbENKUlT_T0_E_clISt17integral_constantIbLb1EESZ_EEDaSU_SV_EUlSU_E_NS1_11comp_targetILNS1_3genE9ELNS1_11target_archE1100ELNS1_3gpuE3ELNS1_3repE0EEENS1_30default_config_static_selectorELNS0_4arch9wavefront6targetE1EEEvT1_.kd
    .uniform_work_group_size: 1
    .uses_dynamic_stack: false
    .vgpr_count:     0
    .vgpr_spill_count: 0
    .wavefront_size: 64
  - .agpr_count:     0
    .args:
      - .offset:         0
        .size:           112
        .value_kind:     by_value
    .group_segment_fixed_size: 0
    .kernarg_segment_align: 8
    .kernarg_segment_size: 112
    .language:       OpenCL C
    .language_version:
      - 2
      - 0
    .max_flat_workgroup_size: 256
    .name:           _ZN7rocprim17ROCPRIM_400000_NS6detail17trampoline_kernelINS0_14default_configENS1_27scan_by_key_config_selectorIiiEEZZNS1_16scan_by_key_implILNS1_25lookback_scan_determinismE0ELb1ES3_N6thrust23THRUST_200600_302600_NS6detail15normal_iteratorINS9_10device_ptrIiEEEESE_SE_iNS9_10multipliesIiEENS9_8equal_toIiEEiEE10hipError_tPvRmT2_T3_T4_T5_mT6_T7_P12ihipStream_tbENKUlT_T0_E_clISt17integral_constantIbLb1EESZ_EEDaSU_SV_EUlSU_E_NS1_11comp_targetILNS1_3genE8ELNS1_11target_archE1030ELNS1_3gpuE2ELNS1_3repE0EEENS1_30default_config_static_selectorELNS0_4arch9wavefront6targetE1EEEvT1_
    .private_segment_fixed_size: 0
    .sgpr_count:     4
    .sgpr_spill_count: 0
    .symbol:         _ZN7rocprim17ROCPRIM_400000_NS6detail17trampoline_kernelINS0_14default_configENS1_27scan_by_key_config_selectorIiiEEZZNS1_16scan_by_key_implILNS1_25lookback_scan_determinismE0ELb1ES3_N6thrust23THRUST_200600_302600_NS6detail15normal_iteratorINS9_10device_ptrIiEEEESE_SE_iNS9_10multipliesIiEENS9_8equal_toIiEEiEE10hipError_tPvRmT2_T3_T4_T5_mT6_T7_P12ihipStream_tbENKUlT_T0_E_clISt17integral_constantIbLb1EESZ_EEDaSU_SV_EUlSU_E_NS1_11comp_targetILNS1_3genE8ELNS1_11target_archE1030ELNS1_3gpuE2ELNS1_3repE0EEENS1_30default_config_static_selectorELNS0_4arch9wavefront6targetE1EEEvT1_.kd
    .uniform_work_group_size: 1
    .uses_dynamic_stack: false
    .vgpr_count:     0
    .vgpr_spill_count: 0
    .wavefront_size: 64
  - .agpr_count:     0
    .args:
      - .offset:         0
        .size:           112
        .value_kind:     by_value
    .group_segment_fixed_size: 0
    .kernarg_segment_align: 8
    .kernarg_segment_size: 112
    .language:       OpenCL C
    .language_version:
      - 2
      - 0
    .max_flat_workgroup_size: 256
    .name:           _ZN7rocprim17ROCPRIM_400000_NS6detail17trampoline_kernelINS0_14default_configENS1_27scan_by_key_config_selectorIiiEEZZNS1_16scan_by_key_implILNS1_25lookback_scan_determinismE0ELb1ES3_N6thrust23THRUST_200600_302600_NS6detail15normal_iteratorINS9_10device_ptrIiEEEESE_SE_iNS9_10multipliesIiEENS9_8equal_toIiEEiEE10hipError_tPvRmT2_T3_T4_T5_mT6_T7_P12ihipStream_tbENKUlT_T0_E_clISt17integral_constantIbLb1EESY_IbLb0EEEEDaSU_SV_EUlSU_E_NS1_11comp_targetILNS1_3genE0ELNS1_11target_archE4294967295ELNS1_3gpuE0ELNS1_3repE0EEENS1_30default_config_static_selectorELNS0_4arch9wavefront6targetE1EEEvT1_
    .private_segment_fixed_size: 0
    .sgpr_count:     4
    .sgpr_spill_count: 0
    .symbol:         _ZN7rocprim17ROCPRIM_400000_NS6detail17trampoline_kernelINS0_14default_configENS1_27scan_by_key_config_selectorIiiEEZZNS1_16scan_by_key_implILNS1_25lookback_scan_determinismE0ELb1ES3_N6thrust23THRUST_200600_302600_NS6detail15normal_iteratorINS9_10device_ptrIiEEEESE_SE_iNS9_10multipliesIiEENS9_8equal_toIiEEiEE10hipError_tPvRmT2_T3_T4_T5_mT6_T7_P12ihipStream_tbENKUlT_T0_E_clISt17integral_constantIbLb1EESY_IbLb0EEEEDaSU_SV_EUlSU_E_NS1_11comp_targetILNS1_3genE0ELNS1_11target_archE4294967295ELNS1_3gpuE0ELNS1_3repE0EEENS1_30default_config_static_selectorELNS0_4arch9wavefront6targetE1EEEvT1_.kd
    .uniform_work_group_size: 1
    .uses_dynamic_stack: false
    .vgpr_count:     0
    .vgpr_spill_count: 0
    .wavefront_size: 64
  - .agpr_count:     0
    .args:
      - .offset:         0
        .size:           112
        .value_kind:     by_value
    .group_segment_fixed_size: 0
    .kernarg_segment_align: 8
    .kernarg_segment_size: 112
    .language:       OpenCL C
    .language_version:
      - 2
      - 0
    .max_flat_workgroup_size: 256
    .name:           _ZN7rocprim17ROCPRIM_400000_NS6detail17trampoline_kernelINS0_14default_configENS1_27scan_by_key_config_selectorIiiEEZZNS1_16scan_by_key_implILNS1_25lookback_scan_determinismE0ELb1ES3_N6thrust23THRUST_200600_302600_NS6detail15normal_iteratorINS9_10device_ptrIiEEEESE_SE_iNS9_10multipliesIiEENS9_8equal_toIiEEiEE10hipError_tPvRmT2_T3_T4_T5_mT6_T7_P12ihipStream_tbENKUlT_T0_E_clISt17integral_constantIbLb1EESY_IbLb0EEEEDaSU_SV_EUlSU_E_NS1_11comp_targetILNS1_3genE10ELNS1_11target_archE1201ELNS1_3gpuE5ELNS1_3repE0EEENS1_30default_config_static_selectorELNS0_4arch9wavefront6targetE1EEEvT1_
    .private_segment_fixed_size: 0
    .sgpr_count:     4
    .sgpr_spill_count: 0
    .symbol:         _ZN7rocprim17ROCPRIM_400000_NS6detail17trampoline_kernelINS0_14default_configENS1_27scan_by_key_config_selectorIiiEEZZNS1_16scan_by_key_implILNS1_25lookback_scan_determinismE0ELb1ES3_N6thrust23THRUST_200600_302600_NS6detail15normal_iteratorINS9_10device_ptrIiEEEESE_SE_iNS9_10multipliesIiEENS9_8equal_toIiEEiEE10hipError_tPvRmT2_T3_T4_T5_mT6_T7_P12ihipStream_tbENKUlT_T0_E_clISt17integral_constantIbLb1EESY_IbLb0EEEEDaSU_SV_EUlSU_E_NS1_11comp_targetILNS1_3genE10ELNS1_11target_archE1201ELNS1_3gpuE5ELNS1_3repE0EEENS1_30default_config_static_selectorELNS0_4arch9wavefront6targetE1EEEvT1_.kd
    .uniform_work_group_size: 1
    .uses_dynamic_stack: false
    .vgpr_count:     0
    .vgpr_spill_count: 0
    .wavefront_size: 64
  - .agpr_count:     0
    .args:
      - .offset:         0
        .size:           112
        .value_kind:     by_value
    .group_segment_fixed_size: 0
    .kernarg_segment_align: 8
    .kernarg_segment_size: 112
    .language:       OpenCL C
    .language_version:
      - 2
      - 0
    .max_flat_workgroup_size: 256
    .name:           _ZN7rocprim17ROCPRIM_400000_NS6detail17trampoline_kernelINS0_14default_configENS1_27scan_by_key_config_selectorIiiEEZZNS1_16scan_by_key_implILNS1_25lookback_scan_determinismE0ELb1ES3_N6thrust23THRUST_200600_302600_NS6detail15normal_iteratorINS9_10device_ptrIiEEEESE_SE_iNS9_10multipliesIiEENS9_8equal_toIiEEiEE10hipError_tPvRmT2_T3_T4_T5_mT6_T7_P12ihipStream_tbENKUlT_T0_E_clISt17integral_constantIbLb1EESY_IbLb0EEEEDaSU_SV_EUlSU_E_NS1_11comp_targetILNS1_3genE5ELNS1_11target_archE942ELNS1_3gpuE9ELNS1_3repE0EEENS1_30default_config_static_selectorELNS0_4arch9wavefront6targetE1EEEvT1_
    .private_segment_fixed_size: 0
    .sgpr_count:     4
    .sgpr_spill_count: 0
    .symbol:         _ZN7rocprim17ROCPRIM_400000_NS6detail17trampoline_kernelINS0_14default_configENS1_27scan_by_key_config_selectorIiiEEZZNS1_16scan_by_key_implILNS1_25lookback_scan_determinismE0ELb1ES3_N6thrust23THRUST_200600_302600_NS6detail15normal_iteratorINS9_10device_ptrIiEEEESE_SE_iNS9_10multipliesIiEENS9_8equal_toIiEEiEE10hipError_tPvRmT2_T3_T4_T5_mT6_T7_P12ihipStream_tbENKUlT_T0_E_clISt17integral_constantIbLb1EESY_IbLb0EEEEDaSU_SV_EUlSU_E_NS1_11comp_targetILNS1_3genE5ELNS1_11target_archE942ELNS1_3gpuE9ELNS1_3repE0EEENS1_30default_config_static_selectorELNS0_4arch9wavefront6targetE1EEEvT1_.kd
    .uniform_work_group_size: 1
    .uses_dynamic_stack: false
    .vgpr_count:     0
    .vgpr_spill_count: 0
    .wavefront_size: 64
  - .agpr_count:     0
    .args:
      - .offset:         0
        .size:           112
        .value_kind:     by_value
    .group_segment_fixed_size: 16384
    .kernarg_segment_align: 8
    .kernarg_segment_size: 112
    .language:       OpenCL C
    .language_version:
      - 2
      - 0
    .max_flat_workgroup_size: 256
    .name:           _ZN7rocprim17ROCPRIM_400000_NS6detail17trampoline_kernelINS0_14default_configENS1_27scan_by_key_config_selectorIiiEEZZNS1_16scan_by_key_implILNS1_25lookback_scan_determinismE0ELb1ES3_N6thrust23THRUST_200600_302600_NS6detail15normal_iteratorINS9_10device_ptrIiEEEESE_SE_iNS9_10multipliesIiEENS9_8equal_toIiEEiEE10hipError_tPvRmT2_T3_T4_T5_mT6_T7_P12ihipStream_tbENKUlT_T0_E_clISt17integral_constantIbLb1EESY_IbLb0EEEEDaSU_SV_EUlSU_E_NS1_11comp_targetILNS1_3genE4ELNS1_11target_archE910ELNS1_3gpuE8ELNS1_3repE0EEENS1_30default_config_static_selectorELNS0_4arch9wavefront6targetE1EEEvT1_
    .private_segment_fixed_size: 0
    .sgpr_count:     64
    .sgpr_spill_count: 0
    .symbol:         _ZN7rocprim17ROCPRIM_400000_NS6detail17trampoline_kernelINS0_14default_configENS1_27scan_by_key_config_selectorIiiEEZZNS1_16scan_by_key_implILNS1_25lookback_scan_determinismE0ELb1ES3_N6thrust23THRUST_200600_302600_NS6detail15normal_iteratorINS9_10device_ptrIiEEEESE_SE_iNS9_10multipliesIiEENS9_8equal_toIiEEiEE10hipError_tPvRmT2_T3_T4_T5_mT6_T7_P12ihipStream_tbENKUlT_T0_E_clISt17integral_constantIbLb1EESY_IbLb0EEEEDaSU_SV_EUlSU_E_NS1_11comp_targetILNS1_3genE4ELNS1_11target_archE910ELNS1_3gpuE8ELNS1_3repE0EEENS1_30default_config_static_selectorELNS0_4arch9wavefront6targetE1EEEvT1_.kd
    .uniform_work_group_size: 1
    .uses_dynamic_stack: false
    .vgpr_count:     62
    .vgpr_spill_count: 0
    .wavefront_size: 64
  - .agpr_count:     0
    .args:
      - .offset:         0
        .size:           112
        .value_kind:     by_value
    .group_segment_fixed_size: 0
    .kernarg_segment_align: 8
    .kernarg_segment_size: 112
    .language:       OpenCL C
    .language_version:
      - 2
      - 0
    .max_flat_workgroup_size: 256
    .name:           _ZN7rocprim17ROCPRIM_400000_NS6detail17trampoline_kernelINS0_14default_configENS1_27scan_by_key_config_selectorIiiEEZZNS1_16scan_by_key_implILNS1_25lookback_scan_determinismE0ELb1ES3_N6thrust23THRUST_200600_302600_NS6detail15normal_iteratorINS9_10device_ptrIiEEEESE_SE_iNS9_10multipliesIiEENS9_8equal_toIiEEiEE10hipError_tPvRmT2_T3_T4_T5_mT6_T7_P12ihipStream_tbENKUlT_T0_E_clISt17integral_constantIbLb1EESY_IbLb0EEEEDaSU_SV_EUlSU_E_NS1_11comp_targetILNS1_3genE3ELNS1_11target_archE908ELNS1_3gpuE7ELNS1_3repE0EEENS1_30default_config_static_selectorELNS0_4arch9wavefront6targetE1EEEvT1_
    .private_segment_fixed_size: 0
    .sgpr_count:     4
    .sgpr_spill_count: 0
    .symbol:         _ZN7rocprim17ROCPRIM_400000_NS6detail17trampoline_kernelINS0_14default_configENS1_27scan_by_key_config_selectorIiiEEZZNS1_16scan_by_key_implILNS1_25lookback_scan_determinismE0ELb1ES3_N6thrust23THRUST_200600_302600_NS6detail15normal_iteratorINS9_10device_ptrIiEEEESE_SE_iNS9_10multipliesIiEENS9_8equal_toIiEEiEE10hipError_tPvRmT2_T3_T4_T5_mT6_T7_P12ihipStream_tbENKUlT_T0_E_clISt17integral_constantIbLb1EESY_IbLb0EEEEDaSU_SV_EUlSU_E_NS1_11comp_targetILNS1_3genE3ELNS1_11target_archE908ELNS1_3gpuE7ELNS1_3repE0EEENS1_30default_config_static_selectorELNS0_4arch9wavefront6targetE1EEEvT1_.kd
    .uniform_work_group_size: 1
    .uses_dynamic_stack: false
    .vgpr_count:     0
    .vgpr_spill_count: 0
    .wavefront_size: 64
  - .agpr_count:     0
    .args:
      - .offset:         0
        .size:           112
        .value_kind:     by_value
    .group_segment_fixed_size: 0
    .kernarg_segment_align: 8
    .kernarg_segment_size: 112
    .language:       OpenCL C
    .language_version:
      - 2
      - 0
    .max_flat_workgroup_size: 256
    .name:           _ZN7rocprim17ROCPRIM_400000_NS6detail17trampoline_kernelINS0_14default_configENS1_27scan_by_key_config_selectorIiiEEZZNS1_16scan_by_key_implILNS1_25lookback_scan_determinismE0ELb1ES3_N6thrust23THRUST_200600_302600_NS6detail15normal_iteratorINS9_10device_ptrIiEEEESE_SE_iNS9_10multipliesIiEENS9_8equal_toIiEEiEE10hipError_tPvRmT2_T3_T4_T5_mT6_T7_P12ihipStream_tbENKUlT_T0_E_clISt17integral_constantIbLb1EESY_IbLb0EEEEDaSU_SV_EUlSU_E_NS1_11comp_targetILNS1_3genE2ELNS1_11target_archE906ELNS1_3gpuE6ELNS1_3repE0EEENS1_30default_config_static_selectorELNS0_4arch9wavefront6targetE1EEEvT1_
    .private_segment_fixed_size: 0
    .sgpr_count:     4
    .sgpr_spill_count: 0
    .symbol:         _ZN7rocprim17ROCPRIM_400000_NS6detail17trampoline_kernelINS0_14default_configENS1_27scan_by_key_config_selectorIiiEEZZNS1_16scan_by_key_implILNS1_25lookback_scan_determinismE0ELb1ES3_N6thrust23THRUST_200600_302600_NS6detail15normal_iteratorINS9_10device_ptrIiEEEESE_SE_iNS9_10multipliesIiEENS9_8equal_toIiEEiEE10hipError_tPvRmT2_T3_T4_T5_mT6_T7_P12ihipStream_tbENKUlT_T0_E_clISt17integral_constantIbLb1EESY_IbLb0EEEEDaSU_SV_EUlSU_E_NS1_11comp_targetILNS1_3genE2ELNS1_11target_archE906ELNS1_3gpuE6ELNS1_3repE0EEENS1_30default_config_static_selectorELNS0_4arch9wavefront6targetE1EEEvT1_.kd
    .uniform_work_group_size: 1
    .uses_dynamic_stack: false
    .vgpr_count:     0
    .vgpr_spill_count: 0
    .wavefront_size: 64
  - .agpr_count:     0
    .args:
      - .offset:         0
        .size:           112
        .value_kind:     by_value
    .group_segment_fixed_size: 0
    .kernarg_segment_align: 8
    .kernarg_segment_size: 112
    .language:       OpenCL C
    .language_version:
      - 2
      - 0
    .max_flat_workgroup_size: 256
    .name:           _ZN7rocprim17ROCPRIM_400000_NS6detail17trampoline_kernelINS0_14default_configENS1_27scan_by_key_config_selectorIiiEEZZNS1_16scan_by_key_implILNS1_25lookback_scan_determinismE0ELb1ES3_N6thrust23THRUST_200600_302600_NS6detail15normal_iteratorINS9_10device_ptrIiEEEESE_SE_iNS9_10multipliesIiEENS9_8equal_toIiEEiEE10hipError_tPvRmT2_T3_T4_T5_mT6_T7_P12ihipStream_tbENKUlT_T0_E_clISt17integral_constantIbLb1EESY_IbLb0EEEEDaSU_SV_EUlSU_E_NS1_11comp_targetILNS1_3genE10ELNS1_11target_archE1200ELNS1_3gpuE4ELNS1_3repE0EEENS1_30default_config_static_selectorELNS0_4arch9wavefront6targetE1EEEvT1_
    .private_segment_fixed_size: 0
    .sgpr_count:     4
    .sgpr_spill_count: 0
    .symbol:         _ZN7rocprim17ROCPRIM_400000_NS6detail17trampoline_kernelINS0_14default_configENS1_27scan_by_key_config_selectorIiiEEZZNS1_16scan_by_key_implILNS1_25lookback_scan_determinismE0ELb1ES3_N6thrust23THRUST_200600_302600_NS6detail15normal_iteratorINS9_10device_ptrIiEEEESE_SE_iNS9_10multipliesIiEENS9_8equal_toIiEEiEE10hipError_tPvRmT2_T3_T4_T5_mT6_T7_P12ihipStream_tbENKUlT_T0_E_clISt17integral_constantIbLb1EESY_IbLb0EEEEDaSU_SV_EUlSU_E_NS1_11comp_targetILNS1_3genE10ELNS1_11target_archE1200ELNS1_3gpuE4ELNS1_3repE0EEENS1_30default_config_static_selectorELNS0_4arch9wavefront6targetE1EEEvT1_.kd
    .uniform_work_group_size: 1
    .uses_dynamic_stack: false
    .vgpr_count:     0
    .vgpr_spill_count: 0
    .wavefront_size: 64
  - .agpr_count:     0
    .args:
      - .offset:         0
        .size:           112
        .value_kind:     by_value
    .group_segment_fixed_size: 0
    .kernarg_segment_align: 8
    .kernarg_segment_size: 112
    .language:       OpenCL C
    .language_version:
      - 2
      - 0
    .max_flat_workgroup_size: 256
    .name:           _ZN7rocprim17ROCPRIM_400000_NS6detail17trampoline_kernelINS0_14default_configENS1_27scan_by_key_config_selectorIiiEEZZNS1_16scan_by_key_implILNS1_25lookback_scan_determinismE0ELb1ES3_N6thrust23THRUST_200600_302600_NS6detail15normal_iteratorINS9_10device_ptrIiEEEESE_SE_iNS9_10multipliesIiEENS9_8equal_toIiEEiEE10hipError_tPvRmT2_T3_T4_T5_mT6_T7_P12ihipStream_tbENKUlT_T0_E_clISt17integral_constantIbLb1EESY_IbLb0EEEEDaSU_SV_EUlSU_E_NS1_11comp_targetILNS1_3genE9ELNS1_11target_archE1100ELNS1_3gpuE3ELNS1_3repE0EEENS1_30default_config_static_selectorELNS0_4arch9wavefront6targetE1EEEvT1_
    .private_segment_fixed_size: 0
    .sgpr_count:     4
    .sgpr_spill_count: 0
    .symbol:         _ZN7rocprim17ROCPRIM_400000_NS6detail17trampoline_kernelINS0_14default_configENS1_27scan_by_key_config_selectorIiiEEZZNS1_16scan_by_key_implILNS1_25lookback_scan_determinismE0ELb1ES3_N6thrust23THRUST_200600_302600_NS6detail15normal_iteratorINS9_10device_ptrIiEEEESE_SE_iNS9_10multipliesIiEENS9_8equal_toIiEEiEE10hipError_tPvRmT2_T3_T4_T5_mT6_T7_P12ihipStream_tbENKUlT_T0_E_clISt17integral_constantIbLb1EESY_IbLb0EEEEDaSU_SV_EUlSU_E_NS1_11comp_targetILNS1_3genE9ELNS1_11target_archE1100ELNS1_3gpuE3ELNS1_3repE0EEENS1_30default_config_static_selectorELNS0_4arch9wavefront6targetE1EEEvT1_.kd
    .uniform_work_group_size: 1
    .uses_dynamic_stack: false
    .vgpr_count:     0
    .vgpr_spill_count: 0
    .wavefront_size: 64
  - .agpr_count:     0
    .args:
      - .offset:         0
        .size:           112
        .value_kind:     by_value
    .group_segment_fixed_size: 0
    .kernarg_segment_align: 8
    .kernarg_segment_size: 112
    .language:       OpenCL C
    .language_version:
      - 2
      - 0
    .max_flat_workgroup_size: 256
    .name:           _ZN7rocprim17ROCPRIM_400000_NS6detail17trampoline_kernelINS0_14default_configENS1_27scan_by_key_config_selectorIiiEEZZNS1_16scan_by_key_implILNS1_25lookback_scan_determinismE0ELb1ES3_N6thrust23THRUST_200600_302600_NS6detail15normal_iteratorINS9_10device_ptrIiEEEESE_SE_iNS9_10multipliesIiEENS9_8equal_toIiEEiEE10hipError_tPvRmT2_T3_T4_T5_mT6_T7_P12ihipStream_tbENKUlT_T0_E_clISt17integral_constantIbLb1EESY_IbLb0EEEEDaSU_SV_EUlSU_E_NS1_11comp_targetILNS1_3genE8ELNS1_11target_archE1030ELNS1_3gpuE2ELNS1_3repE0EEENS1_30default_config_static_selectorELNS0_4arch9wavefront6targetE1EEEvT1_
    .private_segment_fixed_size: 0
    .sgpr_count:     4
    .sgpr_spill_count: 0
    .symbol:         _ZN7rocprim17ROCPRIM_400000_NS6detail17trampoline_kernelINS0_14default_configENS1_27scan_by_key_config_selectorIiiEEZZNS1_16scan_by_key_implILNS1_25lookback_scan_determinismE0ELb1ES3_N6thrust23THRUST_200600_302600_NS6detail15normal_iteratorINS9_10device_ptrIiEEEESE_SE_iNS9_10multipliesIiEENS9_8equal_toIiEEiEE10hipError_tPvRmT2_T3_T4_T5_mT6_T7_P12ihipStream_tbENKUlT_T0_E_clISt17integral_constantIbLb1EESY_IbLb0EEEEDaSU_SV_EUlSU_E_NS1_11comp_targetILNS1_3genE8ELNS1_11target_archE1030ELNS1_3gpuE2ELNS1_3repE0EEENS1_30default_config_static_selectorELNS0_4arch9wavefront6targetE1EEEvT1_.kd
    .uniform_work_group_size: 1
    .uses_dynamic_stack: false
    .vgpr_count:     0
    .vgpr_spill_count: 0
    .wavefront_size: 64
  - .agpr_count:     0
    .args:
      - .offset:         0
        .size:           112
        .value_kind:     by_value
    .group_segment_fixed_size: 0
    .kernarg_segment_align: 8
    .kernarg_segment_size: 112
    .language:       OpenCL C
    .language_version:
      - 2
      - 0
    .max_flat_workgroup_size: 256
    .name:           _ZN7rocprim17ROCPRIM_400000_NS6detail17trampoline_kernelINS0_14default_configENS1_27scan_by_key_config_selectorIiiEEZZNS1_16scan_by_key_implILNS1_25lookback_scan_determinismE0ELb1ES3_N6thrust23THRUST_200600_302600_NS6detail15normal_iteratorINS9_10device_ptrIiEEEESE_SE_iNS9_10multipliesIiEENS9_8equal_toIiEEiEE10hipError_tPvRmT2_T3_T4_T5_mT6_T7_P12ihipStream_tbENKUlT_T0_E_clISt17integral_constantIbLb0EESY_IbLb1EEEEDaSU_SV_EUlSU_E_NS1_11comp_targetILNS1_3genE0ELNS1_11target_archE4294967295ELNS1_3gpuE0ELNS1_3repE0EEENS1_30default_config_static_selectorELNS0_4arch9wavefront6targetE1EEEvT1_
    .private_segment_fixed_size: 0
    .sgpr_count:     4
    .sgpr_spill_count: 0
    .symbol:         _ZN7rocprim17ROCPRIM_400000_NS6detail17trampoline_kernelINS0_14default_configENS1_27scan_by_key_config_selectorIiiEEZZNS1_16scan_by_key_implILNS1_25lookback_scan_determinismE0ELb1ES3_N6thrust23THRUST_200600_302600_NS6detail15normal_iteratorINS9_10device_ptrIiEEEESE_SE_iNS9_10multipliesIiEENS9_8equal_toIiEEiEE10hipError_tPvRmT2_T3_T4_T5_mT6_T7_P12ihipStream_tbENKUlT_T0_E_clISt17integral_constantIbLb0EESY_IbLb1EEEEDaSU_SV_EUlSU_E_NS1_11comp_targetILNS1_3genE0ELNS1_11target_archE4294967295ELNS1_3gpuE0ELNS1_3repE0EEENS1_30default_config_static_selectorELNS0_4arch9wavefront6targetE1EEEvT1_.kd
    .uniform_work_group_size: 1
    .uses_dynamic_stack: false
    .vgpr_count:     0
    .vgpr_spill_count: 0
    .wavefront_size: 64
  - .agpr_count:     0
    .args:
      - .offset:         0
        .size:           112
        .value_kind:     by_value
    .group_segment_fixed_size: 0
    .kernarg_segment_align: 8
    .kernarg_segment_size: 112
    .language:       OpenCL C
    .language_version:
      - 2
      - 0
    .max_flat_workgroup_size: 256
    .name:           _ZN7rocprim17ROCPRIM_400000_NS6detail17trampoline_kernelINS0_14default_configENS1_27scan_by_key_config_selectorIiiEEZZNS1_16scan_by_key_implILNS1_25lookback_scan_determinismE0ELb1ES3_N6thrust23THRUST_200600_302600_NS6detail15normal_iteratorINS9_10device_ptrIiEEEESE_SE_iNS9_10multipliesIiEENS9_8equal_toIiEEiEE10hipError_tPvRmT2_T3_T4_T5_mT6_T7_P12ihipStream_tbENKUlT_T0_E_clISt17integral_constantIbLb0EESY_IbLb1EEEEDaSU_SV_EUlSU_E_NS1_11comp_targetILNS1_3genE10ELNS1_11target_archE1201ELNS1_3gpuE5ELNS1_3repE0EEENS1_30default_config_static_selectorELNS0_4arch9wavefront6targetE1EEEvT1_
    .private_segment_fixed_size: 0
    .sgpr_count:     4
    .sgpr_spill_count: 0
    .symbol:         _ZN7rocprim17ROCPRIM_400000_NS6detail17trampoline_kernelINS0_14default_configENS1_27scan_by_key_config_selectorIiiEEZZNS1_16scan_by_key_implILNS1_25lookback_scan_determinismE0ELb1ES3_N6thrust23THRUST_200600_302600_NS6detail15normal_iteratorINS9_10device_ptrIiEEEESE_SE_iNS9_10multipliesIiEENS9_8equal_toIiEEiEE10hipError_tPvRmT2_T3_T4_T5_mT6_T7_P12ihipStream_tbENKUlT_T0_E_clISt17integral_constantIbLb0EESY_IbLb1EEEEDaSU_SV_EUlSU_E_NS1_11comp_targetILNS1_3genE10ELNS1_11target_archE1201ELNS1_3gpuE5ELNS1_3repE0EEENS1_30default_config_static_selectorELNS0_4arch9wavefront6targetE1EEEvT1_.kd
    .uniform_work_group_size: 1
    .uses_dynamic_stack: false
    .vgpr_count:     0
    .vgpr_spill_count: 0
    .wavefront_size: 64
  - .agpr_count:     0
    .args:
      - .offset:         0
        .size:           112
        .value_kind:     by_value
    .group_segment_fixed_size: 0
    .kernarg_segment_align: 8
    .kernarg_segment_size: 112
    .language:       OpenCL C
    .language_version:
      - 2
      - 0
    .max_flat_workgroup_size: 256
    .name:           _ZN7rocprim17ROCPRIM_400000_NS6detail17trampoline_kernelINS0_14default_configENS1_27scan_by_key_config_selectorIiiEEZZNS1_16scan_by_key_implILNS1_25lookback_scan_determinismE0ELb1ES3_N6thrust23THRUST_200600_302600_NS6detail15normal_iteratorINS9_10device_ptrIiEEEESE_SE_iNS9_10multipliesIiEENS9_8equal_toIiEEiEE10hipError_tPvRmT2_T3_T4_T5_mT6_T7_P12ihipStream_tbENKUlT_T0_E_clISt17integral_constantIbLb0EESY_IbLb1EEEEDaSU_SV_EUlSU_E_NS1_11comp_targetILNS1_3genE5ELNS1_11target_archE942ELNS1_3gpuE9ELNS1_3repE0EEENS1_30default_config_static_selectorELNS0_4arch9wavefront6targetE1EEEvT1_
    .private_segment_fixed_size: 0
    .sgpr_count:     4
    .sgpr_spill_count: 0
    .symbol:         _ZN7rocprim17ROCPRIM_400000_NS6detail17trampoline_kernelINS0_14default_configENS1_27scan_by_key_config_selectorIiiEEZZNS1_16scan_by_key_implILNS1_25lookback_scan_determinismE0ELb1ES3_N6thrust23THRUST_200600_302600_NS6detail15normal_iteratorINS9_10device_ptrIiEEEESE_SE_iNS9_10multipliesIiEENS9_8equal_toIiEEiEE10hipError_tPvRmT2_T3_T4_T5_mT6_T7_P12ihipStream_tbENKUlT_T0_E_clISt17integral_constantIbLb0EESY_IbLb1EEEEDaSU_SV_EUlSU_E_NS1_11comp_targetILNS1_3genE5ELNS1_11target_archE942ELNS1_3gpuE9ELNS1_3repE0EEENS1_30default_config_static_selectorELNS0_4arch9wavefront6targetE1EEEvT1_.kd
    .uniform_work_group_size: 1
    .uses_dynamic_stack: false
    .vgpr_count:     0
    .vgpr_spill_count: 0
    .wavefront_size: 64
  - .agpr_count:     0
    .args:
      - .offset:         0
        .size:           112
        .value_kind:     by_value
    .group_segment_fixed_size: 16384
    .kernarg_segment_align: 8
    .kernarg_segment_size: 112
    .language:       OpenCL C
    .language_version:
      - 2
      - 0
    .max_flat_workgroup_size: 256
    .name:           _ZN7rocprim17ROCPRIM_400000_NS6detail17trampoline_kernelINS0_14default_configENS1_27scan_by_key_config_selectorIiiEEZZNS1_16scan_by_key_implILNS1_25lookback_scan_determinismE0ELb1ES3_N6thrust23THRUST_200600_302600_NS6detail15normal_iteratorINS9_10device_ptrIiEEEESE_SE_iNS9_10multipliesIiEENS9_8equal_toIiEEiEE10hipError_tPvRmT2_T3_T4_T5_mT6_T7_P12ihipStream_tbENKUlT_T0_E_clISt17integral_constantIbLb0EESY_IbLb1EEEEDaSU_SV_EUlSU_E_NS1_11comp_targetILNS1_3genE4ELNS1_11target_archE910ELNS1_3gpuE8ELNS1_3repE0EEENS1_30default_config_static_selectorELNS0_4arch9wavefront6targetE1EEEvT1_
    .private_segment_fixed_size: 0
    .sgpr_count:     64
    .sgpr_spill_count: 0
    .symbol:         _ZN7rocprim17ROCPRIM_400000_NS6detail17trampoline_kernelINS0_14default_configENS1_27scan_by_key_config_selectorIiiEEZZNS1_16scan_by_key_implILNS1_25lookback_scan_determinismE0ELb1ES3_N6thrust23THRUST_200600_302600_NS6detail15normal_iteratorINS9_10device_ptrIiEEEESE_SE_iNS9_10multipliesIiEENS9_8equal_toIiEEiEE10hipError_tPvRmT2_T3_T4_T5_mT6_T7_P12ihipStream_tbENKUlT_T0_E_clISt17integral_constantIbLb0EESY_IbLb1EEEEDaSU_SV_EUlSU_E_NS1_11comp_targetILNS1_3genE4ELNS1_11target_archE910ELNS1_3gpuE8ELNS1_3repE0EEENS1_30default_config_static_selectorELNS0_4arch9wavefront6targetE1EEEvT1_.kd
    .uniform_work_group_size: 1
    .uses_dynamic_stack: false
    .vgpr_count:     64
    .vgpr_spill_count: 0
    .wavefront_size: 64
  - .agpr_count:     0
    .args:
      - .offset:         0
        .size:           112
        .value_kind:     by_value
    .group_segment_fixed_size: 0
    .kernarg_segment_align: 8
    .kernarg_segment_size: 112
    .language:       OpenCL C
    .language_version:
      - 2
      - 0
    .max_flat_workgroup_size: 256
    .name:           _ZN7rocprim17ROCPRIM_400000_NS6detail17trampoline_kernelINS0_14default_configENS1_27scan_by_key_config_selectorIiiEEZZNS1_16scan_by_key_implILNS1_25lookback_scan_determinismE0ELb1ES3_N6thrust23THRUST_200600_302600_NS6detail15normal_iteratorINS9_10device_ptrIiEEEESE_SE_iNS9_10multipliesIiEENS9_8equal_toIiEEiEE10hipError_tPvRmT2_T3_T4_T5_mT6_T7_P12ihipStream_tbENKUlT_T0_E_clISt17integral_constantIbLb0EESY_IbLb1EEEEDaSU_SV_EUlSU_E_NS1_11comp_targetILNS1_3genE3ELNS1_11target_archE908ELNS1_3gpuE7ELNS1_3repE0EEENS1_30default_config_static_selectorELNS0_4arch9wavefront6targetE1EEEvT1_
    .private_segment_fixed_size: 0
    .sgpr_count:     4
    .sgpr_spill_count: 0
    .symbol:         _ZN7rocprim17ROCPRIM_400000_NS6detail17trampoline_kernelINS0_14default_configENS1_27scan_by_key_config_selectorIiiEEZZNS1_16scan_by_key_implILNS1_25lookback_scan_determinismE0ELb1ES3_N6thrust23THRUST_200600_302600_NS6detail15normal_iteratorINS9_10device_ptrIiEEEESE_SE_iNS9_10multipliesIiEENS9_8equal_toIiEEiEE10hipError_tPvRmT2_T3_T4_T5_mT6_T7_P12ihipStream_tbENKUlT_T0_E_clISt17integral_constantIbLb0EESY_IbLb1EEEEDaSU_SV_EUlSU_E_NS1_11comp_targetILNS1_3genE3ELNS1_11target_archE908ELNS1_3gpuE7ELNS1_3repE0EEENS1_30default_config_static_selectorELNS0_4arch9wavefront6targetE1EEEvT1_.kd
    .uniform_work_group_size: 1
    .uses_dynamic_stack: false
    .vgpr_count:     0
    .vgpr_spill_count: 0
    .wavefront_size: 64
  - .agpr_count:     0
    .args:
      - .offset:         0
        .size:           112
        .value_kind:     by_value
    .group_segment_fixed_size: 0
    .kernarg_segment_align: 8
    .kernarg_segment_size: 112
    .language:       OpenCL C
    .language_version:
      - 2
      - 0
    .max_flat_workgroup_size: 256
    .name:           _ZN7rocprim17ROCPRIM_400000_NS6detail17trampoline_kernelINS0_14default_configENS1_27scan_by_key_config_selectorIiiEEZZNS1_16scan_by_key_implILNS1_25lookback_scan_determinismE0ELb1ES3_N6thrust23THRUST_200600_302600_NS6detail15normal_iteratorINS9_10device_ptrIiEEEESE_SE_iNS9_10multipliesIiEENS9_8equal_toIiEEiEE10hipError_tPvRmT2_T3_T4_T5_mT6_T7_P12ihipStream_tbENKUlT_T0_E_clISt17integral_constantIbLb0EESY_IbLb1EEEEDaSU_SV_EUlSU_E_NS1_11comp_targetILNS1_3genE2ELNS1_11target_archE906ELNS1_3gpuE6ELNS1_3repE0EEENS1_30default_config_static_selectorELNS0_4arch9wavefront6targetE1EEEvT1_
    .private_segment_fixed_size: 0
    .sgpr_count:     4
    .sgpr_spill_count: 0
    .symbol:         _ZN7rocprim17ROCPRIM_400000_NS6detail17trampoline_kernelINS0_14default_configENS1_27scan_by_key_config_selectorIiiEEZZNS1_16scan_by_key_implILNS1_25lookback_scan_determinismE0ELb1ES3_N6thrust23THRUST_200600_302600_NS6detail15normal_iteratorINS9_10device_ptrIiEEEESE_SE_iNS9_10multipliesIiEENS9_8equal_toIiEEiEE10hipError_tPvRmT2_T3_T4_T5_mT6_T7_P12ihipStream_tbENKUlT_T0_E_clISt17integral_constantIbLb0EESY_IbLb1EEEEDaSU_SV_EUlSU_E_NS1_11comp_targetILNS1_3genE2ELNS1_11target_archE906ELNS1_3gpuE6ELNS1_3repE0EEENS1_30default_config_static_selectorELNS0_4arch9wavefront6targetE1EEEvT1_.kd
    .uniform_work_group_size: 1
    .uses_dynamic_stack: false
    .vgpr_count:     0
    .vgpr_spill_count: 0
    .wavefront_size: 64
  - .agpr_count:     0
    .args:
      - .offset:         0
        .size:           112
        .value_kind:     by_value
    .group_segment_fixed_size: 0
    .kernarg_segment_align: 8
    .kernarg_segment_size: 112
    .language:       OpenCL C
    .language_version:
      - 2
      - 0
    .max_flat_workgroup_size: 256
    .name:           _ZN7rocprim17ROCPRIM_400000_NS6detail17trampoline_kernelINS0_14default_configENS1_27scan_by_key_config_selectorIiiEEZZNS1_16scan_by_key_implILNS1_25lookback_scan_determinismE0ELb1ES3_N6thrust23THRUST_200600_302600_NS6detail15normal_iteratorINS9_10device_ptrIiEEEESE_SE_iNS9_10multipliesIiEENS9_8equal_toIiEEiEE10hipError_tPvRmT2_T3_T4_T5_mT6_T7_P12ihipStream_tbENKUlT_T0_E_clISt17integral_constantIbLb0EESY_IbLb1EEEEDaSU_SV_EUlSU_E_NS1_11comp_targetILNS1_3genE10ELNS1_11target_archE1200ELNS1_3gpuE4ELNS1_3repE0EEENS1_30default_config_static_selectorELNS0_4arch9wavefront6targetE1EEEvT1_
    .private_segment_fixed_size: 0
    .sgpr_count:     4
    .sgpr_spill_count: 0
    .symbol:         _ZN7rocprim17ROCPRIM_400000_NS6detail17trampoline_kernelINS0_14default_configENS1_27scan_by_key_config_selectorIiiEEZZNS1_16scan_by_key_implILNS1_25lookback_scan_determinismE0ELb1ES3_N6thrust23THRUST_200600_302600_NS6detail15normal_iteratorINS9_10device_ptrIiEEEESE_SE_iNS9_10multipliesIiEENS9_8equal_toIiEEiEE10hipError_tPvRmT2_T3_T4_T5_mT6_T7_P12ihipStream_tbENKUlT_T0_E_clISt17integral_constantIbLb0EESY_IbLb1EEEEDaSU_SV_EUlSU_E_NS1_11comp_targetILNS1_3genE10ELNS1_11target_archE1200ELNS1_3gpuE4ELNS1_3repE0EEENS1_30default_config_static_selectorELNS0_4arch9wavefront6targetE1EEEvT1_.kd
    .uniform_work_group_size: 1
    .uses_dynamic_stack: false
    .vgpr_count:     0
    .vgpr_spill_count: 0
    .wavefront_size: 64
  - .agpr_count:     0
    .args:
      - .offset:         0
        .size:           112
        .value_kind:     by_value
    .group_segment_fixed_size: 0
    .kernarg_segment_align: 8
    .kernarg_segment_size: 112
    .language:       OpenCL C
    .language_version:
      - 2
      - 0
    .max_flat_workgroup_size: 256
    .name:           _ZN7rocprim17ROCPRIM_400000_NS6detail17trampoline_kernelINS0_14default_configENS1_27scan_by_key_config_selectorIiiEEZZNS1_16scan_by_key_implILNS1_25lookback_scan_determinismE0ELb1ES3_N6thrust23THRUST_200600_302600_NS6detail15normal_iteratorINS9_10device_ptrIiEEEESE_SE_iNS9_10multipliesIiEENS9_8equal_toIiEEiEE10hipError_tPvRmT2_T3_T4_T5_mT6_T7_P12ihipStream_tbENKUlT_T0_E_clISt17integral_constantIbLb0EESY_IbLb1EEEEDaSU_SV_EUlSU_E_NS1_11comp_targetILNS1_3genE9ELNS1_11target_archE1100ELNS1_3gpuE3ELNS1_3repE0EEENS1_30default_config_static_selectorELNS0_4arch9wavefront6targetE1EEEvT1_
    .private_segment_fixed_size: 0
    .sgpr_count:     4
    .sgpr_spill_count: 0
    .symbol:         _ZN7rocprim17ROCPRIM_400000_NS6detail17trampoline_kernelINS0_14default_configENS1_27scan_by_key_config_selectorIiiEEZZNS1_16scan_by_key_implILNS1_25lookback_scan_determinismE0ELb1ES3_N6thrust23THRUST_200600_302600_NS6detail15normal_iteratorINS9_10device_ptrIiEEEESE_SE_iNS9_10multipliesIiEENS9_8equal_toIiEEiEE10hipError_tPvRmT2_T3_T4_T5_mT6_T7_P12ihipStream_tbENKUlT_T0_E_clISt17integral_constantIbLb0EESY_IbLb1EEEEDaSU_SV_EUlSU_E_NS1_11comp_targetILNS1_3genE9ELNS1_11target_archE1100ELNS1_3gpuE3ELNS1_3repE0EEENS1_30default_config_static_selectorELNS0_4arch9wavefront6targetE1EEEvT1_.kd
    .uniform_work_group_size: 1
    .uses_dynamic_stack: false
    .vgpr_count:     0
    .vgpr_spill_count: 0
    .wavefront_size: 64
  - .agpr_count:     0
    .args:
      - .offset:         0
        .size:           112
        .value_kind:     by_value
    .group_segment_fixed_size: 0
    .kernarg_segment_align: 8
    .kernarg_segment_size: 112
    .language:       OpenCL C
    .language_version:
      - 2
      - 0
    .max_flat_workgroup_size: 256
    .name:           _ZN7rocprim17ROCPRIM_400000_NS6detail17trampoline_kernelINS0_14default_configENS1_27scan_by_key_config_selectorIiiEEZZNS1_16scan_by_key_implILNS1_25lookback_scan_determinismE0ELb1ES3_N6thrust23THRUST_200600_302600_NS6detail15normal_iteratorINS9_10device_ptrIiEEEESE_SE_iNS9_10multipliesIiEENS9_8equal_toIiEEiEE10hipError_tPvRmT2_T3_T4_T5_mT6_T7_P12ihipStream_tbENKUlT_T0_E_clISt17integral_constantIbLb0EESY_IbLb1EEEEDaSU_SV_EUlSU_E_NS1_11comp_targetILNS1_3genE8ELNS1_11target_archE1030ELNS1_3gpuE2ELNS1_3repE0EEENS1_30default_config_static_selectorELNS0_4arch9wavefront6targetE1EEEvT1_
    .private_segment_fixed_size: 0
    .sgpr_count:     4
    .sgpr_spill_count: 0
    .symbol:         _ZN7rocprim17ROCPRIM_400000_NS6detail17trampoline_kernelINS0_14default_configENS1_27scan_by_key_config_selectorIiiEEZZNS1_16scan_by_key_implILNS1_25lookback_scan_determinismE0ELb1ES3_N6thrust23THRUST_200600_302600_NS6detail15normal_iteratorINS9_10device_ptrIiEEEESE_SE_iNS9_10multipliesIiEENS9_8equal_toIiEEiEE10hipError_tPvRmT2_T3_T4_T5_mT6_T7_P12ihipStream_tbENKUlT_T0_E_clISt17integral_constantIbLb0EESY_IbLb1EEEEDaSU_SV_EUlSU_E_NS1_11comp_targetILNS1_3genE8ELNS1_11target_archE1030ELNS1_3gpuE2ELNS1_3repE0EEENS1_30default_config_static_selectorELNS0_4arch9wavefront6targetE1EEEvT1_.kd
    .uniform_work_group_size: 1
    .uses_dynamic_stack: false
    .vgpr_count:     0
    .vgpr_spill_count: 0
    .wavefront_size: 64
  - .agpr_count:     0
    .args:
      - .offset:         0
        .size:           112
        .value_kind:     by_value
    .group_segment_fixed_size: 0
    .kernarg_segment_align: 8
    .kernarg_segment_size: 112
    .language:       OpenCL C
    .language_version:
      - 2
      - 0
    .max_flat_workgroup_size: 256
    .name:           _ZN7rocprim17ROCPRIM_400000_NS6detail17trampoline_kernelINS0_14default_configENS1_27scan_by_key_config_selectorIiiEEZZNS1_16scan_by_key_implILNS1_25lookback_scan_determinismE0ELb1ES3_N6thrust23THRUST_200600_302600_NS6detail15normal_iteratorINS9_10device_ptrIiEEEESE_SE_iNS9_4plusIvEENS9_8equal_toIiEEiEE10hipError_tPvRmT2_T3_T4_T5_mT6_T7_P12ihipStream_tbENKUlT_T0_E_clISt17integral_constantIbLb0EESZ_EEDaSU_SV_EUlSU_E_NS1_11comp_targetILNS1_3genE0ELNS1_11target_archE4294967295ELNS1_3gpuE0ELNS1_3repE0EEENS1_30default_config_static_selectorELNS0_4arch9wavefront6targetE1EEEvT1_
    .private_segment_fixed_size: 0
    .sgpr_count:     4
    .sgpr_spill_count: 0
    .symbol:         _ZN7rocprim17ROCPRIM_400000_NS6detail17trampoline_kernelINS0_14default_configENS1_27scan_by_key_config_selectorIiiEEZZNS1_16scan_by_key_implILNS1_25lookback_scan_determinismE0ELb1ES3_N6thrust23THRUST_200600_302600_NS6detail15normal_iteratorINS9_10device_ptrIiEEEESE_SE_iNS9_4plusIvEENS9_8equal_toIiEEiEE10hipError_tPvRmT2_T3_T4_T5_mT6_T7_P12ihipStream_tbENKUlT_T0_E_clISt17integral_constantIbLb0EESZ_EEDaSU_SV_EUlSU_E_NS1_11comp_targetILNS1_3genE0ELNS1_11target_archE4294967295ELNS1_3gpuE0ELNS1_3repE0EEENS1_30default_config_static_selectorELNS0_4arch9wavefront6targetE1EEEvT1_.kd
    .uniform_work_group_size: 1
    .uses_dynamic_stack: false
    .vgpr_count:     0
    .vgpr_spill_count: 0
    .wavefront_size: 64
  - .agpr_count:     0
    .args:
      - .offset:         0
        .size:           112
        .value_kind:     by_value
    .group_segment_fixed_size: 0
    .kernarg_segment_align: 8
    .kernarg_segment_size: 112
    .language:       OpenCL C
    .language_version:
      - 2
      - 0
    .max_flat_workgroup_size: 256
    .name:           _ZN7rocprim17ROCPRIM_400000_NS6detail17trampoline_kernelINS0_14default_configENS1_27scan_by_key_config_selectorIiiEEZZNS1_16scan_by_key_implILNS1_25lookback_scan_determinismE0ELb1ES3_N6thrust23THRUST_200600_302600_NS6detail15normal_iteratorINS9_10device_ptrIiEEEESE_SE_iNS9_4plusIvEENS9_8equal_toIiEEiEE10hipError_tPvRmT2_T3_T4_T5_mT6_T7_P12ihipStream_tbENKUlT_T0_E_clISt17integral_constantIbLb0EESZ_EEDaSU_SV_EUlSU_E_NS1_11comp_targetILNS1_3genE10ELNS1_11target_archE1201ELNS1_3gpuE5ELNS1_3repE0EEENS1_30default_config_static_selectorELNS0_4arch9wavefront6targetE1EEEvT1_
    .private_segment_fixed_size: 0
    .sgpr_count:     4
    .sgpr_spill_count: 0
    .symbol:         _ZN7rocprim17ROCPRIM_400000_NS6detail17trampoline_kernelINS0_14default_configENS1_27scan_by_key_config_selectorIiiEEZZNS1_16scan_by_key_implILNS1_25lookback_scan_determinismE0ELb1ES3_N6thrust23THRUST_200600_302600_NS6detail15normal_iteratorINS9_10device_ptrIiEEEESE_SE_iNS9_4plusIvEENS9_8equal_toIiEEiEE10hipError_tPvRmT2_T3_T4_T5_mT6_T7_P12ihipStream_tbENKUlT_T0_E_clISt17integral_constantIbLb0EESZ_EEDaSU_SV_EUlSU_E_NS1_11comp_targetILNS1_3genE10ELNS1_11target_archE1201ELNS1_3gpuE5ELNS1_3repE0EEENS1_30default_config_static_selectorELNS0_4arch9wavefront6targetE1EEEvT1_.kd
    .uniform_work_group_size: 1
    .uses_dynamic_stack: false
    .vgpr_count:     0
    .vgpr_spill_count: 0
    .wavefront_size: 64
  - .agpr_count:     0
    .args:
      - .offset:         0
        .size:           112
        .value_kind:     by_value
    .group_segment_fixed_size: 0
    .kernarg_segment_align: 8
    .kernarg_segment_size: 112
    .language:       OpenCL C
    .language_version:
      - 2
      - 0
    .max_flat_workgroup_size: 256
    .name:           _ZN7rocprim17ROCPRIM_400000_NS6detail17trampoline_kernelINS0_14default_configENS1_27scan_by_key_config_selectorIiiEEZZNS1_16scan_by_key_implILNS1_25lookback_scan_determinismE0ELb1ES3_N6thrust23THRUST_200600_302600_NS6detail15normal_iteratorINS9_10device_ptrIiEEEESE_SE_iNS9_4plusIvEENS9_8equal_toIiEEiEE10hipError_tPvRmT2_T3_T4_T5_mT6_T7_P12ihipStream_tbENKUlT_T0_E_clISt17integral_constantIbLb0EESZ_EEDaSU_SV_EUlSU_E_NS1_11comp_targetILNS1_3genE5ELNS1_11target_archE942ELNS1_3gpuE9ELNS1_3repE0EEENS1_30default_config_static_selectorELNS0_4arch9wavefront6targetE1EEEvT1_
    .private_segment_fixed_size: 0
    .sgpr_count:     4
    .sgpr_spill_count: 0
    .symbol:         _ZN7rocprim17ROCPRIM_400000_NS6detail17trampoline_kernelINS0_14default_configENS1_27scan_by_key_config_selectorIiiEEZZNS1_16scan_by_key_implILNS1_25lookback_scan_determinismE0ELb1ES3_N6thrust23THRUST_200600_302600_NS6detail15normal_iteratorINS9_10device_ptrIiEEEESE_SE_iNS9_4plusIvEENS9_8equal_toIiEEiEE10hipError_tPvRmT2_T3_T4_T5_mT6_T7_P12ihipStream_tbENKUlT_T0_E_clISt17integral_constantIbLb0EESZ_EEDaSU_SV_EUlSU_E_NS1_11comp_targetILNS1_3genE5ELNS1_11target_archE942ELNS1_3gpuE9ELNS1_3repE0EEENS1_30default_config_static_selectorELNS0_4arch9wavefront6targetE1EEEvT1_.kd
    .uniform_work_group_size: 1
    .uses_dynamic_stack: false
    .vgpr_count:     0
    .vgpr_spill_count: 0
    .wavefront_size: 64
  - .agpr_count:     0
    .args:
      - .offset:         0
        .size:           112
        .value_kind:     by_value
    .group_segment_fixed_size: 16384
    .kernarg_segment_align: 8
    .kernarg_segment_size: 112
    .language:       OpenCL C
    .language_version:
      - 2
      - 0
    .max_flat_workgroup_size: 256
    .name:           _ZN7rocprim17ROCPRIM_400000_NS6detail17trampoline_kernelINS0_14default_configENS1_27scan_by_key_config_selectorIiiEEZZNS1_16scan_by_key_implILNS1_25lookback_scan_determinismE0ELb1ES3_N6thrust23THRUST_200600_302600_NS6detail15normal_iteratorINS9_10device_ptrIiEEEESE_SE_iNS9_4plusIvEENS9_8equal_toIiEEiEE10hipError_tPvRmT2_T3_T4_T5_mT6_T7_P12ihipStream_tbENKUlT_T0_E_clISt17integral_constantIbLb0EESZ_EEDaSU_SV_EUlSU_E_NS1_11comp_targetILNS1_3genE4ELNS1_11target_archE910ELNS1_3gpuE8ELNS1_3repE0EEENS1_30default_config_static_selectorELNS0_4arch9wavefront6targetE1EEEvT1_
    .private_segment_fixed_size: 0
    .sgpr_count:     64
    .sgpr_spill_count: 0
    .symbol:         _ZN7rocprim17ROCPRIM_400000_NS6detail17trampoline_kernelINS0_14default_configENS1_27scan_by_key_config_selectorIiiEEZZNS1_16scan_by_key_implILNS1_25lookback_scan_determinismE0ELb1ES3_N6thrust23THRUST_200600_302600_NS6detail15normal_iteratorINS9_10device_ptrIiEEEESE_SE_iNS9_4plusIvEENS9_8equal_toIiEEiEE10hipError_tPvRmT2_T3_T4_T5_mT6_T7_P12ihipStream_tbENKUlT_T0_E_clISt17integral_constantIbLb0EESZ_EEDaSU_SV_EUlSU_E_NS1_11comp_targetILNS1_3genE4ELNS1_11target_archE910ELNS1_3gpuE8ELNS1_3repE0EEENS1_30default_config_static_selectorELNS0_4arch9wavefront6targetE1EEEvT1_.kd
    .uniform_work_group_size: 1
    .uses_dynamic_stack: false
    .vgpr_count:     65
    .vgpr_spill_count: 0
    .wavefront_size: 64
  - .agpr_count:     0
    .args:
      - .offset:         0
        .size:           112
        .value_kind:     by_value
    .group_segment_fixed_size: 0
    .kernarg_segment_align: 8
    .kernarg_segment_size: 112
    .language:       OpenCL C
    .language_version:
      - 2
      - 0
    .max_flat_workgroup_size: 256
    .name:           _ZN7rocprim17ROCPRIM_400000_NS6detail17trampoline_kernelINS0_14default_configENS1_27scan_by_key_config_selectorIiiEEZZNS1_16scan_by_key_implILNS1_25lookback_scan_determinismE0ELb1ES3_N6thrust23THRUST_200600_302600_NS6detail15normal_iteratorINS9_10device_ptrIiEEEESE_SE_iNS9_4plusIvEENS9_8equal_toIiEEiEE10hipError_tPvRmT2_T3_T4_T5_mT6_T7_P12ihipStream_tbENKUlT_T0_E_clISt17integral_constantIbLb0EESZ_EEDaSU_SV_EUlSU_E_NS1_11comp_targetILNS1_3genE3ELNS1_11target_archE908ELNS1_3gpuE7ELNS1_3repE0EEENS1_30default_config_static_selectorELNS0_4arch9wavefront6targetE1EEEvT1_
    .private_segment_fixed_size: 0
    .sgpr_count:     4
    .sgpr_spill_count: 0
    .symbol:         _ZN7rocprim17ROCPRIM_400000_NS6detail17trampoline_kernelINS0_14default_configENS1_27scan_by_key_config_selectorIiiEEZZNS1_16scan_by_key_implILNS1_25lookback_scan_determinismE0ELb1ES3_N6thrust23THRUST_200600_302600_NS6detail15normal_iteratorINS9_10device_ptrIiEEEESE_SE_iNS9_4plusIvEENS9_8equal_toIiEEiEE10hipError_tPvRmT2_T3_T4_T5_mT6_T7_P12ihipStream_tbENKUlT_T0_E_clISt17integral_constantIbLb0EESZ_EEDaSU_SV_EUlSU_E_NS1_11comp_targetILNS1_3genE3ELNS1_11target_archE908ELNS1_3gpuE7ELNS1_3repE0EEENS1_30default_config_static_selectorELNS0_4arch9wavefront6targetE1EEEvT1_.kd
    .uniform_work_group_size: 1
    .uses_dynamic_stack: false
    .vgpr_count:     0
    .vgpr_spill_count: 0
    .wavefront_size: 64
  - .agpr_count:     0
    .args:
      - .offset:         0
        .size:           112
        .value_kind:     by_value
    .group_segment_fixed_size: 0
    .kernarg_segment_align: 8
    .kernarg_segment_size: 112
    .language:       OpenCL C
    .language_version:
      - 2
      - 0
    .max_flat_workgroup_size: 256
    .name:           _ZN7rocprim17ROCPRIM_400000_NS6detail17trampoline_kernelINS0_14default_configENS1_27scan_by_key_config_selectorIiiEEZZNS1_16scan_by_key_implILNS1_25lookback_scan_determinismE0ELb1ES3_N6thrust23THRUST_200600_302600_NS6detail15normal_iteratorINS9_10device_ptrIiEEEESE_SE_iNS9_4plusIvEENS9_8equal_toIiEEiEE10hipError_tPvRmT2_T3_T4_T5_mT6_T7_P12ihipStream_tbENKUlT_T0_E_clISt17integral_constantIbLb0EESZ_EEDaSU_SV_EUlSU_E_NS1_11comp_targetILNS1_3genE2ELNS1_11target_archE906ELNS1_3gpuE6ELNS1_3repE0EEENS1_30default_config_static_selectorELNS0_4arch9wavefront6targetE1EEEvT1_
    .private_segment_fixed_size: 0
    .sgpr_count:     4
    .sgpr_spill_count: 0
    .symbol:         _ZN7rocprim17ROCPRIM_400000_NS6detail17trampoline_kernelINS0_14default_configENS1_27scan_by_key_config_selectorIiiEEZZNS1_16scan_by_key_implILNS1_25lookback_scan_determinismE0ELb1ES3_N6thrust23THRUST_200600_302600_NS6detail15normal_iteratorINS9_10device_ptrIiEEEESE_SE_iNS9_4plusIvEENS9_8equal_toIiEEiEE10hipError_tPvRmT2_T3_T4_T5_mT6_T7_P12ihipStream_tbENKUlT_T0_E_clISt17integral_constantIbLb0EESZ_EEDaSU_SV_EUlSU_E_NS1_11comp_targetILNS1_3genE2ELNS1_11target_archE906ELNS1_3gpuE6ELNS1_3repE0EEENS1_30default_config_static_selectorELNS0_4arch9wavefront6targetE1EEEvT1_.kd
    .uniform_work_group_size: 1
    .uses_dynamic_stack: false
    .vgpr_count:     0
    .vgpr_spill_count: 0
    .wavefront_size: 64
  - .agpr_count:     0
    .args:
      - .offset:         0
        .size:           112
        .value_kind:     by_value
    .group_segment_fixed_size: 0
    .kernarg_segment_align: 8
    .kernarg_segment_size: 112
    .language:       OpenCL C
    .language_version:
      - 2
      - 0
    .max_flat_workgroup_size: 256
    .name:           _ZN7rocprim17ROCPRIM_400000_NS6detail17trampoline_kernelINS0_14default_configENS1_27scan_by_key_config_selectorIiiEEZZNS1_16scan_by_key_implILNS1_25lookback_scan_determinismE0ELb1ES3_N6thrust23THRUST_200600_302600_NS6detail15normal_iteratorINS9_10device_ptrIiEEEESE_SE_iNS9_4plusIvEENS9_8equal_toIiEEiEE10hipError_tPvRmT2_T3_T4_T5_mT6_T7_P12ihipStream_tbENKUlT_T0_E_clISt17integral_constantIbLb0EESZ_EEDaSU_SV_EUlSU_E_NS1_11comp_targetILNS1_3genE10ELNS1_11target_archE1200ELNS1_3gpuE4ELNS1_3repE0EEENS1_30default_config_static_selectorELNS0_4arch9wavefront6targetE1EEEvT1_
    .private_segment_fixed_size: 0
    .sgpr_count:     4
    .sgpr_spill_count: 0
    .symbol:         _ZN7rocprim17ROCPRIM_400000_NS6detail17trampoline_kernelINS0_14default_configENS1_27scan_by_key_config_selectorIiiEEZZNS1_16scan_by_key_implILNS1_25lookback_scan_determinismE0ELb1ES3_N6thrust23THRUST_200600_302600_NS6detail15normal_iteratorINS9_10device_ptrIiEEEESE_SE_iNS9_4plusIvEENS9_8equal_toIiEEiEE10hipError_tPvRmT2_T3_T4_T5_mT6_T7_P12ihipStream_tbENKUlT_T0_E_clISt17integral_constantIbLb0EESZ_EEDaSU_SV_EUlSU_E_NS1_11comp_targetILNS1_3genE10ELNS1_11target_archE1200ELNS1_3gpuE4ELNS1_3repE0EEENS1_30default_config_static_selectorELNS0_4arch9wavefront6targetE1EEEvT1_.kd
    .uniform_work_group_size: 1
    .uses_dynamic_stack: false
    .vgpr_count:     0
    .vgpr_spill_count: 0
    .wavefront_size: 64
  - .agpr_count:     0
    .args:
      - .offset:         0
        .size:           112
        .value_kind:     by_value
    .group_segment_fixed_size: 0
    .kernarg_segment_align: 8
    .kernarg_segment_size: 112
    .language:       OpenCL C
    .language_version:
      - 2
      - 0
    .max_flat_workgroup_size: 256
    .name:           _ZN7rocprim17ROCPRIM_400000_NS6detail17trampoline_kernelINS0_14default_configENS1_27scan_by_key_config_selectorIiiEEZZNS1_16scan_by_key_implILNS1_25lookback_scan_determinismE0ELb1ES3_N6thrust23THRUST_200600_302600_NS6detail15normal_iteratorINS9_10device_ptrIiEEEESE_SE_iNS9_4plusIvEENS9_8equal_toIiEEiEE10hipError_tPvRmT2_T3_T4_T5_mT6_T7_P12ihipStream_tbENKUlT_T0_E_clISt17integral_constantIbLb0EESZ_EEDaSU_SV_EUlSU_E_NS1_11comp_targetILNS1_3genE9ELNS1_11target_archE1100ELNS1_3gpuE3ELNS1_3repE0EEENS1_30default_config_static_selectorELNS0_4arch9wavefront6targetE1EEEvT1_
    .private_segment_fixed_size: 0
    .sgpr_count:     4
    .sgpr_spill_count: 0
    .symbol:         _ZN7rocprim17ROCPRIM_400000_NS6detail17trampoline_kernelINS0_14default_configENS1_27scan_by_key_config_selectorIiiEEZZNS1_16scan_by_key_implILNS1_25lookback_scan_determinismE0ELb1ES3_N6thrust23THRUST_200600_302600_NS6detail15normal_iteratorINS9_10device_ptrIiEEEESE_SE_iNS9_4plusIvEENS9_8equal_toIiEEiEE10hipError_tPvRmT2_T3_T4_T5_mT6_T7_P12ihipStream_tbENKUlT_T0_E_clISt17integral_constantIbLb0EESZ_EEDaSU_SV_EUlSU_E_NS1_11comp_targetILNS1_3genE9ELNS1_11target_archE1100ELNS1_3gpuE3ELNS1_3repE0EEENS1_30default_config_static_selectorELNS0_4arch9wavefront6targetE1EEEvT1_.kd
    .uniform_work_group_size: 1
    .uses_dynamic_stack: false
    .vgpr_count:     0
    .vgpr_spill_count: 0
    .wavefront_size: 64
  - .agpr_count:     0
    .args:
      - .offset:         0
        .size:           112
        .value_kind:     by_value
    .group_segment_fixed_size: 0
    .kernarg_segment_align: 8
    .kernarg_segment_size: 112
    .language:       OpenCL C
    .language_version:
      - 2
      - 0
    .max_flat_workgroup_size: 256
    .name:           _ZN7rocprim17ROCPRIM_400000_NS6detail17trampoline_kernelINS0_14default_configENS1_27scan_by_key_config_selectorIiiEEZZNS1_16scan_by_key_implILNS1_25lookback_scan_determinismE0ELb1ES3_N6thrust23THRUST_200600_302600_NS6detail15normal_iteratorINS9_10device_ptrIiEEEESE_SE_iNS9_4plusIvEENS9_8equal_toIiEEiEE10hipError_tPvRmT2_T3_T4_T5_mT6_T7_P12ihipStream_tbENKUlT_T0_E_clISt17integral_constantIbLb0EESZ_EEDaSU_SV_EUlSU_E_NS1_11comp_targetILNS1_3genE8ELNS1_11target_archE1030ELNS1_3gpuE2ELNS1_3repE0EEENS1_30default_config_static_selectorELNS0_4arch9wavefront6targetE1EEEvT1_
    .private_segment_fixed_size: 0
    .sgpr_count:     4
    .sgpr_spill_count: 0
    .symbol:         _ZN7rocprim17ROCPRIM_400000_NS6detail17trampoline_kernelINS0_14default_configENS1_27scan_by_key_config_selectorIiiEEZZNS1_16scan_by_key_implILNS1_25lookback_scan_determinismE0ELb1ES3_N6thrust23THRUST_200600_302600_NS6detail15normal_iteratorINS9_10device_ptrIiEEEESE_SE_iNS9_4plusIvEENS9_8equal_toIiEEiEE10hipError_tPvRmT2_T3_T4_T5_mT6_T7_P12ihipStream_tbENKUlT_T0_E_clISt17integral_constantIbLb0EESZ_EEDaSU_SV_EUlSU_E_NS1_11comp_targetILNS1_3genE8ELNS1_11target_archE1030ELNS1_3gpuE2ELNS1_3repE0EEENS1_30default_config_static_selectorELNS0_4arch9wavefront6targetE1EEEvT1_.kd
    .uniform_work_group_size: 1
    .uses_dynamic_stack: false
    .vgpr_count:     0
    .vgpr_spill_count: 0
    .wavefront_size: 64
  - .agpr_count:     0
    .args:
      - .offset:         0
        .size:           112
        .value_kind:     by_value
    .group_segment_fixed_size: 0
    .kernarg_segment_align: 8
    .kernarg_segment_size: 112
    .language:       OpenCL C
    .language_version:
      - 2
      - 0
    .max_flat_workgroup_size: 256
    .name:           _ZN7rocprim17ROCPRIM_400000_NS6detail17trampoline_kernelINS0_14default_configENS1_27scan_by_key_config_selectorIiiEEZZNS1_16scan_by_key_implILNS1_25lookback_scan_determinismE0ELb1ES3_N6thrust23THRUST_200600_302600_NS6detail15normal_iteratorINS9_10device_ptrIiEEEESE_SE_iNS9_4plusIvEENS9_8equal_toIiEEiEE10hipError_tPvRmT2_T3_T4_T5_mT6_T7_P12ihipStream_tbENKUlT_T0_E_clISt17integral_constantIbLb1EESZ_EEDaSU_SV_EUlSU_E_NS1_11comp_targetILNS1_3genE0ELNS1_11target_archE4294967295ELNS1_3gpuE0ELNS1_3repE0EEENS1_30default_config_static_selectorELNS0_4arch9wavefront6targetE1EEEvT1_
    .private_segment_fixed_size: 0
    .sgpr_count:     4
    .sgpr_spill_count: 0
    .symbol:         _ZN7rocprim17ROCPRIM_400000_NS6detail17trampoline_kernelINS0_14default_configENS1_27scan_by_key_config_selectorIiiEEZZNS1_16scan_by_key_implILNS1_25lookback_scan_determinismE0ELb1ES3_N6thrust23THRUST_200600_302600_NS6detail15normal_iteratorINS9_10device_ptrIiEEEESE_SE_iNS9_4plusIvEENS9_8equal_toIiEEiEE10hipError_tPvRmT2_T3_T4_T5_mT6_T7_P12ihipStream_tbENKUlT_T0_E_clISt17integral_constantIbLb1EESZ_EEDaSU_SV_EUlSU_E_NS1_11comp_targetILNS1_3genE0ELNS1_11target_archE4294967295ELNS1_3gpuE0ELNS1_3repE0EEENS1_30default_config_static_selectorELNS0_4arch9wavefront6targetE1EEEvT1_.kd
    .uniform_work_group_size: 1
    .uses_dynamic_stack: false
    .vgpr_count:     0
    .vgpr_spill_count: 0
    .wavefront_size: 64
  - .agpr_count:     0
    .args:
      - .offset:         0
        .size:           112
        .value_kind:     by_value
    .group_segment_fixed_size: 0
    .kernarg_segment_align: 8
    .kernarg_segment_size: 112
    .language:       OpenCL C
    .language_version:
      - 2
      - 0
    .max_flat_workgroup_size: 256
    .name:           _ZN7rocprim17ROCPRIM_400000_NS6detail17trampoline_kernelINS0_14default_configENS1_27scan_by_key_config_selectorIiiEEZZNS1_16scan_by_key_implILNS1_25lookback_scan_determinismE0ELb1ES3_N6thrust23THRUST_200600_302600_NS6detail15normal_iteratorINS9_10device_ptrIiEEEESE_SE_iNS9_4plusIvEENS9_8equal_toIiEEiEE10hipError_tPvRmT2_T3_T4_T5_mT6_T7_P12ihipStream_tbENKUlT_T0_E_clISt17integral_constantIbLb1EESZ_EEDaSU_SV_EUlSU_E_NS1_11comp_targetILNS1_3genE10ELNS1_11target_archE1201ELNS1_3gpuE5ELNS1_3repE0EEENS1_30default_config_static_selectorELNS0_4arch9wavefront6targetE1EEEvT1_
    .private_segment_fixed_size: 0
    .sgpr_count:     4
    .sgpr_spill_count: 0
    .symbol:         _ZN7rocprim17ROCPRIM_400000_NS6detail17trampoline_kernelINS0_14default_configENS1_27scan_by_key_config_selectorIiiEEZZNS1_16scan_by_key_implILNS1_25lookback_scan_determinismE0ELb1ES3_N6thrust23THRUST_200600_302600_NS6detail15normal_iteratorINS9_10device_ptrIiEEEESE_SE_iNS9_4plusIvEENS9_8equal_toIiEEiEE10hipError_tPvRmT2_T3_T4_T5_mT6_T7_P12ihipStream_tbENKUlT_T0_E_clISt17integral_constantIbLb1EESZ_EEDaSU_SV_EUlSU_E_NS1_11comp_targetILNS1_3genE10ELNS1_11target_archE1201ELNS1_3gpuE5ELNS1_3repE0EEENS1_30default_config_static_selectorELNS0_4arch9wavefront6targetE1EEEvT1_.kd
    .uniform_work_group_size: 1
    .uses_dynamic_stack: false
    .vgpr_count:     0
    .vgpr_spill_count: 0
    .wavefront_size: 64
  - .agpr_count:     0
    .args:
      - .offset:         0
        .size:           112
        .value_kind:     by_value
    .group_segment_fixed_size: 0
    .kernarg_segment_align: 8
    .kernarg_segment_size: 112
    .language:       OpenCL C
    .language_version:
      - 2
      - 0
    .max_flat_workgroup_size: 256
    .name:           _ZN7rocprim17ROCPRIM_400000_NS6detail17trampoline_kernelINS0_14default_configENS1_27scan_by_key_config_selectorIiiEEZZNS1_16scan_by_key_implILNS1_25lookback_scan_determinismE0ELb1ES3_N6thrust23THRUST_200600_302600_NS6detail15normal_iteratorINS9_10device_ptrIiEEEESE_SE_iNS9_4plusIvEENS9_8equal_toIiEEiEE10hipError_tPvRmT2_T3_T4_T5_mT6_T7_P12ihipStream_tbENKUlT_T0_E_clISt17integral_constantIbLb1EESZ_EEDaSU_SV_EUlSU_E_NS1_11comp_targetILNS1_3genE5ELNS1_11target_archE942ELNS1_3gpuE9ELNS1_3repE0EEENS1_30default_config_static_selectorELNS0_4arch9wavefront6targetE1EEEvT1_
    .private_segment_fixed_size: 0
    .sgpr_count:     4
    .sgpr_spill_count: 0
    .symbol:         _ZN7rocprim17ROCPRIM_400000_NS6detail17trampoline_kernelINS0_14default_configENS1_27scan_by_key_config_selectorIiiEEZZNS1_16scan_by_key_implILNS1_25lookback_scan_determinismE0ELb1ES3_N6thrust23THRUST_200600_302600_NS6detail15normal_iteratorINS9_10device_ptrIiEEEESE_SE_iNS9_4plusIvEENS9_8equal_toIiEEiEE10hipError_tPvRmT2_T3_T4_T5_mT6_T7_P12ihipStream_tbENKUlT_T0_E_clISt17integral_constantIbLb1EESZ_EEDaSU_SV_EUlSU_E_NS1_11comp_targetILNS1_3genE5ELNS1_11target_archE942ELNS1_3gpuE9ELNS1_3repE0EEENS1_30default_config_static_selectorELNS0_4arch9wavefront6targetE1EEEvT1_.kd
    .uniform_work_group_size: 1
    .uses_dynamic_stack: false
    .vgpr_count:     0
    .vgpr_spill_count: 0
    .wavefront_size: 64
  - .agpr_count:     0
    .args:
      - .offset:         0
        .size:           112
        .value_kind:     by_value
    .group_segment_fixed_size: 16384
    .kernarg_segment_align: 8
    .kernarg_segment_size: 112
    .language:       OpenCL C
    .language_version:
      - 2
      - 0
    .max_flat_workgroup_size: 256
    .name:           _ZN7rocprim17ROCPRIM_400000_NS6detail17trampoline_kernelINS0_14default_configENS1_27scan_by_key_config_selectorIiiEEZZNS1_16scan_by_key_implILNS1_25lookback_scan_determinismE0ELb1ES3_N6thrust23THRUST_200600_302600_NS6detail15normal_iteratorINS9_10device_ptrIiEEEESE_SE_iNS9_4plusIvEENS9_8equal_toIiEEiEE10hipError_tPvRmT2_T3_T4_T5_mT6_T7_P12ihipStream_tbENKUlT_T0_E_clISt17integral_constantIbLb1EESZ_EEDaSU_SV_EUlSU_E_NS1_11comp_targetILNS1_3genE4ELNS1_11target_archE910ELNS1_3gpuE8ELNS1_3repE0EEENS1_30default_config_static_selectorELNS0_4arch9wavefront6targetE1EEEvT1_
    .private_segment_fixed_size: 0
    .sgpr_count:     64
    .sgpr_spill_count: 0
    .symbol:         _ZN7rocprim17ROCPRIM_400000_NS6detail17trampoline_kernelINS0_14default_configENS1_27scan_by_key_config_selectorIiiEEZZNS1_16scan_by_key_implILNS1_25lookback_scan_determinismE0ELb1ES3_N6thrust23THRUST_200600_302600_NS6detail15normal_iteratorINS9_10device_ptrIiEEEESE_SE_iNS9_4plusIvEENS9_8equal_toIiEEiEE10hipError_tPvRmT2_T3_T4_T5_mT6_T7_P12ihipStream_tbENKUlT_T0_E_clISt17integral_constantIbLb1EESZ_EEDaSU_SV_EUlSU_E_NS1_11comp_targetILNS1_3genE4ELNS1_11target_archE910ELNS1_3gpuE8ELNS1_3repE0EEENS1_30default_config_static_selectorELNS0_4arch9wavefront6targetE1EEEvT1_.kd
    .uniform_work_group_size: 1
    .uses_dynamic_stack: false
    .vgpr_count:     67
    .vgpr_spill_count: 0
    .wavefront_size: 64
  - .agpr_count:     0
    .args:
      - .offset:         0
        .size:           112
        .value_kind:     by_value
    .group_segment_fixed_size: 0
    .kernarg_segment_align: 8
    .kernarg_segment_size: 112
    .language:       OpenCL C
    .language_version:
      - 2
      - 0
    .max_flat_workgroup_size: 256
    .name:           _ZN7rocprim17ROCPRIM_400000_NS6detail17trampoline_kernelINS0_14default_configENS1_27scan_by_key_config_selectorIiiEEZZNS1_16scan_by_key_implILNS1_25lookback_scan_determinismE0ELb1ES3_N6thrust23THRUST_200600_302600_NS6detail15normal_iteratorINS9_10device_ptrIiEEEESE_SE_iNS9_4plusIvEENS9_8equal_toIiEEiEE10hipError_tPvRmT2_T3_T4_T5_mT6_T7_P12ihipStream_tbENKUlT_T0_E_clISt17integral_constantIbLb1EESZ_EEDaSU_SV_EUlSU_E_NS1_11comp_targetILNS1_3genE3ELNS1_11target_archE908ELNS1_3gpuE7ELNS1_3repE0EEENS1_30default_config_static_selectorELNS0_4arch9wavefront6targetE1EEEvT1_
    .private_segment_fixed_size: 0
    .sgpr_count:     4
    .sgpr_spill_count: 0
    .symbol:         _ZN7rocprim17ROCPRIM_400000_NS6detail17trampoline_kernelINS0_14default_configENS1_27scan_by_key_config_selectorIiiEEZZNS1_16scan_by_key_implILNS1_25lookback_scan_determinismE0ELb1ES3_N6thrust23THRUST_200600_302600_NS6detail15normal_iteratorINS9_10device_ptrIiEEEESE_SE_iNS9_4plusIvEENS9_8equal_toIiEEiEE10hipError_tPvRmT2_T3_T4_T5_mT6_T7_P12ihipStream_tbENKUlT_T0_E_clISt17integral_constantIbLb1EESZ_EEDaSU_SV_EUlSU_E_NS1_11comp_targetILNS1_3genE3ELNS1_11target_archE908ELNS1_3gpuE7ELNS1_3repE0EEENS1_30default_config_static_selectorELNS0_4arch9wavefront6targetE1EEEvT1_.kd
    .uniform_work_group_size: 1
    .uses_dynamic_stack: false
    .vgpr_count:     0
    .vgpr_spill_count: 0
    .wavefront_size: 64
  - .agpr_count:     0
    .args:
      - .offset:         0
        .size:           112
        .value_kind:     by_value
    .group_segment_fixed_size: 0
    .kernarg_segment_align: 8
    .kernarg_segment_size: 112
    .language:       OpenCL C
    .language_version:
      - 2
      - 0
    .max_flat_workgroup_size: 256
    .name:           _ZN7rocprim17ROCPRIM_400000_NS6detail17trampoline_kernelINS0_14default_configENS1_27scan_by_key_config_selectorIiiEEZZNS1_16scan_by_key_implILNS1_25lookback_scan_determinismE0ELb1ES3_N6thrust23THRUST_200600_302600_NS6detail15normal_iteratorINS9_10device_ptrIiEEEESE_SE_iNS9_4plusIvEENS9_8equal_toIiEEiEE10hipError_tPvRmT2_T3_T4_T5_mT6_T7_P12ihipStream_tbENKUlT_T0_E_clISt17integral_constantIbLb1EESZ_EEDaSU_SV_EUlSU_E_NS1_11comp_targetILNS1_3genE2ELNS1_11target_archE906ELNS1_3gpuE6ELNS1_3repE0EEENS1_30default_config_static_selectorELNS0_4arch9wavefront6targetE1EEEvT1_
    .private_segment_fixed_size: 0
    .sgpr_count:     4
    .sgpr_spill_count: 0
    .symbol:         _ZN7rocprim17ROCPRIM_400000_NS6detail17trampoline_kernelINS0_14default_configENS1_27scan_by_key_config_selectorIiiEEZZNS1_16scan_by_key_implILNS1_25lookback_scan_determinismE0ELb1ES3_N6thrust23THRUST_200600_302600_NS6detail15normal_iteratorINS9_10device_ptrIiEEEESE_SE_iNS9_4plusIvEENS9_8equal_toIiEEiEE10hipError_tPvRmT2_T3_T4_T5_mT6_T7_P12ihipStream_tbENKUlT_T0_E_clISt17integral_constantIbLb1EESZ_EEDaSU_SV_EUlSU_E_NS1_11comp_targetILNS1_3genE2ELNS1_11target_archE906ELNS1_3gpuE6ELNS1_3repE0EEENS1_30default_config_static_selectorELNS0_4arch9wavefront6targetE1EEEvT1_.kd
    .uniform_work_group_size: 1
    .uses_dynamic_stack: false
    .vgpr_count:     0
    .vgpr_spill_count: 0
    .wavefront_size: 64
  - .agpr_count:     0
    .args:
      - .offset:         0
        .size:           112
        .value_kind:     by_value
    .group_segment_fixed_size: 0
    .kernarg_segment_align: 8
    .kernarg_segment_size: 112
    .language:       OpenCL C
    .language_version:
      - 2
      - 0
    .max_flat_workgroup_size: 256
    .name:           _ZN7rocprim17ROCPRIM_400000_NS6detail17trampoline_kernelINS0_14default_configENS1_27scan_by_key_config_selectorIiiEEZZNS1_16scan_by_key_implILNS1_25lookback_scan_determinismE0ELb1ES3_N6thrust23THRUST_200600_302600_NS6detail15normal_iteratorINS9_10device_ptrIiEEEESE_SE_iNS9_4plusIvEENS9_8equal_toIiEEiEE10hipError_tPvRmT2_T3_T4_T5_mT6_T7_P12ihipStream_tbENKUlT_T0_E_clISt17integral_constantIbLb1EESZ_EEDaSU_SV_EUlSU_E_NS1_11comp_targetILNS1_3genE10ELNS1_11target_archE1200ELNS1_3gpuE4ELNS1_3repE0EEENS1_30default_config_static_selectorELNS0_4arch9wavefront6targetE1EEEvT1_
    .private_segment_fixed_size: 0
    .sgpr_count:     4
    .sgpr_spill_count: 0
    .symbol:         _ZN7rocprim17ROCPRIM_400000_NS6detail17trampoline_kernelINS0_14default_configENS1_27scan_by_key_config_selectorIiiEEZZNS1_16scan_by_key_implILNS1_25lookback_scan_determinismE0ELb1ES3_N6thrust23THRUST_200600_302600_NS6detail15normal_iteratorINS9_10device_ptrIiEEEESE_SE_iNS9_4plusIvEENS9_8equal_toIiEEiEE10hipError_tPvRmT2_T3_T4_T5_mT6_T7_P12ihipStream_tbENKUlT_T0_E_clISt17integral_constantIbLb1EESZ_EEDaSU_SV_EUlSU_E_NS1_11comp_targetILNS1_3genE10ELNS1_11target_archE1200ELNS1_3gpuE4ELNS1_3repE0EEENS1_30default_config_static_selectorELNS0_4arch9wavefront6targetE1EEEvT1_.kd
    .uniform_work_group_size: 1
    .uses_dynamic_stack: false
    .vgpr_count:     0
    .vgpr_spill_count: 0
    .wavefront_size: 64
  - .agpr_count:     0
    .args:
      - .offset:         0
        .size:           112
        .value_kind:     by_value
    .group_segment_fixed_size: 0
    .kernarg_segment_align: 8
    .kernarg_segment_size: 112
    .language:       OpenCL C
    .language_version:
      - 2
      - 0
    .max_flat_workgroup_size: 256
    .name:           _ZN7rocprim17ROCPRIM_400000_NS6detail17trampoline_kernelINS0_14default_configENS1_27scan_by_key_config_selectorIiiEEZZNS1_16scan_by_key_implILNS1_25lookback_scan_determinismE0ELb1ES3_N6thrust23THRUST_200600_302600_NS6detail15normal_iteratorINS9_10device_ptrIiEEEESE_SE_iNS9_4plusIvEENS9_8equal_toIiEEiEE10hipError_tPvRmT2_T3_T4_T5_mT6_T7_P12ihipStream_tbENKUlT_T0_E_clISt17integral_constantIbLb1EESZ_EEDaSU_SV_EUlSU_E_NS1_11comp_targetILNS1_3genE9ELNS1_11target_archE1100ELNS1_3gpuE3ELNS1_3repE0EEENS1_30default_config_static_selectorELNS0_4arch9wavefront6targetE1EEEvT1_
    .private_segment_fixed_size: 0
    .sgpr_count:     4
    .sgpr_spill_count: 0
    .symbol:         _ZN7rocprim17ROCPRIM_400000_NS6detail17trampoline_kernelINS0_14default_configENS1_27scan_by_key_config_selectorIiiEEZZNS1_16scan_by_key_implILNS1_25lookback_scan_determinismE0ELb1ES3_N6thrust23THRUST_200600_302600_NS6detail15normal_iteratorINS9_10device_ptrIiEEEESE_SE_iNS9_4plusIvEENS9_8equal_toIiEEiEE10hipError_tPvRmT2_T3_T4_T5_mT6_T7_P12ihipStream_tbENKUlT_T0_E_clISt17integral_constantIbLb1EESZ_EEDaSU_SV_EUlSU_E_NS1_11comp_targetILNS1_3genE9ELNS1_11target_archE1100ELNS1_3gpuE3ELNS1_3repE0EEENS1_30default_config_static_selectorELNS0_4arch9wavefront6targetE1EEEvT1_.kd
    .uniform_work_group_size: 1
    .uses_dynamic_stack: false
    .vgpr_count:     0
    .vgpr_spill_count: 0
    .wavefront_size: 64
  - .agpr_count:     0
    .args:
      - .offset:         0
        .size:           112
        .value_kind:     by_value
    .group_segment_fixed_size: 0
    .kernarg_segment_align: 8
    .kernarg_segment_size: 112
    .language:       OpenCL C
    .language_version:
      - 2
      - 0
    .max_flat_workgroup_size: 256
    .name:           _ZN7rocprim17ROCPRIM_400000_NS6detail17trampoline_kernelINS0_14default_configENS1_27scan_by_key_config_selectorIiiEEZZNS1_16scan_by_key_implILNS1_25lookback_scan_determinismE0ELb1ES3_N6thrust23THRUST_200600_302600_NS6detail15normal_iteratorINS9_10device_ptrIiEEEESE_SE_iNS9_4plusIvEENS9_8equal_toIiEEiEE10hipError_tPvRmT2_T3_T4_T5_mT6_T7_P12ihipStream_tbENKUlT_T0_E_clISt17integral_constantIbLb1EESZ_EEDaSU_SV_EUlSU_E_NS1_11comp_targetILNS1_3genE8ELNS1_11target_archE1030ELNS1_3gpuE2ELNS1_3repE0EEENS1_30default_config_static_selectorELNS0_4arch9wavefront6targetE1EEEvT1_
    .private_segment_fixed_size: 0
    .sgpr_count:     4
    .sgpr_spill_count: 0
    .symbol:         _ZN7rocprim17ROCPRIM_400000_NS6detail17trampoline_kernelINS0_14default_configENS1_27scan_by_key_config_selectorIiiEEZZNS1_16scan_by_key_implILNS1_25lookback_scan_determinismE0ELb1ES3_N6thrust23THRUST_200600_302600_NS6detail15normal_iteratorINS9_10device_ptrIiEEEESE_SE_iNS9_4plusIvEENS9_8equal_toIiEEiEE10hipError_tPvRmT2_T3_T4_T5_mT6_T7_P12ihipStream_tbENKUlT_T0_E_clISt17integral_constantIbLb1EESZ_EEDaSU_SV_EUlSU_E_NS1_11comp_targetILNS1_3genE8ELNS1_11target_archE1030ELNS1_3gpuE2ELNS1_3repE0EEENS1_30default_config_static_selectorELNS0_4arch9wavefront6targetE1EEEvT1_.kd
    .uniform_work_group_size: 1
    .uses_dynamic_stack: false
    .vgpr_count:     0
    .vgpr_spill_count: 0
    .wavefront_size: 64
  - .agpr_count:     0
    .args:
      - .offset:         0
        .size:           112
        .value_kind:     by_value
    .group_segment_fixed_size: 0
    .kernarg_segment_align: 8
    .kernarg_segment_size: 112
    .language:       OpenCL C
    .language_version:
      - 2
      - 0
    .max_flat_workgroup_size: 256
    .name:           _ZN7rocprim17ROCPRIM_400000_NS6detail17trampoline_kernelINS0_14default_configENS1_27scan_by_key_config_selectorIiiEEZZNS1_16scan_by_key_implILNS1_25lookback_scan_determinismE0ELb1ES3_N6thrust23THRUST_200600_302600_NS6detail15normal_iteratorINS9_10device_ptrIiEEEESE_SE_iNS9_4plusIvEENS9_8equal_toIiEEiEE10hipError_tPvRmT2_T3_T4_T5_mT6_T7_P12ihipStream_tbENKUlT_T0_E_clISt17integral_constantIbLb1EESY_IbLb0EEEEDaSU_SV_EUlSU_E_NS1_11comp_targetILNS1_3genE0ELNS1_11target_archE4294967295ELNS1_3gpuE0ELNS1_3repE0EEENS1_30default_config_static_selectorELNS0_4arch9wavefront6targetE1EEEvT1_
    .private_segment_fixed_size: 0
    .sgpr_count:     4
    .sgpr_spill_count: 0
    .symbol:         _ZN7rocprim17ROCPRIM_400000_NS6detail17trampoline_kernelINS0_14default_configENS1_27scan_by_key_config_selectorIiiEEZZNS1_16scan_by_key_implILNS1_25lookback_scan_determinismE0ELb1ES3_N6thrust23THRUST_200600_302600_NS6detail15normal_iteratorINS9_10device_ptrIiEEEESE_SE_iNS9_4plusIvEENS9_8equal_toIiEEiEE10hipError_tPvRmT2_T3_T4_T5_mT6_T7_P12ihipStream_tbENKUlT_T0_E_clISt17integral_constantIbLb1EESY_IbLb0EEEEDaSU_SV_EUlSU_E_NS1_11comp_targetILNS1_3genE0ELNS1_11target_archE4294967295ELNS1_3gpuE0ELNS1_3repE0EEENS1_30default_config_static_selectorELNS0_4arch9wavefront6targetE1EEEvT1_.kd
    .uniform_work_group_size: 1
    .uses_dynamic_stack: false
    .vgpr_count:     0
    .vgpr_spill_count: 0
    .wavefront_size: 64
  - .agpr_count:     0
    .args:
      - .offset:         0
        .size:           112
        .value_kind:     by_value
    .group_segment_fixed_size: 0
    .kernarg_segment_align: 8
    .kernarg_segment_size: 112
    .language:       OpenCL C
    .language_version:
      - 2
      - 0
    .max_flat_workgroup_size: 256
    .name:           _ZN7rocprim17ROCPRIM_400000_NS6detail17trampoline_kernelINS0_14default_configENS1_27scan_by_key_config_selectorIiiEEZZNS1_16scan_by_key_implILNS1_25lookback_scan_determinismE0ELb1ES3_N6thrust23THRUST_200600_302600_NS6detail15normal_iteratorINS9_10device_ptrIiEEEESE_SE_iNS9_4plusIvEENS9_8equal_toIiEEiEE10hipError_tPvRmT2_T3_T4_T5_mT6_T7_P12ihipStream_tbENKUlT_T0_E_clISt17integral_constantIbLb1EESY_IbLb0EEEEDaSU_SV_EUlSU_E_NS1_11comp_targetILNS1_3genE10ELNS1_11target_archE1201ELNS1_3gpuE5ELNS1_3repE0EEENS1_30default_config_static_selectorELNS0_4arch9wavefront6targetE1EEEvT1_
    .private_segment_fixed_size: 0
    .sgpr_count:     4
    .sgpr_spill_count: 0
    .symbol:         _ZN7rocprim17ROCPRIM_400000_NS6detail17trampoline_kernelINS0_14default_configENS1_27scan_by_key_config_selectorIiiEEZZNS1_16scan_by_key_implILNS1_25lookback_scan_determinismE0ELb1ES3_N6thrust23THRUST_200600_302600_NS6detail15normal_iteratorINS9_10device_ptrIiEEEESE_SE_iNS9_4plusIvEENS9_8equal_toIiEEiEE10hipError_tPvRmT2_T3_T4_T5_mT6_T7_P12ihipStream_tbENKUlT_T0_E_clISt17integral_constantIbLb1EESY_IbLb0EEEEDaSU_SV_EUlSU_E_NS1_11comp_targetILNS1_3genE10ELNS1_11target_archE1201ELNS1_3gpuE5ELNS1_3repE0EEENS1_30default_config_static_selectorELNS0_4arch9wavefront6targetE1EEEvT1_.kd
    .uniform_work_group_size: 1
    .uses_dynamic_stack: false
    .vgpr_count:     0
    .vgpr_spill_count: 0
    .wavefront_size: 64
  - .agpr_count:     0
    .args:
      - .offset:         0
        .size:           112
        .value_kind:     by_value
    .group_segment_fixed_size: 0
    .kernarg_segment_align: 8
    .kernarg_segment_size: 112
    .language:       OpenCL C
    .language_version:
      - 2
      - 0
    .max_flat_workgroup_size: 256
    .name:           _ZN7rocprim17ROCPRIM_400000_NS6detail17trampoline_kernelINS0_14default_configENS1_27scan_by_key_config_selectorIiiEEZZNS1_16scan_by_key_implILNS1_25lookback_scan_determinismE0ELb1ES3_N6thrust23THRUST_200600_302600_NS6detail15normal_iteratorINS9_10device_ptrIiEEEESE_SE_iNS9_4plusIvEENS9_8equal_toIiEEiEE10hipError_tPvRmT2_T3_T4_T5_mT6_T7_P12ihipStream_tbENKUlT_T0_E_clISt17integral_constantIbLb1EESY_IbLb0EEEEDaSU_SV_EUlSU_E_NS1_11comp_targetILNS1_3genE5ELNS1_11target_archE942ELNS1_3gpuE9ELNS1_3repE0EEENS1_30default_config_static_selectorELNS0_4arch9wavefront6targetE1EEEvT1_
    .private_segment_fixed_size: 0
    .sgpr_count:     4
    .sgpr_spill_count: 0
    .symbol:         _ZN7rocprim17ROCPRIM_400000_NS6detail17trampoline_kernelINS0_14default_configENS1_27scan_by_key_config_selectorIiiEEZZNS1_16scan_by_key_implILNS1_25lookback_scan_determinismE0ELb1ES3_N6thrust23THRUST_200600_302600_NS6detail15normal_iteratorINS9_10device_ptrIiEEEESE_SE_iNS9_4plusIvEENS9_8equal_toIiEEiEE10hipError_tPvRmT2_T3_T4_T5_mT6_T7_P12ihipStream_tbENKUlT_T0_E_clISt17integral_constantIbLb1EESY_IbLb0EEEEDaSU_SV_EUlSU_E_NS1_11comp_targetILNS1_3genE5ELNS1_11target_archE942ELNS1_3gpuE9ELNS1_3repE0EEENS1_30default_config_static_selectorELNS0_4arch9wavefront6targetE1EEEvT1_.kd
    .uniform_work_group_size: 1
    .uses_dynamic_stack: false
    .vgpr_count:     0
    .vgpr_spill_count: 0
    .wavefront_size: 64
  - .agpr_count:     0
    .args:
      - .offset:         0
        .size:           112
        .value_kind:     by_value
    .group_segment_fixed_size: 16384
    .kernarg_segment_align: 8
    .kernarg_segment_size: 112
    .language:       OpenCL C
    .language_version:
      - 2
      - 0
    .max_flat_workgroup_size: 256
    .name:           _ZN7rocprim17ROCPRIM_400000_NS6detail17trampoline_kernelINS0_14default_configENS1_27scan_by_key_config_selectorIiiEEZZNS1_16scan_by_key_implILNS1_25lookback_scan_determinismE0ELb1ES3_N6thrust23THRUST_200600_302600_NS6detail15normal_iteratorINS9_10device_ptrIiEEEESE_SE_iNS9_4plusIvEENS9_8equal_toIiEEiEE10hipError_tPvRmT2_T3_T4_T5_mT6_T7_P12ihipStream_tbENKUlT_T0_E_clISt17integral_constantIbLb1EESY_IbLb0EEEEDaSU_SV_EUlSU_E_NS1_11comp_targetILNS1_3genE4ELNS1_11target_archE910ELNS1_3gpuE8ELNS1_3repE0EEENS1_30default_config_static_selectorELNS0_4arch9wavefront6targetE1EEEvT1_
    .private_segment_fixed_size: 0
    .sgpr_count:     64
    .sgpr_spill_count: 0
    .symbol:         _ZN7rocprim17ROCPRIM_400000_NS6detail17trampoline_kernelINS0_14default_configENS1_27scan_by_key_config_selectorIiiEEZZNS1_16scan_by_key_implILNS1_25lookback_scan_determinismE0ELb1ES3_N6thrust23THRUST_200600_302600_NS6detail15normal_iteratorINS9_10device_ptrIiEEEESE_SE_iNS9_4plusIvEENS9_8equal_toIiEEiEE10hipError_tPvRmT2_T3_T4_T5_mT6_T7_P12ihipStream_tbENKUlT_T0_E_clISt17integral_constantIbLb1EESY_IbLb0EEEEDaSU_SV_EUlSU_E_NS1_11comp_targetILNS1_3genE4ELNS1_11target_archE910ELNS1_3gpuE8ELNS1_3repE0EEENS1_30default_config_static_selectorELNS0_4arch9wavefront6targetE1EEEvT1_.kd
    .uniform_work_group_size: 1
    .uses_dynamic_stack: false
    .vgpr_count:     65
    .vgpr_spill_count: 0
    .wavefront_size: 64
  - .agpr_count:     0
    .args:
      - .offset:         0
        .size:           112
        .value_kind:     by_value
    .group_segment_fixed_size: 0
    .kernarg_segment_align: 8
    .kernarg_segment_size: 112
    .language:       OpenCL C
    .language_version:
      - 2
      - 0
    .max_flat_workgroup_size: 256
    .name:           _ZN7rocprim17ROCPRIM_400000_NS6detail17trampoline_kernelINS0_14default_configENS1_27scan_by_key_config_selectorIiiEEZZNS1_16scan_by_key_implILNS1_25lookback_scan_determinismE0ELb1ES3_N6thrust23THRUST_200600_302600_NS6detail15normal_iteratorINS9_10device_ptrIiEEEESE_SE_iNS9_4plusIvEENS9_8equal_toIiEEiEE10hipError_tPvRmT2_T3_T4_T5_mT6_T7_P12ihipStream_tbENKUlT_T0_E_clISt17integral_constantIbLb1EESY_IbLb0EEEEDaSU_SV_EUlSU_E_NS1_11comp_targetILNS1_3genE3ELNS1_11target_archE908ELNS1_3gpuE7ELNS1_3repE0EEENS1_30default_config_static_selectorELNS0_4arch9wavefront6targetE1EEEvT1_
    .private_segment_fixed_size: 0
    .sgpr_count:     4
    .sgpr_spill_count: 0
    .symbol:         _ZN7rocprim17ROCPRIM_400000_NS6detail17trampoline_kernelINS0_14default_configENS1_27scan_by_key_config_selectorIiiEEZZNS1_16scan_by_key_implILNS1_25lookback_scan_determinismE0ELb1ES3_N6thrust23THRUST_200600_302600_NS6detail15normal_iteratorINS9_10device_ptrIiEEEESE_SE_iNS9_4plusIvEENS9_8equal_toIiEEiEE10hipError_tPvRmT2_T3_T4_T5_mT6_T7_P12ihipStream_tbENKUlT_T0_E_clISt17integral_constantIbLb1EESY_IbLb0EEEEDaSU_SV_EUlSU_E_NS1_11comp_targetILNS1_3genE3ELNS1_11target_archE908ELNS1_3gpuE7ELNS1_3repE0EEENS1_30default_config_static_selectorELNS0_4arch9wavefront6targetE1EEEvT1_.kd
    .uniform_work_group_size: 1
    .uses_dynamic_stack: false
    .vgpr_count:     0
    .vgpr_spill_count: 0
    .wavefront_size: 64
  - .agpr_count:     0
    .args:
      - .offset:         0
        .size:           112
        .value_kind:     by_value
    .group_segment_fixed_size: 0
    .kernarg_segment_align: 8
    .kernarg_segment_size: 112
    .language:       OpenCL C
    .language_version:
      - 2
      - 0
    .max_flat_workgroup_size: 256
    .name:           _ZN7rocprim17ROCPRIM_400000_NS6detail17trampoline_kernelINS0_14default_configENS1_27scan_by_key_config_selectorIiiEEZZNS1_16scan_by_key_implILNS1_25lookback_scan_determinismE0ELb1ES3_N6thrust23THRUST_200600_302600_NS6detail15normal_iteratorINS9_10device_ptrIiEEEESE_SE_iNS9_4plusIvEENS9_8equal_toIiEEiEE10hipError_tPvRmT2_T3_T4_T5_mT6_T7_P12ihipStream_tbENKUlT_T0_E_clISt17integral_constantIbLb1EESY_IbLb0EEEEDaSU_SV_EUlSU_E_NS1_11comp_targetILNS1_3genE2ELNS1_11target_archE906ELNS1_3gpuE6ELNS1_3repE0EEENS1_30default_config_static_selectorELNS0_4arch9wavefront6targetE1EEEvT1_
    .private_segment_fixed_size: 0
    .sgpr_count:     4
    .sgpr_spill_count: 0
    .symbol:         _ZN7rocprim17ROCPRIM_400000_NS6detail17trampoline_kernelINS0_14default_configENS1_27scan_by_key_config_selectorIiiEEZZNS1_16scan_by_key_implILNS1_25lookback_scan_determinismE0ELb1ES3_N6thrust23THRUST_200600_302600_NS6detail15normal_iteratorINS9_10device_ptrIiEEEESE_SE_iNS9_4plusIvEENS9_8equal_toIiEEiEE10hipError_tPvRmT2_T3_T4_T5_mT6_T7_P12ihipStream_tbENKUlT_T0_E_clISt17integral_constantIbLb1EESY_IbLb0EEEEDaSU_SV_EUlSU_E_NS1_11comp_targetILNS1_3genE2ELNS1_11target_archE906ELNS1_3gpuE6ELNS1_3repE0EEENS1_30default_config_static_selectorELNS0_4arch9wavefront6targetE1EEEvT1_.kd
    .uniform_work_group_size: 1
    .uses_dynamic_stack: false
    .vgpr_count:     0
    .vgpr_spill_count: 0
    .wavefront_size: 64
  - .agpr_count:     0
    .args:
      - .offset:         0
        .size:           112
        .value_kind:     by_value
    .group_segment_fixed_size: 0
    .kernarg_segment_align: 8
    .kernarg_segment_size: 112
    .language:       OpenCL C
    .language_version:
      - 2
      - 0
    .max_flat_workgroup_size: 256
    .name:           _ZN7rocprim17ROCPRIM_400000_NS6detail17trampoline_kernelINS0_14default_configENS1_27scan_by_key_config_selectorIiiEEZZNS1_16scan_by_key_implILNS1_25lookback_scan_determinismE0ELb1ES3_N6thrust23THRUST_200600_302600_NS6detail15normal_iteratorINS9_10device_ptrIiEEEESE_SE_iNS9_4plusIvEENS9_8equal_toIiEEiEE10hipError_tPvRmT2_T3_T4_T5_mT6_T7_P12ihipStream_tbENKUlT_T0_E_clISt17integral_constantIbLb1EESY_IbLb0EEEEDaSU_SV_EUlSU_E_NS1_11comp_targetILNS1_3genE10ELNS1_11target_archE1200ELNS1_3gpuE4ELNS1_3repE0EEENS1_30default_config_static_selectorELNS0_4arch9wavefront6targetE1EEEvT1_
    .private_segment_fixed_size: 0
    .sgpr_count:     4
    .sgpr_spill_count: 0
    .symbol:         _ZN7rocprim17ROCPRIM_400000_NS6detail17trampoline_kernelINS0_14default_configENS1_27scan_by_key_config_selectorIiiEEZZNS1_16scan_by_key_implILNS1_25lookback_scan_determinismE0ELb1ES3_N6thrust23THRUST_200600_302600_NS6detail15normal_iteratorINS9_10device_ptrIiEEEESE_SE_iNS9_4plusIvEENS9_8equal_toIiEEiEE10hipError_tPvRmT2_T3_T4_T5_mT6_T7_P12ihipStream_tbENKUlT_T0_E_clISt17integral_constantIbLb1EESY_IbLb0EEEEDaSU_SV_EUlSU_E_NS1_11comp_targetILNS1_3genE10ELNS1_11target_archE1200ELNS1_3gpuE4ELNS1_3repE0EEENS1_30default_config_static_selectorELNS0_4arch9wavefront6targetE1EEEvT1_.kd
    .uniform_work_group_size: 1
    .uses_dynamic_stack: false
    .vgpr_count:     0
    .vgpr_spill_count: 0
    .wavefront_size: 64
  - .agpr_count:     0
    .args:
      - .offset:         0
        .size:           112
        .value_kind:     by_value
    .group_segment_fixed_size: 0
    .kernarg_segment_align: 8
    .kernarg_segment_size: 112
    .language:       OpenCL C
    .language_version:
      - 2
      - 0
    .max_flat_workgroup_size: 256
    .name:           _ZN7rocprim17ROCPRIM_400000_NS6detail17trampoline_kernelINS0_14default_configENS1_27scan_by_key_config_selectorIiiEEZZNS1_16scan_by_key_implILNS1_25lookback_scan_determinismE0ELb1ES3_N6thrust23THRUST_200600_302600_NS6detail15normal_iteratorINS9_10device_ptrIiEEEESE_SE_iNS9_4plusIvEENS9_8equal_toIiEEiEE10hipError_tPvRmT2_T3_T4_T5_mT6_T7_P12ihipStream_tbENKUlT_T0_E_clISt17integral_constantIbLb1EESY_IbLb0EEEEDaSU_SV_EUlSU_E_NS1_11comp_targetILNS1_3genE9ELNS1_11target_archE1100ELNS1_3gpuE3ELNS1_3repE0EEENS1_30default_config_static_selectorELNS0_4arch9wavefront6targetE1EEEvT1_
    .private_segment_fixed_size: 0
    .sgpr_count:     4
    .sgpr_spill_count: 0
    .symbol:         _ZN7rocprim17ROCPRIM_400000_NS6detail17trampoline_kernelINS0_14default_configENS1_27scan_by_key_config_selectorIiiEEZZNS1_16scan_by_key_implILNS1_25lookback_scan_determinismE0ELb1ES3_N6thrust23THRUST_200600_302600_NS6detail15normal_iteratorINS9_10device_ptrIiEEEESE_SE_iNS9_4plusIvEENS9_8equal_toIiEEiEE10hipError_tPvRmT2_T3_T4_T5_mT6_T7_P12ihipStream_tbENKUlT_T0_E_clISt17integral_constantIbLb1EESY_IbLb0EEEEDaSU_SV_EUlSU_E_NS1_11comp_targetILNS1_3genE9ELNS1_11target_archE1100ELNS1_3gpuE3ELNS1_3repE0EEENS1_30default_config_static_selectorELNS0_4arch9wavefront6targetE1EEEvT1_.kd
    .uniform_work_group_size: 1
    .uses_dynamic_stack: false
    .vgpr_count:     0
    .vgpr_spill_count: 0
    .wavefront_size: 64
  - .agpr_count:     0
    .args:
      - .offset:         0
        .size:           112
        .value_kind:     by_value
    .group_segment_fixed_size: 0
    .kernarg_segment_align: 8
    .kernarg_segment_size: 112
    .language:       OpenCL C
    .language_version:
      - 2
      - 0
    .max_flat_workgroup_size: 256
    .name:           _ZN7rocprim17ROCPRIM_400000_NS6detail17trampoline_kernelINS0_14default_configENS1_27scan_by_key_config_selectorIiiEEZZNS1_16scan_by_key_implILNS1_25lookback_scan_determinismE0ELb1ES3_N6thrust23THRUST_200600_302600_NS6detail15normal_iteratorINS9_10device_ptrIiEEEESE_SE_iNS9_4plusIvEENS9_8equal_toIiEEiEE10hipError_tPvRmT2_T3_T4_T5_mT6_T7_P12ihipStream_tbENKUlT_T0_E_clISt17integral_constantIbLb1EESY_IbLb0EEEEDaSU_SV_EUlSU_E_NS1_11comp_targetILNS1_3genE8ELNS1_11target_archE1030ELNS1_3gpuE2ELNS1_3repE0EEENS1_30default_config_static_selectorELNS0_4arch9wavefront6targetE1EEEvT1_
    .private_segment_fixed_size: 0
    .sgpr_count:     4
    .sgpr_spill_count: 0
    .symbol:         _ZN7rocprim17ROCPRIM_400000_NS6detail17trampoline_kernelINS0_14default_configENS1_27scan_by_key_config_selectorIiiEEZZNS1_16scan_by_key_implILNS1_25lookback_scan_determinismE0ELb1ES3_N6thrust23THRUST_200600_302600_NS6detail15normal_iteratorINS9_10device_ptrIiEEEESE_SE_iNS9_4plusIvEENS9_8equal_toIiEEiEE10hipError_tPvRmT2_T3_T4_T5_mT6_T7_P12ihipStream_tbENKUlT_T0_E_clISt17integral_constantIbLb1EESY_IbLb0EEEEDaSU_SV_EUlSU_E_NS1_11comp_targetILNS1_3genE8ELNS1_11target_archE1030ELNS1_3gpuE2ELNS1_3repE0EEENS1_30default_config_static_selectorELNS0_4arch9wavefront6targetE1EEEvT1_.kd
    .uniform_work_group_size: 1
    .uses_dynamic_stack: false
    .vgpr_count:     0
    .vgpr_spill_count: 0
    .wavefront_size: 64
  - .agpr_count:     0
    .args:
      - .offset:         0
        .size:           112
        .value_kind:     by_value
    .group_segment_fixed_size: 0
    .kernarg_segment_align: 8
    .kernarg_segment_size: 112
    .language:       OpenCL C
    .language_version:
      - 2
      - 0
    .max_flat_workgroup_size: 256
    .name:           _ZN7rocprim17ROCPRIM_400000_NS6detail17trampoline_kernelINS0_14default_configENS1_27scan_by_key_config_selectorIiiEEZZNS1_16scan_by_key_implILNS1_25lookback_scan_determinismE0ELb1ES3_N6thrust23THRUST_200600_302600_NS6detail15normal_iteratorINS9_10device_ptrIiEEEESE_SE_iNS9_4plusIvEENS9_8equal_toIiEEiEE10hipError_tPvRmT2_T3_T4_T5_mT6_T7_P12ihipStream_tbENKUlT_T0_E_clISt17integral_constantIbLb0EESY_IbLb1EEEEDaSU_SV_EUlSU_E_NS1_11comp_targetILNS1_3genE0ELNS1_11target_archE4294967295ELNS1_3gpuE0ELNS1_3repE0EEENS1_30default_config_static_selectorELNS0_4arch9wavefront6targetE1EEEvT1_
    .private_segment_fixed_size: 0
    .sgpr_count:     4
    .sgpr_spill_count: 0
    .symbol:         _ZN7rocprim17ROCPRIM_400000_NS6detail17trampoline_kernelINS0_14default_configENS1_27scan_by_key_config_selectorIiiEEZZNS1_16scan_by_key_implILNS1_25lookback_scan_determinismE0ELb1ES3_N6thrust23THRUST_200600_302600_NS6detail15normal_iteratorINS9_10device_ptrIiEEEESE_SE_iNS9_4plusIvEENS9_8equal_toIiEEiEE10hipError_tPvRmT2_T3_T4_T5_mT6_T7_P12ihipStream_tbENKUlT_T0_E_clISt17integral_constantIbLb0EESY_IbLb1EEEEDaSU_SV_EUlSU_E_NS1_11comp_targetILNS1_3genE0ELNS1_11target_archE4294967295ELNS1_3gpuE0ELNS1_3repE0EEENS1_30default_config_static_selectorELNS0_4arch9wavefront6targetE1EEEvT1_.kd
    .uniform_work_group_size: 1
    .uses_dynamic_stack: false
    .vgpr_count:     0
    .vgpr_spill_count: 0
    .wavefront_size: 64
  - .agpr_count:     0
    .args:
      - .offset:         0
        .size:           112
        .value_kind:     by_value
    .group_segment_fixed_size: 0
    .kernarg_segment_align: 8
    .kernarg_segment_size: 112
    .language:       OpenCL C
    .language_version:
      - 2
      - 0
    .max_flat_workgroup_size: 256
    .name:           _ZN7rocprim17ROCPRIM_400000_NS6detail17trampoline_kernelINS0_14default_configENS1_27scan_by_key_config_selectorIiiEEZZNS1_16scan_by_key_implILNS1_25lookback_scan_determinismE0ELb1ES3_N6thrust23THRUST_200600_302600_NS6detail15normal_iteratorINS9_10device_ptrIiEEEESE_SE_iNS9_4plusIvEENS9_8equal_toIiEEiEE10hipError_tPvRmT2_T3_T4_T5_mT6_T7_P12ihipStream_tbENKUlT_T0_E_clISt17integral_constantIbLb0EESY_IbLb1EEEEDaSU_SV_EUlSU_E_NS1_11comp_targetILNS1_3genE10ELNS1_11target_archE1201ELNS1_3gpuE5ELNS1_3repE0EEENS1_30default_config_static_selectorELNS0_4arch9wavefront6targetE1EEEvT1_
    .private_segment_fixed_size: 0
    .sgpr_count:     4
    .sgpr_spill_count: 0
    .symbol:         _ZN7rocprim17ROCPRIM_400000_NS6detail17trampoline_kernelINS0_14default_configENS1_27scan_by_key_config_selectorIiiEEZZNS1_16scan_by_key_implILNS1_25lookback_scan_determinismE0ELb1ES3_N6thrust23THRUST_200600_302600_NS6detail15normal_iteratorINS9_10device_ptrIiEEEESE_SE_iNS9_4plusIvEENS9_8equal_toIiEEiEE10hipError_tPvRmT2_T3_T4_T5_mT6_T7_P12ihipStream_tbENKUlT_T0_E_clISt17integral_constantIbLb0EESY_IbLb1EEEEDaSU_SV_EUlSU_E_NS1_11comp_targetILNS1_3genE10ELNS1_11target_archE1201ELNS1_3gpuE5ELNS1_3repE0EEENS1_30default_config_static_selectorELNS0_4arch9wavefront6targetE1EEEvT1_.kd
    .uniform_work_group_size: 1
    .uses_dynamic_stack: false
    .vgpr_count:     0
    .vgpr_spill_count: 0
    .wavefront_size: 64
  - .agpr_count:     0
    .args:
      - .offset:         0
        .size:           112
        .value_kind:     by_value
    .group_segment_fixed_size: 0
    .kernarg_segment_align: 8
    .kernarg_segment_size: 112
    .language:       OpenCL C
    .language_version:
      - 2
      - 0
    .max_flat_workgroup_size: 256
    .name:           _ZN7rocprim17ROCPRIM_400000_NS6detail17trampoline_kernelINS0_14default_configENS1_27scan_by_key_config_selectorIiiEEZZNS1_16scan_by_key_implILNS1_25lookback_scan_determinismE0ELb1ES3_N6thrust23THRUST_200600_302600_NS6detail15normal_iteratorINS9_10device_ptrIiEEEESE_SE_iNS9_4plusIvEENS9_8equal_toIiEEiEE10hipError_tPvRmT2_T3_T4_T5_mT6_T7_P12ihipStream_tbENKUlT_T0_E_clISt17integral_constantIbLb0EESY_IbLb1EEEEDaSU_SV_EUlSU_E_NS1_11comp_targetILNS1_3genE5ELNS1_11target_archE942ELNS1_3gpuE9ELNS1_3repE0EEENS1_30default_config_static_selectorELNS0_4arch9wavefront6targetE1EEEvT1_
    .private_segment_fixed_size: 0
    .sgpr_count:     4
    .sgpr_spill_count: 0
    .symbol:         _ZN7rocprim17ROCPRIM_400000_NS6detail17trampoline_kernelINS0_14default_configENS1_27scan_by_key_config_selectorIiiEEZZNS1_16scan_by_key_implILNS1_25lookback_scan_determinismE0ELb1ES3_N6thrust23THRUST_200600_302600_NS6detail15normal_iteratorINS9_10device_ptrIiEEEESE_SE_iNS9_4plusIvEENS9_8equal_toIiEEiEE10hipError_tPvRmT2_T3_T4_T5_mT6_T7_P12ihipStream_tbENKUlT_T0_E_clISt17integral_constantIbLb0EESY_IbLb1EEEEDaSU_SV_EUlSU_E_NS1_11comp_targetILNS1_3genE5ELNS1_11target_archE942ELNS1_3gpuE9ELNS1_3repE0EEENS1_30default_config_static_selectorELNS0_4arch9wavefront6targetE1EEEvT1_.kd
    .uniform_work_group_size: 1
    .uses_dynamic_stack: false
    .vgpr_count:     0
    .vgpr_spill_count: 0
    .wavefront_size: 64
  - .agpr_count:     0
    .args:
      - .offset:         0
        .size:           112
        .value_kind:     by_value
    .group_segment_fixed_size: 16384
    .kernarg_segment_align: 8
    .kernarg_segment_size: 112
    .language:       OpenCL C
    .language_version:
      - 2
      - 0
    .max_flat_workgroup_size: 256
    .name:           _ZN7rocprim17ROCPRIM_400000_NS6detail17trampoline_kernelINS0_14default_configENS1_27scan_by_key_config_selectorIiiEEZZNS1_16scan_by_key_implILNS1_25lookback_scan_determinismE0ELb1ES3_N6thrust23THRUST_200600_302600_NS6detail15normal_iteratorINS9_10device_ptrIiEEEESE_SE_iNS9_4plusIvEENS9_8equal_toIiEEiEE10hipError_tPvRmT2_T3_T4_T5_mT6_T7_P12ihipStream_tbENKUlT_T0_E_clISt17integral_constantIbLb0EESY_IbLb1EEEEDaSU_SV_EUlSU_E_NS1_11comp_targetILNS1_3genE4ELNS1_11target_archE910ELNS1_3gpuE8ELNS1_3repE0EEENS1_30default_config_static_selectorELNS0_4arch9wavefront6targetE1EEEvT1_
    .private_segment_fixed_size: 0
    .sgpr_count:     64
    .sgpr_spill_count: 0
    .symbol:         _ZN7rocprim17ROCPRIM_400000_NS6detail17trampoline_kernelINS0_14default_configENS1_27scan_by_key_config_selectorIiiEEZZNS1_16scan_by_key_implILNS1_25lookback_scan_determinismE0ELb1ES3_N6thrust23THRUST_200600_302600_NS6detail15normal_iteratorINS9_10device_ptrIiEEEESE_SE_iNS9_4plusIvEENS9_8equal_toIiEEiEE10hipError_tPvRmT2_T3_T4_T5_mT6_T7_P12ihipStream_tbENKUlT_T0_E_clISt17integral_constantIbLb0EESY_IbLb1EEEEDaSU_SV_EUlSU_E_NS1_11comp_targetILNS1_3genE4ELNS1_11target_archE910ELNS1_3gpuE8ELNS1_3repE0EEENS1_30default_config_static_selectorELNS0_4arch9wavefront6targetE1EEEvT1_.kd
    .uniform_work_group_size: 1
    .uses_dynamic_stack: false
    .vgpr_count:     67
    .vgpr_spill_count: 0
    .wavefront_size: 64
  - .agpr_count:     0
    .args:
      - .offset:         0
        .size:           112
        .value_kind:     by_value
    .group_segment_fixed_size: 0
    .kernarg_segment_align: 8
    .kernarg_segment_size: 112
    .language:       OpenCL C
    .language_version:
      - 2
      - 0
    .max_flat_workgroup_size: 256
    .name:           _ZN7rocprim17ROCPRIM_400000_NS6detail17trampoline_kernelINS0_14default_configENS1_27scan_by_key_config_selectorIiiEEZZNS1_16scan_by_key_implILNS1_25lookback_scan_determinismE0ELb1ES3_N6thrust23THRUST_200600_302600_NS6detail15normal_iteratorINS9_10device_ptrIiEEEESE_SE_iNS9_4plusIvEENS9_8equal_toIiEEiEE10hipError_tPvRmT2_T3_T4_T5_mT6_T7_P12ihipStream_tbENKUlT_T0_E_clISt17integral_constantIbLb0EESY_IbLb1EEEEDaSU_SV_EUlSU_E_NS1_11comp_targetILNS1_3genE3ELNS1_11target_archE908ELNS1_3gpuE7ELNS1_3repE0EEENS1_30default_config_static_selectorELNS0_4arch9wavefront6targetE1EEEvT1_
    .private_segment_fixed_size: 0
    .sgpr_count:     4
    .sgpr_spill_count: 0
    .symbol:         _ZN7rocprim17ROCPRIM_400000_NS6detail17trampoline_kernelINS0_14default_configENS1_27scan_by_key_config_selectorIiiEEZZNS1_16scan_by_key_implILNS1_25lookback_scan_determinismE0ELb1ES3_N6thrust23THRUST_200600_302600_NS6detail15normal_iteratorINS9_10device_ptrIiEEEESE_SE_iNS9_4plusIvEENS9_8equal_toIiEEiEE10hipError_tPvRmT2_T3_T4_T5_mT6_T7_P12ihipStream_tbENKUlT_T0_E_clISt17integral_constantIbLb0EESY_IbLb1EEEEDaSU_SV_EUlSU_E_NS1_11comp_targetILNS1_3genE3ELNS1_11target_archE908ELNS1_3gpuE7ELNS1_3repE0EEENS1_30default_config_static_selectorELNS0_4arch9wavefront6targetE1EEEvT1_.kd
    .uniform_work_group_size: 1
    .uses_dynamic_stack: false
    .vgpr_count:     0
    .vgpr_spill_count: 0
    .wavefront_size: 64
  - .agpr_count:     0
    .args:
      - .offset:         0
        .size:           112
        .value_kind:     by_value
    .group_segment_fixed_size: 0
    .kernarg_segment_align: 8
    .kernarg_segment_size: 112
    .language:       OpenCL C
    .language_version:
      - 2
      - 0
    .max_flat_workgroup_size: 256
    .name:           _ZN7rocprim17ROCPRIM_400000_NS6detail17trampoline_kernelINS0_14default_configENS1_27scan_by_key_config_selectorIiiEEZZNS1_16scan_by_key_implILNS1_25lookback_scan_determinismE0ELb1ES3_N6thrust23THRUST_200600_302600_NS6detail15normal_iteratorINS9_10device_ptrIiEEEESE_SE_iNS9_4plusIvEENS9_8equal_toIiEEiEE10hipError_tPvRmT2_T3_T4_T5_mT6_T7_P12ihipStream_tbENKUlT_T0_E_clISt17integral_constantIbLb0EESY_IbLb1EEEEDaSU_SV_EUlSU_E_NS1_11comp_targetILNS1_3genE2ELNS1_11target_archE906ELNS1_3gpuE6ELNS1_3repE0EEENS1_30default_config_static_selectorELNS0_4arch9wavefront6targetE1EEEvT1_
    .private_segment_fixed_size: 0
    .sgpr_count:     4
    .sgpr_spill_count: 0
    .symbol:         _ZN7rocprim17ROCPRIM_400000_NS6detail17trampoline_kernelINS0_14default_configENS1_27scan_by_key_config_selectorIiiEEZZNS1_16scan_by_key_implILNS1_25lookback_scan_determinismE0ELb1ES3_N6thrust23THRUST_200600_302600_NS6detail15normal_iteratorINS9_10device_ptrIiEEEESE_SE_iNS9_4plusIvEENS9_8equal_toIiEEiEE10hipError_tPvRmT2_T3_T4_T5_mT6_T7_P12ihipStream_tbENKUlT_T0_E_clISt17integral_constantIbLb0EESY_IbLb1EEEEDaSU_SV_EUlSU_E_NS1_11comp_targetILNS1_3genE2ELNS1_11target_archE906ELNS1_3gpuE6ELNS1_3repE0EEENS1_30default_config_static_selectorELNS0_4arch9wavefront6targetE1EEEvT1_.kd
    .uniform_work_group_size: 1
    .uses_dynamic_stack: false
    .vgpr_count:     0
    .vgpr_spill_count: 0
    .wavefront_size: 64
  - .agpr_count:     0
    .args:
      - .offset:         0
        .size:           112
        .value_kind:     by_value
    .group_segment_fixed_size: 0
    .kernarg_segment_align: 8
    .kernarg_segment_size: 112
    .language:       OpenCL C
    .language_version:
      - 2
      - 0
    .max_flat_workgroup_size: 256
    .name:           _ZN7rocprim17ROCPRIM_400000_NS6detail17trampoline_kernelINS0_14default_configENS1_27scan_by_key_config_selectorIiiEEZZNS1_16scan_by_key_implILNS1_25lookback_scan_determinismE0ELb1ES3_N6thrust23THRUST_200600_302600_NS6detail15normal_iteratorINS9_10device_ptrIiEEEESE_SE_iNS9_4plusIvEENS9_8equal_toIiEEiEE10hipError_tPvRmT2_T3_T4_T5_mT6_T7_P12ihipStream_tbENKUlT_T0_E_clISt17integral_constantIbLb0EESY_IbLb1EEEEDaSU_SV_EUlSU_E_NS1_11comp_targetILNS1_3genE10ELNS1_11target_archE1200ELNS1_3gpuE4ELNS1_3repE0EEENS1_30default_config_static_selectorELNS0_4arch9wavefront6targetE1EEEvT1_
    .private_segment_fixed_size: 0
    .sgpr_count:     4
    .sgpr_spill_count: 0
    .symbol:         _ZN7rocprim17ROCPRIM_400000_NS6detail17trampoline_kernelINS0_14default_configENS1_27scan_by_key_config_selectorIiiEEZZNS1_16scan_by_key_implILNS1_25lookback_scan_determinismE0ELb1ES3_N6thrust23THRUST_200600_302600_NS6detail15normal_iteratorINS9_10device_ptrIiEEEESE_SE_iNS9_4plusIvEENS9_8equal_toIiEEiEE10hipError_tPvRmT2_T3_T4_T5_mT6_T7_P12ihipStream_tbENKUlT_T0_E_clISt17integral_constantIbLb0EESY_IbLb1EEEEDaSU_SV_EUlSU_E_NS1_11comp_targetILNS1_3genE10ELNS1_11target_archE1200ELNS1_3gpuE4ELNS1_3repE0EEENS1_30default_config_static_selectorELNS0_4arch9wavefront6targetE1EEEvT1_.kd
    .uniform_work_group_size: 1
    .uses_dynamic_stack: false
    .vgpr_count:     0
    .vgpr_spill_count: 0
    .wavefront_size: 64
  - .agpr_count:     0
    .args:
      - .offset:         0
        .size:           112
        .value_kind:     by_value
    .group_segment_fixed_size: 0
    .kernarg_segment_align: 8
    .kernarg_segment_size: 112
    .language:       OpenCL C
    .language_version:
      - 2
      - 0
    .max_flat_workgroup_size: 256
    .name:           _ZN7rocprim17ROCPRIM_400000_NS6detail17trampoline_kernelINS0_14default_configENS1_27scan_by_key_config_selectorIiiEEZZNS1_16scan_by_key_implILNS1_25lookback_scan_determinismE0ELb1ES3_N6thrust23THRUST_200600_302600_NS6detail15normal_iteratorINS9_10device_ptrIiEEEESE_SE_iNS9_4plusIvEENS9_8equal_toIiEEiEE10hipError_tPvRmT2_T3_T4_T5_mT6_T7_P12ihipStream_tbENKUlT_T0_E_clISt17integral_constantIbLb0EESY_IbLb1EEEEDaSU_SV_EUlSU_E_NS1_11comp_targetILNS1_3genE9ELNS1_11target_archE1100ELNS1_3gpuE3ELNS1_3repE0EEENS1_30default_config_static_selectorELNS0_4arch9wavefront6targetE1EEEvT1_
    .private_segment_fixed_size: 0
    .sgpr_count:     4
    .sgpr_spill_count: 0
    .symbol:         _ZN7rocprim17ROCPRIM_400000_NS6detail17trampoline_kernelINS0_14default_configENS1_27scan_by_key_config_selectorIiiEEZZNS1_16scan_by_key_implILNS1_25lookback_scan_determinismE0ELb1ES3_N6thrust23THRUST_200600_302600_NS6detail15normal_iteratorINS9_10device_ptrIiEEEESE_SE_iNS9_4plusIvEENS9_8equal_toIiEEiEE10hipError_tPvRmT2_T3_T4_T5_mT6_T7_P12ihipStream_tbENKUlT_T0_E_clISt17integral_constantIbLb0EESY_IbLb1EEEEDaSU_SV_EUlSU_E_NS1_11comp_targetILNS1_3genE9ELNS1_11target_archE1100ELNS1_3gpuE3ELNS1_3repE0EEENS1_30default_config_static_selectorELNS0_4arch9wavefront6targetE1EEEvT1_.kd
    .uniform_work_group_size: 1
    .uses_dynamic_stack: false
    .vgpr_count:     0
    .vgpr_spill_count: 0
    .wavefront_size: 64
  - .agpr_count:     0
    .args:
      - .offset:         0
        .size:           112
        .value_kind:     by_value
    .group_segment_fixed_size: 0
    .kernarg_segment_align: 8
    .kernarg_segment_size: 112
    .language:       OpenCL C
    .language_version:
      - 2
      - 0
    .max_flat_workgroup_size: 256
    .name:           _ZN7rocprim17ROCPRIM_400000_NS6detail17trampoline_kernelINS0_14default_configENS1_27scan_by_key_config_selectorIiiEEZZNS1_16scan_by_key_implILNS1_25lookback_scan_determinismE0ELb1ES3_N6thrust23THRUST_200600_302600_NS6detail15normal_iteratorINS9_10device_ptrIiEEEESE_SE_iNS9_4plusIvEENS9_8equal_toIiEEiEE10hipError_tPvRmT2_T3_T4_T5_mT6_T7_P12ihipStream_tbENKUlT_T0_E_clISt17integral_constantIbLb0EESY_IbLb1EEEEDaSU_SV_EUlSU_E_NS1_11comp_targetILNS1_3genE8ELNS1_11target_archE1030ELNS1_3gpuE2ELNS1_3repE0EEENS1_30default_config_static_selectorELNS0_4arch9wavefront6targetE1EEEvT1_
    .private_segment_fixed_size: 0
    .sgpr_count:     4
    .sgpr_spill_count: 0
    .symbol:         _ZN7rocprim17ROCPRIM_400000_NS6detail17trampoline_kernelINS0_14default_configENS1_27scan_by_key_config_selectorIiiEEZZNS1_16scan_by_key_implILNS1_25lookback_scan_determinismE0ELb1ES3_N6thrust23THRUST_200600_302600_NS6detail15normal_iteratorINS9_10device_ptrIiEEEESE_SE_iNS9_4plusIvEENS9_8equal_toIiEEiEE10hipError_tPvRmT2_T3_T4_T5_mT6_T7_P12ihipStream_tbENKUlT_T0_E_clISt17integral_constantIbLb0EESY_IbLb1EEEEDaSU_SV_EUlSU_E_NS1_11comp_targetILNS1_3genE8ELNS1_11target_archE1030ELNS1_3gpuE2ELNS1_3repE0EEENS1_30default_config_static_selectorELNS0_4arch9wavefront6targetE1EEEvT1_.kd
    .uniform_work_group_size: 1
    .uses_dynamic_stack: false
    .vgpr_count:     0
    .vgpr_spill_count: 0
    .wavefront_size: 64
  - .agpr_count:     0
    .args:
      - .offset:         0
        .size:           112
        .value_kind:     by_value
    .group_segment_fixed_size: 0
    .kernarg_segment_align: 8
    .kernarg_segment_size: 112
    .language:       OpenCL C
    .language_version:
      - 2
      - 0
    .max_flat_workgroup_size: 256
    .name:           _ZN7rocprim17ROCPRIM_400000_NS6detail17trampoline_kernelINS0_14default_configENS1_27scan_by_key_config_selectorIssEEZZNS1_16scan_by_key_implILNS1_25lookback_scan_determinismE0ELb1ES3_N6thrust23THRUST_200600_302600_NS6detail15normal_iteratorINS9_10device_ptrIsEEEESE_SE_sNS9_4plusIvEENS9_8equal_toIvEEsEE10hipError_tPvRmT2_T3_T4_T5_mT6_T7_P12ihipStream_tbENKUlT_T0_E_clISt17integral_constantIbLb0EESZ_EEDaSU_SV_EUlSU_E_NS1_11comp_targetILNS1_3genE0ELNS1_11target_archE4294967295ELNS1_3gpuE0ELNS1_3repE0EEENS1_30default_config_static_selectorELNS0_4arch9wavefront6targetE1EEEvT1_
    .private_segment_fixed_size: 0
    .sgpr_count:     4
    .sgpr_spill_count: 0
    .symbol:         _ZN7rocprim17ROCPRIM_400000_NS6detail17trampoline_kernelINS0_14default_configENS1_27scan_by_key_config_selectorIssEEZZNS1_16scan_by_key_implILNS1_25lookback_scan_determinismE0ELb1ES3_N6thrust23THRUST_200600_302600_NS6detail15normal_iteratorINS9_10device_ptrIsEEEESE_SE_sNS9_4plusIvEENS9_8equal_toIvEEsEE10hipError_tPvRmT2_T3_T4_T5_mT6_T7_P12ihipStream_tbENKUlT_T0_E_clISt17integral_constantIbLb0EESZ_EEDaSU_SV_EUlSU_E_NS1_11comp_targetILNS1_3genE0ELNS1_11target_archE4294967295ELNS1_3gpuE0ELNS1_3repE0EEENS1_30default_config_static_selectorELNS0_4arch9wavefront6targetE1EEEvT1_.kd
    .uniform_work_group_size: 1
    .uses_dynamic_stack: false
    .vgpr_count:     0
    .vgpr_spill_count: 0
    .wavefront_size: 64
  - .agpr_count:     0
    .args:
      - .offset:         0
        .size:           112
        .value_kind:     by_value
    .group_segment_fixed_size: 0
    .kernarg_segment_align: 8
    .kernarg_segment_size: 112
    .language:       OpenCL C
    .language_version:
      - 2
      - 0
    .max_flat_workgroup_size: 128
    .name:           _ZN7rocprim17ROCPRIM_400000_NS6detail17trampoline_kernelINS0_14default_configENS1_27scan_by_key_config_selectorIssEEZZNS1_16scan_by_key_implILNS1_25lookback_scan_determinismE0ELb1ES3_N6thrust23THRUST_200600_302600_NS6detail15normal_iteratorINS9_10device_ptrIsEEEESE_SE_sNS9_4plusIvEENS9_8equal_toIvEEsEE10hipError_tPvRmT2_T3_T4_T5_mT6_T7_P12ihipStream_tbENKUlT_T0_E_clISt17integral_constantIbLb0EESZ_EEDaSU_SV_EUlSU_E_NS1_11comp_targetILNS1_3genE10ELNS1_11target_archE1201ELNS1_3gpuE5ELNS1_3repE0EEENS1_30default_config_static_selectorELNS0_4arch9wavefront6targetE1EEEvT1_
    .private_segment_fixed_size: 0
    .sgpr_count:     4
    .sgpr_spill_count: 0
    .symbol:         _ZN7rocprim17ROCPRIM_400000_NS6detail17trampoline_kernelINS0_14default_configENS1_27scan_by_key_config_selectorIssEEZZNS1_16scan_by_key_implILNS1_25lookback_scan_determinismE0ELb1ES3_N6thrust23THRUST_200600_302600_NS6detail15normal_iteratorINS9_10device_ptrIsEEEESE_SE_sNS9_4plusIvEENS9_8equal_toIvEEsEE10hipError_tPvRmT2_T3_T4_T5_mT6_T7_P12ihipStream_tbENKUlT_T0_E_clISt17integral_constantIbLb0EESZ_EEDaSU_SV_EUlSU_E_NS1_11comp_targetILNS1_3genE10ELNS1_11target_archE1201ELNS1_3gpuE5ELNS1_3repE0EEENS1_30default_config_static_selectorELNS0_4arch9wavefront6targetE1EEEvT1_.kd
    .uniform_work_group_size: 1
    .uses_dynamic_stack: false
    .vgpr_count:     0
    .vgpr_spill_count: 0
    .wavefront_size: 64
  - .agpr_count:     0
    .args:
      - .offset:         0
        .size:           112
        .value_kind:     by_value
    .group_segment_fixed_size: 0
    .kernarg_segment_align: 8
    .kernarg_segment_size: 112
    .language:       OpenCL C
    .language_version:
      - 2
      - 0
    .max_flat_workgroup_size: 256
    .name:           _ZN7rocprim17ROCPRIM_400000_NS6detail17trampoline_kernelINS0_14default_configENS1_27scan_by_key_config_selectorIssEEZZNS1_16scan_by_key_implILNS1_25lookback_scan_determinismE0ELb1ES3_N6thrust23THRUST_200600_302600_NS6detail15normal_iteratorINS9_10device_ptrIsEEEESE_SE_sNS9_4plusIvEENS9_8equal_toIvEEsEE10hipError_tPvRmT2_T3_T4_T5_mT6_T7_P12ihipStream_tbENKUlT_T0_E_clISt17integral_constantIbLb0EESZ_EEDaSU_SV_EUlSU_E_NS1_11comp_targetILNS1_3genE5ELNS1_11target_archE942ELNS1_3gpuE9ELNS1_3repE0EEENS1_30default_config_static_selectorELNS0_4arch9wavefront6targetE1EEEvT1_
    .private_segment_fixed_size: 0
    .sgpr_count:     4
    .sgpr_spill_count: 0
    .symbol:         _ZN7rocprim17ROCPRIM_400000_NS6detail17trampoline_kernelINS0_14default_configENS1_27scan_by_key_config_selectorIssEEZZNS1_16scan_by_key_implILNS1_25lookback_scan_determinismE0ELb1ES3_N6thrust23THRUST_200600_302600_NS6detail15normal_iteratorINS9_10device_ptrIsEEEESE_SE_sNS9_4plusIvEENS9_8equal_toIvEEsEE10hipError_tPvRmT2_T3_T4_T5_mT6_T7_P12ihipStream_tbENKUlT_T0_E_clISt17integral_constantIbLb0EESZ_EEDaSU_SV_EUlSU_E_NS1_11comp_targetILNS1_3genE5ELNS1_11target_archE942ELNS1_3gpuE9ELNS1_3repE0EEENS1_30default_config_static_selectorELNS0_4arch9wavefront6targetE1EEEvT1_.kd
    .uniform_work_group_size: 1
    .uses_dynamic_stack: false
    .vgpr_count:     0
    .vgpr_spill_count: 0
    .wavefront_size: 64
  - .agpr_count:     0
    .args:
      - .offset:         0
        .size:           112
        .value_kind:     by_value
    .group_segment_fixed_size: 12288
    .kernarg_segment_align: 8
    .kernarg_segment_size: 112
    .language:       OpenCL C
    .language_version:
      - 2
      - 0
    .max_flat_workgroup_size: 256
    .name:           _ZN7rocprim17ROCPRIM_400000_NS6detail17trampoline_kernelINS0_14default_configENS1_27scan_by_key_config_selectorIssEEZZNS1_16scan_by_key_implILNS1_25lookback_scan_determinismE0ELb1ES3_N6thrust23THRUST_200600_302600_NS6detail15normal_iteratorINS9_10device_ptrIsEEEESE_SE_sNS9_4plusIvEENS9_8equal_toIvEEsEE10hipError_tPvRmT2_T3_T4_T5_mT6_T7_P12ihipStream_tbENKUlT_T0_E_clISt17integral_constantIbLb0EESZ_EEDaSU_SV_EUlSU_E_NS1_11comp_targetILNS1_3genE4ELNS1_11target_archE910ELNS1_3gpuE8ELNS1_3repE0EEENS1_30default_config_static_selectorELNS0_4arch9wavefront6targetE1EEEvT1_
    .private_segment_fixed_size: 0
    .sgpr_count:     79
    .sgpr_spill_count: 0
    .symbol:         _ZN7rocprim17ROCPRIM_400000_NS6detail17trampoline_kernelINS0_14default_configENS1_27scan_by_key_config_selectorIssEEZZNS1_16scan_by_key_implILNS1_25lookback_scan_determinismE0ELb1ES3_N6thrust23THRUST_200600_302600_NS6detail15normal_iteratorINS9_10device_ptrIsEEEESE_SE_sNS9_4plusIvEENS9_8equal_toIvEEsEE10hipError_tPvRmT2_T3_T4_T5_mT6_T7_P12ihipStream_tbENKUlT_T0_E_clISt17integral_constantIbLb0EESZ_EEDaSU_SV_EUlSU_E_NS1_11comp_targetILNS1_3genE4ELNS1_11target_archE910ELNS1_3gpuE8ELNS1_3repE0EEENS1_30default_config_static_selectorELNS0_4arch9wavefront6targetE1EEEvT1_.kd
    .uniform_work_group_size: 1
    .uses_dynamic_stack: false
    .vgpr_count:     58
    .vgpr_spill_count: 0
    .wavefront_size: 64
  - .agpr_count:     0
    .args:
      - .offset:         0
        .size:           112
        .value_kind:     by_value
    .group_segment_fixed_size: 0
    .kernarg_segment_align: 8
    .kernarg_segment_size: 112
    .language:       OpenCL C
    .language_version:
      - 2
      - 0
    .max_flat_workgroup_size: 256
    .name:           _ZN7rocprim17ROCPRIM_400000_NS6detail17trampoline_kernelINS0_14default_configENS1_27scan_by_key_config_selectorIssEEZZNS1_16scan_by_key_implILNS1_25lookback_scan_determinismE0ELb1ES3_N6thrust23THRUST_200600_302600_NS6detail15normal_iteratorINS9_10device_ptrIsEEEESE_SE_sNS9_4plusIvEENS9_8equal_toIvEEsEE10hipError_tPvRmT2_T3_T4_T5_mT6_T7_P12ihipStream_tbENKUlT_T0_E_clISt17integral_constantIbLb0EESZ_EEDaSU_SV_EUlSU_E_NS1_11comp_targetILNS1_3genE3ELNS1_11target_archE908ELNS1_3gpuE7ELNS1_3repE0EEENS1_30default_config_static_selectorELNS0_4arch9wavefront6targetE1EEEvT1_
    .private_segment_fixed_size: 0
    .sgpr_count:     4
    .sgpr_spill_count: 0
    .symbol:         _ZN7rocprim17ROCPRIM_400000_NS6detail17trampoline_kernelINS0_14default_configENS1_27scan_by_key_config_selectorIssEEZZNS1_16scan_by_key_implILNS1_25lookback_scan_determinismE0ELb1ES3_N6thrust23THRUST_200600_302600_NS6detail15normal_iteratorINS9_10device_ptrIsEEEESE_SE_sNS9_4plusIvEENS9_8equal_toIvEEsEE10hipError_tPvRmT2_T3_T4_T5_mT6_T7_P12ihipStream_tbENKUlT_T0_E_clISt17integral_constantIbLb0EESZ_EEDaSU_SV_EUlSU_E_NS1_11comp_targetILNS1_3genE3ELNS1_11target_archE908ELNS1_3gpuE7ELNS1_3repE0EEENS1_30default_config_static_selectorELNS0_4arch9wavefront6targetE1EEEvT1_.kd
    .uniform_work_group_size: 1
    .uses_dynamic_stack: false
    .vgpr_count:     0
    .vgpr_spill_count: 0
    .wavefront_size: 64
  - .agpr_count:     0
    .args:
      - .offset:         0
        .size:           112
        .value_kind:     by_value
    .group_segment_fixed_size: 0
    .kernarg_segment_align: 8
    .kernarg_segment_size: 112
    .language:       OpenCL C
    .language_version:
      - 2
      - 0
    .max_flat_workgroup_size: 64
    .name:           _ZN7rocprim17ROCPRIM_400000_NS6detail17trampoline_kernelINS0_14default_configENS1_27scan_by_key_config_selectorIssEEZZNS1_16scan_by_key_implILNS1_25lookback_scan_determinismE0ELb1ES3_N6thrust23THRUST_200600_302600_NS6detail15normal_iteratorINS9_10device_ptrIsEEEESE_SE_sNS9_4plusIvEENS9_8equal_toIvEEsEE10hipError_tPvRmT2_T3_T4_T5_mT6_T7_P12ihipStream_tbENKUlT_T0_E_clISt17integral_constantIbLb0EESZ_EEDaSU_SV_EUlSU_E_NS1_11comp_targetILNS1_3genE2ELNS1_11target_archE906ELNS1_3gpuE6ELNS1_3repE0EEENS1_30default_config_static_selectorELNS0_4arch9wavefront6targetE1EEEvT1_
    .private_segment_fixed_size: 0
    .sgpr_count:     4
    .sgpr_spill_count: 0
    .symbol:         _ZN7rocprim17ROCPRIM_400000_NS6detail17trampoline_kernelINS0_14default_configENS1_27scan_by_key_config_selectorIssEEZZNS1_16scan_by_key_implILNS1_25lookback_scan_determinismE0ELb1ES3_N6thrust23THRUST_200600_302600_NS6detail15normal_iteratorINS9_10device_ptrIsEEEESE_SE_sNS9_4plusIvEENS9_8equal_toIvEEsEE10hipError_tPvRmT2_T3_T4_T5_mT6_T7_P12ihipStream_tbENKUlT_T0_E_clISt17integral_constantIbLb0EESZ_EEDaSU_SV_EUlSU_E_NS1_11comp_targetILNS1_3genE2ELNS1_11target_archE906ELNS1_3gpuE6ELNS1_3repE0EEENS1_30default_config_static_selectorELNS0_4arch9wavefront6targetE1EEEvT1_.kd
    .uniform_work_group_size: 1
    .uses_dynamic_stack: false
    .vgpr_count:     0
    .vgpr_spill_count: 0
    .wavefront_size: 64
  - .agpr_count:     0
    .args:
      - .offset:         0
        .size:           112
        .value_kind:     by_value
    .group_segment_fixed_size: 0
    .kernarg_segment_align: 8
    .kernarg_segment_size: 112
    .language:       OpenCL C
    .language_version:
      - 2
      - 0
    .max_flat_workgroup_size: 256
    .name:           _ZN7rocprim17ROCPRIM_400000_NS6detail17trampoline_kernelINS0_14default_configENS1_27scan_by_key_config_selectorIssEEZZNS1_16scan_by_key_implILNS1_25lookback_scan_determinismE0ELb1ES3_N6thrust23THRUST_200600_302600_NS6detail15normal_iteratorINS9_10device_ptrIsEEEESE_SE_sNS9_4plusIvEENS9_8equal_toIvEEsEE10hipError_tPvRmT2_T3_T4_T5_mT6_T7_P12ihipStream_tbENKUlT_T0_E_clISt17integral_constantIbLb0EESZ_EEDaSU_SV_EUlSU_E_NS1_11comp_targetILNS1_3genE10ELNS1_11target_archE1200ELNS1_3gpuE4ELNS1_3repE0EEENS1_30default_config_static_selectorELNS0_4arch9wavefront6targetE1EEEvT1_
    .private_segment_fixed_size: 0
    .sgpr_count:     4
    .sgpr_spill_count: 0
    .symbol:         _ZN7rocprim17ROCPRIM_400000_NS6detail17trampoline_kernelINS0_14default_configENS1_27scan_by_key_config_selectorIssEEZZNS1_16scan_by_key_implILNS1_25lookback_scan_determinismE0ELb1ES3_N6thrust23THRUST_200600_302600_NS6detail15normal_iteratorINS9_10device_ptrIsEEEESE_SE_sNS9_4plusIvEENS9_8equal_toIvEEsEE10hipError_tPvRmT2_T3_T4_T5_mT6_T7_P12ihipStream_tbENKUlT_T0_E_clISt17integral_constantIbLb0EESZ_EEDaSU_SV_EUlSU_E_NS1_11comp_targetILNS1_3genE10ELNS1_11target_archE1200ELNS1_3gpuE4ELNS1_3repE0EEENS1_30default_config_static_selectorELNS0_4arch9wavefront6targetE1EEEvT1_.kd
    .uniform_work_group_size: 1
    .uses_dynamic_stack: false
    .vgpr_count:     0
    .vgpr_spill_count: 0
    .wavefront_size: 64
  - .agpr_count:     0
    .args:
      - .offset:         0
        .size:           112
        .value_kind:     by_value
    .group_segment_fixed_size: 0
    .kernarg_segment_align: 8
    .kernarg_segment_size: 112
    .language:       OpenCL C
    .language_version:
      - 2
      - 0
    .max_flat_workgroup_size: 256
    .name:           _ZN7rocprim17ROCPRIM_400000_NS6detail17trampoline_kernelINS0_14default_configENS1_27scan_by_key_config_selectorIssEEZZNS1_16scan_by_key_implILNS1_25lookback_scan_determinismE0ELb1ES3_N6thrust23THRUST_200600_302600_NS6detail15normal_iteratorINS9_10device_ptrIsEEEESE_SE_sNS9_4plusIvEENS9_8equal_toIvEEsEE10hipError_tPvRmT2_T3_T4_T5_mT6_T7_P12ihipStream_tbENKUlT_T0_E_clISt17integral_constantIbLb0EESZ_EEDaSU_SV_EUlSU_E_NS1_11comp_targetILNS1_3genE9ELNS1_11target_archE1100ELNS1_3gpuE3ELNS1_3repE0EEENS1_30default_config_static_selectorELNS0_4arch9wavefront6targetE1EEEvT1_
    .private_segment_fixed_size: 0
    .sgpr_count:     4
    .sgpr_spill_count: 0
    .symbol:         _ZN7rocprim17ROCPRIM_400000_NS6detail17trampoline_kernelINS0_14default_configENS1_27scan_by_key_config_selectorIssEEZZNS1_16scan_by_key_implILNS1_25lookback_scan_determinismE0ELb1ES3_N6thrust23THRUST_200600_302600_NS6detail15normal_iteratorINS9_10device_ptrIsEEEESE_SE_sNS9_4plusIvEENS9_8equal_toIvEEsEE10hipError_tPvRmT2_T3_T4_T5_mT6_T7_P12ihipStream_tbENKUlT_T0_E_clISt17integral_constantIbLb0EESZ_EEDaSU_SV_EUlSU_E_NS1_11comp_targetILNS1_3genE9ELNS1_11target_archE1100ELNS1_3gpuE3ELNS1_3repE0EEENS1_30default_config_static_selectorELNS0_4arch9wavefront6targetE1EEEvT1_.kd
    .uniform_work_group_size: 1
    .uses_dynamic_stack: false
    .vgpr_count:     0
    .vgpr_spill_count: 0
    .wavefront_size: 64
  - .agpr_count:     0
    .args:
      - .offset:         0
        .size:           112
        .value_kind:     by_value
    .group_segment_fixed_size: 0
    .kernarg_segment_align: 8
    .kernarg_segment_size: 112
    .language:       OpenCL C
    .language_version:
      - 2
      - 0
    .max_flat_workgroup_size: 64
    .name:           _ZN7rocprim17ROCPRIM_400000_NS6detail17trampoline_kernelINS0_14default_configENS1_27scan_by_key_config_selectorIssEEZZNS1_16scan_by_key_implILNS1_25lookback_scan_determinismE0ELb1ES3_N6thrust23THRUST_200600_302600_NS6detail15normal_iteratorINS9_10device_ptrIsEEEESE_SE_sNS9_4plusIvEENS9_8equal_toIvEEsEE10hipError_tPvRmT2_T3_T4_T5_mT6_T7_P12ihipStream_tbENKUlT_T0_E_clISt17integral_constantIbLb0EESZ_EEDaSU_SV_EUlSU_E_NS1_11comp_targetILNS1_3genE8ELNS1_11target_archE1030ELNS1_3gpuE2ELNS1_3repE0EEENS1_30default_config_static_selectorELNS0_4arch9wavefront6targetE1EEEvT1_
    .private_segment_fixed_size: 0
    .sgpr_count:     4
    .sgpr_spill_count: 0
    .symbol:         _ZN7rocprim17ROCPRIM_400000_NS6detail17trampoline_kernelINS0_14default_configENS1_27scan_by_key_config_selectorIssEEZZNS1_16scan_by_key_implILNS1_25lookback_scan_determinismE0ELb1ES3_N6thrust23THRUST_200600_302600_NS6detail15normal_iteratorINS9_10device_ptrIsEEEESE_SE_sNS9_4plusIvEENS9_8equal_toIvEEsEE10hipError_tPvRmT2_T3_T4_T5_mT6_T7_P12ihipStream_tbENKUlT_T0_E_clISt17integral_constantIbLb0EESZ_EEDaSU_SV_EUlSU_E_NS1_11comp_targetILNS1_3genE8ELNS1_11target_archE1030ELNS1_3gpuE2ELNS1_3repE0EEENS1_30default_config_static_selectorELNS0_4arch9wavefront6targetE1EEEvT1_.kd
    .uniform_work_group_size: 1
    .uses_dynamic_stack: false
    .vgpr_count:     0
    .vgpr_spill_count: 0
    .wavefront_size: 64
  - .agpr_count:     0
    .args:
      - .offset:         0
        .size:           112
        .value_kind:     by_value
    .group_segment_fixed_size: 0
    .kernarg_segment_align: 8
    .kernarg_segment_size: 112
    .language:       OpenCL C
    .language_version:
      - 2
      - 0
    .max_flat_workgroup_size: 256
    .name:           _ZN7rocprim17ROCPRIM_400000_NS6detail17trampoline_kernelINS0_14default_configENS1_27scan_by_key_config_selectorIssEEZZNS1_16scan_by_key_implILNS1_25lookback_scan_determinismE0ELb1ES3_N6thrust23THRUST_200600_302600_NS6detail15normal_iteratorINS9_10device_ptrIsEEEESE_SE_sNS9_4plusIvEENS9_8equal_toIvEEsEE10hipError_tPvRmT2_T3_T4_T5_mT6_T7_P12ihipStream_tbENKUlT_T0_E_clISt17integral_constantIbLb1EESZ_EEDaSU_SV_EUlSU_E_NS1_11comp_targetILNS1_3genE0ELNS1_11target_archE4294967295ELNS1_3gpuE0ELNS1_3repE0EEENS1_30default_config_static_selectorELNS0_4arch9wavefront6targetE1EEEvT1_
    .private_segment_fixed_size: 0
    .sgpr_count:     4
    .sgpr_spill_count: 0
    .symbol:         _ZN7rocprim17ROCPRIM_400000_NS6detail17trampoline_kernelINS0_14default_configENS1_27scan_by_key_config_selectorIssEEZZNS1_16scan_by_key_implILNS1_25lookback_scan_determinismE0ELb1ES3_N6thrust23THRUST_200600_302600_NS6detail15normal_iteratorINS9_10device_ptrIsEEEESE_SE_sNS9_4plusIvEENS9_8equal_toIvEEsEE10hipError_tPvRmT2_T3_T4_T5_mT6_T7_P12ihipStream_tbENKUlT_T0_E_clISt17integral_constantIbLb1EESZ_EEDaSU_SV_EUlSU_E_NS1_11comp_targetILNS1_3genE0ELNS1_11target_archE4294967295ELNS1_3gpuE0ELNS1_3repE0EEENS1_30default_config_static_selectorELNS0_4arch9wavefront6targetE1EEEvT1_.kd
    .uniform_work_group_size: 1
    .uses_dynamic_stack: false
    .vgpr_count:     0
    .vgpr_spill_count: 0
    .wavefront_size: 64
  - .agpr_count:     0
    .args:
      - .offset:         0
        .size:           112
        .value_kind:     by_value
    .group_segment_fixed_size: 0
    .kernarg_segment_align: 8
    .kernarg_segment_size: 112
    .language:       OpenCL C
    .language_version:
      - 2
      - 0
    .max_flat_workgroup_size: 128
    .name:           _ZN7rocprim17ROCPRIM_400000_NS6detail17trampoline_kernelINS0_14default_configENS1_27scan_by_key_config_selectorIssEEZZNS1_16scan_by_key_implILNS1_25lookback_scan_determinismE0ELb1ES3_N6thrust23THRUST_200600_302600_NS6detail15normal_iteratorINS9_10device_ptrIsEEEESE_SE_sNS9_4plusIvEENS9_8equal_toIvEEsEE10hipError_tPvRmT2_T3_T4_T5_mT6_T7_P12ihipStream_tbENKUlT_T0_E_clISt17integral_constantIbLb1EESZ_EEDaSU_SV_EUlSU_E_NS1_11comp_targetILNS1_3genE10ELNS1_11target_archE1201ELNS1_3gpuE5ELNS1_3repE0EEENS1_30default_config_static_selectorELNS0_4arch9wavefront6targetE1EEEvT1_
    .private_segment_fixed_size: 0
    .sgpr_count:     4
    .sgpr_spill_count: 0
    .symbol:         _ZN7rocprim17ROCPRIM_400000_NS6detail17trampoline_kernelINS0_14default_configENS1_27scan_by_key_config_selectorIssEEZZNS1_16scan_by_key_implILNS1_25lookback_scan_determinismE0ELb1ES3_N6thrust23THRUST_200600_302600_NS6detail15normal_iteratorINS9_10device_ptrIsEEEESE_SE_sNS9_4plusIvEENS9_8equal_toIvEEsEE10hipError_tPvRmT2_T3_T4_T5_mT6_T7_P12ihipStream_tbENKUlT_T0_E_clISt17integral_constantIbLb1EESZ_EEDaSU_SV_EUlSU_E_NS1_11comp_targetILNS1_3genE10ELNS1_11target_archE1201ELNS1_3gpuE5ELNS1_3repE0EEENS1_30default_config_static_selectorELNS0_4arch9wavefront6targetE1EEEvT1_.kd
    .uniform_work_group_size: 1
    .uses_dynamic_stack: false
    .vgpr_count:     0
    .vgpr_spill_count: 0
    .wavefront_size: 64
  - .agpr_count:     0
    .args:
      - .offset:         0
        .size:           112
        .value_kind:     by_value
    .group_segment_fixed_size: 0
    .kernarg_segment_align: 8
    .kernarg_segment_size: 112
    .language:       OpenCL C
    .language_version:
      - 2
      - 0
    .max_flat_workgroup_size: 256
    .name:           _ZN7rocprim17ROCPRIM_400000_NS6detail17trampoline_kernelINS0_14default_configENS1_27scan_by_key_config_selectorIssEEZZNS1_16scan_by_key_implILNS1_25lookback_scan_determinismE0ELb1ES3_N6thrust23THRUST_200600_302600_NS6detail15normal_iteratorINS9_10device_ptrIsEEEESE_SE_sNS9_4plusIvEENS9_8equal_toIvEEsEE10hipError_tPvRmT2_T3_T4_T5_mT6_T7_P12ihipStream_tbENKUlT_T0_E_clISt17integral_constantIbLb1EESZ_EEDaSU_SV_EUlSU_E_NS1_11comp_targetILNS1_3genE5ELNS1_11target_archE942ELNS1_3gpuE9ELNS1_3repE0EEENS1_30default_config_static_selectorELNS0_4arch9wavefront6targetE1EEEvT1_
    .private_segment_fixed_size: 0
    .sgpr_count:     4
    .sgpr_spill_count: 0
    .symbol:         _ZN7rocprim17ROCPRIM_400000_NS6detail17trampoline_kernelINS0_14default_configENS1_27scan_by_key_config_selectorIssEEZZNS1_16scan_by_key_implILNS1_25lookback_scan_determinismE0ELb1ES3_N6thrust23THRUST_200600_302600_NS6detail15normal_iteratorINS9_10device_ptrIsEEEESE_SE_sNS9_4plusIvEENS9_8equal_toIvEEsEE10hipError_tPvRmT2_T3_T4_T5_mT6_T7_P12ihipStream_tbENKUlT_T0_E_clISt17integral_constantIbLb1EESZ_EEDaSU_SV_EUlSU_E_NS1_11comp_targetILNS1_3genE5ELNS1_11target_archE942ELNS1_3gpuE9ELNS1_3repE0EEENS1_30default_config_static_selectorELNS0_4arch9wavefront6targetE1EEEvT1_.kd
    .uniform_work_group_size: 1
    .uses_dynamic_stack: false
    .vgpr_count:     0
    .vgpr_spill_count: 0
    .wavefront_size: 64
  - .agpr_count:     0
    .args:
      - .offset:         0
        .size:           112
        .value_kind:     by_value
    .group_segment_fixed_size: 12288
    .kernarg_segment_align: 8
    .kernarg_segment_size: 112
    .language:       OpenCL C
    .language_version:
      - 2
      - 0
    .max_flat_workgroup_size: 256
    .name:           _ZN7rocprim17ROCPRIM_400000_NS6detail17trampoline_kernelINS0_14default_configENS1_27scan_by_key_config_selectorIssEEZZNS1_16scan_by_key_implILNS1_25lookback_scan_determinismE0ELb1ES3_N6thrust23THRUST_200600_302600_NS6detail15normal_iteratorINS9_10device_ptrIsEEEESE_SE_sNS9_4plusIvEENS9_8equal_toIvEEsEE10hipError_tPvRmT2_T3_T4_T5_mT6_T7_P12ihipStream_tbENKUlT_T0_E_clISt17integral_constantIbLb1EESZ_EEDaSU_SV_EUlSU_E_NS1_11comp_targetILNS1_3genE4ELNS1_11target_archE910ELNS1_3gpuE8ELNS1_3repE0EEENS1_30default_config_static_selectorELNS0_4arch9wavefront6targetE1EEEvT1_
    .private_segment_fixed_size: 0
    .sgpr_count:     78
    .sgpr_spill_count: 0
    .symbol:         _ZN7rocprim17ROCPRIM_400000_NS6detail17trampoline_kernelINS0_14default_configENS1_27scan_by_key_config_selectorIssEEZZNS1_16scan_by_key_implILNS1_25lookback_scan_determinismE0ELb1ES3_N6thrust23THRUST_200600_302600_NS6detail15normal_iteratorINS9_10device_ptrIsEEEESE_SE_sNS9_4plusIvEENS9_8equal_toIvEEsEE10hipError_tPvRmT2_T3_T4_T5_mT6_T7_P12ihipStream_tbENKUlT_T0_E_clISt17integral_constantIbLb1EESZ_EEDaSU_SV_EUlSU_E_NS1_11comp_targetILNS1_3genE4ELNS1_11target_archE910ELNS1_3gpuE8ELNS1_3repE0EEENS1_30default_config_static_selectorELNS0_4arch9wavefront6targetE1EEEvT1_.kd
    .uniform_work_group_size: 1
    .uses_dynamic_stack: false
    .vgpr_count:     60
    .vgpr_spill_count: 0
    .wavefront_size: 64
  - .agpr_count:     0
    .args:
      - .offset:         0
        .size:           112
        .value_kind:     by_value
    .group_segment_fixed_size: 0
    .kernarg_segment_align: 8
    .kernarg_segment_size: 112
    .language:       OpenCL C
    .language_version:
      - 2
      - 0
    .max_flat_workgroup_size: 256
    .name:           _ZN7rocprim17ROCPRIM_400000_NS6detail17trampoline_kernelINS0_14default_configENS1_27scan_by_key_config_selectorIssEEZZNS1_16scan_by_key_implILNS1_25lookback_scan_determinismE0ELb1ES3_N6thrust23THRUST_200600_302600_NS6detail15normal_iteratorINS9_10device_ptrIsEEEESE_SE_sNS9_4plusIvEENS9_8equal_toIvEEsEE10hipError_tPvRmT2_T3_T4_T5_mT6_T7_P12ihipStream_tbENKUlT_T0_E_clISt17integral_constantIbLb1EESZ_EEDaSU_SV_EUlSU_E_NS1_11comp_targetILNS1_3genE3ELNS1_11target_archE908ELNS1_3gpuE7ELNS1_3repE0EEENS1_30default_config_static_selectorELNS0_4arch9wavefront6targetE1EEEvT1_
    .private_segment_fixed_size: 0
    .sgpr_count:     4
    .sgpr_spill_count: 0
    .symbol:         _ZN7rocprim17ROCPRIM_400000_NS6detail17trampoline_kernelINS0_14default_configENS1_27scan_by_key_config_selectorIssEEZZNS1_16scan_by_key_implILNS1_25lookback_scan_determinismE0ELb1ES3_N6thrust23THRUST_200600_302600_NS6detail15normal_iteratorINS9_10device_ptrIsEEEESE_SE_sNS9_4plusIvEENS9_8equal_toIvEEsEE10hipError_tPvRmT2_T3_T4_T5_mT6_T7_P12ihipStream_tbENKUlT_T0_E_clISt17integral_constantIbLb1EESZ_EEDaSU_SV_EUlSU_E_NS1_11comp_targetILNS1_3genE3ELNS1_11target_archE908ELNS1_3gpuE7ELNS1_3repE0EEENS1_30default_config_static_selectorELNS0_4arch9wavefront6targetE1EEEvT1_.kd
    .uniform_work_group_size: 1
    .uses_dynamic_stack: false
    .vgpr_count:     0
    .vgpr_spill_count: 0
    .wavefront_size: 64
  - .agpr_count:     0
    .args:
      - .offset:         0
        .size:           112
        .value_kind:     by_value
    .group_segment_fixed_size: 0
    .kernarg_segment_align: 8
    .kernarg_segment_size: 112
    .language:       OpenCL C
    .language_version:
      - 2
      - 0
    .max_flat_workgroup_size: 64
    .name:           _ZN7rocprim17ROCPRIM_400000_NS6detail17trampoline_kernelINS0_14default_configENS1_27scan_by_key_config_selectorIssEEZZNS1_16scan_by_key_implILNS1_25lookback_scan_determinismE0ELb1ES3_N6thrust23THRUST_200600_302600_NS6detail15normal_iteratorINS9_10device_ptrIsEEEESE_SE_sNS9_4plusIvEENS9_8equal_toIvEEsEE10hipError_tPvRmT2_T3_T4_T5_mT6_T7_P12ihipStream_tbENKUlT_T0_E_clISt17integral_constantIbLb1EESZ_EEDaSU_SV_EUlSU_E_NS1_11comp_targetILNS1_3genE2ELNS1_11target_archE906ELNS1_3gpuE6ELNS1_3repE0EEENS1_30default_config_static_selectorELNS0_4arch9wavefront6targetE1EEEvT1_
    .private_segment_fixed_size: 0
    .sgpr_count:     4
    .sgpr_spill_count: 0
    .symbol:         _ZN7rocprim17ROCPRIM_400000_NS6detail17trampoline_kernelINS0_14default_configENS1_27scan_by_key_config_selectorIssEEZZNS1_16scan_by_key_implILNS1_25lookback_scan_determinismE0ELb1ES3_N6thrust23THRUST_200600_302600_NS6detail15normal_iteratorINS9_10device_ptrIsEEEESE_SE_sNS9_4plusIvEENS9_8equal_toIvEEsEE10hipError_tPvRmT2_T3_T4_T5_mT6_T7_P12ihipStream_tbENKUlT_T0_E_clISt17integral_constantIbLb1EESZ_EEDaSU_SV_EUlSU_E_NS1_11comp_targetILNS1_3genE2ELNS1_11target_archE906ELNS1_3gpuE6ELNS1_3repE0EEENS1_30default_config_static_selectorELNS0_4arch9wavefront6targetE1EEEvT1_.kd
    .uniform_work_group_size: 1
    .uses_dynamic_stack: false
    .vgpr_count:     0
    .vgpr_spill_count: 0
    .wavefront_size: 64
  - .agpr_count:     0
    .args:
      - .offset:         0
        .size:           112
        .value_kind:     by_value
    .group_segment_fixed_size: 0
    .kernarg_segment_align: 8
    .kernarg_segment_size: 112
    .language:       OpenCL C
    .language_version:
      - 2
      - 0
    .max_flat_workgroup_size: 256
    .name:           _ZN7rocprim17ROCPRIM_400000_NS6detail17trampoline_kernelINS0_14default_configENS1_27scan_by_key_config_selectorIssEEZZNS1_16scan_by_key_implILNS1_25lookback_scan_determinismE0ELb1ES3_N6thrust23THRUST_200600_302600_NS6detail15normal_iteratorINS9_10device_ptrIsEEEESE_SE_sNS9_4plusIvEENS9_8equal_toIvEEsEE10hipError_tPvRmT2_T3_T4_T5_mT6_T7_P12ihipStream_tbENKUlT_T0_E_clISt17integral_constantIbLb1EESZ_EEDaSU_SV_EUlSU_E_NS1_11comp_targetILNS1_3genE10ELNS1_11target_archE1200ELNS1_3gpuE4ELNS1_3repE0EEENS1_30default_config_static_selectorELNS0_4arch9wavefront6targetE1EEEvT1_
    .private_segment_fixed_size: 0
    .sgpr_count:     4
    .sgpr_spill_count: 0
    .symbol:         _ZN7rocprim17ROCPRIM_400000_NS6detail17trampoline_kernelINS0_14default_configENS1_27scan_by_key_config_selectorIssEEZZNS1_16scan_by_key_implILNS1_25lookback_scan_determinismE0ELb1ES3_N6thrust23THRUST_200600_302600_NS6detail15normal_iteratorINS9_10device_ptrIsEEEESE_SE_sNS9_4plusIvEENS9_8equal_toIvEEsEE10hipError_tPvRmT2_T3_T4_T5_mT6_T7_P12ihipStream_tbENKUlT_T0_E_clISt17integral_constantIbLb1EESZ_EEDaSU_SV_EUlSU_E_NS1_11comp_targetILNS1_3genE10ELNS1_11target_archE1200ELNS1_3gpuE4ELNS1_3repE0EEENS1_30default_config_static_selectorELNS0_4arch9wavefront6targetE1EEEvT1_.kd
    .uniform_work_group_size: 1
    .uses_dynamic_stack: false
    .vgpr_count:     0
    .vgpr_spill_count: 0
    .wavefront_size: 64
  - .agpr_count:     0
    .args:
      - .offset:         0
        .size:           112
        .value_kind:     by_value
    .group_segment_fixed_size: 0
    .kernarg_segment_align: 8
    .kernarg_segment_size: 112
    .language:       OpenCL C
    .language_version:
      - 2
      - 0
    .max_flat_workgroup_size: 256
    .name:           _ZN7rocprim17ROCPRIM_400000_NS6detail17trampoline_kernelINS0_14default_configENS1_27scan_by_key_config_selectorIssEEZZNS1_16scan_by_key_implILNS1_25lookback_scan_determinismE0ELb1ES3_N6thrust23THRUST_200600_302600_NS6detail15normal_iteratorINS9_10device_ptrIsEEEESE_SE_sNS9_4plusIvEENS9_8equal_toIvEEsEE10hipError_tPvRmT2_T3_T4_T5_mT6_T7_P12ihipStream_tbENKUlT_T0_E_clISt17integral_constantIbLb1EESZ_EEDaSU_SV_EUlSU_E_NS1_11comp_targetILNS1_3genE9ELNS1_11target_archE1100ELNS1_3gpuE3ELNS1_3repE0EEENS1_30default_config_static_selectorELNS0_4arch9wavefront6targetE1EEEvT1_
    .private_segment_fixed_size: 0
    .sgpr_count:     4
    .sgpr_spill_count: 0
    .symbol:         _ZN7rocprim17ROCPRIM_400000_NS6detail17trampoline_kernelINS0_14default_configENS1_27scan_by_key_config_selectorIssEEZZNS1_16scan_by_key_implILNS1_25lookback_scan_determinismE0ELb1ES3_N6thrust23THRUST_200600_302600_NS6detail15normal_iteratorINS9_10device_ptrIsEEEESE_SE_sNS9_4plusIvEENS9_8equal_toIvEEsEE10hipError_tPvRmT2_T3_T4_T5_mT6_T7_P12ihipStream_tbENKUlT_T0_E_clISt17integral_constantIbLb1EESZ_EEDaSU_SV_EUlSU_E_NS1_11comp_targetILNS1_3genE9ELNS1_11target_archE1100ELNS1_3gpuE3ELNS1_3repE0EEENS1_30default_config_static_selectorELNS0_4arch9wavefront6targetE1EEEvT1_.kd
    .uniform_work_group_size: 1
    .uses_dynamic_stack: false
    .vgpr_count:     0
    .vgpr_spill_count: 0
    .wavefront_size: 64
  - .agpr_count:     0
    .args:
      - .offset:         0
        .size:           112
        .value_kind:     by_value
    .group_segment_fixed_size: 0
    .kernarg_segment_align: 8
    .kernarg_segment_size: 112
    .language:       OpenCL C
    .language_version:
      - 2
      - 0
    .max_flat_workgroup_size: 64
    .name:           _ZN7rocprim17ROCPRIM_400000_NS6detail17trampoline_kernelINS0_14default_configENS1_27scan_by_key_config_selectorIssEEZZNS1_16scan_by_key_implILNS1_25lookback_scan_determinismE0ELb1ES3_N6thrust23THRUST_200600_302600_NS6detail15normal_iteratorINS9_10device_ptrIsEEEESE_SE_sNS9_4plusIvEENS9_8equal_toIvEEsEE10hipError_tPvRmT2_T3_T4_T5_mT6_T7_P12ihipStream_tbENKUlT_T0_E_clISt17integral_constantIbLb1EESZ_EEDaSU_SV_EUlSU_E_NS1_11comp_targetILNS1_3genE8ELNS1_11target_archE1030ELNS1_3gpuE2ELNS1_3repE0EEENS1_30default_config_static_selectorELNS0_4arch9wavefront6targetE1EEEvT1_
    .private_segment_fixed_size: 0
    .sgpr_count:     4
    .sgpr_spill_count: 0
    .symbol:         _ZN7rocprim17ROCPRIM_400000_NS6detail17trampoline_kernelINS0_14default_configENS1_27scan_by_key_config_selectorIssEEZZNS1_16scan_by_key_implILNS1_25lookback_scan_determinismE0ELb1ES3_N6thrust23THRUST_200600_302600_NS6detail15normal_iteratorINS9_10device_ptrIsEEEESE_SE_sNS9_4plusIvEENS9_8equal_toIvEEsEE10hipError_tPvRmT2_T3_T4_T5_mT6_T7_P12ihipStream_tbENKUlT_T0_E_clISt17integral_constantIbLb1EESZ_EEDaSU_SV_EUlSU_E_NS1_11comp_targetILNS1_3genE8ELNS1_11target_archE1030ELNS1_3gpuE2ELNS1_3repE0EEENS1_30default_config_static_selectorELNS0_4arch9wavefront6targetE1EEEvT1_.kd
    .uniform_work_group_size: 1
    .uses_dynamic_stack: false
    .vgpr_count:     0
    .vgpr_spill_count: 0
    .wavefront_size: 64
  - .agpr_count:     0
    .args:
      - .offset:         0
        .size:           112
        .value_kind:     by_value
    .group_segment_fixed_size: 0
    .kernarg_segment_align: 8
    .kernarg_segment_size: 112
    .language:       OpenCL C
    .language_version:
      - 2
      - 0
    .max_flat_workgroup_size: 256
    .name:           _ZN7rocprim17ROCPRIM_400000_NS6detail17trampoline_kernelINS0_14default_configENS1_27scan_by_key_config_selectorIssEEZZNS1_16scan_by_key_implILNS1_25lookback_scan_determinismE0ELb1ES3_N6thrust23THRUST_200600_302600_NS6detail15normal_iteratorINS9_10device_ptrIsEEEESE_SE_sNS9_4plusIvEENS9_8equal_toIvEEsEE10hipError_tPvRmT2_T3_T4_T5_mT6_T7_P12ihipStream_tbENKUlT_T0_E_clISt17integral_constantIbLb1EESY_IbLb0EEEEDaSU_SV_EUlSU_E_NS1_11comp_targetILNS1_3genE0ELNS1_11target_archE4294967295ELNS1_3gpuE0ELNS1_3repE0EEENS1_30default_config_static_selectorELNS0_4arch9wavefront6targetE1EEEvT1_
    .private_segment_fixed_size: 0
    .sgpr_count:     4
    .sgpr_spill_count: 0
    .symbol:         _ZN7rocprim17ROCPRIM_400000_NS6detail17trampoline_kernelINS0_14default_configENS1_27scan_by_key_config_selectorIssEEZZNS1_16scan_by_key_implILNS1_25lookback_scan_determinismE0ELb1ES3_N6thrust23THRUST_200600_302600_NS6detail15normal_iteratorINS9_10device_ptrIsEEEESE_SE_sNS9_4plusIvEENS9_8equal_toIvEEsEE10hipError_tPvRmT2_T3_T4_T5_mT6_T7_P12ihipStream_tbENKUlT_T0_E_clISt17integral_constantIbLb1EESY_IbLb0EEEEDaSU_SV_EUlSU_E_NS1_11comp_targetILNS1_3genE0ELNS1_11target_archE4294967295ELNS1_3gpuE0ELNS1_3repE0EEENS1_30default_config_static_selectorELNS0_4arch9wavefront6targetE1EEEvT1_.kd
    .uniform_work_group_size: 1
    .uses_dynamic_stack: false
    .vgpr_count:     0
    .vgpr_spill_count: 0
    .wavefront_size: 64
  - .agpr_count:     0
    .args:
      - .offset:         0
        .size:           112
        .value_kind:     by_value
    .group_segment_fixed_size: 0
    .kernarg_segment_align: 8
    .kernarg_segment_size: 112
    .language:       OpenCL C
    .language_version:
      - 2
      - 0
    .max_flat_workgroup_size: 128
    .name:           _ZN7rocprim17ROCPRIM_400000_NS6detail17trampoline_kernelINS0_14default_configENS1_27scan_by_key_config_selectorIssEEZZNS1_16scan_by_key_implILNS1_25lookback_scan_determinismE0ELb1ES3_N6thrust23THRUST_200600_302600_NS6detail15normal_iteratorINS9_10device_ptrIsEEEESE_SE_sNS9_4plusIvEENS9_8equal_toIvEEsEE10hipError_tPvRmT2_T3_T4_T5_mT6_T7_P12ihipStream_tbENKUlT_T0_E_clISt17integral_constantIbLb1EESY_IbLb0EEEEDaSU_SV_EUlSU_E_NS1_11comp_targetILNS1_3genE10ELNS1_11target_archE1201ELNS1_3gpuE5ELNS1_3repE0EEENS1_30default_config_static_selectorELNS0_4arch9wavefront6targetE1EEEvT1_
    .private_segment_fixed_size: 0
    .sgpr_count:     4
    .sgpr_spill_count: 0
    .symbol:         _ZN7rocprim17ROCPRIM_400000_NS6detail17trampoline_kernelINS0_14default_configENS1_27scan_by_key_config_selectorIssEEZZNS1_16scan_by_key_implILNS1_25lookback_scan_determinismE0ELb1ES3_N6thrust23THRUST_200600_302600_NS6detail15normal_iteratorINS9_10device_ptrIsEEEESE_SE_sNS9_4plusIvEENS9_8equal_toIvEEsEE10hipError_tPvRmT2_T3_T4_T5_mT6_T7_P12ihipStream_tbENKUlT_T0_E_clISt17integral_constantIbLb1EESY_IbLb0EEEEDaSU_SV_EUlSU_E_NS1_11comp_targetILNS1_3genE10ELNS1_11target_archE1201ELNS1_3gpuE5ELNS1_3repE0EEENS1_30default_config_static_selectorELNS0_4arch9wavefront6targetE1EEEvT1_.kd
    .uniform_work_group_size: 1
    .uses_dynamic_stack: false
    .vgpr_count:     0
    .vgpr_spill_count: 0
    .wavefront_size: 64
  - .agpr_count:     0
    .args:
      - .offset:         0
        .size:           112
        .value_kind:     by_value
    .group_segment_fixed_size: 0
    .kernarg_segment_align: 8
    .kernarg_segment_size: 112
    .language:       OpenCL C
    .language_version:
      - 2
      - 0
    .max_flat_workgroup_size: 256
    .name:           _ZN7rocprim17ROCPRIM_400000_NS6detail17trampoline_kernelINS0_14default_configENS1_27scan_by_key_config_selectorIssEEZZNS1_16scan_by_key_implILNS1_25lookback_scan_determinismE0ELb1ES3_N6thrust23THRUST_200600_302600_NS6detail15normal_iteratorINS9_10device_ptrIsEEEESE_SE_sNS9_4plusIvEENS9_8equal_toIvEEsEE10hipError_tPvRmT2_T3_T4_T5_mT6_T7_P12ihipStream_tbENKUlT_T0_E_clISt17integral_constantIbLb1EESY_IbLb0EEEEDaSU_SV_EUlSU_E_NS1_11comp_targetILNS1_3genE5ELNS1_11target_archE942ELNS1_3gpuE9ELNS1_3repE0EEENS1_30default_config_static_selectorELNS0_4arch9wavefront6targetE1EEEvT1_
    .private_segment_fixed_size: 0
    .sgpr_count:     4
    .sgpr_spill_count: 0
    .symbol:         _ZN7rocprim17ROCPRIM_400000_NS6detail17trampoline_kernelINS0_14default_configENS1_27scan_by_key_config_selectorIssEEZZNS1_16scan_by_key_implILNS1_25lookback_scan_determinismE0ELb1ES3_N6thrust23THRUST_200600_302600_NS6detail15normal_iteratorINS9_10device_ptrIsEEEESE_SE_sNS9_4plusIvEENS9_8equal_toIvEEsEE10hipError_tPvRmT2_T3_T4_T5_mT6_T7_P12ihipStream_tbENKUlT_T0_E_clISt17integral_constantIbLb1EESY_IbLb0EEEEDaSU_SV_EUlSU_E_NS1_11comp_targetILNS1_3genE5ELNS1_11target_archE942ELNS1_3gpuE9ELNS1_3repE0EEENS1_30default_config_static_selectorELNS0_4arch9wavefront6targetE1EEEvT1_.kd
    .uniform_work_group_size: 1
    .uses_dynamic_stack: false
    .vgpr_count:     0
    .vgpr_spill_count: 0
    .wavefront_size: 64
  - .agpr_count:     0
    .args:
      - .offset:         0
        .size:           112
        .value_kind:     by_value
    .group_segment_fixed_size: 12288
    .kernarg_segment_align: 8
    .kernarg_segment_size: 112
    .language:       OpenCL C
    .language_version:
      - 2
      - 0
    .max_flat_workgroup_size: 256
    .name:           _ZN7rocprim17ROCPRIM_400000_NS6detail17trampoline_kernelINS0_14default_configENS1_27scan_by_key_config_selectorIssEEZZNS1_16scan_by_key_implILNS1_25lookback_scan_determinismE0ELb1ES3_N6thrust23THRUST_200600_302600_NS6detail15normal_iteratorINS9_10device_ptrIsEEEESE_SE_sNS9_4plusIvEENS9_8equal_toIvEEsEE10hipError_tPvRmT2_T3_T4_T5_mT6_T7_P12ihipStream_tbENKUlT_T0_E_clISt17integral_constantIbLb1EESY_IbLb0EEEEDaSU_SV_EUlSU_E_NS1_11comp_targetILNS1_3genE4ELNS1_11target_archE910ELNS1_3gpuE8ELNS1_3repE0EEENS1_30default_config_static_selectorELNS0_4arch9wavefront6targetE1EEEvT1_
    .private_segment_fixed_size: 0
    .sgpr_count:     79
    .sgpr_spill_count: 0
    .symbol:         _ZN7rocprim17ROCPRIM_400000_NS6detail17trampoline_kernelINS0_14default_configENS1_27scan_by_key_config_selectorIssEEZZNS1_16scan_by_key_implILNS1_25lookback_scan_determinismE0ELb1ES3_N6thrust23THRUST_200600_302600_NS6detail15normal_iteratorINS9_10device_ptrIsEEEESE_SE_sNS9_4plusIvEENS9_8equal_toIvEEsEE10hipError_tPvRmT2_T3_T4_T5_mT6_T7_P12ihipStream_tbENKUlT_T0_E_clISt17integral_constantIbLb1EESY_IbLb0EEEEDaSU_SV_EUlSU_E_NS1_11comp_targetILNS1_3genE4ELNS1_11target_archE910ELNS1_3gpuE8ELNS1_3repE0EEENS1_30default_config_static_selectorELNS0_4arch9wavefront6targetE1EEEvT1_.kd
    .uniform_work_group_size: 1
    .uses_dynamic_stack: false
    .vgpr_count:     58
    .vgpr_spill_count: 0
    .wavefront_size: 64
  - .agpr_count:     0
    .args:
      - .offset:         0
        .size:           112
        .value_kind:     by_value
    .group_segment_fixed_size: 0
    .kernarg_segment_align: 8
    .kernarg_segment_size: 112
    .language:       OpenCL C
    .language_version:
      - 2
      - 0
    .max_flat_workgroup_size: 256
    .name:           _ZN7rocprim17ROCPRIM_400000_NS6detail17trampoline_kernelINS0_14default_configENS1_27scan_by_key_config_selectorIssEEZZNS1_16scan_by_key_implILNS1_25lookback_scan_determinismE0ELb1ES3_N6thrust23THRUST_200600_302600_NS6detail15normal_iteratorINS9_10device_ptrIsEEEESE_SE_sNS9_4plusIvEENS9_8equal_toIvEEsEE10hipError_tPvRmT2_T3_T4_T5_mT6_T7_P12ihipStream_tbENKUlT_T0_E_clISt17integral_constantIbLb1EESY_IbLb0EEEEDaSU_SV_EUlSU_E_NS1_11comp_targetILNS1_3genE3ELNS1_11target_archE908ELNS1_3gpuE7ELNS1_3repE0EEENS1_30default_config_static_selectorELNS0_4arch9wavefront6targetE1EEEvT1_
    .private_segment_fixed_size: 0
    .sgpr_count:     4
    .sgpr_spill_count: 0
    .symbol:         _ZN7rocprim17ROCPRIM_400000_NS6detail17trampoline_kernelINS0_14default_configENS1_27scan_by_key_config_selectorIssEEZZNS1_16scan_by_key_implILNS1_25lookback_scan_determinismE0ELb1ES3_N6thrust23THRUST_200600_302600_NS6detail15normal_iteratorINS9_10device_ptrIsEEEESE_SE_sNS9_4plusIvEENS9_8equal_toIvEEsEE10hipError_tPvRmT2_T3_T4_T5_mT6_T7_P12ihipStream_tbENKUlT_T0_E_clISt17integral_constantIbLb1EESY_IbLb0EEEEDaSU_SV_EUlSU_E_NS1_11comp_targetILNS1_3genE3ELNS1_11target_archE908ELNS1_3gpuE7ELNS1_3repE0EEENS1_30default_config_static_selectorELNS0_4arch9wavefront6targetE1EEEvT1_.kd
    .uniform_work_group_size: 1
    .uses_dynamic_stack: false
    .vgpr_count:     0
    .vgpr_spill_count: 0
    .wavefront_size: 64
  - .agpr_count:     0
    .args:
      - .offset:         0
        .size:           112
        .value_kind:     by_value
    .group_segment_fixed_size: 0
    .kernarg_segment_align: 8
    .kernarg_segment_size: 112
    .language:       OpenCL C
    .language_version:
      - 2
      - 0
    .max_flat_workgroup_size: 64
    .name:           _ZN7rocprim17ROCPRIM_400000_NS6detail17trampoline_kernelINS0_14default_configENS1_27scan_by_key_config_selectorIssEEZZNS1_16scan_by_key_implILNS1_25lookback_scan_determinismE0ELb1ES3_N6thrust23THRUST_200600_302600_NS6detail15normal_iteratorINS9_10device_ptrIsEEEESE_SE_sNS9_4plusIvEENS9_8equal_toIvEEsEE10hipError_tPvRmT2_T3_T4_T5_mT6_T7_P12ihipStream_tbENKUlT_T0_E_clISt17integral_constantIbLb1EESY_IbLb0EEEEDaSU_SV_EUlSU_E_NS1_11comp_targetILNS1_3genE2ELNS1_11target_archE906ELNS1_3gpuE6ELNS1_3repE0EEENS1_30default_config_static_selectorELNS0_4arch9wavefront6targetE1EEEvT1_
    .private_segment_fixed_size: 0
    .sgpr_count:     4
    .sgpr_spill_count: 0
    .symbol:         _ZN7rocprim17ROCPRIM_400000_NS6detail17trampoline_kernelINS0_14default_configENS1_27scan_by_key_config_selectorIssEEZZNS1_16scan_by_key_implILNS1_25lookback_scan_determinismE0ELb1ES3_N6thrust23THRUST_200600_302600_NS6detail15normal_iteratorINS9_10device_ptrIsEEEESE_SE_sNS9_4plusIvEENS9_8equal_toIvEEsEE10hipError_tPvRmT2_T3_T4_T5_mT6_T7_P12ihipStream_tbENKUlT_T0_E_clISt17integral_constantIbLb1EESY_IbLb0EEEEDaSU_SV_EUlSU_E_NS1_11comp_targetILNS1_3genE2ELNS1_11target_archE906ELNS1_3gpuE6ELNS1_3repE0EEENS1_30default_config_static_selectorELNS0_4arch9wavefront6targetE1EEEvT1_.kd
    .uniform_work_group_size: 1
    .uses_dynamic_stack: false
    .vgpr_count:     0
    .vgpr_spill_count: 0
    .wavefront_size: 64
  - .agpr_count:     0
    .args:
      - .offset:         0
        .size:           112
        .value_kind:     by_value
    .group_segment_fixed_size: 0
    .kernarg_segment_align: 8
    .kernarg_segment_size: 112
    .language:       OpenCL C
    .language_version:
      - 2
      - 0
    .max_flat_workgroup_size: 256
    .name:           _ZN7rocprim17ROCPRIM_400000_NS6detail17trampoline_kernelINS0_14default_configENS1_27scan_by_key_config_selectorIssEEZZNS1_16scan_by_key_implILNS1_25lookback_scan_determinismE0ELb1ES3_N6thrust23THRUST_200600_302600_NS6detail15normal_iteratorINS9_10device_ptrIsEEEESE_SE_sNS9_4plusIvEENS9_8equal_toIvEEsEE10hipError_tPvRmT2_T3_T4_T5_mT6_T7_P12ihipStream_tbENKUlT_T0_E_clISt17integral_constantIbLb1EESY_IbLb0EEEEDaSU_SV_EUlSU_E_NS1_11comp_targetILNS1_3genE10ELNS1_11target_archE1200ELNS1_3gpuE4ELNS1_3repE0EEENS1_30default_config_static_selectorELNS0_4arch9wavefront6targetE1EEEvT1_
    .private_segment_fixed_size: 0
    .sgpr_count:     4
    .sgpr_spill_count: 0
    .symbol:         _ZN7rocprim17ROCPRIM_400000_NS6detail17trampoline_kernelINS0_14default_configENS1_27scan_by_key_config_selectorIssEEZZNS1_16scan_by_key_implILNS1_25lookback_scan_determinismE0ELb1ES3_N6thrust23THRUST_200600_302600_NS6detail15normal_iteratorINS9_10device_ptrIsEEEESE_SE_sNS9_4plusIvEENS9_8equal_toIvEEsEE10hipError_tPvRmT2_T3_T4_T5_mT6_T7_P12ihipStream_tbENKUlT_T0_E_clISt17integral_constantIbLb1EESY_IbLb0EEEEDaSU_SV_EUlSU_E_NS1_11comp_targetILNS1_3genE10ELNS1_11target_archE1200ELNS1_3gpuE4ELNS1_3repE0EEENS1_30default_config_static_selectorELNS0_4arch9wavefront6targetE1EEEvT1_.kd
    .uniform_work_group_size: 1
    .uses_dynamic_stack: false
    .vgpr_count:     0
    .vgpr_spill_count: 0
    .wavefront_size: 64
  - .agpr_count:     0
    .args:
      - .offset:         0
        .size:           112
        .value_kind:     by_value
    .group_segment_fixed_size: 0
    .kernarg_segment_align: 8
    .kernarg_segment_size: 112
    .language:       OpenCL C
    .language_version:
      - 2
      - 0
    .max_flat_workgroup_size: 256
    .name:           _ZN7rocprim17ROCPRIM_400000_NS6detail17trampoline_kernelINS0_14default_configENS1_27scan_by_key_config_selectorIssEEZZNS1_16scan_by_key_implILNS1_25lookback_scan_determinismE0ELb1ES3_N6thrust23THRUST_200600_302600_NS6detail15normal_iteratorINS9_10device_ptrIsEEEESE_SE_sNS9_4plusIvEENS9_8equal_toIvEEsEE10hipError_tPvRmT2_T3_T4_T5_mT6_T7_P12ihipStream_tbENKUlT_T0_E_clISt17integral_constantIbLb1EESY_IbLb0EEEEDaSU_SV_EUlSU_E_NS1_11comp_targetILNS1_3genE9ELNS1_11target_archE1100ELNS1_3gpuE3ELNS1_3repE0EEENS1_30default_config_static_selectorELNS0_4arch9wavefront6targetE1EEEvT1_
    .private_segment_fixed_size: 0
    .sgpr_count:     4
    .sgpr_spill_count: 0
    .symbol:         _ZN7rocprim17ROCPRIM_400000_NS6detail17trampoline_kernelINS0_14default_configENS1_27scan_by_key_config_selectorIssEEZZNS1_16scan_by_key_implILNS1_25lookback_scan_determinismE0ELb1ES3_N6thrust23THRUST_200600_302600_NS6detail15normal_iteratorINS9_10device_ptrIsEEEESE_SE_sNS9_4plusIvEENS9_8equal_toIvEEsEE10hipError_tPvRmT2_T3_T4_T5_mT6_T7_P12ihipStream_tbENKUlT_T0_E_clISt17integral_constantIbLb1EESY_IbLb0EEEEDaSU_SV_EUlSU_E_NS1_11comp_targetILNS1_3genE9ELNS1_11target_archE1100ELNS1_3gpuE3ELNS1_3repE0EEENS1_30default_config_static_selectorELNS0_4arch9wavefront6targetE1EEEvT1_.kd
    .uniform_work_group_size: 1
    .uses_dynamic_stack: false
    .vgpr_count:     0
    .vgpr_spill_count: 0
    .wavefront_size: 64
  - .agpr_count:     0
    .args:
      - .offset:         0
        .size:           112
        .value_kind:     by_value
    .group_segment_fixed_size: 0
    .kernarg_segment_align: 8
    .kernarg_segment_size: 112
    .language:       OpenCL C
    .language_version:
      - 2
      - 0
    .max_flat_workgroup_size: 64
    .name:           _ZN7rocprim17ROCPRIM_400000_NS6detail17trampoline_kernelINS0_14default_configENS1_27scan_by_key_config_selectorIssEEZZNS1_16scan_by_key_implILNS1_25lookback_scan_determinismE0ELb1ES3_N6thrust23THRUST_200600_302600_NS6detail15normal_iteratorINS9_10device_ptrIsEEEESE_SE_sNS9_4plusIvEENS9_8equal_toIvEEsEE10hipError_tPvRmT2_T3_T4_T5_mT6_T7_P12ihipStream_tbENKUlT_T0_E_clISt17integral_constantIbLb1EESY_IbLb0EEEEDaSU_SV_EUlSU_E_NS1_11comp_targetILNS1_3genE8ELNS1_11target_archE1030ELNS1_3gpuE2ELNS1_3repE0EEENS1_30default_config_static_selectorELNS0_4arch9wavefront6targetE1EEEvT1_
    .private_segment_fixed_size: 0
    .sgpr_count:     4
    .sgpr_spill_count: 0
    .symbol:         _ZN7rocprim17ROCPRIM_400000_NS6detail17trampoline_kernelINS0_14default_configENS1_27scan_by_key_config_selectorIssEEZZNS1_16scan_by_key_implILNS1_25lookback_scan_determinismE0ELb1ES3_N6thrust23THRUST_200600_302600_NS6detail15normal_iteratorINS9_10device_ptrIsEEEESE_SE_sNS9_4plusIvEENS9_8equal_toIvEEsEE10hipError_tPvRmT2_T3_T4_T5_mT6_T7_P12ihipStream_tbENKUlT_T0_E_clISt17integral_constantIbLb1EESY_IbLb0EEEEDaSU_SV_EUlSU_E_NS1_11comp_targetILNS1_3genE8ELNS1_11target_archE1030ELNS1_3gpuE2ELNS1_3repE0EEENS1_30default_config_static_selectorELNS0_4arch9wavefront6targetE1EEEvT1_.kd
    .uniform_work_group_size: 1
    .uses_dynamic_stack: false
    .vgpr_count:     0
    .vgpr_spill_count: 0
    .wavefront_size: 64
  - .agpr_count:     0
    .args:
      - .offset:         0
        .size:           112
        .value_kind:     by_value
    .group_segment_fixed_size: 0
    .kernarg_segment_align: 8
    .kernarg_segment_size: 112
    .language:       OpenCL C
    .language_version:
      - 2
      - 0
    .max_flat_workgroup_size: 256
    .name:           _ZN7rocprim17ROCPRIM_400000_NS6detail17trampoline_kernelINS0_14default_configENS1_27scan_by_key_config_selectorIssEEZZNS1_16scan_by_key_implILNS1_25lookback_scan_determinismE0ELb1ES3_N6thrust23THRUST_200600_302600_NS6detail15normal_iteratorINS9_10device_ptrIsEEEESE_SE_sNS9_4plusIvEENS9_8equal_toIvEEsEE10hipError_tPvRmT2_T3_T4_T5_mT6_T7_P12ihipStream_tbENKUlT_T0_E_clISt17integral_constantIbLb0EESY_IbLb1EEEEDaSU_SV_EUlSU_E_NS1_11comp_targetILNS1_3genE0ELNS1_11target_archE4294967295ELNS1_3gpuE0ELNS1_3repE0EEENS1_30default_config_static_selectorELNS0_4arch9wavefront6targetE1EEEvT1_
    .private_segment_fixed_size: 0
    .sgpr_count:     4
    .sgpr_spill_count: 0
    .symbol:         _ZN7rocprim17ROCPRIM_400000_NS6detail17trampoline_kernelINS0_14default_configENS1_27scan_by_key_config_selectorIssEEZZNS1_16scan_by_key_implILNS1_25lookback_scan_determinismE0ELb1ES3_N6thrust23THRUST_200600_302600_NS6detail15normal_iteratorINS9_10device_ptrIsEEEESE_SE_sNS9_4plusIvEENS9_8equal_toIvEEsEE10hipError_tPvRmT2_T3_T4_T5_mT6_T7_P12ihipStream_tbENKUlT_T0_E_clISt17integral_constantIbLb0EESY_IbLb1EEEEDaSU_SV_EUlSU_E_NS1_11comp_targetILNS1_3genE0ELNS1_11target_archE4294967295ELNS1_3gpuE0ELNS1_3repE0EEENS1_30default_config_static_selectorELNS0_4arch9wavefront6targetE1EEEvT1_.kd
    .uniform_work_group_size: 1
    .uses_dynamic_stack: false
    .vgpr_count:     0
    .vgpr_spill_count: 0
    .wavefront_size: 64
  - .agpr_count:     0
    .args:
      - .offset:         0
        .size:           112
        .value_kind:     by_value
    .group_segment_fixed_size: 0
    .kernarg_segment_align: 8
    .kernarg_segment_size: 112
    .language:       OpenCL C
    .language_version:
      - 2
      - 0
    .max_flat_workgroup_size: 128
    .name:           _ZN7rocprim17ROCPRIM_400000_NS6detail17trampoline_kernelINS0_14default_configENS1_27scan_by_key_config_selectorIssEEZZNS1_16scan_by_key_implILNS1_25lookback_scan_determinismE0ELb1ES3_N6thrust23THRUST_200600_302600_NS6detail15normal_iteratorINS9_10device_ptrIsEEEESE_SE_sNS9_4plusIvEENS9_8equal_toIvEEsEE10hipError_tPvRmT2_T3_T4_T5_mT6_T7_P12ihipStream_tbENKUlT_T0_E_clISt17integral_constantIbLb0EESY_IbLb1EEEEDaSU_SV_EUlSU_E_NS1_11comp_targetILNS1_3genE10ELNS1_11target_archE1201ELNS1_3gpuE5ELNS1_3repE0EEENS1_30default_config_static_selectorELNS0_4arch9wavefront6targetE1EEEvT1_
    .private_segment_fixed_size: 0
    .sgpr_count:     4
    .sgpr_spill_count: 0
    .symbol:         _ZN7rocprim17ROCPRIM_400000_NS6detail17trampoline_kernelINS0_14default_configENS1_27scan_by_key_config_selectorIssEEZZNS1_16scan_by_key_implILNS1_25lookback_scan_determinismE0ELb1ES3_N6thrust23THRUST_200600_302600_NS6detail15normal_iteratorINS9_10device_ptrIsEEEESE_SE_sNS9_4plusIvEENS9_8equal_toIvEEsEE10hipError_tPvRmT2_T3_T4_T5_mT6_T7_P12ihipStream_tbENKUlT_T0_E_clISt17integral_constantIbLb0EESY_IbLb1EEEEDaSU_SV_EUlSU_E_NS1_11comp_targetILNS1_3genE10ELNS1_11target_archE1201ELNS1_3gpuE5ELNS1_3repE0EEENS1_30default_config_static_selectorELNS0_4arch9wavefront6targetE1EEEvT1_.kd
    .uniform_work_group_size: 1
    .uses_dynamic_stack: false
    .vgpr_count:     0
    .vgpr_spill_count: 0
    .wavefront_size: 64
  - .agpr_count:     0
    .args:
      - .offset:         0
        .size:           112
        .value_kind:     by_value
    .group_segment_fixed_size: 0
    .kernarg_segment_align: 8
    .kernarg_segment_size: 112
    .language:       OpenCL C
    .language_version:
      - 2
      - 0
    .max_flat_workgroup_size: 256
    .name:           _ZN7rocprim17ROCPRIM_400000_NS6detail17trampoline_kernelINS0_14default_configENS1_27scan_by_key_config_selectorIssEEZZNS1_16scan_by_key_implILNS1_25lookback_scan_determinismE0ELb1ES3_N6thrust23THRUST_200600_302600_NS6detail15normal_iteratorINS9_10device_ptrIsEEEESE_SE_sNS9_4plusIvEENS9_8equal_toIvEEsEE10hipError_tPvRmT2_T3_T4_T5_mT6_T7_P12ihipStream_tbENKUlT_T0_E_clISt17integral_constantIbLb0EESY_IbLb1EEEEDaSU_SV_EUlSU_E_NS1_11comp_targetILNS1_3genE5ELNS1_11target_archE942ELNS1_3gpuE9ELNS1_3repE0EEENS1_30default_config_static_selectorELNS0_4arch9wavefront6targetE1EEEvT1_
    .private_segment_fixed_size: 0
    .sgpr_count:     4
    .sgpr_spill_count: 0
    .symbol:         _ZN7rocprim17ROCPRIM_400000_NS6detail17trampoline_kernelINS0_14default_configENS1_27scan_by_key_config_selectorIssEEZZNS1_16scan_by_key_implILNS1_25lookback_scan_determinismE0ELb1ES3_N6thrust23THRUST_200600_302600_NS6detail15normal_iteratorINS9_10device_ptrIsEEEESE_SE_sNS9_4plusIvEENS9_8equal_toIvEEsEE10hipError_tPvRmT2_T3_T4_T5_mT6_T7_P12ihipStream_tbENKUlT_T0_E_clISt17integral_constantIbLb0EESY_IbLb1EEEEDaSU_SV_EUlSU_E_NS1_11comp_targetILNS1_3genE5ELNS1_11target_archE942ELNS1_3gpuE9ELNS1_3repE0EEENS1_30default_config_static_selectorELNS0_4arch9wavefront6targetE1EEEvT1_.kd
    .uniform_work_group_size: 1
    .uses_dynamic_stack: false
    .vgpr_count:     0
    .vgpr_spill_count: 0
    .wavefront_size: 64
  - .agpr_count:     0
    .args:
      - .offset:         0
        .size:           112
        .value_kind:     by_value
    .group_segment_fixed_size: 12288
    .kernarg_segment_align: 8
    .kernarg_segment_size: 112
    .language:       OpenCL C
    .language_version:
      - 2
      - 0
    .max_flat_workgroup_size: 256
    .name:           _ZN7rocprim17ROCPRIM_400000_NS6detail17trampoline_kernelINS0_14default_configENS1_27scan_by_key_config_selectorIssEEZZNS1_16scan_by_key_implILNS1_25lookback_scan_determinismE0ELb1ES3_N6thrust23THRUST_200600_302600_NS6detail15normal_iteratorINS9_10device_ptrIsEEEESE_SE_sNS9_4plusIvEENS9_8equal_toIvEEsEE10hipError_tPvRmT2_T3_T4_T5_mT6_T7_P12ihipStream_tbENKUlT_T0_E_clISt17integral_constantIbLb0EESY_IbLb1EEEEDaSU_SV_EUlSU_E_NS1_11comp_targetILNS1_3genE4ELNS1_11target_archE910ELNS1_3gpuE8ELNS1_3repE0EEENS1_30default_config_static_selectorELNS0_4arch9wavefront6targetE1EEEvT1_
    .private_segment_fixed_size: 0
    .sgpr_count:     77
    .sgpr_spill_count: 0
    .symbol:         _ZN7rocprim17ROCPRIM_400000_NS6detail17trampoline_kernelINS0_14default_configENS1_27scan_by_key_config_selectorIssEEZZNS1_16scan_by_key_implILNS1_25lookback_scan_determinismE0ELb1ES3_N6thrust23THRUST_200600_302600_NS6detail15normal_iteratorINS9_10device_ptrIsEEEESE_SE_sNS9_4plusIvEENS9_8equal_toIvEEsEE10hipError_tPvRmT2_T3_T4_T5_mT6_T7_P12ihipStream_tbENKUlT_T0_E_clISt17integral_constantIbLb0EESY_IbLb1EEEEDaSU_SV_EUlSU_E_NS1_11comp_targetILNS1_3genE4ELNS1_11target_archE910ELNS1_3gpuE8ELNS1_3repE0EEENS1_30default_config_static_selectorELNS0_4arch9wavefront6targetE1EEEvT1_.kd
    .uniform_work_group_size: 1
    .uses_dynamic_stack: false
    .vgpr_count:     60
    .vgpr_spill_count: 0
    .wavefront_size: 64
  - .agpr_count:     0
    .args:
      - .offset:         0
        .size:           112
        .value_kind:     by_value
    .group_segment_fixed_size: 0
    .kernarg_segment_align: 8
    .kernarg_segment_size: 112
    .language:       OpenCL C
    .language_version:
      - 2
      - 0
    .max_flat_workgroup_size: 256
    .name:           _ZN7rocprim17ROCPRIM_400000_NS6detail17trampoline_kernelINS0_14default_configENS1_27scan_by_key_config_selectorIssEEZZNS1_16scan_by_key_implILNS1_25lookback_scan_determinismE0ELb1ES3_N6thrust23THRUST_200600_302600_NS6detail15normal_iteratorINS9_10device_ptrIsEEEESE_SE_sNS9_4plusIvEENS9_8equal_toIvEEsEE10hipError_tPvRmT2_T3_T4_T5_mT6_T7_P12ihipStream_tbENKUlT_T0_E_clISt17integral_constantIbLb0EESY_IbLb1EEEEDaSU_SV_EUlSU_E_NS1_11comp_targetILNS1_3genE3ELNS1_11target_archE908ELNS1_3gpuE7ELNS1_3repE0EEENS1_30default_config_static_selectorELNS0_4arch9wavefront6targetE1EEEvT1_
    .private_segment_fixed_size: 0
    .sgpr_count:     4
    .sgpr_spill_count: 0
    .symbol:         _ZN7rocprim17ROCPRIM_400000_NS6detail17trampoline_kernelINS0_14default_configENS1_27scan_by_key_config_selectorIssEEZZNS1_16scan_by_key_implILNS1_25lookback_scan_determinismE0ELb1ES3_N6thrust23THRUST_200600_302600_NS6detail15normal_iteratorINS9_10device_ptrIsEEEESE_SE_sNS9_4plusIvEENS9_8equal_toIvEEsEE10hipError_tPvRmT2_T3_T4_T5_mT6_T7_P12ihipStream_tbENKUlT_T0_E_clISt17integral_constantIbLb0EESY_IbLb1EEEEDaSU_SV_EUlSU_E_NS1_11comp_targetILNS1_3genE3ELNS1_11target_archE908ELNS1_3gpuE7ELNS1_3repE0EEENS1_30default_config_static_selectorELNS0_4arch9wavefront6targetE1EEEvT1_.kd
    .uniform_work_group_size: 1
    .uses_dynamic_stack: false
    .vgpr_count:     0
    .vgpr_spill_count: 0
    .wavefront_size: 64
  - .agpr_count:     0
    .args:
      - .offset:         0
        .size:           112
        .value_kind:     by_value
    .group_segment_fixed_size: 0
    .kernarg_segment_align: 8
    .kernarg_segment_size: 112
    .language:       OpenCL C
    .language_version:
      - 2
      - 0
    .max_flat_workgroup_size: 64
    .name:           _ZN7rocprim17ROCPRIM_400000_NS6detail17trampoline_kernelINS0_14default_configENS1_27scan_by_key_config_selectorIssEEZZNS1_16scan_by_key_implILNS1_25lookback_scan_determinismE0ELb1ES3_N6thrust23THRUST_200600_302600_NS6detail15normal_iteratorINS9_10device_ptrIsEEEESE_SE_sNS9_4plusIvEENS9_8equal_toIvEEsEE10hipError_tPvRmT2_T3_T4_T5_mT6_T7_P12ihipStream_tbENKUlT_T0_E_clISt17integral_constantIbLb0EESY_IbLb1EEEEDaSU_SV_EUlSU_E_NS1_11comp_targetILNS1_3genE2ELNS1_11target_archE906ELNS1_3gpuE6ELNS1_3repE0EEENS1_30default_config_static_selectorELNS0_4arch9wavefront6targetE1EEEvT1_
    .private_segment_fixed_size: 0
    .sgpr_count:     4
    .sgpr_spill_count: 0
    .symbol:         _ZN7rocprim17ROCPRIM_400000_NS6detail17trampoline_kernelINS0_14default_configENS1_27scan_by_key_config_selectorIssEEZZNS1_16scan_by_key_implILNS1_25lookback_scan_determinismE0ELb1ES3_N6thrust23THRUST_200600_302600_NS6detail15normal_iteratorINS9_10device_ptrIsEEEESE_SE_sNS9_4plusIvEENS9_8equal_toIvEEsEE10hipError_tPvRmT2_T3_T4_T5_mT6_T7_P12ihipStream_tbENKUlT_T0_E_clISt17integral_constantIbLb0EESY_IbLb1EEEEDaSU_SV_EUlSU_E_NS1_11comp_targetILNS1_3genE2ELNS1_11target_archE906ELNS1_3gpuE6ELNS1_3repE0EEENS1_30default_config_static_selectorELNS0_4arch9wavefront6targetE1EEEvT1_.kd
    .uniform_work_group_size: 1
    .uses_dynamic_stack: false
    .vgpr_count:     0
    .vgpr_spill_count: 0
    .wavefront_size: 64
  - .agpr_count:     0
    .args:
      - .offset:         0
        .size:           112
        .value_kind:     by_value
    .group_segment_fixed_size: 0
    .kernarg_segment_align: 8
    .kernarg_segment_size: 112
    .language:       OpenCL C
    .language_version:
      - 2
      - 0
    .max_flat_workgroup_size: 256
    .name:           _ZN7rocprim17ROCPRIM_400000_NS6detail17trampoline_kernelINS0_14default_configENS1_27scan_by_key_config_selectorIssEEZZNS1_16scan_by_key_implILNS1_25lookback_scan_determinismE0ELb1ES3_N6thrust23THRUST_200600_302600_NS6detail15normal_iteratorINS9_10device_ptrIsEEEESE_SE_sNS9_4plusIvEENS9_8equal_toIvEEsEE10hipError_tPvRmT2_T3_T4_T5_mT6_T7_P12ihipStream_tbENKUlT_T0_E_clISt17integral_constantIbLb0EESY_IbLb1EEEEDaSU_SV_EUlSU_E_NS1_11comp_targetILNS1_3genE10ELNS1_11target_archE1200ELNS1_3gpuE4ELNS1_3repE0EEENS1_30default_config_static_selectorELNS0_4arch9wavefront6targetE1EEEvT1_
    .private_segment_fixed_size: 0
    .sgpr_count:     4
    .sgpr_spill_count: 0
    .symbol:         _ZN7rocprim17ROCPRIM_400000_NS6detail17trampoline_kernelINS0_14default_configENS1_27scan_by_key_config_selectorIssEEZZNS1_16scan_by_key_implILNS1_25lookback_scan_determinismE0ELb1ES3_N6thrust23THRUST_200600_302600_NS6detail15normal_iteratorINS9_10device_ptrIsEEEESE_SE_sNS9_4plusIvEENS9_8equal_toIvEEsEE10hipError_tPvRmT2_T3_T4_T5_mT6_T7_P12ihipStream_tbENKUlT_T0_E_clISt17integral_constantIbLb0EESY_IbLb1EEEEDaSU_SV_EUlSU_E_NS1_11comp_targetILNS1_3genE10ELNS1_11target_archE1200ELNS1_3gpuE4ELNS1_3repE0EEENS1_30default_config_static_selectorELNS0_4arch9wavefront6targetE1EEEvT1_.kd
    .uniform_work_group_size: 1
    .uses_dynamic_stack: false
    .vgpr_count:     0
    .vgpr_spill_count: 0
    .wavefront_size: 64
  - .agpr_count:     0
    .args:
      - .offset:         0
        .size:           112
        .value_kind:     by_value
    .group_segment_fixed_size: 0
    .kernarg_segment_align: 8
    .kernarg_segment_size: 112
    .language:       OpenCL C
    .language_version:
      - 2
      - 0
    .max_flat_workgroup_size: 256
    .name:           _ZN7rocprim17ROCPRIM_400000_NS6detail17trampoline_kernelINS0_14default_configENS1_27scan_by_key_config_selectorIssEEZZNS1_16scan_by_key_implILNS1_25lookback_scan_determinismE0ELb1ES3_N6thrust23THRUST_200600_302600_NS6detail15normal_iteratorINS9_10device_ptrIsEEEESE_SE_sNS9_4plusIvEENS9_8equal_toIvEEsEE10hipError_tPvRmT2_T3_T4_T5_mT6_T7_P12ihipStream_tbENKUlT_T0_E_clISt17integral_constantIbLb0EESY_IbLb1EEEEDaSU_SV_EUlSU_E_NS1_11comp_targetILNS1_3genE9ELNS1_11target_archE1100ELNS1_3gpuE3ELNS1_3repE0EEENS1_30default_config_static_selectorELNS0_4arch9wavefront6targetE1EEEvT1_
    .private_segment_fixed_size: 0
    .sgpr_count:     4
    .sgpr_spill_count: 0
    .symbol:         _ZN7rocprim17ROCPRIM_400000_NS6detail17trampoline_kernelINS0_14default_configENS1_27scan_by_key_config_selectorIssEEZZNS1_16scan_by_key_implILNS1_25lookback_scan_determinismE0ELb1ES3_N6thrust23THRUST_200600_302600_NS6detail15normal_iteratorINS9_10device_ptrIsEEEESE_SE_sNS9_4plusIvEENS9_8equal_toIvEEsEE10hipError_tPvRmT2_T3_T4_T5_mT6_T7_P12ihipStream_tbENKUlT_T0_E_clISt17integral_constantIbLb0EESY_IbLb1EEEEDaSU_SV_EUlSU_E_NS1_11comp_targetILNS1_3genE9ELNS1_11target_archE1100ELNS1_3gpuE3ELNS1_3repE0EEENS1_30default_config_static_selectorELNS0_4arch9wavefront6targetE1EEEvT1_.kd
    .uniform_work_group_size: 1
    .uses_dynamic_stack: false
    .vgpr_count:     0
    .vgpr_spill_count: 0
    .wavefront_size: 64
  - .agpr_count:     0
    .args:
      - .offset:         0
        .size:           112
        .value_kind:     by_value
    .group_segment_fixed_size: 0
    .kernarg_segment_align: 8
    .kernarg_segment_size: 112
    .language:       OpenCL C
    .language_version:
      - 2
      - 0
    .max_flat_workgroup_size: 64
    .name:           _ZN7rocprim17ROCPRIM_400000_NS6detail17trampoline_kernelINS0_14default_configENS1_27scan_by_key_config_selectorIssEEZZNS1_16scan_by_key_implILNS1_25lookback_scan_determinismE0ELb1ES3_N6thrust23THRUST_200600_302600_NS6detail15normal_iteratorINS9_10device_ptrIsEEEESE_SE_sNS9_4plusIvEENS9_8equal_toIvEEsEE10hipError_tPvRmT2_T3_T4_T5_mT6_T7_P12ihipStream_tbENKUlT_T0_E_clISt17integral_constantIbLb0EESY_IbLb1EEEEDaSU_SV_EUlSU_E_NS1_11comp_targetILNS1_3genE8ELNS1_11target_archE1030ELNS1_3gpuE2ELNS1_3repE0EEENS1_30default_config_static_selectorELNS0_4arch9wavefront6targetE1EEEvT1_
    .private_segment_fixed_size: 0
    .sgpr_count:     4
    .sgpr_spill_count: 0
    .symbol:         _ZN7rocprim17ROCPRIM_400000_NS6detail17trampoline_kernelINS0_14default_configENS1_27scan_by_key_config_selectorIssEEZZNS1_16scan_by_key_implILNS1_25lookback_scan_determinismE0ELb1ES3_N6thrust23THRUST_200600_302600_NS6detail15normal_iteratorINS9_10device_ptrIsEEEESE_SE_sNS9_4plusIvEENS9_8equal_toIvEEsEE10hipError_tPvRmT2_T3_T4_T5_mT6_T7_P12ihipStream_tbENKUlT_T0_E_clISt17integral_constantIbLb0EESY_IbLb1EEEEDaSU_SV_EUlSU_E_NS1_11comp_targetILNS1_3genE8ELNS1_11target_archE1030ELNS1_3gpuE2ELNS1_3repE0EEENS1_30default_config_static_selectorELNS0_4arch9wavefront6targetE1EEEvT1_.kd
    .uniform_work_group_size: 1
    .uses_dynamic_stack: false
    .vgpr_count:     0
    .vgpr_spill_count: 0
    .wavefront_size: 64
  - .agpr_count:     0
    .args:
      - .offset:         0
        .size:           112
        .value_kind:     by_value
    .group_segment_fixed_size: 0
    .kernarg_segment_align: 8
    .kernarg_segment_size: 112
    .language:       OpenCL C
    .language_version:
      - 2
      - 0
    .max_flat_workgroup_size: 256
    .name:           _ZN7rocprim17ROCPRIM_400000_NS6detail17trampoline_kernelINS0_14default_configENS1_27scan_by_key_config_selectorIssEEZZNS1_16scan_by_key_implILNS1_25lookback_scan_determinismE0ELb1ES3_N6thrust23THRUST_200600_302600_NS6detail15normal_iteratorINS9_10device_ptrIsEEEESE_SE_sNS9_10multipliesIsEENS9_8equal_toIsEEsEE10hipError_tPvRmT2_T3_T4_T5_mT6_T7_P12ihipStream_tbENKUlT_T0_E_clISt17integral_constantIbLb0EESZ_EEDaSU_SV_EUlSU_E_NS1_11comp_targetILNS1_3genE0ELNS1_11target_archE4294967295ELNS1_3gpuE0ELNS1_3repE0EEENS1_30default_config_static_selectorELNS0_4arch9wavefront6targetE1EEEvT1_
    .private_segment_fixed_size: 0
    .sgpr_count:     4
    .sgpr_spill_count: 0
    .symbol:         _ZN7rocprim17ROCPRIM_400000_NS6detail17trampoline_kernelINS0_14default_configENS1_27scan_by_key_config_selectorIssEEZZNS1_16scan_by_key_implILNS1_25lookback_scan_determinismE0ELb1ES3_N6thrust23THRUST_200600_302600_NS6detail15normal_iteratorINS9_10device_ptrIsEEEESE_SE_sNS9_10multipliesIsEENS9_8equal_toIsEEsEE10hipError_tPvRmT2_T3_T4_T5_mT6_T7_P12ihipStream_tbENKUlT_T0_E_clISt17integral_constantIbLb0EESZ_EEDaSU_SV_EUlSU_E_NS1_11comp_targetILNS1_3genE0ELNS1_11target_archE4294967295ELNS1_3gpuE0ELNS1_3repE0EEENS1_30default_config_static_selectorELNS0_4arch9wavefront6targetE1EEEvT1_.kd
    .uniform_work_group_size: 1
    .uses_dynamic_stack: false
    .vgpr_count:     0
    .vgpr_spill_count: 0
    .wavefront_size: 64
  - .agpr_count:     0
    .args:
      - .offset:         0
        .size:           112
        .value_kind:     by_value
    .group_segment_fixed_size: 0
    .kernarg_segment_align: 8
    .kernarg_segment_size: 112
    .language:       OpenCL C
    .language_version:
      - 2
      - 0
    .max_flat_workgroup_size: 128
    .name:           _ZN7rocprim17ROCPRIM_400000_NS6detail17trampoline_kernelINS0_14default_configENS1_27scan_by_key_config_selectorIssEEZZNS1_16scan_by_key_implILNS1_25lookback_scan_determinismE0ELb1ES3_N6thrust23THRUST_200600_302600_NS6detail15normal_iteratorINS9_10device_ptrIsEEEESE_SE_sNS9_10multipliesIsEENS9_8equal_toIsEEsEE10hipError_tPvRmT2_T3_T4_T5_mT6_T7_P12ihipStream_tbENKUlT_T0_E_clISt17integral_constantIbLb0EESZ_EEDaSU_SV_EUlSU_E_NS1_11comp_targetILNS1_3genE10ELNS1_11target_archE1201ELNS1_3gpuE5ELNS1_3repE0EEENS1_30default_config_static_selectorELNS0_4arch9wavefront6targetE1EEEvT1_
    .private_segment_fixed_size: 0
    .sgpr_count:     4
    .sgpr_spill_count: 0
    .symbol:         _ZN7rocprim17ROCPRIM_400000_NS6detail17trampoline_kernelINS0_14default_configENS1_27scan_by_key_config_selectorIssEEZZNS1_16scan_by_key_implILNS1_25lookback_scan_determinismE0ELb1ES3_N6thrust23THRUST_200600_302600_NS6detail15normal_iteratorINS9_10device_ptrIsEEEESE_SE_sNS9_10multipliesIsEENS9_8equal_toIsEEsEE10hipError_tPvRmT2_T3_T4_T5_mT6_T7_P12ihipStream_tbENKUlT_T0_E_clISt17integral_constantIbLb0EESZ_EEDaSU_SV_EUlSU_E_NS1_11comp_targetILNS1_3genE10ELNS1_11target_archE1201ELNS1_3gpuE5ELNS1_3repE0EEENS1_30default_config_static_selectorELNS0_4arch9wavefront6targetE1EEEvT1_.kd
    .uniform_work_group_size: 1
    .uses_dynamic_stack: false
    .vgpr_count:     0
    .vgpr_spill_count: 0
    .wavefront_size: 64
  - .agpr_count:     0
    .args:
      - .offset:         0
        .size:           112
        .value_kind:     by_value
    .group_segment_fixed_size: 0
    .kernarg_segment_align: 8
    .kernarg_segment_size: 112
    .language:       OpenCL C
    .language_version:
      - 2
      - 0
    .max_flat_workgroup_size: 256
    .name:           _ZN7rocprim17ROCPRIM_400000_NS6detail17trampoline_kernelINS0_14default_configENS1_27scan_by_key_config_selectorIssEEZZNS1_16scan_by_key_implILNS1_25lookback_scan_determinismE0ELb1ES3_N6thrust23THRUST_200600_302600_NS6detail15normal_iteratorINS9_10device_ptrIsEEEESE_SE_sNS9_10multipliesIsEENS9_8equal_toIsEEsEE10hipError_tPvRmT2_T3_T4_T5_mT6_T7_P12ihipStream_tbENKUlT_T0_E_clISt17integral_constantIbLb0EESZ_EEDaSU_SV_EUlSU_E_NS1_11comp_targetILNS1_3genE5ELNS1_11target_archE942ELNS1_3gpuE9ELNS1_3repE0EEENS1_30default_config_static_selectorELNS0_4arch9wavefront6targetE1EEEvT1_
    .private_segment_fixed_size: 0
    .sgpr_count:     4
    .sgpr_spill_count: 0
    .symbol:         _ZN7rocprim17ROCPRIM_400000_NS6detail17trampoline_kernelINS0_14default_configENS1_27scan_by_key_config_selectorIssEEZZNS1_16scan_by_key_implILNS1_25lookback_scan_determinismE0ELb1ES3_N6thrust23THRUST_200600_302600_NS6detail15normal_iteratorINS9_10device_ptrIsEEEESE_SE_sNS9_10multipliesIsEENS9_8equal_toIsEEsEE10hipError_tPvRmT2_T3_T4_T5_mT6_T7_P12ihipStream_tbENKUlT_T0_E_clISt17integral_constantIbLb0EESZ_EEDaSU_SV_EUlSU_E_NS1_11comp_targetILNS1_3genE5ELNS1_11target_archE942ELNS1_3gpuE9ELNS1_3repE0EEENS1_30default_config_static_selectorELNS0_4arch9wavefront6targetE1EEEvT1_.kd
    .uniform_work_group_size: 1
    .uses_dynamic_stack: false
    .vgpr_count:     0
    .vgpr_spill_count: 0
    .wavefront_size: 64
  - .agpr_count:     0
    .args:
      - .offset:         0
        .size:           112
        .value_kind:     by_value
    .group_segment_fixed_size: 12288
    .kernarg_segment_align: 8
    .kernarg_segment_size: 112
    .language:       OpenCL C
    .language_version:
      - 2
      - 0
    .max_flat_workgroup_size: 256
    .name:           _ZN7rocprim17ROCPRIM_400000_NS6detail17trampoline_kernelINS0_14default_configENS1_27scan_by_key_config_selectorIssEEZZNS1_16scan_by_key_implILNS1_25lookback_scan_determinismE0ELb1ES3_N6thrust23THRUST_200600_302600_NS6detail15normal_iteratorINS9_10device_ptrIsEEEESE_SE_sNS9_10multipliesIsEENS9_8equal_toIsEEsEE10hipError_tPvRmT2_T3_T4_T5_mT6_T7_P12ihipStream_tbENKUlT_T0_E_clISt17integral_constantIbLb0EESZ_EEDaSU_SV_EUlSU_E_NS1_11comp_targetILNS1_3genE4ELNS1_11target_archE910ELNS1_3gpuE8ELNS1_3repE0EEENS1_30default_config_static_selectorELNS0_4arch9wavefront6targetE1EEEvT1_
    .private_segment_fixed_size: 0
    .sgpr_count:     79
    .sgpr_spill_count: 0
    .symbol:         _ZN7rocprim17ROCPRIM_400000_NS6detail17trampoline_kernelINS0_14default_configENS1_27scan_by_key_config_selectorIssEEZZNS1_16scan_by_key_implILNS1_25lookback_scan_determinismE0ELb1ES3_N6thrust23THRUST_200600_302600_NS6detail15normal_iteratorINS9_10device_ptrIsEEEESE_SE_sNS9_10multipliesIsEENS9_8equal_toIsEEsEE10hipError_tPvRmT2_T3_T4_T5_mT6_T7_P12ihipStream_tbENKUlT_T0_E_clISt17integral_constantIbLb0EESZ_EEDaSU_SV_EUlSU_E_NS1_11comp_targetILNS1_3genE4ELNS1_11target_archE910ELNS1_3gpuE8ELNS1_3repE0EEENS1_30default_config_static_selectorELNS0_4arch9wavefront6targetE1EEEvT1_.kd
    .uniform_work_group_size: 1
    .uses_dynamic_stack: false
    .vgpr_count:     58
    .vgpr_spill_count: 0
    .wavefront_size: 64
  - .agpr_count:     0
    .args:
      - .offset:         0
        .size:           112
        .value_kind:     by_value
    .group_segment_fixed_size: 0
    .kernarg_segment_align: 8
    .kernarg_segment_size: 112
    .language:       OpenCL C
    .language_version:
      - 2
      - 0
    .max_flat_workgroup_size: 256
    .name:           _ZN7rocprim17ROCPRIM_400000_NS6detail17trampoline_kernelINS0_14default_configENS1_27scan_by_key_config_selectorIssEEZZNS1_16scan_by_key_implILNS1_25lookback_scan_determinismE0ELb1ES3_N6thrust23THRUST_200600_302600_NS6detail15normal_iteratorINS9_10device_ptrIsEEEESE_SE_sNS9_10multipliesIsEENS9_8equal_toIsEEsEE10hipError_tPvRmT2_T3_T4_T5_mT6_T7_P12ihipStream_tbENKUlT_T0_E_clISt17integral_constantIbLb0EESZ_EEDaSU_SV_EUlSU_E_NS1_11comp_targetILNS1_3genE3ELNS1_11target_archE908ELNS1_3gpuE7ELNS1_3repE0EEENS1_30default_config_static_selectorELNS0_4arch9wavefront6targetE1EEEvT1_
    .private_segment_fixed_size: 0
    .sgpr_count:     4
    .sgpr_spill_count: 0
    .symbol:         _ZN7rocprim17ROCPRIM_400000_NS6detail17trampoline_kernelINS0_14default_configENS1_27scan_by_key_config_selectorIssEEZZNS1_16scan_by_key_implILNS1_25lookback_scan_determinismE0ELb1ES3_N6thrust23THRUST_200600_302600_NS6detail15normal_iteratorINS9_10device_ptrIsEEEESE_SE_sNS9_10multipliesIsEENS9_8equal_toIsEEsEE10hipError_tPvRmT2_T3_T4_T5_mT6_T7_P12ihipStream_tbENKUlT_T0_E_clISt17integral_constantIbLb0EESZ_EEDaSU_SV_EUlSU_E_NS1_11comp_targetILNS1_3genE3ELNS1_11target_archE908ELNS1_3gpuE7ELNS1_3repE0EEENS1_30default_config_static_selectorELNS0_4arch9wavefront6targetE1EEEvT1_.kd
    .uniform_work_group_size: 1
    .uses_dynamic_stack: false
    .vgpr_count:     0
    .vgpr_spill_count: 0
    .wavefront_size: 64
  - .agpr_count:     0
    .args:
      - .offset:         0
        .size:           112
        .value_kind:     by_value
    .group_segment_fixed_size: 0
    .kernarg_segment_align: 8
    .kernarg_segment_size: 112
    .language:       OpenCL C
    .language_version:
      - 2
      - 0
    .max_flat_workgroup_size: 64
    .name:           _ZN7rocprim17ROCPRIM_400000_NS6detail17trampoline_kernelINS0_14default_configENS1_27scan_by_key_config_selectorIssEEZZNS1_16scan_by_key_implILNS1_25lookback_scan_determinismE0ELb1ES3_N6thrust23THRUST_200600_302600_NS6detail15normal_iteratorINS9_10device_ptrIsEEEESE_SE_sNS9_10multipliesIsEENS9_8equal_toIsEEsEE10hipError_tPvRmT2_T3_T4_T5_mT6_T7_P12ihipStream_tbENKUlT_T0_E_clISt17integral_constantIbLb0EESZ_EEDaSU_SV_EUlSU_E_NS1_11comp_targetILNS1_3genE2ELNS1_11target_archE906ELNS1_3gpuE6ELNS1_3repE0EEENS1_30default_config_static_selectorELNS0_4arch9wavefront6targetE1EEEvT1_
    .private_segment_fixed_size: 0
    .sgpr_count:     4
    .sgpr_spill_count: 0
    .symbol:         _ZN7rocprim17ROCPRIM_400000_NS6detail17trampoline_kernelINS0_14default_configENS1_27scan_by_key_config_selectorIssEEZZNS1_16scan_by_key_implILNS1_25lookback_scan_determinismE0ELb1ES3_N6thrust23THRUST_200600_302600_NS6detail15normal_iteratorINS9_10device_ptrIsEEEESE_SE_sNS9_10multipliesIsEENS9_8equal_toIsEEsEE10hipError_tPvRmT2_T3_T4_T5_mT6_T7_P12ihipStream_tbENKUlT_T0_E_clISt17integral_constantIbLb0EESZ_EEDaSU_SV_EUlSU_E_NS1_11comp_targetILNS1_3genE2ELNS1_11target_archE906ELNS1_3gpuE6ELNS1_3repE0EEENS1_30default_config_static_selectorELNS0_4arch9wavefront6targetE1EEEvT1_.kd
    .uniform_work_group_size: 1
    .uses_dynamic_stack: false
    .vgpr_count:     0
    .vgpr_spill_count: 0
    .wavefront_size: 64
  - .agpr_count:     0
    .args:
      - .offset:         0
        .size:           112
        .value_kind:     by_value
    .group_segment_fixed_size: 0
    .kernarg_segment_align: 8
    .kernarg_segment_size: 112
    .language:       OpenCL C
    .language_version:
      - 2
      - 0
    .max_flat_workgroup_size: 256
    .name:           _ZN7rocprim17ROCPRIM_400000_NS6detail17trampoline_kernelINS0_14default_configENS1_27scan_by_key_config_selectorIssEEZZNS1_16scan_by_key_implILNS1_25lookback_scan_determinismE0ELb1ES3_N6thrust23THRUST_200600_302600_NS6detail15normal_iteratorINS9_10device_ptrIsEEEESE_SE_sNS9_10multipliesIsEENS9_8equal_toIsEEsEE10hipError_tPvRmT2_T3_T4_T5_mT6_T7_P12ihipStream_tbENKUlT_T0_E_clISt17integral_constantIbLb0EESZ_EEDaSU_SV_EUlSU_E_NS1_11comp_targetILNS1_3genE10ELNS1_11target_archE1200ELNS1_3gpuE4ELNS1_3repE0EEENS1_30default_config_static_selectorELNS0_4arch9wavefront6targetE1EEEvT1_
    .private_segment_fixed_size: 0
    .sgpr_count:     4
    .sgpr_spill_count: 0
    .symbol:         _ZN7rocprim17ROCPRIM_400000_NS6detail17trampoline_kernelINS0_14default_configENS1_27scan_by_key_config_selectorIssEEZZNS1_16scan_by_key_implILNS1_25lookback_scan_determinismE0ELb1ES3_N6thrust23THRUST_200600_302600_NS6detail15normal_iteratorINS9_10device_ptrIsEEEESE_SE_sNS9_10multipliesIsEENS9_8equal_toIsEEsEE10hipError_tPvRmT2_T3_T4_T5_mT6_T7_P12ihipStream_tbENKUlT_T0_E_clISt17integral_constantIbLb0EESZ_EEDaSU_SV_EUlSU_E_NS1_11comp_targetILNS1_3genE10ELNS1_11target_archE1200ELNS1_3gpuE4ELNS1_3repE0EEENS1_30default_config_static_selectorELNS0_4arch9wavefront6targetE1EEEvT1_.kd
    .uniform_work_group_size: 1
    .uses_dynamic_stack: false
    .vgpr_count:     0
    .vgpr_spill_count: 0
    .wavefront_size: 64
  - .agpr_count:     0
    .args:
      - .offset:         0
        .size:           112
        .value_kind:     by_value
    .group_segment_fixed_size: 0
    .kernarg_segment_align: 8
    .kernarg_segment_size: 112
    .language:       OpenCL C
    .language_version:
      - 2
      - 0
    .max_flat_workgroup_size: 256
    .name:           _ZN7rocprim17ROCPRIM_400000_NS6detail17trampoline_kernelINS0_14default_configENS1_27scan_by_key_config_selectorIssEEZZNS1_16scan_by_key_implILNS1_25lookback_scan_determinismE0ELb1ES3_N6thrust23THRUST_200600_302600_NS6detail15normal_iteratorINS9_10device_ptrIsEEEESE_SE_sNS9_10multipliesIsEENS9_8equal_toIsEEsEE10hipError_tPvRmT2_T3_T4_T5_mT6_T7_P12ihipStream_tbENKUlT_T0_E_clISt17integral_constantIbLb0EESZ_EEDaSU_SV_EUlSU_E_NS1_11comp_targetILNS1_3genE9ELNS1_11target_archE1100ELNS1_3gpuE3ELNS1_3repE0EEENS1_30default_config_static_selectorELNS0_4arch9wavefront6targetE1EEEvT1_
    .private_segment_fixed_size: 0
    .sgpr_count:     4
    .sgpr_spill_count: 0
    .symbol:         _ZN7rocprim17ROCPRIM_400000_NS6detail17trampoline_kernelINS0_14default_configENS1_27scan_by_key_config_selectorIssEEZZNS1_16scan_by_key_implILNS1_25lookback_scan_determinismE0ELb1ES3_N6thrust23THRUST_200600_302600_NS6detail15normal_iteratorINS9_10device_ptrIsEEEESE_SE_sNS9_10multipliesIsEENS9_8equal_toIsEEsEE10hipError_tPvRmT2_T3_T4_T5_mT6_T7_P12ihipStream_tbENKUlT_T0_E_clISt17integral_constantIbLb0EESZ_EEDaSU_SV_EUlSU_E_NS1_11comp_targetILNS1_3genE9ELNS1_11target_archE1100ELNS1_3gpuE3ELNS1_3repE0EEENS1_30default_config_static_selectorELNS0_4arch9wavefront6targetE1EEEvT1_.kd
    .uniform_work_group_size: 1
    .uses_dynamic_stack: false
    .vgpr_count:     0
    .vgpr_spill_count: 0
    .wavefront_size: 64
  - .agpr_count:     0
    .args:
      - .offset:         0
        .size:           112
        .value_kind:     by_value
    .group_segment_fixed_size: 0
    .kernarg_segment_align: 8
    .kernarg_segment_size: 112
    .language:       OpenCL C
    .language_version:
      - 2
      - 0
    .max_flat_workgroup_size: 64
    .name:           _ZN7rocprim17ROCPRIM_400000_NS6detail17trampoline_kernelINS0_14default_configENS1_27scan_by_key_config_selectorIssEEZZNS1_16scan_by_key_implILNS1_25lookback_scan_determinismE0ELb1ES3_N6thrust23THRUST_200600_302600_NS6detail15normal_iteratorINS9_10device_ptrIsEEEESE_SE_sNS9_10multipliesIsEENS9_8equal_toIsEEsEE10hipError_tPvRmT2_T3_T4_T5_mT6_T7_P12ihipStream_tbENKUlT_T0_E_clISt17integral_constantIbLb0EESZ_EEDaSU_SV_EUlSU_E_NS1_11comp_targetILNS1_3genE8ELNS1_11target_archE1030ELNS1_3gpuE2ELNS1_3repE0EEENS1_30default_config_static_selectorELNS0_4arch9wavefront6targetE1EEEvT1_
    .private_segment_fixed_size: 0
    .sgpr_count:     4
    .sgpr_spill_count: 0
    .symbol:         _ZN7rocprim17ROCPRIM_400000_NS6detail17trampoline_kernelINS0_14default_configENS1_27scan_by_key_config_selectorIssEEZZNS1_16scan_by_key_implILNS1_25lookback_scan_determinismE0ELb1ES3_N6thrust23THRUST_200600_302600_NS6detail15normal_iteratorINS9_10device_ptrIsEEEESE_SE_sNS9_10multipliesIsEENS9_8equal_toIsEEsEE10hipError_tPvRmT2_T3_T4_T5_mT6_T7_P12ihipStream_tbENKUlT_T0_E_clISt17integral_constantIbLb0EESZ_EEDaSU_SV_EUlSU_E_NS1_11comp_targetILNS1_3genE8ELNS1_11target_archE1030ELNS1_3gpuE2ELNS1_3repE0EEENS1_30default_config_static_selectorELNS0_4arch9wavefront6targetE1EEEvT1_.kd
    .uniform_work_group_size: 1
    .uses_dynamic_stack: false
    .vgpr_count:     0
    .vgpr_spill_count: 0
    .wavefront_size: 64
  - .agpr_count:     0
    .args:
      - .offset:         0
        .size:           112
        .value_kind:     by_value
    .group_segment_fixed_size: 0
    .kernarg_segment_align: 8
    .kernarg_segment_size: 112
    .language:       OpenCL C
    .language_version:
      - 2
      - 0
    .max_flat_workgroup_size: 256
    .name:           _ZN7rocprim17ROCPRIM_400000_NS6detail17trampoline_kernelINS0_14default_configENS1_27scan_by_key_config_selectorIssEEZZNS1_16scan_by_key_implILNS1_25lookback_scan_determinismE0ELb1ES3_N6thrust23THRUST_200600_302600_NS6detail15normal_iteratorINS9_10device_ptrIsEEEESE_SE_sNS9_10multipliesIsEENS9_8equal_toIsEEsEE10hipError_tPvRmT2_T3_T4_T5_mT6_T7_P12ihipStream_tbENKUlT_T0_E_clISt17integral_constantIbLb1EESZ_EEDaSU_SV_EUlSU_E_NS1_11comp_targetILNS1_3genE0ELNS1_11target_archE4294967295ELNS1_3gpuE0ELNS1_3repE0EEENS1_30default_config_static_selectorELNS0_4arch9wavefront6targetE1EEEvT1_
    .private_segment_fixed_size: 0
    .sgpr_count:     4
    .sgpr_spill_count: 0
    .symbol:         _ZN7rocprim17ROCPRIM_400000_NS6detail17trampoline_kernelINS0_14default_configENS1_27scan_by_key_config_selectorIssEEZZNS1_16scan_by_key_implILNS1_25lookback_scan_determinismE0ELb1ES3_N6thrust23THRUST_200600_302600_NS6detail15normal_iteratorINS9_10device_ptrIsEEEESE_SE_sNS9_10multipliesIsEENS9_8equal_toIsEEsEE10hipError_tPvRmT2_T3_T4_T5_mT6_T7_P12ihipStream_tbENKUlT_T0_E_clISt17integral_constantIbLb1EESZ_EEDaSU_SV_EUlSU_E_NS1_11comp_targetILNS1_3genE0ELNS1_11target_archE4294967295ELNS1_3gpuE0ELNS1_3repE0EEENS1_30default_config_static_selectorELNS0_4arch9wavefront6targetE1EEEvT1_.kd
    .uniform_work_group_size: 1
    .uses_dynamic_stack: false
    .vgpr_count:     0
    .vgpr_spill_count: 0
    .wavefront_size: 64
  - .agpr_count:     0
    .args:
      - .offset:         0
        .size:           112
        .value_kind:     by_value
    .group_segment_fixed_size: 0
    .kernarg_segment_align: 8
    .kernarg_segment_size: 112
    .language:       OpenCL C
    .language_version:
      - 2
      - 0
    .max_flat_workgroup_size: 128
    .name:           _ZN7rocprim17ROCPRIM_400000_NS6detail17trampoline_kernelINS0_14default_configENS1_27scan_by_key_config_selectorIssEEZZNS1_16scan_by_key_implILNS1_25lookback_scan_determinismE0ELb1ES3_N6thrust23THRUST_200600_302600_NS6detail15normal_iteratorINS9_10device_ptrIsEEEESE_SE_sNS9_10multipliesIsEENS9_8equal_toIsEEsEE10hipError_tPvRmT2_T3_T4_T5_mT6_T7_P12ihipStream_tbENKUlT_T0_E_clISt17integral_constantIbLb1EESZ_EEDaSU_SV_EUlSU_E_NS1_11comp_targetILNS1_3genE10ELNS1_11target_archE1201ELNS1_3gpuE5ELNS1_3repE0EEENS1_30default_config_static_selectorELNS0_4arch9wavefront6targetE1EEEvT1_
    .private_segment_fixed_size: 0
    .sgpr_count:     4
    .sgpr_spill_count: 0
    .symbol:         _ZN7rocprim17ROCPRIM_400000_NS6detail17trampoline_kernelINS0_14default_configENS1_27scan_by_key_config_selectorIssEEZZNS1_16scan_by_key_implILNS1_25lookback_scan_determinismE0ELb1ES3_N6thrust23THRUST_200600_302600_NS6detail15normal_iteratorINS9_10device_ptrIsEEEESE_SE_sNS9_10multipliesIsEENS9_8equal_toIsEEsEE10hipError_tPvRmT2_T3_T4_T5_mT6_T7_P12ihipStream_tbENKUlT_T0_E_clISt17integral_constantIbLb1EESZ_EEDaSU_SV_EUlSU_E_NS1_11comp_targetILNS1_3genE10ELNS1_11target_archE1201ELNS1_3gpuE5ELNS1_3repE0EEENS1_30default_config_static_selectorELNS0_4arch9wavefront6targetE1EEEvT1_.kd
    .uniform_work_group_size: 1
    .uses_dynamic_stack: false
    .vgpr_count:     0
    .vgpr_spill_count: 0
    .wavefront_size: 64
  - .agpr_count:     0
    .args:
      - .offset:         0
        .size:           112
        .value_kind:     by_value
    .group_segment_fixed_size: 0
    .kernarg_segment_align: 8
    .kernarg_segment_size: 112
    .language:       OpenCL C
    .language_version:
      - 2
      - 0
    .max_flat_workgroup_size: 256
    .name:           _ZN7rocprim17ROCPRIM_400000_NS6detail17trampoline_kernelINS0_14default_configENS1_27scan_by_key_config_selectorIssEEZZNS1_16scan_by_key_implILNS1_25lookback_scan_determinismE0ELb1ES3_N6thrust23THRUST_200600_302600_NS6detail15normal_iteratorINS9_10device_ptrIsEEEESE_SE_sNS9_10multipliesIsEENS9_8equal_toIsEEsEE10hipError_tPvRmT2_T3_T4_T5_mT6_T7_P12ihipStream_tbENKUlT_T0_E_clISt17integral_constantIbLb1EESZ_EEDaSU_SV_EUlSU_E_NS1_11comp_targetILNS1_3genE5ELNS1_11target_archE942ELNS1_3gpuE9ELNS1_3repE0EEENS1_30default_config_static_selectorELNS0_4arch9wavefront6targetE1EEEvT1_
    .private_segment_fixed_size: 0
    .sgpr_count:     4
    .sgpr_spill_count: 0
    .symbol:         _ZN7rocprim17ROCPRIM_400000_NS6detail17trampoline_kernelINS0_14default_configENS1_27scan_by_key_config_selectorIssEEZZNS1_16scan_by_key_implILNS1_25lookback_scan_determinismE0ELb1ES3_N6thrust23THRUST_200600_302600_NS6detail15normal_iteratorINS9_10device_ptrIsEEEESE_SE_sNS9_10multipliesIsEENS9_8equal_toIsEEsEE10hipError_tPvRmT2_T3_T4_T5_mT6_T7_P12ihipStream_tbENKUlT_T0_E_clISt17integral_constantIbLb1EESZ_EEDaSU_SV_EUlSU_E_NS1_11comp_targetILNS1_3genE5ELNS1_11target_archE942ELNS1_3gpuE9ELNS1_3repE0EEENS1_30default_config_static_selectorELNS0_4arch9wavefront6targetE1EEEvT1_.kd
    .uniform_work_group_size: 1
    .uses_dynamic_stack: false
    .vgpr_count:     0
    .vgpr_spill_count: 0
    .wavefront_size: 64
  - .agpr_count:     0
    .args:
      - .offset:         0
        .size:           112
        .value_kind:     by_value
    .group_segment_fixed_size: 12288
    .kernarg_segment_align: 8
    .kernarg_segment_size: 112
    .language:       OpenCL C
    .language_version:
      - 2
      - 0
    .max_flat_workgroup_size: 256
    .name:           _ZN7rocprim17ROCPRIM_400000_NS6detail17trampoline_kernelINS0_14default_configENS1_27scan_by_key_config_selectorIssEEZZNS1_16scan_by_key_implILNS1_25lookback_scan_determinismE0ELb1ES3_N6thrust23THRUST_200600_302600_NS6detail15normal_iteratorINS9_10device_ptrIsEEEESE_SE_sNS9_10multipliesIsEENS9_8equal_toIsEEsEE10hipError_tPvRmT2_T3_T4_T5_mT6_T7_P12ihipStream_tbENKUlT_T0_E_clISt17integral_constantIbLb1EESZ_EEDaSU_SV_EUlSU_E_NS1_11comp_targetILNS1_3genE4ELNS1_11target_archE910ELNS1_3gpuE8ELNS1_3repE0EEENS1_30default_config_static_selectorELNS0_4arch9wavefront6targetE1EEEvT1_
    .private_segment_fixed_size: 0
    .sgpr_count:     78
    .sgpr_spill_count: 0
    .symbol:         _ZN7rocprim17ROCPRIM_400000_NS6detail17trampoline_kernelINS0_14default_configENS1_27scan_by_key_config_selectorIssEEZZNS1_16scan_by_key_implILNS1_25lookback_scan_determinismE0ELb1ES3_N6thrust23THRUST_200600_302600_NS6detail15normal_iteratorINS9_10device_ptrIsEEEESE_SE_sNS9_10multipliesIsEENS9_8equal_toIsEEsEE10hipError_tPvRmT2_T3_T4_T5_mT6_T7_P12ihipStream_tbENKUlT_T0_E_clISt17integral_constantIbLb1EESZ_EEDaSU_SV_EUlSU_E_NS1_11comp_targetILNS1_3genE4ELNS1_11target_archE910ELNS1_3gpuE8ELNS1_3repE0EEENS1_30default_config_static_selectorELNS0_4arch9wavefront6targetE1EEEvT1_.kd
    .uniform_work_group_size: 1
    .uses_dynamic_stack: false
    .vgpr_count:     60
    .vgpr_spill_count: 0
    .wavefront_size: 64
  - .agpr_count:     0
    .args:
      - .offset:         0
        .size:           112
        .value_kind:     by_value
    .group_segment_fixed_size: 0
    .kernarg_segment_align: 8
    .kernarg_segment_size: 112
    .language:       OpenCL C
    .language_version:
      - 2
      - 0
    .max_flat_workgroup_size: 256
    .name:           _ZN7rocprim17ROCPRIM_400000_NS6detail17trampoline_kernelINS0_14default_configENS1_27scan_by_key_config_selectorIssEEZZNS1_16scan_by_key_implILNS1_25lookback_scan_determinismE0ELb1ES3_N6thrust23THRUST_200600_302600_NS6detail15normal_iteratorINS9_10device_ptrIsEEEESE_SE_sNS9_10multipliesIsEENS9_8equal_toIsEEsEE10hipError_tPvRmT2_T3_T4_T5_mT6_T7_P12ihipStream_tbENKUlT_T0_E_clISt17integral_constantIbLb1EESZ_EEDaSU_SV_EUlSU_E_NS1_11comp_targetILNS1_3genE3ELNS1_11target_archE908ELNS1_3gpuE7ELNS1_3repE0EEENS1_30default_config_static_selectorELNS0_4arch9wavefront6targetE1EEEvT1_
    .private_segment_fixed_size: 0
    .sgpr_count:     4
    .sgpr_spill_count: 0
    .symbol:         _ZN7rocprim17ROCPRIM_400000_NS6detail17trampoline_kernelINS0_14default_configENS1_27scan_by_key_config_selectorIssEEZZNS1_16scan_by_key_implILNS1_25lookback_scan_determinismE0ELb1ES3_N6thrust23THRUST_200600_302600_NS6detail15normal_iteratorINS9_10device_ptrIsEEEESE_SE_sNS9_10multipliesIsEENS9_8equal_toIsEEsEE10hipError_tPvRmT2_T3_T4_T5_mT6_T7_P12ihipStream_tbENKUlT_T0_E_clISt17integral_constantIbLb1EESZ_EEDaSU_SV_EUlSU_E_NS1_11comp_targetILNS1_3genE3ELNS1_11target_archE908ELNS1_3gpuE7ELNS1_3repE0EEENS1_30default_config_static_selectorELNS0_4arch9wavefront6targetE1EEEvT1_.kd
    .uniform_work_group_size: 1
    .uses_dynamic_stack: false
    .vgpr_count:     0
    .vgpr_spill_count: 0
    .wavefront_size: 64
  - .agpr_count:     0
    .args:
      - .offset:         0
        .size:           112
        .value_kind:     by_value
    .group_segment_fixed_size: 0
    .kernarg_segment_align: 8
    .kernarg_segment_size: 112
    .language:       OpenCL C
    .language_version:
      - 2
      - 0
    .max_flat_workgroup_size: 64
    .name:           _ZN7rocprim17ROCPRIM_400000_NS6detail17trampoline_kernelINS0_14default_configENS1_27scan_by_key_config_selectorIssEEZZNS1_16scan_by_key_implILNS1_25lookback_scan_determinismE0ELb1ES3_N6thrust23THRUST_200600_302600_NS6detail15normal_iteratorINS9_10device_ptrIsEEEESE_SE_sNS9_10multipliesIsEENS9_8equal_toIsEEsEE10hipError_tPvRmT2_T3_T4_T5_mT6_T7_P12ihipStream_tbENKUlT_T0_E_clISt17integral_constantIbLb1EESZ_EEDaSU_SV_EUlSU_E_NS1_11comp_targetILNS1_3genE2ELNS1_11target_archE906ELNS1_3gpuE6ELNS1_3repE0EEENS1_30default_config_static_selectorELNS0_4arch9wavefront6targetE1EEEvT1_
    .private_segment_fixed_size: 0
    .sgpr_count:     4
    .sgpr_spill_count: 0
    .symbol:         _ZN7rocprim17ROCPRIM_400000_NS6detail17trampoline_kernelINS0_14default_configENS1_27scan_by_key_config_selectorIssEEZZNS1_16scan_by_key_implILNS1_25lookback_scan_determinismE0ELb1ES3_N6thrust23THRUST_200600_302600_NS6detail15normal_iteratorINS9_10device_ptrIsEEEESE_SE_sNS9_10multipliesIsEENS9_8equal_toIsEEsEE10hipError_tPvRmT2_T3_T4_T5_mT6_T7_P12ihipStream_tbENKUlT_T0_E_clISt17integral_constantIbLb1EESZ_EEDaSU_SV_EUlSU_E_NS1_11comp_targetILNS1_3genE2ELNS1_11target_archE906ELNS1_3gpuE6ELNS1_3repE0EEENS1_30default_config_static_selectorELNS0_4arch9wavefront6targetE1EEEvT1_.kd
    .uniform_work_group_size: 1
    .uses_dynamic_stack: false
    .vgpr_count:     0
    .vgpr_spill_count: 0
    .wavefront_size: 64
  - .agpr_count:     0
    .args:
      - .offset:         0
        .size:           112
        .value_kind:     by_value
    .group_segment_fixed_size: 0
    .kernarg_segment_align: 8
    .kernarg_segment_size: 112
    .language:       OpenCL C
    .language_version:
      - 2
      - 0
    .max_flat_workgroup_size: 256
    .name:           _ZN7rocprim17ROCPRIM_400000_NS6detail17trampoline_kernelINS0_14default_configENS1_27scan_by_key_config_selectorIssEEZZNS1_16scan_by_key_implILNS1_25lookback_scan_determinismE0ELb1ES3_N6thrust23THRUST_200600_302600_NS6detail15normal_iteratorINS9_10device_ptrIsEEEESE_SE_sNS9_10multipliesIsEENS9_8equal_toIsEEsEE10hipError_tPvRmT2_T3_T4_T5_mT6_T7_P12ihipStream_tbENKUlT_T0_E_clISt17integral_constantIbLb1EESZ_EEDaSU_SV_EUlSU_E_NS1_11comp_targetILNS1_3genE10ELNS1_11target_archE1200ELNS1_3gpuE4ELNS1_3repE0EEENS1_30default_config_static_selectorELNS0_4arch9wavefront6targetE1EEEvT1_
    .private_segment_fixed_size: 0
    .sgpr_count:     4
    .sgpr_spill_count: 0
    .symbol:         _ZN7rocprim17ROCPRIM_400000_NS6detail17trampoline_kernelINS0_14default_configENS1_27scan_by_key_config_selectorIssEEZZNS1_16scan_by_key_implILNS1_25lookback_scan_determinismE0ELb1ES3_N6thrust23THRUST_200600_302600_NS6detail15normal_iteratorINS9_10device_ptrIsEEEESE_SE_sNS9_10multipliesIsEENS9_8equal_toIsEEsEE10hipError_tPvRmT2_T3_T4_T5_mT6_T7_P12ihipStream_tbENKUlT_T0_E_clISt17integral_constantIbLb1EESZ_EEDaSU_SV_EUlSU_E_NS1_11comp_targetILNS1_3genE10ELNS1_11target_archE1200ELNS1_3gpuE4ELNS1_3repE0EEENS1_30default_config_static_selectorELNS0_4arch9wavefront6targetE1EEEvT1_.kd
    .uniform_work_group_size: 1
    .uses_dynamic_stack: false
    .vgpr_count:     0
    .vgpr_spill_count: 0
    .wavefront_size: 64
  - .agpr_count:     0
    .args:
      - .offset:         0
        .size:           112
        .value_kind:     by_value
    .group_segment_fixed_size: 0
    .kernarg_segment_align: 8
    .kernarg_segment_size: 112
    .language:       OpenCL C
    .language_version:
      - 2
      - 0
    .max_flat_workgroup_size: 256
    .name:           _ZN7rocprim17ROCPRIM_400000_NS6detail17trampoline_kernelINS0_14default_configENS1_27scan_by_key_config_selectorIssEEZZNS1_16scan_by_key_implILNS1_25lookback_scan_determinismE0ELb1ES3_N6thrust23THRUST_200600_302600_NS6detail15normal_iteratorINS9_10device_ptrIsEEEESE_SE_sNS9_10multipliesIsEENS9_8equal_toIsEEsEE10hipError_tPvRmT2_T3_T4_T5_mT6_T7_P12ihipStream_tbENKUlT_T0_E_clISt17integral_constantIbLb1EESZ_EEDaSU_SV_EUlSU_E_NS1_11comp_targetILNS1_3genE9ELNS1_11target_archE1100ELNS1_3gpuE3ELNS1_3repE0EEENS1_30default_config_static_selectorELNS0_4arch9wavefront6targetE1EEEvT1_
    .private_segment_fixed_size: 0
    .sgpr_count:     4
    .sgpr_spill_count: 0
    .symbol:         _ZN7rocprim17ROCPRIM_400000_NS6detail17trampoline_kernelINS0_14default_configENS1_27scan_by_key_config_selectorIssEEZZNS1_16scan_by_key_implILNS1_25lookback_scan_determinismE0ELb1ES3_N6thrust23THRUST_200600_302600_NS6detail15normal_iteratorINS9_10device_ptrIsEEEESE_SE_sNS9_10multipliesIsEENS9_8equal_toIsEEsEE10hipError_tPvRmT2_T3_T4_T5_mT6_T7_P12ihipStream_tbENKUlT_T0_E_clISt17integral_constantIbLb1EESZ_EEDaSU_SV_EUlSU_E_NS1_11comp_targetILNS1_3genE9ELNS1_11target_archE1100ELNS1_3gpuE3ELNS1_3repE0EEENS1_30default_config_static_selectorELNS0_4arch9wavefront6targetE1EEEvT1_.kd
    .uniform_work_group_size: 1
    .uses_dynamic_stack: false
    .vgpr_count:     0
    .vgpr_spill_count: 0
    .wavefront_size: 64
  - .agpr_count:     0
    .args:
      - .offset:         0
        .size:           112
        .value_kind:     by_value
    .group_segment_fixed_size: 0
    .kernarg_segment_align: 8
    .kernarg_segment_size: 112
    .language:       OpenCL C
    .language_version:
      - 2
      - 0
    .max_flat_workgroup_size: 64
    .name:           _ZN7rocprim17ROCPRIM_400000_NS6detail17trampoline_kernelINS0_14default_configENS1_27scan_by_key_config_selectorIssEEZZNS1_16scan_by_key_implILNS1_25lookback_scan_determinismE0ELb1ES3_N6thrust23THRUST_200600_302600_NS6detail15normal_iteratorINS9_10device_ptrIsEEEESE_SE_sNS9_10multipliesIsEENS9_8equal_toIsEEsEE10hipError_tPvRmT2_T3_T4_T5_mT6_T7_P12ihipStream_tbENKUlT_T0_E_clISt17integral_constantIbLb1EESZ_EEDaSU_SV_EUlSU_E_NS1_11comp_targetILNS1_3genE8ELNS1_11target_archE1030ELNS1_3gpuE2ELNS1_3repE0EEENS1_30default_config_static_selectorELNS0_4arch9wavefront6targetE1EEEvT1_
    .private_segment_fixed_size: 0
    .sgpr_count:     4
    .sgpr_spill_count: 0
    .symbol:         _ZN7rocprim17ROCPRIM_400000_NS6detail17trampoline_kernelINS0_14default_configENS1_27scan_by_key_config_selectorIssEEZZNS1_16scan_by_key_implILNS1_25lookback_scan_determinismE0ELb1ES3_N6thrust23THRUST_200600_302600_NS6detail15normal_iteratorINS9_10device_ptrIsEEEESE_SE_sNS9_10multipliesIsEENS9_8equal_toIsEEsEE10hipError_tPvRmT2_T3_T4_T5_mT6_T7_P12ihipStream_tbENKUlT_T0_E_clISt17integral_constantIbLb1EESZ_EEDaSU_SV_EUlSU_E_NS1_11comp_targetILNS1_3genE8ELNS1_11target_archE1030ELNS1_3gpuE2ELNS1_3repE0EEENS1_30default_config_static_selectorELNS0_4arch9wavefront6targetE1EEEvT1_.kd
    .uniform_work_group_size: 1
    .uses_dynamic_stack: false
    .vgpr_count:     0
    .vgpr_spill_count: 0
    .wavefront_size: 64
  - .agpr_count:     0
    .args:
      - .offset:         0
        .size:           112
        .value_kind:     by_value
    .group_segment_fixed_size: 0
    .kernarg_segment_align: 8
    .kernarg_segment_size: 112
    .language:       OpenCL C
    .language_version:
      - 2
      - 0
    .max_flat_workgroup_size: 256
    .name:           _ZN7rocprim17ROCPRIM_400000_NS6detail17trampoline_kernelINS0_14default_configENS1_27scan_by_key_config_selectorIssEEZZNS1_16scan_by_key_implILNS1_25lookback_scan_determinismE0ELb1ES3_N6thrust23THRUST_200600_302600_NS6detail15normal_iteratorINS9_10device_ptrIsEEEESE_SE_sNS9_10multipliesIsEENS9_8equal_toIsEEsEE10hipError_tPvRmT2_T3_T4_T5_mT6_T7_P12ihipStream_tbENKUlT_T0_E_clISt17integral_constantIbLb1EESY_IbLb0EEEEDaSU_SV_EUlSU_E_NS1_11comp_targetILNS1_3genE0ELNS1_11target_archE4294967295ELNS1_3gpuE0ELNS1_3repE0EEENS1_30default_config_static_selectorELNS0_4arch9wavefront6targetE1EEEvT1_
    .private_segment_fixed_size: 0
    .sgpr_count:     4
    .sgpr_spill_count: 0
    .symbol:         _ZN7rocprim17ROCPRIM_400000_NS6detail17trampoline_kernelINS0_14default_configENS1_27scan_by_key_config_selectorIssEEZZNS1_16scan_by_key_implILNS1_25lookback_scan_determinismE0ELb1ES3_N6thrust23THRUST_200600_302600_NS6detail15normal_iteratorINS9_10device_ptrIsEEEESE_SE_sNS9_10multipliesIsEENS9_8equal_toIsEEsEE10hipError_tPvRmT2_T3_T4_T5_mT6_T7_P12ihipStream_tbENKUlT_T0_E_clISt17integral_constantIbLb1EESY_IbLb0EEEEDaSU_SV_EUlSU_E_NS1_11comp_targetILNS1_3genE0ELNS1_11target_archE4294967295ELNS1_3gpuE0ELNS1_3repE0EEENS1_30default_config_static_selectorELNS0_4arch9wavefront6targetE1EEEvT1_.kd
    .uniform_work_group_size: 1
    .uses_dynamic_stack: false
    .vgpr_count:     0
    .vgpr_spill_count: 0
    .wavefront_size: 64
  - .agpr_count:     0
    .args:
      - .offset:         0
        .size:           112
        .value_kind:     by_value
    .group_segment_fixed_size: 0
    .kernarg_segment_align: 8
    .kernarg_segment_size: 112
    .language:       OpenCL C
    .language_version:
      - 2
      - 0
    .max_flat_workgroup_size: 128
    .name:           _ZN7rocprim17ROCPRIM_400000_NS6detail17trampoline_kernelINS0_14default_configENS1_27scan_by_key_config_selectorIssEEZZNS1_16scan_by_key_implILNS1_25lookback_scan_determinismE0ELb1ES3_N6thrust23THRUST_200600_302600_NS6detail15normal_iteratorINS9_10device_ptrIsEEEESE_SE_sNS9_10multipliesIsEENS9_8equal_toIsEEsEE10hipError_tPvRmT2_T3_T4_T5_mT6_T7_P12ihipStream_tbENKUlT_T0_E_clISt17integral_constantIbLb1EESY_IbLb0EEEEDaSU_SV_EUlSU_E_NS1_11comp_targetILNS1_3genE10ELNS1_11target_archE1201ELNS1_3gpuE5ELNS1_3repE0EEENS1_30default_config_static_selectorELNS0_4arch9wavefront6targetE1EEEvT1_
    .private_segment_fixed_size: 0
    .sgpr_count:     4
    .sgpr_spill_count: 0
    .symbol:         _ZN7rocprim17ROCPRIM_400000_NS6detail17trampoline_kernelINS0_14default_configENS1_27scan_by_key_config_selectorIssEEZZNS1_16scan_by_key_implILNS1_25lookback_scan_determinismE0ELb1ES3_N6thrust23THRUST_200600_302600_NS6detail15normal_iteratorINS9_10device_ptrIsEEEESE_SE_sNS9_10multipliesIsEENS9_8equal_toIsEEsEE10hipError_tPvRmT2_T3_T4_T5_mT6_T7_P12ihipStream_tbENKUlT_T0_E_clISt17integral_constantIbLb1EESY_IbLb0EEEEDaSU_SV_EUlSU_E_NS1_11comp_targetILNS1_3genE10ELNS1_11target_archE1201ELNS1_3gpuE5ELNS1_3repE0EEENS1_30default_config_static_selectorELNS0_4arch9wavefront6targetE1EEEvT1_.kd
    .uniform_work_group_size: 1
    .uses_dynamic_stack: false
    .vgpr_count:     0
    .vgpr_spill_count: 0
    .wavefront_size: 64
  - .agpr_count:     0
    .args:
      - .offset:         0
        .size:           112
        .value_kind:     by_value
    .group_segment_fixed_size: 0
    .kernarg_segment_align: 8
    .kernarg_segment_size: 112
    .language:       OpenCL C
    .language_version:
      - 2
      - 0
    .max_flat_workgroup_size: 256
    .name:           _ZN7rocprim17ROCPRIM_400000_NS6detail17trampoline_kernelINS0_14default_configENS1_27scan_by_key_config_selectorIssEEZZNS1_16scan_by_key_implILNS1_25lookback_scan_determinismE0ELb1ES3_N6thrust23THRUST_200600_302600_NS6detail15normal_iteratorINS9_10device_ptrIsEEEESE_SE_sNS9_10multipliesIsEENS9_8equal_toIsEEsEE10hipError_tPvRmT2_T3_T4_T5_mT6_T7_P12ihipStream_tbENKUlT_T0_E_clISt17integral_constantIbLb1EESY_IbLb0EEEEDaSU_SV_EUlSU_E_NS1_11comp_targetILNS1_3genE5ELNS1_11target_archE942ELNS1_3gpuE9ELNS1_3repE0EEENS1_30default_config_static_selectorELNS0_4arch9wavefront6targetE1EEEvT1_
    .private_segment_fixed_size: 0
    .sgpr_count:     4
    .sgpr_spill_count: 0
    .symbol:         _ZN7rocprim17ROCPRIM_400000_NS6detail17trampoline_kernelINS0_14default_configENS1_27scan_by_key_config_selectorIssEEZZNS1_16scan_by_key_implILNS1_25lookback_scan_determinismE0ELb1ES3_N6thrust23THRUST_200600_302600_NS6detail15normal_iteratorINS9_10device_ptrIsEEEESE_SE_sNS9_10multipliesIsEENS9_8equal_toIsEEsEE10hipError_tPvRmT2_T3_T4_T5_mT6_T7_P12ihipStream_tbENKUlT_T0_E_clISt17integral_constantIbLb1EESY_IbLb0EEEEDaSU_SV_EUlSU_E_NS1_11comp_targetILNS1_3genE5ELNS1_11target_archE942ELNS1_3gpuE9ELNS1_3repE0EEENS1_30default_config_static_selectorELNS0_4arch9wavefront6targetE1EEEvT1_.kd
    .uniform_work_group_size: 1
    .uses_dynamic_stack: false
    .vgpr_count:     0
    .vgpr_spill_count: 0
    .wavefront_size: 64
  - .agpr_count:     0
    .args:
      - .offset:         0
        .size:           112
        .value_kind:     by_value
    .group_segment_fixed_size: 12288
    .kernarg_segment_align: 8
    .kernarg_segment_size: 112
    .language:       OpenCL C
    .language_version:
      - 2
      - 0
    .max_flat_workgroup_size: 256
    .name:           _ZN7rocprim17ROCPRIM_400000_NS6detail17trampoline_kernelINS0_14default_configENS1_27scan_by_key_config_selectorIssEEZZNS1_16scan_by_key_implILNS1_25lookback_scan_determinismE0ELb1ES3_N6thrust23THRUST_200600_302600_NS6detail15normal_iteratorINS9_10device_ptrIsEEEESE_SE_sNS9_10multipliesIsEENS9_8equal_toIsEEsEE10hipError_tPvRmT2_T3_T4_T5_mT6_T7_P12ihipStream_tbENKUlT_T0_E_clISt17integral_constantIbLb1EESY_IbLb0EEEEDaSU_SV_EUlSU_E_NS1_11comp_targetILNS1_3genE4ELNS1_11target_archE910ELNS1_3gpuE8ELNS1_3repE0EEENS1_30default_config_static_selectorELNS0_4arch9wavefront6targetE1EEEvT1_
    .private_segment_fixed_size: 0
    .sgpr_count:     79
    .sgpr_spill_count: 0
    .symbol:         _ZN7rocprim17ROCPRIM_400000_NS6detail17trampoline_kernelINS0_14default_configENS1_27scan_by_key_config_selectorIssEEZZNS1_16scan_by_key_implILNS1_25lookback_scan_determinismE0ELb1ES3_N6thrust23THRUST_200600_302600_NS6detail15normal_iteratorINS9_10device_ptrIsEEEESE_SE_sNS9_10multipliesIsEENS9_8equal_toIsEEsEE10hipError_tPvRmT2_T3_T4_T5_mT6_T7_P12ihipStream_tbENKUlT_T0_E_clISt17integral_constantIbLb1EESY_IbLb0EEEEDaSU_SV_EUlSU_E_NS1_11comp_targetILNS1_3genE4ELNS1_11target_archE910ELNS1_3gpuE8ELNS1_3repE0EEENS1_30default_config_static_selectorELNS0_4arch9wavefront6targetE1EEEvT1_.kd
    .uniform_work_group_size: 1
    .uses_dynamic_stack: false
    .vgpr_count:     58
    .vgpr_spill_count: 0
    .wavefront_size: 64
  - .agpr_count:     0
    .args:
      - .offset:         0
        .size:           112
        .value_kind:     by_value
    .group_segment_fixed_size: 0
    .kernarg_segment_align: 8
    .kernarg_segment_size: 112
    .language:       OpenCL C
    .language_version:
      - 2
      - 0
    .max_flat_workgroup_size: 256
    .name:           _ZN7rocprim17ROCPRIM_400000_NS6detail17trampoline_kernelINS0_14default_configENS1_27scan_by_key_config_selectorIssEEZZNS1_16scan_by_key_implILNS1_25lookback_scan_determinismE0ELb1ES3_N6thrust23THRUST_200600_302600_NS6detail15normal_iteratorINS9_10device_ptrIsEEEESE_SE_sNS9_10multipliesIsEENS9_8equal_toIsEEsEE10hipError_tPvRmT2_T3_T4_T5_mT6_T7_P12ihipStream_tbENKUlT_T0_E_clISt17integral_constantIbLb1EESY_IbLb0EEEEDaSU_SV_EUlSU_E_NS1_11comp_targetILNS1_3genE3ELNS1_11target_archE908ELNS1_3gpuE7ELNS1_3repE0EEENS1_30default_config_static_selectorELNS0_4arch9wavefront6targetE1EEEvT1_
    .private_segment_fixed_size: 0
    .sgpr_count:     4
    .sgpr_spill_count: 0
    .symbol:         _ZN7rocprim17ROCPRIM_400000_NS6detail17trampoline_kernelINS0_14default_configENS1_27scan_by_key_config_selectorIssEEZZNS1_16scan_by_key_implILNS1_25lookback_scan_determinismE0ELb1ES3_N6thrust23THRUST_200600_302600_NS6detail15normal_iteratorINS9_10device_ptrIsEEEESE_SE_sNS9_10multipliesIsEENS9_8equal_toIsEEsEE10hipError_tPvRmT2_T3_T4_T5_mT6_T7_P12ihipStream_tbENKUlT_T0_E_clISt17integral_constantIbLb1EESY_IbLb0EEEEDaSU_SV_EUlSU_E_NS1_11comp_targetILNS1_3genE3ELNS1_11target_archE908ELNS1_3gpuE7ELNS1_3repE0EEENS1_30default_config_static_selectorELNS0_4arch9wavefront6targetE1EEEvT1_.kd
    .uniform_work_group_size: 1
    .uses_dynamic_stack: false
    .vgpr_count:     0
    .vgpr_spill_count: 0
    .wavefront_size: 64
  - .agpr_count:     0
    .args:
      - .offset:         0
        .size:           112
        .value_kind:     by_value
    .group_segment_fixed_size: 0
    .kernarg_segment_align: 8
    .kernarg_segment_size: 112
    .language:       OpenCL C
    .language_version:
      - 2
      - 0
    .max_flat_workgroup_size: 64
    .name:           _ZN7rocprim17ROCPRIM_400000_NS6detail17trampoline_kernelINS0_14default_configENS1_27scan_by_key_config_selectorIssEEZZNS1_16scan_by_key_implILNS1_25lookback_scan_determinismE0ELb1ES3_N6thrust23THRUST_200600_302600_NS6detail15normal_iteratorINS9_10device_ptrIsEEEESE_SE_sNS9_10multipliesIsEENS9_8equal_toIsEEsEE10hipError_tPvRmT2_T3_T4_T5_mT6_T7_P12ihipStream_tbENKUlT_T0_E_clISt17integral_constantIbLb1EESY_IbLb0EEEEDaSU_SV_EUlSU_E_NS1_11comp_targetILNS1_3genE2ELNS1_11target_archE906ELNS1_3gpuE6ELNS1_3repE0EEENS1_30default_config_static_selectorELNS0_4arch9wavefront6targetE1EEEvT1_
    .private_segment_fixed_size: 0
    .sgpr_count:     4
    .sgpr_spill_count: 0
    .symbol:         _ZN7rocprim17ROCPRIM_400000_NS6detail17trampoline_kernelINS0_14default_configENS1_27scan_by_key_config_selectorIssEEZZNS1_16scan_by_key_implILNS1_25lookback_scan_determinismE0ELb1ES3_N6thrust23THRUST_200600_302600_NS6detail15normal_iteratorINS9_10device_ptrIsEEEESE_SE_sNS9_10multipliesIsEENS9_8equal_toIsEEsEE10hipError_tPvRmT2_T3_T4_T5_mT6_T7_P12ihipStream_tbENKUlT_T0_E_clISt17integral_constantIbLb1EESY_IbLb0EEEEDaSU_SV_EUlSU_E_NS1_11comp_targetILNS1_3genE2ELNS1_11target_archE906ELNS1_3gpuE6ELNS1_3repE0EEENS1_30default_config_static_selectorELNS0_4arch9wavefront6targetE1EEEvT1_.kd
    .uniform_work_group_size: 1
    .uses_dynamic_stack: false
    .vgpr_count:     0
    .vgpr_spill_count: 0
    .wavefront_size: 64
  - .agpr_count:     0
    .args:
      - .offset:         0
        .size:           112
        .value_kind:     by_value
    .group_segment_fixed_size: 0
    .kernarg_segment_align: 8
    .kernarg_segment_size: 112
    .language:       OpenCL C
    .language_version:
      - 2
      - 0
    .max_flat_workgroup_size: 256
    .name:           _ZN7rocprim17ROCPRIM_400000_NS6detail17trampoline_kernelINS0_14default_configENS1_27scan_by_key_config_selectorIssEEZZNS1_16scan_by_key_implILNS1_25lookback_scan_determinismE0ELb1ES3_N6thrust23THRUST_200600_302600_NS6detail15normal_iteratorINS9_10device_ptrIsEEEESE_SE_sNS9_10multipliesIsEENS9_8equal_toIsEEsEE10hipError_tPvRmT2_T3_T4_T5_mT6_T7_P12ihipStream_tbENKUlT_T0_E_clISt17integral_constantIbLb1EESY_IbLb0EEEEDaSU_SV_EUlSU_E_NS1_11comp_targetILNS1_3genE10ELNS1_11target_archE1200ELNS1_3gpuE4ELNS1_3repE0EEENS1_30default_config_static_selectorELNS0_4arch9wavefront6targetE1EEEvT1_
    .private_segment_fixed_size: 0
    .sgpr_count:     4
    .sgpr_spill_count: 0
    .symbol:         _ZN7rocprim17ROCPRIM_400000_NS6detail17trampoline_kernelINS0_14default_configENS1_27scan_by_key_config_selectorIssEEZZNS1_16scan_by_key_implILNS1_25lookback_scan_determinismE0ELb1ES3_N6thrust23THRUST_200600_302600_NS6detail15normal_iteratorINS9_10device_ptrIsEEEESE_SE_sNS9_10multipliesIsEENS9_8equal_toIsEEsEE10hipError_tPvRmT2_T3_T4_T5_mT6_T7_P12ihipStream_tbENKUlT_T0_E_clISt17integral_constantIbLb1EESY_IbLb0EEEEDaSU_SV_EUlSU_E_NS1_11comp_targetILNS1_3genE10ELNS1_11target_archE1200ELNS1_3gpuE4ELNS1_3repE0EEENS1_30default_config_static_selectorELNS0_4arch9wavefront6targetE1EEEvT1_.kd
    .uniform_work_group_size: 1
    .uses_dynamic_stack: false
    .vgpr_count:     0
    .vgpr_spill_count: 0
    .wavefront_size: 64
  - .agpr_count:     0
    .args:
      - .offset:         0
        .size:           112
        .value_kind:     by_value
    .group_segment_fixed_size: 0
    .kernarg_segment_align: 8
    .kernarg_segment_size: 112
    .language:       OpenCL C
    .language_version:
      - 2
      - 0
    .max_flat_workgroup_size: 256
    .name:           _ZN7rocprim17ROCPRIM_400000_NS6detail17trampoline_kernelINS0_14default_configENS1_27scan_by_key_config_selectorIssEEZZNS1_16scan_by_key_implILNS1_25lookback_scan_determinismE0ELb1ES3_N6thrust23THRUST_200600_302600_NS6detail15normal_iteratorINS9_10device_ptrIsEEEESE_SE_sNS9_10multipliesIsEENS9_8equal_toIsEEsEE10hipError_tPvRmT2_T3_T4_T5_mT6_T7_P12ihipStream_tbENKUlT_T0_E_clISt17integral_constantIbLb1EESY_IbLb0EEEEDaSU_SV_EUlSU_E_NS1_11comp_targetILNS1_3genE9ELNS1_11target_archE1100ELNS1_3gpuE3ELNS1_3repE0EEENS1_30default_config_static_selectorELNS0_4arch9wavefront6targetE1EEEvT1_
    .private_segment_fixed_size: 0
    .sgpr_count:     4
    .sgpr_spill_count: 0
    .symbol:         _ZN7rocprim17ROCPRIM_400000_NS6detail17trampoline_kernelINS0_14default_configENS1_27scan_by_key_config_selectorIssEEZZNS1_16scan_by_key_implILNS1_25lookback_scan_determinismE0ELb1ES3_N6thrust23THRUST_200600_302600_NS6detail15normal_iteratorINS9_10device_ptrIsEEEESE_SE_sNS9_10multipliesIsEENS9_8equal_toIsEEsEE10hipError_tPvRmT2_T3_T4_T5_mT6_T7_P12ihipStream_tbENKUlT_T0_E_clISt17integral_constantIbLb1EESY_IbLb0EEEEDaSU_SV_EUlSU_E_NS1_11comp_targetILNS1_3genE9ELNS1_11target_archE1100ELNS1_3gpuE3ELNS1_3repE0EEENS1_30default_config_static_selectorELNS0_4arch9wavefront6targetE1EEEvT1_.kd
    .uniform_work_group_size: 1
    .uses_dynamic_stack: false
    .vgpr_count:     0
    .vgpr_spill_count: 0
    .wavefront_size: 64
  - .agpr_count:     0
    .args:
      - .offset:         0
        .size:           112
        .value_kind:     by_value
    .group_segment_fixed_size: 0
    .kernarg_segment_align: 8
    .kernarg_segment_size: 112
    .language:       OpenCL C
    .language_version:
      - 2
      - 0
    .max_flat_workgroup_size: 64
    .name:           _ZN7rocprim17ROCPRIM_400000_NS6detail17trampoline_kernelINS0_14default_configENS1_27scan_by_key_config_selectorIssEEZZNS1_16scan_by_key_implILNS1_25lookback_scan_determinismE0ELb1ES3_N6thrust23THRUST_200600_302600_NS6detail15normal_iteratorINS9_10device_ptrIsEEEESE_SE_sNS9_10multipliesIsEENS9_8equal_toIsEEsEE10hipError_tPvRmT2_T3_T4_T5_mT6_T7_P12ihipStream_tbENKUlT_T0_E_clISt17integral_constantIbLb1EESY_IbLb0EEEEDaSU_SV_EUlSU_E_NS1_11comp_targetILNS1_3genE8ELNS1_11target_archE1030ELNS1_3gpuE2ELNS1_3repE0EEENS1_30default_config_static_selectorELNS0_4arch9wavefront6targetE1EEEvT1_
    .private_segment_fixed_size: 0
    .sgpr_count:     4
    .sgpr_spill_count: 0
    .symbol:         _ZN7rocprim17ROCPRIM_400000_NS6detail17trampoline_kernelINS0_14default_configENS1_27scan_by_key_config_selectorIssEEZZNS1_16scan_by_key_implILNS1_25lookback_scan_determinismE0ELb1ES3_N6thrust23THRUST_200600_302600_NS6detail15normal_iteratorINS9_10device_ptrIsEEEESE_SE_sNS9_10multipliesIsEENS9_8equal_toIsEEsEE10hipError_tPvRmT2_T3_T4_T5_mT6_T7_P12ihipStream_tbENKUlT_T0_E_clISt17integral_constantIbLb1EESY_IbLb0EEEEDaSU_SV_EUlSU_E_NS1_11comp_targetILNS1_3genE8ELNS1_11target_archE1030ELNS1_3gpuE2ELNS1_3repE0EEENS1_30default_config_static_selectorELNS0_4arch9wavefront6targetE1EEEvT1_.kd
    .uniform_work_group_size: 1
    .uses_dynamic_stack: false
    .vgpr_count:     0
    .vgpr_spill_count: 0
    .wavefront_size: 64
  - .agpr_count:     0
    .args:
      - .offset:         0
        .size:           112
        .value_kind:     by_value
    .group_segment_fixed_size: 0
    .kernarg_segment_align: 8
    .kernarg_segment_size: 112
    .language:       OpenCL C
    .language_version:
      - 2
      - 0
    .max_flat_workgroup_size: 256
    .name:           _ZN7rocprim17ROCPRIM_400000_NS6detail17trampoline_kernelINS0_14default_configENS1_27scan_by_key_config_selectorIssEEZZNS1_16scan_by_key_implILNS1_25lookback_scan_determinismE0ELb1ES3_N6thrust23THRUST_200600_302600_NS6detail15normal_iteratorINS9_10device_ptrIsEEEESE_SE_sNS9_10multipliesIsEENS9_8equal_toIsEEsEE10hipError_tPvRmT2_T3_T4_T5_mT6_T7_P12ihipStream_tbENKUlT_T0_E_clISt17integral_constantIbLb0EESY_IbLb1EEEEDaSU_SV_EUlSU_E_NS1_11comp_targetILNS1_3genE0ELNS1_11target_archE4294967295ELNS1_3gpuE0ELNS1_3repE0EEENS1_30default_config_static_selectorELNS0_4arch9wavefront6targetE1EEEvT1_
    .private_segment_fixed_size: 0
    .sgpr_count:     4
    .sgpr_spill_count: 0
    .symbol:         _ZN7rocprim17ROCPRIM_400000_NS6detail17trampoline_kernelINS0_14default_configENS1_27scan_by_key_config_selectorIssEEZZNS1_16scan_by_key_implILNS1_25lookback_scan_determinismE0ELb1ES3_N6thrust23THRUST_200600_302600_NS6detail15normal_iteratorINS9_10device_ptrIsEEEESE_SE_sNS9_10multipliesIsEENS9_8equal_toIsEEsEE10hipError_tPvRmT2_T3_T4_T5_mT6_T7_P12ihipStream_tbENKUlT_T0_E_clISt17integral_constantIbLb0EESY_IbLb1EEEEDaSU_SV_EUlSU_E_NS1_11comp_targetILNS1_3genE0ELNS1_11target_archE4294967295ELNS1_3gpuE0ELNS1_3repE0EEENS1_30default_config_static_selectorELNS0_4arch9wavefront6targetE1EEEvT1_.kd
    .uniform_work_group_size: 1
    .uses_dynamic_stack: false
    .vgpr_count:     0
    .vgpr_spill_count: 0
    .wavefront_size: 64
  - .agpr_count:     0
    .args:
      - .offset:         0
        .size:           112
        .value_kind:     by_value
    .group_segment_fixed_size: 0
    .kernarg_segment_align: 8
    .kernarg_segment_size: 112
    .language:       OpenCL C
    .language_version:
      - 2
      - 0
    .max_flat_workgroup_size: 128
    .name:           _ZN7rocprim17ROCPRIM_400000_NS6detail17trampoline_kernelINS0_14default_configENS1_27scan_by_key_config_selectorIssEEZZNS1_16scan_by_key_implILNS1_25lookback_scan_determinismE0ELb1ES3_N6thrust23THRUST_200600_302600_NS6detail15normal_iteratorINS9_10device_ptrIsEEEESE_SE_sNS9_10multipliesIsEENS9_8equal_toIsEEsEE10hipError_tPvRmT2_T3_T4_T5_mT6_T7_P12ihipStream_tbENKUlT_T0_E_clISt17integral_constantIbLb0EESY_IbLb1EEEEDaSU_SV_EUlSU_E_NS1_11comp_targetILNS1_3genE10ELNS1_11target_archE1201ELNS1_3gpuE5ELNS1_3repE0EEENS1_30default_config_static_selectorELNS0_4arch9wavefront6targetE1EEEvT1_
    .private_segment_fixed_size: 0
    .sgpr_count:     4
    .sgpr_spill_count: 0
    .symbol:         _ZN7rocprim17ROCPRIM_400000_NS6detail17trampoline_kernelINS0_14default_configENS1_27scan_by_key_config_selectorIssEEZZNS1_16scan_by_key_implILNS1_25lookback_scan_determinismE0ELb1ES3_N6thrust23THRUST_200600_302600_NS6detail15normal_iteratorINS9_10device_ptrIsEEEESE_SE_sNS9_10multipliesIsEENS9_8equal_toIsEEsEE10hipError_tPvRmT2_T3_T4_T5_mT6_T7_P12ihipStream_tbENKUlT_T0_E_clISt17integral_constantIbLb0EESY_IbLb1EEEEDaSU_SV_EUlSU_E_NS1_11comp_targetILNS1_3genE10ELNS1_11target_archE1201ELNS1_3gpuE5ELNS1_3repE0EEENS1_30default_config_static_selectorELNS0_4arch9wavefront6targetE1EEEvT1_.kd
    .uniform_work_group_size: 1
    .uses_dynamic_stack: false
    .vgpr_count:     0
    .vgpr_spill_count: 0
    .wavefront_size: 64
  - .agpr_count:     0
    .args:
      - .offset:         0
        .size:           112
        .value_kind:     by_value
    .group_segment_fixed_size: 0
    .kernarg_segment_align: 8
    .kernarg_segment_size: 112
    .language:       OpenCL C
    .language_version:
      - 2
      - 0
    .max_flat_workgroup_size: 256
    .name:           _ZN7rocprim17ROCPRIM_400000_NS6detail17trampoline_kernelINS0_14default_configENS1_27scan_by_key_config_selectorIssEEZZNS1_16scan_by_key_implILNS1_25lookback_scan_determinismE0ELb1ES3_N6thrust23THRUST_200600_302600_NS6detail15normal_iteratorINS9_10device_ptrIsEEEESE_SE_sNS9_10multipliesIsEENS9_8equal_toIsEEsEE10hipError_tPvRmT2_T3_T4_T5_mT6_T7_P12ihipStream_tbENKUlT_T0_E_clISt17integral_constantIbLb0EESY_IbLb1EEEEDaSU_SV_EUlSU_E_NS1_11comp_targetILNS1_3genE5ELNS1_11target_archE942ELNS1_3gpuE9ELNS1_3repE0EEENS1_30default_config_static_selectorELNS0_4arch9wavefront6targetE1EEEvT1_
    .private_segment_fixed_size: 0
    .sgpr_count:     4
    .sgpr_spill_count: 0
    .symbol:         _ZN7rocprim17ROCPRIM_400000_NS6detail17trampoline_kernelINS0_14default_configENS1_27scan_by_key_config_selectorIssEEZZNS1_16scan_by_key_implILNS1_25lookback_scan_determinismE0ELb1ES3_N6thrust23THRUST_200600_302600_NS6detail15normal_iteratorINS9_10device_ptrIsEEEESE_SE_sNS9_10multipliesIsEENS9_8equal_toIsEEsEE10hipError_tPvRmT2_T3_T4_T5_mT6_T7_P12ihipStream_tbENKUlT_T0_E_clISt17integral_constantIbLb0EESY_IbLb1EEEEDaSU_SV_EUlSU_E_NS1_11comp_targetILNS1_3genE5ELNS1_11target_archE942ELNS1_3gpuE9ELNS1_3repE0EEENS1_30default_config_static_selectorELNS0_4arch9wavefront6targetE1EEEvT1_.kd
    .uniform_work_group_size: 1
    .uses_dynamic_stack: false
    .vgpr_count:     0
    .vgpr_spill_count: 0
    .wavefront_size: 64
  - .agpr_count:     0
    .args:
      - .offset:         0
        .size:           112
        .value_kind:     by_value
    .group_segment_fixed_size: 12288
    .kernarg_segment_align: 8
    .kernarg_segment_size: 112
    .language:       OpenCL C
    .language_version:
      - 2
      - 0
    .max_flat_workgroup_size: 256
    .name:           _ZN7rocprim17ROCPRIM_400000_NS6detail17trampoline_kernelINS0_14default_configENS1_27scan_by_key_config_selectorIssEEZZNS1_16scan_by_key_implILNS1_25lookback_scan_determinismE0ELb1ES3_N6thrust23THRUST_200600_302600_NS6detail15normal_iteratorINS9_10device_ptrIsEEEESE_SE_sNS9_10multipliesIsEENS9_8equal_toIsEEsEE10hipError_tPvRmT2_T3_T4_T5_mT6_T7_P12ihipStream_tbENKUlT_T0_E_clISt17integral_constantIbLb0EESY_IbLb1EEEEDaSU_SV_EUlSU_E_NS1_11comp_targetILNS1_3genE4ELNS1_11target_archE910ELNS1_3gpuE8ELNS1_3repE0EEENS1_30default_config_static_selectorELNS0_4arch9wavefront6targetE1EEEvT1_
    .private_segment_fixed_size: 0
    .sgpr_count:     77
    .sgpr_spill_count: 0
    .symbol:         _ZN7rocprim17ROCPRIM_400000_NS6detail17trampoline_kernelINS0_14default_configENS1_27scan_by_key_config_selectorIssEEZZNS1_16scan_by_key_implILNS1_25lookback_scan_determinismE0ELb1ES3_N6thrust23THRUST_200600_302600_NS6detail15normal_iteratorINS9_10device_ptrIsEEEESE_SE_sNS9_10multipliesIsEENS9_8equal_toIsEEsEE10hipError_tPvRmT2_T3_T4_T5_mT6_T7_P12ihipStream_tbENKUlT_T0_E_clISt17integral_constantIbLb0EESY_IbLb1EEEEDaSU_SV_EUlSU_E_NS1_11comp_targetILNS1_3genE4ELNS1_11target_archE910ELNS1_3gpuE8ELNS1_3repE0EEENS1_30default_config_static_selectorELNS0_4arch9wavefront6targetE1EEEvT1_.kd
    .uniform_work_group_size: 1
    .uses_dynamic_stack: false
    .vgpr_count:     60
    .vgpr_spill_count: 0
    .wavefront_size: 64
  - .agpr_count:     0
    .args:
      - .offset:         0
        .size:           112
        .value_kind:     by_value
    .group_segment_fixed_size: 0
    .kernarg_segment_align: 8
    .kernarg_segment_size: 112
    .language:       OpenCL C
    .language_version:
      - 2
      - 0
    .max_flat_workgroup_size: 256
    .name:           _ZN7rocprim17ROCPRIM_400000_NS6detail17trampoline_kernelINS0_14default_configENS1_27scan_by_key_config_selectorIssEEZZNS1_16scan_by_key_implILNS1_25lookback_scan_determinismE0ELb1ES3_N6thrust23THRUST_200600_302600_NS6detail15normal_iteratorINS9_10device_ptrIsEEEESE_SE_sNS9_10multipliesIsEENS9_8equal_toIsEEsEE10hipError_tPvRmT2_T3_T4_T5_mT6_T7_P12ihipStream_tbENKUlT_T0_E_clISt17integral_constantIbLb0EESY_IbLb1EEEEDaSU_SV_EUlSU_E_NS1_11comp_targetILNS1_3genE3ELNS1_11target_archE908ELNS1_3gpuE7ELNS1_3repE0EEENS1_30default_config_static_selectorELNS0_4arch9wavefront6targetE1EEEvT1_
    .private_segment_fixed_size: 0
    .sgpr_count:     4
    .sgpr_spill_count: 0
    .symbol:         _ZN7rocprim17ROCPRIM_400000_NS6detail17trampoline_kernelINS0_14default_configENS1_27scan_by_key_config_selectorIssEEZZNS1_16scan_by_key_implILNS1_25lookback_scan_determinismE0ELb1ES3_N6thrust23THRUST_200600_302600_NS6detail15normal_iteratorINS9_10device_ptrIsEEEESE_SE_sNS9_10multipliesIsEENS9_8equal_toIsEEsEE10hipError_tPvRmT2_T3_T4_T5_mT6_T7_P12ihipStream_tbENKUlT_T0_E_clISt17integral_constantIbLb0EESY_IbLb1EEEEDaSU_SV_EUlSU_E_NS1_11comp_targetILNS1_3genE3ELNS1_11target_archE908ELNS1_3gpuE7ELNS1_3repE0EEENS1_30default_config_static_selectorELNS0_4arch9wavefront6targetE1EEEvT1_.kd
    .uniform_work_group_size: 1
    .uses_dynamic_stack: false
    .vgpr_count:     0
    .vgpr_spill_count: 0
    .wavefront_size: 64
  - .agpr_count:     0
    .args:
      - .offset:         0
        .size:           112
        .value_kind:     by_value
    .group_segment_fixed_size: 0
    .kernarg_segment_align: 8
    .kernarg_segment_size: 112
    .language:       OpenCL C
    .language_version:
      - 2
      - 0
    .max_flat_workgroup_size: 64
    .name:           _ZN7rocprim17ROCPRIM_400000_NS6detail17trampoline_kernelINS0_14default_configENS1_27scan_by_key_config_selectorIssEEZZNS1_16scan_by_key_implILNS1_25lookback_scan_determinismE0ELb1ES3_N6thrust23THRUST_200600_302600_NS6detail15normal_iteratorINS9_10device_ptrIsEEEESE_SE_sNS9_10multipliesIsEENS9_8equal_toIsEEsEE10hipError_tPvRmT2_T3_T4_T5_mT6_T7_P12ihipStream_tbENKUlT_T0_E_clISt17integral_constantIbLb0EESY_IbLb1EEEEDaSU_SV_EUlSU_E_NS1_11comp_targetILNS1_3genE2ELNS1_11target_archE906ELNS1_3gpuE6ELNS1_3repE0EEENS1_30default_config_static_selectorELNS0_4arch9wavefront6targetE1EEEvT1_
    .private_segment_fixed_size: 0
    .sgpr_count:     4
    .sgpr_spill_count: 0
    .symbol:         _ZN7rocprim17ROCPRIM_400000_NS6detail17trampoline_kernelINS0_14default_configENS1_27scan_by_key_config_selectorIssEEZZNS1_16scan_by_key_implILNS1_25lookback_scan_determinismE0ELb1ES3_N6thrust23THRUST_200600_302600_NS6detail15normal_iteratorINS9_10device_ptrIsEEEESE_SE_sNS9_10multipliesIsEENS9_8equal_toIsEEsEE10hipError_tPvRmT2_T3_T4_T5_mT6_T7_P12ihipStream_tbENKUlT_T0_E_clISt17integral_constantIbLb0EESY_IbLb1EEEEDaSU_SV_EUlSU_E_NS1_11comp_targetILNS1_3genE2ELNS1_11target_archE906ELNS1_3gpuE6ELNS1_3repE0EEENS1_30default_config_static_selectorELNS0_4arch9wavefront6targetE1EEEvT1_.kd
    .uniform_work_group_size: 1
    .uses_dynamic_stack: false
    .vgpr_count:     0
    .vgpr_spill_count: 0
    .wavefront_size: 64
  - .agpr_count:     0
    .args:
      - .offset:         0
        .size:           112
        .value_kind:     by_value
    .group_segment_fixed_size: 0
    .kernarg_segment_align: 8
    .kernarg_segment_size: 112
    .language:       OpenCL C
    .language_version:
      - 2
      - 0
    .max_flat_workgroup_size: 256
    .name:           _ZN7rocprim17ROCPRIM_400000_NS6detail17trampoline_kernelINS0_14default_configENS1_27scan_by_key_config_selectorIssEEZZNS1_16scan_by_key_implILNS1_25lookback_scan_determinismE0ELb1ES3_N6thrust23THRUST_200600_302600_NS6detail15normal_iteratorINS9_10device_ptrIsEEEESE_SE_sNS9_10multipliesIsEENS9_8equal_toIsEEsEE10hipError_tPvRmT2_T3_T4_T5_mT6_T7_P12ihipStream_tbENKUlT_T0_E_clISt17integral_constantIbLb0EESY_IbLb1EEEEDaSU_SV_EUlSU_E_NS1_11comp_targetILNS1_3genE10ELNS1_11target_archE1200ELNS1_3gpuE4ELNS1_3repE0EEENS1_30default_config_static_selectorELNS0_4arch9wavefront6targetE1EEEvT1_
    .private_segment_fixed_size: 0
    .sgpr_count:     4
    .sgpr_spill_count: 0
    .symbol:         _ZN7rocprim17ROCPRIM_400000_NS6detail17trampoline_kernelINS0_14default_configENS1_27scan_by_key_config_selectorIssEEZZNS1_16scan_by_key_implILNS1_25lookback_scan_determinismE0ELb1ES3_N6thrust23THRUST_200600_302600_NS6detail15normal_iteratorINS9_10device_ptrIsEEEESE_SE_sNS9_10multipliesIsEENS9_8equal_toIsEEsEE10hipError_tPvRmT2_T3_T4_T5_mT6_T7_P12ihipStream_tbENKUlT_T0_E_clISt17integral_constantIbLb0EESY_IbLb1EEEEDaSU_SV_EUlSU_E_NS1_11comp_targetILNS1_3genE10ELNS1_11target_archE1200ELNS1_3gpuE4ELNS1_3repE0EEENS1_30default_config_static_selectorELNS0_4arch9wavefront6targetE1EEEvT1_.kd
    .uniform_work_group_size: 1
    .uses_dynamic_stack: false
    .vgpr_count:     0
    .vgpr_spill_count: 0
    .wavefront_size: 64
  - .agpr_count:     0
    .args:
      - .offset:         0
        .size:           112
        .value_kind:     by_value
    .group_segment_fixed_size: 0
    .kernarg_segment_align: 8
    .kernarg_segment_size: 112
    .language:       OpenCL C
    .language_version:
      - 2
      - 0
    .max_flat_workgroup_size: 256
    .name:           _ZN7rocprim17ROCPRIM_400000_NS6detail17trampoline_kernelINS0_14default_configENS1_27scan_by_key_config_selectorIssEEZZNS1_16scan_by_key_implILNS1_25lookback_scan_determinismE0ELb1ES3_N6thrust23THRUST_200600_302600_NS6detail15normal_iteratorINS9_10device_ptrIsEEEESE_SE_sNS9_10multipliesIsEENS9_8equal_toIsEEsEE10hipError_tPvRmT2_T3_T4_T5_mT6_T7_P12ihipStream_tbENKUlT_T0_E_clISt17integral_constantIbLb0EESY_IbLb1EEEEDaSU_SV_EUlSU_E_NS1_11comp_targetILNS1_3genE9ELNS1_11target_archE1100ELNS1_3gpuE3ELNS1_3repE0EEENS1_30default_config_static_selectorELNS0_4arch9wavefront6targetE1EEEvT1_
    .private_segment_fixed_size: 0
    .sgpr_count:     4
    .sgpr_spill_count: 0
    .symbol:         _ZN7rocprim17ROCPRIM_400000_NS6detail17trampoline_kernelINS0_14default_configENS1_27scan_by_key_config_selectorIssEEZZNS1_16scan_by_key_implILNS1_25lookback_scan_determinismE0ELb1ES3_N6thrust23THRUST_200600_302600_NS6detail15normal_iteratorINS9_10device_ptrIsEEEESE_SE_sNS9_10multipliesIsEENS9_8equal_toIsEEsEE10hipError_tPvRmT2_T3_T4_T5_mT6_T7_P12ihipStream_tbENKUlT_T0_E_clISt17integral_constantIbLb0EESY_IbLb1EEEEDaSU_SV_EUlSU_E_NS1_11comp_targetILNS1_3genE9ELNS1_11target_archE1100ELNS1_3gpuE3ELNS1_3repE0EEENS1_30default_config_static_selectorELNS0_4arch9wavefront6targetE1EEEvT1_.kd
    .uniform_work_group_size: 1
    .uses_dynamic_stack: false
    .vgpr_count:     0
    .vgpr_spill_count: 0
    .wavefront_size: 64
  - .agpr_count:     0
    .args:
      - .offset:         0
        .size:           112
        .value_kind:     by_value
    .group_segment_fixed_size: 0
    .kernarg_segment_align: 8
    .kernarg_segment_size: 112
    .language:       OpenCL C
    .language_version:
      - 2
      - 0
    .max_flat_workgroup_size: 64
    .name:           _ZN7rocprim17ROCPRIM_400000_NS6detail17trampoline_kernelINS0_14default_configENS1_27scan_by_key_config_selectorIssEEZZNS1_16scan_by_key_implILNS1_25lookback_scan_determinismE0ELb1ES3_N6thrust23THRUST_200600_302600_NS6detail15normal_iteratorINS9_10device_ptrIsEEEESE_SE_sNS9_10multipliesIsEENS9_8equal_toIsEEsEE10hipError_tPvRmT2_T3_T4_T5_mT6_T7_P12ihipStream_tbENKUlT_T0_E_clISt17integral_constantIbLb0EESY_IbLb1EEEEDaSU_SV_EUlSU_E_NS1_11comp_targetILNS1_3genE8ELNS1_11target_archE1030ELNS1_3gpuE2ELNS1_3repE0EEENS1_30default_config_static_selectorELNS0_4arch9wavefront6targetE1EEEvT1_
    .private_segment_fixed_size: 0
    .sgpr_count:     4
    .sgpr_spill_count: 0
    .symbol:         _ZN7rocprim17ROCPRIM_400000_NS6detail17trampoline_kernelINS0_14default_configENS1_27scan_by_key_config_selectorIssEEZZNS1_16scan_by_key_implILNS1_25lookback_scan_determinismE0ELb1ES3_N6thrust23THRUST_200600_302600_NS6detail15normal_iteratorINS9_10device_ptrIsEEEESE_SE_sNS9_10multipliesIsEENS9_8equal_toIsEEsEE10hipError_tPvRmT2_T3_T4_T5_mT6_T7_P12ihipStream_tbENKUlT_T0_E_clISt17integral_constantIbLb0EESY_IbLb1EEEEDaSU_SV_EUlSU_E_NS1_11comp_targetILNS1_3genE8ELNS1_11target_archE1030ELNS1_3gpuE2ELNS1_3repE0EEENS1_30default_config_static_selectorELNS0_4arch9wavefront6targetE1EEEvT1_.kd
    .uniform_work_group_size: 1
    .uses_dynamic_stack: false
    .vgpr_count:     0
    .vgpr_spill_count: 0
    .wavefront_size: 64
  - .agpr_count:     0
    .args:
      - .offset:         0
        .size:           112
        .value_kind:     by_value
    .group_segment_fixed_size: 0
    .kernarg_segment_align: 8
    .kernarg_segment_size: 112
    .language:       OpenCL C
    .language_version:
      - 2
      - 0
    .max_flat_workgroup_size: 256
    .name:           _ZN7rocprim17ROCPRIM_400000_NS6detail17trampoline_kernelINS0_14default_configENS1_27scan_by_key_config_selectorIssEEZZNS1_16scan_by_key_implILNS1_25lookback_scan_determinismE0ELb1ES3_N6thrust23THRUST_200600_302600_NS6detail15normal_iteratorINS9_10device_ptrIsEEEESE_SE_sNS9_4plusIvEENS9_8equal_toIsEEsEE10hipError_tPvRmT2_T3_T4_T5_mT6_T7_P12ihipStream_tbENKUlT_T0_E_clISt17integral_constantIbLb0EESZ_EEDaSU_SV_EUlSU_E_NS1_11comp_targetILNS1_3genE0ELNS1_11target_archE4294967295ELNS1_3gpuE0ELNS1_3repE0EEENS1_30default_config_static_selectorELNS0_4arch9wavefront6targetE1EEEvT1_
    .private_segment_fixed_size: 0
    .sgpr_count:     4
    .sgpr_spill_count: 0
    .symbol:         _ZN7rocprim17ROCPRIM_400000_NS6detail17trampoline_kernelINS0_14default_configENS1_27scan_by_key_config_selectorIssEEZZNS1_16scan_by_key_implILNS1_25lookback_scan_determinismE0ELb1ES3_N6thrust23THRUST_200600_302600_NS6detail15normal_iteratorINS9_10device_ptrIsEEEESE_SE_sNS9_4plusIvEENS9_8equal_toIsEEsEE10hipError_tPvRmT2_T3_T4_T5_mT6_T7_P12ihipStream_tbENKUlT_T0_E_clISt17integral_constantIbLb0EESZ_EEDaSU_SV_EUlSU_E_NS1_11comp_targetILNS1_3genE0ELNS1_11target_archE4294967295ELNS1_3gpuE0ELNS1_3repE0EEENS1_30default_config_static_selectorELNS0_4arch9wavefront6targetE1EEEvT1_.kd
    .uniform_work_group_size: 1
    .uses_dynamic_stack: false
    .vgpr_count:     0
    .vgpr_spill_count: 0
    .wavefront_size: 64
  - .agpr_count:     0
    .args:
      - .offset:         0
        .size:           112
        .value_kind:     by_value
    .group_segment_fixed_size: 0
    .kernarg_segment_align: 8
    .kernarg_segment_size: 112
    .language:       OpenCL C
    .language_version:
      - 2
      - 0
    .max_flat_workgroup_size: 128
    .name:           _ZN7rocprim17ROCPRIM_400000_NS6detail17trampoline_kernelINS0_14default_configENS1_27scan_by_key_config_selectorIssEEZZNS1_16scan_by_key_implILNS1_25lookback_scan_determinismE0ELb1ES3_N6thrust23THRUST_200600_302600_NS6detail15normal_iteratorINS9_10device_ptrIsEEEESE_SE_sNS9_4plusIvEENS9_8equal_toIsEEsEE10hipError_tPvRmT2_T3_T4_T5_mT6_T7_P12ihipStream_tbENKUlT_T0_E_clISt17integral_constantIbLb0EESZ_EEDaSU_SV_EUlSU_E_NS1_11comp_targetILNS1_3genE10ELNS1_11target_archE1201ELNS1_3gpuE5ELNS1_3repE0EEENS1_30default_config_static_selectorELNS0_4arch9wavefront6targetE1EEEvT1_
    .private_segment_fixed_size: 0
    .sgpr_count:     4
    .sgpr_spill_count: 0
    .symbol:         _ZN7rocprim17ROCPRIM_400000_NS6detail17trampoline_kernelINS0_14default_configENS1_27scan_by_key_config_selectorIssEEZZNS1_16scan_by_key_implILNS1_25lookback_scan_determinismE0ELb1ES3_N6thrust23THRUST_200600_302600_NS6detail15normal_iteratorINS9_10device_ptrIsEEEESE_SE_sNS9_4plusIvEENS9_8equal_toIsEEsEE10hipError_tPvRmT2_T3_T4_T5_mT6_T7_P12ihipStream_tbENKUlT_T0_E_clISt17integral_constantIbLb0EESZ_EEDaSU_SV_EUlSU_E_NS1_11comp_targetILNS1_3genE10ELNS1_11target_archE1201ELNS1_3gpuE5ELNS1_3repE0EEENS1_30default_config_static_selectorELNS0_4arch9wavefront6targetE1EEEvT1_.kd
    .uniform_work_group_size: 1
    .uses_dynamic_stack: false
    .vgpr_count:     0
    .vgpr_spill_count: 0
    .wavefront_size: 64
  - .agpr_count:     0
    .args:
      - .offset:         0
        .size:           112
        .value_kind:     by_value
    .group_segment_fixed_size: 0
    .kernarg_segment_align: 8
    .kernarg_segment_size: 112
    .language:       OpenCL C
    .language_version:
      - 2
      - 0
    .max_flat_workgroup_size: 256
    .name:           _ZN7rocprim17ROCPRIM_400000_NS6detail17trampoline_kernelINS0_14default_configENS1_27scan_by_key_config_selectorIssEEZZNS1_16scan_by_key_implILNS1_25lookback_scan_determinismE0ELb1ES3_N6thrust23THRUST_200600_302600_NS6detail15normal_iteratorINS9_10device_ptrIsEEEESE_SE_sNS9_4plusIvEENS9_8equal_toIsEEsEE10hipError_tPvRmT2_T3_T4_T5_mT6_T7_P12ihipStream_tbENKUlT_T0_E_clISt17integral_constantIbLb0EESZ_EEDaSU_SV_EUlSU_E_NS1_11comp_targetILNS1_3genE5ELNS1_11target_archE942ELNS1_3gpuE9ELNS1_3repE0EEENS1_30default_config_static_selectorELNS0_4arch9wavefront6targetE1EEEvT1_
    .private_segment_fixed_size: 0
    .sgpr_count:     4
    .sgpr_spill_count: 0
    .symbol:         _ZN7rocprim17ROCPRIM_400000_NS6detail17trampoline_kernelINS0_14default_configENS1_27scan_by_key_config_selectorIssEEZZNS1_16scan_by_key_implILNS1_25lookback_scan_determinismE0ELb1ES3_N6thrust23THRUST_200600_302600_NS6detail15normal_iteratorINS9_10device_ptrIsEEEESE_SE_sNS9_4plusIvEENS9_8equal_toIsEEsEE10hipError_tPvRmT2_T3_T4_T5_mT6_T7_P12ihipStream_tbENKUlT_T0_E_clISt17integral_constantIbLb0EESZ_EEDaSU_SV_EUlSU_E_NS1_11comp_targetILNS1_3genE5ELNS1_11target_archE942ELNS1_3gpuE9ELNS1_3repE0EEENS1_30default_config_static_selectorELNS0_4arch9wavefront6targetE1EEEvT1_.kd
    .uniform_work_group_size: 1
    .uses_dynamic_stack: false
    .vgpr_count:     0
    .vgpr_spill_count: 0
    .wavefront_size: 64
  - .agpr_count:     0
    .args:
      - .offset:         0
        .size:           112
        .value_kind:     by_value
    .group_segment_fixed_size: 12288
    .kernarg_segment_align: 8
    .kernarg_segment_size: 112
    .language:       OpenCL C
    .language_version:
      - 2
      - 0
    .max_flat_workgroup_size: 256
    .name:           _ZN7rocprim17ROCPRIM_400000_NS6detail17trampoline_kernelINS0_14default_configENS1_27scan_by_key_config_selectorIssEEZZNS1_16scan_by_key_implILNS1_25lookback_scan_determinismE0ELb1ES3_N6thrust23THRUST_200600_302600_NS6detail15normal_iteratorINS9_10device_ptrIsEEEESE_SE_sNS9_4plusIvEENS9_8equal_toIsEEsEE10hipError_tPvRmT2_T3_T4_T5_mT6_T7_P12ihipStream_tbENKUlT_T0_E_clISt17integral_constantIbLb0EESZ_EEDaSU_SV_EUlSU_E_NS1_11comp_targetILNS1_3genE4ELNS1_11target_archE910ELNS1_3gpuE8ELNS1_3repE0EEENS1_30default_config_static_selectorELNS0_4arch9wavefront6targetE1EEEvT1_
    .private_segment_fixed_size: 0
    .sgpr_count:     79
    .sgpr_spill_count: 0
    .symbol:         _ZN7rocprim17ROCPRIM_400000_NS6detail17trampoline_kernelINS0_14default_configENS1_27scan_by_key_config_selectorIssEEZZNS1_16scan_by_key_implILNS1_25lookback_scan_determinismE0ELb1ES3_N6thrust23THRUST_200600_302600_NS6detail15normal_iteratorINS9_10device_ptrIsEEEESE_SE_sNS9_4plusIvEENS9_8equal_toIsEEsEE10hipError_tPvRmT2_T3_T4_T5_mT6_T7_P12ihipStream_tbENKUlT_T0_E_clISt17integral_constantIbLb0EESZ_EEDaSU_SV_EUlSU_E_NS1_11comp_targetILNS1_3genE4ELNS1_11target_archE910ELNS1_3gpuE8ELNS1_3repE0EEENS1_30default_config_static_selectorELNS0_4arch9wavefront6targetE1EEEvT1_.kd
    .uniform_work_group_size: 1
    .uses_dynamic_stack: false
    .vgpr_count:     58
    .vgpr_spill_count: 0
    .wavefront_size: 64
  - .agpr_count:     0
    .args:
      - .offset:         0
        .size:           112
        .value_kind:     by_value
    .group_segment_fixed_size: 0
    .kernarg_segment_align: 8
    .kernarg_segment_size: 112
    .language:       OpenCL C
    .language_version:
      - 2
      - 0
    .max_flat_workgroup_size: 256
    .name:           _ZN7rocprim17ROCPRIM_400000_NS6detail17trampoline_kernelINS0_14default_configENS1_27scan_by_key_config_selectorIssEEZZNS1_16scan_by_key_implILNS1_25lookback_scan_determinismE0ELb1ES3_N6thrust23THRUST_200600_302600_NS6detail15normal_iteratorINS9_10device_ptrIsEEEESE_SE_sNS9_4plusIvEENS9_8equal_toIsEEsEE10hipError_tPvRmT2_T3_T4_T5_mT6_T7_P12ihipStream_tbENKUlT_T0_E_clISt17integral_constantIbLb0EESZ_EEDaSU_SV_EUlSU_E_NS1_11comp_targetILNS1_3genE3ELNS1_11target_archE908ELNS1_3gpuE7ELNS1_3repE0EEENS1_30default_config_static_selectorELNS0_4arch9wavefront6targetE1EEEvT1_
    .private_segment_fixed_size: 0
    .sgpr_count:     4
    .sgpr_spill_count: 0
    .symbol:         _ZN7rocprim17ROCPRIM_400000_NS6detail17trampoline_kernelINS0_14default_configENS1_27scan_by_key_config_selectorIssEEZZNS1_16scan_by_key_implILNS1_25lookback_scan_determinismE0ELb1ES3_N6thrust23THRUST_200600_302600_NS6detail15normal_iteratorINS9_10device_ptrIsEEEESE_SE_sNS9_4plusIvEENS9_8equal_toIsEEsEE10hipError_tPvRmT2_T3_T4_T5_mT6_T7_P12ihipStream_tbENKUlT_T0_E_clISt17integral_constantIbLb0EESZ_EEDaSU_SV_EUlSU_E_NS1_11comp_targetILNS1_3genE3ELNS1_11target_archE908ELNS1_3gpuE7ELNS1_3repE0EEENS1_30default_config_static_selectorELNS0_4arch9wavefront6targetE1EEEvT1_.kd
    .uniform_work_group_size: 1
    .uses_dynamic_stack: false
    .vgpr_count:     0
    .vgpr_spill_count: 0
    .wavefront_size: 64
  - .agpr_count:     0
    .args:
      - .offset:         0
        .size:           112
        .value_kind:     by_value
    .group_segment_fixed_size: 0
    .kernarg_segment_align: 8
    .kernarg_segment_size: 112
    .language:       OpenCL C
    .language_version:
      - 2
      - 0
    .max_flat_workgroup_size: 64
    .name:           _ZN7rocprim17ROCPRIM_400000_NS6detail17trampoline_kernelINS0_14default_configENS1_27scan_by_key_config_selectorIssEEZZNS1_16scan_by_key_implILNS1_25lookback_scan_determinismE0ELb1ES3_N6thrust23THRUST_200600_302600_NS6detail15normal_iteratorINS9_10device_ptrIsEEEESE_SE_sNS9_4plusIvEENS9_8equal_toIsEEsEE10hipError_tPvRmT2_T3_T4_T5_mT6_T7_P12ihipStream_tbENKUlT_T0_E_clISt17integral_constantIbLb0EESZ_EEDaSU_SV_EUlSU_E_NS1_11comp_targetILNS1_3genE2ELNS1_11target_archE906ELNS1_3gpuE6ELNS1_3repE0EEENS1_30default_config_static_selectorELNS0_4arch9wavefront6targetE1EEEvT1_
    .private_segment_fixed_size: 0
    .sgpr_count:     4
    .sgpr_spill_count: 0
    .symbol:         _ZN7rocprim17ROCPRIM_400000_NS6detail17trampoline_kernelINS0_14default_configENS1_27scan_by_key_config_selectorIssEEZZNS1_16scan_by_key_implILNS1_25lookback_scan_determinismE0ELb1ES3_N6thrust23THRUST_200600_302600_NS6detail15normal_iteratorINS9_10device_ptrIsEEEESE_SE_sNS9_4plusIvEENS9_8equal_toIsEEsEE10hipError_tPvRmT2_T3_T4_T5_mT6_T7_P12ihipStream_tbENKUlT_T0_E_clISt17integral_constantIbLb0EESZ_EEDaSU_SV_EUlSU_E_NS1_11comp_targetILNS1_3genE2ELNS1_11target_archE906ELNS1_3gpuE6ELNS1_3repE0EEENS1_30default_config_static_selectorELNS0_4arch9wavefront6targetE1EEEvT1_.kd
    .uniform_work_group_size: 1
    .uses_dynamic_stack: false
    .vgpr_count:     0
    .vgpr_spill_count: 0
    .wavefront_size: 64
  - .agpr_count:     0
    .args:
      - .offset:         0
        .size:           112
        .value_kind:     by_value
    .group_segment_fixed_size: 0
    .kernarg_segment_align: 8
    .kernarg_segment_size: 112
    .language:       OpenCL C
    .language_version:
      - 2
      - 0
    .max_flat_workgroup_size: 256
    .name:           _ZN7rocprim17ROCPRIM_400000_NS6detail17trampoline_kernelINS0_14default_configENS1_27scan_by_key_config_selectorIssEEZZNS1_16scan_by_key_implILNS1_25lookback_scan_determinismE0ELb1ES3_N6thrust23THRUST_200600_302600_NS6detail15normal_iteratorINS9_10device_ptrIsEEEESE_SE_sNS9_4plusIvEENS9_8equal_toIsEEsEE10hipError_tPvRmT2_T3_T4_T5_mT6_T7_P12ihipStream_tbENKUlT_T0_E_clISt17integral_constantIbLb0EESZ_EEDaSU_SV_EUlSU_E_NS1_11comp_targetILNS1_3genE10ELNS1_11target_archE1200ELNS1_3gpuE4ELNS1_3repE0EEENS1_30default_config_static_selectorELNS0_4arch9wavefront6targetE1EEEvT1_
    .private_segment_fixed_size: 0
    .sgpr_count:     4
    .sgpr_spill_count: 0
    .symbol:         _ZN7rocprim17ROCPRIM_400000_NS6detail17trampoline_kernelINS0_14default_configENS1_27scan_by_key_config_selectorIssEEZZNS1_16scan_by_key_implILNS1_25lookback_scan_determinismE0ELb1ES3_N6thrust23THRUST_200600_302600_NS6detail15normal_iteratorINS9_10device_ptrIsEEEESE_SE_sNS9_4plusIvEENS9_8equal_toIsEEsEE10hipError_tPvRmT2_T3_T4_T5_mT6_T7_P12ihipStream_tbENKUlT_T0_E_clISt17integral_constantIbLb0EESZ_EEDaSU_SV_EUlSU_E_NS1_11comp_targetILNS1_3genE10ELNS1_11target_archE1200ELNS1_3gpuE4ELNS1_3repE0EEENS1_30default_config_static_selectorELNS0_4arch9wavefront6targetE1EEEvT1_.kd
    .uniform_work_group_size: 1
    .uses_dynamic_stack: false
    .vgpr_count:     0
    .vgpr_spill_count: 0
    .wavefront_size: 64
  - .agpr_count:     0
    .args:
      - .offset:         0
        .size:           112
        .value_kind:     by_value
    .group_segment_fixed_size: 0
    .kernarg_segment_align: 8
    .kernarg_segment_size: 112
    .language:       OpenCL C
    .language_version:
      - 2
      - 0
    .max_flat_workgroup_size: 256
    .name:           _ZN7rocprim17ROCPRIM_400000_NS6detail17trampoline_kernelINS0_14default_configENS1_27scan_by_key_config_selectorIssEEZZNS1_16scan_by_key_implILNS1_25lookback_scan_determinismE0ELb1ES3_N6thrust23THRUST_200600_302600_NS6detail15normal_iteratorINS9_10device_ptrIsEEEESE_SE_sNS9_4plusIvEENS9_8equal_toIsEEsEE10hipError_tPvRmT2_T3_T4_T5_mT6_T7_P12ihipStream_tbENKUlT_T0_E_clISt17integral_constantIbLb0EESZ_EEDaSU_SV_EUlSU_E_NS1_11comp_targetILNS1_3genE9ELNS1_11target_archE1100ELNS1_3gpuE3ELNS1_3repE0EEENS1_30default_config_static_selectorELNS0_4arch9wavefront6targetE1EEEvT1_
    .private_segment_fixed_size: 0
    .sgpr_count:     4
    .sgpr_spill_count: 0
    .symbol:         _ZN7rocprim17ROCPRIM_400000_NS6detail17trampoline_kernelINS0_14default_configENS1_27scan_by_key_config_selectorIssEEZZNS1_16scan_by_key_implILNS1_25lookback_scan_determinismE0ELb1ES3_N6thrust23THRUST_200600_302600_NS6detail15normal_iteratorINS9_10device_ptrIsEEEESE_SE_sNS9_4plusIvEENS9_8equal_toIsEEsEE10hipError_tPvRmT2_T3_T4_T5_mT6_T7_P12ihipStream_tbENKUlT_T0_E_clISt17integral_constantIbLb0EESZ_EEDaSU_SV_EUlSU_E_NS1_11comp_targetILNS1_3genE9ELNS1_11target_archE1100ELNS1_3gpuE3ELNS1_3repE0EEENS1_30default_config_static_selectorELNS0_4arch9wavefront6targetE1EEEvT1_.kd
    .uniform_work_group_size: 1
    .uses_dynamic_stack: false
    .vgpr_count:     0
    .vgpr_spill_count: 0
    .wavefront_size: 64
  - .agpr_count:     0
    .args:
      - .offset:         0
        .size:           112
        .value_kind:     by_value
    .group_segment_fixed_size: 0
    .kernarg_segment_align: 8
    .kernarg_segment_size: 112
    .language:       OpenCL C
    .language_version:
      - 2
      - 0
    .max_flat_workgroup_size: 64
    .name:           _ZN7rocprim17ROCPRIM_400000_NS6detail17trampoline_kernelINS0_14default_configENS1_27scan_by_key_config_selectorIssEEZZNS1_16scan_by_key_implILNS1_25lookback_scan_determinismE0ELb1ES3_N6thrust23THRUST_200600_302600_NS6detail15normal_iteratorINS9_10device_ptrIsEEEESE_SE_sNS9_4plusIvEENS9_8equal_toIsEEsEE10hipError_tPvRmT2_T3_T4_T5_mT6_T7_P12ihipStream_tbENKUlT_T0_E_clISt17integral_constantIbLb0EESZ_EEDaSU_SV_EUlSU_E_NS1_11comp_targetILNS1_3genE8ELNS1_11target_archE1030ELNS1_3gpuE2ELNS1_3repE0EEENS1_30default_config_static_selectorELNS0_4arch9wavefront6targetE1EEEvT1_
    .private_segment_fixed_size: 0
    .sgpr_count:     4
    .sgpr_spill_count: 0
    .symbol:         _ZN7rocprim17ROCPRIM_400000_NS6detail17trampoline_kernelINS0_14default_configENS1_27scan_by_key_config_selectorIssEEZZNS1_16scan_by_key_implILNS1_25lookback_scan_determinismE0ELb1ES3_N6thrust23THRUST_200600_302600_NS6detail15normal_iteratorINS9_10device_ptrIsEEEESE_SE_sNS9_4plusIvEENS9_8equal_toIsEEsEE10hipError_tPvRmT2_T3_T4_T5_mT6_T7_P12ihipStream_tbENKUlT_T0_E_clISt17integral_constantIbLb0EESZ_EEDaSU_SV_EUlSU_E_NS1_11comp_targetILNS1_3genE8ELNS1_11target_archE1030ELNS1_3gpuE2ELNS1_3repE0EEENS1_30default_config_static_selectorELNS0_4arch9wavefront6targetE1EEEvT1_.kd
    .uniform_work_group_size: 1
    .uses_dynamic_stack: false
    .vgpr_count:     0
    .vgpr_spill_count: 0
    .wavefront_size: 64
  - .agpr_count:     0
    .args:
      - .offset:         0
        .size:           112
        .value_kind:     by_value
    .group_segment_fixed_size: 0
    .kernarg_segment_align: 8
    .kernarg_segment_size: 112
    .language:       OpenCL C
    .language_version:
      - 2
      - 0
    .max_flat_workgroup_size: 256
    .name:           _ZN7rocprim17ROCPRIM_400000_NS6detail17trampoline_kernelINS0_14default_configENS1_27scan_by_key_config_selectorIssEEZZNS1_16scan_by_key_implILNS1_25lookback_scan_determinismE0ELb1ES3_N6thrust23THRUST_200600_302600_NS6detail15normal_iteratorINS9_10device_ptrIsEEEESE_SE_sNS9_4plusIvEENS9_8equal_toIsEEsEE10hipError_tPvRmT2_T3_T4_T5_mT6_T7_P12ihipStream_tbENKUlT_T0_E_clISt17integral_constantIbLb1EESZ_EEDaSU_SV_EUlSU_E_NS1_11comp_targetILNS1_3genE0ELNS1_11target_archE4294967295ELNS1_3gpuE0ELNS1_3repE0EEENS1_30default_config_static_selectorELNS0_4arch9wavefront6targetE1EEEvT1_
    .private_segment_fixed_size: 0
    .sgpr_count:     4
    .sgpr_spill_count: 0
    .symbol:         _ZN7rocprim17ROCPRIM_400000_NS6detail17trampoline_kernelINS0_14default_configENS1_27scan_by_key_config_selectorIssEEZZNS1_16scan_by_key_implILNS1_25lookback_scan_determinismE0ELb1ES3_N6thrust23THRUST_200600_302600_NS6detail15normal_iteratorINS9_10device_ptrIsEEEESE_SE_sNS9_4plusIvEENS9_8equal_toIsEEsEE10hipError_tPvRmT2_T3_T4_T5_mT6_T7_P12ihipStream_tbENKUlT_T0_E_clISt17integral_constantIbLb1EESZ_EEDaSU_SV_EUlSU_E_NS1_11comp_targetILNS1_3genE0ELNS1_11target_archE4294967295ELNS1_3gpuE0ELNS1_3repE0EEENS1_30default_config_static_selectorELNS0_4arch9wavefront6targetE1EEEvT1_.kd
    .uniform_work_group_size: 1
    .uses_dynamic_stack: false
    .vgpr_count:     0
    .vgpr_spill_count: 0
    .wavefront_size: 64
  - .agpr_count:     0
    .args:
      - .offset:         0
        .size:           112
        .value_kind:     by_value
    .group_segment_fixed_size: 0
    .kernarg_segment_align: 8
    .kernarg_segment_size: 112
    .language:       OpenCL C
    .language_version:
      - 2
      - 0
    .max_flat_workgroup_size: 128
    .name:           _ZN7rocprim17ROCPRIM_400000_NS6detail17trampoline_kernelINS0_14default_configENS1_27scan_by_key_config_selectorIssEEZZNS1_16scan_by_key_implILNS1_25lookback_scan_determinismE0ELb1ES3_N6thrust23THRUST_200600_302600_NS6detail15normal_iteratorINS9_10device_ptrIsEEEESE_SE_sNS9_4plusIvEENS9_8equal_toIsEEsEE10hipError_tPvRmT2_T3_T4_T5_mT6_T7_P12ihipStream_tbENKUlT_T0_E_clISt17integral_constantIbLb1EESZ_EEDaSU_SV_EUlSU_E_NS1_11comp_targetILNS1_3genE10ELNS1_11target_archE1201ELNS1_3gpuE5ELNS1_3repE0EEENS1_30default_config_static_selectorELNS0_4arch9wavefront6targetE1EEEvT1_
    .private_segment_fixed_size: 0
    .sgpr_count:     4
    .sgpr_spill_count: 0
    .symbol:         _ZN7rocprim17ROCPRIM_400000_NS6detail17trampoline_kernelINS0_14default_configENS1_27scan_by_key_config_selectorIssEEZZNS1_16scan_by_key_implILNS1_25lookback_scan_determinismE0ELb1ES3_N6thrust23THRUST_200600_302600_NS6detail15normal_iteratorINS9_10device_ptrIsEEEESE_SE_sNS9_4plusIvEENS9_8equal_toIsEEsEE10hipError_tPvRmT2_T3_T4_T5_mT6_T7_P12ihipStream_tbENKUlT_T0_E_clISt17integral_constantIbLb1EESZ_EEDaSU_SV_EUlSU_E_NS1_11comp_targetILNS1_3genE10ELNS1_11target_archE1201ELNS1_3gpuE5ELNS1_3repE0EEENS1_30default_config_static_selectorELNS0_4arch9wavefront6targetE1EEEvT1_.kd
    .uniform_work_group_size: 1
    .uses_dynamic_stack: false
    .vgpr_count:     0
    .vgpr_spill_count: 0
    .wavefront_size: 64
  - .agpr_count:     0
    .args:
      - .offset:         0
        .size:           112
        .value_kind:     by_value
    .group_segment_fixed_size: 0
    .kernarg_segment_align: 8
    .kernarg_segment_size: 112
    .language:       OpenCL C
    .language_version:
      - 2
      - 0
    .max_flat_workgroup_size: 256
    .name:           _ZN7rocprim17ROCPRIM_400000_NS6detail17trampoline_kernelINS0_14default_configENS1_27scan_by_key_config_selectorIssEEZZNS1_16scan_by_key_implILNS1_25lookback_scan_determinismE0ELb1ES3_N6thrust23THRUST_200600_302600_NS6detail15normal_iteratorINS9_10device_ptrIsEEEESE_SE_sNS9_4plusIvEENS9_8equal_toIsEEsEE10hipError_tPvRmT2_T3_T4_T5_mT6_T7_P12ihipStream_tbENKUlT_T0_E_clISt17integral_constantIbLb1EESZ_EEDaSU_SV_EUlSU_E_NS1_11comp_targetILNS1_3genE5ELNS1_11target_archE942ELNS1_3gpuE9ELNS1_3repE0EEENS1_30default_config_static_selectorELNS0_4arch9wavefront6targetE1EEEvT1_
    .private_segment_fixed_size: 0
    .sgpr_count:     4
    .sgpr_spill_count: 0
    .symbol:         _ZN7rocprim17ROCPRIM_400000_NS6detail17trampoline_kernelINS0_14default_configENS1_27scan_by_key_config_selectorIssEEZZNS1_16scan_by_key_implILNS1_25lookback_scan_determinismE0ELb1ES3_N6thrust23THRUST_200600_302600_NS6detail15normal_iteratorINS9_10device_ptrIsEEEESE_SE_sNS9_4plusIvEENS9_8equal_toIsEEsEE10hipError_tPvRmT2_T3_T4_T5_mT6_T7_P12ihipStream_tbENKUlT_T0_E_clISt17integral_constantIbLb1EESZ_EEDaSU_SV_EUlSU_E_NS1_11comp_targetILNS1_3genE5ELNS1_11target_archE942ELNS1_3gpuE9ELNS1_3repE0EEENS1_30default_config_static_selectorELNS0_4arch9wavefront6targetE1EEEvT1_.kd
    .uniform_work_group_size: 1
    .uses_dynamic_stack: false
    .vgpr_count:     0
    .vgpr_spill_count: 0
    .wavefront_size: 64
  - .agpr_count:     0
    .args:
      - .offset:         0
        .size:           112
        .value_kind:     by_value
    .group_segment_fixed_size: 12288
    .kernarg_segment_align: 8
    .kernarg_segment_size: 112
    .language:       OpenCL C
    .language_version:
      - 2
      - 0
    .max_flat_workgroup_size: 256
    .name:           _ZN7rocprim17ROCPRIM_400000_NS6detail17trampoline_kernelINS0_14default_configENS1_27scan_by_key_config_selectorIssEEZZNS1_16scan_by_key_implILNS1_25lookback_scan_determinismE0ELb1ES3_N6thrust23THRUST_200600_302600_NS6detail15normal_iteratorINS9_10device_ptrIsEEEESE_SE_sNS9_4plusIvEENS9_8equal_toIsEEsEE10hipError_tPvRmT2_T3_T4_T5_mT6_T7_P12ihipStream_tbENKUlT_T0_E_clISt17integral_constantIbLb1EESZ_EEDaSU_SV_EUlSU_E_NS1_11comp_targetILNS1_3genE4ELNS1_11target_archE910ELNS1_3gpuE8ELNS1_3repE0EEENS1_30default_config_static_selectorELNS0_4arch9wavefront6targetE1EEEvT1_
    .private_segment_fixed_size: 0
    .sgpr_count:     78
    .sgpr_spill_count: 0
    .symbol:         _ZN7rocprim17ROCPRIM_400000_NS6detail17trampoline_kernelINS0_14default_configENS1_27scan_by_key_config_selectorIssEEZZNS1_16scan_by_key_implILNS1_25lookback_scan_determinismE0ELb1ES3_N6thrust23THRUST_200600_302600_NS6detail15normal_iteratorINS9_10device_ptrIsEEEESE_SE_sNS9_4plusIvEENS9_8equal_toIsEEsEE10hipError_tPvRmT2_T3_T4_T5_mT6_T7_P12ihipStream_tbENKUlT_T0_E_clISt17integral_constantIbLb1EESZ_EEDaSU_SV_EUlSU_E_NS1_11comp_targetILNS1_3genE4ELNS1_11target_archE910ELNS1_3gpuE8ELNS1_3repE0EEENS1_30default_config_static_selectorELNS0_4arch9wavefront6targetE1EEEvT1_.kd
    .uniform_work_group_size: 1
    .uses_dynamic_stack: false
    .vgpr_count:     60
    .vgpr_spill_count: 0
    .wavefront_size: 64
  - .agpr_count:     0
    .args:
      - .offset:         0
        .size:           112
        .value_kind:     by_value
    .group_segment_fixed_size: 0
    .kernarg_segment_align: 8
    .kernarg_segment_size: 112
    .language:       OpenCL C
    .language_version:
      - 2
      - 0
    .max_flat_workgroup_size: 256
    .name:           _ZN7rocprim17ROCPRIM_400000_NS6detail17trampoline_kernelINS0_14default_configENS1_27scan_by_key_config_selectorIssEEZZNS1_16scan_by_key_implILNS1_25lookback_scan_determinismE0ELb1ES3_N6thrust23THRUST_200600_302600_NS6detail15normal_iteratorINS9_10device_ptrIsEEEESE_SE_sNS9_4plusIvEENS9_8equal_toIsEEsEE10hipError_tPvRmT2_T3_T4_T5_mT6_T7_P12ihipStream_tbENKUlT_T0_E_clISt17integral_constantIbLb1EESZ_EEDaSU_SV_EUlSU_E_NS1_11comp_targetILNS1_3genE3ELNS1_11target_archE908ELNS1_3gpuE7ELNS1_3repE0EEENS1_30default_config_static_selectorELNS0_4arch9wavefront6targetE1EEEvT1_
    .private_segment_fixed_size: 0
    .sgpr_count:     4
    .sgpr_spill_count: 0
    .symbol:         _ZN7rocprim17ROCPRIM_400000_NS6detail17trampoline_kernelINS0_14default_configENS1_27scan_by_key_config_selectorIssEEZZNS1_16scan_by_key_implILNS1_25lookback_scan_determinismE0ELb1ES3_N6thrust23THRUST_200600_302600_NS6detail15normal_iteratorINS9_10device_ptrIsEEEESE_SE_sNS9_4plusIvEENS9_8equal_toIsEEsEE10hipError_tPvRmT2_T3_T4_T5_mT6_T7_P12ihipStream_tbENKUlT_T0_E_clISt17integral_constantIbLb1EESZ_EEDaSU_SV_EUlSU_E_NS1_11comp_targetILNS1_3genE3ELNS1_11target_archE908ELNS1_3gpuE7ELNS1_3repE0EEENS1_30default_config_static_selectorELNS0_4arch9wavefront6targetE1EEEvT1_.kd
    .uniform_work_group_size: 1
    .uses_dynamic_stack: false
    .vgpr_count:     0
    .vgpr_spill_count: 0
    .wavefront_size: 64
  - .agpr_count:     0
    .args:
      - .offset:         0
        .size:           112
        .value_kind:     by_value
    .group_segment_fixed_size: 0
    .kernarg_segment_align: 8
    .kernarg_segment_size: 112
    .language:       OpenCL C
    .language_version:
      - 2
      - 0
    .max_flat_workgroup_size: 64
    .name:           _ZN7rocprim17ROCPRIM_400000_NS6detail17trampoline_kernelINS0_14default_configENS1_27scan_by_key_config_selectorIssEEZZNS1_16scan_by_key_implILNS1_25lookback_scan_determinismE0ELb1ES3_N6thrust23THRUST_200600_302600_NS6detail15normal_iteratorINS9_10device_ptrIsEEEESE_SE_sNS9_4plusIvEENS9_8equal_toIsEEsEE10hipError_tPvRmT2_T3_T4_T5_mT6_T7_P12ihipStream_tbENKUlT_T0_E_clISt17integral_constantIbLb1EESZ_EEDaSU_SV_EUlSU_E_NS1_11comp_targetILNS1_3genE2ELNS1_11target_archE906ELNS1_3gpuE6ELNS1_3repE0EEENS1_30default_config_static_selectorELNS0_4arch9wavefront6targetE1EEEvT1_
    .private_segment_fixed_size: 0
    .sgpr_count:     4
    .sgpr_spill_count: 0
    .symbol:         _ZN7rocprim17ROCPRIM_400000_NS6detail17trampoline_kernelINS0_14default_configENS1_27scan_by_key_config_selectorIssEEZZNS1_16scan_by_key_implILNS1_25lookback_scan_determinismE0ELb1ES3_N6thrust23THRUST_200600_302600_NS6detail15normal_iteratorINS9_10device_ptrIsEEEESE_SE_sNS9_4plusIvEENS9_8equal_toIsEEsEE10hipError_tPvRmT2_T3_T4_T5_mT6_T7_P12ihipStream_tbENKUlT_T0_E_clISt17integral_constantIbLb1EESZ_EEDaSU_SV_EUlSU_E_NS1_11comp_targetILNS1_3genE2ELNS1_11target_archE906ELNS1_3gpuE6ELNS1_3repE0EEENS1_30default_config_static_selectorELNS0_4arch9wavefront6targetE1EEEvT1_.kd
    .uniform_work_group_size: 1
    .uses_dynamic_stack: false
    .vgpr_count:     0
    .vgpr_spill_count: 0
    .wavefront_size: 64
  - .agpr_count:     0
    .args:
      - .offset:         0
        .size:           112
        .value_kind:     by_value
    .group_segment_fixed_size: 0
    .kernarg_segment_align: 8
    .kernarg_segment_size: 112
    .language:       OpenCL C
    .language_version:
      - 2
      - 0
    .max_flat_workgroup_size: 256
    .name:           _ZN7rocprim17ROCPRIM_400000_NS6detail17trampoline_kernelINS0_14default_configENS1_27scan_by_key_config_selectorIssEEZZNS1_16scan_by_key_implILNS1_25lookback_scan_determinismE0ELb1ES3_N6thrust23THRUST_200600_302600_NS6detail15normal_iteratorINS9_10device_ptrIsEEEESE_SE_sNS9_4plusIvEENS9_8equal_toIsEEsEE10hipError_tPvRmT2_T3_T4_T5_mT6_T7_P12ihipStream_tbENKUlT_T0_E_clISt17integral_constantIbLb1EESZ_EEDaSU_SV_EUlSU_E_NS1_11comp_targetILNS1_3genE10ELNS1_11target_archE1200ELNS1_3gpuE4ELNS1_3repE0EEENS1_30default_config_static_selectorELNS0_4arch9wavefront6targetE1EEEvT1_
    .private_segment_fixed_size: 0
    .sgpr_count:     4
    .sgpr_spill_count: 0
    .symbol:         _ZN7rocprim17ROCPRIM_400000_NS6detail17trampoline_kernelINS0_14default_configENS1_27scan_by_key_config_selectorIssEEZZNS1_16scan_by_key_implILNS1_25lookback_scan_determinismE0ELb1ES3_N6thrust23THRUST_200600_302600_NS6detail15normal_iteratorINS9_10device_ptrIsEEEESE_SE_sNS9_4plusIvEENS9_8equal_toIsEEsEE10hipError_tPvRmT2_T3_T4_T5_mT6_T7_P12ihipStream_tbENKUlT_T0_E_clISt17integral_constantIbLb1EESZ_EEDaSU_SV_EUlSU_E_NS1_11comp_targetILNS1_3genE10ELNS1_11target_archE1200ELNS1_3gpuE4ELNS1_3repE0EEENS1_30default_config_static_selectorELNS0_4arch9wavefront6targetE1EEEvT1_.kd
    .uniform_work_group_size: 1
    .uses_dynamic_stack: false
    .vgpr_count:     0
    .vgpr_spill_count: 0
    .wavefront_size: 64
  - .agpr_count:     0
    .args:
      - .offset:         0
        .size:           112
        .value_kind:     by_value
    .group_segment_fixed_size: 0
    .kernarg_segment_align: 8
    .kernarg_segment_size: 112
    .language:       OpenCL C
    .language_version:
      - 2
      - 0
    .max_flat_workgroup_size: 256
    .name:           _ZN7rocprim17ROCPRIM_400000_NS6detail17trampoline_kernelINS0_14default_configENS1_27scan_by_key_config_selectorIssEEZZNS1_16scan_by_key_implILNS1_25lookback_scan_determinismE0ELb1ES3_N6thrust23THRUST_200600_302600_NS6detail15normal_iteratorINS9_10device_ptrIsEEEESE_SE_sNS9_4plusIvEENS9_8equal_toIsEEsEE10hipError_tPvRmT2_T3_T4_T5_mT6_T7_P12ihipStream_tbENKUlT_T0_E_clISt17integral_constantIbLb1EESZ_EEDaSU_SV_EUlSU_E_NS1_11comp_targetILNS1_3genE9ELNS1_11target_archE1100ELNS1_3gpuE3ELNS1_3repE0EEENS1_30default_config_static_selectorELNS0_4arch9wavefront6targetE1EEEvT1_
    .private_segment_fixed_size: 0
    .sgpr_count:     4
    .sgpr_spill_count: 0
    .symbol:         _ZN7rocprim17ROCPRIM_400000_NS6detail17trampoline_kernelINS0_14default_configENS1_27scan_by_key_config_selectorIssEEZZNS1_16scan_by_key_implILNS1_25lookback_scan_determinismE0ELb1ES3_N6thrust23THRUST_200600_302600_NS6detail15normal_iteratorINS9_10device_ptrIsEEEESE_SE_sNS9_4plusIvEENS9_8equal_toIsEEsEE10hipError_tPvRmT2_T3_T4_T5_mT6_T7_P12ihipStream_tbENKUlT_T0_E_clISt17integral_constantIbLb1EESZ_EEDaSU_SV_EUlSU_E_NS1_11comp_targetILNS1_3genE9ELNS1_11target_archE1100ELNS1_3gpuE3ELNS1_3repE0EEENS1_30default_config_static_selectorELNS0_4arch9wavefront6targetE1EEEvT1_.kd
    .uniform_work_group_size: 1
    .uses_dynamic_stack: false
    .vgpr_count:     0
    .vgpr_spill_count: 0
    .wavefront_size: 64
  - .agpr_count:     0
    .args:
      - .offset:         0
        .size:           112
        .value_kind:     by_value
    .group_segment_fixed_size: 0
    .kernarg_segment_align: 8
    .kernarg_segment_size: 112
    .language:       OpenCL C
    .language_version:
      - 2
      - 0
    .max_flat_workgroup_size: 64
    .name:           _ZN7rocprim17ROCPRIM_400000_NS6detail17trampoline_kernelINS0_14default_configENS1_27scan_by_key_config_selectorIssEEZZNS1_16scan_by_key_implILNS1_25lookback_scan_determinismE0ELb1ES3_N6thrust23THRUST_200600_302600_NS6detail15normal_iteratorINS9_10device_ptrIsEEEESE_SE_sNS9_4plusIvEENS9_8equal_toIsEEsEE10hipError_tPvRmT2_T3_T4_T5_mT6_T7_P12ihipStream_tbENKUlT_T0_E_clISt17integral_constantIbLb1EESZ_EEDaSU_SV_EUlSU_E_NS1_11comp_targetILNS1_3genE8ELNS1_11target_archE1030ELNS1_3gpuE2ELNS1_3repE0EEENS1_30default_config_static_selectorELNS0_4arch9wavefront6targetE1EEEvT1_
    .private_segment_fixed_size: 0
    .sgpr_count:     4
    .sgpr_spill_count: 0
    .symbol:         _ZN7rocprim17ROCPRIM_400000_NS6detail17trampoline_kernelINS0_14default_configENS1_27scan_by_key_config_selectorIssEEZZNS1_16scan_by_key_implILNS1_25lookback_scan_determinismE0ELb1ES3_N6thrust23THRUST_200600_302600_NS6detail15normal_iteratorINS9_10device_ptrIsEEEESE_SE_sNS9_4plusIvEENS9_8equal_toIsEEsEE10hipError_tPvRmT2_T3_T4_T5_mT6_T7_P12ihipStream_tbENKUlT_T0_E_clISt17integral_constantIbLb1EESZ_EEDaSU_SV_EUlSU_E_NS1_11comp_targetILNS1_3genE8ELNS1_11target_archE1030ELNS1_3gpuE2ELNS1_3repE0EEENS1_30default_config_static_selectorELNS0_4arch9wavefront6targetE1EEEvT1_.kd
    .uniform_work_group_size: 1
    .uses_dynamic_stack: false
    .vgpr_count:     0
    .vgpr_spill_count: 0
    .wavefront_size: 64
  - .agpr_count:     0
    .args:
      - .offset:         0
        .size:           112
        .value_kind:     by_value
    .group_segment_fixed_size: 0
    .kernarg_segment_align: 8
    .kernarg_segment_size: 112
    .language:       OpenCL C
    .language_version:
      - 2
      - 0
    .max_flat_workgroup_size: 256
    .name:           _ZN7rocprim17ROCPRIM_400000_NS6detail17trampoline_kernelINS0_14default_configENS1_27scan_by_key_config_selectorIssEEZZNS1_16scan_by_key_implILNS1_25lookback_scan_determinismE0ELb1ES3_N6thrust23THRUST_200600_302600_NS6detail15normal_iteratorINS9_10device_ptrIsEEEESE_SE_sNS9_4plusIvEENS9_8equal_toIsEEsEE10hipError_tPvRmT2_T3_T4_T5_mT6_T7_P12ihipStream_tbENKUlT_T0_E_clISt17integral_constantIbLb1EESY_IbLb0EEEEDaSU_SV_EUlSU_E_NS1_11comp_targetILNS1_3genE0ELNS1_11target_archE4294967295ELNS1_3gpuE0ELNS1_3repE0EEENS1_30default_config_static_selectorELNS0_4arch9wavefront6targetE1EEEvT1_
    .private_segment_fixed_size: 0
    .sgpr_count:     4
    .sgpr_spill_count: 0
    .symbol:         _ZN7rocprim17ROCPRIM_400000_NS6detail17trampoline_kernelINS0_14default_configENS1_27scan_by_key_config_selectorIssEEZZNS1_16scan_by_key_implILNS1_25lookback_scan_determinismE0ELb1ES3_N6thrust23THRUST_200600_302600_NS6detail15normal_iteratorINS9_10device_ptrIsEEEESE_SE_sNS9_4plusIvEENS9_8equal_toIsEEsEE10hipError_tPvRmT2_T3_T4_T5_mT6_T7_P12ihipStream_tbENKUlT_T0_E_clISt17integral_constantIbLb1EESY_IbLb0EEEEDaSU_SV_EUlSU_E_NS1_11comp_targetILNS1_3genE0ELNS1_11target_archE4294967295ELNS1_3gpuE0ELNS1_3repE0EEENS1_30default_config_static_selectorELNS0_4arch9wavefront6targetE1EEEvT1_.kd
    .uniform_work_group_size: 1
    .uses_dynamic_stack: false
    .vgpr_count:     0
    .vgpr_spill_count: 0
    .wavefront_size: 64
  - .agpr_count:     0
    .args:
      - .offset:         0
        .size:           112
        .value_kind:     by_value
    .group_segment_fixed_size: 0
    .kernarg_segment_align: 8
    .kernarg_segment_size: 112
    .language:       OpenCL C
    .language_version:
      - 2
      - 0
    .max_flat_workgroup_size: 128
    .name:           _ZN7rocprim17ROCPRIM_400000_NS6detail17trampoline_kernelINS0_14default_configENS1_27scan_by_key_config_selectorIssEEZZNS1_16scan_by_key_implILNS1_25lookback_scan_determinismE0ELb1ES3_N6thrust23THRUST_200600_302600_NS6detail15normal_iteratorINS9_10device_ptrIsEEEESE_SE_sNS9_4plusIvEENS9_8equal_toIsEEsEE10hipError_tPvRmT2_T3_T4_T5_mT6_T7_P12ihipStream_tbENKUlT_T0_E_clISt17integral_constantIbLb1EESY_IbLb0EEEEDaSU_SV_EUlSU_E_NS1_11comp_targetILNS1_3genE10ELNS1_11target_archE1201ELNS1_3gpuE5ELNS1_3repE0EEENS1_30default_config_static_selectorELNS0_4arch9wavefront6targetE1EEEvT1_
    .private_segment_fixed_size: 0
    .sgpr_count:     4
    .sgpr_spill_count: 0
    .symbol:         _ZN7rocprim17ROCPRIM_400000_NS6detail17trampoline_kernelINS0_14default_configENS1_27scan_by_key_config_selectorIssEEZZNS1_16scan_by_key_implILNS1_25lookback_scan_determinismE0ELb1ES3_N6thrust23THRUST_200600_302600_NS6detail15normal_iteratorINS9_10device_ptrIsEEEESE_SE_sNS9_4plusIvEENS9_8equal_toIsEEsEE10hipError_tPvRmT2_T3_T4_T5_mT6_T7_P12ihipStream_tbENKUlT_T0_E_clISt17integral_constantIbLb1EESY_IbLb0EEEEDaSU_SV_EUlSU_E_NS1_11comp_targetILNS1_3genE10ELNS1_11target_archE1201ELNS1_3gpuE5ELNS1_3repE0EEENS1_30default_config_static_selectorELNS0_4arch9wavefront6targetE1EEEvT1_.kd
    .uniform_work_group_size: 1
    .uses_dynamic_stack: false
    .vgpr_count:     0
    .vgpr_spill_count: 0
    .wavefront_size: 64
  - .agpr_count:     0
    .args:
      - .offset:         0
        .size:           112
        .value_kind:     by_value
    .group_segment_fixed_size: 0
    .kernarg_segment_align: 8
    .kernarg_segment_size: 112
    .language:       OpenCL C
    .language_version:
      - 2
      - 0
    .max_flat_workgroup_size: 256
    .name:           _ZN7rocprim17ROCPRIM_400000_NS6detail17trampoline_kernelINS0_14default_configENS1_27scan_by_key_config_selectorIssEEZZNS1_16scan_by_key_implILNS1_25lookback_scan_determinismE0ELb1ES3_N6thrust23THRUST_200600_302600_NS6detail15normal_iteratorINS9_10device_ptrIsEEEESE_SE_sNS9_4plusIvEENS9_8equal_toIsEEsEE10hipError_tPvRmT2_T3_T4_T5_mT6_T7_P12ihipStream_tbENKUlT_T0_E_clISt17integral_constantIbLb1EESY_IbLb0EEEEDaSU_SV_EUlSU_E_NS1_11comp_targetILNS1_3genE5ELNS1_11target_archE942ELNS1_3gpuE9ELNS1_3repE0EEENS1_30default_config_static_selectorELNS0_4arch9wavefront6targetE1EEEvT1_
    .private_segment_fixed_size: 0
    .sgpr_count:     4
    .sgpr_spill_count: 0
    .symbol:         _ZN7rocprim17ROCPRIM_400000_NS6detail17trampoline_kernelINS0_14default_configENS1_27scan_by_key_config_selectorIssEEZZNS1_16scan_by_key_implILNS1_25lookback_scan_determinismE0ELb1ES3_N6thrust23THRUST_200600_302600_NS6detail15normal_iteratorINS9_10device_ptrIsEEEESE_SE_sNS9_4plusIvEENS9_8equal_toIsEEsEE10hipError_tPvRmT2_T3_T4_T5_mT6_T7_P12ihipStream_tbENKUlT_T0_E_clISt17integral_constantIbLb1EESY_IbLb0EEEEDaSU_SV_EUlSU_E_NS1_11comp_targetILNS1_3genE5ELNS1_11target_archE942ELNS1_3gpuE9ELNS1_3repE0EEENS1_30default_config_static_selectorELNS0_4arch9wavefront6targetE1EEEvT1_.kd
    .uniform_work_group_size: 1
    .uses_dynamic_stack: false
    .vgpr_count:     0
    .vgpr_spill_count: 0
    .wavefront_size: 64
  - .agpr_count:     0
    .args:
      - .offset:         0
        .size:           112
        .value_kind:     by_value
    .group_segment_fixed_size: 12288
    .kernarg_segment_align: 8
    .kernarg_segment_size: 112
    .language:       OpenCL C
    .language_version:
      - 2
      - 0
    .max_flat_workgroup_size: 256
    .name:           _ZN7rocprim17ROCPRIM_400000_NS6detail17trampoline_kernelINS0_14default_configENS1_27scan_by_key_config_selectorIssEEZZNS1_16scan_by_key_implILNS1_25lookback_scan_determinismE0ELb1ES3_N6thrust23THRUST_200600_302600_NS6detail15normal_iteratorINS9_10device_ptrIsEEEESE_SE_sNS9_4plusIvEENS9_8equal_toIsEEsEE10hipError_tPvRmT2_T3_T4_T5_mT6_T7_P12ihipStream_tbENKUlT_T0_E_clISt17integral_constantIbLb1EESY_IbLb0EEEEDaSU_SV_EUlSU_E_NS1_11comp_targetILNS1_3genE4ELNS1_11target_archE910ELNS1_3gpuE8ELNS1_3repE0EEENS1_30default_config_static_selectorELNS0_4arch9wavefront6targetE1EEEvT1_
    .private_segment_fixed_size: 0
    .sgpr_count:     79
    .sgpr_spill_count: 0
    .symbol:         _ZN7rocprim17ROCPRIM_400000_NS6detail17trampoline_kernelINS0_14default_configENS1_27scan_by_key_config_selectorIssEEZZNS1_16scan_by_key_implILNS1_25lookback_scan_determinismE0ELb1ES3_N6thrust23THRUST_200600_302600_NS6detail15normal_iteratorINS9_10device_ptrIsEEEESE_SE_sNS9_4plusIvEENS9_8equal_toIsEEsEE10hipError_tPvRmT2_T3_T4_T5_mT6_T7_P12ihipStream_tbENKUlT_T0_E_clISt17integral_constantIbLb1EESY_IbLb0EEEEDaSU_SV_EUlSU_E_NS1_11comp_targetILNS1_3genE4ELNS1_11target_archE910ELNS1_3gpuE8ELNS1_3repE0EEENS1_30default_config_static_selectorELNS0_4arch9wavefront6targetE1EEEvT1_.kd
    .uniform_work_group_size: 1
    .uses_dynamic_stack: false
    .vgpr_count:     58
    .vgpr_spill_count: 0
    .wavefront_size: 64
  - .agpr_count:     0
    .args:
      - .offset:         0
        .size:           112
        .value_kind:     by_value
    .group_segment_fixed_size: 0
    .kernarg_segment_align: 8
    .kernarg_segment_size: 112
    .language:       OpenCL C
    .language_version:
      - 2
      - 0
    .max_flat_workgroup_size: 256
    .name:           _ZN7rocprim17ROCPRIM_400000_NS6detail17trampoline_kernelINS0_14default_configENS1_27scan_by_key_config_selectorIssEEZZNS1_16scan_by_key_implILNS1_25lookback_scan_determinismE0ELb1ES3_N6thrust23THRUST_200600_302600_NS6detail15normal_iteratorINS9_10device_ptrIsEEEESE_SE_sNS9_4plusIvEENS9_8equal_toIsEEsEE10hipError_tPvRmT2_T3_T4_T5_mT6_T7_P12ihipStream_tbENKUlT_T0_E_clISt17integral_constantIbLb1EESY_IbLb0EEEEDaSU_SV_EUlSU_E_NS1_11comp_targetILNS1_3genE3ELNS1_11target_archE908ELNS1_3gpuE7ELNS1_3repE0EEENS1_30default_config_static_selectorELNS0_4arch9wavefront6targetE1EEEvT1_
    .private_segment_fixed_size: 0
    .sgpr_count:     4
    .sgpr_spill_count: 0
    .symbol:         _ZN7rocprim17ROCPRIM_400000_NS6detail17trampoline_kernelINS0_14default_configENS1_27scan_by_key_config_selectorIssEEZZNS1_16scan_by_key_implILNS1_25lookback_scan_determinismE0ELb1ES3_N6thrust23THRUST_200600_302600_NS6detail15normal_iteratorINS9_10device_ptrIsEEEESE_SE_sNS9_4plusIvEENS9_8equal_toIsEEsEE10hipError_tPvRmT2_T3_T4_T5_mT6_T7_P12ihipStream_tbENKUlT_T0_E_clISt17integral_constantIbLb1EESY_IbLb0EEEEDaSU_SV_EUlSU_E_NS1_11comp_targetILNS1_3genE3ELNS1_11target_archE908ELNS1_3gpuE7ELNS1_3repE0EEENS1_30default_config_static_selectorELNS0_4arch9wavefront6targetE1EEEvT1_.kd
    .uniform_work_group_size: 1
    .uses_dynamic_stack: false
    .vgpr_count:     0
    .vgpr_spill_count: 0
    .wavefront_size: 64
  - .agpr_count:     0
    .args:
      - .offset:         0
        .size:           112
        .value_kind:     by_value
    .group_segment_fixed_size: 0
    .kernarg_segment_align: 8
    .kernarg_segment_size: 112
    .language:       OpenCL C
    .language_version:
      - 2
      - 0
    .max_flat_workgroup_size: 64
    .name:           _ZN7rocprim17ROCPRIM_400000_NS6detail17trampoline_kernelINS0_14default_configENS1_27scan_by_key_config_selectorIssEEZZNS1_16scan_by_key_implILNS1_25lookback_scan_determinismE0ELb1ES3_N6thrust23THRUST_200600_302600_NS6detail15normal_iteratorINS9_10device_ptrIsEEEESE_SE_sNS9_4plusIvEENS9_8equal_toIsEEsEE10hipError_tPvRmT2_T3_T4_T5_mT6_T7_P12ihipStream_tbENKUlT_T0_E_clISt17integral_constantIbLb1EESY_IbLb0EEEEDaSU_SV_EUlSU_E_NS1_11comp_targetILNS1_3genE2ELNS1_11target_archE906ELNS1_3gpuE6ELNS1_3repE0EEENS1_30default_config_static_selectorELNS0_4arch9wavefront6targetE1EEEvT1_
    .private_segment_fixed_size: 0
    .sgpr_count:     4
    .sgpr_spill_count: 0
    .symbol:         _ZN7rocprim17ROCPRIM_400000_NS6detail17trampoline_kernelINS0_14default_configENS1_27scan_by_key_config_selectorIssEEZZNS1_16scan_by_key_implILNS1_25lookback_scan_determinismE0ELb1ES3_N6thrust23THRUST_200600_302600_NS6detail15normal_iteratorINS9_10device_ptrIsEEEESE_SE_sNS9_4plusIvEENS9_8equal_toIsEEsEE10hipError_tPvRmT2_T3_T4_T5_mT6_T7_P12ihipStream_tbENKUlT_T0_E_clISt17integral_constantIbLb1EESY_IbLb0EEEEDaSU_SV_EUlSU_E_NS1_11comp_targetILNS1_3genE2ELNS1_11target_archE906ELNS1_3gpuE6ELNS1_3repE0EEENS1_30default_config_static_selectorELNS0_4arch9wavefront6targetE1EEEvT1_.kd
    .uniform_work_group_size: 1
    .uses_dynamic_stack: false
    .vgpr_count:     0
    .vgpr_spill_count: 0
    .wavefront_size: 64
  - .agpr_count:     0
    .args:
      - .offset:         0
        .size:           112
        .value_kind:     by_value
    .group_segment_fixed_size: 0
    .kernarg_segment_align: 8
    .kernarg_segment_size: 112
    .language:       OpenCL C
    .language_version:
      - 2
      - 0
    .max_flat_workgroup_size: 256
    .name:           _ZN7rocprim17ROCPRIM_400000_NS6detail17trampoline_kernelINS0_14default_configENS1_27scan_by_key_config_selectorIssEEZZNS1_16scan_by_key_implILNS1_25lookback_scan_determinismE0ELb1ES3_N6thrust23THRUST_200600_302600_NS6detail15normal_iteratorINS9_10device_ptrIsEEEESE_SE_sNS9_4plusIvEENS9_8equal_toIsEEsEE10hipError_tPvRmT2_T3_T4_T5_mT6_T7_P12ihipStream_tbENKUlT_T0_E_clISt17integral_constantIbLb1EESY_IbLb0EEEEDaSU_SV_EUlSU_E_NS1_11comp_targetILNS1_3genE10ELNS1_11target_archE1200ELNS1_3gpuE4ELNS1_3repE0EEENS1_30default_config_static_selectorELNS0_4arch9wavefront6targetE1EEEvT1_
    .private_segment_fixed_size: 0
    .sgpr_count:     4
    .sgpr_spill_count: 0
    .symbol:         _ZN7rocprim17ROCPRIM_400000_NS6detail17trampoline_kernelINS0_14default_configENS1_27scan_by_key_config_selectorIssEEZZNS1_16scan_by_key_implILNS1_25lookback_scan_determinismE0ELb1ES3_N6thrust23THRUST_200600_302600_NS6detail15normal_iteratorINS9_10device_ptrIsEEEESE_SE_sNS9_4plusIvEENS9_8equal_toIsEEsEE10hipError_tPvRmT2_T3_T4_T5_mT6_T7_P12ihipStream_tbENKUlT_T0_E_clISt17integral_constantIbLb1EESY_IbLb0EEEEDaSU_SV_EUlSU_E_NS1_11comp_targetILNS1_3genE10ELNS1_11target_archE1200ELNS1_3gpuE4ELNS1_3repE0EEENS1_30default_config_static_selectorELNS0_4arch9wavefront6targetE1EEEvT1_.kd
    .uniform_work_group_size: 1
    .uses_dynamic_stack: false
    .vgpr_count:     0
    .vgpr_spill_count: 0
    .wavefront_size: 64
  - .agpr_count:     0
    .args:
      - .offset:         0
        .size:           112
        .value_kind:     by_value
    .group_segment_fixed_size: 0
    .kernarg_segment_align: 8
    .kernarg_segment_size: 112
    .language:       OpenCL C
    .language_version:
      - 2
      - 0
    .max_flat_workgroup_size: 256
    .name:           _ZN7rocprim17ROCPRIM_400000_NS6detail17trampoline_kernelINS0_14default_configENS1_27scan_by_key_config_selectorIssEEZZNS1_16scan_by_key_implILNS1_25lookback_scan_determinismE0ELb1ES3_N6thrust23THRUST_200600_302600_NS6detail15normal_iteratorINS9_10device_ptrIsEEEESE_SE_sNS9_4plusIvEENS9_8equal_toIsEEsEE10hipError_tPvRmT2_T3_T4_T5_mT6_T7_P12ihipStream_tbENKUlT_T0_E_clISt17integral_constantIbLb1EESY_IbLb0EEEEDaSU_SV_EUlSU_E_NS1_11comp_targetILNS1_3genE9ELNS1_11target_archE1100ELNS1_3gpuE3ELNS1_3repE0EEENS1_30default_config_static_selectorELNS0_4arch9wavefront6targetE1EEEvT1_
    .private_segment_fixed_size: 0
    .sgpr_count:     4
    .sgpr_spill_count: 0
    .symbol:         _ZN7rocprim17ROCPRIM_400000_NS6detail17trampoline_kernelINS0_14default_configENS1_27scan_by_key_config_selectorIssEEZZNS1_16scan_by_key_implILNS1_25lookback_scan_determinismE0ELb1ES3_N6thrust23THRUST_200600_302600_NS6detail15normal_iteratorINS9_10device_ptrIsEEEESE_SE_sNS9_4plusIvEENS9_8equal_toIsEEsEE10hipError_tPvRmT2_T3_T4_T5_mT6_T7_P12ihipStream_tbENKUlT_T0_E_clISt17integral_constantIbLb1EESY_IbLb0EEEEDaSU_SV_EUlSU_E_NS1_11comp_targetILNS1_3genE9ELNS1_11target_archE1100ELNS1_3gpuE3ELNS1_3repE0EEENS1_30default_config_static_selectorELNS0_4arch9wavefront6targetE1EEEvT1_.kd
    .uniform_work_group_size: 1
    .uses_dynamic_stack: false
    .vgpr_count:     0
    .vgpr_spill_count: 0
    .wavefront_size: 64
  - .agpr_count:     0
    .args:
      - .offset:         0
        .size:           112
        .value_kind:     by_value
    .group_segment_fixed_size: 0
    .kernarg_segment_align: 8
    .kernarg_segment_size: 112
    .language:       OpenCL C
    .language_version:
      - 2
      - 0
    .max_flat_workgroup_size: 64
    .name:           _ZN7rocprim17ROCPRIM_400000_NS6detail17trampoline_kernelINS0_14default_configENS1_27scan_by_key_config_selectorIssEEZZNS1_16scan_by_key_implILNS1_25lookback_scan_determinismE0ELb1ES3_N6thrust23THRUST_200600_302600_NS6detail15normal_iteratorINS9_10device_ptrIsEEEESE_SE_sNS9_4plusIvEENS9_8equal_toIsEEsEE10hipError_tPvRmT2_T3_T4_T5_mT6_T7_P12ihipStream_tbENKUlT_T0_E_clISt17integral_constantIbLb1EESY_IbLb0EEEEDaSU_SV_EUlSU_E_NS1_11comp_targetILNS1_3genE8ELNS1_11target_archE1030ELNS1_3gpuE2ELNS1_3repE0EEENS1_30default_config_static_selectorELNS0_4arch9wavefront6targetE1EEEvT1_
    .private_segment_fixed_size: 0
    .sgpr_count:     4
    .sgpr_spill_count: 0
    .symbol:         _ZN7rocprim17ROCPRIM_400000_NS6detail17trampoline_kernelINS0_14default_configENS1_27scan_by_key_config_selectorIssEEZZNS1_16scan_by_key_implILNS1_25lookback_scan_determinismE0ELb1ES3_N6thrust23THRUST_200600_302600_NS6detail15normal_iteratorINS9_10device_ptrIsEEEESE_SE_sNS9_4plusIvEENS9_8equal_toIsEEsEE10hipError_tPvRmT2_T3_T4_T5_mT6_T7_P12ihipStream_tbENKUlT_T0_E_clISt17integral_constantIbLb1EESY_IbLb0EEEEDaSU_SV_EUlSU_E_NS1_11comp_targetILNS1_3genE8ELNS1_11target_archE1030ELNS1_3gpuE2ELNS1_3repE0EEENS1_30default_config_static_selectorELNS0_4arch9wavefront6targetE1EEEvT1_.kd
    .uniform_work_group_size: 1
    .uses_dynamic_stack: false
    .vgpr_count:     0
    .vgpr_spill_count: 0
    .wavefront_size: 64
  - .agpr_count:     0
    .args:
      - .offset:         0
        .size:           112
        .value_kind:     by_value
    .group_segment_fixed_size: 0
    .kernarg_segment_align: 8
    .kernarg_segment_size: 112
    .language:       OpenCL C
    .language_version:
      - 2
      - 0
    .max_flat_workgroup_size: 256
    .name:           _ZN7rocprim17ROCPRIM_400000_NS6detail17trampoline_kernelINS0_14default_configENS1_27scan_by_key_config_selectorIssEEZZNS1_16scan_by_key_implILNS1_25lookback_scan_determinismE0ELb1ES3_N6thrust23THRUST_200600_302600_NS6detail15normal_iteratorINS9_10device_ptrIsEEEESE_SE_sNS9_4plusIvEENS9_8equal_toIsEEsEE10hipError_tPvRmT2_T3_T4_T5_mT6_T7_P12ihipStream_tbENKUlT_T0_E_clISt17integral_constantIbLb0EESY_IbLb1EEEEDaSU_SV_EUlSU_E_NS1_11comp_targetILNS1_3genE0ELNS1_11target_archE4294967295ELNS1_3gpuE0ELNS1_3repE0EEENS1_30default_config_static_selectorELNS0_4arch9wavefront6targetE1EEEvT1_
    .private_segment_fixed_size: 0
    .sgpr_count:     4
    .sgpr_spill_count: 0
    .symbol:         _ZN7rocprim17ROCPRIM_400000_NS6detail17trampoline_kernelINS0_14default_configENS1_27scan_by_key_config_selectorIssEEZZNS1_16scan_by_key_implILNS1_25lookback_scan_determinismE0ELb1ES3_N6thrust23THRUST_200600_302600_NS6detail15normal_iteratorINS9_10device_ptrIsEEEESE_SE_sNS9_4plusIvEENS9_8equal_toIsEEsEE10hipError_tPvRmT2_T3_T4_T5_mT6_T7_P12ihipStream_tbENKUlT_T0_E_clISt17integral_constantIbLb0EESY_IbLb1EEEEDaSU_SV_EUlSU_E_NS1_11comp_targetILNS1_3genE0ELNS1_11target_archE4294967295ELNS1_3gpuE0ELNS1_3repE0EEENS1_30default_config_static_selectorELNS0_4arch9wavefront6targetE1EEEvT1_.kd
    .uniform_work_group_size: 1
    .uses_dynamic_stack: false
    .vgpr_count:     0
    .vgpr_spill_count: 0
    .wavefront_size: 64
  - .agpr_count:     0
    .args:
      - .offset:         0
        .size:           112
        .value_kind:     by_value
    .group_segment_fixed_size: 0
    .kernarg_segment_align: 8
    .kernarg_segment_size: 112
    .language:       OpenCL C
    .language_version:
      - 2
      - 0
    .max_flat_workgroup_size: 128
    .name:           _ZN7rocprim17ROCPRIM_400000_NS6detail17trampoline_kernelINS0_14default_configENS1_27scan_by_key_config_selectorIssEEZZNS1_16scan_by_key_implILNS1_25lookback_scan_determinismE0ELb1ES3_N6thrust23THRUST_200600_302600_NS6detail15normal_iteratorINS9_10device_ptrIsEEEESE_SE_sNS9_4plusIvEENS9_8equal_toIsEEsEE10hipError_tPvRmT2_T3_T4_T5_mT6_T7_P12ihipStream_tbENKUlT_T0_E_clISt17integral_constantIbLb0EESY_IbLb1EEEEDaSU_SV_EUlSU_E_NS1_11comp_targetILNS1_3genE10ELNS1_11target_archE1201ELNS1_3gpuE5ELNS1_3repE0EEENS1_30default_config_static_selectorELNS0_4arch9wavefront6targetE1EEEvT1_
    .private_segment_fixed_size: 0
    .sgpr_count:     4
    .sgpr_spill_count: 0
    .symbol:         _ZN7rocprim17ROCPRIM_400000_NS6detail17trampoline_kernelINS0_14default_configENS1_27scan_by_key_config_selectorIssEEZZNS1_16scan_by_key_implILNS1_25lookback_scan_determinismE0ELb1ES3_N6thrust23THRUST_200600_302600_NS6detail15normal_iteratorINS9_10device_ptrIsEEEESE_SE_sNS9_4plusIvEENS9_8equal_toIsEEsEE10hipError_tPvRmT2_T3_T4_T5_mT6_T7_P12ihipStream_tbENKUlT_T0_E_clISt17integral_constantIbLb0EESY_IbLb1EEEEDaSU_SV_EUlSU_E_NS1_11comp_targetILNS1_3genE10ELNS1_11target_archE1201ELNS1_3gpuE5ELNS1_3repE0EEENS1_30default_config_static_selectorELNS0_4arch9wavefront6targetE1EEEvT1_.kd
    .uniform_work_group_size: 1
    .uses_dynamic_stack: false
    .vgpr_count:     0
    .vgpr_spill_count: 0
    .wavefront_size: 64
  - .agpr_count:     0
    .args:
      - .offset:         0
        .size:           112
        .value_kind:     by_value
    .group_segment_fixed_size: 0
    .kernarg_segment_align: 8
    .kernarg_segment_size: 112
    .language:       OpenCL C
    .language_version:
      - 2
      - 0
    .max_flat_workgroup_size: 256
    .name:           _ZN7rocprim17ROCPRIM_400000_NS6detail17trampoline_kernelINS0_14default_configENS1_27scan_by_key_config_selectorIssEEZZNS1_16scan_by_key_implILNS1_25lookback_scan_determinismE0ELb1ES3_N6thrust23THRUST_200600_302600_NS6detail15normal_iteratorINS9_10device_ptrIsEEEESE_SE_sNS9_4plusIvEENS9_8equal_toIsEEsEE10hipError_tPvRmT2_T3_T4_T5_mT6_T7_P12ihipStream_tbENKUlT_T0_E_clISt17integral_constantIbLb0EESY_IbLb1EEEEDaSU_SV_EUlSU_E_NS1_11comp_targetILNS1_3genE5ELNS1_11target_archE942ELNS1_3gpuE9ELNS1_3repE0EEENS1_30default_config_static_selectorELNS0_4arch9wavefront6targetE1EEEvT1_
    .private_segment_fixed_size: 0
    .sgpr_count:     4
    .sgpr_spill_count: 0
    .symbol:         _ZN7rocprim17ROCPRIM_400000_NS6detail17trampoline_kernelINS0_14default_configENS1_27scan_by_key_config_selectorIssEEZZNS1_16scan_by_key_implILNS1_25lookback_scan_determinismE0ELb1ES3_N6thrust23THRUST_200600_302600_NS6detail15normal_iteratorINS9_10device_ptrIsEEEESE_SE_sNS9_4plusIvEENS9_8equal_toIsEEsEE10hipError_tPvRmT2_T3_T4_T5_mT6_T7_P12ihipStream_tbENKUlT_T0_E_clISt17integral_constantIbLb0EESY_IbLb1EEEEDaSU_SV_EUlSU_E_NS1_11comp_targetILNS1_3genE5ELNS1_11target_archE942ELNS1_3gpuE9ELNS1_3repE0EEENS1_30default_config_static_selectorELNS0_4arch9wavefront6targetE1EEEvT1_.kd
    .uniform_work_group_size: 1
    .uses_dynamic_stack: false
    .vgpr_count:     0
    .vgpr_spill_count: 0
    .wavefront_size: 64
  - .agpr_count:     0
    .args:
      - .offset:         0
        .size:           112
        .value_kind:     by_value
    .group_segment_fixed_size: 12288
    .kernarg_segment_align: 8
    .kernarg_segment_size: 112
    .language:       OpenCL C
    .language_version:
      - 2
      - 0
    .max_flat_workgroup_size: 256
    .name:           _ZN7rocprim17ROCPRIM_400000_NS6detail17trampoline_kernelINS0_14default_configENS1_27scan_by_key_config_selectorIssEEZZNS1_16scan_by_key_implILNS1_25lookback_scan_determinismE0ELb1ES3_N6thrust23THRUST_200600_302600_NS6detail15normal_iteratorINS9_10device_ptrIsEEEESE_SE_sNS9_4plusIvEENS9_8equal_toIsEEsEE10hipError_tPvRmT2_T3_T4_T5_mT6_T7_P12ihipStream_tbENKUlT_T0_E_clISt17integral_constantIbLb0EESY_IbLb1EEEEDaSU_SV_EUlSU_E_NS1_11comp_targetILNS1_3genE4ELNS1_11target_archE910ELNS1_3gpuE8ELNS1_3repE0EEENS1_30default_config_static_selectorELNS0_4arch9wavefront6targetE1EEEvT1_
    .private_segment_fixed_size: 0
    .sgpr_count:     77
    .sgpr_spill_count: 0
    .symbol:         _ZN7rocprim17ROCPRIM_400000_NS6detail17trampoline_kernelINS0_14default_configENS1_27scan_by_key_config_selectorIssEEZZNS1_16scan_by_key_implILNS1_25lookback_scan_determinismE0ELb1ES3_N6thrust23THRUST_200600_302600_NS6detail15normal_iteratorINS9_10device_ptrIsEEEESE_SE_sNS9_4plusIvEENS9_8equal_toIsEEsEE10hipError_tPvRmT2_T3_T4_T5_mT6_T7_P12ihipStream_tbENKUlT_T0_E_clISt17integral_constantIbLb0EESY_IbLb1EEEEDaSU_SV_EUlSU_E_NS1_11comp_targetILNS1_3genE4ELNS1_11target_archE910ELNS1_3gpuE8ELNS1_3repE0EEENS1_30default_config_static_selectorELNS0_4arch9wavefront6targetE1EEEvT1_.kd
    .uniform_work_group_size: 1
    .uses_dynamic_stack: false
    .vgpr_count:     60
    .vgpr_spill_count: 0
    .wavefront_size: 64
  - .agpr_count:     0
    .args:
      - .offset:         0
        .size:           112
        .value_kind:     by_value
    .group_segment_fixed_size: 0
    .kernarg_segment_align: 8
    .kernarg_segment_size: 112
    .language:       OpenCL C
    .language_version:
      - 2
      - 0
    .max_flat_workgroup_size: 256
    .name:           _ZN7rocprim17ROCPRIM_400000_NS6detail17trampoline_kernelINS0_14default_configENS1_27scan_by_key_config_selectorIssEEZZNS1_16scan_by_key_implILNS1_25lookback_scan_determinismE0ELb1ES3_N6thrust23THRUST_200600_302600_NS6detail15normal_iteratorINS9_10device_ptrIsEEEESE_SE_sNS9_4plusIvEENS9_8equal_toIsEEsEE10hipError_tPvRmT2_T3_T4_T5_mT6_T7_P12ihipStream_tbENKUlT_T0_E_clISt17integral_constantIbLb0EESY_IbLb1EEEEDaSU_SV_EUlSU_E_NS1_11comp_targetILNS1_3genE3ELNS1_11target_archE908ELNS1_3gpuE7ELNS1_3repE0EEENS1_30default_config_static_selectorELNS0_4arch9wavefront6targetE1EEEvT1_
    .private_segment_fixed_size: 0
    .sgpr_count:     4
    .sgpr_spill_count: 0
    .symbol:         _ZN7rocprim17ROCPRIM_400000_NS6detail17trampoline_kernelINS0_14default_configENS1_27scan_by_key_config_selectorIssEEZZNS1_16scan_by_key_implILNS1_25lookback_scan_determinismE0ELb1ES3_N6thrust23THRUST_200600_302600_NS6detail15normal_iteratorINS9_10device_ptrIsEEEESE_SE_sNS9_4plusIvEENS9_8equal_toIsEEsEE10hipError_tPvRmT2_T3_T4_T5_mT6_T7_P12ihipStream_tbENKUlT_T0_E_clISt17integral_constantIbLb0EESY_IbLb1EEEEDaSU_SV_EUlSU_E_NS1_11comp_targetILNS1_3genE3ELNS1_11target_archE908ELNS1_3gpuE7ELNS1_3repE0EEENS1_30default_config_static_selectorELNS0_4arch9wavefront6targetE1EEEvT1_.kd
    .uniform_work_group_size: 1
    .uses_dynamic_stack: false
    .vgpr_count:     0
    .vgpr_spill_count: 0
    .wavefront_size: 64
  - .agpr_count:     0
    .args:
      - .offset:         0
        .size:           112
        .value_kind:     by_value
    .group_segment_fixed_size: 0
    .kernarg_segment_align: 8
    .kernarg_segment_size: 112
    .language:       OpenCL C
    .language_version:
      - 2
      - 0
    .max_flat_workgroup_size: 64
    .name:           _ZN7rocprim17ROCPRIM_400000_NS6detail17trampoline_kernelINS0_14default_configENS1_27scan_by_key_config_selectorIssEEZZNS1_16scan_by_key_implILNS1_25lookback_scan_determinismE0ELb1ES3_N6thrust23THRUST_200600_302600_NS6detail15normal_iteratorINS9_10device_ptrIsEEEESE_SE_sNS9_4plusIvEENS9_8equal_toIsEEsEE10hipError_tPvRmT2_T3_T4_T5_mT6_T7_P12ihipStream_tbENKUlT_T0_E_clISt17integral_constantIbLb0EESY_IbLb1EEEEDaSU_SV_EUlSU_E_NS1_11comp_targetILNS1_3genE2ELNS1_11target_archE906ELNS1_3gpuE6ELNS1_3repE0EEENS1_30default_config_static_selectorELNS0_4arch9wavefront6targetE1EEEvT1_
    .private_segment_fixed_size: 0
    .sgpr_count:     4
    .sgpr_spill_count: 0
    .symbol:         _ZN7rocprim17ROCPRIM_400000_NS6detail17trampoline_kernelINS0_14default_configENS1_27scan_by_key_config_selectorIssEEZZNS1_16scan_by_key_implILNS1_25lookback_scan_determinismE0ELb1ES3_N6thrust23THRUST_200600_302600_NS6detail15normal_iteratorINS9_10device_ptrIsEEEESE_SE_sNS9_4plusIvEENS9_8equal_toIsEEsEE10hipError_tPvRmT2_T3_T4_T5_mT6_T7_P12ihipStream_tbENKUlT_T0_E_clISt17integral_constantIbLb0EESY_IbLb1EEEEDaSU_SV_EUlSU_E_NS1_11comp_targetILNS1_3genE2ELNS1_11target_archE906ELNS1_3gpuE6ELNS1_3repE0EEENS1_30default_config_static_selectorELNS0_4arch9wavefront6targetE1EEEvT1_.kd
    .uniform_work_group_size: 1
    .uses_dynamic_stack: false
    .vgpr_count:     0
    .vgpr_spill_count: 0
    .wavefront_size: 64
  - .agpr_count:     0
    .args:
      - .offset:         0
        .size:           112
        .value_kind:     by_value
    .group_segment_fixed_size: 0
    .kernarg_segment_align: 8
    .kernarg_segment_size: 112
    .language:       OpenCL C
    .language_version:
      - 2
      - 0
    .max_flat_workgroup_size: 256
    .name:           _ZN7rocprim17ROCPRIM_400000_NS6detail17trampoline_kernelINS0_14default_configENS1_27scan_by_key_config_selectorIssEEZZNS1_16scan_by_key_implILNS1_25lookback_scan_determinismE0ELb1ES3_N6thrust23THRUST_200600_302600_NS6detail15normal_iteratorINS9_10device_ptrIsEEEESE_SE_sNS9_4plusIvEENS9_8equal_toIsEEsEE10hipError_tPvRmT2_T3_T4_T5_mT6_T7_P12ihipStream_tbENKUlT_T0_E_clISt17integral_constantIbLb0EESY_IbLb1EEEEDaSU_SV_EUlSU_E_NS1_11comp_targetILNS1_3genE10ELNS1_11target_archE1200ELNS1_3gpuE4ELNS1_3repE0EEENS1_30default_config_static_selectorELNS0_4arch9wavefront6targetE1EEEvT1_
    .private_segment_fixed_size: 0
    .sgpr_count:     4
    .sgpr_spill_count: 0
    .symbol:         _ZN7rocprim17ROCPRIM_400000_NS6detail17trampoline_kernelINS0_14default_configENS1_27scan_by_key_config_selectorIssEEZZNS1_16scan_by_key_implILNS1_25lookback_scan_determinismE0ELb1ES3_N6thrust23THRUST_200600_302600_NS6detail15normal_iteratorINS9_10device_ptrIsEEEESE_SE_sNS9_4plusIvEENS9_8equal_toIsEEsEE10hipError_tPvRmT2_T3_T4_T5_mT6_T7_P12ihipStream_tbENKUlT_T0_E_clISt17integral_constantIbLb0EESY_IbLb1EEEEDaSU_SV_EUlSU_E_NS1_11comp_targetILNS1_3genE10ELNS1_11target_archE1200ELNS1_3gpuE4ELNS1_3repE0EEENS1_30default_config_static_selectorELNS0_4arch9wavefront6targetE1EEEvT1_.kd
    .uniform_work_group_size: 1
    .uses_dynamic_stack: false
    .vgpr_count:     0
    .vgpr_spill_count: 0
    .wavefront_size: 64
  - .agpr_count:     0
    .args:
      - .offset:         0
        .size:           112
        .value_kind:     by_value
    .group_segment_fixed_size: 0
    .kernarg_segment_align: 8
    .kernarg_segment_size: 112
    .language:       OpenCL C
    .language_version:
      - 2
      - 0
    .max_flat_workgroup_size: 256
    .name:           _ZN7rocprim17ROCPRIM_400000_NS6detail17trampoline_kernelINS0_14default_configENS1_27scan_by_key_config_selectorIssEEZZNS1_16scan_by_key_implILNS1_25lookback_scan_determinismE0ELb1ES3_N6thrust23THRUST_200600_302600_NS6detail15normal_iteratorINS9_10device_ptrIsEEEESE_SE_sNS9_4plusIvEENS9_8equal_toIsEEsEE10hipError_tPvRmT2_T3_T4_T5_mT6_T7_P12ihipStream_tbENKUlT_T0_E_clISt17integral_constantIbLb0EESY_IbLb1EEEEDaSU_SV_EUlSU_E_NS1_11comp_targetILNS1_3genE9ELNS1_11target_archE1100ELNS1_3gpuE3ELNS1_3repE0EEENS1_30default_config_static_selectorELNS0_4arch9wavefront6targetE1EEEvT1_
    .private_segment_fixed_size: 0
    .sgpr_count:     4
    .sgpr_spill_count: 0
    .symbol:         _ZN7rocprim17ROCPRIM_400000_NS6detail17trampoline_kernelINS0_14default_configENS1_27scan_by_key_config_selectorIssEEZZNS1_16scan_by_key_implILNS1_25lookback_scan_determinismE0ELb1ES3_N6thrust23THRUST_200600_302600_NS6detail15normal_iteratorINS9_10device_ptrIsEEEESE_SE_sNS9_4plusIvEENS9_8equal_toIsEEsEE10hipError_tPvRmT2_T3_T4_T5_mT6_T7_P12ihipStream_tbENKUlT_T0_E_clISt17integral_constantIbLb0EESY_IbLb1EEEEDaSU_SV_EUlSU_E_NS1_11comp_targetILNS1_3genE9ELNS1_11target_archE1100ELNS1_3gpuE3ELNS1_3repE0EEENS1_30default_config_static_selectorELNS0_4arch9wavefront6targetE1EEEvT1_.kd
    .uniform_work_group_size: 1
    .uses_dynamic_stack: false
    .vgpr_count:     0
    .vgpr_spill_count: 0
    .wavefront_size: 64
  - .agpr_count:     0
    .args:
      - .offset:         0
        .size:           112
        .value_kind:     by_value
    .group_segment_fixed_size: 0
    .kernarg_segment_align: 8
    .kernarg_segment_size: 112
    .language:       OpenCL C
    .language_version:
      - 2
      - 0
    .max_flat_workgroup_size: 64
    .name:           _ZN7rocprim17ROCPRIM_400000_NS6detail17trampoline_kernelINS0_14default_configENS1_27scan_by_key_config_selectorIssEEZZNS1_16scan_by_key_implILNS1_25lookback_scan_determinismE0ELb1ES3_N6thrust23THRUST_200600_302600_NS6detail15normal_iteratorINS9_10device_ptrIsEEEESE_SE_sNS9_4plusIvEENS9_8equal_toIsEEsEE10hipError_tPvRmT2_T3_T4_T5_mT6_T7_P12ihipStream_tbENKUlT_T0_E_clISt17integral_constantIbLb0EESY_IbLb1EEEEDaSU_SV_EUlSU_E_NS1_11comp_targetILNS1_3genE8ELNS1_11target_archE1030ELNS1_3gpuE2ELNS1_3repE0EEENS1_30default_config_static_selectorELNS0_4arch9wavefront6targetE1EEEvT1_
    .private_segment_fixed_size: 0
    .sgpr_count:     4
    .sgpr_spill_count: 0
    .symbol:         _ZN7rocprim17ROCPRIM_400000_NS6detail17trampoline_kernelINS0_14default_configENS1_27scan_by_key_config_selectorIssEEZZNS1_16scan_by_key_implILNS1_25lookback_scan_determinismE0ELb1ES3_N6thrust23THRUST_200600_302600_NS6detail15normal_iteratorINS9_10device_ptrIsEEEESE_SE_sNS9_4plusIvEENS9_8equal_toIsEEsEE10hipError_tPvRmT2_T3_T4_T5_mT6_T7_P12ihipStream_tbENKUlT_T0_E_clISt17integral_constantIbLb0EESY_IbLb1EEEEDaSU_SV_EUlSU_E_NS1_11comp_targetILNS1_3genE8ELNS1_11target_archE1030ELNS1_3gpuE2ELNS1_3repE0EEENS1_30default_config_static_selectorELNS0_4arch9wavefront6targetE1EEEvT1_.kd
    .uniform_work_group_size: 1
    .uses_dynamic_stack: false
    .vgpr_count:     0
    .vgpr_spill_count: 0
    .wavefront_size: 64
  - .agpr_count:     0
    .args:
      - .offset:         0
        .size:           136
        .value_kind:     by_value
    .group_segment_fixed_size: 0
    .kernarg_segment_align: 8
    .kernarg_segment_size: 136
    .language:       OpenCL C
    .language_version:
      - 2
      - 0
    .max_flat_workgroup_size: 256
    .name:           _ZN7rocprim17ROCPRIM_400000_NS6detail17trampoline_kernelINS0_14default_configENS1_27scan_by_key_config_selectorIxxEEZZNS1_16scan_by_key_implILNS1_25lookback_scan_determinismE0ELb0ES3_N6thrust23THRUST_200600_302600_NS6detail15normal_iteratorINS9_10device_ptrIxEEEESE_SE_xNS9_4plusIxEE19head_flag_predicatexEE10hipError_tPvRmT2_T3_T4_T5_mT6_T7_P12ihipStream_tbENKUlT_T0_E_clISt17integral_constantIbLb0EESY_EEDaST_SU_EUlST_E_NS1_11comp_targetILNS1_3genE0ELNS1_11target_archE4294967295ELNS1_3gpuE0ELNS1_3repE0EEENS1_30default_config_static_selectorELNS0_4arch9wavefront6targetE1EEEvT1_
    .private_segment_fixed_size: 0
    .sgpr_count:     4
    .sgpr_spill_count: 0
    .symbol:         _ZN7rocprim17ROCPRIM_400000_NS6detail17trampoline_kernelINS0_14default_configENS1_27scan_by_key_config_selectorIxxEEZZNS1_16scan_by_key_implILNS1_25lookback_scan_determinismE0ELb0ES3_N6thrust23THRUST_200600_302600_NS6detail15normal_iteratorINS9_10device_ptrIxEEEESE_SE_xNS9_4plusIxEE19head_flag_predicatexEE10hipError_tPvRmT2_T3_T4_T5_mT6_T7_P12ihipStream_tbENKUlT_T0_E_clISt17integral_constantIbLb0EESY_EEDaST_SU_EUlST_E_NS1_11comp_targetILNS1_3genE0ELNS1_11target_archE4294967295ELNS1_3gpuE0ELNS1_3repE0EEENS1_30default_config_static_selectorELNS0_4arch9wavefront6targetE1EEEvT1_.kd
    .uniform_work_group_size: 1
    .uses_dynamic_stack: false
    .vgpr_count:     0
    .vgpr_spill_count: 0
    .wavefront_size: 64
  - .agpr_count:     0
    .args:
      - .offset:         0
        .size:           136
        .value_kind:     by_value
    .group_segment_fixed_size: 0
    .kernarg_segment_align: 8
    .kernarg_segment_size: 136
    .language:       OpenCL C
    .language_version:
      - 2
      - 0
    .max_flat_workgroup_size: 256
    .name:           _ZN7rocprim17ROCPRIM_400000_NS6detail17trampoline_kernelINS0_14default_configENS1_27scan_by_key_config_selectorIxxEEZZNS1_16scan_by_key_implILNS1_25lookback_scan_determinismE0ELb0ES3_N6thrust23THRUST_200600_302600_NS6detail15normal_iteratorINS9_10device_ptrIxEEEESE_SE_xNS9_4plusIxEE19head_flag_predicatexEE10hipError_tPvRmT2_T3_T4_T5_mT6_T7_P12ihipStream_tbENKUlT_T0_E_clISt17integral_constantIbLb0EESY_EEDaST_SU_EUlST_E_NS1_11comp_targetILNS1_3genE10ELNS1_11target_archE1201ELNS1_3gpuE5ELNS1_3repE0EEENS1_30default_config_static_selectorELNS0_4arch9wavefront6targetE1EEEvT1_
    .private_segment_fixed_size: 0
    .sgpr_count:     4
    .sgpr_spill_count: 0
    .symbol:         _ZN7rocprim17ROCPRIM_400000_NS6detail17trampoline_kernelINS0_14default_configENS1_27scan_by_key_config_selectorIxxEEZZNS1_16scan_by_key_implILNS1_25lookback_scan_determinismE0ELb0ES3_N6thrust23THRUST_200600_302600_NS6detail15normal_iteratorINS9_10device_ptrIxEEEESE_SE_xNS9_4plusIxEE19head_flag_predicatexEE10hipError_tPvRmT2_T3_T4_T5_mT6_T7_P12ihipStream_tbENKUlT_T0_E_clISt17integral_constantIbLb0EESY_EEDaST_SU_EUlST_E_NS1_11comp_targetILNS1_3genE10ELNS1_11target_archE1201ELNS1_3gpuE5ELNS1_3repE0EEENS1_30default_config_static_selectorELNS0_4arch9wavefront6targetE1EEEvT1_.kd
    .uniform_work_group_size: 1
    .uses_dynamic_stack: false
    .vgpr_count:     0
    .vgpr_spill_count: 0
    .wavefront_size: 64
  - .agpr_count:     0
    .args:
      - .offset:         0
        .size:           136
        .value_kind:     by_value
    .group_segment_fixed_size: 0
    .kernarg_segment_align: 8
    .kernarg_segment_size: 136
    .language:       OpenCL C
    .language_version:
      - 2
      - 0
    .max_flat_workgroup_size: 256
    .name:           _ZN7rocprim17ROCPRIM_400000_NS6detail17trampoline_kernelINS0_14default_configENS1_27scan_by_key_config_selectorIxxEEZZNS1_16scan_by_key_implILNS1_25lookback_scan_determinismE0ELb0ES3_N6thrust23THRUST_200600_302600_NS6detail15normal_iteratorINS9_10device_ptrIxEEEESE_SE_xNS9_4plusIxEE19head_flag_predicatexEE10hipError_tPvRmT2_T3_T4_T5_mT6_T7_P12ihipStream_tbENKUlT_T0_E_clISt17integral_constantIbLb0EESY_EEDaST_SU_EUlST_E_NS1_11comp_targetILNS1_3genE5ELNS1_11target_archE942ELNS1_3gpuE9ELNS1_3repE0EEENS1_30default_config_static_selectorELNS0_4arch9wavefront6targetE1EEEvT1_
    .private_segment_fixed_size: 0
    .sgpr_count:     4
    .sgpr_spill_count: 0
    .symbol:         _ZN7rocprim17ROCPRIM_400000_NS6detail17trampoline_kernelINS0_14default_configENS1_27scan_by_key_config_selectorIxxEEZZNS1_16scan_by_key_implILNS1_25lookback_scan_determinismE0ELb0ES3_N6thrust23THRUST_200600_302600_NS6detail15normal_iteratorINS9_10device_ptrIxEEEESE_SE_xNS9_4plusIxEE19head_flag_predicatexEE10hipError_tPvRmT2_T3_T4_T5_mT6_T7_P12ihipStream_tbENKUlT_T0_E_clISt17integral_constantIbLb0EESY_EEDaST_SU_EUlST_E_NS1_11comp_targetILNS1_3genE5ELNS1_11target_archE942ELNS1_3gpuE9ELNS1_3repE0EEENS1_30default_config_static_selectorELNS0_4arch9wavefront6targetE1EEEvT1_.kd
    .uniform_work_group_size: 1
    .uses_dynamic_stack: false
    .vgpr_count:     0
    .vgpr_spill_count: 0
    .wavefront_size: 64
  - .agpr_count:     0
    .args:
      - .offset:         0
        .size:           136
        .value_kind:     by_value
    .group_segment_fixed_size: 10752
    .kernarg_segment_align: 8
    .kernarg_segment_size: 136
    .language:       OpenCL C
    .language_version:
      - 2
      - 0
    .max_flat_workgroup_size: 64
    .name:           _ZN7rocprim17ROCPRIM_400000_NS6detail17trampoline_kernelINS0_14default_configENS1_27scan_by_key_config_selectorIxxEEZZNS1_16scan_by_key_implILNS1_25lookback_scan_determinismE0ELb0ES3_N6thrust23THRUST_200600_302600_NS6detail15normal_iteratorINS9_10device_ptrIxEEEESE_SE_xNS9_4plusIxEE19head_flag_predicatexEE10hipError_tPvRmT2_T3_T4_T5_mT6_T7_P12ihipStream_tbENKUlT_T0_E_clISt17integral_constantIbLb0EESY_EEDaST_SU_EUlST_E_NS1_11comp_targetILNS1_3genE4ELNS1_11target_archE910ELNS1_3gpuE8ELNS1_3repE0EEENS1_30default_config_static_selectorELNS0_4arch9wavefront6targetE1EEEvT1_
    .private_segment_fixed_size: 0
    .sgpr_count:     74
    .sgpr_spill_count: 0
    .symbol:         _ZN7rocprim17ROCPRIM_400000_NS6detail17trampoline_kernelINS0_14default_configENS1_27scan_by_key_config_selectorIxxEEZZNS1_16scan_by_key_implILNS1_25lookback_scan_determinismE0ELb0ES3_N6thrust23THRUST_200600_302600_NS6detail15normal_iteratorINS9_10device_ptrIxEEEESE_SE_xNS9_4plusIxEE19head_flag_predicatexEE10hipError_tPvRmT2_T3_T4_T5_mT6_T7_P12ihipStream_tbENKUlT_T0_E_clISt17integral_constantIbLb0EESY_EEDaST_SU_EUlST_E_NS1_11comp_targetILNS1_3genE4ELNS1_11target_archE910ELNS1_3gpuE8ELNS1_3repE0EEENS1_30default_config_static_selectorELNS0_4arch9wavefront6targetE1EEEvT1_.kd
    .uniform_work_group_size: 1
    .uses_dynamic_stack: false
    .vgpr_count:     125
    .vgpr_spill_count: 0
    .wavefront_size: 64
  - .agpr_count:     0
    .args:
      - .offset:         0
        .size:           136
        .value_kind:     by_value
    .group_segment_fixed_size: 0
    .kernarg_segment_align: 8
    .kernarg_segment_size: 136
    .language:       OpenCL C
    .language_version:
      - 2
      - 0
    .max_flat_workgroup_size: 256
    .name:           _ZN7rocprim17ROCPRIM_400000_NS6detail17trampoline_kernelINS0_14default_configENS1_27scan_by_key_config_selectorIxxEEZZNS1_16scan_by_key_implILNS1_25lookback_scan_determinismE0ELb0ES3_N6thrust23THRUST_200600_302600_NS6detail15normal_iteratorINS9_10device_ptrIxEEEESE_SE_xNS9_4plusIxEE19head_flag_predicatexEE10hipError_tPvRmT2_T3_T4_T5_mT6_T7_P12ihipStream_tbENKUlT_T0_E_clISt17integral_constantIbLb0EESY_EEDaST_SU_EUlST_E_NS1_11comp_targetILNS1_3genE3ELNS1_11target_archE908ELNS1_3gpuE7ELNS1_3repE0EEENS1_30default_config_static_selectorELNS0_4arch9wavefront6targetE1EEEvT1_
    .private_segment_fixed_size: 0
    .sgpr_count:     4
    .sgpr_spill_count: 0
    .symbol:         _ZN7rocprim17ROCPRIM_400000_NS6detail17trampoline_kernelINS0_14default_configENS1_27scan_by_key_config_selectorIxxEEZZNS1_16scan_by_key_implILNS1_25lookback_scan_determinismE0ELb0ES3_N6thrust23THRUST_200600_302600_NS6detail15normal_iteratorINS9_10device_ptrIxEEEESE_SE_xNS9_4plusIxEE19head_flag_predicatexEE10hipError_tPvRmT2_T3_T4_T5_mT6_T7_P12ihipStream_tbENKUlT_T0_E_clISt17integral_constantIbLb0EESY_EEDaST_SU_EUlST_E_NS1_11comp_targetILNS1_3genE3ELNS1_11target_archE908ELNS1_3gpuE7ELNS1_3repE0EEENS1_30default_config_static_selectorELNS0_4arch9wavefront6targetE1EEEvT1_.kd
    .uniform_work_group_size: 1
    .uses_dynamic_stack: false
    .vgpr_count:     0
    .vgpr_spill_count: 0
    .wavefront_size: 64
  - .agpr_count:     0
    .args:
      - .offset:         0
        .size:           136
        .value_kind:     by_value
    .group_segment_fixed_size: 0
    .kernarg_segment_align: 8
    .kernarg_segment_size: 136
    .language:       OpenCL C
    .language_version:
      - 2
      - 0
    .max_flat_workgroup_size: 256
    .name:           _ZN7rocprim17ROCPRIM_400000_NS6detail17trampoline_kernelINS0_14default_configENS1_27scan_by_key_config_selectorIxxEEZZNS1_16scan_by_key_implILNS1_25lookback_scan_determinismE0ELb0ES3_N6thrust23THRUST_200600_302600_NS6detail15normal_iteratorINS9_10device_ptrIxEEEESE_SE_xNS9_4plusIxEE19head_flag_predicatexEE10hipError_tPvRmT2_T3_T4_T5_mT6_T7_P12ihipStream_tbENKUlT_T0_E_clISt17integral_constantIbLb0EESY_EEDaST_SU_EUlST_E_NS1_11comp_targetILNS1_3genE2ELNS1_11target_archE906ELNS1_3gpuE6ELNS1_3repE0EEENS1_30default_config_static_selectorELNS0_4arch9wavefront6targetE1EEEvT1_
    .private_segment_fixed_size: 0
    .sgpr_count:     4
    .sgpr_spill_count: 0
    .symbol:         _ZN7rocprim17ROCPRIM_400000_NS6detail17trampoline_kernelINS0_14default_configENS1_27scan_by_key_config_selectorIxxEEZZNS1_16scan_by_key_implILNS1_25lookback_scan_determinismE0ELb0ES3_N6thrust23THRUST_200600_302600_NS6detail15normal_iteratorINS9_10device_ptrIxEEEESE_SE_xNS9_4plusIxEE19head_flag_predicatexEE10hipError_tPvRmT2_T3_T4_T5_mT6_T7_P12ihipStream_tbENKUlT_T0_E_clISt17integral_constantIbLb0EESY_EEDaST_SU_EUlST_E_NS1_11comp_targetILNS1_3genE2ELNS1_11target_archE906ELNS1_3gpuE6ELNS1_3repE0EEENS1_30default_config_static_selectorELNS0_4arch9wavefront6targetE1EEEvT1_.kd
    .uniform_work_group_size: 1
    .uses_dynamic_stack: false
    .vgpr_count:     0
    .vgpr_spill_count: 0
    .wavefront_size: 64
  - .agpr_count:     0
    .args:
      - .offset:         0
        .size:           136
        .value_kind:     by_value
    .group_segment_fixed_size: 0
    .kernarg_segment_align: 8
    .kernarg_segment_size: 136
    .language:       OpenCL C
    .language_version:
      - 2
      - 0
    .max_flat_workgroup_size: 256
    .name:           _ZN7rocprim17ROCPRIM_400000_NS6detail17trampoline_kernelINS0_14default_configENS1_27scan_by_key_config_selectorIxxEEZZNS1_16scan_by_key_implILNS1_25lookback_scan_determinismE0ELb0ES3_N6thrust23THRUST_200600_302600_NS6detail15normal_iteratorINS9_10device_ptrIxEEEESE_SE_xNS9_4plusIxEE19head_flag_predicatexEE10hipError_tPvRmT2_T3_T4_T5_mT6_T7_P12ihipStream_tbENKUlT_T0_E_clISt17integral_constantIbLb0EESY_EEDaST_SU_EUlST_E_NS1_11comp_targetILNS1_3genE10ELNS1_11target_archE1200ELNS1_3gpuE4ELNS1_3repE0EEENS1_30default_config_static_selectorELNS0_4arch9wavefront6targetE1EEEvT1_
    .private_segment_fixed_size: 0
    .sgpr_count:     4
    .sgpr_spill_count: 0
    .symbol:         _ZN7rocprim17ROCPRIM_400000_NS6detail17trampoline_kernelINS0_14default_configENS1_27scan_by_key_config_selectorIxxEEZZNS1_16scan_by_key_implILNS1_25lookback_scan_determinismE0ELb0ES3_N6thrust23THRUST_200600_302600_NS6detail15normal_iteratorINS9_10device_ptrIxEEEESE_SE_xNS9_4plusIxEE19head_flag_predicatexEE10hipError_tPvRmT2_T3_T4_T5_mT6_T7_P12ihipStream_tbENKUlT_T0_E_clISt17integral_constantIbLb0EESY_EEDaST_SU_EUlST_E_NS1_11comp_targetILNS1_3genE10ELNS1_11target_archE1200ELNS1_3gpuE4ELNS1_3repE0EEENS1_30default_config_static_selectorELNS0_4arch9wavefront6targetE1EEEvT1_.kd
    .uniform_work_group_size: 1
    .uses_dynamic_stack: false
    .vgpr_count:     0
    .vgpr_spill_count: 0
    .wavefront_size: 64
  - .agpr_count:     0
    .args:
      - .offset:         0
        .size:           136
        .value_kind:     by_value
    .group_segment_fixed_size: 0
    .kernarg_segment_align: 8
    .kernarg_segment_size: 136
    .language:       OpenCL C
    .language_version:
      - 2
      - 0
    .max_flat_workgroup_size: 256
    .name:           _ZN7rocprim17ROCPRIM_400000_NS6detail17trampoline_kernelINS0_14default_configENS1_27scan_by_key_config_selectorIxxEEZZNS1_16scan_by_key_implILNS1_25lookback_scan_determinismE0ELb0ES3_N6thrust23THRUST_200600_302600_NS6detail15normal_iteratorINS9_10device_ptrIxEEEESE_SE_xNS9_4plusIxEE19head_flag_predicatexEE10hipError_tPvRmT2_T3_T4_T5_mT6_T7_P12ihipStream_tbENKUlT_T0_E_clISt17integral_constantIbLb0EESY_EEDaST_SU_EUlST_E_NS1_11comp_targetILNS1_3genE9ELNS1_11target_archE1100ELNS1_3gpuE3ELNS1_3repE0EEENS1_30default_config_static_selectorELNS0_4arch9wavefront6targetE1EEEvT1_
    .private_segment_fixed_size: 0
    .sgpr_count:     4
    .sgpr_spill_count: 0
    .symbol:         _ZN7rocprim17ROCPRIM_400000_NS6detail17trampoline_kernelINS0_14default_configENS1_27scan_by_key_config_selectorIxxEEZZNS1_16scan_by_key_implILNS1_25lookback_scan_determinismE0ELb0ES3_N6thrust23THRUST_200600_302600_NS6detail15normal_iteratorINS9_10device_ptrIxEEEESE_SE_xNS9_4plusIxEE19head_flag_predicatexEE10hipError_tPvRmT2_T3_T4_T5_mT6_T7_P12ihipStream_tbENKUlT_T0_E_clISt17integral_constantIbLb0EESY_EEDaST_SU_EUlST_E_NS1_11comp_targetILNS1_3genE9ELNS1_11target_archE1100ELNS1_3gpuE3ELNS1_3repE0EEENS1_30default_config_static_selectorELNS0_4arch9wavefront6targetE1EEEvT1_.kd
    .uniform_work_group_size: 1
    .uses_dynamic_stack: false
    .vgpr_count:     0
    .vgpr_spill_count: 0
    .wavefront_size: 64
  - .agpr_count:     0
    .args:
      - .offset:         0
        .size:           136
        .value_kind:     by_value
    .group_segment_fixed_size: 0
    .kernarg_segment_align: 8
    .kernarg_segment_size: 136
    .language:       OpenCL C
    .language_version:
      - 2
      - 0
    .max_flat_workgroup_size: 256
    .name:           _ZN7rocprim17ROCPRIM_400000_NS6detail17trampoline_kernelINS0_14default_configENS1_27scan_by_key_config_selectorIxxEEZZNS1_16scan_by_key_implILNS1_25lookback_scan_determinismE0ELb0ES3_N6thrust23THRUST_200600_302600_NS6detail15normal_iteratorINS9_10device_ptrIxEEEESE_SE_xNS9_4plusIxEE19head_flag_predicatexEE10hipError_tPvRmT2_T3_T4_T5_mT6_T7_P12ihipStream_tbENKUlT_T0_E_clISt17integral_constantIbLb0EESY_EEDaST_SU_EUlST_E_NS1_11comp_targetILNS1_3genE8ELNS1_11target_archE1030ELNS1_3gpuE2ELNS1_3repE0EEENS1_30default_config_static_selectorELNS0_4arch9wavefront6targetE1EEEvT1_
    .private_segment_fixed_size: 0
    .sgpr_count:     4
    .sgpr_spill_count: 0
    .symbol:         _ZN7rocprim17ROCPRIM_400000_NS6detail17trampoline_kernelINS0_14default_configENS1_27scan_by_key_config_selectorIxxEEZZNS1_16scan_by_key_implILNS1_25lookback_scan_determinismE0ELb0ES3_N6thrust23THRUST_200600_302600_NS6detail15normal_iteratorINS9_10device_ptrIxEEEESE_SE_xNS9_4plusIxEE19head_flag_predicatexEE10hipError_tPvRmT2_T3_T4_T5_mT6_T7_P12ihipStream_tbENKUlT_T0_E_clISt17integral_constantIbLb0EESY_EEDaST_SU_EUlST_E_NS1_11comp_targetILNS1_3genE8ELNS1_11target_archE1030ELNS1_3gpuE2ELNS1_3repE0EEENS1_30default_config_static_selectorELNS0_4arch9wavefront6targetE1EEEvT1_.kd
    .uniform_work_group_size: 1
    .uses_dynamic_stack: false
    .vgpr_count:     0
    .vgpr_spill_count: 0
    .wavefront_size: 64
  - .agpr_count:     0
    .args:
      - .offset:         0
        .size:           136
        .value_kind:     by_value
    .group_segment_fixed_size: 0
    .kernarg_segment_align: 8
    .kernarg_segment_size: 136
    .language:       OpenCL C
    .language_version:
      - 2
      - 0
    .max_flat_workgroup_size: 256
    .name:           _ZN7rocprim17ROCPRIM_400000_NS6detail17trampoline_kernelINS0_14default_configENS1_27scan_by_key_config_selectorIxxEEZZNS1_16scan_by_key_implILNS1_25lookback_scan_determinismE0ELb0ES3_N6thrust23THRUST_200600_302600_NS6detail15normal_iteratorINS9_10device_ptrIxEEEESE_SE_xNS9_4plusIxEE19head_flag_predicatexEE10hipError_tPvRmT2_T3_T4_T5_mT6_T7_P12ihipStream_tbENKUlT_T0_E_clISt17integral_constantIbLb1EESY_EEDaST_SU_EUlST_E_NS1_11comp_targetILNS1_3genE0ELNS1_11target_archE4294967295ELNS1_3gpuE0ELNS1_3repE0EEENS1_30default_config_static_selectorELNS0_4arch9wavefront6targetE1EEEvT1_
    .private_segment_fixed_size: 0
    .sgpr_count:     4
    .sgpr_spill_count: 0
    .symbol:         _ZN7rocprim17ROCPRIM_400000_NS6detail17trampoline_kernelINS0_14default_configENS1_27scan_by_key_config_selectorIxxEEZZNS1_16scan_by_key_implILNS1_25lookback_scan_determinismE0ELb0ES3_N6thrust23THRUST_200600_302600_NS6detail15normal_iteratorINS9_10device_ptrIxEEEESE_SE_xNS9_4plusIxEE19head_flag_predicatexEE10hipError_tPvRmT2_T3_T4_T5_mT6_T7_P12ihipStream_tbENKUlT_T0_E_clISt17integral_constantIbLb1EESY_EEDaST_SU_EUlST_E_NS1_11comp_targetILNS1_3genE0ELNS1_11target_archE4294967295ELNS1_3gpuE0ELNS1_3repE0EEENS1_30default_config_static_selectorELNS0_4arch9wavefront6targetE1EEEvT1_.kd
    .uniform_work_group_size: 1
    .uses_dynamic_stack: false
    .vgpr_count:     0
    .vgpr_spill_count: 0
    .wavefront_size: 64
  - .agpr_count:     0
    .args:
      - .offset:         0
        .size:           136
        .value_kind:     by_value
    .group_segment_fixed_size: 0
    .kernarg_segment_align: 8
    .kernarg_segment_size: 136
    .language:       OpenCL C
    .language_version:
      - 2
      - 0
    .max_flat_workgroup_size: 256
    .name:           _ZN7rocprim17ROCPRIM_400000_NS6detail17trampoline_kernelINS0_14default_configENS1_27scan_by_key_config_selectorIxxEEZZNS1_16scan_by_key_implILNS1_25lookback_scan_determinismE0ELb0ES3_N6thrust23THRUST_200600_302600_NS6detail15normal_iteratorINS9_10device_ptrIxEEEESE_SE_xNS9_4plusIxEE19head_flag_predicatexEE10hipError_tPvRmT2_T3_T4_T5_mT6_T7_P12ihipStream_tbENKUlT_T0_E_clISt17integral_constantIbLb1EESY_EEDaST_SU_EUlST_E_NS1_11comp_targetILNS1_3genE10ELNS1_11target_archE1201ELNS1_3gpuE5ELNS1_3repE0EEENS1_30default_config_static_selectorELNS0_4arch9wavefront6targetE1EEEvT1_
    .private_segment_fixed_size: 0
    .sgpr_count:     4
    .sgpr_spill_count: 0
    .symbol:         _ZN7rocprim17ROCPRIM_400000_NS6detail17trampoline_kernelINS0_14default_configENS1_27scan_by_key_config_selectorIxxEEZZNS1_16scan_by_key_implILNS1_25lookback_scan_determinismE0ELb0ES3_N6thrust23THRUST_200600_302600_NS6detail15normal_iteratorINS9_10device_ptrIxEEEESE_SE_xNS9_4plusIxEE19head_flag_predicatexEE10hipError_tPvRmT2_T3_T4_T5_mT6_T7_P12ihipStream_tbENKUlT_T0_E_clISt17integral_constantIbLb1EESY_EEDaST_SU_EUlST_E_NS1_11comp_targetILNS1_3genE10ELNS1_11target_archE1201ELNS1_3gpuE5ELNS1_3repE0EEENS1_30default_config_static_selectorELNS0_4arch9wavefront6targetE1EEEvT1_.kd
    .uniform_work_group_size: 1
    .uses_dynamic_stack: false
    .vgpr_count:     0
    .vgpr_spill_count: 0
    .wavefront_size: 64
  - .agpr_count:     0
    .args:
      - .offset:         0
        .size:           136
        .value_kind:     by_value
    .group_segment_fixed_size: 0
    .kernarg_segment_align: 8
    .kernarg_segment_size: 136
    .language:       OpenCL C
    .language_version:
      - 2
      - 0
    .max_flat_workgroup_size: 256
    .name:           _ZN7rocprim17ROCPRIM_400000_NS6detail17trampoline_kernelINS0_14default_configENS1_27scan_by_key_config_selectorIxxEEZZNS1_16scan_by_key_implILNS1_25lookback_scan_determinismE0ELb0ES3_N6thrust23THRUST_200600_302600_NS6detail15normal_iteratorINS9_10device_ptrIxEEEESE_SE_xNS9_4plusIxEE19head_flag_predicatexEE10hipError_tPvRmT2_T3_T4_T5_mT6_T7_P12ihipStream_tbENKUlT_T0_E_clISt17integral_constantIbLb1EESY_EEDaST_SU_EUlST_E_NS1_11comp_targetILNS1_3genE5ELNS1_11target_archE942ELNS1_3gpuE9ELNS1_3repE0EEENS1_30default_config_static_selectorELNS0_4arch9wavefront6targetE1EEEvT1_
    .private_segment_fixed_size: 0
    .sgpr_count:     4
    .sgpr_spill_count: 0
    .symbol:         _ZN7rocprim17ROCPRIM_400000_NS6detail17trampoline_kernelINS0_14default_configENS1_27scan_by_key_config_selectorIxxEEZZNS1_16scan_by_key_implILNS1_25lookback_scan_determinismE0ELb0ES3_N6thrust23THRUST_200600_302600_NS6detail15normal_iteratorINS9_10device_ptrIxEEEESE_SE_xNS9_4plusIxEE19head_flag_predicatexEE10hipError_tPvRmT2_T3_T4_T5_mT6_T7_P12ihipStream_tbENKUlT_T0_E_clISt17integral_constantIbLb1EESY_EEDaST_SU_EUlST_E_NS1_11comp_targetILNS1_3genE5ELNS1_11target_archE942ELNS1_3gpuE9ELNS1_3repE0EEENS1_30default_config_static_selectorELNS0_4arch9wavefront6targetE1EEEvT1_.kd
    .uniform_work_group_size: 1
    .uses_dynamic_stack: false
    .vgpr_count:     0
    .vgpr_spill_count: 0
    .wavefront_size: 64
  - .agpr_count:     0
    .args:
      - .offset:         0
        .size:           136
        .value_kind:     by_value
    .group_segment_fixed_size: 10752
    .kernarg_segment_align: 8
    .kernarg_segment_size: 136
    .language:       OpenCL C
    .language_version:
      - 2
      - 0
    .max_flat_workgroup_size: 64
    .name:           _ZN7rocprim17ROCPRIM_400000_NS6detail17trampoline_kernelINS0_14default_configENS1_27scan_by_key_config_selectorIxxEEZZNS1_16scan_by_key_implILNS1_25lookback_scan_determinismE0ELb0ES3_N6thrust23THRUST_200600_302600_NS6detail15normal_iteratorINS9_10device_ptrIxEEEESE_SE_xNS9_4plusIxEE19head_flag_predicatexEE10hipError_tPvRmT2_T3_T4_T5_mT6_T7_P12ihipStream_tbENKUlT_T0_E_clISt17integral_constantIbLb1EESY_EEDaST_SU_EUlST_E_NS1_11comp_targetILNS1_3genE4ELNS1_11target_archE910ELNS1_3gpuE8ELNS1_3repE0EEENS1_30default_config_static_selectorELNS0_4arch9wavefront6targetE1EEEvT1_
    .private_segment_fixed_size: 0
    .sgpr_count:     78
    .sgpr_spill_count: 0
    .symbol:         _ZN7rocprim17ROCPRIM_400000_NS6detail17trampoline_kernelINS0_14default_configENS1_27scan_by_key_config_selectorIxxEEZZNS1_16scan_by_key_implILNS1_25lookback_scan_determinismE0ELb0ES3_N6thrust23THRUST_200600_302600_NS6detail15normal_iteratorINS9_10device_ptrIxEEEESE_SE_xNS9_4plusIxEE19head_flag_predicatexEE10hipError_tPvRmT2_T3_T4_T5_mT6_T7_P12ihipStream_tbENKUlT_T0_E_clISt17integral_constantIbLb1EESY_EEDaST_SU_EUlST_E_NS1_11comp_targetILNS1_3genE4ELNS1_11target_archE910ELNS1_3gpuE8ELNS1_3repE0EEENS1_30default_config_static_selectorELNS0_4arch9wavefront6targetE1EEEvT1_.kd
    .uniform_work_group_size: 1
    .uses_dynamic_stack: false
    .vgpr_count:     125
    .vgpr_spill_count: 0
    .wavefront_size: 64
  - .agpr_count:     0
    .args:
      - .offset:         0
        .size:           136
        .value_kind:     by_value
    .group_segment_fixed_size: 0
    .kernarg_segment_align: 8
    .kernarg_segment_size: 136
    .language:       OpenCL C
    .language_version:
      - 2
      - 0
    .max_flat_workgroup_size: 256
    .name:           _ZN7rocprim17ROCPRIM_400000_NS6detail17trampoline_kernelINS0_14default_configENS1_27scan_by_key_config_selectorIxxEEZZNS1_16scan_by_key_implILNS1_25lookback_scan_determinismE0ELb0ES3_N6thrust23THRUST_200600_302600_NS6detail15normal_iteratorINS9_10device_ptrIxEEEESE_SE_xNS9_4plusIxEE19head_flag_predicatexEE10hipError_tPvRmT2_T3_T4_T5_mT6_T7_P12ihipStream_tbENKUlT_T0_E_clISt17integral_constantIbLb1EESY_EEDaST_SU_EUlST_E_NS1_11comp_targetILNS1_3genE3ELNS1_11target_archE908ELNS1_3gpuE7ELNS1_3repE0EEENS1_30default_config_static_selectorELNS0_4arch9wavefront6targetE1EEEvT1_
    .private_segment_fixed_size: 0
    .sgpr_count:     4
    .sgpr_spill_count: 0
    .symbol:         _ZN7rocprim17ROCPRIM_400000_NS6detail17trampoline_kernelINS0_14default_configENS1_27scan_by_key_config_selectorIxxEEZZNS1_16scan_by_key_implILNS1_25lookback_scan_determinismE0ELb0ES3_N6thrust23THRUST_200600_302600_NS6detail15normal_iteratorINS9_10device_ptrIxEEEESE_SE_xNS9_4plusIxEE19head_flag_predicatexEE10hipError_tPvRmT2_T3_T4_T5_mT6_T7_P12ihipStream_tbENKUlT_T0_E_clISt17integral_constantIbLb1EESY_EEDaST_SU_EUlST_E_NS1_11comp_targetILNS1_3genE3ELNS1_11target_archE908ELNS1_3gpuE7ELNS1_3repE0EEENS1_30default_config_static_selectorELNS0_4arch9wavefront6targetE1EEEvT1_.kd
    .uniform_work_group_size: 1
    .uses_dynamic_stack: false
    .vgpr_count:     0
    .vgpr_spill_count: 0
    .wavefront_size: 64
  - .agpr_count:     0
    .args:
      - .offset:         0
        .size:           136
        .value_kind:     by_value
    .group_segment_fixed_size: 0
    .kernarg_segment_align: 8
    .kernarg_segment_size: 136
    .language:       OpenCL C
    .language_version:
      - 2
      - 0
    .max_flat_workgroup_size: 256
    .name:           _ZN7rocprim17ROCPRIM_400000_NS6detail17trampoline_kernelINS0_14default_configENS1_27scan_by_key_config_selectorIxxEEZZNS1_16scan_by_key_implILNS1_25lookback_scan_determinismE0ELb0ES3_N6thrust23THRUST_200600_302600_NS6detail15normal_iteratorINS9_10device_ptrIxEEEESE_SE_xNS9_4plusIxEE19head_flag_predicatexEE10hipError_tPvRmT2_T3_T4_T5_mT6_T7_P12ihipStream_tbENKUlT_T0_E_clISt17integral_constantIbLb1EESY_EEDaST_SU_EUlST_E_NS1_11comp_targetILNS1_3genE2ELNS1_11target_archE906ELNS1_3gpuE6ELNS1_3repE0EEENS1_30default_config_static_selectorELNS0_4arch9wavefront6targetE1EEEvT1_
    .private_segment_fixed_size: 0
    .sgpr_count:     4
    .sgpr_spill_count: 0
    .symbol:         _ZN7rocprim17ROCPRIM_400000_NS6detail17trampoline_kernelINS0_14default_configENS1_27scan_by_key_config_selectorIxxEEZZNS1_16scan_by_key_implILNS1_25lookback_scan_determinismE0ELb0ES3_N6thrust23THRUST_200600_302600_NS6detail15normal_iteratorINS9_10device_ptrIxEEEESE_SE_xNS9_4plusIxEE19head_flag_predicatexEE10hipError_tPvRmT2_T3_T4_T5_mT6_T7_P12ihipStream_tbENKUlT_T0_E_clISt17integral_constantIbLb1EESY_EEDaST_SU_EUlST_E_NS1_11comp_targetILNS1_3genE2ELNS1_11target_archE906ELNS1_3gpuE6ELNS1_3repE0EEENS1_30default_config_static_selectorELNS0_4arch9wavefront6targetE1EEEvT1_.kd
    .uniform_work_group_size: 1
    .uses_dynamic_stack: false
    .vgpr_count:     0
    .vgpr_spill_count: 0
    .wavefront_size: 64
  - .agpr_count:     0
    .args:
      - .offset:         0
        .size:           136
        .value_kind:     by_value
    .group_segment_fixed_size: 0
    .kernarg_segment_align: 8
    .kernarg_segment_size: 136
    .language:       OpenCL C
    .language_version:
      - 2
      - 0
    .max_flat_workgroup_size: 256
    .name:           _ZN7rocprim17ROCPRIM_400000_NS6detail17trampoline_kernelINS0_14default_configENS1_27scan_by_key_config_selectorIxxEEZZNS1_16scan_by_key_implILNS1_25lookback_scan_determinismE0ELb0ES3_N6thrust23THRUST_200600_302600_NS6detail15normal_iteratorINS9_10device_ptrIxEEEESE_SE_xNS9_4plusIxEE19head_flag_predicatexEE10hipError_tPvRmT2_T3_T4_T5_mT6_T7_P12ihipStream_tbENKUlT_T0_E_clISt17integral_constantIbLb1EESY_EEDaST_SU_EUlST_E_NS1_11comp_targetILNS1_3genE10ELNS1_11target_archE1200ELNS1_3gpuE4ELNS1_3repE0EEENS1_30default_config_static_selectorELNS0_4arch9wavefront6targetE1EEEvT1_
    .private_segment_fixed_size: 0
    .sgpr_count:     4
    .sgpr_spill_count: 0
    .symbol:         _ZN7rocprim17ROCPRIM_400000_NS6detail17trampoline_kernelINS0_14default_configENS1_27scan_by_key_config_selectorIxxEEZZNS1_16scan_by_key_implILNS1_25lookback_scan_determinismE0ELb0ES3_N6thrust23THRUST_200600_302600_NS6detail15normal_iteratorINS9_10device_ptrIxEEEESE_SE_xNS9_4plusIxEE19head_flag_predicatexEE10hipError_tPvRmT2_T3_T4_T5_mT6_T7_P12ihipStream_tbENKUlT_T0_E_clISt17integral_constantIbLb1EESY_EEDaST_SU_EUlST_E_NS1_11comp_targetILNS1_3genE10ELNS1_11target_archE1200ELNS1_3gpuE4ELNS1_3repE0EEENS1_30default_config_static_selectorELNS0_4arch9wavefront6targetE1EEEvT1_.kd
    .uniform_work_group_size: 1
    .uses_dynamic_stack: false
    .vgpr_count:     0
    .vgpr_spill_count: 0
    .wavefront_size: 64
  - .agpr_count:     0
    .args:
      - .offset:         0
        .size:           136
        .value_kind:     by_value
    .group_segment_fixed_size: 0
    .kernarg_segment_align: 8
    .kernarg_segment_size: 136
    .language:       OpenCL C
    .language_version:
      - 2
      - 0
    .max_flat_workgroup_size: 256
    .name:           _ZN7rocprim17ROCPRIM_400000_NS6detail17trampoline_kernelINS0_14default_configENS1_27scan_by_key_config_selectorIxxEEZZNS1_16scan_by_key_implILNS1_25lookback_scan_determinismE0ELb0ES3_N6thrust23THRUST_200600_302600_NS6detail15normal_iteratorINS9_10device_ptrIxEEEESE_SE_xNS9_4plusIxEE19head_flag_predicatexEE10hipError_tPvRmT2_T3_T4_T5_mT6_T7_P12ihipStream_tbENKUlT_T0_E_clISt17integral_constantIbLb1EESY_EEDaST_SU_EUlST_E_NS1_11comp_targetILNS1_3genE9ELNS1_11target_archE1100ELNS1_3gpuE3ELNS1_3repE0EEENS1_30default_config_static_selectorELNS0_4arch9wavefront6targetE1EEEvT1_
    .private_segment_fixed_size: 0
    .sgpr_count:     4
    .sgpr_spill_count: 0
    .symbol:         _ZN7rocprim17ROCPRIM_400000_NS6detail17trampoline_kernelINS0_14default_configENS1_27scan_by_key_config_selectorIxxEEZZNS1_16scan_by_key_implILNS1_25lookback_scan_determinismE0ELb0ES3_N6thrust23THRUST_200600_302600_NS6detail15normal_iteratorINS9_10device_ptrIxEEEESE_SE_xNS9_4plusIxEE19head_flag_predicatexEE10hipError_tPvRmT2_T3_T4_T5_mT6_T7_P12ihipStream_tbENKUlT_T0_E_clISt17integral_constantIbLb1EESY_EEDaST_SU_EUlST_E_NS1_11comp_targetILNS1_3genE9ELNS1_11target_archE1100ELNS1_3gpuE3ELNS1_3repE0EEENS1_30default_config_static_selectorELNS0_4arch9wavefront6targetE1EEEvT1_.kd
    .uniform_work_group_size: 1
    .uses_dynamic_stack: false
    .vgpr_count:     0
    .vgpr_spill_count: 0
    .wavefront_size: 64
  - .agpr_count:     0
    .args:
      - .offset:         0
        .size:           136
        .value_kind:     by_value
    .group_segment_fixed_size: 0
    .kernarg_segment_align: 8
    .kernarg_segment_size: 136
    .language:       OpenCL C
    .language_version:
      - 2
      - 0
    .max_flat_workgroup_size: 256
    .name:           _ZN7rocprim17ROCPRIM_400000_NS6detail17trampoline_kernelINS0_14default_configENS1_27scan_by_key_config_selectorIxxEEZZNS1_16scan_by_key_implILNS1_25lookback_scan_determinismE0ELb0ES3_N6thrust23THRUST_200600_302600_NS6detail15normal_iteratorINS9_10device_ptrIxEEEESE_SE_xNS9_4plusIxEE19head_flag_predicatexEE10hipError_tPvRmT2_T3_T4_T5_mT6_T7_P12ihipStream_tbENKUlT_T0_E_clISt17integral_constantIbLb1EESY_EEDaST_SU_EUlST_E_NS1_11comp_targetILNS1_3genE8ELNS1_11target_archE1030ELNS1_3gpuE2ELNS1_3repE0EEENS1_30default_config_static_selectorELNS0_4arch9wavefront6targetE1EEEvT1_
    .private_segment_fixed_size: 0
    .sgpr_count:     4
    .sgpr_spill_count: 0
    .symbol:         _ZN7rocprim17ROCPRIM_400000_NS6detail17trampoline_kernelINS0_14default_configENS1_27scan_by_key_config_selectorIxxEEZZNS1_16scan_by_key_implILNS1_25lookback_scan_determinismE0ELb0ES3_N6thrust23THRUST_200600_302600_NS6detail15normal_iteratorINS9_10device_ptrIxEEEESE_SE_xNS9_4plusIxEE19head_flag_predicatexEE10hipError_tPvRmT2_T3_T4_T5_mT6_T7_P12ihipStream_tbENKUlT_T0_E_clISt17integral_constantIbLb1EESY_EEDaST_SU_EUlST_E_NS1_11comp_targetILNS1_3genE8ELNS1_11target_archE1030ELNS1_3gpuE2ELNS1_3repE0EEENS1_30default_config_static_selectorELNS0_4arch9wavefront6targetE1EEEvT1_.kd
    .uniform_work_group_size: 1
    .uses_dynamic_stack: false
    .vgpr_count:     0
    .vgpr_spill_count: 0
    .wavefront_size: 64
  - .agpr_count:     0
    .args:
      - .offset:         0
        .size:           136
        .value_kind:     by_value
    .group_segment_fixed_size: 0
    .kernarg_segment_align: 8
    .kernarg_segment_size: 136
    .language:       OpenCL C
    .language_version:
      - 2
      - 0
    .max_flat_workgroup_size: 256
    .name:           _ZN7rocprim17ROCPRIM_400000_NS6detail17trampoline_kernelINS0_14default_configENS1_27scan_by_key_config_selectorIxxEEZZNS1_16scan_by_key_implILNS1_25lookback_scan_determinismE0ELb0ES3_N6thrust23THRUST_200600_302600_NS6detail15normal_iteratorINS9_10device_ptrIxEEEESE_SE_xNS9_4plusIxEE19head_flag_predicatexEE10hipError_tPvRmT2_T3_T4_T5_mT6_T7_P12ihipStream_tbENKUlT_T0_E_clISt17integral_constantIbLb1EESX_IbLb0EEEEDaST_SU_EUlST_E_NS1_11comp_targetILNS1_3genE0ELNS1_11target_archE4294967295ELNS1_3gpuE0ELNS1_3repE0EEENS1_30default_config_static_selectorELNS0_4arch9wavefront6targetE1EEEvT1_
    .private_segment_fixed_size: 0
    .sgpr_count:     4
    .sgpr_spill_count: 0
    .symbol:         _ZN7rocprim17ROCPRIM_400000_NS6detail17trampoline_kernelINS0_14default_configENS1_27scan_by_key_config_selectorIxxEEZZNS1_16scan_by_key_implILNS1_25lookback_scan_determinismE0ELb0ES3_N6thrust23THRUST_200600_302600_NS6detail15normal_iteratorINS9_10device_ptrIxEEEESE_SE_xNS9_4plusIxEE19head_flag_predicatexEE10hipError_tPvRmT2_T3_T4_T5_mT6_T7_P12ihipStream_tbENKUlT_T0_E_clISt17integral_constantIbLb1EESX_IbLb0EEEEDaST_SU_EUlST_E_NS1_11comp_targetILNS1_3genE0ELNS1_11target_archE4294967295ELNS1_3gpuE0ELNS1_3repE0EEENS1_30default_config_static_selectorELNS0_4arch9wavefront6targetE1EEEvT1_.kd
    .uniform_work_group_size: 1
    .uses_dynamic_stack: false
    .vgpr_count:     0
    .vgpr_spill_count: 0
    .wavefront_size: 64
  - .agpr_count:     0
    .args:
      - .offset:         0
        .size:           136
        .value_kind:     by_value
    .group_segment_fixed_size: 0
    .kernarg_segment_align: 8
    .kernarg_segment_size: 136
    .language:       OpenCL C
    .language_version:
      - 2
      - 0
    .max_flat_workgroup_size: 256
    .name:           _ZN7rocprim17ROCPRIM_400000_NS6detail17trampoline_kernelINS0_14default_configENS1_27scan_by_key_config_selectorIxxEEZZNS1_16scan_by_key_implILNS1_25lookback_scan_determinismE0ELb0ES3_N6thrust23THRUST_200600_302600_NS6detail15normal_iteratorINS9_10device_ptrIxEEEESE_SE_xNS9_4plusIxEE19head_flag_predicatexEE10hipError_tPvRmT2_T3_T4_T5_mT6_T7_P12ihipStream_tbENKUlT_T0_E_clISt17integral_constantIbLb1EESX_IbLb0EEEEDaST_SU_EUlST_E_NS1_11comp_targetILNS1_3genE10ELNS1_11target_archE1201ELNS1_3gpuE5ELNS1_3repE0EEENS1_30default_config_static_selectorELNS0_4arch9wavefront6targetE1EEEvT1_
    .private_segment_fixed_size: 0
    .sgpr_count:     4
    .sgpr_spill_count: 0
    .symbol:         _ZN7rocprim17ROCPRIM_400000_NS6detail17trampoline_kernelINS0_14default_configENS1_27scan_by_key_config_selectorIxxEEZZNS1_16scan_by_key_implILNS1_25lookback_scan_determinismE0ELb0ES3_N6thrust23THRUST_200600_302600_NS6detail15normal_iteratorINS9_10device_ptrIxEEEESE_SE_xNS9_4plusIxEE19head_flag_predicatexEE10hipError_tPvRmT2_T3_T4_T5_mT6_T7_P12ihipStream_tbENKUlT_T0_E_clISt17integral_constantIbLb1EESX_IbLb0EEEEDaST_SU_EUlST_E_NS1_11comp_targetILNS1_3genE10ELNS1_11target_archE1201ELNS1_3gpuE5ELNS1_3repE0EEENS1_30default_config_static_selectorELNS0_4arch9wavefront6targetE1EEEvT1_.kd
    .uniform_work_group_size: 1
    .uses_dynamic_stack: false
    .vgpr_count:     0
    .vgpr_spill_count: 0
    .wavefront_size: 64
  - .agpr_count:     0
    .args:
      - .offset:         0
        .size:           136
        .value_kind:     by_value
    .group_segment_fixed_size: 0
    .kernarg_segment_align: 8
    .kernarg_segment_size: 136
    .language:       OpenCL C
    .language_version:
      - 2
      - 0
    .max_flat_workgroup_size: 256
    .name:           _ZN7rocprim17ROCPRIM_400000_NS6detail17trampoline_kernelINS0_14default_configENS1_27scan_by_key_config_selectorIxxEEZZNS1_16scan_by_key_implILNS1_25lookback_scan_determinismE0ELb0ES3_N6thrust23THRUST_200600_302600_NS6detail15normal_iteratorINS9_10device_ptrIxEEEESE_SE_xNS9_4plusIxEE19head_flag_predicatexEE10hipError_tPvRmT2_T3_T4_T5_mT6_T7_P12ihipStream_tbENKUlT_T0_E_clISt17integral_constantIbLb1EESX_IbLb0EEEEDaST_SU_EUlST_E_NS1_11comp_targetILNS1_3genE5ELNS1_11target_archE942ELNS1_3gpuE9ELNS1_3repE0EEENS1_30default_config_static_selectorELNS0_4arch9wavefront6targetE1EEEvT1_
    .private_segment_fixed_size: 0
    .sgpr_count:     4
    .sgpr_spill_count: 0
    .symbol:         _ZN7rocprim17ROCPRIM_400000_NS6detail17trampoline_kernelINS0_14default_configENS1_27scan_by_key_config_selectorIxxEEZZNS1_16scan_by_key_implILNS1_25lookback_scan_determinismE0ELb0ES3_N6thrust23THRUST_200600_302600_NS6detail15normal_iteratorINS9_10device_ptrIxEEEESE_SE_xNS9_4plusIxEE19head_flag_predicatexEE10hipError_tPvRmT2_T3_T4_T5_mT6_T7_P12ihipStream_tbENKUlT_T0_E_clISt17integral_constantIbLb1EESX_IbLb0EEEEDaST_SU_EUlST_E_NS1_11comp_targetILNS1_3genE5ELNS1_11target_archE942ELNS1_3gpuE9ELNS1_3repE0EEENS1_30default_config_static_selectorELNS0_4arch9wavefront6targetE1EEEvT1_.kd
    .uniform_work_group_size: 1
    .uses_dynamic_stack: false
    .vgpr_count:     0
    .vgpr_spill_count: 0
    .wavefront_size: 64
  - .agpr_count:     0
    .args:
      - .offset:         0
        .size:           136
        .value_kind:     by_value
    .group_segment_fixed_size: 10752
    .kernarg_segment_align: 8
    .kernarg_segment_size: 136
    .language:       OpenCL C
    .language_version:
      - 2
      - 0
    .max_flat_workgroup_size: 64
    .name:           _ZN7rocprim17ROCPRIM_400000_NS6detail17trampoline_kernelINS0_14default_configENS1_27scan_by_key_config_selectorIxxEEZZNS1_16scan_by_key_implILNS1_25lookback_scan_determinismE0ELb0ES3_N6thrust23THRUST_200600_302600_NS6detail15normal_iteratorINS9_10device_ptrIxEEEESE_SE_xNS9_4plusIxEE19head_flag_predicatexEE10hipError_tPvRmT2_T3_T4_T5_mT6_T7_P12ihipStream_tbENKUlT_T0_E_clISt17integral_constantIbLb1EESX_IbLb0EEEEDaST_SU_EUlST_E_NS1_11comp_targetILNS1_3genE4ELNS1_11target_archE910ELNS1_3gpuE8ELNS1_3repE0EEENS1_30default_config_static_selectorELNS0_4arch9wavefront6targetE1EEEvT1_
    .private_segment_fixed_size: 0
    .sgpr_count:     74
    .sgpr_spill_count: 0
    .symbol:         _ZN7rocprim17ROCPRIM_400000_NS6detail17trampoline_kernelINS0_14default_configENS1_27scan_by_key_config_selectorIxxEEZZNS1_16scan_by_key_implILNS1_25lookback_scan_determinismE0ELb0ES3_N6thrust23THRUST_200600_302600_NS6detail15normal_iteratorINS9_10device_ptrIxEEEESE_SE_xNS9_4plusIxEE19head_flag_predicatexEE10hipError_tPvRmT2_T3_T4_T5_mT6_T7_P12ihipStream_tbENKUlT_T0_E_clISt17integral_constantIbLb1EESX_IbLb0EEEEDaST_SU_EUlST_E_NS1_11comp_targetILNS1_3genE4ELNS1_11target_archE910ELNS1_3gpuE8ELNS1_3repE0EEENS1_30default_config_static_selectorELNS0_4arch9wavefront6targetE1EEEvT1_.kd
    .uniform_work_group_size: 1
    .uses_dynamic_stack: false
    .vgpr_count:     125
    .vgpr_spill_count: 0
    .wavefront_size: 64
  - .agpr_count:     0
    .args:
      - .offset:         0
        .size:           136
        .value_kind:     by_value
    .group_segment_fixed_size: 0
    .kernarg_segment_align: 8
    .kernarg_segment_size: 136
    .language:       OpenCL C
    .language_version:
      - 2
      - 0
    .max_flat_workgroup_size: 256
    .name:           _ZN7rocprim17ROCPRIM_400000_NS6detail17trampoline_kernelINS0_14default_configENS1_27scan_by_key_config_selectorIxxEEZZNS1_16scan_by_key_implILNS1_25lookback_scan_determinismE0ELb0ES3_N6thrust23THRUST_200600_302600_NS6detail15normal_iteratorINS9_10device_ptrIxEEEESE_SE_xNS9_4plusIxEE19head_flag_predicatexEE10hipError_tPvRmT2_T3_T4_T5_mT6_T7_P12ihipStream_tbENKUlT_T0_E_clISt17integral_constantIbLb1EESX_IbLb0EEEEDaST_SU_EUlST_E_NS1_11comp_targetILNS1_3genE3ELNS1_11target_archE908ELNS1_3gpuE7ELNS1_3repE0EEENS1_30default_config_static_selectorELNS0_4arch9wavefront6targetE1EEEvT1_
    .private_segment_fixed_size: 0
    .sgpr_count:     4
    .sgpr_spill_count: 0
    .symbol:         _ZN7rocprim17ROCPRIM_400000_NS6detail17trampoline_kernelINS0_14default_configENS1_27scan_by_key_config_selectorIxxEEZZNS1_16scan_by_key_implILNS1_25lookback_scan_determinismE0ELb0ES3_N6thrust23THRUST_200600_302600_NS6detail15normal_iteratorINS9_10device_ptrIxEEEESE_SE_xNS9_4plusIxEE19head_flag_predicatexEE10hipError_tPvRmT2_T3_T4_T5_mT6_T7_P12ihipStream_tbENKUlT_T0_E_clISt17integral_constantIbLb1EESX_IbLb0EEEEDaST_SU_EUlST_E_NS1_11comp_targetILNS1_3genE3ELNS1_11target_archE908ELNS1_3gpuE7ELNS1_3repE0EEENS1_30default_config_static_selectorELNS0_4arch9wavefront6targetE1EEEvT1_.kd
    .uniform_work_group_size: 1
    .uses_dynamic_stack: false
    .vgpr_count:     0
    .vgpr_spill_count: 0
    .wavefront_size: 64
  - .agpr_count:     0
    .args:
      - .offset:         0
        .size:           136
        .value_kind:     by_value
    .group_segment_fixed_size: 0
    .kernarg_segment_align: 8
    .kernarg_segment_size: 136
    .language:       OpenCL C
    .language_version:
      - 2
      - 0
    .max_flat_workgroup_size: 256
    .name:           _ZN7rocprim17ROCPRIM_400000_NS6detail17trampoline_kernelINS0_14default_configENS1_27scan_by_key_config_selectorIxxEEZZNS1_16scan_by_key_implILNS1_25lookback_scan_determinismE0ELb0ES3_N6thrust23THRUST_200600_302600_NS6detail15normal_iteratorINS9_10device_ptrIxEEEESE_SE_xNS9_4plusIxEE19head_flag_predicatexEE10hipError_tPvRmT2_T3_T4_T5_mT6_T7_P12ihipStream_tbENKUlT_T0_E_clISt17integral_constantIbLb1EESX_IbLb0EEEEDaST_SU_EUlST_E_NS1_11comp_targetILNS1_3genE2ELNS1_11target_archE906ELNS1_3gpuE6ELNS1_3repE0EEENS1_30default_config_static_selectorELNS0_4arch9wavefront6targetE1EEEvT1_
    .private_segment_fixed_size: 0
    .sgpr_count:     4
    .sgpr_spill_count: 0
    .symbol:         _ZN7rocprim17ROCPRIM_400000_NS6detail17trampoline_kernelINS0_14default_configENS1_27scan_by_key_config_selectorIxxEEZZNS1_16scan_by_key_implILNS1_25lookback_scan_determinismE0ELb0ES3_N6thrust23THRUST_200600_302600_NS6detail15normal_iteratorINS9_10device_ptrIxEEEESE_SE_xNS9_4plusIxEE19head_flag_predicatexEE10hipError_tPvRmT2_T3_T4_T5_mT6_T7_P12ihipStream_tbENKUlT_T0_E_clISt17integral_constantIbLb1EESX_IbLb0EEEEDaST_SU_EUlST_E_NS1_11comp_targetILNS1_3genE2ELNS1_11target_archE906ELNS1_3gpuE6ELNS1_3repE0EEENS1_30default_config_static_selectorELNS0_4arch9wavefront6targetE1EEEvT1_.kd
    .uniform_work_group_size: 1
    .uses_dynamic_stack: false
    .vgpr_count:     0
    .vgpr_spill_count: 0
    .wavefront_size: 64
  - .agpr_count:     0
    .args:
      - .offset:         0
        .size:           136
        .value_kind:     by_value
    .group_segment_fixed_size: 0
    .kernarg_segment_align: 8
    .kernarg_segment_size: 136
    .language:       OpenCL C
    .language_version:
      - 2
      - 0
    .max_flat_workgroup_size: 256
    .name:           _ZN7rocprim17ROCPRIM_400000_NS6detail17trampoline_kernelINS0_14default_configENS1_27scan_by_key_config_selectorIxxEEZZNS1_16scan_by_key_implILNS1_25lookback_scan_determinismE0ELb0ES3_N6thrust23THRUST_200600_302600_NS6detail15normal_iteratorINS9_10device_ptrIxEEEESE_SE_xNS9_4plusIxEE19head_flag_predicatexEE10hipError_tPvRmT2_T3_T4_T5_mT6_T7_P12ihipStream_tbENKUlT_T0_E_clISt17integral_constantIbLb1EESX_IbLb0EEEEDaST_SU_EUlST_E_NS1_11comp_targetILNS1_3genE10ELNS1_11target_archE1200ELNS1_3gpuE4ELNS1_3repE0EEENS1_30default_config_static_selectorELNS0_4arch9wavefront6targetE1EEEvT1_
    .private_segment_fixed_size: 0
    .sgpr_count:     4
    .sgpr_spill_count: 0
    .symbol:         _ZN7rocprim17ROCPRIM_400000_NS6detail17trampoline_kernelINS0_14default_configENS1_27scan_by_key_config_selectorIxxEEZZNS1_16scan_by_key_implILNS1_25lookback_scan_determinismE0ELb0ES3_N6thrust23THRUST_200600_302600_NS6detail15normal_iteratorINS9_10device_ptrIxEEEESE_SE_xNS9_4plusIxEE19head_flag_predicatexEE10hipError_tPvRmT2_T3_T4_T5_mT6_T7_P12ihipStream_tbENKUlT_T0_E_clISt17integral_constantIbLb1EESX_IbLb0EEEEDaST_SU_EUlST_E_NS1_11comp_targetILNS1_3genE10ELNS1_11target_archE1200ELNS1_3gpuE4ELNS1_3repE0EEENS1_30default_config_static_selectorELNS0_4arch9wavefront6targetE1EEEvT1_.kd
    .uniform_work_group_size: 1
    .uses_dynamic_stack: false
    .vgpr_count:     0
    .vgpr_spill_count: 0
    .wavefront_size: 64
  - .agpr_count:     0
    .args:
      - .offset:         0
        .size:           136
        .value_kind:     by_value
    .group_segment_fixed_size: 0
    .kernarg_segment_align: 8
    .kernarg_segment_size: 136
    .language:       OpenCL C
    .language_version:
      - 2
      - 0
    .max_flat_workgroup_size: 256
    .name:           _ZN7rocprim17ROCPRIM_400000_NS6detail17trampoline_kernelINS0_14default_configENS1_27scan_by_key_config_selectorIxxEEZZNS1_16scan_by_key_implILNS1_25lookback_scan_determinismE0ELb0ES3_N6thrust23THRUST_200600_302600_NS6detail15normal_iteratorINS9_10device_ptrIxEEEESE_SE_xNS9_4plusIxEE19head_flag_predicatexEE10hipError_tPvRmT2_T3_T4_T5_mT6_T7_P12ihipStream_tbENKUlT_T0_E_clISt17integral_constantIbLb1EESX_IbLb0EEEEDaST_SU_EUlST_E_NS1_11comp_targetILNS1_3genE9ELNS1_11target_archE1100ELNS1_3gpuE3ELNS1_3repE0EEENS1_30default_config_static_selectorELNS0_4arch9wavefront6targetE1EEEvT1_
    .private_segment_fixed_size: 0
    .sgpr_count:     4
    .sgpr_spill_count: 0
    .symbol:         _ZN7rocprim17ROCPRIM_400000_NS6detail17trampoline_kernelINS0_14default_configENS1_27scan_by_key_config_selectorIxxEEZZNS1_16scan_by_key_implILNS1_25lookback_scan_determinismE0ELb0ES3_N6thrust23THRUST_200600_302600_NS6detail15normal_iteratorINS9_10device_ptrIxEEEESE_SE_xNS9_4plusIxEE19head_flag_predicatexEE10hipError_tPvRmT2_T3_T4_T5_mT6_T7_P12ihipStream_tbENKUlT_T0_E_clISt17integral_constantIbLb1EESX_IbLb0EEEEDaST_SU_EUlST_E_NS1_11comp_targetILNS1_3genE9ELNS1_11target_archE1100ELNS1_3gpuE3ELNS1_3repE0EEENS1_30default_config_static_selectorELNS0_4arch9wavefront6targetE1EEEvT1_.kd
    .uniform_work_group_size: 1
    .uses_dynamic_stack: false
    .vgpr_count:     0
    .vgpr_spill_count: 0
    .wavefront_size: 64
  - .agpr_count:     0
    .args:
      - .offset:         0
        .size:           136
        .value_kind:     by_value
    .group_segment_fixed_size: 0
    .kernarg_segment_align: 8
    .kernarg_segment_size: 136
    .language:       OpenCL C
    .language_version:
      - 2
      - 0
    .max_flat_workgroup_size: 256
    .name:           _ZN7rocprim17ROCPRIM_400000_NS6detail17trampoline_kernelINS0_14default_configENS1_27scan_by_key_config_selectorIxxEEZZNS1_16scan_by_key_implILNS1_25lookback_scan_determinismE0ELb0ES3_N6thrust23THRUST_200600_302600_NS6detail15normal_iteratorINS9_10device_ptrIxEEEESE_SE_xNS9_4plusIxEE19head_flag_predicatexEE10hipError_tPvRmT2_T3_T4_T5_mT6_T7_P12ihipStream_tbENKUlT_T0_E_clISt17integral_constantIbLb1EESX_IbLb0EEEEDaST_SU_EUlST_E_NS1_11comp_targetILNS1_3genE8ELNS1_11target_archE1030ELNS1_3gpuE2ELNS1_3repE0EEENS1_30default_config_static_selectorELNS0_4arch9wavefront6targetE1EEEvT1_
    .private_segment_fixed_size: 0
    .sgpr_count:     4
    .sgpr_spill_count: 0
    .symbol:         _ZN7rocprim17ROCPRIM_400000_NS6detail17trampoline_kernelINS0_14default_configENS1_27scan_by_key_config_selectorIxxEEZZNS1_16scan_by_key_implILNS1_25lookback_scan_determinismE0ELb0ES3_N6thrust23THRUST_200600_302600_NS6detail15normal_iteratorINS9_10device_ptrIxEEEESE_SE_xNS9_4plusIxEE19head_flag_predicatexEE10hipError_tPvRmT2_T3_T4_T5_mT6_T7_P12ihipStream_tbENKUlT_T0_E_clISt17integral_constantIbLb1EESX_IbLb0EEEEDaST_SU_EUlST_E_NS1_11comp_targetILNS1_3genE8ELNS1_11target_archE1030ELNS1_3gpuE2ELNS1_3repE0EEENS1_30default_config_static_selectorELNS0_4arch9wavefront6targetE1EEEvT1_.kd
    .uniform_work_group_size: 1
    .uses_dynamic_stack: false
    .vgpr_count:     0
    .vgpr_spill_count: 0
    .wavefront_size: 64
  - .agpr_count:     0
    .args:
      - .offset:         0
        .size:           136
        .value_kind:     by_value
    .group_segment_fixed_size: 0
    .kernarg_segment_align: 8
    .kernarg_segment_size: 136
    .language:       OpenCL C
    .language_version:
      - 2
      - 0
    .max_flat_workgroup_size: 256
    .name:           _ZN7rocprim17ROCPRIM_400000_NS6detail17trampoline_kernelINS0_14default_configENS1_27scan_by_key_config_selectorIxxEEZZNS1_16scan_by_key_implILNS1_25lookback_scan_determinismE0ELb0ES3_N6thrust23THRUST_200600_302600_NS6detail15normal_iteratorINS9_10device_ptrIxEEEESE_SE_xNS9_4plusIxEE19head_flag_predicatexEE10hipError_tPvRmT2_T3_T4_T5_mT6_T7_P12ihipStream_tbENKUlT_T0_E_clISt17integral_constantIbLb0EESX_IbLb1EEEEDaST_SU_EUlST_E_NS1_11comp_targetILNS1_3genE0ELNS1_11target_archE4294967295ELNS1_3gpuE0ELNS1_3repE0EEENS1_30default_config_static_selectorELNS0_4arch9wavefront6targetE1EEEvT1_
    .private_segment_fixed_size: 0
    .sgpr_count:     4
    .sgpr_spill_count: 0
    .symbol:         _ZN7rocprim17ROCPRIM_400000_NS6detail17trampoline_kernelINS0_14default_configENS1_27scan_by_key_config_selectorIxxEEZZNS1_16scan_by_key_implILNS1_25lookback_scan_determinismE0ELb0ES3_N6thrust23THRUST_200600_302600_NS6detail15normal_iteratorINS9_10device_ptrIxEEEESE_SE_xNS9_4plusIxEE19head_flag_predicatexEE10hipError_tPvRmT2_T3_T4_T5_mT6_T7_P12ihipStream_tbENKUlT_T0_E_clISt17integral_constantIbLb0EESX_IbLb1EEEEDaST_SU_EUlST_E_NS1_11comp_targetILNS1_3genE0ELNS1_11target_archE4294967295ELNS1_3gpuE0ELNS1_3repE0EEENS1_30default_config_static_selectorELNS0_4arch9wavefront6targetE1EEEvT1_.kd
    .uniform_work_group_size: 1
    .uses_dynamic_stack: false
    .vgpr_count:     0
    .vgpr_spill_count: 0
    .wavefront_size: 64
  - .agpr_count:     0
    .args:
      - .offset:         0
        .size:           136
        .value_kind:     by_value
    .group_segment_fixed_size: 0
    .kernarg_segment_align: 8
    .kernarg_segment_size: 136
    .language:       OpenCL C
    .language_version:
      - 2
      - 0
    .max_flat_workgroup_size: 256
    .name:           _ZN7rocprim17ROCPRIM_400000_NS6detail17trampoline_kernelINS0_14default_configENS1_27scan_by_key_config_selectorIxxEEZZNS1_16scan_by_key_implILNS1_25lookback_scan_determinismE0ELb0ES3_N6thrust23THRUST_200600_302600_NS6detail15normal_iteratorINS9_10device_ptrIxEEEESE_SE_xNS9_4plusIxEE19head_flag_predicatexEE10hipError_tPvRmT2_T3_T4_T5_mT6_T7_P12ihipStream_tbENKUlT_T0_E_clISt17integral_constantIbLb0EESX_IbLb1EEEEDaST_SU_EUlST_E_NS1_11comp_targetILNS1_3genE10ELNS1_11target_archE1201ELNS1_3gpuE5ELNS1_3repE0EEENS1_30default_config_static_selectorELNS0_4arch9wavefront6targetE1EEEvT1_
    .private_segment_fixed_size: 0
    .sgpr_count:     4
    .sgpr_spill_count: 0
    .symbol:         _ZN7rocprim17ROCPRIM_400000_NS6detail17trampoline_kernelINS0_14default_configENS1_27scan_by_key_config_selectorIxxEEZZNS1_16scan_by_key_implILNS1_25lookback_scan_determinismE0ELb0ES3_N6thrust23THRUST_200600_302600_NS6detail15normal_iteratorINS9_10device_ptrIxEEEESE_SE_xNS9_4plusIxEE19head_flag_predicatexEE10hipError_tPvRmT2_T3_T4_T5_mT6_T7_P12ihipStream_tbENKUlT_T0_E_clISt17integral_constantIbLb0EESX_IbLb1EEEEDaST_SU_EUlST_E_NS1_11comp_targetILNS1_3genE10ELNS1_11target_archE1201ELNS1_3gpuE5ELNS1_3repE0EEENS1_30default_config_static_selectorELNS0_4arch9wavefront6targetE1EEEvT1_.kd
    .uniform_work_group_size: 1
    .uses_dynamic_stack: false
    .vgpr_count:     0
    .vgpr_spill_count: 0
    .wavefront_size: 64
  - .agpr_count:     0
    .args:
      - .offset:         0
        .size:           136
        .value_kind:     by_value
    .group_segment_fixed_size: 0
    .kernarg_segment_align: 8
    .kernarg_segment_size: 136
    .language:       OpenCL C
    .language_version:
      - 2
      - 0
    .max_flat_workgroup_size: 256
    .name:           _ZN7rocprim17ROCPRIM_400000_NS6detail17trampoline_kernelINS0_14default_configENS1_27scan_by_key_config_selectorIxxEEZZNS1_16scan_by_key_implILNS1_25lookback_scan_determinismE0ELb0ES3_N6thrust23THRUST_200600_302600_NS6detail15normal_iteratorINS9_10device_ptrIxEEEESE_SE_xNS9_4plusIxEE19head_flag_predicatexEE10hipError_tPvRmT2_T3_T4_T5_mT6_T7_P12ihipStream_tbENKUlT_T0_E_clISt17integral_constantIbLb0EESX_IbLb1EEEEDaST_SU_EUlST_E_NS1_11comp_targetILNS1_3genE5ELNS1_11target_archE942ELNS1_3gpuE9ELNS1_3repE0EEENS1_30default_config_static_selectorELNS0_4arch9wavefront6targetE1EEEvT1_
    .private_segment_fixed_size: 0
    .sgpr_count:     4
    .sgpr_spill_count: 0
    .symbol:         _ZN7rocprim17ROCPRIM_400000_NS6detail17trampoline_kernelINS0_14default_configENS1_27scan_by_key_config_selectorIxxEEZZNS1_16scan_by_key_implILNS1_25lookback_scan_determinismE0ELb0ES3_N6thrust23THRUST_200600_302600_NS6detail15normal_iteratorINS9_10device_ptrIxEEEESE_SE_xNS9_4plusIxEE19head_flag_predicatexEE10hipError_tPvRmT2_T3_T4_T5_mT6_T7_P12ihipStream_tbENKUlT_T0_E_clISt17integral_constantIbLb0EESX_IbLb1EEEEDaST_SU_EUlST_E_NS1_11comp_targetILNS1_3genE5ELNS1_11target_archE942ELNS1_3gpuE9ELNS1_3repE0EEENS1_30default_config_static_selectorELNS0_4arch9wavefront6targetE1EEEvT1_.kd
    .uniform_work_group_size: 1
    .uses_dynamic_stack: false
    .vgpr_count:     0
    .vgpr_spill_count: 0
    .wavefront_size: 64
  - .agpr_count:     0
    .args:
      - .offset:         0
        .size:           136
        .value_kind:     by_value
    .group_segment_fixed_size: 10752
    .kernarg_segment_align: 8
    .kernarg_segment_size: 136
    .language:       OpenCL C
    .language_version:
      - 2
      - 0
    .max_flat_workgroup_size: 64
    .name:           _ZN7rocprim17ROCPRIM_400000_NS6detail17trampoline_kernelINS0_14default_configENS1_27scan_by_key_config_selectorIxxEEZZNS1_16scan_by_key_implILNS1_25lookback_scan_determinismE0ELb0ES3_N6thrust23THRUST_200600_302600_NS6detail15normal_iteratorINS9_10device_ptrIxEEEESE_SE_xNS9_4plusIxEE19head_flag_predicatexEE10hipError_tPvRmT2_T3_T4_T5_mT6_T7_P12ihipStream_tbENKUlT_T0_E_clISt17integral_constantIbLb0EESX_IbLb1EEEEDaST_SU_EUlST_E_NS1_11comp_targetILNS1_3genE4ELNS1_11target_archE910ELNS1_3gpuE8ELNS1_3repE0EEENS1_30default_config_static_selectorELNS0_4arch9wavefront6targetE1EEEvT1_
    .private_segment_fixed_size: 0
    .sgpr_count:     76
    .sgpr_spill_count: 0
    .symbol:         _ZN7rocprim17ROCPRIM_400000_NS6detail17trampoline_kernelINS0_14default_configENS1_27scan_by_key_config_selectorIxxEEZZNS1_16scan_by_key_implILNS1_25lookback_scan_determinismE0ELb0ES3_N6thrust23THRUST_200600_302600_NS6detail15normal_iteratorINS9_10device_ptrIxEEEESE_SE_xNS9_4plusIxEE19head_flag_predicatexEE10hipError_tPvRmT2_T3_T4_T5_mT6_T7_P12ihipStream_tbENKUlT_T0_E_clISt17integral_constantIbLb0EESX_IbLb1EEEEDaST_SU_EUlST_E_NS1_11comp_targetILNS1_3genE4ELNS1_11target_archE910ELNS1_3gpuE8ELNS1_3repE0EEENS1_30default_config_static_selectorELNS0_4arch9wavefront6targetE1EEEvT1_.kd
    .uniform_work_group_size: 1
    .uses_dynamic_stack: false
    .vgpr_count:     125
    .vgpr_spill_count: 0
    .wavefront_size: 64
  - .agpr_count:     0
    .args:
      - .offset:         0
        .size:           136
        .value_kind:     by_value
    .group_segment_fixed_size: 0
    .kernarg_segment_align: 8
    .kernarg_segment_size: 136
    .language:       OpenCL C
    .language_version:
      - 2
      - 0
    .max_flat_workgroup_size: 256
    .name:           _ZN7rocprim17ROCPRIM_400000_NS6detail17trampoline_kernelINS0_14default_configENS1_27scan_by_key_config_selectorIxxEEZZNS1_16scan_by_key_implILNS1_25lookback_scan_determinismE0ELb0ES3_N6thrust23THRUST_200600_302600_NS6detail15normal_iteratorINS9_10device_ptrIxEEEESE_SE_xNS9_4plusIxEE19head_flag_predicatexEE10hipError_tPvRmT2_T3_T4_T5_mT6_T7_P12ihipStream_tbENKUlT_T0_E_clISt17integral_constantIbLb0EESX_IbLb1EEEEDaST_SU_EUlST_E_NS1_11comp_targetILNS1_3genE3ELNS1_11target_archE908ELNS1_3gpuE7ELNS1_3repE0EEENS1_30default_config_static_selectorELNS0_4arch9wavefront6targetE1EEEvT1_
    .private_segment_fixed_size: 0
    .sgpr_count:     4
    .sgpr_spill_count: 0
    .symbol:         _ZN7rocprim17ROCPRIM_400000_NS6detail17trampoline_kernelINS0_14default_configENS1_27scan_by_key_config_selectorIxxEEZZNS1_16scan_by_key_implILNS1_25lookback_scan_determinismE0ELb0ES3_N6thrust23THRUST_200600_302600_NS6detail15normal_iteratorINS9_10device_ptrIxEEEESE_SE_xNS9_4plusIxEE19head_flag_predicatexEE10hipError_tPvRmT2_T3_T4_T5_mT6_T7_P12ihipStream_tbENKUlT_T0_E_clISt17integral_constantIbLb0EESX_IbLb1EEEEDaST_SU_EUlST_E_NS1_11comp_targetILNS1_3genE3ELNS1_11target_archE908ELNS1_3gpuE7ELNS1_3repE0EEENS1_30default_config_static_selectorELNS0_4arch9wavefront6targetE1EEEvT1_.kd
    .uniform_work_group_size: 1
    .uses_dynamic_stack: false
    .vgpr_count:     0
    .vgpr_spill_count: 0
    .wavefront_size: 64
  - .agpr_count:     0
    .args:
      - .offset:         0
        .size:           136
        .value_kind:     by_value
    .group_segment_fixed_size: 0
    .kernarg_segment_align: 8
    .kernarg_segment_size: 136
    .language:       OpenCL C
    .language_version:
      - 2
      - 0
    .max_flat_workgroup_size: 256
    .name:           _ZN7rocprim17ROCPRIM_400000_NS6detail17trampoline_kernelINS0_14default_configENS1_27scan_by_key_config_selectorIxxEEZZNS1_16scan_by_key_implILNS1_25lookback_scan_determinismE0ELb0ES3_N6thrust23THRUST_200600_302600_NS6detail15normal_iteratorINS9_10device_ptrIxEEEESE_SE_xNS9_4plusIxEE19head_flag_predicatexEE10hipError_tPvRmT2_T3_T4_T5_mT6_T7_P12ihipStream_tbENKUlT_T0_E_clISt17integral_constantIbLb0EESX_IbLb1EEEEDaST_SU_EUlST_E_NS1_11comp_targetILNS1_3genE2ELNS1_11target_archE906ELNS1_3gpuE6ELNS1_3repE0EEENS1_30default_config_static_selectorELNS0_4arch9wavefront6targetE1EEEvT1_
    .private_segment_fixed_size: 0
    .sgpr_count:     4
    .sgpr_spill_count: 0
    .symbol:         _ZN7rocprim17ROCPRIM_400000_NS6detail17trampoline_kernelINS0_14default_configENS1_27scan_by_key_config_selectorIxxEEZZNS1_16scan_by_key_implILNS1_25lookback_scan_determinismE0ELb0ES3_N6thrust23THRUST_200600_302600_NS6detail15normal_iteratorINS9_10device_ptrIxEEEESE_SE_xNS9_4plusIxEE19head_flag_predicatexEE10hipError_tPvRmT2_T3_T4_T5_mT6_T7_P12ihipStream_tbENKUlT_T0_E_clISt17integral_constantIbLb0EESX_IbLb1EEEEDaST_SU_EUlST_E_NS1_11comp_targetILNS1_3genE2ELNS1_11target_archE906ELNS1_3gpuE6ELNS1_3repE0EEENS1_30default_config_static_selectorELNS0_4arch9wavefront6targetE1EEEvT1_.kd
    .uniform_work_group_size: 1
    .uses_dynamic_stack: false
    .vgpr_count:     0
    .vgpr_spill_count: 0
    .wavefront_size: 64
  - .agpr_count:     0
    .args:
      - .offset:         0
        .size:           136
        .value_kind:     by_value
    .group_segment_fixed_size: 0
    .kernarg_segment_align: 8
    .kernarg_segment_size: 136
    .language:       OpenCL C
    .language_version:
      - 2
      - 0
    .max_flat_workgroup_size: 256
    .name:           _ZN7rocprim17ROCPRIM_400000_NS6detail17trampoline_kernelINS0_14default_configENS1_27scan_by_key_config_selectorIxxEEZZNS1_16scan_by_key_implILNS1_25lookback_scan_determinismE0ELb0ES3_N6thrust23THRUST_200600_302600_NS6detail15normal_iteratorINS9_10device_ptrIxEEEESE_SE_xNS9_4plusIxEE19head_flag_predicatexEE10hipError_tPvRmT2_T3_T4_T5_mT6_T7_P12ihipStream_tbENKUlT_T0_E_clISt17integral_constantIbLb0EESX_IbLb1EEEEDaST_SU_EUlST_E_NS1_11comp_targetILNS1_3genE10ELNS1_11target_archE1200ELNS1_3gpuE4ELNS1_3repE0EEENS1_30default_config_static_selectorELNS0_4arch9wavefront6targetE1EEEvT1_
    .private_segment_fixed_size: 0
    .sgpr_count:     4
    .sgpr_spill_count: 0
    .symbol:         _ZN7rocprim17ROCPRIM_400000_NS6detail17trampoline_kernelINS0_14default_configENS1_27scan_by_key_config_selectorIxxEEZZNS1_16scan_by_key_implILNS1_25lookback_scan_determinismE0ELb0ES3_N6thrust23THRUST_200600_302600_NS6detail15normal_iteratorINS9_10device_ptrIxEEEESE_SE_xNS9_4plusIxEE19head_flag_predicatexEE10hipError_tPvRmT2_T3_T4_T5_mT6_T7_P12ihipStream_tbENKUlT_T0_E_clISt17integral_constantIbLb0EESX_IbLb1EEEEDaST_SU_EUlST_E_NS1_11comp_targetILNS1_3genE10ELNS1_11target_archE1200ELNS1_3gpuE4ELNS1_3repE0EEENS1_30default_config_static_selectorELNS0_4arch9wavefront6targetE1EEEvT1_.kd
    .uniform_work_group_size: 1
    .uses_dynamic_stack: false
    .vgpr_count:     0
    .vgpr_spill_count: 0
    .wavefront_size: 64
  - .agpr_count:     0
    .args:
      - .offset:         0
        .size:           136
        .value_kind:     by_value
    .group_segment_fixed_size: 0
    .kernarg_segment_align: 8
    .kernarg_segment_size: 136
    .language:       OpenCL C
    .language_version:
      - 2
      - 0
    .max_flat_workgroup_size: 256
    .name:           _ZN7rocprim17ROCPRIM_400000_NS6detail17trampoline_kernelINS0_14default_configENS1_27scan_by_key_config_selectorIxxEEZZNS1_16scan_by_key_implILNS1_25lookback_scan_determinismE0ELb0ES3_N6thrust23THRUST_200600_302600_NS6detail15normal_iteratorINS9_10device_ptrIxEEEESE_SE_xNS9_4plusIxEE19head_flag_predicatexEE10hipError_tPvRmT2_T3_T4_T5_mT6_T7_P12ihipStream_tbENKUlT_T0_E_clISt17integral_constantIbLb0EESX_IbLb1EEEEDaST_SU_EUlST_E_NS1_11comp_targetILNS1_3genE9ELNS1_11target_archE1100ELNS1_3gpuE3ELNS1_3repE0EEENS1_30default_config_static_selectorELNS0_4arch9wavefront6targetE1EEEvT1_
    .private_segment_fixed_size: 0
    .sgpr_count:     4
    .sgpr_spill_count: 0
    .symbol:         _ZN7rocprim17ROCPRIM_400000_NS6detail17trampoline_kernelINS0_14default_configENS1_27scan_by_key_config_selectorIxxEEZZNS1_16scan_by_key_implILNS1_25lookback_scan_determinismE0ELb0ES3_N6thrust23THRUST_200600_302600_NS6detail15normal_iteratorINS9_10device_ptrIxEEEESE_SE_xNS9_4plusIxEE19head_flag_predicatexEE10hipError_tPvRmT2_T3_T4_T5_mT6_T7_P12ihipStream_tbENKUlT_T0_E_clISt17integral_constantIbLb0EESX_IbLb1EEEEDaST_SU_EUlST_E_NS1_11comp_targetILNS1_3genE9ELNS1_11target_archE1100ELNS1_3gpuE3ELNS1_3repE0EEENS1_30default_config_static_selectorELNS0_4arch9wavefront6targetE1EEEvT1_.kd
    .uniform_work_group_size: 1
    .uses_dynamic_stack: false
    .vgpr_count:     0
    .vgpr_spill_count: 0
    .wavefront_size: 64
  - .agpr_count:     0
    .args:
      - .offset:         0
        .size:           136
        .value_kind:     by_value
    .group_segment_fixed_size: 0
    .kernarg_segment_align: 8
    .kernarg_segment_size: 136
    .language:       OpenCL C
    .language_version:
      - 2
      - 0
    .max_flat_workgroup_size: 256
    .name:           _ZN7rocprim17ROCPRIM_400000_NS6detail17trampoline_kernelINS0_14default_configENS1_27scan_by_key_config_selectorIxxEEZZNS1_16scan_by_key_implILNS1_25lookback_scan_determinismE0ELb0ES3_N6thrust23THRUST_200600_302600_NS6detail15normal_iteratorINS9_10device_ptrIxEEEESE_SE_xNS9_4plusIxEE19head_flag_predicatexEE10hipError_tPvRmT2_T3_T4_T5_mT6_T7_P12ihipStream_tbENKUlT_T0_E_clISt17integral_constantIbLb0EESX_IbLb1EEEEDaST_SU_EUlST_E_NS1_11comp_targetILNS1_3genE8ELNS1_11target_archE1030ELNS1_3gpuE2ELNS1_3repE0EEENS1_30default_config_static_selectorELNS0_4arch9wavefront6targetE1EEEvT1_
    .private_segment_fixed_size: 0
    .sgpr_count:     4
    .sgpr_spill_count: 0
    .symbol:         _ZN7rocprim17ROCPRIM_400000_NS6detail17trampoline_kernelINS0_14default_configENS1_27scan_by_key_config_selectorIxxEEZZNS1_16scan_by_key_implILNS1_25lookback_scan_determinismE0ELb0ES3_N6thrust23THRUST_200600_302600_NS6detail15normal_iteratorINS9_10device_ptrIxEEEESE_SE_xNS9_4plusIxEE19head_flag_predicatexEE10hipError_tPvRmT2_T3_T4_T5_mT6_T7_P12ihipStream_tbENKUlT_T0_E_clISt17integral_constantIbLb0EESX_IbLb1EEEEDaST_SU_EUlST_E_NS1_11comp_targetILNS1_3genE8ELNS1_11target_archE1030ELNS1_3gpuE2ELNS1_3repE0EEENS1_30default_config_static_selectorELNS0_4arch9wavefront6targetE1EEEvT1_.kd
    .uniform_work_group_size: 1
    .uses_dynamic_stack: false
    .vgpr_count:     0
    .vgpr_spill_count: 0
    .wavefront_size: 64
  - .agpr_count:     0
    .args:
      - .offset:         0
        .size:           136
        .value_kind:     by_value
    .group_segment_fixed_size: 0
    .kernarg_segment_align: 8
    .kernarg_segment_size: 136
    .language:       OpenCL C
    .language_version:
      - 2
      - 0
    .max_flat_workgroup_size: 256
    .name:           _ZN7rocprim17ROCPRIM_400000_NS6detail17trampoline_kernelINS0_14default_configENS1_27scan_by_key_config_selectorIxxEEZZNS1_16scan_by_key_implILNS1_25lookback_scan_determinismE0ELb1ES3_N6thrust23THRUST_200600_302600_NS6detail15normal_iteratorINS9_10device_ptrIxEEEESE_SE_xNS9_4plusIxEE19head_flag_predicatexEE10hipError_tPvRmT2_T3_T4_T5_mT6_T7_P12ihipStream_tbENKUlT_T0_E_clISt17integral_constantIbLb0EESY_EEDaST_SU_EUlST_E_NS1_11comp_targetILNS1_3genE0ELNS1_11target_archE4294967295ELNS1_3gpuE0ELNS1_3repE0EEENS1_30default_config_static_selectorELNS0_4arch9wavefront6targetE1EEEvT1_
    .private_segment_fixed_size: 0
    .sgpr_count:     4
    .sgpr_spill_count: 0
    .symbol:         _ZN7rocprim17ROCPRIM_400000_NS6detail17trampoline_kernelINS0_14default_configENS1_27scan_by_key_config_selectorIxxEEZZNS1_16scan_by_key_implILNS1_25lookback_scan_determinismE0ELb1ES3_N6thrust23THRUST_200600_302600_NS6detail15normal_iteratorINS9_10device_ptrIxEEEESE_SE_xNS9_4plusIxEE19head_flag_predicatexEE10hipError_tPvRmT2_T3_T4_T5_mT6_T7_P12ihipStream_tbENKUlT_T0_E_clISt17integral_constantIbLb0EESY_EEDaST_SU_EUlST_E_NS1_11comp_targetILNS1_3genE0ELNS1_11target_archE4294967295ELNS1_3gpuE0ELNS1_3repE0EEENS1_30default_config_static_selectorELNS0_4arch9wavefront6targetE1EEEvT1_.kd
    .uniform_work_group_size: 1
    .uses_dynamic_stack: false
    .vgpr_count:     0
    .vgpr_spill_count: 0
    .wavefront_size: 64
  - .agpr_count:     0
    .args:
      - .offset:         0
        .size:           136
        .value_kind:     by_value
    .group_segment_fixed_size: 0
    .kernarg_segment_align: 8
    .kernarg_segment_size: 136
    .language:       OpenCL C
    .language_version:
      - 2
      - 0
    .max_flat_workgroup_size: 256
    .name:           _ZN7rocprim17ROCPRIM_400000_NS6detail17trampoline_kernelINS0_14default_configENS1_27scan_by_key_config_selectorIxxEEZZNS1_16scan_by_key_implILNS1_25lookback_scan_determinismE0ELb1ES3_N6thrust23THRUST_200600_302600_NS6detail15normal_iteratorINS9_10device_ptrIxEEEESE_SE_xNS9_4plusIxEE19head_flag_predicatexEE10hipError_tPvRmT2_T3_T4_T5_mT6_T7_P12ihipStream_tbENKUlT_T0_E_clISt17integral_constantIbLb0EESY_EEDaST_SU_EUlST_E_NS1_11comp_targetILNS1_3genE10ELNS1_11target_archE1201ELNS1_3gpuE5ELNS1_3repE0EEENS1_30default_config_static_selectorELNS0_4arch9wavefront6targetE1EEEvT1_
    .private_segment_fixed_size: 0
    .sgpr_count:     4
    .sgpr_spill_count: 0
    .symbol:         _ZN7rocprim17ROCPRIM_400000_NS6detail17trampoline_kernelINS0_14default_configENS1_27scan_by_key_config_selectorIxxEEZZNS1_16scan_by_key_implILNS1_25lookback_scan_determinismE0ELb1ES3_N6thrust23THRUST_200600_302600_NS6detail15normal_iteratorINS9_10device_ptrIxEEEESE_SE_xNS9_4plusIxEE19head_flag_predicatexEE10hipError_tPvRmT2_T3_T4_T5_mT6_T7_P12ihipStream_tbENKUlT_T0_E_clISt17integral_constantIbLb0EESY_EEDaST_SU_EUlST_E_NS1_11comp_targetILNS1_3genE10ELNS1_11target_archE1201ELNS1_3gpuE5ELNS1_3repE0EEENS1_30default_config_static_selectorELNS0_4arch9wavefront6targetE1EEEvT1_.kd
    .uniform_work_group_size: 1
    .uses_dynamic_stack: false
    .vgpr_count:     0
    .vgpr_spill_count: 0
    .wavefront_size: 64
  - .agpr_count:     0
    .args:
      - .offset:         0
        .size:           136
        .value_kind:     by_value
    .group_segment_fixed_size: 0
    .kernarg_segment_align: 8
    .kernarg_segment_size: 136
    .language:       OpenCL C
    .language_version:
      - 2
      - 0
    .max_flat_workgroup_size: 256
    .name:           _ZN7rocprim17ROCPRIM_400000_NS6detail17trampoline_kernelINS0_14default_configENS1_27scan_by_key_config_selectorIxxEEZZNS1_16scan_by_key_implILNS1_25lookback_scan_determinismE0ELb1ES3_N6thrust23THRUST_200600_302600_NS6detail15normal_iteratorINS9_10device_ptrIxEEEESE_SE_xNS9_4plusIxEE19head_flag_predicatexEE10hipError_tPvRmT2_T3_T4_T5_mT6_T7_P12ihipStream_tbENKUlT_T0_E_clISt17integral_constantIbLb0EESY_EEDaST_SU_EUlST_E_NS1_11comp_targetILNS1_3genE5ELNS1_11target_archE942ELNS1_3gpuE9ELNS1_3repE0EEENS1_30default_config_static_selectorELNS0_4arch9wavefront6targetE1EEEvT1_
    .private_segment_fixed_size: 0
    .sgpr_count:     4
    .sgpr_spill_count: 0
    .symbol:         _ZN7rocprim17ROCPRIM_400000_NS6detail17trampoline_kernelINS0_14default_configENS1_27scan_by_key_config_selectorIxxEEZZNS1_16scan_by_key_implILNS1_25lookback_scan_determinismE0ELb1ES3_N6thrust23THRUST_200600_302600_NS6detail15normal_iteratorINS9_10device_ptrIxEEEESE_SE_xNS9_4plusIxEE19head_flag_predicatexEE10hipError_tPvRmT2_T3_T4_T5_mT6_T7_P12ihipStream_tbENKUlT_T0_E_clISt17integral_constantIbLb0EESY_EEDaST_SU_EUlST_E_NS1_11comp_targetILNS1_3genE5ELNS1_11target_archE942ELNS1_3gpuE9ELNS1_3repE0EEENS1_30default_config_static_selectorELNS0_4arch9wavefront6targetE1EEEvT1_.kd
    .uniform_work_group_size: 1
    .uses_dynamic_stack: false
    .vgpr_count:     0
    .vgpr_spill_count: 0
    .wavefront_size: 64
  - .agpr_count:     0
    .args:
      - .offset:         0
        .size:           136
        .value_kind:     by_value
    .group_segment_fixed_size: 10752
    .kernarg_segment_align: 8
    .kernarg_segment_size: 136
    .language:       OpenCL C
    .language_version:
      - 2
      - 0
    .max_flat_workgroup_size: 64
    .name:           _ZN7rocprim17ROCPRIM_400000_NS6detail17trampoline_kernelINS0_14default_configENS1_27scan_by_key_config_selectorIxxEEZZNS1_16scan_by_key_implILNS1_25lookback_scan_determinismE0ELb1ES3_N6thrust23THRUST_200600_302600_NS6detail15normal_iteratorINS9_10device_ptrIxEEEESE_SE_xNS9_4plusIxEE19head_flag_predicatexEE10hipError_tPvRmT2_T3_T4_T5_mT6_T7_P12ihipStream_tbENKUlT_T0_E_clISt17integral_constantIbLb0EESY_EEDaST_SU_EUlST_E_NS1_11comp_targetILNS1_3genE4ELNS1_11target_archE910ELNS1_3gpuE8ELNS1_3repE0EEENS1_30default_config_static_selectorELNS0_4arch9wavefront6targetE1EEEvT1_
    .private_segment_fixed_size: 0
    .sgpr_count:     77
    .sgpr_spill_count: 0
    .symbol:         _ZN7rocprim17ROCPRIM_400000_NS6detail17trampoline_kernelINS0_14default_configENS1_27scan_by_key_config_selectorIxxEEZZNS1_16scan_by_key_implILNS1_25lookback_scan_determinismE0ELb1ES3_N6thrust23THRUST_200600_302600_NS6detail15normal_iteratorINS9_10device_ptrIxEEEESE_SE_xNS9_4plusIxEE19head_flag_predicatexEE10hipError_tPvRmT2_T3_T4_T5_mT6_T7_P12ihipStream_tbENKUlT_T0_E_clISt17integral_constantIbLb0EESY_EEDaST_SU_EUlST_E_NS1_11comp_targetILNS1_3genE4ELNS1_11target_archE910ELNS1_3gpuE8ELNS1_3repE0EEENS1_30default_config_static_selectorELNS0_4arch9wavefront6targetE1EEEvT1_.kd
    .uniform_work_group_size: 1
    .uses_dynamic_stack: false
    .vgpr_count:     117
    .vgpr_spill_count: 0
    .wavefront_size: 64
  - .agpr_count:     0
    .args:
      - .offset:         0
        .size:           136
        .value_kind:     by_value
    .group_segment_fixed_size: 0
    .kernarg_segment_align: 8
    .kernarg_segment_size: 136
    .language:       OpenCL C
    .language_version:
      - 2
      - 0
    .max_flat_workgroup_size: 256
    .name:           _ZN7rocprim17ROCPRIM_400000_NS6detail17trampoline_kernelINS0_14default_configENS1_27scan_by_key_config_selectorIxxEEZZNS1_16scan_by_key_implILNS1_25lookback_scan_determinismE0ELb1ES3_N6thrust23THRUST_200600_302600_NS6detail15normal_iteratorINS9_10device_ptrIxEEEESE_SE_xNS9_4plusIxEE19head_flag_predicatexEE10hipError_tPvRmT2_T3_T4_T5_mT6_T7_P12ihipStream_tbENKUlT_T0_E_clISt17integral_constantIbLb0EESY_EEDaST_SU_EUlST_E_NS1_11comp_targetILNS1_3genE3ELNS1_11target_archE908ELNS1_3gpuE7ELNS1_3repE0EEENS1_30default_config_static_selectorELNS0_4arch9wavefront6targetE1EEEvT1_
    .private_segment_fixed_size: 0
    .sgpr_count:     4
    .sgpr_spill_count: 0
    .symbol:         _ZN7rocprim17ROCPRIM_400000_NS6detail17trampoline_kernelINS0_14default_configENS1_27scan_by_key_config_selectorIxxEEZZNS1_16scan_by_key_implILNS1_25lookback_scan_determinismE0ELb1ES3_N6thrust23THRUST_200600_302600_NS6detail15normal_iteratorINS9_10device_ptrIxEEEESE_SE_xNS9_4plusIxEE19head_flag_predicatexEE10hipError_tPvRmT2_T3_T4_T5_mT6_T7_P12ihipStream_tbENKUlT_T0_E_clISt17integral_constantIbLb0EESY_EEDaST_SU_EUlST_E_NS1_11comp_targetILNS1_3genE3ELNS1_11target_archE908ELNS1_3gpuE7ELNS1_3repE0EEENS1_30default_config_static_selectorELNS0_4arch9wavefront6targetE1EEEvT1_.kd
    .uniform_work_group_size: 1
    .uses_dynamic_stack: false
    .vgpr_count:     0
    .vgpr_spill_count: 0
    .wavefront_size: 64
  - .agpr_count:     0
    .args:
      - .offset:         0
        .size:           136
        .value_kind:     by_value
    .group_segment_fixed_size: 0
    .kernarg_segment_align: 8
    .kernarg_segment_size: 136
    .language:       OpenCL C
    .language_version:
      - 2
      - 0
    .max_flat_workgroup_size: 256
    .name:           _ZN7rocprim17ROCPRIM_400000_NS6detail17trampoline_kernelINS0_14default_configENS1_27scan_by_key_config_selectorIxxEEZZNS1_16scan_by_key_implILNS1_25lookback_scan_determinismE0ELb1ES3_N6thrust23THRUST_200600_302600_NS6detail15normal_iteratorINS9_10device_ptrIxEEEESE_SE_xNS9_4plusIxEE19head_flag_predicatexEE10hipError_tPvRmT2_T3_T4_T5_mT6_T7_P12ihipStream_tbENKUlT_T0_E_clISt17integral_constantIbLb0EESY_EEDaST_SU_EUlST_E_NS1_11comp_targetILNS1_3genE2ELNS1_11target_archE906ELNS1_3gpuE6ELNS1_3repE0EEENS1_30default_config_static_selectorELNS0_4arch9wavefront6targetE1EEEvT1_
    .private_segment_fixed_size: 0
    .sgpr_count:     4
    .sgpr_spill_count: 0
    .symbol:         _ZN7rocprim17ROCPRIM_400000_NS6detail17trampoline_kernelINS0_14default_configENS1_27scan_by_key_config_selectorIxxEEZZNS1_16scan_by_key_implILNS1_25lookback_scan_determinismE0ELb1ES3_N6thrust23THRUST_200600_302600_NS6detail15normal_iteratorINS9_10device_ptrIxEEEESE_SE_xNS9_4plusIxEE19head_flag_predicatexEE10hipError_tPvRmT2_T3_T4_T5_mT6_T7_P12ihipStream_tbENKUlT_T0_E_clISt17integral_constantIbLb0EESY_EEDaST_SU_EUlST_E_NS1_11comp_targetILNS1_3genE2ELNS1_11target_archE906ELNS1_3gpuE6ELNS1_3repE0EEENS1_30default_config_static_selectorELNS0_4arch9wavefront6targetE1EEEvT1_.kd
    .uniform_work_group_size: 1
    .uses_dynamic_stack: false
    .vgpr_count:     0
    .vgpr_spill_count: 0
    .wavefront_size: 64
  - .agpr_count:     0
    .args:
      - .offset:         0
        .size:           136
        .value_kind:     by_value
    .group_segment_fixed_size: 0
    .kernarg_segment_align: 8
    .kernarg_segment_size: 136
    .language:       OpenCL C
    .language_version:
      - 2
      - 0
    .max_flat_workgroup_size: 256
    .name:           _ZN7rocprim17ROCPRIM_400000_NS6detail17trampoline_kernelINS0_14default_configENS1_27scan_by_key_config_selectorIxxEEZZNS1_16scan_by_key_implILNS1_25lookback_scan_determinismE0ELb1ES3_N6thrust23THRUST_200600_302600_NS6detail15normal_iteratorINS9_10device_ptrIxEEEESE_SE_xNS9_4plusIxEE19head_flag_predicatexEE10hipError_tPvRmT2_T3_T4_T5_mT6_T7_P12ihipStream_tbENKUlT_T0_E_clISt17integral_constantIbLb0EESY_EEDaST_SU_EUlST_E_NS1_11comp_targetILNS1_3genE10ELNS1_11target_archE1200ELNS1_3gpuE4ELNS1_3repE0EEENS1_30default_config_static_selectorELNS0_4arch9wavefront6targetE1EEEvT1_
    .private_segment_fixed_size: 0
    .sgpr_count:     4
    .sgpr_spill_count: 0
    .symbol:         _ZN7rocprim17ROCPRIM_400000_NS6detail17trampoline_kernelINS0_14default_configENS1_27scan_by_key_config_selectorIxxEEZZNS1_16scan_by_key_implILNS1_25lookback_scan_determinismE0ELb1ES3_N6thrust23THRUST_200600_302600_NS6detail15normal_iteratorINS9_10device_ptrIxEEEESE_SE_xNS9_4plusIxEE19head_flag_predicatexEE10hipError_tPvRmT2_T3_T4_T5_mT6_T7_P12ihipStream_tbENKUlT_T0_E_clISt17integral_constantIbLb0EESY_EEDaST_SU_EUlST_E_NS1_11comp_targetILNS1_3genE10ELNS1_11target_archE1200ELNS1_3gpuE4ELNS1_3repE0EEENS1_30default_config_static_selectorELNS0_4arch9wavefront6targetE1EEEvT1_.kd
    .uniform_work_group_size: 1
    .uses_dynamic_stack: false
    .vgpr_count:     0
    .vgpr_spill_count: 0
    .wavefront_size: 64
  - .agpr_count:     0
    .args:
      - .offset:         0
        .size:           136
        .value_kind:     by_value
    .group_segment_fixed_size: 0
    .kernarg_segment_align: 8
    .kernarg_segment_size: 136
    .language:       OpenCL C
    .language_version:
      - 2
      - 0
    .max_flat_workgroup_size: 256
    .name:           _ZN7rocprim17ROCPRIM_400000_NS6detail17trampoline_kernelINS0_14default_configENS1_27scan_by_key_config_selectorIxxEEZZNS1_16scan_by_key_implILNS1_25lookback_scan_determinismE0ELb1ES3_N6thrust23THRUST_200600_302600_NS6detail15normal_iteratorINS9_10device_ptrIxEEEESE_SE_xNS9_4plusIxEE19head_flag_predicatexEE10hipError_tPvRmT2_T3_T4_T5_mT6_T7_P12ihipStream_tbENKUlT_T0_E_clISt17integral_constantIbLb0EESY_EEDaST_SU_EUlST_E_NS1_11comp_targetILNS1_3genE9ELNS1_11target_archE1100ELNS1_3gpuE3ELNS1_3repE0EEENS1_30default_config_static_selectorELNS0_4arch9wavefront6targetE1EEEvT1_
    .private_segment_fixed_size: 0
    .sgpr_count:     4
    .sgpr_spill_count: 0
    .symbol:         _ZN7rocprim17ROCPRIM_400000_NS6detail17trampoline_kernelINS0_14default_configENS1_27scan_by_key_config_selectorIxxEEZZNS1_16scan_by_key_implILNS1_25lookback_scan_determinismE0ELb1ES3_N6thrust23THRUST_200600_302600_NS6detail15normal_iteratorINS9_10device_ptrIxEEEESE_SE_xNS9_4plusIxEE19head_flag_predicatexEE10hipError_tPvRmT2_T3_T4_T5_mT6_T7_P12ihipStream_tbENKUlT_T0_E_clISt17integral_constantIbLb0EESY_EEDaST_SU_EUlST_E_NS1_11comp_targetILNS1_3genE9ELNS1_11target_archE1100ELNS1_3gpuE3ELNS1_3repE0EEENS1_30default_config_static_selectorELNS0_4arch9wavefront6targetE1EEEvT1_.kd
    .uniform_work_group_size: 1
    .uses_dynamic_stack: false
    .vgpr_count:     0
    .vgpr_spill_count: 0
    .wavefront_size: 64
  - .agpr_count:     0
    .args:
      - .offset:         0
        .size:           136
        .value_kind:     by_value
    .group_segment_fixed_size: 0
    .kernarg_segment_align: 8
    .kernarg_segment_size: 136
    .language:       OpenCL C
    .language_version:
      - 2
      - 0
    .max_flat_workgroup_size: 256
    .name:           _ZN7rocprim17ROCPRIM_400000_NS6detail17trampoline_kernelINS0_14default_configENS1_27scan_by_key_config_selectorIxxEEZZNS1_16scan_by_key_implILNS1_25lookback_scan_determinismE0ELb1ES3_N6thrust23THRUST_200600_302600_NS6detail15normal_iteratorINS9_10device_ptrIxEEEESE_SE_xNS9_4plusIxEE19head_flag_predicatexEE10hipError_tPvRmT2_T3_T4_T5_mT6_T7_P12ihipStream_tbENKUlT_T0_E_clISt17integral_constantIbLb0EESY_EEDaST_SU_EUlST_E_NS1_11comp_targetILNS1_3genE8ELNS1_11target_archE1030ELNS1_3gpuE2ELNS1_3repE0EEENS1_30default_config_static_selectorELNS0_4arch9wavefront6targetE1EEEvT1_
    .private_segment_fixed_size: 0
    .sgpr_count:     4
    .sgpr_spill_count: 0
    .symbol:         _ZN7rocprim17ROCPRIM_400000_NS6detail17trampoline_kernelINS0_14default_configENS1_27scan_by_key_config_selectorIxxEEZZNS1_16scan_by_key_implILNS1_25lookback_scan_determinismE0ELb1ES3_N6thrust23THRUST_200600_302600_NS6detail15normal_iteratorINS9_10device_ptrIxEEEESE_SE_xNS9_4plusIxEE19head_flag_predicatexEE10hipError_tPvRmT2_T3_T4_T5_mT6_T7_P12ihipStream_tbENKUlT_T0_E_clISt17integral_constantIbLb0EESY_EEDaST_SU_EUlST_E_NS1_11comp_targetILNS1_3genE8ELNS1_11target_archE1030ELNS1_3gpuE2ELNS1_3repE0EEENS1_30default_config_static_selectorELNS0_4arch9wavefront6targetE1EEEvT1_.kd
    .uniform_work_group_size: 1
    .uses_dynamic_stack: false
    .vgpr_count:     0
    .vgpr_spill_count: 0
    .wavefront_size: 64
  - .agpr_count:     0
    .args:
      - .offset:         0
        .size:           136
        .value_kind:     by_value
    .group_segment_fixed_size: 0
    .kernarg_segment_align: 8
    .kernarg_segment_size: 136
    .language:       OpenCL C
    .language_version:
      - 2
      - 0
    .max_flat_workgroup_size: 256
    .name:           _ZN7rocprim17ROCPRIM_400000_NS6detail17trampoline_kernelINS0_14default_configENS1_27scan_by_key_config_selectorIxxEEZZNS1_16scan_by_key_implILNS1_25lookback_scan_determinismE0ELb1ES3_N6thrust23THRUST_200600_302600_NS6detail15normal_iteratorINS9_10device_ptrIxEEEESE_SE_xNS9_4plusIxEE19head_flag_predicatexEE10hipError_tPvRmT2_T3_T4_T5_mT6_T7_P12ihipStream_tbENKUlT_T0_E_clISt17integral_constantIbLb1EESY_EEDaST_SU_EUlST_E_NS1_11comp_targetILNS1_3genE0ELNS1_11target_archE4294967295ELNS1_3gpuE0ELNS1_3repE0EEENS1_30default_config_static_selectorELNS0_4arch9wavefront6targetE1EEEvT1_
    .private_segment_fixed_size: 0
    .sgpr_count:     4
    .sgpr_spill_count: 0
    .symbol:         _ZN7rocprim17ROCPRIM_400000_NS6detail17trampoline_kernelINS0_14default_configENS1_27scan_by_key_config_selectorIxxEEZZNS1_16scan_by_key_implILNS1_25lookback_scan_determinismE0ELb1ES3_N6thrust23THRUST_200600_302600_NS6detail15normal_iteratorINS9_10device_ptrIxEEEESE_SE_xNS9_4plusIxEE19head_flag_predicatexEE10hipError_tPvRmT2_T3_T4_T5_mT6_T7_P12ihipStream_tbENKUlT_T0_E_clISt17integral_constantIbLb1EESY_EEDaST_SU_EUlST_E_NS1_11comp_targetILNS1_3genE0ELNS1_11target_archE4294967295ELNS1_3gpuE0ELNS1_3repE0EEENS1_30default_config_static_selectorELNS0_4arch9wavefront6targetE1EEEvT1_.kd
    .uniform_work_group_size: 1
    .uses_dynamic_stack: false
    .vgpr_count:     0
    .vgpr_spill_count: 0
    .wavefront_size: 64
  - .agpr_count:     0
    .args:
      - .offset:         0
        .size:           136
        .value_kind:     by_value
    .group_segment_fixed_size: 0
    .kernarg_segment_align: 8
    .kernarg_segment_size: 136
    .language:       OpenCL C
    .language_version:
      - 2
      - 0
    .max_flat_workgroup_size: 256
    .name:           _ZN7rocprim17ROCPRIM_400000_NS6detail17trampoline_kernelINS0_14default_configENS1_27scan_by_key_config_selectorIxxEEZZNS1_16scan_by_key_implILNS1_25lookback_scan_determinismE0ELb1ES3_N6thrust23THRUST_200600_302600_NS6detail15normal_iteratorINS9_10device_ptrIxEEEESE_SE_xNS9_4plusIxEE19head_flag_predicatexEE10hipError_tPvRmT2_T3_T4_T5_mT6_T7_P12ihipStream_tbENKUlT_T0_E_clISt17integral_constantIbLb1EESY_EEDaST_SU_EUlST_E_NS1_11comp_targetILNS1_3genE10ELNS1_11target_archE1201ELNS1_3gpuE5ELNS1_3repE0EEENS1_30default_config_static_selectorELNS0_4arch9wavefront6targetE1EEEvT1_
    .private_segment_fixed_size: 0
    .sgpr_count:     4
    .sgpr_spill_count: 0
    .symbol:         _ZN7rocprim17ROCPRIM_400000_NS6detail17trampoline_kernelINS0_14default_configENS1_27scan_by_key_config_selectorIxxEEZZNS1_16scan_by_key_implILNS1_25lookback_scan_determinismE0ELb1ES3_N6thrust23THRUST_200600_302600_NS6detail15normal_iteratorINS9_10device_ptrIxEEEESE_SE_xNS9_4plusIxEE19head_flag_predicatexEE10hipError_tPvRmT2_T3_T4_T5_mT6_T7_P12ihipStream_tbENKUlT_T0_E_clISt17integral_constantIbLb1EESY_EEDaST_SU_EUlST_E_NS1_11comp_targetILNS1_3genE10ELNS1_11target_archE1201ELNS1_3gpuE5ELNS1_3repE0EEENS1_30default_config_static_selectorELNS0_4arch9wavefront6targetE1EEEvT1_.kd
    .uniform_work_group_size: 1
    .uses_dynamic_stack: false
    .vgpr_count:     0
    .vgpr_spill_count: 0
    .wavefront_size: 64
  - .agpr_count:     0
    .args:
      - .offset:         0
        .size:           136
        .value_kind:     by_value
    .group_segment_fixed_size: 0
    .kernarg_segment_align: 8
    .kernarg_segment_size: 136
    .language:       OpenCL C
    .language_version:
      - 2
      - 0
    .max_flat_workgroup_size: 256
    .name:           _ZN7rocprim17ROCPRIM_400000_NS6detail17trampoline_kernelINS0_14default_configENS1_27scan_by_key_config_selectorIxxEEZZNS1_16scan_by_key_implILNS1_25lookback_scan_determinismE0ELb1ES3_N6thrust23THRUST_200600_302600_NS6detail15normal_iteratorINS9_10device_ptrIxEEEESE_SE_xNS9_4plusIxEE19head_flag_predicatexEE10hipError_tPvRmT2_T3_T4_T5_mT6_T7_P12ihipStream_tbENKUlT_T0_E_clISt17integral_constantIbLb1EESY_EEDaST_SU_EUlST_E_NS1_11comp_targetILNS1_3genE5ELNS1_11target_archE942ELNS1_3gpuE9ELNS1_3repE0EEENS1_30default_config_static_selectorELNS0_4arch9wavefront6targetE1EEEvT1_
    .private_segment_fixed_size: 0
    .sgpr_count:     4
    .sgpr_spill_count: 0
    .symbol:         _ZN7rocprim17ROCPRIM_400000_NS6detail17trampoline_kernelINS0_14default_configENS1_27scan_by_key_config_selectorIxxEEZZNS1_16scan_by_key_implILNS1_25lookback_scan_determinismE0ELb1ES3_N6thrust23THRUST_200600_302600_NS6detail15normal_iteratorINS9_10device_ptrIxEEEESE_SE_xNS9_4plusIxEE19head_flag_predicatexEE10hipError_tPvRmT2_T3_T4_T5_mT6_T7_P12ihipStream_tbENKUlT_T0_E_clISt17integral_constantIbLb1EESY_EEDaST_SU_EUlST_E_NS1_11comp_targetILNS1_3genE5ELNS1_11target_archE942ELNS1_3gpuE9ELNS1_3repE0EEENS1_30default_config_static_selectorELNS0_4arch9wavefront6targetE1EEEvT1_.kd
    .uniform_work_group_size: 1
    .uses_dynamic_stack: false
    .vgpr_count:     0
    .vgpr_spill_count: 0
    .wavefront_size: 64
  - .agpr_count:     0
    .args:
      - .offset:         0
        .size:           136
        .value_kind:     by_value
    .group_segment_fixed_size: 10752
    .kernarg_segment_align: 8
    .kernarg_segment_size: 136
    .language:       OpenCL C
    .language_version:
      - 2
      - 0
    .max_flat_workgroup_size: 64
    .name:           _ZN7rocprim17ROCPRIM_400000_NS6detail17trampoline_kernelINS0_14default_configENS1_27scan_by_key_config_selectorIxxEEZZNS1_16scan_by_key_implILNS1_25lookback_scan_determinismE0ELb1ES3_N6thrust23THRUST_200600_302600_NS6detail15normal_iteratorINS9_10device_ptrIxEEEESE_SE_xNS9_4plusIxEE19head_flag_predicatexEE10hipError_tPvRmT2_T3_T4_T5_mT6_T7_P12ihipStream_tbENKUlT_T0_E_clISt17integral_constantIbLb1EESY_EEDaST_SU_EUlST_E_NS1_11comp_targetILNS1_3genE4ELNS1_11target_archE910ELNS1_3gpuE8ELNS1_3repE0EEENS1_30default_config_static_selectorELNS0_4arch9wavefront6targetE1EEEvT1_
    .private_segment_fixed_size: 0
    .sgpr_count:     74
    .sgpr_spill_count: 0
    .symbol:         _ZN7rocprim17ROCPRIM_400000_NS6detail17trampoline_kernelINS0_14default_configENS1_27scan_by_key_config_selectorIxxEEZZNS1_16scan_by_key_implILNS1_25lookback_scan_determinismE0ELb1ES3_N6thrust23THRUST_200600_302600_NS6detail15normal_iteratorINS9_10device_ptrIxEEEESE_SE_xNS9_4plusIxEE19head_flag_predicatexEE10hipError_tPvRmT2_T3_T4_T5_mT6_T7_P12ihipStream_tbENKUlT_T0_E_clISt17integral_constantIbLb1EESY_EEDaST_SU_EUlST_E_NS1_11comp_targetILNS1_3genE4ELNS1_11target_archE910ELNS1_3gpuE8ELNS1_3repE0EEENS1_30default_config_static_selectorELNS0_4arch9wavefront6targetE1EEEvT1_.kd
    .uniform_work_group_size: 1
    .uses_dynamic_stack: false
    .vgpr_count:     119
    .vgpr_spill_count: 0
    .wavefront_size: 64
  - .agpr_count:     0
    .args:
      - .offset:         0
        .size:           136
        .value_kind:     by_value
    .group_segment_fixed_size: 0
    .kernarg_segment_align: 8
    .kernarg_segment_size: 136
    .language:       OpenCL C
    .language_version:
      - 2
      - 0
    .max_flat_workgroup_size: 256
    .name:           _ZN7rocprim17ROCPRIM_400000_NS6detail17trampoline_kernelINS0_14default_configENS1_27scan_by_key_config_selectorIxxEEZZNS1_16scan_by_key_implILNS1_25lookback_scan_determinismE0ELb1ES3_N6thrust23THRUST_200600_302600_NS6detail15normal_iteratorINS9_10device_ptrIxEEEESE_SE_xNS9_4plusIxEE19head_flag_predicatexEE10hipError_tPvRmT2_T3_T4_T5_mT6_T7_P12ihipStream_tbENKUlT_T0_E_clISt17integral_constantIbLb1EESY_EEDaST_SU_EUlST_E_NS1_11comp_targetILNS1_3genE3ELNS1_11target_archE908ELNS1_3gpuE7ELNS1_3repE0EEENS1_30default_config_static_selectorELNS0_4arch9wavefront6targetE1EEEvT1_
    .private_segment_fixed_size: 0
    .sgpr_count:     4
    .sgpr_spill_count: 0
    .symbol:         _ZN7rocprim17ROCPRIM_400000_NS6detail17trampoline_kernelINS0_14default_configENS1_27scan_by_key_config_selectorIxxEEZZNS1_16scan_by_key_implILNS1_25lookback_scan_determinismE0ELb1ES3_N6thrust23THRUST_200600_302600_NS6detail15normal_iteratorINS9_10device_ptrIxEEEESE_SE_xNS9_4plusIxEE19head_flag_predicatexEE10hipError_tPvRmT2_T3_T4_T5_mT6_T7_P12ihipStream_tbENKUlT_T0_E_clISt17integral_constantIbLb1EESY_EEDaST_SU_EUlST_E_NS1_11comp_targetILNS1_3genE3ELNS1_11target_archE908ELNS1_3gpuE7ELNS1_3repE0EEENS1_30default_config_static_selectorELNS0_4arch9wavefront6targetE1EEEvT1_.kd
    .uniform_work_group_size: 1
    .uses_dynamic_stack: false
    .vgpr_count:     0
    .vgpr_spill_count: 0
    .wavefront_size: 64
  - .agpr_count:     0
    .args:
      - .offset:         0
        .size:           136
        .value_kind:     by_value
    .group_segment_fixed_size: 0
    .kernarg_segment_align: 8
    .kernarg_segment_size: 136
    .language:       OpenCL C
    .language_version:
      - 2
      - 0
    .max_flat_workgroup_size: 256
    .name:           _ZN7rocprim17ROCPRIM_400000_NS6detail17trampoline_kernelINS0_14default_configENS1_27scan_by_key_config_selectorIxxEEZZNS1_16scan_by_key_implILNS1_25lookback_scan_determinismE0ELb1ES3_N6thrust23THRUST_200600_302600_NS6detail15normal_iteratorINS9_10device_ptrIxEEEESE_SE_xNS9_4plusIxEE19head_flag_predicatexEE10hipError_tPvRmT2_T3_T4_T5_mT6_T7_P12ihipStream_tbENKUlT_T0_E_clISt17integral_constantIbLb1EESY_EEDaST_SU_EUlST_E_NS1_11comp_targetILNS1_3genE2ELNS1_11target_archE906ELNS1_3gpuE6ELNS1_3repE0EEENS1_30default_config_static_selectorELNS0_4arch9wavefront6targetE1EEEvT1_
    .private_segment_fixed_size: 0
    .sgpr_count:     4
    .sgpr_spill_count: 0
    .symbol:         _ZN7rocprim17ROCPRIM_400000_NS6detail17trampoline_kernelINS0_14default_configENS1_27scan_by_key_config_selectorIxxEEZZNS1_16scan_by_key_implILNS1_25lookback_scan_determinismE0ELb1ES3_N6thrust23THRUST_200600_302600_NS6detail15normal_iteratorINS9_10device_ptrIxEEEESE_SE_xNS9_4plusIxEE19head_flag_predicatexEE10hipError_tPvRmT2_T3_T4_T5_mT6_T7_P12ihipStream_tbENKUlT_T0_E_clISt17integral_constantIbLb1EESY_EEDaST_SU_EUlST_E_NS1_11comp_targetILNS1_3genE2ELNS1_11target_archE906ELNS1_3gpuE6ELNS1_3repE0EEENS1_30default_config_static_selectorELNS0_4arch9wavefront6targetE1EEEvT1_.kd
    .uniform_work_group_size: 1
    .uses_dynamic_stack: false
    .vgpr_count:     0
    .vgpr_spill_count: 0
    .wavefront_size: 64
  - .agpr_count:     0
    .args:
      - .offset:         0
        .size:           136
        .value_kind:     by_value
    .group_segment_fixed_size: 0
    .kernarg_segment_align: 8
    .kernarg_segment_size: 136
    .language:       OpenCL C
    .language_version:
      - 2
      - 0
    .max_flat_workgroup_size: 256
    .name:           _ZN7rocprim17ROCPRIM_400000_NS6detail17trampoline_kernelINS0_14default_configENS1_27scan_by_key_config_selectorIxxEEZZNS1_16scan_by_key_implILNS1_25lookback_scan_determinismE0ELb1ES3_N6thrust23THRUST_200600_302600_NS6detail15normal_iteratorINS9_10device_ptrIxEEEESE_SE_xNS9_4plusIxEE19head_flag_predicatexEE10hipError_tPvRmT2_T3_T4_T5_mT6_T7_P12ihipStream_tbENKUlT_T0_E_clISt17integral_constantIbLb1EESY_EEDaST_SU_EUlST_E_NS1_11comp_targetILNS1_3genE10ELNS1_11target_archE1200ELNS1_3gpuE4ELNS1_3repE0EEENS1_30default_config_static_selectorELNS0_4arch9wavefront6targetE1EEEvT1_
    .private_segment_fixed_size: 0
    .sgpr_count:     4
    .sgpr_spill_count: 0
    .symbol:         _ZN7rocprim17ROCPRIM_400000_NS6detail17trampoline_kernelINS0_14default_configENS1_27scan_by_key_config_selectorIxxEEZZNS1_16scan_by_key_implILNS1_25lookback_scan_determinismE0ELb1ES3_N6thrust23THRUST_200600_302600_NS6detail15normal_iteratorINS9_10device_ptrIxEEEESE_SE_xNS9_4plusIxEE19head_flag_predicatexEE10hipError_tPvRmT2_T3_T4_T5_mT6_T7_P12ihipStream_tbENKUlT_T0_E_clISt17integral_constantIbLb1EESY_EEDaST_SU_EUlST_E_NS1_11comp_targetILNS1_3genE10ELNS1_11target_archE1200ELNS1_3gpuE4ELNS1_3repE0EEENS1_30default_config_static_selectorELNS0_4arch9wavefront6targetE1EEEvT1_.kd
    .uniform_work_group_size: 1
    .uses_dynamic_stack: false
    .vgpr_count:     0
    .vgpr_spill_count: 0
    .wavefront_size: 64
  - .agpr_count:     0
    .args:
      - .offset:         0
        .size:           136
        .value_kind:     by_value
    .group_segment_fixed_size: 0
    .kernarg_segment_align: 8
    .kernarg_segment_size: 136
    .language:       OpenCL C
    .language_version:
      - 2
      - 0
    .max_flat_workgroup_size: 256
    .name:           _ZN7rocprim17ROCPRIM_400000_NS6detail17trampoline_kernelINS0_14default_configENS1_27scan_by_key_config_selectorIxxEEZZNS1_16scan_by_key_implILNS1_25lookback_scan_determinismE0ELb1ES3_N6thrust23THRUST_200600_302600_NS6detail15normal_iteratorINS9_10device_ptrIxEEEESE_SE_xNS9_4plusIxEE19head_flag_predicatexEE10hipError_tPvRmT2_T3_T4_T5_mT6_T7_P12ihipStream_tbENKUlT_T0_E_clISt17integral_constantIbLb1EESY_EEDaST_SU_EUlST_E_NS1_11comp_targetILNS1_3genE9ELNS1_11target_archE1100ELNS1_3gpuE3ELNS1_3repE0EEENS1_30default_config_static_selectorELNS0_4arch9wavefront6targetE1EEEvT1_
    .private_segment_fixed_size: 0
    .sgpr_count:     4
    .sgpr_spill_count: 0
    .symbol:         _ZN7rocprim17ROCPRIM_400000_NS6detail17trampoline_kernelINS0_14default_configENS1_27scan_by_key_config_selectorIxxEEZZNS1_16scan_by_key_implILNS1_25lookback_scan_determinismE0ELb1ES3_N6thrust23THRUST_200600_302600_NS6detail15normal_iteratorINS9_10device_ptrIxEEEESE_SE_xNS9_4plusIxEE19head_flag_predicatexEE10hipError_tPvRmT2_T3_T4_T5_mT6_T7_P12ihipStream_tbENKUlT_T0_E_clISt17integral_constantIbLb1EESY_EEDaST_SU_EUlST_E_NS1_11comp_targetILNS1_3genE9ELNS1_11target_archE1100ELNS1_3gpuE3ELNS1_3repE0EEENS1_30default_config_static_selectorELNS0_4arch9wavefront6targetE1EEEvT1_.kd
    .uniform_work_group_size: 1
    .uses_dynamic_stack: false
    .vgpr_count:     0
    .vgpr_spill_count: 0
    .wavefront_size: 64
  - .agpr_count:     0
    .args:
      - .offset:         0
        .size:           136
        .value_kind:     by_value
    .group_segment_fixed_size: 0
    .kernarg_segment_align: 8
    .kernarg_segment_size: 136
    .language:       OpenCL C
    .language_version:
      - 2
      - 0
    .max_flat_workgroup_size: 256
    .name:           _ZN7rocprim17ROCPRIM_400000_NS6detail17trampoline_kernelINS0_14default_configENS1_27scan_by_key_config_selectorIxxEEZZNS1_16scan_by_key_implILNS1_25lookback_scan_determinismE0ELb1ES3_N6thrust23THRUST_200600_302600_NS6detail15normal_iteratorINS9_10device_ptrIxEEEESE_SE_xNS9_4plusIxEE19head_flag_predicatexEE10hipError_tPvRmT2_T3_T4_T5_mT6_T7_P12ihipStream_tbENKUlT_T0_E_clISt17integral_constantIbLb1EESY_EEDaST_SU_EUlST_E_NS1_11comp_targetILNS1_3genE8ELNS1_11target_archE1030ELNS1_3gpuE2ELNS1_3repE0EEENS1_30default_config_static_selectorELNS0_4arch9wavefront6targetE1EEEvT1_
    .private_segment_fixed_size: 0
    .sgpr_count:     4
    .sgpr_spill_count: 0
    .symbol:         _ZN7rocprim17ROCPRIM_400000_NS6detail17trampoline_kernelINS0_14default_configENS1_27scan_by_key_config_selectorIxxEEZZNS1_16scan_by_key_implILNS1_25lookback_scan_determinismE0ELb1ES3_N6thrust23THRUST_200600_302600_NS6detail15normal_iteratorINS9_10device_ptrIxEEEESE_SE_xNS9_4plusIxEE19head_flag_predicatexEE10hipError_tPvRmT2_T3_T4_T5_mT6_T7_P12ihipStream_tbENKUlT_T0_E_clISt17integral_constantIbLb1EESY_EEDaST_SU_EUlST_E_NS1_11comp_targetILNS1_3genE8ELNS1_11target_archE1030ELNS1_3gpuE2ELNS1_3repE0EEENS1_30default_config_static_selectorELNS0_4arch9wavefront6targetE1EEEvT1_.kd
    .uniform_work_group_size: 1
    .uses_dynamic_stack: false
    .vgpr_count:     0
    .vgpr_spill_count: 0
    .wavefront_size: 64
  - .agpr_count:     0
    .args:
      - .offset:         0
        .size:           136
        .value_kind:     by_value
    .group_segment_fixed_size: 0
    .kernarg_segment_align: 8
    .kernarg_segment_size: 136
    .language:       OpenCL C
    .language_version:
      - 2
      - 0
    .max_flat_workgroup_size: 256
    .name:           _ZN7rocprim17ROCPRIM_400000_NS6detail17trampoline_kernelINS0_14default_configENS1_27scan_by_key_config_selectorIxxEEZZNS1_16scan_by_key_implILNS1_25lookback_scan_determinismE0ELb1ES3_N6thrust23THRUST_200600_302600_NS6detail15normal_iteratorINS9_10device_ptrIxEEEESE_SE_xNS9_4plusIxEE19head_flag_predicatexEE10hipError_tPvRmT2_T3_T4_T5_mT6_T7_P12ihipStream_tbENKUlT_T0_E_clISt17integral_constantIbLb1EESX_IbLb0EEEEDaST_SU_EUlST_E_NS1_11comp_targetILNS1_3genE0ELNS1_11target_archE4294967295ELNS1_3gpuE0ELNS1_3repE0EEENS1_30default_config_static_selectorELNS0_4arch9wavefront6targetE1EEEvT1_
    .private_segment_fixed_size: 0
    .sgpr_count:     4
    .sgpr_spill_count: 0
    .symbol:         _ZN7rocprim17ROCPRIM_400000_NS6detail17trampoline_kernelINS0_14default_configENS1_27scan_by_key_config_selectorIxxEEZZNS1_16scan_by_key_implILNS1_25lookback_scan_determinismE0ELb1ES3_N6thrust23THRUST_200600_302600_NS6detail15normal_iteratorINS9_10device_ptrIxEEEESE_SE_xNS9_4plusIxEE19head_flag_predicatexEE10hipError_tPvRmT2_T3_T4_T5_mT6_T7_P12ihipStream_tbENKUlT_T0_E_clISt17integral_constantIbLb1EESX_IbLb0EEEEDaST_SU_EUlST_E_NS1_11comp_targetILNS1_3genE0ELNS1_11target_archE4294967295ELNS1_3gpuE0ELNS1_3repE0EEENS1_30default_config_static_selectorELNS0_4arch9wavefront6targetE1EEEvT1_.kd
    .uniform_work_group_size: 1
    .uses_dynamic_stack: false
    .vgpr_count:     0
    .vgpr_spill_count: 0
    .wavefront_size: 64
  - .agpr_count:     0
    .args:
      - .offset:         0
        .size:           136
        .value_kind:     by_value
    .group_segment_fixed_size: 0
    .kernarg_segment_align: 8
    .kernarg_segment_size: 136
    .language:       OpenCL C
    .language_version:
      - 2
      - 0
    .max_flat_workgroup_size: 256
    .name:           _ZN7rocprim17ROCPRIM_400000_NS6detail17trampoline_kernelINS0_14default_configENS1_27scan_by_key_config_selectorIxxEEZZNS1_16scan_by_key_implILNS1_25lookback_scan_determinismE0ELb1ES3_N6thrust23THRUST_200600_302600_NS6detail15normal_iteratorINS9_10device_ptrIxEEEESE_SE_xNS9_4plusIxEE19head_flag_predicatexEE10hipError_tPvRmT2_T3_T4_T5_mT6_T7_P12ihipStream_tbENKUlT_T0_E_clISt17integral_constantIbLb1EESX_IbLb0EEEEDaST_SU_EUlST_E_NS1_11comp_targetILNS1_3genE10ELNS1_11target_archE1201ELNS1_3gpuE5ELNS1_3repE0EEENS1_30default_config_static_selectorELNS0_4arch9wavefront6targetE1EEEvT1_
    .private_segment_fixed_size: 0
    .sgpr_count:     4
    .sgpr_spill_count: 0
    .symbol:         _ZN7rocprim17ROCPRIM_400000_NS6detail17trampoline_kernelINS0_14default_configENS1_27scan_by_key_config_selectorIxxEEZZNS1_16scan_by_key_implILNS1_25lookback_scan_determinismE0ELb1ES3_N6thrust23THRUST_200600_302600_NS6detail15normal_iteratorINS9_10device_ptrIxEEEESE_SE_xNS9_4plusIxEE19head_flag_predicatexEE10hipError_tPvRmT2_T3_T4_T5_mT6_T7_P12ihipStream_tbENKUlT_T0_E_clISt17integral_constantIbLb1EESX_IbLb0EEEEDaST_SU_EUlST_E_NS1_11comp_targetILNS1_3genE10ELNS1_11target_archE1201ELNS1_3gpuE5ELNS1_3repE0EEENS1_30default_config_static_selectorELNS0_4arch9wavefront6targetE1EEEvT1_.kd
    .uniform_work_group_size: 1
    .uses_dynamic_stack: false
    .vgpr_count:     0
    .vgpr_spill_count: 0
    .wavefront_size: 64
  - .agpr_count:     0
    .args:
      - .offset:         0
        .size:           136
        .value_kind:     by_value
    .group_segment_fixed_size: 0
    .kernarg_segment_align: 8
    .kernarg_segment_size: 136
    .language:       OpenCL C
    .language_version:
      - 2
      - 0
    .max_flat_workgroup_size: 256
    .name:           _ZN7rocprim17ROCPRIM_400000_NS6detail17trampoline_kernelINS0_14default_configENS1_27scan_by_key_config_selectorIxxEEZZNS1_16scan_by_key_implILNS1_25lookback_scan_determinismE0ELb1ES3_N6thrust23THRUST_200600_302600_NS6detail15normal_iteratorINS9_10device_ptrIxEEEESE_SE_xNS9_4plusIxEE19head_flag_predicatexEE10hipError_tPvRmT2_T3_T4_T5_mT6_T7_P12ihipStream_tbENKUlT_T0_E_clISt17integral_constantIbLb1EESX_IbLb0EEEEDaST_SU_EUlST_E_NS1_11comp_targetILNS1_3genE5ELNS1_11target_archE942ELNS1_3gpuE9ELNS1_3repE0EEENS1_30default_config_static_selectorELNS0_4arch9wavefront6targetE1EEEvT1_
    .private_segment_fixed_size: 0
    .sgpr_count:     4
    .sgpr_spill_count: 0
    .symbol:         _ZN7rocprim17ROCPRIM_400000_NS6detail17trampoline_kernelINS0_14default_configENS1_27scan_by_key_config_selectorIxxEEZZNS1_16scan_by_key_implILNS1_25lookback_scan_determinismE0ELb1ES3_N6thrust23THRUST_200600_302600_NS6detail15normal_iteratorINS9_10device_ptrIxEEEESE_SE_xNS9_4plusIxEE19head_flag_predicatexEE10hipError_tPvRmT2_T3_T4_T5_mT6_T7_P12ihipStream_tbENKUlT_T0_E_clISt17integral_constantIbLb1EESX_IbLb0EEEEDaST_SU_EUlST_E_NS1_11comp_targetILNS1_3genE5ELNS1_11target_archE942ELNS1_3gpuE9ELNS1_3repE0EEENS1_30default_config_static_selectorELNS0_4arch9wavefront6targetE1EEEvT1_.kd
    .uniform_work_group_size: 1
    .uses_dynamic_stack: false
    .vgpr_count:     0
    .vgpr_spill_count: 0
    .wavefront_size: 64
  - .agpr_count:     0
    .args:
      - .offset:         0
        .size:           136
        .value_kind:     by_value
    .group_segment_fixed_size: 10752
    .kernarg_segment_align: 8
    .kernarg_segment_size: 136
    .language:       OpenCL C
    .language_version:
      - 2
      - 0
    .max_flat_workgroup_size: 64
    .name:           _ZN7rocprim17ROCPRIM_400000_NS6detail17trampoline_kernelINS0_14default_configENS1_27scan_by_key_config_selectorIxxEEZZNS1_16scan_by_key_implILNS1_25lookback_scan_determinismE0ELb1ES3_N6thrust23THRUST_200600_302600_NS6detail15normal_iteratorINS9_10device_ptrIxEEEESE_SE_xNS9_4plusIxEE19head_flag_predicatexEE10hipError_tPvRmT2_T3_T4_T5_mT6_T7_P12ihipStream_tbENKUlT_T0_E_clISt17integral_constantIbLb1EESX_IbLb0EEEEDaST_SU_EUlST_E_NS1_11comp_targetILNS1_3genE4ELNS1_11target_archE910ELNS1_3gpuE8ELNS1_3repE0EEENS1_30default_config_static_selectorELNS0_4arch9wavefront6targetE1EEEvT1_
    .private_segment_fixed_size: 0
    .sgpr_count:     77
    .sgpr_spill_count: 0
    .symbol:         _ZN7rocprim17ROCPRIM_400000_NS6detail17trampoline_kernelINS0_14default_configENS1_27scan_by_key_config_selectorIxxEEZZNS1_16scan_by_key_implILNS1_25lookback_scan_determinismE0ELb1ES3_N6thrust23THRUST_200600_302600_NS6detail15normal_iteratorINS9_10device_ptrIxEEEESE_SE_xNS9_4plusIxEE19head_flag_predicatexEE10hipError_tPvRmT2_T3_T4_T5_mT6_T7_P12ihipStream_tbENKUlT_T0_E_clISt17integral_constantIbLb1EESX_IbLb0EEEEDaST_SU_EUlST_E_NS1_11comp_targetILNS1_3genE4ELNS1_11target_archE910ELNS1_3gpuE8ELNS1_3repE0EEENS1_30default_config_static_selectorELNS0_4arch9wavefront6targetE1EEEvT1_.kd
    .uniform_work_group_size: 1
    .uses_dynamic_stack: false
    .vgpr_count:     117
    .vgpr_spill_count: 0
    .wavefront_size: 64
  - .agpr_count:     0
    .args:
      - .offset:         0
        .size:           136
        .value_kind:     by_value
    .group_segment_fixed_size: 0
    .kernarg_segment_align: 8
    .kernarg_segment_size: 136
    .language:       OpenCL C
    .language_version:
      - 2
      - 0
    .max_flat_workgroup_size: 256
    .name:           _ZN7rocprim17ROCPRIM_400000_NS6detail17trampoline_kernelINS0_14default_configENS1_27scan_by_key_config_selectorIxxEEZZNS1_16scan_by_key_implILNS1_25lookback_scan_determinismE0ELb1ES3_N6thrust23THRUST_200600_302600_NS6detail15normal_iteratorINS9_10device_ptrIxEEEESE_SE_xNS9_4plusIxEE19head_flag_predicatexEE10hipError_tPvRmT2_T3_T4_T5_mT6_T7_P12ihipStream_tbENKUlT_T0_E_clISt17integral_constantIbLb1EESX_IbLb0EEEEDaST_SU_EUlST_E_NS1_11comp_targetILNS1_3genE3ELNS1_11target_archE908ELNS1_3gpuE7ELNS1_3repE0EEENS1_30default_config_static_selectorELNS0_4arch9wavefront6targetE1EEEvT1_
    .private_segment_fixed_size: 0
    .sgpr_count:     4
    .sgpr_spill_count: 0
    .symbol:         _ZN7rocprim17ROCPRIM_400000_NS6detail17trampoline_kernelINS0_14default_configENS1_27scan_by_key_config_selectorIxxEEZZNS1_16scan_by_key_implILNS1_25lookback_scan_determinismE0ELb1ES3_N6thrust23THRUST_200600_302600_NS6detail15normal_iteratorINS9_10device_ptrIxEEEESE_SE_xNS9_4plusIxEE19head_flag_predicatexEE10hipError_tPvRmT2_T3_T4_T5_mT6_T7_P12ihipStream_tbENKUlT_T0_E_clISt17integral_constantIbLb1EESX_IbLb0EEEEDaST_SU_EUlST_E_NS1_11comp_targetILNS1_3genE3ELNS1_11target_archE908ELNS1_3gpuE7ELNS1_3repE0EEENS1_30default_config_static_selectorELNS0_4arch9wavefront6targetE1EEEvT1_.kd
    .uniform_work_group_size: 1
    .uses_dynamic_stack: false
    .vgpr_count:     0
    .vgpr_spill_count: 0
    .wavefront_size: 64
  - .agpr_count:     0
    .args:
      - .offset:         0
        .size:           136
        .value_kind:     by_value
    .group_segment_fixed_size: 0
    .kernarg_segment_align: 8
    .kernarg_segment_size: 136
    .language:       OpenCL C
    .language_version:
      - 2
      - 0
    .max_flat_workgroup_size: 256
    .name:           _ZN7rocprim17ROCPRIM_400000_NS6detail17trampoline_kernelINS0_14default_configENS1_27scan_by_key_config_selectorIxxEEZZNS1_16scan_by_key_implILNS1_25lookback_scan_determinismE0ELb1ES3_N6thrust23THRUST_200600_302600_NS6detail15normal_iteratorINS9_10device_ptrIxEEEESE_SE_xNS9_4plusIxEE19head_flag_predicatexEE10hipError_tPvRmT2_T3_T4_T5_mT6_T7_P12ihipStream_tbENKUlT_T0_E_clISt17integral_constantIbLb1EESX_IbLb0EEEEDaST_SU_EUlST_E_NS1_11comp_targetILNS1_3genE2ELNS1_11target_archE906ELNS1_3gpuE6ELNS1_3repE0EEENS1_30default_config_static_selectorELNS0_4arch9wavefront6targetE1EEEvT1_
    .private_segment_fixed_size: 0
    .sgpr_count:     4
    .sgpr_spill_count: 0
    .symbol:         _ZN7rocprim17ROCPRIM_400000_NS6detail17trampoline_kernelINS0_14default_configENS1_27scan_by_key_config_selectorIxxEEZZNS1_16scan_by_key_implILNS1_25lookback_scan_determinismE0ELb1ES3_N6thrust23THRUST_200600_302600_NS6detail15normal_iteratorINS9_10device_ptrIxEEEESE_SE_xNS9_4plusIxEE19head_flag_predicatexEE10hipError_tPvRmT2_T3_T4_T5_mT6_T7_P12ihipStream_tbENKUlT_T0_E_clISt17integral_constantIbLb1EESX_IbLb0EEEEDaST_SU_EUlST_E_NS1_11comp_targetILNS1_3genE2ELNS1_11target_archE906ELNS1_3gpuE6ELNS1_3repE0EEENS1_30default_config_static_selectorELNS0_4arch9wavefront6targetE1EEEvT1_.kd
    .uniform_work_group_size: 1
    .uses_dynamic_stack: false
    .vgpr_count:     0
    .vgpr_spill_count: 0
    .wavefront_size: 64
  - .agpr_count:     0
    .args:
      - .offset:         0
        .size:           136
        .value_kind:     by_value
    .group_segment_fixed_size: 0
    .kernarg_segment_align: 8
    .kernarg_segment_size: 136
    .language:       OpenCL C
    .language_version:
      - 2
      - 0
    .max_flat_workgroup_size: 256
    .name:           _ZN7rocprim17ROCPRIM_400000_NS6detail17trampoline_kernelINS0_14default_configENS1_27scan_by_key_config_selectorIxxEEZZNS1_16scan_by_key_implILNS1_25lookback_scan_determinismE0ELb1ES3_N6thrust23THRUST_200600_302600_NS6detail15normal_iteratorINS9_10device_ptrIxEEEESE_SE_xNS9_4plusIxEE19head_flag_predicatexEE10hipError_tPvRmT2_T3_T4_T5_mT6_T7_P12ihipStream_tbENKUlT_T0_E_clISt17integral_constantIbLb1EESX_IbLb0EEEEDaST_SU_EUlST_E_NS1_11comp_targetILNS1_3genE10ELNS1_11target_archE1200ELNS1_3gpuE4ELNS1_3repE0EEENS1_30default_config_static_selectorELNS0_4arch9wavefront6targetE1EEEvT1_
    .private_segment_fixed_size: 0
    .sgpr_count:     4
    .sgpr_spill_count: 0
    .symbol:         _ZN7rocprim17ROCPRIM_400000_NS6detail17trampoline_kernelINS0_14default_configENS1_27scan_by_key_config_selectorIxxEEZZNS1_16scan_by_key_implILNS1_25lookback_scan_determinismE0ELb1ES3_N6thrust23THRUST_200600_302600_NS6detail15normal_iteratorINS9_10device_ptrIxEEEESE_SE_xNS9_4plusIxEE19head_flag_predicatexEE10hipError_tPvRmT2_T3_T4_T5_mT6_T7_P12ihipStream_tbENKUlT_T0_E_clISt17integral_constantIbLb1EESX_IbLb0EEEEDaST_SU_EUlST_E_NS1_11comp_targetILNS1_3genE10ELNS1_11target_archE1200ELNS1_3gpuE4ELNS1_3repE0EEENS1_30default_config_static_selectorELNS0_4arch9wavefront6targetE1EEEvT1_.kd
    .uniform_work_group_size: 1
    .uses_dynamic_stack: false
    .vgpr_count:     0
    .vgpr_spill_count: 0
    .wavefront_size: 64
  - .agpr_count:     0
    .args:
      - .offset:         0
        .size:           136
        .value_kind:     by_value
    .group_segment_fixed_size: 0
    .kernarg_segment_align: 8
    .kernarg_segment_size: 136
    .language:       OpenCL C
    .language_version:
      - 2
      - 0
    .max_flat_workgroup_size: 256
    .name:           _ZN7rocprim17ROCPRIM_400000_NS6detail17trampoline_kernelINS0_14default_configENS1_27scan_by_key_config_selectorIxxEEZZNS1_16scan_by_key_implILNS1_25lookback_scan_determinismE0ELb1ES3_N6thrust23THRUST_200600_302600_NS6detail15normal_iteratorINS9_10device_ptrIxEEEESE_SE_xNS9_4plusIxEE19head_flag_predicatexEE10hipError_tPvRmT2_T3_T4_T5_mT6_T7_P12ihipStream_tbENKUlT_T0_E_clISt17integral_constantIbLb1EESX_IbLb0EEEEDaST_SU_EUlST_E_NS1_11comp_targetILNS1_3genE9ELNS1_11target_archE1100ELNS1_3gpuE3ELNS1_3repE0EEENS1_30default_config_static_selectorELNS0_4arch9wavefront6targetE1EEEvT1_
    .private_segment_fixed_size: 0
    .sgpr_count:     4
    .sgpr_spill_count: 0
    .symbol:         _ZN7rocprim17ROCPRIM_400000_NS6detail17trampoline_kernelINS0_14default_configENS1_27scan_by_key_config_selectorIxxEEZZNS1_16scan_by_key_implILNS1_25lookback_scan_determinismE0ELb1ES3_N6thrust23THRUST_200600_302600_NS6detail15normal_iteratorINS9_10device_ptrIxEEEESE_SE_xNS9_4plusIxEE19head_flag_predicatexEE10hipError_tPvRmT2_T3_T4_T5_mT6_T7_P12ihipStream_tbENKUlT_T0_E_clISt17integral_constantIbLb1EESX_IbLb0EEEEDaST_SU_EUlST_E_NS1_11comp_targetILNS1_3genE9ELNS1_11target_archE1100ELNS1_3gpuE3ELNS1_3repE0EEENS1_30default_config_static_selectorELNS0_4arch9wavefront6targetE1EEEvT1_.kd
    .uniform_work_group_size: 1
    .uses_dynamic_stack: false
    .vgpr_count:     0
    .vgpr_spill_count: 0
    .wavefront_size: 64
  - .agpr_count:     0
    .args:
      - .offset:         0
        .size:           136
        .value_kind:     by_value
    .group_segment_fixed_size: 0
    .kernarg_segment_align: 8
    .kernarg_segment_size: 136
    .language:       OpenCL C
    .language_version:
      - 2
      - 0
    .max_flat_workgroup_size: 256
    .name:           _ZN7rocprim17ROCPRIM_400000_NS6detail17trampoline_kernelINS0_14default_configENS1_27scan_by_key_config_selectorIxxEEZZNS1_16scan_by_key_implILNS1_25lookback_scan_determinismE0ELb1ES3_N6thrust23THRUST_200600_302600_NS6detail15normal_iteratorINS9_10device_ptrIxEEEESE_SE_xNS9_4plusIxEE19head_flag_predicatexEE10hipError_tPvRmT2_T3_T4_T5_mT6_T7_P12ihipStream_tbENKUlT_T0_E_clISt17integral_constantIbLb1EESX_IbLb0EEEEDaST_SU_EUlST_E_NS1_11comp_targetILNS1_3genE8ELNS1_11target_archE1030ELNS1_3gpuE2ELNS1_3repE0EEENS1_30default_config_static_selectorELNS0_4arch9wavefront6targetE1EEEvT1_
    .private_segment_fixed_size: 0
    .sgpr_count:     4
    .sgpr_spill_count: 0
    .symbol:         _ZN7rocprim17ROCPRIM_400000_NS6detail17trampoline_kernelINS0_14default_configENS1_27scan_by_key_config_selectorIxxEEZZNS1_16scan_by_key_implILNS1_25lookback_scan_determinismE0ELb1ES3_N6thrust23THRUST_200600_302600_NS6detail15normal_iteratorINS9_10device_ptrIxEEEESE_SE_xNS9_4plusIxEE19head_flag_predicatexEE10hipError_tPvRmT2_T3_T4_T5_mT6_T7_P12ihipStream_tbENKUlT_T0_E_clISt17integral_constantIbLb1EESX_IbLb0EEEEDaST_SU_EUlST_E_NS1_11comp_targetILNS1_3genE8ELNS1_11target_archE1030ELNS1_3gpuE2ELNS1_3repE0EEENS1_30default_config_static_selectorELNS0_4arch9wavefront6targetE1EEEvT1_.kd
    .uniform_work_group_size: 1
    .uses_dynamic_stack: false
    .vgpr_count:     0
    .vgpr_spill_count: 0
    .wavefront_size: 64
  - .agpr_count:     0
    .args:
      - .offset:         0
        .size:           136
        .value_kind:     by_value
    .group_segment_fixed_size: 0
    .kernarg_segment_align: 8
    .kernarg_segment_size: 136
    .language:       OpenCL C
    .language_version:
      - 2
      - 0
    .max_flat_workgroup_size: 256
    .name:           _ZN7rocprim17ROCPRIM_400000_NS6detail17trampoline_kernelINS0_14default_configENS1_27scan_by_key_config_selectorIxxEEZZNS1_16scan_by_key_implILNS1_25lookback_scan_determinismE0ELb1ES3_N6thrust23THRUST_200600_302600_NS6detail15normal_iteratorINS9_10device_ptrIxEEEESE_SE_xNS9_4plusIxEE19head_flag_predicatexEE10hipError_tPvRmT2_T3_T4_T5_mT6_T7_P12ihipStream_tbENKUlT_T0_E_clISt17integral_constantIbLb0EESX_IbLb1EEEEDaST_SU_EUlST_E_NS1_11comp_targetILNS1_3genE0ELNS1_11target_archE4294967295ELNS1_3gpuE0ELNS1_3repE0EEENS1_30default_config_static_selectorELNS0_4arch9wavefront6targetE1EEEvT1_
    .private_segment_fixed_size: 0
    .sgpr_count:     4
    .sgpr_spill_count: 0
    .symbol:         _ZN7rocprim17ROCPRIM_400000_NS6detail17trampoline_kernelINS0_14default_configENS1_27scan_by_key_config_selectorIxxEEZZNS1_16scan_by_key_implILNS1_25lookback_scan_determinismE0ELb1ES3_N6thrust23THRUST_200600_302600_NS6detail15normal_iteratorINS9_10device_ptrIxEEEESE_SE_xNS9_4plusIxEE19head_flag_predicatexEE10hipError_tPvRmT2_T3_T4_T5_mT6_T7_P12ihipStream_tbENKUlT_T0_E_clISt17integral_constantIbLb0EESX_IbLb1EEEEDaST_SU_EUlST_E_NS1_11comp_targetILNS1_3genE0ELNS1_11target_archE4294967295ELNS1_3gpuE0ELNS1_3repE0EEENS1_30default_config_static_selectorELNS0_4arch9wavefront6targetE1EEEvT1_.kd
    .uniform_work_group_size: 1
    .uses_dynamic_stack: false
    .vgpr_count:     0
    .vgpr_spill_count: 0
    .wavefront_size: 64
  - .agpr_count:     0
    .args:
      - .offset:         0
        .size:           136
        .value_kind:     by_value
    .group_segment_fixed_size: 0
    .kernarg_segment_align: 8
    .kernarg_segment_size: 136
    .language:       OpenCL C
    .language_version:
      - 2
      - 0
    .max_flat_workgroup_size: 256
    .name:           _ZN7rocprim17ROCPRIM_400000_NS6detail17trampoline_kernelINS0_14default_configENS1_27scan_by_key_config_selectorIxxEEZZNS1_16scan_by_key_implILNS1_25lookback_scan_determinismE0ELb1ES3_N6thrust23THRUST_200600_302600_NS6detail15normal_iteratorINS9_10device_ptrIxEEEESE_SE_xNS9_4plusIxEE19head_flag_predicatexEE10hipError_tPvRmT2_T3_T4_T5_mT6_T7_P12ihipStream_tbENKUlT_T0_E_clISt17integral_constantIbLb0EESX_IbLb1EEEEDaST_SU_EUlST_E_NS1_11comp_targetILNS1_3genE10ELNS1_11target_archE1201ELNS1_3gpuE5ELNS1_3repE0EEENS1_30default_config_static_selectorELNS0_4arch9wavefront6targetE1EEEvT1_
    .private_segment_fixed_size: 0
    .sgpr_count:     4
    .sgpr_spill_count: 0
    .symbol:         _ZN7rocprim17ROCPRIM_400000_NS6detail17trampoline_kernelINS0_14default_configENS1_27scan_by_key_config_selectorIxxEEZZNS1_16scan_by_key_implILNS1_25lookback_scan_determinismE0ELb1ES3_N6thrust23THRUST_200600_302600_NS6detail15normal_iteratorINS9_10device_ptrIxEEEESE_SE_xNS9_4plusIxEE19head_flag_predicatexEE10hipError_tPvRmT2_T3_T4_T5_mT6_T7_P12ihipStream_tbENKUlT_T0_E_clISt17integral_constantIbLb0EESX_IbLb1EEEEDaST_SU_EUlST_E_NS1_11comp_targetILNS1_3genE10ELNS1_11target_archE1201ELNS1_3gpuE5ELNS1_3repE0EEENS1_30default_config_static_selectorELNS0_4arch9wavefront6targetE1EEEvT1_.kd
    .uniform_work_group_size: 1
    .uses_dynamic_stack: false
    .vgpr_count:     0
    .vgpr_spill_count: 0
    .wavefront_size: 64
  - .agpr_count:     0
    .args:
      - .offset:         0
        .size:           136
        .value_kind:     by_value
    .group_segment_fixed_size: 0
    .kernarg_segment_align: 8
    .kernarg_segment_size: 136
    .language:       OpenCL C
    .language_version:
      - 2
      - 0
    .max_flat_workgroup_size: 256
    .name:           _ZN7rocprim17ROCPRIM_400000_NS6detail17trampoline_kernelINS0_14default_configENS1_27scan_by_key_config_selectorIxxEEZZNS1_16scan_by_key_implILNS1_25lookback_scan_determinismE0ELb1ES3_N6thrust23THRUST_200600_302600_NS6detail15normal_iteratorINS9_10device_ptrIxEEEESE_SE_xNS9_4plusIxEE19head_flag_predicatexEE10hipError_tPvRmT2_T3_T4_T5_mT6_T7_P12ihipStream_tbENKUlT_T0_E_clISt17integral_constantIbLb0EESX_IbLb1EEEEDaST_SU_EUlST_E_NS1_11comp_targetILNS1_3genE5ELNS1_11target_archE942ELNS1_3gpuE9ELNS1_3repE0EEENS1_30default_config_static_selectorELNS0_4arch9wavefront6targetE1EEEvT1_
    .private_segment_fixed_size: 0
    .sgpr_count:     4
    .sgpr_spill_count: 0
    .symbol:         _ZN7rocprim17ROCPRIM_400000_NS6detail17trampoline_kernelINS0_14default_configENS1_27scan_by_key_config_selectorIxxEEZZNS1_16scan_by_key_implILNS1_25lookback_scan_determinismE0ELb1ES3_N6thrust23THRUST_200600_302600_NS6detail15normal_iteratorINS9_10device_ptrIxEEEESE_SE_xNS9_4plusIxEE19head_flag_predicatexEE10hipError_tPvRmT2_T3_T4_T5_mT6_T7_P12ihipStream_tbENKUlT_T0_E_clISt17integral_constantIbLb0EESX_IbLb1EEEEDaST_SU_EUlST_E_NS1_11comp_targetILNS1_3genE5ELNS1_11target_archE942ELNS1_3gpuE9ELNS1_3repE0EEENS1_30default_config_static_selectorELNS0_4arch9wavefront6targetE1EEEvT1_.kd
    .uniform_work_group_size: 1
    .uses_dynamic_stack: false
    .vgpr_count:     0
    .vgpr_spill_count: 0
    .wavefront_size: 64
  - .agpr_count:     0
    .args:
      - .offset:         0
        .size:           136
        .value_kind:     by_value
    .group_segment_fixed_size: 10752
    .kernarg_segment_align: 8
    .kernarg_segment_size: 136
    .language:       OpenCL C
    .language_version:
      - 2
      - 0
    .max_flat_workgroup_size: 64
    .name:           _ZN7rocprim17ROCPRIM_400000_NS6detail17trampoline_kernelINS0_14default_configENS1_27scan_by_key_config_selectorIxxEEZZNS1_16scan_by_key_implILNS1_25lookback_scan_determinismE0ELb1ES3_N6thrust23THRUST_200600_302600_NS6detail15normal_iteratorINS9_10device_ptrIxEEEESE_SE_xNS9_4plusIxEE19head_flag_predicatexEE10hipError_tPvRmT2_T3_T4_T5_mT6_T7_P12ihipStream_tbENKUlT_T0_E_clISt17integral_constantIbLb0EESX_IbLb1EEEEDaST_SU_EUlST_E_NS1_11comp_targetILNS1_3genE4ELNS1_11target_archE910ELNS1_3gpuE8ELNS1_3repE0EEENS1_30default_config_static_selectorELNS0_4arch9wavefront6targetE1EEEvT1_
    .private_segment_fixed_size: 0
    .sgpr_count:     73
    .sgpr_spill_count: 0
    .symbol:         _ZN7rocprim17ROCPRIM_400000_NS6detail17trampoline_kernelINS0_14default_configENS1_27scan_by_key_config_selectorIxxEEZZNS1_16scan_by_key_implILNS1_25lookback_scan_determinismE0ELb1ES3_N6thrust23THRUST_200600_302600_NS6detail15normal_iteratorINS9_10device_ptrIxEEEESE_SE_xNS9_4plusIxEE19head_flag_predicatexEE10hipError_tPvRmT2_T3_T4_T5_mT6_T7_P12ihipStream_tbENKUlT_T0_E_clISt17integral_constantIbLb0EESX_IbLb1EEEEDaST_SU_EUlST_E_NS1_11comp_targetILNS1_3genE4ELNS1_11target_archE910ELNS1_3gpuE8ELNS1_3repE0EEENS1_30default_config_static_selectorELNS0_4arch9wavefront6targetE1EEEvT1_.kd
    .uniform_work_group_size: 1
    .uses_dynamic_stack: false
    .vgpr_count:     119
    .vgpr_spill_count: 0
    .wavefront_size: 64
  - .agpr_count:     0
    .args:
      - .offset:         0
        .size:           136
        .value_kind:     by_value
    .group_segment_fixed_size: 0
    .kernarg_segment_align: 8
    .kernarg_segment_size: 136
    .language:       OpenCL C
    .language_version:
      - 2
      - 0
    .max_flat_workgroup_size: 256
    .name:           _ZN7rocprim17ROCPRIM_400000_NS6detail17trampoline_kernelINS0_14default_configENS1_27scan_by_key_config_selectorIxxEEZZNS1_16scan_by_key_implILNS1_25lookback_scan_determinismE0ELb1ES3_N6thrust23THRUST_200600_302600_NS6detail15normal_iteratorINS9_10device_ptrIxEEEESE_SE_xNS9_4plusIxEE19head_flag_predicatexEE10hipError_tPvRmT2_T3_T4_T5_mT6_T7_P12ihipStream_tbENKUlT_T0_E_clISt17integral_constantIbLb0EESX_IbLb1EEEEDaST_SU_EUlST_E_NS1_11comp_targetILNS1_3genE3ELNS1_11target_archE908ELNS1_3gpuE7ELNS1_3repE0EEENS1_30default_config_static_selectorELNS0_4arch9wavefront6targetE1EEEvT1_
    .private_segment_fixed_size: 0
    .sgpr_count:     4
    .sgpr_spill_count: 0
    .symbol:         _ZN7rocprim17ROCPRIM_400000_NS6detail17trampoline_kernelINS0_14default_configENS1_27scan_by_key_config_selectorIxxEEZZNS1_16scan_by_key_implILNS1_25lookback_scan_determinismE0ELb1ES3_N6thrust23THRUST_200600_302600_NS6detail15normal_iteratorINS9_10device_ptrIxEEEESE_SE_xNS9_4plusIxEE19head_flag_predicatexEE10hipError_tPvRmT2_T3_T4_T5_mT6_T7_P12ihipStream_tbENKUlT_T0_E_clISt17integral_constantIbLb0EESX_IbLb1EEEEDaST_SU_EUlST_E_NS1_11comp_targetILNS1_3genE3ELNS1_11target_archE908ELNS1_3gpuE7ELNS1_3repE0EEENS1_30default_config_static_selectorELNS0_4arch9wavefront6targetE1EEEvT1_.kd
    .uniform_work_group_size: 1
    .uses_dynamic_stack: false
    .vgpr_count:     0
    .vgpr_spill_count: 0
    .wavefront_size: 64
  - .agpr_count:     0
    .args:
      - .offset:         0
        .size:           136
        .value_kind:     by_value
    .group_segment_fixed_size: 0
    .kernarg_segment_align: 8
    .kernarg_segment_size: 136
    .language:       OpenCL C
    .language_version:
      - 2
      - 0
    .max_flat_workgroup_size: 256
    .name:           _ZN7rocprim17ROCPRIM_400000_NS6detail17trampoline_kernelINS0_14default_configENS1_27scan_by_key_config_selectorIxxEEZZNS1_16scan_by_key_implILNS1_25lookback_scan_determinismE0ELb1ES3_N6thrust23THRUST_200600_302600_NS6detail15normal_iteratorINS9_10device_ptrIxEEEESE_SE_xNS9_4plusIxEE19head_flag_predicatexEE10hipError_tPvRmT2_T3_T4_T5_mT6_T7_P12ihipStream_tbENKUlT_T0_E_clISt17integral_constantIbLb0EESX_IbLb1EEEEDaST_SU_EUlST_E_NS1_11comp_targetILNS1_3genE2ELNS1_11target_archE906ELNS1_3gpuE6ELNS1_3repE0EEENS1_30default_config_static_selectorELNS0_4arch9wavefront6targetE1EEEvT1_
    .private_segment_fixed_size: 0
    .sgpr_count:     4
    .sgpr_spill_count: 0
    .symbol:         _ZN7rocprim17ROCPRIM_400000_NS6detail17trampoline_kernelINS0_14default_configENS1_27scan_by_key_config_selectorIxxEEZZNS1_16scan_by_key_implILNS1_25lookback_scan_determinismE0ELb1ES3_N6thrust23THRUST_200600_302600_NS6detail15normal_iteratorINS9_10device_ptrIxEEEESE_SE_xNS9_4plusIxEE19head_flag_predicatexEE10hipError_tPvRmT2_T3_T4_T5_mT6_T7_P12ihipStream_tbENKUlT_T0_E_clISt17integral_constantIbLb0EESX_IbLb1EEEEDaST_SU_EUlST_E_NS1_11comp_targetILNS1_3genE2ELNS1_11target_archE906ELNS1_3gpuE6ELNS1_3repE0EEENS1_30default_config_static_selectorELNS0_4arch9wavefront6targetE1EEEvT1_.kd
    .uniform_work_group_size: 1
    .uses_dynamic_stack: false
    .vgpr_count:     0
    .vgpr_spill_count: 0
    .wavefront_size: 64
  - .agpr_count:     0
    .args:
      - .offset:         0
        .size:           136
        .value_kind:     by_value
    .group_segment_fixed_size: 0
    .kernarg_segment_align: 8
    .kernarg_segment_size: 136
    .language:       OpenCL C
    .language_version:
      - 2
      - 0
    .max_flat_workgroup_size: 256
    .name:           _ZN7rocprim17ROCPRIM_400000_NS6detail17trampoline_kernelINS0_14default_configENS1_27scan_by_key_config_selectorIxxEEZZNS1_16scan_by_key_implILNS1_25lookback_scan_determinismE0ELb1ES3_N6thrust23THRUST_200600_302600_NS6detail15normal_iteratorINS9_10device_ptrIxEEEESE_SE_xNS9_4plusIxEE19head_flag_predicatexEE10hipError_tPvRmT2_T3_T4_T5_mT6_T7_P12ihipStream_tbENKUlT_T0_E_clISt17integral_constantIbLb0EESX_IbLb1EEEEDaST_SU_EUlST_E_NS1_11comp_targetILNS1_3genE10ELNS1_11target_archE1200ELNS1_3gpuE4ELNS1_3repE0EEENS1_30default_config_static_selectorELNS0_4arch9wavefront6targetE1EEEvT1_
    .private_segment_fixed_size: 0
    .sgpr_count:     4
    .sgpr_spill_count: 0
    .symbol:         _ZN7rocprim17ROCPRIM_400000_NS6detail17trampoline_kernelINS0_14default_configENS1_27scan_by_key_config_selectorIxxEEZZNS1_16scan_by_key_implILNS1_25lookback_scan_determinismE0ELb1ES3_N6thrust23THRUST_200600_302600_NS6detail15normal_iteratorINS9_10device_ptrIxEEEESE_SE_xNS9_4plusIxEE19head_flag_predicatexEE10hipError_tPvRmT2_T3_T4_T5_mT6_T7_P12ihipStream_tbENKUlT_T0_E_clISt17integral_constantIbLb0EESX_IbLb1EEEEDaST_SU_EUlST_E_NS1_11comp_targetILNS1_3genE10ELNS1_11target_archE1200ELNS1_3gpuE4ELNS1_3repE0EEENS1_30default_config_static_selectorELNS0_4arch9wavefront6targetE1EEEvT1_.kd
    .uniform_work_group_size: 1
    .uses_dynamic_stack: false
    .vgpr_count:     0
    .vgpr_spill_count: 0
    .wavefront_size: 64
  - .agpr_count:     0
    .args:
      - .offset:         0
        .size:           136
        .value_kind:     by_value
    .group_segment_fixed_size: 0
    .kernarg_segment_align: 8
    .kernarg_segment_size: 136
    .language:       OpenCL C
    .language_version:
      - 2
      - 0
    .max_flat_workgroup_size: 256
    .name:           _ZN7rocprim17ROCPRIM_400000_NS6detail17trampoline_kernelINS0_14default_configENS1_27scan_by_key_config_selectorIxxEEZZNS1_16scan_by_key_implILNS1_25lookback_scan_determinismE0ELb1ES3_N6thrust23THRUST_200600_302600_NS6detail15normal_iteratorINS9_10device_ptrIxEEEESE_SE_xNS9_4plusIxEE19head_flag_predicatexEE10hipError_tPvRmT2_T3_T4_T5_mT6_T7_P12ihipStream_tbENKUlT_T0_E_clISt17integral_constantIbLb0EESX_IbLb1EEEEDaST_SU_EUlST_E_NS1_11comp_targetILNS1_3genE9ELNS1_11target_archE1100ELNS1_3gpuE3ELNS1_3repE0EEENS1_30default_config_static_selectorELNS0_4arch9wavefront6targetE1EEEvT1_
    .private_segment_fixed_size: 0
    .sgpr_count:     4
    .sgpr_spill_count: 0
    .symbol:         _ZN7rocprim17ROCPRIM_400000_NS6detail17trampoline_kernelINS0_14default_configENS1_27scan_by_key_config_selectorIxxEEZZNS1_16scan_by_key_implILNS1_25lookback_scan_determinismE0ELb1ES3_N6thrust23THRUST_200600_302600_NS6detail15normal_iteratorINS9_10device_ptrIxEEEESE_SE_xNS9_4plusIxEE19head_flag_predicatexEE10hipError_tPvRmT2_T3_T4_T5_mT6_T7_P12ihipStream_tbENKUlT_T0_E_clISt17integral_constantIbLb0EESX_IbLb1EEEEDaST_SU_EUlST_E_NS1_11comp_targetILNS1_3genE9ELNS1_11target_archE1100ELNS1_3gpuE3ELNS1_3repE0EEENS1_30default_config_static_selectorELNS0_4arch9wavefront6targetE1EEEvT1_.kd
    .uniform_work_group_size: 1
    .uses_dynamic_stack: false
    .vgpr_count:     0
    .vgpr_spill_count: 0
    .wavefront_size: 64
  - .agpr_count:     0
    .args:
      - .offset:         0
        .size:           136
        .value_kind:     by_value
    .group_segment_fixed_size: 0
    .kernarg_segment_align: 8
    .kernarg_segment_size: 136
    .language:       OpenCL C
    .language_version:
      - 2
      - 0
    .max_flat_workgroup_size: 256
    .name:           _ZN7rocprim17ROCPRIM_400000_NS6detail17trampoline_kernelINS0_14default_configENS1_27scan_by_key_config_selectorIxxEEZZNS1_16scan_by_key_implILNS1_25lookback_scan_determinismE0ELb1ES3_N6thrust23THRUST_200600_302600_NS6detail15normal_iteratorINS9_10device_ptrIxEEEESE_SE_xNS9_4plusIxEE19head_flag_predicatexEE10hipError_tPvRmT2_T3_T4_T5_mT6_T7_P12ihipStream_tbENKUlT_T0_E_clISt17integral_constantIbLb0EESX_IbLb1EEEEDaST_SU_EUlST_E_NS1_11comp_targetILNS1_3genE8ELNS1_11target_archE1030ELNS1_3gpuE2ELNS1_3repE0EEENS1_30default_config_static_selectorELNS0_4arch9wavefront6targetE1EEEvT1_
    .private_segment_fixed_size: 0
    .sgpr_count:     4
    .sgpr_spill_count: 0
    .symbol:         _ZN7rocprim17ROCPRIM_400000_NS6detail17trampoline_kernelINS0_14default_configENS1_27scan_by_key_config_selectorIxxEEZZNS1_16scan_by_key_implILNS1_25lookback_scan_determinismE0ELb1ES3_N6thrust23THRUST_200600_302600_NS6detail15normal_iteratorINS9_10device_ptrIxEEEESE_SE_xNS9_4plusIxEE19head_flag_predicatexEE10hipError_tPvRmT2_T3_T4_T5_mT6_T7_P12ihipStream_tbENKUlT_T0_E_clISt17integral_constantIbLb0EESX_IbLb1EEEEDaST_SU_EUlST_E_NS1_11comp_targetILNS1_3genE8ELNS1_11target_archE1030ELNS1_3gpuE2ELNS1_3repE0EEENS1_30default_config_static_selectorELNS0_4arch9wavefront6targetE1EEEvT1_.kd
    .uniform_work_group_size: 1
    .uses_dynamic_stack: false
    .vgpr_count:     0
    .vgpr_spill_count: 0
    .wavefront_size: 64
  - .agpr_count:     0
    .args:
      - .offset:         0
        .size:           112
        .value_kind:     by_value
    .group_segment_fixed_size: 0
    .kernarg_segment_align: 8
    .kernarg_segment_size: 112
    .language:       OpenCL C
    .language_version:
      - 2
      - 0
    .max_flat_workgroup_size: 256
    .name:           _ZN7rocprim17ROCPRIM_400000_NS6detail17trampoline_kernelINS0_14default_configENS1_27scan_by_key_config_selectorIiiEEZZNS1_16scan_by_key_implILNS1_25lookback_scan_determinismE0ELb0ES3_N6thrust23THRUST_200600_302600_NS6detail15normal_iteratorINS9_10device_ptrIiEEEESE_SE_iNS9_4plusIiEE19head_flag_predicateiEE10hipError_tPvRmT2_T3_T4_T5_mT6_T7_P12ihipStream_tbENKUlT_T0_E_clISt17integral_constantIbLb0EESY_EEDaST_SU_EUlST_E_NS1_11comp_targetILNS1_3genE0ELNS1_11target_archE4294967295ELNS1_3gpuE0ELNS1_3repE0EEENS1_30default_config_static_selectorELNS0_4arch9wavefront6targetE1EEEvT1_
    .private_segment_fixed_size: 0
    .sgpr_count:     4
    .sgpr_spill_count: 0
    .symbol:         _ZN7rocprim17ROCPRIM_400000_NS6detail17trampoline_kernelINS0_14default_configENS1_27scan_by_key_config_selectorIiiEEZZNS1_16scan_by_key_implILNS1_25lookback_scan_determinismE0ELb0ES3_N6thrust23THRUST_200600_302600_NS6detail15normal_iteratorINS9_10device_ptrIiEEEESE_SE_iNS9_4plusIiEE19head_flag_predicateiEE10hipError_tPvRmT2_T3_T4_T5_mT6_T7_P12ihipStream_tbENKUlT_T0_E_clISt17integral_constantIbLb0EESY_EEDaST_SU_EUlST_E_NS1_11comp_targetILNS1_3genE0ELNS1_11target_archE4294967295ELNS1_3gpuE0ELNS1_3repE0EEENS1_30default_config_static_selectorELNS0_4arch9wavefront6targetE1EEEvT1_.kd
    .uniform_work_group_size: 1
    .uses_dynamic_stack: false
    .vgpr_count:     0
    .vgpr_spill_count: 0
    .wavefront_size: 64
  - .agpr_count:     0
    .args:
      - .offset:         0
        .size:           112
        .value_kind:     by_value
    .group_segment_fixed_size: 0
    .kernarg_segment_align: 8
    .kernarg_segment_size: 112
    .language:       OpenCL C
    .language_version:
      - 2
      - 0
    .max_flat_workgroup_size: 256
    .name:           _ZN7rocprim17ROCPRIM_400000_NS6detail17trampoline_kernelINS0_14default_configENS1_27scan_by_key_config_selectorIiiEEZZNS1_16scan_by_key_implILNS1_25lookback_scan_determinismE0ELb0ES3_N6thrust23THRUST_200600_302600_NS6detail15normal_iteratorINS9_10device_ptrIiEEEESE_SE_iNS9_4plusIiEE19head_flag_predicateiEE10hipError_tPvRmT2_T3_T4_T5_mT6_T7_P12ihipStream_tbENKUlT_T0_E_clISt17integral_constantIbLb0EESY_EEDaST_SU_EUlST_E_NS1_11comp_targetILNS1_3genE10ELNS1_11target_archE1201ELNS1_3gpuE5ELNS1_3repE0EEENS1_30default_config_static_selectorELNS0_4arch9wavefront6targetE1EEEvT1_
    .private_segment_fixed_size: 0
    .sgpr_count:     4
    .sgpr_spill_count: 0
    .symbol:         _ZN7rocprim17ROCPRIM_400000_NS6detail17trampoline_kernelINS0_14default_configENS1_27scan_by_key_config_selectorIiiEEZZNS1_16scan_by_key_implILNS1_25lookback_scan_determinismE0ELb0ES3_N6thrust23THRUST_200600_302600_NS6detail15normal_iteratorINS9_10device_ptrIiEEEESE_SE_iNS9_4plusIiEE19head_flag_predicateiEE10hipError_tPvRmT2_T3_T4_T5_mT6_T7_P12ihipStream_tbENKUlT_T0_E_clISt17integral_constantIbLb0EESY_EEDaST_SU_EUlST_E_NS1_11comp_targetILNS1_3genE10ELNS1_11target_archE1201ELNS1_3gpuE5ELNS1_3repE0EEENS1_30default_config_static_selectorELNS0_4arch9wavefront6targetE1EEEvT1_.kd
    .uniform_work_group_size: 1
    .uses_dynamic_stack: false
    .vgpr_count:     0
    .vgpr_spill_count: 0
    .wavefront_size: 64
  - .agpr_count:     0
    .args:
      - .offset:         0
        .size:           112
        .value_kind:     by_value
    .group_segment_fixed_size: 0
    .kernarg_segment_align: 8
    .kernarg_segment_size: 112
    .language:       OpenCL C
    .language_version:
      - 2
      - 0
    .max_flat_workgroup_size: 256
    .name:           _ZN7rocprim17ROCPRIM_400000_NS6detail17trampoline_kernelINS0_14default_configENS1_27scan_by_key_config_selectorIiiEEZZNS1_16scan_by_key_implILNS1_25lookback_scan_determinismE0ELb0ES3_N6thrust23THRUST_200600_302600_NS6detail15normal_iteratorINS9_10device_ptrIiEEEESE_SE_iNS9_4plusIiEE19head_flag_predicateiEE10hipError_tPvRmT2_T3_T4_T5_mT6_T7_P12ihipStream_tbENKUlT_T0_E_clISt17integral_constantIbLb0EESY_EEDaST_SU_EUlST_E_NS1_11comp_targetILNS1_3genE5ELNS1_11target_archE942ELNS1_3gpuE9ELNS1_3repE0EEENS1_30default_config_static_selectorELNS0_4arch9wavefront6targetE1EEEvT1_
    .private_segment_fixed_size: 0
    .sgpr_count:     4
    .sgpr_spill_count: 0
    .symbol:         _ZN7rocprim17ROCPRIM_400000_NS6detail17trampoline_kernelINS0_14default_configENS1_27scan_by_key_config_selectorIiiEEZZNS1_16scan_by_key_implILNS1_25lookback_scan_determinismE0ELb0ES3_N6thrust23THRUST_200600_302600_NS6detail15normal_iteratorINS9_10device_ptrIiEEEESE_SE_iNS9_4plusIiEE19head_flag_predicateiEE10hipError_tPvRmT2_T3_T4_T5_mT6_T7_P12ihipStream_tbENKUlT_T0_E_clISt17integral_constantIbLb0EESY_EEDaST_SU_EUlST_E_NS1_11comp_targetILNS1_3genE5ELNS1_11target_archE942ELNS1_3gpuE9ELNS1_3repE0EEENS1_30default_config_static_selectorELNS0_4arch9wavefront6targetE1EEEvT1_.kd
    .uniform_work_group_size: 1
    .uses_dynamic_stack: false
    .vgpr_count:     0
    .vgpr_spill_count: 0
    .wavefront_size: 64
  - .agpr_count:     0
    .args:
      - .offset:         0
        .size:           112
        .value_kind:     by_value
    .group_segment_fixed_size: 16384
    .kernarg_segment_align: 8
    .kernarg_segment_size: 112
    .language:       OpenCL C
    .language_version:
      - 2
      - 0
    .max_flat_workgroup_size: 256
    .name:           _ZN7rocprim17ROCPRIM_400000_NS6detail17trampoline_kernelINS0_14default_configENS1_27scan_by_key_config_selectorIiiEEZZNS1_16scan_by_key_implILNS1_25lookback_scan_determinismE0ELb0ES3_N6thrust23THRUST_200600_302600_NS6detail15normal_iteratorINS9_10device_ptrIiEEEESE_SE_iNS9_4plusIiEE19head_flag_predicateiEE10hipError_tPvRmT2_T3_T4_T5_mT6_T7_P12ihipStream_tbENKUlT_T0_E_clISt17integral_constantIbLb0EESY_EEDaST_SU_EUlST_E_NS1_11comp_targetILNS1_3genE4ELNS1_11target_archE910ELNS1_3gpuE8ELNS1_3repE0EEENS1_30default_config_static_selectorELNS0_4arch9wavefront6targetE1EEEvT1_
    .private_segment_fixed_size: 0
    .sgpr_count:     64
    .sgpr_spill_count: 0
    .symbol:         _ZN7rocprim17ROCPRIM_400000_NS6detail17trampoline_kernelINS0_14default_configENS1_27scan_by_key_config_selectorIiiEEZZNS1_16scan_by_key_implILNS1_25lookback_scan_determinismE0ELb0ES3_N6thrust23THRUST_200600_302600_NS6detail15normal_iteratorINS9_10device_ptrIiEEEESE_SE_iNS9_4plusIiEE19head_flag_predicateiEE10hipError_tPvRmT2_T3_T4_T5_mT6_T7_P12ihipStream_tbENKUlT_T0_E_clISt17integral_constantIbLb0EESY_EEDaST_SU_EUlST_E_NS1_11comp_targetILNS1_3genE4ELNS1_11target_archE910ELNS1_3gpuE8ELNS1_3repE0EEENS1_30default_config_static_selectorELNS0_4arch9wavefront6targetE1EEEvT1_.kd
    .uniform_work_group_size: 1
    .uses_dynamic_stack: false
    .vgpr_count:     65
    .vgpr_spill_count: 0
    .wavefront_size: 64
  - .agpr_count:     0
    .args:
      - .offset:         0
        .size:           112
        .value_kind:     by_value
    .group_segment_fixed_size: 0
    .kernarg_segment_align: 8
    .kernarg_segment_size: 112
    .language:       OpenCL C
    .language_version:
      - 2
      - 0
    .max_flat_workgroup_size: 256
    .name:           _ZN7rocprim17ROCPRIM_400000_NS6detail17trampoline_kernelINS0_14default_configENS1_27scan_by_key_config_selectorIiiEEZZNS1_16scan_by_key_implILNS1_25lookback_scan_determinismE0ELb0ES3_N6thrust23THRUST_200600_302600_NS6detail15normal_iteratorINS9_10device_ptrIiEEEESE_SE_iNS9_4plusIiEE19head_flag_predicateiEE10hipError_tPvRmT2_T3_T4_T5_mT6_T7_P12ihipStream_tbENKUlT_T0_E_clISt17integral_constantIbLb0EESY_EEDaST_SU_EUlST_E_NS1_11comp_targetILNS1_3genE3ELNS1_11target_archE908ELNS1_3gpuE7ELNS1_3repE0EEENS1_30default_config_static_selectorELNS0_4arch9wavefront6targetE1EEEvT1_
    .private_segment_fixed_size: 0
    .sgpr_count:     4
    .sgpr_spill_count: 0
    .symbol:         _ZN7rocprim17ROCPRIM_400000_NS6detail17trampoline_kernelINS0_14default_configENS1_27scan_by_key_config_selectorIiiEEZZNS1_16scan_by_key_implILNS1_25lookback_scan_determinismE0ELb0ES3_N6thrust23THRUST_200600_302600_NS6detail15normal_iteratorINS9_10device_ptrIiEEEESE_SE_iNS9_4plusIiEE19head_flag_predicateiEE10hipError_tPvRmT2_T3_T4_T5_mT6_T7_P12ihipStream_tbENKUlT_T0_E_clISt17integral_constantIbLb0EESY_EEDaST_SU_EUlST_E_NS1_11comp_targetILNS1_3genE3ELNS1_11target_archE908ELNS1_3gpuE7ELNS1_3repE0EEENS1_30default_config_static_selectorELNS0_4arch9wavefront6targetE1EEEvT1_.kd
    .uniform_work_group_size: 1
    .uses_dynamic_stack: false
    .vgpr_count:     0
    .vgpr_spill_count: 0
    .wavefront_size: 64
  - .agpr_count:     0
    .args:
      - .offset:         0
        .size:           112
        .value_kind:     by_value
    .group_segment_fixed_size: 0
    .kernarg_segment_align: 8
    .kernarg_segment_size: 112
    .language:       OpenCL C
    .language_version:
      - 2
      - 0
    .max_flat_workgroup_size: 256
    .name:           _ZN7rocprim17ROCPRIM_400000_NS6detail17trampoline_kernelINS0_14default_configENS1_27scan_by_key_config_selectorIiiEEZZNS1_16scan_by_key_implILNS1_25lookback_scan_determinismE0ELb0ES3_N6thrust23THRUST_200600_302600_NS6detail15normal_iteratorINS9_10device_ptrIiEEEESE_SE_iNS9_4plusIiEE19head_flag_predicateiEE10hipError_tPvRmT2_T3_T4_T5_mT6_T7_P12ihipStream_tbENKUlT_T0_E_clISt17integral_constantIbLb0EESY_EEDaST_SU_EUlST_E_NS1_11comp_targetILNS1_3genE2ELNS1_11target_archE906ELNS1_3gpuE6ELNS1_3repE0EEENS1_30default_config_static_selectorELNS0_4arch9wavefront6targetE1EEEvT1_
    .private_segment_fixed_size: 0
    .sgpr_count:     4
    .sgpr_spill_count: 0
    .symbol:         _ZN7rocprim17ROCPRIM_400000_NS6detail17trampoline_kernelINS0_14default_configENS1_27scan_by_key_config_selectorIiiEEZZNS1_16scan_by_key_implILNS1_25lookback_scan_determinismE0ELb0ES3_N6thrust23THRUST_200600_302600_NS6detail15normal_iteratorINS9_10device_ptrIiEEEESE_SE_iNS9_4plusIiEE19head_flag_predicateiEE10hipError_tPvRmT2_T3_T4_T5_mT6_T7_P12ihipStream_tbENKUlT_T0_E_clISt17integral_constantIbLb0EESY_EEDaST_SU_EUlST_E_NS1_11comp_targetILNS1_3genE2ELNS1_11target_archE906ELNS1_3gpuE6ELNS1_3repE0EEENS1_30default_config_static_selectorELNS0_4arch9wavefront6targetE1EEEvT1_.kd
    .uniform_work_group_size: 1
    .uses_dynamic_stack: false
    .vgpr_count:     0
    .vgpr_spill_count: 0
    .wavefront_size: 64
  - .agpr_count:     0
    .args:
      - .offset:         0
        .size:           112
        .value_kind:     by_value
    .group_segment_fixed_size: 0
    .kernarg_segment_align: 8
    .kernarg_segment_size: 112
    .language:       OpenCL C
    .language_version:
      - 2
      - 0
    .max_flat_workgroup_size: 256
    .name:           _ZN7rocprim17ROCPRIM_400000_NS6detail17trampoline_kernelINS0_14default_configENS1_27scan_by_key_config_selectorIiiEEZZNS1_16scan_by_key_implILNS1_25lookback_scan_determinismE0ELb0ES3_N6thrust23THRUST_200600_302600_NS6detail15normal_iteratorINS9_10device_ptrIiEEEESE_SE_iNS9_4plusIiEE19head_flag_predicateiEE10hipError_tPvRmT2_T3_T4_T5_mT6_T7_P12ihipStream_tbENKUlT_T0_E_clISt17integral_constantIbLb0EESY_EEDaST_SU_EUlST_E_NS1_11comp_targetILNS1_3genE10ELNS1_11target_archE1200ELNS1_3gpuE4ELNS1_3repE0EEENS1_30default_config_static_selectorELNS0_4arch9wavefront6targetE1EEEvT1_
    .private_segment_fixed_size: 0
    .sgpr_count:     4
    .sgpr_spill_count: 0
    .symbol:         _ZN7rocprim17ROCPRIM_400000_NS6detail17trampoline_kernelINS0_14default_configENS1_27scan_by_key_config_selectorIiiEEZZNS1_16scan_by_key_implILNS1_25lookback_scan_determinismE0ELb0ES3_N6thrust23THRUST_200600_302600_NS6detail15normal_iteratorINS9_10device_ptrIiEEEESE_SE_iNS9_4plusIiEE19head_flag_predicateiEE10hipError_tPvRmT2_T3_T4_T5_mT6_T7_P12ihipStream_tbENKUlT_T0_E_clISt17integral_constantIbLb0EESY_EEDaST_SU_EUlST_E_NS1_11comp_targetILNS1_3genE10ELNS1_11target_archE1200ELNS1_3gpuE4ELNS1_3repE0EEENS1_30default_config_static_selectorELNS0_4arch9wavefront6targetE1EEEvT1_.kd
    .uniform_work_group_size: 1
    .uses_dynamic_stack: false
    .vgpr_count:     0
    .vgpr_spill_count: 0
    .wavefront_size: 64
  - .agpr_count:     0
    .args:
      - .offset:         0
        .size:           112
        .value_kind:     by_value
    .group_segment_fixed_size: 0
    .kernarg_segment_align: 8
    .kernarg_segment_size: 112
    .language:       OpenCL C
    .language_version:
      - 2
      - 0
    .max_flat_workgroup_size: 256
    .name:           _ZN7rocprim17ROCPRIM_400000_NS6detail17trampoline_kernelINS0_14default_configENS1_27scan_by_key_config_selectorIiiEEZZNS1_16scan_by_key_implILNS1_25lookback_scan_determinismE0ELb0ES3_N6thrust23THRUST_200600_302600_NS6detail15normal_iteratorINS9_10device_ptrIiEEEESE_SE_iNS9_4plusIiEE19head_flag_predicateiEE10hipError_tPvRmT2_T3_T4_T5_mT6_T7_P12ihipStream_tbENKUlT_T0_E_clISt17integral_constantIbLb0EESY_EEDaST_SU_EUlST_E_NS1_11comp_targetILNS1_3genE9ELNS1_11target_archE1100ELNS1_3gpuE3ELNS1_3repE0EEENS1_30default_config_static_selectorELNS0_4arch9wavefront6targetE1EEEvT1_
    .private_segment_fixed_size: 0
    .sgpr_count:     4
    .sgpr_spill_count: 0
    .symbol:         _ZN7rocprim17ROCPRIM_400000_NS6detail17trampoline_kernelINS0_14default_configENS1_27scan_by_key_config_selectorIiiEEZZNS1_16scan_by_key_implILNS1_25lookback_scan_determinismE0ELb0ES3_N6thrust23THRUST_200600_302600_NS6detail15normal_iteratorINS9_10device_ptrIiEEEESE_SE_iNS9_4plusIiEE19head_flag_predicateiEE10hipError_tPvRmT2_T3_T4_T5_mT6_T7_P12ihipStream_tbENKUlT_T0_E_clISt17integral_constantIbLb0EESY_EEDaST_SU_EUlST_E_NS1_11comp_targetILNS1_3genE9ELNS1_11target_archE1100ELNS1_3gpuE3ELNS1_3repE0EEENS1_30default_config_static_selectorELNS0_4arch9wavefront6targetE1EEEvT1_.kd
    .uniform_work_group_size: 1
    .uses_dynamic_stack: false
    .vgpr_count:     0
    .vgpr_spill_count: 0
    .wavefront_size: 64
  - .agpr_count:     0
    .args:
      - .offset:         0
        .size:           112
        .value_kind:     by_value
    .group_segment_fixed_size: 0
    .kernarg_segment_align: 8
    .kernarg_segment_size: 112
    .language:       OpenCL C
    .language_version:
      - 2
      - 0
    .max_flat_workgroup_size: 256
    .name:           _ZN7rocprim17ROCPRIM_400000_NS6detail17trampoline_kernelINS0_14default_configENS1_27scan_by_key_config_selectorIiiEEZZNS1_16scan_by_key_implILNS1_25lookback_scan_determinismE0ELb0ES3_N6thrust23THRUST_200600_302600_NS6detail15normal_iteratorINS9_10device_ptrIiEEEESE_SE_iNS9_4plusIiEE19head_flag_predicateiEE10hipError_tPvRmT2_T3_T4_T5_mT6_T7_P12ihipStream_tbENKUlT_T0_E_clISt17integral_constantIbLb0EESY_EEDaST_SU_EUlST_E_NS1_11comp_targetILNS1_3genE8ELNS1_11target_archE1030ELNS1_3gpuE2ELNS1_3repE0EEENS1_30default_config_static_selectorELNS0_4arch9wavefront6targetE1EEEvT1_
    .private_segment_fixed_size: 0
    .sgpr_count:     4
    .sgpr_spill_count: 0
    .symbol:         _ZN7rocprim17ROCPRIM_400000_NS6detail17trampoline_kernelINS0_14default_configENS1_27scan_by_key_config_selectorIiiEEZZNS1_16scan_by_key_implILNS1_25lookback_scan_determinismE0ELb0ES3_N6thrust23THRUST_200600_302600_NS6detail15normal_iteratorINS9_10device_ptrIiEEEESE_SE_iNS9_4plusIiEE19head_flag_predicateiEE10hipError_tPvRmT2_T3_T4_T5_mT6_T7_P12ihipStream_tbENKUlT_T0_E_clISt17integral_constantIbLb0EESY_EEDaST_SU_EUlST_E_NS1_11comp_targetILNS1_3genE8ELNS1_11target_archE1030ELNS1_3gpuE2ELNS1_3repE0EEENS1_30default_config_static_selectorELNS0_4arch9wavefront6targetE1EEEvT1_.kd
    .uniform_work_group_size: 1
    .uses_dynamic_stack: false
    .vgpr_count:     0
    .vgpr_spill_count: 0
    .wavefront_size: 64
  - .agpr_count:     0
    .args:
      - .offset:         0
        .size:           112
        .value_kind:     by_value
    .group_segment_fixed_size: 0
    .kernarg_segment_align: 8
    .kernarg_segment_size: 112
    .language:       OpenCL C
    .language_version:
      - 2
      - 0
    .max_flat_workgroup_size: 256
    .name:           _ZN7rocprim17ROCPRIM_400000_NS6detail17trampoline_kernelINS0_14default_configENS1_27scan_by_key_config_selectorIiiEEZZNS1_16scan_by_key_implILNS1_25lookback_scan_determinismE0ELb0ES3_N6thrust23THRUST_200600_302600_NS6detail15normal_iteratorINS9_10device_ptrIiEEEESE_SE_iNS9_4plusIiEE19head_flag_predicateiEE10hipError_tPvRmT2_T3_T4_T5_mT6_T7_P12ihipStream_tbENKUlT_T0_E_clISt17integral_constantIbLb1EESY_EEDaST_SU_EUlST_E_NS1_11comp_targetILNS1_3genE0ELNS1_11target_archE4294967295ELNS1_3gpuE0ELNS1_3repE0EEENS1_30default_config_static_selectorELNS0_4arch9wavefront6targetE1EEEvT1_
    .private_segment_fixed_size: 0
    .sgpr_count:     4
    .sgpr_spill_count: 0
    .symbol:         _ZN7rocprim17ROCPRIM_400000_NS6detail17trampoline_kernelINS0_14default_configENS1_27scan_by_key_config_selectorIiiEEZZNS1_16scan_by_key_implILNS1_25lookback_scan_determinismE0ELb0ES3_N6thrust23THRUST_200600_302600_NS6detail15normal_iteratorINS9_10device_ptrIiEEEESE_SE_iNS9_4plusIiEE19head_flag_predicateiEE10hipError_tPvRmT2_T3_T4_T5_mT6_T7_P12ihipStream_tbENKUlT_T0_E_clISt17integral_constantIbLb1EESY_EEDaST_SU_EUlST_E_NS1_11comp_targetILNS1_3genE0ELNS1_11target_archE4294967295ELNS1_3gpuE0ELNS1_3repE0EEENS1_30default_config_static_selectorELNS0_4arch9wavefront6targetE1EEEvT1_.kd
    .uniform_work_group_size: 1
    .uses_dynamic_stack: false
    .vgpr_count:     0
    .vgpr_spill_count: 0
    .wavefront_size: 64
  - .agpr_count:     0
    .args:
      - .offset:         0
        .size:           112
        .value_kind:     by_value
    .group_segment_fixed_size: 0
    .kernarg_segment_align: 8
    .kernarg_segment_size: 112
    .language:       OpenCL C
    .language_version:
      - 2
      - 0
    .max_flat_workgroup_size: 256
    .name:           _ZN7rocprim17ROCPRIM_400000_NS6detail17trampoline_kernelINS0_14default_configENS1_27scan_by_key_config_selectorIiiEEZZNS1_16scan_by_key_implILNS1_25lookback_scan_determinismE0ELb0ES3_N6thrust23THRUST_200600_302600_NS6detail15normal_iteratorINS9_10device_ptrIiEEEESE_SE_iNS9_4plusIiEE19head_flag_predicateiEE10hipError_tPvRmT2_T3_T4_T5_mT6_T7_P12ihipStream_tbENKUlT_T0_E_clISt17integral_constantIbLb1EESY_EEDaST_SU_EUlST_E_NS1_11comp_targetILNS1_3genE10ELNS1_11target_archE1201ELNS1_3gpuE5ELNS1_3repE0EEENS1_30default_config_static_selectorELNS0_4arch9wavefront6targetE1EEEvT1_
    .private_segment_fixed_size: 0
    .sgpr_count:     4
    .sgpr_spill_count: 0
    .symbol:         _ZN7rocprim17ROCPRIM_400000_NS6detail17trampoline_kernelINS0_14default_configENS1_27scan_by_key_config_selectorIiiEEZZNS1_16scan_by_key_implILNS1_25lookback_scan_determinismE0ELb0ES3_N6thrust23THRUST_200600_302600_NS6detail15normal_iteratorINS9_10device_ptrIiEEEESE_SE_iNS9_4plusIiEE19head_flag_predicateiEE10hipError_tPvRmT2_T3_T4_T5_mT6_T7_P12ihipStream_tbENKUlT_T0_E_clISt17integral_constantIbLb1EESY_EEDaST_SU_EUlST_E_NS1_11comp_targetILNS1_3genE10ELNS1_11target_archE1201ELNS1_3gpuE5ELNS1_3repE0EEENS1_30default_config_static_selectorELNS0_4arch9wavefront6targetE1EEEvT1_.kd
    .uniform_work_group_size: 1
    .uses_dynamic_stack: false
    .vgpr_count:     0
    .vgpr_spill_count: 0
    .wavefront_size: 64
  - .agpr_count:     0
    .args:
      - .offset:         0
        .size:           112
        .value_kind:     by_value
    .group_segment_fixed_size: 0
    .kernarg_segment_align: 8
    .kernarg_segment_size: 112
    .language:       OpenCL C
    .language_version:
      - 2
      - 0
    .max_flat_workgroup_size: 256
    .name:           _ZN7rocprim17ROCPRIM_400000_NS6detail17trampoline_kernelINS0_14default_configENS1_27scan_by_key_config_selectorIiiEEZZNS1_16scan_by_key_implILNS1_25lookback_scan_determinismE0ELb0ES3_N6thrust23THRUST_200600_302600_NS6detail15normal_iteratorINS9_10device_ptrIiEEEESE_SE_iNS9_4plusIiEE19head_flag_predicateiEE10hipError_tPvRmT2_T3_T4_T5_mT6_T7_P12ihipStream_tbENKUlT_T0_E_clISt17integral_constantIbLb1EESY_EEDaST_SU_EUlST_E_NS1_11comp_targetILNS1_3genE5ELNS1_11target_archE942ELNS1_3gpuE9ELNS1_3repE0EEENS1_30default_config_static_selectorELNS0_4arch9wavefront6targetE1EEEvT1_
    .private_segment_fixed_size: 0
    .sgpr_count:     4
    .sgpr_spill_count: 0
    .symbol:         _ZN7rocprim17ROCPRIM_400000_NS6detail17trampoline_kernelINS0_14default_configENS1_27scan_by_key_config_selectorIiiEEZZNS1_16scan_by_key_implILNS1_25lookback_scan_determinismE0ELb0ES3_N6thrust23THRUST_200600_302600_NS6detail15normal_iteratorINS9_10device_ptrIiEEEESE_SE_iNS9_4plusIiEE19head_flag_predicateiEE10hipError_tPvRmT2_T3_T4_T5_mT6_T7_P12ihipStream_tbENKUlT_T0_E_clISt17integral_constantIbLb1EESY_EEDaST_SU_EUlST_E_NS1_11comp_targetILNS1_3genE5ELNS1_11target_archE942ELNS1_3gpuE9ELNS1_3repE0EEENS1_30default_config_static_selectorELNS0_4arch9wavefront6targetE1EEEvT1_.kd
    .uniform_work_group_size: 1
    .uses_dynamic_stack: false
    .vgpr_count:     0
    .vgpr_spill_count: 0
    .wavefront_size: 64
  - .agpr_count:     0
    .args:
      - .offset:         0
        .size:           112
        .value_kind:     by_value
    .group_segment_fixed_size: 16384
    .kernarg_segment_align: 8
    .kernarg_segment_size: 112
    .language:       OpenCL C
    .language_version:
      - 2
      - 0
    .max_flat_workgroup_size: 256
    .name:           _ZN7rocprim17ROCPRIM_400000_NS6detail17trampoline_kernelINS0_14default_configENS1_27scan_by_key_config_selectorIiiEEZZNS1_16scan_by_key_implILNS1_25lookback_scan_determinismE0ELb0ES3_N6thrust23THRUST_200600_302600_NS6detail15normal_iteratorINS9_10device_ptrIiEEEESE_SE_iNS9_4plusIiEE19head_flag_predicateiEE10hipError_tPvRmT2_T3_T4_T5_mT6_T7_P12ihipStream_tbENKUlT_T0_E_clISt17integral_constantIbLb1EESY_EEDaST_SU_EUlST_E_NS1_11comp_targetILNS1_3genE4ELNS1_11target_archE910ELNS1_3gpuE8ELNS1_3repE0EEENS1_30default_config_static_selectorELNS0_4arch9wavefront6targetE1EEEvT1_
    .private_segment_fixed_size: 0
    .sgpr_count:     68
    .sgpr_spill_count: 0
    .symbol:         _ZN7rocprim17ROCPRIM_400000_NS6detail17trampoline_kernelINS0_14default_configENS1_27scan_by_key_config_selectorIiiEEZZNS1_16scan_by_key_implILNS1_25lookback_scan_determinismE0ELb0ES3_N6thrust23THRUST_200600_302600_NS6detail15normal_iteratorINS9_10device_ptrIiEEEESE_SE_iNS9_4plusIiEE19head_flag_predicateiEE10hipError_tPvRmT2_T3_T4_T5_mT6_T7_P12ihipStream_tbENKUlT_T0_E_clISt17integral_constantIbLb1EESY_EEDaST_SU_EUlST_E_NS1_11comp_targetILNS1_3genE4ELNS1_11target_archE910ELNS1_3gpuE8ELNS1_3repE0EEENS1_30default_config_static_selectorELNS0_4arch9wavefront6targetE1EEEvT1_.kd
    .uniform_work_group_size: 1
    .uses_dynamic_stack: false
    .vgpr_count:     65
    .vgpr_spill_count: 0
    .wavefront_size: 64
  - .agpr_count:     0
    .args:
      - .offset:         0
        .size:           112
        .value_kind:     by_value
    .group_segment_fixed_size: 0
    .kernarg_segment_align: 8
    .kernarg_segment_size: 112
    .language:       OpenCL C
    .language_version:
      - 2
      - 0
    .max_flat_workgroup_size: 256
    .name:           _ZN7rocprim17ROCPRIM_400000_NS6detail17trampoline_kernelINS0_14default_configENS1_27scan_by_key_config_selectorIiiEEZZNS1_16scan_by_key_implILNS1_25lookback_scan_determinismE0ELb0ES3_N6thrust23THRUST_200600_302600_NS6detail15normal_iteratorINS9_10device_ptrIiEEEESE_SE_iNS9_4plusIiEE19head_flag_predicateiEE10hipError_tPvRmT2_T3_T4_T5_mT6_T7_P12ihipStream_tbENKUlT_T0_E_clISt17integral_constantIbLb1EESY_EEDaST_SU_EUlST_E_NS1_11comp_targetILNS1_3genE3ELNS1_11target_archE908ELNS1_3gpuE7ELNS1_3repE0EEENS1_30default_config_static_selectorELNS0_4arch9wavefront6targetE1EEEvT1_
    .private_segment_fixed_size: 0
    .sgpr_count:     4
    .sgpr_spill_count: 0
    .symbol:         _ZN7rocprim17ROCPRIM_400000_NS6detail17trampoline_kernelINS0_14default_configENS1_27scan_by_key_config_selectorIiiEEZZNS1_16scan_by_key_implILNS1_25lookback_scan_determinismE0ELb0ES3_N6thrust23THRUST_200600_302600_NS6detail15normal_iteratorINS9_10device_ptrIiEEEESE_SE_iNS9_4plusIiEE19head_flag_predicateiEE10hipError_tPvRmT2_T3_T4_T5_mT6_T7_P12ihipStream_tbENKUlT_T0_E_clISt17integral_constantIbLb1EESY_EEDaST_SU_EUlST_E_NS1_11comp_targetILNS1_3genE3ELNS1_11target_archE908ELNS1_3gpuE7ELNS1_3repE0EEENS1_30default_config_static_selectorELNS0_4arch9wavefront6targetE1EEEvT1_.kd
    .uniform_work_group_size: 1
    .uses_dynamic_stack: false
    .vgpr_count:     0
    .vgpr_spill_count: 0
    .wavefront_size: 64
  - .agpr_count:     0
    .args:
      - .offset:         0
        .size:           112
        .value_kind:     by_value
    .group_segment_fixed_size: 0
    .kernarg_segment_align: 8
    .kernarg_segment_size: 112
    .language:       OpenCL C
    .language_version:
      - 2
      - 0
    .max_flat_workgroup_size: 256
    .name:           _ZN7rocprim17ROCPRIM_400000_NS6detail17trampoline_kernelINS0_14default_configENS1_27scan_by_key_config_selectorIiiEEZZNS1_16scan_by_key_implILNS1_25lookback_scan_determinismE0ELb0ES3_N6thrust23THRUST_200600_302600_NS6detail15normal_iteratorINS9_10device_ptrIiEEEESE_SE_iNS9_4plusIiEE19head_flag_predicateiEE10hipError_tPvRmT2_T3_T4_T5_mT6_T7_P12ihipStream_tbENKUlT_T0_E_clISt17integral_constantIbLb1EESY_EEDaST_SU_EUlST_E_NS1_11comp_targetILNS1_3genE2ELNS1_11target_archE906ELNS1_3gpuE6ELNS1_3repE0EEENS1_30default_config_static_selectorELNS0_4arch9wavefront6targetE1EEEvT1_
    .private_segment_fixed_size: 0
    .sgpr_count:     4
    .sgpr_spill_count: 0
    .symbol:         _ZN7rocprim17ROCPRIM_400000_NS6detail17trampoline_kernelINS0_14default_configENS1_27scan_by_key_config_selectorIiiEEZZNS1_16scan_by_key_implILNS1_25lookback_scan_determinismE0ELb0ES3_N6thrust23THRUST_200600_302600_NS6detail15normal_iteratorINS9_10device_ptrIiEEEESE_SE_iNS9_4plusIiEE19head_flag_predicateiEE10hipError_tPvRmT2_T3_T4_T5_mT6_T7_P12ihipStream_tbENKUlT_T0_E_clISt17integral_constantIbLb1EESY_EEDaST_SU_EUlST_E_NS1_11comp_targetILNS1_3genE2ELNS1_11target_archE906ELNS1_3gpuE6ELNS1_3repE0EEENS1_30default_config_static_selectorELNS0_4arch9wavefront6targetE1EEEvT1_.kd
    .uniform_work_group_size: 1
    .uses_dynamic_stack: false
    .vgpr_count:     0
    .vgpr_spill_count: 0
    .wavefront_size: 64
  - .agpr_count:     0
    .args:
      - .offset:         0
        .size:           112
        .value_kind:     by_value
    .group_segment_fixed_size: 0
    .kernarg_segment_align: 8
    .kernarg_segment_size: 112
    .language:       OpenCL C
    .language_version:
      - 2
      - 0
    .max_flat_workgroup_size: 256
    .name:           _ZN7rocprim17ROCPRIM_400000_NS6detail17trampoline_kernelINS0_14default_configENS1_27scan_by_key_config_selectorIiiEEZZNS1_16scan_by_key_implILNS1_25lookback_scan_determinismE0ELb0ES3_N6thrust23THRUST_200600_302600_NS6detail15normal_iteratorINS9_10device_ptrIiEEEESE_SE_iNS9_4plusIiEE19head_flag_predicateiEE10hipError_tPvRmT2_T3_T4_T5_mT6_T7_P12ihipStream_tbENKUlT_T0_E_clISt17integral_constantIbLb1EESY_EEDaST_SU_EUlST_E_NS1_11comp_targetILNS1_3genE10ELNS1_11target_archE1200ELNS1_3gpuE4ELNS1_3repE0EEENS1_30default_config_static_selectorELNS0_4arch9wavefront6targetE1EEEvT1_
    .private_segment_fixed_size: 0
    .sgpr_count:     4
    .sgpr_spill_count: 0
    .symbol:         _ZN7rocprim17ROCPRIM_400000_NS6detail17trampoline_kernelINS0_14default_configENS1_27scan_by_key_config_selectorIiiEEZZNS1_16scan_by_key_implILNS1_25lookback_scan_determinismE0ELb0ES3_N6thrust23THRUST_200600_302600_NS6detail15normal_iteratorINS9_10device_ptrIiEEEESE_SE_iNS9_4plusIiEE19head_flag_predicateiEE10hipError_tPvRmT2_T3_T4_T5_mT6_T7_P12ihipStream_tbENKUlT_T0_E_clISt17integral_constantIbLb1EESY_EEDaST_SU_EUlST_E_NS1_11comp_targetILNS1_3genE10ELNS1_11target_archE1200ELNS1_3gpuE4ELNS1_3repE0EEENS1_30default_config_static_selectorELNS0_4arch9wavefront6targetE1EEEvT1_.kd
    .uniform_work_group_size: 1
    .uses_dynamic_stack: false
    .vgpr_count:     0
    .vgpr_spill_count: 0
    .wavefront_size: 64
  - .agpr_count:     0
    .args:
      - .offset:         0
        .size:           112
        .value_kind:     by_value
    .group_segment_fixed_size: 0
    .kernarg_segment_align: 8
    .kernarg_segment_size: 112
    .language:       OpenCL C
    .language_version:
      - 2
      - 0
    .max_flat_workgroup_size: 256
    .name:           _ZN7rocprim17ROCPRIM_400000_NS6detail17trampoline_kernelINS0_14default_configENS1_27scan_by_key_config_selectorIiiEEZZNS1_16scan_by_key_implILNS1_25lookback_scan_determinismE0ELb0ES3_N6thrust23THRUST_200600_302600_NS6detail15normal_iteratorINS9_10device_ptrIiEEEESE_SE_iNS9_4plusIiEE19head_flag_predicateiEE10hipError_tPvRmT2_T3_T4_T5_mT6_T7_P12ihipStream_tbENKUlT_T0_E_clISt17integral_constantIbLb1EESY_EEDaST_SU_EUlST_E_NS1_11comp_targetILNS1_3genE9ELNS1_11target_archE1100ELNS1_3gpuE3ELNS1_3repE0EEENS1_30default_config_static_selectorELNS0_4arch9wavefront6targetE1EEEvT1_
    .private_segment_fixed_size: 0
    .sgpr_count:     4
    .sgpr_spill_count: 0
    .symbol:         _ZN7rocprim17ROCPRIM_400000_NS6detail17trampoline_kernelINS0_14default_configENS1_27scan_by_key_config_selectorIiiEEZZNS1_16scan_by_key_implILNS1_25lookback_scan_determinismE0ELb0ES3_N6thrust23THRUST_200600_302600_NS6detail15normal_iteratorINS9_10device_ptrIiEEEESE_SE_iNS9_4plusIiEE19head_flag_predicateiEE10hipError_tPvRmT2_T3_T4_T5_mT6_T7_P12ihipStream_tbENKUlT_T0_E_clISt17integral_constantIbLb1EESY_EEDaST_SU_EUlST_E_NS1_11comp_targetILNS1_3genE9ELNS1_11target_archE1100ELNS1_3gpuE3ELNS1_3repE0EEENS1_30default_config_static_selectorELNS0_4arch9wavefront6targetE1EEEvT1_.kd
    .uniform_work_group_size: 1
    .uses_dynamic_stack: false
    .vgpr_count:     0
    .vgpr_spill_count: 0
    .wavefront_size: 64
  - .agpr_count:     0
    .args:
      - .offset:         0
        .size:           112
        .value_kind:     by_value
    .group_segment_fixed_size: 0
    .kernarg_segment_align: 8
    .kernarg_segment_size: 112
    .language:       OpenCL C
    .language_version:
      - 2
      - 0
    .max_flat_workgroup_size: 256
    .name:           _ZN7rocprim17ROCPRIM_400000_NS6detail17trampoline_kernelINS0_14default_configENS1_27scan_by_key_config_selectorIiiEEZZNS1_16scan_by_key_implILNS1_25lookback_scan_determinismE0ELb0ES3_N6thrust23THRUST_200600_302600_NS6detail15normal_iteratorINS9_10device_ptrIiEEEESE_SE_iNS9_4plusIiEE19head_flag_predicateiEE10hipError_tPvRmT2_T3_T4_T5_mT6_T7_P12ihipStream_tbENKUlT_T0_E_clISt17integral_constantIbLb1EESY_EEDaST_SU_EUlST_E_NS1_11comp_targetILNS1_3genE8ELNS1_11target_archE1030ELNS1_3gpuE2ELNS1_3repE0EEENS1_30default_config_static_selectorELNS0_4arch9wavefront6targetE1EEEvT1_
    .private_segment_fixed_size: 0
    .sgpr_count:     4
    .sgpr_spill_count: 0
    .symbol:         _ZN7rocprim17ROCPRIM_400000_NS6detail17trampoline_kernelINS0_14default_configENS1_27scan_by_key_config_selectorIiiEEZZNS1_16scan_by_key_implILNS1_25lookback_scan_determinismE0ELb0ES3_N6thrust23THRUST_200600_302600_NS6detail15normal_iteratorINS9_10device_ptrIiEEEESE_SE_iNS9_4plusIiEE19head_flag_predicateiEE10hipError_tPvRmT2_T3_T4_T5_mT6_T7_P12ihipStream_tbENKUlT_T0_E_clISt17integral_constantIbLb1EESY_EEDaST_SU_EUlST_E_NS1_11comp_targetILNS1_3genE8ELNS1_11target_archE1030ELNS1_3gpuE2ELNS1_3repE0EEENS1_30default_config_static_selectorELNS0_4arch9wavefront6targetE1EEEvT1_.kd
    .uniform_work_group_size: 1
    .uses_dynamic_stack: false
    .vgpr_count:     0
    .vgpr_spill_count: 0
    .wavefront_size: 64
  - .agpr_count:     0
    .args:
      - .offset:         0
        .size:           112
        .value_kind:     by_value
    .group_segment_fixed_size: 0
    .kernarg_segment_align: 8
    .kernarg_segment_size: 112
    .language:       OpenCL C
    .language_version:
      - 2
      - 0
    .max_flat_workgroup_size: 256
    .name:           _ZN7rocprim17ROCPRIM_400000_NS6detail17trampoline_kernelINS0_14default_configENS1_27scan_by_key_config_selectorIiiEEZZNS1_16scan_by_key_implILNS1_25lookback_scan_determinismE0ELb0ES3_N6thrust23THRUST_200600_302600_NS6detail15normal_iteratorINS9_10device_ptrIiEEEESE_SE_iNS9_4plusIiEE19head_flag_predicateiEE10hipError_tPvRmT2_T3_T4_T5_mT6_T7_P12ihipStream_tbENKUlT_T0_E_clISt17integral_constantIbLb1EESX_IbLb0EEEEDaST_SU_EUlST_E_NS1_11comp_targetILNS1_3genE0ELNS1_11target_archE4294967295ELNS1_3gpuE0ELNS1_3repE0EEENS1_30default_config_static_selectorELNS0_4arch9wavefront6targetE1EEEvT1_
    .private_segment_fixed_size: 0
    .sgpr_count:     4
    .sgpr_spill_count: 0
    .symbol:         _ZN7rocprim17ROCPRIM_400000_NS6detail17trampoline_kernelINS0_14default_configENS1_27scan_by_key_config_selectorIiiEEZZNS1_16scan_by_key_implILNS1_25lookback_scan_determinismE0ELb0ES3_N6thrust23THRUST_200600_302600_NS6detail15normal_iteratorINS9_10device_ptrIiEEEESE_SE_iNS9_4plusIiEE19head_flag_predicateiEE10hipError_tPvRmT2_T3_T4_T5_mT6_T7_P12ihipStream_tbENKUlT_T0_E_clISt17integral_constantIbLb1EESX_IbLb0EEEEDaST_SU_EUlST_E_NS1_11comp_targetILNS1_3genE0ELNS1_11target_archE4294967295ELNS1_3gpuE0ELNS1_3repE0EEENS1_30default_config_static_selectorELNS0_4arch9wavefront6targetE1EEEvT1_.kd
    .uniform_work_group_size: 1
    .uses_dynamic_stack: false
    .vgpr_count:     0
    .vgpr_spill_count: 0
    .wavefront_size: 64
  - .agpr_count:     0
    .args:
      - .offset:         0
        .size:           112
        .value_kind:     by_value
    .group_segment_fixed_size: 0
    .kernarg_segment_align: 8
    .kernarg_segment_size: 112
    .language:       OpenCL C
    .language_version:
      - 2
      - 0
    .max_flat_workgroup_size: 256
    .name:           _ZN7rocprim17ROCPRIM_400000_NS6detail17trampoline_kernelINS0_14default_configENS1_27scan_by_key_config_selectorIiiEEZZNS1_16scan_by_key_implILNS1_25lookback_scan_determinismE0ELb0ES3_N6thrust23THRUST_200600_302600_NS6detail15normal_iteratorINS9_10device_ptrIiEEEESE_SE_iNS9_4plusIiEE19head_flag_predicateiEE10hipError_tPvRmT2_T3_T4_T5_mT6_T7_P12ihipStream_tbENKUlT_T0_E_clISt17integral_constantIbLb1EESX_IbLb0EEEEDaST_SU_EUlST_E_NS1_11comp_targetILNS1_3genE10ELNS1_11target_archE1201ELNS1_3gpuE5ELNS1_3repE0EEENS1_30default_config_static_selectorELNS0_4arch9wavefront6targetE1EEEvT1_
    .private_segment_fixed_size: 0
    .sgpr_count:     4
    .sgpr_spill_count: 0
    .symbol:         _ZN7rocprim17ROCPRIM_400000_NS6detail17trampoline_kernelINS0_14default_configENS1_27scan_by_key_config_selectorIiiEEZZNS1_16scan_by_key_implILNS1_25lookback_scan_determinismE0ELb0ES3_N6thrust23THRUST_200600_302600_NS6detail15normal_iteratorINS9_10device_ptrIiEEEESE_SE_iNS9_4plusIiEE19head_flag_predicateiEE10hipError_tPvRmT2_T3_T4_T5_mT6_T7_P12ihipStream_tbENKUlT_T0_E_clISt17integral_constantIbLb1EESX_IbLb0EEEEDaST_SU_EUlST_E_NS1_11comp_targetILNS1_3genE10ELNS1_11target_archE1201ELNS1_3gpuE5ELNS1_3repE0EEENS1_30default_config_static_selectorELNS0_4arch9wavefront6targetE1EEEvT1_.kd
    .uniform_work_group_size: 1
    .uses_dynamic_stack: false
    .vgpr_count:     0
    .vgpr_spill_count: 0
    .wavefront_size: 64
  - .agpr_count:     0
    .args:
      - .offset:         0
        .size:           112
        .value_kind:     by_value
    .group_segment_fixed_size: 0
    .kernarg_segment_align: 8
    .kernarg_segment_size: 112
    .language:       OpenCL C
    .language_version:
      - 2
      - 0
    .max_flat_workgroup_size: 256
    .name:           _ZN7rocprim17ROCPRIM_400000_NS6detail17trampoline_kernelINS0_14default_configENS1_27scan_by_key_config_selectorIiiEEZZNS1_16scan_by_key_implILNS1_25lookback_scan_determinismE0ELb0ES3_N6thrust23THRUST_200600_302600_NS6detail15normal_iteratorINS9_10device_ptrIiEEEESE_SE_iNS9_4plusIiEE19head_flag_predicateiEE10hipError_tPvRmT2_T3_T4_T5_mT6_T7_P12ihipStream_tbENKUlT_T0_E_clISt17integral_constantIbLb1EESX_IbLb0EEEEDaST_SU_EUlST_E_NS1_11comp_targetILNS1_3genE5ELNS1_11target_archE942ELNS1_3gpuE9ELNS1_3repE0EEENS1_30default_config_static_selectorELNS0_4arch9wavefront6targetE1EEEvT1_
    .private_segment_fixed_size: 0
    .sgpr_count:     4
    .sgpr_spill_count: 0
    .symbol:         _ZN7rocprim17ROCPRIM_400000_NS6detail17trampoline_kernelINS0_14default_configENS1_27scan_by_key_config_selectorIiiEEZZNS1_16scan_by_key_implILNS1_25lookback_scan_determinismE0ELb0ES3_N6thrust23THRUST_200600_302600_NS6detail15normal_iteratorINS9_10device_ptrIiEEEESE_SE_iNS9_4plusIiEE19head_flag_predicateiEE10hipError_tPvRmT2_T3_T4_T5_mT6_T7_P12ihipStream_tbENKUlT_T0_E_clISt17integral_constantIbLb1EESX_IbLb0EEEEDaST_SU_EUlST_E_NS1_11comp_targetILNS1_3genE5ELNS1_11target_archE942ELNS1_3gpuE9ELNS1_3repE0EEENS1_30default_config_static_selectorELNS0_4arch9wavefront6targetE1EEEvT1_.kd
    .uniform_work_group_size: 1
    .uses_dynamic_stack: false
    .vgpr_count:     0
    .vgpr_spill_count: 0
    .wavefront_size: 64
  - .agpr_count:     0
    .args:
      - .offset:         0
        .size:           112
        .value_kind:     by_value
    .group_segment_fixed_size: 16384
    .kernarg_segment_align: 8
    .kernarg_segment_size: 112
    .language:       OpenCL C
    .language_version:
      - 2
      - 0
    .max_flat_workgroup_size: 256
    .name:           _ZN7rocprim17ROCPRIM_400000_NS6detail17trampoline_kernelINS0_14default_configENS1_27scan_by_key_config_selectorIiiEEZZNS1_16scan_by_key_implILNS1_25lookback_scan_determinismE0ELb0ES3_N6thrust23THRUST_200600_302600_NS6detail15normal_iteratorINS9_10device_ptrIiEEEESE_SE_iNS9_4plusIiEE19head_flag_predicateiEE10hipError_tPvRmT2_T3_T4_T5_mT6_T7_P12ihipStream_tbENKUlT_T0_E_clISt17integral_constantIbLb1EESX_IbLb0EEEEDaST_SU_EUlST_E_NS1_11comp_targetILNS1_3genE4ELNS1_11target_archE910ELNS1_3gpuE8ELNS1_3repE0EEENS1_30default_config_static_selectorELNS0_4arch9wavefront6targetE1EEEvT1_
    .private_segment_fixed_size: 0
    .sgpr_count:     64
    .sgpr_spill_count: 0
    .symbol:         _ZN7rocprim17ROCPRIM_400000_NS6detail17trampoline_kernelINS0_14default_configENS1_27scan_by_key_config_selectorIiiEEZZNS1_16scan_by_key_implILNS1_25lookback_scan_determinismE0ELb0ES3_N6thrust23THRUST_200600_302600_NS6detail15normal_iteratorINS9_10device_ptrIiEEEESE_SE_iNS9_4plusIiEE19head_flag_predicateiEE10hipError_tPvRmT2_T3_T4_T5_mT6_T7_P12ihipStream_tbENKUlT_T0_E_clISt17integral_constantIbLb1EESX_IbLb0EEEEDaST_SU_EUlST_E_NS1_11comp_targetILNS1_3genE4ELNS1_11target_archE910ELNS1_3gpuE8ELNS1_3repE0EEENS1_30default_config_static_selectorELNS0_4arch9wavefront6targetE1EEEvT1_.kd
    .uniform_work_group_size: 1
    .uses_dynamic_stack: false
    .vgpr_count:     65
    .vgpr_spill_count: 0
    .wavefront_size: 64
  - .agpr_count:     0
    .args:
      - .offset:         0
        .size:           112
        .value_kind:     by_value
    .group_segment_fixed_size: 0
    .kernarg_segment_align: 8
    .kernarg_segment_size: 112
    .language:       OpenCL C
    .language_version:
      - 2
      - 0
    .max_flat_workgroup_size: 256
    .name:           _ZN7rocprim17ROCPRIM_400000_NS6detail17trampoline_kernelINS0_14default_configENS1_27scan_by_key_config_selectorIiiEEZZNS1_16scan_by_key_implILNS1_25lookback_scan_determinismE0ELb0ES3_N6thrust23THRUST_200600_302600_NS6detail15normal_iteratorINS9_10device_ptrIiEEEESE_SE_iNS9_4plusIiEE19head_flag_predicateiEE10hipError_tPvRmT2_T3_T4_T5_mT6_T7_P12ihipStream_tbENKUlT_T0_E_clISt17integral_constantIbLb1EESX_IbLb0EEEEDaST_SU_EUlST_E_NS1_11comp_targetILNS1_3genE3ELNS1_11target_archE908ELNS1_3gpuE7ELNS1_3repE0EEENS1_30default_config_static_selectorELNS0_4arch9wavefront6targetE1EEEvT1_
    .private_segment_fixed_size: 0
    .sgpr_count:     4
    .sgpr_spill_count: 0
    .symbol:         _ZN7rocprim17ROCPRIM_400000_NS6detail17trampoline_kernelINS0_14default_configENS1_27scan_by_key_config_selectorIiiEEZZNS1_16scan_by_key_implILNS1_25lookback_scan_determinismE0ELb0ES3_N6thrust23THRUST_200600_302600_NS6detail15normal_iteratorINS9_10device_ptrIiEEEESE_SE_iNS9_4plusIiEE19head_flag_predicateiEE10hipError_tPvRmT2_T3_T4_T5_mT6_T7_P12ihipStream_tbENKUlT_T0_E_clISt17integral_constantIbLb1EESX_IbLb0EEEEDaST_SU_EUlST_E_NS1_11comp_targetILNS1_3genE3ELNS1_11target_archE908ELNS1_3gpuE7ELNS1_3repE0EEENS1_30default_config_static_selectorELNS0_4arch9wavefront6targetE1EEEvT1_.kd
    .uniform_work_group_size: 1
    .uses_dynamic_stack: false
    .vgpr_count:     0
    .vgpr_spill_count: 0
    .wavefront_size: 64
  - .agpr_count:     0
    .args:
      - .offset:         0
        .size:           112
        .value_kind:     by_value
    .group_segment_fixed_size: 0
    .kernarg_segment_align: 8
    .kernarg_segment_size: 112
    .language:       OpenCL C
    .language_version:
      - 2
      - 0
    .max_flat_workgroup_size: 256
    .name:           _ZN7rocprim17ROCPRIM_400000_NS6detail17trampoline_kernelINS0_14default_configENS1_27scan_by_key_config_selectorIiiEEZZNS1_16scan_by_key_implILNS1_25lookback_scan_determinismE0ELb0ES3_N6thrust23THRUST_200600_302600_NS6detail15normal_iteratorINS9_10device_ptrIiEEEESE_SE_iNS9_4plusIiEE19head_flag_predicateiEE10hipError_tPvRmT2_T3_T4_T5_mT6_T7_P12ihipStream_tbENKUlT_T0_E_clISt17integral_constantIbLb1EESX_IbLb0EEEEDaST_SU_EUlST_E_NS1_11comp_targetILNS1_3genE2ELNS1_11target_archE906ELNS1_3gpuE6ELNS1_3repE0EEENS1_30default_config_static_selectorELNS0_4arch9wavefront6targetE1EEEvT1_
    .private_segment_fixed_size: 0
    .sgpr_count:     4
    .sgpr_spill_count: 0
    .symbol:         _ZN7rocprim17ROCPRIM_400000_NS6detail17trampoline_kernelINS0_14default_configENS1_27scan_by_key_config_selectorIiiEEZZNS1_16scan_by_key_implILNS1_25lookback_scan_determinismE0ELb0ES3_N6thrust23THRUST_200600_302600_NS6detail15normal_iteratorINS9_10device_ptrIiEEEESE_SE_iNS9_4plusIiEE19head_flag_predicateiEE10hipError_tPvRmT2_T3_T4_T5_mT6_T7_P12ihipStream_tbENKUlT_T0_E_clISt17integral_constantIbLb1EESX_IbLb0EEEEDaST_SU_EUlST_E_NS1_11comp_targetILNS1_3genE2ELNS1_11target_archE906ELNS1_3gpuE6ELNS1_3repE0EEENS1_30default_config_static_selectorELNS0_4arch9wavefront6targetE1EEEvT1_.kd
    .uniform_work_group_size: 1
    .uses_dynamic_stack: false
    .vgpr_count:     0
    .vgpr_spill_count: 0
    .wavefront_size: 64
  - .agpr_count:     0
    .args:
      - .offset:         0
        .size:           112
        .value_kind:     by_value
    .group_segment_fixed_size: 0
    .kernarg_segment_align: 8
    .kernarg_segment_size: 112
    .language:       OpenCL C
    .language_version:
      - 2
      - 0
    .max_flat_workgroup_size: 256
    .name:           _ZN7rocprim17ROCPRIM_400000_NS6detail17trampoline_kernelINS0_14default_configENS1_27scan_by_key_config_selectorIiiEEZZNS1_16scan_by_key_implILNS1_25lookback_scan_determinismE0ELb0ES3_N6thrust23THRUST_200600_302600_NS6detail15normal_iteratorINS9_10device_ptrIiEEEESE_SE_iNS9_4plusIiEE19head_flag_predicateiEE10hipError_tPvRmT2_T3_T4_T5_mT6_T7_P12ihipStream_tbENKUlT_T0_E_clISt17integral_constantIbLb1EESX_IbLb0EEEEDaST_SU_EUlST_E_NS1_11comp_targetILNS1_3genE10ELNS1_11target_archE1200ELNS1_3gpuE4ELNS1_3repE0EEENS1_30default_config_static_selectorELNS0_4arch9wavefront6targetE1EEEvT1_
    .private_segment_fixed_size: 0
    .sgpr_count:     4
    .sgpr_spill_count: 0
    .symbol:         _ZN7rocprim17ROCPRIM_400000_NS6detail17trampoline_kernelINS0_14default_configENS1_27scan_by_key_config_selectorIiiEEZZNS1_16scan_by_key_implILNS1_25lookback_scan_determinismE0ELb0ES3_N6thrust23THRUST_200600_302600_NS6detail15normal_iteratorINS9_10device_ptrIiEEEESE_SE_iNS9_4plusIiEE19head_flag_predicateiEE10hipError_tPvRmT2_T3_T4_T5_mT6_T7_P12ihipStream_tbENKUlT_T0_E_clISt17integral_constantIbLb1EESX_IbLb0EEEEDaST_SU_EUlST_E_NS1_11comp_targetILNS1_3genE10ELNS1_11target_archE1200ELNS1_3gpuE4ELNS1_3repE0EEENS1_30default_config_static_selectorELNS0_4arch9wavefront6targetE1EEEvT1_.kd
    .uniform_work_group_size: 1
    .uses_dynamic_stack: false
    .vgpr_count:     0
    .vgpr_spill_count: 0
    .wavefront_size: 64
  - .agpr_count:     0
    .args:
      - .offset:         0
        .size:           112
        .value_kind:     by_value
    .group_segment_fixed_size: 0
    .kernarg_segment_align: 8
    .kernarg_segment_size: 112
    .language:       OpenCL C
    .language_version:
      - 2
      - 0
    .max_flat_workgroup_size: 256
    .name:           _ZN7rocprim17ROCPRIM_400000_NS6detail17trampoline_kernelINS0_14default_configENS1_27scan_by_key_config_selectorIiiEEZZNS1_16scan_by_key_implILNS1_25lookback_scan_determinismE0ELb0ES3_N6thrust23THRUST_200600_302600_NS6detail15normal_iteratorINS9_10device_ptrIiEEEESE_SE_iNS9_4plusIiEE19head_flag_predicateiEE10hipError_tPvRmT2_T3_T4_T5_mT6_T7_P12ihipStream_tbENKUlT_T0_E_clISt17integral_constantIbLb1EESX_IbLb0EEEEDaST_SU_EUlST_E_NS1_11comp_targetILNS1_3genE9ELNS1_11target_archE1100ELNS1_3gpuE3ELNS1_3repE0EEENS1_30default_config_static_selectorELNS0_4arch9wavefront6targetE1EEEvT1_
    .private_segment_fixed_size: 0
    .sgpr_count:     4
    .sgpr_spill_count: 0
    .symbol:         _ZN7rocprim17ROCPRIM_400000_NS6detail17trampoline_kernelINS0_14default_configENS1_27scan_by_key_config_selectorIiiEEZZNS1_16scan_by_key_implILNS1_25lookback_scan_determinismE0ELb0ES3_N6thrust23THRUST_200600_302600_NS6detail15normal_iteratorINS9_10device_ptrIiEEEESE_SE_iNS9_4plusIiEE19head_flag_predicateiEE10hipError_tPvRmT2_T3_T4_T5_mT6_T7_P12ihipStream_tbENKUlT_T0_E_clISt17integral_constantIbLb1EESX_IbLb0EEEEDaST_SU_EUlST_E_NS1_11comp_targetILNS1_3genE9ELNS1_11target_archE1100ELNS1_3gpuE3ELNS1_3repE0EEENS1_30default_config_static_selectorELNS0_4arch9wavefront6targetE1EEEvT1_.kd
    .uniform_work_group_size: 1
    .uses_dynamic_stack: false
    .vgpr_count:     0
    .vgpr_spill_count: 0
    .wavefront_size: 64
  - .agpr_count:     0
    .args:
      - .offset:         0
        .size:           112
        .value_kind:     by_value
    .group_segment_fixed_size: 0
    .kernarg_segment_align: 8
    .kernarg_segment_size: 112
    .language:       OpenCL C
    .language_version:
      - 2
      - 0
    .max_flat_workgroup_size: 256
    .name:           _ZN7rocprim17ROCPRIM_400000_NS6detail17trampoline_kernelINS0_14default_configENS1_27scan_by_key_config_selectorIiiEEZZNS1_16scan_by_key_implILNS1_25lookback_scan_determinismE0ELb0ES3_N6thrust23THRUST_200600_302600_NS6detail15normal_iteratorINS9_10device_ptrIiEEEESE_SE_iNS9_4plusIiEE19head_flag_predicateiEE10hipError_tPvRmT2_T3_T4_T5_mT6_T7_P12ihipStream_tbENKUlT_T0_E_clISt17integral_constantIbLb1EESX_IbLb0EEEEDaST_SU_EUlST_E_NS1_11comp_targetILNS1_3genE8ELNS1_11target_archE1030ELNS1_3gpuE2ELNS1_3repE0EEENS1_30default_config_static_selectorELNS0_4arch9wavefront6targetE1EEEvT1_
    .private_segment_fixed_size: 0
    .sgpr_count:     4
    .sgpr_spill_count: 0
    .symbol:         _ZN7rocprim17ROCPRIM_400000_NS6detail17trampoline_kernelINS0_14default_configENS1_27scan_by_key_config_selectorIiiEEZZNS1_16scan_by_key_implILNS1_25lookback_scan_determinismE0ELb0ES3_N6thrust23THRUST_200600_302600_NS6detail15normal_iteratorINS9_10device_ptrIiEEEESE_SE_iNS9_4plusIiEE19head_flag_predicateiEE10hipError_tPvRmT2_T3_T4_T5_mT6_T7_P12ihipStream_tbENKUlT_T0_E_clISt17integral_constantIbLb1EESX_IbLb0EEEEDaST_SU_EUlST_E_NS1_11comp_targetILNS1_3genE8ELNS1_11target_archE1030ELNS1_3gpuE2ELNS1_3repE0EEENS1_30default_config_static_selectorELNS0_4arch9wavefront6targetE1EEEvT1_.kd
    .uniform_work_group_size: 1
    .uses_dynamic_stack: false
    .vgpr_count:     0
    .vgpr_spill_count: 0
    .wavefront_size: 64
  - .agpr_count:     0
    .args:
      - .offset:         0
        .size:           112
        .value_kind:     by_value
    .group_segment_fixed_size: 0
    .kernarg_segment_align: 8
    .kernarg_segment_size: 112
    .language:       OpenCL C
    .language_version:
      - 2
      - 0
    .max_flat_workgroup_size: 256
    .name:           _ZN7rocprim17ROCPRIM_400000_NS6detail17trampoline_kernelINS0_14default_configENS1_27scan_by_key_config_selectorIiiEEZZNS1_16scan_by_key_implILNS1_25lookback_scan_determinismE0ELb0ES3_N6thrust23THRUST_200600_302600_NS6detail15normal_iteratorINS9_10device_ptrIiEEEESE_SE_iNS9_4plusIiEE19head_flag_predicateiEE10hipError_tPvRmT2_T3_T4_T5_mT6_T7_P12ihipStream_tbENKUlT_T0_E_clISt17integral_constantIbLb0EESX_IbLb1EEEEDaST_SU_EUlST_E_NS1_11comp_targetILNS1_3genE0ELNS1_11target_archE4294967295ELNS1_3gpuE0ELNS1_3repE0EEENS1_30default_config_static_selectorELNS0_4arch9wavefront6targetE1EEEvT1_
    .private_segment_fixed_size: 0
    .sgpr_count:     4
    .sgpr_spill_count: 0
    .symbol:         _ZN7rocprim17ROCPRIM_400000_NS6detail17trampoline_kernelINS0_14default_configENS1_27scan_by_key_config_selectorIiiEEZZNS1_16scan_by_key_implILNS1_25lookback_scan_determinismE0ELb0ES3_N6thrust23THRUST_200600_302600_NS6detail15normal_iteratorINS9_10device_ptrIiEEEESE_SE_iNS9_4plusIiEE19head_flag_predicateiEE10hipError_tPvRmT2_T3_T4_T5_mT6_T7_P12ihipStream_tbENKUlT_T0_E_clISt17integral_constantIbLb0EESX_IbLb1EEEEDaST_SU_EUlST_E_NS1_11comp_targetILNS1_3genE0ELNS1_11target_archE4294967295ELNS1_3gpuE0ELNS1_3repE0EEENS1_30default_config_static_selectorELNS0_4arch9wavefront6targetE1EEEvT1_.kd
    .uniform_work_group_size: 1
    .uses_dynamic_stack: false
    .vgpr_count:     0
    .vgpr_spill_count: 0
    .wavefront_size: 64
  - .agpr_count:     0
    .args:
      - .offset:         0
        .size:           112
        .value_kind:     by_value
    .group_segment_fixed_size: 0
    .kernarg_segment_align: 8
    .kernarg_segment_size: 112
    .language:       OpenCL C
    .language_version:
      - 2
      - 0
    .max_flat_workgroup_size: 256
    .name:           _ZN7rocprim17ROCPRIM_400000_NS6detail17trampoline_kernelINS0_14default_configENS1_27scan_by_key_config_selectorIiiEEZZNS1_16scan_by_key_implILNS1_25lookback_scan_determinismE0ELb0ES3_N6thrust23THRUST_200600_302600_NS6detail15normal_iteratorINS9_10device_ptrIiEEEESE_SE_iNS9_4plusIiEE19head_flag_predicateiEE10hipError_tPvRmT2_T3_T4_T5_mT6_T7_P12ihipStream_tbENKUlT_T0_E_clISt17integral_constantIbLb0EESX_IbLb1EEEEDaST_SU_EUlST_E_NS1_11comp_targetILNS1_3genE10ELNS1_11target_archE1201ELNS1_3gpuE5ELNS1_3repE0EEENS1_30default_config_static_selectorELNS0_4arch9wavefront6targetE1EEEvT1_
    .private_segment_fixed_size: 0
    .sgpr_count:     4
    .sgpr_spill_count: 0
    .symbol:         _ZN7rocprim17ROCPRIM_400000_NS6detail17trampoline_kernelINS0_14default_configENS1_27scan_by_key_config_selectorIiiEEZZNS1_16scan_by_key_implILNS1_25lookback_scan_determinismE0ELb0ES3_N6thrust23THRUST_200600_302600_NS6detail15normal_iteratorINS9_10device_ptrIiEEEESE_SE_iNS9_4plusIiEE19head_flag_predicateiEE10hipError_tPvRmT2_T3_T4_T5_mT6_T7_P12ihipStream_tbENKUlT_T0_E_clISt17integral_constantIbLb0EESX_IbLb1EEEEDaST_SU_EUlST_E_NS1_11comp_targetILNS1_3genE10ELNS1_11target_archE1201ELNS1_3gpuE5ELNS1_3repE0EEENS1_30default_config_static_selectorELNS0_4arch9wavefront6targetE1EEEvT1_.kd
    .uniform_work_group_size: 1
    .uses_dynamic_stack: false
    .vgpr_count:     0
    .vgpr_spill_count: 0
    .wavefront_size: 64
  - .agpr_count:     0
    .args:
      - .offset:         0
        .size:           112
        .value_kind:     by_value
    .group_segment_fixed_size: 0
    .kernarg_segment_align: 8
    .kernarg_segment_size: 112
    .language:       OpenCL C
    .language_version:
      - 2
      - 0
    .max_flat_workgroup_size: 256
    .name:           _ZN7rocprim17ROCPRIM_400000_NS6detail17trampoline_kernelINS0_14default_configENS1_27scan_by_key_config_selectorIiiEEZZNS1_16scan_by_key_implILNS1_25lookback_scan_determinismE0ELb0ES3_N6thrust23THRUST_200600_302600_NS6detail15normal_iteratorINS9_10device_ptrIiEEEESE_SE_iNS9_4plusIiEE19head_flag_predicateiEE10hipError_tPvRmT2_T3_T4_T5_mT6_T7_P12ihipStream_tbENKUlT_T0_E_clISt17integral_constantIbLb0EESX_IbLb1EEEEDaST_SU_EUlST_E_NS1_11comp_targetILNS1_3genE5ELNS1_11target_archE942ELNS1_3gpuE9ELNS1_3repE0EEENS1_30default_config_static_selectorELNS0_4arch9wavefront6targetE1EEEvT1_
    .private_segment_fixed_size: 0
    .sgpr_count:     4
    .sgpr_spill_count: 0
    .symbol:         _ZN7rocprim17ROCPRIM_400000_NS6detail17trampoline_kernelINS0_14default_configENS1_27scan_by_key_config_selectorIiiEEZZNS1_16scan_by_key_implILNS1_25lookback_scan_determinismE0ELb0ES3_N6thrust23THRUST_200600_302600_NS6detail15normal_iteratorINS9_10device_ptrIiEEEESE_SE_iNS9_4plusIiEE19head_flag_predicateiEE10hipError_tPvRmT2_T3_T4_T5_mT6_T7_P12ihipStream_tbENKUlT_T0_E_clISt17integral_constantIbLb0EESX_IbLb1EEEEDaST_SU_EUlST_E_NS1_11comp_targetILNS1_3genE5ELNS1_11target_archE942ELNS1_3gpuE9ELNS1_3repE0EEENS1_30default_config_static_selectorELNS0_4arch9wavefront6targetE1EEEvT1_.kd
    .uniform_work_group_size: 1
    .uses_dynamic_stack: false
    .vgpr_count:     0
    .vgpr_spill_count: 0
    .wavefront_size: 64
  - .agpr_count:     0
    .args:
      - .offset:         0
        .size:           112
        .value_kind:     by_value
    .group_segment_fixed_size: 16384
    .kernarg_segment_align: 8
    .kernarg_segment_size: 112
    .language:       OpenCL C
    .language_version:
      - 2
      - 0
    .max_flat_workgroup_size: 256
    .name:           _ZN7rocprim17ROCPRIM_400000_NS6detail17trampoline_kernelINS0_14default_configENS1_27scan_by_key_config_selectorIiiEEZZNS1_16scan_by_key_implILNS1_25lookback_scan_determinismE0ELb0ES3_N6thrust23THRUST_200600_302600_NS6detail15normal_iteratorINS9_10device_ptrIiEEEESE_SE_iNS9_4plusIiEE19head_flag_predicateiEE10hipError_tPvRmT2_T3_T4_T5_mT6_T7_P12ihipStream_tbENKUlT_T0_E_clISt17integral_constantIbLb0EESX_IbLb1EEEEDaST_SU_EUlST_E_NS1_11comp_targetILNS1_3genE4ELNS1_11target_archE910ELNS1_3gpuE8ELNS1_3repE0EEENS1_30default_config_static_selectorELNS0_4arch9wavefront6targetE1EEEvT1_
    .private_segment_fixed_size: 0
    .sgpr_count:     68
    .sgpr_spill_count: 0
    .symbol:         _ZN7rocprim17ROCPRIM_400000_NS6detail17trampoline_kernelINS0_14default_configENS1_27scan_by_key_config_selectorIiiEEZZNS1_16scan_by_key_implILNS1_25lookback_scan_determinismE0ELb0ES3_N6thrust23THRUST_200600_302600_NS6detail15normal_iteratorINS9_10device_ptrIiEEEESE_SE_iNS9_4plusIiEE19head_flag_predicateiEE10hipError_tPvRmT2_T3_T4_T5_mT6_T7_P12ihipStream_tbENKUlT_T0_E_clISt17integral_constantIbLb0EESX_IbLb1EEEEDaST_SU_EUlST_E_NS1_11comp_targetILNS1_3genE4ELNS1_11target_archE910ELNS1_3gpuE8ELNS1_3repE0EEENS1_30default_config_static_selectorELNS0_4arch9wavefront6targetE1EEEvT1_.kd
    .uniform_work_group_size: 1
    .uses_dynamic_stack: false
    .vgpr_count:     65
    .vgpr_spill_count: 0
    .wavefront_size: 64
  - .agpr_count:     0
    .args:
      - .offset:         0
        .size:           112
        .value_kind:     by_value
    .group_segment_fixed_size: 0
    .kernarg_segment_align: 8
    .kernarg_segment_size: 112
    .language:       OpenCL C
    .language_version:
      - 2
      - 0
    .max_flat_workgroup_size: 256
    .name:           _ZN7rocprim17ROCPRIM_400000_NS6detail17trampoline_kernelINS0_14default_configENS1_27scan_by_key_config_selectorIiiEEZZNS1_16scan_by_key_implILNS1_25lookback_scan_determinismE0ELb0ES3_N6thrust23THRUST_200600_302600_NS6detail15normal_iteratorINS9_10device_ptrIiEEEESE_SE_iNS9_4plusIiEE19head_flag_predicateiEE10hipError_tPvRmT2_T3_T4_T5_mT6_T7_P12ihipStream_tbENKUlT_T0_E_clISt17integral_constantIbLb0EESX_IbLb1EEEEDaST_SU_EUlST_E_NS1_11comp_targetILNS1_3genE3ELNS1_11target_archE908ELNS1_3gpuE7ELNS1_3repE0EEENS1_30default_config_static_selectorELNS0_4arch9wavefront6targetE1EEEvT1_
    .private_segment_fixed_size: 0
    .sgpr_count:     4
    .sgpr_spill_count: 0
    .symbol:         _ZN7rocprim17ROCPRIM_400000_NS6detail17trampoline_kernelINS0_14default_configENS1_27scan_by_key_config_selectorIiiEEZZNS1_16scan_by_key_implILNS1_25lookback_scan_determinismE0ELb0ES3_N6thrust23THRUST_200600_302600_NS6detail15normal_iteratorINS9_10device_ptrIiEEEESE_SE_iNS9_4plusIiEE19head_flag_predicateiEE10hipError_tPvRmT2_T3_T4_T5_mT6_T7_P12ihipStream_tbENKUlT_T0_E_clISt17integral_constantIbLb0EESX_IbLb1EEEEDaST_SU_EUlST_E_NS1_11comp_targetILNS1_3genE3ELNS1_11target_archE908ELNS1_3gpuE7ELNS1_3repE0EEENS1_30default_config_static_selectorELNS0_4arch9wavefront6targetE1EEEvT1_.kd
    .uniform_work_group_size: 1
    .uses_dynamic_stack: false
    .vgpr_count:     0
    .vgpr_spill_count: 0
    .wavefront_size: 64
  - .agpr_count:     0
    .args:
      - .offset:         0
        .size:           112
        .value_kind:     by_value
    .group_segment_fixed_size: 0
    .kernarg_segment_align: 8
    .kernarg_segment_size: 112
    .language:       OpenCL C
    .language_version:
      - 2
      - 0
    .max_flat_workgroup_size: 256
    .name:           _ZN7rocprim17ROCPRIM_400000_NS6detail17trampoline_kernelINS0_14default_configENS1_27scan_by_key_config_selectorIiiEEZZNS1_16scan_by_key_implILNS1_25lookback_scan_determinismE0ELb0ES3_N6thrust23THRUST_200600_302600_NS6detail15normal_iteratorINS9_10device_ptrIiEEEESE_SE_iNS9_4plusIiEE19head_flag_predicateiEE10hipError_tPvRmT2_T3_T4_T5_mT6_T7_P12ihipStream_tbENKUlT_T0_E_clISt17integral_constantIbLb0EESX_IbLb1EEEEDaST_SU_EUlST_E_NS1_11comp_targetILNS1_3genE2ELNS1_11target_archE906ELNS1_3gpuE6ELNS1_3repE0EEENS1_30default_config_static_selectorELNS0_4arch9wavefront6targetE1EEEvT1_
    .private_segment_fixed_size: 0
    .sgpr_count:     4
    .sgpr_spill_count: 0
    .symbol:         _ZN7rocprim17ROCPRIM_400000_NS6detail17trampoline_kernelINS0_14default_configENS1_27scan_by_key_config_selectorIiiEEZZNS1_16scan_by_key_implILNS1_25lookback_scan_determinismE0ELb0ES3_N6thrust23THRUST_200600_302600_NS6detail15normal_iteratorINS9_10device_ptrIiEEEESE_SE_iNS9_4plusIiEE19head_flag_predicateiEE10hipError_tPvRmT2_T3_T4_T5_mT6_T7_P12ihipStream_tbENKUlT_T0_E_clISt17integral_constantIbLb0EESX_IbLb1EEEEDaST_SU_EUlST_E_NS1_11comp_targetILNS1_3genE2ELNS1_11target_archE906ELNS1_3gpuE6ELNS1_3repE0EEENS1_30default_config_static_selectorELNS0_4arch9wavefront6targetE1EEEvT1_.kd
    .uniform_work_group_size: 1
    .uses_dynamic_stack: false
    .vgpr_count:     0
    .vgpr_spill_count: 0
    .wavefront_size: 64
  - .agpr_count:     0
    .args:
      - .offset:         0
        .size:           112
        .value_kind:     by_value
    .group_segment_fixed_size: 0
    .kernarg_segment_align: 8
    .kernarg_segment_size: 112
    .language:       OpenCL C
    .language_version:
      - 2
      - 0
    .max_flat_workgroup_size: 256
    .name:           _ZN7rocprim17ROCPRIM_400000_NS6detail17trampoline_kernelINS0_14default_configENS1_27scan_by_key_config_selectorIiiEEZZNS1_16scan_by_key_implILNS1_25lookback_scan_determinismE0ELb0ES3_N6thrust23THRUST_200600_302600_NS6detail15normal_iteratorINS9_10device_ptrIiEEEESE_SE_iNS9_4plusIiEE19head_flag_predicateiEE10hipError_tPvRmT2_T3_T4_T5_mT6_T7_P12ihipStream_tbENKUlT_T0_E_clISt17integral_constantIbLb0EESX_IbLb1EEEEDaST_SU_EUlST_E_NS1_11comp_targetILNS1_3genE10ELNS1_11target_archE1200ELNS1_3gpuE4ELNS1_3repE0EEENS1_30default_config_static_selectorELNS0_4arch9wavefront6targetE1EEEvT1_
    .private_segment_fixed_size: 0
    .sgpr_count:     4
    .sgpr_spill_count: 0
    .symbol:         _ZN7rocprim17ROCPRIM_400000_NS6detail17trampoline_kernelINS0_14default_configENS1_27scan_by_key_config_selectorIiiEEZZNS1_16scan_by_key_implILNS1_25lookback_scan_determinismE0ELb0ES3_N6thrust23THRUST_200600_302600_NS6detail15normal_iteratorINS9_10device_ptrIiEEEESE_SE_iNS9_4plusIiEE19head_flag_predicateiEE10hipError_tPvRmT2_T3_T4_T5_mT6_T7_P12ihipStream_tbENKUlT_T0_E_clISt17integral_constantIbLb0EESX_IbLb1EEEEDaST_SU_EUlST_E_NS1_11comp_targetILNS1_3genE10ELNS1_11target_archE1200ELNS1_3gpuE4ELNS1_3repE0EEENS1_30default_config_static_selectorELNS0_4arch9wavefront6targetE1EEEvT1_.kd
    .uniform_work_group_size: 1
    .uses_dynamic_stack: false
    .vgpr_count:     0
    .vgpr_spill_count: 0
    .wavefront_size: 64
  - .agpr_count:     0
    .args:
      - .offset:         0
        .size:           112
        .value_kind:     by_value
    .group_segment_fixed_size: 0
    .kernarg_segment_align: 8
    .kernarg_segment_size: 112
    .language:       OpenCL C
    .language_version:
      - 2
      - 0
    .max_flat_workgroup_size: 256
    .name:           _ZN7rocprim17ROCPRIM_400000_NS6detail17trampoline_kernelINS0_14default_configENS1_27scan_by_key_config_selectorIiiEEZZNS1_16scan_by_key_implILNS1_25lookback_scan_determinismE0ELb0ES3_N6thrust23THRUST_200600_302600_NS6detail15normal_iteratorINS9_10device_ptrIiEEEESE_SE_iNS9_4plusIiEE19head_flag_predicateiEE10hipError_tPvRmT2_T3_T4_T5_mT6_T7_P12ihipStream_tbENKUlT_T0_E_clISt17integral_constantIbLb0EESX_IbLb1EEEEDaST_SU_EUlST_E_NS1_11comp_targetILNS1_3genE9ELNS1_11target_archE1100ELNS1_3gpuE3ELNS1_3repE0EEENS1_30default_config_static_selectorELNS0_4arch9wavefront6targetE1EEEvT1_
    .private_segment_fixed_size: 0
    .sgpr_count:     4
    .sgpr_spill_count: 0
    .symbol:         _ZN7rocprim17ROCPRIM_400000_NS6detail17trampoline_kernelINS0_14default_configENS1_27scan_by_key_config_selectorIiiEEZZNS1_16scan_by_key_implILNS1_25lookback_scan_determinismE0ELb0ES3_N6thrust23THRUST_200600_302600_NS6detail15normal_iteratorINS9_10device_ptrIiEEEESE_SE_iNS9_4plusIiEE19head_flag_predicateiEE10hipError_tPvRmT2_T3_T4_T5_mT6_T7_P12ihipStream_tbENKUlT_T0_E_clISt17integral_constantIbLb0EESX_IbLb1EEEEDaST_SU_EUlST_E_NS1_11comp_targetILNS1_3genE9ELNS1_11target_archE1100ELNS1_3gpuE3ELNS1_3repE0EEENS1_30default_config_static_selectorELNS0_4arch9wavefront6targetE1EEEvT1_.kd
    .uniform_work_group_size: 1
    .uses_dynamic_stack: false
    .vgpr_count:     0
    .vgpr_spill_count: 0
    .wavefront_size: 64
  - .agpr_count:     0
    .args:
      - .offset:         0
        .size:           112
        .value_kind:     by_value
    .group_segment_fixed_size: 0
    .kernarg_segment_align: 8
    .kernarg_segment_size: 112
    .language:       OpenCL C
    .language_version:
      - 2
      - 0
    .max_flat_workgroup_size: 256
    .name:           _ZN7rocprim17ROCPRIM_400000_NS6detail17trampoline_kernelINS0_14default_configENS1_27scan_by_key_config_selectorIiiEEZZNS1_16scan_by_key_implILNS1_25lookback_scan_determinismE0ELb0ES3_N6thrust23THRUST_200600_302600_NS6detail15normal_iteratorINS9_10device_ptrIiEEEESE_SE_iNS9_4plusIiEE19head_flag_predicateiEE10hipError_tPvRmT2_T3_T4_T5_mT6_T7_P12ihipStream_tbENKUlT_T0_E_clISt17integral_constantIbLb0EESX_IbLb1EEEEDaST_SU_EUlST_E_NS1_11comp_targetILNS1_3genE8ELNS1_11target_archE1030ELNS1_3gpuE2ELNS1_3repE0EEENS1_30default_config_static_selectorELNS0_4arch9wavefront6targetE1EEEvT1_
    .private_segment_fixed_size: 0
    .sgpr_count:     4
    .sgpr_spill_count: 0
    .symbol:         _ZN7rocprim17ROCPRIM_400000_NS6detail17trampoline_kernelINS0_14default_configENS1_27scan_by_key_config_selectorIiiEEZZNS1_16scan_by_key_implILNS1_25lookback_scan_determinismE0ELb0ES3_N6thrust23THRUST_200600_302600_NS6detail15normal_iteratorINS9_10device_ptrIiEEEESE_SE_iNS9_4plusIiEE19head_flag_predicateiEE10hipError_tPvRmT2_T3_T4_T5_mT6_T7_P12ihipStream_tbENKUlT_T0_E_clISt17integral_constantIbLb0EESX_IbLb1EEEEDaST_SU_EUlST_E_NS1_11comp_targetILNS1_3genE8ELNS1_11target_archE1030ELNS1_3gpuE2ELNS1_3repE0EEENS1_30default_config_static_selectorELNS0_4arch9wavefront6targetE1EEEvT1_.kd
    .uniform_work_group_size: 1
    .uses_dynamic_stack: false
    .vgpr_count:     0
    .vgpr_spill_count: 0
    .wavefront_size: 64
  - .agpr_count:     0
    .args:
      - .offset:         0
        .size:           112
        .value_kind:     by_value
    .group_segment_fixed_size: 0
    .kernarg_segment_align: 8
    .kernarg_segment_size: 112
    .language:       OpenCL C
    .language_version:
      - 2
      - 0
    .max_flat_workgroup_size: 256
    .name:           _ZN7rocprim17ROCPRIM_400000_NS6detail17trampoline_kernelINS0_14default_configENS1_27scan_by_key_config_selectorIiiEEZZNS1_16scan_by_key_implILNS1_25lookback_scan_determinismE0ELb1ES3_N6thrust23THRUST_200600_302600_NS6detail15normal_iteratorINS9_10device_ptrIiEEEESE_SE_iNS9_4plusIiEE19head_flag_predicateiEE10hipError_tPvRmT2_T3_T4_T5_mT6_T7_P12ihipStream_tbENKUlT_T0_E_clISt17integral_constantIbLb0EESY_EEDaST_SU_EUlST_E_NS1_11comp_targetILNS1_3genE0ELNS1_11target_archE4294967295ELNS1_3gpuE0ELNS1_3repE0EEENS1_30default_config_static_selectorELNS0_4arch9wavefront6targetE1EEEvT1_
    .private_segment_fixed_size: 0
    .sgpr_count:     4
    .sgpr_spill_count: 0
    .symbol:         _ZN7rocprim17ROCPRIM_400000_NS6detail17trampoline_kernelINS0_14default_configENS1_27scan_by_key_config_selectorIiiEEZZNS1_16scan_by_key_implILNS1_25lookback_scan_determinismE0ELb1ES3_N6thrust23THRUST_200600_302600_NS6detail15normal_iteratorINS9_10device_ptrIiEEEESE_SE_iNS9_4plusIiEE19head_flag_predicateiEE10hipError_tPvRmT2_T3_T4_T5_mT6_T7_P12ihipStream_tbENKUlT_T0_E_clISt17integral_constantIbLb0EESY_EEDaST_SU_EUlST_E_NS1_11comp_targetILNS1_3genE0ELNS1_11target_archE4294967295ELNS1_3gpuE0ELNS1_3repE0EEENS1_30default_config_static_selectorELNS0_4arch9wavefront6targetE1EEEvT1_.kd
    .uniform_work_group_size: 1
    .uses_dynamic_stack: false
    .vgpr_count:     0
    .vgpr_spill_count: 0
    .wavefront_size: 64
  - .agpr_count:     0
    .args:
      - .offset:         0
        .size:           112
        .value_kind:     by_value
    .group_segment_fixed_size: 0
    .kernarg_segment_align: 8
    .kernarg_segment_size: 112
    .language:       OpenCL C
    .language_version:
      - 2
      - 0
    .max_flat_workgroup_size: 256
    .name:           _ZN7rocprim17ROCPRIM_400000_NS6detail17trampoline_kernelINS0_14default_configENS1_27scan_by_key_config_selectorIiiEEZZNS1_16scan_by_key_implILNS1_25lookback_scan_determinismE0ELb1ES3_N6thrust23THRUST_200600_302600_NS6detail15normal_iteratorINS9_10device_ptrIiEEEESE_SE_iNS9_4plusIiEE19head_flag_predicateiEE10hipError_tPvRmT2_T3_T4_T5_mT6_T7_P12ihipStream_tbENKUlT_T0_E_clISt17integral_constantIbLb0EESY_EEDaST_SU_EUlST_E_NS1_11comp_targetILNS1_3genE10ELNS1_11target_archE1201ELNS1_3gpuE5ELNS1_3repE0EEENS1_30default_config_static_selectorELNS0_4arch9wavefront6targetE1EEEvT1_
    .private_segment_fixed_size: 0
    .sgpr_count:     4
    .sgpr_spill_count: 0
    .symbol:         _ZN7rocprim17ROCPRIM_400000_NS6detail17trampoline_kernelINS0_14default_configENS1_27scan_by_key_config_selectorIiiEEZZNS1_16scan_by_key_implILNS1_25lookback_scan_determinismE0ELb1ES3_N6thrust23THRUST_200600_302600_NS6detail15normal_iteratorINS9_10device_ptrIiEEEESE_SE_iNS9_4plusIiEE19head_flag_predicateiEE10hipError_tPvRmT2_T3_T4_T5_mT6_T7_P12ihipStream_tbENKUlT_T0_E_clISt17integral_constantIbLb0EESY_EEDaST_SU_EUlST_E_NS1_11comp_targetILNS1_3genE10ELNS1_11target_archE1201ELNS1_3gpuE5ELNS1_3repE0EEENS1_30default_config_static_selectorELNS0_4arch9wavefront6targetE1EEEvT1_.kd
    .uniform_work_group_size: 1
    .uses_dynamic_stack: false
    .vgpr_count:     0
    .vgpr_spill_count: 0
    .wavefront_size: 64
  - .agpr_count:     0
    .args:
      - .offset:         0
        .size:           112
        .value_kind:     by_value
    .group_segment_fixed_size: 0
    .kernarg_segment_align: 8
    .kernarg_segment_size: 112
    .language:       OpenCL C
    .language_version:
      - 2
      - 0
    .max_flat_workgroup_size: 256
    .name:           _ZN7rocprim17ROCPRIM_400000_NS6detail17trampoline_kernelINS0_14default_configENS1_27scan_by_key_config_selectorIiiEEZZNS1_16scan_by_key_implILNS1_25lookback_scan_determinismE0ELb1ES3_N6thrust23THRUST_200600_302600_NS6detail15normal_iteratorINS9_10device_ptrIiEEEESE_SE_iNS9_4plusIiEE19head_flag_predicateiEE10hipError_tPvRmT2_T3_T4_T5_mT6_T7_P12ihipStream_tbENKUlT_T0_E_clISt17integral_constantIbLb0EESY_EEDaST_SU_EUlST_E_NS1_11comp_targetILNS1_3genE5ELNS1_11target_archE942ELNS1_3gpuE9ELNS1_3repE0EEENS1_30default_config_static_selectorELNS0_4arch9wavefront6targetE1EEEvT1_
    .private_segment_fixed_size: 0
    .sgpr_count:     4
    .sgpr_spill_count: 0
    .symbol:         _ZN7rocprim17ROCPRIM_400000_NS6detail17trampoline_kernelINS0_14default_configENS1_27scan_by_key_config_selectorIiiEEZZNS1_16scan_by_key_implILNS1_25lookback_scan_determinismE0ELb1ES3_N6thrust23THRUST_200600_302600_NS6detail15normal_iteratorINS9_10device_ptrIiEEEESE_SE_iNS9_4plusIiEE19head_flag_predicateiEE10hipError_tPvRmT2_T3_T4_T5_mT6_T7_P12ihipStream_tbENKUlT_T0_E_clISt17integral_constantIbLb0EESY_EEDaST_SU_EUlST_E_NS1_11comp_targetILNS1_3genE5ELNS1_11target_archE942ELNS1_3gpuE9ELNS1_3repE0EEENS1_30default_config_static_selectorELNS0_4arch9wavefront6targetE1EEEvT1_.kd
    .uniform_work_group_size: 1
    .uses_dynamic_stack: false
    .vgpr_count:     0
    .vgpr_spill_count: 0
    .wavefront_size: 64
  - .agpr_count:     0
    .args:
      - .offset:         0
        .size:           112
        .value_kind:     by_value
    .group_segment_fixed_size: 16384
    .kernarg_segment_align: 8
    .kernarg_segment_size: 112
    .language:       OpenCL C
    .language_version:
      - 2
      - 0
    .max_flat_workgroup_size: 256
    .name:           _ZN7rocprim17ROCPRIM_400000_NS6detail17trampoline_kernelINS0_14default_configENS1_27scan_by_key_config_selectorIiiEEZZNS1_16scan_by_key_implILNS1_25lookback_scan_determinismE0ELb1ES3_N6thrust23THRUST_200600_302600_NS6detail15normal_iteratorINS9_10device_ptrIiEEEESE_SE_iNS9_4plusIiEE19head_flag_predicateiEE10hipError_tPvRmT2_T3_T4_T5_mT6_T7_P12ihipStream_tbENKUlT_T0_E_clISt17integral_constantIbLb0EESY_EEDaST_SU_EUlST_E_NS1_11comp_targetILNS1_3genE4ELNS1_11target_archE910ELNS1_3gpuE8ELNS1_3repE0EEENS1_30default_config_static_selectorELNS0_4arch9wavefront6targetE1EEEvT1_
    .private_segment_fixed_size: 0
    .sgpr_count:     64
    .sgpr_spill_count: 0
    .symbol:         _ZN7rocprim17ROCPRIM_400000_NS6detail17trampoline_kernelINS0_14default_configENS1_27scan_by_key_config_selectorIiiEEZZNS1_16scan_by_key_implILNS1_25lookback_scan_determinismE0ELb1ES3_N6thrust23THRUST_200600_302600_NS6detail15normal_iteratorINS9_10device_ptrIiEEEESE_SE_iNS9_4plusIiEE19head_flag_predicateiEE10hipError_tPvRmT2_T3_T4_T5_mT6_T7_P12ihipStream_tbENKUlT_T0_E_clISt17integral_constantIbLb0EESY_EEDaST_SU_EUlST_E_NS1_11comp_targetILNS1_3genE4ELNS1_11target_archE910ELNS1_3gpuE8ELNS1_3repE0EEENS1_30default_config_static_selectorELNS0_4arch9wavefront6targetE1EEEvT1_.kd
    .uniform_work_group_size: 1
    .uses_dynamic_stack: false
    .vgpr_count:     65
    .vgpr_spill_count: 0
    .wavefront_size: 64
  - .agpr_count:     0
    .args:
      - .offset:         0
        .size:           112
        .value_kind:     by_value
    .group_segment_fixed_size: 0
    .kernarg_segment_align: 8
    .kernarg_segment_size: 112
    .language:       OpenCL C
    .language_version:
      - 2
      - 0
    .max_flat_workgroup_size: 256
    .name:           _ZN7rocprim17ROCPRIM_400000_NS6detail17trampoline_kernelINS0_14default_configENS1_27scan_by_key_config_selectorIiiEEZZNS1_16scan_by_key_implILNS1_25lookback_scan_determinismE0ELb1ES3_N6thrust23THRUST_200600_302600_NS6detail15normal_iteratorINS9_10device_ptrIiEEEESE_SE_iNS9_4plusIiEE19head_flag_predicateiEE10hipError_tPvRmT2_T3_T4_T5_mT6_T7_P12ihipStream_tbENKUlT_T0_E_clISt17integral_constantIbLb0EESY_EEDaST_SU_EUlST_E_NS1_11comp_targetILNS1_3genE3ELNS1_11target_archE908ELNS1_3gpuE7ELNS1_3repE0EEENS1_30default_config_static_selectorELNS0_4arch9wavefront6targetE1EEEvT1_
    .private_segment_fixed_size: 0
    .sgpr_count:     4
    .sgpr_spill_count: 0
    .symbol:         _ZN7rocprim17ROCPRIM_400000_NS6detail17trampoline_kernelINS0_14default_configENS1_27scan_by_key_config_selectorIiiEEZZNS1_16scan_by_key_implILNS1_25lookback_scan_determinismE0ELb1ES3_N6thrust23THRUST_200600_302600_NS6detail15normal_iteratorINS9_10device_ptrIiEEEESE_SE_iNS9_4plusIiEE19head_flag_predicateiEE10hipError_tPvRmT2_T3_T4_T5_mT6_T7_P12ihipStream_tbENKUlT_T0_E_clISt17integral_constantIbLb0EESY_EEDaST_SU_EUlST_E_NS1_11comp_targetILNS1_3genE3ELNS1_11target_archE908ELNS1_3gpuE7ELNS1_3repE0EEENS1_30default_config_static_selectorELNS0_4arch9wavefront6targetE1EEEvT1_.kd
    .uniform_work_group_size: 1
    .uses_dynamic_stack: false
    .vgpr_count:     0
    .vgpr_spill_count: 0
    .wavefront_size: 64
  - .agpr_count:     0
    .args:
      - .offset:         0
        .size:           112
        .value_kind:     by_value
    .group_segment_fixed_size: 0
    .kernarg_segment_align: 8
    .kernarg_segment_size: 112
    .language:       OpenCL C
    .language_version:
      - 2
      - 0
    .max_flat_workgroup_size: 256
    .name:           _ZN7rocprim17ROCPRIM_400000_NS6detail17trampoline_kernelINS0_14default_configENS1_27scan_by_key_config_selectorIiiEEZZNS1_16scan_by_key_implILNS1_25lookback_scan_determinismE0ELb1ES3_N6thrust23THRUST_200600_302600_NS6detail15normal_iteratorINS9_10device_ptrIiEEEESE_SE_iNS9_4plusIiEE19head_flag_predicateiEE10hipError_tPvRmT2_T3_T4_T5_mT6_T7_P12ihipStream_tbENKUlT_T0_E_clISt17integral_constantIbLb0EESY_EEDaST_SU_EUlST_E_NS1_11comp_targetILNS1_3genE2ELNS1_11target_archE906ELNS1_3gpuE6ELNS1_3repE0EEENS1_30default_config_static_selectorELNS0_4arch9wavefront6targetE1EEEvT1_
    .private_segment_fixed_size: 0
    .sgpr_count:     4
    .sgpr_spill_count: 0
    .symbol:         _ZN7rocprim17ROCPRIM_400000_NS6detail17trampoline_kernelINS0_14default_configENS1_27scan_by_key_config_selectorIiiEEZZNS1_16scan_by_key_implILNS1_25lookback_scan_determinismE0ELb1ES3_N6thrust23THRUST_200600_302600_NS6detail15normal_iteratorINS9_10device_ptrIiEEEESE_SE_iNS9_4plusIiEE19head_flag_predicateiEE10hipError_tPvRmT2_T3_T4_T5_mT6_T7_P12ihipStream_tbENKUlT_T0_E_clISt17integral_constantIbLb0EESY_EEDaST_SU_EUlST_E_NS1_11comp_targetILNS1_3genE2ELNS1_11target_archE906ELNS1_3gpuE6ELNS1_3repE0EEENS1_30default_config_static_selectorELNS0_4arch9wavefront6targetE1EEEvT1_.kd
    .uniform_work_group_size: 1
    .uses_dynamic_stack: false
    .vgpr_count:     0
    .vgpr_spill_count: 0
    .wavefront_size: 64
  - .agpr_count:     0
    .args:
      - .offset:         0
        .size:           112
        .value_kind:     by_value
    .group_segment_fixed_size: 0
    .kernarg_segment_align: 8
    .kernarg_segment_size: 112
    .language:       OpenCL C
    .language_version:
      - 2
      - 0
    .max_flat_workgroup_size: 256
    .name:           _ZN7rocprim17ROCPRIM_400000_NS6detail17trampoline_kernelINS0_14default_configENS1_27scan_by_key_config_selectorIiiEEZZNS1_16scan_by_key_implILNS1_25lookback_scan_determinismE0ELb1ES3_N6thrust23THRUST_200600_302600_NS6detail15normal_iteratorINS9_10device_ptrIiEEEESE_SE_iNS9_4plusIiEE19head_flag_predicateiEE10hipError_tPvRmT2_T3_T4_T5_mT6_T7_P12ihipStream_tbENKUlT_T0_E_clISt17integral_constantIbLb0EESY_EEDaST_SU_EUlST_E_NS1_11comp_targetILNS1_3genE10ELNS1_11target_archE1200ELNS1_3gpuE4ELNS1_3repE0EEENS1_30default_config_static_selectorELNS0_4arch9wavefront6targetE1EEEvT1_
    .private_segment_fixed_size: 0
    .sgpr_count:     4
    .sgpr_spill_count: 0
    .symbol:         _ZN7rocprim17ROCPRIM_400000_NS6detail17trampoline_kernelINS0_14default_configENS1_27scan_by_key_config_selectorIiiEEZZNS1_16scan_by_key_implILNS1_25lookback_scan_determinismE0ELb1ES3_N6thrust23THRUST_200600_302600_NS6detail15normal_iteratorINS9_10device_ptrIiEEEESE_SE_iNS9_4plusIiEE19head_flag_predicateiEE10hipError_tPvRmT2_T3_T4_T5_mT6_T7_P12ihipStream_tbENKUlT_T0_E_clISt17integral_constantIbLb0EESY_EEDaST_SU_EUlST_E_NS1_11comp_targetILNS1_3genE10ELNS1_11target_archE1200ELNS1_3gpuE4ELNS1_3repE0EEENS1_30default_config_static_selectorELNS0_4arch9wavefront6targetE1EEEvT1_.kd
    .uniform_work_group_size: 1
    .uses_dynamic_stack: false
    .vgpr_count:     0
    .vgpr_spill_count: 0
    .wavefront_size: 64
  - .agpr_count:     0
    .args:
      - .offset:         0
        .size:           112
        .value_kind:     by_value
    .group_segment_fixed_size: 0
    .kernarg_segment_align: 8
    .kernarg_segment_size: 112
    .language:       OpenCL C
    .language_version:
      - 2
      - 0
    .max_flat_workgroup_size: 256
    .name:           _ZN7rocprim17ROCPRIM_400000_NS6detail17trampoline_kernelINS0_14default_configENS1_27scan_by_key_config_selectorIiiEEZZNS1_16scan_by_key_implILNS1_25lookback_scan_determinismE0ELb1ES3_N6thrust23THRUST_200600_302600_NS6detail15normal_iteratorINS9_10device_ptrIiEEEESE_SE_iNS9_4plusIiEE19head_flag_predicateiEE10hipError_tPvRmT2_T3_T4_T5_mT6_T7_P12ihipStream_tbENKUlT_T0_E_clISt17integral_constantIbLb0EESY_EEDaST_SU_EUlST_E_NS1_11comp_targetILNS1_3genE9ELNS1_11target_archE1100ELNS1_3gpuE3ELNS1_3repE0EEENS1_30default_config_static_selectorELNS0_4arch9wavefront6targetE1EEEvT1_
    .private_segment_fixed_size: 0
    .sgpr_count:     4
    .sgpr_spill_count: 0
    .symbol:         _ZN7rocprim17ROCPRIM_400000_NS6detail17trampoline_kernelINS0_14default_configENS1_27scan_by_key_config_selectorIiiEEZZNS1_16scan_by_key_implILNS1_25lookback_scan_determinismE0ELb1ES3_N6thrust23THRUST_200600_302600_NS6detail15normal_iteratorINS9_10device_ptrIiEEEESE_SE_iNS9_4plusIiEE19head_flag_predicateiEE10hipError_tPvRmT2_T3_T4_T5_mT6_T7_P12ihipStream_tbENKUlT_T0_E_clISt17integral_constantIbLb0EESY_EEDaST_SU_EUlST_E_NS1_11comp_targetILNS1_3genE9ELNS1_11target_archE1100ELNS1_3gpuE3ELNS1_3repE0EEENS1_30default_config_static_selectorELNS0_4arch9wavefront6targetE1EEEvT1_.kd
    .uniform_work_group_size: 1
    .uses_dynamic_stack: false
    .vgpr_count:     0
    .vgpr_spill_count: 0
    .wavefront_size: 64
  - .agpr_count:     0
    .args:
      - .offset:         0
        .size:           112
        .value_kind:     by_value
    .group_segment_fixed_size: 0
    .kernarg_segment_align: 8
    .kernarg_segment_size: 112
    .language:       OpenCL C
    .language_version:
      - 2
      - 0
    .max_flat_workgroup_size: 256
    .name:           _ZN7rocprim17ROCPRIM_400000_NS6detail17trampoline_kernelINS0_14default_configENS1_27scan_by_key_config_selectorIiiEEZZNS1_16scan_by_key_implILNS1_25lookback_scan_determinismE0ELb1ES3_N6thrust23THRUST_200600_302600_NS6detail15normal_iteratorINS9_10device_ptrIiEEEESE_SE_iNS9_4plusIiEE19head_flag_predicateiEE10hipError_tPvRmT2_T3_T4_T5_mT6_T7_P12ihipStream_tbENKUlT_T0_E_clISt17integral_constantIbLb0EESY_EEDaST_SU_EUlST_E_NS1_11comp_targetILNS1_3genE8ELNS1_11target_archE1030ELNS1_3gpuE2ELNS1_3repE0EEENS1_30default_config_static_selectorELNS0_4arch9wavefront6targetE1EEEvT1_
    .private_segment_fixed_size: 0
    .sgpr_count:     4
    .sgpr_spill_count: 0
    .symbol:         _ZN7rocprim17ROCPRIM_400000_NS6detail17trampoline_kernelINS0_14default_configENS1_27scan_by_key_config_selectorIiiEEZZNS1_16scan_by_key_implILNS1_25lookback_scan_determinismE0ELb1ES3_N6thrust23THRUST_200600_302600_NS6detail15normal_iteratorINS9_10device_ptrIiEEEESE_SE_iNS9_4plusIiEE19head_flag_predicateiEE10hipError_tPvRmT2_T3_T4_T5_mT6_T7_P12ihipStream_tbENKUlT_T0_E_clISt17integral_constantIbLb0EESY_EEDaST_SU_EUlST_E_NS1_11comp_targetILNS1_3genE8ELNS1_11target_archE1030ELNS1_3gpuE2ELNS1_3repE0EEENS1_30default_config_static_selectorELNS0_4arch9wavefront6targetE1EEEvT1_.kd
    .uniform_work_group_size: 1
    .uses_dynamic_stack: false
    .vgpr_count:     0
    .vgpr_spill_count: 0
    .wavefront_size: 64
  - .agpr_count:     0
    .args:
      - .offset:         0
        .size:           112
        .value_kind:     by_value
    .group_segment_fixed_size: 0
    .kernarg_segment_align: 8
    .kernarg_segment_size: 112
    .language:       OpenCL C
    .language_version:
      - 2
      - 0
    .max_flat_workgroup_size: 256
    .name:           _ZN7rocprim17ROCPRIM_400000_NS6detail17trampoline_kernelINS0_14default_configENS1_27scan_by_key_config_selectorIiiEEZZNS1_16scan_by_key_implILNS1_25lookback_scan_determinismE0ELb1ES3_N6thrust23THRUST_200600_302600_NS6detail15normal_iteratorINS9_10device_ptrIiEEEESE_SE_iNS9_4plusIiEE19head_flag_predicateiEE10hipError_tPvRmT2_T3_T4_T5_mT6_T7_P12ihipStream_tbENKUlT_T0_E_clISt17integral_constantIbLb1EESY_EEDaST_SU_EUlST_E_NS1_11comp_targetILNS1_3genE0ELNS1_11target_archE4294967295ELNS1_3gpuE0ELNS1_3repE0EEENS1_30default_config_static_selectorELNS0_4arch9wavefront6targetE1EEEvT1_
    .private_segment_fixed_size: 0
    .sgpr_count:     4
    .sgpr_spill_count: 0
    .symbol:         _ZN7rocprim17ROCPRIM_400000_NS6detail17trampoline_kernelINS0_14default_configENS1_27scan_by_key_config_selectorIiiEEZZNS1_16scan_by_key_implILNS1_25lookback_scan_determinismE0ELb1ES3_N6thrust23THRUST_200600_302600_NS6detail15normal_iteratorINS9_10device_ptrIiEEEESE_SE_iNS9_4plusIiEE19head_flag_predicateiEE10hipError_tPvRmT2_T3_T4_T5_mT6_T7_P12ihipStream_tbENKUlT_T0_E_clISt17integral_constantIbLb1EESY_EEDaST_SU_EUlST_E_NS1_11comp_targetILNS1_3genE0ELNS1_11target_archE4294967295ELNS1_3gpuE0ELNS1_3repE0EEENS1_30default_config_static_selectorELNS0_4arch9wavefront6targetE1EEEvT1_.kd
    .uniform_work_group_size: 1
    .uses_dynamic_stack: false
    .vgpr_count:     0
    .vgpr_spill_count: 0
    .wavefront_size: 64
  - .agpr_count:     0
    .args:
      - .offset:         0
        .size:           112
        .value_kind:     by_value
    .group_segment_fixed_size: 0
    .kernarg_segment_align: 8
    .kernarg_segment_size: 112
    .language:       OpenCL C
    .language_version:
      - 2
      - 0
    .max_flat_workgroup_size: 256
    .name:           _ZN7rocprim17ROCPRIM_400000_NS6detail17trampoline_kernelINS0_14default_configENS1_27scan_by_key_config_selectorIiiEEZZNS1_16scan_by_key_implILNS1_25lookback_scan_determinismE0ELb1ES3_N6thrust23THRUST_200600_302600_NS6detail15normal_iteratorINS9_10device_ptrIiEEEESE_SE_iNS9_4plusIiEE19head_flag_predicateiEE10hipError_tPvRmT2_T3_T4_T5_mT6_T7_P12ihipStream_tbENKUlT_T0_E_clISt17integral_constantIbLb1EESY_EEDaST_SU_EUlST_E_NS1_11comp_targetILNS1_3genE10ELNS1_11target_archE1201ELNS1_3gpuE5ELNS1_3repE0EEENS1_30default_config_static_selectorELNS0_4arch9wavefront6targetE1EEEvT1_
    .private_segment_fixed_size: 0
    .sgpr_count:     4
    .sgpr_spill_count: 0
    .symbol:         _ZN7rocprim17ROCPRIM_400000_NS6detail17trampoline_kernelINS0_14default_configENS1_27scan_by_key_config_selectorIiiEEZZNS1_16scan_by_key_implILNS1_25lookback_scan_determinismE0ELb1ES3_N6thrust23THRUST_200600_302600_NS6detail15normal_iteratorINS9_10device_ptrIiEEEESE_SE_iNS9_4plusIiEE19head_flag_predicateiEE10hipError_tPvRmT2_T3_T4_T5_mT6_T7_P12ihipStream_tbENKUlT_T0_E_clISt17integral_constantIbLb1EESY_EEDaST_SU_EUlST_E_NS1_11comp_targetILNS1_3genE10ELNS1_11target_archE1201ELNS1_3gpuE5ELNS1_3repE0EEENS1_30default_config_static_selectorELNS0_4arch9wavefront6targetE1EEEvT1_.kd
    .uniform_work_group_size: 1
    .uses_dynamic_stack: false
    .vgpr_count:     0
    .vgpr_spill_count: 0
    .wavefront_size: 64
  - .agpr_count:     0
    .args:
      - .offset:         0
        .size:           112
        .value_kind:     by_value
    .group_segment_fixed_size: 0
    .kernarg_segment_align: 8
    .kernarg_segment_size: 112
    .language:       OpenCL C
    .language_version:
      - 2
      - 0
    .max_flat_workgroup_size: 256
    .name:           _ZN7rocprim17ROCPRIM_400000_NS6detail17trampoline_kernelINS0_14default_configENS1_27scan_by_key_config_selectorIiiEEZZNS1_16scan_by_key_implILNS1_25lookback_scan_determinismE0ELb1ES3_N6thrust23THRUST_200600_302600_NS6detail15normal_iteratorINS9_10device_ptrIiEEEESE_SE_iNS9_4plusIiEE19head_flag_predicateiEE10hipError_tPvRmT2_T3_T4_T5_mT6_T7_P12ihipStream_tbENKUlT_T0_E_clISt17integral_constantIbLb1EESY_EEDaST_SU_EUlST_E_NS1_11comp_targetILNS1_3genE5ELNS1_11target_archE942ELNS1_3gpuE9ELNS1_3repE0EEENS1_30default_config_static_selectorELNS0_4arch9wavefront6targetE1EEEvT1_
    .private_segment_fixed_size: 0
    .sgpr_count:     4
    .sgpr_spill_count: 0
    .symbol:         _ZN7rocprim17ROCPRIM_400000_NS6detail17trampoline_kernelINS0_14default_configENS1_27scan_by_key_config_selectorIiiEEZZNS1_16scan_by_key_implILNS1_25lookback_scan_determinismE0ELb1ES3_N6thrust23THRUST_200600_302600_NS6detail15normal_iteratorINS9_10device_ptrIiEEEESE_SE_iNS9_4plusIiEE19head_flag_predicateiEE10hipError_tPvRmT2_T3_T4_T5_mT6_T7_P12ihipStream_tbENKUlT_T0_E_clISt17integral_constantIbLb1EESY_EEDaST_SU_EUlST_E_NS1_11comp_targetILNS1_3genE5ELNS1_11target_archE942ELNS1_3gpuE9ELNS1_3repE0EEENS1_30default_config_static_selectorELNS0_4arch9wavefront6targetE1EEEvT1_.kd
    .uniform_work_group_size: 1
    .uses_dynamic_stack: false
    .vgpr_count:     0
    .vgpr_spill_count: 0
    .wavefront_size: 64
  - .agpr_count:     0
    .args:
      - .offset:         0
        .size:           112
        .value_kind:     by_value
    .group_segment_fixed_size: 16384
    .kernarg_segment_align: 8
    .kernarg_segment_size: 112
    .language:       OpenCL C
    .language_version:
      - 2
      - 0
    .max_flat_workgroup_size: 256
    .name:           _ZN7rocprim17ROCPRIM_400000_NS6detail17trampoline_kernelINS0_14default_configENS1_27scan_by_key_config_selectorIiiEEZZNS1_16scan_by_key_implILNS1_25lookback_scan_determinismE0ELb1ES3_N6thrust23THRUST_200600_302600_NS6detail15normal_iteratorINS9_10device_ptrIiEEEESE_SE_iNS9_4plusIiEE19head_flag_predicateiEE10hipError_tPvRmT2_T3_T4_T5_mT6_T7_P12ihipStream_tbENKUlT_T0_E_clISt17integral_constantIbLb1EESY_EEDaST_SU_EUlST_E_NS1_11comp_targetILNS1_3genE4ELNS1_11target_archE910ELNS1_3gpuE8ELNS1_3repE0EEENS1_30default_config_static_selectorELNS0_4arch9wavefront6targetE1EEEvT1_
    .private_segment_fixed_size: 0
    .sgpr_count:     64
    .sgpr_spill_count: 0
    .symbol:         _ZN7rocprim17ROCPRIM_400000_NS6detail17trampoline_kernelINS0_14default_configENS1_27scan_by_key_config_selectorIiiEEZZNS1_16scan_by_key_implILNS1_25lookback_scan_determinismE0ELb1ES3_N6thrust23THRUST_200600_302600_NS6detail15normal_iteratorINS9_10device_ptrIiEEEESE_SE_iNS9_4plusIiEE19head_flag_predicateiEE10hipError_tPvRmT2_T3_T4_T5_mT6_T7_P12ihipStream_tbENKUlT_T0_E_clISt17integral_constantIbLb1EESY_EEDaST_SU_EUlST_E_NS1_11comp_targetILNS1_3genE4ELNS1_11target_archE910ELNS1_3gpuE8ELNS1_3repE0EEENS1_30default_config_static_selectorELNS0_4arch9wavefront6targetE1EEEvT1_.kd
    .uniform_work_group_size: 1
    .uses_dynamic_stack: false
    .vgpr_count:     67
    .vgpr_spill_count: 0
    .wavefront_size: 64
  - .agpr_count:     0
    .args:
      - .offset:         0
        .size:           112
        .value_kind:     by_value
    .group_segment_fixed_size: 0
    .kernarg_segment_align: 8
    .kernarg_segment_size: 112
    .language:       OpenCL C
    .language_version:
      - 2
      - 0
    .max_flat_workgroup_size: 256
    .name:           _ZN7rocprim17ROCPRIM_400000_NS6detail17trampoline_kernelINS0_14default_configENS1_27scan_by_key_config_selectorIiiEEZZNS1_16scan_by_key_implILNS1_25lookback_scan_determinismE0ELb1ES3_N6thrust23THRUST_200600_302600_NS6detail15normal_iteratorINS9_10device_ptrIiEEEESE_SE_iNS9_4plusIiEE19head_flag_predicateiEE10hipError_tPvRmT2_T3_T4_T5_mT6_T7_P12ihipStream_tbENKUlT_T0_E_clISt17integral_constantIbLb1EESY_EEDaST_SU_EUlST_E_NS1_11comp_targetILNS1_3genE3ELNS1_11target_archE908ELNS1_3gpuE7ELNS1_3repE0EEENS1_30default_config_static_selectorELNS0_4arch9wavefront6targetE1EEEvT1_
    .private_segment_fixed_size: 0
    .sgpr_count:     4
    .sgpr_spill_count: 0
    .symbol:         _ZN7rocprim17ROCPRIM_400000_NS6detail17trampoline_kernelINS0_14default_configENS1_27scan_by_key_config_selectorIiiEEZZNS1_16scan_by_key_implILNS1_25lookback_scan_determinismE0ELb1ES3_N6thrust23THRUST_200600_302600_NS6detail15normal_iteratorINS9_10device_ptrIiEEEESE_SE_iNS9_4plusIiEE19head_flag_predicateiEE10hipError_tPvRmT2_T3_T4_T5_mT6_T7_P12ihipStream_tbENKUlT_T0_E_clISt17integral_constantIbLb1EESY_EEDaST_SU_EUlST_E_NS1_11comp_targetILNS1_3genE3ELNS1_11target_archE908ELNS1_3gpuE7ELNS1_3repE0EEENS1_30default_config_static_selectorELNS0_4arch9wavefront6targetE1EEEvT1_.kd
    .uniform_work_group_size: 1
    .uses_dynamic_stack: false
    .vgpr_count:     0
    .vgpr_spill_count: 0
    .wavefront_size: 64
  - .agpr_count:     0
    .args:
      - .offset:         0
        .size:           112
        .value_kind:     by_value
    .group_segment_fixed_size: 0
    .kernarg_segment_align: 8
    .kernarg_segment_size: 112
    .language:       OpenCL C
    .language_version:
      - 2
      - 0
    .max_flat_workgroup_size: 256
    .name:           _ZN7rocprim17ROCPRIM_400000_NS6detail17trampoline_kernelINS0_14default_configENS1_27scan_by_key_config_selectorIiiEEZZNS1_16scan_by_key_implILNS1_25lookback_scan_determinismE0ELb1ES3_N6thrust23THRUST_200600_302600_NS6detail15normal_iteratorINS9_10device_ptrIiEEEESE_SE_iNS9_4plusIiEE19head_flag_predicateiEE10hipError_tPvRmT2_T3_T4_T5_mT6_T7_P12ihipStream_tbENKUlT_T0_E_clISt17integral_constantIbLb1EESY_EEDaST_SU_EUlST_E_NS1_11comp_targetILNS1_3genE2ELNS1_11target_archE906ELNS1_3gpuE6ELNS1_3repE0EEENS1_30default_config_static_selectorELNS0_4arch9wavefront6targetE1EEEvT1_
    .private_segment_fixed_size: 0
    .sgpr_count:     4
    .sgpr_spill_count: 0
    .symbol:         _ZN7rocprim17ROCPRIM_400000_NS6detail17trampoline_kernelINS0_14default_configENS1_27scan_by_key_config_selectorIiiEEZZNS1_16scan_by_key_implILNS1_25lookback_scan_determinismE0ELb1ES3_N6thrust23THRUST_200600_302600_NS6detail15normal_iteratorINS9_10device_ptrIiEEEESE_SE_iNS9_4plusIiEE19head_flag_predicateiEE10hipError_tPvRmT2_T3_T4_T5_mT6_T7_P12ihipStream_tbENKUlT_T0_E_clISt17integral_constantIbLb1EESY_EEDaST_SU_EUlST_E_NS1_11comp_targetILNS1_3genE2ELNS1_11target_archE906ELNS1_3gpuE6ELNS1_3repE0EEENS1_30default_config_static_selectorELNS0_4arch9wavefront6targetE1EEEvT1_.kd
    .uniform_work_group_size: 1
    .uses_dynamic_stack: false
    .vgpr_count:     0
    .vgpr_spill_count: 0
    .wavefront_size: 64
  - .agpr_count:     0
    .args:
      - .offset:         0
        .size:           112
        .value_kind:     by_value
    .group_segment_fixed_size: 0
    .kernarg_segment_align: 8
    .kernarg_segment_size: 112
    .language:       OpenCL C
    .language_version:
      - 2
      - 0
    .max_flat_workgroup_size: 256
    .name:           _ZN7rocprim17ROCPRIM_400000_NS6detail17trampoline_kernelINS0_14default_configENS1_27scan_by_key_config_selectorIiiEEZZNS1_16scan_by_key_implILNS1_25lookback_scan_determinismE0ELb1ES3_N6thrust23THRUST_200600_302600_NS6detail15normal_iteratorINS9_10device_ptrIiEEEESE_SE_iNS9_4plusIiEE19head_flag_predicateiEE10hipError_tPvRmT2_T3_T4_T5_mT6_T7_P12ihipStream_tbENKUlT_T0_E_clISt17integral_constantIbLb1EESY_EEDaST_SU_EUlST_E_NS1_11comp_targetILNS1_3genE10ELNS1_11target_archE1200ELNS1_3gpuE4ELNS1_3repE0EEENS1_30default_config_static_selectorELNS0_4arch9wavefront6targetE1EEEvT1_
    .private_segment_fixed_size: 0
    .sgpr_count:     4
    .sgpr_spill_count: 0
    .symbol:         _ZN7rocprim17ROCPRIM_400000_NS6detail17trampoline_kernelINS0_14default_configENS1_27scan_by_key_config_selectorIiiEEZZNS1_16scan_by_key_implILNS1_25lookback_scan_determinismE0ELb1ES3_N6thrust23THRUST_200600_302600_NS6detail15normal_iteratorINS9_10device_ptrIiEEEESE_SE_iNS9_4plusIiEE19head_flag_predicateiEE10hipError_tPvRmT2_T3_T4_T5_mT6_T7_P12ihipStream_tbENKUlT_T0_E_clISt17integral_constantIbLb1EESY_EEDaST_SU_EUlST_E_NS1_11comp_targetILNS1_3genE10ELNS1_11target_archE1200ELNS1_3gpuE4ELNS1_3repE0EEENS1_30default_config_static_selectorELNS0_4arch9wavefront6targetE1EEEvT1_.kd
    .uniform_work_group_size: 1
    .uses_dynamic_stack: false
    .vgpr_count:     0
    .vgpr_spill_count: 0
    .wavefront_size: 64
  - .agpr_count:     0
    .args:
      - .offset:         0
        .size:           112
        .value_kind:     by_value
    .group_segment_fixed_size: 0
    .kernarg_segment_align: 8
    .kernarg_segment_size: 112
    .language:       OpenCL C
    .language_version:
      - 2
      - 0
    .max_flat_workgroup_size: 256
    .name:           _ZN7rocprim17ROCPRIM_400000_NS6detail17trampoline_kernelINS0_14default_configENS1_27scan_by_key_config_selectorIiiEEZZNS1_16scan_by_key_implILNS1_25lookback_scan_determinismE0ELb1ES3_N6thrust23THRUST_200600_302600_NS6detail15normal_iteratorINS9_10device_ptrIiEEEESE_SE_iNS9_4plusIiEE19head_flag_predicateiEE10hipError_tPvRmT2_T3_T4_T5_mT6_T7_P12ihipStream_tbENKUlT_T0_E_clISt17integral_constantIbLb1EESY_EEDaST_SU_EUlST_E_NS1_11comp_targetILNS1_3genE9ELNS1_11target_archE1100ELNS1_3gpuE3ELNS1_3repE0EEENS1_30default_config_static_selectorELNS0_4arch9wavefront6targetE1EEEvT1_
    .private_segment_fixed_size: 0
    .sgpr_count:     4
    .sgpr_spill_count: 0
    .symbol:         _ZN7rocprim17ROCPRIM_400000_NS6detail17trampoline_kernelINS0_14default_configENS1_27scan_by_key_config_selectorIiiEEZZNS1_16scan_by_key_implILNS1_25lookback_scan_determinismE0ELb1ES3_N6thrust23THRUST_200600_302600_NS6detail15normal_iteratorINS9_10device_ptrIiEEEESE_SE_iNS9_4plusIiEE19head_flag_predicateiEE10hipError_tPvRmT2_T3_T4_T5_mT6_T7_P12ihipStream_tbENKUlT_T0_E_clISt17integral_constantIbLb1EESY_EEDaST_SU_EUlST_E_NS1_11comp_targetILNS1_3genE9ELNS1_11target_archE1100ELNS1_3gpuE3ELNS1_3repE0EEENS1_30default_config_static_selectorELNS0_4arch9wavefront6targetE1EEEvT1_.kd
    .uniform_work_group_size: 1
    .uses_dynamic_stack: false
    .vgpr_count:     0
    .vgpr_spill_count: 0
    .wavefront_size: 64
  - .agpr_count:     0
    .args:
      - .offset:         0
        .size:           112
        .value_kind:     by_value
    .group_segment_fixed_size: 0
    .kernarg_segment_align: 8
    .kernarg_segment_size: 112
    .language:       OpenCL C
    .language_version:
      - 2
      - 0
    .max_flat_workgroup_size: 256
    .name:           _ZN7rocprim17ROCPRIM_400000_NS6detail17trampoline_kernelINS0_14default_configENS1_27scan_by_key_config_selectorIiiEEZZNS1_16scan_by_key_implILNS1_25lookback_scan_determinismE0ELb1ES3_N6thrust23THRUST_200600_302600_NS6detail15normal_iteratorINS9_10device_ptrIiEEEESE_SE_iNS9_4plusIiEE19head_flag_predicateiEE10hipError_tPvRmT2_T3_T4_T5_mT6_T7_P12ihipStream_tbENKUlT_T0_E_clISt17integral_constantIbLb1EESY_EEDaST_SU_EUlST_E_NS1_11comp_targetILNS1_3genE8ELNS1_11target_archE1030ELNS1_3gpuE2ELNS1_3repE0EEENS1_30default_config_static_selectorELNS0_4arch9wavefront6targetE1EEEvT1_
    .private_segment_fixed_size: 0
    .sgpr_count:     4
    .sgpr_spill_count: 0
    .symbol:         _ZN7rocprim17ROCPRIM_400000_NS6detail17trampoline_kernelINS0_14default_configENS1_27scan_by_key_config_selectorIiiEEZZNS1_16scan_by_key_implILNS1_25lookback_scan_determinismE0ELb1ES3_N6thrust23THRUST_200600_302600_NS6detail15normal_iteratorINS9_10device_ptrIiEEEESE_SE_iNS9_4plusIiEE19head_flag_predicateiEE10hipError_tPvRmT2_T3_T4_T5_mT6_T7_P12ihipStream_tbENKUlT_T0_E_clISt17integral_constantIbLb1EESY_EEDaST_SU_EUlST_E_NS1_11comp_targetILNS1_3genE8ELNS1_11target_archE1030ELNS1_3gpuE2ELNS1_3repE0EEENS1_30default_config_static_selectorELNS0_4arch9wavefront6targetE1EEEvT1_.kd
    .uniform_work_group_size: 1
    .uses_dynamic_stack: false
    .vgpr_count:     0
    .vgpr_spill_count: 0
    .wavefront_size: 64
  - .agpr_count:     0
    .args:
      - .offset:         0
        .size:           112
        .value_kind:     by_value
    .group_segment_fixed_size: 0
    .kernarg_segment_align: 8
    .kernarg_segment_size: 112
    .language:       OpenCL C
    .language_version:
      - 2
      - 0
    .max_flat_workgroup_size: 256
    .name:           _ZN7rocprim17ROCPRIM_400000_NS6detail17trampoline_kernelINS0_14default_configENS1_27scan_by_key_config_selectorIiiEEZZNS1_16scan_by_key_implILNS1_25lookback_scan_determinismE0ELb1ES3_N6thrust23THRUST_200600_302600_NS6detail15normal_iteratorINS9_10device_ptrIiEEEESE_SE_iNS9_4plusIiEE19head_flag_predicateiEE10hipError_tPvRmT2_T3_T4_T5_mT6_T7_P12ihipStream_tbENKUlT_T0_E_clISt17integral_constantIbLb1EESX_IbLb0EEEEDaST_SU_EUlST_E_NS1_11comp_targetILNS1_3genE0ELNS1_11target_archE4294967295ELNS1_3gpuE0ELNS1_3repE0EEENS1_30default_config_static_selectorELNS0_4arch9wavefront6targetE1EEEvT1_
    .private_segment_fixed_size: 0
    .sgpr_count:     4
    .sgpr_spill_count: 0
    .symbol:         _ZN7rocprim17ROCPRIM_400000_NS6detail17trampoline_kernelINS0_14default_configENS1_27scan_by_key_config_selectorIiiEEZZNS1_16scan_by_key_implILNS1_25lookback_scan_determinismE0ELb1ES3_N6thrust23THRUST_200600_302600_NS6detail15normal_iteratorINS9_10device_ptrIiEEEESE_SE_iNS9_4plusIiEE19head_flag_predicateiEE10hipError_tPvRmT2_T3_T4_T5_mT6_T7_P12ihipStream_tbENKUlT_T0_E_clISt17integral_constantIbLb1EESX_IbLb0EEEEDaST_SU_EUlST_E_NS1_11comp_targetILNS1_3genE0ELNS1_11target_archE4294967295ELNS1_3gpuE0ELNS1_3repE0EEENS1_30default_config_static_selectorELNS0_4arch9wavefront6targetE1EEEvT1_.kd
    .uniform_work_group_size: 1
    .uses_dynamic_stack: false
    .vgpr_count:     0
    .vgpr_spill_count: 0
    .wavefront_size: 64
  - .agpr_count:     0
    .args:
      - .offset:         0
        .size:           112
        .value_kind:     by_value
    .group_segment_fixed_size: 0
    .kernarg_segment_align: 8
    .kernarg_segment_size: 112
    .language:       OpenCL C
    .language_version:
      - 2
      - 0
    .max_flat_workgroup_size: 256
    .name:           _ZN7rocprim17ROCPRIM_400000_NS6detail17trampoline_kernelINS0_14default_configENS1_27scan_by_key_config_selectorIiiEEZZNS1_16scan_by_key_implILNS1_25lookback_scan_determinismE0ELb1ES3_N6thrust23THRUST_200600_302600_NS6detail15normal_iteratorINS9_10device_ptrIiEEEESE_SE_iNS9_4plusIiEE19head_flag_predicateiEE10hipError_tPvRmT2_T3_T4_T5_mT6_T7_P12ihipStream_tbENKUlT_T0_E_clISt17integral_constantIbLb1EESX_IbLb0EEEEDaST_SU_EUlST_E_NS1_11comp_targetILNS1_3genE10ELNS1_11target_archE1201ELNS1_3gpuE5ELNS1_3repE0EEENS1_30default_config_static_selectorELNS0_4arch9wavefront6targetE1EEEvT1_
    .private_segment_fixed_size: 0
    .sgpr_count:     4
    .sgpr_spill_count: 0
    .symbol:         _ZN7rocprim17ROCPRIM_400000_NS6detail17trampoline_kernelINS0_14default_configENS1_27scan_by_key_config_selectorIiiEEZZNS1_16scan_by_key_implILNS1_25lookback_scan_determinismE0ELb1ES3_N6thrust23THRUST_200600_302600_NS6detail15normal_iteratorINS9_10device_ptrIiEEEESE_SE_iNS9_4plusIiEE19head_flag_predicateiEE10hipError_tPvRmT2_T3_T4_T5_mT6_T7_P12ihipStream_tbENKUlT_T0_E_clISt17integral_constantIbLb1EESX_IbLb0EEEEDaST_SU_EUlST_E_NS1_11comp_targetILNS1_3genE10ELNS1_11target_archE1201ELNS1_3gpuE5ELNS1_3repE0EEENS1_30default_config_static_selectorELNS0_4arch9wavefront6targetE1EEEvT1_.kd
    .uniform_work_group_size: 1
    .uses_dynamic_stack: false
    .vgpr_count:     0
    .vgpr_spill_count: 0
    .wavefront_size: 64
  - .agpr_count:     0
    .args:
      - .offset:         0
        .size:           112
        .value_kind:     by_value
    .group_segment_fixed_size: 0
    .kernarg_segment_align: 8
    .kernarg_segment_size: 112
    .language:       OpenCL C
    .language_version:
      - 2
      - 0
    .max_flat_workgroup_size: 256
    .name:           _ZN7rocprim17ROCPRIM_400000_NS6detail17trampoline_kernelINS0_14default_configENS1_27scan_by_key_config_selectorIiiEEZZNS1_16scan_by_key_implILNS1_25lookback_scan_determinismE0ELb1ES3_N6thrust23THRUST_200600_302600_NS6detail15normal_iteratorINS9_10device_ptrIiEEEESE_SE_iNS9_4plusIiEE19head_flag_predicateiEE10hipError_tPvRmT2_T3_T4_T5_mT6_T7_P12ihipStream_tbENKUlT_T0_E_clISt17integral_constantIbLb1EESX_IbLb0EEEEDaST_SU_EUlST_E_NS1_11comp_targetILNS1_3genE5ELNS1_11target_archE942ELNS1_3gpuE9ELNS1_3repE0EEENS1_30default_config_static_selectorELNS0_4arch9wavefront6targetE1EEEvT1_
    .private_segment_fixed_size: 0
    .sgpr_count:     4
    .sgpr_spill_count: 0
    .symbol:         _ZN7rocprim17ROCPRIM_400000_NS6detail17trampoline_kernelINS0_14default_configENS1_27scan_by_key_config_selectorIiiEEZZNS1_16scan_by_key_implILNS1_25lookback_scan_determinismE0ELb1ES3_N6thrust23THRUST_200600_302600_NS6detail15normal_iteratorINS9_10device_ptrIiEEEESE_SE_iNS9_4plusIiEE19head_flag_predicateiEE10hipError_tPvRmT2_T3_T4_T5_mT6_T7_P12ihipStream_tbENKUlT_T0_E_clISt17integral_constantIbLb1EESX_IbLb0EEEEDaST_SU_EUlST_E_NS1_11comp_targetILNS1_3genE5ELNS1_11target_archE942ELNS1_3gpuE9ELNS1_3repE0EEENS1_30default_config_static_selectorELNS0_4arch9wavefront6targetE1EEEvT1_.kd
    .uniform_work_group_size: 1
    .uses_dynamic_stack: false
    .vgpr_count:     0
    .vgpr_spill_count: 0
    .wavefront_size: 64
  - .agpr_count:     0
    .args:
      - .offset:         0
        .size:           112
        .value_kind:     by_value
    .group_segment_fixed_size: 16384
    .kernarg_segment_align: 8
    .kernarg_segment_size: 112
    .language:       OpenCL C
    .language_version:
      - 2
      - 0
    .max_flat_workgroup_size: 256
    .name:           _ZN7rocprim17ROCPRIM_400000_NS6detail17trampoline_kernelINS0_14default_configENS1_27scan_by_key_config_selectorIiiEEZZNS1_16scan_by_key_implILNS1_25lookback_scan_determinismE0ELb1ES3_N6thrust23THRUST_200600_302600_NS6detail15normal_iteratorINS9_10device_ptrIiEEEESE_SE_iNS9_4plusIiEE19head_flag_predicateiEE10hipError_tPvRmT2_T3_T4_T5_mT6_T7_P12ihipStream_tbENKUlT_T0_E_clISt17integral_constantIbLb1EESX_IbLb0EEEEDaST_SU_EUlST_E_NS1_11comp_targetILNS1_3genE4ELNS1_11target_archE910ELNS1_3gpuE8ELNS1_3repE0EEENS1_30default_config_static_selectorELNS0_4arch9wavefront6targetE1EEEvT1_
    .private_segment_fixed_size: 0
    .sgpr_count:     64
    .sgpr_spill_count: 0
    .symbol:         _ZN7rocprim17ROCPRIM_400000_NS6detail17trampoline_kernelINS0_14default_configENS1_27scan_by_key_config_selectorIiiEEZZNS1_16scan_by_key_implILNS1_25lookback_scan_determinismE0ELb1ES3_N6thrust23THRUST_200600_302600_NS6detail15normal_iteratorINS9_10device_ptrIiEEEESE_SE_iNS9_4plusIiEE19head_flag_predicateiEE10hipError_tPvRmT2_T3_T4_T5_mT6_T7_P12ihipStream_tbENKUlT_T0_E_clISt17integral_constantIbLb1EESX_IbLb0EEEEDaST_SU_EUlST_E_NS1_11comp_targetILNS1_3genE4ELNS1_11target_archE910ELNS1_3gpuE8ELNS1_3repE0EEENS1_30default_config_static_selectorELNS0_4arch9wavefront6targetE1EEEvT1_.kd
    .uniform_work_group_size: 1
    .uses_dynamic_stack: false
    .vgpr_count:     65
    .vgpr_spill_count: 0
    .wavefront_size: 64
  - .agpr_count:     0
    .args:
      - .offset:         0
        .size:           112
        .value_kind:     by_value
    .group_segment_fixed_size: 0
    .kernarg_segment_align: 8
    .kernarg_segment_size: 112
    .language:       OpenCL C
    .language_version:
      - 2
      - 0
    .max_flat_workgroup_size: 256
    .name:           _ZN7rocprim17ROCPRIM_400000_NS6detail17trampoline_kernelINS0_14default_configENS1_27scan_by_key_config_selectorIiiEEZZNS1_16scan_by_key_implILNS1_25lookback_scan_determinismE0ELb1ES3_N6thrust23THRUST_200600_302600_NS6detail15normal_iteratorINS9_10device_ptrIiEEEESE_SE_iNS9_4plusIiEE19head_flag_predicateiEE10hipError_tPvRmT2_T3_T4_T5_mT6_T7_P12ihipStream_tbENKUlT_T0_E_clISt17integral_constantIbLb1EESX_IbLb0EEEEDaST_SU_EUlST_E_NS1_11comp_targetILNS1_3genE3ELNS1_11target_archE908ELNS1_3gpuE7ELNS1_3repE0EEENS1_30default_config_static_selectorELNS0_4arch9wavefront6targetE1EEEvT1_
    .private_segment_fixed_size: 0
    .sgpr_count:     4
    .sgpr_spill_count: 0
    .symbol:         _ZN7rocprim17ROCPRIM_400000_NS6detail17trampoline_kernelINS0_14default_configENS1_27scan_by_key_config_selectorIiiEEZZNS1_16scan_by_key_implILNS1_25lookback_scan_determinismE0ELb1ES3_N6thrust23THRUST_200600_302600_NS6detail15normal_iteratorINS9_10device_ptrIiEEEESE_SE_iNS9_4plusIiEE19head_flag_predicateiEE10hipError_tPvRmT2_T3_T4_T5_mT6_T7_P12ihipStream_tbENKUlT_T0_E_clISt17integral_constantIbLb1EESX_IbLb0EEEEDaST_SU_EUlST_E_NS1_11comp_targetILNS1_3genE3ELNS1_11target_archE908ELNS1_3gpuE7ELNS1_3repE0EEENS1_30default_config_static_selectorELNS0_4arch9wavefront6targetE1EEEvT1_.kd
    .uniform_work_group_size: 1
    .uses_dynamic_stack: false
    .vgpr_count:     0
    .vgpr_spill_count: 0
    .wavefront_size: 64
  - .agpr_count:     0
    .args:
      - .offset:         0
        .size:           112
        .value_kind:     by_value
    .group_segment_fixed_size: 0
    .kernarg_segment_align: 8
    .kernarg_segment_size: 112
    .language:       OpenCL C
    .language_version:
      - 2
      - 0
    .max_flat_workgroup_size: 256
    .name:           _ZN7rocprim17ROCPRIM_400000_NS6detail17trampoline_kernelINS0_14default_configENS1_27scan_by_key_config_selectorIiiEEZZNS1_16scan_by_key_implILNS1_25lookback_scan_determinismE0ELb1ES3_N6thrust23THRUST_200600_302600_NS6detail15normal_iteratorINS9_10device_ptrIiEEEESE_SE_iNS9_4plusIiEE19head_flag_predicateiEE10hipError_tPvRmT2_T3_T4_T5_mT6_T7_P12ihipStream_tbENKUlT_T0_E_clISt17integral_constantIbLb1EESX_IbLb0EEEEDaST_SU_EUlST_E_NS1_11comp_targetILNS1_3genE2ELNS1_11target_archE906ELNS1_3gpuE6ELNS1_3repE0EEENS1_30default_config_static_selectorELNS0_4arch9wavefront6targetE1EEEvT1_
    .private_segment_fixed_size: 0
    .sgpr_count:     4
    .sgpr_spill_count: 0
    .symbol:         _ZN7rocprim17ROCPRIM_400000_NS6detail17trampoline_kernelINS0_14default_configENS1_27scan_by_key_config_selectorIiiEEZZNS1_16scan_by_key_implILNS1_25lookback_scan_determinismE0ELb1ES3_N6thrust23THRUST_200600_302600_NS6detail15normal_iteratorINS9_10device_ptrIiEEEESE_SE_iNS9_4plusIiEE19head_flag_predicateiEE10hipError_tPvRmT2_T3_T4_T5_mT6_T7_P12ihipStream_tbENKUlT_T0_E_clISt17integral_constantIbLb1EESX_IbLb0EEEEDaST_SU_EUlST_E_NS1_11comp_targetILNS1_3genE2ELNS1_11target_archE906ELNS1_3gpuE6ELNS1_3repE0EEENS1_30default_config_static_selectorELNS0_4arch9wavefront6targetE1EEEvT1_.kd
    .uniform_work_group_size: 1
    .uses_dynamic_stack: false
    .vgpr_count:     0
    .vgpr_spill_count: 0
    .wavefront_size: 64
  - .agpr_count:     0
    .args:
      - .offset:         0
        .size:           112
        .value_kind:     by_value
    .group_segment_fixed_size: 0
    .kernarg_segment_align: 8
    .kernarg_segment_size: 112
    .language:       OpenCL C
    .language_version:
      - 2
      - 0
    .max_flat_workgroup_size: 256
    .name:           _ZN7rocprim17ROCPRIM_400000_NS6detail17trampoline_kernelINS0_14default_configENS1_27scan_by_key_config_selectorIiiEEZZNS1_16scan_by_key_implILNS1_25lookback_scan_determinismE0ELb1ES3_N6thrust23THRUST_200600_302600_NS6detail15normal_iteratorINS9_10device_ptrIiEEEESE_SE_iNS9_4plusIiEE19head_flag_predicateiEE10hipError_tPvRmT2_T3_T4_T5_mT6_T7_P12ihipStream_tbENKUlT_T0_E_clISt17integral_constantIbLb1EESX_IbLb0EEEEDaST_SU_EUlST_E_NS1_11comp_targetILNS1_3genE10ELNS1_11target_archE1200ELNS1_3gpuE4ELNS1_3repE0EEENS1_30default_config_static_selectorELNS0_4arch9wavefront6targetE1EEEvT1_
    .private_segment_fixed_size: 0
    .sgpr_count:     4
    .sgpr_spill_count: 0
    .symbol:         _ZN7rocprim17ROCPRIM_400000_NS6detail17trampoline_kernelINS0_14default_configENS1_27scan_by_key_config_selectorIiiEEZZNS1_16scan_by_key_implILNS1_25lookback_scan_determinismE0ELb1ES3_N6thrust23THRUST_200600_302600_NS6detail15normal_iteratorINS9_10device_ptrIiEEEESE_SE_iNS9_4plusIiEE19head_flag_predicateiEE10hipError_tPvRmT2_T3_T4_T5_mT6_T7_P12ihipStream_tbENKUlT_T0_E_clISt17integral_constantIbLb1EESX_IbLb0EEEEDaST_SU_EUlST_E_NS1_11comp_targetILNS1_3genE10ELNS1_11target_archE1200ELNS1_3gpuE4ELNS1_3repE0EEENS1_30default_config_static_selectorELNS0_4arch9wavefront6targetE1EEEvT1_.kd
    .uniform_work_group_size: 1
    .uses_dynamic_stack: false
    .vgpr_count:     0
    .vgpr_spill_count: 0
    .wavefront_size: 64
  - .agpr_count:     0
    .args:
      - .offset:         0
        .size:           112
        .value_kind:     by_value
    .group_segment_fixed_size: 0
    .kernarg_segment_align: 8
    .kernarg_segment_size: 112
    .language:       OpenCL C
    .language_version:
      - 2
      - 0
    .max_flat_workgroup_size: 256
    .name:           _ZN7rocprim17ROCPRIM_400000_NS6detail17trampoline_kernelINS0_14default_configENS1_27scan_by_key_config_selectorIiiEEZZNS1_16scan_by_key_implILNS1_25lookback_scan_determinismE0ELb1ES3_N6thrust23THRUST_200600_302600_NS6detail15normal_iteratorINS9_10device_ptrIiEEEESE_SE_iNS9_4plusIiEE19head_flag_predicateiEE10hipError_tPvRmT2_T3_T4_T5_mT6_T7_P12ihipStream_tbENKUlT_T0_E_clISt17integral_constantIbLb1EESX_IbLb0EEEEDaST_SU_EUlST_E_NS1_11comp_targetILNS1_3genE9ELNS1_11target_archE1100ELNS1_3gpuE3ELNS1_3repE0EEENS1_30default_config_static_selectorELNS0_4arch9wavefront6targetE1EEEvT1_
    .private_segment_fixed_size: 0
    .sgpr_count:     4
    .sgpr_spill_count: 0
    .symbol:         _ZN7rocprim17ROCPRIM_400000_NS6detail17trampoline_kernelINS0_14default_configENS1_27scan_by_key_config_selectorIiiEEZZNS1_16scan_by_key_implILNS1_25lookback_scan_determinismE0ELb1ES3_N6thrust23THRUST_200600_302600_NS6detail15normal_iteratorINS9_10device_ptrIiEEEESE_SE_iNS9_4plusIiEE19head_flag_predicateiEE10hipError_tPvRmT2_T3_T4_T5_mT6_T7_P12ihipStream_tbENKUlT_T0_E_clISt17integral_constantIbLb1EESX_IbLb0EEEEDaST_SU_EUlST_E_NS1_11comp_targetILNS1_3genE9ELNS1_11target_archE1100ELNS1_3gpuE3ELNS1_3repE0EEENS1_30default_config_static_selectorELNS0_4arch9wavefront6targetE1EEEvT1_.kd
    .uniform_work_group_size: 1
    .uses_dynamic_stack: false
    .vgpr_count:     0
    .vgpr_spill_count: 0
    .wavefront_size: 64
  - .agpr_count:     0
    .args:
      - .offset:         0
        .size:           112
        .value_kind:     by_value
    .group_segment_fixed_size: 0
    .kernarg_segment_align: 8
    .kernarg_segment_size: 112
    .language:       OpenCL C
    .language_version:
      - 2
      - 0
    .max_flat_workgroup_size: 256
    .name:           _ZN7rocprim17ROCPRIM_400000_NS6detail17trampoline_kernelINS0_14default_configENS1_27scan_by_key_config_selectorIiiEEZZNS1_16scan_by_key_implILNS1_25lookback_scan_determinismE0ELb1ES3_N6thrust23THRUST_200600_302600_NS6detail15normal_iteratorINS9_10device_ptrIiEEEESE_SE_iNS9_4plusIiEE19head_flag_predicateiEE10hipError_tPvRmT2_T3_T4_T5_mT6_T7_P12ihipStream_tbENKUlT_T0_E_clISt17integral_constantIbLb1EESX_IbLb0EEEEDaST_SU_EUlST_E_NS1_11comp_targetILNS1_3genE8ELNS1_11target_archE1030ELNS1_3gpuE2ELNS1_3repE0EEENS1_30default_config_static_selectorELNS0_4arch9wavefront6targetE1EEEvT1_
    .private_segment_fixed_size: 0
    .sgpr_count:     4
    .sgpr_spill_count: 0
    .symbol:         _ZN7rocprim17ROCPRIM_400000_NS6detail17trampoline_kernelINS0_14default_configENS1_27scan_by_key_config_selectorIiiEEZZNS1_16scan_by_key_implILNS1_25lookback_scan_determinismE0ELb1ES3_N6thrust23THRUST_200600_302600_NS6detail15normal_iteratorINS9_10device_ptrIiEEEESE_SE_iNS9_4plusIiEE19head_flag_predicateiEE10hipError_tPvRmT2_T3_T4_T5_mT6_T7_P12ihipStream_tbENKUlT_T0_E_clISt17integral_constantIbLb1EESX_IbLb0EEEEDaST_SU_EUlST_E_NS1_11comp_targetILNS1_3genE8ELNS1_11target_archE1030ELNS1_3gpuE2ELNS1_3repE0EEENS1_30default_config_static_selectorELNS0_4arch9wavefront6targetE1EEEvT1_.kd
    .uniform_work_group_size: 1
    .uses_dynamic_stack: false
    .vgpr_count:     0
    .vgpr_spill_count: 0
    .wavefront_size: 64
  - .agpr_count:     0
    .args:
      - .offset:         0
        .size:           112
        .value_kind:     by_value
    .group_segment_fixed_size: 0
    .kernarg_segment_align: 8
    .kernarg_segment_size: 112
    .language:       OpenCL C
    .language_version:
      - 2
      - 0
    .max_flat_workgroup_size: 256
    .name:           _ZN7rocprim17ROCPRIM_400000_NS6detail17trampoline_kernelINS0_14default_configENS1_27scan_by_key_config_selectorIiiEEZZNS1_16scan_by_key_implILNS1_25lookback_scan_determinismE0ELb1ES3_N6thrust23THRUST_200600_302600_NS6detail15normal_iteratorINS9_10device_ptrIiEEEESE_SE_iNS9_4plusIiEE19head_flag_predicateiEE10hipError_tPvRmT2_T3_T4_T5_mT6_T7_P12ihipStream_tbENKUlT_T0_E_clISt17integral_constantIbLb0EESX_IbLb1EEEEDaST_SU_EUlST_E_NS1_11comp_targetILNS1_3genE0ELNS1_11target_archE4294967295ELNS1_3gpuE0ELNS1_3repE0EEENS1_30default_config_static_selectorELNS0_4arch9wavefront6targetE1EEEvT1_
    .private_segment_fixed_size: 0
    .sgpr_count:     4
    .sgpr_spill_count: 0
    .symbol:         _ZN7rocprim17ROCPRIM_400000_NS6detail17trampoline_kernelINS0_14default_configENS1_27scan_by_key_config_selectorIiiEEZZNS1_16scan_by_key_implILNS1_25lookback_scan_determinismE0ELb1ES3_N6thrust23THRUST_200600_302600_NS6detail15normal_iteratorINS9_10device_ptrIiEEEESE_SE_iNS9_4plusIiEE19head_flag_predicateiEE10hipError_tPvRmT2_T3_T4_T5_mT6_T7_P12ihipStream_tbENKUlT_T0_E_clISt17integral_constantIbLb0EESX_IbLb1EEEEDaST_SU_EUlST_E_NS1_11comp_targetILNS1_3genE0ELNS1_11target_archE4294967295ELNS1_3gpuE0ELNS1_3repE0EEENS1_30default_config_static_selectorELNS0_4arch9wavefront6targetE1EEEvT1_.kd
    .uniform_work_group_size: 1
    .uses_dynamic_stack: false
    .vgpr_count:     0
    .vgpr_spill_count: 0
    .wavefront_size: 64
  - .agpr_count:     0
    .args:
      - .offset:         0
        .size:           112
        .value_kind:     by_value
    .group_segment_fixed_size: 0
    .kernarg_segment_align: 8
    .kernarg_segment_size: 112
    .language:       OpenCL C
    .language_version:
      - 2
      - 0
    .max_flat_workgroup_size: 256
    .name:           _ZN7rocprim17ROCPRIM_400000_NS6detail17trampoline_kernelINS0_14default_configENS1_27scan_by_key_config_selectorIiiEEZZNS1_16scan_by_key_implILNS1_25lookback_scan_determinismE0ELb1ES3_N6thrust23THRUST_200600_302600_NS6detail15normal_iteratorINS9_10device_ptrIiEEEESE_SE_iNS9_4plusIiEE19head_flag_predicateiEE10hipError_tPvRmT2_T3_T4_T5_mT6_T7_P12ihipStream_tbENKUlT_T0_E_clISt17integral_constantIbLb0EESX_IbLb1EEEEDaST_SU_EUlST_E_NS1_11comp_targetILNS1_3genE10ELNS1_11target_archE1201ELNS1_3gpuE5ELNS1_3repE0EEENS1_30default_config_static_selectorELNS0_4arch9wavefront6targetE1EEEvT1_
    .private_segment_fixed_size: 0
    .sgpr_count:     4
    .sgpr_spill_count: 0
    .symbol:         _ZN7rocprim17ROCPRIM_400000_NS6detail17trampoline_kernelINS0_14default_configENS1_27scan_by_key_config_selectorIiiEEZZNS1_16scan_by_key_implILNS1_25lookback_scan_determinismE0ELb1ES3_N6thrust23THRUST_200600_302600_NS6detail15normal_iteratorINS9_10device_ptrIiEEEESE_SE_iNS9_4plusIiEE19head_flag_predicateiEE10hipError_tPvRmT2_T3_T4_T5_mT6_T7_P12ihipStream_tbENKUlT_T0_E_clISt17integral_constantIbLb0EESX_IbLb1EEEEDaST_SU_EUlST_E_NS1_11comp_targetILNS1_3genE10ELNS1_11target_archE1201ELNS1_3gpuE5ELNS1_3repE0EEENS1_30default_config_static_selectorELNS0_4arch9wavefront6targetE1EEEvT1_.kd
    .uniform_work_group_size: 1
    .uses_dynamic_stack: false
    .vgpr_count:     0
    .vgpr_spill_count: 0
    .wavefront_size: 64
  - .agpr_count:     0
    .args:
      - .offset:         0
        .size:           112
        .value_kind:     by_value
    .group_segment_fixed_size: 0
    .kernarg_segment_align: 8
    .kernarg_segment_size: 112
    .language:       OpenCL C
    .language_version:
      - 2
      - 0
    .max_flat_workgroup_size: 256
    .name:           _ZN7rocprim17ROCPRIM_400000_NS6detail17trampoline_kernelINS0_14default_configENS1_27scan_by_key_config_selectorIiiEEZZNS1_16scan_by_key_implILNS1_25lookback_scan_determinismE0ELb1ES3_N6thrust23THRUST_200600_302600_NS6detail15normal_iteratorINS9_10device_ptrIiEEEESE_SE_iNS9_4plusIiEE19head_flag_predicateiEE10hipError_tPvRmT2_T3_T4_T5_mT6_T7_P12ihipStream_tbENKUlT_T0_E_clISt17integral_constantIbLb0EESX_IbLb1EEEEDaST_SU_EUlST_E_NS1_11comp_targetILNS1_3genE5ELNS1_11target_archE942ELNS1_3gpuE9ELNS1_3repE0EEENS1_30default_config_static_selectorELNS0_4arch9wavefront6targetE1EEEvT1_
    .private_segment_fixed_size: 0
    .sgpr_count:     4
    .sgpr_spill_count: 0
    .symbol:         _ZN7rocprim17ROCPRIM_400000_NS6detail17trampoline_kernelINS0_14default_configENS1_27scan_by_key_config_selectorIiiEEZZNS1_16scan_by_key_implILNS1_25lookback_scan_determinismE0ELb1ES3_N6thrust23THRUST_200600_302600_NS6detail15normal_iteratorINS9_10device_ptrIiEEEESE_SE_iNS9_4plusIiEE19head_flag_predicateiEE10hipError_tPvRmT2_T3_T4_T5_mT6_T7_P12ihipStream_tbENKUlT_T0_E_clISt17integral_constantIbLb0EESX_IbLb1EEEEDaST_SU_EUlST_E_NS1_11comp_targetILNS1_3genE5ELNS1_11target_archE942ELNS1_3gpuE9ELNS1_3repE0EEENS1_30default_config_static_selectorELNS0_4arch9wavefront6targetE1EEEvT1_.kd
    .uniform_work_group_size: 1
    .uses_dynamic_stack: false
    .vgpr_count:     0
    .vgpr_spill_count: 0
    .wavefront_size: 64
  - .agpr_count:     0
    .args:
      - .offset:         0
        .size:           112
        .value_kind:     by_value
    .group_segment_fixed_size: 16384
    .kernarg_segment_align: 8
    .kernarg_segment_size: 112
    .language:       OpenCL C
    .language_version:
      - 2
      - 0
    .max_flat_workgroup_size: 256
    .name:           _ZN7rocprim17ROCPRIM_400000_NS6detail17trampoline_kernelINS0_14default_configENS1_27scan_by_key_config_selectorIiiEEZZNS1_16scan_by_key_implILNS1_25lookback_scan_determinismE0ELb1ES3_N6thrust23THRUST_200600_302600_NS6detail15normal_iteratorINS9_10device_ptrIiEEEESE_SE_iNS9_4plusIiEE19head_flag_predicateiEE10hipError_tPvRmT2_T3_T4_T5_mT6_T7_P12ihipStream_tbENKUlT_T0_E_clISt17integral_constantIbLb0EESX_IbLb1EEEEDaST_SU_EUlST_E_NS1_11comp_targetILNS1_3genE4ELNS1_11target_archE910ELNS1_3gpuE8ELNS1_3repE0EEENS1_30default_config_static_selectorELNS0_4arch9wavefront6targetE1EEEvT1_
    .private_segment_fixed_size: 0
    .sgpr_count:     64
    .sgpr_spill_count: 0
    .symbol:         _ZN7rocprim17ROCPRIM_400000_NS6detail17trampoline_kernelINS0_14default_configENS1_27scan_by_key_config_selectorIiiEEZZNS1_16scan_by_key_implILNS1_25lookback_scan_determinismE0ELb1ES3_N6thrust23THRUST_200600_302600_NS6detail15normal_iteratorINS9_10device_ptrIiEEEESE_SE_iNS9_4plusIiEE19head_flag_predicateiEE10hipError_tPvRmT2_T3_T4_T5_mT6_T7_P12ihipStream_tbENKUlT_T0_E_clISt17integral_constantIbLb0EESX_IbLb1EEEEDaST_SU_EUlST_E_NS1_11comp_targetILNS1_3genE4ELNS1_11target_archE910ELNS1_3gpuE8ELNS1_3repE0EEENS1_30default_config_static_selectorELNS0_4arch9wavefront6targetE1EEEvT1_.kd
    .uniform_work_group_size: 1
    .uses_dynamic_stack: false
    .vgpr_count:     67
    .vgpr_spill_count: 0
    .wavefront_size: 64
  - .agpr_count:     0
    .args:
      - .offset:         0
        .size:           112
        .value_kind:     by_value
    .group_segment_fixed_size: 0
    .kernarg_segment_align: 8
    .kernarg_segment_size: 112
    .language:       OpenCL C
    .language_version:
      - 2
      - 0
    .max_flat_workgroup_size: 256
    .name:           _ZN7rocprim17ROCPRIM_400000_NS6detail17trampoline_kernelINS0_14default_configENS1_27scan_by_key_config_selectorIiiEEZZNS1_16scan_by_key_implILNS1_25lookback_scan_determinismE0ELb1ES3_N6thrust23THRUST_200600_302600_NS6detail15normal_iteratorINS9_10device_ptrIiEEEESE_SE_iNS9_4plusIiEE19head_flag_predicateiEE10hipError_tPvRmT2_T3_T4_T5_mT6_T7_P12ihipStream_tbENKUlT_T0_E_clISt17integral_constantIbLb0EESX_IbLb1EEEEDaST_SU_EUlST_E_NS1_11comp_targetILNS1_3genE3ELNS1_11target_archE908ELNS1_3gpuE7ELNS1_3repE0EEENS1_30default_config_static_selectorELNS0_4arch9wavefront6targetE1EEEvT1_
    .private_segment_fixed_size: 0
    .sgpr_count:     4
    .sgpr_spill_count: 0
    .symbol:         _ZN7rocprim17ROCPRIM_400000_NS6detail17trampoline_kernelINS0_14default_configENS1_27scan_by_key_config_selectorIiiEEZZNS1_16scan_by_key_implILNS1_25lookback_scan_determinismE0ELb1ES3_N6thrust23THRUST_200600_302600_NS6detail15normal_iteratorINS9_10device_ptrIiEEEESE_SE_iNS9_4plusIiEE19head_flag_predicateiEE10hipError_tPvRmT2_T3_T4_T5_mT6_T7_P12ihipStream_tbENKUlT_T0_E_clISt17integral_constantIbLb0EESX_IbLb1EEEEDaST_SU_EUlST_E_NS1_11comp_targetILNS1_3genE3ELNS1_11target_archE908ELNS1_3gpuE7ELNS1_3repE0EEENS1_30default_config_static_selectorELNS0_4arch9wavefront6targetE1EEEvT1_.kd
    .uniform_work_group_size: 1
    .uses_dynamic_stack: false
    .vgpr_count:     0
    .vgpr_spill_count: 0
    .wavefront_size: 64
  - .agpr_count:     0
    .args:
      - .offset:         0
        .size:           112
        .value_kind:     by_value
    .group_segment_fixed_size: 0
    .kernarg_segment_align: 8
    .kernarg_segment_size: 112
    .language:       OpenCL C
    .language_version:
      - 2
      - 0
    .max_flat_workgroup_size: 256
    .name:           _ZN7rocprim17ROCPRIM_400000_NS6detail17trampoline_kernelINS0_14default_configENS1_27scan_by_key_config_selectorIiiEEZZNS1_16scan_by_key_implILNS1_25lookback_scan_determinismE0ELb1ES3_N6thrust23THRUST_200600_302600_NS6detail15normal_iteratorINS9_10device_ptrIiEEEESE_SE_iNS9_4plusIiEE19head_flag_predicateiEE10hipError_tPvRmT2_T3_T4_T5_mT6_T7_P12ihipStream_tbENKUlT_T0_E_clISt17integral_constantIbLb0EESX_IbLb1EEEEDaST_SU_EUlST_E_NS1_11comp_targetILNS1_3genE2ELNS1_11target_archE906ELNS1_3gpuE6ELNS1_3repE0EEENS1_30default_config_static_selectorELNS0_4arch9wavefront6targetE1EEEvT1_
    .private_segment_fixed_size: 0
    .sgpr_count:     4
    .sgpr_spill_count: 0
    .symbol:         _ZN7rocprim17ROCPRIM_400000_NS6detail17trampoline_kernelINS0_14default_configENS1_27scan_by_key_config_selectorIiiEEZZNS1_16scan_by_key_implILNS1_25lookback_scan_determinismE0ELb1ES3_N6thrust23THRUST_200600_302600_NS6detail15normal_iteratorINS9_10device_ptrIiEEEESE_SE_iNS9_4plusIiEE19head_flag_predicateiEE10hipError_tPvRmT2_T3_T4_T5_mT6_T7_P12ihipStream_tbENKUlT_T0_E_clISt17integral_constantIbLb0EESX_IbLb1EEEEDaST_SU_EUlST_E_NS1_11comp_targetILNS1_3genE2ELNS1_11target_archE906ELNS1_3gpuE6ELNS1_3repE0EEENS1_30default_config_static_selectorELNS0_4arch9wavefront6targetE1EEEvT1_.kd
    .uniform_work_group_size: 1
    .uses_dynamic_stack: false
    .vgpr_count:     0
    .vgpr_spill_count: 0
    .wavefront_size: 64
  - .agpr_count:     0
    .args:
      - .offset:         0
        .size:           112
        .value_kind:     by_value
    .group_segment_fixed_size: 0
    .kernarg_segment_align: 8
    .kernarg_segment_size: 112
    .language:       OpenCL C
    .language_version:
      - 2
      - 0
    .max_flat_workgroup_size: 256
    .name:           _ZN7rocprim17ROCPRIM_400000_NS6detail17trampoline_kernelINS0_14default_configENS1_27scan_by_key_config_selectorIiiEEZZNS1_16scan_by_key_implILNS1_25lookback_scan_determinismE0ELb1ES3_N6thrust23THRUST_200600_302600_NS6detail15normal_iteratorINS9_10device_ptrIiEEEESE_SE_iNS9_4plusIiEE19head_flag_predicateiEE10hipError_tPvRmT2_T3_T4_T5_mT6_T7_P12ihipStream_tbENKUlT_T0_E_clISt17integral_constantIbLb0EESX_IbLb1EEEEDaST_SU_EUlST_E_NS1_11comp_targetILNS1_3genE10ELNS1_11target_archE1200ELNS1_3gpuE4ELNS1_3repE0EEENS1_30default_config_static_selectorELNS0_4arch9wavefront6targetE1EEEvT1_
    .private_segment_fixed_size: 0
    .sgpr_count:     4
    .sgpr_spill_count: 0
    .symbol:         _ZN7rocprim17ROCPRIM_400000_NS6detail17trampoline_kernelINS0_14default_configENS1_27scan_by_key_config_selectorIiiEEZZNS1_16scan_by_key_implILNS1_25lookback_scan_determinismE0ELb1ES3_N6thrust23THRUST_200600_302600_NS6detail15normal_iteratorINS9_10device_ptrIiEEEESE_SE_iNS9_4plusIiEE19head_flag_predicateiEE10hipError_tPvRmT2_T3_T4_T5_mT6_T7_P12ihipStream_tbENKUlT_T0_E_clISt17integral_constantIbLb0EESX_IbLb1EEEEDaST_SU_EUlST_E_NS1_11comp_targetILNS1_3genE10ELNS1_11target_archE1200ELNS1_3gpuE4ELNS1_3repE0EEENS1_30default_config_static_selectorELNS0_4arch9wavefront6targetE1EEEvT1_.kd
    .uniform_work_group_size: 1
    .uses_dynamic_stack: false
    .vgpr_count:     0
    .vgpr_spill_count: 0
    .wavefront_size: 64
  - .agpr_count:     0
    .args:
      - .offset:         0
        .size:           112
        .value_kind:     by_value
    .group_segment_fixed_size: 0
    .kernarg_segment_align: 8
    .kernarg_segment_size: 112
    .language:       OpenCL C
    .language_version:
      - 2
      - 0
    .max_flat_workgroup_size: 256
    .name:           _ZN7rocprim17ROCPRIM_400000_NS6detail17trampoline_kernelINS0_14default_configENS1_27scan_by_key_config_selectorIiiEEZZNS1_16scan_by_key_implILNS1_25lookback_scan_determinismE0ELb1ES3_N6thrust23THRUST_200600_302600_NS6detail15normal_iteratorINS9_10device_ptrIiEEEESE_SE_iNS9_4plusIiEE19head_flag_predicateiEE10hipError_tPvRmT2_T3_T4_T5_mT6_T7_P12ihipStream_tbENKUlT_T0_E_clISt17integral_constantIbLb0EESX_IbLb1EEEEDaST_SU_EUlST_E_NS1_11comp_targetILNS1_3genE9ELNS1_11target_archE1100ELNS1_3gpuE3ELNS1_3repE0EEENS1_30default_config_static_selectorELNS0_4arch9wavefront6targetE1EEEvT1_
    .private_segment_fixed_size: 0
    .sgpr_count:     4
    .sgpr_spill_count: 0
    .symbol:         _ZN7rocprim17ROCPRIM_400000_NS6detail17trampoline_kernelINS0_14default_configENS1_27scan_by_key_config_selectorIiiEEZZNS1_16scan_by_key_implILNS1_25lookback_scan_determinismE0ELb1ES3_N6thrust23THRUST_200600_302600_NS6detail15normal_iteratorINS9_10device_ptrIiEEEESE_SE_iNS9_4plusIiEE19head_flag_predicateiEE10hipError_tPvRmT2_T3_T4_T5_mT6_T7_P12ihipStream_tbENKUlT_T0_E_clISt17integral_constantIbLb0EESX_IbLb1EEEEDaST_SU_EUlST_E_NS1_11comp_targetILNS1_3genE9ELNS1_11target_archE1100ELNS1_3gpuE3ELNS1_3repE0EEENS1_30default_config_static_selectorELNS0_4arch9wavefront6targetE1EEEvT1_.kd
    .uniform_work_group_size: 1
    .uses_dynamic_stack: false
    .vgpr_count:     0
    .vgpr_spill_count: 0
    .wavefront_size: 64
  - .agpr_count:     0
    .args:
      - .offset:         0
        .size:           112
        .value_kind:     by_value
    .group_segment_fixed_size: 0
    .kernarg_segment_align: 8
    .kernarg_segment_size: 112
    .language:       OpenCL C
    .language_version:
      - 2
      - 0
    .max_flat_workgroup_size: 256
    .name:           _ZN7rocprim17ROCPRIM_400000_NS6detail17trampoline_kernelINS0_14default_configENS1_27scan_by_key_config_selectorIiiEEZZNS1_16scan_by_key_implILNS1_25lookback_scan_determinismE0ELb1ES3_N6thrust23THRUST_200600_302600_NS6detail15normal_iteratorINS9_10device_ptrIiEEEESE_SE_iNS9_4plusIiEE19head_flag_predicateiEE10hipError_tPvRmT2_T3_T4_T5_mT6_T7_P12ihipStream_tbENKUlT_T0_E_clISt17integral_constantIbLb0EESX_IbLb1EEEEDaST_SU_EUlST_E_NS1_11comp_targetILNS1_3genE8ELNS1_11target_archE1030ELNS1_3gpuE2ELNS1_3repE0EEENS1_30default_config_static_selectorELNS0_4arch9wavefront6targetE1EEEvT1_
    .private_segment_fixed_size: 0
    .sgpr_count:     4
    .sgpr_spill_count: 0
    .symbol:         _ZN7rocprim17ROCPRIM_400000_NS6detail17trampoline_kernelINS0_14default_configENS1_27scan_by_key_config_selectorIiiEEZZNS1_16scan_by_key_implILNS1_25lookback_scan_determinismE0ELb1ES3_N6thrust23THRUST_200600_302600_NS6detail15normal_iteratorINS9_10device_ptrIiEEEESE_SE_iNS9_4plusIiEE19head_flag_predicateiEE10hipError_tPvRmT2_T3_T4_T5_mT6_T7_P12ihipStream_tbENKUlT_T0_E_clISt17integral_constantIbLb0EESX_IbLb1EEEEDaST_SU_EUlST_E_NS1_11comp_targetILNS1_3genE8ELNS1_11target_archE1030ELNS1_3gpuE2ELNS1_3repE0EEENS1_30default_config_static_selectorELNS0_4arch9wavefront6targetE1EEEvT1_.kd
    .uniform_work_group_size: 1
    .uses_dynamic_stack: false
    .vgpr_count:     0
    .vgpr_spill_count: 0
    .wavefront_size: 64
  - .agpr_count:     0
    .args:
      - .offset:         0
        .size:           112
        .value_kind:     by_value
    .group_segment_fixed_size: 0
    .kernarg_segment_align: 8
    .kernarg_segment_size: 112
    .language:       OpenCL C
    .language_version:
      - 2
      - 0
    .max_flat_workgroup_size: 256
    .name:           _ZN7rocprim17ROCPRIM_400000_NS6detail17trampoline_kernelINS0_14default_configENS1_27scan_by_key_config_selectorIssEEZZNS1_16scan_by_key_implILNS1_25lookback_scan_determinismE0ELb0ES3_N6thrust23THRUST_200600_302600_NS6detail15normal_iteratorINS9_10device_ptrIsEEEESE_SE_sNS9_4plusIsEE19head_flag_predicatesEE10hipError_tPvRmT2_T3_T4_T5_mT6_T7_P12ihipStream_tbENKUlT_T0_E_clISt17integral_constantIbLb0EESY_EEDaST_SU_EUlST_E_NS1_11comp_targetILNS1_3genE0ELNS1_11target_archE4294967295ELNS1_3gpuE0ELNS1_3repE0EEENS1_30default_config_static_selectorELNS0_4arch9wavefront6targetE1EEEvT1_
    .private_segment_fixed_size: 0
    .sgpr_count:     4
    .sgpr_spill_count: 0
    .symbol:         _ZN7rocprim17ROCPRIM_400000_NS6detail17trampoline_kernelINS0_14default_configENS1_27scan_by_key_config_selectorIssEEZZNS1_16scan_by_key_implILNS1_25lookback_scan_determinismE0ELb0ES3_N6thrust23THRUST_200600_302600_NS6detail15normal_iteratorINS9_10device_ptrIsEEEESE_SE_sNS9_4plusIsEE19head_flag_predicatesEE10hipError_tPvRmT2_T3_T4_T5_mT6_T7_P12ihipStream_tbENKUlT_T0_E_clISt17integral_constantIbLb0EESY_EEDaST_SU_EUlST_E_NS1_11comp_targetILNS1_3genE0ELNS1_11target_archE4294967295ELNS1_3gpuE0ELNS1_3repE0EEENS1_30default_config_static_selectorELNS0_4arch9wavefront6targetE1EEEvT1_.kd
    .uniform_work_group_size: 1
    .uses_dynamic_stack: false
    .vgpr_count:     0
    .vgpr_spill_count: 0
    .wavefront_size: 64
  - .agpr_count:     0
    .args:
      - .offset:         0
        .size:           112
        .value_kind:     by_value
    .group_segment_fixed_size: 0
    .kernarg_segment_align: 8
    .kernarg_segment_size: 112
    .language:       OpenCL C
    .language_version:
      - 2
      - 0
    .max_flat_workgroup_size: 128
    .name:           _ZN7rocprim17ROCPRIM_400000_NS6detail17trampoline_kernelINS0_14default_configENS1_27scan_by_key_config_selectorIssEEZZNS1_16scan_by_key_implILNS1_25lookback_scan_determinismE0ELb0ES3_N6thrust23THRUST_200600_302600_NS6detail15normal_iteratorINS9_10device_ptrIsEEEESE_SE_sNS9_4plusIsEE19head_flag_predicatesEE10hipError_tPvRmT2_T3_T4_T5_mT6_T7_P12ihipStream_tbENKUlT_T0_E_clISt17integral_constantIbLb0EESY_EEDaST_SU_EUlST_E_NS1_11comp_targetILNS1_3genE10ELNS1_11target_archE1201ELNS1_3gpuE5ELNS1_3repE0EEENS1_30default_config_static_selectorELNS0_4arch9wavefront6targetE1EEEvT1_
    .private_segment_fixed_size: 0
    .sgpr_count:     4
    .sgpr_spill_count: 0
    .symbol:         _ZN7rocprim17ROCPRIM_400000_NS6detail17trampoline_kernelINS0_14default_configENS1_27scan_by_key_config_selectorIssEEZZNS1_16scan_by_key_implILNS1_25lookback_scan_determinismE0ELb0ES3_N6thrust23THRUST_200600_302600_NS6detail15normal_iteratorINS9_10device_ptrIsEEEESE_SE_sNS9_4plusIsEE19head_flag_predicatesEE10hipError_tPvRmT2_T3_T4_T5_mT6_T7_P12ihipStream_tbENKUlT_T0_E_clISt17integral_constantIbLb0EESY_EEDaST_SU_EUlST_E_NS1_11comp_targetILNS1_3genE10ELNS1_11target_archE1201ELNS1_3gpuE5ELNS1_3repE0EEENS1_30default_config_static_selectorELNS0_4arch9wavefront6targetE1EEEvT1_.kd
    .uniform_work_group_size: 1
    .uses_dynamic_stack: false
    .vgpr_count:     0
    .vgpr_spill_count: 0
    .wavefront_size: 64
  - .agpr_count:     0
    .args:
      - .offset:         0
        .size:           112
        .value_kind:     by_value
    .group_segment_fixed_size: 0
    .kernarg_segment_align: 8
    .kernarg_segment_size: 112
    .language:       OpenCL C
    .language_version:
      - 2
      - 0
    .max_flat_workgroup_size: 256
    .name:           _ZN7rocprim17ROCPRIM_400000_NS6detail17trampoline_kernelINS0_14default_configENS1_27scan_by_key_config_selectorIssEEZZNS1_16scan_by_key_implILNS1_25lookback_scan_determinismE0ELb0ES3_N6thrust23THRUST_200600_302600_NS6detail15normal_iteratorINS9_10device_ptrIsEEEESE_SE_sNS9_4plusIsEE19head_flag_predicatesEE10hipError_tPvRmT2_T3_T4_T5_mT6_T7_P12ihipStream_tbENKUlT_T0_E_clISt17integral_constantIbLb0EESY_EEDaST_SU_EUlST_E_NS1_11comp_targetILNS1_3genE5ELNS1_11target_archE942ELNS1_3gpuE9ELNS1_3repE0EEENS1_30default_config_static_selectorELNS0_4arch9wavefront6targetE1EEEvT1_
    .private_segment_fixed_size: 0
    .sgpr_count:     4
    .sgpr_spill_count: 0
    .symbol:         _ZN7rocprim17ROCPRIM_400000_NS6detail17trampoline_kernelINS0_14default_configENS1_27scan_by_key_config_selectorIssEEZZNS1_16scan_by_key_implILNS1_25lookback_scan_determinismE0ELb0ES3_N6thrust23THRUST_200600_302600_NS6detail15normal_iteratorINS9_10device_ptrIsEEEESE_SE_sNS9_4plusIsEE19head_flag_predicatesEE10hipError_tPvRmT2_T3_T4_T5_mT6_T7_P12ihipStream_tbENKUlT_T0_E_clISt17integral_constantIbLb0EESY_EEDaST_SU_EUlST_E_NS1_11comp_targetILNS1_3genE5ELNS1_11target_archE942ELNS1_3gpuE9ELNS1_3repE0EEENS1_30default_config_static_selectorELNS0_4arch9wavefront6targetE1EEEvT1_.kd
    .uniform_work_group_size: 1
    .uses_dynamic_stack: false
    .vgpr_count:     0
    .vgpr_spill_count: 0
    .wavefront_size: 64
  - .agpr_count:     0
    .args:
      - .offset:         0
        .size:           112
        .value_kind:     by_value
    .group_segment_fixed_size: 12288
    .kernarg_segment_align: 8
    .kernarg_segment_size: 112
    .language:       OpenCL C
    .language_version:
      - 2
      - 0
    .max_flat_workgroup_size: 256
    .name:           _ZN7rocprim17ROCPRIM_400000_NS6detail17trampoline_kernelINS0_14default_configENS1_27scan_by_key_config_selectorIssEEZZNS1_16scan_by_key_implILNS1_25lookback_scan_determinismE0ELb0ES3_N6thrust23THRUST_200600_302600_NS6detail15normal_iteratorINS9_10device_ptrIsEEEESE_SE_sNS9_4plusIsEE19head_flag_predicatesEE10hipError_tPvRmT2_T3_T4_T5_mT6_T7_P12ihipStream_tbENKUlT_T0_E_clISt17integral_constantIbLb0EESY_EEDaST_SU_EUlST_E_NS1_11comp_targetILNS1_3genE4ELNS1_11target_archE910ELNS1_3gpuE8ELNS1_3repE0EEENS1_30default_config_static_selectorELNS0_4arch9wavefront6targetE1EEEvT1_
    .private_segment_fixed_size: 0
    .sgpr_count:     78
    .sgpr_spill_count: 0
    .symbol:         _ZN7rocprim17ROCPRIM_400000_NS6detail17trampoline_kernelINS0_14default_configENS1_27scan_by_key_config_selectorIssEEZZNS1_16scan_by_key_implILNS1_25lookback_scan_determinismE0ELb0ES3_N6thrust23THRUST_200600_302600_NS6detail15normal_iteratorINS9_10device_ptrIsEEEESE_SE_sNS9_4plusIsEE19head_flag_predicatesEE10hipError_tPvRmT2_T3_T4_T5_mT6_T7_P12ihipStream_tbENKUlT_T0_E_clISt17integral_constantIbLb0EESY_EEDaST_SU_EUlST_E_NS1_11comp_targetILNS1_3genE4ELNS1_11target_archE910ELNS1_3gpuE8ELNS1_3repE0EEENS1_30default_config_static_selectorELNS0_4arch9wavefront6targetE1EEEvT1_.kd
    .uniform_work_group_size: 1
    .uses_dynamic_stack: false
    .vgpr_count:     58
    .vgpr_spill_count: 0
    .wavefront_size: 64
  - .agpr_count:     0
    .args:
      - .offset:         0
        .size:           112
        .value_kind:     by_value
    .group_segment_fixed_size: 0
    .kernarg_segment_align: 8
    .kernarg_segment_size: 112
    .language:       OpenCL C
    .language_version:
      - 2
      - 0
    .max_flat_workgroup_size: 256
    .name:           _ZN7rocprim17ROCPRIM_400000_NS6detail17trampoline_kernelINS0_14default_configENS1_27scan_by_key_config_selectorIssEEZZNS1_16scan_by_key_implILNS1_25lookback_scan_determinismE0ELb0ES3_N6thrust23THRUST_200600_302600_NS6detail15normal_iteratorINS9_10device_ptrIsEEEESE_SE_sNS9_4plusIsEE19head_flag_predicatesEE10hipError_tPvRmT2_T3_T4_T5_mT6_T7_P12ihipStream_tbENKUlT_T0_E_clISt17integral_constantIbLb0EESY_EEDaST_SU_EUlST_E_NS1_11comp_targetILNS1_3genE3ELNS1_11target_archE908ELNS1_3gpuE7ELNS1_3repE0EEENS1_30default_config_static_selectorELNS0_4arch9wavefront6targetE1EEEvT1_
    .private_segment_fixed_size: 0
    .sgpr_count:     4
    .sgpr_spill_count: 0
    .symbol:         _ZN7rocprim17ROCPRIM_400000_NS6detail17trampoline_kernelINS0_14default_configENS1_27scan_by_key_config_selectorIssEEZZNS1_16scan_by_key_implILNS1_25lookback_scan_determinismE0ELb0ES3_N6thrust23THRUST_200600_302600_NS6detail15normal_iteratorINS9_10device_ptrIsEEEESE_SE_sNS9_4plusIsEE19head_flag_predicatesEE10hipError_tPvRmT2_T3_T4_T5_mT6_T7_P12ihipStream_tbENKUlT_T0_E_clISt17integral_constantIbLb0EESY_EEDaST_SU_EUlST_E_NS1_11comp_targetILNS1_3genE3ELNS1_11target_archE908ELNS1_3gpuE7ELNS1_3repE0EEENS1_30default_config_static_selectorELNS0_4arch9wavefront6targetE1EEEvT1_.kd
    .uniform_work_group_size: 1
    .uses_dynamic_stack: false
    .vgpr_count:     0
    .vgpr_spill_count: 0
    .wavefront_size: 64
  - .agpr_count:     0
    .args:
      - .offset:         0
        .size:           112
        .value_kind:     by_value
    .group_segment_fixed_size: 0
    .kernarg_segment_align: 8
    .kernarg_segment_size: 112
    .language:       OpenCL C
    .language_version:
      - 2
      - 0
    .max_flat_workgroup_size: 64
    .name:           _ZN7rocprim17ROCPRIM_400000_NS6detail17trampoline_kernelINS0_14default_configENS1_27scan_by_key_config_selectorIssEEZZNS1_16scan_by_key_implILNS1_25lookback_scan_determinismE0ELb0ES3_N6thrust23THRUST_200600_302600_NS6detail15normal_iteratorINS9_10device_ptrIsEEEESE_SE_sNS9_4plusIsEE19head_flag_predicatesEE10hipError_tPvRmT2_T3_T4_T5_mT6_T7_P12ihipStream_tbENKUlT_T0_E_clISt17integral_constantIbLb0EESY_EEDaST_SU_EUlST_E_NS1_11comp_targetILNS1_3genE2ELNS1_11target_archE906ELNS1_3gpuE6ELNS1_3repE0EEENS1_30default_config_static_selectorELNS0_4arch9wavefront6targetE1EEEvT1_
    .private_segment_fixed_size: 0
    .sgpr_count:     4
    .sgpr_spill_count: 0
    .symbol:         _ZN7rocprim17ROCPRIM_400000_NS6detail17trampoline_kernelINS0_14default_configENS1_27scan_by_key_config_selectorIssEEZZNS1_16scan_by_key_implILNS1_25lookback_scan_determinismE0ELb0ES3_N6thrust23THRUST_200600_302600_NS6detail15normal_iteratorINS9_10device_ptrIsEEEESE_SE_sNS9_4plusIsEE19head_flag_predicatesEE10hipError_tPvRmT2_T3_T4_T5_mT6_T7_P12ihipStream_tbENKUlT_T0_E_clISt17integral_constantIbLb0EESY_EEDaST_SU_EUlST_E_NS1_11comp_targetILNS1_3genE2ELNS1_11target_archE906ELNS1_3gpuE6ELNS1_3repE0EEENS1_30default_config_static_selectorELNS0_4arch9wavefront6targetE1EEEvT1_.kd
    .uniform_work_group_size: 1
    .uses_dynamic_stack: false
    .vgpr_count:     0
    .vgpr_spill_count: 0
    .wavefront_size: 64
  - .agpr_count:     0
    .args:
      - .offset:         0
        .size:           112
        .value_kind:     by_value
    .group_segment_fixed_size: 0
    .kernarg_segment_align: 8
    .kernarg_segment_size: 112
    .language:       OpenCL C
    .language_version:
      - 2
      - 0
    .max_flat_workgroup_size: 256
    .name:           _ZN7rocprim17ROCPRIM_400000_NS6detail17trampoline_kernelINS0_14default_configENS1_27scan_by_key_config_selectorIssEEZZNS1_16scan_by_key_implILNS1_25lookback_scan_determinismE0ELb0ES3_N6thrust23THRUST_200600_302600_NS6detail15normal_iteratorINS9_10device_ptrIsEEEESE_SE_sNS9_4plusIsEE19head_flag_predicatesEE10hipError_tPvRmT2_T3_T4_T5_mT6_T7_P12ihipStream_tbENKUlT_T0_E_clISt17integral_constantIbLb0EESY_EEDaST_SU_EUlST_E_NS1_11comp_targetILNS1_3genE10ELNS1_11target_archE1200ELNS1_3gpuE4ELNS1_3repE0EEENS1_30default_config_static_selectorELNS0_4arch9wavefront6targetE1EEEvT1_
    .private_segment_fixed_size: 0
    .sgpr_count:     4
    .sgpr_spill_count: 0
    .symbol:         _ZN7rocprim17ROCPRIM_400000_NS6detail17trampoline_kernelINS0_14default_configENS1_27scan_by_key_config_selectorIssEEZZNS1_16scan_by_key_implILNS1_25lookback_scan_determinismE0ELb0ES3_N6thrust23THRUST_200600_302600_NS6detail15normal_iteratorINS9_10device_ptrIsEEEESE_SE_sNS9_4plusIsEE19head_flag_predicatesEE10hipError_tPvRmT2_T3_T4_T5_mT6_T7_P12ihipStream_tbENKUlT_T0_E_clISt17integral_constantIbLb0EESY_EEDaST_SU_EUlST_E_NS1_11comp_targetILNS1_3genE10ELNS1_11target_archE1200ELNS1_3gpuE4ELNS1_3repE0EEENS1_30default_config_static_selectorELNS0_4arch9wavefront6targetE1EEEvT1_.kd
    .uniform_work_group_size: 1
    .uses_dynamic_stack: false
    .vgpr_count:     0
    .vgpr_spill_count: 0
    .wavefront_size: 64
  - .agpr_count:     0
    .args:
      - .offset:         0
        .size:           112
        .value_kind:     by_value
    .group_segment_fixed_size: 0
    .kernarg_segment_align: 8
    .kernarg_segment_size: 112
    .language:       OpenCL C
    .language_version:
      - 2
      - 0
    .max_flat_workgroup_size: 256
    .name:           _ZN7rocprim17ROCPRIM_400000_NS6detail17trampoline_kernelINS0_14default_configENS1_27scan_by_key_config_selectorIssEEZZNS1_16scan_by_key_implILNS1_25lookback_scan_determinismE0ELb0ES3_N6thrust23THRUST_200600_302600_NS6detail15normal_iteratorINS9_10device_ptrIsEEEESE_SE_sNS9_4plusIsEE19head_flag_predicatesEE10hipError_tPvRmT2_T3_T4_T5_mT6_T7_P12ihipStream_tbENKUlT_T0_E_clISt17integral_constantIbLb0EESY_EEDaST_SU_EUlST_E_NS1_11comp_targetILNS1_3genE9ELNS1_11target_archE1100ELNS1_3gpuE3ELNS1_3repE0EEENS1_30default_config_static_selectorELNS0_4arch9wavefront6targetE1EEEvT1_
    .private_segment_fixed_size: 0
    .sgpr_count:     4
    .sgpr_spill_count: 0
    .symbol:         _ZN7rocprim17ROCPRIM_400000_NS6detail17trampoline_kernelINS0_14default_configENS1_27scan_by_key_config_selectorIssEEZZNS1_16scan_by_key_implILNS1_25lookback_scan_determinismE0ELb0ES3_N6thrust23THRUST_200600_302600_NS6detail15normal_iteratorINS9_10device_ptrIsEEEESE_SE_sNS9_4plusIsEE19head_flag_predicatesEE10hipError_tPvRmT2_T3_T4_T5_mT6_T7_P12ihipStream_tbENKUlT_T0_E_clISt17integral_constantIbLb0EESY_EEDaST_SU_EUlST_E_NS1_11comp_targetILNS1_3genE9ELNS1_11target_archE1100ELNS1_3gpuE3ELNS1_3repE0EEENS1_30default_config_static_selectorELNS0_4arch9wavefront6targetE1EEEvT1_.kd
    .uniform_work_group_size: 1
    .uses_dynamic_stack: false
    .vgpr_count:     0
    .vgpr_spill_count: 0
    .wavefront_size: 64
  - .agpr_count:     0
    .args:
      - .offset:         0
        .size:           112
        .value_kind:     by_value
    .group_segment_fixed_size: 0
    .kernarg_segment_align: 8
    .kernarg_segment_size: 112
    .language:       OpenCL C
    .language_version:
      - 2
      - 0
    .max_flat_workgroup_size: 64
    .name:           _ZN7rocprim17ROCPRIM_400000_NS6detail17trampoline_kernelINS0_14default_configENS1_27scan_by_key_config_selectorIssEEZZNS1_16scan_by_key_implILNS1_25lookback_scan_determinismE0ELb0ES3_N6thrust23THRUST_200600_302600_NS6detail15normal_iteratorINS9_10device_ptrIsEEEESE_SE_sNS9_4plusIsEE19head_flag_predicatesEE10hipError_tPvRmT2_T3_T4_T5_mT6_T7_P12ihipStream_tbENKUlT_T0_E_clISt17integral_constantIbLb0EESY_EEDaST_SU_EUlST_E_NS1_11comp_targetILNS1_3genE8ELNS1_11target_archE1030ELNS1_3gpuE2ELNS1_3repE0EEENS1_30default_config_static_selectorELNS0_4arch9wavefront6targetE1EEEvT1_
    .private_segment_fixed_size: 0
    .sgpr_count:     4
    .sgpr_spill_count: 0
    .symbol:         _ZN7rocprim17ROCPRIM_400000_NS6detail17trampoline_kernelINS0_14default_configENS1_27scan_by_key_config_selectorIssEEZZNS1_16scan_by_key_implILNS1_25lookback_scan_determinismE0ELb0ES3_N6thrust23THRUST_200600_302600_NS6detail15normal_iteratorINS9_10device_ptrIsEEEESE_SE_sNS9_4plusIsEE19head_flag_predicatesEE10hipError_tPvRmT2_T3_T4_T5_mT6_T7_P12ihipStream_tbENKUlT_T0_E_clISt17integral_constantIbLb0EESY_EEDaST_SU_EUlST_E_NS1_11comp_targetILNS1_3genE8ELNS1_11target_archE1030ELNS1_3gpuE2ELNS1_3repE0EEENS1_30default_config_static_selectorELNS0_4arch9wavefront6targetE1EEEvT1_.kd
    .uniform_work_group_size: 1
    .uses_dynamic_stack: false
    .vgpr_count:     0
    .vgpr_spill_count: 0
    .wavefront_size: 64
  - .agpr_count:     0
    .args:
      - .offset:         0
        .size:           112
        .value_kind:     by_value
    .group_segment_fixed_size: 0
    .kernarg_segment_align: 8
    .kernarg_segment_size: 112
    .language:       OpenCL C
    .language_version:
      - 2
      - 0
    .max_flat_workgroup_size: 256
    .name:           _ZN7rocprim17ROCPRIM_400000_NS6detail17trampoline_kernelINS0_14default_configENS1_27scan_by_key_config_selectorIssEEZZNS1_16scan_by_key_implILNS1_25lookback_scan_determinismE0ELb0ES3_N6thrust23THRUST_200600_302600_NS6detail15normal_iteratorINS9_10device_ptrIsEEEESE_SE_sNS9_4plusIsEE19head_flag_predicatesEE10hipError_tPvRmT2_T3_T4_T5_mT6_T7_P12ihipStream_tbENKUlT_T0_E_clISt17integral_constantIbLb1EESY_EEDaST_SU_EUlST_E_NS1_11comp_targetILNS1_3genE0ELNS1_11target_archE4294967295ELNS1_3gpuE0ELNS1_3repE0EEENS1_30default_config_static_selectorELNS0_4arch9wavefront6targetE1EEEvT1_
    .private_segment_fixed_size: 0
    .sgpr_count:     4
    .sgpr_spill_count: 0
    .symbol:         _ZN7rocprim17ROCPRIM_400000_NS6detail17trampoline_kernelINS0_14default_configENS1_27scan_by_key_config_selectorIssEEZZNS1_16scan_by_key_implILNS1_25lookback_scan_determinismE0ELb0ES3_N6thrust23THRUST_200600_302600_NS6detail15normal_iteratorINS9_10device_ptrIsEEEESE_SE_sNS9_4plusIsEE19head_flag_predicatesEE10hipError_tPvRmT2_T3_T4_T5_mT6_T7_P12ihipStream_tbENKUlT_T0_E_clISt17integral_constantIbLb1EESY_EEDaST_SU_EUlST_E_NS1_11comp_targetILNS1_3genE0ELNS1_11target_archE4294967295ELNS1_3gpuE0ELNS1_3repE0EEENS1_30default_config_static_selectorELNS0_4arch9wavefront6targetE1EEEvT1_.kd
    .uniform_work_group_size: 1
    .uses_dynamic_stack: false
    .vgpr_count:     0
    .vgpr_spill_count: 0
    .wavefront_size: 64
  - .agpr_count:     0
    .args:
      - .offset:         0
        .size:           112
        .value_kind:     by_value
    .group_segment_fixed_size: 0
    .kernarg_segment_align: 8
    .kernarg_segment_size: 112
    .language:       OpenCL C
    .language_version:
      - 2
      - 0
    .max_flat_workgroup_size: 128
    .name:           _ZN7rocprim17ROCPRIM_400000_NS6detail17trampoline_kernelINS0_14default_configENS1_27scan_by_key_config_selectorIssEEZZNS1_16scan_by_key_implILNS1_25lookback_scan_determinismE0ELb0ES3_N6thrust23THRUST_200600_302600_NS6detail15normal_iteratorINS9_10device_ptrIsEEEESE_SE_sNS9_4plusIsEE19head_flag_predicatesEE10hipError_tPvRmT2_T3_T4_T5_mT6_T7_P12ihipStream_tbENKUlT_T0_E_clISt17integral_constantIbLb1EESY_EEDaST_SU_EUlST_E_NS1_11comp_targetILNS1_3genE10ELNS1_11target_archE1201ELNS1_3gpuE5ELNS1_3repE0EEENS1_30default_config_static_selectorELNS0_4arch9wavefront6targetE1EEEvT1_
    .private_segment_fixed_size: 0
    .sgpr_count:     4
    .sgpr_spill_count: 0
    .symbol:         _ZN7rocprim17ROCPRIM_400000_NS6detail17trampoline_kernelINS0_14default_configENS1_27scan_by_key_config_selectorIssEEZZNS1_16scan_by_key_implILNS1_25lookback_scan_determinismE0ELb0ES3_N6thrust23THRUST_200600_302600_NS6detail15normal_iteratorINS9_10device_ptrIsEEEESE_SE_sNS9_4plusIsEE19head_flag_predicatesEE10hipError_tPvRmT2_T3_T4_T5_mT6_T7_P12ihipStream_tbENKUlT_T0_E_clISt17integral_constantIbLb1EESY_EEDaST_SU_EUlST_E_NS1_11comp_targetILNS1_3genE10ELNS1_11target_archE1201ELNS1_3gpuE5ELNS1_3repE0EEENS1_30default_config_static_selectorELNS0_4arch9wavefront6targetE1EEEvT1_.kd
    .uniform_work_group_size: 1
    .uses_dynamic_stack: false
    .vgpr_count:     0
    .vgpr_spill_count: 0
    .wavefront_size: 64
  - .agpr_count:     0
    .args:
      - .offset:         0
        .size:           112
        .value_kind:     by_value
    .group_segment_fixed_size: 0
    .kernarg_segment_align: 8
    .kernarg_segment_size: 112
    .language:       OpenCL C
    .language_version:
      - 2
      - 0
    .max_flat_workgroup_size: 256
    .name:           _ZN7rocprim17ROCPRIM_400000_NS6detail17trampoline_kernelINS0_14default_configENS1_27scan_by_key_config_selectorIssEEZZNS1_16scan_by_key_implILNS1_25lookback_scan_determinismE0ELb0ES3_N6thrust23THRUST_200600_302600_NS6detail15normal_iteratorINS9_10device_ptrIsEEEESE_SE_sNS9_4plusIsEE19head_flag_predicatesEE10hipError_tPvRmT2_T3_T4_T5_mT6_T7_P12ihipStream_tbENKUlT_T0_E_clISt17integral_constantIbLb1EESY_EEDaST_SU_EUlST_E_NS1_11comp_targetILNS1_3genE5ELNS1_11target_archE942ELNS1_3gpuE9ELNS1_3repE0EEENS1_30default_config_static_selectorELNS0_4arch9wavefront6targetE1EEEvT1_
    .private_segment_fixed_size: 0
    .sgpr_count:     4
    .sgpr_spill_count: 0
    .symbol:         _ZN7rocprim17ROCPRIM_400000_NS6detail17trampoline_kernelINS0_14default_configENS1_27scan_by_key_config_selectorIssEEZZNS1_16scan_by_key_implILNS1_25lookback_scan_determinismE0ELb0ES3_N6thrust23THRUST_200600_302600_NS6detail15normal_iteratorINS9_10device_ptrIsEEEESE_SE_sNS9_4plusIsEE19head_flag_predicatesEE10hipError_tPvRmT2_T3_T4_T5_mT6_T7_P12ihipStream_tbENKUlT_T0_E_clISt17integral_constantIbLb1EESY_EEDaST_SU_EUlST_E_NS1_11comp_targetILNS1_3genE5ELNS1_11target_archE942ELNS1_3gpuE9ELNS1_3repE0EEENS1_30default_config_static_selectorELNS0_4arch9wavefront6targetE1EEEvT1_.kd
    .uniform_work_group_size: 1
    .uses_dynamic_stack: false
    .vgpr_count:     0
    .vgpr_spill_count: 0
    .wavefront_size: 64
  - .agpr_count:     0
    .args:
      - .offset:         0
        .size:           112
        .value_kind:     by_value
    .group_segment_fixed_size: 12288
    .kernarg_segment_align: 8
    .kernarg_segment_size: 112
    .language:       OpenCL C
    .language_version:
      - 2
      - 0
    .max_flat_workgroup_size: 256
    .name:           _ZN7rocprim17ROCPRIM_400000_NS6detail17trampoline_kernelINS0_14default_configENS1_27scan_by_key_config_selectorIssEEZZNS1_16scan_by_key_implILNS1_25lookback_scan_determinismE0ELb0ES3_N6thrust23THRUST_200600_302600_NS6detail15normal_iteratorINS9_10device_ptrIsEEEESE_SE_sNS9_4plusIsEE19head_flag_predicatesEE10hipError_tPvRmT2_T3_T4_T5_mT6_T7_P12ihipStream_tbENKUlT_T0_E_clISt17integral_constantIbLb1EESY_EEDaST_SU_EUlST_E_NS1_11comp_targetILNS1_3genE4ELNS1_11target_archE910ELNS1_3gpuE8ELNS1_3repE0EEENS1_30default_config_static_selectorELNS0_4arch9wavefront6targetE1EEEvT1_
    .private_segment_fixed_size: 0
    .sgpr_count:     80
    .sgpr_spill_count: 0
    .symbol:         _ZN7rocprim17ROCPRIM_400000_NS6detail17trampoline_kernelINS0_14default_configENS1_27scan_by_key_config_selectorIssEEZZNS1_16scan_by_key_implILNS1_25lookback_scan_determinismE0ELb0ES3_N6thrust23THRUST_200600_302600_NS6detail15normal_iteratorINS9_10device_ptrIsEEEESE_SE_sNS9_4plusIsEE19head_flag_predicatesEE10hipError_tPvRmT2_T3_T4_T5_mT6_T7_P12ihipStream_tbENKUlT_T0_E_clISt17integral_constantIbLb1EESY_EEDaST_SU_EUlST_E_NS1_11comp_targetILNS1_3genE4ELNS1_11target_archE910ELNS1_3gpuE8ELNS1_3repE0EEENS1_30default_config_static_selectorELNS0_4arch9wavefront6targetE1EEEvT1_.kd
    .uniform_work_group_size: 1
    .uses_dynamic_stack: false
    .vgpr_count:     58
    .vgpr_spill_count: 0
    .wavefront_size: 64
  - .agpr_count:     0
    .args:
      - .offset:         0
        .size:           112
        .value_kind:     by_value
    .group_segment_fixed_size: 0
    .kernarg_segment_align: 8
    .kernarg_segment_size: 112
    .language:       OpenCL C
    .language_version:
      - 2
      - 0
    .max_flat_workgroup_size: 256
    .name:           _ZN7rocprim17ROCPRIM_400000_NS6detail17trampoline_kernelINS0_14default_configENS1_27scan_by_key_config_selectorIssEEZZNS1_16scan_by_key_implILNS1_25lookback_scan_determinismE0ELb0ES3_N6thrust23THRUST_200600_302600_NS6detail15normal_iteratorINS9_10device_ptrIsEEEESE_SE_sNS9_4plusIsEE19head_flag_predicatesEE10hipError_tPvRmT2_T3_T4_T5_mT6_T7_P12ihipStream_tbENKUlT_T0_E_clISt17integral_constantIbLb1EESY_EEDaST_SU_EUlST_E_NS1_11comp_targetILNS1_3genE3ELNS1_11target_archE908ELNS1_3gpuE7ELNS1_3repE0EEENS1_30default_config_static_selectorELNS0_4arch9wavefront6targetE1EEEvT1_
    .private_segment_fixed_size: 0
    .sgpr_count:     4
    .sgpr_spill_count: 0
    .symbol:         _ZN7rocprim17ROCPRIM_400000_NS6detail17trampoline_kernelINS0_14default_configENS1_27scan_by_key_config_selectorIssEEZZNS1_16scan_by_key_implILNS1_25lookback_scan_determinismE0ELb0ES3_N6thrust23THRUST_200600_302600_NS6detail15normal_iteratorINS9_10device_ptrIsEEEESE_SE_sNS9_4plusIsEE19head_flag_predicatesEE10hipError_tPvRmT2_T3_T4_T5_mT6_T7_P12ihipStream_tbENKUlT_T0_E_clISt17integral_constantIbLb1EESY_EEDaST_SU_EUlST_E_NS1_11comp_targetILNS1_3genE3ELNS1_11target_archE908ELNS1_3gpuE7ELNS1_3repE0EEENS1_30default_config_static_selectorELNS0_4arch9wavefront6targetE1EEEvT1_.kd
    .uniform_work_group_size: 1
    .uses_dynamic_stack: false
    .vgpr_count:     0
    .vgpr_spill_count: 0
    .wavefront_size: 64
  - .agpr_count:     0
    .args:
      - .offset:         0
        .size:           112
        .value_kind:     by_value
    .group_segment_fixed_size: 0
    .kernarg_segment_align: 8
    .kernarg_segment_size: 112
    .language:       OpenCL C
    .language_version:
      - 2
      - 0
    .max_flat_workgroup_size: 64
    .name:           _ZN7rocprim17ROCPRIM_400000_NS6detail17trampoline_kernelINS0_14default_configENS1_27scan_by_key_config_selectorIssEEZZNS1_16scan_by_key_implILNS1_25lookback_scan_determinismE0ELb0ES3_N6thrust23THRUST_200600_302600_NS6detail15normal_iteratorINS9_10device_ptrIsEEEESE_SE_sNS9_4plusIsEE19head_flag_predicatesEE10hipError_tPvRmT2_T3_T4_T5_mT6_T7_P12ihipStream_tbENKUlT_T0_E_clISt17integral_constantIbLb1EESY_EEDaST_SU_EUlST_E_NS1_11comp_targetILNS1_3genE2ELNS1_11target_archE906ELNS1_3gpuE6ELNS1_3repE0EEENS1_30default_config_static_selectorELNS0_4arch9wavefront6targetE1EEEvT1_
    .private_segment_fixed_size: 0
    .sgpr_count:     4
    .sgpr_spill_count: 0
    .symbol:         _ZN7rocprim17ROCPRIM_400000_NS6detail17trampoline_kernelINS0_14default_configENS1_27scan_by_key_config_selectorIssEEZZNS1_16scan_by_key_implILNS1_25lookback_scan_determinismE0ELb0ES3_N6thrust23THRUST_200600_302600_NS6detail15normal_iteratorINS9_10device_ptrIsEEEESE_SE_sNS9_4plusIsEE19head_flag_predicatesEE10hipError_tPvRmT2_T3_T4_T5_mT6_T7_P12ihipStream_tbENKUlT_T0_E_clISt17integral_constantIbLb1EESY_EEDaST_SU_EUlST_E_NS1_11comp_targetILNS1_3genE2ELNS1_11target_archE906ELNS1_3gpuE6ELNS1_3repE0EEENS1_30default_config_static_selectorELNS0_4arch9wavefront6targetE1EEEvT1_.kd
    .uniform_work_group_size: 1
    .uses_dynamic_stack: false
    .vgpr_count:     0
    .vgpr_spill_count: 0
    .wavefront_size: 64
  - .agpr_count:     0
    .args:
      - .offset:         0
        .size:           112
        .value_kind:     by_value
    .group_segment_fixed_size: 0
    .kernarg_segment_align: 8
    .kernarg_segment_size: 112
    .language:       OpenCL C
    .language_version:
      - 2
      - 0
    .max_flat_workgroup_size: 256
    .name:           _ZN7rocprim17ROCPRIM_400000_NS6detail17trampoline_kernelINS0_14default_configENS1_27scan_by_key_config_selectorIssEEZZNS1_16scan_by_key_implILNS1_25lookback_scan_determinismE0ELb0ES3_N6thrust23THRUST_200600_302600_NS6detail15normal_iteratorINS9_10device_ptrIsEEEESE_SE_sNS9_4plusIsEE19head_flag_predicatesEE10hipError_tPvRmT2_T3_T4_T5_mT6_T7_P12ihipStream_tbENKUlT_T0_E_clISt17integral_constantIbLb1EESY_EEDaST_SU_EUlST_E_NS1_11comp_targetILNS1_3genE10ELNS1_11target_archE1200ELNS1_3gpuE4ELNS1_3repE0EEENS1_30default_config_static_selectorELNS0_4arch9wavefront6targetE1EEEvT1_
    .private_segment_fixed_size: 0
    .sgpr_count:     4
    .sgpr_spill_count: 0
    .symbol:         _ZN7rocprim17ROCPRIM_400000_NS6detail17trampoline_kernelINS0_14default_configENS1_27scan_by_key_config_selectorIssEEZZNS1_16scan_by_key_implILNS1_25lookback_scan_determinismE0ELb0ES3_N6thrust23THRUST_200600_302600_NS6detail15normal_iteratorINS9_10device_ptrIsEEEESE_SE_sNS9_4plusIsEE19head_flag_predicatesEE10hipError_tPvRmT2_T3_T4_T5_mT6_T7_P12ihipStream_tbENKUlT_T0_E_clISt17integral_constantIbLb1EESY_EEDaST_SU_EUlST_E_NS1_11comp_targetILNS1_3genE10ELNS1_11target_archE1200ELNS1_3gpuE4ELNS1_3repE0EEENS1_30default_config_static_selectorELNS0_4arch9wavefront6targetE1EEEvT1_.kd
    .uniform_work_group_size: 1
    .uses_dynamic_stack: false
    .vgpr_count:     0
    .vgpr_spill_count: 0
    .wavefront_size: 64
  - .agpr_count:     0
    .args:
      - .offset:         0
        .size:           112
        .value_kind:     by_value
    .group_segment_fixed_size: 0
    .kernarg_segment_align: 8
    .kernarg_segment_size: 112
    .language:       OpenCL C
    .language_version:
      - 2
      - 0
    .max_flat_workgroup_size: 256
    .name:           _ZN7rocprim17ROCPRIM_400000_NS6detail17trampoline_kernelINS0_14default_configENS1_27scan_by_key_config_selectorIssEEZZNS1_16scan_by_key_implILNS1_25lookback_scan_determinismE0ELb0ES3_N6thrust23THRUST_200600_302600_NS6detail15normal_iteratorINS9_10device_ptrIsEEEESE_SE_sNS9_4plusIsEE19head_flag_predicatesEE10hipError_tPvRmT2_T3_T4_T5_mT6_T7_P12ihipStream_tbENKUlT_T0_E_clISt17integral_constantIbLb1EESY_EEDaST_SU_EUlST_E_NS1_11comp_targetILNS1_3genE9ELNS1_11target_archE1100ELNS1_3gpuE3ELNS1_3repE0EEENS1_30default_config_static_selectorELNS0_4arch9wavefront6targetE1EEEvT1_
    .private_segment_fixed_size: 0
    .sgpr_count:     4
    .sgpr_spill_count: 0
    .symbol:         _ZN7rocprim17ROCPRIM_400000_NS6detail17trampoline_kernelINS0_14default_configENS1_27scan_by_key_config_selectorIssEEZZNS1_16scan_by_key_implILNS1_25lookback_scan_determinismE0ELb0ES3_N6thrust23THRUST_200600_302600_NS6detail15normal_iteratorINS9_10device_ptrIsEEEESE_SE_sNS9_4plusIsEE19head_flag_predicatesEE10hipError_tPvRmT2_T3_T4_T5_mT6_T7_P12ihipStream_tbENKUlT_T0_E_clISt17integral_constantIbLb1EESY_EEDaST_SU_EUlST_E_NS1_11comp_targetILNS1_3genE9ELNS1_11target_archE1100ELNS1_3gpuE3ELNS1_3repE0EEENS1_30default_config_static_selectorELNS0_4arch9wavefront6targetE1EEEvT1_.kd
    .uniform_work_group_size: 1
    .uses_dynamic_stack: false
    .vgpr_count:     0
    .vgpr_spill_count: 0
    .wavefront_size: 64
  - .agpr_count:     0
    .args:
      - .offset:         0
        .size:           112
        .value_kind:     by_value
    .group_segment_fixed_size: 0
    .kernarg_segment_align: 8
    .kernarg_segment_size: 112
    .language:       OpenCL C
    .language_version:
      - 2
      - 0
    .max_flat_workgroup_size: 64
    .name:           _ZN7rocprim17ROCPRIM_400000_NS6detail17trampoline_kernelINS0_14default_configENS1_27scan_by_key_config_selectorIssEEZZNS1_16scan_by_key_implILNS1_25lookback_scan_determinismE0ELb0ES3_N6thrust23THRUST_200600_302600_NS6detail15normal_iteratorINS9_10device_ptrIsEEEESE_SE_sNS9_4plusIsEE19head_flag_predicatesEE10hipError_tPvRmT2_T3_T4_T5_mT6_T7_P12ihipStream_tbENKUlT_T0_E_clISt17integral_constantIbLb1EESY_EEDaST_SU_EUlST_E_NS1_11comp_targetILNS1_3genE8ELNS1_11target_archE1030ELNS1_3gpuE2ELNS1_3repE0EEENS1_30default_config_static_selectorELNS0_4arch9wavefront6targetE1EEEvT1_
    .private_segment_fixed_size: 0
    .sgpr_count:     4
    .sgpr_spill_count: 0
    .symbol:         _ZN7rocprim17ROCPRIM_400000_NS6detail17trampoline_kernelINS0_14default_configENS1_27scan_by_key_config_selectorIssEEZZNS1_16scan_by_key_implILNS1_25lookback_scan_determinismE0ELb0ES3_N6thrust23THRUST_200600_302600_NS6detail15normal_iteratorINS9_10device_ptrIsEEEESE_SE_sNS9_4plusIsEE19head_flag_predicatesEE10hipError_tPvRmT2_T3_T4_T5_mT6_T7_P12ihipStream_tbENKUlT_T0_E_clISt17integral_constantIbLb1EESY_EEDaST_SU_EUlST_E_NS1_11comp_targetILNS1_3genE8ELNS1_11target_archE1030ELNS1_3gpuE2ELNS1_3repE0EEENS1_30default_config_static_selectorELNS0_4arch9wavefront6targetE1EEEvT1_.kd
    .uniform_work_group_size: 1
    .uses_dynamic_stack: false
    .vgpr_count:     0
    .vgpr_spill_count: 0
    .wavefront_size: 64
  - .agpr_count:     0
    .args:
      - .offset:         0
        .size:           112
        .value_kind:     by_value
    .group_segment_fixed_size: 0
    .kernarg_segment_align: 8
    .kernarg_segment_size: 112
    .language:       OpenCL C
    .language_version:
      - 2
      - 0
    .max_flat_workgroup_size: 256
    .name:           _ZN7rocprim17ROCPRIM_400000_NS6detail17trampoline_kernelINS0_14default_configENS1_27scan_by_key_config_selectorIssEEZZNS1_16scan_by_key_implILNS1_25lookback_scan_determinismE0ELb0ES3_N6thrust23THRUST_200600_302600_NS6detail15normal_iteratorINS9_10device_ptrIsEEEESE_SE_sNS9_4plusIsEE19head_flag_predicatesEE10hipError_tPvRmT2_T3_T4_T5_mT6_T7_P12ihipStream_tbENKUlT_T0_E_clISt17integral_constantIbLb1EESX_IbLb0EEEEDaST_SU_EUlST_E_NS1_11comp_targetILNS1_3genE0ELNS1_11target_archE4294967295ELNS1_3gpuE0ELNS1_3repE0EEENS1_30default_config_static_selectorELNS0_4arch9wavefront6targetE1EEEvT1_
    .private_segment_fixed_size: 0
    .sgpr_count:     4
    .sgpr_spill_count: 0
    .symbol:         _ZN7rocprim17ROCPRIM_400000_NS6detail17trampoline_kernelINS0_14default_configENS1_27scan_by_key_config_selectorIssEEZZNS1_16scan_by_key_implILNS1_25lookback_scan_determinismE0ELb0ES3_N6thrust23THRUST_200600_302600_NS6detail15normal_iteratorINS9_10device_ptrIsEEEESE_SE_sNS9_4plusIsEE19head_flag_predicatesEE10hipError_tPvRmT2_T3_T4_T5_mT6_T7_P12ihipStream_tbENKUlT_T0_E_clISt17integral_constantIbLb1EESX_IbLb0EEEEDaST_SU_EUlST_E_NS1_11comp_targetILNS1_3genE0ELNS1_11target_archE4294967295ELNS1_3gpuE0ELNS1_3repE0EEENS1_30default_config_static_selectorELNS0_4arch9wavefront6targetE1EEEvT1_.kd
    .uniform_work_group_size: 1
    .uses_dynamic_stack: false
    .vgpr_count:     0
    .vgpr_spill_count: 0
    .wavefront_size: 64
  - .agpr_count:     0
    .args:
      - .offset:         0
        .size:           112
        .value_kind:     by_value
    .group_segment_fixed_size: 0
    .kernarg_segment_align: 8
    .kernarg_segment_size: 112
    .language:       OpenCL C
    .language_version:
      - 2
      - 0
    .max_flat_workgroup_size: 128
    .name:           _ZN7rocprim17ROCPRIM_400000_NS6detail17trampoline_kernelINS0_14default_configENS1_27scan_by_key_config_selectorIssEEZZNS1_16scan_by_key_implILNS1_25lookback_scan_determinismE0ELb0ES3_N6thrust23THRUST_200600_302600_NS6detail15normal_iteratorINS9_10device_ptrIsEEEESE_SE_sNS9_4plusIsEE19head_flag_predicatesEE10hipError_tPvRmT2_T3_T4_T5_mT6_T7_P12ihipStream_tbENKUlT_T0_E_clISt17integral_constantIbLb1EESX_IbLb0EEEEDaST_SU_EUlST_E_NS1_11comp_targetILNS1_3genE10ELNS1_11target_archE1201ELNS1_3gpuE5ELNS1_3repE0EEENS1_30default_config_static_selectorELNS0_4arch9wavefront6targetE1EEEvT1_
    .private_segment_fixed_size: 0
    .sgpr_count:     4
    .sgpr_spill_count: 0
    .symbol:         _ZN7rocprim17ROCPRIM_400000_NS6detail17trampoline_kernelINS0_14default_configENS1_27scan_by_key_config_selectorIssEEZZNS1_16scan_by_key_implILNS1_25lookback_scan_determinismE0ELb0ES3_N6thrust23THRUST_200600_302600_NS6detail15normal_iteratorINS9_10device_ptrIsEEEESE_SE_sNS9_4plusIsEE19head_flag_predicatesEE10hipError_tPvRmT2_T3_T4_T5_mT6_T7_P12ihipStream_tbENKUlT_T0_E_clISt17integral_constantIbLb1EESX_IbLb0EEEEDaST_SU_EUlST_E_NS1_11comp_targetILNS1_3genE10ELNS1_11target_archE1201ELNS1_3gpuE5ELNS1_3repE0EEENS1_30default_config_static_selectorELNS0_4arch9wavefront6targetE1EEEvT1_.kd
    .uniform_work_group_size: 1
    .uses_dynamic_stack: false
    .vgpr_count:     0
    .vgpr_spill_count: 0
    .wavefront_size: 64
  - .agpr_count:     0
    .args:
      - .offset:         0
        .size:           112
        .value_kind:     by_value
    .group_segment_fixed_size: 0
    .kernarg_segment_align: 8
    .kernarg_segment_size: 112
    .language:       OpenCL C
    .language_version:
      - 2
      - 0
    .max_flat_workgroup_size: 256
    .name:           _ZN7rocprim17ROCPRIM_400000_NS6detail17trampoline_kernelINS0_14default_configENS1_27scan_by_key_config_selectorIssEEZZNS1_16scan_by_key_implILNS1_25lookback_scan_determinismE0ELb0ES3_N6thrust23THRUST_200600_302600_NS6detail15normal_iteratorINS9_10device_ptrIsEEEESE_SE_sNS9_4plusIsEE19head_flag_predicatesEE10hipError_tPvRmT2_T3_T4_T5_mT6_T7_P12ihipStream_tbENKUlT_T0_E_clISt17integral_constantIbLb1EESX_IbLb0EEEEDaST_SU_EUlST_E_NS1_11comp_targetILNS1_3genE5ELNS1_11target_archE942ELNS1_3gpuE9ELNS1_3repE0EEENS1_30default_config_static_selectorELNS0_4arch9wavefront6targetE1EEEvT1_
    .private_segment_fixed_size: 0
    .sgpr_count:     4
    .sgpr_spill_count: 0
    .symbol:         _ZN7rocprim17ROCPRIM_400000_NS6detail17trampoline_kernelINS0_14default_configENS1_27scan_by_key_config_selectorIssEEZZNS1_16scan_by_key_implILNS1_25lookback_scan_determinismE0ELb0ES3_N6thrust23THRUST_200600_302600_NS6detail15normal_iteratorINS9_10device_ptrIsEEEESE_SE_sNS9_4plusIsEE19head_flag_predicatesEE10hipError_tPvRmT2_T3_T4_T5_mT6_T7_P12ihipStream_tbENKUlT_T0_E_clISt17integral_constantIbLb1EESX_IbLb0EEEEDaST_SU_EUlST_E_NS1_11comp_targetILNS1_3genE5ELNS1_11target_archE942ELNS1_3gpuE9ELNS1_3repE0EEENS1_30default_config_static_selectorELNS0_4arch9wavefront6targetE1EEEvT1_.kd
    .uniform_work_group_size: 1
    .uses_dynamic_stack: false
    .vgpr_count:     0
    .vgpr_spill_count: 0
    .wavefront_size: 64
  - .agpr_count:     0
    .args:
      - .offset:         0
        .size:           112
        .value_kind:     by_value
    .group_segment_fixed_size: 12288
    .kernarg_segment_align: 8
    .kernarg_segment_size: 112
    .language:       OpenCL C
    .language_version:
      - 2
      - 0
    .max_flat_workgroup_size: 256
    .name:           _ZN7rocprim17ROCPRIM_400000_NS6detail17trampoline_kernelINS0_14default_configENS1_27scan_by_key_config_selectorIssEEZZNS1_16scan_by_key_implILNS1_25lookback_scan_determinismE0ELb0ES3_N6thrust23THRUST_200600_302600_NS6detail15normal_iteratorINS9_10device_ptrIsEEEESE_SE_sNS9_4plusIsEE19head_flag_predicatesEE10hipError_tPvRmT2_T3_T4_T5_mT6_T7_P12ihipStream_tbENKUlT_T0_E_clISt17integral_constantIbLb1EESX_IbLb0EEEEDaST_SU_EUlST_E_NS1_11comp_targetILNS1_3genE4ELNS1_11target_archE910ELNS1_3gpuE8ELNS1_3repE0EEENS1_30default_config_static_selectorELNS0_4arch9wavefront6targetE1EEEvT1_
    .private_segment_fixed_size: 0
    .sgpr_count:     78
    .sgpr_spill_count: 0
    .symbol:         _ZN7rocprim17ROCPRIM_400000_NS6detail17trampoline_kernelINS0_14default_configENS1_27scan_by_key_config_selectorIssEEZZNS1_16scan_by_key_implILNS1_25lookback_scan_determinismE0ELb0ES3_N6thrust23THRUST_200600_302600_NS6detail15normal_iteratorINS9_10device_ptrIsEEEESE_SE_sNS9_4plusIsEE19head_flag_predicatesEE10hipError_tPvRmT2_T3_T4_T5_mT6_T7_P12ihipStream_tbENKUlT_T0_E_clISt17integral_constantIbLb1EESX_IbLb0EEEEDaST_SU_EUlST_E_NS1_11comp_targetILNS1_3genE4ELNS1_11target_archE910ELNS1_3gpuE8ELNS1_3repE0EEENS1_30default_config_static_selectorELNS0_4arch9wavefront6targetE1EEEvT1_.kd
    .uniform_work_group_size: 1
    .uses_dynamic_stack: false
    .vgpr_count:     58
    .vgpr_spill_count: 0
    .wavefront_size: 64
  - .agpr_count:     0
    .args:
      - .offset:         0
        .size:           112
        .value_kind:     by_value
    .group_segment_fixed_size: 0
    .kernarg_segment_align: 8
    .kernarg_segment_size: 112
    .language:       OpenCL C
    .language_version:
      - 2
      - 0
    .max_flat_workgroup_size: 256
    .name:           _ZN7rocprim17ROCPRIM_400000_NS6detail17trampoline_kernelINS0_14default_configENS1_27scan_by_key_config_selectorIssEEZZNS1_16scan_by_key_implILNS1_25lookback_scan_determinismE0ELb0ES3_N6thrust23THRUST_200600_302600_NS6detail15normal_iteratorINS9_10device_ptrIsEEEESE_SE_sNS9_4plusIsEE19head_flag_predicatesEE10hipError_tPvRmT2_T3_T4_T5_mT6_T7_P12ihipStream_tbENKUlT_T0_E_clISt17integral_constantIbLb1EESX_IbLb0EEEEDaST_SU_EUlST_E_NS1_11comp_targetILNS1_3genE3ELNS1_11target_archE908ELNS1_3gpuE7ELNS1_3repE0EEENS1_30default_config_static_selectorELNS0_4arch9wavefront6targetE1EEEvT1_
    .private_segment_fixed_size: 0
    .sgpr_count:     4
    .sgpr_spill_count: 0
    .symbol:         _ZN7rocprim17ROCPRIM_400000_NS6detail17trampoline_kernelINS0_14default_configENS1_27scan_by_key_config_selectorIssEEZZNS1_16scan_by_key_implILNS1_25lookback_scan_determinismE0ELb0ES3_N6thrust23THRUST_200600_302600_NS6detail15normal_iteratorINS9_10device_ptrIsEEEESE_SE_sNS9_4plusIsEE19head_flag_predicatesEE10hipError_tPvRmT2_T3_T4_T5_mT6_T7_P12ihipStream_tbENKUlT_T0_E_clISt17integral_constantIbLb1EESX_IbLb0EEEEDaST_SU_EUlST_E_NS1_11comp_targetILNS1_3genE3ELNS1_11target_archE908ELNS1_3gpuE7ELNS1_3repE0EEENS1_30default_config_static_selectorELNS0_4arch9wavefront6targetE1EEEvT1_.kd
    .uniform_work_group_size: 1
    .uses_dynamic_stack: false
    .vgpr_count:     0
    .vgpr_spill_count: 0
    .wavefront_size: 64
  - .agpr_count:     0
    .args:
      - .offset:         0
        .size:           112
        .value_kind:     by_value
    .group_segment_fixed_size: 0
    .kernarg_segment_align: 8
    .kernarg_segment_size: 112
    .language:       OpenCL C
    .language_version:
      - 2
      - 0
    .max_flat_workgroup_size: 64
    .name:           _ZN7rocprim17ROCPRIM_400000_NS6detail17trampoline_kernelINS0_14default_configENS1_27scan_by_key_config_selectorIssEEZZNS1_16scan_by_key_implILNS1_25lookback_scan_determinismE0ELb0ES3_N6thrust23THRUST_200600_302600_NS6detail15normal_iteratorINS9_10device_ptrIsEEEESE_SE_sNS9_4plusIsEE19head_flag_predicatesEE10hipError_tPvRmT2_T3_T4_T5_mT6_T7_P12ihipStream_tbENKUlT_T0_E_clISt17integral_constantIbLb1EESX_IbLb0EEEEDaST_SU_EUlST_E_NS1_11comp_targetILNS1_3genE2ELNS1_11target_archE906ELNS1_3gpuE6ELNS1_3repE0EEENS1_30default_config_static_selectorELNS0_4arch9wavefront6targetE1EEEvT1_
    .private_segment_fixed_size: 0
    .sgpr_count:     4
    .sgpr_spill_count: 0
    .symbol:         _ZN7rocprim17ROCPRIM_400000_NS6detail17trampoline_kernelINS0_14default_configENS1_27scan_by_key_config_selectorIssEEZZNS1_16scan_by_key_implILNS1_25lookback_scan_determinismE0ELb0ES3_N6thrust23THRUST_200600_302600_NS6detail15normal_iteratorINS9_10device_ptrIsEEEESE_SE_sNS9_4plusIsEE19head_flag_predicatesEE10hipError_tPvRmT2_T3_T4_T5_mT6_T7_P12ihipStream_tbENKUlT_T0_E_clISt17integral_constantIbLb1EESX_IbLb0EEEEDaST_SU_EUlST_E_NS1_11comp_targetILNS1_3genE2ELNS1_11target_archE906ELNS1_3gpuE6ELNS1_3repE0EEENS1_30default_config_static_selectorELNS0_4arch9wavefront6targetE1EEEvT1_.kd
    .uniform_work_group_size: 1
    .uses_dynamic_stack: false
    .vgpr_count:     0
    .vgpr_spill_count: 0
    .wavefront_size: 64
  - .agpr_count:     0
    .args:
      - .offset:         0
        .size:           112
        .value_kind:     by_value
    .group_segment_fixed_size: 0
    .kernarg_segment_align: 8
    .kernarg_segment_size: 112
    .language:       OpenCL C
    .language_version:
      - 2
      - 0
    .max_flat_workgroup_size: 256
    .name:           _ZN7rocprim17ROCPRIM_400000_NS6detail17trampoline_kernelINS0_14default_configENS1_27scan_by_key_config_selectorIssEEZZNS1_16scan_by_key_implILNS1_25lookback_scan_determinismE0ELb0ES3_N6thrust23THRUST_200600_302600_NS6detail15normal_iteratorINS9_10device_ptrIsEEEESE_SE_sNS9_4plusIsEE19head_flag_predicatesEE10hipError_tPvRmT2_T3_T4_T5_mT6_T7_P12ihipStream_tbENKUlT_T0_E_clISt17integral_constantIbLb1EESX_IbLb0EEEEDaST_SU_EUlST_E_NS1_11comp_targetILNS1_3genE10ELNS1_11target_archE1200ELNS1_3gpuE4ELNS1_3repE0EEENS1_30default_config_static_selectorELNS0_4arch9wavefront6targetE1EEEvT1_
    .private_segment_fixed_size: 0
    .sgpr_count:     4
    .sgpr_spill_count: 0
    .symbol:         _ZN7rocprim17ROCPRIM_400000_NS6detail17trampoline_kernelINS0_14default_configENS1_27scan_by_key_config_selectorIssEEZZNS1_16scan_by_key_implILNS1_25lookback_scan_determinismE0ELb0ES3_N6thrust23THRUST_200600_302600_NS6detail15normal_iteratorINS9_10device_ptrIsEEEESE_SE_sNS9_4plusIsEE19head_flag_predicatesEE10hipError_tPvRmT2_T3_T4_T5_mT6_T7_P12ihipStream_tbENKUlT_T0_E_clISt17integral_constantIbLb1EESX_IbLb0EEEEDaST_SU_EUlST_E_NS1_11comp_targetILNS1_3genE10ELNS1_11target_archE1200ELNS1_3gpuE4ELNS1_3repE0EEENS1_30default_config_static_selectorELNS0_4arch9wavefront6targetE1EEEvT1_.kd
    .uniform_work_group_size: 1
    .uses_dynamic_stack: false
    .vgpr_count:     0
    .vgpr_spill_count: 0
    .wavefront_size: 64
  - .agpr_count:     0
    .args:
      - .offset:         0
        .size:           112
        .value_kind:     by_value
    .group_segment_fixed_size: 0
    .kernarg_segment_align: 8
    .kernarg_segment_size: 112
    .language:       OpenCL C
    .language_version:
      - 2
      - 0
    .max_flat_workgroup_size: 256
    .name:           _ZN7rocprim17ROCPRIM_400000_NS6detail17trampoline_kernelINS0_14default_configENS1_27scan_by_key_config_selectorIssEEZZNS1_16scan_by_key_implILNS1_25lookback_scan_determinismE0ELb0ES3_N6thrust23THRUST_200600_302600_NS6detail15normal_iteratorINS9_10device_ptrIsEEEESE_SE_sNS9_4plusIsEE19head_flag_predicatesEE10hipError_tPvRmT2_T3_T4_T5_mT6_T7_P12ihipStream_tbENKUlT_T0_E_clISt17integral_constantIbLb1EESX_IbLb0EEEEDaST_SU_EUlST_E_NS1_11comp_targetILNS1_3genE9ELNS1_11target_archE1100ELNS1_3gpuE3ELNS1_3repE0EEENS1_30default_config_static_selectorELNS0_4arch9wavefront6targetE1EEEvT1_
    .private_segment_fixed_size: 0
    .sgpr_count:     4
    .sgpr_spill_count: 0
    .symbol:         _ZN7rocprim17ROCPRIM_400000_NS6detail17trampoline_kernelINS0_14default_configENS1_27scan_by_key_config_selectorIssEEZZNS1_16scan_by_key_implILNS1_25lookback_scan_determinismE0ELb0ES3_N6thrust23THRUST_200600_302600_NS6detail15normal_iteratorINS9_10device_ptrIsEEEESE_SE_sNS9_4plusIsEE19head_flag_predicatesEE10hipError_tPvRmT2_T3_T4_T5_mT6_T7_P12ihipStream_tbENKUlT_T0_E_clISt17integral_constantIbLb1EESX_IbLb0EEEEDaST_SU_EUlST_E_NS1_11comp_targetILNS1_3genE9ELNS1_11target_archE1100ELNS1_3gpuE3ELNS1_3repE0EEENS1_30default_config_static_selectorELNS0_4arch9wavefront6targetE1EEEvT1_.kd
    .uniform_work_group_size: 1
    .uses_dynamic_stack: false
    .vgpr_count:     0
    .vgpr_spill_count: 0
    .wavefront_size: 64
  - .agpr_count:     0
    .args:
      - .offset:         0
        .size:           112
        .value_kind:     by_value
    .group_segment_fixed_size: 0
    .kernarg_segment_align: 8
    .kernarg_segment_size: 112
    .language:       OpenCL C
    .language_version:
      - 2
      - 0
    .max_flat_workgroup_size: 64
    .name:           _ZN7rocprim17ROCPRIM_400000_NS6detail17trampoline_kernelINS0_14default_configENS1_27scan_by_key_config_selectorIssEEZZNS1_16scan_by_key_implILNS1_25lookback_scan_determinismE0ELb0ES3_N6thrust23THRUST_200600_302600_NS6detail15normal_iteratorINS9_10device_ptrIsEEEESE_SE_sNS9_4plusIsEE19head_flag_predicatesEE10hipError_tPvRmT2_T3_T4_T5_mT6_T7_P12ihipStream_tbENKUlT_T0_E_clISt17integral_constantIbLb1EESX_IbLb0EEEEDaST_SU_EUlST_E_NS1_11comp_targetILNS1_3genE8ELNS1_11target_archE1030ELNS1_3gpuE2ELNS1_3repE0EEENS1_30default_config_static_selectorELNS0_4arch9wavefront6targetE1EEEvT1_
    .private_segment_fixed_size: 0
    .sgpr_count:     4
    .sgpr_spill_count: 0
    .symbol:         _ZN7rocprim17ROCPRIM_400000_NS6detail17trampoline_kernelINS0_14default_configENS1_27scan_by_key_config_selectorIssEEZZNS1_16scan_by_key_implILNS1_25lookback_scan_determinismE0ELb0ES3_N6thrust23THRUST_200600_302600_NS6detail15normal_iteratorINS9_10device_ptrIsEEEESE_SE_sNS9_4plusIsEE19head_flag_predicatesEE10hipError_tPvRmT2_T3_T4_T5_mT6_T7_P12ihipStream_tbENKUlT_T0_E_clISt17integral_constantIbLb1EESX_IbLb0EEEEDaST_SU_EUlST_E_NS1_11comp_targetILNS1_3genE8ELNS1_11target_archE1030ELNS1_3gpuE2ELNS1_3repE0EEENS1_30default_config_static_selectorELNS0_4arch9wavefront6targetE1EEEvT1_.kd
    .uniform_work_group_size: 1
    .uses_dynamic_stack: false
    .vgpr_count:     0
    .vgpr_spill_count: 0
    .wavefront_size: 64
  - .agpr_count:     0
    .args:
      - .offset:         0
        .size:           112
        .value_kind:     by_value
    .group_segment_fixed_size: 0
    .kernarg_segment_align: 8
    .kernarg_segment_size: 112
    .language:       OpenCL C
    .language_version:
      - 2
      - 0
    .max_flat_workgroup_size: 256
    .name:           _ZN7rocprim17ROCPRIM_400000_NS6detail17trampoline_kernelINS0_14default_configENS1_27scan_by_key_config_selectorIssEEZZNS1_16scan_by_key_implILNS1_25lookback_scan_determinismE0ELb0ES3_N6thrust23THRUST_200600_302600_NS6detail15normal_iteratorINS9_10device_ptrIsEEEESE_SE_sNS9_4plusIsEE19head_flag_predicatesEE10hipError_tPvRmT2_T3_T4_T5_mT6_T7_P12ihipStream_tbENKUlT_T0_E_clISt17integral_constantIbLb0EESX_IbLb1EEEEDaST_SU_EUlST_E_NS1_11comp_targetILNS1_3genE0ELNS1_11target_archE4294967295ELNS1_3gpuE0ELNS1_3repE0EEENS1_30default_config_static_selectorELNS0_4arch9wavefront6targetE1EEEvT1_
    .private_segment_fixed_size: 0
    .sgpr_count:     4
    .sgpr_spill_count: 0
    .symbol:         _ZN7rocprim17ROCPRIM_400000_NS6detail17trampoline_kernelINS0_14default_configENS1_27scan_by_key_config_selectorIssEEZZNS1_16scan_by_key_implILNS1_25lookback_scan_determinismE0ELb0ES3_N6thrust23THRUST_200600_302600_NS6detail15normal_iteratorINS9_10device_ptrIsEEEESE_SE_sNS9_4plusIsEE19head_flag_predicatesEE10hipError_tPvRmT2_T3_T4_T5_mT6_T7_P12ihipStream_tbENKUlT_T0_E_clISt17integral_constantIbLb0EESX_IbLb1EEEEDaST_SU_EUlST_E_NS1_11comp_targetILNS1_3genE0ELNS1_11target_archE4294967295ELNS1_3gpuE0ELNS1_3repE0EEENS1_30default_config_static_selectorELNS0_4arch9wavefront6targetE1EEEvT1_.kd
    .uniform_work_group_size: 1
    .uses_dynamic_stack: false
    .vgpr_count:     0
    .vgpr_spill_count: 0
    .wavefront_size: 64
  - .agpr_count:     0
    .args:
      - .offset:         0
        .size:           112
        .value_kind:     by_value
    .group_segment_fixed_size: 0
    .kernarg_segment_align: 8
    .kernarg_segment_size: 112
    .language:       OpenCL C
    .language_version:
      - 2
      - 0
    .max_flat_workgroup_size: 128
    .name:           _ZN7rocprim17ROCPRIM_400000_NS6detail17trampoline_kernelINS0_14default_configENS1_27scan_by_key_config_selectorIssEEZZNS1_16scan_by_key_implILNS1_25lookback_scan_determinismE0ELb0ES3_N6thrust23THRUST_200600_302600_NS6detail15normal_iteratorINS9_10device_ptrIsEEEESE_SE_sNS9_4plusIsEE19head_flag_predicatesEE10hipError_tPvRmT2_T3_T4_T5_mT6_T7_P12ihipStream_tbENKUlT_T0_E_clISt17integral_constantIbLb0EESX_IbLb1EEEEDaST_SU_EUlST_E_NS1_11comp_targetILNS1_3genE10ELNS1_11target_archE1201ELNS1_3gpuE5ELNS1_3repE0EEENS1_30default_config_static_selectorELNS0_4arch9wavefront6targetE1EEEvT1_
    .private_segment_fixed_size: 0
    .sgpr_count:     4
    .sgpr_spill_count: 0
    .symbol:         _ZN7rocprim17ROCPRIM_400000_NS6detail17trampoline_kernelINS0_14default_configENS1_27scan_by_key_config_selectorIssEEZZNS1_16scan_by_key_implILNS1_25lookback_scan_determinismE0ELb0ES3_N6thrust23THRUST_200600_302600_NS6detail15normal_iteratorINS9_10device_ptrIsEEEESE_SE_sNS9_4plusIsEE19head_flag_predicatesEE10hipError_tPvRmT2_T3_T4_T5_mT6_T7_P12ihipStream_tbENKUlT_T0_E_clISt17integral_constantIbLb0EESX_IbLb1EEEEDaST_SU_EUlST_E_NS1_11comp_targetILNS1_3genE10ELNS1_11target_archE1201ELNS1_3gpuE5ELNS1_3repE0EEENS1_30default_config_static_selectorELNS0_4arch9wavefront6targetE1EEEvT1_.kd
    .uniform_work_group_size: 1
    .uses_dynamic_stack: false
    .vgpr_count:     0
    .vgpr_spill_count: 0
    .wavefront_size: 64
  - .agpr_count:     0
    .args:
      - .offset:         0
        .size:           112
        .value_kind:     by_value
    .group_segment_fixed_size: 0
    .kernarg_segment_align: 8
    .kernarg_segment_size: 112
    .language:       OpenCL C
    .language_version:
      - 2
      - 0
    .max_flat_workgroup_size: 256
    .name:           _ZN7rocprim17ROCPRIM_400000_NS6detail17trampoline_kernelINS0_14default_configENS1_27scan_by_key_config_selectorIssEEZZNS1_16scan_by_key_implILNS1_25lookback_scan_determinismE0ELb0ES3_N6thrust23THRUST_200600_302600_NS6detail15normal_iteratorINS9_10device_ptrIsEEEESE_SE_sNS9_4plusIsEE19head_flag_predicatesEE10hipError_tPvRmT2_T3_T4_T5_mT6_T7_P12ihipStream_tbENKUlT_T0_E_clISt17integral_constantIbLb0EESX_IbLb1EEEEDaST_SU_EUlST_E_NS1_11comp_targetILNS1_3genE5ELNS1_11target_archE942ELNS1_3gpuE9ELNS1_3repE0EEENS1_30default_config_static_selectorELNS0_4arch9wavefront6targetE1EEEvT1_
    .private_segment_fixed_size: 0
    .sgpr_count:     4
    .sgpr_spill_count: 0
    .symbol:         _ZN7rocprim17ROCPRIM_400000_NS6detail17trampoline_kernelINS0_14default_configENS1_27scan_by_key_config_selectorIssEEZZNS1_16scan_by_key_implILNS1_25lookback_scan_determinismE0ELb0ES3_N6thrust23THRUST_200600_302600_NS6detail15normal_iteratorINS9_10device_ptrIsEEEESE_SE_sNS9_4plusIsEE19head_flag_predicatesEE10hipError_tPvRmT2_T3_T4_T5_mT6_T7_P12ihipStream_tbENKUlT_T0_E_clISt17integral_constantIbLb0EESX_IbLb1EEEEDaST_SU_EUlST_E_NS1_11comp_targetILNS1_3genE5ELNS1_11target_archE942ELNS1_3gpuE9ELNS1_3repE0EEENS1_30default_config_static_selectorELNS0_4arch9wavefront6targetE1EEEvT1_.kd
    .uniform_work_group_size: 1
    .uses_dynamic_stack: false
    .vgpr_count:     0
    .vgpr_spill_count: 0
    .wavefront_size: 64
  - .agpr_count:     0
    .args:
      - .offset:         0
        .size:           112
        .value_kind:     by_value
    .group_segment_fixed_size: 12288
    .kernarg_segment_align: 8
    .kernarg_segment_size: 112
    .language:       OpenCL C
    .language_version:
      - 2
      - 0
    .max_flat_workgroup_size: 256
    .name:           _ZN7rocprim17ROCPRIM_400000_NS6detail17trampoline_kernelINS0_14default_configENS1_27scan_by_key_config_selectorIssEEZZNS1_16scan_by_key_implILNS1_25lookback_scan_determinismE0ELb0ES3_N6thrust23THRUST_200600_302600_NS6detail15normal_iteratorINS9_10device_ptrIsEEEESE_SE_sNS9_4plusIsEE19head_flag_predicatesEE10hipError_tPvRmT2_T3_T4_T5_mT6_T7_P12ihipStream_tbENKUlT_T0_E_clISt17integral_constantIbLb0EESX_IbLb1EEEEDaST_SU_EUlST_E_NS1_11comp_targetILNS1_3genE4ELNS1_11target_archE910ELNS1_3gpuE8ELNS1_3repE0EEENS1_30default_config_static_selectorELNS0_4arch9wavefront6targetE1EEEvT1_
    .private_segment_fixed_size: 0
    .sgpr_count:     80
    .sgpr_spill_count: 0
    .symbol:         _ZN7rocprim17ROCPRIM_400000_NS6detail17trampoline_kernelINS0_14default_configENS1_27scan_by_key_config_selectorIssEEZZNS1_16scan_by_key_implILNS1_25lookback_scan_determinismE0ELb0ES3_N6thrust23THRUST_200600_302600_NS6detail15normal_iteratorINS9_10device_ptrIsEEEESE_SE_sNS9_4plusIsEE19head_flag_predicatesEE10hipError_tPvRmT2_T3_T4_T5_mT6_T7_P12ihipStream_tbENKUlT_T0_E_clISt17integral_constantIbLb0EESX_IbLb1EEEEDaST_SU_EUlST_E_NS1_11comp_targetILNS1_3genE4ELNS1_11target_archE910ELNS1_3gpuE8ELNS1_3repE0EEENS1_30default_config_static_selectorELNS0_4arch9wavefront6targetE1EEEvT1_.kd
    .uniform_work_group_size: 1
    .uses_dynamic_stack: false
    .vgpr_count:     58
    .vgpr_spill_count: 0
    .wavefront_size: 64
  - .agpr_count:     0
    .args:
      - .offset:         0
        .size:           112
        .value_kind:     by_value
    .group_segment_fixed_size: 0
    .kernarg_segment_align: 8
    .kernarg_segment_size: 112
    .language:       OpenCL C
    .language_version:
      - 2
      - 0
    .max_flat_workgroup_size: 256
    .name:           _ZN7rocprim17ROCPRIM_400000_NS6detail17trampoline_kernelINS0_14default_configENS1_27scan_by_key_config_selectorIssEEZZNS1_16scan_by_key_implILNS1_25lookback_scan_determinismE0ELb0ES3_N6thrust23THRUST_200600_302600_NS6detail15normal_iteratorINS9_10device_ptrIsEEEESE_SE_sNS9_4plusIsEE19head_flag_predicatesEE10hipError_tPvRmT2_T3_T4_T5_mT6_T7_P12ihipStream_tbENKUlT_T0_E_clISt17integral_constantIbLb0EESX_IbLb1EEEEDaST_SU_EUlST_E_NS1_11comp_targetILNS1_3genE3ELNS1_11target_archE908ELNS1_3gpuE7ELNS1_3repE0EEENS1_30default_config_static_selectorELNS0_4arch9wavefront6targetE1EEEvT1_
    .private_segment_fixed_size: 0
    .sgpr_count:     4
    .sgpr_spill_count: 0
    .symbol:         _ZN7rocprim17ROCPRIM_400000_NS6detail17trampoline_kernelINS0_14default_configENS1_27scan_by_key_config_selectorIssEEZZNS1_16scan_by_key_implILNS1_25lookback_scan_determinismE0ELb0ES3_N6thrust23THRUST_200600_302600_NS6detail15normal_iteratorINS9_10device_ptrIsEEEESE_SE_sNS9_4plusIsEE19head_flag_predicatesEE10hipError_tPvRmT2_T3_T4_T5_mT6_T7_P12ihipStream_tbENKUlT_T0_E_clISt17integral_constantIbLb0EESX_IbLb1EEEEDaST_SU_EUlST_E_NS1_11comp_targetILNS1_3genE3ELNS1_11target_archE908ELNS1_3gpuE7ELNS1_3repE0EEENS1_30default_config_static_selectorELNS0_4arch9wavefront6targetE1EEEvT1_.kd
    .uniform_work_group_size: 1
    .uses_dynamic_stack: false
    .vgpr_count:     0
    .vgpr_spill_count: 0
    .wavefront_size: 64
  - .agpr_count:     0
    .args:
      - .offset:         0
        .size:           112
        .value_kind:     by_value
    .group_segment_fixed_size: 0
    .kernarg_segment_align: 8
    .kernarg_segment_size: 112
    .language:       OpenCL C
    .language_version:
      - 2
      - 0
    .max_flat_workgroup_size: 64
    .name:           _ZN7rocprim17ROCPRIM_400000_NS6detail17trampoline_kernelINS0_14default_configENS1_27scan_by_key_config_selectorIssEEZZNS1_16scan_by_key_implILNS1_25lookback_scan_determinismE0ELb0ES3_N6thrust23THRUST_200600_302600_NS6detail15normal_iteratorINS9_10device_ptrIsEEEESE_SE_sNS9_4plusIsEE19head_flag_predicatesEE10hipError_tPvRmT2_T3_T4_T5_mT6_T7_P12ihipStream_tbENKUlT_T0_E_clISt17integral_constantIbLb0EESX_IbLb1EEEEDaST_SU_EUlST_E_NS1_11comp_targetILNS1_3genE2ELNS1_11target_archE906ELNS1_3gpuE6ELNS1_3repE0EEENS1_30default_config_static_selectorELNS0_4arch9wavefront6targetE1EEEvT1_
    .private_segment_fixed_size: 0
    .sgpr_count:     4
    .sgpr_spill_count: 0
    .symbol:         _ZN7rocprim17ROCPRIM_400000_NS6detail17trampoline_kernelINS0_14default_configENS1_27scan_by_key_config_selectorIssEEZZNS1_16scan_by_key_implILNS1_25lookback_scan_determinismE0ELb0ES3_N6thrust23THRUST_200600_302600_NS6detail15normal_iteratorINS9_10device_ptrIsEEEESE_SE_sNS9_4plusIsEE19head_flag_predicatesEE10hipError_tPvRmT2_T3_T4_T5_mT6_T7_P12ihipStream_tbENKUlT_T0_E_clISt17integral_constantIbLb0EESX_IbLb1EEEEDaST_SU_EUlST_E_NS1_11comp_targetILNS1_3genE2ELNS1_11target_archE906ELNS1_3gpuE6ELNS1_3repE0EEENS1_30default_config_static_selectorELNS0_4arch9wavefront6targetE1EEEvT1_.kd
    .uniform_work_group_size: 1
    .uses_dynamic_stack: false
    .vgpr_count:     0
    .vgpr_spill_count: 0
    .wavefront_size: 64
  - .agpr_count:     0
    .args:
      - .offset:         0
        .size:           112
        .value_kind:     by_value
    .group_segment_fixed_size: 0
    .kernarg_segment_align: 8
    .kernarg_segment_size: 112
    .language:       OpenCL C
    .language_version:
      - 2
      - 0
    .max_flat_workgroup_size: 256
    .name:           _ZN7rocprim17ROCPRIM_400000_NS6detail17trampoline_kernelINS0_14default_configENS1_27scan_by_key_config_selectorIssEEZZNS1_16scan_by_key_implILNS1_25lookback_scan_determinismE0ELb0ES3_N6thrust23THRUST_200600_302600_NS6detail15normal_iteratorINS9_10device_ptrIsEEEESE_SE_sNS9_4plusIsEE19head_flag_predicatesEE10hipError_tPvRmT2_T3_T4_T5_mT6_T7_P12ihipStream_tbENKUlT_T0_E_clISt17integral_constantIbLb0EESX_IbLb1EEEEDaST_SU_EUlST_E_NS1_11comp_targetILNS1_3genE10ELNS1_11target_archE1200ELNS1_3gpuE4ELNS1_3repE0EEENS1_30default_config_static_selectorELNS0_4arch9wavefront6targetE1EEEvT1_
    .private_segment_fixed_size: 0
    .sgpr_count:     4
    .sgpr_spill_count: 0
    .symbol:         _ZN7rocprim17ROCPRIM_400000_NS6detail17trampoline_kernelINS0_14default_configENS1_27scan_by_key_config_selectorIssEEZZNS1_16scan_by_key_implILNS1_25lookback_scan_determinismE0ELb0ES3_N6thrust23THRUST_200600_302600_NS6detail15normal_iteratorINS9_10device_ptrIsEEEESE_SE_sNS9_4plusIsEE19head_flag_predicatesEE10hipError_tPvRmT2_T3_T4_T5_mT6_T7_P12ihipStream_tbENKUlT_T0_E_clISt17integral_constantIbLb0EESX_IbLb1EEEEDaST_SU_EUlST_E_NS1_11comp_targetILNS1_3genE10ELNS1_11target_archE1200ELNS1_3gpuE4ELNS1_3repE0EEENS1_30default_config_static_selectorELNS0_4arch9wavefront6targetE1EEEvT1_.kd
    .uniform_work_group_size: 1
    .uses_dynamic_stack: false
    .vgpr_count:     0
    .vgpr_spill_count: 0
    .wavefront_size: 64
  - .agpr_count:     0
    .args:
      - .offset:         0
        .size:           112
        .value_kind:     by_value
    .group_segment_fixed_size: 0
    .kernarg_segment_align: 8
    .kernarg_segment_size: 112
    .language:       OpenCL C
    .language_version:
      - 2
      - 0
    .max_flat_workgroup_size: 256
    .name:           _ZN7rocprim17ROCPRIM_400000_NS6detail17trampoline_kernelINS0_14default_configENS1_27scan_by_key_config_selectorIssEEZZNS1_16scan_by_key_implILNS1_25lookback_scan_determinismE0ELb0ES3_N6thrust23THRUST_200600_302600_NS6detail15normal_iteratorINS9_10device_ptrIsEEEESE_SE_sNS9_4plusIsEE19head_flag_predicatesEE10hipError_tPvRmT2_T3_T4_T5_mT6_T7_P12ihipStream_tbENKUlT_T0_E_clISt17integral_constantIbLb0EESX_IbLb1EEEEDaST_SU_EUlST_E_NS1_11comp_targetILNS1_3genE9ELNS1_11target_archE1100ELNS1_3gpuE3ELNS1_3repE0EEENS1_30default_config_static_selectorELNS0_4arch9wavefront6targetE1EEEvT1_
    .private_segment_fixed_size: 0
    .sgpr_count:     4
    .sgpr_spill_count: 0
    .symbol:         _ZN7rocprim17ROCPRIM_400000_NS6detail17trampoline_kernelINS0_14default_configENS1_27scan_by_key_config_selectorIssEEZZNS1_16scan_by_key_implILNS1_25lookback_scan_determinismE0ELb0ES3_N6thrust23THRUST_200600_302600_NS6detail15normal_iteratorINS9_10device_ptrIsEEEESE_SE_sNS9_4plusIsEE19head_flag_predicatesEE10hipError_tPvRmT2_T3_T4_T5_mT6_T7_P12ihipStream_tbENKUlT_T0_E_clISt17integral_constantIbLb0EESX_IbLb1EEEEDaST_SU_EUlST_E_NS1_11comp_targetILNS1_3genE9ELNS1_11target_archE1100ELNS1_3gpuE3ELNS1_3repE0EEENS1_30default_config_static_selectorELNS0_4arch9wavefront6targetE1EEEvT1_.kd
    .uniform_work_group_size: 1
    .uses_dynamic_stack: false
    .vgpr_count:     0
    .vgpr_spill_count: 0
    .wavefront_size: 64
  - .agpr_count:     0
    .args:
      - .offset:         0
        .size:           112
        .value_kind:     by_value
    .group_segment_fixed_size: 0
    .kernarg_segment_align: 8
    .kernarg_segment_size: 112
    .language:       OpenCL C
    .language_version:
      - 2
      - 0
    .max_flat_workgroup_size: 64
    .name:           _ZN7rocprim17ROCPRIM_400000_NS6detail17trampoline_kernelINS0_14default_configENS1_27scan_by_key_config_selectorIssEEZZNS1_16scan_by_key_implILNS1_25lookback_scan_determinismE0ELb0ES3_N6thrust23THRUST_200600_302600_NS6detail15normal_iteratorINS9_10device_ptrIsEEEESE_SE_sNS9_4plusIsEE19head_flag_predicatesEE10hipError_tPvRmT2_T3_T4_T5_mT6_T7_P12ihipStream_tbENKUlT_T0_E_clISt17integral_constantIbLb0EESX_IbLb1EEEEDaST_SU_EUlST_E_NS1_11comp_targetILNS1_3genE8ELNS1_11target_archE1030ELNS1_3gpuE2ELNS1_3repE0EEENS1_30default_config_static_selectorELNS0_4arch9wavefront6targetE1EEEvT1_
    .private_segment_fixed_size: 0
    .sgpr_count:     4
    .sgpr_spill_count: 0
    .symbol:         _ZN7rocprim17ROCPRIM_400000_NS6detail17trampoline_kernelINS0_14default_configENS1_27scan_by_key_config_selectorIssEEZZNS1_16scan_by_key_implILNS1_25lookback_scan_determinismE0ELb0ES3_N6thrust23THRUST_200600_302600_NS6detail15normal_iteratorINS9_10device_ptrIsEEEESE_SE_sNS9_4plusIsEE19head_flag_predicatesEE10hipError_tPvRmT2_T3_T4_T5_mT6_T7_P12ihipStream_tbENKUlT_T0_E_clISt17integral_constantIbLb0EESX_IbLb1EEEEDaST_SU_EUlST_E_NS1_11comp_targetILNS1_3genE8ELNS1_11target_archE1030ELNS1_3gpuE2ELNS1_3repE0EEENS1_30default_config_static_selectorELNS0_4arch9wavefront6targetE1EEEvT1_.kd
    .uniform_work_group_size: 1
    .uses_dynamic_stack: false
    .vgpr_count:     0
    .vgpr_spill_count: 0
    .wavefront_size: 64
  - .agpr_count:     0
    .args:
      - .offset:         0
        .size:           112
        .value_kind:     by_value
    .group_segment_fixed_size: 0
    .kernarg_segment_align: 8
    .kernarg_segment_size: 112
    .language:       OpenCL C
    .language_version:
      - 2
      - 0
    .max_flat_workgroup_size: 256
    .name:           _ZN7rocprim17ROCPRIM_400000_NS6detail17trampoline_kernelINS0_14default_configENS1_27scan_by_key_config_selectorIssEEZZNS1_16scan_by_key_implILNS1_25lookback_scan_determinismE0ELb1ES3_N6thrust23THRUST_200600_302600_NS6detail15normal_iteratorINS9_10device_ptrIsEEEESE_SE_sNS9_4plusIsEE19head_flag_predicatesEE10hipError_tPvRmT2_T3_T4_T5_mT6_T7_P12ihipStream_tbENKUlT_T0_E_clISt17integral_constantIbLb0EESY_EEDaST_SU_EUlST_E_NS1_11comp_targetILNS1_3genE0ELNS1_11target_archE4294967295ELNS1_3gpuE0ELNS1_3repE0EEENS1_30default_config_static_selectorELNS0_4arch9wavefront6targetE1EEEvT1_
    .private_segment_fixed_size: 0
    .sgpr_count:     4
    .sgpr_spill_count: 0
    .symbol:         _ZN7rocprim17ROCPRIM_400000_NS6detail17trampoline_kernelINS0_14default_configENS1_27scan_by_key_config_selectorIssEEZZNS1_16scan_by_key_implILNS1_25lookback_scan_determinismE0ELb1ES3_N6thrust23THRUST_200600_302600_NS6detail15normal_iteratorINS9_10device_ptrIsEEEESE_SE_sNS9_4plusIsEE19head_flag_predicatesEE10hipError_tPvRmT2_T3_T4_T5_mT6_T7_P12ihipStream_tbENKUlT_T0_E_clISt17integral_constantIbLb0EESY_EEDaST_SU_EUlST_E_NS1_11comp_targetILNS1_3genE0ELNS1_11target_archE4294967295ELNS1_3gpuE0ELNS1_3repE0EEENS1_30default_config_static_selectorELNS0_4arch9wavefront6targetE1EEEvT1_.kd
    .uniform_work_group_size: 1
    .uses_dynamic_stack: false
    .vgpr_count:     0
    .vgpr_spill_count: 0
    .wavefront_size: 64
  - .agpr_count:     0
    .args:
      - .offset:         0
        .size:           112
        .value_kind:     by_value
    .group_segment_fixed_size: 0
    .kernarg_segment_align: 8
    .kernarg_segment_size: 112
    .language:       OpenCL C
    .language_version:
      - 2
      - 0
    .max_flat_workgroup_size: 128
    .name:           _ZN7rocprim17ROCPRIM_400000_NS6detail17trampoline_kernelINS0_14default_configENS1_27scan_by_key_config_selectorIssEEZZNS1_16scan_by_key_implILNS1_25lookback_scan_determinismE0ELb1ES3_N6thrust23THRUST_200600_302600_NS6detail15normal_iteratorINS9_10device_ptrIsEEEESE_SE_sNS9_4plusIsEE19head_flag_predicatesEE10hipError_tPvRmT2_T3_T4_T5_mT6_T7_P12ihipStream_tbENKUlT_T0_E_clISt17integral_constantIbLb0EESY_EEDaST_SU_EUlST_E_NS1_11comp_targetILNS1_3genE10ELNS1_11target_archE1201ELNS1_3gpuE5ELNS1_3repE0EEENS1_30default_config_static_selectorELNS0_4arch9wavefront6targetE1EEEvT1_
    .private_segment_fixed_size: 0
    .sgpr_count:     4
    .sgpr_spill_count: 0
    .symbol:         _ZN7rocprim17ROCPRIM_400000_NS6detail17trampoline_kernelINS0_14default_configENS1_27scan_by_key_config_selectorIssEEZZNS1_16scan_by_key_implILNS1_25lookback_scan_determinismE0ELb1ES3_N6thrust23THRUST_200600_302600_NS6detail15normal_iteratorINS9_10device_ptrIsEEEESE_SE_sNS9_4plusIsEE19head_flag_predicatesEE10hipError_tPvRmT2_T3_T4_T5_mT6_T7_P12ihipStream_tbENKUlT_T0_E_clISt17integral_constantIbLb0EESY_EEDaST_SU_EUlST_E_NS1_11comp_targetILNS1_3genE10ELNS1_11target_archE1201ELNS1_3gpuE5ELNS1_3repE0EEENS1_30default_config_static_selectorELNS0_4arch9wavefront6targetE1EEEvT1_.kd
    .uniform_work_group_size: 1
    .uses_dynamic_stack: false
    .vgpr_count:     0
    .vgpr_spill_count: 0
    .wavefront_size: 64
  - .agpr_count:     0
    .args:
      - .offset:         0
        .size:           112
        .value_kind:     by_value
    .group_segment_fixed_size: 0
    .kernarg_segment_align: 8
    .kernarg_segment_size: 112
    .language:       OpenCL C
    .language_version:
      - 2
      - 0
    .max_flat_workgroup_size: 256
    .name:           _ZN7rocprim17ROCPRIM_400000_NS6detail17trampoline_kernelINS0_14default_configENS1_27scan_by_key_config_selectorIssEEZZNS1_16scan_by_key_implILNS1_25lookback_scan_determinismE0ELb1ES3_N6thrust23THRUST_200600_302600_NS6detail15normal_iteratorINS9_10device_ptrIsEEEESE_SE_sNS9_4plusIsEE19head_flag_predicatesEE10hipError_tPvRmT2_T3_T4_T5_mT6_T7_P12ihipStream_tbENKUlT_T0_E_clISt17integral_constantIbLb0EESY_EEDaST_SU_EUlST_E_NS1_11comp_targetILNS1_3genE5ELNS1_11target_archE942ELNS1_3gpuE9ELNS1_3repE0EEENS1_30default_config_static_selectorELNS0_4arch9wavefront6targetE1EEEvT1_
    .private_segment_fixed_size: 0
    .sgpr_count:     4
    .sgpr_spill_count: 0
    .symbol:         _ZN7rocprim17ROCPRIM_400000_NS6detail17trampoline_kernelINS0_14default_configENS1_27scan_by_key_config_selectorIssEEZZNS1_16scan_by_key_implILNS1_25lookback_scan_determinismE0ELb1ES3_N6thrust23THRUST_200600_302600_NS6detail15normal_iteratorINS9_10device_ptrIsEEEESE_SE_sNS9_4plusIsEE19head_flag_predicatesEE10hipError_tPvRmT2_T3_T4_T5_mT6_T7_P12ihipStream_tbENKUlT_T0_E_clISt17integral_constantIbLb0EESY_EEDaST_SU_EUlST_E_NS1_11comp_targetILNS1_3genE5ELNS1_11target_archE942ELNS1_3gpuE9ELNS1_3repE0EEENS1_30default_config_static_selectorELNS0_4arch9wavefront6targetE1EEEvT1_.kd
    .uniform_work_group_size: 1
    .uses_dynamic_stack: false
    .vgpr_count:     0
    .vgpr_spill_count: 0
    .wavefront_size: 64
  - .agpr_count:     0
    .args:
      - .offset:         0
        .size:           112
        .value_kind:     by_value
    .group_segment_fixed_size: 12288
    .kernarg_segment_align: 8
    .kernarg_segment_size: 112
    .language:       OpenCL C
    .language_version:
      - 2
      - 0
    .max_flat_workgroup_size: 256
    .name:           _ZN7rocprim17ROCPRIM_400000_NS6detail17trampoline_kernelINS0_14default_configENS1_27scan_by_key_config_selectorIssEEZZNS1_16scan_by_key_implILNS1_25lookback_scan_determinismE0ELb1ES3_N6thrust23THRUST_200600_302600_NS6detail15normal_iteratorINS9_10device_ptrIsEEEESE_SE_sNS9_4plusIsEE19head_flag_predicatesEE10hipError_tPvRmT2_T3_T4_T5_mT6_T7_P12ihipStream_tbENKUlT_T0_E_clISt17integral_constantIbLb0EESY_EEDaST_SU_EUlST_E_NS1_11comp_targetILNS1_3genE4ELNS1_11target_archE910ELNS1_3gpuE8ELNS1_3repE0EEENS1_30default_config_static_selectorELNS0_4arch9wavefront6targetE1EEEvT1_
    .private_segment_fixed_size: 0
    .sgpr_count:     79
    .sgpr_spill_count: 0
    .symbol:         _ZN7rocprim17ROCPRIM_400000_NS6detail17trampoline_kernelINS0_14default_configENS1_27scan_by_key_config_selectorIssEEZZNS1_16scan_by_key_implILNS1_25lookback_scan_determinismE0ELb1ES3_N6thrust23THRUST_200600_302600_NS6detail15normal_iteratorINS9_10device_ptrIsEEEESE_SE_sNS9_4plusIsEE19head_flag_predicatesEE10hipError_tPvRmT2_T3_T4_T5_mT6_T7_P12ihipStream_tbENKUlT_T0_E_clISt17integral_constantIbLb0EESY_EEDaST_SU_EUlST_E_NS1_11comp_targetILNS1_3genE4ELNS1_11target_archE910ELNS1_3gpuE8ELNS1_3repE0EEENS1_30default_config_static_selectorELNS0_4arch9wavefront6targetE1EEEvT1_.kd
    .uniform_work_group_size: 1
    .uses_dynamic_stack: false
    .vgpr_count:     58
    .vgpr_spill_count: 0
    .wavefront_size: 64
  - .agpr_count:     0
    .args:
      - .offset:         0
        .size:           112
        .value_kind:     by_value
    .group_segment_fixed_size: 0
    .kernarg_segment_align: 8
    .kernarg_segment_size: 112
    .language:       OpenCL C
    .language_version:
      - 2
      - 0
    .max_flat_workgroup_size: 256
    .name:           _ZN7rocprim17ROCPRIM_400000_NS6detail17trampoline_kernelINS0_14default_configENS1_27scan_by_key_config_selectorIssEEZZNS1_16scan_by_key_implILNS1_25lookback_scan_determinismE0ELb1ES3_N6thrust23THRUST_200600_302600_NS6detail15normal_iteratorINS9_10device_ptrIsEEEESE_SE_sNS9_4plusIsEE19head_flag_predicatesEE10hipError_tPvRmT2_T3_T4_T5_mT6_T7_P12ihipStream_tbENKUlT_T0_E_clISt17integral_constantIbLb0EESY_EEDaST_SU_EUlST_E_NS1_11comp_targetILNS1_3genE3ELNS1_11target_archE908ELNS1_3gpuE7ELNS1_3repE0EEENS1_30default_config_static_selectorELNS0_4arch9wavefront6targetE1EEEvT1_
    .private_segment_fixed_size: 0
    .sgpr_count:     4
    .sgpr_spill_count: 0
    .symbol:         _ZN7rocprim17ROCPRIM_400000_NS6detail17trampoline_kernelINS0_14default_configENS1_27scan_by_key_config_selectorIssEEZZNS1_16scan_by_key_implILNS1_25lookback_scan_determinismE0ELb1ES3_N6thrust23THRUST_200600_302600_NS6detail15normal_iteratorINS9_10device_ptrIsEEEESE_SE_sNS9_4plusIsEE19head_flag_predicatesEE10hipError_tPvRmT2_T3_T4_T5_mT6_T7_P12ihipStream_tbENKUlT_T0_E_clISt17integral_constantIbLb0EESY_EEDaST_SU_EUlST_E_NS1_11comp_targetILNS1_3genE3ELNS1_11target_archE908ELNS1_3gpuE7ELNS1_3repE0EEENS1_30default_config_static_selectorELNS0_4arch9wavefront6targetE1EEEvT1_.kd
    .uniform_work_group_size: 1
    .uses_dynamic_stack: false
    .vgpr_count:     0
    .vgpr_spill_count: 0
    .wavefront_size: 64
  - .agpr_count:     0
    .args:
      - .offset:         0
        .size:           112
        .value_kind:     by_value
    .group_segment_fixed_size: 0
    .kernarg_segment_align: 8
    .kernarg_segment_size: 112
    .language:       OpenCL C
    .language_version:
      - 2
      - 0
    .max_flat_workgroup_size: 64
    .name:           _ZN7rocprim17ROCPRIM_400000_NS6detail17trampoline_kernelINS0_14default_configENS1_27scan_by_key_config_selectorIssEEZZNS1_16scan_by_key_implILNS1_25lookback_scan_determinismE0ELb1ES3_N6thrust23THRUST_200600_302600_NS6detail15normal_iteratorINS9_10device_ptrIsEEEESE_SE_sNS9_4plusIsEE19head_flag_predicatesEE10hipError_tPvRmT2_T3_T4_T5_mT6_T7_P12ihipStream_tbENKUlT_T0_E_clISt17integral_constantIbLb0EESY_EEDaST_SU_EUlST_E_NS1_11comp_targetILNS1_3genE2ELNS1_11target_archE906ELNS1_3gpuE6ELNS1_3repE0EEENS1_30default_config_static_selectorELNS0_4arch9wavefront6targetE1EEEvT1_
    .private_segment_fixed_size: 0
    .sgpr_count:     4
    .sgpr_spill_count: 0
    .symbol:         _ZN7rocprim17ROCPRIM_400000_NS6detail17trampoline_kernelINS0_14default_configENS1_27scan_by_key_config_selectorIssEEZZNS1_16scan_by_key_implILNS1_25lookback_scan_determinismE0ELb1ES3_N6thrust23THRUST_200600_302600_NS6detail15normal_iteratorINS9_10device_ptrIsEEEESE_SE_sNS9_4plusIsEE19head_flag_predicatesEE10hipError_tPvRmT2_T3_T4_T5_mT6_T7_P12ihipStream_tbENKUlT_T0_E_clISt17integral_constantIbLb0EESY_EEDaST_SU_EUlST_E_NS1_11comp_targetILNS1_3genE2ELNS1_11target_archE906ELNS1_3gpuE6ELNS1_3repE0EEENS1_30default_config_static_selectorELNS0_4arch9wavefront6targetE1EEEvT1_.kd
    .uniform_work_group_size: 1
    .uses_dynamic_stack: false
    .vgpr_count:     0
    .vgpr_spill_count: 0
    .wavefront_size: 64
  - .agpr_count:     0
    .args:
      - .offset:         0
        .size:           112
        .value_kind:     by_value
    .group_segment_fixed_size: 0
    .kernarg_segment_align: 8
    .kernarg_segment_size: 112
    .language:       OpenCL C
    .language_version:
      - 2
      - 0
    .max_flat_workgroup_size: 256
    .name:           _ZN7rocprim17ROCPRIM_400000_NS6detail17trampoline_kernelINS0_14default_configENS1_27scan_by_key_config_selectorIssEEZZNS1_16scan_by_key_implILNS1_25lookback_scan_determinismE0ELb1ES3_N6thrust23THRUST_200600_302600_NS6detail15normal_iteratorINS9_10device_ptrIsEEEESE_SE_sNS9_4plusIsEE19head_flag_predicatesEE10hipError_tPvRmT2_T3_T4_T5_mT6_T7_P12ihipStream_tbENKUlT_T0_E_clISt17integral_constantIbLb0EESY_EEDaST_SU_EUlST_E_NS1_11comp_targetILNS1_3genE10ELNS1_11target_archE1200ELNS1_3gpuE4ELNS1_3repE0EEENS1_30default_config_static_selectorELNS0_4arch9wavefront6targetE1EEEvT1_
    .private_segment_fixed_size: 0
    .sgpr_count:     4
    .sgpr_spill_count: 0
    .symbol:         _ZN7rocprim17ROCPRIM_400000_NS6detail17trampoline_kernelINS0_14default_configENS1_27scan_by_key_config_selectorIssEEZZNS1_16scan_by_key_implILNS1_25lookback_scan_determinismE0ELb1ES3_N6thrust23THRUST_200600_302600_NS6detail15normal_iteratorINS9_10device_ptrIsEEEESE_SE_sNS9_4plusIsEE19head_flag_predicatesEE10hipError_tPvRmT2_T3_T4_T5_mT6_T7_P12ihipStream_tbENKUlT_T0_E_clISt17integral_constantIbLb0EESY_EEDaST_SU_EUlST_E_NS1_11comp_targetILNS1_3genE10ELNS1_11target_archE1200ELNS1_3gpuE4ELNS1_3repE0EEENS1_30default_config_static_selectorELNS0_4arch9wavefront6targetE1EEEvT1_.kd
    .uniform_work_group_size: 1
    .uses_dynamic_stack: false
    .vgpr_count:     0
    .vgpr_spill_count: 0
    .wavefront_size: 64
  - .agpr_count:     0
    .args:
      - .offset:         0
        .size:           112
        .value_kind:     by_value
    .group_segment_fixed_size: 0
    .kernarg_segment_align: 8
    .kernarg_segment_size: 112
    .language:       OpenCL C
    .language_version:
      - 2
      - 0
    .max_flat_workgroup_size: 256
    .name:           _ZN7rocprim17ROCPRIM_400000_NS6detail17trampoline_kernelINS0_14default_configENS1_27scan_by_key_config_selectorIssEEZZNS1_16scan_by_key_implILNS1_25lookback_scan_determinismE0ELb1ES3_N6thrust23THRUST_200600_302600_NS6detail15normal_iteratorINS9_10device_ptrIsEEEESE_SE_sNS9_4plusIsEE19head_flag_predicatesEE10hipError_tPvRmT2_T3_T4_T5_mT6_T7_P12ihipStream_tbENKUlT_T0_E_clISt17integral_constantIbLb0EESY_EEDaST_SU_EUlST_E_NS1_11comp_targetILNS1_3genE9ELNS1_11target_archE1100ELNS1_3gpuE3ELNS1_3repE0EEENS1_30default_config_static_selectorELNS0_4arch9wavefront6targetE1EEEvT1_
    .private_segment_fixed_size: 0
    .sgpr_count:     4
    .sgpr_spill_count: 0
    .symbol:         _ZN7rocprim17ROCPRIM_400000_NS6detail17trampoline_kernelINS0_14default_configENS1_27scan_by_key_config_selectorIssEEZZNS1_16scan_by_key_implILNS1_25lookback_scan_determinismE0ELb1ES3_N6thrust23THRUST_200600_302600_NS6detail15normal_iteratorINS9_10device_ptrIsEEEESE_SE_sNS9_4plusIsEE19head_flag_predicatesEE10hipError_tPvRmT2_T3_T4_T5_mT6_T7_P12ihipStream_tbENKUlT_T0_E_clISt17integral_constantIbLb0EESY_EEDaST_SU_EUlST_E_NS1_11comp_targetILNS1_3genE9ELNS1_11target_archE1100ELNS1_3gpuE3ELNS1_3repE0EEENS1_30default_config_static_selectorELNS0_4arch9wavefront6targetE1EEEvT1_.kd
    .uniform_work_group_size: 1
    .uses_dynamic_stack: false
    .vgpr_count:     0
    .vgpr_spill_count: 0
    .wavefront_size: 64
  - .agpr_count:     0
    .args:
      - .offset:         0
        .size:           112
        .value_kind:     by_value
    .group_segment_fixed_size: 0
    .kernarg_segment_align: 8
    .kernarg_segment_size: 112
    .language:       OpenCL C
    .language_version:
      - 2
      - 0
    .max_flat_workgroup_size: 64
    .name:           _ZN7rocprim17ROCPRIM_400000_NS6detail17trampoline_kernelINS0_14default_configENS1_27scan_by_key_config_selectorIssEEZZNS1_16scan_by_key_implILNS1_25lookback_scan_determinismE0ELb1ES3_N6thrust23THRUST_200600_302600_NS6detail15normal_iteratorINS9_10device_ptrIsEEEESE_SE_sNS9_4plusIsEE19head_flag_predicatesEE10hipError_tPvRmT2_T3_T4_T5_mT6_T7_P12ihipStream_tbENKUlT_T0_E_clISt17integral_constantIbLb0EESY_EEDaST_SU_EUlST_E_NS1_11comp_targetILNS1_3genE8ELNS1_11target_archE1030ELNS1_3gpuE2ELNS1_3repE0EEENS1_30default_config_static_selectorELNS0_4arch9wavefront6targetE1EEEvT1_
    .private_segment_fixed_size: 0
    .sgpr_count:     4
    .sgpr_spill_count: 0
    .symbol:         _ZN7rocprim17ROCPRIM_400000_NS6detail17trampoline_kernelINS0_14default_configENS1_27scan_by_key_config_selectorIssEEZZNS1_16scan_by_key_implILNS1_25lookback_scan_determinismE0ELb1ES3_N6thrust23THRUST_200600_302600_NS6detail15normal_iteratorINS9_10device_ptrIsEEEESE_SE_sNS9_4plusIsEE19head_flag_predicatesEE10hipError_tPvRmT2_T3_T4_T5_mT6_T7_P12ihipStream_tbENKUlT_T0_E_clISt17integral_constantIbLb0EESY_EEDaST_SU_EUlST_E_NS1_11comp_targetILNS1_3genE8ELNS1_11target_archE1030ELNS1_3gpuE2ELNS1_3repE0EEENS1_30default_config_static_selectorELNS0_4arch9wavefront6targetE1EEEvT1_.kd
    .uniform_work_group_size: 1
    .uses_dynamic_stack: false
    .vgpr_count:     0
    .vgpr_spill_count: 0
    .wavefront_size: 64
  - .agpr_count:     0
    .args:
      - .offset:         0
        .size:           112
        .value_kind:     by_value
    .group_segment_fixed_size: 0
    .kernarg_segment_align: 8
    .kernarg_segment_size: 112
    .language:       OpenCL C
    .language_version:
      - 2
      - 0
    .max_flat_workgroup_size: 256
    .name:           _ZN7rocprim17ROCPRIM_400000_NS6detail17trampoline_kernelINS0_14default_configENS1_27scan_by_key_config_selectorIssEEZZNS1_16scan_by_key_implILNS1_25lookback_scan_determinismE0ELb1ES3_N6thrust23THRUST_200600_302600_NS6detail15normal_iteratorINS9_10device_ptrIsEEEESE_SE_sNS9_4plusIsEE19head_flag_predicatesEE10hipError_tPvRmT2_T3_T4_T5_mT6_T7_P12ihipStream_tbENKUlT_T0_E_clISt17integral_constantIbLb1EESY_EEDaST_SU_EUlST_E_NS1_11comp_targetILNS1_3genE0ELNS1_11target_archE4294967295ELNS1_3gpuE0ELNS1_3repE0EEENS1_30default_config_static_selectorELNS0_4arch9wavefront6targetE1EEEvT1_
    .private_segment_fixed_size: 0
    .sgpr_count:     4
    .sgpr_spill_count: 0
    .symbol:         _ZN7rocprim17ROCPRIM_400000_NS6detail17trampoline_kernelINS0_14default_configENS1_27scan_by_key_config_selectorIssEEZZNS1_16scan_by_key_implILNS1_25lookback_scan_determinismE0ELb1ES3_N6thrust23THRUST_200600_302600_NS6detail15normal_iteratorINS9_10device_ptrIsEEEESE_SE_sNS9_4plusIsEE19head_flag_predicatesEE10hipError_tPvRmT2_T3_T4_T5_mT6_T7_P12ihipStream_tbENKUlT_T0_E_clISt17integral_constantIbLb1EESY_EEDaST_SU_EUlST_E_NS1_11comp_targetILNS1_3genE0ELNS1_11target_archE4294967295ELNS1_3gpuE0ELNS1_3repE0EEENS1_30default_config_static_selectorELNS0_4arch9wavefront6targetE1EEEvT1_.kd
    .uniform_work_group_size: 1
    .uses_dynamic_stack: false
    .vgpr_count:     0
    .vgpr_spill_count: 0
    .wavefront_size: 64
  - .agpr_count:     0
    .args:
      - .offset:         0
        .size:           112
        .value_kind:     by_value
    .group_segment_fixed_size: 0
    .kernarg_segment_align: 8
    .kernarg_segment_size: 112
    .language:       OpenCL C
    .language_version:
      - 2
      - 0
    .max_flat_workgroup_size: 128
    .name:           _ZN7rocprim17ROCPRIM_400000_NS6detail17trampoline_kernelINS0_14default_configENS1_27scan_by_key_config_selectorIssEEZZNS1_16scan_by_key_implILNS1_25lookback_scan_determinismE0ELb1ES3_N6thrust23THRUST_200600_302600_NS6detail15normal_iteratorINS9_10device_ptrIsEEEESE_SE_sNS9_4plusIsEE19head_flag_predicatesEE10hipError_tPvRmT2_T3_T4_T5_mT6_T7_P12ihipStream_tbENKUlT_T0_E_clISt17integral_constantIbLb1EESY_EEDaST_SU_EUlST_E_NS1_11comp_targetILNS1_3genE10ELNS1_11target_archE1201ELNS1_3gpuE5ELNS1_3repE0EEENS1_30default_config_static_selectorELNS0_4arch9wavefront6targetE1EEEvT1_
    .private_segment_fixed_size: 0
    .sgpr_count:     4
    .sgpr_spill_count: 0
    .symbol:         _ZN7rocprim17ROCPRIM_400000_NS6detail17trampoline_kernelINS0_14default_configENS1_27scan_by_key_config_selectorIssEEZZNS1_16scan_by_key_implILNS1_25lookback_scan_determinismE0ELb1ES3_N6thrust23THRUST_200600_302600_NS6detail15normal_iteratorINS9_10device_ptrIsEEEESE_SE_sNS9_4plusIsEE19head_flag_predicatesEE10hipError_tPvRmT2_T3_T4_T5_mT6_T7_P12ihipStream_tbENKUlT_T0_E_clISt17integral_constantIbLb1EESY_EEDaST_SU_EUlST_E_NS1_11comp_targetILNS1_3genE10ELNS1_11target_archE1201ELNS1_3gpuE5ELNS1_3repE0EEENS1_30default_config_static_selectorELNS0_4arch9wavefront6targetE1EEEvT1_.kd
    .uniform_work_group_size: 1
    .uses_dynamic_stack: false
    .vgpr_count:     0
    .vgpr_spill_count: 0
    .wavefront_size: 64
  - .agpr_count:     0
    .args:
      - .offset:         0
        .size:           112
        .value_kind:     by_value
    .group_segment_fixed_size: 0
    .kernarg_segment_align: 8
    .kernarg_segment_size: 112
    .language:       OpenCL C
    .language_version:
      - 2
      - 0
    .max_flat_workgroup_size: 256
    .name:           _ZN7rocprim17ROCPRIM_400000_NS6detail17trampoline_kernelINS0_14default_configENS1_27scan_by_key_config_selectorIssEEZZNS1_16scan_by_key_implILNS1_25lookback_scan_determinismE0ELb1ES3_N6thrust23THRUST_200600_302600_NS6detail15normal_iteratorINS9_10device_ptrIsEEEESE_SE_sNS9_4plusIsEE19head_flag_predicatesEE10hipError_tPvRmT2_T3_T4_T5_mT6_T7_P12ihipStream_tbENKUlT_T0_E_clISt17integral_constantIbLb1EESY_EEDaST_SU_EUlST_E_NS1_11comp_targetILNS1_3genE5ELNS1_11target_archE942ELNS1_3gpuE9ELNS1_3repE0EEENS1_30default_config_static_selectorELNS0_4arch9wavefront6targetE1EEEvT1_
    .private_segment_fixed_size: 0
    .sgpr_count:     4
    .sgpr_spill_count: 0
    .symbol:         _ZN7rocprim17ROCPRIM_400000_NS6detail17trampoline_kernelINS0_14default_configENS1_27scan_by_key_config_selectorIssEEZZNS1_16scan_by_key_implILNS1_25lookback_scan_determinismE0ELb1ES3_N6thrust23THRUST_200600_302600_NS6detail15normal_iteratorINS9_10device_ptrIsEEEESE_SE_sNS9_4plusIsEE19head_flag_predicatesEE10hipError_tPvRmT2_T3_T4_T5_mT6_T7_P12ihipStream_tbENKUlT_T0_E_clISt17integral_constantIbLb1EESY_EEDaST_SU_EUlST_E_NS1_11comp_targetILNS1_3genE5ELNS1_11target_archE942ELNS1_3gpuE9ELNS1_3repE0EEENS1_30default_config_static_selectorELNS0_4arch9wavefront6targetE1EEEvT1_.kd
    .uniform_work_group_size: 1
    .uses_dynamic_stack: false
    .vgpr_count:     0
    .vgpr_spill_count: 0
    .wavefront_size: 64
  - .agpr_count:     0
    .args:
      - .offset:         0
        .size:           112
        .value_kind:     by_value
    .group_segment_fixed_size: 12288
    .kernarg_segment_align: 8
    .kernarg_segment_size: 112
    .language:       OpenCL C
    .language_version:
      - 2
      - 0
    .max_flat_workgroup_size: 256
    .name:           _ZN7rocprim17ROCPRIM_400000_NS6detail17trampoline_kernelINS0_14default_configENS1_27scan_by_key_config_selectorIssEEZZNS1_16scan_by_key_implILNS1_25lookback_scan_determinismE0ELb1ES3_N6thrust23THRUST_200600_302600_NS6detail15normal_iteratorINS9_10device_ptrIsEEEESE_SE_sNS9_4plusIsEE19head_flag_predicatesEE10hipError_tPvRmT2_T3_T4_T5_mT6_T7_P12ihipStream_tbENKUlT_T0_E_clISt17integral_constantIbLb1EESY_EEDaST_SU_EUlST_E_NS1_11comp_targetILNS1_3genE4ELNS1_11target_archE910ELNS1_3gpuE8ELNS1_3repE0EEENS1_30default_config_static_selectorELNS0_4arch9wavefront6targetE1EEEvT1_
    .private_segment_fixed_size: 0
    .sgpr_count:     78
    .sgpr_spill_count: 0
    .symbol:         _ZN7rocprim17ROCPRIM_400000_NS6detail17trampoline_kernelINS0_14default_configENS1_27scan_by_key_config_selectorIssEEZZNS1_16scan_by_key_implILNS1_25lookback_scan_determinismE0ELb1ES3_N6thrust23THRUST_200600_302600_NS6detail15normal_iteratorINS9_10device_ptrIsEEEESE_SE_sNS9_4plusIsEE19head_flag_predicatesEE10hipError_tPvRmT2_T3_T4_T5_mT6_T7_P12ihipStream_tbENKUlT_T0_E_clISt17integral_constantIbLb1EESY_EEDaST_SU_EUlST_E_NS1_11comp_targetILNS1_3genE4ELNS1_11target_archE910ELNS1_3gpuE8ELNS1_3repE0EEENS1_30default_config_static_selectorELNS0_4arch9wavefront6targetE1EEEvT1_.kd
    .uniform_work_group_size: 1
    .uses_dynamic_stack: false
    .vgpr_count:     60
    .vgpr_spill_count: 0
    .wavefront_size: 64
  - .agpr_count:     0
    .args:
      - .offset:         0
        .size:           112
        .value_kind:     by_value
    .group_segment_fixed_size: 0
    .kernarg_segment_align: 8
    .kernarg_segment_size: 112
    .language:       OpenCL C
    .language_version:
      - 2
      - 0
    .max_flat_workgroup_size: 256
    .name:           _ZN7rocprim17ROCPRIM_400000_NS6detail17trampoline_kernelINS0_14default_configENS1_27scan_by_key_config_selectorIssEEZZNS1_16scan_by_key_implILNS1_25lookback_scan_determinismE0ELb1ES3_N6thrust23THRUST_200600_302600_NS6detail15normal_iteratorINS9_10device_ptrIsEEEESE_SE_sNS9_4plusIsEE19head_flag_predicatesEE10hipError_tPvRmT2_T3_T4_T5_mT6_T7_P12ihipStream_tbENKUlT_T0_E_clISt17integral_constantIbLb1EESY_EEDaST_SU_EUlST_E_NS1_11comp_targetILNS1_3genE3ELNS1_11target_archE908ELNS1_3gpuE7ELNS1_3repE0EEENS1_30default_config_static_selectorELNS0_4arch9wavefront6targetE1EEEvT1_
    .private_segment_fixed_size: 0
    .sgpr_count:     4
    .sgpr_spill_count: 0
    .symbol:         _ZN7rocprim17ROCPRIM_400000_NS6detail17trampoline_kernelINS0_14default_configENS1_27scan_by_key_config_selectorIssEEZZNS1_16scan_by_key_implILNS1_25lookback_scan_determinismE0ELb1ES3_N6thrust23THRUST_200600_302600_NS6detail15normal_iteratorINS9_10device_ptrIsEEEESE_SE_sNS9_4plusIsEE19head_flag_predicatesEE10hipError_tPvRmT2_T3_T4_T5_mT6_T7_P12ihipStream_tbENKUlT_T0_E_clISt17integral_constantIbLb1EESY_EEDaST_SU_EUlST_E_NS1_11comp_targetILNS1_3genE3ELNS1_11target_archE908ELNS1_3gpuE7ELNS1_3repE0EEENS1_30default_config_static_selectorELNS0_4arch9wavefront6targetE1EEEvT1_.kd
    .uniform_work_group_size: 1
    .uses_dynamic_stack: false
    .vgpr_count:     0
    .vgpr_spill_count: 0
    .wavefront_size: 64
  - .agpr_count:     0
    .args:
      - .offset:         0
        .size:           112
        .value_kind:     by_value
    .group_segment_fixed_size: 0
    .kernarg_segment_align: 8
    .kernarg_segment_size: 112
    .language:       OpenCL C
    .language_version:
      - 2
      - 0
    .max_flat_workgroup_size: 64
    .name:           _ZN7rocprim17ROCPRIM_400000_NS6detail17trampoline_kernelINS0_14default_configENS1_27scan_by_key_config_selectorIssEEZZNS1_16scan_by_key_implILNS1_25lookback_scan_determinismE0ELb1ES3_N6thrust23THRUST_200600_302600_NS6detail15normal_iteratorINS9_10device_ptrIsEEEESE_SE_sNS9_4plusIsEE19head_flag_predicatesEE10hipError_tPvRmT2_T3_T4_T5_mT6_T7_P12ihipStream_tbENKUlT_T0_E_clISt17integral_constantIbLb1EESY_EEDaST_SU_EUlST_E_NS1_11comp_targetILNS1_3genE2ELNS1_11target_archE906ELNS1_3gpuE6ELNS1_3repE0EEENS1_30default_config_static_selectorELNS0_4arch9wavefront6targetE1EEEvT1_
    .private_segment_fixed_size: 0
    .sgpr_count:     4
    .sgpr_spill_count: 0
    .symbol:         _ZN7rocprim17ROCPRIM_400000_NS6detail17trampoline_kernelINS0_14default_configENS1_27scan_by_key_config_selectorIssEEZZNS1_16scan_by_key_implILNS1_25lookback_scan_determinismE0ELb1ES3_N6thrust23THRUST_200600_302600_NS6detail15normal_iteratorINS9_10device_ptrIsEEEESE_SE_sNS9_4plusIsEE19head_flag_predicatesEE10hipError_tPvRmT2_T3_T4_T5_mT6_T7_P12ihipStream_tbENKUlT_T0_E_clISt17integral_constantIbLb1EESY_EEDaST_SU_EUlST_E_NS1_11comp_targetILNS1_3genE2ELNS1_11target_archE906ELNS1_3gpuE6ELNS1_3repE0EEENS1_30default_config_static_selectorELNS0_4arch9wavefront6targetE1EEEvT1_.kd
    .uniform_work_group_size: 1
    .uses_dynamic_stack: false
    .vgpr_count:     0
    .vgpr_spill_count: 0
    .wavefront_size: 64
  - .agpr_count:     0
    .args:
      - .offset:         0
        .size:           112
        .value_kind:     by_value
    .group_segment_fixed_size: 0
    .kernarg_segment_align: 8
    .kernarg_segment_size: 112
    .language:       OpenCL C
    .language_version:
      - 2
      - 0
    .max_flat_workgroup_size: 256
    .name:           _ZN7rocprim17ROCPRIM_400000_NS6detail17trampoline_kernelINS0_14default_configENS1_27scan_by_key_config_selectorIssEEZZNS1_16scan_by_key_implILNS1_25lookback_scan_determinismE0ELb1ES3_N6thrust23THRUST_200600_302600_NS6detail15normal_iteratorINS9_10device_ptrIsEEEESE_SE_sNS9_4plusIsEE19head_flag_predicatesEE10hipError_tPvRmT2_T3_T4_T5_mT6_T7_P12ihipStream_tbENKUlT_T0_E_clISt17integral_constantIbLb1EESY_EEDaST_SU_EUlST_E_NS1_11comp_targetILNS1_3genE10ELNS1_11target_archE1200ELNS1_3gpuE4ELNS1_3repE0EEENS1_30default_config_static_selectorELNS0_4arch9wavefront6targetE1EEEvT1_
    .private_segment_fixed_size: 0
    .sgpr_count:     4
    .sgpr_spill_count: 0
    .symbol:         _ZN7rocprim17ROCPRIM_400000_NS6detail17trampoline_kernelINS0_14default_configENS1_27scan_by_key_config_selectorIssEEZZNS1_16scan_by_key_implILNS1_25lookback_scan_determinismE0ELb1ES3_N6thrust23THRUST_200600_302600_NS6detail15normal_iteratorINS9_10device_ptrIsEEEESE_SE_sNS9_4plusIsEE19head_flag_predicatesEE10hipError_tPvRmT2_T3_T4_T5_mT6_T7_P12ihipStream_tbENKUlT_T0_E_clISt17integral_constantIbLb1EESY_EEDaST_SU_EUlST_E_NS1_11comp_targetILNS1_3genE10ELNS1_11target_archE1200ELNS1_3gpuE4ELNS1_3repE0EEENS1_30default_config_static_selectorELNS0_4arch9wavefront6targetE1EEEvT1_.kd
    .uniform_work_group_size: 1
    .uses_dynamic_stack: false
    .vgpr_count:     0
    .vgpr_spill_count: 0
    .wavefront_size: 64
  - .agpr_count:     0
    .args:
      - .offset:         0
        .size:           112
        .value_kind:     by_value
    .group_segment_fixed_size: 0
    .kernarg_segment_align: 8
    .kernarg_segment_size: 112
    .language:       OpenCL C
    .language_version:
      - 2
      - 0
    .max_flat_workgroup_size: 256
    .name:           _ZN7rocprim17ROCPRIM_400000_NS6detail17trampoline_kernelINS0_14default_configENS1_27scan_by_key_config_selectorIssEEZZNS1_16scan_by_key_implILNS1_25lookback_scan_determinismE0ELb1ES3_N6thrust23THRUST_200600_302600_NS6detail15normal_iteratorINS9_10device_ptrIsEEEESE_SE_sNS9_4plusIsEE19head_flag_predicatesEE10hipError_tPvRmT2_T3_T4_T5_mT6_T7_P12ihipStream_tbENKUlT_T0_E_clISt17integral_constantIbLb1EESY_EEDaST_SU_EUlST_E_NS1_11comp_targetILNS1_3genE9ELNS1_11target_archE1100ELNS1_3gpuE3ELNS1_3repE0EEENS1_30default_config_static_selectorELNS0_4arch9wavefront6targetE1EEEvT1_
    .private_segment_fixed_size: 0
    .sgpr_count:     4
    .sgpr_spill_count: 0
    .symbol:         _ZN7rocprim17ROCPRIM_400000_NS6detail17trampoline_kernelINS0_14default_configENS1_27scan_by_key_config_selectorIssEEZZNS1_16scan_by_key_implILNS1_25lookback_scan_determinismE0ELb1ES3_N6thrust23THRUST_200600_302600_NS6detail15normal_iteratorINS9_10device_ptrIsEEEESE_SE_sNS9_4plusIsEE19head_flag_predicatesEE10hipError_tPvRmT2_T3_T4_T5_mT6_T7_P12ihipStream_tbENKUlT_T0_E_clISt17integral_constantIbLb1EESY_EEDaST_SU_EUlST_E_NS1_11comp_targetILNS1_3genE9ELNS1_11target_archE1100ELNS1_3gpuE3ELNS1_3repE0EEENS1_30default_config_static_selectorELNS0_4arch9wavefront6targetE1EEEvT1_.kd
    .uniform_work_group_size: 1
    .uses_dynamic_stack: false
    .vgpr_count:     0
    .vgpr_spill_count: 0
    .wavefront_size: 64
  - .agpr_count:     0
    .args:
      - .offset:         0
        .size:           112
        .value_kind:     by_value
    .group_segment_fixed_size: 0
    .kernarg_segment_align: 8
    .kernarg_segment_size: 112
    .language:       OpenCL C
    .language_version:
      - 2
      - 0
    .max_flat_workgroup_size: 64
    .name:           _ZN7rocprim17ROCPRIM_400000_NS6detail17trampoline_kernelINS0_14default_configENS1_27scan_by_key_config_selectorIssEEZZNS1_16scan_by_key_implILNS1_25lookback_scan_determinismE0ELb1ES3_N6thrust23THRUST_200600_302600_NS6detail15normal_iteratorINS9_10device_ptrIsEEEESE_SE_sNS9_4plusIsEE19head_flag_predicatesEE10hipError_tPvRmT2_T3_T4_T5_mT6_T7_P12ihipStream_tbENKUlT_T0_E_clISt17integral_constantIbLb1EESY_EEDaST_SU_EUlST_E_NS1_11comp_targetILNS1_3genE8ELNS1_11target_archE1030ELNS1_3gpuE2ELNS1_3repE0EEENS1_30default_config_static_selectorELNS0_4arch9wavefront6targetE1EEEvT1_
    .private_segment_fixed_size: 0
    .sgpr_count:     4
    .sgpr_spill_count: 0
    .symbol:         _ZN7rocprim17ROCPRIM_400000_NS6detail17trampoline_kernelINS0_14default_configENS1_27scan_by_key_config_selectorIssEEZZNS1_16scan_by_key_implILNS1_25lookback_scan_determinismE0ELb1ES3_N6thrust23THRUST_200600_302600_NS6detail15normal_iteratorINS9_10device_ptrIsEEEESE_SE_sNS9_4plusIsEE19head_flag_predicatesEE10hipError_tPvRmT2_T3_T4_T5_mT6_T7_P12ihipStream_tbENKUlT_T0_E_clISt17integral_constantIbLb1EESY_EEDaST_SU_EUlST_E_NS1_11comp_targetILNS1_3genE8ELNS1_11target_archE1030ELNS1_3gpuE2ELNS1_3repE0EEENS1_30default_config_static_selectorELNS0_4arch9wavefront6targetE1EEEvT1_.kd
    .uniform_work_group_size: 1
    .uses_dynamic_stack: false
    .vgpr_count:     0
    .vgpr_spill_count: 0
    .wavefront_size: 64
  - .agpr_count:     0
    .args:
      - .offset:         0
        .size:           112
        .value_kind:     by_value
    .group_segment_fixed_size: 0
    .kernarg_segment_align: 8
    .kernarg_segment_size: 112
    .language:       OpenCL C
    .language_version:
      - 2
      - 0
    .max_flat_workgroup_size: 256
    .name:           _ZN7rocprim17ROCPRIM_400000_NS6detail17trampoline_kernelINS0_14default_configENS1_27scan_by_key_config_selectorIssEEZZNS1_16scan_by_key_implILNS1_25lookback_scan_determinismE0ELb1ES3_N6thrust23THRUST_200600_302600_NS6detail15normal_iteratorINS9_10device_ptrIsEEEESE_SE_sNS9_4plusIsEE19head_flag_predicatesEE10hipError_tPvRmT2_T3_T4_T5_mT6_T7_P12ihipStream_tbENKUlT_T0_E_clISt17integral_constantIbLb1EESX_IbLb0EEEEDaST_SU_EUlST_E_NS1_11comp_targetILNS1_3genE0ELNS1_11target_archE4294967295ELNS1_3gpuE0ELNS1_3repE0EEENS1_30default_config_static_selectorELNS0_4arch9wavefront6targetE1EEEvT1_
    .private_segment_fixed_size: 0
    .sgpr_count:     4
    .sgpr_spill_count: 0
    .symbol:         _ZN7rocprim17ROCPRIM_400000_NS6detail17trampoline_kernelINS0_14default_configENS1_27scan_by_key_config_selectorIssEEZZNS1_16scan_by_key_implILNS1_25lookback_scan_determinismE0ELb1ES3_N6thrust23THRUST_200600_302600_NS6detail15normal_iteratorINS9_10device_ptrIsEEEESE_SE_sNS9_4plusIsEE19head_flag_predicatesEE10hipError_tPvRmT2_T3_T4_T5_mT6_T7_P12ihipStream_tbENKUlT_T0_E_clISt17integral_constantIbLb1EESX_IbLb0EEEEDaST_SU_EUlST_E_NS1_11comp_targetILNS1_3genE0ELNS1_11target_archE4294967295ELNS1_3gpuE0ELNS1_3repE0EEENS1_30default_config_static_selectorELNS0_4arch9wavefront6targetE1EEEvT1_.kd
    .uniform_work_group_size: 1
    .uses_dynamic_stack: false
    .vgpr_count:     0
    .vgpr_spill_count: 0
    .wavefront_size: 64
  - .agpr_count:     0
    .args:
      - .offset:         0
        .size:           112
        .value_kind:     by_value
    .group_segment_fixed_size: 0
    .kernarg_segment_align: 8
    .kernarg_segment_size: 112
    .language:       OpenCL C
    .language_version:
      - 2
      - 0
    .max_flat_workgroup_size: 128
    .name:           _ZN7rocprim17ROCPRIM_400000_NS6detail17trampoline_kernelINS0_14default_configENS1_27scan_by_key_config_selectorIssEEZZNS1_16scan_by_key_implILNS1_25lookback_scan_determinismE0ELb1ES3_N6thrust23THRUST_200600_302600_NS6detail15normal_iteratorINS9_10device_ptrIsEEEESE_SE_sNS9_4plusIsEE19head_flag_predicatesEE10hipError_tPvRmT2_T3_T4_T5_mT6_T7_P12ihipStream_tbENKUlT_T0_E_clISt17integral_constantIbLb1EESX_IbLb0EEEEDaST_SU_EUlST_E_NS1_11comp_targetILNS1_3genE10ELNS1_11target_archE1201ELNS1_3gpuE5ELNS1_3repE0EEENS1_30default_config_static_selectorELNS0_4arch9wavefront6targetE1EEEvT1_
    .private_segment_fixed_size: 0
    .sgpr_count:     4
    .sgpr_spill_count: 0
    .symbol:         _ZN7rocprim17ROCPRIM_400000_NS6detail17trampoline_kernelINS0_14default_configENS1_27scan_by_key_config_selectorIssEEZZNS1_16scan_by_key_implILNS1_25lookback_scan_determinismE0ELb1ES3_N6thrust23THRUST_200600_302600_NS6detail15normal_iteratorINS9_10device_ptrIsEEEESE_SE_sNS9_4plusIsEE19head_flag_predicatesEE10hipError_tPvRmT2_T3_T4_T5_mT6_T7_P12ihipStream_tbENKUlT_T0_E_clISt17integral_constantIbLb1EESX_IbLb0EEEEDaST_SU_EUlST_E_NS1_11comp_targetILNS1_3genE10ELNS1_11target_archE1201ELNS1_3gpuE5ELNS1_3repE0EEENS1_30default_config_static_selectorELNS0_4arch9wavefront6targetE1EEEvT1_.kd
    .uniform_work_group_size: 1
    .uses_dynamic_stack: false
    .vgpr_count:     0
    .vgpr_spill_count: 0
    .wavefront_size: 64
  - .agpr_count:     0
    .args:
      - .offset:         0
        .size:           112
        .value_kind:     by_value
    .group_segment_fixed_size: 0
    .kernarg_segment_align: 8
    .kernarg_segment_size: 112
    .language:       OpenCL C
    .language_version:
      - 2
      - 0
    .max_flat_workgroup_size: 256
    .name:           _ZN7rocprim17ROCPRIM_400000_NS6detail17trampoline_kernelINS0_14default_configENS1_27scan_by_key_config_selectorIssEEZZNS1_16scan_by_key_implILNS1_25lookback_scan_determinismE0ELb1ES3_N6thrust23THRUST_200600_302600_NS6detail15normal_iteratorINS9_10device_ptrIsEEEESE_SE_sNS9_4plusIsEE19head_flag_predicatesEE10hipError_tPvRmT2_T3_T4_T5_mT6_T7_P12ihipStream_tbENKUlT_T0_E_clISt17integral_constantIbLb1EESX_IbLb0EEEEDaST_SU_EUlST_E_NS1_11comp_targetILNS1_3genE5ELNS1_11target_archE942ELNS1_3gpuE9ELNS1_3repE0EEENS1_30default_config_static_selectorELNS0_4arch9wavefront6targetE1EEEvT1_
    .private_segment_fixed_size: 0
    .sgpr_count:     4
    .sgpr_spill_count: 0
    .symbol:         _ZN7rocprim17ROCPRIM_400000_NS6detail17trampoline_kernelINS0_14default_configENS1_27scan_by_key_config_selectorIssEEZZNS1_16scan_by_key_implILNS1_25lookback_scan_determinismE0ELb1ES3_N6thrust23THRUST_200600_302600_NS6detail15normal_iteratorINS9_10device_ptrIsEEEESE_SE_sNS9_4plusIsEE19head_flag_predicatesEE10hipError_tPvRmT2_T3_T4_T5_mT6_T7_P12ihipStream_tbENKUlT_T0_E_clISt17integral_constantIbLb1EESX_IbLb0EEEEDaST_SU_EUlST_E_NS1_11comp_targetILNS1_3genE5ELNS1_11target_archE942ELNS1_3gpuE9ELNS1_3repE0EEENS1_30default_config_static_selectorELNS0_4arch9wavefront6targetE1EEEvT1_.kd
    .uniform_work_group_size: 1
    .uses_dynamic_stack: false
    .vgpr_count:     0
    .vgpr_spill_count: 0
    .wavefront_size: 64
  - .agpr_count:     0
    .args:
      - .offset:         0
        .size:           112
        .value_kind:     by_value
    .group_segment_fixed_size: 12288
    .kernarg_segment_align: 8
    .kernarg_segment_size: 112
    .language:       OpenCL C
    .language_version:
      - 2
      - 0
    .max_flat_workgroup_size: 256
    .name:           _ZN7rocprim17ROCPRIM_400000_NS6detail17trampoline_kernelINS0_14default_configENS1_27scan_by_key_config_selectorIssEEZZNS1_16scan_by_key_implILNS1_25lookback_scan_determinismE0ELb1ES3_N6thrust23THRUST_200600_302600_NS6detail15normal_iteratorINS9_10device_ptrIsEEEESE_SE_sNS9_4plusIsEE19head_flag_predicatesEE10hipError_tPvRmT2_T3_T4_T5_mT6_T7_P12ihipStream_tbENKUlT_T0_E_clISt17integral_constantIbLb1EESX_IbLb0EEEEDaST_SU_EUlST_E_NS1_11comp_targetILNS1_3genE4ELNS1_11target_archE910ELNS1_3gpuE8ELNS1_3repE0EEENS1_30default_config_static_selectorELNS0_4arch9wavefront6targetE1EEEvT1_
    .private_segment_fixed_size: 0
    .sgpr_count:     79
    .sgpr_spill_count: 0
    .symbol:         _ZN7rocprim17ROCPRIM_400000_NS6detail17trampoline_kernelINS0_14default_configENS1_27scan_by_key_config_selectorIssEEZZNS1_16scan_by_key_implILNS1_25lookback_scan_determinismE0ELb1ES3_N6thrust23THRUST_200600_302600_NS6detail15normal_iteratorINS9_10device_ptrIsEEEESE_SE_sNS9_4plusIsEE19head_flag_predicatesEE10hipError_tPvRmT2_T3_T4_T5_mT6_T7_P12ihipStream_tbENKUlT_T0_E_clISt17integral_constantIbLb1EESX_IbLb0EEEEDaST_SU_EUlST_E_NS1_11comp_targetILNS1_3genE4ELNS1_11target_archE910ELNS1_3gpuE8ELNS1_3repE0EEENS1_30default_config_static_selectorELNS0_4arch9wavefront6targetE1EEEvT1_.kd
    .uniform_work_group_size: 1
    .uses_dynamic_stack: false
    .vgpr_count:     58
    .vgpr_spill_count: 0
    .wavefront_size: 64
  - .agpr_count:     0
    .args:
      - .offset:         0
        .size:           112
        .value_kind:     by_value
    .group_segment_fixed_size: 0
    .kernarg_segment_align: 8
    .kernarg_segment_size: 112
    .language:       OpenCL C
    .language_version:
      - 2
      - 0
    .max_flat_workgroup_size: 256
    .name:           _ZN7rocprim17ROCPRIM_400000_NS6detail17trampoline_kernelINS0_14default_configENS1_27scan_by_key_config_selectorIssEEZZNS1_16scan_by_key_implILNS1_25lookback_scan_determinismE0ELb1ES3_N6thrust23THRUST_200600_302600_NS6detail15normal_iteratorINS9_10device_ptrIsEEEESE_SE_sNS9_4plusIsEE19head_flag_predicatesEE10hipError_tPvRmT2_T3_T4_T5_mT6_T7_P12ihipStream_tbENKUlT_T0_E_clISt17integral_constantIbLb1EESX_IbLb0EEEEDaST_SU_EUlST_E_NS1_11comp_targetILNS1_3genE3ELNS1_11target_archE908ELNS1_3gpuE7ELNS1_3repE0EEENS1_30default_config_static_selectorELNS0_4arch9wavefront6targetE1EEEvT1_
    .private_segment_fixed_size: 0
    .sgpr_count:     4
    .sgpr_spill_count: 0
    .symbol:         _ZN7rocprim17ROCPRIM_400000_NS6detail17trampoline_kernelINS0_14default_configENS1_27scan_by_key_config_selectorIssEEZZNS1_16scan_by_key_implILNS1_25lookback_scan_determinismE0ELb1ES3_N6thrust23THRUST_200600_302600_NS6detail15normal_iteratorINS9_10device_ptrIsEEEESE_SE_sNS9_4plusIsEE19head_flag_predicatesEE10hipError_tPvRmT2_T3_T4_T5_mT6_T7_P12ihipStream_tbENKUlT_T0_E_clISt17integral_constantIbLb1EESX_IbLb0EEEEDaST_SU_EUlST_E_NS1_11comp_targetILNS1_3genE3ELNS1_11target_archE908ELNS1_3gpuE7ELNS1_3repE0EEENS1_30default_config_static_selectorELNS0_4arch9wavefront6targetE1EEEvT1_.kd
    .uniform_work_group_size: 1
    .uses_dynamic_stack: false
    .vgpr_count:     0
    .vgpr_spill_count: 0
    .wavefront_size: 64
  - .agpr_count:     0
    .args:
      - .offset:         0
        .size:           112
        .value_kind:     by_value
    .group_segment_fixed_size: 0
    .kernarg_segment_align: 8
    .kernarg_segment_size: 112
    .language:       OpenCL C
    .language_version:
      - 2
      - 0
    .max_flat_workgroup_size: 64
    .name:           _ZN7rocprim17ROCPRIM_400000_NS6detail17trampoline_kernelINS0_14default_configENS1_27scan_by_key_config_selectorIssEEZZNS1_16scan_by_key_implILNS1_25lookback_scan_determinismE0ELb1ES3_N6thrust23THRUST_200600_302600_NS6detail15normal_iteratorINS9_10device_ptrIsEEEESE_SE_sNS9_4plusIsEE19head_flag_predicatesEE10hipError_tPvRmT2_T3_T4_T5_mT6_T7_P12ihipStream_tbENKUlT_T0_E_clISt17integral_constantIbLb1EESX_IbLb0EEEEDaST_SU_EUlST_E_NS1_11comp_targetILNS1_3genE2ELNS1_11target_archE906ELNS1_3gpuE6ELNS1_3repE0EEENS1_30default_config_static_selectorELNS0_4arch9wavefront6targetE1EEEvT1_
    .private_segment_fixed_size: 0
    .sgpr_count:     4
    .sgpr_spill_count: 0
    .symbol:         _ZN7rocprim17ROCPRIM_400000_NS6detail17trampoline_kernelINS0_14default_configENS1_27scan_by_key_config_selectorIssEEZZNS1_16scan_by_key_implILNS1_25lookback_scan_determinismE0ELb1ES3_N6thrust23THRUST_200600_302600_NS6detail15normal_iteratorINS9_10device_ptrIsEEEESE_SE_sNS9_4plusIsEE19head_flag_predicatesEE10hipError_tPvRmT2_T3_T4_T5_mT6_T7_P12ihipStream_tbENKUlT_T0_E_clISt17integral_constantIbLb1EESX_IbLb0EEEEDaST_SU_EUlST_E_NS1_11comp_targetILNS1_3genE2ELNS1_11target_archE906ELNS1_3gpuE6ELNS1_3repE0EEENS1_30default_config_static_selectorELNS0_4arch9wavefront6targetE1EEEvT1_.kd
    .uniform_work_group_size: 1
    .uses_dynamic_stack: false
    .vgpr_count:     0
    .vgpr_spill_count: 0
    .wavefront_size: 64
  - .agpr_count:     0
    .args:
      - .offset:         0
        .size:           112
        .value_kind:     by_value
    .group_segment_fixed_size: 0
    .kernarg_segment_align: 8
    .kernarg_segment_size: 112
    .language:       OpenCL C
    .language_version:
      - 2
      - 0
    .max_flat_workgroup_size: 256
    .name:           _ZN7rocprim17ROCPRIM_400000_NS6detail17trampoline_kernelINS0_14default_configENS1_27scan_by_key_config_selectorIssEEZZNS1_16scan_by_key_implILNS1_25lookback_scan_determinismE0ELb1ES3_N6thrust23THRUST_200600_302600_NS6detail15normal_iteratorINS9_10device_ptrIsEEEESE_SE_sNS9_4plusIsEE19head_flag_predicatesEE10hipError_tPvRmT2_T3_T4_T5_mT6_T7_P12ihipStream_tbENKUlT_T0_E_clISt17integral_constantIbLb1EESX_IbLb0EEEEDaST_SU_EUlST_E_NS1_11comp_targetILNS1_3genE10ELNS1_11target_archE1200ELNS1_3gpuE4ELNS1_3repE0EEENS1_30default_config_static_selectorELNS0_4arch9wavefront6targetE1EEEvT1_
    .private_segment_fixed_size: 0
    .sgpr_count:     4
    .sgpr_spill_count: 0
    .symbol:         _ZN7rocprim17ROCPRIM_400000_NS6detail17trampoline_kernelINS0_14default_configENS1_27scan_by_key_config_selectorIssEEZZNS1_16scan_by_key_implILNS1_25lookback_scan_determinismE0ELb1ES3_N6thrust23THRUST_200600_302600_NS6detail15normal_iteratorINS9_10device_ptrIsEEEESE_SE_sNS9_4plusIsEE19head_flag_predicatesEE10hipError_tPvRmT2_T3_T4_T5_mT6_T7_P12ihipStream_tbENKUlT_T0_E_clISt17integral_constantIbLb1EESX_IbLb0EEEEDaST_SU_EUlST_E_NS1_11comp_targetILNS1_3genE10ELNS1_11target_archE1200ELNS1_3gpuE4ELNS1_3repE0EEENS1_30default_config_static_selectorELNS0_4arch9wavefront6targetE1EEEvT1_.kd
    .uniform_work_group_size: 1
    .uses_dynamic_stack: false
    .vgpr_count:     0
    .vgpr_spill_count: 0
    .wavefront_size: 64
  - .agpr_count:     0
    .args:
      - .offset:         0
        .size:           112
        .value_kind:     by_value
    .group_segment_fixed_size: 0
    .kernarg_segment_align: 8
    .kernarg_segment_size: 112
    .language:       OpenCL C
    .language_version:
      - 2
      - 0
    .max_flat_workgroup_size: 256
    .name:           _ZN7rocprim17ROCPRIM_400000_NS6detail17trampoline_kernelINS0_14default_configENS1_27scan_by_key_config_selectorIssEEZZNS1_16scan_by_key_implILNS1_25lookback_scan_determinismE0ELb1ES3_N6thrust23THRUST_200600_302600_NS6detail15normal_iteratorINS9_10device_ptrIsEEEESE_SE_sNS9_4plusIsEE19head_flag_predicatesEE10hipError_tPvRmT2_T3_T4_T5_mT6_T7_P12ihipStream_tbENKUlT_T0_E_clISt17integral_constantIbLb1EESX_IbLb0EEEEDaST_SU_EUlST_E_NS1_11comp_targetILNS1_3genE9ELNS1_11target_archE1100ELNS1_3gpuE3ELNS1_3repE0EEENS1_30default_config_static_selectorELNS0_4arch9wavefront6targetE1EEEvT1_
    .private_segment_fixed_size: 0
    .sgpr_count:     4
    .sgpr_spill_count: 0
    .symbol:         _ZN7rocprim17ROCPRIM_400000_NS6detail17trampoline_kernelINS0_14default_configENS1_27scan_by_key_config_selectorIssEEZZNS1_16scan_by_key_implILNS1_25lookback_scan_determinismE0ELb1ES3_N6thrust23THRUST_200600_302600_NS6detail15normal_iteratorINS9_10device_ptrIsEEEESE_SE_sNS9_4plusIsEE19head_flag_predicatesEE10hipError_tPvRmT2_T3_T4_T5_mT6_T7_P12ihipStream_tbENKUlT_T0_E_clISt17integral_constantIbLb1EESX_IbLb0EEEEDaST_SU_EUlST_E_NS1_11comp_targetILNS1_3genE9ELNS1_11target_archE1100ELNS1_3gpuE3ELNS1_3repE0EEENS1_30default_config_static_selectorELNS0_4arch9wavefront6targetE1EEEvT1_.kd
    .uniform_work_group_size: 1
    .uses_dynamic_stack: false
    .vgpr_count:     0
    .vgpr_spill_count: 0
    .wavefront_size: 64
  - .agpr_count:     0
    .args:
      - .offset:         0
        .size:           112
        .value_kind:     by_value
    .group_segment_fixed_size: 0
    .kernarg_segment_align: 8
    .kernarg_segment_size: 112
    .language:       OpenCL C
    .language_version:
      - 2
      - 0
    .max_flat_workgroup_size: 64
    .name:           _ZN7rocprim17ROCPRIM_400000_NS6detail17trampoline_kernelINS0_14default_configENS1_27scan_by_key_config_selectorIssEEZZNS1_16scan_by_key_implILNS1_25lookback_scan_determinismE0ELb1ES3_N6thrust23THRUST_200600_302600_NS6detail15normal_iteratorINS9_10device_ptrIsEEEESE_SE_sNS9_4plusIsEE19head_flag_predicatesEE10hipError_tPvRmT2_T3_T4_T5_mT6_T7_P12ihipStream_tbENKUlT_T0_E_clISt17integral_constantIbLb1EESX_IbLb0EEEEDaST_SU_EUlST_E_NS1_11comp_targetILNS1_3genE8ELNS1_11target_archE1030ELNS1_3gpuE2ELNS1_3repE0EEENS1_30default_config_static_selectorELNS0_4arch9wavefront6targetE1EEEvT1_
    .private_segment_fixed_size: 0
    .sgpr_count:     4
    .sgpr_spill_count: 0
    .symbol:         _ZN7rocprim17ROCPRIM_400000_NS6detail17trampoline_kernelINS0_14default_configENS1_27scan_by_key_config_selectorIssEEZZNS1_16scan_by_key_implILNS1_25lookback_scan_determinismE0ELb1ES3_N6thrust23THRUST_200600_302600_NS6detail15normal_iteratorINS9_10device_ptrIsEEEESE_SE_sNS9_4plusIsEE19head_flag_predicatesEE10hipError_tPvRmT2_T3_T4_T5_mT6_T7_P12ihipStream_tbENKUlT_T0_E_clISt17integral_constantIbLb1EESX_IbLb0EEEEDaST_SU_EUlST_E_NS1_11comp_targetILNS1_3genE8ELNS1_11target_archE1030ELNS1_3gpuE2ELNS1_3repE0EEENS1_30default_config_static_selectorELNS0_4arch9wavefront6targetE1EEEvT1_.kd
    .uniform_work_group_size: 1
    .uses_dynamic_stack: false
    .vgpr_count:     0
    .vgpr_spill_count: 0
    .wavefront_size: 64
  - .agpr_count:     0
    .args:
      - .offset:         0
        .size:           112
        .value_kind:     by_value
    .group_segment_fixed_size: 0
    .kernarg_segment_align: 8
    .kernarg_segment_size: 112
    .language:       OpenCL C
    .language_version:
      - 2
      - 0
    .max_flat_workgroup_size: 256
    .name:           _ZN7rocprim17ROCPRIM_400000_NS6detail17trampoline_kernelINS0_14default_configENS1_27scan_by_key_config_selectorIssEEZZNS1_16scan_by_key_implILNS1_25lookback_scan_determinismE0ELb1ES3_N6thrust23THRUST_200600_302600_NS6detail15normal_iteratorINS9_10device_ptrIsEEEESE_SE_sNS9_4plusIsEE19head_flag_predicatesEE10hipError_tPvRmT2_T3_T4_T5_mT6_T7_P12ihipStream_tbENKUlT_T0_E_clISt17integral_constantIbLb0EESX_IbLb1EEEEDaST_SU_EUlST_E_NS1_11comp_targetILNS1_3genE0ELNS1_11target_archE4294967295ELNS1_3gpuE0ELNS1_3repE0EEENS1_30default_config_static_selectorELNS0_4arch9wavefront6targetE1EEEvT1_
    .private_segment_fixed_size: 0
    .sgpr_count:     4
    .sgpr_spill_count: 0
    .symbol:         _ZN7rocprim17ROCPRIM_400000_NS6detail17trampoline_kernelINS0_14default_configENS1_27scan_by_key_config_selectorIssEEZZNS1_16scan_by_key_implILNS1_25lookback_scan_determinismE0ELb1ES3_N6thrust23THRUST_200600_302600_NS6detail15normal_iteratorINS9_10device_ptrIsEEEESE_SE_sNS9_4plusIsEE19head_flag_predicatesEE10hipError_tPvRmT2_T3_T4_T5_mT6_T7_P12ihipStream_tbENKUlT_T0_E_clISt17integral_constantIbLb0EESX_IbLb1EEEEDaST_SU_EUlST_E_NS1_11comp_targetILNS1_3genE0ELNS1_11target_archE4294967295ELNS1_3gpuE0ELNS1_3repE0EEENS1_30default_config_static_selectorELNS0_4arch9wavefront6targetE1EEEvT1_.kd
    .uniform_work_group_size: 1
    .uses_dynamic_stack: false
    .vgpr_count:     0
    .vgpr_spill_count: 0
    .wavefront_size: 64
  - .agpr_count:     0
    .args:
      - .offset:         0
        .size:           112
        .value_kind:     by_value
    .group_segment_fixed_size: 0
    .kernarg_segment_align: 8
    .kernarg_segment_size: 112
    .language:       OpenCL C
    .language_version:
      - 2
      - 0
    .max_flat_workgroup_size: 128
    .name:           _ZN7rocprim17ROCPRIM_400000_NS6detail17trampoline_kernelINS0_14default_configENS1_27scan_by_key_config_selectorIssEEZZNS1_16scan_by_key_implILNS1_25lookback_scan_determinismE0ELb1ES3_N6thrust23THRUST_200600_302600_NS6detail15normal_iteratorINS9_10device_ptrIsEEEESE_SE_sNS9_4plusIsEE19head_flag_predicatesEE10hipError_tPvRmT2_T3_T4_T5_mT6_T7_P12ihipStream_tbENKUlT_T0_E_clISt17integral_constantIbLb0EESX_IbLb1EEEEDaST_SU_EUlST_E_NS1_11comp_targetILNS1_3genE10ELNS1_11target_archE1201ELNS1_3gpuE5ELNS1_3repE0EEENS1_30default_config_static_selectorELNS0_4arch9wavefront6targetE1EEEvT1_
    .private_segment_fixed_size: 0
    .sgpr_count:     4
    .sgpr_spill_count: 0
    .symbol:         _ZN7rocprim17ROCPRIM_400000_NS6detail17trampoline_kernelINS0_14default_configENS1_27scan_by_key_config_selectorIssEEZZNS1_16scan_by_key_implILNS1_25lookback_scan_determinismE0ELb1ES3_N6thrust23THRUST_200600_302600_NS6detail15normal_iteratorINS9_10device_ptrIsEEEESE_SE_sNS9_4plusIsEE19head_flag_predicatesEE10hipError_tPvRmT2_T3_T4_T5_mT6_T7_P12ihipStream_tbENKUlT_T0_E_clISt17integral_constantIbLb0EESX_IbLb1EEEEDaST_SU_EUlST_E_NS1_11comp_targetILNS1_3genE10ELNS1_11target_archE1201ELNS1_3gpuE5ELNS1_3repE0EEENS1_30default_config_static_selectorELNS0_4arch9wavefront6targetE1EEEvT1_.kd
    .uniform_work_group_size: 1
    .uses_dynamic_stack: false
    .vgpr_count:     0
    .vgpr_spill_count: 0
    .wavefront_size: 64
  - .agpr_count:     0
    .args:
      - .offset:         0
        .size:           112
        .value_kind:     by_value
    .group_segment_fixed_size: 0
    .kernarg_segment_align: 8
    .kernarg_segment_size: 112
    .language:       OpenCL C
    .language_version:
      - 2
      - 0
    .max_flat_workgroup_size: 256
    .name:           _ZN7rocprim17ROCPRIM_400000_NS6detail17trampoline_kernelINS0_14default_configENS1_27scan_by_key_config_selectorIssEEZZNS1_16scan_by_key_implILNS1_25lookback_scan_determinismE0ELb1ES3_N6thrust23THRUST_200600_302600_NS6detail15normal_iteratorINS9_10device_ptrIsEEEESE_SE_sNS9_4plusIsEE19head_flag_predicatesEE10hipError_tPvRmT2_T3_T4_T5_mT6_T7_P12ihipStream_tbENKUlT_T0_E_clISt17integral_constantIbLb0EESX_IbLb1EEEEDaST_SU_EUlST_E_NS1_11comp_targetILNS1_3genE5ELNS1_11target_archE942ELNS1_3gpuE9ELNS1_3repE0EEENS1_30default_config_static_selectorELNS0_4arch9wavefront6targetE1EEEvT1_
    .private_segment_fixed_size: 0
    .sgpr_count:     4
    .sgpr_spill_count: 0
    .symbol:         _ZN7rocprim17ROCPRIM_400000_NS6detail17trampoline_kernelINS0_14default_configENS1_27scan_by_key_config_selectorIssEEZZNS1_16scan_by_key_implILNS1_25lookback_scan_determinismE0ELb1ES3_N6thrust23THRUST_200600_302600_NS6detail15normal_iteratorINS9_10device_ptrIsEEEESE_SE_sNS9_4plusIsEE19head_flag_predicatesEE10hipError_tPvRmT2_T3_T4_T5_mT6_T7_P12ihipStream_tbENKUlT_T0_E_clISt17integral_constantIbLb0EESX_IbLb1EEEEDaST_SU_EUlST_E_NS1_11comp_targetILNS1_3genE5ELNS1_11target_archE942ELNS1_3gpuE9ELNS1_3repE0EEENS1_30default_config_static_selectorELNS0_4arch9wavefront6targetE1EEEvT1_.kd
    .uniform_work_group_size: 1
    .uses_dynamic_stack: false
    .vgpr_count:     0
    .vgpr_spill_count: 0
    .wavefront_size: 64
  - .agpr_count:     0
    .args:
      - .offset:         0
        .size:           112
        .value_kind:     by_value
    .group_segment_fixed_size: 12288
    .kernarg_segment_align: 8
    .kernarg_segment_size: 112
    .language:       OpenCL C
    .language_version:
      - 2
      - 0
    .max_flat_workgroup_size: 256
    .name:           _ZN7rocprim17ROCPRIM_400000_NS6detail17trampoline_kernelINS0_14default_configENS1_27scan_by_key_config_selectorIssEEZZNS1_16scan_by_key_implILNS1_25lookback_scan_determinismE0ELb1ES3_N6thrust23THRUST_200600_302600_NS6detail15normal_iteratorINS9_10device_ptrIsEEEESE_SE_sNS9_4plusIsEE19head_flag_predicatesEE10hipError_tPvRmT2_T3_T4_T5_mT6_T7_P12ihipStream_tbENKUlT_T0_E_clISt17integral_constantIbLb0EESX_IbLb1EEEEDaST_SU_EUlST_E_NS1_11comp_targetILNS1_3genE4ELNS1_11target_archE910ELNS1_3gpuE8ELNS1_3repE0EEENS1_30default_config_static_selectorELNS0_4arch9wavefront6targetE1EEEvT1_
    .private_segment_fixed_size: 0
    .sgpr_count:     77
    .sgpr_spill_count: 0
    .symbol:         _ZN7rocprim17ROCPRIM_400000_NS6detail17trampoline_kernelINS0_14default_configENS1_27scan_by_key_config_selectorIssEEZZNS1_16scan_by_key_implILNS1_25lookback_scan_determinismE0ELb1ES3_N6thrust23THRUST_200600_302600_NS6detail15normal_iteratorINS9_10device_ptrIsEEEESE_SE_sNS9_4plusIsEE19head_flag_predicatesEE10hipError_tPvRmT2_T3_T4_T5_mT6_T7_P12ihipStream_tbENKUlT_T0_E_clISt17integral_constantIbLb0EESX_IbLb1EEEEDaST_SU_EUlST_E_NS1_11comp_targetILNS1_3genE4ELNS1_11target_archE910ELNS1_3gpuE8ELNS1_3repE0EEENS1_30default_config_static_selectorELNS0_4arch9wavefront6targetE1EEEvT1_.kd
    .uniform_work_group_size: 1
    .uses_dynamic_stack: false
    .vgpr_count:     60
    .vgpr_spill_count: 0
    .wavefront_size: 64
  - .agpr_count:     0
    .args:
      - .offset:         0
        .size:           112
        .value_kind:     by_value
    .group_segment_fixed_size: 0
    .kernarg_segment_align: 8
    .kernarg_segment_size: 112
    .language:       OpenCL C
    .language_version:
      - 2
      - 0
    .max_flat_workgroup_size: 256
    .name:           _ZN7rocprim17ROCPRIM_400000_NS6detail17trampoline_kernelINS0_14default_configENS1_27scan_by_key_config_selectorIssEEZZNS1_16scan_by_key_implILNS1_25lookback_scan_determinismE0ELb1ES3_N6thrust23THRUST_200600_302600_NS6detail15normal_iteratorINS9_10device_ptrIsEEEESE_SE_sNS9_4plusIsEE19head_flag_predicatesEE10hipError_tPvRmT2_T3_T4_T5_mT6_T7_P12ihipStream_tbENKUlT_T0_E_clISt17integral_constantIbLb0EESX_IbLb1EEEEDaST_SU_EUlST_E_NS1_11comp_targetILNS1_3genE3ELNS1_11target_archE908ELNS1_3gpuE7ELNS1_3repE0EEENS1_30default_config_static_selectorELNS0_4arch9wavefront6targetE1EEEvT1_
    .private_segment_fixed_size: 0
    .sgpr_count:     4
    .sgpr_spill_count: 0
    .symbol:         _ZN7rocprim17ROCPRIM_400000_NS6detail17trampoline_kernelINS0_14default_configENS1_27scan_by_key_config_selectorIssEEZZNS1_16scan_by_key_implILNS1_25lookback_scan_determinismE0ELb1ES3_N6thrust23THRUST_200600_302600_NS6detail15normal_iteratorINS9_10device_ptrIsEEEESE_SE_sNS9_4plusIsEE19head_flag_predicatesEE10hipError_tPvRmT2_T3_T4_T5_mT6_T7_P12ihipStream_tbENKUlT_T0_E_clISt17integral_constantIbLb0EESX_IbLb1EEEEDaST_SU_EUlST_E_NS1_11comp_targetILNS1_3genE3ELNS1_11target_archE908ELNS1_3gpuE7ELNS1_3repE0EEENS1_30default_config_static_selectorELNS0_4arch9wavefront6targetE1EEEvT1_.kd
    .uniform_work_group_size: 1
    .uses_dynamic_stack: false
    .vgpr_count:     0
    .vgpr_spill_count: 0
    .wavefront_size: 64
  - .agpr_count:     0
    .args:
      - .offset:         0
        .size:           112
        .value_kind:     by_value
    .group_segment_fixed_size: 0
    .kernarg_segment_align: 8
    .kernarg_segment_size: 112
    .language:       OpenCL C
    .language_version:
      - 2
      - 0
    .max_flat_workgroup_size: 64
    .name:           _ZN7rocprim17ROCPRIM_400000_NS6detail17trampoline_kernelINS0_14default_configENS1_27scan_by_key_config_selectorIssEEZZNS1_16scan_by_key_implILNS1_25lookback_scan_determinismE0ELb1ES3_N6thrust23THRUST_200600_302600_NS6detail15normal_iteratorINS9_10device_ptrIsEEEESE_SE_sNS9_4plusIsEE19head_flag_predicatesEE10hipError_tPvRmT2_T3_T4_T5_mT6_T7_P12ihipStream_tbENKUlT_T0_E_clISt17integral_constantIbLb0EESX_IbLb1EEEEDaST_SU_EUlST_E_NS1_11comp_targetILNS1_3genE2ELNS1_11target_archE906ELNS1_3gpuE6ELNS1_3repE0EEENS1_30default_config_static_selectorELNS0_4arch9wavefront6targetE1EEEvT1_
    .private_segment_fixed_size: 0
    .sgpr_count:     4
    .sgpr_spill_count: 0
    .symbol:         _ZN7rocprim17ROCPRIM_400000_NS6detail17trampoline_kernelINS0_14default_configENS1_27scan_by_key_config_selectorIssEEZZNS1_16scan_by_key_implILNS1_25lookback_scan_determinismE0ELb1ES3_N6thrust23THRUST_200600_302600_NS6detail15normal_iteratorINS9_10device_ptrIsEEEESE_SE_sNS9_4plusIsEE19head_flag_predicatesEE10hipError_tPvRmT2_T3_T4_T5_mT6_T7_P12ihipStream_tbENKUlT_T0_E_clISt17integral_constantIbLb0EESX_IbLb1EEEEDaST_SU_EUlST_E_NS1_11comp_targetILNS1_3genE2ELNS1_11target_archE906ELNS1_3gpuE6ELNS1_3repE0EEENS1_30default_config_static_selectorELNS0_4arch9wavefront6targetE1EEEvT1_.kd
    .uniform_work_group_size: 1
    .uses_dynamic_stack: false
    .vgpr_count:     0
    .vgpr_spill_count: 0
    .wavefront_size: 64
  - .agpr_count:     0
    .args:
      - .offset:         0
        .size:           112
        .value_kind:     by_value
    .group_segment_fixed_size: 0
    .kernarg_segment_align: 8
    .kernarg_segment_size: 112
    .language:       OpenCL C
    .language_version:
      - 2
      - 0
    .max_flat_workgroup_size: 256
    .name:           _ZN7rocprim17ROCPRIM_400000_NS6detail17trampoline_kernelINS0_14default_configENS1_27scan_by_key_config_selectorIssEEZZNS1_16scan_by_key_implILNS1_25lookback_scan_determinismE0ELb1ES3_N6thrust23THRUST_200600_302600_NS6detail15normal_iteratorINS9_10device_ptrIsEEEESE_SE_sNS9_4plusIsEE19head_flag_predicatesEE10hipError_tPvRmT2_T3_T4_T5_mT6_T7_P12ihipStream_tbENKUlT_T0_E_clISt17integral_constantIbLb0EESX_IbLb1EEEEDaST_SU_EUlST_E_NS1_11comp_targetILNS1_3genE10ELNS1_11target_archE1200ELNS1_3gpuE4ELNS1_3repE0EEENS1_30default_config_static_selectorELNS0_4arch9wavefront6targetE1EEEvT1_
    .private_segment_fixed_size: 0
    .sgpr_count:     4
    .sgpr_spill_count: 0
    .symbol:         _ZN7rocprim17ROCPRIM_400000_NS6detail17trampoline_kernelINS0_14default_configENS1_27scan_by_key_config_selectorIssEEZZNS1_16scan_by_key_implILNS1_25lookback_scan_determinismE0ELb1ES3_N6thrust23THRUST_200600_302600_NS6detail15normal_iteratorINS9_10device_ptrIsEEEESE_SE_sNS9_4plusIsEE19head_flag_predicatesEE10hipError_tPvRmT2_T3_T4_T5_mT6_T7_P12ihipStream_tbENKUlT_T0_E_clISt17integral_constantIbLb0EESX_IbLb1EEEEDaST_SU_EUlST_E_NS1_11comp_targetILNS1_3genE10ELNS1_11target_archE1200ELNS1_3gpuE4ELNS1_3repE0EEENS1_30default_config_static_selectorELNS0_4arch9wavefront6targetE1EEEvT1_.kd
    .uniform_work_group_size: 1
    .uses_dynamic_stack: false
    .vgpr_count:     0
    .vgpr_spill_count: 0
    .wavefront_size: 64
  - .agpr_count:     0
    .args:
      - .offset:         0
        .size:           112
        .value_kind:     by_value
    .group_segment_fixed_size: 0
    .kernarg_segment_align: 8
    .kernarg_segment_size: 112
    .language:       OpenCL C
    .language_version:
      - 2
      - 0
    .max_flat_workgroup_size: 256
    .name:           _ZN7rocprim17ROCPRIM_400000_NS6detail17trampoline_kernelINS0_14default_configENS1_27scan_by_key_config_selectorIssEEZZNS1_16scan_by_key_implILNS1_25lookback_scan_determinismE0ELb1ES3_N6thrust23THRUST_200600_302600_NS6detail15normal_iteratorINS9_10device_ptrIsEEEESE_SE_sNS9_4plusIsEE19head_flag_predicatesEE10hipError_tPvRmT2_T3_T4_T5_mT6_T7_P12ihipStream_tbENKUlT_T0_E_clISt17integral_constantIbLb0EESX_IbLb1EEEEDaST_SU_EUlST_E_NS1_11comp_targetILNS1_3genE9ELNS1_11target_archE1100ELNS1_3gpuE3ELNS1_3repE0EEENS1_30default_config_static_selectorELNS0_4arch9wavefront6targetE1EEEvT1_
    .private_segment_fixed_size: 0
    .sgpr_count:     4
    .sgpr_spill_count: 0
    .symbol:         _ZN7rocprim17ROCPRIM_400000_NS6detail17trampoline_kernelINS0_14default_configENS1_27scan_by_key_config_selectorIssEEZZNS1_16scan_by_key_implILNS1_25lookback_scan_determinismE0ELb1ES3_N6thrust23THRUST_200600_302600_NS6detail15normal_iteratorINS9_10device_ptrIsEEEESE_SE_sNS9_4plusIsEE19head_flag_predicatesEE10hipError_tPvRmT2_T3_T4_T5_mT6_T7_P12ihipStream_tbENKUlT_T0_E_clISt17integral_constantIbLb0EESX_IbLb1EEEEDaST_SU_EUlST_E_NS1_11comp_targetILNS1_3genE9ELNS1_11target_archE1100ELNS1_3gpuE3ELNS1_3repE0EEENS1_30default_config_static_selectorELNS0_4arch9wavefront6targetE1EEEvT1_.kd
    .uniform_work_group_size: 1
    .uses_dynamic_stack: false
    .vgpr_count:     0
    .vgpr_spill_count: 0
    .wavefront_size: 64
  - .agpr_count:     0
    .args:
      - .offset:         0
        .size:           112
        .value_kind:     by_value
    .group_segment_fixed_size: 0
    .kernarg_segment_align: 8
    .kernarg_segment_size: 112
    .language:       OpenCL C
    .language_version:
      - 2
      - 0
    .max_flat_workgroup_size: 64
    .name:           _ZN7rocprim17ROCPRIM_400000_NS6detail17trampoline_kernelINS0_14default_configENS1_27scan_by_key_config_selectorIssEEZZNS1_16scan_by_key_implILNS1_25lookback_scan_determinismE0ELb1ES3_N6thrust23THRUST_200600_302600_NS6detail15normal_iteratorINS9_10device_ptrIsEEEESE_SE_sNS9_4plusIsEE19head_flag_predicatesEE10hipError_tPvRmT2_T3_T4_T5_mT6_T7_P12ihipStream_tbENKUlT_T0_E_clISt17integral_constantIbLb0EESX_IbLb1EEEEDaST_SU_EUlST_E_NS1_11comp_targetILNS1_3genE8ELNS1_11target_archE1030ELNS1_3gpuE2ELNS1_3repE0EEENS1_30default_config_static_selectorELNS0_4arch9wavefront6targetE1EEEvT1_
    .private_segment_fixed_size: 0
    .sgpr_count:     4
    .sgpr_spill_count: 0
    .symbol:         _ZN7rocprim17ROCPRIM_400000_NS6detail17trampoline_kernelINS0_14default_configENS1_27scan_by_key_config_selectorIssEEZZNS1_16scan_by_key_implILNS1_25lookback_scan_determinismE0ELb1ES3_N6thrust23THRUST_200600_302600_NS6detail15normal_iteratorINS9_10device_ptrIsEEEESE_SE_sNS9_4plusIsEE19head_flag_predicatesEE10hipError_tPvRmT2_T3_T4_T5_mT6_T7_P12ihipStream_tbENKUlT_T0_E_clISt17integral_constantIbLb0EESX_IbLb1EEEEDaST_SU_EUlST_E_NS1_11comp_targetILNS1_3genE8ELNS1_11target_archE1030ELNS1_3gpuE2ELNS1_3repE0EEENS1_30default_config_static_selectorELNS0_4arch9wavefront6targetE1EEEvT1_.kd
    .uniform_work_group_size: 1
    .uses_dynamic_stack: false
    .vgpr_count:     0
    .vgpr_spill_count: 0
    .wavefront_size: 64
  - .agpr_count:     0
    .args:
      - .offset:         0
        .size:           144
        .value_kind:     by_value
    .group_segment_fixed_size: 0
    .kernarg_segment_align: 8
    .kernarg_segment_size: 144
    .language:       OpenCL C
    .language_version:
      - 2
      - 0
    .max_flat_workgroup_size: 256
    .name:           _ZN7rocprim17ROCPRIM_400000_NS6detail17trampoline_kernelINS0_14default_configENS1_27scan_by_key_config_selectorIxxEEZZNS1_16scan_by_key_implILNS1_25lookback_scan_determinismE0ELb0ES3_N6thrust23THRUST_200600_302600_NS6detail15normal_iteratorINS9_10device_ptrIxEEEENS9_18transform_iteratorINS9_6negateIxEESE_NS9_11use_defaultESI_EESE_xNS9_4plusIvEENS9_8equal_toIvEExEE10hipError_tPvRmT2_T3_T4_T5_mT6_T7_P12ihipStream_tbENKUlT_T0_E_clISt17integral_constantIbLb0EES14_EEDaSZ_S10_EUlSZ_E_NS1_11comp_targetILNS1_3genE0ELNS1_11target_archE4294967295ELNS1_3gpuE0ELNS1_3repE0EEENS1_30default_config_static_selectorELNS0_4arch9wavefront6targetE1EEEvT1_
    .private_segment_fixed_size: 0
    .sgpr_count:     4
    .sgpr_spill_count: 0
    .symbol:         _ZN7rocprim17ROCPRIM_400000_NS6detail17trampoline_kernelINS0_14default_configENS1_27scan_by_key_config_selectorIxxEEZZNS1_16scan_by_key_implILNS1_25lookback_scan_determinismE0ELb0ES3_N6thrust23THRUST_200600_302600_NS6detail15normal_iteratorINS9_10device_ptrIxEEEENS9_18transform_iteratorINS9_6negateIxEESE_NS9_11use_defaultESI_EESE_xNS9_4plusIvEENS9_8equal_toIvEExEE10hipError_tPvRmT2_T3_T4_T5_mT6_T7_P12ihipStream_tbENKUlT_T0_E_clISt17integral_constantIbLb0EES14_EEDaSZ_S10_EUlSZ_E_NS1_11comp_targetILNS1_3genE0ELNS1_11target_archE4294967295ELNS1_3gpuE0ELNS1_3repE0EEENS1_30default_config_static_selectorELNS0_4arch9wavefront6targetE1EEEvT1_.kd
    .uniform_work_group_size: 1
    .uses_dynamic_stack: false
    .vgpr_count:     0
    .vgpr_spill_count: 0
    .wavefront_size: 64
  - .agpr_count:     0
    .args:
      - .offset:         0
        .size:           144
        .value_kind:     by_value
    .group_segment_fixed_size: 0
    .kernarg_segment_align: 8
    .kernarg_segment_size: 144
    .language:       OpenCL C
    .language_version:
      - 2
      - 0
    .max_flat_workgroup_size: 256
    .name:           _ZN7rocprim17ROCPRIM_400000_NS6detail17trampoline_kernelINS0_14default_configENS1_27scan_by_key_config_selectorIxxEEZZNS1_16scan_by_key_implILNS1_25lookback_scan_determinismE0ELb0ES3_N6thrust23THRUST_200600_302600_NS6detail15normal_iteratorINS9_10device_ptrIxEEEENS9_18transform_iteratorINS9_6negateIxEESE_NS9_11use_defaultESI_EESE_xNS9_4plusIvEENS9_8equal_toIvEExEE10hipError_tPvRmT2_T3_T4_T5_mT6_T7_P12ihipStream_tbENKUlT_T0_E_clISt17integral_constantIbLb0EES14_EEDaSZ_S10_EUlSZ_E_NS1_11comp_targetILNS1_3genE10ELNS1_11target_archE1201ELNS1_3gpuE5ELNS1_3repE0EEENS1_30default_config_static_selectorELNS0_4arch9wavefront6targetE1EEEvT1_
    .private_segment_fixed_size: 0
    .sgpr_count:     4
    .sgpr_spill_count: 0
    .symbol:         _ZN7rocprim17ROCPRIM_400000_NS6detail17trampoline_kernelINS0_14default_configENS1_27scan_by_key_config_selectorIxxEEZZNS1_16scan_by_key_implILNS1_25lookback_scan_determinismE0ELb0ES3_N6thrust23THRUST_200600_302600_NS6detail15normal_iteratorINS9_10device_ptrIxEEEENS9_18transform_iteratorINS9_6negateIxEESE_NS9_11use_defaultESI_EESE_xNS9_4plusIvEENS9_8equal_toIvEExEE10hipError_tPvRmT2_T3_T4_T5_mT6_T7_P12ihipStream_tbENKUlT_T0_E_clISt17integral_constantIbLb0EES14_EEDaSZ_S10_EUlSZ_E_NS1_11comp_targetILNS1_3genE10ELNS1_11target_archE1201ELNS1_3gpuE5ELNS1_3repE0EEENS1_30default_config_static_selectorELNS0_4arch9wavefront6targetE1EEEvT1_.kd
    .uniform_work_group_size: 1
    .uses_dynamic_stack: false
    .vgpr_count:     0
    .vgpr_spill_count: 0
    .wavefront_size: 64
  - .agpr_count:     0
    .args:
      - .offset:         0
        .size:           144
        .value_kind:     by_value
    .group_segment_fixed_size: 0
    .kernarg_segment_align: 8
    .kernarg_segment_size: 144
    .language:       OpenCL C
    .language_version:
      - 2
      - 0
    .max_flat_workgroup_size: 256
    .name:           _ZN7rocprim17ROCPRIM_400000_NS6detail17trampoline_kernelINS0_14default_configENS1_27scan_by_key_config_selectorIxxEEZZNS1_16scan_by_key_implILNS1_25lookback_scan_determinismE0ELb0ES3_N6thrust23THRUST_200600_302600_NS6detail15normal_iteratorINS9_10device_ptrIxEEEENS9_18transform_iteratorINS9_6negateIxEESE_NS9_11use_defaultESI_EESE_xNS9_4plusIvEENS9_8equal_toIvEExEE10hipError_tPvRmT2_T3_T4_T5_mT6_T7_P12ihipStream_tbENKUlT_T0_E_clISt17integral_constantIbLb0EES14_EEDaSZ_S10_EUlSZ_E_NS1_11comp_targetILNS1_3genE5ELNS1_11target_archE942ELNS1_3gpuE9ELNS1_3repE0EEENS1_30default_config_static_selectorELNS0_4arch9wavefront6targetE1EEEvT1_
    .private_segment_fixed_size: 0
    .sgpr_count:     4
    .sgpr_spill_count: 0
    .symbol:         _ZN7rocprim17ROCPRIM_400000_NS6detail17trampoline_kernelINS0_14default_configENS1_27scan_by_key_config_selectorIxxEEZZNS1_16scan_by_key_implILNS1_25lookback_scan_determinismE0ELb0ES3_N6thrust23THRUST_200600_302600_NS6detail15normal_iteratorINS9_10device_ptrIxEEEENS9_18transform_iteratorINS9_6negateIxEESE_NS9_11use_defaultESI_EESE_xNS9_4plusIvEENS9_8equal_toIvEExEE10hipError_tPvRmT2_T3_T4_T5_mT6_T7_P12ihipStream_tbENKUlT_T0_E_clISt17integral_constantIbLb0EES14_EEDaSZ_S10_EUlSZ_E_NS1_11comp_targetILNS1_3genE5ELNS1_11target_archE942ELNS1_3gpuE9ELNS1_3repE0EEENS1_30default_config_static_selectorELNS0_4arch9wavefront6targetE1EEEvT1_.kd
    .uniform_work_group_size: 1
    .uses_dynamic_stack: false
    .vgpr_count:     0
    .vgpr_spill_count: 0
    .wavefront_size: 64
  - .agpr_count:     0
    .args:
      - .offset:         0
        .size:           144
        .value_kind:     by_value
    .group_segment_fixed_size: 10752
    .kernarg_segment_align: 8
    .kernarg_segment_size: 144
    .language:       OpenCL C
    .language_version:
      - 2
      - 0
    .max_flat_workgroup_size: 64
    .name:           _ZN7rocprim17ROCPRIM_400000_NS6detail17trampoline_kernelINS0_14default_configENS1_27scan_by_key_config_selectorIxxEEZZNS1_16scan_by_key_implILNS1_25lookback_scan_determinismE0ELb0ES3_N6thrust23THRUST_200600_302600_NS6detail15normal_iteratorINS9_10device_ptrIxEEEENS9_18transform_iteratorINS9_6negateIxEESE_NS9_11use_defaultESI_EESE_xNS9_4plusIvEENS9_8equal_toIvEExEE10hipError_tPvRmT2_T3_T4_T5_mT6_T7_P12ihipStream_tbENKUlT_T0_E_clISt17integral_constantIbLb0EES14_EEDaSZ_S10_EUlSZ_E_NS1_11comp_targetILNS1_3genE4ELNS1_11target_archE910ELNS1_3gpuE8ELNS1_3repE0EEENS1_30default_config_static_selectorELNS0_4arch9wavefront6targetE1EEEvT1_
    .private_segment_fixed_size: 0
    .sgpr_count:     82
    .sgpr_spill_count: 0
    .symbol:         _ZN7rocprim17ROCPRIM_400000_NS6detail17trampoline_kernelINS0_14default_configENS1_27scan_by_key_config_selectorIxxEEZZNS1_16scan_by_key_implILNS1_25lookback_scan_determinismE0ELb0ES3_N6thrust23THRUST_200600_302600_NS6detail15normal_iteratorINS9_10device_ptrIxEEEENS9_18transform_iteratorINS9_6negateIxEESE_NS9_11use_defaultESI_EESE_xNS9_4plusIvEENS9_8equal_toIvEExEE10hipError_tPvRmT2_T3_T4_T5_mT6_T7_P12ihipStream_tbENKUlT_T0_E_clISt17integral_constantIbLb0EES14_EEDaSZ_S10_EUlSZ_E_NS1_11comp_targetILNS1_3genE4ELNS1_11target_archE910ELNS1_3gpuE8ELNS1_3repE0EEENS1_30default_config_static_selectorELNS0_4arch9wavefront6targetE1EEEvT1_.kd
    .uniform_work_group_size: 1
    .uses_dynamic_stack: false
    .vgpr_count:     128
    .vgpr_spill_count: 0
    .wavefront_size: 64
  - .agpr_count:     0
    .args:
      - .offset:         0
        .size:           144
        .value_kind:     by_value
    .group_segment_fixed_size: 0
    .kernarg_segment_align: 8
    .kernarg_segment_size: 144
    .language:       OpenCL C
    .language_version:
      - 2
      - 0
    .max_flat_workgroup_size: 256
    .name:           _ZN7rocprim17ROCPRIM_400000_NS6detail17trampoline_kernelINS0_14default_configENS1_27scan_by_key_config_selectorIxxEEZZNS1_16scan_by_key_implILNS1_25lookback_scan_determinismE0ELb0ES3_N6thrust23THRUST_200600_302600_NS6detail15normal_iteratorINS9_10device_ptrIxEEEENS9_18transform_iteratorINS9_6negateIxEESE_NS9_11use_defaultESI_EESE_xNS9_4plusIvEENS9_8equal_toIvEExEE10hipError_tPvRmT2_T3_T4_T5_mT6_T7_P12ihipStream_tbENKUlT_T0_E_clISt17integral_constantIbLb0EES14_EEDaSZ_S10_EUlSZ_E_NS1_11comp_targetILNS1_3genE3ELNS1_11target_archE908ELNS1_3gpuE7ELNS1_3repE0EEENS1_30default_config_static_selectorELNS0_4arch9wavefront6targetE1EEEvT1_
    .private_segment_fixed_size: 0
    .sgpr_count:     4
    .sgpr_spill_count: 0
    .symbol:         _ZN7rocprim17ROCPRIM_400000_NS6detail17trampoline_kernelINS0_14default_configENS1_27scan_by_key_config_selectorIxxEEZZNS1_16scan_by_key_implILNS1_25lookback_scan_determinismE0ELb0ES3_N6thrust23THRUST_200600_302600_NS6detail15normal_iteratorINS9_10device_ptrIxEEEENS9_18transform_iteratorINS9_6negateIxEESE_NS9_11use_defaultESI_EESE_xNS9_4plusIvEENS9_8equal_toIvEExEE10hipError_tPvRmT2_T3_T4_T5_mT6_T7_P12ihipStream_tbENKUlT_T0_E_clISt17integral_constantIbLb0EES14_EEDaSZ_S10_EUlSZ_E_NS1_11comp_targetILNS1_3genE3ELNS1_11target_archE908ELNS1_3gpuE7ELNS1_3repE0EEENS1_30default_config_static_selectorELNS0_4arch9wavefront6targetE1EEEvT1_.kd
    .uniform_work_group_size: 1
    .uses_dynamic_stack: false
    .vgpr_count:     0
    .vgpr_spill_count: 0
    .wavefront_size: 64
  - .agpr_count:     0
    .args:
      - .offset:         0
        .size:           144
        .value_kind:     by_value
    .group_segment_fixed_size: 0
    .kernarg_segment_align: 8
    .kernarg_segment_size: 144
    .language:       OpenCL C
    .language_version:
      - 2
      - 0
    .max_flat_workgroup_size: 256
    .name:           _ZN7rocprim17ROCPRIM_400000_NS6detail17trampoline_kernelINS0_14default_configENS1_27scan_by_key_config_selectorIxxEEZZNS1_16scan_by_key_implILNS1_25lookback_scan_determinismE0ELb0ES3_N6thrust23THRUST_200600_302600_NS6detail15normal_iteratorINS9_10device_ptrIxEEEENS9_18transform_iteratorINS9_6negateIxEESE_NS9_11use_defaultESI_EESE_xNS9_4plusIvEENS9_8equal_toIvEExEE10hipError_tPvRmT2_T3_T4_T5_mT6_T7_P12ihipStream_tbENKUlT_T0_E_clISt17integral_constantIbLb0EES14_EEDaSZ_S10_EUlSZ_E_NS1_11comp_targetILNS1_3genE2ELNS1_11target_archE906ELNS1_3gpuE6ELNS1_3repE0EEENS1_30default_config_static_selectorELNS0_4arch9wavefront6targetE1EEEvT1_
    .private_segment_fixed_size: 0
    .sgpr_count:     4
    .sgpr_spill_count: 0
    .symbol:         _ZN7rocprim17ROCPRIM_400000_NS6detail17trampoline_kernelINS0_14default_configENS1_27scan_by_key_config_selectorIxxEEZZNS1_16scan_by_key_implILNS1_25lookback_scan_determinismE0ELb0ES3_N6thrust23THRUST_200600_302600_NS6detail15normal_iteratorINS9_10device_ptrIxEEEENS9_18transform_iteratorINS9_6negateIxEESE_NS9_11use_defaultESI_EESE_xNS9_4plusIvEENS9_8equal_toIvEExEE10hipError_tPvRmT2_T3_T4_T5_mT6_T7_P12ihipStream_tbENKUlT_T0_E_clISt17integral_constantIbLb0EES14_EEDaSZ_S10_EUlSZ_E_NS1_11comp_targetILNS1_3genE2ELNS1_11target_archE906ELNS1_3gpuE6ELNS1_3repE0EEENS1_30default_config_static_selectorELNS0_4arch9wavefront6targetE1EEEvT1_.kd
    .uniform_work_group_size: 1
    .uses_dynamic_stack: false
    .vgpr_count:     0
    .vgpr_spill_count: 0
    .wavefront_size: 64
  - .agpr_count:     0
    .args:
      - .offset:         0
        .size:           144
        .value_kind:     by_value
    .group_segment_fixed_size: 0
    .kernarg_segment_align: 8
    .kernarg_segment_size: 144
    .language:       OpenCL C
    .language_version:
      - 2
      - 0
    .max_flat_workgroup_size: 256
    .name:           _ZN7rocprim17ROCPRIM_400000_NS6detail17trampoline_kernelINS0_14default_configENS1_27scan_by_key_config_selectorIxxEEZZNS1_16scan_by_key_implILNS1_25lookback_scan_determinismE0ELb0ES3_N6thrust23THRUST_200600_302600_NS6detail15normal_iteratorINS9_10device_ptrIxEEEENS9_18transform_iteratorINS9_6negateIxEESE_NS9_11use_defaultESI_EESE_xNS9_4plusIvEENS9_8equal_toIvEExEE10hipError_tPvRmT2_T3_T4_T5_mT6_T7_P12ihipStream_tbENKUlT_T0_E_clISt17integral_constantIbLb0EES14_EEDaSZ_S10_EUlSZ_E_NS1_11comp_targetILNS1_3genE10ELNS1_11target_archE1200ELNS1_3gpuE4ELNS1_3repE0EEENS1_30default_config_static_selectorELNS0_4arch9wavefront6targetE1EEEvT1_
    .private_segment_fixed_size: 0
    .sgpr_count:     4
    .sgpr_spill_count: 0
    .symbol:         _ZN7rocprim17ROCPRIM_400000_NS6detail17trampoline_kernelINS0_14default_configENS1_27scan_by_key_config_selectorIxxEEZZNS1_16scan_by_key_implILNS1_25lookback_scan_determinismE0ELb0ES3_N6thrust23THRUST_200600_302600_NS6detail15normal_iteratorINS9_10device_ptrIxEEEENS9_18transform_iteratorINS9_6negateIxEESE_NS9_11use_defaultESI_EESE_xNS9_4plusIvEENS9_8equal_toIvEExEE10hipError_tPvRmT2_T3_T4_T5_mT6_T7_P12ihipStream_tbENKUlT_T0_E_clISt17integral_constantIbLb0EES14_EEDaSZ_S10_EUlSZ_E_NS1_11comp_targetILNS1_3genE10ELNS1_11target_archE1200ELNS1_3gpuE4ELNS1_3repE0EEENS1_30default_config_static_selectorELNS0_4arch9wavefront6targetE1EEEvT1_.kd
    .uniform_work_group_size: 1
    .uses_dynamic_stack: false
    .vgpr_count:     0
    .vgpr_spill_count: 0
    .wavefront_size: 64
  - .agpr_count:     0
    .args:
      - .offset:         0
        .size:           144
        .value_kind:     by_value
    .group_segment_fixed_size: 0
    .kernarg_segment_align: 8
    .kernarg_segment_size: 144
    .language:       OpenCL C
    .language_version:
      - 2
      - 0
    .max_flat_workgroup_size: 256
    .name:           _ZN7rocprim17ROCPRIM_400000_NS6detail17trampoline_kernelINS0_14default_configENS1_27scan_by_key_config_selectorIxxEEZZNS1_16scan_by_key_implILNS1_25lookback_scan_determinismE0ELb0ES3_N6thrust23THRUST_200600_302600_NS6detail15normal_iteratorINS9_10device_ptrIxEEEENS9_18transform_iteratorINS9_6negateIxEESE_NS9_11use_defaultESI_EESE_xNS9_4plusIvEENS9_8equal_toIvEExEE10hipError_tPvRmT2_T3_T4_T5_mT6_T7_P12ihipStream_tbENKUlT_T0_E_clISt17integral_constantIbLb0EES14_EEDaSZ_S10_EUlSZ_E_NS1_11comp_targetILNS1_3genE9ELNS1_11target_archE1100ELNS1_3gpuE3ELNS1_3repE0EEENS1_30default_config_static_selectorELNS0_4arch9wavefront6targetE1EEEvT1_
    .private_segment_fixed_size: 0
    .sgpr_count:     4
    .sgpr_spill_count: 0
    .symbol:         _ZN7rocprim17ROCPRIM_400000_NS6detail17trampoline_kernelINS0_14default_configENS1_27scan_by_key_config_selectorIxxEEZZNS1_16scan_by_key_implILNS1_25lookback_scan_determinismE0ELb0ES3_N6thrust23THRUST_200600_302600_NS6detail15normal_iteratorINS9_10device_ptrIxEEEENS9_18transform_iteratorINS9_6negateIxEESE_NS9_11use_defaultESI_EESE_xNS9_4plusIvEENS9_8equal_toIvEExEE10hipError_tPvRmT2_T3_T4_T5_mT6_T7_P12ihipStream_tbENKUlT_T0_E_clISt17integral_constantIbLb0EES14_EEDaSZ_S10_EUlSZ_E_NS1_11comp_targetILNS1_3genE9ELNS1_11target_archE1100ELNS1_3gpuE3ELNS1_3repE0EEENS1_30default_config_static_selectorELNS0_4arch9wavefront6targetE1EEEvT1_.kd
    .uniform_work_group_size: 1
    .uses_dynamic_stack: false
    .vgpr_count:     0
    .vgpr_spill_count: 0
    .wavefront_size: 64
  - .agpr_count:     0
    .args:
      - .offset:         0
        .size:           144
        .value_kind:     by_value
    .group_segment_fixed_size: 0
    .kernarg_segment_align: 8
    .kernarg_segment_size: 144
    .language:       OpenCL C
    .language_version:
      - 2
      - 0
    .max_flat_workgroup_size: 256
    .name:           _ZN7rocprim17ROCPRIM_400000_NS6detail17trampoline_kernelINS0_14default_configENS1_27scan_by_key_config_selectorIxxEEZZNS1_16scan_by_key_implILNS1_25lookback_scan_determinismE0ELb0ES3_N6thrust23THRUST_200600_302600_NS6detail15normal_iteratorINS9_10device_ptrIxEEEENS9_18transform_iteratorINS9_6negateIxEESE_NS9_11use_defaultESI_EESE_xNS9_4plusIvEENS9_8equal_toIvEExEE10hipError_tPvRmT2_T3_T4_T5_mT6_T7_P12ihipStream_tbENKUlT_T0_E_clISt17integral_constantIbLb0EES14_EEDaSZ_S10_EUlSZ_E_NS1_11comp_targetILNS1_3genE8ELNS1_11target_archE1030ELNS1_3gpuE2ELNS1_3repE0EEENS1_30default_config_static_selectorELNS0_4arch9wavefront6targetE1EEEvT1_
    .private_segment_fixed_size: 0
    .sgpr_count:     4
    .sgpr_spill_count: 0
    .symbol:         _ZN7rocprim17ROCPRIM_400000_NS6detail17trampoline_kernelINS0_14default_configENS1_27scan_by_key_config_selectorIxxEEZZNS1_16scan_by_key_implILNS1_25lookback_scan_determinismE0ELb0ES3_N6thrust23THRUST_200600_302600_NS6detail15normal_iteratorINS9_10device_ptrIxEEEENS9_18transform_iteratorINS9_6negateIxEESE_NS9_11use_defaultESI_EESE_xNS9_4plusIvEENS9_8equal_toIvEExEE10hipError_tPvRmT2_T3_T4_T5_mT6_T7_P12ihipStream_tbENKUlT_T0_E_clISt17integral_constantIbLb0EES14_EEDaSZ_S10_EUlSZ_E_NS1_11comp_targetILNS1_3genE8ELNS1_11target_archE1030ELNS1_3gpuE2ELNS1_3repE0EEENS1_30default_config_static_selectorELNS0_4arch9wavefront6targetE1EEEvT1_.kd
    .uniform_work_group_size: 1
    .uses_dynamic_stack: false
    .vgpr_count:     0
    .vgpr_spill_count: 0
    .wavefront_size: 64
  - .agpr_count:     0
    .args:
      - .offset:         0
        .size:           144
        .value_kind:     by_value
    .group_segment_fixed_size: 0
    .kernarg_segment_align: 8
    .kernarg_segment_size: 144
    .language:       OpenCL C
    .language_version:
      - 2
      - 0
    .max_flat_workgroup_size: 256
    .name:           _ZN7rocprim17ROCPRIM_400000_NS6detail17trampoline_kernelINS0_14default_configENS1_27scan_by_key_config_selectorIxxEEZZNS1_16scan_by_key_implILNS1_25lookback_scan_determinismE0ELb0ES3_N6thrust23THRUST_200600_302600_NS6detail15normal_iteratorINS9_10device_ptrIxEEEENS9_18transform_iteratorINS9_6negateIxEESE_NS9_11use_defaultESI_EESE_xNS9_4plusIvEENS9_8equal_toIvEExEE10hipError_tPvRmT2_T3_T4_T5_mT6_T7_P12ihipStream_tbENKUlT_T0_E_clISt17integral_constantIbLb1EES14_EEDaSZ_S10_EUlSZ_E_NS1_11comp_targetILNS1_3genE0ELNS1_11target_archE4294967295ELNS1_3gpuE0ELNS1_3repE0EEENS1_30default_config_static_selectorELNS0_4arch9wavefront6targetE1EEEvT1_
    .private_segment_fixed_size: 0
    .sgpr_count:     4
    .sgpr_spill_count: 0
    .symbol:         _ZN7rocprim17ROCPRIM_400000_NS6detail17trampoline_kernelINS0_14default_configENS1_27scan_by_key_config_selectorIxxEEZZNS1_16scan_by_key_implILNS1_25lookback_scan_determinismE0ELb0ES3_N6thrust23THRUST_200600_302600_NS6detail15normal_iteratorINS9_10device_ptrIxEEEENS9_18transform_iteratorINS9_6negateIxEESE_NS9_11use_defaultESI_EESE_xNS9_4plusIvEENS9_8equal_toIvEExEE10hipError_tPvRmT2_T3_T4_T5_mT6_T7_P12ihipStream_tbENKUlT_T0_E_clISt17integral_constantIbLb1EES14_EEDaSZ_S10_EUlSZ_E_NS1_11comp_targetILNS1_3genE0ELNS1_11target_archE4294967295ELNS1_3gpuE0ELNS1_3repE0EEENS1_30default_config_static_selectorELNS0_4arch9wavefront6targetE1EEEvT1_.kd
    .uniform_work_group_size: 1
    .uses_dynamic_stack: false
    .vgpr_count:     0
    .vgpr_spill_count: 0
    .wavefront_size: 64
  - .agpr_count:     0
    .args:
      - .offset:         0
        .size:           144
        .value_kind:     by_value
    .group_segment_fixed_size: 0
    .kernarg_segment_align: 8
    .kernarg_segment_size: 144
    .language:       OpenCL C
    .language_version:
      - 2
      - 0
    .max_flat_workgroup_size: 256
    .name:           _ZN7rocprim17ROCPRIM_400000_NS6detail17trampoline_kernelINS0_14default_configENS1_27scan_by_key_config_selectorIxxEEZZNS1_16scan_by_key_implILNS1_25lookback_scan_determinismE0ELb0ES3_N6thrust23THRUST_200600_302600_NS6detail15normal_iteratorINS9_10device_ptrIxEEEENS9_18transform_iteratorINS9_6negateIxEESE_NS9_11use_defaultESI_EESE_xNS9_4plusIvEENS9_8equal_toIvEExEE10hipError_tPvRmT2_T3_T4_T5_mT6_T7_P12ihipStream_tbENKUlT_T0_E_clISt17integral_constantIbLb1EES14_EEDaSZ_S10_EUlSZ_E_NS1_11comp_targetILNS1_3genE10ELNS1_11target_archE1201ELNS1_3gpuE5ELNS1_3repE0EEENS1_30default_config_static_selectorELNS0_4arch9wavefront6targetE1EEEvT1_
    .private_segment_fixed_size: 0
    .sgpr_count:     4
    .sgpr_spill_count: 0
    .symbol:         _ZN7rocprim17ROCPRIM_400000_NS6detail17trampoline_kernelINS0_14default_configENS1_27scan_by_key_config_selectorIxxEEZZNS1_16scan_by_key_implILNS1_25lookback_scan_determinismE0ELb0ES3_N6thrust23THRUST_200600_302600_NS6detail15normal_iteratorINS9_10device_ptrIxEEEENS9_18transform_iteratorINS9_6negateIxEESE_NS9_11use_defaultESI_EESE_xNS9_4plusIvEENS9_8equal_toIvEExEE10hipError_tPvRmT2_T3_T4_T5_mT6_T7_P12ihipStream_tbENKUlT_T0_E_clISt17integral_constantIbLb1EES14_EEDaSZ_S10_EUlSZ_E_NS1_11comp_targetILNS1_3genE10ELNS1_11target_archE1201ELNS1_3gpuE5ELNS1_3repE0EEENS1_30default_config_static_selectorELNS0_4arch9wavefront6targetE1EEEvT1_.kd
    .uniform_work_group_size: 1
    .uses_dynamic_stack: false
    .vgpr_count:     0
    .vgpr_spill_count: 0
    .wavefront_size: 64
  - .agpr_count:     0
    .args:
      - .offset:         0
        .size:           144
        .value_kind:     by_value
    .group_segment_fixed_size: 0
    .kernarg_segment_align: 8
    .kernarg_segment_size: 144
    .language:       OpenCL C
    .language_version:
      - 2
      - 0
    .max_flat_workgroup_size: 256
    .name:           _ZN7rocprim17ROCPRIM_400000_NS6detail17trampoline_kernelINS0_14default_configENS1_27scan_by_key_config_selectorIxxEEZZNS1_16scan_by_key_implILNS1_25lookback_scan_determinismE0ELb0ES3_N6thrust23THRUST_200600_302600_NS6detail15normal_iteratorINS9_10device_ptrIxEEEENS9_18transform_iteratorINS9_6negateIxEESE_NS9_11use_defaultESI_EESE_xNS9_4plusIvEENS9_8equal_toIvEExEE10hipError_tPvRmT2_T3_T4_T5_mT6_T7_P12ihipStream_tbENKUlT_T0_E_clISt17integral_constantIbLb1EES14_EEDaSZ_S10_EUlSZ_E_NS1_11comp_targetILNS1_3genE5ELNS1_11target_archE942ELNS1_3gpuE9ELNS1_3repE0EEENS1_30default_config_static_selectorELNS0_4arch9wavefront6targetE1EEEvT1_
    .private_segment_fixed_size: 0
    .sgpr_count:     4
    .sgpr_spill_count: 0
    .symbol:         _ZN7rocprim17ROCPRIM_400000_NS6detail17trampoline_kernelINS0_14default_configENS1_27scan_by_key_config_selectorIxxEEZZNS1_16scan_by_key_implILNS1_25lookback_scan_determinismE0ELb0ES3_N6thrust23THRUST_200600_302600_NS6detail15normal_iteratorINS9_10device_ptrIxEEEENS9_18transform_iteratorINS9_6negateIxEESE_NS9_11use_defaultESI_EESE_xNS9_4plusIvEENS9_8equal_toIvEExEE10hipError_tPvRmT2_T3_T4_T5_mT6_T7_P12ihipStream_tbENKUlT_T0_E_clISt17integral_constantIbLb1EES14_EEDaSZ_S10_EUlSZ_E_NS1_11comp_targetILNS1_3genE5ELNS1_11target_archE942ELNS1_3gpuE9ELNS1_3repE0EEENS1_30default_config_static_selectorELNS0_4arch9wavefront6targetE1EEEvT1_.kd
    .uniform_work_group_size: 1
    .uses_dynamic_stack: false
    .vgpr_count:     0
    .vgpr_spill_count: 0
    .wavefront_size: 64
  - .agpr_count:     0
    .args:
      - .offset:         0
        .size:           144
        .value_kind:     by_value
    .group_segment_fixed_size: 10752
    .kernarg_segment_align: 8
    .kernarg_segment_size: 144
    .language:       OpenCL C
    .language_version:
      - 2
      - 0
    .max_flat_workgroup_size: 64
    .name:           _ZN7rocprim17ROCPRIM_400000_NS6detail17trampoline_kernelINS0_14default_configENS1_27scan_by_key_config_selectorIxxEEZZNS1_16scan_by_key_implILNS1_25lookback_scan_determinismE0ELb0ES3_N6thrust23THRUST_200600_302600_NS6detail15normal_iteratorINS9_10device_ptrIxEEEENS9_18transform_iteratorINS9_6negateIxEESE_NS9_11use_defaultESI_EESE_xNS9_4plusIvEENS9_8equal_toIvEExEE10hipError_tPvRmT2_T3_T4_T5_mT6_T7_P12ihipStream_tbENKUlT_T0_E_clISt17integral_constantIbLb1EES14_EEDaSZ_S10_EUlSZ_E_NS1_11comp_targetILNS1_3genE4ELNS1_11target_archE910ELNS1_3gpuE8ELNS1_3repE0EEENS1_30default_config_static_selectorELNS0_4arch9wavefront6targetE1EEEvT1_
    .private_segment_fixed_size: 0
    .sgpr_count:     86
    .sgpr_spill_count: 0
    .symbol:         _ZN7rocprim17ROCPRIM_400000_NS6detail17trampoline_kernelINS0_14default_configENS1_27scan_by_key_config_selectorIxxEEZZNS1_16scan_by_key_implILNS1_25lookback_scan_determinismE0ELb0ES3_N6thrust23THRUST_200600_302600_NS6detail15normal_iteratorINS9_10device_ptrIxEEEENS9_18transform_iteratorINS9_6negateIxEESE_NS9_11use_defaultESI_EESE_xNS9_4plusIvEENS9_8equal_toIvEExEE10hipError_tPvRmT2_T3_T4_T5_mT6_T7_P12ihipStream_tbENKUlT_T0_E_clISt17integral_constantIbLb1EES14_EEDaSZ_S10_EUlSZ_E_NS1_11comp_targetILNS1_3genE4ELNS1_11target_archE910ELNS1_3gpuE8ELNS1_3repE0EEENS1_30default_config_static_selectorELNS0_4arch9wavefront6targetE1EEEvT1_.kd
    .uniform_work_group_size: 1
    .uses_dynamic_stack: false
    .vgpr_count:     128
    .vgpr_spill_count: 0
    .wavefront_size: 64
  - .agpr_count:     0
    .args:
      - .offset:         0
        .size:           144
        .value_kind:     by_value
    .group_segment_fixed_size: 0
    .kernarg_segment_align: 8
    .kernarg_segment_size: 144
    .language:       OpenCL C
    .language_version:
      - 2
      - 0
    .max_flat_workgroup_size: 256
    .name:           _ZN7rocprim17ROCPRIM_400000_NS6detail17trampoline_kernelINS0_14default_configENS1_27scan_by_key_config_selectorIxxEEZZNS1_16scan_by_key_implILNS1_25lookback_scan_determinismE0ELb0ES3_N6thrust23THRUST_200600_302600_NS6detail15normal_iteratorINS9_10device_ptrIxEEEENS9_18transform_iteratorINS9_6negateIxEESE_NS9_11use_defaultESI_EESE_xNS9_4plusIvEENS9_8equal_toIvEExEE10hipError_tPvRmT2_T3_T4_T5_mT6_T7_P12ihipStream_tbENKUlT_T0_E_clISt17integral_constantIbLb1EES14_EEDaSZ_S10_EUlSZ_E_NS1_11comp_targetILNS1_3genE3ELNS1_11target_archE908ELNS1_3gpuE7ELNS1_3repE0EEENS1_30default_config_static_selectorELNS0_4arch9wavefront6targetE1EEEvT1_
    .private_segment_fixed_size: 0
    .sgpr_count:     4
    .sgpr_spill_count: 0
    .symbol:         _ZN7rocprim17ROCPRIM_400000_NS6detail17trampoline_kernelINS0_14default_configENS1_27scan_by_key_config_selectorIxxEEZZNS1_16scan_by_key_implILNS1_25lookback_scan_determinismE0ELb0ES3_N6thrust23THRUST_200600_302600_NS6detail15normal_iteratorINS9_10device_ptrIxEEEENS9_18transform_iteratorINS9_6negateIxEESE_NS9_11use_defaultESI_EESE_xNS9_4plusIvEENS9_8equal_toIvEExEE10hipError_tPvRmT2_T3_T4_T5_mT6_T7_P12ihipStream_tbENKUlT_T0_E_clISt17integral_constantIbLb1EES14_EEDaSZ_S10_EUlSZ_E_NS1_11comp_targetILNS1_3genE3ELNS1_11target_archE908ELNS1_3gpuE7ELNS1_3repE0EEENS1_30default_config_static_selectorELNS0_4arch9wavefront6targetE1EEEvT1_.kd
    .uniform_work_group_size: 1
    .uses_dynamic_stack: false
    .vgpr_count:     0
    .vgpr_spill_count: 0
    .wavefront_size: 64
  - .agpr_count:     0
    .args:
      - .offset:         0
        .size:           144
        .value_kind:     by_value
    .group_segment_fixed_size: 0
    .kernarg_segment_align: 8
    .kernarg_segment_size: 144
    .language:       OpenCL C
    .language_version:
      - 2
      - 0
    .max_flat_workgroup_size: 256
    .name:           _ZN7rocprim17ROCPRIM_400000_NS6detail17trampoline_kernelINS0_14default_configENS1_27scan_by_key_config_selectorIxxEEZZNS1_16scan_by_key_implILNS1_25lookback_scan_determinismE0ELb0ES3_N6thrust23THRUST_200600_302600_NS6detail15normal_iteratorINS9_10device_ptrIxEEEENS9_18transform_iteratorINS9_6negateIxEESE_NS9_11use_defaultESI_EESE_xNS9_4plusIvEENS9_8equal_toIvEExEE10hipError_tPvRmT2_T3_T4_T5_mT6_T7_P12ihipStream_tbENKUlT_T0_E_clISt17integral_constantIbLb1EES14_EEDaSZ_S10_EUlSZ_E_NS1_11comp_targetILNS1_3genE2ELNS1_11target_archE906ELNS1_3gpuE6ELNS1_3repE0EEENS1_30default_config_static_selectorELNS0_4arch9wavefront6targetE1EEEvT1_
    .private_segment_fixed_size: 0
    .sgpr_count:     4
    .sgpr_spill_count: 0
    .symbol:         _ZN7rocprim17ROCPRIM_400000_NS6detail17trampoline_kernelINS0_14default_configENS1_27scan_by_key_config_selectorIxxEEZZNS1_16scan_by_key_implILNS1_25lookback_scan_determinismE0ELb0ES3_N6thrust23THRUST_200600_302600_NS6detail15normal_iteratorINS9_10device_ptrIxEEEENS9_18transform_iteratorINS9_6negateIxEESE_NS9_11use_defaultESI_EESE_xNS9_4plusIvEENS9_8equal_toIvEExEE10hipError_tPvRmT2_T3_T4_T5_mT6_T7_P12ihipStream_tbENKUlT_T0_E_clISt17integral_constantIbLb1EES14_EEDaSZ_S10_EUlSZ_E_NS1_11comp_targetILNS1_3genE2ELNS1_11target_archE906ELNS1_3gpuE6ELNS1_3repE0EEENS1_30default_config_static_selectorELNS0_4arch9wavefront6targetE1EEEvT1_.kd
    .uniform_work_group_size: 1
    .uses_dynamic_stack: false
    .vgpr_count:     0
    .vgpr_spill_count: 0
    .wavefront_size: 64
  - .agpr_count:     0
    .args:
      - .offset:         0
        .size:           144
        .value_kind:     by_value
    .group_segment_fixed_size: 0
    .kernarg_segment_align: 8
    .kernarg_segment_size: 144
    .language:       OpenCL C
    .language_version:
      - 2
      - 0
    .max_flat_workgroup_size: 256
    .name:           _ZN7rocprim17ROCPRIM_400000_NS6detail17trampoline_kernelINS0_14default_configENS1_27scan_by_key_config_selectorIxxEEZZNS1_16scan_by_key_implILNS1_25lookback_scan_determinismE0ELb0ES3_N6thrust23THRUST_200600_302600_NS6detail15normal_iteratorINS9_10device_ptrIxEEEENS9_18transform_iteratorINS9_6negateIxEESE_NS9_11use_defaultESI_EESE_xNS9_4plusIvEENS9_8equal_toIvEExEE10hipError_tPvRmT2_T3_T4_T5_mT6_T7_P12ihipStream_tbENKUlT_T0_E_clISt17integral_constantIbLb1EES14_EEDaSZ_S10_EUlSZ_E_NS1_11comp_targetILNS1_3genE10ELNS1_11target_archE1200ELNS1_3gpuE4ELNS1_3repE0EEENS1_30default_config_static_selectorELNS0_4arch9wavefront6targetE1EEEvT1_
    .private_segment_fixed_size: 0
    .sgpr_count:     4
    .sgpr_spill_count: 0
    .symbol:         _ZN7rocprim17ROCPRIM_400000_NS6detail17trampoline_kernelINS0_14default_configENS1_27scan_by_key_config_selectorIxxEEZZNS1_16scan_by_key_implILNS1_25lookback_scan_determinismE0ELb0ES3_N6thrust23THRUST_200600_302600_NS6detail15normal_iteratorINS9_10device_ptrIxEEEENS9_18transform_iteratorINS9_6negateIxEESE_NS9_11use_defaultESI_EESE_xNS9_4plusIvEENS9_8equal_toIvEExEE10hipError_tPvRmT2_T3_T4_T5_mT6_T7_P12ihipStream_tbENKUlT_T0_E_clISt17integral_constantIbLb1EES14_EEDaSZ_S10_EUlSZ_E_NS1_11comp_targetILNS1_3genE10ELNS1_11target_archE1200ELNS1_3gpuE4ELNS1_3repE0EEENS1_30default_config_static_selectorELNS0_4arch9wavefront6targetE1EEEvT1_.kd
    .uniform_work_group_size: 1
    .uses_dynamic_stack: false
    .vgpr_count:     0
    .vgpr_spill_count: 0
    .wavefront_size: 64
  - .agpr_count:     0
    .args:
      - .offset:         0
        .size:           144
        .value_kind:     by_value
    .group_segment_fixed_size: 0
    .kernarg_segment_align: 8
    .kernarg_segment_size: 144
    .language:       OpenCL C
    .language_version:
      - 2
      - 0
    .max_flat_workgroup_size: 256
    .name:           _ZN7rocprim17ROCPRIM_400000_NS6detail17trampoline_kernelINS0_14default_configENS1_27scan_by_key_config_selectorIxxEEZZNS1_16scan_by_key_implILNS1_25lookback_scan_determinismE0ELb0ES3_N6thrust23THRUST_200600_302600_NS6detail15normal_iteratorINS9_10device_ptrIxEEEENS9_18transform_iteratorINS9_6negateIxEESE_NS9_11use_defaultESI_EESE_xNS9_4plusIvEENS9_8equal_toIvEExEE10hipError_tPvRmT2_T3_T4_T5_mT6_T7_P12ihipStream_tbENKUlT_T0_E_clISt17integral_constantIbLb1EES14_EEDaSZ_S10_EUlSZ_E_NS1_11comp_targetILNS1_3genE9ELNS1_11target_archE1100ELNS1_3gpuE3ELNS1_3repE0EEENS1_30default_config_static_selectorELNS0_4arch9wavefront6targetE1EEEvT1_
    .private_segment_fixed_size: 0
    .sgpr_count:     4
    .sgpr_spill_count: 0
    .symbol:         _ZN7rocprim17ROCPRIM_400000_NS6detail17trampoline_kernelINS0_14default_configENS1_27scan_by_key_config_selectorIxxEEZZNS1_16scan_by_key_implILNS1_25lookback_scan_determinismE0ELb0ES3_N6thrust23THRUST_200600_302600_NS6detail15normal_iteratorINS9_10device_ptrIxEEEENS9_18transform_iteratorINS9_6negateIxEESE_NS9_11use_defaultESI_EESE_xNS9_4plusIvEENS9_8equal_toIvEExEE10hipError_tPvRmT2_T3_T4_T5_mT6_T7_P12ihipStream_tbENKUlT_T0_E_clISt17integral_constantIbLb1EES14_EEDaSZ_S10_EUlSZ_E_NS1_11comp_targetILNS1_3genE9ELNS1_11target_archE1100ELNS1_3gpuE3ELNS1_3repE0EEENS1_30default_config_static_selectorELNS0_4arch9wavefront6targetE1EEEvT1_.kd
    .uniform_work_group_size: 1
    .uses_dynamic_stack: false
    .vgpr_count:     0
    .vgpr_spill_count: 0
    .wavefront_size: 64
  - .agpr_count:     0
    .args:
      - .offset:         0
        .size:           144
        .value_kind:     by_value
    .group_segment_fixed_size: 0
    .kernarg_segment_align: 8
    .kernarg_segment_size: 144
    .language:       OpenCL C
    .language_version:
      - 2
      - 0
    .max_flat_workgroup_size: 256
    .name:           _ZN7rocprim17ROCPRIM_400000_NS6detail17trampoline_kernelINS0_14default_configENS1_27scan_by_key_config_selectorIxxEEZZNS1_16scan_by_key_implILNS1_25lookback_scan_determinismE0ELb0ES3_N6thrust23THRUST_200600_302600_NS6detail15normal_iteratorINS9_10device_ptrIxEEEENS9_18transform_iteratorINS9_6negateIxEESE_NS9_11use_defaultESI_EESE_xNS9_4plusIvEENS9_8equal_toIvEExEE10hipError_tPvRmT2_T3_T4_T5_mT6_T7_P12ihipStream_tbENKUlT_T0_E_clISt17integral_constantIbLb1EES14_EEDaSZ_S10_EUlSZ_E_NS1_11comp_targetILNS1_3genE8ELNS1_11target_archE1030ELNS1_3gpuE2ELNS1_3repE0EEENS1_30default_config_static_selectorELNS0_4arch9wavefront6targetE1EEEvT1_
    .private_segment_fixed_size: 0
    .sgpr_count:     4
    .sgpr_spill_count: 0
    .symbol:         _ZN7rocprim17ROCPRIM_400000_NS6detail17trampoline_kernelINS0_14default_configENS1_27scan_by_key_config_selectorIxxEEZZNS1_16scan_by_key_implILNS1_25lookback_scan_determinismE0ELb0ES3_N6thrust23THRUST_200600_302600_NS6detail15normal_iteratorINS9_10device_ptrIxEEEENS9_18transform_iteratorINS9_6negateIxEESE_NS9_11use_defaultESI_EESE_xNS9_4plusIvEENS9_8equal_toIvEExEE10hipError_tPvRmT2_T3_T4_T5_mT6_T7_P12ihipStream_tbENKUlT_T0_E_clISt17integral_constantIbLb1EES14_EEDaSZ_S10_EUlSZ_E_NS1_11comp_targetILNS1_3genE8ELNS1_11target_archE1030ELNS1_3gpuE2ELNS1_3repE0EEENS1_30default_config_static_selectorELNS0_4arch9wavefront6targetE1EEEvT1_.kd
    .uniform_work_group_size: 1
    .uses_dynamic_stack: false
    .vgpr_count:     0
    .vgpr_spill_count: 0
    .wavefront_size: 64
  - .agpr_count:     0
    .args:
      - .offset:         0
        .size:           144
        .value_kind:     by_value
    .group_segment_fixed_size: 0
    .kernarg_segment_align: 8
    .kernarg_segment_size: 144
    .language:       OpenCL C
    .language_version:
      - 2
      - 0
    .max_flat_workgroup_size: 256
    .name:           _ZN7rocprim17ROCPRIM_400000_NS6detail17trampoline_kernelINS0_14default_configENS1_27scan_by_key_config_selectorIxxEEZZNS1_16scan_by_key_implILNS1_25lookback_scan_determinismE0ELb0ES3_N6thrust23THRUST_200600_302600_NS6detail15normal_iteratorINS9_10device_ptrIxEEEENS9_18transform_iteratorINS9_6negateIxEESE_NS9_11use_defaultESI_EESE_xNS9_4plusIvEENS9_8equal_toIvEExEE10hipError_tPvRmT2_T3_T4_T5_mT6_T7_P12ihipStream_tbENKUlT_T0_E_clISt17integral_constantIbLb1EES13_IbLb0EEEEDaSZ_S10_EUlSZ_E_NS1_11comp_targetILNS1_3genE0ELNS1_11target_archE4294967295ELNS1_3gpuE0ELNS1_3repE0EEENS1_30default_config_static_selectorELNS0_4arch9wavefront6targetE1EEEvT1_
    .private_segment_fixed_size: 0
    .sgpr_count:     4
    .sgpr_spill_count: 0
    .symbol:         _ZN7rocprim17ROCPRIM_400000_NS6detail17trampoline_kernelINS0_14default_configENS1_27scan_by_key_config_selectorIxxEEZZNS1_16scan_by_key_implILNS1_25lookback_scan_determinismE0ELb0ES3_N6thrust23THRUST_200600_302600_NS6detail15normal_iteratorINS9_10device_ptrIxEEEENS9_18transform_iteratorINS9_6negateIxEESE_NS9_11use_defaultESI_EESE_xNS9_4plusIvEENS9_8equal_toIvEExEE10hipError_tPvRmT2_T3_T4_T5_mT6_T7_P12ihipStream_tbENKUlT_T0_E_clISt17integral_constantIbLb1EES13_IbLb0EEEEDaSZ_S10_EUlSZ_E_NS1_11comp_targetILNS1_3genE0ELNS1_11target_archE4294967295ELNS1_3gpuE0ELNS1_3repE0EEENS1_30default_config_static_selectorELNS0_4arch9wavefront6targetE1EEEvT1_.kd
    .uniform_work_group_size: 1
    .uses_dynamic_stack: false
    .vgpr_count:     0
    .vgpr_spill_count: 0
    .wavefront_size: 64
  - .agpr_count:     0
    .args:
      - .offset:         0
        .size:           144
        .value_kind:     by_value
    .group_segment_fixed_size: 0
    .kernarg_segment_align: 8
    .kernarg_segment_size: 144
    .language:       OpenCL C
    .language_version:
      - 2
      - 0
    .max_flat_workgroup_size: 256
    .name:           _ZN7rocprim17ROCPRIM_400000_NS6detail17trampoline_kernelINS0_14default_configENS1_27scan_by_key_config_selectorIxxEEZZNS1_16scan_by_key_implILNS1_25lookback_scan_determinismE0ELb0ES3_N6thrust23THRUST_200600_302600_NS6detail15normal_iteratorINS9_10device_ptrIxEEEENS9_18transform_iteratorINS9_6negateIxEESE_NS9_11use_defaultESI_EESE_xNS9_4plusIvEENS9_8equal_toIvEExEE10hipError_tPvRmT2_T3_T4_T5_mT6_T7_P12ihipStream_tbENKUlT_T0_E_clISt17integral_constantIbLb1EES13_IbLb0EEEEDaSZ_S10_EUlSZ_E_NS1_11comp_targetILNS1_3genE10ELNS1_11target_archE1201ELNS1_3gpuE5ELNS1_3repE0EEENS1_30default_config_static_selectorELNS0_4arch9wavefront6targetE1EEEvT1_
    .private_segment_fixed_size: 0
    .sgpr_count:     4
    .sgpr_spill_count: 0
    .symbol:         _ZN7rocprim17ROCPRIM_400000_NS6detail17trampoline_kernelINS0_14default_configENS1_27scan_by_key_config_selectorIxxEEZZNS1_16scan_by_key_implILNS1_25lookback_scan_determinismE0ELb0ES3_N6thrust23THRUST_200600_302600_NS6detail15normal_iteratorINS9_10device_ptrIxEEEENS9_18transform_iteratorINS9_6negateIxEESE_NS9_11use_defaultESI_EESE_xNS9_4plusIvEENS9_8equal_toIvEExEE10hipError_tPvRmT2_T3_T4_T5_mT6_T7_P12ihipStream_tbENKUlT_T0_E_clISt17integral_constantIbLb1EES13_IbLb0EEEEDaSZ_S10_EUlSZ_E_NS1_11comp_targetILNS1_3genE10ELNS1_11target_archE1201ELNS1_3gpuE5ELNS1_3repE0EEENS1_30default_config_static_selectorELNS0_4arch9wavefront6targetE1EEEvT1_.kd
    .uniform_work_group_size: 1
    .uses_dynamic_stack: false
    .vgpr_count:     0
    .vgpr_spill_count: 0
    .wavefront_size: 64
  - .agpr_count:     0
    .args:
      - .offset:         0
        .size:           144
        .value_kind:     by_value
    .group_segment_fixed_size: 0
    .kernarg_segment_align: 8
    .kernarg_segment_size: 144
    .language:       OpenCL C
    .language_version:
      - 2
      - 0
    .max_flat_workgroup_size: 256
    .name:           _ZN7rocprim17ROCPRIM_400000_NS6detail17trampoline_kernelINS0_14default_configENS1_27scan_by_key_config_selectorIxxEEZZNS1_16scan_by_key_implILNS1_25lookback_scan_determinismE0ELb0ES3_N6thrust23THRUST_200600_302600_NS6detail15normal_iteratorINS9_10device_ptrIxEEEENS9_18transform_iteratorINS9_6negateIxEESE_NS9_11use_defaultESI_EESE_xNS9_4plusIvEENS9_8equal_toIvEExEE10hipError_tPvRmT2_T3_T4_T5_mT6_T7_P12ihipStream_tbENKUlT_T0_E_clISt17integral_constantIbLb1EES13_IbLb0EEEEDaSZ_S10_EUlSZ_E_NS1_11comp_targetILNS1_3genE5ELNS1_11target_archE942ELNS1_3gpuE9ELNS1_3repE0EEENS1_30default_config_static_selectorELNS0_4arch9wavefront6targetE1EEEvT1_
    .private_segment_fixed_size: 0
    .sgpr_count:     4
    .sgpr_spill_count: 0
    .symbol:         _ZN7rocprim17ROCPRIM_400000_NS6detail17trampoline_kernelINS0_14default_configENS1_27scan_by_key_config_selectorIxxEEZZNS1_16scan_by_key_implILNS1_25lookback_scan_determinismE0ELb0ES3_N6thrust23THRUST_200600_302600_NS6detail15normal_iteratorINS9_10device_ptrIxEEEENS9_18transform_iteratorINS9_6negateIxEESE_NS9_11use_defaultESI_EESE_xNS9_4plusIvEENS9_8equal_toIvEExEE10hipError_tPvRmT2_T3_T4_T5_mT6_T7_P12ihipStream_tbENKUlT_T0_E_clISt17integral_constantIbLb1EES13_IbLb0EEEEDaSZ_S10_EUlSZ_E_NS1_11comp_targetILNS1_3genE5ELNS1_11target_archE942ELNS1_3gpuE9ELNS1_3repE0EEENS1_30default_config_static_selectorELNS0_4arch9wavefront6targetE1EEEvT1_.kd
    .uniform_work_group_size: 1
    .uses_dynamic_stack: false
    .vgpr_count:     0
    .vgpr_spill_count: 0
    .wavefront_size: 64
  - .agpr_count:     0
    .args:
      - .offset:         0
        .size:           144
        .value_kind:     by_value
    .group_segment_fixed_size: 10752
    .kernarg_segment_align: 8
    .kernarg_segment_size: 144
    .language:       OpenCL C
    .language_version:
      - 2
      - 0
    .max_flat_workgroup_size: 64
    .name:           _ZN7rocprim17ROCPRIM_400000_NS6detail17trampoline_kernelINS0_14default_configENS1_27scan_by_key_config_selectorIxxEEZZNS1_16scan_by_key_implILNS1_25lookback_scan_determinismE0ELb0ES3_N6thrust23THRUST_200600_302600_NS6detail15normal_iteratorINS9_10device_ptrIxEEEENS9_18transform_iteratorINS9_6negateIxEESE_NS9_11use_defaultESI_EESE_xNS9_4plusIvEENS9_8equal_toIvEExEE10hipError_tPvRmT2_T3_T4_T5_mT6_T7_P12ihipStream_tbENKUlT_T0_E_clISt17integral_constantIbLb1EES13_IbLb0EEEEDaSZ_S10_EUlSZ_E_NS1_11comp_targetILNS1_3genE4ELNS1_11target_archE910ELNS1_3gpuE8ELNS1_3repE0EEENS1_30default_config_static_selectorELNS0_4arch9wavefront6targetE1EEEvT1_
    .private_segment_fixed_size: 0
    .sgpr_count:     82
    .sgpr_spill_count: 0
    .symbol:         _ZN7rocprim17ROCPRIM_400000_NS6detail17trampoline_kernelINS0_14default_configENS1_27scan_by_key_config_selectorIxxEEZZNS1_16scan_by_key_implILNS1_25lookback_scan_determinismE0ELb0ES3_N6thrust23THRUST_200600_302600_NS6detail15normal_iteratorINS9_10device_ptrIxEEEENS9_18transform_iteratorINS9_6negateIxEESE_NS9_11use_defaultESI_EESE_xNS9_4plusIvEENS9_8equal_toIvEExEE10hipError_tPvRmT2_T3_T4_T5_mT6_T7_P12ihipStream_tbENKUlT_T0_E_clISt17integral_constantIbLb1EES13_IbLb0EEEEDaSZ_S10_EUlSZ_E_NS1_11comp_targetILNS1_3genE4ELNS1_11target_archE910ELNS1_3gpuE8ELNS1_3repE0EEENS1_30default_config_static_selectorELNS0_4arch9wavefront6targetE1EEEvT1_.kd
    .uniform_work_group_size: 1
    .uses_dynamic_stack: false
    .vgpr_count:     128
    .vgpr_spill_count: 0
    .wavefront_size: 64
  - .agpr_count:     0
    .args:
      - .offset:         0
        .size:           144
        .value_kind:     by_value
    .group_segment_fixed_size: 0
    .kernarg_segment_align: 8
    .kernarg_segment_size: 144
    .language:       OpenCL C
    .language_version:
      - 2
      - 0
    .max_flat_workgroup_size: 256
    .name:           _ZN7rocprim17ROCPRIM_400000_NS6detail17trampoline_kernelINS0_14default_configENS1_27scan_by_key_config_selectorIxxEEZZNS1_16scan_by_key_implILNS1_25lookback_scan_determinismE0ELb0ES3_N6thrust23THRUST_200600_302600_NS6detail15normal_iteratorINS9_10device_ptrIxEEEENS9_18transform_iteratorINS9_6negateIxEESE_NS9_11use_defaultESI_EESE_xNS9_4plusIvEENS9_8equal_toIvEExEE10hipError_tPvRmT2_T3_T4_T5_mT6_T7_P12ihipStream_tbENKUlT_T0_E_clISt17integral_constantIbLb1EES13_IbLb0EEEEDaSZ_S10_EUlSZ_E_NS1_11comp_targetILNS1_3genE3ELNS1_11target_archE908ELNS1_3gpuE7ELNS1_3repE0EEENS1_30default_config_static_selectorELNS0_4arch9wavefront6targetE1EEEvT1_
    .private_segment_fixed_size: 0
    .sgpr_count:     4
    .sgpr_spill_count: 0
    .symbol:         _ZN7rocprim17ROCPRIM_400000_NS6detail17trampoline_kernelINS0_14default_configENS1_27scan_by_key_config_selectorIxxEEZZNS1_16scan_by_key_implILNS1_25lookback_scan_determinismE0ELb0ES3_N6thrust23THRUST_200600_302600_NS6detail15normal_iteratorINS9_10device_ptrIxEEEENS9_18transform_iteratorINS9_6negateIxEESE_NS9_11use_defaultESI_EESE_xNS9_4plusIvEENS9_8equal_toIvEExEE10hipError_tPvRmT2_T3_T4_T5_mT6_T7_P12ihipStream_tbENKUlT_T0_E_clISt17integral_constantIbLb1EES13_IbLb0EEEEDaSZ_S10_EUlSZ_E_NS1_11comp_targetILNS1_3genE3ELNS1_11target_archE908ELNS1_3gpuE7ELNS1_3repE0EEENS1_30default_config_static_selectorELNS0_4arch9wavefront6targetE1EEEvT1_.kd
    .uniform_work_group_size: 1
    .uses_dynamic_stack: false
    .vgpr_count:     0
    .vgpr_spill_count: 0
    .wavefront_size: 64
  - .agpr_count:     0
    .args:
      - .offset:         0
        .size:           144
        .value_kind:     by_value
    .group_segment_fixed_size: 0
    .kernarg_segment_align: 8
    .kernarg_segment_size: 144
    .language:       OpenCL C
    .language_version:
      - 2
      - 0
    .max_flat_workgroup_size: 256
    .name:           _ZN7rocprim17ROCPRIM_400000_NS6detail17trampoline_kernelINS0_14default_configENS1_27scan_by_key_config_selectorIxxEEZZNS1_16scan_by_key_implILNS1_25lookback_scan_determinismE0ELb0ES3_N6thrust23THRUST_200600_302600_NS6detail15normal_iteratorINS9_10device_ptrIxEEEENS9_18transform_iteratorINS9_6negateIxEESE_NS9_11use_defaultESI_EESE_xNS9_4plusIvEENS9_8equal_toIvEExEE10hipError_tPvRmT2_T3_T4_T5_mT6_T7_P12ihipStream_tbENKUlT_T0_E_clISt17integral_constantIbLb1EES13_IbLb0EEEEDaSZ_S10_EUlSZ_E_NS1_11comp_targetILNS1_3genE2ELNS1_11target_archE906ELNS1_3gpuE6ELNS1_3repE0EEENS1_30default_config_static_selectorELNS0_4arch9wavefront6targetE1EEEvT1_
    .private_segment_fixed_size: 0
    .sgpr_count:     4
    .sgpr_spill_count: 0
    .symbol:         _ZN7rocprim17ROCPRIM_400000_NS6detail17trampoline_kernelINS0_14default_configENS1_27scan_by_key_config_selectorIxxEEZZNS1_16scan_by_key_implILNS1_25lookback_scan_determinismE0ELb0ES3_N6thrust23THRUST_200600_302600_NS6detail15normal_iteratorINS9_10device_ptrIxEEEENS9_18transform_iteratorINS9_6negateIxEESE_NS9_11use_defaultESI_EESE_xNS9_4plusIvEENS9_8equal_toIvEExEE10hipError_tPvRmT2_T3_T4_T5_mT6_T7_P12ihipStream_tbENKUlT_T0_E_clISt17integral_constantIbLb1EES13_IbLb0EEEEDaSZ_S10_EUlSZ_E_NS1_11comp_targetILNS1_3genE2ELNS1_11target_archE906ELNS1_3gpuE6ELNS1_3repE0EEENS1_30default_config_static_selectorELNS0_4arch9wavefront6targetE1EEEvT1_.kd
    .uniform_work_group_size: 1
    .uses_dynamic_stack: false
    .vgpr_count:     0
    .vgpr_spill_count: 0
    .wavefront_size: 64
  - .agpr_count:     0
    .args:
      - .offset:         0
        .size:           144
        .value_kind:     by_value
    .group_segment_fixed_size: 0
    .kernarg_segment_align: 8
    .kernarg_segment_size: 144
    .language:       OpenCL C
    .language_version:
      - 2
      - 0
    .max_flat_workgroup_size: 256
    .name:           _ZN7rocprim17ROCPRIM_400000_NS6detail17trampoline_kernelINS0_14default_configENS1_27scan_by_key_config_selectorIxxEEZZNS1_16scan_by_key_implILNS1_25lookback_scan_determinismE0ELb0ES3_N6thrust23THRUST_200600_302600_NS6detail15normal_iteratorINS9_10device_ptrIxEEEENS9_18transform_iteratorINS9_6negateIxEESE_NS9_11use_defaultESI_EESE_xNS9_4plusIvEENS9_8equal_toIvEExEE10hipError_tPvRmT2_T3_T4_T5_mT6_T7_P12ihipStream_tbENKUlT_T0_E_clISt17integral_constantIbLb1EES13_IbLb0EEEEDaSZ_S10_EUlSZ_E_NS1_11comp_targetILNS1_3genE10ELNS1_11target_archE1200ELNS1_3gpuE4ELNS1_3repE0EEENS1_30default_config_static_selectorELNS0_4arch9wavefront6targetE1EEEvT1_
    .private_segment_fixed_size: 0
    .sgpr_count:     4
    .sgpr_spill_count: 0
    .symbol:         _ZN7rocprim17ROCPRIM_400000_NS6detail17trampoline_kernelINS0_14default_configENS1_27scan_by_key_config_selectorIxxEEZZNS1_16scan_by_key_implILNS1_25lookback_scan_determinismE0ELb0ES3_N6thrust23THRUST_200600_302600_NS6detail15normal_iteratorINS9_10device_ptrIxEEEENS9_18transform_iteratorINS9_6negateIxEESE_NS9_11use_defaultESI_EESE_xNS9_4plusIvEENS9_8equal_toIvEExEE10hipError_tPvRmT2_T3_T4_T5_mT6_T7_P12ihipStream_tbENKUlT_T0_E_clISt17integral_constantIbLb1EES13_IbLb0EEEEDaSZ_S10_EUlSZ_E_NS1_11comp_targetILNS1_3genE10ELNS1_11target_archE1200ELNS1_3gpuE4ELNS1_3repE0EEENS1_30default_config_static_selectorELNS0_4arch9wavefront6targetE1EEEvT1_.kd
    .uniform_work_group_size: 1
    .uses_dynamic_stack: false
    .vgpr_count:     0
    .vgpr_spill_count: 0
    .wavefront_size: 64
  - .agpr_count:     0
    .args:
      - .offset:         0
        .size:           144
        .value_kind:     by_value
    .group_segment_fixed_size: 0
    .kernarg_segment_align: 8
    .kernarg_segment_size: 144
    .language:       OpenCL C
    .language_version:
      - 2
      - 0
    .max_flat_workgroup_size: 256
    .name:           _ZN7rocprim17ROCPRIM_400000_NS6detail17trampoline_kernelINS0_14default_configENS1_27scan_by_key_config_selectorIxxEEZZNS1_16scan_by_key_implILNS1_25lookback_scan_determinismE0ELb0ES3_N6thrust23THRUST_200600_302600_NS6detail15normal_iteratorINS9_10device_ptrIxEEEENS9_18transform_iteratorINS9_6negateIxEESE_NS9_11use_defaultESI_EESE_xNS9_4plusIvEENS9_8equal_toIvEExEE10hipError_tPvRmT2_T3_T4_T5_mT6_T7_P12ihipStream_tbENKUlT_T0_E_clISt17integral_constantIbLb1EES13_IbLb0EEEEDaSZ_S10_EUlSZ_E_NS1_11comp_targetILNS1_3genE9ELNS1_11target_archE1100ELNS1_3gpuE3ELNS1_3repE0EEENS1_30default_config_static_selectorELNS0_4arch9wavefront6targetE1EEEvT1_
    .private_segment_fixed_size: 0
    .sgpr_count:     4
    .sgpr_spill_count: 0
    .symbol:         _ZN7rocprim17ROCPRIM_400000_NS6detail17trampoline_kernelINS0_14default_configENS1_27scan_by_key_config_selectorIxxEEZZNS1_16scan_by_key_implILNS1_25lookback_scan_determinismE0ELb0ES3_N6thrust23THRUST_200600_302600_NS6detail15normal_iteratorINS9_10device_ptrIxEEEENS9_18transform_iteratorINS9_6negateIxEESE_NS9_11use_defaultESI_EESE_xNS9_4plusIvEENS9_8equal_toIvEExEE10hipError_tPvRmT2_T3_T4_T5_mT6_T7_P12ihipStream_tbENKUlT_T0_E_clISt17integral_constantIbLb1EES13_IbLb0EEEEDaSZ_S10_EUlSZ_E_NS1_11comp_targetILNS1_3genE9ELNS1_11target_archE1100ELNS1_3gpuE3ELNS1_3repE0EEENS1_30default_config_static_selectorELNS0_4arch9wavefront6targetE1EEEvT1_.kd
    .uniform_work_group_size: 1
    .uses_dynamic_stack: false
    .vgpr_count:     0
    .vgpr_spill_count: 0
    .wavefront_size: 64
  - .agpr_count:     0
    .args:
      - .offset:         0
        .size:           144
        .value_kind:     by_value
    .group_segment_fixed_size: 0
    .kernarg_segment_align: 8
    .kernarg_segment_size: 144
    .language:       OpenCL C
    .language_version:
      - 2
      - 0
    .max_flat_workgroup_size: 256
    .name:           _ZN7rocprim17ROCPRIM_400000_NS6detail17trampoline_kernelINS0_14default_configENS1_27scan_by_key_config_selectorIxxEEZZNS1_16scan_by_key_implILNS1_25lookback_scan_determinismE0ELb0ES3_N6thrust23THRUST_200600_302600_NS6detail15normal_iteratorINS9_10device_ptrIxEEEENS9_18transform_iteratorINS9_6negateIxEESE_NS9_11use_defaultESI_EESE_xNS9_4plusIvEENS9_8equal_toIvEExEE10hipError_tPvRmT2_T3_T4_T5_mT6_T7_P12ihipStream_tbENKUlT_T0_E_clISt17integral_constantIbLb1EES13_IbLb0EEEEDaSZ_S10_EUlSZ_E_NS1_11comp_targetILNS1_3genE8ELNS1_11target_archE1030ELNS1_3gpuE2ELNS1_3repE0EEENS1_30default_config_static_selectorELNS0_4arch9wavefront6targetE1EEEvT1_
    .private_segment_fixed_size: 0
    .sgpr_count:     4
    .sgpr_spill_count: 0
    .symbol:         _ZN7rocprim17ROCPRIM_400000_NS6detail17trampoline_kernelINS0_14default_configENS1_27scan_by_key_config_selectorIxxEEZZNS1_16scan_by_key_implILNS1_25lookback_scan_determinismE0ELb0ES3_N6thrust23THRUST_200600_302600_NS6detail15normal_iteratorINS9_10device_ptrIxEEEENS9_18transform_iteratorINS9_6negateIxEESE_NS9_11use_defaultESI_EESE_xNS9_4plusIvEENS9_8equal_toIvEExEE10hipError_tPvRmT2_T3_T4_T5_mT6_T7_P12ihipStream_tbENKUlT_T0_E_clISt17integral_constantIbLb1EES13_IbLb0EEEEDaSZ_S10_EUlSZ_E_NS1_11comp_targetILNS1_3genE8ELNS1_11target_archE1030ELNS1_3gpuE2ELNS1_3repE0EEENS1_30default_config_static_selectorELNS0_4arch9wavefront6targetE1EEEvT1_.kd
    .uniform_work_group_size: 1
    .uses_dynamic_stack: false
    .vgpr_count:     0
    .vgpr_spill_count: 0
    .wavefront_size: 64
  - .agpr_count:     0
    .args:
      - .offset:         0
        .size:           144
        .value_kind:     by_value
    .group_segment_fixed_size: 0
    .kernarg_segment_align: 8
    .kernarg_segment_size: 144
    .language:       OpenCL C
    .language_version:
      - 2
      - 0
    .max_flat_workgroup_size: 256
    .name:           _ZN7rocprim17ROCPRIM_400000_NS6detail17trampoline_kernelINS0_14default_configENS1_27scan_by_key_config_selectorIxxEEZZNS1_16scan_by_key_implILNS1_25lookback_scan_determinismE0ELb0ES3_N6thrust23THRUST_200600_302600_NS6detail15normal_iteratorINS9_10device_ptrIxEEEENS9_18transform_iteratorINS9_6negateIxEESE_NS9_11use_defaultESI_EESE_xNS9_4plusIvEENS9_8equal_toIvEExEE10hipError_tPvRmT2_T3_T4_T5_mT6_T7_P12ihipStream_tbENKUlT_T0_E_clISt17integral_constantIbLb0EES13_IbLb1EEEEDaSZ_S10_EUlSZ_E_NS1_11comp_targetILNS1_3genE0ELNS1_11target_archE4294967295ELNS1_3gpuE0ELNS1_3repE0EEENS1_30default_config_static_selectorELNS0_4arch9wavefront6targetE1EEEvT1_
    .private_segment_fixed_size: 0
    .sgpr_count:     4
    .sgpr_spill_count: 0
    .symbol:         _ZN7rocprim17ROCPRIM_400000_NS6detail17trampoline_kernelINS0_14default_configENS1_27scan_by_key_config_selectorIxxEEZZNS1_16scan_by_key_implILNS1_25lookback_scan_determinismE0ELb0ES3_N6thrust23THRUST_200600_302600_NS6detail15normal_iteratorINS9_10device_ptrIxEEEENS9_18transform_iteratorINS9_6negateIxEESE_NS9_11use_defaultESI_EESE_xNS9_4plusIvEENS9_8equal_toIvEExEE10hipError_tPvRmT2_T3_T4_T5_mT6_T7_P12ihipStream_tbENKUlT_T0_E_clISt17integral_constantIbLb0EES13_IbLb1EEEEDaSZ_S10_EUlSZ_E_NS1_11comp_targetILNS1_3genE0ELNS1_11target_archE4294967295ELNS1_3gpuE0ELNS1_3repE0EEENS1_30default_config_static_selectorELNS0_4arch9wavefront6targetE1EEEvT1_.kd
    .uniform_work_group_size: 1
    .uses_dynamic_stack: false
    .vgpr_count:     0
    .vgpr_spill_count: 0
    .wavefront_size: 64
  - .agpr_count:     0
    .args:
      - .offset:         0
        .size:           144
        .value_kind:     by_value
    .group_segment_fixed_size: 0
    .kernarg_segment_align: 8
    .kernarg_segment_size: 144
    .language:       OpenCL C
    .language_version:
      - 2
      - 0
    .max_flat_workgroup_size: 256
    .name:           _ZN7rocprim17ROCPRIM_400000_NS6detail17trampoline_kernelINS0_14default_configENS1_27scan_by_key_config_selectorIxxEEZZNS1_16scan_by_key_implILNS1_25lookback_scan_determinismE0ELb0ES3_N6thrust23THRUST_200600_302600_NS6detail15normal_iteratorINS9_10device_ptrIxEEEENS9_18transform_iteratorINS9_6negateIxEESE_NS9_11use_defaultESI_EESE_xNS9_4plusIvEENS9_8equal_toIvEExEE10hipError_tPvRmT2_T3_T4_T5_mT6_T7_P12ihipStream_tbENKUlT_T0_E_clISt17integral_constantIbLb0EES13_IbLb1EEEEDaSZ_S10_EUlSZ_E_NS1_11comp_targetILNS1_3genE10ELNS1_11target_archE1201ELNS1_3gpuE5ELNS1_3repE0EEENS1_30default_config_static_selectorELNS0_4arch9wavefront6targetE1EEEvT1_
    .private_segment_fixed_size: 0
    .sgpr_count:     4
    .sgpr_spill_count: 0
    .symbol:         _ZN7rocprim17ROCPRIM_400000_NS6detail17trampoline_kernelINS0_14default_configENS1_27scan_by_key_config_selectorIxxEEZZNS1_16scan_by_key_implILNS1_25lookback_scan_determinismE0ELb0ES3_N6thrust23THRUST_200600_302600_NS6detail15normal_iteratorINS9_10device_ptrIxEEEENS9_18transform_iteratorINS9_6negateIxEESE_NS9_11use_defaultESI_EESE_xNS9_4plusIvEENS9_8equal_toIvEExEE10hipError_tPvRmT2_T3_T4_T5_mT6_T7_P12ihipStream_tbENKUlT_T0_E_clISt17integral_constantIbLb0EES13_IbLb1EEEEDaSZ_S10_EUlSZ_E_NS1_11comp_targetILNS1_3genE10ELNS1_11target_archE1201ELNS1_3gpuE5ELNS1_3repE0EEENS1_30default_config_static_selectorELNS0_4arch9wavefront6targetE1EEEvT1_.kd
    .uniform_work_group_size: 1
    .uses_dynamic_stack: false
    .vgpr_count:     0
    .vgpr_spill_count: 0
    .wavefront_size: 64
  - .agpr_count:     0
    .args:
      - .offset:         0
        .size:           144
        .value_kind:     by_value
    .group_segment_fixed_size: 0
    .kernarg_segment_align: 8
    .kernarg_segment_size: 144
    .language:       OpenCL C
    .language_version:
      - 2
      - 0
    .max_flat_workgroup_size: 256
    .name:           _ZN7rocprim17ROCPRIM_400000_NS6detail17trampoline_kernelINS0_14default_configENS1_27scan_by_key_config_selectorIxxEEZZNS1_16scan_by_key_implILNS1_25lookback_scan_determinismE0ELb0ES3_N6thrust23THRUST_200600_302600_NS6detail15normal_iteratorINS9_10device_ptrIxEEEENS9_18transform_iteratorINS9_6negateIxEESE_NS9_11use_defaultESI_EESE_xNS9_4plusIvEENS9_8equal_toIvEExEE10hipError_tPvRmT2_T3_T4_T5_mT6_T7_P12ihipStream_tbENKUlT_T0_E_clISt17integral_constantIbLb0EES13_IbLb1EEEEDaSZ_S10_EUlSZ_E_NS1_11comp_targetILNS1_3genE5ELNS1_11target_archE942ELNS1_3gpuE9ELNS1_3repE0EEENS1_30default_config_static_selectorELNS0_4arch9wavefront6targetE1EEEvT1_
    .private_segment_fixed_size: 0
    .sgpr_count:     4
    .sgpr_spill_count: 0
    .symbol:         _ZN7rocprim17ROCPRIM_400000_NS6detail17trampoline_kernelINS0_14default_configENS1_27scan_by_key_config_selectorIxxEEZZNS1_16scan_by_key_implILNS1_25lookback_scan_determinismE0ELb0ES3_N6thrust23THRUST_200600_302600_NS6detail15normal_iteratorINS9_10device_ptrIxEEEENS9_18transform_iteratorINS9_6negateIxEESE_NS9_11use_defaultESI_EESE_xNS9_4plusIvEENS9_8equal_toIvEExEE10hipError_tPvRmT2_T3_T4_T5_mT6_T7_P12ihipStream_tbENKUlT_T0_E_clISt17integral_constantIbLb0EES13_IbLb1EEEEDaSZ_S10_EUlSZ_E_NS1_11comp_targetILNS1_3genE5ELNS1_11target_archE942ELNS1_3gpuE9ELNS1_3repE0EEENS1_30default_config_static_selectorELNS0_4arch9wavefront6targetE1EEEvT1_.kd
    .uniform_work_group_size: 1
    .uses_dynamic_stack: false
    .vgpr_count:     0
    .vgpr_spill_count: 0
    .wavefront_size: 64
  - .agpr_count:     0
    .args:
      - .offset:         0
        .size:           144
        .value_kind:     by_value
    .group_segment_fixed_size: 10752
    .kernarg_segment_align: 8
    .kernarg_segment_size: 144
    .language:       OpenCL C
    .language_version:
      - 2
      - 0
    .max_flat_workgroup_size: 64
    .name:           _ZN7rocprim17ROCPRIM_400000_NS6detail17trampoline_kernelINS0_14default_configENS1_27scan_by_key_config_selectorIxxEEZZNS1_16scan_by_key_implILNS1_25lookback_scan_determinismE0ELb0ES3_N6thrust23THRUST_200600_302600_NS6detail15normal_iteratorINS9_10device_ptrIxEEEENS9_18transform_iteratorINS9_6negateIxEESE_NS9_11use_defaultESI_EESE_xNS9_4plusIvEENS9_8equal_toIvEExEE10hipError_tPvRmT2_T3_T4_T5_mT6_T7_P12ihipStream_tbENKUlT_T0_E_clISt17integral_constantIbLb0EES13_IbLb1EEEEDaSZ_S10_EUlSZ_E_NS1_11comp_targetILNS1_3genE4ELNS1_11target_archE910ELNS1_3gpuE8ELNS1_3repE0EEENS1_30default_config_static_selectorELNS0_4arch9wavefront6targetE1EEEvT1_
    .private_segment_fixed_size: 0
    .sgpr_count:     86
    .sgpr_spill_count: 0
    .symbol:         _ZN7rocprim17ROCPRIM_400000_NS6detail17trampoline_kernelINS0_14default_configENS1_27scan_by_key_config_selectorIxxEEZZNS1_16scan_by_key_implILNS1_25lookback_scan_determinismE0ELb0ES3_N6thrust23THRUST_200600_302600_NS6detail15normal_iteratorINS9_10device_ptrIxEEEENS9_18transform_iteratorINS9_6negateIxEESE_NS9_11use_defaultESI_EESE_xNS9_4plusIvEENS9_8equal_toIvEExEE10hipError_tPvRmT2_T3_T4_T5_mT6_T7_P12ihipStream_tbENKUlT_T0_E_clISt17integral_constantIbLb0EES13_IbLb1EEEEDaSZ_S10_EUlSZ_E_NS1_11comp_targetILNS1_3genE4ELNS1_11target_archE910ELNS1_3gpuE8ELNS1_3repE0EEENS1_30default_config_static_selectorELNS0_4arch9wavefront6targetE1EEEvT1_.kd
    .uniform_work_group_size: 1
    .uses_dynamic_stack: false
    .vgpr_count:     128
    .vgpr_spill_count: 0
    .wavefront_size: 64
  - .agpr_count:     0
    .args:
      - .offset:         0
        .size:           144
        .value_kind:     by_value
    .group_segment_fixed_size: 0
    .kernarg_segment_align: 8
    .kernarg_segment_size: 144
    .language:       OpenCL C
    .language_version:
      - 2
      - 0
    .max_flat_workgroup_size: 256
    .name:           _ZN7rocprim17ROCPRIM_400000_NS6detail17trampoline_kernelINS0_14default_configENS1_27scan_by_key_config_selectorIxxEEZZNS1_16scan_by_key_implILNS1_25lookback_scan_determinismE0ELb0ES3_N6thrust23THRUST_200600_302600_NS6detail15normal_iteratorINS9_10device_ptrIxEEEENS9_18transform_iteratorINS9_6negateIxEESE_NS9_11use_defaultESI_EESE_xNS9_4plusIvEENS9_8equal_toIvEExEE10hipError_tPvRmT2_T3_T4_T5_mT6_T7_P12ihipStream_tbENKUlT_T0_E_clISt17integral_constantIbLb0EES13_IbLb1EEEEDaSZ_S10_EUlSZ_E_NS1_11comp_targetILNS1_3genE3ELNS1_11target_archE908ELNS1_3gpuE7ELNS1_3repE0EEENS1_30default_config_static_selectorELNS0_4arch9wavefront6targetE1EEEvT1_
    .private_segment_fixed_size: 0
    .sgpr_count:     4
    .sgpr_spill_count: 0
    .symbol:         _ZN7rocprim17ROCPRIM_400000_NS6detail17trampoline_kernelINS0_14default_configENS1_27scan_by_key_config_selectorIxxEEZZNS1_16scan_by_key_implILNS1_25lookback_scan_determinismE0ELb0ES3_N6thrust23THRUST_200600_302600_NS6detail15normal_iteratorINS9_10device_ptrIxEEEENS9_18transform_iteratorINS9_6negateIxEESE_NS9_11use_defaultESI_EESE_xNS9_4plusIvEENS9_8equal_toIvEExEE10hipError_tPvRmT2_T3_T4_T5_mT6_T7_P12ihipStream_tbENKUlT_T0_E_clISt17integral_constantIbLb0EES13_IbLb1EEEEDaSZ_S10_EUlSZ_E_NS1_11comp_targetILNS1_3genE3ELNS1_11target_archE908ELNS1_3gpuE7ELNS1_3repE0EEENS1_30default_config_static_selectorELNS0_4arch9wavefront6targetE1EEEvT1_.kd
    .uniform_work_group_size: 1
    .uses_dynamic_stack: false
    .vgpr_count:     0
    .vgpr_spill_count: 0
    .wavefront_size: 64
  - .agpr_count:     0
    .args:
      - .offset:         0
        .size:           144
        .value_kind:     by_value
    .group_segment_fixed_size: 0
    .kernarg_segment_align: 8
    .kernarg_segment_size: 144
    .language:       OpenCL C
    .language_version:
      - 2
      - 0
    .max_flat_workgroup_size: 256
    .name:           _ZN7rocprim17ROCPRIM_400000_NS6detail17trampoline_kernelINS0_14default_configENS1_27scan_by_key_config_selectorIxxEEZZNS1_16scan_by_key_implILNS1_25lookback_scan_determinismE0ELb0ES3_N6thrust23THRUST_200600_302600_NS6detail15normal_iteratorINS9_10device_ptrIxEEEENS9_18transform_iteratorINS9_6negateIxEESE_NS9_11use_defaultESI_EESE_xNS9_4plusIvEENS9_8equal_toIvEExEE10hipError_tPvRmT2_T3_T4_T5_mT6_T7_P12ihipStream_tbENKUlT_T0_E_clISt17integral_constantIbLb0EES13_IbLb1EEEEDaSZ_S10_EUlSZ_E_NS1_11comp_targetILNS1_3genE2ELNS1_11target_archE906ELNS1_3gpuE6ELNS1_3repE0EEENS1_30default_config_static_selectorELNS0_4arch9wavefront6targetE1EEEvT1_
    .private_segment_fixed_size: 0
    .sgpr_count:     4
    .sgpr_spill_count: 0
    .symbol:         _ZN7rocprim17ROCPRIM_400000_NS6detail17trampoline_kernelINS0_14default_configENS1_27scan_by_key_config_selectorIxxEEZZNS1_16scan_by_key_implILNS1_25lookback_scan_determinismE0ELb0ES3_N6thrust23THRUST_200600_302600_NS6detail15normal_iteratorINS9_10device_ptrIxEEEENS9_18transform_iteratorINS9_6negateIxEESE_NS9_11use_defaultESI_EESE_xNS9_4plusIvEENS9_8equal_toIvEExEE10hipError_tPvRmT2_T3_T4_T5_mT6_T7_P12ihipStream_tbENKUlT_T0_E_clISt17integral_constantIbLb0EES13_IbLb1EEEEDaSZ_S10_EUlSZ_E_NS1_11comp_targetILNS1_3genE2ELNS1_11target_archE906ELNS1_3gpuE6ELNS1_3repE0EEENS1_30default_config_static_selectorELNS0_4arch9wavefront6targetE1EEEvT1_.kd
    .uniform_work_group_size: 1
    .uses_dynamic_stack: false
    .vgpr_count:     0
    .vgpr_spill_count: 0
    .wavefront_size: 64
  - .agpr_count:     0
    .args:
      - .offset:         0
        .size:           144
        .value_kind:     by_value
    .group_segment_fixed_size: 0
    .kernarg_segment_align: 8
    .kernarg_segment_size: 144
    .language:       OpenCL C
    .language_version:
      - 2
      - 0
    .max_flat_workgroup_size: 256
    .name:           _ZN7rocprim17ROCPRIM_400000_NS6detail17trampoline_kernelINS0_14default_configENS1_27scan_by_key_config_selectorIxxEEZZNS1_16scan_by_key_implILNS1_25lookback_scan_determinismE0ELb0ES3_N6thrust23THRUST_200600_302600_NS6detail15normal_iteratorINS9_10device_ptrIxEEEENS9_18transform_iteratorINS9_6negateIxEESE_NS9_11use_defaultESI_EESE_xNS9_4plusIvEENS9_8equal_toIvEExEE10hipError_tPvRmT2_T3_T4_T5_mT6_T7_P12ihipStream_tbENKUlT_T0_E_clISt17integral_constantIbLb0EES13_IbLb1EEEEDaSZ_S10_EUlSZ_E_NS1_11comp_targetILNS1_3genE10ELNS1_11target_archE1200ELNS1_3gpuE4ELNS1_3repE0EEENS1_30default_config_static_selectorELNS0_4arch9wavefront6targetE1EEEvT1_
    .private_segment_fixed_size: 0
    .sgpr_count:     4
    .sgpr_spill_count: 0
    .symbol:         _ZN7rocprim17ROCPRIM_400000_NS6detail17trampoline_kernelINS0_14default_configENS1_27scan_by_key_config_selectorIxxEEZZNS1_16scan_by_key_implILNS1_25lookback_scan_determinismE0ELb0ES3_N6thrust23THRUST_200600_302600_NS6detail15normal_iteratorINS9_10device_ptrIxEEEENS9_18transform_iteratorINS9_6negateIxEESE_NS9_11use_defaultESI_EESE_xNS9_4plusIvEENS9_8equal_toIvEExEE10hipError_tPvRmT2_T3_T4_T5_mT6_T7_P12ihipStream_tbENKUlT_T0_E_clISt17integral_constantIbLb0EES13_IbLb1EEEEDaSZ_S10_EUlSZ_E_NS1_11comp_targetILNS1_3genE10ELNS1_11target_archE1200ELNS1_3gpuE4ELNS1_3repE0EEENS1_30default_config_static_selectorELNS0_4arch9wavefront6targetE1EEEvT1_.kd
    .uniform_work_group_size: 1
    .uses_dynamic_stack: false
    .vgpr_count:     0
    .vgpr_spill_count: 0
    .wavefront_size: 64
  - .agpr_count:     0
    .args:
      - .offset:         0
        .size:           144
        .value_kind:     by_value
    .group_segment_fixed_size: 0
    .kernarg_segment_align: 8
    .kernarg_segment_size: 144
    .language:       OpenCL C
    .language_version:
      - 2
      - 0
    .max_flat_workgroup_size: 256
    .name:           _ZN7rocprim17ROCPRIM_400000_NS6detail17trampoline_kernelINS0_14default_configENS1_27scan_by_key_config_selectorIxxEEZZNS1_16scan_by_key_implILNS1_25lookback_scan_determinismE0ELb0ES3_N6thrust23THRUST_200600_302600_NS6detail15normal_iteratorINS9_10device_ptrIxEEEENS9_18transform_iteratorINS9_6negateIxEESE_NS9_11use_defaultESI_EESE_xNS9_4plusIvEENS9_8equal_toIvEExEE10hipError_tPvRmT2_T3_T4_T5_mT6_T7_P12ihipStream_tbENKUlT_T0_E_clISt17integral_constantIbLb0EES13_IbLb1EEEEDaSZ_S10_EUlSZ_E_NS1_11comp_targetILNS1_3genE9ELNS1_11target_archE1100ELNS1_3gpuE3ELNS1_3repE0EEENS1_30default_config_static_selectorELNS0_4arch9wavefront6targetE1EEEvT1_
    .private_segment_fixed_size: 0
    .sgpr_count:     4
    .sgpr_spill_count: 0
    .symbol:         _ZN7rocprim17ROCPRIM_400000_NS6detail17trampoline_kernelINS0_14default_configENS1_27scan_by_key_config_selectorIxxEEZZNS1_16scan_by_key_implILNS1_25lookback_scan_determinismE0ELb0ES3_N6thrust23THRUST_200600_302600_NS6detail15normal_iteratorINS9_10device_ptrIxEEEENS9_18transform_iteratorINS9_6negateIxEESE_NS9_11use_defaultESI_EESE_xNS9_4plusIvEENS9_8equal_toIvEExEE10hipError_tPvRmT2_T3_T4_T5_mT6_T7_P12ihipStream_tbENKUlT_T0_E_clISt17integral_constantIbLb0EES13_IbLb1EEEEDaSZ_S10_EUlSZ_E_NS1_11comp_targetILNS1_3genE9ELNS1_11target_archE1100ELNS1_3gpuE3ELNS1_3repE0EEENS1_30default_config_static_selectorELNS0_4arch9wavefront6targetE1EEEvT1_.kd
    .uniform_work_group_size: 1
    .uses_dynamic_stack: false
    .vgpr_count:     0
    .vgpr_spill_count: 0
    .wavefront_size: 64
  - .agpr_count:     0
    .args:
      - .offset:         0
        .size:           144
        .value_kind:     by_value
    .group_segment_fixed_size: 0
    .kernarg_segment_align: 8
    .kernarg_segment_size: 144
    .language:       OpenCL C
    .language_version:
      - 2
      - 0
    .max_flat_workgroup_size: 256
    .name:           _ZN7rocprim17ROCPRIM_400000_NS6detail17trampoline_kernelINS0_14default_configENS1_27scan_by_key_config_selectorIxxEEZZNS1_16scan_by_key_implILNS1_25lookback_scan_determinismE0ELb0ES3_N6thrust23THRUST_200600_302600_NS6detail15normal_iteratorINS9_10device_ptrIxEEEENS9_18transform_iteratorINS9_6negateIxEESE_NS9_11use_defaultESI_EESE_xNS9_4plusIvEENS9_8equal_toIvEExEE10hipError_tPvRmT2_T3_T4_T5_mT6_T7_P12ihipStream_tbENKUlT_T0_E_clISt17integral_constantIbLb0EES13_IbLb1EEEEDaSZ_S10_EUlSZ_E_NS1_11comp_targetILNS1_3genE8ELNS1_11target_archE1030ELNS1_3gpuE2ELNS1_3repE0EEENS1_30default_config_static_selectorELNS0_4arch9wavefront6targetE1EEEvT1_
    .private_segment_fixed_size: 0
    .sgpr_count:     4
    .sgpr_spill_count: 0
    .symbol:         _ZN7rocprim17ROCPRIM_400000_NS6detail17trampoline_kernelINS0_14default_configENS1_27scan_by_key_config_selectorIxxEEZZNS1_16scan_by_key_implILNS1_25lookback_scan_determinismE0ELb0ES3_N6thrust23THRUST_200600_302600_NS6detail15normal_iteratorINS9_10device_ptrIxEEEENS9_18transform_iteratorINS9_6negateIxEESE_NS9_11use_defaultESI_EESE_xNS9_4plusIvEENS9_8equal_toIvEExEE10hipError_tPvRmT2_T3_T4_T5_mT6_T7_P12ihipStream_tbENKUlT_T0_E_clISt17integral_constantIbLb0EES13_IbLb1EEEEDaSZ_S10_EUlSZ_E_NS1_11comp_targetILNS1_3genE8ELNS1_11target_archE1030ELNS1_3gpuE2ELNS1_3repE0EEENS1_30default_config_static_selectorELNS0_4arch9wavefront6targetE1EEEvT1_.kd
    .uniform_work_group_size: 1
    .uses_dynamic_stack: false
    .vgpr_count:     0
    .vgpr_spill_count: 0
    .wavefront_size: 64
  - .agpr_count:     0
    .args:
      - .offset:         0
        .size:           120
        .value_kind:     by_value
    .group_segment_fixed_size: 0
    .kernarg_segment_align: 8
    .kernarg_segment_size: 120
    .language:       OpenCL C
    .language_version:
      - 2
      - 0
    .max_flat_workgroup_size: 256
    .name:           _ZN7rocprim17ROCPRIM_400000_NS6detail17trampoline_kernelINS0_14default_configENS1_27scan_by_key_config_selectorIiiEEZZNS1_16scan_by_key_implILNS1_25lookback_scan_determinismE0ELb0ES3_N6thrust23THRUST_200600_302600_NS6detail15normal_iteratorINS9_10device_ptrIiEEEENS9_18transform_iteratorINS9_6negateIiEESE_NS9_11use_defaultESI_EESE_iNS9_4plusIvEENS9_8equal_toIvEEiEE10hipError_tPvRmT2_T3_T4_T5_mT6_T7_P12ihipStream_tbENKUlT_T0_E_clISt17integral_constantIbLb0EES14_EEDaSZ_S10_EUlSZ_E_NS1_11comp_targetILNS1_3genE0ELNS1_11target_archE4294967295ELNS1_3gpuE0ELNS1_3repE0EEENS1_30default_config_static_selectorELNS0_4arch9wavefront6targetE1EEEvT1_
    .private_segment_fixed_size: 0
    .sgpr_count:     4
    .sgpr_spill_count: 0
    .symbol:         _ZN7rocprim17ROCPRIM_400000_NS6detail17trampoline_kernelINS0_14default_configENS1_27scan_by_key_config_selectorIiiEEZZNS1_16scan_by_key_implILNS1_25lookback_scan_determinismE0ELb0ES3_N6thrust23THRUST_200600_302600_NS6detail15normal_iteratorINS9_10device_ptrIiEEEENS9_18transform_iteratorINS9_6negateIiEESE_NS9_11use_defaultESI_EESE_iNS9_4plusIvEENS9_8equal_toIvEEiEE10hipError_tPvRmT2_T3_T4_T5_mT6_T7_P12ihipStream_tbENKUlT_T0_E_clISt17integral_constantIbLb0EES14_EEDaSZ_S10_EUlSZ_E_NS1_11comp_targetILNS1_3genE0ELNS1_11target_archE4294967295ELNS1_3gpuE0ELNS1_3repE0EEENS1_30default_config_static_selectorELNS0_4arch9wavefront6targetE1EEEvT1_.kd
    .uniform_work_group_size: 1
    .uses_dynamic_stack: false
    .vgpr_count:     0
    .vgpr_spill_count: 0
    .wavefront_size: 64
  - .agpr_count:     0
    .args:
      - .offset:         0
        .size:           120
        .value_kind:     by_value
    .group_segment_fixed_size: 0
    .kernarg_segment_align: 8
    .kernarg_segment_size: 120
    .language:       OpenCL C
    .language_version:
      - 2
      - 0
    .max_flat_workgroup_size: 256
    .name:           _ZN7rocprim17ROCPRIM_400000_NS6detail17trampoline_kernelINS0_14default_configENS1_27scan_by_key_config_selectorIiiEEZZNS1_16scan_by_key_implILNS1_25lookback_scan_determinismE0ELb0ES3_N6thrust23THRUST_200600_302600_NS6detail15normal_iteratorINS9_10device_ptrIiEEEENS9_18transform_iteratorINS9_6negateIiEESE_NS9_11use_defaultESI_EESE_iNS9_4plusIvEENS9_8equal_toIvEEiEE10hipError_tPvRmT2_T3_T4_T5_mT6_T7_P12ihipStream_tbENKUlT_T0_E_clISt17integral_constantIbLb0EES14_EEDaSZ_S10_EUlSZ_E_NS1_11comp_targetILNS1_3genE10ELNS1_11target_archE1201ELNS1_3gpuE5ELNS1_3repE0EEENS1_30default_config_static_selectorELNS0_4arch9wavefront6targetE1EEEvT1_
    .private_segment_fixed_size: 0
    .sgpr_count:     4
    .sgpr_spill_count: 0
    .symbol:         _ZN7rocprim17ROCPRIM_400000_NS6detail17trampoline_kernelINS0_14default_configENS1_27scan_by_key_config_selectorIiiEEZZNS1_16scan_by_key_implILNS1_25lookback_scan_determinismE0ELb0ES3_N6thrust23THRUST_200600_302600_NS6detail15normal_iteratorINS9_10device_ptrIiEEEENS9_18transform_iteratorINS9_6negateIiEESE_NS9_11use_defaultESI_EESE_iNS9_4plusIvEENS9_8equal_toIvEEiEE10hipError_tPvRmT2_T3_T4_T5_mT6_T7_P12ihipStream_tbENKUlT_T0_E_clISt17integral_constantIbLb0EES14_EEDaSZ_S10_EUlSZ_E_NS1_11comp_targetILNS1_3genE10ELNS1_11target_archE1201ELNS1_3gpuE5ELNS1_3repE0EEENS1_30default_config_static_selectorELNS0_4arch9wavefront6targetE1EEEvT1_.kd
    .uniform_work_group_size: 1
    .uses_dynamic_stack: false
    .vgpr_count:     0
    .vgpr_spill_count: 0
    .wavefront_size: 64
  - .agpr_count:     0
    .args:
      - .offset:         0
        .size:           120
        .value_kind:     by_value
    .group_segment_fixed_size: 0
    .kernarg_segment_align: 8
    .kernarg_segment_size: 120
    .language:       OpenCL C
    .language_version:
      - 2
      - 0
    .max_flat_workgroup_size: 256
    .name:           _ZN7rocprim17ROCPRIM_400000_NS6detail17trampoline_kernelINS0_14default_configENS1_27scan_by_key_config_selectorIiiEEZZNS1_16scan_by_key_implILNS1_25lookback_scan_determinismE0ELb0ES3_N6thrust23THRUST_200600_302600_NS6detail15normal_iteratorINS9_10device_ptrIiEEEENS9_18transform_iteratorINS9_6negateIiEESE_NS9_11use_defaultESI_EESE_iNS9_4plusIvEENS9_8equal_toIvEEiEE10hipError_tPvRmT2_T3_T4_T5_mT6_T7_P12ihipStream_tbENKUlT_T0_E_clISt17integral_constantIbLb0EES14_EEDaSZ_S10_EUlSZ_E_NS1_11comp_targetILNS1_3genE5ELNS1_11target_archE942ELNS1_3gpuE9ELNS1_3repE0EEENS1_30default_config_static_selectorELNS0_4arch9wavefront6targetE1EEEvT1_
    .private_segment_fixed_size: 0
    .sgpr_count:     4
    .sgpr_spill_count: 0
    .symbol:         _ZN7rocprim17ROCPRIM_400000_NS6detail17trampoline_kernelINS0_14default_configENS1_27scan_by_key_config_selectorIiiEEZZNS1_16scan_by_key_implILNS1_25lookback_scan_determinismE0ELb0ES3_N6thrust23THRUST_200600_302600_NS6detail15normal_iteratorINS9_10device_ptrIiEEEENS9_18transform_iteratorINS9_6negateIiEESE_NS9_11use_defaultESI_EESE_iNS9_4plusIvEENS9_8equal_toIvEEiEE10hipError_tPvRmT2_T3_T4_T5_mT6_T7_P12ihipStream_tbENKUlT_T0_E_clISt17integral_constantIbLb0EES14_EEDaSZ_S10_EUlSZ_E_NS1_11comp_targetILNS1_3genE5ELNS1_11target_archE942ELNS1_3gpuE9ELNS1_3repE0EEENS1_30default_config_static_selectorELNS0_4arch9wavefront6targetE1EEEvT1_.kd
    .uniform_work_group_size: 1
    .uses_dynamic_stack: false
    .vgpr_count:     0
    .vgpr_spill_count: 0
    .wavefront_size: 64
  - .agpr_count:     0
    .args:
      - .offset:         0
        .size:           120
        .value_kind:     by_value
    .group_segment_fixed_size: 16384
    .kernarg_segment_align: 8
    .kernarg_segment_size: 120
    .language:       OpenCL C
    .language_version:
      - 2
      - 0
    .max_flat_workgroup_size: 256
    .name:           _ZN7rocprim17ROCPRIM_400000_NS6detail17trampoline_kernelINS0_14default_configENS1_27scan_by_key_config_selectorIiiEEZZNS1_16scan_by_key_implILNS1_25lookback_scan_determinismE0ELb0ES3_N6thrust23THRUST_200600_302600_NS6detail15normal_iteratorINS9_10device_ptrIiEEEENS9_18transform_iteratorINS9_6negateIiEESE_NS9_11use_defaultESI_EESE_iNS9_4plusIvEENS9_8equal_toIvEEiEE10hipError_tPvRmT2_T3_T4_T5_mT6_T7_P12ihipStream_tbENKUlT_T0_E_clISt17integral_constantIbLb0EES14_EEDaSZ_S10_EUlSZ_E_NS1_11comp_targetILNS1_3genE4ELNS1_11target_archE910ELNS1_3gpuE8ELNS1_3repE0EEENS1_30default_config_static_selectorELNS0_4arch9wavefront6targetE1EEEvT1_
    .private_segment_fixed_size: 0
    .sgpr_count:     66
    .sgpr_spill_count: 0
    .symbol:         _ZN7rocprim17ROCPRIM_400000_NS6detail17trampoline_kernelINS0_14default_configENS1_27scan_by_key_config_selectorIiiEEZZNS1_16scan_by_key_implILNS1_25lookback_scan_determinismE0ELb0ES3_N6thrust23THRUST_200600_302600_NS6detail15normal_iteratorINS9_10device_ptrIiEEEENS9_18transform_iteratorINS9_6negateIiEESE_NS9_11use_defaultESI_EESE_iNS9_4plusIvEENS9_8equal_toIvEEiEE10hipError_tPvRmT2_T3_T4_T5_mT6_T7_P12ihipStream_tbENKUlT_T0_E_clISt17integral_constantIbLb0EES14_EEDaSZ_S10_EUlSZ_E_NS1_11comp_targetILNS1_3genE4ELNS1_11target_archE910ELNS1_3gpuE8ELNS1_3repE0EEENS1_30default_config_static_selectorELNS0_4arch9wavefront6targetE1EEEvT1_.kd
    .uniform_work_group_size: 1
    .uses_dynamic_stack: false
    .vgpr_count:     65
    .vgpr_spill_count: 0
    .wavefront_size: 64
  - .agpr_count:     0
    .args:
      - .offset:         0
        .size:           120
        .value_kind:     by_value
    .group_segment_fixed_size: 0
    .kernarg_segment_align: 8
    .kernarg_segment_size: 120
    .language:       OpenCL C
    .language_version:
      - 2
      - 0
    .max_flat_workgroup_size: 256
    .name:           _ZN7rocprim17ROCPRIM_400000_NS6detail17trampoline_kernelINS0_14default_configENS1_27scan_by_key_config_selectorIiiEEZZNS1_16scan_by_key_implILNS1_25lookback_scan_determinismE0ELb0ES3_N6thrust23THRUST_200600_302600_NS6detail15normal_iteratorINS9_10device_ptrIiEEEENS9_18transform_iteratorINS9_6negateIiEESE_NS9_11use_defaultESI_EESE_iNS9_4plusIvEENS9_8equal_toIvEEiEE10hipError_tPvRmT2_T3_T4_T5_mT6_T7_P12ihipStream_tbENKUlT_T0_E_clISt17integral_constantIbLb0EES14_EEDaSZ_S10_EUlSZ_E_NS1_11comp_targetILNS1_3genE3ELNS1_11target_archE908ELNS1_3gpuE7ELNS1_3repE0EEENS1_30default_config_static_selectorELNS0_4arch9wavefront6targetE1EEEvT1_
    .private_segment_fixed_size: 0
    .sgpr_count:     4
    .sgpr_spill_count: 0
    .symbol:         _ZN7rocprim17ROCPRIM_400000_NS6detail17trampoline_kernelINS0_14default_configENS1_27scan_by_key_config_selectorIiiEEZZNS1_16scan_by_key_implILNS1_25lookback_scan_determinismE0ELb0ES3_N6thrust23THRUST_200600_302600_NS6detail15normal_iteratorINS9_10device_ptrIiEEEENS9_18transform_iteratorINS9_6negateIiEESE_NS9_11use_defaultESI_EESE_iNS9_4plusIvEENS9_8equal_toIvEEiEE10hipError_tPvRmT2_T3_T4_T5_mT6_T7_P12ihipStream_tbENKUlT_T0_E_clISt17integral_constantIbLb0EES14_EEDaSZ_S10_EUlSZ_E_NS1_11comp_targetILNS1_3genE3ELNS1_11target_archE908ELNS1_3gpuE7ELNS1_3repE0EEENS1_30default_config_static_selectorELNS0_4arch9wavefront6targetE1EEEvT1_.kd
    .uniform_work_group_size: 1
    .uses_dynamic_stack: false
    .vgpr_count:     0
    .vgpr_spill_count: 0
    .wavefront_size: 64
  - .agpr_count:     0
    .args:
      - .offset:         0
        .size:           120
        .value_kind:     by_value
    .group_segment_fixed_size: 0
    .kernarg_segment_align: 8
    .kernarg_segment_size: 120
    .language:       OpenCL C
    .language_version:
      - 2
      - 0
    .max_flat_workgroup_size: 256
    .name:           _ZN7rocprim17ROCPRIM_400000_NS6detail17trampoline_kernelINS0_14default_configENS1_27scan_by_key_config_selectorIiiEEZZNS1_16scan_by_key_implILNS1_25lookback_scan_determinismE0ELb0ES3_N6thrust23THRUST_200600_302600_NS6detail15normal_iteratorINS9_10device_ptrIiEEEENS9_18transform_iteratorINS9_6negateIiEESE_NS9_11use_defaultESI_EESE_iNS9_4plusIvEENS9_8equal_toIvEEiEE10hipError_tPvRmT2_T3_T4_T5_mT6_T7_P12ihipStream_tbENKUlT_T0_E_clISt17integral_constantIbLb0EES14_EEDaSZ_S10_EUlSZ_E_NS1_11comp_targetILNS1_3genE2ELNS1_11target_archE906ELNS1_3gpuE6ELNS1_3repE0EEENS1_30default_config_static_selectorELNS0_4arch9wavefront6targetE1EEEvT1_
    .private_segment_fixed_size: 0
    .sgpr_count:     4
    .sgpr_spill_count: 0
    .symbol:         _ZN7rocprim17ROCPRIM_400000_NS6detail17trampoline_kernelINS0_14default_configENS1_27scan_by_key_config_selectorIiiEEZZNS1_16scan_by_key_implILNS1_25lookback_scan_determinismE0ELb0ES3_N6thrust23THRUST_200600_302600_NS6detail15normal_iteratorINS9_10device_ptrIiEEEENS9_18transform_iteratorINS9_6negateIiEESE_NS9_11use_defaultESI_EESE_iNS9_4plusIvEENS9_8equal_toIvEEiEE10hipError_tPvRmT2_T3_T4_T5_mT6_T7_P12ihipStream_tbENKUlT_T0_E_clISt17integral_constantIbLb0EES14_EEDaSZ_S10_EUlSZ_E_NS1_11comp_targetILNS1_3genE2ELNS1_11target_archE906ELNS1_3gpuE6ELNS1_3repE0EEENS1_30default_config_static_selectorELNS0_4arch9wavefront6targetE1EEEvT1_.kd
    .uniform_work_group_size: 1
    .uses_dynamic_stack: false
    .vgpr_count:     0
    .vgpr_spill_count: 0
    .wavefront_size: 64
  - .agpr_count:     0
    .args:
      - .offset:         0
        .size:           120
        .value_kind:     by_value
    .group_segment_fixed_size: 0
    .kernarg_segment_align: 8
    .kernarg_segment_size: 120
    .language:       OpenCL C
    .language_version:
      - 2
      - 0
    .max_flat_workgroup_size: 256
    .name:           _ZN7rocprim17ROCPRIM_400000_NS6detail17trampoline_kernelINS0_14default_configENS1_27scan_by_key_config_selectorIiiEEZZNS1_16scan_by_key_implILNS1_25lookback_scan_determinismE0ELb0ES3_N6thrust23THRUST_200600_302600_NS6detail15normal_iteratorINS9_10device_ptrIiEEEENS9_18transform_iteratorINS9_6negateIiEESE_NS9_11use_defaultESI_EESE_iNS9_4plusIvEENS9_8equal_toIvEEiEE10hipError_tPvRmT2_T3_T4_T5_mT6_T7_P12ihipStream_tbENKUlT_T0_E_clISt17integral_constantIbLb0EES14_EEDaSZ_S10_EUlSZ_E_NS1_11comp_targetILNS1_3genE10ELNS1_11target_archE1200ELNS1_3gpuE4ELNS1_3repE0EEENS1_30default_config_static_selectorELNS0_4arch9wavefront6targetE1EEEvT1_
    .private_segment_fixed_size: 0
    .sgpr_count:     4
    .sgpr_spill_count: 0
    .symbol:         _ZN7rocprim17ROCPRIM_400000_NS6detail17trampoline_kernelINS0_14default_configENS1_27scan_by_key_config_selectorIiiEEZZNS1_16scan_by_key_implILNS1_25lookback_scan_determinismE0ELb0ES3_N6thrust23THRUST_200600_302600_NS6detail15normal_iteratorINS9_10device_ptrIiEEEENS9_18transform_iteratorINS9_6negateIiEESE_NS9_11use_defaultESI_EESE_iNS9_4plusIvEENS9_8equal_toIvEEiEE10hipError_tPvRmT2_T3_T4_T5_mT6_T7_P12ihipStream_tbENKUlT_T0_E_clISt17integral_constantIbLb0EES14_EEDaSZ_S10_EUlSZ_E_NS1_11comp_targetILNS1_3genE10ELNS1_11target_archE1200ELNS1_3gpuE4ELNS1_3repE0EEENS1_30default_config_static_selectorELNS0_4arch9wavefront6targetE1EEEvT1_.kd
    .uniform_work_group_size: 1
    .uses_dynamic_stack: false
    .vgpr_count:     0
    .vgpr_spill_count: 0
    .wavefront_size: 64
  - .agpr_count:     0
    .args:
      - .offset:         0
        .size:           120
        .value_kind:     by_value
    .group_segment_fixed_size: 0
    .kernarg_segment_align: 8
    .kernarg_segment_size: 120
    .language:       OpenCL C
    .language_version:
      - 2
      - 0
    .max_flat_workgroup_size: 256
    .name:           _ZN7rocprim17ROCPRIM_400000_NS6detail17trampoline_kernelINS0_14default_configENS1_27scan_by_key_config_selectorIiiEEZZNS1_16scan_by_key_implILNS1_25lookback_scan_determinismE0ELb0ES3_N6thrust23THRUST_200600_302600_NS6detail15normal_iteratorINS9_10device_ptrIiEEEENS9_18transform_iteratorINS9_6negateIiEESE_NS9_11use_defaultESI_EESE_iNS9_4plusIvEENS9_8equal_toIvEEiEE10hipError_tPvRmT2_T3_T4_T5_mT6_T7_P12ihipStream_tbENKUlT_T0_E_clISt17integral_constantIbLb0EES14_EEDaSZ_S10_EUlSZ_E_NS1_11comp_targetILNS1_3genE9ELNS1_11target_archE1100ELNS1_3gpuE3ELNS1_3repE0EEENS1_30default_config_static_selectorELNS0_4arch9wavefront6targetE1EEEvT1_
    .private_segment_fixed_size: 0
    .sgpr_count:     4
    .sgpr_spill_count: 0
    .symbol:         _ZN7rocprim17ROCPRIM_400000_NS6detail17trampoline_kernelINS0_14default_configENS1_27scan_by_key_config_selectorIiiEEZZNS1_16scan_by_key_implILNS1_25lookback_scan_determinismE0ELb0ES3_N6thrust23THRUST_200600_302600_NS6detail15normal_iteratorINS9_10device_ptrIiEEEENS9_18transform_iteratorINS9_6negateIiEESE_NS9_11use_defaultESI_EESE_iNS9_4plusIvEENS9_8equal_toIvEEiEE10hipError_tPvRmT2_T3_T4_T5_mT6_T7_P12ihipStream_tbENKUlT_T0_E_clISt17integral_constantIbLb0EES14_EEDaSZ_S10_EUlSZ_E_NS1_11comp_targetILNS1_3genE9ELNS1_11target_archE1100ELNS1_3gpuE3ELNS1_3repE0EEENS1_30default_config_static_selectorELNS0_4arch9wavefront6targetE1EEEvT1_.kd
    .uniform_work_group_size: 1
    .uses_dynamic_stack: false
    .vgpr_count:     0
    .vgpr_spill_count: 0
    .wavefront_size: 64
  - .agpr_count:     0
    .args:
      - .offset:         0
        .size:           120
        .value_kind:     by_value
    .group_segment_fixed_size: 0
    .kernarg_segment_align: 8
    .kernarg_segment_size: 120
    .language:       OpenCL C
    .language_version:
      - 2
      - 0
    .max_flat_workgroup_size: 256
    .name:           _ZN7rocprim17ROCPRIM_400000_NS6detail17trampoline_kernelINS0_14default_configENS1_27scan_by_key_config_selectorIiiEEZZNS1_16scan_by_key_implILNS1_25lookback_scan_determinismE0ELb0ES3_N6thrust23THRUST_200600_302600_NS6detail15normal_iteratorINS9_10device_ptrIiEEEENS9_18transform_iteratorINS9_6negateIiEESE_NS9_11use_defaultESI_EESE_iNS9_4plusIvEENS9_8equal_toIvEEiEE10hipError_tPvRmT2_T3_T4_T5_mT6_T7_P12ihipStream_tbENKUlT_T0_E_clISt17integral_constantIbLb0EES14_EEDaSZ_S10_EUlSZ_E_NS1_11comp_targetILNS1_3genE8ELNS1_11target_archE1030ELNS1_3gpuE2ELNS1_3repE0EEENS1_30default_config_static_selectorELNS0_4arch9wavefront6targetE1EEEvT1_
    .private_segment_fixed_size: 0
    .sgpr_count:     4
    .sgpr_spill_count: 0
    .symbol:         _ZN7rocprim17ROCPRIM_400000_NS6detail17trampoline_kernelINS0_14default_configENS1_27scan_by_key_config_selectorIiiEEZZNS1_16scan_by_key_implILNS1_25lookback_scan_determinismE0ELb0ES3_N6thrust23THRUST_200600_302600_NS6detail15normal_iteratorINS9_10device_ptrIiEEEENS9_18transform_iteratorINS9_6negateIiEESE_NS9_11use_defaultESI_EESE_iNS9_4plusIvEENS9_8equal_toIvEEiEE10hipError_tPvRmT2_T3_T4_T5_mT6_T7_P12ihipStream_tbENKUlT_T0_E_clISt17integral_constantIbLb0EES14_EEDaSZ_S10_EUlSZ_E_NS1_11comp_targetILNS1_3genE8ELNS1_11target_archE1030ELNS1_3gpuE2ELNS1_3repE0EEENS1_30default_config_static_selectorELNS0_4arch9wavefront6targetE1EEEvT1_.kd
    .uniform_work_group_size: 1
    .uses_dynamic_stack: false
    .vgpr_count:     0
    .vgpr_spill_count: 0
    .wavefront_size: 64
  - .agpr_count:     0
    .args:
      - .offset:         0
        .size:           120
        .value_kind:     by_value
    .group_segment_fixed_size: 0
    .kernarg_segment_align: 8
    .kernarg_segment_size: 120
    .language:       OpenCL C
    .language_version:
      - 2
      - 0
    .max_flat_workgroup_size: 256
    .name:           _ZN7rocprim17ROCPRIM_400000_NS6detail17trampoline_kernelINS0_14default_configENS1_27scan_by_key_config_selectorIiiEEZZNS1_16scan_by_key_implILNS1_25lookback_scan_determinismE0ELb0ES3_N6thrust23THRUST_200600_302600_NS6detail15normal_iteratorINS9_10device_ptrIiEEEENS9_18transform_iteratorINS9_6negateIiEESE_NS9_11use_defaultESI_EESE_iNS9_4plusIvEENS9_8equal_toIvEEiEE10hipError_tPvRmT2_T3_T4_T5_mT6_T7_P12ihipStream_tbENKUlT_T0_E_clISt17integral_constantIbLb1EES14_EEDaSZ_S10_EUlSZ_E_NS1_11comp_targetILNS1_3genE0ELNS1_11target_archE4294967295ELNS1_3gpuE0ELNS1_3repE0EEENS1_30default_config_static_selectorELNS0_4arch9wavefront6targetE1EEEvT1_
    .private_segment_fixed_size: 0
    .sgpr_count:     4
    .sgpr_spill_count: 0
    .symbol:         _ZN7rocprim17ROCPRIM_400000_NS6detail17trampoline_kernelINS0_14default_configENS1_27scan_by_key_config_selectorIiiEEZZNS1_16scan_by_key_implILNS1_25lookback_scan_determinismE0ELb0ES3_N6thrust23THRUST_200600_302600_NS6detail15normal_iteratorINS9_10device_ptrIiEEEENS9_18transform_iteratorINS9_6negateIiEESE_NS9_11use_defaultESI_EESE_iNS9_4plusIvEENS9_8equal_toIvEEiEE10hipError_tPvRmT2_T3_T4_T5_mT6_T7_P12ihipStream_tbENKUlT_T0_E_clISt17integral_constantIbLb1EES14_EEDaSZ_S10_EUlSZ_E_NS1_11comp_targetILNS1_3genE0ELNS1_11target_archE4294967295ELNS1_3gpuE0ELNS1_3repE0EEENS1_30default_config_static_selectorELNS0_4arch9wavefront6targetE1EEEvT1_.kd
    .uniform_work_group_size: 1
    .uses_dynamic_stack: false
    .vgpr_count:     0
    .vgpr_spill_count: 0
    .wavefront_size: 64
  - .agpr_count:     0
    .args:
      - .offset:         0
        .size:           120
        .value_kind:     by_value
    .group_segment_fixed_size: 0
    .kernarg_segment_align: 8
    .kernarg_segment_size: 120
    .language:       OpenCL C
    .language_version:
      - 2
      - 0
    .max_flat_workgroup_size: 256
    .name:           _ZN7rocprim17ROCPRIM_400000_NS6detail17trampoline_kernelINS0_14default_configENS1_27scan_by_key_config_selectorIiiEEZZNS1_16scan_by_key_implILNS1_25lookback_scan_determinismE0ELb0ES3_N6thrust23THRUST_200600_302600_NS6detail15normal_iteratorINS9_10device_ptrIiEEEENS9_18transform_iteratorINS9_6negateIiEESE_NS9_11use_defaultESI_EESE_iNS9_4plusIvEENS9_8equal_toIvEEiEE10hipError_tPvRmT2_T3_T4_T5_mT6_T7_P12ihipStream_tbENKUlT_T0_E_clISt17integral_constantIbLb1EES14_EEDaSZ_S10_EUlSZ_E_NS1_11comp_targetILNS1_3genE10ELNS1_11target_archE1201ELNS1_3gpuE5ELNS1_3repE0EEENS1_30default_config_static_selectorELNS0_4arch9wavefront6targetE1EEEvT1_
    .private_segment_fixed_size: 0
    .sgpr_count:     4
    .sgpr_spill_count: 0
    .symbol:         _ZN7rocprim17ROCPRIM_400000_NS6detail17trampoline_kernelINS0_14default_configENS1_27scan_by_key_config_selectorIiiEEZZNS1_16scan_by_key_implILNS1_25lookback_scan_determinismE0ELb0ES3_N6thrust23THRUST_200600_302600_NS6detail15normal_iteratorINS9_10device_ptrIiEEEENS9_18transform_iteratorINS9_6negateIiEESE_NS9_11use_defaultESI_EESE_iNS9_4plusIvEENS9_8equal_toIvEEiEE10hipError_tPvRmT2_T3_T4_T5_mT6_T7_P12ihipStream_tbENKUlT_T0_E_clISt17integral_constantIbLb1EES14_EEDaSZ_S10_EUlSZ_E_NS1_11comp_targetILNS1_3genE10ELNS1_11target_archE1201ELNS1_3gpuE5ELNS1_3repE0EEENS1_30default_config_static_selectorELNS0_4arch9wavefront6targetE1EEEvT1_.kd
    .uniform_work_group_size: 1
    .uses_dynamic_stack: false
    .vgpr_count:     0
    .vgpr_spill_count: 0
    .wavefront_size: 64
  - .agpr_count:     0
    .args:
      - .offset:         0
        .size:           120
        .value_kind:     by_value
    .group_segment_fixed_size: 0
    .kernarg_segment_align: 8
    .kernarg_segment_size: 120
    .language:       OpenCL C
    .language_version:
      - 2
      - 0
    .max_flat_workgroup_size: 256
    .name:           _ZN7rocprim17ROCPRIM_400000_NS6detail17trampoline_kernelINS0_14default_configENS1_27scan_by_key_config_selectorIiiEEZZNS1_16scan_by_key_implILNS1_25lookback_scan_determinismE0ELb0ES3_N6thrust23THRUST_200600_302600_NS6detail15normal_iteratorINS9_10device_ptrIiEEEENS9_18transform_iteratorINS9_6negateIiEESE_NS9_11use_defaultESI_EESE_iNS9_4plusIvEENS9_8equal_toIvEEiEE10hipError_tPvRmT2_T3_T4_T5_mT6_T7_P12ihipStream_tbENKUlT_T0_E_clISt17integral_constantIbLb1EES14_EEDaSZ_S10_EUlSZ_E_NS1_11comp_targetILNS1_3genE5ELNS1_11target_archE942ELNS1_3gpuE9ELNS1_3repE0EEENS1_30default_config_static_selectorELNS0_4arch9wavefront6targetE1EEEvT1_
    .private_segment_fixed_size: 0
    .sgpr_count:     4
    .sgpr_spill_count: 0
    .symbol:         _ZN7rocprim17ROCPRIM_400000_NS6detail17trampoline_kernelINS0_14default_configENS1_27scan_by_key_config_selectorIiiEEZZNS1_16scan_by_key_implILNS1_25lookback_scan_determinismE0ELb0ES3_N6thrust23THRUST_200600_302600_NS6detail15normal_iteratorINS9_10device_ptrIiEEEENS9_18transform_iteratorINS9_6negateIiEESE_NS9_11use_defaultESI_EESE_iNS9_4plusIvEENS9_8equal_toIvEEiEE10hipError_tPvRmT2_T3_T4_T5_mT6_T7_P12ihipStream_tbENKUlT_T0_E_clISt17integral_constantIbLb1EES14_EEDaSZ_S10_EUlSZ_E_NS1_11comp_targetILNS1_3genE5ELNS1_11target_archE942ELNS1_3gpuE9ELNS1_3repE0EEENS1_30default_config_static_selectorELNS0_4arch9wavefront6targetE1EEEvT1_.kd
    .uniform_work_group_size: 1
    .uses_dynamic_stack: false
    .vgpr_count:     0
    .vgpr_spill_count: 0
    .wavefront_size: 64
  - .agpr_count:     0
    .args:
      - .offset:         0
        .size:           120
        .value_kind:     by_value
    .group_segment_fixed_size: 16384
    .kernarg_segment_align: 8
    .kernarg_segment_size: 120
    .language:       OpenCL C
    .language_version:
      - 2
      - 0
    .max_flat_workgroup_size: 256
    .name:           _ZN7rocprim17ROCPRIM_400000_NS6detail17trampoline_kernelINS0_14default_configENS1_27scan_by_key_config_selectorIiiEEZZNS1_16scan_by_key_implILNS1_25lookback_scan_determinismE0ELb0ES3_N6thrust23THRUST_200600_302600_NS6detail15normal_iteratorINS9_10device_ptrIiEEEENS9_18transform_iteratorINS9_6negateIiEESE_NS9_11use_defaultESI_EESE_iNS9_4plusIvEENS9_8equal_toIvEEiEE10hipError_tPvRmT2_T3_T4_T5_mT6_T7_P12ihipStream_tbENKUlT_T0_E_clISt17integral_constantIbLb1EES14_EEDaSZ_S10_EUlSZ_E_NS1_11comp_targetILNS1_3genE4ELNS1_11target_archE910ELNS1_3gpuE8ELNS1_3repE0EEENS1_30default_config_static_selectorELNS0_4arch9wavefront6targetE1EEEvT1_
    .private_segment_fixed_size: 0
    .sgpr_count:     69
    .sgpr_spill_count: 0
    .symbol:         _ZN7rocprim17ROCPRIM_400000_NS6detail17trampoline_kernelINS0_14default_configENS1_27scan_by_key_config_selectorIiiEEZZNS1_16scan_by_key_implILNS1_25lookback_scan_determinismE0ELb0ES3_N6thrust23THRUST_200600_302600_NS6detail15normal_iteratorINS9_10device_ptrIiEEEENS9_18transform_iteratorINS9_6negateIiEESE_NS9_11use_defaultESI_EESE_iNS9_4plusIvEENS9_8equal_toIvEEiEE10hipError_tPvRmT2_T3_T4_T5_mT6_T7_P12ihipStream_tbENKUlT_T0_E_clISt17integral_constantIbLb1EES14_EEDaSZ_S10_EUlSZ_E_NS1_11comp_targetILNS1_3genE4ELNS1_11target_archE910ELNS1_3gpuE8ELNS1_3repE0EEENS1_30default_config_static_selectorELNS0_4arch9wavefront6targetE1EEEvT1_.kd
    .uniform_work_group_size: 1
    .uses_dynamic_stack: false
    .vgpr_count:     65
    .vgpr_spill_count: 0
    .wavefront_size: 64
  - .agpr_count:     0
    .args:
      - .offset:         0
        .size:           120
        .value_kind:     by_value
    .group_segment_fixed_size: 0
    .kernarg_segment_align: 8
    .kernarg_segment_size: 120
    .language:       OpenCL C
    .language_version:
      - 2
      - 0
    .max_flat_workgroup_size: 256
    .name:           _ZN7rocprim17ROCPRIM_400000_NS6detail17trampoline_kernelINS0_14default_configENS1_27scan_by_key_config_selectorIiiEEZZNS1_16scan_by_key_implILNS1_25lookback_scan_determinismE0ELb0ES3_N6thrust23THRUST_200600_302600_NS6detail15normal_iteratorINS9_10device_ptrIiEEEENS9_18transform_iteratorINS9_6negateIiEESE_NS9_11use_defaultESI_EESE_iNS9_4plusIvEENS9_8equal_toIvEEiEE10hipError_tPvRmT2_T3_T4_T5_mT6_T7_P12ihipStream_tbENKUlT_T0_E_clISt17integral_constantIbLb1EES14_EEDaSZ_S10_EUlSZ_E_NS1_11comp_targetILNS1_3genE3ELNS1_11target_archE908ELNS1_3gpuE7ELNS1_3repE0EEENS1_30default_config_static_selectorELNS0_4arch9wavefront6targetE1EEEvT1_
    .private_segment_fixed_size: 0
    .sgpr_count:     4
    .sgpr_spill_count: 0
    .symbol:         _ZN7rocprim17ROCPRIM_400000_NS6detail17trampoline_kernelINS0_14default_configENS1_27scan_by_key_config_selectorIiiEEZZNS1_16scan_by_key_implILNS1_25lookback_scan_determinismE0ELb0ES3_N6thrust23THRUST_200600_302600_NS6detail15normal_iteratorINS9_10device_ptrIiEEEENS9_18transform_iteratorINS9_6negateIiEESE_NS9_11use_defaultESI_EESE_iNS9_4plusIvEENS9_8equal_toIvEEiEE10hipError_tPvRmT2_T3_T4_T5_mT6_T7_P12ihipStream_tbENKUlT_T0_E_clISt17integral_constantIbLb1EES14_EEDaSZ_S10_EUlSZ_E_NS1_11comp_targetILNS1_3genE3ELNS1_11target_archE908ELNS1_3gpuE7ELNS1_3repE0EEENS1_30default_config_static_selectorELNS0_4arch9wavefront6targetE1EEEvT1_.kd
    .uniform_work_group_size: 1
    .uses_dynamic_stack: false
    .vgpr_count:     0
    .vgpr_spill_count: 0
    .wavefront_size: 64
  - .agpr_count:     0
    .args:
      - .offset:         0
        .size:           120
        .value_kind:     by_value
    .group_segment_fixed_size: 0
    .kernarg_segment_align: 8
    .kernarg_segment_size: 120
    .language:       OpenCL C
    .language_version:
      - 2
      - 0
    .max_flat_workgroup_size: 256
    .name:           _ZN7rocprim17ROCPRIM_400000_NS6detail17trampoline_kernelINS0_14default_configENS1_27scan_by_key_config_selectorIiiEEZZNS1_16scan_by_key_implILNS1_25lookback_scan_determinismE0ELb0ES3_N6thrust23THRUST_200600_302600_NS6detail15normal_iteratorINS9_10device_ptrIiEEEENS9_18transform_iteratorINS9_6negateIiEESE_NS9_11use_defaultESI_EESE_iNS9_4plusIvEENS9_8equal_toIvEEiEE10hipError_tPvRmT2_T3_T4_T5_mT6_T7_P12ihipStream_tbENKUlT_T0_E_clISt17integral_constantIbLb1EES14_EEDaSZ_S10_EUlSZ_E_NS1_11comp_targetILNS1_3genE2ELNS1_11target_archE906ELNS1_3gpuE6ELNS1_3repE0EEENS1_30default_config_static_selectorELNS0_4arch9wavefront6targetE1EEEvT1_
    .private_segment_fixed_size: 0
    .sgpr_count:     4
    .sgpr_spill_count: 0
    .symbol:         _ZN7rocprim17ROCPRIM_400000_NS6detail17trampoline_kernelINS0_14default_configENS1_27scan_by_key_config_selectorIiiEEZZNS1_16scan_by_key_implILNS1_25lookback_scan_determinismE0ELb0ES3_N6thrust23THRUST_200600_302600_NS6detail15normal_iteratorINS9_10device_ptrIiEEEENS9_18transform_iteratorINS9_6negateIiEESE_NS9_11use_defaultESI_EESE_iNS9_4plusIvEENS9_8equal_toIvEEiEE10hipError_tPvRmT2_T3_T4_T5_mT6_T7_P12ihipStream_tbENKUlT_T0_E_clISt17integral_constantIbLb1EES14_EEDaSZ_S10_EUlSZ_E_NS1_11comp_targetILNS1_3genE2ELNS1_11target_archE906ELNS1_3gpuE6ELNS1_3repE0EEENS1_30default_config_static_selectorELNS0_4arch9wavefront6targetE1EEEvT1_.kd
    .uniform_work_group_size: 1
    .uses_dynamic_stack: false
    .vgpr_count:     0
    .vgpr_spill_count: 0
    .wavefront_size: 64
  - .agpr_count:     0
    .args:
      - .offset:         0
        .size:           120
        .value_kind:     by_value
    .group_segment_fixed_size: 0
    .kernarg_segment_align: 8
    .kernarg_segment_size: 120
    .language:       OpenCL C
    .language_version:
      - 2
      - 0
    .max_flat_workgroup_size: 256
    .name:           _ZN7rocprim17ROCPRIM_400000_NS6detail17trampoline_kernelINS0_14default_configENS1_27scan_by_key_config_selectorIiiEEZZNS1_16scan_by_key_implILNS1_25lookback_scan_determinismE0ELb0ES3_N6thrust23THRUST_200600_302600_NS6detail15normal_iteratorINS9_10device_ptrIiEEEENS9_18transform_iteratorINS9_6negateIiEESE_NS9_11use_defaultESI_EESE_iNS9_4plusIvEENS9_8equal_toIvEEiEE10hipError_tPvRmT2_T3_T4_T5_mT6_T7_P12ihipStream_tbENKUlT_T0_E_clISt17integral_constantIbLb1EES14_EEDaSZ_S10_EUlSZ_E_NS1_11comp_targetILNS1_3genE10ELNS1_11target_archE1200ELNS1_3gpuE4ELNS1_3repE0EEENS1_30default_config_static_selectorELNS0_4arch9wavefront6targetE1EEEvT1_
    .private_segment_fixed_size: 0
    .sgpr_count:     4
    .sgpr_spill_count: 0
    .symbol:         _ZN7rocprim17ROCPRIM_400000_NS6detail17trampoline_kernelINS0_14default_configENS1_27scan_by_key_config_selectorIiiEEZZNS1_16scan_by_key_implILNS1_25lookback_scan_determinismE0ELb0ES3_N6thrust23THRUST_200600_302600_NS6detail15normal_iteratorINS9_10device_ptrIiEEEENS9_18transform_iteratorINS9_6negateIiEESE_NS9_11use_defaultESI_EESE_iNS9_4plusIvEENS9_8equal_toIvEEiEE10hipError_tPvRmT2_T3_T4_T5_mT6_T7_P12ihipStream_tbENKUlT_T0_E_clISt17integral_constantIbLb1EES14_EEDaSZ_S10_EUlSZ_E_NS1_11comp_targetILNS1_3genE10ELNS1_11target_archE1200ELNS1_3gpuE4ELNS1_3repE0EEENS1_30default_config_static_selectorELNS0_4arch9wavefront6targetE1EEEvT1_.kd
    .uniform_work_group_size: 1
    .uses_dynamic_stack: false
    .vgpr_count:     0
    .vgpr_spill_count: 0
    .wavefront_size: 64
  - .agpr_count:     0
    .args:
      - .offset:         0
        .size:           120
        .value_kind:     by_value
    .group_segment_fixed_size: 0
    .kernarg_segment_align: 8
    .kernarg_segment_size: 120
    .language:       OpenCL C
    .language_version:
      - 2
      - 0
    .max_flat_workgroup_size: 256
    .name:           _ZN7rocprim17ROCPRIM_400000_NS6detail17trampoline_kernelINS0_14default_configENS1_27scan_by_key_config_selectorIiiEEZZNS1_16scan_by_key_implILNS1_25lookback_scan_determinismE0ELb0ES3_N6thrust23THRUST_200600_302600_NS6detail15normal_iteratorINS9_10device_ptrIiEEEENS9_18transform_iteratorINS9_6negateIiEESE_NS9_11use_defaultESI_EESE_iNS9_4plusIvEENS9_8equal_toIvEEiEE10hipError_tPvRmT2_T3_T4_T5_mT6_T7_P12ihipStream_tbENKUlT_T0_E_clISt17integral_constantIbLb1EES14_EEDaSZ_S10_EUlSZ_E_NS1_11comp_targetILNS1_3genE9ELNS1_11target_archE1100ELNS1_3gpuE3ELNS1_3repE0EEENS1_30default_config_static_selectorELNS0_4arch9wavefront6targetE1EEEvT1_
    .private_segment_fixed_size: 0
    .sgpr_count:     4
    .sgpr_spill_count: 0
    .symbol:         _ZN7rocprim17ROCPRIM_400000_NS6detail17trampoline_kernelINS0_14default_configENS1_27scan_by_key_config_selectorIiiEEZZNS1_16scan_by_key_implILNS1_25lookback_scan_determinismE0ELb0ES3_N6thrust23THRUST_200600_302600_NS6detail15normal_iteratorINS9_10device_ptrIiEEEENS9_18transform_iteratorINS9_6negateIiEESE_NS9_11use_defaultESI_EESE_iNS9_4plusIvEENS9_8equal_toIvEEiEE10hipError_tPvRmT2_T3_T4_T5_mT6_T7_P12ihipStream_tbENKUlT_T0_E_clISt17integral_constantIbLb1EES14_EEDaSZ_S10_EUlSZ_E_NS1_11comp_targetILNS1_3genE9ELNS1_11target_archE1100ELNS1_3gpuE3ELNS1_3repE0EEENS1_30default_config_static_selectorELNS0_4arch9wavefront6targetE1EEEvT1_.kd
    .uniform_work_group_size: 1
    .uses_dynamic_stack: false
    .vgpr_count:     0
    .vgpr_spill_count: 0
    .wavefront_size: 64
  - .agpr_count:     0
    .args:
      - .offset:         0
        .size:           120
        .value_kind:     by_value
    .group_segment_fixed_size: 0
    .kernarg_segment_align: 8
    .kernarg_segment_size: 120
    .language:       OpenCL C
    .language_version:
      - 2
      - 0
    .max_flat_workgroup_size: 256
    .name:           _ZN7rocprim17ROCPRIM_400000_NS6detail17trampoline_kernelINS0_14default_configENS1_27scan_by_key_config_selectorIiiEEZZNS1_16scan_by_key_implILNS1_25lookback_scan_determinismE0ELb0ES3_N6thrust23THRUST_200600_302600_NS6detail15normal_iteratorINS9_10device_ptrIiEEEENS9_18transform_iteratorINS9_6negateIiEESE_NS9_11use_defaultESI_EESE_iNS9_4plusIvEENS9_8equal_toIvEEiEE10hipError_tPvRmT2_T3_T4_T5_mT6_T7_P12ihipStream_tbENKUlT_T0_E_clISt17integral_constantIbLb1EES14_EEDaSZ_S10_EUlSZ_E_NS1_11comp_targetILNS1_3genE8ELNS1_11target_archE1030ELNS1_3gpuE2ELNS1_3repE0EEENS1_30default_config_static_selectorELNS0_4arch9wavefront6targetE1EEEvT1_
    .private_segment_fixed_size: 0
    .sgpr_count:     4
    .sgpr_spill_count: 0
    .symbol:         _ZN7rocprim17ROCPRIM_400000_NS6detail17trampoline_kernelINS0_14default_configENS1_27scan_by_key_config_selectorIiiEEZZNS1_16scan_by_key_implILNS1_25lookback_scan_determinismE0ELb0ES3_N6thrust23THRUST_200600_302600_NS6detail15normal_iteratorINS9_10device_ptrIiEEEENS9_18transform_iteratorINS9_6negateIiEESE_NS9_11use_defaultESI_EESE_iNS9_4plusIvEENS9_8equal_toIvEEiEE10hipError_tPvRmT2_T3_T4_T5_mT6_T7_P12ihipStream_tbENKUlT_T0_E_clISt17integral_constantIbLb1EES14_EEDaSZ_S10_EUlSZ_E_NS1_11comp_targetILNS1_3genE8ELNS1_11target_archE1030ELNS1_3gpuE2ELNS1_3repE0EEENS1_30default_config_static_selectorELNS0_4arch9wavefront6targetE1EEEvT1_.kd
    .uniform_work_group_size: 1
    .uses_dynamic_stack: false
    .vgpr_count:     0
    .vgpr_spill_count: 0
    .wavefront_size: 64
  - .agpr_count:     0
    .args:
      - .offset:         0
        .size:           120
        .value_kind:     by_value
    .group_segment_fixed_size: 0
    .kernarg_segment_align: 8
    .kernarg_segment_size: 120
    .language:       OpenCL C
    .language_version:
      - 2
      - 0
    .max_flat_workgroup_size: 256
    .name:           _ZN7rocprim17ROCPRIM_400000_NS6detail17trampoline_kernelINS0_14default_configENS1_27scan_by_key_config_selectorIiiEEZZNS1_16scan_by_key_implILNS1_25lookback_scan_determinismE0ELb0ES3_N6thrust23THRUST_200600_302600_NS6detail15normal_iteratorINS9_10device_ptrIiEEEENS9_18transform_iteratorINS9_6negateIiEESE_NS9_11use_defaultESI_EESE_iNS9_4plusIvEENS9_8equal_toIvEEiEE10hipError_tPvRmT2_T3_T4_T5_mT6_T7_P12ihipStream_tbENKUlT_T0_E_clISt17integral_constantIbLb1EES13_IbLb0EEEEDaSZ_S10_EUlSZ_E_NS1_11comp_targetILNS1_3genE0ELNS1_11target_archE4294967295ELNS1_3gpuE0ELNS1_3repE0EEENS1_30default_config_static_selectorELNS0_4arch9wavefront6targetE1EEEvT1_
    .private_segment_fixed_size: 0
    .sgpr_count:     4
    .sgpr_spill_count: 0
    .symbol:         _ZN7rocprim17ROCPRIM_400000_NS6detail17trampoline_kernelINS0_14default_configENS1_27scan_by_key_config_selectorIiiEEZZNS1_16scan_by_key_implILNS1_25lookback_scan_determinismE0ELb0ES3_N6thrust23THRUST_200600_302600_NS6detail15normal_iteratorINS9_10device_ptrIiEEEENS9_18transform_iteratorINS9_6negateIiEESE_NS9_11use_defaultESI_EESE_iNS9_4plusIvEENS9_8equal_toIvEEiEE10hipError_tPvRmT2_T3_T4_T5_mT6_T7_P12ihipStream_tbENKUlT_T0_E_clISt17integral_constantIbLb1EES13_IbLb0EEEEDaSZ_S10_EUlSZ_E_NS1_11comp_targetILNS1_3genE0ELNS1_11target_archE4294967295ELNS1_3gpuE0ELNS1_3repE0EEENS1_30default_config_static_selectorELNS0_4arch9wavefront6targetE1EEEvT1_.kd
    .uniform_work_group_size: 1
    .uses_dynamic_stack: false
    .vgpr_count:     0
    .vgpr_spill_count: 0
    .wavefront_size: 64
  - .agpr_count:     0
    .args:
      - .offset:         0
        .size:           120
        .value_kind:     by_value
    .group_segment_fixed_size: 0
    .kernarg_segment_align: 8
    .kernarg_segment_size: 120
    .language:       OpenCL C
    .language_version:
      - 2
      - 0
    .max_flat_workgroup_size: 256
    .name:           _ZN7rocprim17ROCPRIM_400000_NS6detail17trampoline_kernelINS0_14default_configENS1_27scan_by_key_config_selectorIiiEEZZNS1_16scan_by_key_implILNS1_25lookback_scan_determinismE0ELb0ES3_N6thrust23THRUST_200600_302600_NS6detail15normal_iteratorINS9_10device_ptrIiEEEENS9_18transform_iteratorINS9_6negateIiEESE_NS9_11use_defaultESI_EESE_iNS9_4plusIvEENS9_8equal_toIvEEiEE10hipError_tPvRmT2_T3_T4_T5_mT6_T7_P12ihipStream_tbENKUlT_T0_E_clISt17integral_constantIbLb1EES13_IbLb0EEEEDaSZ_S10_EUlSZ_E_NS1_11comp_targetILNS1_3genE10ELNS1_11target_archE1201ELNS1_3gpuE5ELNS1_3repE0EEENS1_30default_config_static_selectorELNS0_4arch9wavefront6targetE1EEEvT1_
    .private_segment_fixed_size: 0
    .sgpr_count:     4
    .sgpr_spill_count: 0
    .symbol:         _ZN7rocprim17ROCPRIM_400000_NS6detail17trampoline_kernelINS0_14default_configENS1_27scan_by_key_config_selectorIiiEEZZNS1_16scan_by_key_implILNS1_25lookback_scan_determinismE0ELb0ES3_N6thrust23THRUST_200600_302600_NS6detail15normal_iteratorINS9_10device_ptrIiEEEENS9_18transform_iteratorINS9_6negateIiEESE_NS9_11use_defaultESI_EESE_iNS9_4plusIvEENS9_8equal_toIvEEiEE10hipError_tPvRmT2_T3_T4_T5_mT6_T7_P12ihipStream_tbENKUlT_T0_E_clISt17integral_constantIbLb1EES13_IbLb0EEEEDaSZ_S10_EUlSZ_E_NS1_11comp_targetILNS1_3genE10ELNS1_11target_archE1201ELNS1_3gpuE5ELNS1_3repE0EEENS1_30default_config_static_selectorELNS0_4arch9wavefront6targetE1EEEvT1_.kd
    .uniform_work_group_size: 1
    .uses_dynamic_stack: false
    .vgpr_count:     0
    .vgpr_spill_count: 0
    .wavefront_size: 64
  - .agpr_count:     0
    .args:
      - .offset:         0
        .size:           120
        .value_kind:     by_value
    .group_segment_fixed_size: 0
    .kernarg_segment_align: 8
    .kernarg_segment_size: 120
    .language:       OpenCL C
    .language_version:
      - 2
      - 0
    .max_flat_workgroup_size: 256
    .name:           _ZN7rocprim17ROCPRIM_400000_NS6detail17trampoline_kernelINS0_14default_configENS1_27scan_by_key_config_selectorIiiEEZZNS1_16scan_by_key_implILNS1_25lookback_scan_determinismE0ELb0ES3_N6thrust23THRUST_200600_302600_NS6detail15normal_iteratorINS9_10device_ptrIiEEEENS9_18transform_iteratorINS9_6negateIiEESE_NS9_11use_defaultESI_EESE_iNS9_4plusIvEENS9_8equal_toIvEEiEE10hipError_tPvRmT2_T3_T4_T5_mT6_T7_P12ihipStream_tbENKUlT_T0_E_clISt17integral_constantIbLb1EES13_IbLb0EEEEDaSZ_S10_EUlSZ_E_NS1_11comp_targetILNS1_3genE5ELNS1_11target_archE942ELNS1_3gpuE9ELNS1_3repE0EEENS1_30default_config_static_selectorELNS0_4arch9wavefront6targetE1EEEvT1_
    .private_segment_fixed_size: 0
    .sgpr_count:     4
    .sgpr_spill_count: 0
    .symbol:         _ZN7rocprim17ROCPRIM_400000_NS6detail17trampoline_kernelINS0_14default_configENS1_27scan_by_key_config_selectorIiiEEZZNS1_16scan_by_key_implILNS1_25lookback_scan_determinismE0ELb0ES3_N6thrust23THRUST_200600_302600_NS6detail15normal_iteratorINS9_10device_ptrIiEEEENS9_18transform_iteratorINS9_6negateIiEESE_NS9_11use_defaultESI_EESE_iNS9_4plusIvEENS9_8equal_toIvEEiEE10hipError_tPvRmT2_T3_T4_T5_mT6_T7_P12ihipStream_tbENKUlT_T0_E_clISt17integral_constantIbLb1EES13_IbLb0EEEEDaSZ_S10_EUlSZ_E_NS1_11comp_targetILNS1_3genE5ELNS1_11target_archE942ELNS1_3gpuE9ELNS1_3repE0EEENS1_30default_config_static_selectorELNS0_4arch9wavefront6targetE1EEEvT1_.kd
    .uniform_work_group_size: 1
    .uses_dynamic_stack: false
    .vgpr_count:     0
    .vgpr_spill_count: 0
    .wavefront_size: 64
  - .agpr_count:     0
    .args:
      - .offset:         0
        .size:           120
        .value_kind:     by_value
    .group_segment_fixed_size: 16384
    .kernarg_segment_align: 8
    .kernarg_segment_size: 120
    .language:       OpenCL C
    .language_version:
      - 2
      - 0
    .max_flat_workgroup_size: 256
    .name:           _ZN7rocprim17ROCPRIM_400000_NS6detail17trampoline_kernelINS0_14default_configENS1_27scan_by_key_config_selectorIiiEEZZNS1_16scan_by_key_implILNS1_25lookback_scan_determinismE0ELb0ES3_N6thrust23THRUST_200600_302600_NS6detail15normal_iteratorINS9_10device_ptrIiEEEENS9_18transform_iteratorINS9_6negateIiEESE_NS9_11use_defaultESI_EESE_iNS9_4plusIvEENS9_8equal_toIvEEiEE10hipError_tPvRmT2_T3_T4_T5_mT6_T7_P12ihipStream_tbENKUlT_T0_E_clISt17integral_constantIbLb1EES13_IbLb0EEEEDaSZ_S10_EUlSZ_E_NS1_11comp_targetILNS1_3genE4ELNS1_11target_archE910ELNS1_3gpuE8ELNS1_3repE0EEENS1_30default_config_static_selectorELNS0_4arch9wavefront6targetE1EEEvT1_
    .private_segment_fixed_size: 0
    .sgpr_count:     66
    .sgpr_spill_count: 0
    .symbol:         _ZN7rocprim17ROCPRIM_400000_NS6detail17trampoline_kernelINS0_14default_configENS1_27scan_by_key_config_selectorIiiEEZZNS1_16scan_by_key_implILNS1_25lookback_scan_determinismE0ELb0ES3_N6thrust23THRUST_200600_302600_NS6detail15normal_iteratorINS9_10device_ptrIiEEEENS9_18transform_iteratorINS9_6negateIiEESE_NS9_11use_defaultESI_EESE_iNS9_4plusIvEENS9_8equal_toIvEEiEE10hipError_tPvRmT2_T3_T4_T5_mT6_T7_P12ihipStream_tbENKUlT_T0_E_clISt17integral_constantIbLb1EES13_IbLb0EEEEDaSZ_S10_EUlSZ_E_NS1_11comp_targetILNS1_3genE4ELNS1_11target_archE910ELNS1_3gpuE8ELNS1_3repE0EEENS1_30default_config_static_selectorELNS0_4arch9wavefront6targetE1EEEvT1_.kd
    .uniform_work_group_size: 1
    .uses_dynamic_stack: false
    .vgpr_count:     65
    .vgpr_spill_count: 0
    .wavefront_size: 64
  - .agpr_count:     0
    .args:
      - .offset:         0
        .size:           120
        .value_kind:     by_value
    .group_segment_fixed_size: 0
    .kernarg_segment_align: 8
    .kernarg_segment_size: 120
    .language:       OpenCL C
    .language_version:
      - 2
      - 0
    .max_flat_workgroup_size: 256
    .name:           _ZN7rocprim17ROCPRIM_400000_NS6detail17trampoline_kernelINS0_14default_configENS1_27scan_by_key_config_selectorIiiEEZZNS1_16scan_by_key_implILNS1_25lookback_scan_determinismE0ELb0ES3_N6thrust23THRUST_200600_302600_NS6detail15normal_iteratorINS9_10device_ptrIiEEEENS9_18transform_iteratorINS9_6negateIiEESE_NS9_11use_defaultESI_EESE_iNS9_4plusIvEENS9_8equal_toIvEEiEE10hipError_tPvRmT2_T3_T4_T5_mT6_T7_P12ihipStream_tbENKUlT_T0_E_clISt17integral_constantIbLb1EES13_IbLb0EEEEDaSZ_S10_EUlSZ_E_NS1_11comp_targetILNS1_3genE3ELNS1_11target_archE908ELNS1_3gpuE7ELNS1_3repE0EEENS1_30default_config_static_selectorELNS0_4arch9wavefront6targetE1EEEvT1_
    .private_segment_fixed_size: 0
    .sgpr_count:     4
    .sgpr_spill_count: 0
    .symbol:         _ZN7rocprim17ROCPRIM_400000_NS6detail17trampoline_kernelINS0_14default_configENS1_27scan_by_key_config_selectorIiiEEZZNS1_16scan_by_key_implILNS1_25lookback_scan_determinismE0ELb0ES3_N6thrust23THRUST_200600_302600_NS6detail15normal_iteratorINS9_10device_ptrIiEEEENS9_18transform_iteratorINS9_6negateIiEESE_NS9_11use_defaultESI_EESE_iNS9_4plusIvEENS9_8equal_toIvEEiEE10hipError_tPvRmT2_T3_T4_T5_mT6_T7_P12ihipStream_tbENKUlT_T0_E_clISt17integral_constantIbLb1EES13_IbLb0EEEEDaSZ_S10_EUlSZ_E_NS1_11comp_targetILNS1_3genE3ELNS1_11target_archE908ELNS1_3gpuE7ELNS1_3repE0EEENS1_30default_config_static_selectorELNS0_4arch9wavefront6targetE1EEEvT1_.kd
    .uniform_work_group_size: 1
    .uses_dynamic_stack: false
    .vgpr_count:     0
    .vgpr_spill_count: 0
    .wavefront_size: 64
  - .agpr_count:     0
    .args:
      - .offset:         0
        .size:           120
        .value_kind:     by_value
    .group_segment_fixed_size: 0
    .kernarg_segment_align: 8
    .kernarg_segment_size: 120
    .language:       OpenCL C
    .language_version:
      - 2
      - 0
    .max_flat_workgroup_size: 256
    .name:           _ZN7rocprim17ROCPRIM_400000_NS6detail17trampoline_kernelINS0_14default_configENS1_27scan_by_key_config_selectorIiiEEZZNS1_16scan_by_key_implILNS1_25lookback_scan_determinismE0ELb0ES3_N6thrust23THRUST_200600_302600_NS6detail15normal_iteratorINS9_10device_ptrIiEEEENS9_18transform_iteratorINS9_6negateIiEESE_NS9_11use_defaultESI_EESE_iNS9_4plusIvEENS9_8equal_toIvEEiEE10hipError_tPvRmT2_T3_T4_T5_mT6_T7_P12ihipStream_tbENKUlT_T0_E_clISt17integral_constantIbLb1EES13_IbLb0EEEEDaSZ_S10_EUlSZ_E_NS1_11comp_targetILNS1_3genE2ELNS1_11target_archE906ELNS1_3gpuE6ELNS1_3repE0EEENS1_30default_config_static_selectorELNS0_4arch9wavefront6targetE1EEEvT1_
    .private_segment_fixed_size: 0
    .sgpr_count:     4
    .sgpr_spill_count: 0
    .symbol:         _ZN7rocprim17ROCPRIM_400000_NS6detail17trampoline_kernelINS0_14default_configENS1_27scan_by_key_config_selectorIiiEEZZNS1_16scan_by_key_implILNS1_25lookback_scan_determinismE0ELb0ES3_N6thrust23THRUST_200600_302600_NS6detail15normal_iteratorINS9_10device_ptrIiEEEENS9_18transform_iteratorINS9_6negateIiEESE_NS9_11use_defaultESI_EESE_iNS9_4plusIvEENS9_8equal_toIvEEiEE10hipError_tPvRmT2_T3_T4_T5_mT6_T7_P12ihipStream_tbENKUlT_T0_E_clISt17integral_constantIbLb1EES13_IbLb0EEEEDaSZ_S10_EUlSZ_E_NS1_11comp_targetILNS1_3genE2ELNS1_11target_archE906ELNS1_3gpuE6ELNS1_3repE0EEENS1_30default_config_static_selectorELNS0_4arch9wavefront6targetE1EEEvT1_.kd
    .uniform_work_group_size: 1
    .uses_dynamic_stack: false
    .vgpr_count:     0
    .vgpr_spill_count: 0
    .wavefront_size: 64
  - .agpr_count:     0
    .args:
      - .offset:         0
        .size:           120
        .value_kind:     by_value
    .group_segment_fixed_size: 0
    .kernarg_segment_align: 8
    .kernarg_segment_size: 120
    .language:       OpenCL C
    .language_version:
      - 2
      - 0
    .max_flat_workgroup_size: 256
    .name:           _ZN7rocprim17ROCPRIM_400000_NS6detail17trampoline_kernelINS0_14default_configENS1_27scan_by_key_config_selectorIiiEEZZNS1_16scan_by_key_implILNS1_25lookback_scan_determinismE0ELb0ES3_N6thrust23THRUST_200600_302600_NS6detail15normal_iteratorINS9_10device_ptrIiEEEENS9_18transform_iteratorINS9_6negateIiEESE_NS9_11use_defaultESI_EESE_iNS9_4plusIvEENS9_8equal_toIvEEiEE10hipError_tPvRmT2_T3_T4_T5_mT6_T7_P12ihipStream_tbENKUlT_T0_E_clISt17integral_constantIbLb1EES13_IbLb0EEEEDaSZ_S10_EUlSZ_E_NS1_11comp_targetILNS1_3genE10ELNS1_11target_archE1200ELNS1_3gpuE4ELNS1_3repE0EEENS1_30default_config_static_selectorELNS0_4arch9wavefront6targetE1EEEvT1_
    .private_segment_fixed_size: 0
    .sgpr_count:     4
    .sgpr_spill_count: 0
    .symbol:         _ZN7rocprim17ROCPRIM_400000_NS6detail17trampoline_kernelINS0_14default_configENS1_27scan_by_key_config_selectorIiiEEZZNS1_16scan_by_key_implILNS1_25lookback_scan_determinismE0ELb0ES3_N6thrust23THRUST_200600_302600_NS6detail15normal_iteratorINS9_10device_ptrIiEEEENS9_18transform_iteratorINS9_6negateIiEESE_NS9_11use_defaultESI_EESE_iNS9_4plusIvEENS9_8equal_toIvEEiEE10hipError_tPvRmT2_T3_T4_T5_mT6_T7_P12ihipStream_tbENKUlT_T0_E_clISt17integral_constantIbLb1EES13_IbLb0EEEEDaSZ_S10_EUlSZ_E_NS1_11comp_targetILNS1_3genE10ELNS1_11target_archE1200ELNS1_3gpuE4ELNS1_3repE0EEENS1_30default_config_static_selectorELNS0_4arch9wavefront6targetE1EEEvT1_.kd
    .uniform_work_group_size: 1
    .uses_dynamic_stack: false
    .vgpr_count:     0
    .vgpr_spill_count: 0
    .wavefront_size: 64
  - .agpr_count:     0
    .args:
      - .offset:         0
        .size:           120
        .value_kind:     by_value
    .group_segment_fixed_size: 0
    .kernarg_segment_align: 8
    .kernarg_segment_size: 120
    .language:       OpenCL C
    .language_version:
      - 2
      - 0
    .max_flat_workgroup_size: 256
    .name:           _ZN7rocprim17ROCPRIM_400000_NS6detail17trampoline_kernelINS0_14default_configENS1_27scan_by_key_config_selectorIiiEEZZNS1_16scan_by_key_implILNS1_25lookback_scan_determinismE0ELb0ES3_N6thrust23THRUST_200600_302600_NS6detail15normal_iteratorINS9_10device_ptrIiEEEENS9_18transform_iteratorINS9_6negateIiEESE_NS9_11use_defaultESI_EESE_iNS9_4plusIvEENS9_8equal_toIvEEiEE10hipError_tPvRmT2_T3_T4_T5_mT6_T7_P12ihipStream_tbENKUlT_T0_E_clISt17integral_constantIbLb1EES13_IbLb0EEEEDaSZ_S10_EUlSZ_E_NS1_11comp_targetILNS1_3genE9ELNS1_11target_archE1100ELNS1_3gpuE3ELNS1_3repE0EEENS1_30default_config_static_selectorELNS0_4arch9wavefront6targetE1EEEvT1_
    .private_segment_fixed_size: 0
    .sgpr_count:     4
    .sgpr_spill_count: 0
    .symbol:         _ZN7rocprim17ROCPRIM_400000_NS6detail17trampoline_kernelINS0_14default_configENS1_27scan_by_key_config_selectorIiiEEZZNS1_16scan_by_key_implILNS1_25lookback_scan_determinismE0ELb0ES3_N6thrust23THRUST_200600_302600_NS6detail15normal_iteratorINS9_10device_ptrIiEEEENS9_18transform_iteratorINS9_6negateIiEESE_NS9_11use_defaultESI_EESE_iNS9_4plusIvEENS9_8equal_toIvEEiEE10hipError_tPvRmT2_T3_T4_T5_mT6_T7_P12ihipStream_tbENKUlT_T0_E_clISt17integral_constantIbLb1EES13_IbLb0EEEEDaSZ_S10_EUlSZ_E_NS1_11comp_targetILNS1_3genE9ELNS1_11target_archE1100ELNS1_3gpuE3ELNS1_3repE0EEENS1_30default_config_static_selectorELNS0_4arch9wavefront6targetE1EEEvT1_.kd
    .uniform_work_group_size: 1
    .uses_dynamic_stack: false
    .vgpr_count:     0
    .vgpr_spill_count: 0
    .wavefront_size: 64
  - .agpr_count:     0
    .args:
      - .offset:         0
        .size:           120
        .value_kind:     by_value
    .group_segment_fixed_size: 0
    .kernarg_segment_align: 8
    .kernarg_segment_size: 120
    .language:       OpenCL C
    .language_version:
      - 2
      - 0
    .max_flat_workgroup_size: 256
    .name:           _ZN7rocprim17ROCPRIM_400000_NS6detail17trampoline_kernelINS0_14default_configENS1_27scan_by_key_config_selectorIiiEEZZNS1_16scan_by_key_implILNS1_25lookback_scan_determinismE0ELb0ES3_N6thrust23THRUST_200600_302600_NS6detail15normal_iteratorINS9_10device_ptrIiEEEENS9_18transform_iteratorINS9_6negateIiEESE_NS9_11use_defaultESI_EESE_iNS9_4plusIvEENS9_8equal_toIvEEiEE10hipError_tPvRmT2_T3_T4_T5_mT6_T7_P12ihipStream_tbENKUlT_T0_E_clISt17integral_constantIbLb1EES13_IbLb0EEEEDaSZ_S10_EUlSZ_E_NS1_11comp_targetILNS1_3genE8ELNS1_11target_archE1030ELNS1_3gpuE2ELNS1_3repE0EEENS1_30default_config_static_selectorELNS0_4arch9wavefront6targetE1EEEvT1_
    .private_segment_fixed_size: 0
    .sgpr_count:     4
    .sgpr_spill_count: 0
    .symbol:         _ZN7rocprim17ROCPRIM_400000_NS6detail17trampoline_kernelINS0_14default_configENS1_27scan_by_key_config_selectorIiiEEZZNS1_16scan_by_key_implILNS1_25lookback_scan_determinismE0ELb0ES3_N6thrust23THRUST_200600_302600_NS6detail15normal_iteratorINS9_10device_ptrIiEEEENS9_18transform_iteratorINS9_6negateIiEESE_NS9_11use_defaultESI_EESE_iNS9_4plusIvEENS9_8equal_toIvEEiEE10hipError_tPvRmT2_T3_T4_T5_mT6_T7_P12ihipStream_tbENKUlT_T0_E_clISt17integral_constantIbLb1EES13_IbLb0EEEEDaSZ_S10_EUlSZ_E_NS1_11comp_targetILNS1_3genE8ELNS1_11target_archE1030ELNS1_3gpuE2ELNS1_3repE0EEENS1_30default_config_static_selectorELNS0_4arch9wavefront6targetE1EEEvT1_.kd
    .uniform_work_group_size: 1
    .uses_dynamic_stack: false
    .vgpr_count:     0
    .vgpr_spill_count: 0
    .wavefront_size: 64
  - .agpr_count:     0
    .args:
      - .offset:         0
        .size:           120
        .value_kind:     by_value
    .group_segment_fixed_size: 0
    .kernarg_segment_align: 8
    .kernarg_segment_size: 120
    .language:       OpenCL C
    .language_version:
      - 2
      - 0
    .max_flat_workgroup_size: 256
    .name:           _ZN7rocprim17ROCPRIM_400000_NS6detail17trampoline_kernelINS0_14default_configENS1_27scan_by_key_config_selectorIiiEEZZNS1_16scan_by_key_implILNS1_25lookback_scan_determinismE0ELb0ES3_N6thrust23THRUST_200600_302600_NS6detail15normal_iteratorINS9_10device_ptrIiEEEENS9_18transform_iteratorINS9_6negateIiEESE_NS9_11use_defaultESI_EESE_iNS9_4plusIvEENS9_8equal_toIvEEiEE10hipError_tPvRmT2_T3_T4_T5_mT6_T7_P12ihipStream_tbENKUlT_T0_E_clISt17integral_constantIbLb0EES13_IbLb1EEEEDaSZ_S10_EUlSZ_E_NS1_11comp_targetILNS1_3genE0ELNS1_11target_archE4294967295ELNS1_3gpuE0ELNS1_3repE0EEENS1_30default_config_static_selectorELNS0_4arch9wavefront6targetE1EEEvT1_
    .private_segment_fixed_size: 0
    .sgpr_count:     4
    .sgpr_spill_count: 0
    .symbol:         _ZN7rocprim17ROCPRIM_400000_NS6detail17trampoline_kernelINS0_14default_configENS1_27scan_by_key_config_selectorIiiEEZZNS1_16scan_by_key_implILNS1_25lookback_scan_determinismE0ELb0ES3_N6thrust23THRUST_200600_302600_NS6detail15normal_iteratorINS9_10device_ptrIiEEEENS9_18transform_iteratorINS9_6negateIiEESE_NS9_11use_defaultESI_EESE_iNS9_4plusIvEENS9_8equal_toIvEEiEE10hipError_tPvRmT2_T3_T4_T5_mT6_T7_P12ihipStream_tbENKUlT_T0_E_clISt17integral_constantIbLb0EES13_IbLb1EEEEDaSZ_S10_EUlSZ_E_NS1_11comp_targetILNS1_3genE0ELNS1_11target_archE4294967295ELNS1_3gpuE0ELNS1_3repE0EEENS1_30default_config_static_selectorELNS0_4arch9wavefront6targetE1EEEvT1_.kd
    .uniform_work_group_size: 1
    .uses_dynamic_stack: false
    .vgpr_count:     0
    .vgpr_spill_count: 0
    .wavefront_size: 64
  - .agpr_count:     0
    .args:
      - .offset:         0
        .size:           120
        .value_kind:     by_value
    .group_segment_fixed_size: 0
    .kernarg_segment_align: 8
    .kernarg_segment_size: 120
    .language:       OpenCL C
    .language_version:
      - 2
      - 0
    .max_flat_workgroup_size: 256
    .name:           _ZN7rocprim17ROCPRIM_400000_NS6detail17trampoline_kernelINS0_14default_configENS1_27scan_by_key_config_selectorIiiEEZZNS1_16scan_by_key_implILNS1_25lookback_scan_determinismE0ELb0ES3_N6thrust23THRUST_200600_302600_NS6detail15normal_iteratorINS9_10device_ptrIiEEEENS9_18transform_iteratorINS9_6negateIiEESE_NS9_11use_defaultESI_EESE_iNS9_4plusIvEENS9_8equal_toIvEEiEE10hipError_tPvRmT2_T3_T4_T5_mT6_T7_P12ihipStream_tbENKUlT_T0_E_clISt17integral_constantIbLb0EES13_IbLb1EEEEDaSZ_S10_EUlSZ_E_NS1_11comp_targetILNS1_3genE10ELNS1_11target_archE1201ELNS1_3gpuE5ELNS1_3repE0EEENS1_30default_config_static_selectorELNS0_4arch9wavefront6targetE1EEEvT1_
    .private_segment_fixed_size: 0
    .sgpr_count:     4
    .sgpr_spill_count: 0
    .symbol:         _ZN7rocprim17ROCPRIM_400000_NS6detail17trampoline_kernelINS0_14default_configENS1_27scan_by_key_config_selectorIiiEEZZNS1_16scan_by_key_implILNS1_25lookback_scan_determinismE0ELb0ES3_N6thrust23THRUST_200600_302600_NS6detail15normal_iteratorINS9_10device_ptrIiEEEENS9_18transform_iteratorINS9_6negateIiEESE_NS9_11use_defaultESI_EESE_iNS9_4plusIvEENS9_8equal_toIvEEiEE10hipError_tPvRmT2_T3_T4_T5_mT6_T7_P12ihipStream_tbENKUlT_T0_E_clISt17integral_constantIbLb0EES13_IbLb1EEEEDaSZ_S10_EUlSZ_E_NS1_11comp_targetILNS1_3genE10ELNS1_11target_archE1201ELNS1_3gpuE5ELNS1_3repE0EEENS1_30default_config_static_selectorELNS0_4arch9wavefront6targetE1EEEvT1_.kd
    .uniform_work_group_size: 1
    .uses_dynamic_stack: false
    .vgpr_count:     0
    .vgpr_spill_count: 0
    .wavefront_size: 64
  - .agpr_count:     0
    .args:
      - .offset:         0
        .size:           120
        .value_kind:     by_value
    .group_segment_fixed_size: 0
    .kernarg_segment_align: 8
    .kernarg_segment_size: 120
    .language:       OpenCL C
    .language_version:
      - 2
      - 0
    .max_flat_workgroup_size: 256
    .name:           _ZN7rocprim17ROCPRIM_400000_NS6detail17trampoline_kernelINS0_14default_configENS1_27scan_by_key_config_selectorIiiEEZZNS1_16scan_by_key_implILNS1_25lookback_scan_determinismE0ELb0ES3_N6thrust23THRUST_200600_302600_NS6detail15normal_iteratorINS9_10device_ptrIiEEEENS9_18transform_iteratorINS9_6negateIiEESE_NS9_11use_defaultESI_EESE_iNS9_4plusIvEENS9_8equal_toIvEEiEE10hipError_tPvRmT2_T3_T4_T5_mT6_T7_P12ihipStream_tbENKUlT_T0_E_clISt17integral_constantIbLb0EES13_IbLb1EEEEDaSZ_S10_EUlSZ_E_NS1_11comp_targetILNS1_3genE5ELNS1_11target_archE942ELNS1_3gpuE9ELNS1_3repE0EEENS1_30default_config_static_selectorELNS0_4arch9wavefront6targetE1EEEvT1_
    .private_segment_fixed_size: 0
    .sgpr_count:     4
    .sgpr_spill_count: 0
    .symbol:         _ZN7rocprim17ROCPRIM_400000_NS6detail17trampoline_kernelINS0_14default_configENS1_27scan_by_key_config_selectorIiiEEZZNS1_16scan_by_key_implILNS1_25lookback_scan_determinismE0ELb0ES3_N6thrust23THRUST_200600_302600_NS6detail15normal_iteratorINS9_10device_ptrIiEEEENS9_18transform_iteratorINS9_6negateIiEESE_NS9_11use_defaultESI_EESE_iNS9_4plusIvEENS9_8equal_toIvEEiEE10hipError_tPvRmT2_T3_T4_T5_mT6_T7_P12ihipStream_tbENKUlT_T0_E_clISt17integral_constantIbLb0EES13_IbLb1EEEEDaSZ_S10_EUlSZ_E_NS1_11comp_targetILNS1_3genE5ELNS1_11target_archE942ELNS1_3gpuE9ELNS1_3repE0EEENS1_30default_config_static_selectorELNS0_4arch9wavefront6targetE1EEEvT1_.kd
    .uniform_work_group_size: 1
    .uses_dynamic_stack: false
    .vgpr_count:     0
    .vgpr_spill_count: 0
    .wavefront_size: 64
  - .agpr_count:     0
    .args:
      - .offset:         0
        .size:           120
        .value_kind:     by_value
    .group_segment_fixed_size: 16384
    .kernarg_segment_align: 8
    .kernarg_segment_size: 120
    .language:       OpenCL C
    .language_version:
      - 2
      - 0
    .max_flat_workgroup_size: 256
    .name:           _ZN7rocprim17ROCPRIM_400000_NS6detail17trampoline_kernelINS0_14default_configENS1_27scan_by_key_config_selectorIiiEEZZNS1_16scan_by_key_implILNS1_25lookback_scan_determinismE0ELb0ES3_N6thrust23THRUST_200600_302600_NS6detail15normal_iteratorINS9_10device_ptrIiEEEENS9_18transform_iteratorINS9_6negateIiEESE_NS9_11use_defaultESI_EESE_iNS9_4plusIvEENS9_8equal_toIvEEiEE10hipError_tPvRmT2_T3_T4_T5_mT6_T7_P12ihipStream_tbENKUlT_T0_E_clISt17integral_constantIbLb0EES13_IbLb1EEEEDaSZ_S10_EUlSZ_E_NS1_11comp_targetILNS1_3genE4ELNS1_11target_archE910ELNS1_3gpuE8ELNS1_3repE0EEENS1_30default_config_static_selectorELNS0_4arch9wavefront6targetE1EEEvT1_
    .private_segment_fixed_size: 0
    .sgpr_count:     69
    .sgpr_spill_count: 0
    .symbol:         _ZN7rocprim17ROCPRIM_400000_NS6detail17trampoline_kernelINS0_14default_configENS1_27scan_by_key_config_selectorIiiEEZZNS1_16scan_by_key_implILNS1_25lookback_scan_determinismE0ELb0ES3_N6thrust23THRUST_200600_302600_NS6detail15normal_iteratorINS9_10device_ptrIiEEEENS9_18transform_iteratorINS9_6negateIiEESE_NS9_11use_defaultESI_EESE_iNS9_4plusIvEENS9_8equal_toIvEEiEE10hipError_tPvRmT2_T3_T4_T5_mT6_T7_P12ihipStream_tbENKUlT_T0_E_clISt17integral_constantIbLb0EES13_IbLb1EEEEDaSZ_S10_EUlSZ_E_NS1_11comp_targetILNS1_3genE4ELNS1_11target_archE910ELNS1_3gpuE8ELNS1_3repE0EEENS1_30default_config_static_selectorELNS0_4arch9wavefront6targetE1EEEvT1_.kd
    .uniform_work_group_size: 1
    .uses_dynamic_stack: false
    .vgpr_count:     65
    .vgpr_spill_count: 0
    .wavefront_size: 64
  - .agpr_count:     0
    .args:
      - .offset:         0
        .size:           120
        .value_kind:     by_value
    .group_segment_fixed_size: 0
    .kernarg_segment_align: 8
    .kernarg_segment_size: 120
    .language:       OpenCL C
    .language_version:
      - 2
      - 0
    .max_flat_workgroup_size: 256
    .name:           _ZN7rocprim17ROCPRIM_400000_NS6detail17trampoline_kernelINS0_14default_configENS1_27scan_by_key_config_selectorIiiEEZZNS1_16scan_by_key_implILNS1_25lookback_scan_determinismE0ELb0ES3_N6thrust23THRUST_200600_302600_NS6detail15normal_iteratorINS9_10device_ptrIiEEEENS9_18transform_iteratorINS9_6negateIiEESE_NS9_11use_defaultESI_EESE_iNS9_4plusIvEENS9_8equal_toIvEEiEE10hipError_tPvRmT2_T3_T4_T5_mT6_T7_P12ihipStream_tbENKUlT_T0_E_clISt17integral_constantIbLb0EES13_IbLb1EEEEDaSZ_S10_EUlSZ_E_NS1_11comp_targetILNS1_3genE3ELNS1_11target_archE908ELNS1_3gpuE7ELNS1_3repE0EEENS1_30default_config_static_selectorELNS0_4arch9wavefront6targetE1EEEvT1_
    .private_segment_fixed_size: 0
    .sgpr_count:     4
    .sgpr_spill_count: 0
    .symbol:         _ZN7rocprim17ROCPRIM_400000_NS6detail17trampoline_kernelINS0_14default_configENS1_27scan_by_key_config_selectorIiiEEZZNS1_16scan_by_key_implILNS1_25lookback_scan_determinismE0ELb0ES3_N6thrust23THRUST_200600_302600_NS6detail15normal_iteratorINS9_10device_ptrIiEEEENS9_18transform_iteratorINS9_6negateIiEESE_NS9_11use_defaultESI_EESE_iNS9_4plusIvEENS9_8equal_toIvEEiEE10hipError_tPvRmT2_T3_T4_T5_mT6_T7_P12ihipStream_tbENKUlT_T0_E_clISt17integral_constantIbLb0EES13_IbLb1EEEEDaSZ_S10_EUlSZ_E_NS1_11comp_targetILNS1_3genE3ELNS1_11target_archE908ELNS1_3gpuE7ELNS1_3repE0EEENS1_30default_config_static_selectorELNS0_4arch9wavefront6targetE1EEEvT1_.kd
    .uniform_work_group_size: 1
    .uses_dynamic_stack: false
    .vgpr_count:     0
    .vgpr_spill_count: 0
    .wavefront_size: 64
  - .agpr_count:     0
    .args:
      - .offset:         0
        .size:           120
        .value_kind:     by_value
    .group_segment_fixed_size: 0
    .kernarg_segment_align: 8
    .kernarg_segment_size: 120
    .language:       OpenCL C
    .language_version:
      - 2
      - 0
    .max_flat_workgroup_size: 256
    .name:           _ZN7rocprim17ROCPRIM_400000_NS6detail17trampoline_kernelINS0_14default_configENS1_27scan_by_key_config_selectorIiiEEZZNS1_16scan_by_key_implILNS1_25lookback_scan_determinismE0ELb0ES3_N6thrust23THRUST_200600_302600_NS6detail15normal_iteratorINS9_10device_ptrIiEEEENS9_18transform_iteratorINS9_6negateIiEESE_NS9_11use_defaultESI_EESE_iNS9_4plusIvEENS9_8equal_toIvEEiEE10hipError_tPvRmT2_T3_T4_T5_mT6_T7_P12ihipStream_tbENKUlT_T0_E_clISt17integral_constantIbLb0EES13_IbLb1EEEEDaSZ_S10_EUlSZ_E_NS1_11comp_targetILNS1_3genE2ELNS1_11target_archE906ELNS1_3gpuE6ELNS1_3repE0EEENS1_30default_config_static_selectorELNS0_4arch9wavefront6targetE1EEEvT1_
    .private_segment_fixed_size: 0
    .sgpr_count:     4
    .sgpr_spill_count: 0
    .symbol:         _ZN7rocprim17ROCPRIM_400000_NS6detail17trampoline_kernelINS0_14default_configENS1_27scan_by_key_config_selectorIiiEEZZNS1_16scan_by_key_implILNS1_25lookback_scan_determinismE0ELb0ES3_N6thrust23THRUST_200600_302600_NS6detail15normal_iteratorINS9_10device_ptrIiEEEENS9_18transform_iteratorINS9_6negateIiEESE_NS9_11use_defaultESI_EESE_iNS9_4plusIvEENS9_8equal_toIvEEiEE10hipError_tPvRmT2_T3_T4_T5_mT6_T7_P12ihipStream_tbENKUlT_T0_E_clISt17integral_constantIbLb0EES13_IbLb1EEEEDaSZ_S10_EUlSZ_E_NS1_11comp_targetILNS1_3genE2ELNS1_11target_archE906ELNS1_3gpuE6ELNS1_3repE0EEENS1_30default_config_static_selectorELNS0_4arch9wavefront6targetE1EEEvT1_.kd
    .uniform_work_group_size: 1
    .uses_dynamic_stack: false
    .vgpr_count:     0
    .vgpr_spill_count: 0
    .wavefront_size: 64
  - .agpr_count:     0
    .args:
      - .offset:         0
        .size:           120
        .value_kind:     by_value
    .group_segment_fixed_size: 0
    .kernarg_segment_align: 8
    .kernarg_segment_size: 120
    .language:       OpenCL C
    .language_version:
      - 2
      - 0
    .max_flat_workgroup_size: 256
    .name:           _ZN7rocprim17ROCPRIM_400000_NS6detail17trampoline_kernelINS0_14default_configENS1_27scan_by_key_config_selectorIiiEEZZNS1_16scan_by_key_implILNS1_25lookback_scan_determinismE0ELb0ES3_N6thrust23THRUST_200600_302600_NS6detail15normal_iteratorINS9_10device_ptrIiEEEENS9_18transform_iteratorINS9_6negateIiEESE_NS9_11use_defaultESI_EESE_iNS9_4plusIvEENS9_8equal_toIvEEiEE10hipError_tPvRmT2_T3_T4_T5_mT6_T7_P12ihipStream_tbENKUlT_T0_E_clISt17integral_constantIbLb0EES13_IbLb1EEEEDaSZ_S10_EUlSZ_E_NS1_11comp_targetILNS1_3genE10ELNS1_11target_archE1200ELNS1_3gpuE4ELNS1_3repE0EEENS1_30default_config_static_selectorELNS0_4arch9wavefront6targetE1EEEvT1_
    .private_segment_fixed_size: 0
    .sgpr_count:     4
    .sgpr_spill_count: 0
    .symbol:         _ZN7rocprim17ROCPRIM_400000_NS6detail17trampoline_kernelINS0_14default_configENS1_27scan_by_key_config_selectorIiiEEZZNS1_16scan_by_key_implILNS1_25lookback_scan_determinismE0ELb0ES3_N6thrust23THRUST_200600_302600_NS6detail15normal_iteratorINS9_10device_ptrIiEEEENS9_18transform_iteratorINS9_6negateIiEESE_NS9_11use_defaultESI_EESE_iNS9_4plusIvEENS9_8equal_toIvEEiEE10hipError_tPvRmT2_T3_T4_T5_mT6_T7_P12ihipStream_tbENKUlT_T0_E_clISt17integral_constantIbLb0EES13_IbLb1EEEEDaSZ_S10_EUlSZ_E_NS1_11comp_targetILNS1_3genE10ELNS1_11target_archE1200ELNS1_3gpuE4ELNS1_3repE0EEENS1_30default_config_static_selectorELNS0_4arch9wavefront6targetE1EEEvT1_.kd
    .uniform_work_group_size: 1
    .uses_dynamic_stack: false
    .vgpr_count:     0
    .vgpr_spill_count: 0
    .wavefront_size: 64
  - .agpr_count:     0
    .args:
      - .offset:         0
        .size:           120
        .value_kind:     by_value
    .group_segment_fixed_size: 0
    .kernarg_segment_align: 8
    .kernarg_segment_size: 120
    .language:       OpenCL C
    .language_version:
      - 2
      - 0
    .max_flat_workgroup_size: 256
    .name:           _ZN7rocprim17ROCPRIM_400000_NS6detail17trampoline_kernelINS0_14default_configENS1_27scan_by_key_config_selectorIiiEEZZNS1_16scan_by_key_implILNS1_25lookback_scan_determinismE0ELb0ES3_N6thrust23THRUST_200600_302600_NS6detail15normal_iteratorINS9_10device_ptrIiEEEENS9_18transform_iteratorINS9_6negateIiEESE_NS9_11use_defaultESI_EESE_iNS9_4plusIvEENS9_8equal_toIvEEiEE10hipError_tPvRmT2_T3_T4_T5_mT6_T7_P12ihipStream_tbENKUlT_T0_E_clISt17integral_constantIbLb0EES13_IbLb1EEEEDaSZ_S10_EUlSZ_E_NS1_11comp_targetILNS1_3genE9ELNS1_11target_archE1100ELNS1_3gpuE3ELNS1_3repE0EEENS1_30default_config_static_selectorELNS0_4arch9wavefront6targetE1EEEvT1_
    .private_segment_fixed_size: 0
    .sgpr_count:     4
    .sgpr_spill_count: 0
    .symbol:         _ZN7rocprim17ROCPRIM_400000_NS6detail17trampoline_kernelINS0_14default_configENS1_27scan_by_key_config_selectorIiiEEZZNS1_16scan_by_key_implILNS1_25lookback_scan_determinismE0ELb0ES3_N6thrust23THRUST_200600_302600_NS6detail15normal_iteratorINS9_10device_ptrIiEEEENS9_18transform_iteratorINS9_6negateIiEESE_NS9_11use_defaultESI_EESE_iNS9_4plusIvEENS9_8equal_toIvEEiEE10hipError_tPvRmT2_T3_T4_T5_mT6_T7_P12ihipStream_tbENKUlT_T0_E_clISt17integral_constantIbLb0EES13_IbLb1EEEEDaSZ_S10_EUlSZ_E_NS1_11comp_targetILNS1_3genE9ELNS1_11target_archE1100ELNS1_3gpuE3ELNS1_3repE0EEENS1_30default_config_static_selectorELNS0_4arch9wavefront6targetE1EEEvT1_.kd
    .uniform_work_group_size: 1
    .uses_dynamic_stack: false
    .vgpr_count:     0
    .vgpr_spill_count: 0
    .wavefront_size: 64
  - .agpr_count:     0
    .args:
      - .offset:         0
        .size:           120
        .value_kind:     by_value
    .group_segment_fixed_size: 0
    .kernarg_segment_align: 8
    .kernarg_segment_size: 120
    .language:       OpenCL C
    .language_version:
      - 2
      - 0
    .max_flat_workgroup_size: 256
    .name:           _ZN7rocprim17ROCPRIM_400000_NS6detail17trampoline_kernelINS0_14default_configENS1_27scan_by_key_config_selectorIiiEEZZNS1_16scan_by_key_implILNS1_25lookback_scan_determinismE0ELb0ES3_N6thrust23THRUST_200600_302600_NS6detail15normal_iteratorINS9_10device_ptrIiEEEENS9_18transform_iteratorINS9_6negateIiEESE_NS9_11use_defaultESI_EESE_iNS9_4plusIvEENS9_8equal_toIvEEiEE10hipError_tPvRmT2_T3_T4_T5_mT6_T7_P12ihipStream_tbENKUlT_T0_E_clISt17integral_constantIbLb0EES13_IbLb1EEEEDaSZ_S10_EUlSZ_E_NS1_11comp_targetILNS1_3genE8ELNS1_11target_archE1030ELNS1_3gpuE2ELNS1_3repE0EEENS1_30default_config_static_selectorELNS0_4arch9wavefront6targetE1EEEvT1_
    .private_segment_fixed_size: 0
    .sgpr_count:     4
    .sgpr_spill_count: 0
    .symbol:         _ZN7rocprim17ROCPRIM_400000_NS6detail17trampoline_kernelINS0_14default_configENS1_27scan_by_key_config_selectorIiiEEZZNS1_16scan_by_key_implILNS1_25lookback_scan_determinismE0ELb0ES3_N6thrust23THRUST_200600_302600_NS6detail15normal_iteratorINS9_10device_ptrIiEEEENS9_18transform_iteratorINS9_6negateIiEESE_NS9_11use_defaultESI_EESE_iNS9_4plusIvEENS9_8equal_toIvEEiEE10hipError_tPvRmT2_T3_T4_T5_mT6_T7_P12ihipStream_tbENKUlT_T0_E_clISt17integral_constantIbLb0EES13_IbLb1EEEEDaSZ_S10_EUlSZ_E_NS1_11comp_targetILNS1_3genE8ELNS1_11target_archE1030ELNS1_3gpuE2ELNS1_3repE0EEENS1_30default_config_static_selectorELNS0_4arch9wavefront6targetE1EEEvT1_.kd
    .uniform_work_group_size: 1
    .uses_dynamic_stack: false
    .vgpr_count:     0
    .vgpr_spill_count: 0
    .wavefront_size: 64
  - .agpr_count:     0
    .args:
      - .offset:         0
        .size:           120
        .value_kind:     by_value
    .group_segment_fixed_size: 0
    .kernarg_segment_align: 8
    .kernarg_segment_size: 120
    .language:       OpenCL C
    .language_version:
      - 2
      - 0
    .max_flat_workgroup_size: 256
    .name:           _ZN7rocprim17ROCPRIM_400000_NS6detail17trampoline_kernelINS0_14default_configENS1_27scan_by_key_config_selectorIssEEZZNS1_16scan_by_key_implILNS1_25lookback_scan_determinismE0ELb0ES3_N6thrust23THRUST_200600_302600_NS6detail15normal_iteratorINS9_10device_ptrIsEEEENS9_18transform_iteratorINS9_6negateIsEESE_NS9_11use_defaultESI_EESE_sNS9_4plusIvEENS9_8equal_toIvEEsEE10hipError_tPvRmT2_T3_T4_T5_mT6_T7_P12ihipStream_tbENKUlT_T0_E_clISt17integral_constantIbLb0EES14_EEDaSZ_S10_EUlSZ_E_NS1_11comp_targetILNS1_3genE0ELNS1_11target_archE4294967295ELNS1_3gpuE0ELNS1_3repE0EEENS1_30default_config_static_selectorELNS0_4arch9wavefront6targetE1EEEvT1_
    .private_segment_fixed_size: 0
    .sgpr_count:     4
    .sgpr_spill_count: 0
    .symbol:         _ZN7rocprim17ROCPRIM_400000_NS6detail17trampoline_kernelINS0_14default_configENS1_27scan_by_key_config_selectorIssEEZZNS1_16scan_by_key_implILNS1_25lookback_scan_determinismE0ELb0ES3_N6thrust23THRUST_200600_302600_NS6detail15normal_iteratorINS9_10device_ptrIsEEEENS9_18transform_iteratorINS9_6negateIsEESE_NS9_11use_defaultESI_EESE_sNS9_4plusIvEENS9_8equal_toIvEEsEE10hipError_tPvRmT2_T3_T4_T5_mT6_T7_P12ihipStream_tbENKUlT_T0_E_clISt17integral_constantIbLb0EES14_EEDaSZ_S10_EUlSZ_E_NS1_11comp_targetILNS1_3genE0ELNS1_11target_archE4294967295ELNS1_3gpuE0ELNS1_3repE0EEENS1_30default_config_static_selectorELNS0_4arch9wavefront6targetE1EEEvT1_.kd
    .uniform_work_group_size: 1
    .uses_dynamic_stack: false
    .vgpr_count:     0
    .vgpr_spill_count: 0
    .wavefront_size: 64
  - .agpr_count:     0
    .args:
      - .offset:         0
        .size:           120
        .value_kind:     by_value
    .group_segment_fixed_size: 0
    .kernarg_segment_align: 8
    .kernarg_segment_size: 120
    .language:       OpenCL C
    .language_version:
      - 2
      - 0
    .max_flat_workgroup_size: 128
    .name:           _ZN7rocprim17ROCPRIM_400000_NS6detail17trampoline_kernelINS0_14default_configENS1_27scan_by_key_config_selectorIssEEZZNS1_16scan_by_key_implILNS1_25lookback_scan_determinismE0ELb0ES3_N6thrust23THRUST_200600_302600_NS6detail15normal_iteratorINS9_10device_ptrIsEEEENS9_18transform_iteratorINS9_6negateIsEESE_NS9_11use_defaultESI_EESE_sNS9_4plusIvEENS9_8equal_toIvEEsEE10hipError_tPvRmT2_T3_T4_T5_mT6_T7_P12ihipStream_tbENKUlT_T0_E_clISt17integral_constantIbLb0EES14_EEDaSZ_S10_EUlSZ_E_NS1_11comp_targetILNS1_3genE10ELNS1_11target_archE1201ELNS1_3gpuE5ELNS1_3repE0EEENS1_30default_config_static_selectorELNS0_4arch9wavefront6targetE1EEEvT1_
    .private_segment_fixed_size: 0
    .sgpr_count:     4
    .sgpr_spill_count: 0
    .symbol:         _ZN7rocprim17ROCPRIM_400000_NS6detail17trampoline_kernelINS0_14default_configENS1_27scan_by_key_config_selectorIssEEZZNS1_16scan_by_key_implILNS1_25lookback_scan_determinismE0ELb0ES3_N6thrust23THRUST_200600_302600_NS6detail15normal_iteratorINS9_10device_ptrIsEEEENS9_18transform_iteratorINS9_6negateIsEESE_NS9_11use_defaultESI_EESE_sNS9_4plusIvEENS9_8equal_toIvEEsEE10hipError_tPvRmT2_T3_T4_T5_mT6_T7_P12ihipStream_tbENKUlT_T0_E_clISt17integral_constantIbLb0EES14_EEDaSZ_S10_EUlSZ_E_NS1_11comp_targetILNS1_3genE10ELNS1_11target_archE1201ELNS1_3gpuE5ELNS1_3repE0EEENS1_30default_config_static_selectorELNS0_4arch9wavefront6targetE1EEEvT1_.kd
    .uniform_work_group_size: 1
    .uses_dynamic_stack: false
    .vgpr_count:     0
    .vgpr_spill_count: 0
    .wavefront_size: 64
  - .agpr_count:     0
    .args:
      - .offset:         0
        .size:           120
        .value_kind:     by_value
    .group_segment_fixed_size: 0
    .kernarg_segment_align: 8
    .kernarg_segment_size: 120
    .language:       OpenCL C
    .language_version:
      - 2
      - 0
    .max_flat_workgroup_size: 256
    .name:           _ZN7rocprim17ROCPRIM_400000_NS6detail17trampoline_kernelINS0_14default_configENS1_27scan_by_key_config_selectorIssEEZZNS1_16scan_by_key_implILNS1_25lookback_scan_determinismE0ELb0ES3_N6thrust23THRUST_200600_302600_NS6detail15normal_iteratorINS9_10device_ptrIsEEEENS9_18transform_iteratorINS9_6negateIsEESE_NS9_11use_defaultESI_EESE_sNS9_4plusIvEENS9_8equal_toIvEEsEE10hipError_tPvRmT2_T3_T4_T5_mT6_T7_P12ihipStream_tbENKUlT_T0_E_clISt17integral_constantIbLb0EES14_EEDaSZ_S10_EUlSZ_E_NS1_11comp_targetILNS1_3genE5ELNS1_11target_archE942ELNS1_3gpuE9ELNS1_3repE0EEENS1_30default_config_static_selectorELNS0_4arch9wavefront6targetE1EEEvT1_
    .private_segment_fixed_size: 0
    .sgpr_count:     4
    .sgpr_spill_count: 0
    .symbol:         _ZN7rocprim17ROCPRIM_400000_NS6detail17trampoline_kernelINS0_14default_configENS1_27scan_by_key_config_selectorIssEEZZNS1_16scan_by_key_implILNS1_25lookback_scan_determinismE0ELb0ES3_N6thrust23THRUST_200600_302600_NS6detail15normal_iteratorINS9_10device_ptrIsEEEENS9_18transform_iteratorINS9_6negateIsEESE_NS9_11use_defaultESI_EESE_sNS9_4plusIvEENS9_8equal_toIvEEsEE10hipError_tPvRmT2_T3_T4_T5_mT6_T7_P12ihipStream_tbENKUlT_T0_E_clISt17integral_constantIbLb0EES14_EEDaSZ_S10_EUlSZ_E_NS1_11comp_targetILNS1_3genE5ELNS1_11target_archE942ELNS1_3gpuE9ELNS1_3repE0EEENS1_30default_config_static_selectorELNS0_4arch9wavefront6targetE1EEEvT1_.kd
    .uniform_work_group_size: 1
    .uses_dynamic_stack: false
    .vgpr_count:     0
    .vgpr_spill_count: 0
    .wavefront_size: 64
  - .agpr_count:     0
    .args:
      - .offset:         0
        .size:           120
        .value_kind:     by_value
    .group_segment_fixed_size: 12288
    .kernarg_segment_align: 8
    .kernarg_segment_size: 120
    .language:       OpenCL C
    .language_version:
      - 2
      - 0
    .max_flat_workgroup_size: 256
    .name:           _ZN7rocprim17ROCPRIM_400000_NS6detail17trampoline_kernelINS0_14default_configENS1_27scan_by_key_config_selectorIssEEZZNS1_16scan_by_key_implILNS1_25lookback_scan_determinismE0ELb0ES3_N6thrust23THRUST_200600_302600_NS6detail15normal_iteratorINS9_10device_ptrIsEEEENS9_18transform_iteratorINS9_6negateIsEESE_NS9_11use_defaultESI_EESE_sNS9_4plusIvEENS9_8equal_toIvEEsEE10hipError_tPvRmT2_T3_T4_T5_mT6_T7_P12ihipStream_tbENKUlT_T0_E_clISt17integral_constantIbLb0EES14_EEDaSZ_S10_EUlSZ_E_NS1_11comp_targetILNS1_3genE4ELNS1_11target_archE910ELNS1_3gpuE8ELNS1_3repE0EEENS1_30default_config_static_selectorELNS0_4arch9wavefront6targetE1EEEvT1_
    .private_segment_fixed_size: 0
    .sgpr_count:     82
    .sgpr_spill_count: 0
    .symbol:         _ZN7rocprim17ROCPRIM_400000_NS6detail17trampoline_kernelINS0_14default_configENS1_27scan_by_key_config_selectorIssEEZZNS1_16scan_by_key_implILNS1_25lookback_scan_determinismE0ELb0ES3_N6thrust23THRUST_200600_302600_NS6detail15normal_iteratorINS9_10device_ptrIsEEEENS9_18transform_iteratorINS9_6negateIsEESE_NS9_11use_defaultESI_EESE_sNS9_4plusIvEENS9_8equal_toIvEEsEE10hipError_tPvRmT2_T3_T4_T5_mT6_T7_P12ihipStream_tbENKUlT_T0_E_clISt17integral_constantIbLb0EES14_EEDaSZ_S10_EUlSZ_E_NS1_11comp_targetILNS1_3genE4ELNS1_11target_archE910ELNS1_3gpuE8ELNS1_3repE0EEENS1_30default_config_static_selectorELNS0_4arch9wavefront6targetE1EEEvT1_.kd
    .uniform_work_group_size: 1
    .uses_dynamic_stack: false
    .vgpr_count:     58
    .vgpr_spill_count: 0
    .wavefront_size: 64
  - .agpr_count:     0
    .args:
      - .offset:         0
        .size:           120
        .value_kind:     by_value
    .group_segment_fixed_size: 0
    .kernarg_segment_align: 8
    .kernarg_segment_size: 120
    .language:       OpenCL C
    .language_version:
      - 2
      - 0
    .max_flat_workgroup_size: 256
    .name:           _ZN7rocprim17ROCPRIM_400000_NS6detail17trampoline_kernelINS0_14default_configENS1_27scan_by_key_config_selectorIssEEZZNS1_16scan_by_key_implILNS1_25lookback_scan_determinismE0ELb0ES3_N6thrust23THRUST_200600_302600_NS6detail15normal_iteratorINS9_10device_ptrIsEEEENS9_18transform_iteratorINS9_6negateIsEESE_NS9_11use_defaultESI_EESE_sNS9_4plusIvEENS9_8equal_toIvEEsEE10hipError_tPvRmT2_T3_T4_T5_mT6_T7_P12ihipStream_tbENKUlT_T0_E_clISt17integral_constantIbLb0EES14_EEDaSZ_S10_EUlSZ_E_NS1_11comp_targetILNS1_3genE3ELNS1_11target_archE908ELNS1_3gpuE7ELNS1_3repE0EEENS1_30default_config_static_selectorELNS0_4arch9wavefront6targetE1EEEvT1_
    .private_segment_fixed_size: 0
    .sgpr_count:     4
    .sgpr_spill_count: 0
    .symbol:         _ZN7rocprim17ROCPRIM_400000_NS6detail17trampoline_kernelINS0_14default_configENS1_27scan_by_key_config_selectorIssEEZZNS1_16scan_by_key_implILNS1_25lookback_scan_determinismE0ELb0ES3_N6thrust23THRUST_200600_302600_NS6detail15normal_iteratorINS9_10device_ptrIsEEEENS9_18transform_iteratorINS9_6negateIsEESE_NS9_11use_defaultESI_EESE_sNS9_4plusIvEENS9_8equal_toIvEEsEE10hipError_tPvRmT2_T3_T4_T5_mT6_T7_P12ihipStream_tbENKUlT_T0_E_clISt17integral_constantIbLb0EES14_EEDaSZ_S10_EUlSZ_E_NS1_11comp_targetILNS1_3genE3ELNS1_11target_archE908ELNS1_3gpuE7ELNS1_3repE0EEENS1_30default_config_static_selectorELNS0_4arch9wavefront6targetE1EEEvT1_.kd
    .uniform_work_group_size: 1
    .uses_dynamic_stack: false
    .vgpr_count:     0
    .vgpr_spill_count: 0
    .wavefront_size: 64
  - .agpr_count:     0
    .args:
      - .offset:         0
        .size:           120
        .value_kind:     by_value
    .group_segment_fixed_size: 0
    .kernarg_segment_align: 8
    .kernarg_segment_size: 120
    .language:       OpenCL C
    .language_version:
      - 2
      - 0
    .max_flat_workgroup_size: 64
    .name:           _ZN7rocprim17ROCPRIM_400000_NS6detail17trampoline_kernelINS0_14default_configENS1_27scan_by_key_config_selectorIssEEZZNS1_16scan_by_key_implILNS1_25lookback_scan_determinismE0ELb0ES3_N6thrust23THRUST_200600_302600_NS6detail15normal_iteratorINS9_10device_ptrIsEEEENS9_18transform_iteratorINS9_6negateIsEESE_NS9_11use_defaultESI_EESE_sNS9_4plusIvEENS9_8equal_toIvEEsEE10hipError_tPvRmT2_T3_T4_T5_mT6_T7_P12ihipStream_tbENKUlT_T0_E_clISt17integral_constantIbLb0EES14_EEDaSZ_S10_EUlSZ_E_NS1_11comp_targetILNS1_3genE2ELNS1_11target_archE906ELNS1_3gpuE6ELNS1_3repE0EEENS1_30default_config_static_selectorELNS0_4arch9wavefront6targetE1EEEvT1_
    .private_segment_fixed_size: 0
    .sgpr_count:     4
    .sgpr_spill_count: 0
    .symbol:         _ZN7rocprim17ROCPRIM_400000_NS6detail17trampoline_kernelINS0_14default_configENS1_27scan_by_key_config_selectorIssEEZZNS1_16scan_by_key_implILNS1_25lookback_scan_determinismE0ELb0ES3_N6thrust23THRUST_200600_302600_NS6detail15normal_iteratorINS9_10device_ptrIsEEEENS9_18transform_iteratorINS9_6negateIsEESE_NS9_11use_defaultESI_EESE_sNS9_4plusIvEENS9_8equal_toIvEEsEE10hipError_tPvRmT2_T3_T4_T5_mT6_T7_P12ihipStream_tbENKUlT_T0_E_clISt17integral_constantIbLb0EES14_EEDaSZ_S10_EUlSZ_E_NS1_11comp_targetILNS1_3genE2ELNS1_11target_archE906ELNS1_3gpuE6ELNS1_3repE0EEENS1_30default_config_static_selectorELNS0_4arch9wavefront6targetE1EEEvT1_.kd
    .uniform_work_group_size: 1
    .uses_dynamic_stack: false
    .vgpr_count:     0
    .vgpr_spill_count: 0
    .wavefront_size: 64
  - .agpr_count:     0
    .args:
      - .offset:         0
        .size:           120
        .value_kind:     by_value
    .group_segment_fixed_size: 0
    .kernarg_segment_align: 8
    .kernarg_segment_size: 120
    .language:       OpenCL C
    .language_version:
      - 2
      - 0
    .max_flat_workgroup_size: 256
    .name:           _ZN7rocprim17ROCPRIM_400000_NS6detail17trampoline_kernelINS0_14default_configENS1_27scan_by_key_config_selectorIssEEZZNS1_16scan_by_key_implILNS1_25lookback_scan_determinismE0ELb0ES3_N6thrust23THRUST_200600_302600_NS6detail15normal_iteratorINS9_10device_ptrIsEEEENS9_18transform_iteratorINS9_6negateIsEESE_NS9_11use_defaultESI_EESE_sNS9_4plusIvEENS9_8equal_toIvEEsEE10hipError_tPvRmT2_T3_T4_T5_mT6_T7_P12ihipStream_tbENKUlT_T0_E_clISt17integral_constantIbLb0EES14_EEDaSZ_S10_EUlSZ_E_NS1_11comp_targetILNS1_3genE10ELNS1_11target_archE1200ELNS1_3gpuE4ELNS1_3repE0EEENS1_30default_config_static_selectorELNS0_4arch9wavefront6targetE1EEEvT1_
    .private_segment_fixed_size: 0
    .sgpr_count:     4
    .sgpr_spill_count: 0
    .symbol:         _ZN7rocprim17ROCPRIM_400000_NS6detail17trampoline_kernelINS0_14default_configENS1_27scan_by_key_config_selectorIssEEZZNS1_16scan_by_key_implILNS1_25lookback_scan_determinismE0ELb0ES3_N6thrust23THRUST_200600_302600_NS6detail15normal_iteratorINS9_10device_ptrIsEEEENS9_18transform_iteratorINS9_6negateIsEESE_NS9_11use_defaultESI_EESE_sNS9_4plusIvEENS9_8equal_toIvEEsEE10hipError_tPvRmT2_T3_T4_T5_mT6_T7_P12ihipStream_tbENKUlT_T0_E_clISt17integral_constantIbLb0EES14_EEDaSZ_S10_EUlSZ_E_NS1_11comp_targetILNS1_3genE10ELNS1_11target_archE1200ELNS1_3gpuE4ELNS1_3repE0EEENS1_30default_config_static_selectorELNS0_4arch9wavefront6targetE1EEEvT1_.kd
    .uniform_work_group_size: 1
    .uses_dynamic_stack: false
    .vgpr_count:     0
    .vgpr_spill_count: 0
    .wavefront_size: 64
  - .agpr_count:     0
    .args:
      - .offset:         0
        .size:           120
        .value_kind:     by_value
    .group_segment_fixed_size: 0
    .kernarg_segment_align: 8
    .kernarg_segment_size: 120
    .language:       OpenCL C
    .language_version:
      - 2
      - 0
    .max_flat_workgroup_size: 256
    .name:           _ZN7rocprim17ROCPRIM_400000_NS6detail17trampoline_kernelINS0_14default_configENS1_27scan_by_key_config_selectorIssEEZZNS1_16scan_by_key_implILNS1_25lookback_scan_determinismE0ELb0ES3_N6thrust23THRUST_200600_302600_NS6detail15normal_iteratorINS9_10device_ptrIsEEEENS9_18transform_iteratorINS9_6negateIsEESE_NS9_11use_defaultESI_EESE_sNS9_4plusIvEENS9_8equal_toIvEEsEE10hipError_tPvRmT2_T3_T4_T5_mT6_T7_P12ihipStream_tbENKUlT_T0_E_clISt17integral_constantIbLb0EES14_EEDaSZ_S10_EUlSZ_E_NS1_11comp_targetILNS1_3genE9ELNS1_11target_archE1100ELNS1_3gpuE3ELNS1_3repE0EEENS1_30default_config_static_selectorELNS0_4arch9wavefront6targetE1EEEvT1_
    .private_segment_fixed_size: 0
    .sgpr_count:     4
    .sgpr_spill_count: 0
    .symbol:         _ZN7rocprim17ROCPRIM_400000_NS6detail17trampoline_kernelINS0_14default_configENS1_27scan_by_key_config_selectorIssEEZZNS1_16scan_by_key_implILNS1_25lookback_scan_determinismE0ELb0ES3_N6thrust23THRUST_200600_302600_NS6detail15normal_iteratorINS9_10device_ptrIsEEEENS9_18transform_iteratorINS9_6negateIsEESE_NS9_11use_defaultESI_EESE_sNS9_4plusIvEENS9_8equal_toIvEEsEE10hipError_tPvRmT2_T3_T4_T5_mT6_T7_P12ihipStream_tbENKUlT_T0_E_clISt17integral_constantIbLb0EES14_EEDaSZ_S10_EUlSZ_E_NS1_11comp_targetILNS1_3genE9ELNS1_11target_archE1100ELNS1_3gpuE3ELNS1_3repE0EEENS1_30default_config_static_selectorELNS0_4arch9wavefront6targetE1EEEvT1_.kd
    .uniform_work_group_size: 1
    .uses_dynamic_stack: false
    .vgpr_count:     0
    .vgpr_spill_count: 0
    .wavefront_size: 64
  - .agpr_count:     0
    .args:
      - .offset:         0
        .size:           120
        .value_kind:     by_value
    .group_segment_fixed_size: 0
    .kernarg_segment_align: 8
    .kernarg_segment_size: 120
    .language:       OpenCL C
    .language_version:
      - 2
      - 0
    .max_flat_workgroup_size: 64
    .name:           _ZN7rocprim17ROCPRIM_400000_NS6detail17trampoline_kernelINS0_14default_configENS1_27scan_by_key_config_selectorIssEEZZNS1_16scan_by_key_implILNS1_25lookback_scan_determinismE0ELb0ES3_N6thrust23THRUST_200600_302600_NS6detail15normal_iteratorINS9_10device_ptrIsEEEENS9_18transform_iteratorINS9_6negateIsEESE_NS9_11use_defaultESI_EESE_sNS9_4plusIvEENS9_8equal_toIvEEsEE10hipError_tPvRmT2_T3_T4_T5_mT6_T7_P12ihipStream_tbENKUlT_T0_E_clISt17integral_constantIbLb0EES14_EEDaSZ_S10_EUlSZ_E_NS1_11comp_targetILNS1_3genE8ELNS1_11target_archE1030ELNS1_3gpuE2ELNS1_3repE0EEENS1_30default_config_static_selectorELNS0_4arch9wavefront6targetE1EEEvT1_
    .private_segment_fixed_size: 0
    .sgpr_count:     4
    .sgpr_spill_count: 0
    .symbol:         _ZN7rocprim17ROCPRIM_400000_NS6detail17trampoline_kernelINS0_14default_configENS1_27scan_by_key_config_selectorIssEEZZNS1_16scan_by_key_implILNS1_25lookback_scan_determinismE0ELb0ES3_N6thrust23THRUST_200600_302600_NS6detail15normal_iteratorINS9_10device_ptrIsEEEENS9_18transform_iteratorINS9_6negateIsEESE_NS9_11use_defaultESI_EESE_sNS9_4plusIvEENS9_8equal_toIvEEsEE10hipError_tPvRmT2_T3_T4_T5_mT6_T7_P12ihipStream_tbENKUlT_T0_E_clISt17integral_constantIbLb0EES14_EEDaSZ_S10_EUlSZ_E_NS1_11comp_targetILNS1_3genE8ELNS1_11target_archE1030ELNS1_3gpuE2ELNS1_3repE0EEENS1_30default_config_static_selectorELNS0_4arch9wavefront6targetE1EEEvT1_.kd
    .uniform_work_group_size: 1
    .uses_dynamic_stack: false
    .vgpr_count:     0
    .vgpr_spill_count: 0
    .wavefront_size: 64
  - .agpr_count:     0
    .args:
      - .offset:         0
        .size:           120
        .value_kind:     by_value
    .group_segment_fixed_size: 0
    .kernarg_segment_align: 8
    .kernarg_segment_size: 120
    .language:       OpenCL C
    .language_version:
      - 2
      - 0
    .max_flat_workgroup_size: 256
    .name:           _ZN7rocprim17ROCPRIM_400000_NS6detail17trampoline_kernelINS0_14default_configENS1_27scan_by_key_config_selectorIssEEZZNS1_16scan_by_key_implILNS1_25lookback_scan_determinismE0ELb0ES3_N6thrust23THRUST_200600_302600_NS6detail15normal_iteratorINS9_10device_ptrIsEEEENS9_18transform_iteratorINS9_6negateIsEESE_NS9_11use_defaultESI_EESE_sNS9_4plusIvEENS9_8equal_toIvEEsEE10hipError_tPvRmT2_T3_T4_T5_mT6_T7_P12ihipStream_tbENKUlT_T0_E_clISt17integral_constantIbLb1EES14_EEDaSZ_S10_EUlSZ_E_NS1_11comp_targetILNS1_3genE0ELNS1_11target_archE4294967295ELNS1_3gpuE0ELNS1_3repE0EEENS1_30default_config_static_selectorELNS0_4arch9wavefront6targetE1EEEvT1_
    .private_segment_fixed_size: 0
    .sgpr_count:     4
    .sgpr_spill_count: 0
    .symbol:         _ZN7rocprim17ROCPRIM_400000_NS6detail17trampoline_kernelINS0_14default_configENS1_27scan_by_key_config_selectorIssEEZZNS1_16scan_by_key_implILNS1_25lookback_scan_determinismE0ELb0ES3_N6thrust23THRUST_200600_302600_NS6detail15normal_iteratorINS9_10device_ptrIsEEEENS9_18transform_iteratorINS9_6negateIsEESE_NS9_11use_defaultESI_EESE_sNS9_4plusIvEENS9_8equal_toIvEEsEE10hipError_tPvRmT2_T3_T4_T5_mT6_T7_P12ihipStream_tbENKUlT_T0_E_clISt17integral_constantIbLb1EES14_EEDaSZ_S10_EUlSZ_E_NS1_11comp_targetILNS1_3genE0ELNS1_11target_archE4294967295ELNS1_3gpuE0ELNS1_3repE0EEENS1_30default_config_static_selectorELNS0_4arch9wavefront6targetE1EEEvT1_.kd
    .uniform_work_group_size: 1
    .uses_dynamic_stack: false
    .vgpr_count:     0
    .vgpr_spill_count: 0
    .wavefront_size: 64
  - .agpr_count:     0
    .args:
      - .offset:         0
        .size:           120
        .value_kind:     by_value
    .group_segment_fixed_size: 0
    .kernarg_segment_align: 8
    .kernarg_segment_size: 120
    .language:       OpenCL C
    .language_version:
      - 2
      - 0
    .max_flat_workgroup_size: 128
    .name:           _ZN7rocprim17ROCPRIM_400000_NS6detail17trampoline_kernelINS0_14default_configENS1_27scan_by_key_config_selectorIssEEZZNS1_16scan_by_key_implILNS1_25lookback_scan_determinismE0ELb0ES3_N6thrust23THRUST_200600_302600_NS6detail15normal_iteratorINS9_10device_ptrIsEEEENS9_18transform_iteratorINS9_6negateIsEESE_NS9_11use_defaultESI_EESE_sNS9_4plusIvEENS9_8equal_toIvEEsEE10hipError_tPvRmT2_T3_T4_T5_mT6_T7_P12ihipStream_tbENKUlT_T0_E_clISt17integral_constantIbLb1EES14_EEDaSZ_S10_EUlSZ_E_NS1_11comp_targetILNS1_3genE10ELNS1_11target_archE1201ELNS1_3gpuE5ELNS1_3repE0EEENS1_30default_config_static_selectorELNS0_4arch9wavefront6targetE1EEEvT1_
    .private_segment_fixed_size: 0
    .sgpr_count:     4
    .sgpr_spill_count: 0
    .symbol:         _ZN7rocprim17ROCPRIM_400000_NS6detail17trampoline_kernelINS0_14default_configENS1_27scan_by_key_config_selectorIssEEZZNS1_16scan_by_key_implILNS1_25lookback_scan_determinismE0ELb0ES3_N6thrust23THRUST_200600_302600_NS6detail15normal_iteratorINS9_10device_ptrIsEEEENS9_18transform_iteratorINS9_6negateIsEESE_NS9_11use_defaultESI_EESE_sNS9_4plusIvEENS9_8equal_toIvEEsEE10hipError_tPvRmT2_T3_T4_T5_mT6_T7_P12ihipStream_tbENKUlT_T0_E_clISt17integral_constantIbLb1EES14_EEDaSZ_S10_EUlSZ_E_NS1_11comp_targetILNS1_3genE10ELNS1_11target_archE1201ELNS1_3gpuE5ELNS1_3repE0EEENS1_30default_config_static_selectorELNS0_4arch9wavefront6targetE1EEEvT1_.kd
    .uniform_work_group_size: 1
    .uses_dynamic_stack: false
    .vgpr_count:     0
    .vgpr_spill_count: 0
    .wavefront_size: 64
  - .agpr_count:     0
    .args:
      - .offset:         0
        .size:           120
        .value_kind:     by_value
    .group_segment_fixed_size: 0
    .kernarg_segment_align: 8
    .kernarg_segment_size: 120
    .language:       OpenCL C
    .language_version:
      - 2
      - 0
    .max_flat_workgroup_size: 256
    .name:           _ZN7rocprim17ROCPRIM_400000_NS6detail17trampoline_kernelINS0_14default_configENS1_27scan_by_key_config_selectorIssEEZZNS1_16scan_by_key_implILNS1_25lookback_scan_determinismE0ELb0ES3_N6thrust23THRUST_200600_302600_NS6detail15normal_iteratorINS9_10device_ptrIsEEEENS9_18transform_iteratorINS9_6negateIsEESE_NS9_11use_defaultESI_EESE_sNS9_4plusIvEENS9_8equal_toIvEEsEE10hipError_tPvRmT2_T3_T4_T5_mT6_T7_P12ihipStream_tbENKUlT_T0_E_clISt17integral_constantIbLb1EES14_EEDaSZ_S10_EUlSZ_E_NS1_11comp_targetILNS1_3genE5ELNS1_11target_archE942ELNS1_3gpuE9ELNS1_3repE0EEENS1_30default_config_static_selectorELNS0_4arch9wavefront6targetE1EEEvT1_
    .private_segment_fixed_size: 0
    .sgpr_count:     4
    .sgpr_spill_count: 0
    .symbol:         _ZN7rocprim17ROCPRIM_400000_NS6detail17trampoline_kernelINS0_14default_configENS1_27scan_by_key_config_selectorIssEEZZNS1_16scan_by_key_implILNS1_25lookback_scan_determinismE0ELb0ES3_N6thrust23THRUST_200600_302600_NS6detail15normal_iteratorINS9_10device_ptrIsEEEENS9_18transform_iteratorINS9_6negateIsEESE_NS9_11use_defaultESI_EESE_sNS9_4plusIvEENS9_8equal_toIvEEsEE10hipError_tPvRmT2_T3_T4_T5_mT6_T7_P12ihipStream_tbENKUlT_T0_E_clISt17integral_constantIbLb1EES14_EEDaSZ_S10_EUlSZ_E_NS1_11comp_targetILNS1_3genE5ELNS1_11target_archE942ELNS1_3gpuE9ELNS1_3repE0EEENS1_30default_config_static_selectorELNS0_4arch9wavefront6targetE1EEEvT1_.kd
    .uniform_work_group_size: 1
    .uses_dynamic_stack: false
    .vgpr_count:     0
    .vgpr_spill_count: 0
    .wavefront_size: 64
  - .agpr_count:     0
    .args:
      - .offset:         0
        .size:           120
        .value_kind:     by_value
    .group_segment_fixed_size: 12288
    .kernarg_segment_align: 8
    .kernarg_segment_size: 120
    .language:       OpenCL C
    .language_version:
      - 2
      - 0
    .max_flat_workgroup_size: 256
    .name:           _ZN7rocprim17ROCPRIM_400000_NS6detail17trampoline_kernelINS0_14default_configENS1_27scan_by_key_config_selectorIssEEZZNS1_16scan_by_key_implILNS1_25lookback_scan_determinismE0ELb0ES3_N6thrust23THRUST_200600_302600_NS6detail15normal_iteratorINS9_10device_ptrIsEEEENS9_18transform_iteratorINS9_6negateIsEESE_NS9_11use_defaultESI_EESE_sNS9_4plusIvEENS9_8equal_toIvEEsEE10hipError_tPvRmT2_T3_T4_T5_mT6_T7_P12ihipStream_tbENKUlT_T0_E_clISt17integral_constantIbLb1EES14_EEDaSZ_S10_EUlSZ_E_NS1_11comp_targetILNS1_3genE4ELNS1_11target_archE910ELNS1_3gpuE8ELNS1_3repE0EEENS1_30default_config_static_selectorELNS0_4arch9wavefront6targetE1EEEvT1_
    .private_segment_fixed_size: 0
    .sgpr_count:     86
    .sgpr_spill_count: 0
    .symbol:         _ZN7rocprim17ROCPRIM_400000_NS6detail17trampoline_kernelINS0_14default_configENS1_27scan_by_key_config_selectorIssEEZZNS1_16scan_by_key_implILNS1_25lookback_scan_determinismE0ELb0ES3_N6thrust23THRUST_200600_302600_NS6detail15normal_iteratorINS9_10device_ptrIsEEEENS9_18transform_iteratorINS9_6negateIsEESE_NS9_11use_defaultESI_EESE_sNS9_4plusIvEENS9_8equal_toIvEEsEE10hipError_tPvRmT2_T3_T4_T5_mT6_T7_P12ihipStream_tbENKUlT_T0_E_clISt17integral_constantIbLb1EES14_EEDaSZ_S10_EUlSZ_E_NS1_11comp_targetILNS1_3genE4ELNS1_11target_archE910ELNS1_3gpuE8ELNS1_3repE0EEENS1_30default_config_static_selectorELNS0_4arch9wavefront6targetE1EEEvT1_.kd
    .uniform_work_group_size: 1
    .uses_dynamic_stack: false
    .vgpr_count:     58
    .vgpr_spill_count: 0
    .wavefront_size: 64
  - .agpr_count:     0
    .args:
      - .offset:         0
        .size:           120
        .value_kind:     by_value
    .group_segment_fixed_size: 0
    .kernarg_segment_align: 8
    .kernarg_segment_size: 120
    .language:       OpenCL C
    .language_version:
      - 2
      - 0
    .max_flat_workgroup_size: 256
    .name:           _ZN7rocprim17ROCPRIM_400000_NS6detail17trampoline_kernelINS0_14default_configENS1_27scan_by_key_config_selectorIssEEZZNS1_16scan_by_key_implILNS1_25lookback_scan_determinismE0ELb0ES3_N6thrust23THRUST_200600_302600_NS6detail15normal_iteratorINS9_10device_ptrIsEEEENS9_18transform_iteratorINS9_6negateIsEESE_NS9_11use_defaultESI_EESE_sNS9_4plusIvEENS9_8equal_toIvEEsEE10hipError_tPvRmT2_T3_T4_T5_mT6_T7_P12ihipStream_tbENKUlT_T0_E_clISt17integral_constantIbLb1EES14_EEDaSZ_S10_EUlSZ_E_NS1_11comp_targetILNS1_3genE3ELNS1_11target_archE908ELNS1_3gpuE7ELNS1_3repE0EEENS1_30default_config_static_selectorELNS0_4arch9wavefront6targetE1EEEvT1_
    .private_segment_fixed_size: 0
    .sgpr_count:     4
    .sgpr_spill_count: 0
    .symbol:         _ZN7rocprim17ROCPRIM_400000_NS6detail17trampoline_kernelINS0_14default_configENS1_27scan_by_key_config_selectorIssEEZZNS1_16scan_by_key_implILNS1_25lookback_scan_determinismE0ELb0ES3_N6thrust23THRUST_200600_302600_NS6detail15normal_iteratorINS9_10device_ptrIsEEEENS9_18transform_iteratorINS9_6negateIsEESE_NS9_11use_defaultESI_EESE_sNS9_4plusIvEENS9_8equal_toIvEEsEE10hipError_tPvRmT2_T3_T4_T5_mT6_T7_P12ihipStream_tbENKUlT_T0_E_clISt17integral_constantIbLb1EES14_EEDaSZ_S10_EUlSZ_E_NS1_11comp_targetILNS1_3genE3ELNS1_11target_archE908ELNS1_3gpuE7ELNS1_3repE0EEENS1_30default_config_static_selectorELNS0_4arch9wavefront6targetE1EEEvT1_.kd
    .uniform_work_group_size: 1
    .uses_dynamic_stack: false
    .vgpr_count:     0
    .vgpr_spill_count: 0
    .wavefront_size: 64
  - .agpr_count:     0
    .args:
      - .offset:         0
        .size:           120
        .value_kind:     by_value
    .group_segment_fixed_size: 0
    .kernarg_segment_align: 8
    .kernarg_segment_size: 120
    .language:       OpenCL C
    .language_version:
      - 2
      - 0
    .max_flat_workgroup_size: 64
    .name:           _ZN7rocprim17ROCPRIM_400000_NS6detail17trampoline_kernelINS0_14default_configENS1_27scan_by_key_config_selectorIssEEZZNS1_16scan_by_key_implILNS1_25lookback_scan_determinismE0ELb0ES3_N6thrust23THRUST_200600_302600_NS6detail15normal_iteratorINS9_10device_ptrIsEEEENS9_18transform_iteratorINS9_6negateIsEESE_NS9_11use_defaultESI_EESE_sNS9_4plusIvEENS9_8equal_toIvEEsEE10hipError_tPvRmT2_T3_T4_T5_mT6_T7_P12ihipStream_tbENKUlT_T0_E_clISt17integral_constantIbLb1EES14_EEDaSZ_S10_EUlSZ_E_NS1_11comp_targetILNS1_3genE2ELNS1_11target_archE906ELNS1_3gpuE6ELNS1_3repE0EEENS1_30default_config_static_selectorELNS0_4arch9wavefront6targetE1EEEvT1_
    .private_segment_fixed_size: 0
    .sgpr_count:     4
    .sgpr_spill_count: 0
    .symbol:         _ZN7rocprim17ROCPRIM_400000_NS6detail17trampoline_kernelINS0_14default_configENS1_27scan_by_key_config_selectorIssEEZZNS1_16scan_by_key_implILNS1_25lookback_scan_determinismE0ELb0ES3_N6thrust23THRUST_200600_302600_NS6detail15normal_iteratorINS9_10device_ptrIsEEEENS9_18transform_iteratorINS9_6negateIsEESE_NS9_11use_defaultESI_EESE_sNS9_4plusIvEENS9_8equal_toIvEEsEE10hipError_tPvRmT2_T3_T4_T5_mT6_T7_P12ihipStream_tbENKUlT_T0_E_clISt17integral_constantIbLb1EES14_EEDaSZ_S10_EUlSZ_E_NS1_11comp_targetILNS1_3genE2ELNS1_11target_archE906ELNS1_3gpuE6ELNS1_3repE0EEENS1_30default_config_static_selectorELNS0_4arch9wavefront6targetE1EEEvT1_.kd
    .uniform_work_group_size: 1
    .uses_dynamic_stack: false
    .vgpr_count:     0
    .vgpr_spill_count: 0
    .wavefront_size: 64
  - .agpr_count:     0
    .args:
      - .offset:         0
        .size:           120
        .value_kind:     by_value
    .group_segment_fixed_size: 0
    .kernarg_segment_align: 8
    .kernarg_segment_size: 120
    .language:       OpenCL C
    .language_version:
      - 2
      - 0
    .max_flat_workgroup_size: 256
    .name:           _ZN7rocprim17ROCPRIM_400000_NS6detail17trampoline_kernelINS0_14default_configENS1_27scan_by_key_config_selectorIssEEZZNS1_16scan_by_key_implILNS1_25lookback_scan_determinismE0ELb0ES3_N6thrust23THRUST_200600_302600_NS6detail15normal_iteratorINS9_10device_ptrIsEEEENS9_18transform_iteratorINS9_6negateIsEESE_NS9_11use_defaultESI_EESE_sNS9_4plusIvEENS9_8equal_toIvEEsEE10hipError_tPvRmT2_T3_T4_T5_mT6_T7_P12ihipStream_tbENKUlT_T0_E_clISt17integral_constantIbLb1EES14_EEDaSZ_S10_EUlSZ_E_NS1_11comp_targetILNS1_3genE10ELNS1_11target_archE1200ELNS1_3gpuE4ELNS1_3repE0EEENS1_30default_config_static_selectorELNS0_4arch9wavefront6targetE1EEEvT1_
    .private_segment_fixed_size: 0
    .sgpr_count:     4
    .sgpr_spill_count: 0
    .symbol:         _ZN7rocprim17ROCPRIM_400000_NS6detail17trampoline_kernelINS0_14default_configENS1_27scan_by_key_config_selectorIssEEZZNS1_16scan_by_key_implILNS1_25lookback_scan_determinismE0ELb0ES3_N6thrust23THRUST_200600_302600_NS6detail15normal_iteratorINS9_10device_ptrIsEEEENS9_18transform_iteratorINS9_6negateIsEESE_NS9_11use_defaultESI_EESE_sNS9_4plusIvEENS9_8equal_toIvEEsEE10hipError_tPvRmT2_T3_T4_T5_mT6_T7_P12ihipStream_tbENKUlT_T0_E_clISt17integral_constantIbLb1EES14_EEDaSZ_S10_EUlSZ_E_NS1_11comp_targetILNS1_3genE10ELNS1_11target_archE1200ELNS1_3gpuE4ELNS1_3repE0EEENS1_30default_config_static_selectorELNS0_4arch9wavefront6targetE1EEEvT1_.kd
    .uniform_work_group_size: 1
    .uses_dynamic_stack: false
    .vgpr_count:     0
    .vgpr_spill_count: 0
    .wavefront_size: 64
  - .agpr_count:     0
    .args:
      - .offset:         0
        .size:           120
        .value_kind:     by_value
    .group_segment_fixed_size: 0
    .kernarg_segment_align: 8
    .kernarg_segment_size: 120
    .language:       OpenCL C
    .language_version:
      - 2
      - 0
    .max_flat_workgroup_size: 256
    .name:           _ZN7rocprim17ROCPRIM_400000_NS6detail17trampoline_kernelINS0_14default_configENS1_27scan_by_key_config_selectorIssEEZZNS1_16scan_by_key_implILNS1_25lookback_scan_determinismE0ELb0ES3_N6thrust23THRUST_200600_302600_NS6detail15normal_iteratorINS9_10device_ptrIsEEEENS9_18transform_iteratorINS9_6negateIsEESE_NS9_11use_defaultESI_EESE_sNS9_4plusIvEENS9_8equal_toIvEEsEE10hipError_tPvRmT2_T3_T4_T5_mT6_T7_P12ihipStream_tbENKUlT_T0_E_clISt17integral_constantIbLb1EES14_EEDaSZ_S10_EUlSZ_E_NS1_11comp_targetILNS1_3genE9ELNS1_11target_archE1100ELNS1_3gpuE3ELNS1_3repE0EEENS1_30default_config_static_selectorELNS0_4arch9wavefront6targetE1EEEvT1_
    .private_segment_fixed_size: 0
    .sgpr_count:     4
    .sgpr_spill_count: 0
    .symbol:         _ZN7rocprim17ROCPRIM_400000_NS6detail17trampoline_kernelINS0_14default_configENS1_27scan_by_key_config_selectorIssEEZZNS1_16scan_by_key_implILNS1_25lookback_scan_determinismE0ELb0ES3_N6thrust23THRUST_200600_302600_NS6detail15normal_iteratorINS9_10device_ptrIsEEEENS9_18transform_iteratorINS9_6negateIsEESE_NS9_11use_defaultESI_EESE_sNS9_4plusIvEENS9_8equal_toIvEEsEE10hipError_tPvRmT2_T3_T4_T5_mT6_T7_P12ihipStream_tbENKUlT_T0_E_clISt17integral_constantIbLb1EES14_EEDaSZ_S10_EUlSZ_E_NS1_11comp_targetILNS1_3genE9ELNS1_11target_archE1100ELNS1_3gpuE3ELNS1_3repE0EEENS1_30default_config_static_selectorELNS0_4arch9wavefront6targetE1EEEvT1_.kd
    .uniform_work_group_size: 1
    .uses_dynamic_stack: false
    .vgpr_count:     0
    .vgpr_spill_count: 0
    .wavefront_size: 64
  - .agpr_count:     0
    .args:
      - .offset:         0
        .size:           120
        .value_kind:     by_value
    .group_segment_fixed_size: 0
    .kernarg_segment_align: 8
    .kernarg_segment_size: 120
    .language:       OpenCL C
    .language_version:
      - 2
      - 0
    .max_flat_workgroup_size: 64
    .name:           _ZN7rocprim17ROCPRIM_400000_NS6detail17trampoline_kernelINS0_14default_configENS1_27scan_by_key_config_selectorIssEEZZNS1_16scan_by_key_implILNS1_25lookback_scan_determinismE0ELb0ES3_N6thrust23THRUST_200600_302600_NS6detail15normal_iteratorINS9_10device_ptrIsEEEENS9_18transform_iteratorINS9_6negateIsEESE_NS9_11use_defaultESI_EESE_sNS9_4plusIvEENS9_8equal_toIvEEsEE10hipError_tPvRmT2_T3_T4_T5_mT6_T7_P12ihipStream_tbENKUlT_T0_E_clISt17integral_constantIbLb1EES14_EEDaSZ_S10_EUlSZ_E_NS1_11comp_targetILNS1_3genE8ELNS1_11target_archE1030ELNS1_3gpuE2ELNS1_3repE0EEENS1_30default_config_static_selectorELNS0_4arch9wavefront6targetE1EEEvT1_
    .private_segment_fixed_size: 0
    .sgpr_count:     4
    .sgpr_spill_count: 0
    .symbol:         _ZN7rocprim17ROCPRIM_400000_NS6detail17trampoline_kernelINS0_14default_configENS1_27scan_by_key_config_selectorIssEEZZNS1_16scan_by_key_implILNS1_25lookback_scan_determinismE0ELb0ES3_N6thrust23THRUST_200600_302600_NS6detail15normal_iteratorINS9_10device_ptrIsEEEENS9_18transform_iteratorINS9_6negateIsEESE_NS9_11use_defaultESI_EESE_sNS9_4plusIvEENS9_8equal_toIvEEsEE10hipError_tPvRmT2_T3_T4_T5_mT6_T7_P12ihipStream_tbENKUlT_T0_E_clISt17integral_constantIbLb1EES14_EEDaSZ_S10_EUlSZ_E_NS1_11comp_targetILNS1_3genE8ELNS1_11target_archE1030ELNS1_3gpuE2ELNS1_3repE0EEENS1_30default_config_static_selectorELNS0_4arch9wavefront6targetE1EEEvT1_.kd
    .uniform_work_group_size: 1
    .uses_dynamic_stack: false
    .vgpr_count:     0
    .vgpr_spill_count: 0
    .wavefront_size: 64
  - .agpr_count:     0
    .args:
      - .offset:         0
        .size:           120
        .value_kind:     by_value
    .group_segment_fixed_size: 0
    .kernarg_segment_align: 8
    .kernarg_segment_size: 120
    .language:       OpenCL C
    .language_version:
      - 2
      - 0
    .max_flat_workgroup_size: 256
    .name:           _ZN7rocprim17ROCPRIM_400000_NS6detail17trampoline_kernelINS0_14default_configENS1_27scan_by_key_config_selectorIssEEZZNS1_16scan_by_key_implILNS1_25lookback_scan_determinismE0ELb0ES3_N6thrust23THRUST_200600_302600_NS6detail15normal_iteratorINS9_10device_ptrIsEEEENS9_18transform_iteratorINS9_6negateIsEESE_NS9_11use_defaultESI_EESE_sNS9_4plusIvEENS9_8equal_toIvEEsEE10hipError_tPvRmT2_T3_T4_T5_mT6_T7_P12ihipStream_tbENKUlT_T0_E_clISt17integral_constantIbLb1EES13_IbLb0EEEEDaSZ_S10_EUlSZ_E_NS1_11comp_targetILNS1_3genE0ELNS1_11target_archE4294967295ELNS1_3gpuE0ELNS1_3repE0EEENS1_30default_config_static_selectorELNS0_4arch9wavefront6targetE1EEEvT1_
    .private_segment_fixed_size: 0
    .sgpr_count:     4
    .sgpr_spill_count: 0
    .symbol:         _ZN7rocprim17ROCPRIM_400000_NS6detail17trampoline_kernelINS0_14default_configENS1_27scan_by_key_config_selectorIssEEZZNS1_16scan_by_key_implILNS1_25lookback_scan_determinismE0ELb0ES3_N6thrust23THRUST_200600_302600_NS6detail15normal_iteratorINS9_10device_ptrIsEEEENS9_18transform_iteratorINS9_6negateIsEESE_NS9_11use_defaultESI_EESE_sNS9_4plusIvEENS9_8equal_toIvEEsEE10hipError_tPvRmT2_T3_T4_T5_mT6_T7_P12ihipStream_tbENKUlT_T0_E_clISt17integral_constantIbLb1EES13_IbLb0EEEEDaSZ_S10_EUlSZ_E_NS1_11comp_targetILNS1_3genE0ELNS1_11target_archE4294967295ELNS1_3gpuE0ELNS1_3repE0EEENS1_30default_config_static_selectorELNS0_4arch9wavefront6targetE1EEEvT1_.kd
    .uniform_work_group_size: 1
    .uses_dynamic_stack: false
    .vgpr_count:     0
    .vgpr_spill_count: 0
    .wavefront_size: 64
  - .agpr_count:     0
    .args:
      - .offset:         0
        .size:           120
        .value_kind:     by_value
    .group_segment_fixed_size: 0
    .kernarg_segment_align: 8
    .kernarg_segment_size: 120
    .language:       OpenCL C
    .language_version:
      - 2
      - 0
    .max_flat_workgroup_size: 128
    .name:           _ZN7rocprim17ROCPRIM_400000_NS6detail17trampoline_kernelINS0_14default_configENS1_27scan_by_key_config_selectorIssEEZZNS1_16scan_by_key_implILNS1_25lookback_scan_determinismE0ELb0ES3_N6thrust23THRUST_200600_302600_NS6detail15normal_iteratorINS9_10device_ptrIsEEEENS9_18transform_iteratorINS9_6negateIsEESE_NS9_11use_defaultESI_EESE_sNS9_4plusIvEENS9_8equal_toIvEEsEE10hipError_tPvRmT2_T3_T4_T5_mT6_T7_P12ihipStream_tbENKUlT_T0_E_clISt17integral_constantIbLb1EES13_IbLb0EEEEDaSZ_S10_EUlSZ_E_NS1_11comp_targetILNS1_3genE10ELNS1_11target_archE1201ELNS1_3gpuE5ELNS1_3repE0EEENS1_30default_config_static_selectorELNS0_4arch9wavefront6targetE1EEEvT1_
    .private_segment_fixed_size: 0
    .sgpr_count:     4
    .sgpr_spill_count: 0
    .symbol:         _ZN7rocprim17ROCPRIM_400000_NS6detail17trampoline_kernelINS0_14default_configENS1_27scan_by_key_config_selectorIssEEZZNS1_16scan_by_key_implILNS1_25lookback_scan_determinismE0ELb0ES3_N6thrust23THRUST_200600_302600_NS6detail15normal_iteratorINS9_10device_ptrIsEEEENS9_18transform_iteratorINS9_6negateIsEESE_NS9_11use_defaultESI_EESE_sNS9_4plusIvEENS9_8equal_toIvEEsEE10hipError_tPvRmT2_T3_T4_T5_mT6_T7_P12ihipStream_tbENKUlT_T0_E_clISt17integral_constantIbLb1EES13_IbLb0EEEEDaSZ_S10_EUlSZ_E_NS1_11comp_targetILNS1_3genE10ELNS1_11target_archE1201ELNS1_3gpuE5ELNS1_3repE0EEENS1_30default_config_static_selectorELNS0_4arch9wavefront6targetE1EEEvT1_.kd
    .uniform_work_group_size: 1
    .uses_dynamic_stack: false
    .vgpr_count:     0
    .vgpr_spill_count: 0
    .wavefront_size: 64
  - .agpr_count:     0
    .args:
      - .offset:         0
        .size:           120
        .value_kind:     by_value
    .group_segment_fixed_size: 0
    .kernarg_segment_align: 8
    .kernarg_segment_size: 120
    .language:       OpenCL C
    .language_version:
      - 2
      - 0
    .max_flat_workgroup_size: 256
    .name:           _ZN7rocprim17ROCPRIM_400000_NS6detail17trampoline_kernelINS0_14default_configENS1_27scan_by_key_config_selectorIssEEZZNS1_16scan_by_key_implILNS1_25lookback_scan_determinismE0ELb0ES3_N6thrust23THRUST_200600_302600_NS6detail15normal_iteratorINS9_10device_ptrIsEEEENS9_18transform_iteratorINS9_6negateIsEESE_NS9_11use_defaultESI_EESE_sNS9_4plusIvEENS9_8equal_toIvEEsEE10hipError_tPvRmT2_T3_T4_T5_mT6_T7_P12ihipStream_tbENKUlT_T0_E_clISt17integral_constantIbLb1EES13_IbLb0EEEEDaSZ_S10_EUlSZ_E_NS1_11comp_targetILNS1_3genE5ELNS1_11target_archE942ELNS1_3gpuE9ELNS1_3repE0EEENS1_30default_config_static_selectorELNS0_4arch9wavefront6targetE1EEEvT1_
    .private_segment_fixed_size: 0
    .sgpr_count:     4
    .sgpr_spill_count: 0
    .symbol:         _ZN7rocprim17ROCPRIM_400000_NS6detail17trampoline_kernelINS0_14default_configENS1_27scan_by_key_config_selectorIssEEZZNS1_16scan_by_key_implILNS1_25lookback_scan_determinismE0ELb0ES3_N6thrust23THRUST_200600_302600_NS6detail15normal_iteratorINS9_10device_ptrIsEEEENS9_18transform_iteratorINS9_6negateIsEESE_NS9_11use_defaultESI_EESE_sNS9_4plusIvEENS9_8equal_toIvEEsEE10hipError_tPvRmT2_T3_T4_T5_mT6_T7_P12ihipStream_tbENKUlT_T0_E_clISt17integral_constantIbLb1EES13_IbLb0EEEEDaSZ_S10_EUlSZ_E_NS1_11comp_targetILNS1_3genE5ELNS1_11target_archE942ELNS1_3gpuE9ELNS1_3repE0EEENS1_30default_config_static_selectorELNS0_4arch9wavefront6targetE1EEEvT1_.kd
    .uniform_work_group_size: 1
    .uses_dynamic_stack: false
    .vgpr_count:     0
    .vgpr_spill_count: 0
    .wavefront_size: 64
  - .agpr_count:     0
    .args:
      - .offset:         0
        .size:           120
        .value_kind:     by_value
    .group_segment_fixed_size: 12288
    .kernarg_segment_align: 8
    .kernarg_segment_size: 120
    .language:       OpenCL C
    .language_version:
      - 2
      - 0
    .max_flat_workgroup_size: 256
    .name:           _ZN7rocprim17ROCPRIM_400000_NS6detail17trampoline_kernelINS0_14default_configENS1_27scan_by_key_config_selectorIssEEZZNS1_16scan_by_key_implILNS1_25lookback_scan_determinismE0ELb0ES3_N6thrust23THRUST_200600_302600_NS6detail15normal_iteratorINS9_10device_ptrIsEEEENS9_18transform_iteratorINS9_6negateIsEESE_NS9_11use_defaultESI_EESE_sNS9_4plusIvEENS9_8equal_toIvEEsEE10hipError_tPvRmT2_T3_T4_T5_mT6_T7_P12ihipStream_tbENKUlT_T0_E_clISt17integral_constantIbLb1EES13_IbLb0EEEEDaSZ_S10_EUlSZ_E_NS1_11comp_targetILNS1_3genE4ELNS1_11target_archE910ELNS1_3gpuE8ELNS1_3repE0EEENS1_30default_config_static_selectorELNS0_4arch9wavefront6targetE1EEEvT1_
    .private_segment_fixed_size: 0
    .sgpr_count:     82
    .sgpr_spill_count: 0
    .symbol:         _ZN7rocprim17ROCPRIM_400000_NS6detail17trampoline_kernelINS0_14default_configENS1_27scan_by_key_config_selectorIssEEZZNS1_16scan_by_key_implILNS1_25lookback_scan_determinismE0ELb0ES3_N6thrust23THRUST_200600_302600_NS6detail15normal_iteratorINS9_10device_ptrIsEEEENS9_18transform_iteratorINS9_6negateIsEESE_NS9_11use_defaultESI_EESE_sNS9_4plusIvEENS9_8equal_toIvEEsEE10hipError_tPvRmT2_T3_T4_T5_mT6_T7_P12ihipStream_tbENKUlT_T0_E_clISt17integral_constantIbLb1EES13_IbLb0EEEEDaSZ_S10_EUlSZ_E_NS1_11comp_targetILNS1_3genE4ELNS1_11target_archE910ELNS1_3gpuE8ELNS1_3repE0EEENS1_30default_config_static_selectorELNS0_4arch9wavefront6targetE1EEEvT1_.kd
    .uniform_work_group_size: 1
    .uses_dynamic_stack: false
    .vgpr_count:     58
    .vgpr_spill_count: 0
    .wavefront_size: 64
  - .agpr_count:     0
    .args:
      - .offset:         0
        .size:           120
        .value_kind:     by_value
    .group_segment_fixed_size: 0
    .kernarg_segment_align: 8
    .kernarg_segment_size: 120
    .language:       OpenCL C
    .language_version:
      - 2
      - 0
    .max_flat_workgroup_size: 256
    .name:           _ZN7rocprim17ROCPRIM_400000_NS6detail17trampoline_kernelINS0_14default_configENS1_27scan_by_key_config_selectorIssEEZZNS1_16scan_by_key_implILNS1_25lookback_scan_determinismE0ELb0ES3_N6thrust23THRUST_200600_302600_NS6detail15normal_iteratorINS9_10device_ptrIsEEEENS9_18transform_iteratorINS9_6negateIsEESE_NS9_11use_defaultESI_EESE_sNS9_4plusIvEENS9_8equal_toIvEEsEE10hipError_tPvRmT2_T3_T4_T5_mT6_T7_P12ihipStream_tbENKUlT_T0_E_clISt17integral_constantIbLb1EES13_IbLb0EEEEDaSZ_S10_EUlSZ_E_NS1_11comp_targetILNS1_3genE3ELNS1_11target_archE908ELNS1_3gpuE7ELNS1_3repE0EEENS1_30default_config_static_selectorELNS0_4arch9wavefront6targetE1EEEvT1_
    .private_segment_fixed_size: 0
    .sgpr_count:     4
    .sgpr_spill_count: 0
    .symbol:         _ZN7rocprim17ROCPRIM_400000_NS6detail17trampoline_kernelINS0_14default_configENS1_27scan_by_key_config_selectorIssEEZZNS1_16scan_by_key_implILNS1_25lookback_scan_determinismE0ELb0ES3_N6thrust23THRUST_200600_302600_NS6detail15normal_iteratorINS9_10device_ptrIsEEEENS9_18transform_iteratorINS9_6negateIsEESE_NS9_11use_defaultESI_EESE_sNS9_4plusIvEENS9_8equal_toIvEEsEE10hipError_tPvRmT2_T3_T4_T5_mT6_T7_P12ihipStream_tbENKUlT_T0_E_clISt17integral_constantIbLb1EES13_IbLb0EEEEDaSZ_S10_EUlSZ_E_NS1_11comp_targetILNS1_3genE3ELNS1_11target_archE908ELNS1_3gpuE7ELNS1_3repE0EEENS1_30default_config_static_selectorELNS0_4arch9wavefront6targetE1EEEvT1_.kd
    .uniform_work_group_size: 1
    .uses_dynamic_stack: false
    .vgpr_count:     0
    .vgpr_spill_count: 0
    .wavefront_size: 64
  - .agpr_count:     0
    .args:
      - .offset:         0
        .size:           120
        .value_kind:     by_value
    .group_segment_fixed_size: 0
    .kernarg_segment_align: 8
    .kernarg_segment_size: 120
    .language:       OpenCL C
    .language_version:
      - 2
      - 0
    .max_flat_workgroup_size: 64
    .name:           _ZN7rocprim17ROCPRIM_400000_NS6detail17trampoline_kernelINS0_14default_configENS1_27scan_by_key_config_selectorIssEEZZNS1_16scan_by_key_implILNS1_25lookback_scan_determinismE0ELb0ES3_N6thrust23THRUST_200600_302600_NS6detail15normal_iteratorINS9_10device_ptrIsEEEENS9_18transform_iteratorINS9_6negateIsEESE_NS9_11use_defaultESI_EESE_sNS9_4plusIvEENS9_8equal_toIvEEsEE10hipError_tPvRmT2_T3_T4_T5_mT6_T7_P12ihipStream_tbENKUlT_T0_E_clISt17integral_constantIbLb1EES13_IbLb0EEEEDaSZ_S10_EUlSZ_E_NS1_11comp_targetILNS1_3genE2ELNS1_11target_archE906ELNS1_3gpuE6ELNS1_3repE0EEENS1_30default_config_static_selectorELNS0_4arch9wavefront6targetE1EEEvT1_
    .private_segment_fixed_size: 0
    .sgpr_count:     4
    .sgpr_spill_count: 0
    .symbol:         _ZN7rocprim17ROCPRIM_400000_NS6detail17trampoline_kernelINS0_14default_configENS1_27scan_by_key_config_selectorIssEEZZNS1_16scan_by_key_implILNS1_25lookback_scan_determinismE0ELb0ES3_N6thrust23THRUST_200600_302600_NS6detail15normal_iteratorINS9_10device_ptrIsEEEENS9_18transform_iteratorINS9_6negateIsEESE_NS9_11use_defaultESI_EESE_sNS9_4plusIvEENS9_8equal_toIvEEsEE10hipError_tPvRmT2_T3_T4_T5_mT6_T7_P12ihipStream_tbENKUlT_T0_E_clISt17integral_constantIbLb1EES13_IbLb0EEEEDaSZ_S10_EUlSZ_E_NS1_11comp_targetILNS1_3genE2ELNS1_11target_archE906ELNS1_3gpuE6ELNS1_3repE0EEENS1_30default_config_static_selectorELNS0_4arch9wavefront6targetE1EEEvT1_.kd
    .uniform_work_group_size: 1
    .uses_dynamic_stack: false
    .vgpr_count:     0
    .vgpr_spill_count: 0
    .wavefront_size: 64
  - .agpr_count:     0
    .args:
      - .offset:         0
        .size:           120
        .value_kind:     by_value
    .group_segment_fixed_size: 0
    .kernarg_segment_align: 8
    .kernarg_segment_size: 120
    .language:       OpenCL C
    .language_version:
      - 2
      - 0
    .max_flat_workgroup_size: 256
    .name:           _ZN7rocprim17ROCPRIM_400000_NS6detail17trampoline_kernelINS0_14default_configENS1_27scan_by_key_config_selectorIssEEZZNS1_16scan_by_key_implILNS1_25lookback_scan_determinismE0ELb0ES3_N6thrust23THRUST_200600_302600_NS6detail15normal_iteratorINS9_10device_ptrIsEEEENS9_18transform_iteratorINS9_6negateIsEESE_NS9_11use_defaultESI_EESE_sNS9_4plusIvEENS9_8equal_toIvEEsEE10hipError_tPvRmT2_T3_T4_T5_mT6_T7_P12ihipStream_tbENKUlT_T0_E_clISt17integral_constantIbLb1EES13_IbLb0EEEEDaSZ_S10_EUlSZ_E_NS1_11comp_targetILNS1_3genE10ELNS1_11target_archE1200ELNS1_3gpuE4ELNS1_3repE0EEENS1_30default_config_static_selectorELNS0_4arch9wavefront6targetE1EEEvT1_
    .private_segment_fixed_size: 0
    .sgpr_count:     4
    .sgpr_spill_count: 0
    .symbol:         _ZN7rocprim17ROCPRIM_400000_NS6detail17trampoline_kernelINS0_14default_configENS1_27scan_by_key_config_selectorIssEEZZNS1_16scan_by_key_implILNS1_25lookback_scan_determinismE0ELb0ES3_N6thrust23THRUST_200600_302600_NS6detail15normal_iteratorINS9_10device_ptrIsEEEENS9_18transform_iteratorINS9_6negateIsEESE_NS9_11use_defaultESI_EESE_sNS9_4plusIvEENS9_8equal_toIvEEsEE10hipError_tPvRmT2_T3_T4_T5_mT6_T7_P12ihipStream_tbENKUlT_T0_E_clISt17integral_constantIbLb1EES13_IbLb0EEEEDaSZ_S10_EUlSZ_E_NS1_11comp_targetILNS1_3genE10ELNS1_11target_archE1200ELNS1_3gpuE4ELNS1_3repE0EEENS1_30default_config_static_selectorELNS0_4arch9wavefront6targetE1EEEvT1_.kd
    .uniform_work_group_size: 1
    .uses_dynamic_stack: false
    .vgpr_count:     0
    .vgpr_spill_count: 0
    .wavefront_size: 64
  - .agpr_count:     0
    .args:
      - .offset:         0
        .size:           120
        .value_kind:     by_value
    .group_segment_fixed_size: 0
    .kernarg_segment_align: 8
    .kernarg_segment_size: 120
    .language:       OpenCL C
    .language_version:
      - 2
      - 0
    .max_flat_workgroup_size: 256
    .name:           _ZN7rocprim17ROCPRIM_400000_NS6detail17trampoline_kernelINS0_14default_configENS1_27scan_by_key_config_selectorIssEEZZNS1_16scan_by_key_implILNS1_25lookback_scan_determinismE0ELb0ES3_N6thrust23THRUST_200600_302600_NS6detail15normal_iteratorINS9_10device_ptrIsEEEENS9_18transform_iteratorINS9_6negateIsEESE_NS9_11use_defaultESI_EESE_sNS9_4plusIvEENS9_8equal_toIvEEsEE10hipError_tPvRmT2_T3_T4_T5_mT6_T7_P12ihipStream_tbENKUlT_T0_E_clISt17integral_constantIbLb1EES13_IbLb0EEEEDaSZ_S10_EUlSZ_E_NS1_11comp_targetILNS1_3genE9ELNS1_11target_archE1100ELNS1_3gpuE3ELNS1_3repE0EEENS1_30default_config_static_selectorELNS0_4arch9wavefront6targetE1EEEvT1_
    .private_segment_fixed_size: 0
    .sgpr_count:     4
    .sgpr_spill_count: 0
    .symbol:         _ZN7rocprim17ROCPRIM_400000_NS6detail17trampoline_kernelINS0_14default_configENS1_27scan_by_key_config_selectorIssEEZZNS1_16scan_by_key_implILNS1_25lookback_scan_determinismE0ELb0ES3_N6thrust23THRUST_200600_302600_NS6detail15normal_iteratorINS9_10device_ptrIsEEEENS9_18transform_iteratorINS9_6negateIsEESE_NS9_11use_defaultESI_EESE_sNS9_4plusIvEENS9_8equal_toIvEEsEE10hipError_tPvRmT2_T3_T4_T5_mT6_T7_P12ihipStream_tbENKUlT_T0_E_clISt17integral_constantIbLb1EES13_IbLb0EEEEDaSZ_S10_EUlSZ_E_NS1_11comp_targetILNS1_3genE9ELNS1_11target_archE1100ELNS1_3gpuE3ELNS1_3repE0EEENS1_30default_config_static_selectorELNS0_4arch9wavefront6targetE1EEEvT1_.kd
    .uniform_work_group_size: 1
    .uses_dynamic_stack: false
    .vgpr_count:     0
    .vgpr_spill_count: 0
    .wavefront_size: 64
  - .agpr_count:     0
    .args:
      - .offset:         0
        .size:           120
        .value_kind:     by_value
    .group_segment_fixed_size: 0
    .kernarg_segment_align: 8
    .kernarg_segment_size: 120
    .language:       OpenCL C
    .language_version:
      - 2
      - 0
    .max_flat_workgroup_size: 64
    .name:           _ZN7rocprim17ROCPRIM_400000_NS6detail17trampoline_kernelINS0_14default_configENS1_27scan_by_key_config_selectorIssEEZZNS1_16scan_by_key_implILNS1_25lookback_scan_determinismE0ELb0ES3_N6thrust23THRUST_200600_302600_NS6detail15normal_iteratorINS9_10device_ptrIsEEEENS9_18transform_iteratorINS9_6negateIsEESE_NS9_11use_defaultESI_EESE_sNS9_4plusIvEENS9_8equal_toIvEEsEE10hipError_tPvRmT2_T3_T4_T5_mT6_T7_P12ihipStream_tbENKUlT_T0_E_clISt17integral_constantIbLb1EES13_IbLb0EEEEDaSZ_S10_EUlSZ_E_NS1_11comp_targetILNS1_3genE8ELNS1_11target_archE1030ELNS1_3gpuE2ELNS1_3repE0EEENS1_30default_config_static_selectorELNS0_4arch9wavefront6targetE1EEEvT1_
    .private_segment_fixed_size: 0
    .sgpr_count:     4
    .sgpr_spill_count: 0
    .symbol:         _ZN7rocprim17ROCPRIM_400000_NS6detail17trampoline_kernelINS0_14default_configENS1_27scan_by_key_config_selectorIssEEZZNS1_16scan_by_key_implILNS1_25lookback_scan_determinismE0ELb0ES3_N6thrust23THRUST_200600_302600_NS6detail15normal_iteratorINS9_10device_ptrIsEEEENS9_18transform_iteratorINS9_6negateIsEESE_NS9_11use_defaultESI_EESE_sNS9_4plusIvEENS9_8equal_toIvEEsEE10hipError_tPvRmT2_T3_T4_T5_mT6_T7_P12ihipStream_tbENKUlT_T0_E_clISt17integral_constantIbLb1EES13_IbLb0EEEEDaSZ_S10_EUlSZ_E_NS1_11comp_targetILNS1_3genE8ELNS1_11target_archE1030ELNS1_3gpuE2ELNS1_3repE0EEENS1_30default_config_static_selectorELNS0_4arch9wavefront6targetE1EEEvT1_.kd
    .uniform_work_group_size: 1
    .uses_dynamic_stack: false
    .vgpr_count:     0
    .vgpr_spill_count: 0
    .wavefront_size: 64
  - .agpr_count:     0
    .args:
      - .offset:         0
        .size:           120
        .value_kind:     by_value
    .group_segment_fixed_size: 0
    .kernarg_segment_align: 8
    .kernarg_segment_size: 120
    .language:       OpenCL C
    .language_version:
      - 2
      - 0
    .max_flat_workgroup_size: 256
    .name:           _ZN7rocprim17ROCPRIM_400000_NS6detail17trampoline_kernelINS0_14default_configENS1_27scan_by_key_config_selectorIssEEZZNS1_16scan_by_key_implILNS1_25lookback_scan_determinismE0ELb0ES3_N6thrust23THRUST_200600_302600_NS6detail15normal_iteratorINS9_10device_ptrIsEEEENS9_18transform_iteratorINS9_6negateIsEESE_NS9_11use_defaultESI_EESE_sNS9_4plusIvEENS9_8equal_toIvEEsEE10hipError_tPvRmT2_T3_T4_T5_mT6_T7_P12ihipStream_tbENKUlT_T0_E_clISt17integral_constantIbLb0EES13_IbLb1EEEEDaSZ_S10_EUlSZ_E_NS1_11comp_targetILNS1_3genE0ELNS1_11target_archE4294967295ELNS1_3gpuE0ELNS1_3repE0EEENS1_30default_config_static_selectorELNS0_4arch9wavefront6targetE1EEEvT1_
    .private_segment_fixed_size: 0
    .sgpr_count:     4
    .sgpr_spill_count: 0
    .symbol:         _ZN7rocprim17ROCPRIM_400000_NS6detail17trampoline_kernelINS0_14default_configENS1_27scan_by_key_config_selectorIssEEZZNS1_16scan_by_key_implILNS1_25lookback_scan_determinismE0ELb0ES3_N6thrust23THRUST_200600_302600_NS6detail15normal_iteratorINS9_10device_ptrIsEEEENS9_18transform_iteratorINS9_6negateIsEESE_NS9_11use_defaultESI_EESE_sNS9_4plusIvEENS9_8equal_toIvEEsEE10hipError_tPvRmT2_T3_T4_T5_mT6_T7_P12ihipStream_tbENKUlT_T0_E_clISt17integral_constantIbLb0EES13_IbLb1EEEEDaSZ_S10_EUlSZ_E_NS1_11comp_targetILNS1_3genE0ELNS1_11target_archE4294967295ELNS1_3gpuE0ELNS1_3repE0EEENS1_30default_config_static_selectorELNS0_4arch9wavefront6targetE1EEEvT1_.kd
    .uniform_work_group_size: 1
    .uses_dynamic_stack: false
    .vgpr_count:     0
    .vgpr_spill_count: 0
    .wavefront_size: 64
  - .agpr_count:     0
    .args:
      - .offset:         0
        .size:           120
        .value_kind:     by_value
    .group_segment_fixed_size: 0
    .kernarg_segment_align: 8
    .kernarg_segment_size: 120
    .language:       OpenCL C
    .language_version:
      - 2
      - 0
    .max_flat_workgroup_size: 128
    .name:           _ZN7rocprim17ROCPRIM_400000_NS6detail17trampoline_kernelINS0_14default_configENS1_27scan_by_key_config_selectorIssEEZZNS1_16scan_by_key_implILNS1_25lookback_scan_determinismE0ELb0ES3_N6thrust23THRUST_200600_302600_NS6detail15normal_iteratorINS9_10device_ptrIsEEEENS9_18transform_iteratorINS9_6negateIsEESE_NS9_11use_defaultESI_EESE_sNS9_4plusIvEENS9_8equal_toIvEEsEE10hipError_tPvRmT2_T3_T4_T5_mT6_T7_P12ihipStream_tbENKUlT_T0_E_clISt17integral_constantIbLb0EES13_IbLb1EEEEDaSZ_S10_EUlSZ_E_NS1_11comp_targetILNS1_3genE10ELNS1_11target_archE1201ELNS1_3gpuE5ELNS1_3repE0EEENS1_30default_config_static_selectorELNS0_4arch9wavefront6targetE1EEEvT1_
    .private_segment_fixed_size: 0
    .sgpr_count:     4
    .sgpr_spill_count: 0
    .symbol:         _ZN7rocprim17ROCPRIM_400000_NS6detail17trampoline_kernelINS0_14default_configENS1_27scan_by_key_config_selectorIssEEZZNS1_16scan_by_key_implILNS1_25lookback_scan_determinismE0ELb0ES3_N6thrust23THRUST_200600_302600_NS6detail15normal_iteratorINS9_10device_ptrIsEEEENS9_18transform_iteratorINS9_6negateIsEESE_NS9_11use_defaultESI_EESE_sNS9_4plusIvEENS9_8equal_toIvEEsEE10hipError_tPvRmT2_T3_T4_T5_mT6_T7_P12ihipStream_tbENKUlT_T0_E_clISt17integral_constantIbLb0EES13_IbLb1EEEEDaSZ_S10_EUlSZ_E_NS1_11comp_targetILNS1_3genE10ELNS1_11target_archE1201ELNS1_3gpuE5ELNS1_3repE0EEENS1_30default_config_static_selectorELNS0_4arch9wavefront6targetE1EEEvT1_.kd
    .uniform_work_group_size: 1
    .uses_dynamic_stack: false
    .vgpr_count:     0
    .vgpr_spill_count: 0
    .wavefront_size: 64
  - .agpr_count:     0
    .args:
      - .offset:         0
        .size:           120
        .value_kind:     by_value
    .group_segment_fixed_size: 0
    .kernarg_segment_align: 8
    .kernarg_segment_size: 120
    .language:       OpenCL C
    .language_version:
      - 2
      - 0
    .max_flat_workgroup_size: 256
    .name:           _ZN7rocprim17ROCPRIM_400000_NS6detail17trampoline_kernelINS0_14default_configENS1_27scan_by_key_config_selectorIssEEZZNS1_16scan_by_key_implILNS1_25lookback_scan_determinismE0ELb0ES3_N6thrust23THRUST_200600_302600_NS6detail15normal_iteratorINS9_10device_ptrIsEEEENS9_18transform_iteratorINS9_6negateIsEESE_NS9_11use_defaultESI_EESE_sNS9_4plusIvEENS9_8equal_toIvEEsEE10hipError_tPvRmT2_T3_T4_T5_mT6_T7_P12ihipStream_tbENKUlT_T0_E_clISt17integral_constantIbLb0EES13_IbLb1EEEEDaSZ_S10_EUlSZ_E_NS1_11comp_targetILNS1_3genE5ELNS1_11target_archE942ELNS1_3gpuE9ELNS1_3repE0EEENS1_30default_config_static_selectorELNS0_4arch9wavefront6targetE1EEEvT1_
    .private_segment_fixed_size: 0
    .sgpr_count:     4
    .sgpr_spill_count: 0
    .symbol:         _ZN7rocprim17ROCPRIM_400000_NS6detail17trampoline_kernelINS0_14default_configENS1_27scan_by_key_config_selectorIssEEZZNS1_16scan_by_key_implILNS1_25lookback_scan_determinismE0ELb0ES3_N6thrust23THRUST_200600_302600_NS6detail15normal_iteratorINS9_10device_ptrIsEEEENS9_18transform_iteratorINS9_6negateIsEESE_NS9_11use_defaultESI_EESE_sNS9_4plusIvEENS9_8equal_toIvEEsEE10hipError_tPvRmT2_T3_T4_T5_mT6_T7_P12ihipStream_tbENKUlT_T0_E_clISt17integral_constantIbLb0EES13_IbLb1EEEEDaSZ_S10_EUlSZ_E_NS1_11comp_targetILNS1_3genE5ELNS1_11target_archE942ELNS1_3gpuE9ELNS1_3repE0EEENS1_30default_config_static_selectorELNS0_4arch9wavefront6targetE1EEEvT1_.kd
    .uniform_work_group_size: 1
    .uses_dynamic_stack: false
    .vgpr_count:     0
    .vgpr_spill_count: 0
    .wavefront_size: 64
  - .agpr_count:     0
    .args:
      - .offset:         0
        .size:           120
        .value_kind:     by_value
    .group_segment_fixed_size: 12288
    .kernarg_segment_align: 8
    .kernarg_segment_size: 120
    .language:       OpenCL C
    .language_version:
      - 2
      - 0
    .max_flat_workgroup_size: 256
    .name:           _ZN7rocprim17ROCPRIM_400000_NS6detail17trampoline_kernelINS0_14default_configENS1_27scan_by_key_config_selectorIssEEZZNS1_16scan_by_key_implILNS1_25lookback_scan_determinismE0ELb0ES3_N6thrust23THRUST_200600_302600_NS6detail15normal_iteratorINS9_10device_ptrIsEEEENS9_18transform_iteratorINS9_6negateIsEESE_NS9_11use_defaultESI_EESE_sNS9_4plusIvEENS9_8equal_toIvEEsEE10hipError_tPvRmT2_T3_T4_T5_mT6_T7_P12ihipStream_tbENKUlT_T0_E_clISt17integral_constantIbLb0EES13_IbLb1EEEEDaSZ_S10_EUlSZ_E_NS1_11comp_targetILNS1_3genE4ELNS1_11target_archE910ELNS1_3gpuE8ELNS1_3repE0EEENS1_30default_config_static_selectorELNS0_4arch9wavefront6targetE1EEEvT1_
    .private_segment_fixed_size: 0
    .sgpr_count:     86
    .sgpr_spill_count: 0
    .symbol:         _ZN7rocprim17ROCPRIM_400000_NS6detail17trampoline_kernelINS0_14default_configENS1_27scan_by_key_config_selectorIssEEZZNS1_16scan_by_key_implILNS1_25lookback_scan_determinismE0ELb0ES3_N6thrust23THRUST_200600_302600_NS6detail15normal_iteratorINS9_10device_ptrIsEEEENS9_18transform_iteratorINS9_6negateIsEESE_NS9_11use_defaultESI_EESE_sNS9_4plusIvEENS9_8equal_toIvEEsEE10hipError_tPvRmT2_T3_T4_T5_mT6_T7_P12ihipStream_tbENKUlT_T0_E_clISt17integral_constantIbLb0EES13_IbLb1EEEEDaSZ_S10_EUlSZ_E_NS1_11comp_targetILNS1_3genE4ELNS1_11target_archE910ELNS1_3gpuE8ELNS1_3repE0EEENS1_30default_config_static_selectorELNS0_4arch9wavefront6targetE1EEEvT1_.kd
    .uniform_work_group_size: 1
    .uses_dynamic_stack: false
    .vgpr_count:     58
    .vgpr_spill_count: 0
    .wavefront_size: 64
  - .agpr_count:     0
    .args:
      - .offset:         0
        .size:           120
        .value_kind:     by_value
    .group_segment_fixed_size: 0
    .kernarg_segment_align: 8
    .kernarg_segment_size: 120
    .language:       OpenCL C
    .language_version:
      - 2
      - 0
    .max_flat_workgroup_size: 256
    .name:           _ZN7rocprim17ROCPRIM_400000_NS6detail17trampoline_kernelINS0_14default_configENS1_27scan_by_key_config_selectorIssEEZZNS1_16scan_by_key_implILNS1_25lookback_scan_determinismE0ELb0ES3_N6thrust23THRUST_200600_302600_NS6detail15normal_iteratorINS9_10device_ptrIsEEEENS9_18transform_iteratorINS9_6negateIsEESE_NS9_11use_defaultESI_EESE_sNS9_4plusIvEENS9_8equal_toIvEEsEE10hipError_tPvRmT2_T3_T4_T5_mT6_T7_P12ihipStream_tbENKUlT_T0_E_clISt17integral_constantIbLb0EES13_IbLb1EEEEDaSZ_S10_EUlSZ_E_NS1_11comp_targetILNS1_3genE3ELNS1_11target_archE908ELNS1_3gpuE7ELNS1_3repE0EEENS1_30default_config_static_selectorELNS0_4arch9wavefront6targetE1EEEvT1_
    .private_segment_fixed_size: 0
    .sgpr_count:     4
    .sgpr_spill_count: 0
    .symbol:         _ZN7rocprim17ROCPRIM_400000_NS6detail17trampoline_kernelINS0_14default_configENS1_27scan_by_key_config_selectorIssEEZZNS1_16scan_by_key_implILNS1_25lookback_scan_determinismE0ELb0ES3_N6thrust23THRUST_200600_302600_NS6detail15normal_iteratorINS9_10device_ptrIsEEEENS9_18transform_iteratorINS9_6negateIsEESE_NS9_11use_defaultESI_EESE_sNS9_4plusIvEENS9_8equal_toIvEEsEE10hipError_tPvRmT2_T3_T4_T5_mT6_T7_P12ihipStream_tbENKUlT_T0_E_clISt17integral_constantIbLb0EES13_IbLb1EEEEDaSZ_S10_EUlSZ_E_NS1_11comp_targetILNS1_3genE3ELNS1_11target_archE908ELNS1_3gpuE7ELNS1_3repE0EEENS1_30default_config_static_selectorELNS0_4arch9wavefront6targetE1EEEvT1_.kd
    .uniform_work_group_size: 1
    .uses_dynamic_stack: false
    .vgpr_count:     0
    .vgpr_spill_count: 0
    .wavefront_size: 64
  - .agpr_count:     0
    .args:
      - .offset:         0
        .size:           120
        .value_kind:     by_value
    .group_segment_fixed_size: 0
    .kernarg_segment_align: 8
    .kernarg_segment_size: 120
    .language:       OpenCL C
    .language_version:
      - 2
      - 0
    .max_flat_workgroup_size: 64
    .name:           _ZN7rocprim17ROCPRIM_400000_NS6detail17trampoline_kernelINS0_14default_configENS1_27scan_by_key_config_selectorIssEEZZNS1_16scan_by_key_implILNS1_25lookback_scan_determinismE0ELb0ES3_N6thrust23THRUST_200600_302600_NS6detail15normal_iteratorINS9_10device_ptrIsEEEENS9_18transform_iteratorINS9_6negateIsEESE_NS9_11use_defaultESI_EESE_sNS9_4plusIvEENS9_8equal_toIvEEsEE10hipError_tPvRmT2_T3_T4_T5_mT6_T7_P12ihipStream_tbENKUlT_T0_E_clISt17integral_constantIbLb0EES13_IbLb1EEEEDaSZ_S10_EUlSZ_E_NS1_11comp_targetILNS1_3genE2ELNS1_11target_archE906ELNS1_3gpuE6ELNS1_3repE0EEENS1_30default_config_static_selectorELNS0_4arch9wavefront6targetE1EEEvT1_
    .private_segment_fixed_size: 0
    .sgpr_count:     4
    .sgpr_spill_count: 0
    .symbol:         _ZN7rocprim17ROCPRIM_400000_NS6detail17trampoline_kernelINS0_14default_configENS1_27scan_by_key_config_selectorIssEEZZNS1_16scan_by_key_implILNS1_25lookback_scan_determinismE0ELb0ES3_N6thrust23THRUST_200600_302600_NS6detail15normal_iteratorINS9_10device_ptrIsEEEENS9_18transform_iteratorINS9_6negateIsEESE_NS9_11use_defaultESI_EESE_sNS9_4plusIvEENS9_8equal_toIvEEsEE10hipError_tPvRmT2_T3_T4_T5_mT6_T7_P12ihipStream_tbENKUlT_T0_E_clISt17integral_constantIbLb0EES13_IbLb1EEEEDaSZ_S10_EUlSZ_E_NS1_11comp_targetILNS1_3genE2ELNS1_11target_archE906ELNS1_3gpuE6ELNS1_3repE0EEENS1_30default_config_static_selectorELNS0_4arch9wavefront6targetE1EEEvT1_.kd
    .uniform_work_group_size: 1
    .uses_dynamic_stack: false
    .vgpr_count:     0
    .vgpr_spill_count: 0
    .wavefront_size: 64
  - .agpr_count:     0
    .args:
      - .offset:         0
        .size:           120
        .value_kind:     by_value
    .group_segment_fixed_size: 0
    .kernarg_segment_align: 8
    .kernarg_segment_size: 120
    .language:       OpenCL C
    .language_version:
      - 2
      - 0
    .max_flat_workgroup_size: 256
    .name:           _ZN7rocprim17ROCPRIM_400000_NS6detail17trampoline_kernelINS0_14default_configENS1_27scan_by_key_config_selectorIssEEZZNS1_16scan_by_key_implILNS1_25lookback_scan_determinismE0ELb0ES3_N6thrust23THRUST_200600_302600_NS6detail15normal_iteratorINS9_10device_ptrIsEEEENS9_18transform_iteratorINS9_6negateIsEESE_NS9_11use_defaultESI_EESE_sNS9_4plusIvEENS9_8equal_toIvEEsEE10hipError_tPvRmT2_T3_T4_T5_mT6_T7_P12ihipStream_tbENKUlT_T0_E_clISt17integral_constantIbLb0EES13_IbLb1EEEEDaSZ_S10_EUlSZ_E_NS1_11comp_targetILNS1_3genE10ELNS1_11target_archE1200ELNS1_3gpuE4ELNS1_3repE0EEENS1_30default_config_static_selectorELNS0_4arch9wavefront6targetE1EEEvT1_
    .private_segment_fixed_size: 0
    .sgpr_count:     4
    .sgpr_spill_count: 0
    .symbol:         _ZN7rocprim17ROCPRIM_400000_NS6detail17trampoline_kernelINS0_14default_configENS1_27scan_by_key_config_selectorIssEEZZNS1_16scan_by_key_implILNS1_25lookback_scan_determinismE0ELb0ES3_N6thrust23THRUST_200600_302600_NS6detail15normal_iteratorINS9_10device_ptrIsEEEENS9_18transform_iteratorINS9_6negateIsEESE_NS9_11use_defaultESI_EESE_sNS9_4plusIvEENS9_8equal_toIvEEsEE10hipError_tPvRmT2_T3_T4_T5_mT6_T7_P12ihipStream_tbENKUlT_T0_E_clISt17integral_constantIbLb0EES13_IbLb1EEEEDaSZ_S10_EUlSZ_E_NS1_11comp_targetILNS1_3genE10ELNS1_11target_archE1200ELNS1_3gpuE4ELNS1_3repE0EEENS1_30default_config_static_selectorELNS0_4arch9wavefront6targetE1EEEvT1_.kd
    .uniform_work_group_size: 1
    .uses_dynamic_stack: false
    .vgpr_count:     0
    .vgpr_spill_count: 0
    .wavefront_size: 64
  - .agpr_count:     0
    .args:
      - .offset:         0
        .size:           120
        .value_kind:     by_value
    .group_segment_fixed_size: 0
    .kernarg_segment_align: 8
    .kernarg_segment_size: 120
    .language:       OpenCL C
    .language_version:
      - 2
      - 0
    .max_flat_workgroup_size: 256
    .name:           _ZN7rocprim17ROCPRIM_400000_NS6detail17trampoline_kernelINS0_14default_configENS1_27scan_by_key_config_selectorIssEEZZNS1_16scan_by_key_implILNS1_25lookback_scan_determinismE0ELb0ES3_N6thrust23THRUST_200600_302600_NS6detail15normal_iteratorINS9_10device_ptrIsEEEENS9_18transform_iteratorINS9_6negateIsEESE_NS9_11use_defaultESI_EESE_sNS9_4plusIvEENS9_8equal_toIvEEsEE10hipError_tPvRmT2_T3_T4_T5_mT6_T7_P12ihipStream_tbENKUlT_T0_E_clISt17integral_constantIbLb0EES13_IbLb1EEEEDaSZ_S10_EUlSZ_E_NS1_11comp_targetILNS1_3genE9ELNS1_11target_archE1100ELNS1_3gpuE3ELNS1_3repE0EEENS1_30default_config_static_selectorELNS0_4arch9wavefront6targetE1EEEvT1_
    .private_segment_fixed_size: 0
    .sgpr_count:     4
    .sgpr_spill_count: 0
    .symbol:         _ZN7rocprim17ROCPRIM_400000_NS6detail17trampoline_kernelINS0_14default_configENS1_27scan_by_key_config_selectorIssEEZZNS1_16scan_by_key_implILNS1_25lookback_scan_determinismE0ELb0ES3_N6thrust23THRUST_200600_302600_NS6detail15normal_iteratorINS9_10device_ptrIsEEEENS9_18transform_iteratorINS9_6negateIsEESE_NS9_11use_defaultESI_EESE_sNS9_4plusIvEENS9_8equal_toIvEEsEE10hipError_tPvRmT2_T3_T4_T5_mT6_T7_P12ihipStream_tbENKUlT_T0_E_clISt17integral_constantIbLb0EES13_IbLb1EEEEDaSZ_S10_EUlSZ_E_NS1_11comp_targetILNS1_3genE9ELNS1_11target_archE1100ELNS1_3gpuE3ELNS1_3repE0EEENS1_30default_config_static_selectorELNS0_4arch9wavefront6targetE1EEEvT1_.kd
    .uniform_work_group_size: 1
    .uses_dynamic_stack: false
    .vgpr_count:     0
    .vgpr_spill_count: 0
    .wavefront_size: 64
  - .agpr_count:     0
    .args:
      - .offset:         0
        .size:           120
        .value_kind:     by_value
    .group_segment_fixed_size: 0
    .kernarg_segment_align: 8
    .kernarg_segment_size: 120
    .language:       OpenCL C
    .language_version:
      - 2
      - 0
    .max_flat_workgroup_size: 64
    .name:           _ZN7rocprim17ROCPRIM_400000_NS6detail17trampoline_kernelINS0_14default_configENS1_27scan_by_key_config_selectorIssEEZZNS1_16scan_by_key_implILNS1_25lookback_scan_determinismE0ELb0ES3_N6thrust23THRUST_200600_302600_NS6detail15normal_iteratorINS9_10device_ptrIsEEEENS9_18transform_iteratorINS9_6negateIsEESE_NS9_11use_defaultESI_EESE_sNS9_4plusIvEENS9_8equal_toIvEEsEE10hipError_tPvRmT2_T3_T4_T5_mT6_T7_P12ihipStream_tbENKUlT_T0_E_clISt17integral_constantIbLb0EES13_IbLb1EEEEDaSZ_S10_EUlSZ_E_NS1_11comp_targetILNS1_3genE8ELNS1_11target_archE1030ELNS1_3gpuE2ELNS1_3repE0EEENS1_30default_config_static_selectorELNS0_4arch9wavefront6targetE1EEEvT1_
    .private_segment_fixed_size: 0
    .sgpr_count:     4
    .sgpr_spill_count: 0
    .symbol:         _ZN7rocprim17ROCPRIM_400000_NS6detail17trampoline_kernelINS0_14default_configENS1_27scan_by_key_config_selectorIssEEZZNS1_16scan_by_key_implILNS1_25lookback_scan_determinismE0ELb0ES3_N6thrust23THRUST_200600_302600_NS6detail15normal_iteratorINS9_10device_ptrIsEEEENS9_18transform_iteratorINS9_6negateIsEESE_NS9_11use_defaultESI_EESE_sNS9_4plusIvEENS9_8equal_toIvEEsEE10hipError_tPvRmT2_T3_T4_T5_mT6_T7_P12ihipStream_tbENKUlT_T0_E_clISt17integral_constantIbLb0EES13_IbLb1EEEEDaSZ_S10_EUlSZ_E_NS1_11comp_targetILNS1_3genE8ELNS1_11target_archE1030ELNS1_3gpuE2ELNS1_3repE0EEENS1_30default_config_static_selectorELNS0_4arch9wavefront6targetE1EEEvT1_.kd
    .uniform_work_group_size: 1
    .uses_dynamic_stack: false
    .vgpr_count:     0
    .vgpr_spill_count: 0
    .wavefront_size: 64
  - .agpr_count:     0
    .args:
      - .address_space:  global
        .offset:         0
        .size:           8
        .value_kind:     global_buffer
      - .offset:         8
        .size:           4
        .value_kind:     by_value
      - .offset:         12
        .size:           4
        .value_kind:     by_value
      - .address_space:  global
        .offset:         16
        .size:           8
        .value_kind:     global_buffer
      - .address_space:  global
        .offset:         24
        .size:           8
        .value_kind:     global_buffer
      - .actual_access:  write_only
        .address_space:  global
        .offset:         32
        .size:           8
        .value_kind:     global_buffer
      - .offset:         40
        .size:           8
        .value_kind:     by_value
      - .offset:         48
        .size:           4
        .value_kind:     by_value
      - .offset:         52
        .size:           1
        .value_kind:     by_value
      - .offset:         56
        .size:           4
        .value_kind:     hidden_block_count_x
      - .offset:         60
        .size:           4
        .value_kind:     hidden_block_count_y
      - .offset:         64
        .size:           4
        .value_kind:     hidden_block_count_z
      - .offset:         68
        .size:           2
        .value_kind:     hidden_group_size_x
      - .offset:         70
        .size:           2
        .value_kind:     hidden_group_size_y
      - .offset:         72
        .size:           2
        .value_kind:     hidden_group_size_z
      - .offset:         74
        .size:           2
        .value_kind:     hidden_remainder_x
      - .offset:         76
        .size:           2
        .value_kind:     hidden_remainder_y
      - .offset:         78
        .size:           2
        .value_kind:     hidden_remainder_z
      - .offset:         96
        .size:           8
        .value_kind:     hidden_global_offset_x
      - .offset:         104
        .size:           8
        .value_kind:     hidden_global_offset_y
      - .offset:         112
        .size:           8
        .value_kind:     hidden_global_offset_z
      - .offset:         120
        .size:           2
        .value_kind:     hidden_grid_dims
    .group_segment_fixed_size: 0
    .kernarg_segment_align: 8
    .kernarg_segment_size: 312
    .language:       OpenCL C
    .language_version:
      - 2
      - 0
    .max_flat_workgroup_size: 256
    .name:           _ZN7rocprim17ROCPRIM_400000_NS6detail30init_device_scan_by_key_kernelINS1_19lookback_scan_stateINS0_5tupleIJibEEELb0ELb1EEEN6thrust23THRUST_200600_302600_NS6detail15normal_iteratorINS8_10device_ptrIxEEEEjNS1_16block_id_wrapperIjLb0EEEEEvT_jjPNSG_10value_typeET0_PNSt15iterator_traitsISJ_E10value_typeEmT1_T2_
    .private_segment_fixed_size: 0
    .sgpr_count:     24
    .sgpr_spill_count: 0
    .symbol:         _ZN7rocprim17ROCPRIM_400000_NS6detail30init_device_scan_by_key_kernelINS1_19lookback_scan_stateINS0_5tupleIJibEEELb0ELb1EEEN6thrust23THRUST_200600_302600_NS6detail15normal_iteratorINS8_10device_ptrIxEEEEjNS1_16block_id_wrapperIjLb0EEEEEvT_jjPNSG_10value_typeET0_PNSt15iterator_traitsISJ_E10value_typeEmT1_T2_.kd
    .uniform_work_group_size: 1
    .uses_dynamic_stack: false
    .vgpr_count:     12
    .vgpr_spill_count: 0
    .wavefront_size: 64
  - .agpr_count:     0
    .args:
      - .offset:         0
        .size:           112
        .value_kind:     by_value
    .group_segment_fixed_size: 0
    .kernarg_segment_align: 8
    .kernarg_segment_size: 112
    .language:       OpenCL C
    .language_version:
      - 2
      - 0
    .max_flat_workgroup_size: 256
    .name:           _ZN7rocprim17ROCPRIM_400000_NS6detail17trampoline_kernelINS0_14default_configENS1_27scan_by_key_config_selectorIxiEEZZNS1_16scan_by_key_implILNS1_25lookback_scan_determinismE0ELb1ES3_N6thrust23THRUST_200600_302600_NS6detail15normal_iteratorINS9_10device_ptrIxEEEESE_SE_iNS9_4plusIvEENS9_8equal_toIvEEiEE10hipError_tPvRmT2_T3_T4_T5_mT6_T7_P12ihipStream_tbENKUlT_T0_E_clISt17integral_constantIbLb0EESZ_EEDaSU_SV_EUlSU_E_NS1_11comp_targetILNS1_3genE0ELNS1_11target_archE4294967295ELNS1_3gpuE0ELNS1_3repE0EEENS1_30default_config_static_selectorELNS0_4arch9wavefront6targetE1EEEvT1_
    .private_segment_fixed_size: 0
    .sgpr_count:     4
    .sgpr_spill_count: 0
    .symbol:         _ZN7rocprim17ROCPRIM_400000_NS6detail17trampoline_kernelINS0_14default_configENS1_27scan_by_key_config_selectorIxiEEZZNS1_16scan_by_key_implILNS1_25lookback_scan_determinismE0ELb1ES3_N6thrust23THRUST_200600_302600_NS6detail15normal_iteratorINS9_10device_ptrIxEEEESE_SE_iNS9_4plusIvEENS9_8equal_toIvEEiEE10hipError_tPvRmT2_T3_T4_T5_mT6_T7_P12ihipStream_tbENKUlT_T0_E_clISt17integral_constantIbLb0EESZ_EEDaSU_SV_EUlSU_E_NS1_11comp_targetILNS1_3genE0ELNS1_11target_archE4294967295ELNS1_3gpuE0ELNS1_3repE0EEENS1_30default_config_static_selectorELNS0_4arch9wavefront6targetE1EEEvT1_.kd
    .uniform_work_group_size: 1
    .uses_dynamic_stack: false
    .vgpr_count:     0
    .vgpr_spill_count: 0
    .wavefront_size: 64
  - .agpr_count:     0
    .args:
      - .offset:         0
        .size:           112
        .value_kind:     by_value
    .group_segment_fixed_size: 0
    .kernarg_segment_align: 8
    .kernarg_segment_size: 112
    .language:       OpenCL C
    .language_version:
      - 2
      - 0
    .max_flat_workgroup_size: 256
    .name:           _ZN7rocprim17ROCPRIM_400000_NS6detail17trampoline_kernelINS0_14default_configENS1_27scan_by_key_config_selectorIxiEEZZNS1_16scan_by_key_implILNS1_25lookback_scan_determinismE0ELb1ES3_N6thrust23THRUST_200600_302600_NS6detail15normal_iteratorINS9_10device_ptrIxEEEESE_SE_iNS9_4plusIvEENS9_8equal_toIvEEiEE10hipError_tPvRmT2_T3_T4_T5_mT6_T7_P12ihipStream_tbENKUlT_T0_E_clISt17integral_constantIbLb0EESZ_EEDaSU_SV_EUlSU_E_NS1_11comp_targetILNS1_3genE10ELNS1_11target_archE1201ELNS1_3gpuE5ELNS1_3repE0EEENS1_30default_config_static_selectorELNS0_4arch9wavefront6targetE1EEEvT1_
    .private_segment_fixed_size: 0
    .sgpr_count:     4
    .sgpr_spill_count: 0
    .symbol:         _ZN7rocprim17ROCPRIM_400000_NS6detail17trampoline_kernelINS0_14default_configENS1_27scan_by_key_config_selectorIxiEEZZNS1_16scan_by_key_implILNS1_25lookback_scan_determinismE0ELb1ES3_N6thrust23THRUST_200600_302600_NS6detail15normal_iteratorINS9_10device_ptrIxEEEESE_SE_iNS9_4plusIvEENS9_8equal_toIvEEiEE10hipError_tPvRmT2_T3_T4_T5_mT6_T7_P12ihipStream_tbENKUlT_T0_E_clISt17integral_constantIbLb0EESZ_EEDaSU_SV_EUlSU_E_NS1_11comp_targetILNS1_3genE10ELNS1_11target_archE1201ELNS1_3gpuE5ELNS1_3repE0EEENS1_30default_config_static_selectorELNS0_4arch9wavefront6targetE1EEEvT1_.kd
    .uniform_work_group_size: 1
    .uses_dynamic_stack: false
    .vgpr_count:     0
    .vgpr_spill_count: 0
    .wavefront_size: 64
  - .agpr_count:     0
    .args:
      - .offset:         0
        .size:           112
        .value_kind:     by_value
    .group_segment_fixed_size: 0
    .kernarg_segment_align: 8
    .kernarg_segment_size: 112
    .language:       OpenCL C
    .language_version:
      - 2
      - 0
    .max_flat_workgroup_size: 256
    .name:           _ZN7rocprim17ROCPRIM_400000_NS6detail17trampoline_kernelINS0_14default_configENS1_27scan_by_key_config_selectorIxiEEZZNS1_16scan_by_key_implILNS1_25lookback_scan_determinismE0ELb1ES3_N6thrust23THRUST_200600_302600_NS6detail15normal_iteratorINS9_10device_ptrIxEEEESE_SE_iNS9_4plusIvEENS9_8equal_toIvEEiEE10hipError_tPvRmT2_T3_T4_T5_mT6_T7_P12ihipStream_tbENKUlT_T0_E_clISt17integral_constantIbLb0EESZ_EEDaSU_SV_EUlSU_E_NS1_11comp_targetILNS1_3genE5ELNS1_11target_archE942ELNS1_3gpuE9ELNS1_3repE0EEENS1_30default_config_static_selectorELNS0_4arch9wavefront6targetE1EEEvT1_
    .private_segment_fixed_size: 0
    .sgpr_count:     4
    .sgpr_spill_count: 0
    .symbol:         _ZN7rocprim17ROCPRIM_400000_NS6detail17trampoline_kernelINS0_14default_configENS1_27scan_by_key_config_selectorIxiEEZZNS1_16scan_by_key_implILNS1_25lookback_scan_determinismE0ELb1ES3_N6thrust23THRUST_200600_302600_NS6detail15normal_iteratorINS9_10device_ptrIxEEEESE_SE_iNS9_4plusIvEENS9_8equal_toIvEEiEE10hipError_tPvRmT2_T3_T4_T5_mT6_T7_P12ihipStream_tbENKUlT_T0_E_clISt17integral_constantIbLb0EESZ_EEDaSU_SV_EUlSU_E_NS1_11comp_targetILNS1_3genE5ELNS1_11target_archE942ELNS1_3gpuE9ELNS1_3repE0EEENS1_30default_config_static_selectorELNS0_4arch9wavefront6targetE1EEEvT1_.kd
    .uniform_work_group_size: 1
    .uses_dynamic_stack: false
    .vgpr_count:     0
    .vgpr_spill_count: 0
    .wavefront_size: 64
  - .agpr_count:     0
    .args:
      - .offset:         0
        .size:           112
        .value_kind:     by_value
    .group_segment_fixed_size: 32768
    .kernarg_segment_align: 8
    .kernarg_segment_size: 112
    .language:       OpenCL C
    .language_version:
      - 2
      - 0
    .max_flat_workgroup_size: 256
    .name:           _ZN7rocprim17ROCPRIM_400000_NS6detail17trampoline_kernelINS0_14default_configENS1_27scan_by_key_config_selectorIxiEEZZNS1_16scan_by_key_implILNS1_25lookback_scan_determinismE0ELb1ES3_N6thrust23THRUST_200600_302600_NS6detail15normal_iteratorINS9_10device_ptrIxEEEESE_SE_iNS9_4plusIvEENS9_8equal_toIvEEiEE10hipError_tPvRmT2_T3_T4_T5_mT6_T7_P12ihipStream_tbENKUlT_T0_E_clISt17integral_constantIbLb0EESZ_EEDaSU_SV_EUlSU_E_NS1_11comp_targetILNS1_3genE4ELNS1_11target_archE910ELNS1_3gpuE8ELNS1_3repE0EEENS1_30default_config_static_selectorELNS0_4arch9wavefront6targetE1EEEvT1_
    .private_segment_fixed_size: 0
    .sgpr_count:     64
    .sgpr_spill_count: 0
    .symbol:         _ZN7rocprim17ROCPRIM_400000_NS6detail17trampoline_kernelINS0_14default_configENS1_27scan_by_key_config_selectorIxiEEZZNS1_16scan_by_key_implILNS1_25lookback_scan_determinismE0ELb1ES3_N6thrust23THRUST_200600_302600_NS6detail15normal_iteratorINS9_10device_ptrIxEEEESE_SE_iNS9_4plusIvEENS9_8equal_toIvEEiEE10hipError_tPvRmT2_T3_T4_T5_mT6_T7_P12ihipStream_tbENKUlT_T0_E_clISt17integral_constantIbLb0EESZ_EEDaSU_SV_EUlSU_E_NS1_11comp_targetILNS1_3genE4ELNS1_11target_archE910ELNS1_3gpuE8ELNS1_3repE0EEENS1_30default_config_static_selectorELNS0_4arch9wavefront6targetE1EEEvT1_.kd
    .uniform_work_group_size: 1
    .uses_dynamic_stack: false
    .vgpr_count:     68
    .vgpr_spill_count: 0
    .wavefront_size: 64
  - .agpr_count:     0
    .args:
      - .offset:         0
        .size:           112
        .value_kind:     by_value
    .group_segment_fixed_size: 0
    .kernarg_segment_align: 8
    .kernarg_segment_size: 112
    .language:       OpenCL C
    .language_version:
      - 2
      - 0
    .max_flat_workgroup_size: 256
    .name:           _ZN7rocprim17ROCPRIM_400000_NS6detail17trampoline_kernelINS0_14default_configENS1_27scan_by_key_config_selectorIxiEEZZNS1_16scan_by_key_implILNS1_25lookback_scan_determinismE0ELb1ES3_N6thrust23THRUST_200600_302600_NS6detail15normal_iteratorINS9_10device_ptrIxEEEESE_SE_iNS9_4plusIvEENS9_8equal_toIvEEiEE10hipError_tPvRmT2_T3_T4_T5_mT6_T7_P12ihipStream_tbENKUlT_T0_E_clISt17integral_constantIbLb0EESZ_EEDaSU_SV_EUlSU_E_NS1_11comp_targetILNS1_3genE3ELNS1_11target_archE908ELNS1_3gpuE7ELNS1_3repE0EEENS1_30default_config_static_selectorELNS0_4arch9wavefront6targetE1EEEvT1_
    .private_segment_fixed_size: 0
    .sgpr_count:     4
    .sgpr_spill_count: 0
    .symbol:         _ZN7rocprim17ROCPRIM_400000_NS6detail17trampoline_kernelINS0_14default_configENS1_27scan_by_key_config_selectorIxiEEZZNS1_16scan_by_key_implILNS1_25lookback_scan_determinismE0ELb1ES3_N6thrust23THRUST_200600_302600_NS6detail15normal_iteratorINS9_10device_ptrIxEEEESE_SE_iNS9_4plusIvEENS9_8equal_toIvEEiEE10hipError_tPvRmT2_T3_T4_T5_mT6_T7_P12ihipStream_tbENKUlT_T0_E_clISt17integral_constantIbLb0EESZ_EEDaSU_SV_EUlSU_E_NS1_11comp_targetILNS1_3genE3ELNS1_11target_archE908ELNS1_3gpuE7ELNS1_3repE0EEENS1_30default_config_static_selectorELNS0_4arch9wavefront6targetE1EEEvT1_.kd
    .uniform_work_group_size: 1
    .uses_dynamic_stack: false
    .vgpr_count:     0
    .vgpr_spill_count: 0
    .wavefront_size: 64
  - .agpr_count:     0
    .args:
      - .offset:         0
        .size:           112
        .value_kind:     by_value
    .group_segment_fixed_size: 0
    .kernarg_segment_align: 8
    .kernarg_segment_size: 112
    .language:       OpenCL C
    .language_version:
      - 2
      - 0
    .max_flat_workgroup_size: 256
    .name:           _ZN7rocprim17ROCPRIM_400000_NS6detail17trampoline_kernelINS0_14default_configENS1_27scan_by_key_config_selectorIxiEEZZNS1_16scan_by_key_implILNS1_25lookback_scan_determinismE0ELb1ES3_N6thrust23THRUST_200600_302600_NS6detail15normal_iteratorINS9_10device_ptrIxEEEESE_SE_iNS9_4plusIvEENS9_8equal_toIvEEiEE10hipError_tPvRmT2_T3_T4_T5_mT6_T7_P12ihipStream_tbENKUlT_T0_E_clISt17integral_constantIbLb0EESZ_EEDaSU_SV_EUlSU_E_NS1_11comp_targetILNS1_3genE2ELNS1_11target_archE906ELNS1_3gpuE6ELNS1_3repE0EEENS1_30default_config_static_selectorELNS0_4arch9wavefront6targetE1EEEvT1_
    .private_segment_fixed_size: 0
    .sgpr_count:     4
    .sgpr_spill_count: 0
    .symbol:         _ZN7rocprim17ROCPRIM_400000_NS6detail17trampoline_kernelINS0_14default_configENS1_27scan_by_key_config_selectorIxiEEZZNS1_16scan_by_key_implILNS1_25lookback_scan_determinismE0ELb1ES3_N6thrust23THRUST_200600_302600_NS6detail15normal_iteratorINS9_10device_ptrIxEEEESE_SE_iNS9_4plusIvEENS9_8equal_toIvEEiEE10hipError_tPvRmT2_T3_T4_T5_mT6_T7_P12ihipStream_tbENKUlT_T0_E_clISt17integral_constantIbLb0EESZ_EEDaSU_SV_EUlSU_E_NS1_11comp_targetILNS1_3genE2ELNS1_11target_archE906ELNS1_3gpuE6ELNS1_3repE0EEENS1_30default_config_static_selectorELNS0_4arch9wavefront6targetE1EEEvT1_.kd
    .uniform_work_group_size: 1
    .uses_dynamic_stack: false
    .vgpr_count:     0
    .vgpr_spill_count: 0
    .wavefront_size: 64
  - .agpr_count:     0
    .args:
      - .offset:         0
        .size:           112
        .value_kind:     by_value
    .group_segment_fixed_size: 0
    .kernarg_segment_align: 8
    .kernarg_segment_size: 112
    .language:       OpenCL C
    .language_version:
      - 2
      - 0
    .max_flat_workgroup_size: 256
    .name:           _ZN7rocprim17ROCPRIM_400000_NS6detail17trampoline_kernelINS0_14default_configENS1_27scan_by_key_config_selectorIxiEEZZNS1_16scan_by_key_implILNS1_25lookback_scan_determinismE0ELb1ES3_N6thrust23THRUST_200600_302600_NS6detail15normal_iteratorINS9_10device_ptrIxEEEESE_SE_iNS9_4plusIvEENS9_8equal_toIvEEiEE10hipError_tPvRmT2_T3_T4_T5_mT6_T7_P12ihipStream_tbENKUlT_T0_E_clISt17integral_constantIbLb0EESZ_EEDaSU_SV_EUlSU_E_NS1_11comp_targetILNS1_3genE10ELNS1_11target_archE1200ELNS1_3gpuE4ELNS1_3repE0EEENS1_30default_config_static_selectorELNS0_4arch9wavefront6targetE1EEEvT1_
    .private_segment_fixed_size: 0
    .sgpr_count:     4
    .sgpr_spill_count: 0
    .symbol:         _ZN7rocprim17ROCPRIM_400000_NS6detail17trampoline_kernelINS0_14default_configENS1_27scan_by_key_config_selectorIxiEEZZNS1_16scan_by_key_implILNS1_25lookback_scan_determinismE0ELb1ES3_N6thrust23THRUST_200600_302600_NS6detail15normal_iteratorINS9_10device_ptrIxEEEESE_SE_iNS9_4plusIvEENS9_8equal_toIvEEiEE10hipError_tPvRmT2_T3_T4_T5_mT6_T7_P12ihipStream_tbENKUlT_T0_E_clISt17integral_constantIbLb0EESZ_EEDaSU_SV_EUlSU_E_NS1_11comp_targetILNS1_3genE10ELNS1_11target_archE1200ELNS1_3gpuE4ELNS1_3repE0EEENS1_30default_config_static_selectorELNS0_4arch9wavefront6targetE1EEEvT1_.kd
    .uniform_work_group_size: 1
    .uses_dynamic_stack: false
    .vgpr_count:     0
    .vgpr_spill_count: 0
    .wavefront_size: 64
  - .agpr_count:     0
    .args:
      - .offset:         0
        .size:           112
        .value_kind:     by_value
    .group_segment_fixed_size: 0
    .kernarg_segment_align: 8
    .kernarg_segment_size: 112
    .language:       OpenCL C
    .language_version:
      - 2
      - 0
    .max_flat_workgroup_size: 256
    .name:           _ZN7rocprim17ROCPRIM_400000_NS6detail17trampoline_kernelINS0_14default_configENS1_27scan_by_key_config_selectorIxiEEZZNS1_16scan_by_key_implILNS1_25lookback_scan_determinismE0ELb1ES3_N6thrust23THRUST_200600_302600_NS6detail15normal_iteratorINS9_10device_ptrIxEEEESE_SE_iNS9_4plusIvEENS9_8equal_toIvEEiEE10hipError_tPvRmT2_T3_T4_T5_mT6_T7_P12ihipStream_tbENKUlT_T0_E_clISt17integral_constantIbLb0EESZ_EEDaSU_SV_EUlSU_E_NS1_11comp_targetILNS1_3genE9ELNS1_11target_archE1100ELNS1_3gpuE3ELNS1_3repE0EEENS1_30default_config_static_selectorELNS0_4arch9wavefront6targetE1EEEvT1_
    .private_segment_fixed_size: 0
    .sgpr_count:     4
    .sgpr_spill_count: 0
    .symbol:         _ZN7rocprim17ROCPRIM_400000_NS6detail17trampoline_kernelINS0_14default_configENS1_27scan_by_key_config_selectorIxiEEZZNS1_16scan_by_key_implILNS1_25lookback_scan_determinismE0ELb1ES3_N6thrust23THRUST_200600_302600_NS6detail15normal_iteratorINS9_10device_ptrIxEEEESE_SE_iNS9_4plusIvEENS9_8equal_toIvEEiEE10hipError_tPvRmT2_T3_T4_T5_mT6_T7_P12ihipStream_tbENKUlT_T0_E_clISt17integral_constantIbLb0EESZ_EEDaSU_SV_EUlSU_E_NS1_11comp_targetILNS1_3genE9ELNS1_11target_archE1100ELNS1_3gpuE3ELNS1_3repE0EEENS1_30default_config_static_selectorELNS0_4arch9wavefront6targetE1EEEvT1_.kd
    .uniform_work_group_size: 1
    .uses_dynamic_stack: false
    .vgpr_count:     0
    .vgpr_spill_count: 0
    .wavefront_size: 64
  - .agpr_count:     0
    .args:
      - .offset:         0
        .size:           112
        .value_kind:     by_value
    .group_segment_fixed_size: 0
    .kernarg_segment_align: 8
    .kernarg_segment_size: 112
    .language:       OpenCL C
    .language_version:
      - 2
      - 0
    .max_flat_workgroup_size: 256
    .name:           _ZN7rocprim17ROCPRIM_400000_NS6detail17trampoline_kernelINS0_14default_configENS1_27scan_by_key_config_selectorIxiEEZZNS1_16scan_by_key_implILNS1_25lookback_scan_determinismE0ELb1ES3_N6thrust23THRUST_200600_302600_NS6detail15normal_iteratorINS9_10device_ptrIxEEEESE_SE_iNS9_4plusIvEENS9_8equal_toIvEEiEE10hipError_tPvRmT2_T3_T4_T5_mT6_T7_P12ihipStream_tbENKUlT_T0_E_clISt17integral_constantIbLb0EESZ_EEDaSU_SV_EUlSU_E_NS1_11comp_targetILNS1_3genE8ELNS1_11target_archE1030ELNS1_3gpuE2ELNS1_3repE0EEENS1_30default_config_static_selectorELNS0_4arch9wavefront6targetE1EEEvT1_
    .private_segment_fixed_size: 0
    .sgpr_count:     4
    .sgpr_spill_count: 0
    .symbol:         _ZN7rocprim17ROCPRIM_400000_NS6detail17trampoline_kernelINS0_14default_configENS1_27scan_by_key_config_selectorIxiEEZZNS1_16scan_by_key_implILNS1_25lookback_scan_determinismE0ELb1ES3_N6thrust23THRUST_200600_302600_NS6detail15normal_iteratorINS9_10device_ptrIxEEEESE_SE_iNS9_4plusIvEENS9_8equal_toIvEEiEE10hipError_tPvRmT2_T3_T4_T5_mT6_T7_P12ihipStream_tbENKUlT_T0_E_clISt17integral_constantIbLb0EESZ_EEDaSU_SV_EUlSU_E_NS1_11comp_targetILNS1_3genE8ELNS1_11target_archE1030ELNS1_3gpuE2ELNS1_3repE0EEENS1_30default_config_static_selectorELNS0_4arch9wavefront6targetE1EEEvT1_.kd
    .uniform_work_group_size: 1
    .uses_dynamic_stack: false
    .vgpr_count:     0
    .vgpr_spill_count: 0
    .wavefront_size: 64
  - .agpr_count:     0
    .args:
      - .address_space:  global
        .offset:         0
        .size:           8
        .value_kind:     global_buffer
      - .offset:         8
        .size:           4
        .value_kind:     by_value
      - .offset:         12
        .size:           4
        .value_kind:     by_value
      - .address_space:  global
        .offset:         16
        .size:           8
        .value_kind:     global_buffer
      - .address_space:  global
        .offset:         24
        .size:           8
        .value_kind:     global_buffer
      - .actual_access:  write_only
        .address_space:  global
        .offset:         32
        .size:           8
        .value_kind:     global_buffer
      - .offset:         40
        .size:           8
        .value_kind:     by_value
      - .offset:         48
        .size:           4
        .value_kind:     by_value
      - .address_space:  global
        .offset:         56
        .size:           8
        .value_kind:     global_buffer
      - .offset:         64
        .size:           4
        .value_kind:     hidden_block_count_x
      - .offset:         68
        .size:           4
        .value_kind:     hidden_block_count_y
      - .offset:         72
        .size:           4
        .value_kind:     hidden_block_count_z
      - .offset:         76
        .size:           2
        .value_kind:     hidden_group_size_x
      - .offset:         78
        .size:           2
        .value_kind:     hidden_group_size_y
      - .offset:         80
        .size:           2
        .value_kind:     hidden_group_size_z
      - .offset:         82
        .size:           2
        .value_kind:     hidden_remainder_x
      - .offset:         84
        .size:           2
        .value_kind:     hidden_remainder_y
      - .offset:         86
        .size:           2
        .value_kind:     hidden_remainder_z
      - .offset:         104
        .size:           8
        .value_kind:     hidden_global_offset_x
      - .offset:         112
        .size:           8
        .value_kind:     hidden_global_offset_y
      - .offset:         120
        .size:           8
        .value_kind:     hidden_global_offset_z
      - .offset:         128
        .size:           2
        .value_kind:     hidden_grid_dims
    .group_segment_fixed_size: 0
    .kernarg_segment_align: 8
    .kernarg_segment_size: 320
    .language:       OpenCL C
    .language_version:
      - 2
      - 0
    .max_flat_workgroup_size: 256
    .name:           _ZN7rocprim17ROCPRIM_400000_NS6detail30init_device_scan_by_key_kernelINS1_19lookback_scan_stateINS0_5tupleIJibEEELb1ELb1EEEN6thrust23THRUST_200600_302600_NS6detail15normal_iteratorINS8_10device_ptrIxEEEEjNS1_16block_id_wrapperIjLb1EEEEEvT_jjPNSG_10value_typeET0_PNSt15iterator_traitsISJ_E10value_typeEmT1_T2_
    .private_segment_fixed_size: 0
    .sgpr_count:     24
    .sgpr_spill_count: 0
    .symbol:         _ZN7rocprim17ROCPRIM_400000_NS6detail30init_device_scan_by_key_kernelINS1_19lookback_scan_stateINS0_5tupleIJibEEELb1ELb1EEEN6thrust23THRUST_200600_302600_NS6detail15normal_iteratorINS8_10device_ptrIxEEEEjNS1_16block_id_wrapperIjLb1EEEEEvT_jjPNSG_10value_typeET0_PNSt15iterator_traitsISJ_E10value_typeEmT1_T2_.kd
    .uniform_work_group_size: 1
    .uses_dynamic_stack: false
    .vgpr_count:     12
    .vgpr_spill_count: 0
    .wavefront_size: 64
  - .agpr_count:     0
    .args:
      - .offset:         0
        .size:           112
        .value_kind:     by_value
    .group_segment_fixed_size: 0
    .kernarg_segment_align: 8
    .kernarg_segment_size: 112
    .language:       OpenCL C
    .language_version:
      - 2
      - 0
    .max_flat_workgroup_size: 256
    .name:           _ZN7rocprim17ROCPRIM_400000_NS6detail17trampoline_kernelINS0_14default_configENS1_27scan_by_key_config_selectorIxiEEZZNS1_16scan_by_key_implILNS1_25lookback_scan_determinismE0ELb1ES3_N6thrust23THRUST_200600_302600_NS6detail15normal_iteratorINS9_10device_ptrIxEEEESE_SE_iNS9_4plusIvEENS9_8equal_toIvEEiEE10hipError_tPvRmT2_T3_T4_T5_mT6_T7_P12ihipStream_tbENKUlT_T0_E_clISt17integral_constantIbLb1EESZ_EEDaSU_SV_EUlSU_E_NS1_11comp_targetILNS1_3genE0ELNS1_11target_archE4294967295ELNS1_3gpuE0ELNS1_3repE0EEENS1_30default_config_static_selectorELNS0_4arch9wavefront6targetE1EEEvT1_
    .private_segment_fixed_size: 0
    .sgpr_count:     4
    .sgpr_spill_count: 0
    .symbol:         _ZN7rocprim17ROCPRIM_400000_NS6detail17trampoline_kernelINS0_14default_configENS1_27scan_by_key_config_selectorIxiEEZZNS1_16scan_by_key_implILNS1_25lookback_scan_determinismE0ELb1ES3_N6thrust23THRUST_200600_302600_NS6detail15normal_iteratorINS9_10device_ptrIxEEEESE_SE_iNS9_4plusIvEENS9_8equal_toIvEEiEE10hipError_tPvRmT2_T3_T4_T5_mT6_T7_P12ihipStream_tbENKUlT_T0_E_clISt17integral_constantIbLb1EESZ_EEDaSU_SV_EUlSU_E_NS1_11comp_targetILNS1_3genE0ELNS1_11target_archE4294967295ELNS1_3gpuE0ELNS1_3repE0EEENS1_30default_config_static_selectorELNS0_4arch9wavefront6targetE1EEEvT1_.kd
    .uniform_work_group_size: 1
    .uses_dynamic_stack: false
    .vgpr_count:     0
    .vgpr_spill_count: 0
    .wavefront_size: 64
  - .agpr_count:     0
    .args:
      - .offset:         0
        .size:           112
        .value_kind:     by_value
    .group_segment_fixed_size: 0
    .kernarg_segment_align: 8
    .kernarg_segment_size: 112
    .language:       OpenCL C
    .language_version:
      - 2
      - 0
    .max_flat_workgroup_size: 256
    .name:           _ZN7rocprim17ROCPRIM_400000_NS6detail17trampoline_kernelINS0_14default_configENS1_27scan_by_key_config_selectorIxiEEZZNS1_16scan_by_key_implILNS1_25lookback_scan_determinismE0ELb1ES3_N6thrust23THRUST_200600_302600_NS6detail15normal_iteratorINS9_10device_ptrIxEEEESE_SE_iNS9_4plusIvEENS9_8equal_toIvEEiEE10hipError_tPvRmT2_T3_T4_T5_mT6_T7_P12ihipStream_tbENKUlT_T0_E_clISt17integral_constantIbLb1EESZ_EEDaSU_SV_EUlSU_E_NS1_11comp_targetILNS1_3genE10ELNS1_11target_archE1201ELNS1_3gpuE5ELNS1_3repE0EEENS1_30default_config_static_selectorELNS0_4arch9wavefront6targetE1EEEvT1_
    .private_segment_fixed_size: 0
    .sgpr_count:     4
    .sgpr_spill_count: 0
    .symbol:         _ZN7rocprim17ROCPRIM_400000_NS6detail17trampoline_kernelINS0_14default_configENS1_27scan_by_key_config_selectorIxiEEZZNS1_16scan_by_key_implILNS1_25lookback_scan_determinismE0ELb1ES3_N6thrust23THRUST_200600_302600_NS6detail15normal_iteratorINS9_10device_ptrIxEEEESE_SE_iNS9_4plusIvEENS9_8equal_toIvEEiEE10hipError_tPvRmT2_T3_T4_T5_mT6_T7_P12ihipStream_tbENKUlT_T0_E_clISt17integral_constantIbLb1EESZ_EEDaSU_SV_EUlSU_E_NS1_11comp_targetILNS1_3genE10ELNS1_11target_archE1201ELNS1_3gpuE5ELNS1_3repE0EEENS1_30default_config_static_selectorELNS0_4arch9wavefront6targetE1EEEvT1_.kd
    .uniform_work_group_size: 1
    .uses_dynamic_stack: false
    .vgpr_count:     0
    .vgpr_spill_count: 0
    .wavefront_size: 64
  - .agpr_count:     0
    .args:
      - .offset:         0
        .size:           112
        .value_kind:     by_value
    .group_segment_fixed_size: 0
    .kernarg_segment_align: 8
    .kernarg_segment_size: 112
    .language:       OpenCL C
    .language_version:
      - 2
      - 0
    .max_flat_workgroup_size: 256
    .name:           _ZN7rocprim17ROCPRIM_400000_NS6detail17trampoline_kernelINS0_14default_configENS1_27scan_by_key_config_selectorIxiEEZZNS1_16scan_by_key_implILNS1_25lookback_scan_determinismE0ELb1ES3_N6thrust23THRUST_200600_302600_NS6detail15normal_iteratorINS9_10device_ptrIxEEEESE_SE_iNS9_4plusIvEENS9_8equal_toIvEEiEE10hipError_tPvRmT2_T3_T4_T5_mT6_T7_P12ihipStream_tbENKUlT_T0_E_clISt17integral_constantIbLb1EESZ_EEDaSU_SV_EUlSU_E_NS1_11comp_targetILNS1_3genE5ELNS1_11target_archE942ELNS1_3gpuE9ELNS1_3repE0EEENS1_30default_config_static_selectorELNS0_4arch9wavefront6targetE1EEEvT1_
    .private_segment_fixed_size: 0
    .sgpr_count:     4
    .sgpr_spill_count: 0
    .symbol:         _ZN7rocprim17ROCPRIM_400000_NS6detail17trampoline_kernelINS0_14default_configENS1_27scan_by_key_config_selectorIxiEEZZNS1_16scan_by_key_implILNS1_25lookback_scan_determinismE0ELb1ES3_N6thrust23THRUST_200600_302600_NS6detail15normal_iteratorINS9_10device_ptrIxEEEESE_SE_iNS9_4plusIvEENS9_8equal_toIvEEiEE10hipError_tPvRmT2_T3_T4_T5_mT6_T7_P12ihipStream_tbENKUlT_T0_E_clISt17integral_constantIbLb1EESZ_EEDaSU_SV_EUlSU_E_NS1_11comp_targetILNS1_3genE5ELNS1_11target_archE942ELNS1_3gpuE9ELNS1_3repE0EEENS1_30default_config_static_selectorELNS0_4arch9wavefront6targetE1EEEvT1_.kd
    .uniform_work_group_size: 1
    .uses_dynamic_stack: false
    .vgpr_count:     0
    .vgpr_spill_count: 0
    .wavefront_size: 64
  - .agpr_count:     0
    .args:
      - .offset:         0
        .size:           112
        .value_kind:     by_value
    .group_segment_fixed_size: 32768
    .kernarg_segment_align: 8
    .kernarg_segment_size: 112
    .language:       OpenCL C
    .language_version:
      - 2
      - 0
    .max_flat_workgroup_size: 256
    .name:           _ZN7rocprim17ROCPRIM_400000_NS6detail17trampoline_kernelINS0_14default_configENS1_27scan_by_key_config_selectorIxiEEZZNS1_16scan_by_key_implILNS1_25lookback_scan_determinismE0ELb1ES3_N6thrust23THRUST_200600_302600_NS6detail15normal_iteratorINS9_10device_ptrIxEEEESE_SE_iNS9_4plusIvEENS9_8equal_toIvEEiEE10hipError_tPvRmT2_T3_T4_T5_mT6_T7_P12ihipStream_tbENKUlT_T0_E_clISt17integral_constantIbLb1EESZ_EEDaSU_SV_EUlSU_E_NS1_11comp_targetILNS1_3genE4ELNS1_11target_archE910ELNS1_3gpuE8ELNS1_3repE0EEENS1_30default_config_static_selectorELNS0_4arch9wavefront6targetE1EEEvT1_
    .private_segment_fixed_size: 0
    .sgpr_count:     64
    .sgpr_spill_count: 0
    .symbol:         _ZN7rocprim17ROCPRIM_400000_NS6detail17trampoline_kernelINS0_14default_configENS1_27scan_by_key_config_selectorIxiEEZZNS1_16scan_by_key_implILNS1_25lookback_scan_determinismE0ELb1ES3_N6thrust23THRUST_200600_302600_NS6detail15normal_iteratorINS9_10device_ptrIxEEEESE_SE_iNS9_4plusIvEENS9_8equal_toIvEEiEE10hipError_tPvRmT2_T3_T4_T5_mT6_T7_P12ihipStream_tbENKUlT_T0_E_clISt17integral_constantIbLb1EESZ_EEDaSU_SV_EUlSU_E_NS1_11comp_targetILNS1_3genE4ELNS1_11target_archE910ELNS1_3gpuE8ELNS1_3repE0EEENS1_30default_config_static_selectorELNS0_4arch9wavefront6targetE1EEEvT1_.kd
    .uniform_work_group_size: 1
    .uses_dynamic_stack: false
    .vgpr_count:     74
    .vgpr_spill_count: 0
    .wavefront_size: 64
  - .agpr_count:     0
    .args:
      - .offset:         0
        .size:           112
        .value_kind:     by_value
    .group_segment_fixed_size: 0
    .kernarg_segment_align: 8
    .kernarg_segment_size: 112
    .language:       OpenCL C
    .language_version:
      - 2
      - 0
    .max_flat_workgroup_size: 256
    .name:           _ZN7rocprim17ROCPRIM_400000_NS6detail17trampoline_kernelINS0_14default_configENS1_27scan_by_key_config_selectorIxiEEZZNS1_16scan_by_key_implILNS1_25lookback_scan_determinismE0ELb1ES3_N6thrust23THRUST_200600_302600_NS6detail15normal_iteratorINS9_10device_ptrIxEEEESE_SE_iNS9_4plusIvEENS9_8equal_toIvEEiEE10hipError_tPvRmT2_T3_T4_T5_mT6_T7_P12ihipStream_tbENKUlT_T0_E_clISt17integral_constantIbLb1EESZ_EEDaSU_SV_EUlSU_E_NS1_11comp_targetILNS1_3genE3ELNS1_11target_archE908ELNS1_3gpuE7ELNS1_3repE0EEENS1_30default_config_static_selectorELNS0_4arch9wavefront6targetE1EEEvT1_
    .private_segment_fixed_size: 0
    .sgpr_count:     4
    .sgpr_spill_count: 0
    .symbol:         _ZN7rocprim17ROCPRIM_400000_NS6detail17trampoline_kernelINS0_14default_configENS1_27scan_by_key_config_selectorIxiEEZZNS1_16scan_by_key_implILNS1_25lookback_scan_determinismE0ELb1ES3_N6thrust23THRUST_200600_302600_NS6detail15normal_iteratorINS9_10device_ptrIxEEEESE_SE_iNS9_4plusIvEENS9_8equal_toIvEEiEE10hipError_tPvRmT2_T3_T4_T5_mT6_T7_P12ihipStream_tbENKUlT_T0_E_clISt17integral_constantIbLb1EESZ_EEDaSU_SV_EUlSU_E_NS1_11comp_targetILNS1_3genE3ELNS1_11target_archE908ELNS1_3gpuE7ELNS1_3repE0EEENS1_30default_config_static_selectorELNS0_4arch9wavefront6targetE1EEEvT1_.kd
    .uniform_work_group_size: 1
    .uses_dynamic_stack: false
    .vgpr_count:     0
    .vgpr_spill_count: 0
    .wavefront_size: 64
  - .agpr_count:     0
    .args:
      - .offset:         0
        .size:           112
        .value_kind:     by_value
    .group_segment_fixed_size: 0
    .kernarg_segment_align: 8
    .kernarg_segment_size: 112
    .language:       OpenCL C
    .language_version:
      - 2
      - 0
    .max_flat_workgroup_size: 256
    .name:           _ZN7rocprim17ROCPRIM_400000_NS6detail17trampoline_kernelINS0_14default_configENS1_27scan_by_key_config_selectorIxiEEZZNS1_16scan_by_key_implILNS1_25lookback_scan_determinismE0ELb1ES3_N6thrust23THRUST_200600_302600_NS6detail15normal_iteratorINS9_10device_ptrIxEEEESE_SE_iNS9_4plusIvEENS9_8equal_toIvEEiEE10hipError_tPvRmT2_T3_T4_T5_mT6_T7_P12ihipStream_tbENKUlT_T0_E_clISt17integral_constantIbLb1EESZ_EEDaSU_SV_EUlSU_E_NS1_11comp_targetILNS1_3genE2ELNS1_11target_archE906ELNS1_3gpuE6ELNS1_3repE0EEENS1_30default_config_static_selectorELNS0_4arch9wavefront6targetE1EEEvT1_
    .private_segment_fixed_size: 0
    .sgpr_count:     4
    .sgpr_spill_count: 0
    .symbol:         _ZN7rocprim17ROCPRIM_400000_NS6detail17trampoline_kernelINS0_14default_configENS1_27scan_by_key_config_selectorIxiEEZZNS1_16scan_by_key_implILNS1_25lookback_scan_determinismE0ELb1ES3_N6thrust23THRUST_200600_302600_NS6detail15normal_iteratorINS9_10device_ptrIxEEEESE_SE_iNS9_4plusIvEENS9_8equal_toIvEEiEE10hipError_tPvRmT2_T3_T4_T5_mT6_T7_P12ihipStream_tbENKUlT_T0_E_clISt17integral_constantIbLb1EESZ_EEDaSU_SV_EUlSU_E_NS1_11comp_targetILNS1_3genE2ELNS1_11target_archE906ELNS1_3gpuE6ELNS1_3repE0EEENS1_30default_config_static_selectorELNS0_4arch9wavefront6targetE1EEEvT1_.kd
    .uniform_work_group_size: 1
    .uses_dynamic_stack: false
    .vgpr_count:     0
    .vgpr_spill_count: 0
    .wavefront_size: 64
  - .agpr_count:     0
    .args:
      - .offset:         0
        .size:           112
        .value_kind:     by_value
    .group_segment_fixed_size: 0
    .kernarg_segment_align: 8
    .kernarg_segment_size: 112
    .language:       OpenCL C
    .language_version:
      - 2
      - 0
    .max_flat_workgroup_size: 256
    .name:           _ZN7rocprim17ROCPRIM_400000_NS6detail17trampoline_kernelINS0_14default_configENS1_27scan_by_key_config_selectorIxiEEZZNS1_16scan_by_key_implILNS1_25lookback_scan_determinismE0ELb1ES3_N6thrust23THRUST_200600_302600_NS6detail15normal_iteratorINS9_10device_ptrIxEEEESE_SE_iNS9_4plusIvEENS9_8equal_toIvEEiEE10hipError_tPvRmT2_T3_T4_T5_mT6_T7_P12ihipStream_tbENKUlT_T0_E_clISt17integral_constantIbLb1EESZ_EEDaSU_SV_EUlSU_E_NS1_11comp_targetILNS1_3genE10ELNS1_11target_archE1200ELNS1_3gpuE4ELNS1_3repE0EEENS1_30default_config_static_selectorELNS0_4arch9wavefront6targetE1EEEvT1_
    .private_segment_fixed_size: 0
    .sgpr_count:     4
    .sgpr_spill_count: 0
    .symbol:         _ZN7rocprim17ROCPRIM_400000_NS6detail17trampoline_kernelINS0_14default_configENS1_27scan_by_key_config_selectorIxiEEZZNS1_16scan_by_key_implILNS1_25lookback_scan_determinismE0ELb1ES3_N6thrust23THRUST_200600_302600_NS6detail15normal_iteratorINS9_10device_ptrIxEEEESE_SE_iNS9_4plusIvEENS9_8equal_toIvEEiEE10hipError_tPvRmT2_T3_T4_T5_mT6_T7_P12ihipStream_tbENKUlT_T0_E_clISt17integral_constantIbLb1EESZ_EEDaSU_SV_EUlSU_E_NS1_11comp_targetILNS1_3genE10ELNS1_11target_archE1200ELNS1_3gpuE4ELNS1_3repE0EEENS1_30default_config_static_selectorELNS0_4arch9wavefront6targetE1EEEvT1_.kd
    .uniform_work_group_size: 1
    .uses_dynamic_stack: false
    .vgpr_count:     0
    .vgpr_spill_count: 0
    .wavefront_size: 64
  - .agpr_count:     0
    .args:
      - .offset:         0
        .size:           112
        .value_kind:     by_value
    .group_segment_fixed_size: 0
    .kernarg_segment_align: 8
    .kernarg_segment_size: 112
    .language:       OpenCL C
    .language_version:
      - 2
      - 0
    .max_flat_workgroup_size: 256
    .name:           _ZN7rocprim17ROCPRIM_400000_NS6detail17trampoline_kernelINS0_14default_configENS1_27scan_by_key_config_selectorIxiEEZZNS1_16scan_by_key_implILNS1_25lookback_scan_determinismE0ELb1ES3_N6thrust23THRUST_200600_302600_NS6detail15normal_iteratorINS9_10device_ptrIxEEEESE_SE_iNS9_4plusIvEENS9_8equal_toIvEEiEE10hipError_tPvRmT2_T3_T4_T5_mT6_T7_P12ihipStream_tbENKUlT_T0_E_clISt17integral_constantIbLb1EESZ_EEDaSU_SV_EUlSU_E_NS1_11comp_targetILNS1_3genE9ELNS1_11target_archE1100ELNS1_3gpuE3ELNS1_3repE0EEENS1_30default_config_static_selectorELNS0_4arch9wavefront6targetE1EEEvT1_
    .private_segment_fixed_size: 0
    .sgpr_count:     4
    .sgpr_spill_count: 0
    .symbol:         _ZN7rocprim17ROCPRIM_400000_NS6detail17trampoline_kernelINS0_14default_configENS1_27scan_by_key_config_selectorIxiEEZZNS1_16scan_by_key_implILNS1_25lookback_scan_determinismE0ELb1ES3_N6thrust23THRUST_200600_302600_NS6detail15normal_iteratorINS9_10device_ptrIxEEEESE_SE_iNS9_4plusIvEENS9_8equal_toIvEEiEE10hipError_tPvRmT2_T3_T4_T5_mT6_T7_P12ihipStream_tbENKUlT_T0_E_clISt17integral_constantIbLb1EESZ_EEDaSU_SV_EUlSU_E_NS1_11comp_targetILNS1_3genE9ELNS1_11target_archE1100ELNS1_3gpuE3ELNS1_3repE0EEENS1_30default_config_static_selectorELNS0_4arch9wavefront6targetE1EEEvT1_.kd
    .uniform_work_group_size: 1
    .uses_dynamic_stack: false
    .vgpr_count:     0
    .vgpr_spill_count: 0
    .wavefront_size: 64
  - .agpr_count:     0
    .args:
      - .offset:         0
        .size:           112
        .value_kind:     by_value
    .group_segment_fixed_size: 0
    .kernarg_segment_align: 8
    .kernarg_segment_size: 112
    .language:       OpenCL C
    .language_version:
      - 2
      - 0
    .max_flat_workgroup_size: 256
    .name:           _ZN7rocprim17ROCPRIM_400000_NS6detail17trampoline_kernelINS0_14default_configENS1_27scan_by_key_config_selectorIxiEEZZNS1_16scan_by_key_implILNS1_25lookback_scan_determinismE0ELb1ES3_N6thrust23THRUST_200600_302600_NS6detail15normal_iteratorINS9_10device_ptrIxEEEESE_SE_iNS9_4plusIvEENS9_8equal_toIvEEiEE10hipError_tPvRmT2_T3_T4_T5_mT6_T7_P12ihipStream_tbENKUlT_T0_E_clISt17integral_constantIbLb1EESZ_EEDaSU_SV_EUlSU_E_NS1_11comp_targetILNS1_3genE8ELNS1_11target_archE1030ELNS1_3gpuE2ELNS1_3repE0EEENS1_30default_config_static_selectorELNS0_4arch9wavefront6targetE1EEEvT1_
    .private_segment_fixed_size: 0
    .sgpr_count:     4
    .sgpr_spill_count: 0
    .symbol:         _ZN7rocprim17ROCPRIM_400000_NS6detail17trampoline_kernelINS0_14default_configENS1_27scan_by_key_config_selectorIxiEEZZNS1_16scan_by_key_implILNS1_25lookback_scan_determinismE0ELb1ES3_N6thrust23THRUST_200600_302600_NS6detail15normal_iteratorINS9_10device_ptrIxEEEESE_SE_iNS9_4plusIvEENS9_8equal_toIvEEiEE10hipError_tPvRmT2_T3_T4_T5_mT6_T7_P12ihipStream_tbENKUlT_T0_E_clISt17integral_constantIbLb1EESZ_EEDaSU_SV_EUlSU_E_NS1_11comp_targetILNS1_3genE8ELNS1_11target_archE1030ELNS1_3gpuE2ELNS1_3repE0EEENS1_30default_config_static_selectorELNS0_4arch9wavefront6targetE1EEEvT1_.kd
    .uniform_work_group_size: 1
    .uses_dynamic_stack: false
    .vgpr_count:     0
    .vgpr_spill_count: 0
    .wavefront_size: 64
  - .agpr_count:     0
    .args:
      - .address_space:  global
        .offset:         0
        .size:           8
        .value_kind:     global_buffer
      - .offset:         8
        .size:           4
        .value_kind:     by_value
      - .offset:         12
        .size:           4
        .value_kind:     by_value
      - .address_space:  global
        .offset:         16
        .size:           8
        .value_kind:     global_buffer
      - .address_space:  global
        .offset:         24
        .size:           8
        .value_kind:     global_buffer
      - .actual_access:  write_only
        .address_space:  global
        .offset:         32
        .size:           8
        .value_kind:     global_buffer
      - .offset:         40
        .size:           8
        .value_kind:     by_value
      - .offset:         48
        .size:           4
        .value_kind:     by_value
      - .offset:         52
        .size:           1
        .value_kind:     by_value
      - .offset:         56
        .size:           4
        .value_kind:     hidden_block_count_x
      - .offset:         60
        .size:           4
        .value_kind:     hidden_block_count_y
      - .offset:         64
        .size:           4
        .value_kind:     hidden_block_count_z
      - .offset:         68
        .size:           2
        .value_kind:     hidden_group_size_x
      - .offset:         70
        .size:           2
        .value_kind:     hidden_group_size_y
      - .offset:         72
        .size:           2
        .value_kind:     hidden_group_size_z
      - .offset:         74
        .size:           2
        .value_kind:     hidden_remainder_x
      - .offset:         76
        .size:           2
        .value_kind:     hidden_remainder_y
      - .offset:         78
        .size:           2
        .value_kind:     hidden_remainder_z
      - .offset:         96
        .size:           8
        .value_kind:     hidden_global_offset_x
      - .offset:         104
        .size:           8
        .value_kind:     hidden_global_offset_y
      - .offset:         112
        .size:           8
        .value_kind:     hidden_global_offset_z
      - .offset:         120
        .size:           2
        .value_kind:     hidden_grid_dims
    .group_segment_fixed_size: 0
    .kernarg_segment_align: 8
    .kernarg_segment_size: 312
    .language:       OpenCL C
    .language_version:
      - 2
      - 0
    .max_flat_workgroup_size: 256
    .name:           _ZN7rocprim17ROCPRIM_400000_NS6detail30init_device_scan_by_key_kernelINS1_19lookback_scan_stateINS0_5tupleIJibEEELb1ELb1EEEN6thrust23THRUST_200600_302600_NS6detail15normal_iteratorINS8_10device_ptrIxEEEEjNS1_16block_id_wrapperIjLb0EEEEEvT_jjPNSG_10value_typeET0_PNSt15iterator_traitsISJ_E10value_typeEmT1_T2_
    .private_segment_fixed_size: 0
    .sgpr_count:     24
    .sgpr_spill_count: 0
    .symbol:         _ZN7rocprim17ROCPRIM_400000_NS6detail30init_device_scan_by_key_kernelINS1_19lookback_scan_stateINS0_5tupleIJibEEELb1ELb1EEEN6thrust23THRUST_200600_302600_NS6detail15normal_iteratorINS8_10device_ptrIxEEEEjNS1_16block_id_wrapperIjLb0EEEEEvT_jjPNSG_10value_typeET0_PNSt15iterator_traitsISJ_E10value_typeEmT1_T2_.kd
    .uniform_work_group_size: 1
    .uses_dynamic_stack: false
    .vgpr_count:     12
    .vgpr_spill_count: 0
    .wavefront_size: 64
  - .agpr_count:     0
    .args:
      - .offset:         0
        .size:           112
        .value_kind:     by_value
    .group_segment_fixed_size: 0
    .kernarg_segment_align: 8
    .kernarg_segment_size: 112
    .language:       OpenCL C
    .language_version:
      - 2
      - 0
    .max_flat_workgroup_size: 256
    .name:           _ZN7rocprim17ROCPRIM_400000_NS6detail17trampoline_kernelINS0_14default_configENS1_27scan_by_key_config_selectorIxiEEZZNS1_16scan_by_key_implILNS1_25lookback_scan_determinismE0ELb1ES3_N6thrust23THRUST_200600_302600_NS6detail15normal_iteratorINS9_10device_ptrIxEEEESE_SE_iNS9_4plusIvEENS9_8equal_toIvEEiEE10hipError_tPvRmT2_T3_T4_T5_mT6_T7_P12ihipStream_tbENKUlT_T0_E_clISt17integral_constantIbLb1EESY_IbLb0EEEEDaSU_SV_EUlSU_E_NS1_11comp_targetILNS1_3genE0ELNS1_11target_archE4294967295ELNS1_3gpuE0ELNS1_3repE0EEENS1_30default_config_static_selectorELNS0_4arch9wavefront6targetE1EEEvT1_
    .private_segment_fixed_size: 0
    .sgpr_count:     4
    .sgpr_spill_count: 0
    .symbol:         _ZN7rocprim17ROCPRIM_400000_NS6detail17trampoline_kernelINS0_14default_configENS1_27scan_by_key_config_selectorIxiEEZZNS1_16scan_by_key_implILNS1_25lookback_scan_determinismE0ELb1ES3_N6thrust23THRUST_200600_302600_NS6detail15normal_iteratorINS9_10device_ptrIxEEEESE_SE_iNS9_4plusIvEENS9_8equal_toIvEEiEE10hipError_tPvRmT2_T3_T4_T5_mT6_T7_P12ihipStream_tbENKUlT_T0_E_clISt17integral_constantIbLb1EESY_IbLb0EEEEDaSU_SV_EUlSU_E_NS1_11comp_targetILNS1_3genE0ELNS1_11target_archE4294967295ELNS1_3gpuE0ELNS1_3repE0EEENS1_30default_config_static_selectorELNS0_4arch9wavefront6targetE1EEEvT1_.kd
    .uniform_work_group_size: 1
    .uses_dynamic_stack: false
    .vgpr_count:     0
    .vgpr_spill_count: 0
    .wavefront_size: 64
  - .agpr_count:     0
    .args:
      - .offset:         0
        .size:           112
        .value_kind:     by_value
    .group_segment_fixed_size: 0
    .kernarg_segment_align: 8
    .kernarg_segment_size: 112
    .language:       OpenCL C
    .language_version:
      - 2
      - 0
    .max_flat_workgroup_size: 256
    .name:           _ZN7rocprim17ROCPRIM_400000_NS6detail17trampoline_kernelINS0_14default_configENS1_27scan_by_key_config_selectorIxiEEZZNS1_16scan_by_key_implILNS1_25lookback_scan_determinismE0ELb1ES3_N6thrust23THRUST_200600_302600_NS6detail15normal_iteratorINS9_10device_ptrIxEEEESE_SE_iNS9_4plusIvEENS9_8equal_toIvEEiEE10hipError_tPvRmT2_T3_T4_T5_mT6_T7_P12ihipStream_tbENKUlT_T0_E_clISt17integral_constantIbLb1EESY_IbLb0EEEEDaSU_SV_EUlSU_E_NS1_11comp_targetILNS1_3genE10ELNS1_11target_archE1201ELNS1_3gpuE5ELNS1_3repE0EEENS1_30default_config_static_selectorELNS0_4arch9wavefront6targetE1EEEvT1_
    .private_segment_fixed_size: 0
    .sgpr_count:     4
    .sgpr_spill_count: 0
    .symbol:         _ZN7rocprim17ROCPRIM_400000_NS6detail17trampoline_kernelINS0_14default_configENS1_27scan_by_key_config_selectorIxiEEZZNS1_16scan_by_key_implILNS1_25lookback_scan_determinismE0ELb1ES3_N6thrust23THRUST_200600_302600_NS6detail15normal_iteratorINS9_10device_ptrIxEEEESE_SE_iNS9_4plusIvEENS9_8equal_toIvEEiEE10hipError_tPvRmT2_T3_T4_T5_mT6_T7_P12ihipStream_tbENKUlT_T0_E_clISt17integral_constantIbLb1EESY_IbLb0EEEEDaSU_SV_EUlSU_E_NS1_11comp_targetILNS1_3genE10ELNS1_11target_archE1201ELNS1_3gpuE5ELNS1_3repE0EEENS1_30default_config_static_selectorELNS0_4arch9wavefront6targetE1EEEvT1_.kd
    .uniform_work_group_size: 1
    .uses_dynamic_stack: false
    .vgpr_count:     0
    .vgpr_spill_count: 0
    .wavefront_size: 64
  - .agpr_count:     0
    .args:
      - .offset:         0
        .size:           112
        .value_kind:     by_value
    .group_segment_fixed_size: 0
    .kernarg_segment_align: 8
    .kernarg_segment_size: 112
    .language:       OpenCL C
    .language_version:
      - 2
      - 0
    .max_flat_workgroup_size: 256
    .name:           _ZN7rocprim17ROCPRIM_400000_NS6detail17trampoline_kernelINS0_14default_configENS1_27scan_by_key_config_selectorIxiEEZZNS1_16scan_by_key_implILNS1_25lookback_scan_determinismE0ELb1ES3_N6thrust23THRUST_200600_302600_NS6detail15normal_iteratorINS9_10device_ptrIxEEEESE_SE_iNS9_4plusIvEENS9_8equal_toIvEEiEE10hipError_tPvRmT2_T3_T4_T5_mT6_T7_P12ihipStream_tbENKUlT_T0_E_clISt17integral_constantIbLb1EESY_IbLb0EEEEDaSU_SV_EUlSU_E_NS1_11comp_targetILNS1_3genE5ELNS1_11target_archE942ELNS1_3gpuE9ELNS1_3repE0EEENS1_30default_config_static_selectorELNS0_4arch9wavefront6targetE1EEEvT1_
    .private_segment_fixed_size: 0
    .sgpr_count:     4
    .sgpr_spill_count: 0
    .symbol:         _ZN7rocprim17ROCPRIM_400000_NS6detail17trampoline_kernelINS0_14default_configENS1_27scan_by_key_config_selectorIxiEEZZNS1_16scan_by_key_implILNS1_25lookback_scan_determinismE0ELb1ES3_N6thrust23THRUST_200600_302600_NS6detail15normal_iteratorINS9_10device_ptrIxEEEESE_SE_iNS9_4plusIvEENS9_8equal_toIvEEiEE10hipError_tPvRmT2_T3_T4_T5_mT6_T7_P12ihipStream_tbENKUlT_T0_E_clISt17integral_constantIbLb1EESY_IbLb0EEEEDaSU_SV_EUlSU_E_NS1_11comp_targetILNS1_3genE5ELNS1_11target_archE942ELNS1_3gpuE9ELNS1_3repE0EEENS1_30default_config_static_selectorELNS0_4arch9wavefront6targetE1EEEvT1_.kd
    .uniform_work_group_size: 1
    .uses_dynamic_stack: false
    .vgpr_count:     0
    .vgpr_spill_count: 0
    .wavefront_size: 64
  - .agpr_count:     0
    .args:
      - .offset:         0
        .size:           112
        .value_kind:     by_value
    .group_segment_fixed_size: 32768
    .kernarg_segment_align: 8
    .kernarg_segment_size: 112
    .language:       OpenCL C
    .language_version:
      - 2
      - 0
    .max_flat_workgroup_size: 256
    .name:           _ZN7rocprim17ROCPRIM_400000_NS6detail17trampoline_kernelINS0_14default_configENS1_27scan_by_key_config_selectorIxiEEZZNS1_16scan_by_key_implILNS1_25lookback_scan_determinismE0ELb1ES3_N6thrust23THRUST_200600_302600_NS6detail15normal_iteratorINS9_10device_ptrIxEEEESE_SE_iNS9_4plusIvEENS9_8equal_toIvEEiEE10hipError_tPvRmT2_T3_T4_T5_mT6_T7_P12ihipStream_tbENKUlT_T0_E_clISt17integral_constantIbLb1EESY_IbLb0EEEEDaSU_SV_EUlSU_E_NS1_11comp_targetILNS1_3genE4ELNS1_11target_archE910ELNS1_3gpuE8ELNS1_3repE0EEENS1_30default_config_static_selectorELNS0_4arch9wavefront6targetE1EEEvT1_
    .private_segment_fixed_size: 0
    .sgpr_count:     64
    .sgpr_spill_count: 0
    .symbol:         _ZN7rocprim17ROCPRIM_400000_NS6detail17trampoline_kernelINS0_14default_configENS1_27scan_by_key_config_selectorIxiEEZZNS1_16scan_by_key_implILNS1_25lookback_scan_determinismE0ELb1ES3_N6thrust23THRUST_200600_302600_NS6detail15normal_iteratorINS9_10device_ptrIxEEEESE_SE_iNS9_4plusIvEENS9_8equal_toIvEEiEE10hipError_tPvRmT2_T3_T4_T5_mT6_T7_P12ihipStream_tbENKUlT_T0_E_clISt17integral_constantIbLb1EESY_IbLb0EEEEDaSU_SV_EUlSU_E_NS1_11comp_targetILNS1_3genE4ELNS1_11target_archE910ELNS1_3gpuE8ELNS1_3repE0EEENS1_30default_config_static_selectorELNS0_4arch9wavefront6targetE1EEEvT1_.kd
    .uniform_work_group_size: 1
    .uses_dynamic_stack: false
    .vgpr_count:     68
    .vgpr_spill_count: 0
    .wavefront_size: 64
  - .agpr_count:     0
    .args:
      - .offset:         0
        .size:           112
        .value_kind:     by_value
    .group_segment_fixed_size: 0
    .kernarg_segment_align: 8
    .kernarg_segment_size: 112
    .language:       OpenCL C
    .language_version:
      - 2
      - 0
    .max_flat_workgroup_size: 256
    .name:           _ZN7rocprim17ROCPRIM_400000_NS6detail17trampoline_kernelINS0_14default_configENS1_27scan_by_key_config_selectorIxiEEZZNS1_16scan_by_key_implILNS1_25lookback_scan_determinismE0ELb1ES3_N6thrust23THRUST_200600_302600_NS6detail15normal_iteratorINS9_10device_ptrIxEEEESE_SE_iNS9_4plusIvEENS9_8equal_toIvEEiEE10hipError_tPvRmT2_T3_T4_T5_mT6_T7_P12ihipStream_tbENKUlT_T0_E_clISt17integral_constantIbLb1EESY_IbLb0EEEEDaSU_SV_EUlSU_E_NS1_11comp_targetILNS1_3genE3ELNS1_11target_archE908ELNS1_3gpuE7ELNS1_3repE0EEENS1_30default_config_static_selectorELNS0_4arch9wavefront6targetE1EEEvT1_
    .private_segment_fixed_size: 0
    .sgpr_count:     4
    .sgpr_spill_count: 0
    .symbol:         _ZN7rocprim17ROCPRIM_400000_NS6detail17trampoline_kernelINS0_14default_configENS1_27scan_by_key_config_selectorIxiEEZZNS1_16scan_by_key_implILNS1_25lookback_scan_determinismE0ELb1ES3_N6thrust23THRUST_200600_302600_NS6detail15normal_iteratorINS9_10device_ptrIxEEEESE_SE_iNS9_4plusIvEENS9_8equal_toIvEEiEE10hipError_tPvRmT2_T3_T4_T5_mT6_T7_P12ihipStream_tbENKUlT_T0_E_clISt17integral_constantIbLb1EESY_IbLb0EEEEDaSU_SV_EUlSU_E_NS1_11comp_targetILNS1_3genE3ELNS1_11target_archE908ELNS1_3gpuE7ELNS1_3repE0EEENS1_30default_config_static_selectorELNS0_4arch9wavefront6targetE1EEEvT1_.kd
    .uniform_work_group_size: 1
    .uses_dynamic_stack: false
    .vgpr_count:     0
    .vgpr_spill_count: 0
    .wavefront_size: 64
  - .agpr_count:     0
    .args:
      - .offset:         0
        .size:           112
        .value_kind:     by_value
    .group_segment_fixed_size: 0
    .kernarg_segment_align: 8
    .kernarg_segment_size: 112
    .language:       OpenCL C
    .language_version:
      - 2
      - 0
    .max_flat_workgroup_size: 256
    .name:           _ZN7rocprim17ROCPRIM_400000_NS6detail17trampoline_kernelINS0_14default_configENS1_27scan_by_key_config_selectorIxiEEZZNS1_16scan_by_key_implILNS1_25lookback_scan_determinismE0ELb1ES3_N6thrust23THRUST_200600_302600_NS6detail15normal_iteratorINS9_10device_ptrIxEEEESE_SE_iNS9_4plusIvEENS9_8equal_toIvEEiEE10hipError_tPvRmT2_T3_T4_T5_mT6_T7_P12ihipStream_tbENKUlT_T0_E_clISt17integral_constantIbLb1EESY_IbLb0EEEEDaSU_SV_EUlSU_E_NS1_11comp_targetILNS1_3genE2ELNS1_11target_archE906ELNS1_3gpuE6ELNS1_3repE0EEENS1_30default_config_static_selectorELNS0_4arch9wavefront6targetE1EEEvT1_
    .private_segment_fixed_size: 0
    .sgpr_count:     4
    .sgpr_spill_count: 0
    .symbol:         _ZN7rocprim17ROCPRIM_400000_NS6detail17trampoline_kernelINS0_14default_configENS1_27scan_by_key_config_selectorIxiEEZZNS1_16scan_by_key_implILNS1_25lookback_scan_determinismE0ELb1ES3_N6thrust23THRUST_200600_302600_NS6detail15normal_iteratorINS9_10device_ptrIxEEEESE_SE_iNS9_4plusIvEENS9_8equal_toIvEEiEE10hipError_tPvRmT2_T3_T4_T5_mT6_T7_P12ihipStream_tbENKUlT_T0_E_clISt17integral_constantIbLb1EESY_IbLb0EEEEDaSU_SV_EUlSU_E_NS1_11comp_targetILNS1_3genE2ELNS1_11target_archE906ELNS1_3gpuE6ELNS1_3repE0EEENS1_30default_config_static_selectorELNS0_4arch9wavefront6targetE1EEEvT1_.kd
    .uniform_work_group_size: 1
    .uses_dynamic_stack: false
    .vgpr_count:     0
    .vgpr_spill_count: 0
    .wavefront_size: 64
  - .agpr_count:     0
    .args:
      - .offset:         0
        .size:           112
        .value_kind:     by_value
    .group_segment_fixed_size: 0
    .kernarg_segment_align: 8
    .kernarg_segment_size: 112
    .language:       OpenCL C
    .language_version:
      - 2
      - 0
    .max_flat_workgroup_size: 256
    .name:           _ZN7rocprim17ROCPRIM_400000_NS6detail17trampoline_kernelINS0_14default_configENS1_27scan_by_key_config_selectorIxiEEZZNS1_16scan_by_key_implILNS1_25lookback_scan_determinismE0ELb1ES3_N6thrust23THRUST_200600_302600_NS6detail15normal_iteratorINS9_10device_ptrIxEEEESE_SE_iNS9_4plusIvEENS9_8equal_toIvEEiEE10hipError_tPvRmT2_T3_T4_T5_mT6_T7_P12ihipStream_tbENKUlT_T0_E_clISt17integral_constantIbLb1EESY_IbLb0EEEEDaSU_SV_EUlSU_E_NS1_11comp_targetILNS1_3genE10ELNS1_11target_archE1200ELNS1_3gpuE4ELNS1_3repE0EEENS1_30default_config_static_selectorELNS0_4arch9wavefront6targetE1EEEvT1_
    .private_segment_fixed_size: 0
    .sgpr_count:     4
    .sgpr_spill_count: 0
    .symbol:         _ZN7rocprim17ROCPRIM_400000_NS6detail17trampoline_kernelINS0_14default_configENS1_27scan_by_key_config_selectorIxiEEZZNS1_16scan_by_key_implILNS1_25lookback_scan_determinismE0ELb1ES3_N6thrust23THRUST_200600_302600_NS6detail15normal_iteratorINS9_10device_ptrIxEEEESE_SE_iNS9_4plusIvEENS9_8equal_toIvEEiEE10hipError_tPvRmT2_T3_T4_T5_mT6_T7_P12ihipStream_tbENKUlT_T0_E_clISt17integral_constantIbLb1EESY_IbLb0EEEEDaSU_SV_EUlSU_E_NS1_11comp_targetILNS1_3genE10ELNS1_11target_archE1200ELNS1_3gpuE4ELNS1_3repE0EEENS1_30default_config_static_selectorELNS0_4arch9wavefront6targetE1EEEvT1_.kd
    .uniform_work_group_size: 1
    .uses_dynamic_stack: false
    .vgpr_count:     0
    .vgpr_spill_count: 0
    .wavefront_size: 64
  - .agpr_count:     0
    .args:
      - .offset:         0
        .size:           112
        .value_kind:     by_value
    .group_segment_fixed_size: 0
    .kernarg_segment_align: 8
    .kernarg_segment_size: 112
    .language:       OpenCL C
    .language_version:
      - 2
      - 0
    .max_flat_workgroup_size: 256
    .name:           _ZN7rocprim17ROCPRIM_400000_NS6detail17trampoline_kernelINS0_14default_configENS1_27scan_by_key_config_selectorIxiEEZZNS1_16scan_by_key_implILNS1_25lookback_scan_determinismE0ELb1ES3_N6thrust23THRUST_200600_302600_NS6detail15normal_iteratorINS9_10device_ptrIxEEEESE_SE_iNS9_4plusIvEENS9_8equal_toIvEEiEE10hipError_tPvRmT2_T3_T4_T5_mT6_T7_P12ihipStream_tbENKUlT_T0_E_clISt17integral_constantIbLb1EESY_IbLb0EEEEDaSU_SV_EUlSU_E_NS1_11comp_targetILNS1_3genE9ELNS1_11target_archE1100ELNS1_3gpuE3ELNS1_3repE0EEENS1_30default_config_static_selectorELNS0_4arch9wavefront6targetE1EEEvT1_
    .private_segment_fixed_size: 0
    .sgpr_count:     4
    .sgpr_spill_count: 0
    .symbol:         _ZN7rocprim17ROCPRIM_400000_NS6detail17trampoline_kernelINS0_14default_configENS1_27scan_by_key_config_selectorIxiEEZZNS1_16scan_by_key_implILNS1_25lookback_scan_determinismE0ELb1ES3_N6thrust23THRUST_200600_302600_NS6detail15normal_iteratorINS9_10device_ptrIxEEEESE_SE_iNS9_4plusIvEENS9_8equal_toIvEEiEE10hipError_tPvRmT2_T3_T4_T5_mT6_T7_P12ihipStream_tbENKUlT_T0_E_clISt17integral_constantIbLb1EESY_IbLb0EEEEDaSU_SV_EUlSU_E_NS1_11comp_targetILNS1_3genE9ELNS1_11target_archE1100ELNS1_3gpuE3ELNS1_3repE0EEENS1_30default_config_static_selectorELNS0_4arch9wavefront6targetE1EEEvT1_.kd
    .uniform_work_group_size: 1
    .uses_dynamic_stack: false
    .vgpr_count:     0
    .vgpr_spill_count: 0
    .wavefront_size: 64
  - .agpr_count:     0
    .args:
      - .offset:         0
        .size:           112
        .value_kind:     by_value
    .group_segment_fixed_size: 0
    .kernarg_segment_align: 8
    .kernarg_segment_size: 112
    .language:       OpenCL C
    .language_version:
      - 2
      - 0
    .max_flat_workgroup_size: 256
    .name:           _ZN7rocprim17ROCPRIM_400000_NS6detail17trampoline_kernelINS0_14default_configENS1_27scan_by_key_config_selectorIxiEEZZNS1_16scan_by_key_implILNS1_25lookback_scan_determinismE0ELb1ES3_N6thrust23THRUST_200600_302600_NS6detail15normal_iteratorINS9_10device_ptrIxEEEESE_SE_iNS9_4plusIvEENS9_8equal_toIvEEiEE10hipError_tPvRmT2_T3_T4_T5_mT6_T7_P12ihipStream_tbENKUlT_T0_E_clISt17integral_constantIbLb1EESY_IbLb0EEEEDaSU_SV_EUlSU_E_NS1_11comp_targetILNS1_3genE8ELNS1_11target_archE1030ELNS1_3gpuE2ELNS1_3repE0EEENS1_30default_config_static_selectorELNS0_4arch9wavefront6targetE1EEEvT1_
    .private_segment_fixed_size: 0
    .sgpr_count:     4
    .sgpr_spill_count: 0
    .symbol:         _ZN7rocprim17ROCPRIM_400000_NS6detail17trampoline_kernelINS0_14default_configENS1_27scan_by_key_config_selectorIxiEEZZNS1_16scan_by_key_implILNS1_25lookback_scan_determinismE0ELb1ES3_N6thrust23THRUST_200600_302600_NS6detail15normal_iteratorINS9_10device_ptrIxEEEESE_SE_iNS9_4plusIvEENS9_8equal_toIvEEiEE10hipError_tPvRmT2_T3_T4_T5_mT6_T7_P12ihipStream_tbENKUlT_T0_E_clISt17integral_constantIbLb1EESY_IbLb0EEEEDaSU_SV_EUlSU_E_NS1_11comp_targetILNS1_3genE8ELNS1_11target_archE1030ELNS1_3gpuE2ELNS1_3repE0EEENS1_30default_config_static_selectorELNS0_4arch9wavefront6targetE1EEEvT1_.kd
    .uniform_work_group_size: 1
    .uses_dynamic_stack: false
    .vgpr_count:     0
    .vgpr_spill_count: 0
    .wavefront_size: 64
  - .agpr_count:     0
    .args:
      - .address_space:  global
        .offset:         0
        .size:           8
        .value_kind:     global_buffer
      - .offset:         8
        .size:           4
        .value_kind:     by_value
      - .offset:         12
        .size:           4
        .value_kind:     by_value
      - .address_space:  global
        .offset:         16
        .size:           8
        .value_kind:     global_buffer
      - .address_space:  global
        .offset:         24
        .size:           8
        .value_kind:     global_buffer
      - .actual_access:  write_only
        .address_space:  global
        .offset:         32
        .size:           8
        .value_kind:     global_buffer
      - .offset:         40
        .size:           8
        .value_kind:     by_value
      - .offset:         48
        .size:           4
        .value_kind:     by_value
      - .address_space:  global
        .offset:         56
        .size:           8
        .value_kind:     global_buffer
      - .offset:         64
        .size:           4
        .value_kind:     hidden_block_count_x
      - .offset:         68
        .size:           4
        .value_kind:     hidden_block_count_y
      - .offset:         72
        .size:           4
        .value_kind:     hidden_block_count_z
      - .offset:         76
        .size:           2
        .value_kind:     hidden_group_size_x
      - .offset:         78
        .size:           2
        .value_kind:     hidden_group_size_y
      - .offset:         80
        .size:           2
        .value_kind:     hidden_group_size_z
      - .offset:         82
        .size:           2
        .value_kind:     hidden_remainder_x
      - .offset:         84
        .size:           2
        .value_kind:     hidden_remainder_y
      - .offset:         86
        .size:           2
        .value_kind:     hidden_remainder_z
      - .offset:         104
        .size:           8
        .value_kind:     hidden_global_offset_x
      - .offset:         112
        .size:           8
        .value_kind:     hidden_global_offset_y
      - .offset:         120
        .size:           8
        .value_kind:     hidden_global_offset_z
      - .offset:         128
        .size:           2
        .value_kind:     hidden_grid_dims
    .group_segment_fixed_size: 0
    .kernarg_segment_align: 8
    .kernarg_segment_size: 320
    .language:       OpenCL C
    .language_version:
      - 2
      - 0
    .max_flat_workgroup_size: 256
    .name:           _ZN7rocprim17ROCPRIM_400000_NS6detail30init_device_scan_by_key_kernelINS1_19lookback_scan_stateINS0_5tupleIJibEEELb0ELb1EEEN6thrust23THRUST_200600_302600_NS6detail15normal_iteratorINS8_10device_ptrIxEEEEjNS1_16block_id_wrapperIjLb1EEEEEvT_jjPNSG_10value_typeET0_PNSt15iterator_traitsISJ_E10value_typeEmT1_T2_
    .private_segment_fixed_size: 0
    .sgpr_count:     24
    .sgpr_spill_count: 0
    .symbol:         _ZN7rocprim17ROCPRIM_400000_NS6detail30init_device_scan_by_key_kernelINS1_19lookback_scan_stateINS0_5tupleIJibEEELb0ELb1EEEN6thrust23THRUST_200600_302600_NS6detail15normal_iteratorINS8_10device_ptrIxEEEEjNS1_16block_id_wrapperIjLb1EEEEEvT_jjPNSG_10value_typeET0_PNSt15iterator_traitsISJ_E10value_typeEmT1_T2_.kd
    .uniform_work_group_size: 1
    .uses_dynamic_stack: false
    .vgpr_count:     12
    .vgpr_spill_count: 0
    .wavefront_size: 64
  - .agpr_count:     0
    .args:
      - .offset:         0
        .size:           112
        .value_kind:     by_value
    .group_segment_fixed_size: 0
    .kernarg_segment_align: 8
    .kernarg_segment_size: 112
    .language:       OpenCL C
    .language_version:
      - 2
      - 0
    .max_flat_workgroup_size: 256
    .name:           _ZN7rocprim17ROCPRIM_400000_NS6detail17trampoline_kernelINS0_14default_configENS1_27scan_by_key_config_selectorIxiEEZZNS1_16scan_by_key_implILNS1_25lookback_scan_determinismE0ELb1ES3_N6thrust23THRUST_200600_302600_NS6detail15normal_iteratorINS9_10device_ptrIxEEEESE_SE_iNS9_4plusIvEENS9_8equal_toIvEEiEE10hipError_tPvRmT2_T3_T4_T5_mT6_T7_P12ihipStream_tbENKUlT_T0_E_clISt17integral_constantIbLb0EESY_IbLb1EEEEDaSU_SV_EUlSU_E_NS1_11comp_targetILNS1_3genE0ELNS1_11target_archE4294967295ELNS1_3gpuE0ELNS1_3repE0EEENS1_30default_config_static_selectorELNS0_4arch9wavefront6targetE1EEEvT1_
    .private_segment_fixed_size: 0
    .sgpr_count:     4
    .sgpr_spill_count: 0
    .symbol:         _ZN7rocprim17ROCPRIM_400000_NS6detail17trampoline_kernelINS0_14default_configENS1_27scan_by_key_config_selectorIxiEEZZNS1_16scan_by_key_implILNS1_25lookback_scan_determinismE0ELb1ES3_N6thrust23THRUST_200600_302600_NS6detail15normal_iteratorINS9_10device_ptrIxEEEESE_SE_iNS9_4plusIvEENS9_8equal_toIvEEiEE10hipError_tPvRmT2_T3_T4_T5_mT6_T7_P12ihipStream_tbENKUlT_T0_E_clISt17integral_constantIbLb0EESY_IbLb1EEEEDaSU_SV_EUlSU_E_NS1_11comp_targetILNS1_3genE0ELNS1_11target_archE4294967295ELNS1_3gpuE0ELNS1_3repE0EEENS1_30default_config_static_selectorELNS0_4arch9wavefront6targetE1EEEvT1_.kd
    .uniform_work_group_size: 1
    .uses_dynamic_stack: false
    .vgpr_count:     0
    .vgpr_spill_count: 0
    .wavefront_size: 64
  - .agpr_count:     0
    .args:
      - .offset:         0
        .size:           112
        .value_kind:     by_value
    .group_segment_fixed_size: 0
    .kernarg_segment_align: 8
    .kernarg_segment_size: 112
    .language:       OpenCL C
    .language_version:
      - 2
      - 0
    .max_flat_workgroup_size: 256
    .name:           _ZN7rocprim17ROCPRIM_400000_NS6detail17trampoline_kernelINS0_14default_configENS1_27scan_by_key_config_selectorIxiEEZZNS1_16scan_by_key_implILNS1_25lookback_scan_determinismE0ELb1ES3_N6thrust23THRUST_200600_302600_NS6detail15normal_iteratorINS9_10device_ptrIxEEEESE_SE_iNS9_4plusIvEENS9_8equal_toIvEEiEE10hipError_tPvRmT2_T3_T4_T5_mT6_T7_P12ihipStream_tbENKUlT_T0_E_clISt17integral_constantIbLb0EESY_IbLb1EEEEDaSU_SV_EUlSU_E_NS1_11comp_targetILNS1_3genE10ELNS1_11target_archE1201ELNS1_3gpuE5ELNS1_3repE0EEENS1_30default_config_static_selectorELNS0_4arch9wavefront6targetE1EEEvT1_
    .private_segment_fixed_size: 0
    .sgpr_count:     4
    .sgpr_spill_count: 0
    .symbol:         _ZN7rocprim17ROCPRIM_400000_NS6detail17trampoline_kernelINS0_14default_configENS1_27scan_by_key_config_selectorIxiEEZZNS1_16scan_by_key_implILNS1_25lookback_scan_determinismE0ELb1ES3_N6thrust23THRUST_200600_302600_NS6detail15normal_iteratorINS9_10device_ptrIxEEEESE_SE_iNS9_4plusIvEENS9_8equal_toIvEEiEE10hipError_tPvRmT2_T3_T4_T5_mT6_T7_P12ihipStream_tbENKUlT_T0_E_clISt17integral_constantIbLb0EESY_IbLb1EEEEDaSU_SV_EUlSU_E_NS1_11comp_targetILNS1_3genE10ELNS1_11target_archE1201ELNS1_3gpuE5ELNS1_3repE0EEENS1_30default_config_static_selectorELNS0_4arch9wavefront6targetE1EEEvT1_.kd
    .uniform_work_group_size: 1
    .uses_dynamic_stack: false
    .vgpr_count:     0
    .vgpr_spill_count: 0
    .wavefront_size: 64
  - .agpr_count:     0
    .args:
      - .offset:         0
        .size:           112
        .value_kind:     by_value
    .group_segment_fixed_size: 0
    .kernarg_segment_align: 8
    .kernarg_segment_size: 112
    .language:       OpenCL C
    .language_version:
      - 2
      - 0
    .max_flat_workgroup_size: 256
    .name:           _ZN7rocprim17ROCPRIM_400000_NS6detail17trampoline_kernelINS0_14default_configENS1_27scan_by_key_config_selectorIxiEEZZNS1_16scan_by_key_implILNS1_25lookback_scan_determinismE0ELb1ES3_N6thrust23THRUST_200600_302600_NS6detail15normal_iteratorINS9_10device_ptrIxEEEESE_SE_iNS9_4plusIvEENS9_8equal_toIvEEiEE10hipError_tPvRmT2_T3_T4_T5_mT6_T7_P12ihipStream_tbENKUlT_T0_E_clISt17integral_constantIbLb0EESY_IbLb1EEEEDaSU_SV_EUlSU_E_NS1_11comp_targetILNS1_3genE5ELNS1_11target_archE942ELNS1_3gpuE9ELNS1_3repE0EEENS1_30default_config_static_selectorELNS0_4arch9wavefront6targetE1EEEvT1_
    .private_segment_fixed_size: 0
    .sgpr_count:     4
    .sgpr_spill_count: 0
    .symbol:         _ZN7rocprim17ROCPRIM_400000_NS6detail17trampoline_kernelINS0_14default_configENS1_27scan_by_key_config_selectorIxiEEZZNS1_16scan_by_key_implILNS1_25lookback_scan_determinismE0ELb1ES3_N6thrust23THRUST_200600_302600_NS6detail15normal_iteratorINS9_10device_ptrIxEEEESE_SE_iNS9_4plusIvEENS9_8equal_toIvEEiEE10hipError_tPvRmT2_T3_T4_T5_mT6_T7_P12ihipStream_tbENKUlT_T0_E_clISt17integral_constantIbLb0EESY_IbLb1EEEEDaSU_SV_EUlSU_E_NS1_11comp_targetILNS1_3genE5ELNS1_11target_archE942ELNS1_3gpuE9ELNS1_3repE0EEENS1_30default_config_static_selectorELNS0_4arch9wavefront6targetE1EEEvT1_.kd
    .uniform_work_group_size: 1
    .uses_dynamic_stack: false
    .vgpr_count:     0
    .vgpr_spill_count: 0
    .wavefront_size: 64
  - .agpr_count:     0
    .args:
      - .offset:         0
        .size:           112
        .value_kind:     by_value
    .group_segment_fixed_size: 32768
    .kernarg_segment_align: 8
    .kernarg_segment_size: 112
    .language:       OpenCL C
    .language_version:
      - 2
      - 0
    .max_flat_workgroup_size: 256
    .name:           _ZN7rocprim17ROCPRIM_400000_NS6detail17trampoline_kernelINS0_14default_configENS1_27scan_by_key_config_selectorIxiEEZZNS1_16scan_by_key_implILNS1_25lookback_scan_determinismE0ELb1ES3_N6thrust23THRUST_200600_302600_NS6detail15normal_iteratorINS9_10device_ptrIxEEEESE_SE_iNS9_4plusIvEENS9_8equal_toIvEEiEE10hipError_tPvRmT2_T3_T4_T5_mT6_T7_P12ihipStream_tbENKUlT_T0_E_clISt17integral_constantIbLb0EESY_IbLb1EEEEDaSU_SV_EUlSU_E_NS1_11comp_targetILNS1_3genE4ELNS1_11target_archE910ELNS1_3gpuE8ELNS1_3repE0EEENS1_30default_config_static_selectorELNS0_4arch9wavefront6targetE1EEEvT1_
    .private_segment_fixed_size: 0
    .sgpr_count:     64
    .sgpr_spill_count: 0
    .symbol:         _ZN7rocprim17ROCPRIM_400000_NS6detail17trampoline_kernelINS0_14default_configENS1_27scan_by_key_config_selectorIxiEEZZNS1_16scan_by_key_implILNS1_25lookback_scan_determinismE0ELb1ES3_N6thrust23THRUST_200600_302600_NS6detail15normal_iteratorINS9_10device_ptrIxEEEESE_SE_iNS9_4plusIvEENS9_8equal_toIvEEiEE10hipError_tPvRmT2_T3_T4_T5_mT6_T7_P12ihipStream_tbENKUlT_T0_E_clISt17integral_constantIbLb0EESY_IbLb1EEEEDaSU_SV_EUlSU_E_NS1_11comp_targetILNS1_3genE4ELNS1_11target_archE910ELNS1_3gpuE8ELNS1_3repE0EEENS1_30default_config_static_selectorELNS0_4arch9wavefront6targetE1EEEvT1_.kd
    .uniform_work_group_size: 1
    .uses_dynamic_stack: false
    .vgpr_count:     74
    .vgpr_spill_count: 0
    .wavefront_size: 64
  - .agpr_count:     0
    .args:
      - .offset:         0
        .size:           112
        .value_kind:     by_value
    .group_segment_fixed_size: 0
    .kernarg_segment_align: 8
    .kernarg_segment_size: 112
    .language:       OpenCL C
    .language_version:
      - 2
      - 0
    .max_flat_workgroup_size: 256
    .name:           _ZN7rocprim17ROCPRIM_400000_NS6detail17trampoline_kernelINS0_14default_configENS1_27scan_by_key_config_selectorIxiEEZZNS1_16scan_by_key_implILNS1_25lookback_scan_determinismE0ELb1ES3_N6thrust23THRUST_200600_302600_NS6detail15normal_iteratorINS9_10device_ptrIxEEEESE_SE_iNS9_4plusIvEENS9_8equal_toIvEEiEE10hipError_tPvRmT2_T3_T4_T5_mT6_T7_P12ihipStream_tbENKUlT_T0_E_clISt17integral_constantIbLb0EESY_IbLb1EEEEDaSU_SV_EUlSU_E_NS1_11comp_targetILNS1_3genE3ELNS1_11target_archE908ELNS1_3gpuE7ELNS1_3repE0EEENS1_30default_config_static_selectorELNS0_4arch9wavefront6targetE1EEEvT1_
    .private_segment_fixed_size: 0
    .sgpr_count:     4
    .sgpr_spill_count: 0
    .symbol:         _ZN7rocprim17ROCPRIM_400000_NS6detail17trampoline_kernelINS0_14default_configENS1_27scan_by_key_config_selectorIxiEEZZNS1_16scan_by_key_implILNS1_25lookback_scan_determinismE0ELb1ES3_N6thrust23THRUST_200600_302600_NS6detail15normal_iteratorINS9_10device_ptrIxEEEESE_SE_iNS9_4plusIvEENS9_8equal_toIvEEiEE10hipError_tPvRmT2_T3_T4_T5_mT6_T7_P12ihipStream_tbENKUlT_T0_E_clISt17integral_constantIbLb0EESY_IbLb1EEEEDaSU_SV_EUlSU_E_NS1_11comp_targetILNS1_3genE3ELNS1_11target_archE908ELNS1_3gpuE7ELNS1_3repE0EEENS1_30default_config_static_selectorELNS0_4arch9wavefront6targetE1EEEvT1_.kd
    .uniform_work_group_size: 1
    .uses_dynamic_stack: false
    .vgpr_count:     0
    .vgpr_spill_count: 0
    .wavefront_size: 64
  - .agpr_count:     0
    .args:
      - .offset:         0
        .size:           112
        .value_kind:     by_value
    .group_segment_fixed_size: 0
    .kernarg_segment_align: 8
    .kernarg_segment_size: 112
    .language:       OpenCL C
    .language_version:
      - 2
      - 0
    .max_flat_workgroup_size: 256
    .name:           _ZN7rocprim17ROCPRIM_400000_NS6detail17trampoline_kernelINS0_14default_configENS1_27scan_by_key_config_selectorIxiEEZZNS1_16scan_by_key_implILNS1_25lookback_scan_determinismE0ELb1ES3_N6thrust23THRUST_200600_302600_NS6detail15normal_iteratorINS9_10device_ptrIxEEEESE_SE_iNS9_4plusIvEENS9_8equal_toIvEEiEE10hipError_tPvRmT2_T3_T4_T5_mT6_T7_P12ihipStream_tbENKUlT_T0_E_clISt17integral_constantIbLb0EESY_IbLb1EEEEDaSU_SV_EUlSU_E_NS1_11comp_targetILNS1_3genE2ELNS1_11target_archE906ELNS1_3gpuE6ELNS1_3repE0EEENS1_30default_config_static_selectorELNS0_4arch9wavefront6targetE1EEEvT1_
    .private_segment_fixed_size: 0
    .sgpr_count:     4
    .sgpr_spill_count: 0
    .symbol:         _ZN7rocprim17ROCPRIM_400000_NS6detail17trampoline_kernelINS0_14default_configENS1_27scan_by_key_config_selectorIxiEEZZNS1_16scan_by_key_implILNS1_25lookback_scan_determinismE0ELb1ES3_N6thrust23THRUST_200600_302600_NS6detail15normal_iteratorINS9_10device_ptrIxEEEESE_SE_iNS9_4plusIvEENS9_8equal_toIvEEiEE10hipError_tPvRmT2_T3_T4_T5_mT6_T7_P12ihipStream_tbENKUlT_T0_E_clISt17integral_constantIbLb0EESY_IbLb1EEEEDaSU_SV_EUlSU_E_NS1_11comp_targetILNS1_3genE2ELNS1_11target_archE906ELNS1_3gpuE6ELNS1_3repE0EEENS1_30default_config_static_selectorELNS0_4arch9wavefront6targetE1EEEvT1_.kd
    .uniform_work_group_size: 1
    .uses_dynamic_stack: false
    .vgpr_count:     0
    .vgpr_spill_count: 0
    .wavefront_size: 64
  - .agpr_count:     0
    .args:
      - .offset:         0
        .size:           112
        .value_kind:     by_value
    .group_segment_fixed_size: 0
    .kernarg_segment_align: 8
    .kernarg_segment_size: 112
    .language:       OpenCL C
    .language_version:
      - 2
      - 0
    .max_flat_workgroup_size: 256
    .name:           _ZN7rocprim17ROCPRIM_400000_NS6detail17trampoline_kernelINS0_14default_configENS1_27scan_by_key_config_selectorIxiEEZZNS1_16scan_by_key_implILNS1_25lookback_scan_determinismE0ELb1ES3_N6thrust23THRUST_200600_302600_NS6detail15normal_iteratorINS9_10device_ptrIxEEEESE_SE_iNS9_4plusIvEENS9_8equal_toIvEEiEE10hipError_tPvRmT2_T3_T4_T5_mT6_T7_P12ihipStream_tbENKUlT_T0_E_clISt17integral_constantIbLb0EESY_IbLb1EEEEDaSU_SV_EUlSU_E_NS1_11comp_targetILNS1_3genE10ELNS1_11target_archE1200ELNS1_3gpuE4ELNS1_3repE0EEENS1_30default_config_static_selectorELNS0_4arch9wavefront6targetE1EEEvT1_
    .private_segment_fixed_size: 0
    .sgpr_count:     4
    .sgpr_spill_count: 0
    .symbol:         _ZN7rocprim17ROCPRIM_400000_NS6detail17trampoline_kernelINS0_14default_configENS1_27scan_by_key_config_selectorIxiEEZZNS1_16scan_by_key_implILNS1_25lookback_scan_determinismE0ELb1ES3_N6thrust23THRUST_200600_302600_NS6detail15normal_iteratorINS9_10device_ptrIxEEEESE_SE_iNS9_4plusIvEENS9_8equal_toIvEEiEE10hipError_tPvRmT2_T3_T4_T5_mT6_T7_P12ihipStream_tbENKUlT_T0_E_clISt17integral_constantIbLb0EESY_IbLb1EEEEDaSU_SV_EUlSU_E_NS1_11comp_targetILNS1_3genE10ELNS1_11target_archE1200ELNS1_3gpuE4ELNS1_3repE0EEENS1_30default_config_static_selectorELNS0_4arch9wavefront6targetE1EEEvT1_.kd
    .uniform_work_group_size: 1
    .uses_dynamic_stack: false
    .vgpr_count:     0
    .vgpr_spill_count: 0
    .wavefront_size: 64
  - .agpr_count:     0
    .args:
      - .offset:         0
        .size:           112
        .value_kind:     by_value
    .group_segment_fixed_size: 0
    .kernarg_segment_align: 8
    .kernarg_segment_size: 112
    .language:       OpenCL C
    .language_version:
      - 2
      - 0
    .max_flat_workgroup_size: 256
    .name:           _ZN7rocprim17ROCPRIM_400000_NS6detail17trampoline_kernelINS0_14default_configENS1_27scan_by_key_config_selectorIxiEEZZNS1_16scan_by_key_implILNS1_25lookback_scan_determinismE0ELb1ES3_N6thrust23THRUST_200600_302600_NS6detail15normal_iteratorINS9_10device_ptrIxEEEESE_SE_iNS9_4plusIvEENS9_8equal_toIvEEiEE10hipError_tPvRmT2_T3_T4_T5_mT6_T7_P12ihipStream_tbENKUlT_T0_E_clISt17integral_constantIbLb0EESY_IbLb1EEEEDaSU_SV_EUlSU_E_NS1_11comp_targetILNS1_3genE9ELNS1_11target_archE1100ELNS1_3gpuE3ELNS1_3repE0EEENS1_30default_config_static_selectorELNS0_4arch9wavefront6targetE1EEEvT1_
    .private_segment_fixed_size: 0
    .sgpr_count:     4
    .sgpr_spill_count: 0
    .symbol:         _ZN7rocprim17ROCPRIM_400000_NS6detail17trampoline_kernelINS0_14default_configENS1_27scan_by_key_config_selectorIxiEEZZNS1_16scan_by_key_implILNS1_25lookback_scan_determinismE0ELb1ES3_N6thrust23THRUST_200600_302600_NS6detail15normal_iteratorINS9_10device_ptrIxEEEESE_SE_iNS9_4plusIvEENS9_8equal_toIvEEiEE10hipError_tPvRmT2_T3_T4_T5_mT6_T7_P12ihipStream_tbENKUlT_T0_E_clISt17integral_constantIbLb0EESY_IbLb1EEEEDaSU_SV_EUlSU_E_NS1_11comp_targetILNS1_3genE9ELNS1_11target_archE1100ELNS1_3gpuE3ELNS1_3repE0EEENS1_30default_config_static_selectorELNS0_4arch9wavefront6targetE1EEEvT1_.kd
    .uniform_work_group_size: 1
    .uses_dynamic_stack: false
    .vgpr_count:     0
    .vgpr_spill_count: 0
    .wavefront_size: 64
  - .agpr_count:     0
    .args:
      - .offset:         0
        .size:           112
        .value_kind:     by_value
    .group_segment_fixed_size: 0
    .kernarg_segment_align: 8
    .kernarg_segment_size: 112
    .language:       OpenCL C
    .language_version:
      - 2
      - 0
    .max_flat_workgroup_size: 256
    .name:           _ZN7rocprim17ROCPRIM_400000_NS6detail17trampoline_kernelINS0_14default_configENS1_27scan_by_key_config_selectorIxiEEZZNS1_16scan_by_key_implILNS1_25lookback_scan_determinismE0ELb1ES3_N6thrust23THRUST_200600_302600_NS6detail15normal_iteratorINS9_10device_ptrIxEEEESE_SE_iNS9_4plusIvEENS9_8equal_toIvEEiEE10hipError_tPvRmT2_T3_T4_T5_mT6_T7_P12ihipStream_tbENKUlT_T0_E_clISt17integral_constantIbLb0EESY_IbLb1EEEEDaSU_SV_EUlSU_E_NS1_11comp_targetILNS1_3genE8ELNS1_11target_archE1030ELNS1_3gpuE2ELNS1_3repE0EEENS1_30default_config_static_selectorELNS0_4arch9wavefront6targetE1EEEvT1_
    .private_segment_fixed_size: 0
    .sgpr_count:     4
    .sgpr_spill_count: 0
    .symbol:         _ZN7rocprim17ROCPRIM_400000_NS6detail17trampoline_kernelINS0_14default_configENS1_27scan_by_key_config_selectorIxiEEZZNS1_16scan_by_key_implILNS1_25lookback_scan_determinismE0ELb1ES3_N6thrust23THRUST_200600_302600_NS6detail15normal_iteratorINS9_10device_ptrIxEEEESE_SE_iNS9_4plusIvEENS9_8equal_toIvEEiEE10hipError_tPvRmT2_T3_T4_T5_mT6_T7_P12ihipStream_tbENKUlT_T0_E_clISt17integral_constantIbLb0EESY_IbLb1EEEEDaSU_SV_EUlSU_E_NS1_11comp_targetILNS1_3genE8ELNS1_11target_archE1030ELNS1_3gpuE2ELNS1_3repE0EEENS1_30default_config_static_selectorELNS0_4arch9wavefront6targetE1EEEvT1_.kd
    .uniform_work_group_size: 1
    .uses_dynamic_stack: false
    .vgpr_count:     0
    .vgpr_spill_count: 0
    .wavefront_size: 64
  - .agpr_count:     0
    .args:
      - .address_space:  global
        .offset:         0
        .size:           8
        .value_kind:     global_buffer
      - .offset:         8
        .size:           4
        .value_kind:     by_value
      - .offset:         12
        .size:           4
        .value_kind:     by_value
      - .address_space:  global
        .offset:         16
        .size:           8
        .value_kind:     global_buffer
      - .address_space:  global
        .offset:         24
        .size:           8
        .value_kind:     global_buffer
      - .actual_access:  write_only
        .address_space:  global
        .offset:         32
        .size:           8
        .value_kind:     global_buffer
      - .offset:         40
        .size:           8
        .value_kind:     by_value
      - .offset:         48
        .size:           4
        .value_kind:     by_value
      - .offset:         52
        .size:           1
        .value_kind:     by_value
      - .offset:         56
        .size:           4
        .value_kind:     hidden_block_count_x
      - .offset:         60
        .size:           4
        .value_kind:     hidden_block_count_y
      - .offset:         64
        .size:           4
        .value_kind:     hidden_block_count_z
      - .offset:         68
        .size:           2
        .value_kind:     hidden_group_size_x
      - .offset:         70
        .size:           2
        .value_kind:     hidden_group_size_y
      - .offset:         72
        .size:           2
        .value_kind:     hidden_group_size_z
      - .offset:         74
        .size:           2
        .value_kind:     hidden_remainder_x
      - .offset:         76
        .size:           2
        .value_kind:     hidden_remainder_y
      - .offset:         78
        .size:           2
        .value_kind:     hidden_remainder_z
      - .offset:         96
        .size:           8
        .value_kind:     hidden_global_offset_x
      - .offset:         104
        .size:           8
        .value_kind:     hidden_global_offset_y
      - .offset:         112
        .size:           8
        .value_kind:     hidden_global_offset_z
      - .offset:         120
        .size:           2
        .value_kind:     hidden_grid_dims
    .group_segment_fixed_size: 0
    .kernarg_segment_align: 8
    .kernarg_segment_size: 312
    .language:       OpenCL C
    .language_version:
      - 2
      - 0
    .max_flat_workgroup_size: 256
    .name:           _ZN7rocprim17ROCPRIM_400000_NS6detail30init_device_scan_by_key_kernelINS1_19lookback_scan_stateINS0_5tupleIJibEEELb0ELb1EEEN6thrust23THRUST_200600_302600_NS6detail15normal_iteratorINS8_10device_ptrIsEEEEjNS1_16block_id_wrapperIjLb0EEEEEvT_jjPNSG_10value_typeET0_PNSt15iterator_traitsISJ_E10value_typeEmT1_T2_
    .private_segment_fixed_size: 0
    .sgpr_count:     24
    .sgpr_spill_count: 0
    .symbol:         _ZN7rocprim17ROCPRIM_400000_NS6detail30init_device_scan_by_key_kernelINS1_19lookback_scan_stateINS0_5tupleIJibEEELb0ELb1EEEN6thrust23THRUST_200600_302600_NS6detail15normal_iteratorINS8_10device_ptrIsEEEEjNS1_16block_id_wrapperIjLb0EEEEEvT_jjPNSG_10value_typeET0_PNSt15iterator_traitsISJ_E10value_typeEmT1_T2_.kd
    .uniform_work_group_size: 1
    .uses_dynamic_stack: false
    .vgpr_count:     10
    .vgpr_spill_count: 0
    .wavefront_size: 64
  - .agpr_count:     0
    .args:
      - .offset:         0
        .size:           112
        .value_kind:     by_value
    .group_segment_fixed_size: 0
    .kernarg_segment_align: 8
    .kernarg_segment_size: 112
    .language:       OpenCL C
    .language_version:
      - 2
      - 0
    .max_flat_workgroup_size: 256
    .name:           _ZN7rocprim17ROCPRIM_400000_NS6detail17trampoline_kernelINS0_14default_configENS1_27scan_by_key_config_selectorIsiEEZZNS1_16scan_by_key_implILNS1_25lookback_scan_determinismE0ELb1ES3_N6thrust23THRUST_200600_302600_NS6detail15normal_iteratorINS9_10device_ptrIsEEEESE_SE_iNS9_4plusIvEENS9_8equal_toIvEEiEE10hipError_tPvRmT2_T3_T4_T5_mT6_T7_P12ihipStream_tbENKUlT_T0_E_clISt17integral_constantIbLb0EESZ_EEDaSU_SV_EUlSU_E_NS1_11comp_targetILNS1_3genE0ELNS1_11target_archE4294967295ELNS1_3gpuE0ELNS1_3repE0EEENS1_30default_config_static_selectorELNS0_4arch9wavefront6targetE1EEEvT1_
    .private_segment_fixed_size: 0
    .sgpr_count:     4
    .sgpr_spill_count: 0
    .symbol:         _ZN7rocprim17ROCPRIM_400000_NS6detail17trampoline_kernelINS0_14default_configENS1_27scan_by_key_config_selectorIsiEEZZNS1_16scan_by_key_implILNS1_25lookback_scan_determinismE0ELb1ES3_N6thrust23THRUST_200600_302600_NS6detail15normal_iteratorINS9_10device_ptrIsEEEESE_SE_iNS9_4plusIvEENS9_8equal_toIvEEiEE10hipError_tPvRmT2_T3_T4_T5_mT6_T7_P12ihipStream_tbENKUlT_T0_E_clISt17integral_constantIbLb0EESZ_EEDaSU_SV_EUlSU_E_NS1_11comp_targetILNS1_3genE0ELNS1_11target_archE4294967295ELNS1_3gpuE0ELNS1_3repE0EEENS1_30default_config_static_selectorELNS0_4arch9wavefront6targetE1EEEvT1_.kd
    .uniform_work_group_size: 1
    .uses_dynamic_stack: false
    .vgpr_count:     0
    .vgpr_spill_count: 0
    .wavefront_size: 64
  - .agpr_count:     0
    .args:
      - .offset:         0
        .size:           112
        .value_kind:     by_value
    .group_segment_fixed_size: 0
    .kernarg_segment_align: 8
    .kernarg_segment_size: 112
    .language:       OpenCL C
    .language_version:
      - 2
      - 0
    .max_flat_workgroup_size: 256
    .name:           _ZN7rocprim17ROCPRIM_400000_NS6detail17trampoline_kernelINS0_14default_configENS1_27scan_by_key_config_selectorIsiEEZZNS1_16scan_by_key_implILNS1_25lookback_scan_determinismE0ELb1ES3_N6thrust23THRUST_200600_302600_NS6detail15normal_iteratorINS9_10device_ptrIsEEEESE_SE_iNS9_4plusIvEENS9_8equal_toIvEEiEE10hipError_tPvRmT2_T3_T4_T5_mT6_T7_P12ihipStream_tbENKUlT_T0_E_clISt17integral_constantIbLb0EESZ_EEDaSU_SV_EUlSU_E_NS1_11comp_targetILNS1_3genE10ELNS1_11target_archE1201ELNS1_3gpuE5ELNS1_3repE0EEENS1_30default_config_static_selectorELNS0_4arch9wavefront6targetE1EEEvT1_
    .private_segment_fixed_size: 0
    .sgpr_count:     4
    .sgpr_spill_count: 0
    .symbol:         _ZN7rocprim17ROCPRIM_400000_NS6detail17trampoline_kernelINS0_14default_configENS1_27scan_by_key_config_selectorIsiEEZZNS1_16scan_by_key_implILNS1_25lookback_scan_determinismE0ELb1ES3_N6thrust23THRUST_200600_302600_NS6detail15normal_iteratorINS9_10device_ptrIsEEEESE_SE_iNS9_4plusIvEENS9_8equal_toIvEEiEE10hipError_tPvRmT2_T3_T4_T5_mT6_T7_P12ihipStream_tbENKUlT_T0_E_clISt17integral_constantIbLb0EESZ_EEDaSU_SV_EUlSU_E_NS1_11comp_targetILNS1_3genE10ELNS1_11target_archE1201ELNS1_3gpuE5ELNS1_3repE0EEENS1_30default_config_static_selectorELNS0_4arch9wavefront6targetE1EEEvT1_.kd
    .uniform_work_group_size: 1
    .uses_dynamic_stack: false
    .vgpr_count:     0
    .vgpr_spill_count: 0
    .wavefront_size: 64
  - .agpr_count:     0
    .args:
      - .offset:         0
        .size:           112
        .value_kind:     by_value
    .group_segment_fixed_size: 0
    .kernarg_segment_align: 8
    .kernarg_segment_size: 112
    .language:       OpenCL C
    .language_version:
      - 2
      - 0
    .max_flat_workgroup_size: 256
    .name:           _ZN7rocprim17ROCPRIM_400000_NS6detail17trampoline_kernelINS0_14default_configENS1_27scan_by_key_config_selectorIsiEEZZNS1_16scan_by_key_implILNS1_25lookback_scan_determinismE0ELb1ES3_N6thrust23THRUST_200600_302600_NS6detail15normal_iteratorINS9_10device_ptrIsEEEESE_SE_iNS9_4plusIvEENS9_8equal_toIvEEiEE10hipError_tPvRmT2_T3_T4_T5_mT6_T7_P12ihipStream_tbENKUlT_T0_E_clISt17integral_constantIbLb0EESZ_EEDaSU_SV_EUlSU_E_NS1_11comp_targetILNS1_3genE5ELNS1_11target_archE942ELNS1_3gpuE9ELNS1_3repE0EEENS1_30default_config_static_selectorELNS0_4arch9wavefront6targetE1EEEvT1_
    .private_segment_fixed_size: 0
    .sgpr_count:     4
    .sgpr_spill_count: 0
    .symbol:         _ZN7rocprim17ROCPRIM_400000_NS6detail17trampoline_kernelINS0_14default_configENS1_27scan_by_key_config_selectorIsiEEZZNS1_16scan_by_key_implILNS1_25lookback_scan_determinismE0ELb1ES3_N6thrust23THRUST_200600_302600_NS6detail15normal_iteratorINS9_10device_ptrIsEEEESE_SE_iNS9_4plusIvEENS9_8equal_toIvEEiEE10hipError_tPvRmT2_T3_T4_T5_mT6_T7_P12ihipStream_tbENKUlT_T0_E_clISt17integral_constantIbLb0EESZ_EEDaSU_SV_EUlSU_E_NS1_11comp_targetILNS1_3genE5ELNS1_11target_archE942ELNS1_3gpuE9ELNS1_3repE0EEENS1_30default_config_static_selectorELNS0_4arch9wavefront6targetE1EEEvT1_.kd
    .uniform_work_group_size: 1
    .uses_dynamic_stack: false
    .vgpr_count:     0
    .vgpr_spill_count: 0
    .wavefront_size: 64
  - .agpr_count:     0
    .args:
      - .offset:         0
        .size:           112
        .value_kind:     by_value
    .group_segment_fixed_size: 9216
    .kernarg_segment_align: 8
    .kernarg_segment_size: 112
    .language:       OpenCL C
    .language_version:
      - 2
      - 0
    .max_flat_workgroup_size: 256
    .name:           _ZN7rocprim17ROCPRIM_400000_NS6detail17trampoline_kernelINS0_14default_configENS1_27scan_by_key_config_selectorIsiEEZZNS1_16scan_by_key_implILNS1_25lookback_scan_determinismE0ELb1ES3_N6thrust23THRUST_200600_302600_NS6detail15normal_iteratorINS9_10device_ptrIsEEEESE_SE_iNS9_4plusIvEENS9_8equal_toIvEEiEE10hipError_tPvRmT2_T3_T4_T5_mT6_T7_P12ihipStream_tbENKUlT_T0_E_clISt17integral_constantIbLb0EESZ_EEDaSU_SV_EUlSU_E_NS1_11comp_targetILNS1_3genE4ELNS1_11target_archE910ELNS1_3gpuE8ELNS1_3repE0EEENS1_30default_config_static_selectorELNS0_4arch9wavefront6targetE1EEEvT1_
    .private_segment_fixed_size: 0
    .sgpr_count:     54
    .sgpr_spill_count: 0
    .symbol:         _ZN7rocprim17ROCPRIM_400000_NS6detail17trampoline_kernelINS0_14default_configENS1_27scan_by_key_config_selectorIsiEEZZNS1_16scan_by_key_implILNS1_25lookback_scan_determinismE0ELb1ES3_N6thrust23THRUST_200600_302600_NS6detail15normal_iteratorINS9_10device_ptrIsEEEESE_SE_iNS9_4plusIvEENS9_8equal_toIvEEiEE10hipError_tPvRmT2_T3_T4_T5_mT6_T7_P12ihipStream_tbENKUlT_T0_E_clISt17integral_constantIbLb0EESZ_EEDaSU_SV_EUlSU_E_NS1_11comp_targetILNS1_3genE4ELNS1_11target_archE910ELNS1_3gpuE8ELNS1_3repE0EEENS1_30default_config_static_selectorELNS0_4arch9wavefront6targetE1EEEvT1_.kd
    .uniform_work_group_size: 1
    .uses_dynamic_stack: false
    .vgpr_count:     52
    .vgpr_spill_count: 0
    .wavefront_size: 64
  - .agpr_count:     0
    .args:
      - .offset:         0
        .size:           112
        .value_kind:     by_value
    .group_segment_fixed_size: 0
    .kernarg_segment_align: 8
    .kernarg_segment_size: 112
    .language:       OpenCL C
    .language_version:
      - 2
      - 0
    .max_flat_workgroup_size: 256
    .name:           _ZN7rocprim17ROCPRIM_400000_NS6detail17trampoline_kernelINS0_14default_configENS1_27scan_by_key_config_selectorIsiEEZZNS1_16scan_by_key_implILNS1_25lookback_scan_determinismE0ELb1ES3_N6thrust23THRUST_200600_302600_NS6detail15normal_iteratorINS9_10device_ptrIsEEEESE_SE_iNS9_4plusIvEENS9_8equal_toIvEEiEE10hipError_tPvRmT2_T3_T4_T5_mT6_T7_P12ihipStream_tbENKUlT_T0_E_clISt17integral_constantIbLb0EESZ_EEDaSU_SV_EUlSU_E_NS1_11comp_targetILNS1_3genE3ELNS1_11target_archE908ELNS1_3gpuE7ELNS1_3repE0EEENS1_30default_config_static_selectorELNS0_4arch9wavefront6targetE1EEEvT1_
    .private_segment_fixed_size: 0
    .sgpr_count:     4
    .sgpr_spill_count: 0
    .symbol:         _ZN7rocprim17ROCPRIM_400000_NS6detail17trampoline_kernelINS0_14default_configENS1_27scan_by_key_config_selectorIsiEEZZNS1_16scan_by_key_implILNS1_25lookback_scan_determinismE0ELb1ES3_N6thrust23THRUST_200600_302600_NS6detail15normal_iteratorINS9_10device_ptrIsEEEESE_SE_iNS9_4plusIvEENS9_8equal_toIvEEiEE10hipError_tPvRmT2_T3_T4_T5_mT6_T7_P12ihipStream_tbENKUlT_T0_E_clISt17integral_constantIbLb0EESZ_EEDaSU_SV_EUlSU_E_NS1_11comp_targetILNS1_3genE3ELNS1_11target_archE908ELNS1_3gpuE7ELNS1_3repE0EEENS1_30default_config_static_selectorELNS0_4arch9wavefront6targetE1EEEvT1_.kd
    .uniform_work_group_size: 1
    .uses_dynamic_stack: false
    .vgpr_count:     0
    .vgpr_spill_count: 0
    .wavefront_size: 64
  - .agpr_count:     0
    .args:
      - .offset:         0
        .size:           112
        .value_kind:     by_value
    .group_segment_fixed_size: 0
    .kernarg_segment_align: 8
    .kernarg_segment_size: 112
    .language:       OpenCL C
    .language_version:
      - 2
      - 0
    .max_flat_workgroup_size: 256
    .name:           _ZN7rocprim17ROCPRIM_400000_NS6detail17trampoline_kernelINS0_14default_configENS1_27scan_by_key_config_selectorIsiEEZZNS1_16scan_by_key_implILNS1_25lookback_scan_determinismE0ELb1ES3_N6thrust23THRUST_200600_302600_NS6detail15normal_iteratorINS9_10device_ptrIsEEEESE_SE_iNS9_4plusIvEENS9_8equal_toIvEEiEE10hipError_tPvRmT2_T3_T4_T5_mT6_T7_P12ihipStream_tbENKUlT_T0_E_clISt17integral_constantIbLb0EESZ_EEDaSU_SV_EUlSU_E_NS1_11comp_targetILNS1_3genE2ELNS1_11target_archE906ELNS1_3gpuE6ELNS1_3repE0EEENS1_30default_config_static_selectorELNS0_4arch9wavefront6targetE1EEEvT1_
    .private_segment_fixed_size: 0
    .sgpr_count:     4
    .sgpr_spill_count: 0
    .symbol:         _ZN7rocprim17ROCPRIM_400000_NS6detail17trampoline_kernelINS0_14default_configENS1_27scan_by_key_config_selectorIsiEEZZNS1_16scan_by_key_implILNS1_25lookback_scan_determinismE0ELb1ES3_N6thrust23THRUST_200600_302600_NS6detail15normal_iteratorINS9_10device_ptrIsEEEESE_SE_iNS9_4plusIvEENS9_8equal_toIvEEiEE10hipError_tPvRmT2_T3_T4_T5_mT6_T7_P12ihipStream_tbENKUlT_T0_E_clISt17integral_constantIbLb0EESZ_EEDaSU_SV_EUlSU_E_NS1_11comp_targetILNS1_3genE2ELNS1_11target_archE906ELNS1_3gpuE6ELNS1_3repE0EEENS1_30default_config_static_selectorELNS0_4arch9wavefront6targetE1EEEvT1_.kd
    .uniform_work_group_size: 1
    .uses_dynamic_stack: false
    .vgpr_count:     0
    .vgpr_spill_count: 0
    .wavefront_size: 64
  - .agpr_count:     0
    .args:
      - .offset:         0
        .size:           112
        .value_kind:     by_value
    .group_segment_fixed_size: 0
    .kernarg_segment_align: 8
    .kernarg_segment_size: 112
    .language:       OpenCL C
    .language_version:
      - 2
      - 0
    .max_flat_workgroup_size: 256
    .name:           _ZN7rocprim17ROCPRIM_400000_NS6detail17trampoline_kernelINS0_14default_configENS1_27scan_by_key_config_selectorIsiEEZZNS1_16scan_by_key_implILNS1_25lookback_scan_determinismE0ELb1ES3_N6thrust23THRUST_200600_302600_NS6detail15normal_iteratorINS9_10device_ptrIsEEEESE_SE_iNS9_4plusIvEENS9_8equal_toIvEEiEE10hipError_tPvRmT2_T3_T4_T5_mT6_T7_P12ihipStream_tbENKUlT_T0_E_clISt17integral_constantIbLb0EESZ_EEDaSU_SV_EUlSU_E_NS1_11comp_targetILNS1_3genE10ELNS1_11target_archE1200ELNS1_3gpuE4ELNS1_3repE0EEENS1_30default_config_static_selectorELNS0_4arch9wavefront6targetE1EEEvT1_
    .private_segment_fixed_size: 0
    .sgpr_count:     4
    .sgpr_spill_count: 0
    .symbol:         _ZN7rocprim17ROCPRIM_400000_NS6detail17trampoline_kernelINS0_14default_configENS1_27scan_by_key_config_selectorIsiEEZZNS1_16scan_by_key_implILNS1_25lookback_scan_determinismE0ELb1ES3_N6thrust23THRUST_200600_302600_NS6detail15normal_iteratorINS9_10device_ptrIsEEEESE_SE_iNS9_4plusIvEENS9_8equal_toIvEEiEE10hipError_tPvRmT2_T3_T4_T5_mT6_T7_P12ihipStream_tbENKUlT_T0_E_clISt17integral_constantIbLb0EESZ_EEDaSU_SV_EUlSU_E_NS1_11comp_targetILNS1_3genE10ELNS1_11target_archE1200ELNS1_3gpuE4ELNS1_3repE0EEENS1_30default_config_static_selectorELNS0_4arch9wavefront6targetE1EEEvT1_.kd
    .uniform_work_group_size: 1
    .uses_dynamic_stack: false
    .vgpr_count:     0
    .vgpr_spill_count: 0
    .wavefront_size: 64
  - .agpr_count:     0
    .args:
      - .offset:         0
        .size:           112
        .value_kind:     by_value
    .group_segment_fixed_size: 0
    .kernarg_segment_align: 8
    .kernarg_segment_size: 112
    .language:       OpenCL C
    .language_version:
      - 2
      - 0
    .max_flat_workgroup_size: 256
    .name:           _ZN7rocprim17ROCPRIM_400000_NS6detail17trampoline_kernelINS0_14default_configENS1_27scan_by_key_config_selectorIsiEEZZNS1_16scan_by_key_implILNS1_25lookback_scan_determinismE0ELb1ES3_N6thrust23THRUST_200600_302600_NS6detail15normal_iteratorINS9_10device_ptrIsEEEESE_SE_iNS9_4plusIvEENS9_8equal_toIvEEiEE10hipError_tPvRmT2_T3_T4_T5_mT6_T7_P12ihipStream_tbENKUlT_T0_E_clISt17integral_constantIbLb0EESZ_EEDaSU_SV_EUlSU_E_NS1_11comp_targetILNS1_3genE9ELNS1_11target_archE1100ELNS1_3gpuE3ELNS1_3repE0EEENS1_30default_config_static_selectorELNS0_4arch9wavefront6targetE1EEEvT1_
    .private_segment_fixed_size: 0
    .sgpr_count:     4
    .sgpr_spill_count: 0
    .symbol:         _ZN7rocprim17ROCPRIM_400000_NS6detail17trampoline_kernelINS0_14default_configENS1_27scan_by_key_config_selectorIsiEEZZNS1_16scan_by_key_implILNS1_25lookback_scan_determinismE0ELb1ES3_N6thrust23THRUST_200600_302600_NS6detail15normal_iteratorINS9_10device_ptrIsEEEESE_SE_iNS9_4plusIvEENS9_8equal_toIvEEiEE10hipError_tPvRmT2_T3_T4_T5_mT6_T7_P12ihipStream_tbENKUlT_T0_E_clISt17integral_constantIbLb0EESZ_EEDaSU_SV_EUlSU_E_NS1_11comp_targetILNS1_3genE9ELNS1_11target_archE1100ELNS1_3gpuE3ELNS1_3repE0EEENS1_30default_config_static_selectorELNS0_4arch9wavefront6targetE1EEEvT1_.kd
    .uniform_work_group_size: 1
    .uses_dynamic_stack: false
    .vgpr_count:     0
    .vgpr_spill_count: 0
    .wavefront_size: 64
  - .agpr_count:     0
    .args:
      - .offset:         0
        .size:           112
        .value_kind:     by_value
    .group_segment_fixed_size: 0
    .kernarg_segment_align: 8
    .kernarg_segment_size: 112
    .language:       OpenCL C
    .language_version:
      - 2
      - 0
    .max_flat_workgroup_size: 64
    .name:           _ZN7rocprim17ROCPRIM_400000_NS6detail17trampoline_kernelINS0_14default_configENS1_27scan_by_key_config_selectorIsiEEZZNS1_16scan_by_key_implILNS1_25lookback_scan_determinismE0ELb1ES3_N6thrust23THRUST_200600_302600_NS6detail15normal_iteratorINS9_10device_ptrIsEEEESE_SE_iNS9_4plusIvEENS9_8equal_toIvEEiEE10hipError_tPvRmT2_T3_T4_T5_mT6_T7_P12ihipStream_tbENKUlT_T0_E_clISt17integral_constantIbLb0EESZ_EEDaSU_SV_EUlSU_E_NS1_11comp_targetILNS1_3genE8ELNS1_11target_archE1030ELNS1_3gpuE2ELNS1_3repE0EEENS1_30default_config_static_selectorELNS0_4arch9wavefront6targetE1EEEvT1_
    .private_segment_fixed_size: 0
    .sgpr_count:     4
    .sgpr_spill_count: 0
    .symbol:         _ZN7rocprim17ROCPRIM_400000_NS6detail17trampoline_kernelINS0_14default_configENS1_27scan_by_key_config_selectorIsiEEZZNS1_16scan_by_key_implILNS1_25lookback_scan_determinismE0ELb1ES3_N6thrust23THRUST_200600_302600_NS6detail15normal_iteratorINS9_10device_ptrIsEEEESE_SE_iNS9_4plusIvEENS9_8equal_toIvEEiEE10hipError_tPvRmT2_T3_T4_T5_mT6_T7_P12ihipStream_tbENKUlT_T0_E_clISt17integral_constantIbLb0EESZ_EEDaSU_SV_EUlSU_E_NS1_11comp_targetILNS1_3genE8ELNS1_11target_archE1030ELNS1_3gpuE2ELNS1_3repE0EEENS1_30default_config_static_selectorELNS0_4arch9wavefront6targetE1EEEvT1_.kd
    .uniform_work_group_size: 1
    .uses_dynamic_stack: false
    .vgpr_count:     0
    .vgpr_spill_count: 0
    .wavefront_size: 64
  - .agpr_count:     0
    .args:
      - .address_space:  global
        .offset:         0
        .size:           8
        .value_kind:     global_buffer
      - .offset:         8
        .size:           4
        .value_kind:     by_value
      - .offset:         12
        .size:           4
        .value_kind:     by_value
      - .address_space:  global
        .offset:         16
        .size:           8
        .value_kind:     global_buffer
      - .address_space:  global
        .offset:         24
        .size:           8
        .value_kind:     global_buffer
      - .actual_access:  write_only
        .address_space:  global
        .offset:         32
        .size:           8
        .value_kind:     global_buffer
      - .offset:         40
        .size:           8
        .value_kind:     by_value
      - .offset:         48
        .size:           4
        .value_kind:     by_value
      - .address_space:  global
        .offset:         56
        .size:           8
        .value_kind:     global_buffer
      - .offset:         64
        .size:           4
        .value_kind:     hidden_block_count_x
      - .offset:         68
        .size:           4
        .value_kind:     hidden_block_count_y
      - .offset:         72
        .size:           4
        .value_kind:     hidden_block_count_z
      - .offset:         76
        .size:           2
        .value_kind:     hidden_group_size_x
      - .offset:         78
        .size:           2
        .value_kind:     hidden_group_size_y
      - .offset:         80
        .size:           2
        .value_kind:     hidden_group_size_z
      - .offset:         82
        .size:           2
        .value_kind:     hidden_remainder_x
      - .offset:         84
        .size:           2
        .value_kind:     hidden_remainder_y
      - .offset:         86
        .size:           2
        .value_kind:     hidden_remainder_z
      - .offset:         104
        .size:           8
        .value_kind:     hidden_global_offset_x
      - .offset:         112
        .size:           8
        .value_kind:     hidden_global_offset_y
      - .offset:         120
        .size:           8
        .value_kind:     hidden_global_offset_z
      - .offset:         128
        .size:           2
        .value_kind:     hidden_grid_dims
    .group_segment_fixed_size: 0
    .kernarg_segment_align: 8
    .kernarg_segment_size: 320
    .language:       OpenCL C
    .language_version:
      - 2
      - 0
    .max_flat_workgroup_size: 256
    .name:           _ZN7rocprim17ROCPRIM_400000_NS6detail30init_device_scan_by_key_kernelINS1_19lookback_scan_stateINS0_5tupleIJibEEELb1ELb1EEEN6thrust23THRUST_200600_302600_NS6detail15normal_iteratorINS8_10device_ptrIsEEEEjNS1_16block_id_wrapperIjLb1EEEEEvT_jjPNSG_10value_typeET0_PNSt15iterator_traitsISJ_E10value_typeEmT1_T2_
    .private_segment_fixed_size: 0
    .sgpr_count:     24
    .sgpr_spill_count: 0
    .symbol:         _ZN7rocprim17ROCPRIM_400000_NS6detail30init_device_scan_by_key_kernelINS1_19lookback_scan_stateINS0_5tupleIJibEEELb1ELb1EEEN6thrust23THRUST_200600_302600_NS6detail15normal_iteratorINS8_10device_ptrIsEEEEjNS1_16block_id_wrapperIjLb1EEEEEvT_jjPNSG_10value_typeET0_PNSt15iterator_traitsISJ_E10value_typeEmT1_T2_.kd
    .uniform_work_group_size: 1
    .uses_dynamic_stack: false
    .vgpr_count:     10
    .vgpr_spill_count: 0
    .wavefront_size: 64
  - .agpr_count:     0
    .args:
      - .offset:         0
        .size:           112
        .value_kind:     by_value
    .group_segment_fixed_size: 0
    .kernarg_segment_align: 8
    .kernarg_segment_size: 112
    .language:       OpenCL C
    .language_version:
      - 2
      - 0
    .max_flat_workgroup_size: 256
    .name:           _ZN7rocprim17ROCPRIM_400000_NS6detail17trampoline_kernelINS0_14default_configENS1_27scan_by_key_config_selectorIsiEEZZNS1_16scan_by_key_implILNS1_25lookback_scan_determinismE0ELb1ES3_N6thrust23THRUST_200600_302600_NS6detail15normal_iteratorINS9_10device_ptrIsEEEESE_SE_iNS9_4plusIvEENS9_8equal_toIvEEiEE10hipError_tPvRmT2_T3_T4_T5_mT6_T7_P12ihipStream_tbENKUlT_T0_E_clISt17integral_constantIbLb1EESZ_EEDaSU_SV_EUlSU_E_NS1_11comp_targetILNS1_3genE0ELNS1_11target_archE4294967295ELNS1_3gpuE0ELNS1_3repE0EEENS1_30default_config_static_selectorELNS0_4arch9wavefront6targetE1EEEvT1_
    .private_segment_fixed_size: 0
    .sgpr_count:     4
    .sgpr_spill_count: 0
    .symbol:         _ZN7rocprim17ROCPRIM_400000_NS6detail17trampoline_kernelINS0_14default_configENS1_27scan_by_key_config_selectorIsiEEZZNS1_16scan_by_key_implILNS1_25lookback_scan_determinismE0ELb1ES3_N6thrust23THRUST_200600_302600_NS6detail15normal_iteratorINS9_10device_ptrIsEEEESE_SE_iNS9_4plusIvEENS9_8equal_toIvEEiEE10hipError_tPvRmT2_T3_T4_T5_mT6_T7_P12ihipStream_tbENKUlT_T0_E_clISt17integral_constantIbLb1EESZ_EEDaSU_SV_EUlSU_E_NS1_11comp_targetILNS1_3genE0ELNS1_11target_archE4294967295ELNS1_3gpuE0ELNS1_3repE0EEENS1_30default_config_static_selectorELNS0_4arch9wavefront6targetE1EEEvT1_.kd
    .uniform_work_group_size: 1
    .uses_dynamic_stack: false
    .vgpr_count:     0
    .vgpr_spill_count: 0
    .wavefront_size: 64
  - .agpr_count:     0
    .args:
      - .offset:         0
        .size:           112
        .value_kind:     by_value
    .group_segment_fixed_size: 0
    .kernarg_segment_align: 8
    .kernarg_segment_size: 112
    .language:       OpenCL C
    .language_version:
      - 2
      - 0
    .max_flat_workgroup_size: 256
    .name:           _ZN7rocprim17ROCPRIM_400000_NS6detail17trampoline_kernelINS0_14default_configENS1_27scan_by_key_config_selectorIsiEEZZNS1_16scan_by_key_implILNS1_25lookback_scan_determinismE0ELb1ES3_N6thrust23THRUST_200600_302600_NS6detail15normal_iteratorINS9_10device_ptrIsEEEESE_SE_iNS9_4plusIvEENS9_8equal_toIvEEiEE10hipError_tPvRmT2_T3_T4_T5_mT6_T7_P12ihipStream_tbENKUlT_T0_E_clISt17integral_constantIbLb1EESZ_EEDaSU_SV_EUlSU_E_NS1_11comp_targetILNS1_3genE10ELNS1_11target_archE1201ELNS1_3gpuE5ELNS1_3repE0EEENS1_30default_config_static_selectorELNS0_4arch9wavefront6targetE1EEEvT1_
    .private_segment_fixed_size: 0
    .sgpr_count:     4
    .sgpr_spill_count: 0
    .symbol:         _ZN7rocprim17ROCPRIM_400000_NS6detail17trampoline_kernelINS0_14default_configENS1_27scan_by_key_config_selectorIsiEEZZNS1_16scan_by_key_implILNS1_25lookback_scan_determinismE0ELb1ES3_N6thrust23THRUST_200600_302600_NS6detail15normal_iteratorINS9_10device_ptrIsEEEESE_SE_iNS9_4plusIvEENS9_8equal_toIvEEiEE10hipError_tPvRmT2_T3_T4_T5_mT6_T7_P12ihipStream_tbENKUlT_T0_E_clISt17integral_constantIbLb1EESZ_EEDaSU_SV_EUlSU_E_NS1_11comp_targetILNS1_3genE10ELNS1_11target_archE1201ELNS1_3gpuE5ELNS1_3repE0EEENS1_30default_config_static_selectorELNS0_4arch9wavefront6targetE1EEEvT1_.kd
    .uniform_work_group_size: 1
    .uses_dynamic_stack: false
    .vgpr_count:     0
    .vgpr_spill_count: 0
    .wavefront_size: 64
  - .agpr_count:     0
    .args:
      - .offset:         0
        .size:           112
        .value_kind:     by_value
    .group_segment_fixed_size: 0
    .kernarg_segment_align: 8
    .kernarg_segment_size: 112
    .language:       OpenCL C
    .language_version:
      - 2
      - 0
    .max_flat_workgroup_size: 256
    .name:           _ZN7rocprim17ROCPRIM_400000_NS6detail17trampoline_kernelINS0_14default_configENS1_27scan_by_key_config_selectorIsiEEZZNS1_16scan_by_key_implILNS1_25lookback_scan_determinismE0ELb1ES3_N6thrust23THRUST_200600_302600_NS6detail15normal_iteratorINS9_10device_ptrIsEEEESE_SE_iNS9_4plusIvEENS9_8equal_toIvEEiEE10hipError_tPvRmT2_T3_T4_T5_mT6_T7_P12ihipStream_tbENKUlT_T0_E_clISt17integral_constantIbLb1EESZ_EEDaSU_SV_EUlSU_E_NS1_11comp_targetILNS1_3genE5ELNS1_11target_archE942ELNS1_3gpuE9ELNS1_3repE0EEENS1_30default_config_static_selectorELNS0_4arch9wavefront6targetE1EEEvT1_
    .private_segment_fixed_size: 0
    .sgpr_count:     4
    .sgpr_spill_count: 0
    .symbol:         _ZN7rocprim17ROCPRIM_400000_NS6detail17trampoline_kernelINS0_14default_configENS1_27scan_by_key_config_selectorIsiEEZZNS1_16scan_by_key_implILNS1_25lookback_scan_determinismE0ELb1ES3_N6thrust23THRUST_200600_302600_NS6detail15normal_iteratorINS9_10device_ptrIsEEEESE_SE_iNS9_4plusIvEENS9_8equal_toIvEEiEE10hipError_tPvRmT2_T3_T4_T5_mT6_T7_P12ihipStream_tbENKUlT_T0_E_clISt17integral_constantIbLb1EESZ_EEDaSU_SV_EUlSU_E_NS1_11comp_targetILNS1_3genE5ELNS1_11target_archE942ELNS1_3gpuE9ELNS1_3repE0EEENS1_30default_config_static_selectorELNS0_4arch9wavefront6targetE1EEEvT1_.kd
    .uniform_work_group_size: 1
    .uses_dynamic_stack: false
    .vgpr_count:     0
    .vgpr_spill_count: 0
    .wavefront_size: 64
  - .agpr_count:     0
    .args:
      - .offset:         0
        .size:           112
        .value_kind:     by_value
    .group_segment_fixed_size: 9216
    .kernarg_segment_align: 8
    .kernarg_segment_size: 112
    .language:       OpenCL C
    .language_version:
      - 2
      - 0
    .max_flat_workgroup_size: 256
    .name:           _ZN7rocprim17ROCPRIM_400000_NS6detail17trampoline_kernelINS0_14default_configENS1_27scan_by_key_config_selectorIsiEEZZNS1_16scan_by_key_implILNS1_25lookback_scan_determinismE0ELb1ES3_N6thrust23THRUST_200600_302600_NS6detail15normal_iteratorINS9_10device_ptrIsEEEESE_SE_iNS9_4plusIvEENS9_8equal_toIvEEiEE10hipError_tPvRmT2_T3_T4_T5_mT6_T7_P12ihipStream_tbENKUlT_T0_E_clISt17integral_constantIbLb1EESZ_EEDaSU_SV_EUlSU_E_NS1_11comp_targetILNS1_3genE4ELNS1_11target_archE910ELNS1_3gpuE8ELNS1_3repE0EEENS1_30default_config_static_selectorELNS0_4arch9wavefront6targetE1EEEvT1_
    .private_segment_fixed_size: 0
    .sgpr_count:     54
    .sgpr_spill_count: 0
    .symbol:         _ZN7rocprim17ROCPRIM_400000_NS6detail17trampoline_kernelINS0_14default_configENS1_27scan_by_key_config_selectorIsiEEZZNS1_16scan_by_key_implILNS1_25lookback_scan_determinismE0ELb1ES3_N6thrust23THRUST_200600_302600_NS6detail15normal_iteratorINS9_10device_ptrIsEEEESE_SE_iNS9_4plusIvEENS9_8equal_toIvEEiEE10hipError_tPvRmT2_T3_T4_T5_mT6_T7_P12ihipStream_tbENKUlT_T0_E_clISt17integral_constantIbLb1EESZ_EEDaSU_SV_EUlSU_E_NS1_11comp_targetILNS1_3genE4ELNS1_11target_archE910ELNS1_3gpuE8ELNS1_3repE0EEENS1_30default_config_static_selectorELNS0_4arch9wavefront6targetE1EEEvT1_.kd
    .uniform_work_group_size: 1
    .uses_dynamic_stack: false
    .vgpr_count:     54
    .vgpr_spill_count: 0
    .wavefront_size: 64
  - .agpr_count:     0
    .args:
      - .offset:         0
        .size:           112
        .value_kind:     by_value
    .group_segment_fixed_size: 0
    .kernarg_segment_align: 8
    .kernarg_segment_size: 112
    .language:       OpenCL C
    .language_version:
      - 2
      - 0
    .max_flat_workgroup_size: 256
    .name:           _ZN7rocprim17ROCPRIM_400000_NS6detail17trampoline_kernelINS0_14default_configENS1_27scan_by_key_config_selectorIsiEEZZNS1_16scan_by_key_implILNS1_25lookback_scan_determinismE0ELb1ES3_N6thrust23THRUST_200600_302600_NS6detail15normal_iteratorINS9_10device_ptrIsEEEESE_SE_iNS9_4plusIvEENS9_8equal_toIvEEiEE10hipError_tPvRmT2_T3_T4_T5_mT6_T7_P12ihipStream_tbENKUlT_T0_E_clISt17integral_constantIbLb1EESZ_EEDaSU_SV_EUlSU_E_NS1_11comp_targetILNS1_3genE3ELNS1_11target_archE908ELNS1_3gpuE7ELNS1_3repE0EEENS1_30default_config_static_selectorELNS0_4arch9wavefront6targetE1EEEvT1_
    .private_segment_fixed_size: 0
    .sgpr_count:     4
    .sgpr_spill_count: 0
    .symbol:         _ZN7rocprim17ROCPRIM_400000_NS6detail17trampoline_kernelINS0_14default_configENS1_27scan_by_key_config_selectorIsiEEZZNS1_16scan_by_key_implILNS1_25lookback_scan_determinismE0ELb1ES3_N6thrust23THRUST_200600_302600_NS6detail15normal_iteratorINS9_10device_ptrIsEEEESE_SE_iNS9_4plusIvEENS9_8equal_toIvEEiEE10hipError_tPvRmT2_T3_T4_T5_mT6_T7_P12ihipStream_tbENKUlT_T0_E_clISt17integral_constantIbLb1EESZ_EEDaSU_SV_EUlSU_E_NS1_11comp_targetILNS1_3genE3ELNS1_11target_archE908ELNS1_3gpuE7ELNS1_3repE0EEENS1_30default_config_static_selectorELNS0_4arch9wavefront6targetE1EEEvT1_.kd
    .uniform_work_group_size: 1
    .uses_dynamic_stack: false
    .vgpr_count:     0
    .vgpr_spill_count: 0
    .wavefront_size: 64
  - .agpr_count:     0
    .args:
      - .offset:         0
        .size:           112
        .value_kind:     by_value
    .group_segment_fixed_size: 0
    .kernarg_segment_align: 8
    .kernarg_segment_size: 112
    .language:       OpenCL C
    .language_version:
      - 2
      - 0
    .max_flat_workgroup_size: 256
    .name:           _ZN7rocprim17ROCPRIM_400000_NS6detail17trampoline_kernelINS0_14default_configENS1_27scan_by_key_config_selectorIsiEEZZNS1_16scan_by_key_implILNS1_25lookback_scan_determinismE0ELb1ES3_N6thrust23THRUST_200600_302600_NS6detail15normal_iteratorINS9_10device_ptrIsEEEESE_SE_iNS9_4plusIvEENS9_8equal_toIvEEiEE10hipError_tPvRmT2_T3_T4_T5_mT6_T7_P12ihipStream_tbENKUlT_T0_E_clISt17integral_constantIbLb1EESZ_EEDaSU_SV_EUlSU_E_NS1_11comp_targetILNS1_3genE2ELNS1_11target_archE906ELNS1_3gpuE6ELNS1_3repE0EEENS1_30default_config_static_selectorELNS0_4arch9wavefront6targetE1EEEvT1_
    .private_segment_fixed_size: 0
    .sgpr_count:     4
    .sgpr_spill_count: 0
    .symbol:         _ZN7rocprim17ROCPRIM_400000_NS6detail17trampoline_kernelINS0_14default_configENS1_27scan_by_key_config_selectorIsiEEZZNS1_16scan_by_key_implILNS1_25lookback_scan_determinismE0ELb1ES3_N6thrust23THRUST_200600_302600_NS6detail15normal_iteratorINS9_10device_ptrIsEEEESE_SE_iNS9_4plusIvEENS9_8equal_toIvEEiEE10hipError_tPvRmT2_T3_T4_T5_mT6_T7_P12ihipStream_tbENKUlT_T0_E_clISt17integral_constantIbLb1EESZ_EEDaSU_SV_EUlSU_E_NS1_11comp_targetILNS1_3genE2ELNS1_11target_archE906ELNS1_3gpuE6ELNS1_3repE0EEENS1_30default_config_static_selectorELNS0_4arch9wavefront6targetE1EEEvT1_.kd
    .uniform_work_group_size: 1
    .uses_dynamic_stack: false
    .vgpr_count:     0
    .vgpr_spill_count: 0
    .wavefront_size: 64
  - .agpr_count:     0
    .args:
      - .offset:         0
        .size:           112
        .value_kind:     by_value
    .group_segment_fixed_size: 0
    .kernarg_segment_align: 8
    .kernarg_segment_size: 112
    .language:       OpenCL C
    .language_version:
      - 2
      - 0
    .max_flat_workgroup_size: 256
    .name:           _ZN7rocprim17ROCPRIM_400000_NS6detail17trampoline_kernelINS0_14default_configENS1_27scan_by_key_config_selectorIsiEEZZNS1_16scan_by_key_implILNS1_25lookback_scan_determinismE0ELb1ES3_N6thrust23THRUST_200600_302600_NS6detail15normal_iteratorINS9_10device_ptrIsEEEESE_SE_iNS9_4plusIvEENS9_8equal_toIvEEiEE10hipError_tPvRmT2_T3_T4_T5_mT6_T7_P12ihipStream_tbENKUlT_T0_E_clISt17integral_constantIbLb1EESZ_EEDaSU_SV_EUlSU_E_NS1_11comp_targetILNS1_3genE10ELNS1_11target_archE1200ELNS1_3gpuE4ELNS1_3repE0EEENS1_30default_config_static_selectorELNS0_4arch9wavefront6targetE1EEEvT1_
    .private_segment_fixed_size: 0
    .sgpr_count:     4
    .sgpr_spill_count: 0
    .symbol:         _ZN7rocprim17ROCPRIM_400000_NS6detail17trampoline_kernelINS0_14default_configENS1_27scan_by_key_config_selectorIsiEEZZNS1_16scan_by_key_implILNS1_25lookback_scan_determinismE0ELb1ES3_N6thrust23THRUST_200600_302600_NS6detail15normal_iteratorINS9_10device_ptrIsEEEESE_SE_iNS9_4plusIvEENS9_8equal_toIvEEiEE10hipError_tPvRmT2_T3_T4_T5_mT6_T7_P12ihipStream_tbENKUlT_T0_E_clISt17integral_constantIbLb1EESZ_EEDaSU_SV_EUlSU_E_NS1_11comp_targetILNS1_3genE10ELNS1_11target_archE1200ELNS1_3gpuE4ELNS1_3repE0EEENS1_30default_config_static_selectorELNS0_4arch9wavefront6targetE1EEEvT1_.kd
    .uniform_work_group_size: 1
    .uses_dynamic_stack: false
    .vgpr_count:     0
    .vgpr_spill_count: 0
    .wavefront_size: 64
  - .agpr_count:     0
    .args:
      - .offset:         0
        .size:           112
        .value_kind:     by_value
    .group_segment_fixed_size: 0
    .kernarg_segment_align: 8
    .kernarg_segment_size: 112
    .language:       OpenCL C
    .language_version:
      - 2
      - 0
    .max_flat_workgroup_size: 256
    .name:           _ZN7rocprim17ROCPRIM_400000_NS6detail17trampoline_kernelINS0_14default_configENS1_27scan_by_key_config_selectorIsiEEZZNS1_16scan_by_key_implILNS1_25lookback_scan_determinismE0ELb1ES3_N6thrust23THRUST_200600_302600_NS6detail15normal_iteratorINS9_10device_ptrIsEEEESE_SE_iNS9_4plusIvEENS9_8equal_toIvEEiEE10hipError_tPvRmT2_T3_T4_T5_mT6_T7_P12ihipStream_tbENKUlT_T0_E_clISt17integral_constantIbLb1EESZ_EEDaSU_SV_EUlSU_E_NS1_11comp_targetILNS1_3genE9ELNS1_11target_archE1100ELNS1_3gpuE3ELNS1_3repE0EEENS1_30default_config_static_selectorELNS0_4arch9wavefront6targetE1EEEvT1_
    .private_segment_fixed_size: 0
    .sgpr_count:     4
    .sgpr_spill_count: 0
    .symbol:         _ZN7rocprim17ROCPRIM_400000_NS6detail17trampoline_kernelINS0_14default_configENS1_27scan_by_key_config_selectorIsiEEZZNS1_16scan_by_key_implILNS1_25lookback_scan_determinismE0ELb1ES3_N6thrust23THRUST_200600_302600_NS6detail15normal_iteratorINS9_10device_ptrIsEEEESE_SE_iNS9_4plusIvEENS9_8equal_toIvEEiEE10hipError_tPvRmT2_T3_T4_T5_mT6_T7_P12ihipStream_tbENKUlT_T0_E_clISt17integral_constantIbLb1EESZ_EEDaSU_SV_EUlSU_E_NS1_11comp_targetILNS1_3genE9ELNS1_11target_archE1100ELNS1_3gpuE3ELNS1_3repE0EEENS1_30default_config_static_selectorELNS0_4arch9wavefront6targetE1EEEvT1_.kd
    .uniform_work_group_size: 1
    .uses_dynamic_stack: false
    .vgpr_count:     0
    .vgpr_spill_count: 0
    .wavefront_size: 64
  - .agpr_count:     0
    .args:
      - .offset:         0
        .size:           112
        .value_kind:     by_value
    .group_segment_fixed_size: 0
    .kernarg_segment_align: 8
    .kernarg_segment_size: 112
    .language:       OpenCL C
    .language_version:
      - 2
      - 0
    .max_flat_workgroup_size: 64
    .name:           _ZN7rocprim17ROCPRIM_400000_NS6detail17trampoline_kernelINS0_14default_configENS1_27scan_by_key_config_selectorIsiEEZZNS1_16scan_by_key_implILNS1_25lookback_scan_determinismE0ELb1ES3_N6thrust23THRUST_200600_302600_NS6detail15normal_iteratorINS9_10device_ptrIsEEEESE_SE_iNS9_4plusIvEENS9_8equal_toIvEEiEE10hipError_tPvRmT2_T3_T4_T5_mT6_T7_P12ihipStream_tbENKUlT_T0_E_clISt17integral_constantIbLb1EESZ_EEDaSU_SV_EUlSU_E_NS1_11comp_targetILNS1_3genE8ELNS1_11target_archE1030ELNS1_3gpuE2ELNS1_3repE0EEENS1_30default_config_static_selectorELNS0_4arch9wavefront6targetE1EEEvT1_
    .private_segment_fixed_size: 0
    .sgpr_count:     4
    .sgpr_spill_count: 0
    .symbol:         _ZN7rocprim17ROCPRIM_400000_NS6detail17trampoline_kernelINS0_14default_configENS1_27scan_by_key_config_selectorIsiEEZZNS1_16scan_by_key_implILNS1_25lookback_scan_determinismE0ELb1ES3_N6thrust23THRUST_200600_302600_NS6detail15normal_iteratorINS9_10device_ptrIsEEEESE_SE_iNS9_4plusIvEENS9_8equal_toIvEEiEE10hipError_tPvRmT2_T3_T4_T5_mT6_T7_P12ihipStream_tbENKUlT_T0_E_clISt17integral_constantIbLb1EESZ_EEDaSU_SV_EUlSU_E_NS1_11comp_targetILNS1_3genE8ELNS1_11target_archE1030ELNS1_3gpuE2ELNS1_3repE0EEENS1_30default_config_static_selectorELNS0_4arch9wavefront6targetE1EEEvT1_.kd
    .uniform_work_group_size: 1
    .uses_dynamic_stack: false
    .vgpr_count:     0
    .vgpr_spill_count: 0
    .wavefront_size: 64
  - .agpr_count:     0
    .args:
      - .address_space:  global
        .offset:         0
        .size:           8
        .value_kind:     global_buffer
      - .offset:         8
        .size:           4
        .value_kind:     by_value
      - .offset:         12
        .size:           4
        .value_kind:     by_value
      - .address_space:  global
        .offset:         16
        .size:           8
        .value_kind:     global_buffer
      - .address_space:  global
        .offset:         24
        .size:           8
        .value_kind:     global_buffer
      - .actual_access:  write_only
        .address_space:  global
        .offset:         32
        .size:           8
        .value_kind:     global_buffer
      - .offset:         40
        .size:           8
        .value_kind:     by_value
      - .offset:         48
        .size:           4
        .value_kind:     by_value
      - .offset:         52
        .size:           1
        .value_kind:     by_value
      - .offset:         56
        .size:           4
        .value_kind:     hidden_block_count_x
      - .offset:         60
        .size:           4
        .value_kind:     hidden_block_count_y
      - .offset:         64
        .size:           4
        .value_kind:     hidden_block_count_z
      - .offset:         68
        .size:           2
        .value_kind:     hidden_group_size_x
      - .offset:         70
        .size:           2
        .value_kind:     hidden_group_size_y
      - .offset:         72
        .size:           2
        .value_kind:     hidden_group_size_z
      - .offset:         74
        .size:           2
        .value_kind:     hidden_remainder_x
      - .offset:         76
        .size:           2
        .value_kind:     hidden_remainder_y
      - .offset:         78
        .size:           2
        .value_kind:     hidden_remainder_z
      - .offset:         96
        .size:           8
        .value_kind:     hidden_global_offset_x
      - .offset:         104
        .size:           8
        .value_kind:     hidden_global_offset_y
      - .offset:         112
        .size:           8
        .value_kind:     hidden_global_offset_z
      - .offset:         120
        .size:           2
        .value_kind:     hidden_grid_dims
    .group_segment_fixed_size: 0
    .kernarg_segment_align: 8
    .kernarg_segment_size: 312
    .language:       OpenCL C
    .language_version:
      - 2
      - 0
    .max_flat_workgroup_size: 256
    .name:           _ZN7rocprim17ROCPRIM_400000_NS6detail30init_device_scan_by_key_kernelINS1_19lookback_scan_stateINS0_5tupleIJibEEELb1ELb1EEEN6thrust23THRUST_200600_302600_NS6detail15normal_iteratorINS8_10device_ptrIsEEEEjNS1_16block_id_wrapperIjLb0EEEEEvT_jjPNSG_10value_typeET0_PNSt15iterator_traitsISJ_E10value_typeEmT1_T2_
    .private_segment_fixed_size: 0
    .sgpr_count:     24
    .sgpr_spill_count: 0
    .symbol:         _ZN7rocprim17ROCPRIM_400000_NS6detail30init_device_scan_by_key_kernelINS1_19lookback_scan_stateINS0_5tupleIJibEEELb1ELb1EEEN6thrust23THRUST_200600_302600_NS6detail15normal_iteratorINS8_10device_ptrIsEEEEjNS1_16block_id_wrapperIjLb0EEEEEvT_jjPNSG_10value_typeET0_PNSt15iterator_traitsISJ_E10value_typeEmT1_T2_.kd
    .uniform_work_group_size: 1
    .uses_dynamic_stack: false
    .vgpr_count:     10
    .vgpr_spill_count: 0
    .wavefront_size: 64
  - .agpr_count:     0
    .args:
      - .offset:         0
        .size:           112
        .value_kind:     by_value
    .group_segment_fixed_size: 0
    .kernarg_segment_align: 8
    .kernarg_segment_size: 112
    .language:       OpenCL C
    .language_version:
      - 2
      - 0
    .max_flat_workgroup_size: 256
    .name:           _ZN7rocprim17ROCPRIM_400000_NS6detail17trampoline_kernelINS0_14default_configENS1_27scan_by_key_config_selectorIsiEEZZNS1_16scan_by_key_implILNS1_25lookback_scan_determinismE0ELb1ES3_N6thrust23THRUST_200600_302600_NS6detail15normal_iteratorINS9_10device_ptrIsEEEESE_SE_iNS9_4plusIvEENS9_8equal_toIvEEiEE10hipError_tPvRmT2_T3_T4_T5_mT6_T7_P12ihipStream_tbENKUlT_T0_E_clISt17integral_constantIbLb1EESY_IbLb0EEEEDaSU_SV_EUlSU_E_NS1_11comp_targetILNS1_3genE0ELNS1_11target_archE4294967295ELNS1_3gpuE0ELNS1_3repE0EEENS1_30default_config_static_selectorELNS0_4arch9wavefront6targetE1EEEvT1_
    .private_segment_fixed_size: 0
    .sgpr_count:     4
    .sgpr_spill_count: 0
    .symbol:         _ZN7rocprim17ROCPRIM_400000_NS6detail17trampoline_kernelINS0_14default_configENS1_27scan_by_key_config_selectorIsiEEZZNS1_16scan_by_key_implILNS1_25lookback_scan_determinismE0ELb1ES3_N6thrust23THRUST_200600_302600_NS6detail15normal_iteratorINS9_10device_ptrIsEEEESE_SE_iNS9_4plusIvEENS9_8equal_toIvEEiEE10hipError_tPvRmT2_T3_T4_T5_mT6_T7_P12ihipStream_tbENKUlT_T0_E_clISt17integral_constantIbLb1EESY_IbLb0EEEEDaSU_SV_EUlSU_E_NS1_11comp_targetILNS1_3genE0ELNS1_11target_archE4294967295ELNS1_3gpuE0ELNS1_3repE0EEENS1_30default_config_static_selectorELNS0_4arch9wavefront6targetE1EEEvT1_.kd
    .uniform_work_group_size: 1
    .uses_dynamic_stack: false
    .vgpr_count:     0
    .vgpr_spill_count: 0
    .wavefront_size: 64
  - .agpr_count:     0
    .args:
      - .offset:         0
        .size:           112
        .value_kind:     by_value
    .group_segment_fixed_size: 0
    .kernarg_segment_align: 8
    .kernarg_segment_size: 112
    .language:       OpenCL C
    .language_version:
      - 2
      - 0
    .max_flat_workgroup_size: 256
    .name:           _ZN7rocprim17ROCPRIM_400000_NS6detail17trampoline_kernelINS0_14default_configENS1_27scan_by_key_config_selectorIsiEEZZNS1_16scan_by_key_implILNS1_25lookback_scan_determinismE0ELb1ES3_N6thrust23THRUST_200600_302600_NS6detail15normal_iteratorINS9_10device_ptrIsEEEESE_SE_iNS9_4plusIvEENS9_8equal_toIvEEiEE10hipError_tPvRmT2_T3_T4_T5_mT6_T7_P12ihipStream_tbENKUlT_T0_E_clISt17integral_constantIbLb1EESY_IbLb0EEEEDaSU_SV_EUlSU_E_NS1_11comp_targetILNS1_3genE10ELNS1_11target_archE1201ELNS1_3gpuE5ELNS1_3repE0EEENS1_30default_config_static_selectorELNS0_4arch9wavefront6targetE1EEEvT1_
    .private_segment_fixed_size: 0
    .sgpr_count:     4
    .sgpr_spill_count: 0
    .symbol:         _ZN7rocprim17ROCPRIM_400000_NS6detail17trampoline_kernelINS0_14default_configENS1_27scan_by_key_config_selectorIsiEEZZNS1_16scan_by_key_implILNS1_25lookback_scan_determinismE0ELb1ES3_N6thrust23THRUST_200600_302600_NS6detail15normal_iteratorINS9_10device_ptrIsEEEESE_SE_iNS9_4plusIvEENS9_8equal_toIvEEiEE10hipError_tPvRmT2_T3_T4_T5_mT6_T7_P12ihipStream_tbENKUlT_T0_E_clISt17integral_constantIbLb1EESY_IbLb0EEEEDaSU_SV_EUlSU_E_NS1_11comp_targetILNS1_3genE10ELNS1_11target_archE1201ELNS1_3gpuE5ELNS1_3repE0EEENS1_30default_config_static_selectorELNS0_4arch9wavefront6targetE1EEEvT1_.kd
    .uniform_work_group_size: 1
    .uses_dynamic_stack: false
    .vgpr_count:     0
    .vgpr_spill_count: 0
    .wavefront_size: 64
  - .agpr_count:     0
    .args:
      - .offset:         0
        .size:           112
        .value_kind:     by_value
    .group_segment_fixed_size: 0
    .kernarg_segment_align: 8
    .kernarg_segment_size: 112
    .language:       OpenCL C
    .language_version:
      - 2
      - 0
    .max_flat_workgroup_size: 256
    .name:           _ZN7rocprim17ROCPRIM_400000_NS6detail17trampoline_kernelINS0_14default_configENS1_27scan_by_key_config_selectorIsiEEZZNS1_16scan_by_key_implILNS1_25lookback_scan_determinismE0ELb1ES3_N6thrust23THRUST_200600_302600_NS6detail15normal_iteratorINS9_10device_ptrIsEEEESE_SE_iNS9_4plusIvEENS9_8equal_toIvEEiEE10hipError_tPvRmT2_T3_T4_T5_mT6_T7_P12ihipStream_tbENKUlT_T0_E_clISt17integral_constantIbLb1EESY_IbLb0EEEEDaSU_SV_EUlSU_E_NS1_11comp_targetILNS1_3genE5ELNS1_11target_archE942ELNS1_3gpuE9ELNS1_3repE0EEENS1_30default_config_static_selectorELNS0_4arch9wavefront6targetE1EEEvT1_
    .private_segment_fixed_size: 0
    .sgpr_count:     4
    .sgpr_spill_count: 0
    .symbol:         _ZN7rocprim17ROCPRIM_400000_NS6detail17trampoline_kernelINS0_14default_configENS1_27scan_by_key_config_selectorIsiEEZZNS1_16scan_by_key_implILNS1_25lookback_scan_determinismE0ELb1ES3_N6thrust23THRUST_200600_302600_NS6detail15normal_iteratorINS9_10device_ptrIsEEEESE_SE_iNS9_4plusIvEENS9_8equal_toIvEEiEE10hipError_tPvRmT2_T3_T4_T5_mT6_T7_P12ihipStream_tbENKUlT_T0_E_clISt17integral_constantIbLb1EESY_IbLb0EEEEDaSU_SV_EUlSU_E_NS1_11comp_targetILNS1_3genE5ELNS1_11target_archE942ELNS1_3gpuE9ELNS1_3repE0EEENS1_30default_config_static_selectorELNS0_4arch9wavefront6targetE1EEEvT1_.kd
    .uniform_work_group_size: 1
    .uses_dynamic_stack: false
    .vgpr_count:     0
    .vgpr_spill_count: 0
    .wavefront_size: 64
  - .agpr_count:     0
    .args:
      - .offset:         0
        .size:           112
        .value_kind:     by_value
    .group_segment_fixed_size: 9216
    .kernarg_segment_align: 8
    .kernarg_segment_size: 112
    .language:       OpenCL C
    .language_version:
      - 2
      - 0
    .max_flat_workgroup_size: 256
    .name:           _ZN7rocprim17ROCPRIM_400000_NS6detail17trampoline_kernelINS0_14default_configENS1_27scan_by_key_config_selectorIsiEEZZNS1_16scan_by_key_implILNS1_25lookback_scan_determinismE0ELb1ES3_N6thrust23THRUST_200600_302600_NS6detail15normal_iteratorINS9_10device_ptrIsEEEESE_SE_iNS9_4plusIvEENS9_8equal_toIvEEiEE10hipError_tPvRmT2_T3_T4_T5_mT6_T7_P12ihipStream_tbENKUlT_T0_E_clISt17integral_constantIbLb1EESY_IbLb0EEEEDaSU_SV_EUlSU_E_NS1_11comp_targetILNS1_3genE4ELNS1_11target_archE910ELNS1_3gpuE8ELNS1_3repE0EEENS1_30default_config_static_selectorELNS0_4arch9wavefront6targetE1EEEvT1_
    .private_segment_fixed_size: 0
    .sgpr_count:     54
    .sgpr_spill_count: 0
    .symbol:         _ZN7rocprim17ROCPRIM_400000_NS6detail17trampoline_kernelINS0_14default_configENS1_27scan_by_key_config_selectorIsiEEZZNS1_16scan_by_key_implILNS1_25lookback_scan_determinismE0ELb1ES3_N6thrust23THRUST_200600_302600_NS6detail15normal_iteratorINS9_10device_ptrIsEEEESE_SE_iNS9_4plusIvEENS9_8equal_toIvEEiEE10hipError_tPvRmT2_T3_T4_T5_mT6_T7_P12ihipStream_tbENKUlT_T0_E_clISt17integral_constantIbLb1EESY_IbLb0EEEEDaSU_SV_EUlSU_E_NS1_11comp_targetILNS1_3genE4ELNS1_11target_archE910ELNS1_3gpuE8ELNS1_3repE0EEENS1_30default_config_static_selectorELNS0_4arch9wavefront6targetE1EEEvT1_.kd
    .uniform_work_group_size: 1
    .uses_dynamic_stack: false
    .vgpr_count:     52
    .vgpr_spill_count: 0
    .wavefront_size: 64
  - .agpr_count:     0
    .args:
      - .offset:         0
        .size:           112
        .value_kind:     by_value
    .group_segment_fixed_size: 0
    .kernarg_segment_align: 8
    .kernarg_segment_size: 112
    .language:       OpenCL C
    .language_version:
      - 2
      - 0
    .max_flat_workgroup_size: 256
    .name:           _ZN7rocprim17ROCPRIM_400000_NS6detail17trampoline_kernelINS0_14default_configENS1_27scan_by_key_config_selectorIsiEEZZNS1_16scan_by_key_implILNS1_25lookback_scan_determinismE0ELb1ES3_N6thrust23THRUST_200600_302600_NS6detail15normal_iteratorINS9_10device_ptrIsEEEESE_SE_iNS9_4plusIvEENS9_8equal_toIvEEiEE10hipError_tPvRmT2_T3_T4_T5_mT6_T7_P12ihipStream_tbENKUlT_T0_E_clISt17integral_constantIbLb1EESY_IbLb0EEEEDaSU_SV_EUlSU_E_NS1_11comp_targetILNS1_3genE3ELNS1_11target_archE908ELNS1_3gpuE7ELNS1_3repE0EEENS1_30default_config_static_selectorELNS0_4arch9wavefront6targetE1EEEvT1_
    .private_segment_fixed_size: 0
    .sgpr_count:     4
    .sgpr_spill_count: 0
    .symbol:         _ZN7rocprim17ROCPRIM_400000_NS6detail17trampoline_kernelINS0_14default_configENS1_27scan_by_key_config_selectorIsiEEZZNS1_16scan_by_key_implILNS1_25lookback_scan_determinismE0ELb1ES3_N6thrust23THRUST_200600_302600_NS6detail15normal_iteratorINS9_10device_ptrIsEEEESE_SE_iNS9_4plusIvEENS9_8equal_toIvEEiEE10hipError_tPvRmT2_T3_T4_T5_mT6_T7_P12ihipStream_tbENKUlT_T0_E_clISt17integral_constantIbLb1EESY_IbLb0EEEEDaSU_SV_EUlSU_E_NS1_11comp_targetILNS1_3genE3ELNS1_11target_archE908ELNS1_3gpuE7ELNS1_3repE0EEENS1_30default_config_static_selectorELNS0_4arch9wavefront6targetE1EEEvT1_.kd
    .uniform_work_group_size: 1
    .uses_dynamic_stack: false
    .vgpr_count:     0
    .vgpr_spill_count: 0
    .wavefront_size: 64
  - .agpr_count:     0
    .args:
      - .offset:         0
        .size:           112
        .value_kind:     by_value
    .group_segment_fixed_size: 0
    .kernarg_segment_align: 8
    .kernarg_segment_size: 112
    .language:       OpenCL C
    .language_version:
      - 2
      - 0
    .max_flat_workgroup_size: 256
    .name:           _ZN7rocprim17ROCPRIM_400000_NS6detail17trampoline_kernelINS0_14default_configENS1_27scan_by_key_config_selectorIsiEEZZNS1_16scan_by_key_implILNS1_25lookback_scan_determinismE0ELb1ES3_N6thrust23THRUST_200600_302600_NS6detail15normal_iteratorINS9_10device_ptrIsEEEESE_SE_iNS9_4plusIvEENS9_8equal_toIvEEiEE10hipError_tPvRmT2_T3_T4_T5_mT6_T7_P12ihipStream_tbENKUlT_T0_E_clISt17integral_constantIbLb1EESY_IbLb0EEEEDaSU_SV_EUlSU_E_NS1_11comp_targetILNS1_3genE2ELNS1_11target_archE906ELNS1_3gpuE6ELNS1_3repE0EEENS1_30default_config_static_selectorELNS0_4arch9wavefront6targetE1EEEvT1_
    .private_segment_fixed_size: 0
    .sgpr_count:     4
    .sgpr_spill_count: 0
    .symbol:         _ZN7rocprim17ROCPRIM_400000_NS6detail17trampoline_kernelINS0_14default_configENS1_27scan_by_key_config_selectorIsiEEZZNS1_16scan_by_key_implILNS1_25lookback_scan_determinismE0ELb1ES3_N6thrust23THRUST_200600_302600_NS6detail15normal_iteratorINS9_10device_ptrIsEEEESE_SE_iNS9_4plusIvEENS9_8equal_toIvEEiEE10hipError_tPvRmT2_T3_T4_T5_mT6_T7_P12ihipStream_tbENKUlT_T0_E_clISt17integral_constantIbLb1EESY_IbLb0EEEEDaSU_SV_EUlSU_E_NS1_11comp_targetILNS1_3genE2ELNS1_11target_archE906ELNS1_3gpuE6ELNS1_3repE0EEENS1_30default_config_static_selectorELNS0_4arch9wavefront6targetE1EEEvT1_.kd
    .uniform_work_group_size: 1
    .uses_dynamic_stack: false
    .vgpr_count:     0
    .vgpr_spill_count: 0
    .wavefront_size: 64
  - .agpr_count:     0
    .args:
      - .offset:         0
        .size:           112
        .value_kind:     by_value
    .group_segment_fixed_size: 0
    .kernarg_segment_align: 8
    .kernarg_segment_size: 112
    .language:       OpenCL C
    .language_version:
      - 2
      - 0
    .max_flat_workgroup_size: 256
    .name:           _ZN7rocprim17ROCPRIM_400000_NS6detail17trampoline_kernelINS0_14default_configENS1_27scan_by_key_config_selectorIsiEEZZNS1_16scan_by_key_implILNS1_25lookback_scan_determinismE0ELb1ES3_N6thrust23THRUST_200600_302600_NS6detail15normal_iteratorINS9_10device_ptrIsEEEESE_SE_iNS9_4plusIvEENS9_8equal_toIvEEiEE10hipError_tPvRmT2_T3_T4_T5_mT6_T7_P12ihipStream_tbENKUlT_T0_E_clISt17integral_constantIbLb1EESY_IbLb0EEEEDaSU_SV_EUlSU_E_NS1_11comp_targetILNS1_3genE10ELNS1_11target_archE1200ELNS1_3gpuE4ELNS1_3repE0EEENS1_30default_config_static_selectorELNS0_4arch9wavefront6targetE1EEEvT1_
    .private_segment_fixed_size: 0
    .sgpr_count:     4
    .sgpr_spill_count: 0
    .symbol:         _ZN7rocprim17ROCPRIM_400000_NS6detail17trampoline_kernelINS0_14default_configENS1_27scan_by_key_config_selectorIsiEEZZNS1_16scan_by_key_implILNS1_25lookback_scan_determinismE0ELb1ES3_N6thrust23THRUST_200600_302600_NS6detail15normal_iteratorINS9_10device_ptrIsEEEESE_SE_iNS9_4plusIvEENS9_8equal_toIvEEiEE10hipError_tPvRmT2_T3_T4_T5_mT6_T7_P12ihipStream_tbENKUlT_T0_E_clISt17integral_constantIbLb1EESY_IbLb0EEEEDaSU_SV_EUlSU_E_NS1_11comp_targetILNS1_3genE10ELNS1_11target_archE1200ELNS1_3gpuE4ELNS1_3repE0EEENS1_30default_config_static_selectorELNS0_4arch9wavefront6targetE1EEEvT1_.kd
    .uniform_work_group_size: 1
    .uses_dynamic_stack: false
    .vgpr_count:     0
    .vgpr_spill_count: 0
    .wavefront_size: 64
  - .agpr_count:     0
    .args:
      - .offset:         0
        .size:           112
        .value_kind:     by_value
    .group_segment_fixed_size: 0
    .kernarg_segment_align: 8
    .kernarg_segment_size: 112
    .language:       OpenCL C
    .language_version:
      - 2
      - 0
    .max_flat_workgroup_size: 256
    .name:           _ZN7rocprim17ROCPRIM_400000_NS6detail17trampoline_kernelINS0_14default_configENS1_27scan_by_key_config_selectorIsiEEZZNS1_16scan_by_key_implILNS1_25lookback_scan_determinismE0ELb1ES3_N6thrust23THRUST_200600_302600_NS6detail15normal_iteratorINS9_10device_ptrIsEEEESE_SE_iNS9_4plusIvEENS9_8equal_toIvEEiEE10hipError_tPvRmT2_T3_T4_T5_mT6_T7_P12ihipStream_tbENKUlT_T0_E_clISt17integral_constantIbLb1EESY_IbLb0EEEEDaSU_SV_EUlSU_E_NS1_11comp_targetILNS1_3genE9ELNS1_11target_archE1100ELNS1_3gpuE3ELNS1_3repE0EEENS1_30default_config_static_selectorELNS0_4arch9wavefront6targetE1EEEvT1_
    .private_segment_fixed_size: 0
    .sgpr_count:     4
    .sgpr_spill_count: 0
    .symbol:         _ZN7rocprim17ROCPRIM_400000_NS6detail17trampoline_kernelINS0_14default_configENS1_27scan_by_key_config_selectorIsiEEZZNS1_16scan_by_key_implILNS1_25lookback_scan_determinismE0ELb1ES3_N6thrust23THRUST_200600_302600_NS6detail15normal_iteratorINS9_10device_ptrIsEEEESE_SE_iNS9_4plusIvEENS9_8equal_toIvEEiEE10hipError_tPvRmT2_T3_T4_T5_mT6_T7_P12ihipStream_tbENKUlT_T0_E_clISt17integral_constantIbLb1EESY_IbLb0EEEEDaSU_SV_EUlSU_E_NS1_11comp_targetILNS1_3genE9ELNS1_11target_archE1100ELNS1_3gpuE3ELNS1_3repE0EEENS1_30default_config_static_selectorELNS0_4arch9wavefront6targetE1EEEvT1_.kd
    .uniform_work_group_size: 1
    .uses_dynamic_stack: false
    .vgpr_count:     0
    .vgpr_spill_count: 0
    .wavefront_size: 64
  - .agpr_count:     0
    .args:
      - .offset:         0
        .size:           112
        .value_kind:     by_value
    .group_segment_fixed_size: 0
    .kernarg_segment_align: 8
    .kernarg_segment_size: 112
    .language:       OpenCL C
    .language_version:
      - 2
      - 0
    .max_flat_workgroup_size: 64
    .name:           _ZN7rocprim17ROCPRIM_400000_NS6detail17trampoline_kernelINS0_14default_configENS1_27scan_by_key_config_selectorIsiEEZZNS1_16scan_by_key_implILNS1_25lookback_scan_determinismE0ELb1ES3_N6thrust23THRUST_200600_302600_NS6detail15normal_iteratorINS9_10device_ptrIsEEEESE_SE_iNS9_4plusIvEENS9_8equal_toIvEEiEE10hipError_tPvRmT2_T3_T4_T5_mT6_T7_P12ihipStream_tbENKUlT_T0_E_clISt17integral_constantIbLb1EESY_IbLb0EEEEDaSU_SV_EUlSU_E_NS1_11comp_targetILNS1_3genE8ELNS1_11target_archE1030ELNS1_3gpuE2ELNS1_3repE0EEENS1_30default_config_static_selectorELNS0_4arch9wavefront6targetE1EEEvT1_
    .private_segment_fixed_size: 0
    .sgpr_count:     4
    .sgpr_spill_count: 0
    .symbol:         _ZN7rocprim17ROCPRIM_400000_NS6detail17trampoline_kernelINS0_14default_configENS1_27scan_by_key_config_selectorIsiEEZZNS1_16scan_by_key_implILNS1_25lookback_scan_determinismE0ELb1ES3_N6thrust23THRUST_200600_302600_NS6detail15normal_iteratorINS9_10device_ptrIsEEEESE_SE_iNS9_4plusIvEENS9_8equal_toIvEEiEE10hipError_tPvRmT2_T3_T4_T5_mT6_T7_P12ihipStream_tbENKUlT_T0_E_clISt17integral_constantIbLb1EESY_IbLb0EEEEDaSU_SV_EUlSU_E_NS1_11comp_targetILNS1_3genE8ELNS1_11target_archE1030ELNS1_3gpuE2ELNS1_3repE0EEENS1_30default_config_static_selectorELNS0_4arch9wavefront6targetE1EEEvT1_.kd
    .uniform_work_group_size: 1
    .uses_dynamic_stack: false
    .vgpr_count:     0
    .vgpr_spill_count: 0
    .wavefront_size: 64
  - .agpr_count:     0
    .args:
      - .address_space:  global
        .offset:         0
        .size:           8
        .value_kind:     global_buffer
      - .offset:         8
        .size:           4
        .value_kind:     by_value
      - .offset:         12
        .size:           4
        .value_kind:     by_value
      - .address_space:  global
        .offset:         16
        .size:           8
        .value_kind:     global_buffer
      - .address_space:  global
        .offset:         24
        .size:           8
        .value_kind:     global_buffer
      - .actual_access:  write_only
        .address_space:  global
        .offset:         32
        .size:           8
        .value_kind:     global_buffer
      - .offset:         40
        .size:           8
        .value_kind:     by_value
      - .offset:         48
        .size:           4
        .value_kind:     by_value
      - .address_space:  global
        .offset:         56
        .size:           8
        .value_kind:     global_buffer
      - .offset:         64
        .size:           4
        .value_kind:     hidden_block_count_x
      - .offset:         68
        .size:           4
        .value_kind:     hidden_block_count_y
      - .offset:         72
        .size:           4
        .value_kind:     hidden_block_count_z
      - .offset:         76
        .size:           2
        .value_kind:     hidden_group_size_x
      - .offset:         78
        .size:           2
        .value_kind:     hidden_group_size_y
      - .offset:         80
        .size:           2
        .value_kind:     hidden_group_size_z
      - .offset:         82
        .size:           2
        .value_kind:     hidden_remainder_x
      - .offset:         84
        .size:           2
        .value_kind:     hidden_remainder_y
      - .offset:         86
        .size:           2
        .value_kind:     hidden_remainder_z
      - .offset:         104
        .size:           8
        .value_kind:     hidden_global_offset_x
      - .offset:         112
        .size:           8
        .value_kind:     hidden_global_offset_y
      - .offset:         120
        .size:           8
        .value_kind:     hidden_global_offset_z
      - .offset:         128
        .size:           2
        .value_kind:     hidden_grid_dims
    .group_segment_fixed_size: 0
    .kernarg_segment_align: 8
    .kernarg_segment_size: 320
    .language:       OpenCL C
    .language_version:
      - 2
      - 0
    .max_flat_workgroup_size: 256
    .name:           _ZN7rocprim17ROCPRIM_400000_NS6detail30init_device_scan_by_key_kernelINS1_19lookback_scan_stateINS0_5tupleIJibEEELb0ELb1EEEN6thrust23THRUST_200600_302600_NS6detail15normal_iteratorINS8_10device_ptrIsEEEEjNS1_16block_id_wrapperIjLb1EEEEEvT_jjPNSG_10value_typeET0_PNSt15iterator_traitsISJ_E10value_typeEmT1_T2_
    .private_segment_fixed_size: 0
    .sgpr_count:     24
    .sgpr_spill_count: 0
    .symbol:         _ZN7rocprim17ROCPRIM_400000_NS6detail30init_device_scan_by_key_kernelINS1_19lookback_scan_stateINS0_5tupleIJibEEELb0ELb1EEEN6thrust23THRUST_200600_302600_NS6detail15normal_iteratorINS8_10device_ptrIsEEEEjNS1_16block_id_wrapperIjLb1EEEEEvT_jjPNSG_10value_typeET0_PNSt15iterator_traitsISJ_E10value_typeEmT1_T2_.kd
    .uniform_work_group_size: 1
    .uses_dynamic_stack: false
    .vgpr_count:     10
    .vgpr_spill_count: 0
    .wavefront_size: 64
  - .agpr_count:     0
    .args:
      - .offset:         0
        .size:           112
        .value_kind:     by_value
    .group_segment_fixed_size: 0
    .kernarg_segment_align: 8
    .kernarg_segment_size: 112
    .language:       OpenCL C
    .language_version:
      - 2
      - 0
    .max_flat_workgroup_size: 256
    .name:           _ZN7rocprim17ROCPRIM_400000_NS6detail17trampoline_kernelINS0_14default_configENS1_27scan_by_key_config_selectorIsiEEZZNS1_16scan_by_key_implILNS1_25lookback_scan_determinismE0ELb1ES3_N6thrust23THRUST_200600_302600_NS6detail15normal_iteratorINS9_10device_ptrIsEEEESE_SE_iNS9_4plusIvEENS9_8equal_toIvEEiEE10hipError_tPvRmT2_T3_T4_T5_mT6_T7_P12ihipStream_tbENKUlT_T0_E_clISt17integral_constantIbLb0EESY_IbLb1EEEEDaSU_SV_EUlSU_E_NS1_11comp_targetILNS1_3genE0ELNS1_11target_archE4294967295ELNS1_3gpuE0ELNS1_3repE0EEENS1_30default_config_static_selectorELNS0_4arch9wavefront6targetE1EEEvT1_
    .private_segment_fixed_size: 0
    .sgpr_count:     4
    .sgpr_spill_count: 0
    .symbol:         _ZN7rocprim17ROCPRIM_400000_NS6detail17trampoline_kernelINS0_14default_configENS1_27scan_by_key_config_selectorIsiEEZZNS1_16scan_by_key_implILNS1_25lookback_scan_determinismE0ELb1ES3_N6thrust23THRUST_200600_302600_NS6detail15normal_iteratorINS9_10device_ptrIsEEEESE_SE_iNS9_4plusIvEENS9_8equal_toIvEEiEE10hipError_tPvRmT2_T3_T4_T5_mT6_T7_P12ihipStream_tbENKUlT_T0_E_clISt17integral_constantIbLb0EESY_IbLb1EEEEDaSU_SV_EUlSU_E_NS1_11comp_targetILNS1_3genE0ELNS1_11target_archE4294967295ELNS1_3gpuE0ELNS1_3repE0EEENS1_30default_config_static_selectorELNS0_4arch9wavefront6targetE1EEEvT1_.kd
    .uniform_work_group_size: 1
    .uses_dynamic_stack: false
    .vgpr_count:     0
    .vgpr_spill_count: 0
    .wavefront_size: 64
  - .agpr_count:     0
    .args:
      - .offset:         0
        .size:           112
        .value_kind:     by_value
    .group_segment_fixed_size: 0
    .kernarg_segment_align: 8
    .kernarg_segment_size: 112
    .language:       OpenCL C
    .language_version:
      - 2
      - 0
    .max_flat_workgroup_size: 256
    .name:           _ZN7rocprim17ROCPRIM_400000_NS6detail17trampoline_kernelINS0_14default_configENS1_27scan_by_key_config_selectorIsiEEZZNS1_16scan_by_key_implILNS1_25lookback_scan_determinismE0ELb1ES3_N6thrust23THRUST_200600_302600_NS6detail15normal_iteratorINS9_10device_ptrIsEEEESE_SE_iNS9_4plusIvEENS9_8equal_toIvEEiEE10hipError_tPvRmT2_T3_T4_T5_mT6_T7_P12ihipStream_tbENKUlT_T0_E_clISt17integral_constantIbLb0EESY_IbLb1EEEEDaSU_SV_EUlSU_E_NS1_11comp_targetILNS1_3genE10ELNS1_11target_archE1201ELNS1_3gpuE5ELNS1_3repE0EEENS1_30default_config_static_selectorELNS0_4arch9wavefront6targetE1EEEvT1_
    .private_segment_fixed_size: 0
    .sgpr_count:     4
    .sgpr_spill_count: 0
    .symbol:         _ZN7rocprim17ROCPRIM_400000_NS6detail17trampoline_kernelINS0_14default_configENS1_27scan_by_key_config_selectorIsiEEZZNS1_16scan_by_key_implILNS1_25lookback_scan_determinismE0ELb1ES3_N6thrust23THRUST_200600_302600_NS6detail15normal_iteratorINS9_10device_ptrIsEEEESE_SE_iNS9_4plusIvEENS9_8equal_toIvEEiEE10hipError_tPvRmT2_T3_T4_T5_mT6_T7_P12ihipStream_tbENKUlT_T0_E_clISt17integral_constantIbLb0EESY_IbLb1EEEEDaSU_SV_EUlSU_E_NS1_11comp_targetILNS1_3genE10ELNS1_11target_archE1201ELNS1_3gpuE5ELNS1_3repE0EEENS1_30default_config_static_selectorELNS0_4arch9wavefront6targetE1EEEvT1_.kd
    .uniform_work_group_size: 1
    .uses_dynamic_stack: false
    .vgpr_count:     0
    .vgpr_spill_count: 0
    .wavefront_size: 64
  - .agpr_count:     0
    .args:
      - .offset:         0
        .size:           112
        .value_kind:     by_value
    .group_segment_fixed_size: 0
    .kernarg_segment_align: 8
    .kernarg_segment_size: 112
    .language:       OpenCL C
    .language_version:
      - 2
      - 0
    .max_flat_workgroup_size: 256
    .name:           _ZN7rocprim17ROCPRIM_400000_NS6detail17trampoline_kernelINS0_14default_configENS1_27scan_by_key_config_selectorIsiEEZZNS1_16scan_by_key_implILNS1_25lookback_scan_determinismE0ELb1ES3_N6thrust23THRUST_200600_302600_NS6detail15normal_iteratorINS9_10device_ptrIsEEEESE_SE_iNS9_4plusIvEENS9_8equal_toIvEEiEE10hipError_tPvRmT2_T3_T4_T5_mT6_T7_P12ihipStream_tbENKUlT_T0_E_clISt17integral_constantIbLb0EESY_IbLb1EEEEDaSU_SV_EUlSU_E_NS1_11comp_targetILNS1_3genE5ELNS1_11target_archE942ELNS1_3gpuE9ELNS1_3repE0EEENS1_30default_config_static_selectorELNS0_4arch9wavefront6targetE1EEEvT1_
    .private_segment_fixed_size: 0
    .sgpr_count:     4
    .sgpr_spill_count: 0
    .symbol:         _ZN7rocprim17ROCPRIM_400000_NS6detail17trampoline_kernelINS0_14default_configENS1_27scan_by_key_config_selectorIsiEEZZNS1_16scan_by_key_implILNS1_25lookback_scan_determinismE0ELb1ES3_N6thrust23THRUST_200600_302600_NS6detail15normal_iteratorINS9_10device_ptrIsEEEESE_SE_iNS9_4plusIvEENS9_8equal_toIvEEiEE10hipError_tPvRmT2_T3_T4_T5_mT6_T7_P12ihipStream_tbENKUlT_T0_E_clISt17integral_constantIbLb0EESY_IbLb1EEEEDaSU_SV_EUlSU_E_NS1_11comp_targetILNS1_3genE5ELNS1_11target_archE942ELNS1_3gpuE9ELNS1_3repE0EEENS1_30default_config_static_selectorELNS0_4arch9wavefront6targetE1EEEvT1_.kd
    .uniform_work_group_size: 1
    .uses_dynamic_stack: false
    .vgpr_count:     0
    .vgpr_spill_count: 0
    .wavefront_size: 64
  - .agpr_count:     0
    .args:
      - .offset:         0
        .size:           112
        .value_kind:     by_value
    .group_segment_fixed_size: 9216
    .kernarg_segment_align: 8
    .kernarg_segment_size: 112
    .language:       OpenCL C
    .language_version:
      - 2
      - 0
    .max_flat_workgroup_size: 256
    .name:           _ZN7rocprim17ROCPRIM_400000_NS6detail17trampoline_kernelINS0_14default_configENS1_27scan_by_key_config_selectorIsiEEZZNS1_16scan_by_key_implILNS1_25lookback_scan_determinismE0ELb1ES3_N6thrust23THRUST_200600_302600_NS6detail15normal_iteratorINS9_10device_ptrIsEEEESE_SE_iNS9_4plusIvEENS9_8equal_toIvEEiEE10hipError_tPvRmT2_T3_T4_T5_mT6_T7_P12ihipStream_tbENKUlT_T0_E_clISt17integral_constantIbLb0EESY_IbLb1EEEEDaSU_SV_EUlSU_E_NS1_11comp_targetILNS1_3genE4ELNS1_11target_archE910ELNS1_3gpuE8ELNS1_3repE0EEENS1_30default_config_static_selectorELNS0_4arch9wavefront6targetE1EEEvT1_
    .private_segment_fixed_size: 0
    .sgpr_count:     54
    .sgpr_spill_count: 0
    .symbol:         _ZN7rocprim17ROCPRIM_400000_NS6detail17trampoline_kernelINS0_14default_configENS1_27scan_by_key_config_selectorIsiEEZZNS1_16scan_by_key_implILNS1_25lookback_scan_determinismE0ELb1ES3_N6thrust23THRUST_200600_302600_NS6detail15normal_iteratorINS9_10device_ptrIsEEEESE_SE_iNS9_4plusIvEENS9_8equal_toIvEEiEE10hipError_tPvRmT2_T3_T4_T5_mT6_T7_P12ihipStream_tbENKUlT_T0_E_clISt17integral_constantIbLb0EESY_IbLb1EEEEDaSU_SV_EUlSU_E_NS1_11comp_targetILNS1_3genE4ELNS1_11target_archE910ELNS1_3gpuE8ELNS1_3repE0EEENS1_30default_config_static_selectorELNS0_4arch9wavefront6targetE1EEEvT1_.kd
    .uniform_work_group_size: 1
    .uses_dynamic_stack: false
    .vgpr_count:     54
    .vgpr_spill_count: 0
    .wavefront_size: 64
  - .agpr_count:     0
    .args:
      - .offset:         0
        .size:           112
        .value_kind:     by_value
    .group_segment_fixed_size: 0
    .kernarg_segment_align: 8
    .kernarg_segment_size: 112
    .language:       OpenCL C
    .language_version:
      - 2
      - 0
    .max_flat_workgroup_size: 256
    .name:           _ZN7rocprim17ROCPRIM_400000_NS6detail17trampoline_kernelINS0_14default_configENS1_27scan_by_key_config_selectorIsiEEZZNS1_16scan_by_key_implILNS1_25lookback_scan_determinismE0ELb1ES3_N6thrust23THRUST_200600_302600_NS6detail15normal_iteratorINS9_10device_ptrIsEEEESE_SE_iNS9_4plusIvEENS9_8equal_toIvEEiEE10hipError_tPvRmT2_T3_T4_T5_mT6_T7_P12ihipStream_tbENKUlT_T0_E_clISt17integral_constantIbLb0EESY_IbLb1EEEEDaSU_SV_EUlSU_E_NS1_11comp_targetILNS1_3genE3ELNS1_11target_archE908ELNS1_3gpuE7ELNS1_3repE0EEENS1_30default_config_static_selectorELNS0_4arch9wavefront6targetE1EEEvT1_
    .private_segment_fixed_size: 0
    .sgpr_count:     4
    .sgpr_spill_count: 0
    .symbol:         _ZN7rocprim17ROCPRIM_400000_NS6detail17trampoline_kernelINS0_14default_configENS1_27scan_by_key_config_selectorIsiEEZZNS1_16scan_by_key_implILNS1_25lookback_scan_determinismE0ELb1ES3_N6thrust23THRUST_200600_302600_NS6detail15normal_iteratorINS9_10device_ptrIsEEEESE_SE_iNS9_4plusIvEENS9_8equal_toIvEEiEE10hipError_tPvRmT2_T3_T4_T5_mT6_T7_P12ihipStream_tbENKUlT_T0_E_clISt17integral_constantIbLb0EESY_IbLb1EEEEDaSU_SV_EUlSU_E_NS1_11comp_targetILNS1_3genE3ELNS1_11target_archE908ELNS1_3gpuE7ELNS1_3repE0EEENS1_30default_config_static_selectorELNS0_4arch9wavefront6targetE1EEEvT1_.kd
    .uniform_work_group_size: 1
    .uses_dynamic_stack: false
    .vgpr_count:     0
    .vgpr_spill_count: 0
    .wavefront_size: 64
  - .agpr_count:     0
    .args:
      - .offset:         0
        .size:           112
        .value_kind:     by_value
    .group_segment_fixed_size: 0
    .kernarg_segment_align: 8
    .kernarg_segment_size: 112
    .language:       OpenCL C
    .language_version:
      - 2
      - 0
    .max_flat_workgroup_size: 256
    .name:           _ZN7rocprim17ROCPRIM_400000_NS6detail17trampoline_kernelINS0_14default_configENS1_27scan_by_key_config_selectorIsiEEZZNS1_16scan_by_key_implILNS1_25lookback_scan_determinismE0ELb1ES3_N6thrust23THRUST_200600_302600_NS6detail15normal_iteratorINS9_10device_ptrIsEEEESE_SE_iNS9_4plusIvEENS9_8equal_toIvEEiEE10hipError_tPvRmT2_T3_T4_T5_mT6_T7_P12ihipStream_tbENKUlT_T0_E_clISt17integral_constantIbLb0EESY_IbLb1EEEEDaSU_SV_EUlSU_E_NS1_11comp_targetILNS1_3genE2ELNS1_11target_archE906ELNS1_3gpuE6ELNS1_3repE0EEENS1_30default_config_static_selectorELNS0_4arch9wavefront6targetE1EEEvT1_
    .private_segment_fixed_size: 0
    .sgpr_count:     4
    .sgpr_spill_count: 0
    .symbol:         _ZN7rocprim17ROCPRIM_400000_NS6detail17trampoline_kernelINS0_14default_configENS1_27scan_by_key_config_selectorIsiEEZZNS1_16scan_by_key_implILNS1_25lookback_scan_determinismE0ELb1ES3_N6thrust23THRUST_200600_302600_NS6detail15normal_iteratorINS9_10device_ptrIsEEEESE_SE_iNS9_4plusIvEENS9_8equal_toIvEEiEE10hipError_tPvRmT2_T3_T4_T5_mT6_T7_P12ihipStream_tbENKUlT_T0_E_clISt17integral_constantIbLb0EESY_IbLb1EEEEDaSU_SV_EUlSU_E_NS1_11comp_targetILNS1_3genE2ELNS1_11target_archE906ELNS1_3gpuE6ELNS1_3repE0EEENS1_30default_config_static_selectorELNS0_4arch9wavefront6targetE1EEEvT1_.kd
    .uniform_work_group_size: 1
    .uses_dynamic_stack: false
    .vgpr_count:     0
    .vgpr_spill_count: 0
    .wavefront_size: 64
  - .agpr_count:     0
    .args:
      - .offset:         0
        .size:           112
        .value_kind:     by_value
    .group_segment_fixed_size: 0
    .kernarg_segment_align: 8
    .kernarg_segment_size: 112
    .language:       OpenCL C
    .language_version:
      - 2
      - 0
    .max_flat_workgroup_size: 256
    .name:           _ZN7rocprim17ROCPRIM_400000_NS6detail17trampoline_kernelINS0_14default_configENS1_27scan_by_key_config_selectorIsiEEZZNS1_16scan_by_key_implILNS1_25lookback_scan_determinismE0ELb1ES3_N6thrust23THRUST_200600_302600_NS6detail15normal_iteratorINS9_10device_ptrIsEEEESE_SE_iNS9_4plusIvEENS9_8equal_toIvEEiEE10hipError_tPvRmT2_T3_T4_T5_mT6_T7_P12ihipStream_tbENKUlT_T0_E_clISt17integral_constantIbLb0EESY_IbLb1EEEEDaSU_SV_EUlSU_E_NS1_11comp_targetILNS1_3genE10ELNS1_11target_archE1200ELNS1_3gpuE4ELNS1_3repE0EEENS1_30default_config_static_selectorELNS0_4arch9wavefront6targetE1EEEvT1_
    .private_segment_fixed_size: 0
    .sgpr_count:     4
    .sgpr_spill_count: 0
    .symbol:         _ZN7rocprim17ROCPRIM_400000_NS6detail17trampoline_kernelINS0_14default_configENS1_27scan_by_key_config_selectorIsiEEZZNS1_16scan_by_key_implILNS1_25lookback_scan_determinismE0ELb1ES3_N6thrust23THRUST_200600_302600_NS6detail15normal_iteratorINS9_10device_ptrIsEEEESE_SE_iNS9_4plusIvEENS9_8equal_toIvEEiEE10hipError_tPvRmT2_T3_T4_T5_mT6_T7_P12ihipStream_tbENKUlT_T0_E_clISt17integral_constantIbLb0EESY_IbLb1EEEEDaSU_SV_EUlSU_E_NS1_11comp_targetILNS1_3genE10ELNS1_11target_archE1200ELNS1_3gpuE4ELNS1_3repE0EEENS1_30default_config_static_selectorELNS0_4arch9wavefront6targetE1EEEvT1_.kd
    .uniform_work_group_size: 1
    .uses_dynamic_stack: false
    .vgpr_count:     0
    .vgpr_spill_count: 0
    .wavefront_size: 64
  - .agpr_count:     0
    .args:
      - .offset:         0
        .size:           112
        .value_kind:     by_value
    .group_segment_fixed_size: 0
    .kernarg_segment_align: 8
    .kernarg_segment_size: 112
    .language:       OpenCL C
    .language_version:
      - 2
      - 0
    .max_flat_workgroup_size: 256
    .name:           _ZN7rocprim17ROCPRIM_400000_NS6detail17trampoline_kernelINS0_14default_configENS1_27scan_by_key_config_selectorIsiEEZZNS1_16scan_by_key_implILNS1_25lookback_scan_determinismE0ELb1ES3_N6thrust23THRUST_200600_302600_NS6detail15normal_iteratorINS9_10device_ptrIsEEEESE_SE_iNS9_4plusIvEENS9_8equal_toIvEEiEE10hipError_tPvRmT2_T3_T4_T5_mT6_T7_P12ihipStream_tbENKUlT_T0_E_clISt17integral_constantIbLb0EESY_IbLb1EEEEDaSU_SV_EUlSU_E_NS1_11comp_targetILNS1_3genE9ELNS1_11target_archE1100ELNS1_3gpuE3ELNS1_3repE0EEENS1_30default_config_static_selectorELNS0_4arch9wavefront6targetE1EEEvT1_
    .private_segment_fixed_size: 0
    .sgpr_count:     4
    .sgpr_spill_count: 0
    .symbol:         _ZN7rocprim17ROCPRIM_400000_NS6detail17trampoline_kernelINS0_14default_configENS1_27scan_by_key_config_selectorIsiEEZZNS1_16scan_by_key_implILNS1_25lookback_scan_determinismE0ELb1ES3_N6thrust23THRUST_200600_302600_NS6detail15normal_iteratorINS9_10device_ptrIsEEEESE_SE_iNS9_4plusIvEENS9_8equal_toIvEEiEE10hipError_tPvRmT2_T3_T4_T5_mT6_T7_P12ihipStream_tbENKUlT_T0_E_clISt17integral_constantIbLb0EESY_IbLb1EEEEDaSU_SV_EUlSU_E_NS1_11comp_targetILNS1_3genE9ELNS1_11target_archE1100ELNS1_3gpuE3ELNS1_3repE0EEENS1_30default_config_static_selectorELNS0_4arch9wavefront6targetE1EEEvT1_.kd
    .uniform_work_group_size: 1
    .uses_dynamic_stack: false
    .vgpr_count:     0
    .vgpr_spill_count: 0
    .wavefront_size: 64
  - .agpr_count:     0
    .args:
      - .offset:         0
        .size:           112
        .value_kind:     by_value
    .group_segment_fixed_size: 0
    .kernarg_segment_align: 8
    .kernarg_segment_size: 112
    .language:       OpenCL C
    .language_version:
      - 2
      - 0
    .max_flat_workgroup_size: 64
    .name:           _ZN7rocprim17ROCPRIM_400000_NS6detail17trampoline_kernelINS0_14default_configENS1_27scan_by_key_config_selectorIsiEEZZNS1_16scan_by_key_implILNS1_25lookback_scan_determinismE0ELb1ES3_N6thrust23THRUST_200600_302600_NS6detail15normal_iteratorINS9_10device_ptrIsEEEESE_SE_iNS9_4plusIvEENS9_8equal_toIvEEiEE10hipError_tPvRmT2_T3_T4_T5_mT6_T7_P12ihipStream_tbENKUlT_T0_E_clISt17integral_constantIbLb0EESY_IbLb1EEEEDaSU_SV_EUlSU_E_NS1_11comp_targetILNS1_3genE8ELNS1_11target_archE1030ELNS1_3gpuE2ELNS1_3repE0EEENS1_30default_config_static_selectorELNS0_4arch9wavefront6targetE1EEEvT1_
    .private_segment_fixed_size: 0
    .sgpr_count:     4
    .sgpr_spill_count: 0
    .symbol:         _ZN7rocprim17ROCPRIM_400000_NS6detail17trampoline_kernelINS0_14default_configENS1_27scan_by_key_config_selectorIsiEEZZNS1_16scan_by_key_implILNS1_25lookback_scan_determinismE0ELb1ES3_N6thrust23THRUST_200600_302600_NS6detail15normal_iteratorINS9_10device_ptrIsEEEESE_SE_iNS9_4plusIvEENS9_8equal_toIvEEiEE10hipError_tPvRmT2_T3_T4_T5_mT6_T7_P12ihipStream_tbENKUlT_T0_E_clISt17integral_constantIbLb0EESY_IbLb1EEEEDaSU_SV_EUlSU_E_NS1_11comp_targetILNS1_3genE8ELNS1_11target_archE1030ELNS1_3gpuE2ELNS1_3repE0EEENS1_30default_config_static_selectorELNS0_4arch9wavefront6targetE1EEEvT1_.kd
    .uniform_work_group_size: 1
    .uses_dynamic_stack: false
    .vgpr_count:     0
    .vgpr_spill_count: 0
    .wavefront_size: 64
  - .agpr_count:     0
    .args:
      - .offset:         0
        .size:           24
        .value_kind:     by_value
      - .offset:         24
        .size:           8
        .value_kind:     by_value
      - .offset:         32
        .size:           8
        .value_kind:     by_value
    .group_segment_fixed_size: 0
    .kernarg_segment_align: 8
    .kernarg_segment_size: 40
    .language:       OpenCL C
    .language_version:
      - 2
      - 0
    .max_flat_workgroup_size: 256
    .name:           _ZN6thrust23THRUST_200600_302600_NS11hip_rocprim14__parallel_for6kernelILj256ENS1_11__transform17unary_transform_fINS0_7pointerIiNS1_3tagENS0_11use_defaultES8_EENS0_10device_ptrIdEENS4_14no_stencil_tagENS0_8identityIiEENS4_21always_true_predicateEEElLj1EEEvT0_T1_SI_
    .private_segment_fixed_size: 0
    .sgpr_count:     16
    .sgpr_spill_count: 0
    .symbol:         _ZN6thrust23THRUST_200600_302600_NS11hip_rocprim14__parallel_for6kernelILj256ENS1_11__transform17unary_transform_fINS0_7pointerIiNS1_3tagENS0_11use_defaultES8_EENS0_10device_ptrIdEENS4_14no_stencil_tagENS0_8identityIiEENS4_21always_true_predicateEEElLj1EEEvT0_T1_SI_.kd
    .uniform_work_group_size: 1
    .uses_dynamic_stack: false
    .vgpr_count:     6
    .vgpr_spill_count: 0
    .wavefront_size: 64
  - .agpr_count:     0
    .args:
      - .offset:         0
        .size:           16
        .value_kind:     by_value
      - .offset:         16
        .size:           8
        .value_kind:     by_value
      - .offset:         24
        .size:           8
        .value_kind:     by_value
    .group_segment_fixed_size: 0
    .kernarg_segment_align: 8
    .kernarg_segment_size: 32
    .language:       OpenCL C
    .language_version:
      - 2
      - 0
    .max_flat_workgroup_size: 256
    .name:           _ZN6thrust23THRUST_200600_302600_NS11hip_rocprim14__parallel_for6kernelILj256ENS1_20__uninitialized_fill7functorINS0_10device_ptrIdEEdEEmLj1EEEvT0_T1_SA_
    .private_segment_fixed_size: 0
    .sgpr_count:     20
    .sgpr_spill_count: 0
    .symbol:         _ZN6thrust23THRUST_200600_302600_NS11hip_rocprim14__parallel_for6kernelILj256ENS1_20__uninitialized_fill7functorINS0_10device_ptrIdEEdEEmLj1EEEvT0_T1_SA_.kd
    .uniform_work_group_size: 1
    .uses_dynamic_stack: false
    .vgpr_count:     5
    .vgpr_spill_count: 0
    .wavefront_size: 64
  - .agpr_count:     0
    .args:
      - .offset:         0
        .size:           24
        .value_kind:     by_value
      - .offset:         24
        .size:           4
        .value_kind:     by_value
      - .offset:         28
        .size:           4
        .value_kind:     by_value
      - .address_space:  global
        .offset:         32
        .size:           8
        .value_kind:     global_buffer
      - .address_space:  global
        .offset:         40
        .size:           8
        .value_kind:     global_buffer
      - .actual_access:  write_only
        .address_space:  global
        .offset:         48
        .size:           8
        .value_kind:     global_buffer
      - .offset:         56
        .size:           8
        .value_kind:     by_value
      - .offset:         64
        .size:           4
        .value_kind:     by_value
      - .offset:         68
        .size:           1
        .value_kind:     by_value
      - .offset:         72
        .size:           4
        .value_kind:     hidden_block_count_x
      - .offset:         76
        .size:           4
        .value_kind:     hidden_block_count_y
      - .offset:         80
        .size:           4
        .value_kind:     hidden_block_count_z
      - .offset:         84
        .size:           2
        .value_kind:     hidden_group_size_x
      - .offset:         86
        .size:           2
        .value_kind:     hidden_group_size_y
      - .offset:         88
        .size:           2
        .value_kind:     hidden_group_size_z
      - .offset:         90
        .size:           2
        .value_kind:     hidden_remainder_x
      - .offset:         92
        .size:           2
        .value_kind:     hidden_remainder_y
      - .offset:         94
        .size:           2
        .value_kind:     hidden_remainder_z
      - .offset:         112
        .size:           8
        .value_kind:     hidden_global_offset_x
      - .offset:         120
        .size:           8
        .value_kind:     hidden_global_offset_y
      - .offset:         128
        .size:           8
        .value_kind:     hidden_global_offset_z
      - .offset:         136
        .size:           2
        .value_kind:     hidden_grid_dims
    .group_segment_fixed_size: 0
    .kernarg_segment_align: 8
    .kernarg_segment_size: 328
    .language:       OpenCL C
    .language_version:
      - 2
      - 0
    .max_flat_workgroup_size: 256
    .name:           _ZN7rocprim17ROCPRIM_400000_NS6detail30init_device_scan_by_key_kernelINS1_19lookback_scan_stateINS0_5tupleIJdbEEELb0ELb0EEEN6thrust23THRUST_200600_302600_NS6detail15normal_iteratorINS8_10device_ptrIiEEEEjNS1_16block_id_wrapperIjLb0EEEEEvT_jjPNSG_10value_typeET0_PNSt15iterator_traitsISJ_E10value_typeEmT1_T2_
    .private_segment_fixed_size: 0
    .sgpr_count:     26
    .sgpr_spill_count: 0
    .symbol:         _ZN7rocprim17ROCPRIM_400000_NS6detail30init_device_scan_by_key_kernelINS1_19lookback_scan_stateINS0_5tupleIJdbEEELb0ELb0EEEN6thrust23THRUST_200600_302600_NS6detail15normal_iteratorINS8_10device_ptrIiEEEEjNS1_16block_id_wrapperIjLb0EEEEEvT_jjPNSG_10value_typeET0_PNSt15iterator_traitsISJ_E10value_typeEmT1_T2_.kd
    .uniform_work_group_size: 1
    .uses_dynamic_stack: false
    .vgpr_count:     10
    .vgpr_spill_count: 0
    .wavefront_size: 64
  - .agpr_count:     0
    .args:
      - .offset:         0
        .size:           24
        .value_kind:     by_value
      - .offset:         24
        .size:           4
        .value_kind:     by_value
      - .offset:         28
        .size:           4
        .value_kind:     by_value
      - .address_space:  global
        .offset:         32
        .size:           8
        .value_kind:     global_buffer
      - .offset:         40
        .size:           1
        .value_kind:     by_value
      - .offset:         48
        .size:           4
        .value_kind:     hidden_block_count_x
      - .offset:         52
        .size:           4
        .value_kind:     hidden_block_count_y
      - .offset:         56
        .size:           4
        .value_kind:     hidden_block_count_z
      - .offset:         60
        .size:           2
        .value_kind:     hidden_group_size_x
      - .offset:         62
        .size:           2
        .value_kind:     hidden_group_size_y
      - .offset:         64
        .size:           2
        .value_kind:     hidden_group_size_z
      - .offset:         66
        .size:           2
        .value_kind:     hidden_remainder_x
      - .offset:         68
        .size:           2
        .value_kind:     hidden_remainder_y
      - .offset:         70
        .size:           2
        .value_kind:     hidden_remainder_z
      - .offset:         88
        .size:           8
        .value_kind:     hidden_global_offset_x
      - .offset:         96
        .size:           8
        .value_kind:     hidden_global_offset_y
      - .offset:         104
        .size:           8
        .value_kind:     hidden_global_offset_z
      - .offset:         112
        .size:           2
        .value_kind:     hidden_grid_dims
    .group_segment_fixed_size: 0
    .kernarg_segment_align: 8
    .kernarg_segment_size: 304
    .language:       OpenCL C
    .language_version:
      - 2
      - 0
    .max_flat_workgroup_size: 256
    .name:           _ZN7rocprim17ROCPRIM_400000_NS6detail30init_device_scan_by_key_kernelINS1_19lookback_scan_stateINS0_5tupleIJdbEEELb0ELb0EEENS1_16block_id_wrapperIjLb0EEEEEvT_jjPNS9_10value_typeET0_
    .private_segment_fixed_size: 0
    .sgpr_count:     20
    .sgpr_spill_count: 0
    .symbol:         _ZN7rocprim17ROCPRIM_400000_NS6detail30init_device_scan_by_key_kernelINS1_19lookback_scan_stateINS0_5tupleIJdbEEELb0ELb0EEENS1_16block_id_wrapperIjLb0EEEEEvT_jjPNS9_10value_typeET0_.kd
    .uniform_work_group_size: 1
    .uses_dynamic_stack: false
    .vgpr_count:     5
    .vgpr_spill_count: 0
    .wavefront_size: 64
  - .agpr_count:     0
    .args:
      - .offset:         0
        .size:           136
        .value_kind:     by_value
    .group_segment_fixed_size: 0
    .kernarg_segment_align: 8
    .kernarg_segment_size: 136
    .language:       OpenCL C
    .language_version:
      - 2
      - 0
    .max_flat_workgroup_size: 128
    .name:           _ZN7rocprim17ROCPRIM_400000_NS6detail17trampoline_kernelINS0_14default_configENS1_27scan_by_key_config_selectorIidEEZZNS1_16scan_by_key_implILNS1_25lookback_scan_determinismE0ELb0ES3_N6thrust23THRUST_200600_302600_NS6detail15normal_iteratorINS9_10device_ptrIiEEEENSB_INSC_IdEEEESG_dNS9_4plusIvEENS9_8equal_toIvEEdEE10hipError_tPvRmT2_T3_T4_T5_mT6_T7_P12ihipStream_tbENKUlT_T0_E_clISt17integral_constantIbLb0EES11_EEDaSW_SX_EUlSW_E_NS1_11comp_targetILNS1_3genE0ELNS1_11target_archE4294967295ELNS1_3gpuE0ELNS1_3repE0EEENS1_30default_config_static_selectorELNS0_4arch9wavefront6targetE1EEEvT1_
    .private_segment_fixed_size: 0
    .sgpr_count:     4
    .sgpr_spill_count: 0
    .symbol:         _ZN7rocprim17ROCPRIM_400000_NS6detail17trampoline_kernelINS0_14default_configENS1_27scan_by_key_config_selectorIidEEZZNS1_16scan_by_key_implILNS1_25lookback_scan_determinismE0ELb0ES3_N6thrust23THRUST_200600_302600_NS6detail15normal_iteratorINS9_10device_ptrIiEEEENSB_INSC_IdEEEESG_dNS9_4plusIvEENS9_8equal_toIvEEdEE10hipError_tPvRmT2_T3_T4_T5_mT6_T7_P12ihipStream_tbENKUlT_T0_E_clISt17integral_constantIbLb0EES11_EEDaSW_SX_EUlSW_E_NS1_11comp_targetILNS1_3genE0ELNS1_11target_archE4294967295ELNS1_3gpuE0ELNS1_3repE0EEENS1_30default_config_static_selectorELNS0_4arch9wavefront6targetE1EEEvT1_.kd
    .uniform_work_group_size: 1
    .uses_dynamic_stack: false
    .vgpr_count:     0
    .vgpr_spill_count: 0
    .wavefront_size: 64
  - .agpr_count:     0
    .args:
      - .offset:         0
        .size:           136
        .value_kind:     by_value
    .group_segment_fixed_size: 0
    .kernarg_segment_align: 8
    .kernarg_segment_size: 136
    .language:       OpenCL C
    .language_version:
      - 2
      - 0
    .max_flat_workgroup_size: 256
    .name:           _ZN7rocprim17ROCPRIM_400000_NS6detail17trampoline_kernelINS0_14default_configENS1_27scan_by_key_config_selectorIidEEZZNS1_16scan_by_key_implILNS1_25lookback_scan_determinismE0ELb0ES3_N6thrust23THRUST_200600_302600_NS6detail15normal_iteratorINS9_10device_ptrIiEEEENSB_INSC_IdEEEESG_dNS9_4plusIvEENS9_8equal_toIvEEdEE10hipError_tPvRmT2_T3_T4_T5_mT6_T7_P12ihipStream_tbENKUlT_T0_E_clISt17integral_constantIbLb0EES11_EEDaSW_SX_EUlSW_E_NS1_11comp_targetILNS1_3genE10ELNS1_11target_archE1201ELNS1_3gpuE5ELNS1_3repE0EEENS1_30default_config_static_selectorELNS0_4arch9wavefront6targetE1EEEvT1_
    .private_segment_fixed_size: 0
    .sgpr_count:     4
    .sgpr_spill_count: 0
    .symbol:         _ZN7rocprim17ROCPRIM_400000_NS6detail17trampoline_kernelINS0_14default_configENS1_27scan_by_key_config_selectorIidEEZZNS1_16scan_by_key_implILNS1_25lookback_scan_determinismE0ELb0ES3_N6thrust23THRUST_200600_302600_NS6detail15normal_iteratorINS9_10device_ptrIiEEEENSB_INSC_IdEEEESG_dNS9_4plusIvEENS9_8equal_toIvEEdEE10hipError_tPvRmT2_T3_T4_T5_mT6_T7_P12ihipStream_tbENKUlT_T0_E_clISt17integral_constantIbLb0EES11_EEDaSW_SX_EUlSW_E_NS1_11comp_targetILNS1_3genE10ELNS1_11target_archE1201ELNS1_3gpuE5ELNS1_3repE0EEENS1_30default_config_static_selectorELNS0_4arch9wavefront6targetE1EEEvT1_.kd
    .uniform_work_group_size: 1
    .uses_dynamic_stack: false
    .vgpr_count:     0
    .vgpr_spill_count: 0
    .wavefront_size: 64
  - .agpr_count:     0
    .args:
      - .offset:         0
        .size:           136
        .value_kind:     by_value
    .group_segment_fixed_size: 0
    .kernarg_segment_align: 8
    .kernarg_segment_size: 136
    .language:       OpenCL C
    .language_version:
      - 2
      - 0
    .max_flat_workgroup_size: 256
    .name:           _ZN7rocprim17ROCPRIM_400000_NS6detail17trampoline_kernelINS0_14default_configENS1_27scan_by_key_config_selectorIidEEZZNS1_16scan_by_key_implILNS1_25lookback_scan_determinismE0ELb0ES3_N6thrust23THRUST_200600_302600_NS6detail15normal_iteratorINS9_10device_ptrIiEEEENSB_INSC_IdEEEESG_dNS9_4plusIvEENS9_8equal_toIvEEdEE10hipError_tPvRmT2_T3_T4_T5_mT6_T7_P12ihipStream_tbENKUlT_T0_E_clISt17integral_constantIbLb0EES11_EEDaSW_SX_EUlSW_E_NS1_11comp_targetILNS1_3genE5ELNS1_11target_archE942ELNS1_3gpuE9ELNS1_3repE0EEENS1_30default_config_static_selectorELNS0_4arch9wavefront6targetE1EEEvT1_
    .private_segment_fixed_size: 0
    .sgpr_count:     4
    .sgpr_spill_count: 0
    .symbol:         _ZN7rocprim17ROCPRIM_400000_NS6detail17trampoline_kernelINS0_14default_configENS1_27scan_by_key_config_selectorIidEEZZNS1_16scan_by_key_implILNS1_25lookback_scan_determinismE0ELb0ES3_N6thrust23THRUST_200600_302600_NS6detail15normal_iteratorINS9_10device_ptrIiEEEENSB_INSC_IdEEEESG_dNS9_4plusIvEENS9_8equal_toIvEEdEE10hipError_tPvRmT2_T3_T4_T5_mT6_T7_P12ihipStream_tbENKUlT_T0_E_clISt17integral_constantIbLb0EES11_EEDaSW_SX_EUlSW_E_NS1_11comp_targetILNS1_3genE5ELNS1_11target_archE942ELNS1_3gpuE9ELNS1_3repE0EEENS1_30default_config_static_selectorELNS0_4arch9wavefront6targetE1EEEvT1_.kd
    .uniform_work_group_size: 1
    .uses_dynamic_stack: false
    .vgpr_count:     0
    .vgpr_spill_count: 0
    .wavefront_size: 64
  - .agpr_count:     0
    .args:
      - .offset:         0
        .size:           136
        .value_kind:     by_value
    .group_segment_fixed_size: 10752
    .kernarg_segment_align: 8
    .kernarg_segment_size: 136
    .language:       OpenCL C
    .language_version:
      - 2
      - 0
    .max_flat_workgroup_size: 64
    .name:           _ZN7rocprim17ROCPRIM_400000_NS6detail17trampoline_kernelINS0_14default_configENS1_27scan_by_key_config_selectorIidEEZZNS1_16scan_by_key_implILNS1_25lookback_scan_determinismE0ELb0ES3_N6thrust23THRUST_200600_302600_NS6detail15normal_iteratorINS9_10device_ptrIiEEEENSB_INSC_IdEEEESG_dNS9_4plusIvEENS9_8equal_toIvEEdEE10hipError_tPvRmT2_T3_T4_T5_mT6_T7_P12ihipStream_tbENKUlT_T0_E_clISt17integral_constantIbLb0EES11_EEDaSW_SX_EUlSW_E_NS1_11comp_targetILNS1_3genE4ELNS1_11target_archE910ELNS1_3gpuE8ELNS1_3repE0EEENS1_30default_config_static_selectorELNS0_4arch9wavefront6targetE1EEEvT1_
    .private_segment_fixed_size: 0
    .sgpr_count:     100
    .sgpr_spill_count: 12
    .symbol:         _ZN7rocprim17ROCPRIM_400000_NS6detail17trampoline_kernelINS0_14default_configENS1_27scan_by_key_config_selectorIidEEZZNS1_16scan_by_key_implILNS1_25lookback_scan_determinismE0ELb0ES3_N6thrust23THRUST_200600_302600_NS6detail15normal_iteratorINS9_10device_ptrIiEEEENSB_INSC_IdEEEESG_dNS9_4plusIvEENS9_8equal_toIvEEdEE10hipError_tPvRmT2_T3_T4_T5_mT6_T7_P12ihipStream_tbENKUlT_T0_E_clISt17integral_constantIbLb0EES11_EEDaSW_SX_EUlSW_E_NS1_11comp_targetILNS1_3genE4ELNS1_11target_archE910ELNS1_3gpuE8ELNS1_3repE0EEENS1_30default_config_static_selectorELNS0_4arch9wavefront6targetE1EEEvT1_.kd
    .uniform_work_group_size: 1
    .uses_dynamic_stack: false
    .vgpr_count:     136
    .vgpr_spill_count: 0
    .wavefront_size: 64
  - .agpr_count:     0
    .args:
      - .offset:         0
        .size:           136
        .value_kind:     by_value
    .group_segment_fixed_size: 0
    .kernarg_segment_align: 8
    .kernarg_segment_size: 136
    .language:       OpenCL C
    .language_version:
      - 2
      - 0
    .max_flat_workgroup_size: 128
    .name:           _ZN7rocprim17ROCPRIM_400000_NS6detail17trampoline_kernelINS0_14default_configENS1_27scan_by_key_config_selectorIidEEZZNS1_16scan_by_key_implILNS1_25lookback_scan_determinismE0ELb0ES3_N6thrust23THRUST_200600_302600_NS6detail15normal_iteratorINS9_10device_ptrIiEEEENSB_INSC_IdEEEESG_dNS9_4plusIvEENS9_8equal_toIvEEdEE10hipError_tPvRmT2_T3_T4_T5_mT6_T7_P12ihipStream_tbENKUlT_T0_E_clISt17integral_constantIbLb0EES11_EEDaSW_SX_EUlSW_E_NS1_11comp_targetILNS1_3genE3ELNS1_11target_archE908ELNS1_3gpuE7ELNS1_3repE0EEENS1_30default_config_static_selectorELNS0_4arch9wavefront6targetE1EEEvT1_
    .private_segment_fixed_size: 0
    .sgpr_count:     4
    .sgpr_spill_count: 0
    .symbol:         _ZN7rocprim17ROCPRIM_400000_NS6detail17trampoline_kernelINS0_14default_configENS1_27scan_by_key_config_selectorIidEEZZNS1_16scan_by_key_implILNS1_25lookback_scan_determinismE0ELb0ES3_N6thrust23THRUST_200600_302600_NS6detail15normal_iteratorINS9_10device_ptrIiEEEENSB_INSC_IdEEEESG_dNS9_4plusIvEENS9_8equal_toIvEEdEE10hipError_tPvRmT2_T3_T4_T5_mT6_T7_P12ihipStream_tbENKUlT_T0_E_clISt17integral_constantIbLb0EES11_EEDaSW_SX_EUlSW_E_NS1_11comp_targetILNS1_3genE3ELNS1_11target_archE908ELNS1_3gpuE7ELNS1_3repE0EEENS1_30default_config_static_selectorELNS0_4arch9wavefront6targetE1EEEvT1_.kd
    .uniform_work_group_size: 1
    .uses_dynamic_stack: false
    .vgpr_count:     0
    .vgpr_spill_count: 0
    .wavefront_size: 64
  - .agpr_count:     0
    .args:
      - .offset:         0
        .size:           136
        .value_kind:     by_value
    .group_segment_fixed_size: 0
    .kernarg_segment_align: 8
    .kernarg_segment_size: 136
    .language:       OpenCL C
    .language_version:
      - 2
      - 0
    .max_flat_workgroup_size: 64
    .name:           _ZN7rocprim17ROCPRIM_400000_NS6detail17trampoline_kernelINS0_14default_configENS1_27scan_by_key_config_selectorIidEEZZNS1_16scan_by_key_implILNS1_25lookback_scan_determinismE0ELb0ES3_N6thrust23THRUST_200600_302600_NS6detail15normal_iteratorINS9_10device_ptrIiEEEENSB_INSC_IdEEEESG_dNS9_4plusIvEENS9_8equal_toIvEEdEE10hipError_tPvRmT2_T3_T4_T5_mT6_T7_P12ihipStream_tbENKUlT_T0_E_clISt17integral_constantIbLb0EES11_EEDaSW_SX_EUlSW_E_NS1_11comp_targetILNS1_3genE2ELNS1_11target_archE906ELNS1_3gpuE6ELNS1_3repE0EEENS1_30default_config_static_selectorELNS0_4arch9wavefront6targetE1EEEvT1_
    .private_segment_fixed_size: 0
    .sgpr_count:     4
    .sgpr_spill_count: 0
    .symbol:         _ZN7rocprim17ROCPRIM_400000_NS6detail17trampoline_kernelINS0_14default_configENS1_27scan_by_key_config_selectorIidEEZZNS1_16scan_by_key_implILNS1_25lookback_scan_determinismE0ELb0ES3_N6thrust23THRUST_200600_302600_NS6detail15normal_iteratorINS9_10device_ptrIiEEEENSB_INSC_IdEEEESG_dNS9_4plusIvEENS9_8equal_toIvEEdEE10hipError_tPvRmT2_T3_T4_T5_mT6_T7_P12ihipStream_tbENKUlT_T0_E_clISt17integral_constantIbLb0EES11_EEDaSW_SX_EUlSW_E_NS1_11comp_targetILNS1_3genE2ELNS1_11target_archE906ELNS1_3gpuE6ELNS1_3repE0EEENS1_30default_config_static_selectorELNS0_4arch9wavefront6targetE1EEEvT1_.kd
    .uniform_work_group_size: 1
    .uses_dynamic_stack: false
    .vgpr_count:     0
    .vgpr_spill_count: 0
    .wavefront_size: 64
  - .agpr_count:     0
    .args:
      - .offset:         0
        .size:           136
        .value_kind:     by_value
    .group_segment_fixed_size: 0
    .kernarg_segment_align: 8
    .kernarg_segment_size: 136
    .language:       OpenCL C
    .language_version:
      - 2
      - 0
    .max_flat_workgroup_size: 256
    .name:           _ZN7rocprim17ROCPRIM_400000_NS6detail17trampoline_kernelINS0_14default_configENS1_27scan_by_key_config_selectorIidEEZZNS1_16scan_by_key_implILNS1_25lookback_scan_determinismE0ELb0ES3_N6thrust23THRUST_200600_302600_NS6detail15normal_iteratorINS9_10device_ptrIiEEEENSB_INSC_IdEEEESG_dNS9_4plusIvEENS9_8equal_toIvEEdEE10hipError_tPvRmT2_T3_T4_T5_mT6_T7_P12ihipStream_tbENKUlT_T0_E_clISt17integral_constantIbLb0EES11_EEDaSW_SX_EUlSW_E_NS1_11comp_targetILNS1_3genE10ELNS1_11target_archE1200ELNS1_3gpuE4ELNS1_3repE0EEENS1_30default_config_static_selectorELNS0_4arch9wavefront6targetE1EEEvT1_
    .private_segment_fixed_size: 0
    .sgpr_count:     4
    .sgpr_spill_count: 0
    .symbol:         _ZN7rocprim17ROCPRIM_400000_NS6detail17trampoline_kernelINS0_14default_configENS1_27scan_by_key_config_selectorIidEEZZNS1_16scan_by_key_implILNS1_25lookback_scan_determinismE0ELb0ES3_N6thrust23THRUST_200600_302600_NS6detail15normal_iteratorINS9_10device_ptrIiEEEENSB_INSC_IdEEEESG_dNS9_4plusIvEENS9_8equal_toIvEEdEE10hipError_tPvRmT2_T3_T4_T5_mT6_T7_P12ihipStream_tbENKUlT_T0_E_clISt17integral_constantIbLb0EES11_EEDaSW_SX_EUlSW_E_NS1_11comp_targetILNS1_3genE10ELNS1_11target_archE1200ELNS1_3gpuE4ELNS1_3repE0EEENS1_30default_config_static_selectorELNS0_4arch9wavefront6targetE1EEEvT1_.kd
    .uniform_work_group_size: 1
    .uses_dynamic_stack: false
    .vgpr_count:     0
    .vgpr_spill_count: 0
    .wavefront_size: 64
  - .agpr_count:     0
    .args:
      - .offset:         0
        .size:           136
        .value_kind:     by_value
    .group_segment_fixed_size: 0
    .kernarg_segment_align: 8
    .kernarg_segment_size: 136
    .language:       OpenCL C
    .language_version:
      - 2
      - 0
    .max_flat_workgroup_size: 256
    .name:           _ZN7rocprim17ROCPRIM_400000_NS6detail17trampoline_kernelINS0_14default_configENS1_27scan_by_key_config_selectorIidEEZZNS1_16scan_by_key_implILNS1_25lookback_scan_determinismE0ELb0ES3_N6thrust23THRUST_200600_302600_NS6detail15normal_iteratorINS9_10device_ptrIiEEEENSB_INSC_IdEEEESG_dNS9_4plusIvEENS9_8equal_toIvEEdEE10hipError_tPvRmT2_T3_T4_T5_mT6_T7_P12ihipStream_tbENKUlT_T0_E_clISt17integral_constantIbLb0EES11_EEDaSW_SX_EUlSW_E_NS1_11comp_targetILNS1_3genE9ELNS1_11target_archE1100ELNS1_3gpuE3ELNS1_3repE0EEENS1_30default_config_static_selectorELNS0_4arch9wavefront6targetE1EEEvT1_
    .private_segment_fixed_size: 0
    .sgpr_count:     4
    .sgpr_spill_count: 0
    .symbol:         _ZN7rocprim17ROCPRIM_400000_NS6detail17trampoline_kernelINS0_14default_configENS1_27scan_by_key_config_selectorIidEEZZNS1_16scan_by_key_implILNS1_25lookback_scan_determinismE0ELb0ES3_N6thrust23THRUST_200600_302600_NS6detail15normal_iteratorINS9_10device_ptrIiEEEENSB_INSC_IdEEEESG_dNS9_4plusIvEENS9_8equal_toIvEEdEE10hipError_tPvRmT2_T3_T4_T5_mT6_T7_P12ihipStream_tbENKUlT_T0_E_clISt17integral_constantIbLb0EES11_EEDaSW_SX_EUlSW_E_NS1_11comp_targetILNS1_3genE9ELNS1_11target_archE1100ELNS1_3gpuE3ELNS1_3repE0EEENS1_30default_config_static_selectorELNS0_4arch9wavefront6targetE1EEEvT1_.kd
    .uniform_work_group_size: 1
    .uses_dynamic_stack: false
    .vgpr_count:     0
    .vgpr_spill_count: 0
    .wavefront_size: 64
  - .agpr_count:     0
    .args:
      - .offset:         0
        .size:           136
        .value_kind:     by_value
    .group_segment_fixed_size: 0
    .kernarg_segment_align: 8
    .kernarg_segment_size: 136
    .language:       OpenCL C
    .language_version:
      - 2
      - 0
    .max_flat_workgroup_size: 256
    .name:           _ZN7rocprim17ROCPRIM_400000_NS6detail17trampoline_kernelINS0_14default_configENS1_27scan_by_key_config_selectorIidEEZZNS1_16scan_by_key_implILNS1_25lookback_scan_determinismE0ELb0ES3_N6thrust23THRUST_200600_302600_NS6detail15normal_iteratorINS9_10device_ptrIiEEEENSB_INSC_IdEEEESG_dNS9_4plusIvEENS9_8equal_toIvEEdEE10hipError_tPvRmT2_T3_T4_T5_mT6_T7_P12ihipStream_tbENKUlT_T0_E_clISt17integral_constantIbLb0EES11_EEDaSW_SX_EUlSW_E_NS1_11comp_targetILNS1_3genE8ELNS1_11target_archE1030ELNS1_3gpuE2ELNS1_3repE0EEENS1_30default_config_static_selectorELNS0_4arch9wavefront6targetE1EEEvT1_
    .private_segment_fixed_size: 0
    .sgpr_count:     4
    .sgpr_spill_count: 0
    .symbol:         _ZN7rocprim17ROCPRIM_400000_NS6detail17trampoline_kernelINS0_14default_configENS1_27scan_by_key_config_selectorIidEEZZNS1_16scan_by_key_implILNS1_25lookback_scan_determinismE0ELb0ES3_N6thrust23THRUST_200600_302600_NS6detail15normal_iteratorINS9_10device_ptrIiEEEENSB_INSC_IdEEEESG_dNS9_4plusIvEENS9_8equal_toIvEEdEE10hipError_tPvRmT2_T3_T4_T5_mT6_T7_P12ihipStream_tbENKUlT_T0_E_clISt17integral_constantIbLb0EES11_EEDaSW_SX_EUlSW_E_NS1_11comp_targetILNS1_3genE8ELNS1_11target_archE1030ELNS1_3gpuE2ELNS1_3repE0EEENS1_30default_config_static_selectorELNS0_4arch9wavefront6targetE1EEEvT1_.kd
    .uniform_work_group_size: 1
    .uses_dynamic_stack: false
    .vgpr_count:     0
    .vgpr_spill_count: 0
    .wavefront_size: 64
  - .agpr_count:     0
    .args:
      - .offset:         0
        .size:           24
        .value_kind:     by_value
      - .offset:         24
        .size:           4
        .value_kind:     by_value
      - .offset:         28
        .size:           4
        .value_kind:     by_value
      - .address_space:  global
        .offset:         32
        .size:           8
        .value_kind:     global_buffer
      - .address_space:  global
        .offset:         40
        .size:           8
        .value_kind:     global_buffer
      - .actual_access:  write_only
        .address_space:  global
        .offset:         48
        .size:           8
        .value_kind:     global_buffer
      - .offset:         56
        .size:           8
        .value_kind:     by_value
      - .offset:         64
        .size:           4
        .value_kind:     by_value
      - .address_space:  global
        .offset:         72
        .size:           8
        .value_kind:     global_buffer
      - .offset:         80
        .size:           4
        .value_kind:     hidden_block_count_x
      - .offset:         84
        .size:           4
        .value_kind:     hidden_block_count_y
      - .offset:         88
        .size:           4
        .value_kind:     hidden_block_count_z
      - .offset:         92
        .size:           2
        .value_kind:     hidden_group_size_x
      - .offset:         94
        .size:           2
        .value_kind:     hidden_group_size_y
      - .offset:         96
        .size:           2
        .value_kind:     hidden_group_size_z
      - .offset:         98
        .size:           2
        .value_kind:     hidden_remainder_x
      - .offset:         100
        .size:           2
        .value_kind:     hidden_remainder_y
      - .offset:         102
        .size:           2
        .value_kind:     hidden_remainder_z
      - .offset:         120
        .size:           8
        .value_kind:     hidden_global_offset_x
      - .offset:         128
        .size:           8
        .value_kind:     hidden_global_offset_y
      - .offset:         136
        .size:           8
        .value_kind:     hidden_global_offset_z
      - .offset:         144
        .size:           2
        .value_kind:     hidden_grid_dims
    .group_segment_fixed_size: 0
    .kernarg_segment_align: 8
    .kernarg_segment_size: 336
    .language:       OpenCL C
    .language_version:
      - 2
      - 0
    .max_flat_workgroup_size: 256
    .name:           _ZN7rocprim17ROCPRIM_400000_NS6detail30init_device_scan_by_key_kernelINS1_19lookback_scan_stateINS0_5tupleIJdbEEELb1ELb0EEEN6thrust23THRUST_200600_302600_NS6detail15normal_iteratorINS8_10device_ptrIiEEEEjNS1_16block_id_wrapperIjLb1EEEEEvT_jjPNSG_10value_typeET0_PNSt15iterator_traitsISJ_E10value_typeEmT1_T2_
    .private_segment_fixed_size: 0
    .sgpr_count:     28
    .sgpr_spill_count: 0
    .symbol:         _ZN7rocprim17ROCPRIM_400000_NS6detail30init_device_scan_by_key_kernelINS1_19lookback_scan_stateINS0_5tupleIJdbEEELb1ELb0EEEN6thrust23THRUST_200600_302600_NS6detail15normal_iteratorINS8_10device_ptrIiEEEEjNS1_16block_id_wrapperIjLb1EEEEEvT_jjPNSG_10value_typeET0_PNSt15iterator_traitsISJ_E10value_typeEmT1_T2_.kd
    .uniform_work_group_size: 1
    .uses_dynamic_stack: false
    .vgpr_count:     10
    .vgpr_spill_count: 0
    .wavefront_size: 64
  - .agpr_count:     0
    .args:
      - .offset:         0
        .size:           24
        .value_kind:     by_value
      - .offset:         24
        .size:           4
        .value_kind:     by_value
      - .offset:         28
        .size:           4
        .value_kind:     by_value
      - .address_space:  global
        .offset:         32
        .size:           8
        .value_kind:     global_buffer
      - .address_space:  global
        .offset:         40
        .size:           8
        .value_kind:     global_buffer
      - .offset:         48
        .size:           4
        .value_kind:     hidden_block_count_x
      - .offset:         52
        .size:           4
        .value_kind:     hidden_block_count_y
      - .offset:         56
        .size:           4
        .value_kind:     hidden_block_count_z
      - .offset:         60
        .size:           2
        .value_kind:     hidden_group_size_x
      - .offset:         62
        .size:           2
        .value_kind:     hidden_group_size_y
      - .offset:         64
        .size:           2
        .value_kind:     hidden_group_size_z
      - .offset:         66
        .size:           2
        .value_kind:     hidden_remainder_x
      - .offset:         68
        .size:           2
        .value_kind:     hidden_remainder_y
      - .offset:         70
        .size:           2
        .value_kind:     hidden_remainder_z
      - .offset:         88
        .size:           8
        .value_kind:     hidden_global_offset_x
      - .offset:         96
        .size:           8
        .value_kind:     hidden_global_offset_y
      - .offset:         104
        .size:           8
        .value_kind:     hidden_global_offset_z
      - .offset:         112
        .size:           2
        .value_kind:     hidden_grid_dims
    .group_segment_fixed_size: 0
    .kernarg_segment_align: 8
    .kernarg_segment_size: 304
    .language:       OpenCL C
    .language_version:
      - 2
      - 0
    .max_flat_workgroup_size: 256
    .name:           _ZN7rocprim17ROCPRIM_400000_NS6detail30init_device_scan_by_key_kernelINS1_19lookback_scan_stateINS0_5tupleIJdbEEELb1ELb0EEENS1_16block_id_wrapperIjLb1EEEEEvT_jjPNS9_10value_typeET0_
    .private_segment_fixed_size: 0
    .sgpr_count:     24
    .sgpr_spill_count: 0
    .symbol:         _ZN7rocprim17ROCPRIM_400000_NS6detail30init_device_scan_by_key_kernelINS1_19lookback_scan_stateINS0_5tupleIJdbEEELb1ELb0EEENS1_16block_id_wrapperIjLb1EEEEEvT_jjPNS9_10value_typeET0_.kd
    .uniform_work_group_size: 1
    .uses_dynamic_stack: false
    .vgpr_count:     5
    .vgpr_spill_count: 0
    .wavefront_size: 64
  - .agpr_count:     0
    .args:
      - .offset:         0
        .size:           136
        .value_kind:     by_value
    .group_segment_fixed_size: 0
    .kernarg_segment_align: 8
    .kernarg_segment_size: 136
    .language:       OpenCL C
    .language_version:
      - 2
      - 0
    .max_flat_workgroup_size: 128
    .name:           _ZN7rocprim17ROCPRIM_400000_NS6detail17trampoline_kernelINS0_14default_configENS1_27scan_by_key_config_selectorIidEEZZNS1_16scan_by_key_implILNS1_25lookback_scan_determinismE0ELb0ES3_N6thrust23THRUST_200600_302600_NS6detail15normal_iteratorINS9_10device_ptrIiEEEENSB_INSC_IdEEEESG_dNS9_4plusIvEENS9_8equal_toIvEEdEE10hipError_tPvRmT2_T3_T4_T5_mT6_T7_P12ihipStream_tbENKUlT_T0_E_clISt17integral_constantIbLb1EES11_EEDaSW_SX_EUlSW_E_NS1_11comp_targetILNS1_3genE0ELNS1_11target_archE4294967295ELNS1_3gpuE0ELNS1_3repE0EEENS1_30default_config_static_selectorELNS0_4arch9wavefront6targetE1EEEvT1_
    .private_segment_fixed_size: 0
    .sgpr_count:     4
    .sgpr_spill_count: 0
    .symbol:         _ZN7rocprim17ROCPRIM_400000_NS6detail17trampoline_kernelINS0_14default_configENS1_27scan_by_key_config_selectorIidEEZZNS1_16scan_by_key_implILNS1_25lookback_scan_determinismE0ELb0ES3_N6thrust23THRUST_200600_302600_NS6detail15normal_iteratorINS9_10device_ptrIiEEEENSB_INSC_IdEEEESG_dNS9_4plusIvEENS9_8equal_toIvEEdEE10hipError_tPvRmT2_T3_T4_T5_mT6_T7_P12ihipStream_tbENKUlT_T0_E_clISt17integral_constantIbLb1EES11_EEDaSW_SX_EUlSW_E_NS1_11comp_targetILNS1_3genE0ELNS1_11target_archE4294967295ELNS1_3gpuE0ELNS1_3repE0EEENS1_30default_config_static_selectorELNS0_4arch9wavefront6targetE1EEEvT1_.kd
    .uniform_work_group_size: 1
    .uses_dynamic_stack: false
    .vgpr_count:     0
    .vgpr_spill_count: 0
    .wavefront_size: 64
  - .agpr_count:     0
    .args:
      - .offset:         0
        .size:           136
        .value_kind:     by_value
    .group_segment_fixed_size: 0
    .kernarg_segment_align: 8
    .kernarg_segment_size: 136
    .language:       OpenCL C
    .language_version:
      - 2
      - 0
    .max_flat_workgroup_size: 256
    .name:           _ZN7rocprim17ROCPRIM_400000_NS6detail17trampoline_kernelINS0_14default_configENS1_27scan_by_key_config_selectorIidEEZZNS1_16scan_by_key_implILNS1_25lookback_scan_determinismE0ELb0ES3_N6thrust23THRUST_200600_302600_NS6detail15normal_iteratorINS9_10device_ptrIiEEEENSB_INSC_IdEEEESG_dNS9_4plusIvEENS9_8equal_toIvEEdEE10hipError_tPvRmT2_T3_T4_T5_mT6_T7_P12ihipStream_tbENKUlT_T0_E_clISt17integral_constantIbLb1EES11_EEDaSW_SX_EUlSW_E_NS1_11comp_targetILNS1_3genE10ELNS1_11target_archE1201ELNS1_3gpuE5ELNS1_3repE0EEENS1_30default_config_static_selectorELNS0_4arch9wavefront6targetE1EEEvT1_
    .private_segment_fixed_size: 0
    .sgpr_count:     4
    .sgpr_spill_count: 0
    .symbol:         _ZN7rocprim17ROCPRIM_400000_NS6detail17trampoline_kernelINS0_14default_configENS1_27scan_by_key_config_selectorIidEEZZNS1_16scan_by_key_implILNS1_25lookback_scan_determinismE0ELb0ES3_N6thrust23THRUST_200600_302600_NS6detail15normal_iteratorINS9_10device_ptrIiEEEENSB_INSC_IdEEEESG_dNS9_4plusIvEENS9_8equal_toIvEEdEE10hipError_tPvRmT2_T3_T4_T5_mT6_T7_P12ihipStream_tbENKUlT_T0_E_clISt17integral_constantIbLb1EES11_EEDaSW_SX_EUlSW_E_NS1_11comp_targetILNS1_3genE10ELNS1_11target_archE1201ELNS1_3gpuE5ELNS1_3repE0EEENS1_30default_config_static_selectorELNS0_4arch9wavefront6targetE1EEEvT1_.kd
    .uniform_work_group_size: 1
    .uses_dynamic_stack: false
    .vgpr_count:     0
    .vgpr_spill_count: 0
    .wavefront_size: 64
  - .agpr_count:     0
    .args:
      - .offset:         0
        .size:           136
        .value_kind:     by_value
    .group_segment_fixed_size: 0
    .kernarg_segment_align: 8
    .kernarg_segment_size: 136
    .language:       OpenCL C
    .language_version:
      - 2
      - 0
    .max_flat_workgroup_size: 256
    .name:           _ZN7rocprim17ROCPRIM_400000_NS6detail17trampoline_kernelINS0_14default_configENS1_27scan_by_key_config_selectorIidEEZZNS1_16scan_by_key_implILNS1_25lookback_scan_determinismE0ELb0ES3_N6thrust23THRUST_200600_302600_NS6detail15normal_iteratorINS9_10device_ptrIiEEEENSB_INSC_IdEEEESG_dNS9_4plusIvEENS9_8equal_toIvEEdEE10hipError_tPvRmT2_T3_T4_T5_mT6_T7_P12ihipStream_tbENKUlT_T0_E_clISt17integral_constantIbLb1EES11_EEDaSW_SX_EUlSW_E_NS1_11comp_targetILNS1_3genE5ELNS1_11target_archE942ELNS1_3gpuE9ELNS1_3repE0EEENS1_30default_config_static_selectorELNS0_4arch9wavefront6targetE1EEEvT1_
    .private_segment_fixed_size: 0
    .sgpr_count:     4
    .sgpr_spill_count: 0
    .symbol:         _ZN7rocprim17ROCPRIM_400000_NS6detail17trampoline_kernelINS0_14default_configENS1_27scan_by_key_config_selectorIidEEZZNS1_16scan_by_key_implILNS1_25lookback_scan_determinismE0ELb0ES3_N6thrust23THRUST_200600_302600_NS6detail15normal_iteratorINS9_10device_ptrIiEEEENSB_INSC_IdEEEESG_dNS9_4plusIvEENS9_8equal_toIvEEdEE10hipError_tPvRmT2_T3_T4_T5_mT6_T7_P12ihipStream_tbENKUlT_T0_E_clISt17integral_constantIbLb1EES11_EEDaSW_SX_EUlSW_E_NS1_11comp_targetILNS1_3genE5ELNS1_11target_archE942ELNS1_3gpuE9ELNS1_3repE0EEENS1_30default_config_static_selectorELNS0_4arch9wavefront6targetE1EEEvT1_.kd
    .uniform_work_group_size: 1
    .uses_dynamic_stack: false
    .vgpr_count:     0
    .vgpr_spill_count: 0
    .wavefront_size: 64
  - .agpr_count:     0
    .args:
      - .offset:         0
        .size:           136
        .value_kind:     by_value
    .group_segment_fixed_size: 10752
    .kernarg_segment_align: 8
    .kernarg_segment_size: 136
    .language:       OpenCL C
    .language_version:
      - 2
      - 0
    .max_flat_workgroup_size: 64
    .name:           _ZN7rocprim17ROCPRIM_400000_NS6detail17trampoline_kernelINS0_14default_configENS1_27scan_by_key_config_selectorIidEEZZNS1_16scan_by_key_implILNS1_25lookback_scan_determinismE0ELb0ES3_N6thrust23THRUST_200600_302600_NS6detail15normal_iteratorINS9_10device_ptrIiEEEENSB_INSC_IdEEEESG_dNS9_4plusIvEENS9_8equal_toIvEEdEE10hipError_tPvRmT2_T3_T4_T5_mT6_T7_P12ihipStream_tbENKUlT_T0_E_clISt17integral_constantIbLb1EES11_EEDaSW_SX_EUlSW_E_NS1_11comp_targetILNS1_3genE4ELNS1_11target_archE910ELNS1_3gpuE8ELNS1_3repE0EEENS1_30default_config_static_selectorELNS0_4arch9wavefront6targetE1EEEvT1_
    .private_segment_fixed_size: 0
    .sgpr_count:     100
    .sgpr_spill_count: 14
    .symbol:         _ZN7rocprim17ROCPRIM_400000_NS6detail17trampoline_kernelINS0_14default_configENS1_27scan_by_key_config_selectorIidEEZZNS1_16scan_by_key_implILNS1_25lookback_scan_determinismE0ELb0ES3_N6thrust23THRUST_200600_302600_NS6detail15normal_iteratorINS9_10device_ptrIiEEEENSB_INSC_IdEEEESG_dNS9_4plusIvEENS9_8equal_toIvEEdEE10hipError_tPvRmT2_T3_T4_T5_mT6_T7_P12ihipStream_tbENKUlT_T0_E_clISt17integral_constantIbLb1EES11_EEDaSW_SX_EUlSW_E_NS1_11comp_targetILNS1_3genE4ELNS1_11target_archE910ELNS1_3gpuE8ELNS1_3repE0EEENS1_30default_config_static_selectorELNS0_4arch9wavefront6targetE1EEEvT1_.kd
    .uniform_work_group_size: 1
    .uses_dynamic_stack: false
    .vgpr_count:     136
    .vgpr_spill_count: 0
    .wavefront_size: 64
  - .agpr_count:     0
    .args:
      - .offset:         0
        .size:           136
        .value_kind:     by_value
    .group_segment_fixed_size: 0
    .kernarg_segment_align: 8
    .kernarg_segment_size: 136
    .language:       OpenCL C
    .language_version:
      - 2
      - 0
    .max_flat_workgroup_size: 128
    .name:           _ZN7rocprim17ROCPRIM_400000_NS6detail17trampoline_kernelINS0_14default_configENS1_27scan_by_key_config_selectorIidEEZZNS1_16scan_by_key_implILNS1_25lookback_scan_determinismE0ELb0ES3_N6thrust23THRUST_200600_302600_NS6detail15normal_iteratorINS9_10device_ptrIiEEEENSB_INSC_IdEEEESG_dNS9_4plusIvEENS9_8equal_toIvEEdEE10hipError_tPvRmT2_T3_T4_T5_mT6_T7_P12ihipStream_tbENKUlT_T0_E_clISt17integral_constantIbLb1EES11_EEDaSW_SX_EUlSW_E_NS1_11comp_targetILNS1_3genE3ELNS1_11target_archE908ELNS1_3gpuE7ELNS1_3repE0EEENS1_30default_config_static_selectorELNS0_4arch9wavefront6targetE1EEEvT1_
    .private_segment_fixed_size: 0
    .sgpr_count:     4
    .sgpr_spill_count: 0
    .symbol:         _ZN7rocprim17ROCPRIM_400000_NS6detail17trampoline_kernelINS0_14default_configENS1_27scan_by_key_config_selectorIidEEZZNS1_16scan_by_key_implILNS1_25lookback_scan_determinismE0ELb0ES3_N6thrust23THRUST_200600_302600_NS6detail15normal_iteratorINS9_10device_ptrIiEEEENSB_INSC_IdEEEESG_dNS9_4plusIvEENS9_8equal_toIvEEdEE10hipError_tPvRmT2_T3_T4_T5_mT6_T7_P12ihipStream_tbENKUlT_T0_E_clISt17integral_constantIbLb1EES11_EEDaSW_SX_EUlSW_E_NS1_11comp_targetILNS1_3genE3ELNS1_11target_archE908ELNS1_3gpuE7ELNS1_3repE0EEENS1_30default_config_static_selectorELNS0_4arch9wavefront6targetE1EEEvT1_.kd
    .uniform_work_group_size: 1
    .uses_dynamic_stack: false
    .vgpr_count:     0
    .vgpr_spill_count: 0
    .wavefront_size: 64
  - .agpr_count:     0
    .args:
      - .offset:         0
        .size:           136
        .value_kind:     by_value
    .group_segment_fixed_size: 0
    .kernarg_segment_align: 8
    .kernarg_segment_size: 136
    .language:       OpenCL C
    .language_version:
      - 2
      - 0
    .max_flat_workgroup_size: 64
    .name:           _ZN7rocprim17ROCPRIM_400000_NS6detail17trampoline_kernelINS0_14default_configENS1_27scan_by_key_config_selectorIidEEZZNS1_16scan_by_key_implILNS1_25lookback_scan_determinismE0ELb0ES3_N6thrust23THRUST_200600_302600_NS6detail15normal_iteratorINS9_10device_ptrIiEEEENSB_INSC_IdEEEESG_dNS9_4plusIvEENS9_8equal_toIvEEdEE10hipError_tPvRmT2_T3_T4_T5_mT6_T7_P12ihipStream_tbENKUlT_T0_E_clISt17integral_constantIbLb1EES11_EEDaSW_SX_EUlSW_E_NS1_11comp_targetILNS1_3genE2ELNS1_11target_archE906ELNS1_3gpuE6ELNS1_3repE0EEENS1_30default_config_static_selectorELNS0_4arch9wavefront6targetE1EEEvT1_
    .private_segment_fixed_size: 0
    .sgpr_count:     4
    .sgpr_spill_count: 0
    .symbol:         _ZN7rocprim17ROCPRIM_400000_NS6detail17trampoline_kernelINS0_14default_configENS1_27scan_by_key_config_selectorIidEEZZNS1_16scan_by_key_implILNS1_25lookback_scan_determinismE0ELb0ES3_N6thrust23THRUST_200600_302600_NS6detail15normal_iteratorINS9_10device_ptrIiEEEENSB_INSC_IdEEEESG_dNS9_4plusIvEENS9_8equal_toIvEEdEE10hipError_tPvRmT2_T3_T4_T5_mT6_T7_P12ihipStream_tbENKUlT_T0_E_clISt17integral_constantIbLb1EES11_EEDaSW_SX_EUlSW_E_NS1_11comp_targetILNS1_3genE2ELNS1_11target_archE906ELNS1_3gpuE6ELNS1_3repE0EEENS1_30default_config_static_selectorELNS0_4arch9wavefront6targetE1EEEvT1_.kd
    .uniform_work_group_size: 1
    .uses_dynamic_stack: false
    .vgpr_count:     0
    .vgpr_spill_count: 0
    .wavefront_size: 64
  - .agpr_count:     0
    .args:
      - .offset:         0
        .size:           136
        .value_kind:     by_value
    .group_segment_fixed_size: 0
    .kernarg_segment_align: 8
    .kernarg_segment_size: 136
    .language:       OpenCL C
    .language_version:
      - 2
      - 0
    .max_flat_workgroup_size: 256
    .name:           _ZN7rocprim17ROCPRIM_400000_NS6detail17trampoline_kernelINS0_14default_configENS1_27scan_by_key_config_selectorIidEEZZNS1_16scan_by_key_implILNS1_25lookback_scan_determinismE0ELb0ES3_N6thrust23THRUST_200600_302600_NS6detail15normal_iteratorINS9_10device_ptrIiEEEENSB_INSC_IdEEEESG_dNS9_4plusIvEENS9_8equal_toIvEEdEE10hipError_tPvRmT2_T3_T4_T5_mT6_T7_P12ihipStream_tbENKUlT_T0_E_clISt17integral_constantIbLb1EES11_EEDaSW_SX_EUlSW_E_NS1_11comp_targetILNS1_3genE10ELNS1_11target_archE1200ELNS1_3gpuE4ELNS1_3repE0EEENS1_30default_config_static_selectorELNS0_4arch9wavefront6targetE1EEEvT1_
    .private_segment_fixed_size: 0
    .sgpr_count:     4
    .sgpr_spill_count: 0
    .symbol:         _ZN7rocprim17ROCPRIM_400000_NS6detail17trampoline_kernelINS0_14default_configENS1_27scan_by_key_config_selectorIidEEZZNS1_16scan_by_key_implILNS1_25lookback_scan_determinismE0ELb0ES3_N6thrust23THRUST_200600_302600_NS6detail15normal_iteratorINS9_10device_ptrIiEEEENSB_INSC_IdEEEESG_dNS9_4plusIvEENS9_8equal_toIvEEdEE10hipError_tPvRmT2_T3_T4_T5_mT6_T7_P12ihipStream_tbENKUlT_T0_E_clISt17integral_constantIbLb1EES11_EEDaSW_SX_EUlSW_E_NS1_11comp_targetILNS1_3genE10ELNS1_11target_archE1200ELNS1_3gpuE4ELNS1_3repE0EEENS1_30default_config_static_selectorELNS0_4arch9wavefront6targetE1EEEvT1_.kd
    .uniform_work_group_size: 1
    .uses_dynamic_stack: false
    .vgpr_count:     0
    .vgpr_spill_count: 0
    .wavefront_size: 64
  - .agpr_count:     0
    .args:
      - .offset:         0
        .size:           136
        .value_kind:     by_value
    .group_segment_fixed_size: 0
    .kernarg_segment_align: 8
    .kernarg_segment_size: 136
    .language:       OpenCL C
    .language_version:
      - 2
      - 0
    .max_flat_workgroup_size: 256
    .name:           _ZN7rocprim17ROCPRIM_400000_NS6detail17trampoline_kernelINS0_14default_configENS1_27scan_by_key_config_selectorIidEEZZNS1_16scan_by_key_implILNS1_25lookback_scan_determinismE0ELb0ES3_N6thrust23THRUST_200600_302600_NS6detail15normal_iteratorINS9_10device_ptrIiEEEENSB_INSC_IdEEEESG_dNS9_4plusIvEENS9_8equal_toIvEEdEE10hipError_tPvRmT2_T3_T4_T5_mT6_T7_P12ihipStream_tbENKUlT_T0_E_clISt17integral_constantIbLb1EES11_EEDaSW_SX_EUlSW_E_NS1_11comp_targetILNS1_3genE9ELNS1_11target_archE1100ELNS1_3gpuE3ELNS1_3repE0EEENS1_30default_config_static_selectorELNS0_4arch9wavefront6targetE1EEEvT1_
    .private_segment_fixed_size: 0
    .sgpr_count:     4
    .sgpr_spill_count: 0
    .symbol:         _ZN7rocprim17ROCPRIM_400000_NS6detail17trampoline_kernelINS0_14default_configENS1_27scan_by_key_config_selectorIidEEZZNS1_16scan_by_key_implILNS1_25lookback_scan_determinismE0ELb0ES3_N6thrust23THRUST_200600_302600_NS6detail15normal_iteratorINS9_10device_ptrIiEEEENSB_INSC_IdEEEESG_dNS9_4plusIvEENS9_8equal_toIvEEdEE10hipError_tPvRmT2_T3_T4_T5_mT6_T7_P12ihipStream_tbENKUlT_T0_E_clISt17integral_constantIbLb1EES11_EEDaSW_SX_EUlSW_E_NS1_11comp_targetILNS1_3genE9ELNS1_11target_archE1100ELNS1_3gpuE3ELNS1_3repE0EEENS1_30default_config_static_selectorELNS0_4arch9wavefront6targetE1EEEvT1_.kd
    .uniform_work_group_size: 1
    .uses_dynamic_stack: false
    .vgpr_count:     0
    .vgpr_spill_count: 0
    .wavefront_size: 64
  - .agpr_count:     0
    .args:
      - .offset:         0
        .size:           136
        .value_kind:     by_value
    .group_segment_fixed_size: 0
    .kernarg_segment_align: 8
    .kernarg_segment_size: 136
    .language:       OpenCL C
    .language_version:
      - 2
      - 0
    .max_flat_workgroup_size: 256
    .name:           _ZN7rocprim17ROCPRIM_400000_NS6detail17trampoline_kernelINS0_14default_configENS1_27scan_by_key_config_selectorIidEEZZNS1_16scan_by_key_implILNS1_25lookback_scan_determinismE0ELb0ES3_N6thrust23THRUST_200600_302600_NS6detail15normal_iteratorINS9_10device_ptrIiEEEENSB_INSC_IdEEEESG_dNS9_4plusIvEENS9_8equal_toIvEEdEE10hipError_tPvRmT2_T3_T4_T5_mT6_T7_P12ihipStream_tbENKUlT_T0_E_clISt17integral_constantIbLb1EES11_EEDaSW_SX_EUlSW_E_NS1_11comp_targetILNS1_3genE8ELNS1_11target_archE1030ELNS1_3gpuE2ELNS1_3repE0EEENS1_30default_config_static_selectorELNS0_4arch9wavefront6targetE1EEEvT1_
    .private_segment_fixed_size: 0
    .sgpr_count:     4
    .sgpr_spill_count: 0
    .symbol:         _ZN7rocprim17ROCPRIM_400000_NS6detail17trampoline_kernelINS0_14default_configENS1_27scan_by_key_config_selectorIidEEZZNS1_16scan_by_key_implILNS1_25lookback_scan_determinismE0ELb0ES3_N6thrust23THRUST_200600_302600_NS6detail15normal_iteratorINS9_10device_ptrIiEEEENSB_INSC_IdEEEESG_dNS9_4plusIvEENS9_8equal_toIvEEdEE10hipError_tPvRmT2_T3_T4_T5_mT6_T7_P12ihipStream_tbENKUlT_T0_E_clISt17integral_constantIbLb1EES11_EEDaSW_SX_EUlSW_E_NS1_11comp_targetILNS1_3genE8ELNS1_11target_archE1030ELNS1_3gpuE2ELNS1_3repE0EEENS1_30default_config_static_selectorELNS0_4arch9wavefront6targetE1EEEvT1_.kd
    .uniform_work_group_size: 1
    .uses_dynamic_stack: false
    .vgpr_count:     0
    .vgpr_spill_count: 0
    .wavefront_size: 64
  - .agpr_count:     0
    .args:
      - .offset:         0
        .size:           24
        .value_kind:     by_value
      - .offset:         24
        .size:           4
        .value_kind:     by_value
      - .offset:         28
        .size:           4
        .value_kind:     by_value
      - .address_space:  global
        .offset:         32
        .size:           8
        .value_kind:     global_buffer
      - .address_space:  global
        .offset:         40
        .size:           8
        .value_kind:     global_buffer
      - .actual_access:  write_only
        .address_space:  global
        .offset:         48
        .size:           8
        .value_kind:     global_buffer
      - .offset:         56
        .size:           8
        .value_kind:     by_value
      - .offset:         64
        .size:           4
        .value_kind:     by_value
      - .offset:         68
        .size:           1
        .value_kind:     by_value
      - .offset:         72
        .size:           4
        .value_kind:     hidden_block_count_x
      - .offset:         76
        .size:           4
        .value_kind:     hidden_block_count_y
      - .offset:         80
        .size:           4
        .value_kind:     hidden_block_count_z
      - .offset:         84
        .size:           2
        .value_kind:     hidden_group_size_x
      - .offset:         86
        .size:           2
        .value_kind:     hidden_group_size_y
      - .offset:         88
        .size:           2
        .value_kind:     hidden_group_size_z
      - .offset:         90
        .size:           2
        .value_kind:     hidden_remainder_x
      - .offset:         92
        .size:           2
        .value_kind:     hidden_remainder_y
      - .offset:         94
        .size:           2
        .value_kind:     hidden_remainder_z
      - .offset:         112
        .size:           8
        .value_kind:     hidden_global_offset_x
      - .offset:         120
        .size:           8
        .value_kind:     hidden_global_offset_y
      - .offset:         128
        .size:           8
        .value_kind:     hidden_global_offset_z
      - .offset:         136
        .size:           2
        .value_kind:     hidden_grid_dims
    .group_segment_fixed_size: 0
    .kernarg_segment_align: 8
    .kernarg_segment_size: 328
    .language:       OpenCL C
    .language_version:
      - 2
      - 0
    .max_flat_workgroup_size: 256
    .name:           _ZN7rocprim17ROCPRIM_400000_NS6detail30init_device_scan_by_key_kernelINS1_19lookback_scan_stateINS0_5tupleIJdbEEELb1ELb0EEEN6thrust23THRUST_200600_302600_NS6detail15normal_iteratorINS8_10device_ptrIiEEEEjNS1_16block_id_wrapperIjLb0EEEEEvT_jjPNSG_10value_typeET0_PNSt15iterator_traitsISJ_E10value_typeEmT1_T2_
    .private_segment_fixed_size: 0
    .sgpr_count:     28
    .sgpr_spill_count: 0
    .symbol:         _ZN7rocprim17ROCPRIM_400000_NS6detail30init_device_scan_by_key_kernelINS1_19lookback_scan_stateINS0_5tupleIJdbEEELb1ELb0EEEN6thrust23THRUST_200600_302600_NS6detail15normal_iteratorINS8_10device_ptrIiEEEEjNS1_16block_id_wrapperIjLb0EEEEEvT_jjPNSG_10value_typeET0_PNSt15iterator_traitsISJ_E10value_typeEmT1_T2_.kd
    .uniform_work_group_size: 1
    .uses_dynamic_stack: false
    .vgpr_count:     10
    .vgpr_spill_count: 0
    .wavefront_size: 64
  - .agpr_count:     0
    .args:
      - .offset:         0
        .size:           24
        .value_kind:     by_value
      - .offset:         24
        .size:           4
        .value_kind:     by_value
      - .offset:         28
        .size:           4
        .value_kind:     by_value
      - .address_space:  global
        .offset:         32
        .size:           8
        .value_kind:     global_buffer
      - .offset:         40
        .size:           1
        .value_kind:     by_value
      - .offset:         48
        .size:           4
        .value_kind:     hidden_block_count_x
      - .offset:         52
        .size:           4
        .value_kind:     hidden_block_count_y
      - .offset:         56
        .size:           4
        .value_kind:     hidden_block_count_z
      - .offset:         60
        .size:           2
        .value_kind:     hidden_group_size_x
      - .offset:         62
        .size:           2
        .value_kind:     hidden_group_size_y
      - .offset:         64
        .size:           2
        .value_kind:     hidden_group_size_z
      - .offset:         66
        .size:           2
        .value_kind:     hidden_remainder_x
      - .offset:         68
        .size:           2
        .value_kind:     hidden_remainder_y
      - .offset:         70
        .size:           2
        .value_kind:     hidden_remainder_z
      - .offset:         88
        .size:           8
        .value_kind:     hidden_global_offset_x
      - .offset:         96
        .size:           8
        .value_kind:     hidden_global_offset_y
      - .offset:         104
        .size:           8
        .value_kind:     hidden_global_offset_z
      - .offset:         112
        .size:           2
        .value_kind:     hidden_grid_dims
    .group_segment_fixed_size: 0
    .kernarg_segment_align: 8
    .kernarg_segment_size: 304
    .language:       OpenCL C
    .language_version:
      - 2
      - 0
    .max_flat_workgroup_size: 256
    .name:           _ZN7rocprim17ROCPRIM_400000_NS6detail30init_device_scan_by_key_kernelINS1_19lookback_scan_stateINS0_5tupleIJdbEEELb1ELb0EEENS1_16block_id_wrapperIjLb0EEEEEvT_jjPNS9_10value_typeET0_
    .private_segment_fixed_size: 0
    .sgpr_count:     22
    .sgpr_spill_count: 0
    .symbol:         _ZN7rocprim17ROCPRIM_400000_NS6detail30init_device_scan_by_key_kernelINS1_19lookback_scan_stateINS0_5tupleIJdbEEELb1ELb0EEENS1_16block_id_wrapperIjLb0EEEEEvT_jjPNS9_10value_typeET0_.kd
    .uniform_work_group_size: 1
    .uses_dynamic_stack: false
    .vgpr_count:     5
    .vgpr_spill_count: 0
    .wavefront_size: 64
  - .agpr_count:     0
    .args:
      - .offset:         0
        .size:           136
        .value_kind:     by_value
    .group_segment_fixed_size: 0
    .kernarg_segment_align: 8
    .kernarg_segment_size: 136
    .language:       OpenCL C
    .language_version:
      - 2
      - 0
    .max_flat_workgroup_size: 128
    .name:           _ZN7rocprim17ROCPRIM_400000_NS6detail17trampoline_kernelINS0_14default_configENS1_27scan_by_key_config_selectorIidEEZZNS1_16scan_by_key_implILNS1_25lookback_scan_determinismE0ELb0ES3_N6thrust23THRUST_200600_302600_NS6detail15normal_iteratorINS9_10device_ptrIiEEEENSB_INSC_IdEEEESG_dNS9_4plusIvEENS9_8equal_toIvEEdEE10hipError_tPvRmT2_T3_T4_T5_mT6_T7_P12ihipStream_tbENKUlT_T0_E_clISt17integral_constantIbLb1EES10_IbLb0EEEEDaSW_SX_EUlSW_E_NS1_11comp_targetILNS1_3genE0ELNS1_11target_archE4294967295ELNS1_3gpuE0ELNS1_3repE0EEENS1_30default_config_static_selectorELNS0_4arch9wavefront6targetE1EEEvT1_
    .private_segment_fixed_size: 0
    .sgpr_count:     4
    .sgpr_spill_count: 0
    .symbol:         _ZN7rocprim17ROCPRIM_400000_NS6detail17trampoline_kernelINS0_14default_configENS1_27scan_by_key_config_selectorIidEEZZNS1_16scan_by_key_implILNS1_25lookback_scan_determinismE0ELb0ES3_N6thrust23THRUST_200600_302600_NS6detail15normal_iteratorINS9_10device_ptrIiEEEENSB_INSC_IdEEEESG_dNS9_4plusIvEENS9_8equal_toIvEEdEE10hipError_tPvRmT2_T3_T4_T5_mT6_T7_P12ihipStream_tbENKUlT_T0_E_clISt17integral_constantIbLb1EES10_IbLb0EEEEDaSW_SX_EUlSW_E_NS1_11comp_targetILNS1_3genE0ELNS1_11target_archE4294967295ELNS1_3gpuE0ELNS1_3repE0EEENS1_30default_config_static_selectorELNS0_4arch9wavefront6targetE1EEEvT1_.kd
    .uniform_work_group_size: 1
    .uses_dynamic_stack: false
    .vgpr_count:     0
    .vgpr_spill_count: 0
    .wavefront_size: 64
  - .agpr_count:     0
    .args:
      - .offset:         0
        .size:           136
        .value_kind:     by_value
    .group_segment_fixed_size: 0
    .kernarg_segment_align: 8
    .kernarg_segment_size: 136
    .language:       OpenCL C
    .language_version:
      - 2
      - 0
    .max_flat_workgroup_size: 256
    .name:           _ZN7rocprim17ROCPRIM_400000_NS6detail17trampoline_kernelINS0_14default_configENS1_27scan_by_key_config_selectorIidEEZZNS1_16scan_by_key_implILNS1_25lookback_scan_determinismE0ELb0ES3_N6thrust23THRUST_200600_302600_NS6detail15normal_iteratorINS9_10device_ptrIiEEEENSB_INSC_IdEEEESG_dNS9_4plusIvEENS9_8equal_toIvEEdEE10hipError_tPvRmT2_T3_T4_T5_mT6_T7_P12ihipStream_tbENKUlT_T0_E_clISt17integral_constantIbLb1EES10_IbLb0EEEEDaSW_SX_EUlSW_E_NS1_11comp_targetILNS1_3genE10ELNS1_11target_archE1201ELNS1_3gpuE5ELNS1_3repE0EEENS1_30default_config_static_selectorELNS0_4arch9wavefront6targetE1EEEvT1_
    .private_segment_fixed_size: 0
    .sgpr_count:     4
    .sgpr_spill_count: 0
    .symbol:         _ZN7rocprim17ROCPRIM_400000_NS6detail17trampoline_kernelINS0_14default_configENS1_27scan_by_key_config_selectorIidEEZZNS1_16scan_by_key_implILNS1_25lookback_scan_determinismE0ELb0ES3_N6thrust23THRUST_200600_302600_NS6detail15normal_iteratorINS9_10device_ptrIiEEEENSB_INSC_IdEEEESG_dNS9_4plusIvEENS9_8equal_toIvEEdEE10hipError_tPvRmT2_T3_T4_T5_mT6_T7_P12ihipStream_tbENKUlT_T0_E_clISt17integral_constantIbLb1EES10_IbLb0EEEEDaSW_SX_EUlSW_E_NS1_11comp_targetILNS1_3genE10ELNS1_11target_archE1201ELNS1_3gpuE5ELNS1_3repE0EEENS1_30default_config_static_selectorELNS0_4arch9wavefront6targetE1EEEvT1_.kd
    .uniform_work_group_size: 1
    .uses_dynamic_stack: false
    .vgpr_count:     0
    .vgpr_spill_count: 0
    .wavefront_size: 64
  - .agpr_count:     0
    .args:
      - .offset:         0
        .size:           136
        .value_kind:     by_value
    .group_segment_fixed_size: 0
    .kernarg_segment_align: 8
    .kernarg_segment_size: 136
    .language:       OpenCL C
    .language_version:
      - 2
      - 0
    .max_flat_workgroup_size: 256
    .name:           _ZN7rocprim17ROCPRIM_400000_NS6detail17trampoline_kernelINS0_14default_configENS1_27scan_by_key_config_selectorIidEEZZNS1_16scan_by_key_implILNS1_25lookback_scan_determinismE0ELb0ES3_N6thrust23THRUST_200600_302600_NS6detail15normal_iteratorINS9_10device_ptrIiEEEENSB_INSC_IdEEEESG_dNS9_4plusIvEENS9_8equal_toIvEEdEE10hipError_tPvRmT2_T3_T4_T5_mT6_T7_P12ihipStream_tbENKUlT_T0_E_clISt17integral_constantIbLb1EES10_IbLb0EEEEDaSW_SX_EUlSW_E_NS1_11comp_targetILNS1_3genE5ELNS1_11target_archE942ELNS1_3gpuE9ELNS1_3repE0EEENS1_30default_config_static_selectorELNS0_4arch9wavefront6targetE1EEEvT1_
    .private_segment_fixed_size: 0
    .sgpr_count:     4
    .sgpr_spill_count: 0
    .symbol:         _ZN7rocprim17ROCPRIM_400000_NS6detail17trampoline_kernelINS0_14default_configENS1_27scan_by_key_config_selectorIidEEZZNS1_16scan_by_key_implILNS1_25lookback_scan_determinismE0ELb0ES3_N6thrust23THRUST_200600_302600_NS6detail15normal_iteratorINS9_10device_ptrIiEEEENSB_INSC_IdEEEESG_dNS9_4plusIvEENS9_8equal_toIvEEdEE10hipError_tPvRmT2_T3_T4_T5_mT6_T7_P12ihipStream_tbENKUlT_T0_E_clISt17integral_constantIbLb1EES10_IbLb0EEEEDaSW_SX_EUlSW_E_NS1_11comp_targetILNS1_3genE5ELNS1_11target_archE942ELNS1_3gpuE9ELNS1_3repE0EEENS1_30default_config_static_selectorELNS0_4arch9wavefront6targetE1EEEvT1_.kd
    .uniform_work_group_size: 1
    .uses_dynamic_stack: false
    .vgpr_count:     0
    .vgpr_spill_count: 0
    .wavefront_size: 64
  - .agpr_count:     0
    .args:
      - .offset:         0
        .size:           136
        .value_kind:     by_value
    .group_segment_fixed_size: 10752
    .kernarg_segment_align: 8
    .kernarg_segment_size: 136
    .language:       OpenCL C
    .language_version:
      - 2
      - 0
    .max_flat_workgroup_size: 64
    .name:           _ZN7rocprim17ROCPRIM_400000_NS6detail17trampoline_kernelINS0_14default_configENS1_27scan_by_key_config_selectorIidEEZZNS1_16scan_by_key_implILNS1_25lookback_scan_determinismE0ELb0ES3_N6thrust23THRUST_200600_302600_NS6detail15normal_iteratorINS9_10device_ptrIiEEEENSB_INSC_IdEEEESG_dNS9_4plusIvEENS9_8equal_toIvEEdEE10hipError_tPvRmT2_T3_T4_T5_mT6_T7_P12ihipStream_tbENKUlT_T0_E_clISt17integral_constantIbLb1EES10_IbLb0EEEEDaSW_SX_EUlSW_E_NS1_11comp_targetILNS1_3genE4ELNS1_11target_archE910ELNS1_3gpuE8ELNS1_3repE0EEENS1_30default_config_static_selectorELNS0_4arch9wavefront6targetE1EEEvT1_
    .private_segment_fixed_size: 0
    .sgpr_count:     100
    .sgpr_spill_count: 12
    .symbol:         _ZN7rocprim17ROCPRIM_400000_NS6detail17trampoline_kernelINS0_14default_configENS1_27scan_by_key_config_selectorIidEEZZNS1_16scan_by_key_implILNS1_25lookback_scan_determinismE0ELb0ES3_N6thrust23THRUST_200600_302600_NS6detail15normal_iteratorINS9_10device_ptrIiEEEENSB_INSC_IdEEEESG_dNS9_4plusIvEENS9_8equal_toIvEEdEE10hipError_tPvRmT2_T3_T4_T5_mT6_T7_P12ihipStream_tbENKUlT_T0_E_clISt17integral_constantIbLb1EES10_IbLb0EEEEDaSW_SX_EUlSW_E_NS1_11comp_targetILNS1_3genE4ELNS1_11target_archE910ELNS1_3gpuE8ELNS1_3repE0EEENS1_30default_config_static_selectorELNS0_4arch9wavefront6targetE1EEEvT1_.kd
    .uniform_work_group_size: 1
    .uses_dynamic_stack: false
    .vgpr_count:     136
    .vgpr_spill_count: 0
    .wavefront_size: 64
  - .agpr_count:     0
    .args:
      - .offset:         0
        .size:           136
        .value_kind:     by_value
    .group_segment_fixed_size: 0
    .kernarg_segment_align: 8
    .kernarg_segment_size: 136
    .language:       OpenCL C
    .language_version:
      - 2
      - 0
    .max_flat_workgroup_size: 128
    .name:           _ZN7rocprim17ROCPRIM_400000_NS6detail17trampoline_kernelINS0_14default_configENS1_27scan_by_key_config_selectorIidEEZZNS1_16scan_by_key_implILNS1_25lookback_scan_determinismE0ELb0ES3_N6thrust23THRUST_200600_302600_NS6detail15normal_iteratorINS9_10device_ptrIiEEEENSB_INSC_IdEEEESG_dNS9_4plusIvEENS9_8equal_toIvEEdEE10hipError_tPvRmT2_T3_T4_T5_mT6_T7_P12ihipStream_tbENKUlT_T0_E_clISt17integral_constantIbLb1EES10_IbLb0EEEEDaSW_SX_EUlSW_E_NS1_11comp_targetILNS1_3genE3ELNS1_11target_archE908ELNS1_3gpuE7ELNS1_3repE0EEENS1_30default_config_static_selectorELNS0_4arch9wavefront6targetE1EEEvT1_
    .private_segment_fixed_size: 0
    .sgpr_count:     4
    .sgpr_spill_count: 0
    .symbol:         _ZN7rocprim17ROCPRIM_400000_NS6detail17trampoline_kernelINS0_14default_configENS1_27scan_by_key_config_selectorIidEEZZNS1_16scan_by_key_implILNS1_25lookback_scan_determinismE0ELb0ES3_N6thrust23THRUST_200600_302600_NS6detail15normal_iteratorINS9_10device_ptrIiEEEENSB_INSC_IdEEEESG_dNS9_4plusIvEENS9_8equal_toIvEEdEE10hipError_tPvRmT2_T3_T4_T5_mT6_T7_P12ihipStream_tbENKUlT_T0_E_clISt17integral_constantIbLb1EES10_IbLb0EEEEDaSW_SX_EUlSW_E_NS1_11comp_targetILNS1_3genE3ELNS1_11target_archE908ELNS1_3gpuE7ELNS1_3repE0EEENS1_30default_config_static_selectorELNS0_4arch9wavefront6targetE1EEEvT1_.kd
    .uniform_work_group_size: 1
    .uses_dynamic_stack: false
    .vgpr_count:     0
    .vgpr_spill_count: 0
    .wavefront_size: 64
  - .agpr_count:     0
    .args:
      - .offset:         0
        .size:           136
        .value_kind:     by_value
    .group_segment_fixed_size: 0
    .kernarg_segment_align: 8
    .kernarg_segment_size: 136
    .language:       OpenCL C
    .language_version:
      - 2
      - 0
    .max_flat_workgroup_size: 64
    .name:           _ZN7rocprim17ROCPRIM_400000_NS6detail17trampoline_kernelINS0_14default_configENS1_27scan_by_key_config_selectorIidEEZZNS1_16scan_by_key_implILNS1_25lookback_scan_determinismE0ELb0ES3_N6thrust23THRUST_200600_302600_NS6detail15normal_iteratorINS9_10device_ptrIiEEEENSB_INSC_IdEEEESG_dNS9_4plusIvEENS9_8equal_toIvEEdEE10hipError_tPvRmT2_T3_T4_T5_mT6_T7_P12ihipStream_tbENKUlT_T0_E_clISt17integral_constantIbLb1EES10_IbLb0EEEEDaSW_SX_EUlSW_E_NS1_11comp_targetILNS1_3genE2ELNS1_11target_archE906ELNS1_3gpuE6ELNS1_3repE0EEENS1_30default_config_static_selectorELNS0_4arch9wavefront6targetE1EEEvT1_
    .private_segment_fixed_size: 0
    .sgpr_count:     4
    .sgpr_spill_count: 0
    .symbol:         _ZN7rocprim17ROCPRIM_400000_NS6detail17trampoline_kernelINS0_14default_configENS1_27scan_by_key_config_selectorIidEEZZNS1_16scan_by_key_implILNS1_25lookback_scan_determinismE0ELb0ES3_N6thrust23THRUST_200600_302600_NS6detail15normal_iteratorINS9_10device_ptrIiEEEENSB_INSC_IdEEEESG_dNS9_4plusIvEENS9_8equal_toIvEEdEE10hipError_tPvRmT2_T3_T4_T5_mT6_T7_P12ihipStream_tbENKUlT_T0_E_clISt17integral_constantIbLb1EES10_IbLb0EEEEDaSW_SX_EUlSW_E_NS1_11comp_targetILNS1_3genE2ELNS1_11target_archE906ELNS1_3gpuE6ELNS1_3repE0EEENS1_30default_config_static_selectorELNS0_4arch9wavefront6targetE1EEEvT1_.kd
    .uniform_work_group_size: 1
    .uses_dynamic_stack: false
    .vgpr_count:     0
    .vgpr_spill_count: 0
    .wavefront_size: 64
  - .agpr_count:     0
    .args:
      - .offset:         0
        .size:           136
        .value_kind:     by_value
    .group_segment_fixed_size: 0
    .kernarg_segment_align: 8
    .kernarg_segment_size: 136
    .language:       OpenCL C
    .language_version:
      - 2
      - 0
    .max_flat_workgroup_size: 256
    .name:           _ZN7rocprim17ROCPRIM_400000_NS6detail17trampoline_kernelINS0_14default_configENS1_27scan_by_key_config_selectorIidEEZZNS1_16scan_by_key_implILNS1_25lookback_scan_determinismE0ELb0ES3_N6thrust23THRUST_200600_302600_NS6detail15normal_iteratorINS9_10device_ptrIiEEEENSB_INSC_IdEEEESG_dNS9_4plusIvEENS9_8equal_toIvEEdEE10hipError_tPvRmT2_T3_T4_T5_mT6_T7_P12ihipStream_tbENKUlT_T0_E_clISt17integral_constantIbLb1EES10_IbLb0EEEEDaSW_SX_EUlSW_E_NS1_11comp_targetILNS1_3genE10ELNS1_11target_archE1200ELNS1_3gpuE4ELNS1_3repE0EEENS1_30default_config_static_selectorELNS0_4arch9wavefront6targetE1EEEvT1_
    .private_segment_fixed_size: 0
    .sgpr_count:     4
    .sgpr_spill_count: 0
    .symbol:         _ZN7rocprim17ROCPRIM_400000_NS6detail17trampoline_kernelINS0_14default_configENS1_27scan_by_key_config_selectorIidEEZZNS1_16scan_by_key_implILNS1_25lookback_scan_determinismE0ELb0ES3_N6thrust23THRUST_200600_302600_NS6detail15normal_iteratorINS9_10device_ptrIiEEEENSB_INSC_IdEEEESG_dNS9_4plusIvEENS9_8equal_toIvEEdEE10hipError_tPvRmT2_T3_T4_T5_mT6_T7_P12ihipStream_tbENKUlT_T0_E_clISt17integral_constantIbLb1EES10_IbLb0EEEEDaSW_SX_EUlSW_E_NS1_11comp_targetILNS1_3genE10ELNS1_11target_archE1200ELNS1_3gpuE4ELNS1_3repE0EEENS1_30default_config_static_selectorELNS0_4arch9wavefront6targetE1EEEvT1_.kd
    .uniform_work_group_size: 1
    .uses_dynamic_stack: false
    .vgpr_count:     0
    .vgpr_spill_count: 0
    .wavefront_size: 64
  - .agpr_count:     0
    .args:
      - .offset:         0
        .size:           136
        .value_kind:     by_value
    .group_segment_fixed_size: 0
    .kernarg_segment_align: 8
    .kernarg_segment_size: 136
    .language:       OpenCL C
    .language_version:
      - 2
      - 0
    .max_flat_workgroup_size: 256
    .name:           _ZN7rocprim17ROCPRIM_400000_NS6detail17trampoline_kernelINS0_14default_configENS1_27scan_by_key_config_selectorIidEEZZNS1_16scan_by_key_implILNS1_25lookback_scan_determinismE0ELb0ES3_N6thrust23THRUST_200600_302600_NS6detail15normal_iteratorINS9_10device_ptrIiEEEENSB_INSC_IdEEEESG_dNS9_4plusIvEENS9_8equal_toIvEEdEE10hipError_tPvRmT2_T3_T4_T5_mT6_T7_P12ihipStream_tbENKUlT_T0_E_clISt17integral_constantIbLb1EES10_IbLb0EEEEDaSW_SX_EUlSW_E_NS1_11comp_targetILNS1_3genE9ELNS1_11target_archE1100ELNS1_3gpuE3ELNS1_3repE0EEENS1_30default_config_static_selectorELNS0_4arch9wavefront6targetE1EEEvT1_
    .private_segment_fixed_size: 0
    .sgpr_count:     4
    .sgpr_spill_count: 0
    .symbol:         _ZN7rocprim17ROCPRIM_400000_NS6detail17trampoline_kernelINS0_14default_configENS1_27scan_by_key_config_selectorIidEEZZNS1_16scan_by_key_implILNS1_25lookback_scan_determinismE0ELb0ES3_N6thrust23THRUST_200600_302600_NS6detail15normal_iteratorINS9_10device_ptrIiEEEENSB_INSC_IdEEEESG_dNS9_4plusIvEENS9_8equal_toIvEEdEE10hipError_tPvRmT2_T3_T4_T5_mT6_T7_P12ihipStream_tbENKUlT_T0_E_clISt17integral_constantIbLb1EES10_IbLb0EEEEDaSW_SX_EUlSW_E_NS1_11comp_targetILNS1_3genE9ELNS1_11target_archE1100ELNS1_3gpuE3ELNS1_3repE0EEENS1_30default_config_static_selectorELNS0_4arch9wavefront6targetE1EEEvT1_.kd
    .uniform_work_group_size: 1
    .uses_dynamic_stack: false
    .vgpr_count:     0
    .vgpr_spill_count: 0
    .wavefront_size: 64
  - .agpr_count:     0
    .args:
      - .offset:         0
        .size:           136
        .value_kind:     by_value
    .group_segment_fixed_size: 0
    .kernarg_segment_align: 8
    .kernarg_segment_size: 136
    .language:       OpenCL C
    .language_version:
      - 2
      - 0
    .max_flat_workgroup_size: 256
    .name:           _ZN7rocprim17ROCPRIM_400000_NS6detail17trampoline_kernelINS0_14default_configENS1_27scan_by_key_config_selectorIidEEZZNS1_16scan_by_key_implILNS1_25lookback_scan_determinismE0ELb0ES3_N6thrust23THRUST_200600_302600_NS6detail15normal_iteratorINS9_10device_ptrIiEEEENSB_INSC_IdEEEESG_dNS9_4plusIvEENS9_8equal_toIvEEdEE10hipError_tPvRmT2_T3_T4_T5_mT6_T7_P12ihipStream_tbENKUlT_T0_E_clISt17integral_constantIbLb1EES10_IbLb0EEEEDaSW_SX_EUlSW_E_NS1_11comp_targetILNS1_3genE8ELNS1_11target_archE1030ELNS1_3gpuE2ELNS1_3repE0EEENS1_30default_config_static_selectorELNS0_4arch9wavefront6targetE1EEEvT1_
    .private_segment_fixed_size: 0
    .sgpr_count:     4
    .sgpr_spill_count: 0
    .symbol:         _ZN7rocprim17ROCPRIM_400000_NS6detail17trampoline_kernelINS0_14default_configENS1_27scan_by_key_config_selectorIidEEZZNS1_16scan_by_key_implILNS1_25lookback_scan_determinismE0ELb0ES3_N6thrust23THRUST_200600_302600_NS6detail15normal_iteratorINS9_10device_ptrIiEEEENSB_INSC_IdEEEESG_dNS9_4plusIvEENS9_8equal_toIvEEdEE10hipError_tPvRmT2_T3_T4_T5_mT6_T7_P12ihipStream_tbENKUlT_T0_E_clISt17integral_constantIbLb1EES10_IbLb0EEEEDaSW_SX_EUlSW_E_NS1_11comp_targetILNS1_3genE8ELNS1_11target_archE1030ELNS1_3gpuE2ELNS1_3repE0EEENS1_30default_config_static_selectorELNS0_4arch9wavefront6targetE1EEEvT1_.kd
    .uniform_work_group_size: 1
    .uses_dynamic_stack: false
    .vgpr_count:     0
    .vgpr_spill_count: 0
    .wavefront_size: 64
  - .agpr_count:     0
    .args:
      - .offset:         0
        .size:           24
        .value_kind:     by_value
      - .offset:         24
        .size:           4
        .value_kind:     by_value
      - .offset:         28
        .size:           4
        .value_kind:     by_value
      - .address_space:  global
        .offset:         32
        .size:           8
        .value_kind:     global_buffer
      - .address_space:  global
        .offset:         40
        .size:           8
        .value_kind:     global_buffer
      - .actual_access:  write_only
        .address_space:  global
        .offset:         48
        .size:           8
        .value_kind:     global_buffer
      - .offset:         56
        .size:           8
        .value_kind:     by_value
      - .offset:         64
        .size:           4
        .value_kind:     by_value
      - .address_space:  global
        .offset:         72
        .size:           8
        .value_kind:     global_buffer
      - .offset:         80
        .size:           4
        .value_kind:     hidden_block_count_x
      - .offset:         84
        .size:           4
        .value_kind:     hidden_block_count_y
      - .offset:         88
        .size:           4
        .value_kind:     hidden_block_count_z
      - .offset:         92
        .size:           2
        .value_kind:     hidden_group_size_x
      - .offset:         94
        .size:           2
        .value_kind:     hidden_group_size_y
      - .offset:         96
        .size:           2
        .value_kind:     hidden_group_size_z
      - .offset:         98
        .size:           2
        .value_kind:     hidden_remainder_x
      - .offset:         100
        .size:           2
        .value_kind:     hidden_remainder_y
      - .offset:         102
        .size:           2
        .value_kind:     hidden_remainder_z
      - .offset:         120
        .size:           8
        .value_kind:     hidden_global_offset_x
      - .offset:         128
        .size:           8
        .value_kind:     hidden_global_offset_y
      - .offset:         136
        .size:           8
        .value_kind:     hidden_global_offset_z
      - .offset:         144
        .size:           2
        .value_kind:     hidden_grid_dims
    .group_segment_fixed_size: 0
    .kernarg_segment_align: 8
    .kernarg_segment_size: 336
    .language:       OpenCL C
    .language_version:
      - 2
      - 0
    .max_flat_workgroup_size: 256
    .name:           _ZN7rocprim17ROCPRIM_400000_NS6detail30init_device_scan_by_key_kernelINS1_19lookback_scan_stateINS0_5tupleIJdbEEELb0ELb0EEEN6thrust23THRUST_200600_302600_NS6detail15normal_iteratorINS8_10device_ptrIiEEEEjNS1_16block_id_wrapperIjLb1EEEEEvT_jjPNSG_10value_typeET0_PNSt15iterator_traitsISJ_E10value_typeEmT1_T2_
    .private_segment_fixed_size: 0
    .sgpr_count:     26
    .sgpr_spill_count: 0
    .symbol:         _ZN7rocprim17ROCPRIM_400000_NS6detail30init_device_scan_by_key_kernelINS1_19lookback_scan_stateINS0_5tupleIJdbEEELb0ELb0EEEN6thrust23THRUST_200600_302600_NS6detail15normal_iteratorINS8_10device_ptrIiEEEEjNS1_16block_id_wrapperIjLb1EEEEEvT_jjPNSG_10value_typeET0_PNSt15iterator_traitsISJ_E10value_typeEmT1_T2_.kd
    .uniform_work_group_size: 1
    .uses_dynamic_stack: false
    .vgpr_count:     10
    .vgpr_spill_count: 0
    .wavefront_size: 64
  - .agpr_count:     0
    .args:
      - .offset:         0
        .size:           24
        .value_kind:     by_value
      - .offset:         24
        .size:           4
        .value_kind:     by_value
      - .offset:         28
        .size:           4
        .value_kind:     by_value
      - .address_space:  global
        .offset:         32
        .size:           8
        .value_kind:     global_buffer
      - .address_space:  global
        .offset:         40
        .size:           8
        .value_kind:     global_buffer
      - .offset:         48
        .size:           4
        .value_kind:     hidden_block_count_x
      - .offset:         52
        .size:           4
        .value_kind:     hidden_block_count_y
      - .offset:         56
        .size:           4
        .value_kind:     hidden_block_count_z
      - .offset:         60
        .size:           2
        .value_kind:     hidden_group_size_x
      - .offset:         62
        .size:           2
        .value_kind:     hidden_group_size_y
      - .offset:         64
        .size:           2
        .value_kind:     hidden_group_size_z
      - .offset:         66
        .size:           2
        .value_kind:     hidden_remainder_x
      - .offset:         68
        .size:           2
        .value_kind:     hidden_remainder_y
      - .offset:         70
        .size:           2
        .value_kind:     hidden_remainder_z
      - .offset:         88
        .size:           8
        .value_kind:     hidden_global_offset_x
      - .offset:         96
        .size:           8
        .value_kind:     hidden_global_offset_y
      - .offset:         104
        .size:           8
        .value_kind:     hidden_global_offset_z
      - .offset:         112
        .size:           2
        .value_kind:     hidden_grid_dims
    .group_segment_fixed_size: 0
    .kernarg_segment_align: 8
    .kernarg_segment_size: 304
    .language:       OpenCL C
    .language_version:
      - 2
      - 0
    .max_flat_workgroup_size: 256
    .name:           _ZN7rocprim17ROCPRIM_400000_NS6detail30init_device_scan_by_key_kernelINS1_19lookback_scan_stateINS0_5tupleIJdbEEELb0ELb0EEENS1_16block_id_wrapperIjLb1EEEEEvT_jjPNS9_10value_typeET0_
    .private_segment_fixed_size: 0
    .sgpr_count:     22
    .sgpr_spill_count: 0
    .symbol:         _ZN7rocprim17ROCPRIM_400000_NS6detail30init_device_scan_by_key_kernelINS1_19lookback_scan_stateINS0_5tupleIJdbEEELb0ELb0EEENS1_16block_id_wrapperIjLb1EEEEEvT_jjPNS9_10value_typeET0_.kd
    .uniform_work_group_size: 1
    .uses_dynamic_stack: false
    .vgpr_count:     5
    .vgpr_spill_count: 0
    .wavefront_size: 64
  - .agpr_count:     0
    .args:
      - .offset:         0
        .size:           136
        .value_kind:     by_value
    .group_segment_fixed_size: 0
    .kernarg_segment_align: 8
    .kernarg_segment_size: 136
    .language:       OpenCL C
    .language_version:
      - 2
      - 0
    .max_flat_workgroup_size: 128
    .name:           _ZN7rocprim17ROCPRIM_400000_NS6detail17trampoline_kernelINS0_14default_configENS1_27scan_by_key_config_selectorIidEEZZNS1_16scan_by_key_implILNS1_25lookback_scan_determinismE0ELb0ES3_N6thrust23THRUST_200600_302600_NS6detail15normal_iteratorINS9_10device_ptrIiEEEENSB_INSC_IdEEEESG_dNS9_4plusIvEENS9_8equal_toIvEEdEE10hipError_tPvRmT2_T3_T4_T5_mT6_T7_P12ihipStream_tbENKUlT_T0_E_clISt17integral_constantIbLb0EES10_IbLb1EEEEDaSW_SX_EUlSW_E_NS1_11comp_targetILNS1_3genE0ELNS1_11target_archE4294967295ELNS1_3gpuE0ELNS1_3repE0EEENS1_30default_config_static_selectorELNS0_4arch9wavefront6targetE1EEEvT1_
    .private_segment_fixed_size: 0
    .sgpr_count:     4
    .sgpr_spill_count: 0
    .symbol:         _ZN7rocprim17ROCPRIM_400000_NS6detail17trampoline_kernelINS0_14default_configENS1_27scan_by_key_config_selectorIidEEZZNS1_16scan_by_key_implILNS1_25lookback_scan_determinismE0ELb0ES3_N6thrust23THRUST_200600_302600_NS6detail15normal_iteratorINS9_10device_ptrIiEEEENSB_INSC_IdEEEESG_dNS9_4plusIvEENS9_8equal_toIvEEdEE10hipError_tPvRmT2_T3_T4_T5_mT6_T7_P12ihipStream_tbENKUlT_T0_E_clISt17integral_constantIbLb0EES10_IbLb1EEEEDaSW_SX_EUlSW_E_NS1_11comp_targetILNS1_3genE0ELNS1_11target_archE4294967295ELNS1_3gpuE0ELNS1_3repE0EEENS1_30default_config_static_selectorELNS0_4arch9wavefront6targetE1EEEvT1_.kd
    .uniform_work_group_size: 1
    .uses_dynamic_stack: false
    .vgpr_count:     0
    .vgpr_spill_count: 0
    .wavefront_size: 64
  - .agpr_count:     0
    .args:
      - .offset:         0
        .size:           136
        .value_kind:     by_value
    .group_segment_fixed_size: 0
    .kernarg_segment_align: 8
    .kernarg_segment_size: 136
    .language:       OpenCL C
    .language_version:
      - 2
      - 0
    .max_flat_workgroup_size: 256
    .name:           _ZN7rocprim17ROCPRIM_400000_NS6detail17trampoline_kernelINS0_14default_configENS1_27scan_by_key_config_selectorIidEEZZNS1_16scan_by_key_implILNS1_25lookback_scan_determinismE0ELb0ES3_N6thrust23THRUST_200600_302600_NS6detail15normal_iteratorINS9_10device_ptrIiEEEENSB_INSC_IdEEEESG_dNS9_4plusIvEENS9_8equal_toIvEEdEE10hipError_tPvRmT2_T3_T4_T5_mT6_T7_P12ihipStream_tbENKUlT_T0_E_clISt17integral_constantIbLb0EES10_IbLb1EEEEDaSW_SX_EUlSW_E_NS1_11comp_targetILNS1_3genE10ELNS1_11target_archE1201ELNS1_3gpuE5ELNS1_3repE0EEENS1_30default_config_static_selectorELNS0_4arch9wavefront6targetE1EEEvT1_
    .private_segment_fixed_size: 0
    .sgpr_count:     4
    .sgpr_spill_count: 0
    .symbol:         _ZN7rocprim17ROCPRIM_400000_NS6detail17trampoline_kernelINS0_14default_configENS1_27scan_by_key_config_selectorIidEEZZNS1_16scan_by_key_implILNS1_25lookback_scan_determinismE0ELb0ES3_N6thrust23THRUST_200600_302600_NS6detail15normal_iteratorINS9_10device_ptrIiEEEENSB_INSC_IdEEEESG_dNS9_4plusIvEENS9_8equal_toIvEEdEE10hipError_tPvRmT2_T3_T4_T5_mT6_T7_P12ihipStream_tbENKUlT_T0_E_clISt17integral_constantIbLb0EES10_IbLb1EEEEDaSW_SX_EUlSW_E_NS1_11comp_targetILNS1_3genE10ELNS1_11target_archE1201ELNS1_3gpuE5ELNS1_3repE0EEENS1_30default_config_static_selectorELNS0_4arch9wavefront6targetE1EEEvT1_.kd
    .uniform_work_group_size: 1
    .uses_dynamic_stack: false
    .vgpr_count:     0
    .vgpr_spill_count: 0
    .wavefront_size: 64
  - .agpr_count:     0
    .args:
      - .offset:         0
        .size:           136
        .value_kind:     by_value
    .group_segment_fixed_size: 0
    .kernarg_segment_align: 8
    .kernarg_segment_size: 136
    .language:       OpenCL C
    .language_version:
      - 2
      - 0
    .max_flat_workgroup_size: 256
    .name:           _ZN7rocprim17ROCPRIM_400000_NS6detail17trampoline_kernelINS0_14default_configENS1_27scan_by_key_config_selectorIidEEZZNS1_16scan_by_key_implILNS1_25lookback_scan_determinismE0ELb0ES3_N6thrust23THRUST_200600_302600_NS6detail15normal_iteratorINS9_10device_ptrIiEEEENSB_INSC_IdEEEESG_dNS9_4plusIvEENS9_8equal_toIvEEdEE10hipError_tPvRmT2_T3_T4_T5_mT6_T7_P12ihipStream_tbENKUlT_T0_E_clISt17integral_constantIbLb0EES10_IbLb1EEEEDaSW_SX_EUlSW_E_NS1_11comp_targetILNS1_3genE5ELNS1_11target_archE942ELNS1_3gpuE9ELNS1_3repE0EEENS1_30default_config_static_selectorELNS0_4arch9wavefront6targetE1EEEvT1_
    .private_segment_fixed_size: 0
    .sgpr_count:     4
    .sgpr_spill_count: 0
    .symbol:         _ZN7rocprim17ROCPRIM_400000_NS6detail17trampoline_kernelINS0_14default_configENS1_27scan_by_key_config_selectorIidEEZZNS1_16scan_by_key_implILNS1_25lookback_scan_determinismE0ELb0ES3_N6thrust23THRUST_200600_302600_NS6detail15normal_iteratorINS9_10device_ptrIiEEEENSB_INSC_IdEEEESG_dNS9_4plusIvEENS9_8equal_toIvEEdEE10hipError_tPvRmT2_T3_T4_T5_mT6_T7_P12ihipStream_tbENKUlT_T0_E_clISt17integral_constantIbLb0EES10_IbLb1EEEEDaSW_SX_EUlSW_E_NS1_11comp_targetILNS1_3genE5ELNS1_11target_archE942ELNS1_3gpuE9ELNS1_3repE0EEENS1_30default_config_static_selectorELNS0_4arch9wavefront6targetE1EEEvT1_.kd
    .uniform_work_group_size: 1
    .uses_dynamic_stack: false
    .vgpr_count:     0
    .vgpr_spill_count: 0
    .wavefront_size: 64
  - .agpr_count:     0
    .args:
      - .offset:         0
        .size:           136
        .value_kind:     by_value
    .group_segment_fixed_size: 10752
    .kernarg_segment_align: 8
    .kernarg_segment_size: 136
    .language:       OpenCL C
    .language_version:
      - 2
      - 0
    .max_flat_workgroup_size: 64
    .name:           _ZN7rocprim17ROCPRIM_400000_NS6detail17trampoline_kernelINS0_14default_configENS1_27scan_by_key_config_selectorIidEEZZNS1_16scan_by_key_implILNS1_25lookback_scan_determinismE0ELb0ES3_N6thrust23THRUST_200600_302600_NS6detail15normal_iteratorINS9_10device_ptrIiEEEENSB_INSC_IdEEEESG_dNS9_4plusIvEENS9_8equal_toIvEEdEE10hipError_tPvRmT2_T3_T4_T5_mT6_T7_P12ihipStream_tbENKUlT_T0_E_clISt17integral_constantIbLb0EES10_IbLb1EEEEDaSW_SX_EUlSW_E_NS1_11comp_targetILNS1_3genE4ELNS1_11target_archE910ELNS1_3gpuE8ELNS1_3repE0EEENS1_30default_config_static_selectorELNS0_4arch9wavefront6targetE1EEEvT1_
    .private_segment_fixed_size: 0
    .sgpr_count:     100
    .sgpr_spill_count: 14
    .symbol:         _ZN7rocprim17ROCPRIM_400000_NS6detail17trampoline_kernelINS0_14default_configENS1_27scan_by_key_config_selectorIidEEZZNS1_16scan_by_key_implILNS1_25lookback_scan_determinismE0ELb0ES3_N6thrust23THRUST_200600_302600_NS6detail15normal_iteratorINS9_10device_ptrIiEEEENSB_INSC_IdEEEESG_dNS9_4plusIvEENS9_8equal_toIvEEdEE10hipError_tPvRmT2_T3_T4_T5_mT6_T7_P12ihipStream_tbENKUlT_T0_E_clISt17integral_constantIbLb0EES10_IbLb1EEEEDaSW_SX_EUlSW_E_NS1_11comp_targetILNS1_3genE4ELNS1_11target_archE910ELNS1_3gpuE8ELNS1_3repE0EEENS1_30default_config_static_selectorELNS0_4arch9wavefront6targetE1EEEvT1_.kd
    .uniform_work_group_size: 1
    .uses_dynamic_stack: false
    .vgpr_count:     136
    .vgpr_spill_count: 0
    .wavefront_size: 64
  - .agpr_count:     0
    .args:
      - .offset:         0
        .size:           136
        .value_kind:     by_value
    .group_segment_fixed_size: 0
    .kernarg_segment_align: 8
    .kernarg_segment_size: 136
    .language:       OpenCL C
    .language_version:
      - 2
      - 0
    .max_flat_workgroup_size: 128
    .name:           _ZN7rocprim17ROCPRIM_400000_NS6detail17trampoline_kernelINS0_14default_configENS1_27scan_by_key_config_selectorIidEEZZNS1_16scan_by_key_implILNS1_25lookback_scan_determinismE0ELb0ES3_N6thrust23THRUST_200600_302600_NS6detail15normal_iteratorINS9_10device_ptrIiEEEENSB_INSC_IdEEEESG_dNS9_4plusIvEENS9_8equal_toIvEEdEE10hipError_tPvRmT2_T3_T4_T5_mT6_T7_P12ihipStream_tbENKUlT_T0_E_clISt17integral_constantIbLb0EES10_IbLb1EEEEDaSW_SX_EUlSW_E_NS1_11comp_targetILNS1_3genE3ELNS1_11target_archE908ELNS1_3gpuE7ELNS1_3repE0EEENS1_30default_config_static_selectorELNS0_4arch9wavefront6targetE1EEEvT1_
    .private_segment_fixed_size: 0
    .sgpr_count:     4
    .sgpr_spill_count: 0
    .symbol:         _ZN7rocprim17ROCPRIM_400000_NS6detail17trampoline_kernelINS0_14default_configENS1_27scan_by_key_config_selectorIidEEZZNS1_16scan_by_key_implILNS1_25lookback_scan_determinismE0ELb0ES3_N6thrust23THRUST_200600_302600_NS6detail15normal_iteratorINS9_10device_ptrIiEEEENSB_INSC_IdEEEESG_dNS9_4plusIvEENS9_8equal_toIvEEdEE10hipError_tPvRmT2_T3_T4_T5_mT6_T7_P12ihipStream_tbENKUlT_T0_E_clISt17integral_constantIbLb0EES10_IbLb1EEEEDaSW_SX_EUlSW_E_NS1_11comp_targetILNS1_3genE3ELNS1_11target_archE908ELNS1_3gpuE7ELNS1_3repE0EEENS1_30default_config_static_selectorELNS0_4arch9wavefront6targetE1EEEvT1_.kd
    .uniform_work_group_size: 1
    .uses_dynamic_stack: false
    .vgpr_count:     0
    .vgpr_spill_count: 0
    .wavefront_size: 64
  - .agpr_count:     0
    .args:
      - .offset:         0
        .size:           136
        .value_kind:     by_value
    .group_segment_fixed_size: 0
    .kernarg_segment_align: 8
    .kernarg_segment_size: 136
    .language:       OpenCL C
    .language_version:
      - 2
      - 0
    .max_flat_workgroup_size: 64
    .name:           _ZN7rocprim17ROCPRIM_400000_NS6detail17trampoline_kernelINS0_14default_configENS1_27scan_by_key_config_selectorIidEEZZNS1_16scan_by_key_implILNS1_25lookback_scan_determinismE0ELb0ES3_N6thrust23THRUST_200600_302600_NS6detail15normal_iteratorINS9_10device_ptrIiEEEENSB_INSC_IdEEEESG_dNS9_4plusIvEENS9_8equal_toIvEEdEE10hipError_tPvRmT2_T3_T4_T5_mT6_T7_P12ihipStream_tbENKUlT_T0_E_clISt17integral_constantIbLb0EES10_IbLb1EEEEDaSW_SX_EUlSW_E_NS1_11comp_targetILNS1_3genE2ELNS1_11target_archE906ELNS1_3gpuE6ELNS1_3repE0EEENS1_30default_config_static_selectorELNS0_4arch9wavefront6targetE1EEEvT1_
    .private_segment_fixed_size: 0
    .sgpr_count:     4
    .sgpr_spill_count: 0
    .symbol:         _ZN7rocprim17ROCPRIM_400000_NS6detail17trampoline_kernelINS0_14default_configENS1_27scan_by_key_config_selectorIidEEZZNS1_16scan_by_key_implILNS1_25lookback_scan_determinismE0ELb0ES3_N6thrust23THRUST_200600_302600_NS6detail15normal_iteratorINS9_10device_ptrIiEEEENSB_INSC_IdEEEESG_dNS9_4plusIvEENS9_8equal_toIvEEdEE10hipError_tPvRmT2_T3_T4_T5_mT6_T7_P12ihipStream_tbENKUlT_T0_E_clISt17integral_constantIbLb0EES10_IbLb1EEEEDaSW_SX_EUlSW_E_NS1_11comp_targetILNS1_3genE2ELNS1_11target_archE906ELNS1_3gpuE6ELNS1_3repE0EEENS1_30default_config_static_selectorELNS0_4arch9wavefront6targetE1EEEvT1_.kd
    .uniform_work_group_size: 1
    .uses_dynamic_stack: false
    .vgpr_count:     0
    .vgpr_spill_count: 0
    .wavefront_size: 64
  - .agpr_count:     0
    .args:
      - .offset:         0
        .size:           136
        .value_kind:     by_value
    .group_segment_fixed_size: 0
    .kernarg_segment_align: 8
    .kernarg_segment_size: 136
    .language:       OpenCL C
    .language_version:
      - 2
      - 0
    .max_flat_workgroup_size: 256
    .name:           _ZN7rocprim17ROCPRIM_400000_NS6detail17trampoline_kernelINS0_14default_configENS1_27scan_by_key_config_selectorIidEEZZNS1_16scan_by_key_implILNS1_25lookback_scan_determinismE0ELb0ES3_N6thrust23THRUST_200600_302600_NS6detail15normal_iteratorINS9_10device_ptrIiEEEENSB_INSC_IdEEEESG_dNS9_4plusIvEENS9_8equal_toIvEEdEE10hipError_tPvRmT2_T3_T4_T5_mT6_T7_P12ihipStream_tbENKUlT_T0_E_clISt17integral_constantIbLb0EES10_IbLb1EEEEDaSW_SX_EUlSW_E_NS1_11comp_targetILNS1_3genE10ELNS1_11target_archE1200ELNS1_3gpuE4ELNS1_3repE0EEENS1_30default_config_static_selectorELNS0_4arch9wavefront6targetE1EEEvT1_
    .private_segment_fixed_size: 0
    .sgpr_count:     4
    .sgpr_spill_count: 0
    .symbol:         _ZN7rocprim17ROCPRIM_400000_NS6detail17trampoline_kernelINS0_14default_configENS1_27scan_by_key_config_selectorIidEEZZNS1_16scan_by_key_implILNS1_25lookback_scan_determinismE0ELb0ES3_N6thrust23THRUST_200600_302600_NS6detail15normal_iteratorINS9_10device_ptrIiEEEENSB_INSC_IdEEEESG_dNS9_4plusIvEENS9_8equal_toIvEEdEE10hipError_tPvRmT2_T3_T4_T5_mT6_T7_P12ihipStream_tbENKUlT_T0_E_clISt17integral_constantIbLb0EES10_IbLb1EEEEDaSW_SX_EUlSW_E_NS1_11comp_targetILNS1_3genE10ELNS1_11target_archE1200ELNS1_3gpuE4ELNS1_3repE0EEENS1_30default_config_static_selectorELNS0_4arch9wavefront6targetE1EEEvT1_.kd
    .uniform_work_group_size: 1
    .uses_dynamic_stack: false
    .vgpr_count:     0
    .vgpr_spill_count: 0
    .wavefront_size: 64
  - .agpr_count:     0
    .args:
      - .offset:         0
        .size:           136
        .value_kind:     by_value
    .group_segment_fixed_size: 0
    .kernarg_segment_align: 8
    .kernarg_segment_size: 136
    .language:       OpenCL C
    .language_version:
      - 2
      - 0
    .max_flat_workgroup_size: 256
    .name:           _ZN7rocprim17ROCPRIM_400000_NS6detail17trampoline_kernelINS0_14default_configENS1_27scan_by_key_config_selectorIidEEZZNS1_16scan_by_key_implILNS1_25lookback_scan_determinismE0ELb0ES3_N6thrust23THRUST_200600_302600_NS6detail15normal_iteratorINS9_10device_ptrIiEEEENSB_INSC_IdEEEESG_dNS9_4plusIvEENS9_8equal_toIvEEdEE10hipError_tPvRmT2_T3_T4_T5_mT6_T7_P12ihipStream_tbENKUlT_T0_E_clISt17integral_constantIbLb0EES10_IbLb1EEEEDaSW_SX_EUlSW_E_NS1_11comp_targetILNS1_3genE9ELNS1_11target_archE1100ELNS1_3gpuE3ELNS1_3repE0EEENS1_30default_config_static_selectorELNS0_4arch9wavefront6targetE1EEEvT1_
    .private_segment_fixed_size: 0
    .sgpr_count:     4
    .sgpr_spill_count: 0
    .symbol:         _ZN7rocprim17ROCPRIM_400000_NS6detail17trampoline_kernelINS0_14default_configENS1_27scan_by_key_config_selectorIidEEZZNS1_16scan_by_key_implILNS1_25lookback_scan_determinismE0ELb0ES3_N6thrust23THRUST_200600_302600_NS6detail15normal_iteratorINS9_10device_ptrIiEEEENSB_INSC_IdEEEESG_dNS9_4plusIvEENS9_8equal_toIvEEdEE10hipError_tPvRmT2_T3_T4_T5_mT6_T7_P12ihipStream_tbENKUlT_T0_E_clISt17integral_constantIbLb0EES10_IbLb1EEEEDaSW_SX_EUlSW_E_NS1_11comp_targetILNS1_3genE9ELNS1_11target_archE1100ELNS1_3gpuE3ELNS1_3repE0EEENS1_30default_config_static_selectorELNS0_4arch9wavefront6targetE1EEEvT1_.kd
    .uniform_work_group_size: 1
    .uses_dynamic_stack: false
    .vgpr_count:     0
    .vgpr_spill_count: 0
    .wavefront_size: 64
  - .agpr_count:     0
    .args:
      - .offset:         0
        .size:           136
        .value_kind:     by_value
    .group_segment_fixed_size: 0
    .kernarg_segment_align: 8
    .kernarg_segment_size: 136
    .language:       OpenCL C
    .language_version:
      - 2
      - 0
    .max_flat_workgroup_size: 256
    .name:           _ZN7rocprim17ROCPRIM_400000_NS6detail17trampoline_kernelINS0_14default_configENS1_27scan_by_key_config_selectorIidEEZZNS1_16scan_by_key_implILNS1_25lookback_scan_determinismE0ELb0ES3_N6thrust23THRUST_200600_302600_NS6detail15normal_iteratorINS9_10device_ptrIiEEEENSB_INSC_IdEEEESG_dNS9_4plusIvEENS9_8equal_toIvEEdEE10hipError_tPvRmT2_T3_T4_T5_mT6_T7_P12ihipStream_tbENKUlT_T0_E_clISt17integral_constantIbLb0EES10_IbLb1EEEEDaSW_SX_EUlSW_E_NS1_11comp_targetILNS1_3genE8ELNS1_11target_archE1030ELNS1_3gpuE2ELNS1_3repE0EEENS1_30default_config_static_selectorELNS0_4arch9wavefront6targetE1EEEvT1_
    .private_segment_fixed_size: 0
    .sgpr_count:     4
    .sgpr_spill_count: 0
    .symbol:         _ZN7rocprim17ROCPRIM_400000_NS6detail17trampoline_kernelINS0_14default_configENS1_27scan_by_key_config_selectorIidEEZZNS1_16scan_by_key_implILNS1_25lookback_scan_determinismE0ELb0ES3_N6thrust23THRUST_200600_302600_NS6detail15normal_iteratorINS9_10device_ptrIiEEEENSB_INSC_IdEEEESG_dNS9_4plusIvEENS9_8equal_toIvEEdEE10hipError_tPvRmT2_T3_T4_T5_mT6_T7_P12ihipStream_tbENKUlT_T0_E_clISt17integral_constantIbLb0EES10_IbLb1EEEEDaSW_SX_EUlSW_E_NS1_11comp_targetILNS1_3genE8ELNS1_11target_archE1030ELNS1_3gpuE2ELNS1_3repE0EEENS1_30default_config_static_selectorELNS0_4arch9wavefront6targetE1EEEvT1_.kd
    .uniform_work_group_size: 1
    .uses_dynamic_stack: false
    .vgpr_count:     0
    .vgpr_spill_count: 0
    .wavefront_size: 64
  - .agpr_count:     0
    .args:
      - .offset:         0
        .size:           24
        .value_kind:     by_value
      - .offset:         24
        .size:           8
        .value_kind:     by_value
      - .offset:         32
        .size:           8
        .value_kind:     by_value
    .group_segment_fixed_size: 0
    .kernarg_segment_align: 8
    .kernarg_segment_size: 40
    .language:       OpenCL C
    .language_version:
      - 2
      - 0
    .max_flat_workgroup_size: 256
    .name:           _ZN6thrust23THRUST_200600_302600_NS11hip_rocprim14__parallel_for6kernelILj256ENS1_11__transform17unary_transform_fINS0_7pointerIiNS1_3tagENS0_11use_defaultES8_EENS0_10device_ptrIfEENS4_14no_stencil_tagENS0_8identityIiEENS4_21always_true_predicateEEElLj1EEEvT0_T1_SI_
    .private_segment_fixed_size: 0
    .sgpr_count:     16
    .sgpr_spill_count: 0
    .symbol:         _ZN6thrust23THRUST_200600_302600_NS11hip_rocprim14__parallel_for6kernelILj256ENS1_11__transform17unary_transform_fINS0_7pointerIiNS1_3tagENS0_11use_defaultES8_EENS0_10device_ptrIfEENS4_14no_stencil_tagENS0_8identityIiEENS4_21always_true_predicateEEElLj1EEEvT0_T1_SI_.kd
    .uniform_work_group_size: 1
    .uses_dynamic_stack: false
    .vgpr_count:     6
    .vgpr_spill_count: 0
    .wavefront_size: 64
  - .agpr_count:     0
    .args:
      - .address_space:  global
        .offset:         0
        .size:           8
        .value_kind:     global_buffer
      - .offset:         8
        .size:           4
        .value_kind:     by_value
      - .offset:         12
        .size:           4
        .value_kind:     by_value
      - .address_space:  global
        .offset:         16
        .size:           8
        .value_kind:     global_buffer
      - .address_space:  global
        .offset:         24
        .size:           8
        .value_kind:     global_buffer
      - .actual_access:  write_only
        .address_space:  global
        .offset:         32
        .size:           8
        .value_kind:     global_buffer
      - .offset:         40
        .size:           8
        .value_kind:     by_value
      - .offset:         48
        .size:           4
        .value_kind:     by_value
      - .offset:         52
        .size:           1
        .value_kind:     by_value
      - .offset:         56
        .size:           4
        .value_kind:     hidden_block_count_x
      - .offset:         60
        .size:           4
        .value_kind:     hidden_block_count_y
      - .offset:         64
        .size:           4
        .value_kind:     hidden_block_count_z
      - .offset:         68
        .size:           2
        .value_kind:     hidden_group_size_x
      - .offset:         70
        .size:           2
        .value_kind:     hidden_group_size_y
      - .offset:         72
        .size:           2
        .value_kind:     hidden_group_size_z
      - .offset:         74
        .size:           2
        .value_kind:     hidden_remainder_x
      - .offset:         76
        .size:           2
        .value_kind:     hidden_remainder_y
      - .offset:         78
        .size:           2
        .value_kind:     hidden_remainder_z
      - .offset:         96
        .size:           8
        .value_kind:     hidden_global_offset_x
      - .offset:         104
        .size:           8
        .value_kind:     hidden_global_offset_y
      - .offset:         112
        .size:           8
        .value_kind:     hidden_global_offset_z
      - .offset:         120
        .size:           2
        .value_kind:     hidden_grid_dims
    .group_segment_fixed_size: 0
    .kernarg_segment_align: 8
    .kernarg_segment_size: 312
    .language:       OpenCL C
    .language_version:
      - 2
      - 0
    .max_flat_workgroup_size: 256
    .name:           _ZN7rocprim17ROCPRIM_400000_NS6detail30init_device_scan_by_key_kernelINS1_19lookback_scan_stateINS0_5tupleIJfbEEELb0ELb1EEEN6thrust23THRUST_200600_302600_NS6detail15normal_iteratorINS8_10device_ptrIiEEEEjNS1_16block_id_wrapperIjLb0EEEEEvT_jjPNSG_10value_typeET0_PNSt15iterator_traitsISJ_E10value_typeEmT1_T2_
    .private_segment_fixed_size: 0
    .sgpr_count:     24
    .sgpr_spill_count: 0
    .symbol:         _ZN7rocprim17ROCPRIM_400000_NS6detail30init_device_scan_by_key_kernelINS1_19lookback_scan_stateINS0_5tupleIJfbEEELb0ELb1EEEN6thrust23THRUST_200600_302600_NS6detail15normal_iteratorINS8_10device_ptrIiEEEEjNS1_16block_id_wrapperIjLb0EEEEEvT_jjPNSG_10value_typeET0_PNSt15iterator_traitsISJ_E10value_typeEmT1_T2_.kd
    .uniform_work_group_size: 1
    .uses_dynamic_stack: false
    .vgpr_count:     10
    .vgpr_spill_count: 0
    .wavefront_size: 64
  - .agpr_count:     0
    .args:
      - .address_space:  global
        .offset:         0
        .size:           8
        .value_kind:     global_buffer
      - .offset:         8
        .size:           4
        .value_kind:     by_value
      - .offset:         12
        .size:           4
        .value_kind:     by_value
      - .address_space:  global
        .offset:         16
        .size:           8
        .value_kind:     global_buffer
      - .offset:         24
        .size:           1
        .value_kind:     by_value
      - .offset:         32
        .size:           4
        .value_kind:     hidden_block_count_x
      - .offset:         36
        .size:           4
        .value_kind:     hidden_block_count_y
      - .offset:         40
        .size:           4
        .value_kind:     hidden_block_count_z
      - .offset:         44
        .size:           2
        .value_kind:     hidden_group_size_x
      - .offset:         46
        .size:           2
        .value_kind:     hidden_group_size_y
      - .offset:         48
        .size:           2
        .value_kind:     hidden_group_size_z
      - .offset:         50
        .size:           2
        .value_kind:     hidden_remainder_x
      - .offset:         52
        .size:           2
        .value_kind:     hidden_remainder_y
      - .offset:         54
        .size:           2
        .value_kind:     hidden_remainder_z
      - .offset:         72
        .size:           8
        .value_kind:     hidden_global_offset_x
      - .offset:         80
        .size:           8
        .value_kind:     hidden_global_offset_y
      - .offset:         88
        .size:           8
        .value_kind:     hidden_global_offset_z
      - .offset:         96
        .size:           2
        .value_kind:     hidden_grid_dims
    .group_segment_fixed_size: 0
    .kernarg_segment_align: 8
    .kernarg_segment_size: 288
    .language:       OpenCL C
    .language_version:
      - 2
      - 0
    .max_flat_workgroup_size: 256
    .name:           _ZN7rocprim17ROCPRIM_400000_NS6detail30init_device_scan_by_key_kernelINS1_19lookback_scan_stateINS0_5tupleIJfbEEELb0ELb1EEENS1_16block_id_wrapperIjLb0EEEEEvT_jjPNS9_10value_typeET0_
    .private_segment_fixed_size: 0
    .sgpr_count:     18
    .sgpr_spill_count: 0
    .symbol:         _ZN7rocprim17ROCPRIM_400000_NS6detail30init_device_scan_by_key_kernelINS1_19lookback_scan_stateINS0_5tupleIJfbEEELb0ELb1EEENS1_16block_id_wrapperIjLb0EEEEEvT_jjPNS9_10value_typeET0_.kd
    .uniform_work_group_size: 1
    .uses_dynamic_stack: false
    .vgpr_count:     10
    .vgpr_spill_count: 0
    .wavefront_size: 64
  - .agpr_count:     0
    .args:
      - .offset:         0
        .size:           112
        .value_kind:     by_value
    .group_segment_fixed_size: 0
    .kernarg_segment_align: 8
    .kernarg_segment_size: 112
    .language:       OpenCL C
    .language_version:
      - 2
      - 0
    .max_flat_workgroup_size: 256
    .name:           _ZN7rocprim17ROCPRIM_400000_NS6detail17trampoline_kernelINS0_14default_configENS1_27scan_by_key_config_selectorIifEEZZNS1_16scan_by_key_implILNS1_25lookback_scan_determinismE0ELb0ES3_N6thrust23THRUST_200600_302600_NS6detail15normal_iteratorINS9_10device_ptrIiEEEENSB_INSC_IfEEEESG_fNS9_4plusIvEENS9_8equal_toIvEEfEE10hipError_tPvRmT2_T3_T4_T5_mT6_T7_P12ihipStream_tbENKUlT_T0_E_clISt17integral_constantIbLb0EES11_EEDaSW_SX_EUlSW_E_NS1_11comp_targetILNS1_3genE0ELNS1_11target_archE4294967295ELNS1_3gpuE0ELNS1_3repE0EEENS1_30default_config_static_selectorELNS0_4arch9wavefront6targetE1EEEvT1_
    .private_segment_fixed_size: 0
    .sgpr_count:     4
    .sgpr_spill_count: 0
    .symbol:         _ZN7rocprim17ROCPRIM_400000_NS6detail17trampoline_kernelINS0_14default_configENS1_27scan_by_key_config_selectorIifEEZZNS1_16scan_by_key_implILNS1_25lookback_scan_determinismE0ELb0ES3_N6thrust23THRUST_200600_302600_NS6detail15normal_iteratorINS9_10device_ptrIiEEEENSB_INSC_IfEEEESG_fNS9_4plusIvEENS9_8equal_toIvEEfEE10hipError_tPvRmT2_T3_T4_T5_mT6_T7_P12ihipStream_tbENKUlT_T0_E_clISt17integral_constantIbLb0EES11_EEDaSW_SX_EUlSW_E_NS1_11comp_targetILNS1_3genE0ELNS1_11target_archE4294967295ELNS1_3gpuE0ELNS1_3repE0EEENS1_30default_config_static_selectorELNS0_4arch9wavefront6targetE1EEEvT1_.kd
    .uniform_work_group_size: 1
    .uses_dynamic_stack: false
    .vgpr_count:     0
    .vgpr_spill_count: 0
    .wavefront_size: 64
  - .agpr_count:     0
    .args:
      - .offset:         0
        .size:           112
        .value_kind:     by_value
    .group_segment_fixed_size: 0
    .kernarg_segment_align: 8
    .kernarg_segment_size: 112
    .language:       OpenCL C
    .language_version:
      - 2
      - 0
    .max_flat_workgroup_size: 256
    .name:           _ZN7rocprim17ROCPRIM_400000_NS6detail17trampoline_kernelINS0_14default_configENS1_27scan_by_key_config_selectorIifEEZZNS1_16scan_by_key_implILNS1_25lookback_scan_determinismE0ELb0ES3_N6thrust23THRUST_200600_302600_NS6detail15normal_iteratorINS9_10device_ptrIiEEEENSB_INSC_IfEEEESG_fNS9_4plusIvEENS9_8equal_toIvEEfEE10hipError_tPvRmT2_T3_T4_T5_mT6_T7_P12ihipStream_tbENKUlT_T0_E_clISt17integral_constantIbLb0EES11_EEDaSW_SX_EUlSW_E_NS1_11comp_targetILNS1_3genE10ELNS1_11target_archE1201ELNS1_3gpuE5ELNS1_3repE0EEENS1_30default_config_static_selectorELNS0_4arch9wavefront6targetE1EEEvT1_
    .private_segment_fixed_size: 0
    .sgpr_count:     4
    .sgpr_spill_count: 0
    .symbol:         _ZN7rocprim17ROCPRIM_400000_NS6detail17trampoline_kernelINS0_14default_configENS1_27scan_by_key_config_selectorIifEEZZNS1_16scan_by_key_implILNS1_25lookback_scan_determinismE0ELb0ES3_N6thrust23THRUST_200600_302600_NS6detail15normal_iteratorINS9_10device_ptrIiEEEENSB_INSC_IfEEEESG_fNS9_4plusIvEENS9_8equal_toIvEEfEE10hipError_tPvRmT2_T3_T4_T5_mT6_T7_P12ihipStream_tbENKUlT_T0_E_clISt17integral_constantIbLb0EES11_EEDaSW_SX_EUlSW_E_NS1_11comp_targetILNS1_3genE10ELNS1_11target_archE1201ELNS1_3gpuE5ELNS1_3repE0EEENS1_30default_config_static_selectorELNS0_4arch9wavefront6targetE1EEEvT1_.kd
    .uniform_work_group_size: 1
    .uses_dynamic_stack: false
    .vgpr_count:     0
    .vgpr_spill_count: 0
    .wavefront_size: 64
  - .agpr_count:     0
    .args:
      - .offset:         0
        .size:           112
        .value_kind:     by_value
    .group_segment_fixed_size: 0
    .kernarg_segment_align: 8
    .kernarg_segment_size: 112
    .language:       OpenCL C
    .language_version:
      - 2
      - 0
    .max_flat_workgroup_size: 256
    .name:           _ZN7rocprim17ROCPRIM_400000_NS6detail17trampoline_kernelINS0_14default_configENS1_27scan_by_key_config_selectorIifEEZZNS1_16scan_by_key_implILNS1_25lookback_scan_determinismE0ELb0ES3_N6thrust23THRUST_200600_302600_NS6detail15normal_iteratorINS9_10device_ptrIiEEEENSB_INSC_IfEEEESG_fNS9_4plusIvEENS9_8equal_toIvEEfEE10hipError_tPvRmT2_T3_T4_T5_mT6_T7_P12ihipStream_tbENKUlT_T0_E_clISt17integral_constantIbLb0EES11_EEDaSW_SX_EUlSW_E_NS1_11comp_targetILNS1_3genE5ELNS1_11target_archE942ELNS1_3gpuE9ELNS1_3repE0EEENS1_30default_config_static_selectorELNS0_4arch9wavefront6targetE1EEEvT1_
    .private_segment_fixed_size: 0
    .sgpr_count:     4
    .sgpr_spill_count: 0
    .symbol:         _ZN7rocprim17ROCPRIM_400000_NS6detail17trampoline_kernelINS0_14default_configENS1_27scan_by_key_config_selectorIifEEZZNS1_16scan_by_key_implILNS1_25lookback_scan_determinismE0ELb0ES3_N6thrust23THRUST_200600_302600_NS6detail15normal_iteratorINS9_10device_ptrIiEEEENSB_INSC_IfEEEESG_fNS9_4plusIvEENS9_8equal_toIvEEfEE10hipError_tPvRmT2_T3_T4_T5_mT6_T7_P12ihipStream_tbENKUlT_T0_E_clISt17integral_constantIbLb0EES11_EEDaSW_SX_EUlSW_E_NS1_11comp_targetILNS1_3genE5ELNS1_11target_archE942ELNS1_3gpuE9ELNS1_3repE0EEENS1_30default_config_static_selectorELNS0_4arch9wavefront6targetE1EEEvT1_.kd
    .uniform_work_group_size: 1
    .uses_dynamic_stack: false
    .vgpr_count:     0
    .vgpr_spill_count: 0
    .wavefront_size: 64
  - .agpr_count:     0
    .args:
      - .offset:         0
        .size:           112
        .value_kind:     by_value
    .group_segment_fixed_size: 16384
    .kernarg_segment_align: 8
    .kernarg_segment_size: 112
    .language:       OpenCL C
    .language_version:
      - 2
      - 0
    .max_flat_workgroup_size: 256
    .name:           _ZN7rocprim17ROCPRIM_400000_NS6detail17trampoline_kernelINS0_14default_configENS1_27scan_by_key_config_selectorIifEEZZNS1_16scan_by_key_implILNS1_25lookback_scan_determinismE0ELb0ES3_N6thrust23THRUST_200600_302600_NS6detail15normal_iteratorINS9_10device_ptrIiEEEENSB_INSC_IfEEEESG_fNS9_4plusIvEENS9_8equal_toIvEEfEE10hipError_tPvRmT2_T3_T4_T5_mT6_T7_P12ihipStream_tbENKUlT_T0_E_clISt17integral_constantIbLb0EES11_EEDaSW_SX_EUlSW_E_NS1_11comp_targetILNS1_3genE4ELNS1_11target_archE910ELNS1_3gpuE8ELNS1_3repE0EEENS1_30default_config_static_selectorELNS0_4arch9wavefront6targetE1EEEvT1_
    .private_segment_fixed_size: 0
    .sgpr_count:     67
    .sgpr_spill_count: 0
    .symbol:         _ZN7rocprim17ROCPRIM_400000_NS6detail17trampoline_kernelINS0_14default_configENS1_27scan_by_key_config_selectorIifEEZZNS1_16scan_by_key_implILNS1_25lookback_scan_determinismE0ELb0ES3_N6thrust23THRUST_200600_302600_NS6detail15normal_iteratorINS9_10device_ptrIiEEEENSB_INSC_IfEEEESG_fNS9_4plusIvEENS9_8equal_toIvEEfEE10hipError_tPvRmT2_T3_T4_T5_mT6_T7_P12ihipStream_tbENKUlT_T0_E_clISt17integral_constantIbLb0EES11_EEDaSW_SX_EUlSW_E_NS1_11comp_targetILNS1_3genE4ELNS1_11target_archE910ELNS1_3gpuE8ELNS1_3repE0EEENS1_30default_config_static_selectorELNS0_4arch9wavefront6targetE1EEEvT1_.kd
    .uniform_work_group_size: 1
    .uses_dynamic_stack: false
    .vgpr_count:     64
    .vgpr_spill_count: 0
    .wavefront_size: 64
  - .agpr_count:     0
    .args:
      - .offset:         0
        .size:           112
        .value_kind:     by_value
    .group_segment_fixed_size: 0
    .kernarg_segment_align: 8
    .kernarg_segment_size: 112
    .language:       OpenCL C
    .language_version:
      - 2
      - 0
    .max_flat_workgroup_size: 256
    .name:           _ZN7rocprim17ROCPRIM_400000_NS6detail17trampoline_kernelINS0_14default_configENS1_27scan_by_key_config_selectorIifEEZZNS1_16scan_by_key_implILNS1_25lookback_scan_determinismE0ELb0ES3_N6thrust23THRUST_200600_302600_NS6detail15normal_iteratorINS9_10device_ptrIiEEEENSB_INSC_IfEEEESG_fNS9_4plusIvEENS9_8equal_toIvEEfEE10hipError_tPvRmT2_T3_T4_T5_mT6_T7_P12ihipStream_tbENKUlT_T0_E_clISt17integral_constantIbLb0EES11_EEDaSW_SX_EUlSW_E_NS1_11comp_targetILNS1_3genE3ELNS1_11target_archE908ELNS1_3gpuE7ELNS1_3repE0EEENS1_30default_config_static_selectorELNS0_4arch9wavefront6targetE1EEEvT1_
    .private_segment_fixed_size: 0
    .sgpr_count:     4
    .sgpr_spill_count: 0
    .symbol:         _ZN7rocprim17ROCPRIM_400000_NS6detail17trampoline_kernelINS0_14default_configENS1_27scan_by_key_config_selectorIifEEZZNS1_16scan_by_key_implILNS1_25lookback_scan_determinismE0ELb0ES3_N6thrust23THRUST_200600_302600_NS6detail15normal_iteratorINS9_10device_ptrIiEEEENSB_INSC_IfEEEESG_fNS9_4plusIvEENS9_8equal_toIvEEfEE10hipError_tPvRmT2_T3_T4_T5_mT6_T7_P12ihipStream_tbENKUlT_T0_E_clISt17integral_constantIbLb0EES11_EEDaSW_SX_EUlSW_E_NS1_11comp_targetILNS1_3genE3ELNS1_11target_archE908ELNS1_3gpuE7ELNS1_3repE0EEENS1_30default_config_static_selectorELNS0_4arch9wavefront6targetE1EEEvT1_.kd
    .uniform_work_group_size: 1
    .uses_dynamic_stack: false
    .vgpr_count:     0
    .vgpr_spill_count: 0
    .wavefront_size: 64
  - .agpr_count:     0
    .args:
      - .offset:         0
        .size:           112
        .value_kind:     by_value
    .group_segment_fixed_size: 0
    .kernarg_segment_align: 8
    .kernarg_segment_size: 112
    .language:       OpenCL C
    .language_version:
      - 2
      - 0
    .max_flat_workgroup_size: 256
    .name:           _ZN7rocprim17ROCPRIM_400000_NS6detail17trampoline_kernelINS0_14default_configENS1_27scan_by_key_config_selectorIifEEZZNS1_16scan_by_key_implILNS1_25lookback_scan_determinismE0ELb0ES3_N6thrust23THRUST_200600_302600_NS6detail15normal_iteratorINS9_10device_ptrIiEEEENSB_INSC_IfEEEESG_fNS9_4plusIvEENS9_8equal_toIvEEfEE10hipError_tPvRmT2_T3_T4_T5_mT6_T7_P12ihipStream_tbENKUlT_T0_E_clISt17integral_constantIbLb0EES11_EEDaSW_SX_EUlSW_E_NS1_11comp_targetILNS1_3genE2ELNS1_11target_archE906ELNS1_3gpuE6ELNS1_3repE0EEENS1_30default_config_static_selectorELNS0_4arch9wavefront6targetE1EEEvT1_
    .private_segment_fixed_size: 0
    .sgpr_count:     4
    .sgpr_spill_count: 0
    .symbol:         _ZN7rocprim17ROCPRIM_400000_NS6detail17trampoline_kernelINS0_14default_configENS1_27scan_by_key_config_selectorIifEEZZNS1_16scan_by_key_implILNS1_25lookback_scan_determinismE0ELb0ES3_N6thrust23THRUST_200600_302600_NS6detail15normal_iteratorINS9_10device_ptrIiEEEENSB_INSC_IfEEEESG_fNS9_4plusIvEENS9_8equal_toIvEEfEE10hipError_tPvRmT2_T3_T4_T5_mT6_T7_P12ihipStream_tbENKUlT_T0_E_clISt17integral_constantIbLb0EES11_EEDaSW_SX_EUlSW_E_NS1_11comp_targetILNS1_3genE2ELNS1_11target_archE906ELNS1_3gpuE6ELNS1_3repE0EEENS1_30default_config_static_selectorELNS0_4arch9wavefront6targetE1EEEvT1_.kd
    .uniform_work_group_size: 1
    .uses_dynamic_stack: false
    .vgpr_count:     0
    .vgpr_spill_count: 0
    .wavefront_size: 64
  - .agpr_count:     0
    .args:
      - .offset:         0
        .size:           112
        .value_kind:     by_value
    .group_segment_fixed_size: 0
    .kernarg_segment_align: 8
    .kernarg_segment_size: 112
    .language:       OpenCL C
    .language_version:
      - 2
      - 0
    .max_flat_workgroup_size: 256
    .name:           _ZN7rocprim17ROCPRIM_400000_NS6detail17trampoline_kernelINS0_14default_configENS1_27scan_by_key_config_selectorIifEEZZNS1_16scan_by_key_implILNS1_25lookback_scan_determinismE0ELb0ES3_N6thrust23THRUST_200600_302600_NS6detail15normal_iteratorINS9_10device_ptrIiEEEENSB_INSC_IfEEEESG_fNS9_4plusIvEENS9_8equal_toIvEEfEE10hipError_tPvRmT2_T3_T4_T5_mT6_T7_P12ihipStream_tbENKUlT_T0_E_clISt17integral_constantIbLb0EES11_EEDaSW_SX_EUlSW_E_NS1_11comp_targetILNS1_3genE10ELNS1_11target_archE1200ELNS1_3gpuE4ELNS1_3repE0EEENS1_30default_config_static_selectorELNS0_4arch9wavefront6targetE1EEEvT1_
    .private_segment_fixed_size: 0
    .sgpr_count:     4
    .sgpr_spill_count: 0
    .symbol:         _ZN7rocprim17ROCPRIM_400000_NS6detail17trampoline_kernelINS0_14default_configENS1_27scan_by_key_config_selectorIifEEZZNS1_16scan_by_key_implILNS1_25lookback_scan_determinismE0ELb0ES3_N6thrust23THRUST_200600_302600_NS6detail15normal_iteratorINS9_10device_ptrIiEEEENSB_INSC_IfEEEESG_fNS9_4plusIvEENS9_8equal_toIvEEfEE10hipError_tPvRmT2_T3_T4_T5_mT6_T7_P12ihipStream_tbENKUlT_T0_E_clISt17integral_constantIbLb0EES11_EEDaSW_SX_EUlSW_E_NS1_11comp_targetILNS1_3genE10ELNS1_11target_archE1200ELNS1_3gpuE4ELNS1_3repE0EEENS1_30default_config_static_selectorELNS0_4arch9wavefront6targetE1EEEvT1_.kd
    .uniform_work_group_size: 1
    .uses_dynamic_stack: false
    .vgpr_count:     0
    .vgpr_spill_count: 0
    .wavefront_size: 64
  - .agpr_count:     0
    .args:
      - .offset:         0
        .size:           112
        .value_kind:     by_value
    .group_segment_fixed_size: 0
    .kernarg_segment_align: 8
    .kernarg_segment_size: 112
    .language:       OpenCL C
    .language_version:
      - 2
      - 0
    .max_flat_workgroup_size: 256
    .name:           _ZN7rocprim17ROCPRIM_400000_NS6detail17trampoline_kernelINS0_14default_configENS1_27scan_by_key_config_selectorIifEEZZNS1_16scan_by_key_implILNS1_25lookback_scan_determinismE0ELb0ES3_N6thrust23THRUST_200600_302600_NS6detail15normal_iteratorINS9_10device_ptrIiEEEENSB_INSC_IfEEEESG_fNS9_4plusIvEENS9_8equal_toIvEEfEE10hipError_tPvRmT2_T3_T4_T5_mT6_T7_P12ihipStream_tbENKUlT_T0_E_clISt17integral_constantIbLb0EES11_EEDaSW_SX_EUlSW_E_NS1_11comp_targetILNS1_3genE9ELNS1_11target_archE1100ELNS1_3gpuE3ELNS1_3repE0EEENS1_30default_config_static_selectorELNS0_4arch9wavefront6targetE1EEEvT1_
    .private_segment_fixed_size: 0
    .sgpr_count:     4
    .sgpr_spill_count: 0
    .symbol:         _ZN7rocprim17ROCPRIM_400000_NS6detail17trampoline_kernelINS0_14default_configENS1_27scan_by_key_config_selectorIifEEZZNS1_16scan_by_key_implILNS1_25lookback_scan_determinismE0ELb0ES3_N6thrust23THRUST_200600_302600_NS6detail15normal_iteratorINS9_10device_ptrIiEEEENSB_INSC_IfEEEESG_fNS9_4plusIvEENS9_8equal_toIvEEfEE10hipError_tPvRmT2_T3_T4_T5_mT6_T7_P12ihipStream_tbENKUlT_T0_E_clISt17integral_constantIbLb0EES11_EEDaSW_SX_EUlSW_E_NS1_11comp_targetILNS1_3genE9ELNS1_11target_archE1100ELNS1_3gpuE3ELNS1_3repE0EEENS1_30default_config_static_selectorELNS0_4arch9wavefront6targetE1EEEvT1_.kd
    .uniform_work_group_size: 1
    .uses_dynamic_stack: false
    .vgpr_count:     0
    .vgpr_spill_count: 0
    .wavefront_size: 64
  - .agpr_count:     0
    .args:
      - .offset:         0
        .size:           112
        .value_kind:     by_value
    .group_segment_fixed_size: 0
    .kernarg_segment_align: 8
    .kernarg_segment_size: 112
    .language:       OpenCL C
    .language_version:
      - 2
      - 0
    .max_flat_workgroup_size: 256
    .name:           _ZN7rocprim17ROCPRIM_400000_NS6detail17trampoline_kernelINS0_14default_configENS1_27scan_by_key_config_selectorIifEEZZNS1_16scan_by_key_implILNS1_25lookback_scan_determinismE0ELb0ES3_N6thrust23THRUST_200600_302600_NS6detail15normal_iteratorINS9_10device_ptrIiEEEENSB_INSC_IfEEEESG_fNS9_4plusIvEENS9_8equal_toIvEEfEE10hipError_tPvRmT2_T3_T4_T5_mT6_T7_P12ihipStream_tbENKUlT_T0_E_clISt17integral_constantIbLb0EES11_EEDaSW_SX_EUlSW_E_NS1_11comp_targetILNS1_3genE8ELNS1_11target_archE1030ELNS1_3gpuE2ELNS1_3repE0EEENS1_30default_config_static_selectorELNS0_4arch9wavefront6targetE1EEEvT1_
    .private_segment_fixed_size: 0
    .sgpr_count:     4
    .sgpr_spill_count: 0
    .symbol:         _ZN7rocprim17ROCPRIM_400000_NS6detail17trampoline_kernelINS0_14default_configENS1_27scan_by_key_config_selectorIifEEZZNS1_16scan_by_key_implILNS1_25lookback_scan_determinismE0ELb0ES3_N6thrust23THRUST_200600_302600_NS6detail15normal_iteratorINS9_10device_ptrIiEEEENSB_INSC_IfEEEESG_fNS9_4plusIvEENS9_8equal_toIvEEfEE10hipError_tPvRmT2_T3_T4_T5_mT6_T7_P12ihipStream_tbENKUlT_T0_E_clISt17integral_constantIbLb0EES11_EEDaSW_SX_EUlSW_E_NS1_11comp_targetILNS1_3genE8ELNS1_11target_archE1030ELNS1_3gpuE2ELNS1_3repE0EEENS1_30default_config_static_selectorELNS0_4arch9wavefront6targetE1EEEvT1_.kd
    .uniform_work_group_size: 1
    .uses_dynamic_stack: false
    .vgpr_count:     0
    .vgpr_spill_count: 0
    .wavefront_size: 64
  - .agpr_count:     0
    .args:
      - .address_space:  global
        .offset:         0
        .size:           8
        .value_kind:     global_buffer
      - .offset:         8
        .size:           4
        .value_kind:     by_value
      - .offset:         12
        .size:           4
        .value_kind:     by_value
      - .address_space:  global
        .offset:         16
        .size:           8
        .value_kind:     global_buffer
      - .address_space:  global
        .offset:         24
        .size:           8
        .value_kind:     global_buffer
      - .actual_access:  write_only
        .address_space:  global
        .offset:         32
        .size:           8
        .value_kind:     global_buffer
      - .offset:         40
        .size:           8
        .value_kind:     by_value
      - .offset:         48
        .size:           4
        .value_kind:     by_value
      - .address_space:  global
        .offset:         56
        .size:           8
        .value_kind:     global_buffer
      - .offset:         64
        .size:           4
        .value_kind:     hidden_block_count_x
      - .offset:         68
        .size:           4
        .value_kind:     hidden_block_count_y
      - .offset:         72
        .size:           4
        .value_kind:     hidden_block_count_z
      - .offset:         76
        .size:           2
        .value_kind:     hidden_group_size_x
      - .offset:         78
        .size:           2
        .value_kind:     hidden_group_size_y
      - .offset:         80
        .size:           2
        .value_kind:     hidden_group_size_z
      - .offset:         82
        .size:           2
        .value_kind:     hidden_remainder_x
      - .offset:         84
        .size:           2
        .value_kind:     hidden_remainder_y
      - .offset:         86
        .size:           2
        .value_kind:     hidden_remainder_z
      - .offset:         104
        .size:           8
        .value_kind:     hidden_global_offset_x
      - .offset:         112
        .size:           8
        .value_kind:     hidden_global_offset_y
      - .offset:         120
        .size:           8
        .value_kind:     hidden_global_offset_z
      - .offset:         128
        .size:           2
        .value_kind:     hidden_grid_dims
    .group_segment_fixed_size: 0
    .kernarg_segment_align: 8
    .kernarg_segment_size: 320
    .language:       OpenCL C
    .language_version:
      - 2
      - 0
    .max_flat_workgroup_size: 256
    .name:           _ZN7rocprim17ROCPRIM_400000_NS6detail30init_device_scan_by_key_kernelINS1_19lookback_scan_stateINS0_5tupleIJfbEEELb1ELb1EEEN6thrust23THRUST_200600_302600_NS6detail15normal_iteratorINS8_10device_ptrIiEEEEjNS1_16block_id_wrapperIjLb1EEEEEvT_jjPNSG_10value_typeET0_PNSt15iterator_traitsISJ_E10value_typeEmT1_T2_
    .private_segment_fixed_size: 0
    .sgpr_count:     24
    .sgpr_spill_count: 0
    .symbol:         _ZN7rocprim17ROCPRIM_400000_NS6detail30init_device_scan_by_key_kernelINS1_19lookback_scan_stateINS0_5tupleIJfbEEELb1ELb1EEEN6thrust23THRUST_200600_302600_NS6detail15normal_iteratorINS8_10device_ptrIiEEEEjNS1_16block_id_wrapperIjLb1EEEEEvT_jjPNSG_10value_typeET0_PNSt15iterator_traitsISJ_E10value_typeEmT1_T2_.kd
    .uniform_work_group_size: 1
    .uses_dynamic_stack: false
    .vgpr_count:     10
    .vgpr_spill_count: 0
    .wavefront_size: 64
  - .agpr_count:     0
    .args:
      - .address_space:  global
        .offset:         0
        .size:           8
        .value_kind:     global_buffer
      - .offset:         8
        .size:           4
        .value_kind:     by_value
      - .offset:         12
        .size:           4
        .value_kind:     by_value
      - .address_space:  global
        .offset:         16
        .size:           8
        .value_kind:     global_buffer
      - .address_space:  global
        .offset:         24
        .size:           8
        .value_kind:     global_buffer
      - .offset:         32
        .size:           4
        .value_kind:     hidden_block_count_x
      - .offset:         36
        .size:           4
        .value_kind:     hidden_block_count_y
      - .offset:         40
        .size:           4
        .value_kind:     hidden_block_count_z
      - .offset:         44
        .size:           2
        .value_kind:     hidden_group_size_x
      - .offset:         46
        .size:           2
        .value_kind:     hidden_group_size_y
      - .offset:         48
        .size:           2
        .value_kind:     hidden_group_size_z
      - .offset:         50
        .size:           2
        .value_kind:     hidden_remainder_x
      - .offset:         52
        .size:           2
        .value_kind:     hidden_remainder_y
      - .offset:         54
        .size:           2
        .value_kind:     hidden_remainder_z
      - .offset:         72
        .size:           8
        .value_kind:     hidden_global_offset_x
      - .offset:         80
        .size:           8
        .value_kind:     hidden_global_offset_y
      - .offset:         88
        .size:           8
        .value_kind:     hidden_global_offset_z
      - .offset:         96
        .size:           2
        .value_kind:     hidden_grid_dims
    .group_segment_fixed_size: 0
    .kernarg_segment_align: 8
    .kernarg_segment_size: 288
    .language:       OpenCL C
    .language_version:
      - 2
      - 0
    .max_flat_workgroup_size: 256
    .name:           _ZN7rocprim17ROCPRIM_400000_NS6detail30init_device_scan_by_key_kernelINS1_19lookback_scan_stateINS0_5tupleIJfbEEELb1ELb1EEENS1_16block_id_wrapperIjLb1EEEEEvT_jjPNS9_10value_typeET0_
    .private_segment_fixed_size: 0
    .sgpr_count:     20
    .sgpr_spill_count: 0
    .symbol:         _ZN7rocprim17ROCPRIM_400000_NS6detail30init_device_scan_by_key_kernelINS1_19lookback_scan_stateINS0_5tupleIJfbEEELb1ELb1EEENS1_16block_id_wrapperIjLb1EEEEEvT_jjPNS9_10value_typeET0_.kd
    .uniform_work_group_size: 1
    .uses_dynamic_stack: false
    .vgpr_count:     10
    .vgpr_spill_count: 0
    .wavefront_size: 64
  - .agpr_count:     0
    .args:
      - .offset:         0
        .size:           112
        .value_kind:     by_value
    .group_segment_fixed_size: 0
    .kernarg_segment_align: 8
    .kernarg_segment_size: 112
    .language:       OpenCL C
    .language_version:
      - 2
      - 0
    .max_flat_workgroup_size: 256
    .name:           _ZN7rocprim17ROCPRIM_400000_NS6detail17trampoline_kernelINS0_14default_configENS1_27scan_by_key_config_selectorIifEEZZNS1_16scan_by_key_implILNS1_25lookback_scan_determinismE0ELb0ES3_N6thrust23THRUST_200600_302600_NS6detail15normal_iteratorINS9_10device_ptrIiEEEENSB_INSC_IfEEEESG_fNS9_4plusIvEENS9_8equal_toIvEEfEE10hipError_tPvRmT2_T3_T4_T5_mT6_T7_P12ihipStream_tbENKUlT_T0_E_clISt17integral_constantIbLb1EES11_EEDaSW_SX_EUlSW_E_NS1_11comp_targetILNS1_3genE0ELNS1_11target_archE4294967295ELNS1_3gpuE0ELNS1_3repE0EEENS1_30default_config_static_selectorELNS0_4arch9wavefront6targetE1EEEvT1_
    .private_segment_fixed_size: 0
    .sgpr_count:     4
    .sgpr_spill_count: 0
    .symbol:         _ZN7rocprim17ROCPRIM_400000_NS6detail17trampoline_kernelINS0_14default_configENS1_27scan_by_key_config_selectorIifEEZZNS1_16scan_by_key_implILNS1_25lookback_scan_determinismE0ELb0ES3_N6thrust23THRUST_200600_302600_NS6detail15normal_iteratorINS9_10device_ptrIiEEEENSB_INSC_IfEEEESG_fNS9_4plusIvEENS9_8equal_toIvEEfEE10hipError_tPvRmT2_T3_T4_T5_mT6_T7_P12ihipStream_tbENKUlT_T0_E_clISt17integral_constantIbLb1EES11_EEDaSW_SX_EUlSW_E_NS1_11comp_targetILNS1_3genE0ELNS1_11target_archE4294967295ELNS1_3gpuE0ELNS1_3repE0EEENS1_30default_config_static_selectorELNS0_4arch9wavefront6targetE1EEEvT1_.kd
    .uniform_work_group_size: 1
    .uses_dynamic_stack: false
    .vgpr_count:     0
    .vgpr_spill_count: 0
    .wavefront_size: 64
  - .agpr_count:     0
    .args:
      - .offset:         0
        .size:           112
        .value_kind:     by_value
    .group_segment_fixed_size: 0
    .kernarg_segment_align: 8
    .kernarg_segment_size: 112
    .language:       OpenCL C
    .language_version:
      - 2
      - 0
    .max_flat_workgroup_size: 256
    .name:           _ZN7rocprim17ROCPRIM_400000_NS6detail17trampoline_kernelINS0_14default_configENS1_27scan_by_key_config_selectorIifEEZZNS1_16scan_by_key_implILNS1_25lookback_scan_determinismE0ELb0ES3_N6thrust23THRUST_200600_302600_NS6detail15normal_iteratorINS9_10device_ptrIiEEEENSB_INSC_IfEEEESG_fNS9_4plusIvEENS9_8equal_toIvEEfEE10hipError_tPvRmT2_T3_T4_T5_mT6_T7_P12ihipStream_tbENKUlT_T0_E_clISt17integral_constantIbLb1EES11_EEDaSW_SX_EUlSW_E_NS1_11comp_targetILNS1_3genE10ELNS1_11target_archE1201ELNS1_3gpuE5ELNS1_3repE0EEENS1_30default_config_static_selectorELNS0_4arch9wavefront6targetE1EEEvT1_
    .private_segment_fixed_size: 0
    .sgpr_count:     4
    .sgpr_spill_count: 0
    .symbol:         _ZN7rocprim17ROCPRIM_400000_NS6detail17trampoline_kernelINS0_14default_configENS1_27scan_by_key_config_selectorIifEEZZNS1_16scan_by_key_implILNS1_25lookback_scan_determinismE0ELb0ES3_N6thrust23THRUST_200600_302600_NS6detail15normal_iteratorINS9_10device_ptrIiEEEENSB_INSC_IfEEEESG_fNS9_4plusIvEENS9_8equal_toIvEEfEE10hipError_tPvRmT2_T3_T4_T5_mT6_T7_P12ihipStream_tbENKUlT_T0_E_clISt17integral_constantIbLb1EES11_EEDaSW_SX_EUlSW_E_NS1_11comp_targetILNS1_3genE10ELNS1_11target_archE1201ELNS1_3gpuE5ELNS1_3repE0EEENS1_30default_config_static_selectorELNS0_4arch9wavefront6targetE1EEEvT1_.kd
    .uniform_work_group_size: 1
    .uses_dynamic_stack: false
    .vgpr_count:     0
    .vgpr_spill_count: 0
    .wavefront_size: 64
  - .agpr_count:     0
    .args:
      - .offset:         0
        .size:           112
        .value_kind:     by_value
    .group_segment_fixed_size: 0
    .kernarg_segment_align: 8
    .kernarg_segment_size: 112
    .language:       OpenCL C
    .language_version:
      - 2
      - 0
    .max_flat_workgroup_size: 256
    .name:           _ZN7rocprim17ROCPRIM_400000_NS6detail17trampoline_kernelINS0_14default_configENS1_27scan_by_key_config_selectorIifEEZZNS1_16scan_by_key_implILNS1_25lookback_scan_determinismE0ELb0ES3_N6thrust23THRUST_200600_302600_NS6detail15normal_iteratorINS9_10device_ptrIiEEEENSB_INSC_IfEEEESG_fNS9_4plusIvEENS9_8equal_toIvEEfEE10hipError_tPvRmT2_T3_T4_T5_mT6_T7_P12ihipStream_tbENKUlT_T0_E_clISt17integral_constantIbLb1EES11_EEDaSW_SX_EUlSW_E_NS1_11comp_targetILNS1_3genE5ELNS1_11target_archE942ELNS1_3gpuE9ELNS1_3repE0EEENS1_30default_config_static_selectorELNS0_4arch9wavefront6targetE1EEEvT1_
    .private_segment_fixed_size: 0
    .sgpr_count:     4
    .sgpr_spill_count: 0
    .symbol:         _ZN7rocprim17ROCPRIM_400000_NS6detail17trampoline_kernelINS0_14default_configENS1_27scan_by_key_config_selectorIifEEZZNS1_16scan_by_key_implILNS1_25lookback_scan_determinismE0ELb0ES3_N6thrust23THRUST_200600_302600_NS6detail15normal_iteratorINS9_10device_ptrIiEEEENSB_INSC_IfEEEESG_fNS9_4plusIvEENS9_8equal_toIvEEfEE10hipError_tPvRmT2_T3_T4_T5_mT6_T7_P12ihipStream_tbENKUlT_T0_E_clISt17integral_constantIbLb1EES11_EEDaSW_SX_EUlSW_E_NS1_11comp_targetILNS1_3genE5ELNS1_11target_archE942ELNS1_3gpuE9ELNS1_3repE0EEENS1_30default_config_static_selectorELNS0_4arch9wavefront6targetE1EEEvT1_.kd
    .uniform_work_group_size: 1
    .uses_dynamic_stack: false
    .vgpr_count:     0
    .vgpr_spill_count: 0
    .wavefront_size: 64
  - .agpr_count:     0
    .args:
      - .offset:         0
        .size:           112
        .value_kind:     by_value
    .group_segment_fixed_size: 16384
    .kernarg_segment_align: 8
    .kernarg_segment_size: 112
    .language:       OpenCL C
    .language_version:
      - 2
      - 0
    .max_flat_workgroup_size: 256
    .name:           _ZN7rocprim17ROCPRIM_400000_NS6detail17trampoline_kernelINS0_14default_configENS1_27scan_by_key_config_selectorIifEEZZNS1_16scan_by_key_implILNS1_25lookback_scan_determinismE0ELb0ES3_N6thrust23THRUST_200600_302600_NS6detail15normal_iteratorINS9_10device_ptrIiEEEENSB_INSC_IfEEEESG_fNS9_4plusIvEENS9_8equal_toIvEEfEE10hipError_tPvRmT2_T3_T4_T5_mT6_T7_P12ihipStream_tbENKUlT_T0_E_clISt17integral_constantIbLb1EES11_EEDaSW_SX_EUlSW_E_NS1_11comp_targetILNS1_3genE4ELNS1_11target_archE910ELNS1_3gpuE8ELNS1_3repE0EEENS1_30default_config_static_selectorELNS0_4arch9wavefront6targetE1EEEvT1_
    .private_segment_fixed_size: 0
    .sgpr_count:     71
    .sgpr_spill_count: 0
    .symbol:         _ZN7rocprim17ROCPRIM_400000_NS6detail17trampoline_kernelINS0_14default_configENS1_27scan_by_key_config_selectorIifEEZZNS1_16scan_by_key_implILNS1_25lookback_scan_determinismE0ELb0ES3_N6thrust23THRUST_200600_302600_NS6detail15normal_iteratorINS9_10device_ptrIiEEEENSB_INSC_IfEEEESG_fNS9_4plusIvEENS9_8equal_toIvEEfEE10hipError_tPvRmT2_T3_T4_T5_mT6_T7_P12ihipStream_tbENKUlT_T0_E_clISt17integral_constantIbLb1EES11_EEDaSW_SX_EUlSW_E_NS1_11comp_targetILNS1_3genE4ELNS1_11target_archE910ELNS1_3gpuE8ELNS1_3repE0EEENS1_30default_config_static_selectorELNS0_4arch9wavefront6targetE1EEEvT1_.kd
    .uniform_work_group_size: 1
    .uses_dynamic_stack: false
    .vgpr_count:     64
    .vgpr_spill_count: 0
    .wavefront_size: 64
  - .agpr_count:     0
    .args:
      - .offset:         0
        .size:           112
        .value_kind:     by_value
    .group_segment_fixed_size: 0
    .kernarg_segment_align: 8
    .kernarg_segment_size: 112
    .language:       OpenCL C
    .language_version:
      - 2
      - 0
    .max_flat_workgroup_size: 256
    .name:           _ZN7rocprim17ROCPRIM_400000_NS6detail17trampoline_kernelINS0_14default_configENS1_27scan_by_key_config_selectorIifEEZZNS1_16scan_by_key_implILNS1_25lookback_scan_determinismE0ELb0ES3_N6thrust23THRUST_200600_302600_NS6detail15normal_iteratorINS9_10device_ptrIiEEEENSB_INSC_IfEEEESG_fNS9_4plusIvEENS9_8equal_toIvEEfEE10hipError_tPvRmT2_T3_T4_T5_mT6_T7_P12ihipStream_tbENKUlT_T0_E_clISt17integral_constantIbLb1EES11_EEDaSW_SX_EUlSW_E_NS1_11comp_targetILNS1_3genE3ELNS1_11target_archE908ELNS1_3gpuE7ELNS1_3repE0EEENS1_30default_config_static_selectorELNS0_4arch9wavefront6targetE1EEEvT1_
    .private_segment_fixed_size: 0
    .sgpr_count:     4
    .sgpr_spill_count: 0
    .symbol:         _ZN7rocprim17ROCPRIM_400000_NS6detail17trampoline_kernelINS0_14default_configENS1_27scan_by_key_config_selectorIifEEZZNS1_16scan_by_key_implILNS1_25lookback_scan_determinismE0ELb0ES3_N6thrust23THRUST_200600_302600_NS6detail15normal_iteratorINS9_10device_ptrIiEEEENSB_INSC_IfEEEESG_fNS9_4plusIvEENS9_8equal_toIvEEfEE10hipError_tPvRmT2_T3_T4_T5_mT6_T7_P12ihipStream_tbENKUlT_T0_E_clISt17integral_constantIbLb1EES11_EEDaSW_SX_EUlSW_E_NS1_11comp_targetILNS1_3genE3ELNS1_11target_archE908ELNS1_3gpuE7ELNS1_3repE0EEENS1_30default_config_static_selectorELNS0_4arch9wavefront6targetE1EEEvT1_.kd
    .uniform_work_group_size: 1
    .uses_dynamic_stack: false
    .vgpr_count:     0
    .vgpr_spill_count: 0
    .wavefront_size: 64
  - .agpr_count:     0
    .args:
      - .offset:         0
        .size:           112
        .value_kind:     by_value
    .group_segment_fixed_size: 0
    .kernarg_segment_align: 8
    .kernarg_segment_size: 112
    .language:       OpenCL C
    .language_version:
      - 2
      - 0
    .max_flat_workgroup_size: 256
    .name:           _ZN7rocprim17ROCPRIM_400000_NS6detail17trampoline_kernelINS0_14default_configENS1_27scan_by_key_config_selectorIifEEZZNS1_16scan_by_key_implILNS1_25lookback_scan_determinismE0ELb0ES3_N6thrust23THRUST_200600_302600_NS6detail15normal_iteratorINS9_10device_ptrIiEEEENSB_INSC_IfEEEESG_fNS9_4plusIvEENS9_8equal_toIvEEfEE10hipError_tPvRmT2_T3_T4_T5_mT6_T7_P12ihipStream_tbENKUlT_T0_E_clISt17integral_constantIbLb1EES11_EEDaSW_SX_EUlSW_E_NS1_11comp_targetILNS1_3genE2ELNS1_11target_archE906ELNS1_3gpuE6ELNS1_3repE0EEENS1_30default_config_static_selectorELNS0_4arch9wavefront6targetE1EEEvT1_
    .private_segment_fixed_size: 0
    .sgpr_count:     4
    .sgpr_spill_count: 0
    .symbol:         _ZN7rocprim17ROCPRIM_400000_NS6detail17trampoline_kernelINS0_14default_configENS1_27scan_by_key_config_selectorIifEEZZNS1_16scan_by_key_implILNS1_25lookback_scan_determinismE0ELb0ES3_N6thrust23THRUST_200600_302600_NS6detail15normal_iteratorINS9_10device_ptrIiEEEENSB_INSC_IfEEEESG_fNS9_4plusIvEENS9_8equal_toIvEEfEE10hipError_tPvRmT2_T3_T4_T5_mT6_T7_P12ihipStream_tbENKUlT_T0_E_clISt17integral_constantIbLb1EES11_EEDaSW_SX_EUlSW_E_NS1_11comp_targetILNS1_3genE2ELNS1_11target_archE906ELNS1_3gpuE6ELNS1_3repE0EEENS1_30default_config_static_selectorELNS0_4arch9wavefront6targetE1EEEvT1_.kd
    .uniform_work_group_size: 1
    .uses_dynamic_stack: false
    .vgpr_count:     0
    .vgpr_spill_count: 0
    .wavefront_size: 64
  - .agpr_count:     0
    .args:
      - .offset:         0
        .size:           112
        .value_kind:     by_value
    .group_segment_fixed_size: 0
    .kernarg_segment_align: 8
    .kernarg_segment_size: 112
    .language:       OpenCL C
    .language_version:
      - 2
      - 0
    .max_flat_workgroup_size: 256
    .name:           _ZN7rocprim17ROCPRIM_400000_NS6detail17trampoline_kernelINS0_14default_configENS1_27scan_by_key_config_selectorIifEEZZNS1_16scan_by_key_implILNS1_25lookback_scan_determinismE0ELb0ES3_N6thrust23THRUST_200600_302600_NS6detail15normal_iteratorINS9_10device_ptrIiEEEENSB_INSC_IfEEEESG_fNS9_4plusIvEENS9_8equal_toIvEEfEE10hipError_tPvRmT2_T3_T4_T5_mT6_T7_P12ihipStream_tbENKUlT_T0_E_clISt17integral_constantIbLb1EES11_EEDaSW_SX_EUlSW_E_NS1_11comp_targetILNS1_3genE10ELNS1_11target_archE1200ELNS1_3gpuE4ELNS1_3repE0EEENS1_30default_config_static_selectorELNS0_4arch9wavefront6targetE1EEEvT1_
    .private_segment_fixed_size: 0
    .sgpr_count:     4
    .sgpr_spill_count: 0
    .symbol:         _ZN7rocprim17ROCPRIM_400000_NS6detail17trampoline_kernelINS0_14default_configENS1_27scan_by_key_config_selectorIifEEZZNS1_16scan_by_key_implILNS1_25lookback_scan_determinismE0ELb0ES3_N6thrust23THRUST_200600_302600_NS6detail15normal_iteratorINS9_10device_ptrIiEEEENSB_INSC_IfEEEESG_fNS9_4plusIvEENS9_8equal_toIvEEfEE10hipError_tPvRmT2_T3_T4_T5_mT6_T7_P12ihipStream_tbENKUlT_T0_E_clISt17integral_constantIbLb1EES11_EEDaSW_SX_EUlSW_E_NS1_11comp_targetILNS1_3genE10ELNS1_11target_archE1200ELNS1_3gpuE4ELNS1_3repE0EEENS1_30default_config_static_selectorELNS0_4arch9wavefront6targetE1EEEvT1_.kd
    .uniform_work_group_size: 1
    .uses_dynamic_stack: false
    .vgpr_count:     0
    .vgpr_spill_count: 0
    .wavefront_size: 64
  - .agpr_count:     0
    .args:
      - .offset:         0
        .size:           112
        .value_kind:     by_value
    .group_segment_fixed_size: 0
    .kernarg_segment_align: 8
    .kernarg_segment_size: 112
    .language:       OpenCL C
    .language_version:
      - 2
      - 0
    .max_flat_workgroup_size: 256
    .name:           _ZN7rocprim17ROCPRIM_400000_NS6detail17trampoline_kernelINS0_14default_configENS1_27scan_by_key_config_selectorIifEEZZNS1_16scan_by_key_implILNS1_25lookback_scan_determinismE0ELb0ES3_N6thrust23THRUST_200600_302600_NS6detail15normal_iteratorINS9_10device_ptrIiEEEENSB_INSC_IfEEEESG_fNS9_4plusIvEENS9_8equal_toIvEEfEE10hipError_tPvRmT2_T3_T4_T5_mT6_T7_P12ihipStream_tbENKUlT_T0_E_clISt17integral_constantIbLb1EES11_EEDaSW_SX_EUlSW_E_NS1_11comp_targetILNS1_3genE9ELNS1_11target_archE1100ELNS1_3gpuE3ELNS1_3repE0EEENS1_30default_config_static_selectorELNS0_4arch9wavefront6targetE1EEEvT1_
    .private_segment_fixed_size: 0
    .sgpr_count:     4
    .sgpr_spill_count: 0
    .symbol:         _ZN7rocprim17ROCPRIM_400000_NS6detail17trampoline_kernelINS0_14default_configENS1_27scan_by_key_config_selectorIifEEZZNS1_16scan_by_key_implILNS1_25lookback_scan_determinismE0ELb0ES3_N6thrust23THRUST_200600_302600_NS6detail15normal_iteratorINS9_10device_ptrIiEEEENSB_INSC_IfEEEESG_fNS9_4plusIvEENS9_8equal_toIvEEfEE10hipError_tPvRmT2_T3_T4_T5_mT6_T7_P12ihipStream_tbENKUlT_T0_E_clISt17integral_constantIbLb1EES11_EEDaSW_SX_EUlSW_E_NS1_11comp_targetILNS1_3genE9ELNS1_11target_archE1100ELNS1_3gpuE3ELNS1_3repE0EEENS1_30default_config_static_selectorELNS0_4arch9wavefront6targetE1EEEvT1_.kd
    .uniform_work_group_size: 1
    .uses_dynamic_stack: false
    .vgpr_count:     0
    .vgpr_spill_count: 0
    .wavefront_size: 64
  - .agpr_count:     0
    .args:
      - .offset:         0
        .size:           112
        .value_kind:     by_value
    .group_segment_fixed_size: 0
    .kernarg_segment_align: 8
    .kernarg_segment_size: 112
    .language:       OpenCL C
    .language_version:
      - 2
      - 0
    .max_flat_workgroup_size: 256
    .name:           _ZN7rocprim17ROCPRIM_400000_NS6detail17trampoline_kernelINS0_14default_configENS1_27scan_by_key_config_selectorIifEEZZNS1_16scan_by_key_implILNS1_25lookback_scan_determinismE0ELb0ES3_N6thrust23THRUST_200600_302600_NS6detail15normal_iteratorINS9_10device_ptrIiEEEENSB_INSC_IfEEEESG_fNS9_4plusIvEENS9_8equal_toIvEEfEE10hipError_tPvRmT2_T3_T4_T5_mT6_T7_P12ihipStream_tbENKUlT_T0_E_clISt17integral_constantIbLb1EES11_EEDaSW_SX_EUlSW_E_NS1_11comp_targetILNS1_3genE8ELNS1_11target_archE1030ELNS1_3gpuE2ELNS1_3repE0EEENS1_30default_config_static_selectorELNS0_4arch9wavefront6targetE1EEEvT1_
    .private_segment_fixed_size: 0
    .sgpr_count:     4
    .sgpr_spill_count: 0
    .symbol:         _ZN7rocprim17ROCPRIM_400000_NS6detail17trampoline_kernelINS0_14default_configENS1_27scan_by_key_config_selectorIifEEZZNS1_16scan_by_key_implILNS1_25lookback_scan_determinismE0ELb0ES3_N6thrust23THRUST_200600_302600_NS6detail15normal_iteratorINS9_10device_ptrIiEEEENSB_INSC_IfEEEESG_fNS9_4plusIvEENS9_8equal_toIvEEfEE10hipError_tPvRmT2_T3_T4_T5_mT6_T7_P12ihipStream_tbENKUlT_T0_E_clISt17integral_constantIbLb1EES11_EEDaSW_SX_EUlSW_E_NS1_11comp_targetILNS1_3genE8ELNS1_11target_archE1030ELNS1_3gpuE2ELNS1_3repE0EEENS1_30default_config_static_selectorELNS0_4arch9wavefront6targetE1EEEvT1_.kd
    .uniform_work_group_size: 1
    .uses_dynamic_stack: false
    .vgpr_count:     0
    .vgpr_spill_count: 0
    .wavefront_size: 64
  - .agpr_count:     0
    .args:
      - .address_space:  global
        .offset:         0
        .size:           8
        .value_kind:     global_buffer
      - .offset:         8
        .size:           4
        .value_kind:     by_value
      - .offset:         12
        .size:           4
        .value_kind:     by_value
      - .address_space:  global
        .offset:         16
        .size:           8
        .value_kind:     global_buffer
      - .address_space:  global
        .offset:         24
        .size:           8
        .value_kind:     global_buffer
      - .actual_access:  write_only
        .address_space:  global
        .offset:         32
        .size:           8
        .value_kind:     global_buffer
      - .offset:         40
        .size:           8
        .value_kind:     by_value
      - .offset:         48
        .size:           4
        .value_kind:     by_value
      - .offset:         52
        .size:           1
        .value_kind:     by_value
      - .offset:         56
        .size:           4
        .value_kind:     hidden_block_count_x
      - .offset:         60
        .size:           4
        .value_kind:     hidden_block_count_y
      - .offset:         64
        .size:           4
        .value_kind:     hidden_block_count_z
      - .offset:         68
        .size:           2
        .value_kind:     hidden_group_size_x
      - .offset:         70
        .size:           2
        .value_kind:     hidden_group_size_y
      - .offset:         72
        .size:           2
        .value_kind:     hidden_group_size_z
      - .offset:         74
        .size:           2
        .value_kind:     hidden_remainder_x
      - .offset:         76
        .size:           2
        .value_kind:     hidden_remainder_y
      - .offset:         78
        .size:           2
        .value_kind:     hidden_remainder_z
      - .offset:         96
        .size:           8
        .value_kind:     hidden_global_offset_x
      - .offset:         104
        .size:           8
        .value_kind:     hidden_global_offset_y
      - .offset:         112
        .size:           8
        .value_kind:     hidden_global_offset_z
      - .offset:         120
        .size:           2
        .value_kind:     hidden_grid_dims
    .group_segment_fixed_size: 0
    .kernarg_segment_align: 8
    .kernarg_segment_size: 312
    .language:       OpenCL C
    .language_version:
      - 2
      - 0
    .max_flat_workgroup_size: 256
    .name:           _ZN7rocprim17ROCPRIM_400000_NS6detail30init_device_scan_by_key_kernelINS1_19lookback_scan_stateINS0_5tupleIJfbEEELb1ELb1EEEN6thrust23THRUST_200600_302600_NS6detail15normal_iteratorINS8_10device_ptrIiEEEEjNS1_16block_id_wrapperIjLb0EEEEEvT_jjPNSG_10value_typeET0_PNSt15iterator_traitsISJ_E10value_typeEmT1_T2_
    .private_segment_fixed_size: 0
    .sgpr_count:     24
    .sgpr_spill_count: 0
    .symbol:         _ZN7rocprim17ROCPRIM_400000_NS6detail30init_device_scan_by_key_kernelINS1_19lookback_scan_stateINS0_5tupleIJfbEEELb1ELb1EEEN6thrust23THRUST_200600_302600_NS6detail15normal_iteratorINS8_10device_ptrIiEEEEjNS1_16block_id_wrapperIjLb0EEEEEvT_jjPNSG_10value_typeET0_PNSt15iterator_traitsISJ_E10value_typeEmT1_T2_.kd
    .uniform_work_group_size: 1
    .uses_dynamic_stack: false
    .vgpr_count:     10
    .vgpr_spill_count: 0
    .wavefront_size: 64
  - .agpr_count:     0
    .args:
      - .address_space:  global
        .offset:         0
        .size:           8
        .value_kind:     global_buffer
      - .offset:         8
        .size:           4
        .value_kind:     by_value
      - .offset:         12
        .size:           4
        .value_kind:     by_value
      - .address_space:  global
        .offset:         16
        .size:           8
        .value_kind:     global_buffer
      - .offset:         24
        .size:           1
        .value_kind:     by_value
      - .offset:         32
        .size:           4
        .value_kind:     hidden_block_count_x
      - .offset:         36
        .size:           4
        .value_kind:     hidden_block_count_y
      - .offset:         40
        .size:           4
        .value_kind:     hidden_block_count_z
      - .offset:         44
        .size:           2
        .value_kind:     hidden_group_size_x
      - .offset:         46
        .size:           2
        .value_kind:     hidden_group_size_y
      - .offset:         48
        .size:           2
        .value_kind:     hidden_group_size_z
      - .offset:         50
        .size:           2
        .value_kind:     hidden_remainder_x
      - .offset:         52
        .size:           2
        .value_kind:     hidden_remainder_y
      - .offset:         54
        .size:           2
        .value_kind:     hidden_remainder_z
      - .offset:         72
        .size:           8
        .value_kind:     hidden_global_offset_x
      - .offset:         80
        .size:           8
        .value_kind:     hidden_global_offset_y
      - .offset:         88
        .size:           8
        .value_kind:     hidden_global_offset_z
      - .offset:         96
        .size:           2
        .value_kind:     hidden_grid_dims
    .group_segment_fixed_size: 0
    .kernarg_segment_align: 8
    .kernarg_segment_size: 288
    .language:       OpenCL C
    .language_version:
      - 2
      - 0
    .max_flat_workgroup_size: 256
    .name:           _ZN7rocprim17ROCPRIM_400000_NS6detail30init_device_scan_by_key_kernelINS1_19lookback_scan_stateINS0_5tupleIJfbEEELb1ELb1EEENS1_16block_id_wrapperIjLb0EEEEEvT_jjPNS9_10value_typeET0_
    .private_segment_fixed_size: 0
    .sgpr_count:     18
    .sgpr_spill_count: 0
    .symbol:         _ZN7rocprim17ROCPRIM_400000_NS6detail30init_device_scan_by_key_kernelINS1_19lookback_scan_stateINS0_5tupleIJfbEEELb1ELb1EEENS1_16block_id_wrapperIjLb0EEEEEvT_jjPNS9_10value_typeET0_.kd
    .uniform_work_group_size: 1
    .uses_dynamic_stack: false
    .vgpr_count:     10
    .vgpr_spill_count: 0
    .wavefront_size: 64
  - .agpr_count:     0
    .args:
      - .offset:         0
        .size:           112
        .value_kind:     by_value
    .group_segment_fixed_size: 0
    .kernarg_segment_align: 8
    .kernarg_segment_size: 112
    .language:       OpenCL C
    .language_version:
      - 2
      - 0
    .max_flat_workgroup_size: 256
    .name:           _ZN7rocprim17ROCPRIM_400000_NS6detail17trampoline_kernelINS0_14default_configENS1_27scan_by_key_config_selectorIifEEZZNS1_16scan_by_key_implILNS1_25lookback_scan_determinismE0ELb0ES3_N6thrust23THRUST_200600_302600_NS6detail15normal_iteratorINS9_10device_ptrIiEEEENSB_INSC_IfEEEESG_fNS9_4plusIvEENS9_8equal_toIvEEfEE10hipError_tPvRmT2_T3_T4_T5_mT6_T7_P12ihipStream_tbENKUlT_T0_E_clISt17integral_constantIbLb1EES10_IbLb0EEEEDaSW_SX_EUlSW_E_NS1_11comp_targetILNS1_3genE0ELNS1_11target_archE4294967295ELNS1_3gpuE0ELNS1_3repE0EEENS1_30default_config_static_selectorELNS0_4arch9wavefront6targetE1EEEvT1_
    .private_segment_fixed_size: 0
    .sgpr_count:     4
    .sgpr_spill_count: 0
    .symbol:         _ZN7rocprim17ROCPRIM_400000_NS6detail17trampoline_kernelINS0_14default_configENS1_27scan_by_key_config_selectorIifEEZZNS1_16scan_by_key_implILNS1_25lookback_scan_determinismE0ELb0ES3_N6thrust23THRUST_200600_302600_NS6detail15normal_iteratorINS9_10device_ptrIiEEEENSB_INSC_IfEEEESG_fNS9_4plusIvEENS9_8equal_toIvEEfEE10hipError_tPvRmT2_T3_T4_T5_mT6_T7_P12ihipStream_tbENKUlT_T0_E_clISt17integral_constantIbLb1EES10_IbLb0EEEEDaSW_SX_EUlSW_E_NS1_11comp_targetILNS1_3genE0ELNS1_11target_archE4294967295ELNS1_3gpuE0ELNS1_3repE0EEENS1_30default_config_static_selectorELNS0_4arch9wavefront6targetE1EEEvT1_.kd
    .uniform_work_group_size: 1
    .uses_dynamic_stack: false
    .vgpr_count:     0
    .vgpr_spill_count: 0
    .wavefront_size: 64
  - .agpr_count:     0
    .args:
      - .offset:         0
        .size:           112
        .value_kind:     by_value
    .group_segment_fixed_size: 0
    .kernarg_segment_align: 8
    .kernarg_segment_size: 112
    .language:       OpenCL C
    .language_version:
      - 2
      - 0
    .max_flat_workgroup_size: 256
    .name:           _ZN7rocprim17ROCPRIM_400000_NS6detail17trampoline_kernelINS0_14default_configENS1_27scan_by_key_config_selectorIifEEZZNS1_16scan_by_key_implILNS1_25lookback_scan_determinismE0ELb0ES3_N6thrust23THRUST_200600_302600_NS6detail15normal_iteratorINS9_10device_ptrIiEEEENSB_INSC_IfEEEESG_fNS9_4plusIvEENS9_8equal_toIvEEfEE10hipError_tPvRmT2_T3_T4_T5_mT6_T7_P12ihipStream_tbENKUlT_T0_E_clISt17integral_constantIbLb1EES10_IbLb0EEEEDaSW_SX_EUlSW_E_NS1_11comp_targetILNS1_3genE10ELNS1_11target_archE1201ELNS1_3gpuE5ELNS1_3repE0EEENS1_30default_config_static_selectorELNS0_4arch9wavefront6targetE1EEEvT1_
    .private_segment_fixed_size: 0
    .sgpr_count:     4
    .sgpr_spill_count: 0
    .symbol:         _ZN7rocprim17ROCPRIM_400000_NS6detail17trampoline_kernelINS0_14default_configENS1_27scan_by_key_config_selectorIifEEZZNS1_16scan_by_key_implILNS1_25lookback_scan_determinismE0ELb0ES3_N6thrust23THRUST_200600_302600_NS6detail15normal_iteratorINS9_10device_ptrIiEEEENSB_INSC_IfEEEESG_fNS9_4plusIvEENS9_8equal_toIvEEfEE10hipError_tPvRmT2_T3_T4_T5_mT6_T7_P12ihipStream_tbENKUlT_T0_E_clISt17integral_constantIbLb1EES10_IbLb0EEEEDaSW_SX_EUlSW_E_NS1_11comp_targetILNS1_3genE10ELNS1_11target_archE1201ELNS1_3gpuE5ELNS1_3repE0EEENS1_30default_config_static_selectorELNS0_4arch9wavefront6targetE1EEEvT1_.kd
    .uniform_work_group_size: 1
    .uses_dynamic_stack: false
    .vgpr_count:     0
    .vgpr_spill_count: 0
    .wavefront_size: 64
  - .agpr_count:     0
    .args:
      - .offset:         0
        .size:           112
        .value_kind:     by_value
    .group_segment_fixed_size: 0
    .kernarg_segment_align: 8
    .kernarg_segment_size: 112
    .language:       OpenCL C
    .language_version:
      - 2
      - 0
    .max_flat_workgroup_size: 256
    .name:           _ZN7rocprim17ROCPRIM_400000_NS6detail17trampoline_kernelINS0_14default_configENS1_27scan_by_key_config_selectorIifEEZZNS1_16scan_by_key_implILNS1_25lookback_scan_determinismE0ELb0ES3_N6thrust23THRUST_200600_302600_NS6detail15normal_iteratorINS9_10device_ptrIiEEEENSB_INSC_IfEEEESG_fNS9_4plusIvEENS9_8equal_toIvEEfEE10hipError_tPvRmT2_T3_T4_T5_mT6_T7_P12ihipStream_tbENKUlT_T0_E_clISt17integral_constantIbLb1EES10_IbLb0EEEEDaSW_SX_EUlSW_E_NS1_11comp_targetILNS1_3genE5ELNS1_11target_archE942ELNS1_3gpuE9ELNS1_3repE0EEENS1_30default_config_static_selectorELNS0_4arch9wavefront6targetE1EEEvT1_
    .private_segment_fixed_size: 0
    .sgpr_count:     4
    .sgpr_spill_count: 0
    .symbol:         _ZN7rocprim17ROCPRIM_400000_NS6detail17trampoline_kernelINS0_14default_configENS1_27scan_by_key_config_selectorIifEEZZNS1_16scan_by_key_implILNS1_25lookback_scan_determinismE0ELb0ES3_N6thrust23THRUST_200600_302600_NS6detail15normal_iteratorINS9_10device_ptrIiEEEENSB_INSC_IfEEEESG_fNS9_4plusIvEENS9_8equal_toIvEEfEE10hipError_tPvRmT2_T3_T4_T5_mT6_T7_P12ihipStream_tbENKUlT_T0_E_clISt17integral_constantIbLb1EES10_IbLb0EEEEDaSW_SX_EUlSW_E_NS1_11comp_targetILNS1_3genE5ELNS1_11target_archE942ELNS1_3gpuE9ELNS1_3repE0EEENS1_30default_config_static_selectorELNS0_4arch9wavefront6targetE1EEEvT1_.kd
    .uniform_work_group_size: 1
    .uses_dynamic_stack: false
    .vgpr_count:     0
    .vgpr_spill_count: 0
    .wavefront_size: 64
  - .agpr_count:     0
    .args:
      - .offset:         0
        .size:           112
        .value_kind:     by_value
    .group_segment_fixed_size: 16384
    .kernarg_segment_align: 8
    .kernarg_segment_size: 112
    .language:       OpenCL C
    .language_version:
      - 2
      - 0
    .max_flat_workgroup_size: 256
    .name:           _ZN7rocprim17ROCPRIM_400000_NS6detail17trampoline_kernelINS0_14default_configENS1_27scan_by_key_config_selectorIifEEZZNS1_16scan_by_key_implILNS1_25lookback_scan_determinismE0ELb0ES3_N6thrust23THRUST_200600_302600_NS6detail15normal_iteratorINS9_10device_ptrIiEEEENSB_INSC_IfEEEESG_fNS9_4plusIvEENS9_8equal_toIvEEfEE10hipError_tPvRmT2_T3_T4_T5_mT6_T7_P12ihipStream_tbENKUlT_T0_E_clISt17integral_constantIbLb1EES10_IbLb0EEEEDaSW_SX_EUlSW_E_NS1_11comp_targetILNS1_3genE4ELNS1_11target_archE910ELNS1_3gpuE8ELNS1_3repE0EEENS1_30default_config_static_selectorELNS0_4arch9wavefront6targetE1EEEvT1_
    .private_segment_fixed_size: 0
    .sgpr_count:     67
    .sgpr_spill_count: 0
    .symbol:         _ZN7rocprim17ROCPRIM_400000_NS6detail17trampoline_kernelINS0_14default_configENS1_27scan_by_key_config_selectorIifEEZZNS1_16scan_by_key_implILNS1_25lookback_scan_determinismE0ELb0ES3_N6thrust23THRUST_200600_302600_NS6detail15normal_iteratorINS9_10device_ptrIiEEEENSB_INSC_IfEEEESG_fNS9_4plusIvEENS9_8equal_toIvEEfEE10hipError_tPvRmT2_T3_T4_T5_mT6_T7_P12ihipStream_tbENKUlT_T0_E_clISt17integral_constantIbLb1EES10_IbLb0EEEEDaSW_SX_EUlSW_E_NS1_11comp_targetILNS1_3genE4ELNS1_11target_archE910ELNS1_3gpuE8ELNS1_3repE0EEENS1_30default_config_static_selectorELNS0_4arch9wavefront6targetE1EEEvT1_.kd
    .uniform_work_group_size: 1
    .uses_dynamic_stack: false
    .vgpr_count:     64
    .vgpr_spill_count: 0
    .wavefront_size: 64
  - .agpr_count:     0
    .args:
      - .offset:         0
        .size:           112
        .value_kind:     by_value
    .group_segment_fixed_size: 0
    .kernarg_segment_align: 8
    .kernarg_segment_size: 112
    .language:       OpenCL C
    .language_version:
      - 2
      - 0
    .max_flat_workgroup_size: 256
    .name:           _ZN7rocprim17ROCPRIM_400000_NS6detail17trampoline_kernelINS0_14default_configENS1_27scan_by_key_config_selectorIifEEZZNS1_16scan_by_key_implILNS1_25lookback_scan_determinismE0ELb0ES3_N6thrust23THRUST_200600_302600_NS6detail15normal_iteratorINS9_10device_ptrIiEEEENSB_INSC_IfEEEESG_fNS9_4plusIvEENS9_8equal_toIvEEfEE10hipError_tPvRmT2_T3_T4_T5_mT6_T7_P12ihipStream_tbENKUlT_T0_E_clISt17integral_constantIbLb1EES10_IbLb0EEEEDaSW_SX_EUlSW_E_NS1_11comp_targetILNS1_3genE3ELNS1_11target_archE908ELNS1_3gpuE7ELNS1_3repE0EEENS1_30default_config_static_selectorELNS0_4arch9wavefront6targetE1EEEvT1_
    .private_segment_fixed_size: 0
    .sgpr_count:     4
    .sgpr_spill_count: 0
    .symbol:         _ZN7rocprim17ROCPRIM_400000_NS6detail17trampoline_kernelINS0_14default_configENS1_27scan_by_key_config_selectorIifEEZZNS1_16scan_by_key_implILNS1_25lookback_scan_determinismE0ELb0ES3_N6thrust23THRUST_200600_302600_NS6detail15normal_iteratorINS9_10device_ptrIiEEEENSB_INSC_IfEEEESG_fNS9_4plusIvEENS9_8equal_toIvEEfEE10hipError_tPvRmT2_T3_T4_T5_mT6_T7_P12ihipStream_tbENKUlT_T0_E_clISt17integral_constantIbLb1EES10_IbLb0EEEEDaSW_SX_EUlSW_E_NS1_11comp_targetILNS1_3genE3ELNS1_11target_archE908ELNS1_3gpuE7ELNS1_3repE0EEENS1_30default_config_static_selectorELNS0_4arch9wavefront6targetE1EEEvT1_.kd
    .uniform_work_group_size: 1
    .uses_dynamic_stack: false
    .vgpr_count:     0
    .vgpr_spill_count: 0
    .wavefront_size: 64
  - .agpr_count:     0
    .args:
      - .offset:         0
        .size:           112
        .value_kind:     by_value
    .group_segment_fixed_size: 0
    .kernarg_segment_align: 8
    .kernarg_segment_size: 112
    .language:       OpenCL C
    .language_version:
      - 2
      - 0
    .max_flat_workgroup_size: 256
    .name:           _ZN7rocprim17ROCPRIM_400000_NS6detail17trampoline_kernelINS0_14default_configENS1_27scan_by_key_config_selectorIifEEZZNS1_16scan_by_key_implILNS1_25lookback_scan_determinismE0ELb0ES3_N6thrust23THRUST_200600_302600_NS6detail15normal_iteratorINS9_10device_ptrIiEEEENSB_INSC_IfEEEESG_fNS9_4plusIvEENS9_8equal_toIvEEfEE10hipError_tPvRmT2_T3_T4_T5_mT6_T7_P12ihipStream_tbENKUlT_T0_E_clISt17integral_constantIbLb1EES10_IbLb0EEEEDaSW_SX_EUlSW_E_NS1_11comp_targetILNS1_3genE2ELNS1_11target_archE906ELNS1_3gpuE6ELNS1_3repE0EEENS1_30default_config_static_selectorELNS0_4arch9wavefront6targetE1EEEvT1_
    .private_segment_fixed_size: 0
    .sgpr_count:     4
    .sgpr_spill_count: 0
    .symbol:         _ZN7rocprim17ROCPRIM_400000_NS6detail17trampoline_kernelINS0_14default_configENS1_27scan_by_key_config_selectorIifEEZZNS1_16scan_by_key_implILNS1_25lookback_scan_determinismE0ELb0ES3_N6thrust23THRUST_200600_302600_NS6detail15normal_iteratorINS9_10device_ptrIiEEEENSB_INSC_IfEEEESG_fNS9_4plusIvEENS9_8equal_toIvEEfEE10hipError_tPvRmT2_T3_T4_T5_mT6_T7_P12ihipStream_tbENKUlT_T0_E_clISt17integral_constantIbLb1EES10_IbLb0EEEEDaSW_SX_EUlSW_E_NS1_11comp_targetILNS1_3genE2ELNS1_11target_archE906ELNS1_3gpuE6ELNS1_3repE0EEENS1_30default_config_static_selectorELNS0_4arch9wavefront6targetE1EEEvT1_.kd
    .uniform_work_group_size: 1
    .uses_dynamic_stack: false
    .vgpr_count:     0
    .vgpr_spill_count: 0
    .wavefront_size: 64
  - .agpr_count:     0
    .args:
      - .offset:         0
        .size:           112
        .value_kind:     by_value
    .group_segment_fixed_size: 0
    .kernarg_segment_align: 8
    .kernarg_segment_size: 112
    .language:       OpenCL C
    .language_version:
      - 2
      - 0
    .max_flat_workgroup_size: 256
    .name:           _ZN7rocprim17ROCPRIM_400000_NS6detail17trampoline_kernelINS0_14default_configENS1_27scan_by_key_config_selectorIifEEZZNS1_16scan_by_key_implILNS1_25lookback_scan_determinismE0ELb0ES3_N6thrust23THRUST_200600_302600_NS6detail15normal_iteratorINS9_10device_ptrIiEEEENSB_INSC_IfEEEESG_fNS9_4plusIvEENS9_8equal_toIvEEfEE10hipError_tPvRmT2_T3_T4_T5_mT6_T7_P12ihipStream_tbENKUlT_T0_E_clISt17integral_constantIbLb1EES10_IbLb0EEEEDaSW_SX_EUlSW_E_NS1_11comp_targetILNS1_3genE10ELNS1_11target_archE1200ELNS1_3gpuE4ELNS1_3repE0EEENS1_30default_config_static_selectorELNS0_4arch9wavefront6targetE1EEEvT1_
    .private_segment_fixed_size: 0
    .sgpr_count:     4
    .sgpr_spill_count: 0
    .symbol:         _ZN7rocprim17ROCPRIM_400000_NS6detail17trampoline_kernelINS0_14default_configENS1_27scan_by_key_config_selectorIifEEZZNS1_16scan_by_key_implILNS1_25lookback_scan_determinismE0ELb0ES3_N6thrust23THRUST_200600_302600_NS6detail15normal_iteratorINS9_10device_ptrIiEEEENSB_INSC_IfEEEESG_fNS9_4plusIvEENS9_8equal_toIvEEfEE10hipError_tPvRmT2_T3_T4_T5_mT6_T7_P12ihipStream_tbENKUlT_T0_E_clISt17integral_constantIbLb1EES10_IbLb0EEEEDaSW_SX_EUlSW_E_NS1_11comp_targetILNS1_3genE10ELNS1_11target_archE1200ELNS1_3gpuE4ELNS1_3repE0EEENS1_30default_config_static_selectorELNS0_4arch9wavefront6targetE1EEEvT1_.kd
    .uniform_work_group_size: 1
    .uses_dynamic_stack: false
    .vgpr_count:     0
    .vgpr_spill_count: 0
    .wavefront_size: 64
  - .agpr_count:     0
    .args:
      - .offset:         0
        .size:           112
        .value_kind:     by_value
    .group_segment_fixed_size: 0
    .kernarg_segment_align: 8
    .kernarg_segment_size: 112
    .language:       OpenCL C
    .language_version:
      - 2
      - 0
    .max_flat_workgroup_size: 256
    .name:           _ZN7rocprim17ROCPRIM_400000_NS6detail17trampoline_kernelINS0_14default_configENS1_27scan_by_key_config_selectorIifEEZZNS1_16scan_by_key_implILNS1_25lookback_scan_determinismE0ELb0ES3_N6thrust23THRUST_200600_302600_NS6detail15normal_iteratorINS9_10device_ptrIiEEEENSB_INSC_IfEEEESG_fNS9_4plusIvEENS9_8equal_toIvEEfEE10hipError_tPvRmT2_T3_T4_T5_mT6_T7_P12ihipStream_tbENKUlT_T0_E_clISt17integral_constantIbLb1EES10_IbLb0EEEEDaSW_SX_EUlSW_E_NS1_11comp_targetILNS1_3genE9ELNS1_11target_archE1100ELNS1_3gpuE3ELNS1_3repE0EEENS1_30default_config_static_selectorELNS0_4arch9wavefront6targetE1EEEvT1_
    .private_segment_fixed_size: 0
    .sgpr_count:     4
    .sgpr_spill_count: 0
    .symbol:         _ZN7rocprim17ROCPRIM_400000_NS6detail17trampoline_kernelINS0_14default_configENS1_27scan_by_key_config_selectorIifEEZZNS1_16scan_by_key_implILNS1_25lookback_scan_determinismE0ELb0ES3_N6thrust23THRUST_200600_302600_NS6detail15normal_iteratorINS9_10device_ptrIiEEEENSB_INSC_IfEEEESG_fNS9_4plusIvEENS9_8equal_toIvEEfEE10hipError_tPvRmT2_T3_T4_T5_mT6_T7_P12ihipStream_tbENKUlT_T0_E_clISt17integral_constantIbLb1EES10_IbLb0EEEEDaSW_SX_EUlSW_E_NS1_11comp_targetILNS1_3genE9ELNS1_11target_archE1100ELNS1_3gpuE3ELNS1_3repE0EEENS1_30default_config_static_selectorELNS0_4arch9wavefront6targetE1EEEvT1_.kd
    .uniform_work_group_size: 1
    .uses_dynamic_stack: false
    .vgpr_count:     0
    .vgpr_spill_count: 0
    .wavefront_size: 64
  - .agpr_count:     0
    .args:
      - .offset:         0
        .size:           112
        .value_kind:     by_value
    .group_segment_fixed_size: 0
    .kernarg_segment_align: 8
    .kernarg_segment_size: 112
    .language:       OpenCL C
    .language_version:
      - 2
      - 0
    .max_flat_workgroup_size: 256
    .name:           _ZN7rocprim17ROCPRIM_400000_NS6detail17trampoline_kernelINS0_14default_configENS1_27scan_by_key_config_selectorIifEEZZNS1_16scan_by_key_implILNS1_25lookback_scan_determinismE0ELb0ES3_N6thrust23THRUST_200600_302600_NS6detail15normal_iteratorINS9_10device_ptrIiEEEENSB_INSC_IfEEEESG_fNS9_4plusIvEENS9_8equal_toIvEEfEE10hipError_tPvRmT2_T3_T4_T5_mT6_T7_P12ihipStream_tbENKUlT_T0_E_clISt17integral_constantIbLb1EES10_IbLb0EEEEDaSW_SX_EUlSW_E_NS1_11comp_targetILNS1_3genE8ELNS1_11target_archE1030ELNS1_3gpuE2ELNS1_3repE0EEENS1_30default_config_static_selectorELNS0_4arch9wavefront6targetE1EEEvT1_
    .private_segment_fixed_size: 0
    .sgpr_count:     4
    .sgpr_spill_count: 0
    .symbol:         _ZN7rocprim17ROCPRIM_400000_NS6detail17trampoline_kernelINS0_14default_configENS1_27scan_by_key_config_selectorIifEEZZNS1_16scan_by_key_implILNS1_25lookback_scan_determinismE0ELb0ES3_N6thrust23THRUST_200600_302600_NS6detail15normal_iteratorINS9_10device_ptrIiEEEENSB_INSC_IfEEEESG_fNS9_4plusIvEENS9_8equal_toIvEEfEE10hipError_tPvRmT2_T3_T4_T5_mT6_T7_P12ihipStream_tbENKUlT_T0_E_clISt17integral_constantIbLb1EES10_IbLb0EEEEDaSW_SX_EUlSW_E_NS1_11comp_targetILNS1_3genE8ELNS1_11target_archE1030ELNS1_3gpuE2ELNS1_3repE0EEENS1_30default_config_static_selectorELNS0_4arch9wavefront6targetE1EEEvT1_.kd
    .uniform_work_group_size: 1
    .uses_dynamic_stack: false
    .vgpr_count:     0
    .vgpr_spill_count: 0
    .wavefront_size: 64
  - .agpr_count:     0
    .args:
      - .address_space:  global
        .offset:         0
        .size:           8
        .value_kind:     global_buffer
      - .offset:         8
        .size:           4
        .value_kind:     by_value
      - .offset:         12
        .size:           4
        .value_kind:     by_value
      - .address_space:  global
        .offset:         16
        .size:           8
        .value_kind:     global_buffer
      - .address_space:  global
        .offset:         24
        .size:           8
        .value_kind:     global_buffer
      - .actual_access:  write_only
        .address_space:  global
        .offset:         32
        .size:           8
        .value_kind:     global_buffer
      - .offset:         40
        .size:           8
        .value_kind:     by_value
      - .offset:         48
        .size:           4
        .value_kind:     by_value
      - .address_space:  global
        .offset:         56
        .size:           8
        .value_kind:     global_buffer
      - .offset:         64
        .size:           4
        .value_kind:     hidden_block_count_x
      - .offset:         68
        .size:           4
        .value_kind:     hidden_block_count_y
      - .offset:         72
        .size:           4
        .value_kind:     hidden_block_count_z
      - .offset:         76
        .size:           2
        .value_kind:     hidden_group_size_x
      - .offset:         78
        .size:           2
        .value_kind:     hidden_group_size_y
      - .offset:         80
        .size:           2
        .value_kind:     hidden_group_size_z
      - .offset:         82
        .size:           2
        .value_kind:     hidden_remainder_x
      - .offset:         84
        .size:           2
        .value_kind:     hidden_remainder_y
      - .offset:         86
        .size:           2
        .value_kind:     hidden_remainder_z
      - .offset:         104
        .size:           8
        .value_kind:     hidden_global_offset_x
      - .offset:         112
        .size:           8
        .value_kind:     hidden_global_offset_y
      - .offset:         120
        .size:           8
        .value_kind:     hidden_global_offset_z
      - .offset:         128
        .size:           2
        .value_kind:     hidden_grid_dims
    .group_segment_fixed_size: 0
    .kernarg_segment_align: 8
    .kernarg_segment_size: 320
    .language:       OpenCL C
    .language_version:
      - 2
      - 0
    .max_flat_workgroup_size: 256
    .name:           _ZN7rocprim17ROCPRIM_400000_NS6detail30init_device_scan_by_key_kernelINS1_19lookback_scan_stateINS0_5tupleIJfbEEELb0ELb1EEEN6thrust23THRUST_200600_302600_NS6detail15normal_iteratorINS8_10device_ptrIiEEEEjNS1_16block_id_wrapperIjLb1EEEEEvT_jjPNSG_10value_typeET0_PNSt15iterator_traitsISJ_E10value_typeEmT1_T2_
    .private_segment_fixed_size: 0
    .sgpr_count:     24
    .sgpr_spill_count: 0
    .symbol:         _ZN7rocprim17ROCPRIM_400000_NS6detail30init_device_scan_by_key_kernelINS1_19lookback_scan_stateINS0_5tupleIJfbEEELb0ELb1EEEN6thrust23THRUST_200600_302600_NS6detail15normal_iteratorINS8_10device_ptrIiEEEEjNS1_16block_id_wrapperIjLb1EEEEEvT_jjPNSG_10value_typeET0_PNSt15iterator_traitsISJ_E10value_typeEmT1_T2_.kd
    .uniform_work_group_size: 1
    .uses_dynamic_stack: false
    .vgpr_count:     10
    .vgpr_spill_count: 0
    .wavefront_size: 64
  - .agpr_count:     0
    .args:
      - .address_space:  global
        .offset:         0
        .size:           8
        .value_kind:     global_buffer
      - .offset:         8
        .size:           4
        .value_kind:     by_value
      - .offset:         12
        .size:           4
        .value_kind:     by_value
      - .address_space:  global
        .offset:         16
        .size:           8
        .value_kind:     global_buffer
      - .address_space:  global
        .offset:         24
        .size:           8
        .value_kind:     global_buffer
      - .offset:         32
        .size:           4
        .value_kind:     hidden_block_count_x
      - .offset:         36
        .size:           4
        .value_kind:     hidden_block_count_y
      - .offset:         40
        .size:           4
        .value_kind:     hidden_block_count_z
      - .offset:         44
        .size:           2
        .value_kind:     hidden_group_size_x
      - .offset:         46
        .size:           2
        .value_kind:     hidden_group_size_y
      - .offset:         48
        .size:           2
        .value_kind:     hidden_group_size_z
      - .offset:         50
        .size:           2
        .value_kind:     hidden_remainder_x
      - .offset:         52
        .size:           2
        .value_kind:     hidden_remainder_y
      - .offset:         54
        .size:           2
        .value_kind:     hidden_remainder_z
      - .offset:         72
        .size:           8
        .value_kind:     hidden_global_offset_x
      - .offset:         80
        .size:           8
        .value_kind:     hidden_global_offset_y
      - .offset:         88
        .size:           8
        .value_kind:     hidden_global_offset_z
      - .offset:         96
        .size:           2
        .value_kind:     hidden_grid_dims
    .group_segment_fixed_size: 0
    .kernarg_segment_align: 8
    .kernarg_segment_size: 288
    .language:       OpenCL C
    .language_version:
      - 2
      - 0
    .max_flat_workgroup_size: 256
    .name:           _ZN7rocprim17ROCPRIM_400000_NS6detail30init_device_scan_by_key_kernelINS1_19lookback_scan_stateINS0_5tupleIJfbEEELb0ELb1EEENS1_16block_id_wrapperIjLb1EEEEEvT_jjPNS9_10value_typeET0_
    .private_segment_fixed_size: 0
    .sgpr_count:     20
    .sgpr_spill_count: 0
    .symbol:         _ZN7rocprim17ROCPRIM_400000_NS6detail30init_device_scan_by_key_kernelINS1_19lookback_scan_stateINS0_5tupleIJfbEEELb0ELb1EEENS1_16block_id_wrapperIjLb1EEEEEvT_jjPNS9_10value_typeET0_.kd
    .uniform_work_group_size: 1
    .uses_dynamic_stack: false
    .vgpr_count:     10
    .vgpr_spill_count: 0
    .wavefront_size: 64
  - .agpr_count:     0
    .args:
      - .offset:         0
        .size:           112
        .value_kind:     by_value
    .group_segment_fixed_size: 0
    .kernarg_segment_align: 8
    .kernarg_segment_size: 112
    .language:       OpenCL C
    .language_version:
      - 2
      - 0
    .max_flat_workgroup_size: 256
    .name:           _ZN7rocprim17ROCPRIM_400000_NS6detail17trampoline_kernelINS0_14default_configENS1_27scan_by_key_config_selectorIifEEZZNS1_16scan_by_key_implILNS1_25lookback_scan_determinismE0ELb0ES3_N6thrust23THRUST_200600_302600_NS6detail15normal_iteratorINS9_10device_ptrIiEEEENSB_INSC_IfEEEESG_fNS9_4plusIvEENS9_8equal_toIvEEfEE10hipError_tPvRmT2_T3_T4_T5_mT6_T7_P12ihipStream_tbENKUlT_T0_E_clISt17integral_constantIbLb0EES10_IbLb1EEEEDaSW_SX_EUlSW_E_NS1_11comp_targetILNS1_3genE0ELNS1_11target_archE4294967295ELNS1_3gpuE0ELNS1_3repE0EEENS1_30default_config_static_selectorELNS0_4arch9wavefront6targetE1EEEvT1_
    .private_segment_fixed_size: 0
    .sgpr_count:     4
    .sgpr_spill_count: 0
    .symbol:         _ZN7rocprim17ROCPRIM_400000_NS6detail17trampoline_kernelINS0_14default_configENS1_27scan_by_key_config_selectorIifEEZZNS1_16scan_by_key_implILNS1_25lookback_scan_determinismE0ELb0ES3_N6thrust23THRUST_200600_302600_NS6detail15normal_iteratorINS9_10device_ptrIiEEEENSB_INSC_IfEEEESG_fNS9_4plusIvEENS9_8equal_toIvEEfEE10hipError_tPvRmT2_T3_T4_T5_mT6_T7_P12ihipStream_tbENKUlT_T0_E_clISt17integral_constantIbLb0EES10_IbLb1EEEEDaSW_SX_EUlSW_E_NS1_11comp_targetILNS1_3genE0ELNS1_11target_archE4294967295ELNS1_3gpuE0ELNS1_3repE0EEENS1_30default_config_static_selectorELNS0_4arch9wavefront6targetE1EEEvT1_.kd
    .uniform_work_group_size: 1
    .uses_dynamic_stack: false
    .vgpr_count:     0
    .vgpr_spill_count: 0
    .wavefront_size: 64
  - .agpr_count:     0
    .args:
      - .offset:         0
        .size:           112
        .value_kind:     by_value
    .group_segment_fixed_size: 0
    .kernarg_segment_align: 8
    .kernarg_segment_size: 112
    .language:       OpenCL C
    .language_version:
      - 2
      - 0
    .max_flat_workgroup_size: 256
    .name:           _ZN7rocprim17ROCPRIM_400000_NS6detail17trampoline_kernelINS0_14default_configENS1_27scan_by_key_config_selectorIifEEZZNS1_16scan_by_key_implILNS1_25lookback_scan_determinismE0ELb0ES3_N6thrust23THRUST_200600_302600_NS6detail15normal_iteratorINS9_10device_ptrIiEEEENSB_INSC_IfEEEESG_fNS9_4plusIvEENS9_8equal_toIvEEfEE10hipError_tPvRmT2_T3_T4_T5_mT6_T7_P12ihipStream_tbENKUlT_T0_E_clISt17integral_constantIbLb0EES10_IbLb1EEEEDaSW_SX_EUlSW_E_NS1_11comp_targetILNS1_3genE10ELNS1_11target_archE1201ELNS1_3gpuE5ELNS1_3repE0EEENS1_30default_config_static_selectorELNS0_4arch9wavefront6targetE1EEEvT1_
    .private_segment_fixed_size: 0
    .sgpr_count:     4
    .sgpr_spill_count: 0
    .symbol:         _ZN7rocprim17ROCPRIM_400000_NS6detail17trampoline_kernelINS0_14default_configENS1_27scan_by_key_config_selectorIifEEZZNS1_16scan_by_key_implILNS1_25lookback_scan_determinismE0ELb0ES3_N6thrust23THRUST_200600_302600_NS6detail15normal_iteratorINS9_10device_ptrIiEEEENSB_INSC_IfEEEESG_fNS9_4plusIvEENS9_8equal_toIvEEfEE10hipError_tPvRmT2_T3_T4_T5_mT6_T7_P12ihipStream_tbENKUlT_T0_E_clISt17integral_constantIbLb0EES10_IbLb1EEEEDaSW_SX_EUlSW_E_NS1_11comp_targetILNS1_3genE10ELNS1_11target_archE1201ELNS1_3gpuE5ELNS1_3repE0EEENS1_30default_config_static_selectorELNS0_4arch9wavefront6targetE1EEEvT1_.kd
    .uniform_work_group_size: 1
    .uses_dynamic_stack: false
    .vgpr_count:     0
    .vgpr_spill_count: 0
    .wavefront_size: 64
  - .agpr_count:     0
    .args:
      - .offset:         0
        .size:           112
        .value_kind:     by_value
    .group_segment_fixed_size: 0
    .kernarg_segment_align: 8
    .kernarg_segment_size: 112
    .language:       OpenCL C
    .language_version:
      - 2
      - 0
    .max_flat_workgroup_size: 256
    .name:           _ZN7rocprim17ROCPRIM_400000_NS6detail17trampoline_kernelINS0_14default_configENS1_27scan_by_key_config_selectorIifEEZZNS1_16scan_by_key_implILNS1_25lookback_scan_determinismE0ELb0ES3_N6thrust23THRUST_200600_302600_NS6detail15normal_iteratorINS9_10device_ptrIiEEEENSB_INSC_IfEEEESG_fNS9_4plusIvEENS9_8equal_toIvEEfEE10hipError_tPvRmT2_T3_T4_T5_mT6_T7_P12ihipStream_tbENKUlT_T0_E_clISt17integral_constantIbLb0EES10_IbLb1EEEEDaSW_SX_EUlSW_E_NS1_11comp_targetILNS1_3genE5ELNS1_11target_archE942ELNS1_3gpuE9ELNS1_3repE0EEENS1_30default_config_static_selectorELNS0_4arch9wavefront6targetE1EEEvT1_
    .private_segment_fixed_size: 0
    .sgpr_count:     4
    .sgpr_spill_count: 0
    .symbol:         _ZN7rocprim17ROCPRIM_400000_NS6detail17trampoline_kernelINS0_14default_configENS1_27scan_by_key_config_selectorIifEEZZNS1_16scan_by_key_implILNS1_25lookback_scan_determinismE0ELb0ES3_N6thrust23THRUST_200600_302600_NS6detail15normal_iteratorINS9_10device_ptrIiEEEENSB_INSC_IfEEEESG_fNS9_4plusIvEENS9_8equal_toIvEEfEE10hipError_tPvRmT2_T3_T4_T5_mT6_T7_P12ihipStream_tbENKUlT_T0_E_clISt17integral_constantIbLb0EES10_IbLb1EEEEDaSW_SX_EUlSW_E_NS1_11comp_targetILNS1_3genE5ELNS1_11target_archE942ELNS1_3gpuE9ELNS1_3repE0EEENS1_30default_config_static_selectorELNS0_4arch9wavefront6targetE1EEEvT1_.kd
    .uniform_work_group_size: 1
    .uses_dynamic_stack: false
    .vgpr_count:     0
    .vgpr_spill_count: 0
    .wavefront_size: 64
  - .agpr_count:     0
    .args:
      - .offset:         0
        .size:           112
        .value_kind:     by_value
    .group_segment_fixed_size: 16384
    .kernarg_segment_align: 8
    .kernarg_segment_size: 112
    .language:       OpenCL C
    .language_version:
      - 2
      - 0
    .max_flat_workgroup_size: 256
    .name:           _ZN7rocprim17ROCPRIM_400000_NS6detail17trampoline_kernelINS0_14default_configENS1_27scan_by_key_config_selectorIifEEZZNS1_16scan_by_key_implILNS1_25lookback_scan_determinismE0ELb0ES3_N6thrust23THRUST_200600_302600_NS6detail15normal_iteratorINS9_10device_ptrIiEEEENSB_INSC_IfEEEESG_fNS9_4plusIvEENS9_8equal_toIvEEfEE10hipError_tPvRmT2_T3_T4_T5_mT6_T7_P12ihipStream_tbENKUlT_T0_E_clISt17integral_constantIbLb0EES10_IbLb1EEEEDaSW_SX_EUlSW_E_NS1_11comp_targetILNS1_3genE4ELNS1_11target_archE910ELNS1_3gpuE8ELNS1_3repE0EEENS1_30default_config_static_selectorELNS0_4arch9wavefront6targetE1EEEvT1_
    .private_segment_fixed_size: 0
    .sgpr_count:     71
    .sgpr_spill_count: 0
    .symbol:         _ZN7rocprim17ROCPRIM_400000_NS6detail17trampoline_kernelINS0_14default_configENS1_27scan_by_key_config_selectorIifEEZZNS1_16scan_by_key_implILNS1_25lookback_scan_determinismE0ELb0ES3_N6thrust23THRUST_200600_302600_NS6detail15normal_iteratorINS9_10device_ptrIiEEEENSB_INSC_IfEEEESG_fNS9_4plusIvEENS9_8equal_toIvEEfEE10hipError_tPvRmT2_T3_T4_T5_mT6_T7_P12ihipStream_tbENKUlT_T0_E_clISt17integral_constantIbLb0EES10_IbLb1EEEEDaSW_SX_EUlSW_E_NS1_11comp_targetILNS1_3genE4ELNS1_11target_archE910ELNS1_3gpuE8ELNS1_3repE0EEENS1_30default_config_static_selectorELNS0_4arch9wavefront6targetE1EEEvT1_.kd
    .uniform_work_group_size: 1
    .uses_dynamic_stack: false
    .vgpr_count:     64
    .vgpr_spill_count: 0
    .wavefront_size: 64
  - .agpr_count:     0
    .args:
      - .offset:         0
        .size:           112
        .value_kind:     by_value
    .group_segment_fixed_size: 0
    .kernarg_segment_align: 8
    .kernarg_segment_size: 112
    .language:       OpenCL C
    .language_version:
      - 2
      - 0
    .max_flat_workgroup_size: 256
    .name:           _ZN7rocprim17ROCPRIM_400000_NS6detail17trampoline_kernelINS0_14default_configENS1_27scan_by_key_config_selectorIifEEZZNS1_16scan_by_key_implILNS1_25lookback_scan_determinismE0ELb0ES3_N6thrust23THRUST_200600_302600_NS6detail15normal_iteratorINS9_10device_ptrIiEEEENSB_INSC_IfEEEESG_fNS9_4plusIvEENS9_8equal_toIvEEfEE10hipError_tPvRmT2_T3_T4_T5_mT6_T7_P12ihipStream_tbENKUlT_T0_E_clISt17integral_constantIbLb0EES10_IbLb1EEEEDaSW_SX_EUlSW_E_NS1_11comp_targetILNS1_3genE3ELNS1_11target_archE908ELNS1_3gpuE7ELNS1_3repE0EEENS1_30default_config_static_selectorELNS0_4arch9wavefront6targetE1EEEvT1_
    .private_segment_fixed_size: 0
    .sgpr_count:     4
    .sgpr_spill_count: 0
    .symbol:         _ZN7rocprim17ROCPRIM_400000_NS6detail17trampoline_kernelINS0_14default_configENS1_27scan_by_key_config_selectorIifEEZZNS1_16scan_by_key_implILNS1_25lookback_scan_determinismE0ELb0ES3_N6thrust23THRUST_200600_302600_NS6detail15normal_iteratorINS9_10device_ptrIiEEEENSB_INSC_IfEEEESG_fNS9_4plusIvEENS9_8equal_toIvEEfEE10hipError_tPvRmT2_T3_T4_T5_mT6_T7_P12ihipStream_tbENKUlT_T0_E_clISt17integral_constantIbLb0EES10_IbLb1EEEEDaSW_SX_EUlSW_E_NS1_11comp_targetILNS1_3genE3ELNS1_11target_archE908ELNS1_3gpuE7ELNS1_3repE0EEENS1_30default_config_static_selectorELNS0_4arch9wavefront6targetE1EEEvT1_.kd
    .uniform_work_group_size: 1
    .uses_dynamic_stack: false
    .vgpr_count:     0
    .vgpr_spill_count: 0
    .wavefront_size: 64
  - .agpr_count:     0
    .args:
      - .offset:         0
        .size:           112
        .value_kind:     by_value
    .group_segment_fixed_size: 0
    .kernarg_segment_align: 8
    .kernarg_segment_size: 112
    .language:       OpenCL C
    .language_version:
      - 2
      - 0
    .max_flat_workgroup_size: 256
    .name:           _ZN7rocprim17ROCPRIM_400000_NS6detail17trampoline_kernelINS0_14default_configENS1_27scan_by_key_config_selectorIifEEZZNS1_16scan_by_key_implILNS1_25lookback_scan_determinismE0ELb0ES3_N6thrust23THRUST_200600_302600_NS6detail15normal_iteratorINS9_10device_ptrIiEEEENSB_INSC_IfEEEESG_fNS9_4plusIvEENS9_8equal_toIvEEfEE10hipError_tPvRmT2_T3_T4_T5_mT6_T7_P12ihipStream_tbENKUlT_T0_E_clISt17integral_constantIbLb0EES10_IbLb1EEEEDaSW_SX_EUlSW_E_NS1_11comp_targetILNS1_3genE2ELNS1_11target_archE906ELNS1_3gpuE6ELNS1_3repE0EEENS1_30default_config_static_selectorELNS0_4arch9wavefront6targetE1EEEvT1_
    .private_segment_fixed_size: 0
    .sgpr_count:     4
    .sgpr_spill_count: 0
    .symbol:         _ZN7rocprim17ROCPRIM_400000_NS6detail17trampoline_kernelINS0_14default_configENS1_27scan_by_key_config_selectorIifEEZZNS1_16scan_by_key_implILNS1_25lookback_scan_determinismE0ELb0ES3_N6thrust23THRUST_200600_302600_NS6detail15normal_iteratorINS9_10device_ptrIiEEEENSB_INSC_IfEEEESG_fNS9_4plusIvEENS9_8equal_toIvEEfEE10hipError_tPvRmT2_T3_T4_T5_mT6_T7_P12ihipStream_tbENKUlT_T0_E_clISt17integral_constantIbLb0EES10_IbLb1EEEEDaSW_SX_EUlSW_E_NS1_11comp_targetILNS1_3genE2ELNS1_11target_archE906ELNS1_3gpuE6ELNS1_3repE0EEENS1_30default_config_static_selectorELNS0_4arch9wavefront6targetE1EEEvT1_.kd
    .uniform_work_group_size: 1
    .uses_dynamic_stack: false
    .vgpr_count:     0
    .vgpr_spill_count: 0
    .wavefront_size: 64
  - .agpr_count:     0
    .args:
      - .offset:         0
        .size:           112
        .value_kind:     by_value
    .group_segment_fixed_size: 0
    .kernarg_segment_align: 8
    .kernarg_segment_size: 112
    .language:       OpenCL C
    .language_version:
      - 2
      - 0
    .max_flat_workgroup_size: 256
    .name:           _ZN7rocprim17ROCPRIM_400000_NS6detail17trampoline_kernelINS0_14default_configENS1_27scan_by_key_config_selectorIifEEZZNS1_16scan_by_key_implILNS1_25lookback_scan_determinismE0ELb0ES3_N6thrust23THRUST_200600_302600_NS6detail15normal_iteratorINS9_10device_ptrIiEEEENSB_INSC_IfEEEESG_fNS9_4plusIvEENS9_8equal_toIvEEfEE10hipError_tPvRmT2_T3_T4_T5_mT6_T7_P12ihipStream_tbENKUlT_T0_E_clISt17integral_constantIbLb0EES10_IbLb1EEEEDaSW_SX_EUlSW_E_NS1_11comp_targetILNS1_3genE10ELNS1_11target_archE1200ELNS1_3gpuE4ELNS1_3repE0EEENS1_30default_config_static_selectorELNS0_4arch9wavefront6targetE1EEEvT1_
    .private_segment_fixed_size: 0
    .sgpr_count:     4
    .sgpr_spill_count: 0
    .symbol:         _ZN7rocprim17ROCPRIM_400000_NS6detail17trampoline_kernelINS0_14default_configENS1_27scan_by_key_config_selectorIifEEZZNS1_16scan_by_key_implILNS1_25lookback_scan_determinismE0ELb0ES3_N6thrust23THRUST_200600_302600_NS6detail15normal_iteratorINS9_10device_ptrIiEEEENSB_INSC_IfEEEESG_fNS9_4plusIvEENS9_8equal_toIvEEfEE10hipError_tPvRmT2_T3_T4_T5_mT6_T7_P12ihipStream_tbENKUlT_T0_E_clISt17integral_constantIbLb0EES10_IbLb1EEEEDaSW_SX_EUlSW_E_NS1_11comp_targetILNS1_3genE10ELNS1_11target_archE1200ELNS1_3gpuE4ELNS1_3repE0EEENS1_30default_config_static_selectorELNS0_4arch9wavefront6targetE1EEEvT1_.kd
    .uniform_work_group_size: 1
    .uses_dynamic_stack: false
    .vgpr_count:     0
    .vgpr_spill_count: 0
    .wavefront_size: 64
  - .agpr_count:     0
    .args:
      - .offset:         0
        .size:           112
        .value_kind:     by_value
    .group_segment_fixed_size: 0
    .kernarg_segment_align: 8
    .kernarg_segment_size: 112
    .language:       OpenCL C
    .language_version:
      - 2
      - 0
    .max_flat_workgroup_size: 256
    .name:           _ZN7rocprim17ROCPRIM_400000_NS6detail17trampoline_kernelINS0_14default_configENS1_27scan_by_key_config_selectorIifEEZZNS1_16scan_by_key_implILNS1_25lookback_scan_determinismE0ELb0ES3_N6thrust23THRUST_200600_302600_NS6detail15normal_iteratorINS9_10device_ptrIiEEEENSB_INSC_IfEEEESG_fNS9_4plusIvEENS9_8equal_toIvEEfEE10hipError_tPvRmT2_T3_T4_T5_mT6_T7_P12ihipStream_tbENKUlT_T0_E_clISt17integral_constantIbLb0EES10_IbLb1EEEEDaSW_SX_EUlSW_E_NS1_11comp_targetILNS1_3genE9ELNS1_11target_archE1100ELNS1_3gpuE3ELNS1_3repE0EEENS1_30default_config_static_selectorELNS0_4arch9wavefront6targetE1EEEvT1_
    .private_segment_fixed_size: 0
    .sgpr_count:     4
    .sgpr_spill_count: 0
    .symbol:         _ZN7rocprim17ROCPRIM_400000_NS6detail17trampoline_kernelINS0_14default_configENS1_27scan_by_key_config_selectorIifEEZZNS1_16scan_by_key_implILNS1_25lookback_scan_determinismE0ELb0ES3_N6thrust23THRUST_200600_302600_NS6detail15normal_iteratorINS9_10device_ptrIiEEEENSB_INSC_IfEEEESG_fNS9_4plusIvEENS9_8equal_toIvEEfEE10hipError_tPvRmT2_T3_T4_T5_mT6_T7_P12ihipStream_tbENKUlT_T0_E_clISt17integral_constantIbLb0EES10_IbLb1EEEEDaSW_SX_EUlSW_E_NS1_11comp_targetILNS1_3genE9ELNS1_11target_archE1100ELNS1_3gpuE3ELNS1_3repE0EEENS1_30default_config_static_selectorELNS0_4arch9wavefront6targetE1EEEvT1_.kd
    .uniform_work_group_size: 1
    .uses_dynamic_stack: false
    .vgpr_count:     0
    .vgpr_spill_count: 0
    .wavefront_size: 64
  - .agpr_count:     0
    .args:
      - .offset:         0
        .size:           112
        .value_kind:     by_value
    .group_segment_fixed_size: 0
    .kernarg_segment_align: 8
    .kernarg_segment_size: 112
    .language:       OpenCL C
    .language_version:
      - 2
      - 0
    .max_flat_workgroup_size: 256
    .name:           _ZN7rocprim17ROCPRIM_400000_NS6detail17trampoline_kernelINS0_14default_configENS1_27scan_by_key_config_selectorIifEEZZNS1_16scan_by_key_implILNS1_25lookback_scan_determinismE0ELb0ES3_N6thrust23THRUST_200600_302600_NS6detail15normal_iteratorINS9_10device_ptrIiEEEENSB_INSC_IfEEEESG_fNS9_4plusIvEENS9_8equal_toIvEEfEE10hipError_tPvRmT2_T3_T4_T5_mT6_T7_P12ihipStream_tbENKUlT_T0_E_clISt17integral_constantIbLb0EES10_IbLb1EEEEDaSW_SX_EUlSW_E_NS1_11comp_targetILNS1_3genE8ELNS1_11target_archE1030ELNS1_3gpuE2ELNS1_3repE0EEENS1_30default_config_static_selectorELNS0_4arch9wavefront6targetE1EEEvT1_
    .private_segment_fixed_size: 0
    .sgpr_count:     4
    .sgpr_spill_count: 0
    .symbol:         _ZN7rocprim17ROCPRIM_400000_NS6detail17trampoline_kernelINS0_14default_configENS1_27scan_by_key_config_selectorIifEEZZNS1_16scan_by_key_implILNS1_25lookback_scan_determinismE0ELb0ES3_N6thrust23THRUST_200600_302600_NS6detail15normal_iteratorINS9_10device_ptrIiEEEENSB_INSC_IfEEEESG_fNS9_4plusIvEENS9_8equal_toIvEEfEE10hipError_tPvRmT2_T3_T4_T5_mT6_T7_P12ihipStream_tbENKUlT_T0_E_clISt17integral_constantIbLb0EES10_IbLb1EEEEDaSW_SX_EUlSW_E_NS1_11comp_targetILNS1_3genE8ELNS1_11target_archE1030ELNS1_3gpuE2ELNS1_3repE0EEENS1_30default_config_static_selectorELNS0_4arch9wavefront6targetE1EEEvT1_.kd
    .uniform_work_group_size: 1
    .uses_dynamic_stack: false
    .vgpr_count:     0
    .vgpr_spill_count: 0
    .wavefront_size: 64
  - .agpr_count:     0
    .args:
      - .offset:         0
        .size:           24
        .value_kind:     by_value
      - .offset:         24
        .size:           8
        .value_kind:     by_value
      - .offset:         32
        .size:           8
        .value_kind:     by_value
    .group_segment_fixed_size: 0
    .kernarg_segment_align: 8
    .kernarg_segment_size: 40
    .language:       OpenCL C
    .language_version:
      - 2
      - 0
    .max_flat_workgroup_size: 256
    .name:           _ZN6thrust23THRUST_200600_302600_NS11hip_rocprim14__parallel_for6kernelILj256ENS1_11__transform17unary_transform_fINS0_7pointerIiNS1_3tagENS0_11use_defaultES8_EENS0_10device_ptrIyEENS4_14no_stencil_tagENS0_8identityIiEENS4_21always_true_predicateEEElLj1EEEvT0_T1_SI_
    .private_segment_fixed_size: 0
    .sgpr_count:     16
    .sgpr_spill_count: 0
    .symbol:         _ZN6thrust23THRUST_200600_302600_NS11hip_rocprim14__parallel_for6kernelILj256ENS1_11__transform17unary_transform_fINS0_7pointerIiNS1_3tagENS0_11use_defaultES8_EENS0_10device_ptrIyEENS4_14no_stencil_tagENS0_8identityIiEENS4_21always_true_predicateEEElLj1EEEvT0_T1_SI_.kd
    .uniform_work_group_size: 1
    .uses_dynamic_stack: false
    .vgpr_count:     6
    .vgpr_spill_count: 0
    .wavefront_size: 64
  - .agpr_count:     0
    .args:
      - .offset:         0
        .size:           16
        .value_kind:     by_value
      - .offset:         16
        .size:           8
        .value_kind:     by_value
      - .offset:         24
        .size:           8
        .value_kind:     by_value
    .group_segment_fixed_size: 0
    .kernarg_segment_align: 8
    .kernarg_segment_size: 32
    .language:       OpenCL C
    .language_version:
      - 2
      - 0
    .max_flat_workgroup_size: 256
    .name:           _ZN6thrust23THRUST_200600_302600_NS11hip_rocprim14__parallel_for6kernelILj256ENS1_20__uninitialized_fill7functorINS0_10device_ptrIyEEyEEmLj1EEEvT0_T1_SA_
    .private_segment_fixed_size: 0
    .sgpr_count:     20
    .sgpr_spill_count: 0
    .symbol:         _ZN6thrust23THRUST_200600_302600_NS11hip_rocprim14__parallel_for6kernelILj256ENS1_20__uninitialized_fill7functorINS0_10device_ptrIyEEyEEmLj1EEEvT0_T1_SA_.kd
    .uniform_work_group_size: 1
    .uses_dynamic_stack: false
    .vgpr_count:     5
    .vgpr_spill_count: 0
    .wavefront_size: 64
  - .agpr_count:     0
    .args:
      - .offset:         0
        .size:           24
        .value_kind:     by_value
      - .offset:         24
        .size:           4
        .value_kind:     by_value
      - .offset:         28
        .size:           4
        .value_kind:     by_value
      - .address_space:  global
        .offset:         32
        .size:           8
        .value_kind:     global_buffer
      - .address_space:  global
        .offset:         40
        .size:           8
        .value_kind:     global_buffer
      - .actual_access:  write_only
        .address_space:  global
        .offset:         48
        .size:           8
        .value_kind:     global_buffer
      - .offset:         56
        .size:           8
        .value_kind:     by_value
      - .offset:         64
        .size:           4
        .value_kind:     by_value
      - .offset:         68
        .size:           1
        .value_kind:     by_value
      - .offset:         72
        .size:           4
        .value_kind:     hidden_block_count_x
      - .offset:         76
        .size:           4
        .value_kind:     hidden_block_count_y
      - .offset:         80
        .size:           4
        .value_kind:     hidden_block_count_z
      - .offset:         84
        .size:           2
        .value_kind:     hidden_group_size_x
      - .offset:         86
        .size:           2
        .value_kind:     hidden_group_size_y
      - .offset:         88
        .size:           2
        .value_kind:     hidden_group_size_z
      - .offset:         90
        .size:           2
        .value_kind:     hidden_remainder_x
      - .offset:         92
        .size:           2
        .value_kind:     hidden_remainder_y
      - .offset:         94
        .size:           2
        .value_kind:     hidden_remainder_z
      - .offset:         112
        .size:           8
        .value_kind:     hidden_global_offset_x
      - .offset:         120
        .size:           8
        .value_kind:     hidden_global_offset_y
      - .offset:         128
        .size:           8
        .value_kind:     hidden_global_offset_z
      - .offset:         136
        .size:           2
        .value_kind:     hidden_grid_dims
    .group_segment_fixed_size: 0
    .kernarg_segment_align: 8
    .kernarg_segment_size: 328
    .language:       OpenCL C
    .language_version:
      - 2
      - 0
    .max_flat_workgroup_size: 256
    .name:           _ZN7rocprim17ROCPRIM_400000_NS6detail30init_device_scan_by_key_kernelINS1_19lookback_scan_stateINS0_5tupleIJybEEELb0ELb0EEEN6thrust23THRUST_200600_302600_NS6detail15normal_iteratorINS8_10device_ptrIiEEEEjNS1_16block_id_wrapperIjLb0EEEEEvT_jjPNSG_10value_typeET0_PNSt15iterator_traitsISJ_E10value_typeEmT1_T2_
    .private_segment_fixed_size: 0
    .sgpr_count:     26
    .sgpr_spill_count: 0
    .symbol:         _ZN7rocprim17ROCPRIM_400000_NS6detail30init_device_scan_by_key_kernelINS1_19lookback_scan_stateINS0_5tupleIJybEEELb0ELb0EEEN6thrust23THRUST_200600_302600_NS6detail15normal_iteratorINS8_10device_ptrIiEEEEjNS1_16block_id_wrapperIjLb0EEEEEvT_jjPNSG_10value_typeET0_PNSt15iterator_traitsISJ_E10value_typeEmT1_T2_.kd
    .uniform_work_group_size: 1
    .uses_dynamic_stack: false
    .vgpr_count:     10
    .vgpr_spill_count: 0
    .wavefront_size: 64
  - .agpr_count:     0
    .args:
      - .offset:         0
        .size:           24
        .value_kind:     by_value
      - .offset:         24
        .size:           4
        .value_kind:     by_value
      - .offset:         28
        .size:           4
        .value_kind:     by_value
      - .address_space:  global
        .offset:         32
        .size:           8
        .value_kind:     global_buffer
      - .offset:         40
        .size:           1
        .value_kind:     by_value
      - .offset:         48
        .size:           4
        .value_kind:     hidden_block_count_x
      - .offset:         52
        .size:           4
        .value_kind:     hidden_block_count_y
      - .offset:         56
        .size:           4
        .value_kind:     hidden_block_count_z
      - .offset:         60
        .size:           2
        .value_kind:     hidden_group_size_x
      - .offset:         62
        .size:           2
        .value_kind:     hidden_group_size_y
      - .offset:         64
        .size:           2
        .value_kind:     hidden_group_size_z
      - .offset:         66
        .size:           2
        .value_kind:     hidden_remainder_x
      - .offset:         68
        .size:           2
        .value_kind:     hidden_remainder_y
      - .offset:         70
        .size:           2
        .value_kind:     hidden_remainder_z
      - .offset:         88
        .size:           8
        .value_kind:     hidden_global_offset_x
      - .offset:         96
        .size:           8
        .value_kind:     hidden_global_offset_y
      - .offset:         104
        .size:           8
        .value_kind:     hidden_global_offset_z
      - .offset:         112
        .size:           2
        .value_kind:     hidden_grid_dims
    .group_segment_fixed_size: 0
    .kernarg_segment_align: 8
    .kernarg_segment_size: 304
    .language:       OpenCL C
    .language_version:
      - 2
      - 0
    .max_flat_workgroup_size: 256
    .name:           _ZN7rocprim17ROCPRIM_400000_NS6detail30init_device_scan_by_key_kernelINS1_19lookback_scan_stateINS0_5tupleIJybEEELb0ELb0EEENS1_16block_id_wrapperIjLb0EEEEEvT_jjPNS9_10value_typeET0_
    .private_segment_fixed_size: 0
    .sgpr_count:     20
    .sgpr_spill_count: 0
    .symbol:         _ZN7rocprim17ROCPRIM_400000_NS6detail30init_device_scan_by_key_kernelINS1_19lookback_scan_stateINS0_5tupleIJybEEELb0ELb0EEENS1_16block_id_wrapperIjLb0EEEEEvT_jjPNS9_10value_typeET0_.kd
    .uniform_work_group_size: 1
    .uses_dynamic_stack: false
    .vgpr_count:     5
    .vgpr_spill_count: 0
    .wavefront_size: 64
  - .agpr_count:     0
    .args:
      - .offset:         0
        .size:           136
        .value_kind:     by_value
    .group_segment_fixed_size: 0
    .kernarg_segment_align: 8
    .kernarg_segment_size: 136
    .language:       OpenCL C
    .language_version:
      - 2
      - 0
    .max_flat_workgroup_size: 128
    .name:           _ZN7rocprim17ROCPRIM_400000_NS6detail17trampoline_kernelINS0_14default_configENS1_27scan_by_key_config_selectorIiyEEZZNS1_16scan_by_key_implILNS1_25lookback_scan_determinismE0ELb0ES3_N6thrust23THRUST_200600_302600_NS6detail15normal_iteratorINS9_10device_ptrIiEEEENSB_INSC_IyEEEESG_yNS9_4plusIvEENS9_8equal_toIvEEyEE10hipError_tPvRmT2_T3_T4_T5_mT6_T7_P12ihipStream_tbENKUlT_T0_E_clISt17integral_constantIbLb0EES11_EEDaSW_SX_EUlSW_E_NS1_11comp_targetILNS1_3genE0ELNS1_11target_archE4294967295ELNS1_3gpuE0ELNS1_3repE0EEENS1_30default_config_static_selectorELNS0_4arch9wavefront6targetE1EEEvT1_
    .private_segment_fixed_size: 0
    .sgpr_count:     4
    .sgpr_spill_count: 0
    .symbol:         _ZN7rocprim17ROCPRIM_400000_NS6detail17trampoline_kernelINS0_14default_configENS1_27scan_by_key_config_selectorIiyEEZZNS1_16scan_by_key_implILNS1_25lookback_scan_determinismE0ELb0ES3_N6thrust23THRUST_200600_302600_NS6detail15normal_iteratorINS9_10device_ptrIiEEEENSB_INSC_IyEEEESG_yNS9_4plusIvEENS9_8equal_toIvEEyEE10hipError_tPvRmT2_T3_T4_T5_mT6_T7_P12ihipStream_tbENKUlT_T0_E_clISt17integral_constantIbLb0EES11_EEDaSW_SX_EUlSW_E_NS1_11comp_targetILNS1_3genE0ELNS1_11target_archE4294967295ELNS1_3gpuE0ELNS1_3repE0EEENS1_30default_config_static_selectorELNS0_4arch9wavefront6targetE1EEEvT1_.kd
    .uniform_work_group_size: 1
    .uses_dynamic_stack: false
    .vgpr_count:     0
    .vgpr_spill_count: 0
    .wavefront_size: 64
  - .agpr_count:     0
    .args:
      - .offset:         0
        .size:           136
        .value_kind:     by_value
    .group_segment_fixed_size: 0
    .kernarg_segment_align: 8
    .kernarg_segment_size: 136
    .language:       OpenCL C
    .language_version:
      - 2
      - 0
    .max_flat_workgroup_size: 256
    .name:           _ZN7rocprim17ROCPRIM_400000_NS6detail17trampoline_kernelINS0_14default_configENS1_27scan_by_key_config_selectorIiyEEZZNS1_16scan_by_key_implILNS1_25lookback_scan_determinismE0ELb0ES3_N6thrust23THRUST_200600_302600_NS6detail15normal_iteratorINS9_10device_ptrIiEEEENSB_INSC_IyEEEESG_yNS9_4plusIvEENS9_8equal_toIvEEyEE10hipError_tPvRmT2_T3_T4_T5_mT6_T7_P12ihipStream_tbENKUlT_T0_E_clISt17integral_constantIbLb0EES11_EEDaSW_SX_EUlSW_E_NS1_11comp_targetILNS1_3genE10ELNS1_11target_archE1201ELNS1_3gpuE5ELNS1_3repE0EEENS1_30default_config_static_selectorELNS0_4arch9wavefront6targetE1EEEvT1_
    .private_segment_fixed_size: 0
    .sgpr_count:     4
    .sgpr_spill_count: 0
    .symbol:         _ZN7rocprim17ROCPRIM_400000_NS6detail17trampoline_kernelINS0_14default_configENS1_27scan_by_key_config_selectorIiyEEZZNS1_16scan_by_key_implILNS1_25lookback_scan_determinismE0ELb0ES3_N6thrust23THRUST_200600_302600_NS6detail15normal_iteratorINS9_10device_ptrIiEEEENSB_INSC_IyEEEESG_yNS9_4plusIvEENS9_8equal_toIvEEyEE10hipError_tPvRmT2_T3_T4_T5_mT6_T7_P12ihipStream_tbENKUlT_T0_E_clISt17integral_constantIbLb0EES11_EEDaSW_SX_EUlSW_E_NS1_11comp_targetILNS1_3genE10ELNS1_11target_archE1201ELNS1_3gpuE5ELNS1_3repE0EEENS1_30default_config_static_selectorELNS0_4arch9wavefront6targetE1EEEvT1_.kd
    .uniform_work_group_size: 1
    .uses_dynamic_stack: false
    .vgpr_count:     0
    .vgpr_spill_count: 0
    .wavefront_size: 64
  - .agpr_count:     0
    .args:
      - .offset:         0
        .size:           136
        .value_kind:     by_value
    .group_segment_fixed_size: 0
    .kernarg_segment_align: 8
    .kernarg_segment_size: 136
    .language:       OpenCL C
    .language_version:
      - 2
      - 0
    .max_flat_workgroup_size: 256
    .name:           _ZN7rocprim17ROCPRIM_400000_NS6detail17trampoline_kernelINS0_14default_configENS1_27scan_by_key_config_selectorIiyEEZZNS1_16scan_by_key_implILNS1_25lookback_scan_determinismE0ELb0ES3_N6thrust23THRUST_200600_302600_NS6detail15normal_iteratorINS9_10device_ptrIiEEEENSB_INSC_IyEEEESG_yNS9_4plusIvEENS9_8equal_toIvEEyEE10hipError_tPvRmT2_T3_T4_T5_mT6_T7_P12ihipStream_tbENKUlT_T0_E_clISt17integral_constantIbLb0EES11_EEDaSW_SX_EUlSW_E_NS1_11comp_targetILNS1_3genE5ELNS1_11target_archE942ELNS1_3gpuE9ELNS1_3repE0EEENS1_30default_config_static_selectorELNS0_4arch9wavefront6targetE1EEEvT1_
    .private_segment_fixed_size: 0
    .sgpr_count:     4
    .sgpr_spill_count: 0
    .symbol:         _ZN7rocprim17ROCPRIM_400000_NS6detail17trampoline_kernelINS0_14default_configENS1_27scan_by_key_config_selectorIiyEEZZNS1_16scan_by_key_implILNS1_25lookback_scan_determinismE0ELb0ES3_N6thrust23THRUST_200600_302600_NS6detail15normal_iteratorINS9_10device_ptrIiEEEENSB_INSC_IyEEEESG_yNS9_4plusIvEENS9_8equal_toIvEEyEE10hipError_tPvRmT2_T3_T4_T5_mT6_T7_P12ihipStream_tbENKUlT_T0_E_clISt17integral_constantIbLb0EES11_EEDaSW_SX_EUlSW_E_NS1_11comp_targetILNS1_3genE5ELNS1_11target_archE942ELNS1_3gpuE9ELNS1_3repE0EEENS1_30default_config_static_selectorELNS0_4arch9wavefront6targetE1EEEvT1_.kd
    .uniform_work_group_size: 1
    .uses_dynamic_stack: false
    .vgpr_count:     0
    .vgpr_spill_count: 0
    .wavefront_size: 64
  - .agpr_count:     0
    .args:
      - .offset:         0
        .size:           136
        .value_kind:     by_value
    .group_segment_fixed_size: 10752
    .kernarg_segment_align: 8
    .kernarg_segment_size: 136
    .language:       OpenCL C
    .language_version:
      - 2
      - 0
    .max_flat_workgroup_size: 64
    .name:           _ZN7rocprim17ROCPRIM_400000_NS6detail17trampoline_kernelINS0_14default_configENS1_27scan_by_key_config_selectorIiyEEZZNS1_16scan_by_key_implILNS1_25lookback_scan_determinismE0ELb0ES3_N6thrust23THRUST_200600_302600_NS6detail15normal_iteratorINS9_10device_ptrIiEEEENSB_INSC_IyEEEESG_yNS9_4plusIvEENS9_8equal_toIvEEyEE10hipError_tPvRmT2_T3_T4_T5_mT6_T7_P12ihipStream_tbENKUlT_T0_E_clISt17integral_constantIbLb0EES11_EEDaSW_SX_EUlSW_E_NS1_11comp_targetILNS1_3genE4ELNS1_11target_archE910ELNS1_3gpuE8ELNS1_3repE0EEENS1_30default_config_static_selectorELNS0_4arch9wavefront6targetE1EEEvT1_
    .private_segment_fixed_size: 0
    .sgpr_count:     100
    .sgpr_spill_count: 10
    .symbol:         _ZN7rocprim17ROCPRIM_400000_NS6detail17trampoline_kernelINS0_14default_configENS1_27scan_by_key_config_selectorIiyEEZZNS1_16scan_by_key_implILNS1_25lookback_scan_determinismE0ELb0ES3_N6thrust23THRUST_200600_302600_NS6detail15normal_iteratorINS9_10device_ptrIiEEEENSB_INSC_IyEEEESG_yNS9_4plusIvEENS9_8equal_toIvEEyEE10hipError_tPvRmT2_T3_T4_T5_mT6_T7_P12ihipStream_tbENKUlT_T0_E_clISt17integral_constantIbLb0EES11_EEDaSW_SX_EUlSW_E_NS1_11comp_targetILNS1_3genE4ELNS1_11target_archE910ELNS1_3gpuE8ELNS1_3repE0EEENS1_30default_config_static_selectorELNS0_4arch9wavefront6targetE1EEEvT1_.kd
    .uniform_work_group_size: 1
    .uses_dynamic_stack: false
    .vgpr_count:     132
    .vgpr_spill_count: 0
    .wavefront_size: 64
  - .agpr_count:     0
    .args:
      - .offset:         0
        .size:           136
        .value_kind:     by_value
    .group_segment_fixed_size: 0
    .kernarg_segment_align: 8
    .kernarg_segment_size: 136
    .language:       OpenCL C
    .language_version:
      - 2
      - 0
    .max_flat_workgroup_size: 128
    .name:           _ZN7rocprim17ROCPRIM_400000_NS6detail17trampoline_kernelINS0_14default_configENS1_27scan_by_key_config_selectorIiyEEZZNS1_16scan_by_key_implILNS1_25lookback_scan_determinismE0ELb0ES3_N6thrust23THRUST_200600_302600_NS6detail15normal_iteratorINS9_10device_ptrIiEEEENSB_INSC_IyEEEESG_yNS9_4plusIvEENS9_8equal_toIvEEyEE10hipError_tPvRmT2_T3_T4_T5_mT6_T7_P12ihipStream_tbENKUlT_T0_E_clISt17integral_constantIbLb0EES11_EEDaSW_SX_EUlSW_E_NS1_11comp_targetILNS1_3genE3ELNS1_11target_archE908ELNS1_3gpuE7ELNS1_3repE0EEENS1_30default_config_static_selectorELNS0_4arch9wavefront6targetE1EEEvT1_
    .private_segment_fixed_size: 0
    .sgpr_count:     4
    .sgpr_spill_count: 0
    .symbol:         _ZN7rocprim17ROCPRIM_400000_NS6detail17trampoline_kernelINS0_14default_configENS1_27scan_by_key_config_selectorIiyEEZZNS1_16scan_by_key_implILNS1_25lookback_scan_determinismE0ELb0ES3_N6thrust23THRUST_200600_302600_NS6detail15normal_iteratorINS9_10device_ptrIiEEEENSB_INSC_IyEEEESG_yNS9_4plusIvEENS9_8equal_toIvEEyEE10hipError_tPvRmT2_T3_T4_T5_mT6_T7_P12ihipStream_tbENKUlT_T0_E_clISt17integral_constantIbLb0EES11_EEDaSW_SX_EUlSW_E_NS1_11comp_targetILNS1_3genE3ELNS1_11target_archE908ELNS1_3gpuE7ELNS1_3repE0EEENS1_30default_config_static_selectorELNS0_4arch9wavefront6targetE1EEEvT1_.kd
    .uniform_work_group_size: 1
    .uses_dynamic_stack: false
    .vgpr_count:     0
    .vgpr_spill_count: 0
    .wavefront_size: 64
  - .agpr_count:     0
    .args:
      - .offset:         0
        .size:           136
        .value_kind:     by_value
    .group_segment_fixed_size: 0
    .kernarg_segment_align: 8
    .kernarg_segment_size: 136
    .language:       OpenCL C
    .language_version:
      - 2
      - 0
    .max_flat_workgroup_size: 64
    .name:           _ZN7rocprim17ROCPRIM_400000_NS6detail17trampoline_kernelINS0_14default_configENS1_27scan_by_key_config_selectorIiyEEZZNS1_16scan_by_key_implILNS1_25lookback_scan_determinismE0ELb0ES3_N6thrust23THRUST_200600_302600_NS6detail15normal_iteratorINS9_10device_ptrIiEEEENSB_INSC_IyEEEESG_yNS9_4plusIvEENS9_8equal_toIvEEyEE10hipError_tPvRmT2_T3_T4_T5_mT6_T7_P12ihipStream_tbENKUlT_T0_E_clISt17integral_constantIbLb0EES11_EEDaSW_SX_EUlSW_E_NS1_11comp_targetILNS1_3genE2ELNS1_11target_archE906ELNS1_3gpuE6ELNS1_3repE0EEENS1_30default_config_static_selectorELNS0_4arch9wavefront6targetE1EEEvT1_
    .private_segment_fixed_size: 0
    .sgpr_count:     4
    .sgpr_spill_count: 0
    .symbol:         _ZN7rocprim17ROCPRIM_400000_NS6detail17trampoline_kernelINS0_14default_configENS1_27scan_by_key_config_selectorIiyEEZZNS1_16scan_by_key_implILNS1_25lookback_scan_determinismE0ELb0ES3_N6thrust23THRUST_200600_302600_NS6detail15normal_iteratorINS9_10device_ptrIiEEEENSB_INSC_IyEEEESG_yNS9_4plusIvEENS9_8equal_toIvEEyEE10hipError_tPvRmT2_T3_T4_T5_mT6_T7_P12ihipStream_tbENKUlT_T0_E_clISt17integral_constantIbLb0EES11_EEDaSW_SX_EUlSW_E_NS1_11comp_targetILNS1_3genE2ELNS1_11target_archE906ELNS1_3gpuE6ELNS1_3repE0EEENS1_30default_config_static_selectorELNS0_4arch9wavefront6targetE1EEEvT1_.kd
    .uniform_work_group_size: 1
    .uses_dynamic_stack: false
    .vgpr_count:     0
    .vgpr_spill_count: 0
    .wavefront_size: 64
  - .agpr_count:     0
    .args:
      - .offset:         0
        .size:           136
        .value_kind:     by_value
    .group_segment_fixed_size: 0
    .kernarg_segment_align: 8
    .kernarg_segment_size: 136
    .language:       OpenCL C
    .language_version:
      - 2
      - 0
    .max_flat_workgroup_size: 256
    .name:           _ZN7rocprim17ROCPRIM_400000_NS6detail17trampoline_kernelINS0_14default_configENS1_27scan_by_key_config_selectorIiyEEZZNS1_16scan_by_key_implILNS1_25lookback_scan_determinismE0ELb0ES3_N6thrust23THRUST_200600_302600_NS6detail15normal_iteratorINS9_10device_ptrIiEEEENSB_INSC_IyEEEESG_yNS9_4plusIvEENS9_8equal_toIvEEyEE10hipError_tPvRmT2_T3_T4_T5_mT6_T7_P12ihipStream_tbENKUlT_T0_E_clISt17integral_constantIbLb0EES11_EEDaSW_SX_EUlSW_E_NS1_11comp_targetILNS1_3genE10ELNS1_11target_archE1200ELNS1_3gpuE4ELNS1_3repE0EEENS1_30default_config_static_selectorELNS0_4arch9wavefront6targetE1EEEvT1_
    .private_segment_fixed_size: 0
    .sgpr_count:     4
    .sgpr_spill_count: 0
    .symbol:         _ZN7rocprim17ROCPRIM_400000_NS6detail17trampoline_kernelINS0_14default_configENS1_27scan_by_key_config_selectorIiyEEZZNS1_16scan_by_key_implILNS1_25lookback_scan_determinismE0ELb0ES3_N6thrust23THRUST_200600_302600_NS6detail15normal_iteratorINS9_10device_ptrIiEEEENSB_INSC_IyEEEESG_yNS9_4plusIvEENS9_8equal_toIvEEyEE10hipError_tPvRmT2_T3_T4_T5_mT6_T7_P12ihipStream_tbENKUlT_T0_E_clISt17integral_constantIbLb0EES11_EEDaSW_SX_EUlSW_E_NS1_11comp_targetILNS1_3genE10ELNS1_11target_archE1200ELNS1_3gpuE4ELNS1_3repE0EEENS1_30default_config_static_selectorELNS0_4arch9wavefront6targetE1EEEvT1_.kd
    .uniform_work_group_size: 1
    .uses_dynamic_stack: false
    .vgpr_count:     0
    .vgpr_spill_count: 0
    .wavefront_size: 64
  - .agpr_count:     0
    .args:
      - .offset:         0
        .size:           136
        .value_kind:     by_value
    .group_segment_fixed_size: 0
    .kernarg_segment_align: 8
    .kernarg_segment_size: 136
    .language:       OpenCL C
    .language_version:
      - 2
      - 0
    .max_flat_workgroup_size: 256
    .name:           _ZN7rocprim17ROCPRIM_400000_NS6detail17trampoline_kernelINS0_14default_configENS1_27scan_by_key_config_selectorIiyEEZZNS1_16scan_by_key_implILNS1_25lookback_scan_determinismE0ELb0ES3_N6thrust23THRUST_200600_302600_NS6detail15normal_iteratorINS9_10device_ptrIiEEEENSB_INSC_IyEEEESG_yNS9_4plusIvEENS9_8equal_toIvEEyEE10hipError_tPvRmT2_T3_T4_T5_mT6_T7_P12ihipStream_tbENKUlT_T0_E_clISt17integral_constantIbLb0EES11_EEDaSW_SX_EUlSW_E_NS1_11comp_targetILNS1_3genE9ELNS1_11target_archE1100ELNS1_3gpuE3ELNS1_3repE0EEENS1_30default_config_static_selectorELNS0_4arch9wavefront6targetE1EEEvT1_
    .private_segment_fixed_size: 0
    .sgpr_count:     4
    .sgpr_spill_count: 0
    .symbol:         _ZN7rocprim17ROCPRIM_400000_NS6detail17trampoline_kernelINS0_14default_configENS1_27scan_by_key_config_selectorIiyEEZZNS1_16scan_by_key_implILNS1_25lookback_scan_determinismE0ELb0ES3_N6thrust23THRUST_200600_302600_NS6detail15normal_iteratorINS9_10device_ptrIiEEEENSB_INSC_IyEEEESG_yNS9_4plusIvEENS9_8equal_toIvEEyEE10hipError_tPvRmT2_T3_T4_T5_mT6_T7_P12ihipStream_tbENKUlT_T0_E_clISt17integral_constantIbLb0EES11_EEDaSW_SX_EUlSW_E_NS1_11comp_targetILNS1_3genE9ELNS1_11target_archE1100ELNS1_3gpuE3ELNS1_3repE0EEENS1_30default_config_static_selectorELNS0_4arch9wavefront6targetE1EEEvT1_.kd
    .uniform_work_group_size: 1
    .uses_dynamic_stack: false
    .vgpr_count:     0
    .vgpr_spill_count: 0
    .wavefront_size: 64
  - .agpr_count:     0
    .args:
      - .offset:         0
        .size:           136
        .value_kind:     by_value
    .group_segment_fixed_size: 0
    .kernarg_segment_align: 8
    .kernarg_segment_size: 136
    .language:       OpenCL C
    .language_version:
      - 2
      - 0
    .max_flat_workgroup_size: 256
    .name:           _ZN7rocprim17ROCPRIM_400000_NS6detail17trampoline_kernelINS0_14default_configENS1_27scan_by_key_config_selectorIiyEEZZNS1_16scan_by_key_implILNS1_25lookback_scan_determinismE0ELb0ES3_N6thrust23THRUST_200600_302600_NS6detail15normal_iteratorINS9_10device_ptrIiEEEENSB_INSC_IyEEEESG_yNS9_4plusIvEENS9_8equal_toIvEEyEE10hipError_tPvRmT2_T3_T4_T5_mT6_T7_P12ihipStream_tbENKUlT_T0_E_clISt17integral_constantIbLb0EES11_EEDaSW_SX_EUlSW_E_NS1_11comp_targetILNS1_3genE8ELNS1_11target_archE1030ELNS1_3gpuE2ELNS1_3repE0EEENS1_30default_config_static_selectorELNS0_4arch9wavefront6targetE1EEEvT1_
    .private_segment_fixed_size: 0
    .sgpr_count:     4
    .sgpr_spill_count: 0
    .symbol:         _ZN7rocprim17ROCPRIM_400000_NS6detail17trampoline_kernelINS0_14default_configENS1_27scan_by_key_config_selectorIiyEEZZNS1_16scan_by_key_implILNS1_25lookback_scan_determinismE0ELb0ES3_N6thrust23THRUST_200600_302600_NS6detail15normal_iteratorINS9_10device_ptrIiEEEENSB_INSC_IyEEEESG_yNS9_4plusIvEENS9_8equal_toIvEEyEE10hipError_tPvRmT2_T3_T4_T5_mT6_T7_P12ihipStream_tbENKUlT_T0_E_clISt17integral_constantIbLb0EES11_EEDaSW_SX_EUlSW_E_NS1_11comp_targetILNS1_3genE8ELNS1_11target_archE1030ELNS1_3gpuE2ELNS1_3repE0EEENS1_30default_config_static_selectorELNS0_4arch9wavefront6targetE1EEEvT1_.kd
    .uniform_work_group_size: 1
    .uses_dynamic_stack: false
    .vgpr_count:     0
    .vgpr_spill_count: 0
    .wavefront_size: 64
  - .agpr_count:     0
    .args:
      - .offset:         0
        .size:           24
        .value_kind:     by_value
      - .offset:         24
        .size:           4
        .value_kind:     by_value
      - .offset:         28
        .size:           4
        .value_kind:     by_value
      - .address_space:  global
        .offset:         32
        .size:           8
        .value_kind:     global_buffer
      - .address_space:  global
        .offset:         40
        .size:           8
        .value_kind:     global_buffer
      - .actual_access:  write_only
        .address_space:  global
        .offset:         48
        .size:           8
        .value_kind:     global_buffer
      - .offset:         56
        .size:           8
        .value_kind:     by_value
      - .offset:         64
        .size:           4
        .value_kind:     by_value
      - .address_space:  global
        .offset:         72
        .size:           8
        .value_kind:     global_buffer
      - .offset:         80
        .size:           4
        .value_kind:     hidden_block_count_x
      - .offset:         84
        .size:           4
        .value_kind:     hidden_block_count_y
      - .offset:         88
        .size:           4
        .value_kind:     hidden_block_count_z
      - .offset:         92
        .size:           2
        .value_kind:     hidden_group_size_x
      - .offset:         94
        .size:           2
        .value_kind:     hidden_group_size_y
      - .offset:         96
        .size:           2
        .value_kind:     hidden_group_size_z
      - .offset:         98
        .size:           2
        .value_kind:     hidden_remainder_x
      - .offset:         100
        .size:           2
        .value_kind:     hidden_remainder_y
      - .offset:         102
        .size:           2
        .value_kind:     hidden_remainder_z
      - .offset:         120
        .size:           8
        .value_kind:     hidden_global_offset_x
      - .offset:         128
        .size:           8
        .value_kind:     hidden_global_offset_y
      - .offset:         136
        .size:           8
        .value_kind:     hidden_global_offset_z
      - .offset:         144
        .size:           2
        .value_kind:     hidden_grid_dims
    .group_segment_fixed_size: 0
    .kernarg_segment_align: 8
    .kernarg_segment_size: 336
    .language:       OpenCL C
    .language_version:
      - 2
      - 0
    .max_flat_workgroup_size: 256
    .name:           _ZN7rocprim17ROCPRIM_400000_NS6detail30init_device_scan_by_key_kernelINS1_19lookback_scan_stateINS0_5tupleIJybEEELb1ELb0EEEN6thrust23THRUST_200600_302600_NS6detail15normal_iteratorINS8_10device_ptrIiEEEEjNS1_16block_id_wrapperIjLb1EEEEEvT_jjPNSG_10value_typeET0_PNSt15iterator_traitsISJ_E10value_typeEmT1_T2_
    .private_segment_fixed_size: 0
    .sgpr_count:     28
    .sgpr_spill_count: 0
    .symbol:         _ZN7rocprim17ROCPRIM_400000_NS6detail30init_device_scan_by_key_kernelINS1_19lookback_scan_stateINS0_5tupleIJybEEELb1ELb0EEEN6thrust23THRUST_200600_302600_NS6detail15normal_iteratorINS8_10device_ptrIiEEEEjNS1_16block_id_wrapperIjLb1EEEEEvT_jjPNSG_10value_typeET0_PNSt15iterator_traitsISJ_E10value_typeEmT1_T2_.kd
    .uniform_work_group_size: 1
    .uses_dynamic_stack: false
    .vgpr_count:     10
    .vgpr_spill_count: 0
    .wavefront_size: 64
  - .agpr_count:     0
    .args:
      - .offset:         0
        .size:           24
        .value_kind:     by_value
      - .offset:         24
        .size:           4
        .value_kind:     by_value
      - .offset:         28
        .size:           4
        .value_kind:     by_value
      - .address_space:  global
        .offset:         32
        .size:           8
        .value_kind:     global_buffer
      - .address_space:  global
        .offset:         40
        .size:           8
        .value_kind:     global_buffer
      - .offset:         48
        .size:           4
        .value_kind:     hidden_block_count_x
      - .offset:         52
        .size:           4
        .value_kind:     hidden_block_count_y
      - .offset:         56
        .size:           4
        .value_kind:     hidden_block_count_z
      - .offset:         60
        .size:           2
        .value_kind:     hidden_group_size_x
      - .offset:         62
        .size:           2
        .value_kind:     hidden_group_size_y
      - .offset:         64
        .size:           2
        .value_kind:     hidden_group_size_z
      - .offset:         66
        .size:           2
        .value_kind:     hidden_remainder_x
      - .offset:         68
        .size:           2
        .value_kind:     hidden_remainder_y
      - .offset:         70
        .size:           2
        .value_kind:     hidden_remainder_z
      - .offset:         88
        .size:           8
        .value_kind:     hidden_global_offset_x
      - .offset:         96
        .size:           8
        .value_kind:     hidden_global_offset_y
      - .offset:         104
        .size:           8
        .value_kind:     hidden_global_offset_z
      - .offset:         112
        .size:           2
        .value_kind:     hidden_grid_dims
    .group_segment_fixed_size: 0
    .kernarg_segment_align: 8
    .kernarg_segment_size: 304
    .language:       OpenCL C
    .language_version:
      - 2
      - 0
    .max_flat_workgroup_size: 256
    .name:           _ZN7rocprim17ROCPRIM_400000_NS6detail30init_device_scan_by_key_kernelINS1_19lookback_scan_stateINS0_5tupleIJybEEELb1ELb0EEENS1_16block_id_wrapperIjLb1EEEEEvT_jjPNS9_10value_typeET0_
    .private_segment_fixed_size: 0
    .sgpr_count:     24
    .sgpr_spill_count: 0
    .symbol:         _ZN7rocprim17ROCPRIM_400000_NS6detail30init_device_scan_by_key_kernelINS1_19lookback_scan_stateINS0_5tupleIJybEEELb1ELb0EEENS1_16block_id_wrapperIjLb1EEEEEvT_jjPNS9_10value_typeET0_.kd
    .uniform_work_group_size: 1
    .uses_dynamic_stack: false
    .vgpr_count:     5
    .vgpr_spill_count: 0
    .wavefront_size: 64
  - .agpr_count:     0
    .args:
      - .offset:         0
        .size:           136
        .value_kind:     by_value
    .group_segment_fixed_size: 0
    .kernarg_segment_align: 8
    .kernarg_segment_size: 136
    .language:       OpenCL C
    .language_version:
      - 2
      - 0
    .max_flat_workgroup_size: 128
    .name:           _ZN7rocprim17ROCPRIM_400000_NS6detail17trampoline_kernelINS0_14default_configENS1_27scan_by_key_config_selectorIiyEEZZNS1_16scan_by_key_implILNS1_25lookback_scan_determinismE0ELb0ES3_N6thrust23THRUST_200600_302600_NS6detail15normal_iteratorINS9_10device_ptrIiEEEENSB_INSC_IyEEEESG_yNS9_4plusIvEENS9_8equal_toIvEEyEE10hipError_tPvRmT2_T3_T4_T5_mT6_T7_P12ihipStream_tbENKUlT_T0_E_clISt17integral_constantIbLb1EES11_EEDaSW_SX_EUlSW_E_NS1_11comp_targetILNS1_3genE0ELNS1_11target_archE4294967295ELNS1_3gpuE0ELNS1_3repE0EEENS1_30default_config_static_selectorELNS0_4arch9wavefront6targetE1EEEvT1_
    .private_segment_fixed_size: 0
    .sgpr_count:     4
    .sgpr_spill_count: 0
    .symbol:         _ZN7rocprim17ROCPRIM_400000_NS6detail17trampoline_kernelINS0_14default_configENS1_27scan_by_key_config_selectorIiyEEZZNS1_16scan_by_key_implILNS1_25lookback_scan_determinismE0ELb0ES3_N6thrust23THRUST_200600_302600_NS6detail15normal_iteratorINS9_10device_ptrIiEEEENSB_INSC_IyEEEESG_yNS9_4plusIvEENS9_8equal_toIvEEyEE10hipError_tPvRmT2_T3_T4_T5_mT6_T7_P12ihipStream_tbENKUlT_T0_E_clISt17integral_constantIbLb1EES11_EEDaSW_SX_EUlSW_E_NS1_11comp_targetILNS1_3genE0ELNS1_11target_archE4294967295ELNS1_3gpuE0ELNS1_3repE0EEENS1_30default_config_static_selectorELNS0_4arch9wavefront6targetE1EEEvT1_.kd
    .uniform_work_group_size: 1
    .uses_dynamic_stack: false
    .vgpr_count:     0
    .vgpr_spill_count: 0
    .wavefront_size: 64
  - .agpr_count:     0
    .args:
      - .offset:         0
        .size:           136
        .value_kind:     by_value
    .group_segment_fixed_size: 0
    .kernarg_segment_align: 8
    .kernarg_segment_size: 136
    .language:       OpenCL C
    .language_version:
      - 2
      - 0
    .max_flat_workgroup_size: 256
    .name:           _ZN7rocprim17ROCPRIM_400000_NS6detail17trampoline_kernelINS0_14default_configENS1_27scan_by_key_config_selectorIiyEEZZNS1_16scan_by_key_implILNS1_25lookback_scan_determinismE0ELb0ES3_N6thrust23THRUST_200600_302600_NS6detail15normal_iteratorINS9_10device_ptrIiEEEENSB_INSC_IyEEEESG_yNS9_4plusIvEENS9_8equal_toIvEEyEE10hipError_tPvRmT2_T3_T4_T5_mT6_T7_P12ihipStream_tbENKUlT_T0_E_clISt17integral_constantIbLb1EES11_EEDaSW_SX_EUlSW_E_NS1_11comp_targetILNS1_3genE10ELNS1_11target_archE1201ELNS1_3gpuE5ELNS1_3repE0EEENS1_30default_config_static_selectorELNS0_4arch9wavefront6targetE1EEEvT1_
    .private_segment_fixed_size: 0
    .sgpr_count:     4
    .sgpr_spill_count: 0
    .symbol:         _ZN7rocprim17ROCPRIM_400000_NS6detail17trampoline_kernelINS0_14default_configENS1_27scan_by_key_config_selectorIiyEEZZNS1_16scan_by_key_implILNS1_25lookback_scan_determinismE0ELb0ES3_N6thrust23THRUST_200600_302600_NS6detail15normal_iteratorINS9_10device_ptrIiEEEENSB_INSC_IyEEEESG_yNS9_4plusIvEENS9_8equal_toIvEEyEE10hipError_tPvRmT2_T3_T4_T5_mT6_T7_P12ihipStream_tbENKUlT_T0_E_clISt17integral_constantIbLb1EES11_EEDaSW_SX_EUlSW_E_NS1_11comp_targetILNS1_3genE10ELNS1_11target_archE1201ELNS1_3gpuE5ELNS1_3repE0EEENS1_30default_config_static_selectorELNS0_4arch9wavefront6targetE1EEEvT1_.kd
    .uniform_work_group_size: 1
    .uses_dynamic_stack: false
    .vgpr_count:     0
    .vgpr_spill_count: 0
    .wavefront_size: 64
  - .agpr_count:     0
    .args:
      - .offset:         0
        .size:           136
        .value_kind:     by_value
    .group_segment_fixed_size: 0
    .kernarg_segment_align: 8
    .kernarg_segment_size: 136
    .language:       OpenCL C
    .language_version:
      - 2
      - 0
    .max_flat_workgroup_size: 256
    .name:           _ZN7rocprim17ROCPRIM_400000_NS6detail17trampoline_kernelINS0_14default_configENS1_27scan_by_key_config_selectorIiyEEZZNS1_16scan_by_key_implILNS1_25lookback_scan_determinismE0ELb0ES3_N6thrust23THRUST_200600_302600_NS6detail15normal_iteratorINS9_10device_ptrIiEEEENSB_INSC_IyEEEESG_yNS9_4plusIvEENS9_8equal_toIvEEyEE10hipError_tPvRmT2_T3_T4_T5_mT6_T7_P12ihipStream_tbENKUlT_T0_E_clISt17integral_constantIbLb1EES11_EEDaSW_SX_EUlSW_E_NS1_11comp_targetILNS1_3genE5ELNS1_11target_archE942ELNS1_3gpuE9ELNS1_3repE0EEENS1_30default_config_static_selectorELNS0_4arch9wavefront6targetE1EEEvT1_
    .private_segment_fixed_size: 0
    .sgpr_count:     4
    .sgpr_spill_count: 0
    .symbol:         _ZN7rocprim17ROCPRIM_400000_NS6detail17trampoline_kernelINS0_14default_configENS1_27scan_by_key_config_selectorIiyEEZZNS1_16scan_by_key_implILNS1_25lookback_scan_determinismE0ELb0ES3_N6thrust23THRUST_200600_302600_NS6detail15normal_iteratorINS9_10device_ptrIiEEEENSB_INSC_IyEEEESG_yNS9_4plusIvEENS9_8equal_toIvEEyEE10hipError_tPvRmT2_T3_T4_T5_mT6_T7_P12ihipStream_tbENKUlT_T0_E_clISt17integral_constantIbLb1EES11_EEDaSW_SX_EUlSW_E_NS1_11comp_targetILNS1_3genE5ELNS1_11target_archE942ELNS1_3gpuE9ELNS1_3repE0EEENS1_30default_config_static_selectorELNS0_4arch9wavefront6targetE1EEEvT1_.kd
    .uniform_work_group_size: 1
    .uses_dynamic_stack: false
    .vgpr_count:     0
    .vgpr_spill_count: 0
    .wavefront_size: 64
  - .agpr_count:     0
    .args:
      - .offset:         0
        .size:           136
        .value_kind:     by_value
    .group_segment_fixed_size: 10752
    .kernarg_segment_align: 8
    .kernarg_segment_size: 136
    .language:       OpenCL C
    .language_version:
      - 2
      - 0
    .max_flat_workgroup_size: 64
    .name:           _ZN7rocprim17ROCPRIM_400000_NS6detail17trampoline_kernelINS0_14default_configENS1_27scan_by_key_config_selectorIiyEEZZNS1_16scan_by_key_implILNS1_25lookback_scan_determinismE0ELb0ES3_N6thrust23THRUST_200600_302600_NS6detail15normal_iteratorINS9_10device_ptrIiEEEENSB_INSC_IyEEEESG_yNS9_4plusIvEENS9_8equal_toIvEEyEE10hipError_tPvRmT2_T3_T4_T5_mT6_T7_P12ihipStream_tbENKUlT_T0_E_clISt17integral_constantIbLb1EES11_EEDaSW_SX_EUlSW_E_NS1_11comp_targetILNS1_3genE4ELNS1_11target_archE910ELNS1_3gpuE8ELNS1_3repE0EEENS1_30default_config_static_selectorELNS0_4arch9wavefront6targetE1EEEvT1_
    .private_segment_fixed_size: 0
    .sgpr_count:     100
    .sgpr_spill_count: 17
    .symbol:         _ZN7rocprim17ROCPRIM_400000_NS6detail17trampoline_kernelINS0_14default_configENS1_27scan_by_key_config_selectorIiyEEZZNS1_16scan_by_key_implILNS1_25lookback_scan_determinismE0ELb0ES3_N6thrust23THRUST_200600_302600_NS6detail15normal_iteratorINS9_10device_ptrIiEEEENSB_INSC_IyEEEESG_yNS9_4plusIvEENS9_8equal_toIvEEyEE10hipError_tPvRmT2_T3_T4_T5_mT6_T7_P12ihipStream_tbENKUlT_T0_E_clISt17integral_constantIbLb1EES11_EEDaSW_SX_EUlSW_E_NS1_11comp_targetILNS1_3genE4ELNS1_11target_archE910ELNS1_3gpuE8ELNS1_3repE0EEENS1_30default_config_static_selectorELNS0_4arch9wavefront6targetE1EEEvT1_.kd
    .uniform_work_group_size: 1
    .uses_dynamic_stack: false
    .vgpr_count:     132
    .vgpr_spill_count: 0
    .wavefront_size: 64
  - .agpr_count:     0
    .args:
      - .offset:         0
        .size:           136
        .value_kind:     by_value
    .group_segment_fixed_size: 0
    .kernarg_segment_align: 8
    .kernarg_segment_size: 136
    .language:       OpenCL C
    .language_version:
      - 2
      - 0
    .max_flat_workgroup_size: 128
    .name:           _ZN7rocprim17ROCPRIM_400000_NS6detail17trampoline_kernelINS0_14default_configENS1_27scan_by_key_config_selectorIiyEEZZNS1_16scan_by_key_implILNS1_25lookback_scan_determinismE0ELb0ES3_N6thrust23THRUST_200600_302600_NS6detail15normal_iteratorINS9_10device_ptrIiEEEENSB_INSC_IyEEEESG_yNS9_4plusIvEENS9_8equal_toIvEEyEE10hipError_tPvRmT2_T3_T4_T5_mT6_T7_P12ihipStream_tbENKUlT_T0_E_clISt17integral_constantIbLb1EES11_EEDaSW_SX_EUlSW_E_NS1_11comp_targetILNS1_3genE3ELNS1_11target_archE908ELNS1_3gpuE7ELNS1_3repE0EEENS1_30default_config_static_selectorELNS0_4arch9wavefront6targetE1EEEvT1_
    .private_segment_fixed_size: 0
    .sgpr_count:     4
    .sgpr_spill_count: 0
    .symbol:         _ZN7rocprim17ROCPRIM_400000_NS6detail17trampoline_kernelINS0_14default_configENS1_27scan_by_key_config_selectorIiyEEZZNS1_16scan_by_key_implILNS1_25lookback_scan_determinismE0ELb0ES3_N6thrust23THRUST_200600_302600_NS6detail15normal_iteratorINS9_10device_ptrIiEEEENSB_INSC_IyEEEESG_yNS9_4plusIvEENS9_8equal_toIvEEyEE10hipError_tPvRmT2_T3_T4_T5_mT6_T7_P12ihipStream_tbENKUlT_T0_E_clISt17integral_constantIbLb1EES11_EEDaSW_SX_EUlSW_E_NS1_11comp_targetILNS1_3genE3ELNS1_11target_archE908ELNS1_3gpuE7ELNS1_3repE0EEENS1_30default_config_static_selectorELNS0_4arch9wavefront6targetE1EEEvT1_.kd
    .uniform_work_group_size: 1
    .uses_dynamic_stack: false
    .vgpr_count:     0
    .vgpr_spill_count: 0
    .wavefront_size: 64
  - .agpr_count:     0
    .args:
      - .offset:         0
        .size:           136
        .value_kind:     by_value
    .group_segment_fixed_size: 0
    .kernarg_segment_align: 8
    .kernarg_segment_size: 136
    .language:       OpenCL C
    .language_version:
      - 2
      - 0
    .max_flat_workgroup_size: 64
    .name:           _ZN7rocprim17ROCPRIM_400000_NS6detail17trampoline_kernelINS0_14default_configENS1_27scan_by_key_config_selectorIiyEEZZNS1_16scan_by_key_implILNS1_25lookback_scan_determinismE0ELb0ES3_N6thrust23THRUST_200600_302600_NS6detail15normal_iteratorINS9_10device_ptrIiEEEENSB_INSC_IyEEEESG_yNS9_4plusIvEENS9_8equal_toIvEEyEE10hipError_tPvRmT2_T3_T4_T5_mT6_T7_P12ihipStream_tbENKUlT_T0_E_clISt17integral_constantIbLb1EES11_EEDaSW_SX_EUlSW_E_NS1_11comp_targetILNS1_3genE2ELNS1_11target_archE906ELNS1_3gpuE6ELNS1_3repE0EEENS1_30default_config_static_selectorELNS0_4arch9wavefront6targetE1EEEvT1_
    .private_segment_fixed_size: 0
    .sgpr_count:     4
    .sgpr_spill_count: 0
    .symbol:         _ZN7rocprim17ROCPRIM_400000_NS6detail17trampoline_kernelINS0_14default_configENS1_27scan_by_key_config_selectorIiyEEZZNS1_16scan_by_key_implILNS1_25lookback_scan_determinismE0ELb0ES3_N6thrust23THRUST_200600_302600_NS6detail15normal_iteratorINS9_10device_ptrIiEEEENSB_INSC_IyEEEESG_yNS9_4plusIvEENS9_8equal_toIvEEyEE10hipError_tPvRmT2_T3_T4_T5_mT6_T7_P12ihipStream_tbENKUlT_T0_E_clISt17integral_constantIbLb1EES11_EEDaSW_SX_EUlSW_E_NS1_11comp_targetILNS1_3genE2ELNS1_11target_archE906ELNS1_3gpuE6ELNS1_3repE0EEENS1_30default_config_static_selectorELNS0_4arch9wavefront6targetE1EEEvT1_.kd
    .uniform_work_group_size: 1
    .uses_dynamic_stack: false
    .vgpr_count:     0
    .vgpr_spill_count: 0
    .wavefront_size: 64
  - .agpr_count:     0
    .args:
      - .offset:         0
        .size:           136
        .value_kind:     by_value
    .group_segment_fixed_size: 0
    .kernarg_segment_align: 8
    .kernarg_segment_size: 136
    .language:       OpenCL C
    .language_version:
      - 2
      - 0
    .max_flat_workgroup_size: 256
    .name:           _ZN7rocprim17ROCPRIM_400000_NS6detail17trampoline_kernelINS0_14default_configENS1_27scan_by_key_config_selectorIiyEEZZNS1_16scan_by_key_implILNS1_25lookback_scan_determinismE0ELb0ES3_N6thrust23THRUST_200600_302600_NS6detail15normal_iteratorINS9_10device_ptrIiEEEENSB_INSC_IyEEEESG_yNS9_4plusIvEENS9_8equal_toIvEEyEE10hipError_tPvRmT2_T3_T4_T5_mT6_T7_P12ihipStream_tbENKUlT_T0_E_clISt17integral_constantIbLb1EES11_EEDaSW_SX_EUlSW_E_NS1_11comp_targetILNS1_3genE10ELNS1_11target_archE1200ELNS1_3gpuE4ELNS1_3repE0EEENS1_30default_config_static_selectorELNS0_4arch9wavefront6targetE1EEEvT1_
    .private_segment_fixed_size: 0
    .sgpr_count:     4
    .sgpr_spill_count: 0
    .symbol:         _ZN7rocprim17ROCPRIM_400000_NS6detail17trampoline_kernelINS0_14default_configENS1_27scan_by_key_config_selectorIiyEEZZNS1_16scan_by_key_implILNS1_25lookback_scan_determinismE0ELb0ES3_N6thrust23THRUST_200600_302600_NS6detail15normal_iteratorINS9_10device_ptrIiEEEENSB_INSC_IyEEEESG_yNS9_4plusIvEENS9_8equal_toIvEEyEE10hipError_tPvRmT2_T3_T4_T5_mT6_T7_P12ihipStream_tbENKUlT_T0_E_clISt17integral_constantIbLb1EES11_EEDaSW_SX_EUlSW_E_NS1_11comp_targetILNS1_3genE10ELNS1_11target_archE1200ELNS1_3gpuE4ELNS1_3repE0EEENS1_30default_config_static_selectorELNS0_4arch9wavefront6targetE1EEEvT1_.kd
    .uniform_work_group_size: 1
    .uses_dynamic_stack: false
    .vgpr_count:     0
    .vgpr_spill_count: 0
    .wavefront_size: 64
  - .agpr_count:     0
    .args:
      - .offset:         0
        .size:           136
        .value_kind:     by_value
    .group_segment_fixed_size: 0
    .kernarg_segment_align: 8
    .kernarg_segment_size: 136
    .language:       OpenCL C
    .language_version:
      - 2
      - 0
    .max_flat_workgroup_size: 256
    .name:           _ZN7rocprim17ROCPRIM_400000_NS6detail17trampoline_kernelINS0_14default_configENS1_27scan_by_key_config_selectorIiyEEZZNS1_16scan_by_key_implILNS1_25lookback_scan_determinismE0ELb0ES3_N6thrust23THRUST_200600_302600_NS6detail15normal_iteratorINS9_10device_ptrIiEEEENSB_INSC_IyEEEESG_yNS9_4plusIvEENS9_8equal_toIvEEyEE10hipError_tPvRmT2_T3_T4_T5_mT6_T7_P12ihipStream_tbENKUlT_T0_E_clISt17integral_constantIbLb1EES11_EEDaSW_SX_EUlSW_E_NS1_11comp_targetILNS1_3genE9ELNS1_11target_archE1100ELNS1_3gpuE3ELNS1_3repE0EEENS1_30default_config_static_selectorELNS0_4arch9wavefront6targetE1EEEvT1_
    .private_segment_fixed_size: 0
    .sgpr_count:     4
    .sgpr_spill_count: 0
    .symbol:         _ZN7rocprim17ROCPRIM_400000_NS6detail17trampoline_kernelINS0_14default_configENS1_27scan_by_key_config_selectorIiyEEZZNS1_16scan_by_key_implILNS1_25lookback_scan_determinismE0ELb0ES3_N6thrust23THRUST_200600_302600_NS6detail15normal_iteratorINS9_10device_ptrIiEEEENSB_INSC_IyEEEESG_yNS9_4plusIvEENS9_8equal_toIvEEyEE10hipError_tPvRmT2_T3_T4_T5_mT6_T7_P12ihipStream_tbENKUlT_T0_E_clISt17integral_constantIbLb1EES11_EEDaSW_SX_EUlSW_E_NS1_11comp_targetILNS1_3genE9ELNS1_11target_archE1100ELNS1_3gpuE3ELNS1_3repE0EEENS1_30default_config_static_selectorELNS0_4arch9wavefront6targetE1EEEvT1_.kd
    .uniform_work_group_size: 1
    .uses_dynamic_stack: false
    .vgpr_count:     0
    .vgpr_spill_count: 0
    .wavefront_size: 64
  - .agpr_count:     0
    .args:
      - .offset:         0
        .size:           136
        .value_kind:     by_value
    .group_segment_fixed_size: 0
    .kernarg_segment_align: 8
    .kernarg_segment_size: 136
    .language:       OpenCL C
    .language_version:
      - 2
      - 0
    .max_flat_workgroup_size: 256
    .name:           _ZN7rocprim17ROCPRIM_400000_NS6detail17trampoline_kernelINS0_14default_configENS1_27scan_by_key_config_selectorIiyEEZZNS1_16scan_by_key_implILNS1_25lookback_scan_determinismE0ELb0ES3_N6thrust23THRUST_200600_302600_NS6detail15normal_iteratorINS9_10device_ptrIiEEEENSB_INSC_IyEEEESG_yNS9_4plusIvEENS9_8equal_toIvEEyEE10hipError_tPvRmT2_T3_T4_T5_mT6_T7_P12ihipStream_tbENKUlT_T0_E_clISt17integral_constantIbLb1EES11_EEDaSW_SX_EUlSW_E_NS1_11comp_targetILNS1_3genE8ELNS1_11target_archE1030ELNS1_3gpuE2ELNS1_3repE0EEENS1_30default_config_static_selectorELNS0_4arch9wavefront6targetE1EEEvT1_
    .private_segment_fixed_size: 0
    .sgpr_count:     4
    .sgpr_spill_count: 0
    .symbol:         _ZN7rocprim17ROCPRIM_400000_NS6detail17trampoline_kernelINS0_14default_configENS1_27scan_by_key_config_selectorIiyEEZZNS1_16scan_by_key_implILNS1_25lookback_scan_determinismE0ELb0ES3_N6thrust23THRUST_200600_302600_NS6detail15normal_iteratorINS9_10device_ptrIiEEEENSB_INSC_IyEEEESG_yNS9_4plusIvEENS9_8equal_toIvEEyEE10hipError_tPvRmT2_T3_T4_T5_mT6_T7_P12ihipStream_tbENKUlT_T0_E_clISt17integral_constantIbLb1EES11_EEDaSW_SX_EUlSW_E_NS1_11comp_targetILNS1_3genE8ELNS1_11target_archE1030ELNS1_3gpuE2ELNS1_3repE0EEENS1_30default_config_static_selectorELNS0_4arch9wavefront6targetE1EEEvT1_.kd
    .uniform_work_group_size: 1
    .uses_dynamic_stack: false
    .vgpr_count:     0
    .vgpr_spill_count: 0
    .wavefront_size: 64
  - .agpr_count:     0
    .args:
      - .offset:         0
        .size:           24
        .value_kind:     by_value
      - .offset:         24
        .size:           4
        .value_kind:     by_value
      - .offset:         28
        .size:           4
        .value_kind:     by_value
      - .address_space:  global
        .offset:         32
        .size:           8
        .value_kind:     global_buffer
      - .address_space:  global
        .offset:         40
        .size:           8
        .value_kind:     global_buffer
      - .actual_access:  write_only
        .address_space:  global
        .offset:         48
        .size:           8
        .value_kind:     global_buffer
      - .offset:         56
        .size:           8
        .value_kind:     by_value
      - .offset:         64
        .size:           4
        .value_kind:     by_value
      - .offset:         68
        .size:           1
        .value_kind:     by_value
      - .offset:         72
        .size:           4
        .value_kind:     hidden_block_count_x
      - .offset:         76
        .size:           4
        .value_kind:     hidden_block_count_y
      - .offset:         80
        .size:           4
        .value_kind:     hidden_block_count_z
      - .offset:         84
        .size:           2
        .value_kind:     hidden_group_size_x
      - .offset:         86
        .size:           2
        .value_kind:     hidden_group_size_y
      - .offset:         88
        .size:           2
        .value_kind:     hidden_group_size_z
      - .offset:         90
        .size:           2
        .value_kind:     hidden_remainder_x
      - .offset:         92
        .size:           2
        .value_kind:     hidden_remainder_y
      - .offset:         94
        .size:           2
        .value_kind:     hidden_remainder_z
      - .offset:         112
        .size:           8
        .value_kind:     hidden_global_offset_x
      - .offset:         120
        .size:           8
        .value_kind:     hidden_global_offset_y
      - .offset:         128
        .size:           8
        .value_kind:     hidden_global_offset_z
      - .offset:         136
        .size:           2
        .value_kind:     hidden_grid_dims
    .group_segment_fixed_size: 0
    .kernarg_segment_align: 8
    .kernarg_segment_size: 328
    .language:       OpenCL C
    .language_version:
      - 2
      - 0
    .max_flat_workgroup_size: 256
    .name:           _ZN7rocprim17ROCPRIM_400000_NS6detail30init_device_scan_by_key_kernelINS1_19lookback_scan_stateINS0_5tupleIJybEEELb1ELb0EEEN6thrust23THRUST_200600_302600_NS6detail15normal_iteratorINS8_10device_ptrIiEEEEjNS1_16block_id_wrapperIjLb0EEEEEvT_jjPNSG_10value_typeET0_PNSt15iterator_traitsISJ_E10value_typeEmT1_T2_
    .private_segment_fixed_size: 0
    .sgpr_count:     28
    .sgpr_spill_count: 0
    .symbol:         _ZN7rocprim17ROCPRIM_400000_NS6detail30init_device_scan_by_key_kernelINS1_19lookback_scan_stateINS0_5tupleIJybEEELb1ELb0EEEN6thrust23THRUST_200600_302600_NS6detail15normal_iteratorINS8_10device_ptrIiEEEEjNS1_16block_id_wrapperIjLb0EEEEEvT_jjPNSG_10value_typeET0_PNSt15iterator_traitsISJ_E10value_typeEmT1_T2_.kd
    .uniform_work_group_size: 1
    .uses_dynamic_stack: false
    .vgpr_count:     10
    .vgpr_spill_count: 0
    .wavefront_size: 64
  - .agpr_count:     0
    .args:
      - .offset:         0
        .size:           24
        .value_kind:     by_value
      - .offset:         24
        .size:           4
        .value_kind:     by_value
      - .offset:         28
        .size:           4
        .value_kind:     by_value
      - .address_space:  global
        .offset:         32
        .size:           8
        .value_kind:     global_buffer
      - .offset:         40
        .size:           1
        .value_kind:     by_value
      - .offset:         48
        .size:           4
        .value_kind:     hidden_block_count_x
      - .offset:         52
        .size:           4
        .value_kind:     hidden_block_count_y
      - .offset:         56
        .size:           4
        .value_kind:     hidden_block_count_z
      - .offset:         60
        .size:           2
        .value_kind:     hidden_group_size_x
      - .offset:         62
        .size:           2
        .value_kind:     hidden_group_size_y
      - .offset:         64
        .size:           2
        .value_kind:     hidden_group_size_z
      - .offset:         66
        .size:           2
        .value_kind:     hidden_remainder_x
      - .offset:         68
        .size:           2
        .value_kind:     hidden_remainder_y
      - .offset:         70
        .size:           2
        .value_kind:     hidden_remainder_z
      - .offset:         88
        .size:           8
        .value_kind:     hidden_global_offset_x
      - .offset:         96
        .size:           8
        .value_kind:     hidden_global_offset_y
      - .offset:         104
        .size:           8
        .value_kind:     hidden_global_offset_z
      - .offset:         112
        .size:           2
        .value_kind:     hidden_grid_dims
    .group_segment_fixed_size: 0
    .kernarg_segment_align: 8
    .kernarg_segment_size: 304
    .language:       OpenCL C
    .language_version:
      - 2
      - 0
    .max_flat_workgroup_size: 256
    .name:           _ZN7rocprim17ROCPRIM_400000_NS6detail30init_device_scan_by_key_kernelINS1_19lookback_scan_stateINS0_5tupleIJybEEELb1ELb0EEENS1_16block_id_wrapperIjLb0EEEEEvT_jjPNS9_10value_typeET0_
    .private_segment_fixed_size: 0
    .sgpr_count:     22
    .sgpr_spill_count: 0
    .symbol:         _ZN7rocprim17ROCPRIM_400000_NS6detail30init_device_scan_by_key_kernelINS1_19lookback_scan_stateINS0_5tupleIJybEEELb1ELb0EEENS1_16block_id_wrapperIjLb0EEEEEvT_jjPNS9_10value_typeET0_.kd
    .uniform_work_group_size: 1
    .uses_dynamic_stack: false
    .vgpr_count:     5
    .vgpr_spill_count: 0
    .wavefront_size: 64
  - .agpr_count:     0
    .args:
      - .offset:         0
        .size:           136
        .value_kind:     by_value
    .group_segment_fixed_size: 0
    .kernarg_segment_align: 8
    .kernarg_segment_size: 136
    .language:       OpenCL C
    .language_version:
      - 2
      - 0
    .max_flat_workgroup_size: 128
    .name:           _ZN7rocprim17ROCPRIM_400000_NS6detail17trampoline_kernelINS0_14default_configENS1_27scan_by_key_config_selectorIiyEEZZNS1_16scan_by_key_implILNS1_25lookback_scan_determinismE0ELb0ES3_N6thrust23THRUST_200600_302600_NS6detail15normal_iteratorINS9_10device_ptrIiEEEENSB_INSC_IyEEEESG_yNS9_4plusIvEENS9_8equal_toIvEEyEE10hipError_tPvRmT2_T3_T4_T5_mT6_T7_P12ihipStream_tbENKUlT_T0_E_clISt17integral_constantIbLb1EES10_IbLb0EEEEDaSW_SX_EUlSW_E_NS1_11comp_targetILNS1_3genE0ELNS1_11target_archE4294967295ELNS1_3gpuE0ELNS1_3repE0EEENS1_30default_config_static_selectorELNS0_4arch9wavefront6targetE1EEEvT1_
    .private_segment_fixed_size: 0
    .sgpr_count:     4
    .sgpr_spill_count: 0
    .symbol:         _ZN7rocprim17ROCPRIM_400000_NS6detail17trampoline_kernelINS0_14default_configENS1_27scan_by_key_config_selectorIiyEEZZNS1_16scan_by_key_implILNS1_25lookback_scan_determinismE0ELb0ES3_N6thrust23THRUST_200600_302600_NS6detail15normal_iteratorINS9_10device_ptrIiEEEENSB_INSC_IyEEEESG_yNS9_4plusIvEENS9_8equal_toIvEEyEE10hipError_tPvRmT2_T3_T4_T5_mT6_T7_P12ihipStream_tbENKUlT_T0_E_clISt17integral_constantIbLb1EES10_IbLb0EEEEDaSW_SX_EUlSW_E_NS1_11comp_targetILNS1_3genE0ELNS1_11target_archE4294967295ELNS1_3gpuE0ELNS1_3repE0EEENS1_30default_config_static_selectorELNS0_4arch9wavefront6targetE1EEEvT1_.kd
    .uniform_work_group_size: 1
    .uses_dynamic_stack: false
    .vgpr_count:     0
    .vgpr_spill_count: 0
    .wavefront_size: 64
  - .agpr_count:     0
    .args:
      - .offset:         0
        .size:           136
        .value_kind:     by_value
    .group_segment_fixed_size: 0
    .kernarg_segment_align: 8
    .kernarg_segment_size: 136
    .language:       OpenCL C
    .language_version:
      - 2
      - 0
    .max_flat_workgroup_size: 256
    .name:           _ZN7rocprim17ROCPRIM_400000_NS6detail17trampoline_kernelINS0_14default_configENS1_27scan_by_key_config_selectorIiyEEZZNS1_16scan_by_key_implILNS1_25lookback_scan_determinismE0ELb0ES3_N6thrust23THRUST_200600_302600_NS6detail15normal_iteratorINS9_10device_ptrIiEEEENSB_INSC_IyEEEESG_yNS9_4plusIvEENS9_8equal_toIvEEyEE10hipError_tPvRmT2_T3_T4_T5_mT6_T7_P12ihipStream_tbENKUlT_T0_E_clISt17integral_constantIbLb1EES10_IbLb0EEEEDaSW_SX_EUlSW_E_NS1_11comp_targetILNS1_3genE10ELNS1_11target_archE1201ELNS1_3gpuE5ELNS1_3repE0EEENS1_30default_config_static_selectorELNS0_4arch9wavefront6targetE1EEEvT1_
    .private_segment_fixed_size: 0
    .sgpr_count:     4
    .sgpr_spill_count: 0
    .symbol:         _ZN7rocprim17ROCPRIM_400000_NS6detail17trampoline_kernelINS0_14default_configENS1_27scan_by_key_config_selectorIiyEEZZNS1_16scan_by_key_implILNS1_25lookback_scan_determinismE0ELb0ES3_N6thrust23THRUST_200600_302600_NS6detail15normal_iteratorINS9_10device_ptrIiEEEENSB_INSC_IyEEEESG_yNS9_4plusIvEENS9_8equal_toIvEEyEE10hipError_tPvRmT2_T3_T4_T5_mT6_T7_P12ihipStream_tbENKUlT_T0_E_clISt17integral_constantIbLb1EES10_IbLb0EEEEDaSW_SX_EUlSW_E_NS1_11comp_targetILNS1_3genE10ELNS1_11target_archE1201ELNS1_3gpuE5ELNS1_3repE0EEENS1_30default_config_static_selectorELNS0_4arch9wavefront6targetE1EEEvT1_.kd
    .uniform_work_group_size: 1
    .uses_dynamic_stack: false
    .vgpr_count:     0
    .vgpr_spill_count: 0
    .wavefront_size: 64
  - .agpr_count:     0
    .args:
      - .offset:         0
        .size:           136
        .value_kind:     by_value
    .group_segment_fixed_size: 0
    .kernarg_segment_align: 8
    .kernarg_segment_size: 136
    .language:       OpenCL C
    .language_version:
      - 2
      - 0
    .max_flat_workgroup_size: 256
    .name:           _ZN7rocprim17ROCPRIM_400000_NS6detail17trampoline_kernelINS0_14default_configENS1_27scan_by_key_config_selectorIiyEEZZNS1_16scan_by_key_implILNS1_25lookback_scan_determinismE0ELb0ES3_N6thrust23THRUST_200600_302600_NS6detail15normal_iteratorINS9_10device_ptrIiEEEENSB_INSC_IyEEEESG_yNS9_4plusIvEENS9_8equal_toIvEEyEE10hipError_tPvRmT2_T3_T4_T5_mT6_T7_P12ihipStream_tbENKUlT_T0_E_clISt17integral_constantIbLb1EES10_IbLb0EEEEDaSW_SX_EUlSW_E_NS1_11comp_targetILNS1_3genE5ELNS1_11target_archE942ELNS1_3gpuE9ELNS1_3repE0EEENS1_30default_config_static_selectorELNS0_4arch9wavefront6targetE1EEEvT1_
    .private_segment_fixed_size: 0
    .sgpr_count:     4
    .sgpr_spill_count: 0
    .symbol:         _ZN7rocprim17ROCPRIM_400000_NS6detail17trampoline_kernelINS0_14default_configENS1_27scan_by_key_config_selectorIiyEEZZNS1_16scan_by_key_implILNS1_25lookback_scan_determinismE0ELb0ES3_N6thrust23THRUST_200600_302600_NS6detail15normal_iteratorINS9_10device_ptrIiEEEENSB_INSC_IyEEEESG_yNS9_4plusIvEENS9_8equal_toIvEEyEE10hipError_tPvRmT2_T3_T4_T5_mT6_T7_P12ihipStream_tbENKUlT_T0_E_clISt17integral_constantIbLb1EES10_IbLb0EEEEDaSW_SX_EUlSW_E_NS1_11comp_targetILNS1_3genE5ELNS1_11target_archE942ELNS1_3gpuE9ELNS1_3repE0EEENS1_30default_config_static_selectorELNS0_4arch9wavefront6targetE1EEEvT1_.kd
    .uniform_work_group_size: 1
    .uses_dynamic_stack: false
    .vgpr_count:     0
    .vgpr_spill_count: 0
    .wavefront_size: 64
  - .agpr_count:     0
    .args:
      - .offset:         0
        .size:           136
        .value_kind:     by_value
    .group_segment_fixed_size: 10752
    .kernarg_segment_align: 8
    .kernarg_segment_size: 136
    .language:       OpenCL C
    .language_version:
      - 2
      - 0
    .max_flat_workgroup_size: 64
    .name:           _ZN7rocprim17ROCPRIM_400000_NS6detail17trampoline_kernelINS0_14default_configENS1_27scan_by_key_config_selectorIiyEEZZNS1_16scan_by_key_implILNS1_25lookback_scan_determinismE0ELb0ES3_N6thrust23THRUST_200600_302600_NS6detail15normal_iteratorINS9_10device_ptrIiEEEENSB_INSC_IyEEEESG_yNS9_4plusIvEENS9_8equal_toIvEEyEE10hipError_tPvRmT2_T3_T4_T5_mT6_T7_P12ihipStream_tbENKUlT_T0_E_clISt17integral_constantIbLb1EES10_IbLb0EEEEDaSW_SX_EUlSW_E_NS1_11comp_targetILNS1_3genE4ELNS1_11target_archE910ELNS1_3gpuE8ELNS1_3repE0EEENS1_30default_config_static_selectorELNS0_4arch9wavefront6targetE1EEEvT1_
    .private_segment_fixed_size: 0
    .sgpr_count:     100
    .sgpr_spill_count: 10
    .symbol:         _ZN7rocprim17ROCPRIM_400000_NS6detail17trampoline_kernelINS0_14default_configENS1_27scan_by_key_config_selectorIiyEEZZNS1_16scan_by_key_implILNS1_25lookback_scan_determinismE0ELb0ES3_N6thrust23THRUST_200600_302600_NS6detail15normal_iteratorINS9_10device_ptrIiEEEENSB_INSC_IyEEEESG_yNS9_4plusIvEENS9_8equal_toIvEEyEE10hipError_tPvRmT2_T3_T4_T5_mT6_T7_P12ihipStream_tbENKUlT_T0_E_clISt17integral_constantIbLb1EES10_IbLb0EEEEDaSW_SX_EUlSW_E_NS1_11comp_targetILNS1_3genE4ELNS1_11target_archE910ELNS1_3gpuE8ELNS1_3repE0EEENS1_30default_config_static_selectorELNS0_4arch9wavefront6targetE1EEEvT1_.kd
    .uniform_work_group_size: 1
    .uses_dynamic_stack: false
    .vgpr_count:     132
    .vgpr_spill_count: 0
    .wavefront_size: 64
  - .agpr_count:     0
    .args:
      - .offset:         0
        .size:           136
        .value_kind:     by_value
    .group_segment_fixed_size: 0
    .kernarg_segment_align: 8
    .kernarg_segment_size: 136
    .language:       OpenCL C
    .language_version:
      - 2
      - 0
    .max_flat_workgroup_size: 128
    .name:           _ZN7rocprim17ROCPRIM_400000_NS6detail17trampoline_kernelINS0_14default_configENS1_27scan_by_key_config_selectorIiyEEZZNS1_16scan_by_key_implILNS1_25lookback_scan_determinismE0ELb0ES3_N6thrust23THRUST_200600_302600_NS6detail15normal_iteratorINS9_10device_ptrIiEEEENSB_INSC_IyEEEESG_yNS9_4plusIvEENS9_8equal_toIvEEyEE10hipError_tPvRmT2_T3_T4_T5_mT6_T7_P12ihipStream_tbENKUlT_T0_E_clISt17integral_constantIbLb1EES10_IbLb0EEEEDaSW_SX_EUlSW_E_NS1_11comp_targetILNS1_3genE3ELNS1_11target_archE908ELNS1_3gpuE7ELNS1_3repE0EEENS1_30default_config_static_selectorELNS0_4arch9wavefront6targetE1EEEvT1_
    .private_segment_fixed_size: 0
    .sgpr_count:     4
    .sgpr_spill_count: 0
    .symbol:         _ZN7rocprim17ROCPRIM_400000_NS6detail17trampoline_kernelINS0_14default_configENS1_27scan_by_key_config_selectorIiyEEZZNS1_16scan_by_key_implILNS1_25lookback_scan_determinismE0ELb0ES3_N6thrust23THRUST_200600_302600_NS6detail15normal_iteratorINS9_10device_ptrIiEEEENSB_INSC_IyEEEESG_yNS9_4plusIvEENS9_8equal_toIvEEyEE10hipError_tPvRmT2_T3_T4_T5_mT6_T7_P12ihipStream_tbENKUlT_T0_E_clISt17integral_constantIbLb1EES10_IbLb0EEEEDaSW_SX_EUlSW_E_NS1_11comp_targetILNS1_3genE3ELNS1_11target_archE908ELNS1_3gpuE7ELNS1_3repE0EEENS1_30default_config_static_selectorELNS0_4arch9wavefront6targetE1EEEvT1_.kd
    .uniform_work_group_size: 1
    .uses_dynamic_stack: false
    .vgpr_count:     0
    .vgpr_spill_count: 0
    .wavefront_size: 64
  - .agpr_count:     0
    .args:
      - .offset:         0
        .size:           136
        .value_kind:     by_value
    .group_segment_fixed_size: 0
    .kernarg_segment_align: 8
    .kernarg_segment_size: 136
    .language:       OpenCL C
    .language_version:
      - 2
      - 0
    .max_flat_workgroup_size: 64
    .name:           _ZN7rocprim17ROCPRIM_400000_NS6detail17trampoline_kernelINS0_14default_configENS1_27scan_by_key_config_selectorIiyEEZZNS1_16scan_by_key_implILNS1_25lookback_scan_determinismE0ELb0ES3_N6thrust23THRUST_200600_302600_NS6detail15normal_iteratorINS9_10device_ptrIiEEEENSB_INSC_IyEEEESG_yNS9_4plusIvEENS9_8equal_toIvEEyEE10hipError_tPvRmT2_T3_T4_T5_mT6_T7_P12ihipStream_tbENKUlT_T0_E_clISt17integral_constantIbLb1EES10_IbLb0EEEEDaSW_SX_EUlSW_E_NS1_11comp_targetILNS1_3genE2ELNS1_11target_archE906ELNS1_3gpuE6ELNS1_3repE0EEENS1_30default_config_static_selectorELNS0_4arch9wavefront6targetE1EEEvT1_
    .private_segment_fixed_size: 0
    .sgpr_count:     4
    .sgpr_spill_count: 0
    .symbol:         _ZN7rocprim17ROCPRIM_400000_NS6detail17trampoline_kernelINS0_14default_configENS1_27scan_by_key_config_selectorIiyEEZZNS1_16scan_by_key_implILNS1_25lookback_scan_determinismE0ELb0ES3_N6thrust23THRUST_200600_302600_NS6detail15normal_iteratorINS9_10device_ptrIiEEEENSB_INSC_IyEEEESG_yNS9_4plusIvEENS9_8equal_toIvEEyEE10hipError_tPvRmT2_T3_T4_T5_mT6_T7_P12ihipStream_tbENKUlT_T0_E_clISt17integral_constantIbLb1EES10_IbLb0EEEEDaSW_SX_EUlSW_E_NS1_11comp_targetILNS1_3genE2ELNS1_11target_archE906ELNS1_3gpuE6ELNS1_3repE0EEENS1_30default_config_static_selectorELNS0_4arch9wavefront6targetE1EEEvT1_.kd
    .uniform_work_group_size: 1
    .uses_dynamic_stack: false
    .vgpr_count:     0
    .vgpr_spill_count: 0
    .wavefront_size: 64
  - .agpr_count:     0
    .args:
      - .offset:         0
        .size:           136
        .value_kind:     by_value
    .group_segment_fixed_size: 0
    .kernarg_segment_align: 8
    .kernarg_segment_size: 136
    .language:       OpenCL C
    .language_version:
      - 2
      - 0
    .max_flat_workgroup_size: 256
    .name:           _ZN7rocprim17ROCPRIM_400000_NS6detail17trampoline_kernelINS0_14default_configENS1_27scan_by_key_config_selectorIiyEEZZNS1_16scan_by_key_implILNS1_25lookback_scan_determinismE0ELb0ES3_N6thrust23THRUST_200600_302600_NS6detail15normal_iteratorINS9_10device_ptrIiEEEENSB_INSC_IyEEEESG_yNS9_4plusIvEENS9_8equal_toIvEEyEE10hipError_tPvRmT2_T3_T4_T5_mT6_T7_P12ihipStream_tbENKUlT_T0_E_clISt17integral_constantIbLb1EES10_IbLb0EEEEDaSW_SX_EUlSW_E_NS1_11comp_targetILNS1_3genE10ELNS1_11target_archE1200ELNS1_3gpuE4ELNS1_3repE0EEENS1_30default_config_static_selectorELNS0_4arch9wavefront6targetE1EEEvT1_
    .private_segment_fixed_size: 0
    .sgpr_count:     4
    .sgpr_spill_count: 0
    .symbol:         _ZN7rocprim17ROCPRIM_400000_NS6detail17trampoline_kernelINS0_14default_configENS1_27scan_by_key_config_selectorIiyEEZZNS1_16scan_by_key_implILNS1_25lookback_scan_determinismE0ELb0ES3_N6thrust23THRUST_200600_302600_NS6detail15normal_iteratorINS9_10device_ptrIiEEEENSB_INSC_IyEEEESG_yNS9_4plusIvEENS9_8equal_toIvEEyEE10hipError_tPvRmT2_T3_T4_T5_mT6_T7_P12ihipStream_tbENKUlT_T0_E_clISt17integral_constantIbLb1EES10_IbLb0EEEEDaSW_SX_EUlSW_E_NS1_11comp_targetILNS1_3genE10ELNS1_11target_archE1200ELNS1_3gpuE4ELNS1_3repE0EEENS1_30default_config_static_selectorELNS0_4arch9wavefront6targetE1EEEvT1_.kd
    .uniform_work_group_size: 1
    .uses_dynamic_stack: false
    .vgpr_count:     0
    .vgpr_spill_count: 0
    .wavefront_size: 64
  - .agpr_count:     0
    .args:
      - .offset:         0
        .size:           136
        .value_kind:     by_value
    .group_segment_fixed_size: 0
    .kernarg_segment_align: 8
    .kernarg_segment_size: 136
    .language:       OpenCL C
    .language_version:
      - 2
      - 0
    .max_flat_workgroup_size: 256
    .name:           _ZN7rocprim17ROCPRIM_400000_NS6detail17trampoline_kernelINS0_14default_configENS1_27scan_by_key_config_selectorIiyEEZZNS1_16scan_by_key_implILNS1_25lookback_scan_determinismE0ELb0ES3_N6thrust23THRUST_200600_302600_NS6detail15normal_iteratorINS9_10device_ptrIiEEEENSB_INSC_IyEEEESG_yNS9_4plusIvEENS9_8equal_toIvEEyEE10hipError_tPvRmT2_T3_T4_T5_mT6_T7_P12ihipStream_tbENKUlT_T0_E_clISt17integral_constantIbLb1EES10_IbLb0EEEEDaSW_SX_EUlSW_E_NS1_11comp_targetILNS1_3genE9ELNS1_11target_archE1100ELNS1_3gpuE3ELNS1_3repE0EEENS1_30default_config_static_selectorELNS0_4arch9wavefront6targetE1EEEvT1_
    .private_segment_fixed_size: 0
    .sgpr_count:     4
    .sgpr_spill_count: 0
    .symbol:         _ZN7rocprim17ROCPRIM_400000_NS6detail17trampoline_kernelINS0_14default_configENS1_27scan_by_key_config_selectorIiyEEZZNS1_16scan_by_key_implILNS1_25lookback_scan_determinismE0ELb0ES3_N6thrust23THRUST_200600_302600_NS6detail15normal_iteratorINS9_10device_ptrIiEEEENSB_INSC_IyEEEESG_yNS9_4plusIvEENS9_8equal_toIvEEyEE10hipError_tPvRmT2_T3_T4_T5_mT6_T7_P12ihipStream_tbENKUlT_T0_E_clISt17integral_constantIbLb1EES10_IbLb0EEEEDaSW_SX_EUlSW_E_NS1_11comp_targetILNS1_3genE9ELNS1_11target_archE1100ELNS1_3gpuE3ELNS1_3repE0EEENS1_30default_config_static_selectorELNS0_4arch9wavefront6targetE1EEEvT1_.kd
    .uniform_work_group_size: 1
    .uses_dynamic_stack: false
    .vgpr_count:     0
    .vgpr_spill_count: 0
    .wavefront_size: 64
  - .agpr_count:     0
    .args:
      - .offset:         0
        .size:           136
        .value_kind:     by_value
    .group_segment_fixed_size: 0
    .kernarg_segment_align: 8
    .kernarg_segment_size: 136
    .language:       OpenCL C
    .language_version:
      - 2
      - 0
    .max_flat_workgroup_size: 256
    .name:           _ZN7rocprim17ROCPRIM_400000_NS6detail17trampoline_kernelINS0_14default_configENS1_27scan_by_key_config_selectorIiyEEZZNS1_16scan_by_key_implILNS1_25lookback_scan_determinismE0ELb0ES3_N6thrust23THRUST_200600_302600_NS6detail15normal_iteratorINS9_10device_ptrIiEEEENSB_INSC_IyEEEESG_yNS9_4plusIvEENS9_8equal_toIvEEyEE10hipError_tPvRmT2_T3_T4_T5_mT6_T7_P12ihipStream_tbENKUlT_T0_E_clISt17integral_constantIbLb1EES10_IbLb0EEEEDaSW_SX_EUlSW_E_NS1_11comp_targetILNS1_3genE8ELNS1_11target_archE1030ELNS1_3gpuE2ELNS1_3repE0EEENS1_30default_config_static_selectorELNS0_4arch9wavefront6targetE1EEEvT1_
    .private_segment_fixed_size: 0
    .sgpr_count:     4
    .sgpr_spill_count: 0
    .symbol:         _ZN7rocprim17ROCPRIM_400000_NS6detail17trampoline_kernelINS0_14default_configENS1_27scan_by_key_config_selectorIiyEEZZNS1_16scan_by_key_implILNS1_25lookback_scan_determinismE0ELb0ES3_N6thrust23THRUST_200600_302600_NS6detail15normal_iteratorINS9_10device_ptrIiEEEENSB_INSC_IyEEEESG_yNS9_4plusIvEENS9_8equal_toIvEEyEE10hipError_tPvRmT2_T3_T4_T5_mT6_T7_P12ihipStream_tbENKUlT_T0_E_clISt17integral_constantIbLb1EES10_IbLb0EEEEDaSW_SX_EUlSW_E_NS1_11comp_targetILNS1_3genE8ELNS1_11target_archE1030ELNS1_3gpuE2ELNS1_3repE0EEENS1_30default_config_static_selectorELNS0_4arch9wavefront6targetE1EEEvT1_.kd
    .uniform_work_group_size: 1
    .uses_dynamic_stack: false
    .vgpr_count:     0
    .vgpr_spill_count: 0
    .wavefront_size: 64
  - .agpr_count:     0
    .args:
      - .offset:         0
        .size:           24
        .value_kind:     by_value
      - .offset:         24
        .size:           4
        .value_kind:     by_value
      - .offset:         28
        .size:           4
        .value_kind:     by_value
      - .address_space:  global
        .offset:         32
        .size:           8
        .value_kind:     global_buffer
      - .address_space:  global
        .offset:         40
        .size:           8
        .value_kind:     global_buffer
      - .actual_access:  write_only
        .address_space:  global
        .offset:         48
        .size:           8
        .value_kind:     global_buffer
      - .offset:         56
        .size:           8
        .value_kind:     by_value
      - .offset:         64
        .size:           4
        .value_kind:     by_value
      - .address_space:  global
        .offset:         72
        .size:           8
        .value_kind:     global_buffer
      - .offset:         80
        .size:           4
        .value_kind:     hidden_block_count_x
      - .offset:         84
        .size:           4
        .value_kind:     hidden_block_count_y
      - .offset:         88
        .size:           4
        .value_kind:     hidden_block_count_z
      - .offset:         92
        .size:           2
        .value_kind:     hidden_group_size_x
      - .offset:         94
        .size:           2
        .value_kind:     hidden_group_size_y
      - .offset:         96
        .size:           2
        .value_kind:     hidden_group_size_z
      - .offset:         98
        .size:           2
        .value_kind:     hidden_remainder_x
      - .offset:         100
        .size:           2
        .value_kind:     hidden_remainder_y
      - .offset:         102
        .size:           2
        .value_kind:     hidden_remainder_z
      - .offset:         120
        .size:           8
        .value_kind:     hidden_global_offset_x
      - .offset:         128
        .size:           8
        .value_kind:     hidden_global_offset_y
      - .offset:         136
        .size:           8
        .value_kind:     hidden_global_offset_z
      - .offset:         144
        .size:           2
        .value_kind:     hidden_grid_dims
    .group_segment_fixed_size: 0
    .kernarg_segment_align: 8
    .kernarg_segment_size: 336
    .language:       OpenCL C
    .language_version:
      - 2
      - 0
    .max_flat_workgroup_size: 256
    .name:           _ZN7rocprim17ROCPRIM_400000_NS6detail30init_device_scan_by_key_kernelINS1_19lookback_scan_stateINS0_5tupleIJybEEELb0ELb0EEEN6thrust23THRUST_200600_302600_NS6detail15normal_iteratorINS8_10device_ptrIiEEEEjNS1_16block_id_wrapperIjLb1EEEEEvT_jjPNSG_10value_typeET0_PNSt15iterator_traitsISJ_E10value_typeEmT1_T2_
    .private_segment_fixed_size: 0
    .sgpr_count:     26
    .sgpr_spill_count: 0
    .symbol:         _ZN7rocprim17ROCPRIM_400000_NS6detail30init_device_scan_by_key_kernelINS1_19lookback_scan_stateINS0_5tupleIJybEEELb0ELb0EEEN6thrust23THRUST_200600_302600_NS6detail15normal_iteratorINS8_10device_ptrIiEEEEjNS1_16block_id_wrapperIjLb1EEEEEvT_jjPNSG_10value_typeET0_PNSt15iterator_traitsISJ_E10value_typeEmT1_T2_.kd
    .uniform_work_group_size: 1
    .uses_dynamic_stack: false
    .vgpr_count:     10
    .vgpr_spill_count: 0
    .wavefront_size: 64
  - .agpr_count:     0
    .args:
      - .offset:         0
        .size:           24
        .value_kind:     by_value
      - .offset:         24
        .size:           4
        .value_kind:     by_value
      - .offset:         28
        .size:           4
        .value_kind:     by_value
      - .address_space:  global
        .offset:         32
        .size:           8
        .value_kind:     global_buffer
      - .address_space:  global
        .offset:         40
        .size:           8
        .value_kind:     global_buffer
      - .offset:         48
        .size:           4
        .value_kind:     hidden_block_count_x
      - .offset:         52
        .size:           4
        .value_kind:     hidden_block_count_y
      - .offset:         56
        .size:           4
        .value_kind:     hidden_block_count_z
      - .offset:         60
        .size:           2
        .value_kind:     hidden_group_size_x
      - .offset:         62
        .size:           2
        .value_kind:     hidden_group_size_y
      - .offset:         64
        .size:           2
        .value_kind:     hidden_group_size_z
      - .offset:         66
        .size:           2
        .value_kind:     hidden_remainder_x
      - .offset:         68
        .size:           2
        .value_kind:     hidden_remainder_y
      - .offset:         70
        .size:           2
        .value_kind:     hidden_remainder_z
      - .offset:         88
        .size:           8
        .value_kind:     hidden_global_offset_x
      - .offset:         96
        .size:           8
        .value_kind:     hidden_global_offset_y
      - .offset:         104
        .size:           8
        .value_kind:     hidden_global_offset_z
      - .offset:         112
        .size:           2
        .value_kind:     hidden_grid_dims
    .group_segment_fixed_size: 0
    .kernarg_segment_align: 8
    .kernarg_segment_size: 304
    .language:       OpenCL C
    .language_version:
      - 2
      - 0
    .max_flat_workgroup_size: 256
    .name:           _ZN7rocprim17ROCPRIM_400000_NS6detail30init_device_scan_by_key_kernelINS1_19lookback_scan_stateINS0_5tupleIJybEEELb0ELb0EEENS1_16block_id_wrapperIjLb1EEEEEvT_jjPNS9_10value_typeET0_
    .private_segment_fixed_size: 0
    .sgpr_count:     22
    .sgpr_spill_count: 0
    .symbol:         _ZN7rocprim17ROCPRIM_400000_NS6detail30init_device_scan_by_key_kernelINS1_19lookback_scan_stateINS0_5tupleIJybEEELb0ELb0EEENS1_16block_id_wrapperIjLb1EEEEEvT_jjPNS9_10value_typeET0_.kd
    .uniform_work_group_size: 1
    .uses_dynamic_stack: false
    .vgpr_count:     5
    .vgpr_spill_count: 0
    .wavefront_size: 64
  - .agpr_count:     0
    .args:
      - .offset:         0
        .size:           136
        .value_kind:     by_value
    .group_segment_fixed_size: 0
    .kernarg_segment_align: 8
    .kernarg_segment_size: 136
    .language:       OpenCL C
    .language_version:
      - 2
      - 0
    .max_flat_workgroup_size: 128
    .name:           _ZN7rocprim17ROCPRIM_400000_NS6detail17trampoline_kernelINS0_14default_configENS1_27scan_by_key_config_selectorIiyEEZZNS1_16scan_by_key_implILNS1_25lookback_scan_determinismE0ELb0ES3_N6thrust23THRUST_200600_302600_NS6detail15normal_iteratorINS9_10device_ptrIiEEEENSB_INSC_IyEEEESG_yNS9_4plusIvEENS9_8equal_toIvEEyEE10hipError_tPvRmT2_T3_T4_T5_mT6_T7_P12ihipStream_tbENKUlT_T0_E_clISt17integral_constantIbLb0EES10_IbLb1EEEEDaSW_SX_EUlSW_E_NS1_11comp_targetILNS1_3genE0ELNS1_11target_archE4294967295ELNS1_3gpuE0ELNS1_3repE0EEENS1_30default_config_static_selectorELNS0_4arch9wavefront6targetE1EEEvT1_
    .private_segment_fixed_size: 0
    .sgpr_count:     4
    .sgpr_spill_count: 0
    .symbol:         _ZN7rocprim17ROCPRIM_400000_NS6detail17trampoline_kernelINS0_14default_configENS1_27scan_by_key_config_selectorIiyEEZZNS1_16scan_by_key_implILNS1_25lookback_scan_determinismE0ELb0ES3_N6thrust23THRUST_200600_302600_NS6detail15normal_iteratorINS9_10device_ptrIiEEEENSB_INSC_IyEEEESG_yNS9_4plusIvEENS9_8equal_toIvEEyEE10hipError_tPvRmT2_T3_T4_T5_mT6_T7_P12ihipStream_tbENKUlT_T0_E_clISt17integral_constantIbLb0EES10_IbLb1EEEEDaSW_SX_EUlSW_E_NS1_11comp_targetILNS1_3genE0ELNS1_11target_archE4294967295ELNS1_3gpuE0ELNS1_3repE0EEENS1_30default_config_static_selectorELNS0_4arch9wavefront6targetE1EEEvT1_.kd
    .uniform_work_group_size: 1
    .uses_dynamic_stack: false
    .vgpr_count:     0
    .vgpr_spill_count: 0
    .wavefront_size: 64
  - .agpr_count:     0
    .args:
      - .offset:         0
        .size:           136
        .value_kind:     by_value
    .group_segment_fixed_size: 0
    .kernarg_segment_align: 8
    .kernarg_segment_size: 136
    .language:       OpenCL C
    .language_version:
      - 2
      - 0
    .max_flat_workgroup_size: 256
    .name:           _ZN7rocprim17ROCPRIM_400000_NS6detail17trampoline_kernelINS0_14default_configENS1_27scan_by_key_config_selectorIiyEEZZNS1_16scan_by_key_implILNS1_25lookback_scan_determinismE0ELb0ES3_N6thrust23THRUST_200600_302600_NS6detail15normal_iteratorINS9_10device_ptrIiEEEENSB_INSC_IyEEEESG_yNS9_4plusIvEENS9_8equal_toIvEEyEE10hipError_tPvRmT2_T3_T4_T5_mT6_T7_P12ihipStream_tbENKUlT_T0_E_clISt17integral_constantIbLb0EES10_IbLb1EEEEDaSW_SX_EUlSW_E_NS1_11comp_targetILNS1_3genE10ELNS1_11target_archE1201ELNS1_3gpuE5ELNS1_3repE0EEENS1_30default_config_static_selectorELNS0_4arch9wavefront6targetE1EEEvT1_
    .private_segment_fixed_size: 0
    .sgpr_count:     4
    .sgpr_spill_count: 0
    .symbol:         _ZN7rocprim17ROCPRIM_400000_NS6detail17trampoline_kernelINS0_14default_configENS1_27scan_by_key_config_selectorIiyEEZZNS1_16scan_by_key_implILNS1_25lookback_scan_determinismE0ELb0ES3_N6thrust23THRUST_200600_302600_NS6detail15normal_iteratorINS9_10device_ptrIiEEEENSB_INSC_IyEEEESG_yNS9_4plusIvEENS9_8equal_toIvEEyEE10hipError_tPvRmT2_T3_T4_T5_mT6_T7_P12ihipStream_tbENKUlT_T0_E_clISt17integral_constantIbLb0EES10_IbLb1EEEEDaSW_SX_EUlSW_E_NS1_11comp_targetILNS1_3genE10ELNS1_11target_archE1201ELNS1_3gpuE5ELNS1_3repE0EEENS1_30default_config_static_selectorELNS0_4arch9wavefront6targetE1EEEvT1_.kd
    .uniform_work_group_size: 1
    .uses_dynamic_stack: false
    .vgpr_count:     0
    .vgpr_spill_count: 0
    .wavefront_size: 64
  - .agpr_count:     0
    .args:
      - .offset:         0
        .size:           136
        .value_kind:     by_value
    .group_segment_fixed_size: 0
    .kernarg_segment_align: 8
    .kernarg_segment_size: 136
    .language:       OpenCL C
    .language_version:
      - 2
      - 0
    .max_flat_workgroup_size: 256
    .name:           _ZN7rocprim17ROCPRIM_400000_NS6detail17trampoline_kernelINS0_14default_configENS1_27scan_by_key_config_selectorIiyEEZZNS1_16scan_by_key_implILNS1_25lookback_scan_determinismE0ELb0ES3_N6thrust23THRUST_200600_302600_NS6detail15normal_iteratorINS9_10device_ptrIiEEEENSB_INSC_IyEEEESG_yNS9_4plusIvEENS9_8equal_toIvEEyEE10hipError_tPvRmT2_T3_T4_T5_mT6_T7_P12ihipStream_tbENKUlT_T0_E_clISt17integral_constantIbLb0EES10_IbLb1EEEEDaSW_SX_EUlSW_E_NS1_11comp_targetILNS1_3genE5ELNS1_11target_archE942ELNS1_3gpuE9ELNS1_3repE0EEENS1_30default_config_static_selectorELNS0_4arch9wavefront6targetE1EEEvT1_
    .private_segment_fixed_size: 0
    .sgpr_count:     4
    .sgpr_spill_count: 0
    .symbol:         _ZN7rocprim17ROCPRIM_400000_NS6detail17trampoline_kernelINS0_14default_configENS1_27scan_by_key_config_selectorIiyEEZZNS1_16scan_by_key_implILNS1_25lookback_scan_determinismE0ELb0ES3_N6thrust23THRUST_200600_302600_NS6detail15normal_iteratorINS9_10device_ptrIiEEEENSB_INSC_IyEEEESG_yNS9_4plusIvEENS9_8equal_toIvEEyEE10hipError_tPvRmT2_T3_T4_T5_mT6_T7_P12ihipStream_tbENKUlT_T0_E_clISt17integral_constantIbLb0EES10_IbLb1EEEEDaSW_SX_EUlSW_E_NS1_11comp_targetILNS1_3genE5ELNS1_11target_archE942ELNS1_3gpuE9ELNS1_3repE0EEENS1_30default_config_static_selectorELNS0_4arch9wavefront6targetE1EEEvT1_.kd
    .uniform_work_group_size: 1
    .uses_dynamic_stack: false
    .vgpr_count:     0
    .vgpr_spill_count: 0
    .wavefront_size: 64
  - .agpr_count:     0
    .args:
      - .offset:         0
        .size:           136
        .value_kind:     by_value
    .group_segment_fixed_size: 10752
    .kernarg_segment_align: 8
    .kernarg_segment_size: 136
    .language:       OpenCL C
    .language_version:
      - 2
      - 0
    .max_flat_workgroup_size: 64
    .name:           _ZN7rocprim17ROCPRIM_400000_NS6detail17trampoline_kernelINS0_14default_configENS1_27scan_by_key_config_selectorIiyEEZZNS1_16scan_by_key_implILNS1_25lookback_scan_determinismE0ELb0ES3_N6thrust23THRUST_200600_302600_NS6detail15normal_iteratorINS9_10device_ptrIiEEEENSB_INSC_IyEEEESG_yNS9_4plusIvEENS9_8equal_toIvEEyEE10hipError_tPvRmT2_T3_T4_T5_mT6_T7_P12ihipStream_tbENKUlT_T0_E_clISt17integral_constantIbLb0EES10_IbLb1EEEEDaSW_SX_EUlSW_E_NS1_11comp_targetILNS1_3genE4ELNS1_11target_archE910ELNS1_3gpuE8ELNS1_3repE0EEENS1_30default_config_static_selectorELNS0_4arch9wavefront6targetE1EEEvT1_
    .private_segment_fixed_size: 0
    .sgpr_count:     100
    .sgpr_spill_count: 17
    .symbol:         _ZN7rocprim17ROCPRIM_400000_NS6detail17trampoline_kernelINS0_14default_configENS1_27scan_by_key_config_selectorIiyEEZZNS1_16scan_by_key_implILNS1_25lookback_scan_determinismE0ELb0ES3_N6thrust23THRUST_200600_302600_NS6detail15normal_iteratorINS9_10device_ptrIiEEEENSB_INSC_IyEEEESG_yNS9_4plusIvEENS9_8equal_toIvEEyEE10hipError_tPvRmT2_T3_T4_T5_mT6_T7_P12ihipStream_tbENKUlT_T0_E_clISt17integral_constantIbLb0EES10_IbLb1EEEEDaSW_SX_EUlSW_E_NS1_11comp_targetILNS1_3genE4ELNS1_11target_archE910ELNS1_3gpuE8ELNS1_3repE0EEENS1_30default_config_static_selectorELNS0_4arch9wavefront6targetE1EEEvT1_.kd
    .uniform_work_group_size: 1
    .uses_dynamic_stack: false
    .vgpr_count:     132
    .vgpr_spill_count: 0
    .wavefront_size: 64
  - .agpr_count:     0
    .args:
      - .offset:         0
        .size:           136
        .value_kind:     by_value
    .group_segment_fixed_size: 0
    .kernarg_segment_align: 8
    .kernarg_segment_size: 136
    .language:       OpenCL C
    .language_version:
      - 2
      - 0
    .max_flat_workgroup_size: 128
    .name:           _ZN7rocprim17ROCPRIM_400000_NS6detail17trampoline_kernelINS0_14default_configENS1_27scan_by_key_config_selectorIiyEEZZNS1_16scan_by_key_implILNS1_25lookback_scan_determinismE0ELb0ES3_N6thrust23THRUST_200600_302600_NS6detail15normal_iteratorINS9_10device_ptrIiEEEENSB_INSC_IyEEEESG_yNS9_4plusIvEENS9_8equal_toIvEEyEE10hipError_tPvRmT2_T3_T4_T5_mT6_T7_P12ihipStream_tbENKUlT_T0_E_clISt17integral_constantIbLb0EES10_IbLb1EEEEDaSW_SX_EUlSW_E_NS1_11comp_targetILNS1_3genE3ELNS1_11target_archE908ELNS1_3gpuE7ELNS1_3repE0EEENS1_30default_config_static_selectorELNS0_4arch9wavefront6targetE1EEEvT1_
    .private_segment_fixed_size: 0
    .sgpr_count:     4
    .sgpr_spill_count: 0
    .symbol:         _ZN7rocprim17ROCPRIM_400000_NS6detail17trampoline_kernelINS0_14default_configENS1_27scan_by_key_config_selectorIiyEEZZNS1_16scan_by_key_implILNS1_25lookback_scan_determinismE0ELb0ES3_N6thrust23THRUST_200600_302600_NS6detail15normal_iteratorINS9_10device_ptrIiEEEENSB_INSC_IyEEEESG_yNS9_4plusIvEENS9_8equal_toIvEEyEE10hipError_tPvRmT2_T3_T4_T5_mT6_T7_P12ihipStream_tbENKUlT_T0_E_clISt17integral_constantIbLb0EES10_IbLb1EEEEDaSW_SX_EUlSW_E_NS1_11comp_targetILNS1_3genE3ELNS1_11target_archE908ELNS1_3gpuE7ELNS1_3repE0EEENS1_30default_config_static_selectorELNS0_4arch9wavefront6targetE1EEEvT1_.kd
    .uniform_work_group_size: 1
    .uses_dynamic_stack: false
    .vgpr_count:     0
    .vgpr_spill_count: 0
    .wavefront_size: 64
  - .agpr_count:     0
    .args:
      - .offset:         0
        .size:           136
        .value_kind:     by_value
    .group_segment_fixed_size: 0
    .kernarg_segment_align: 8
    .kernarg_segment_size: 136
    .language:       OpenCL C
    .language_version:
      - 2
      - 0
    .max_flat_workgroup_size: 64
    .name:           _ZN7rocprim17ROCPRIM_400000_NS6detail17trampoline_kernelINS0_14default_configENS1_27scan_by_key_config_selectorIiyEEZZNS1_16scan_by_key_implILNS1_25lookback_scan_determinismE0ELb0ES3_N6thrust23THRUST_200600_302600_NS6detail15normal_iteratorINS9_10device_ptrIiEEEENSB_INSC_IyEEEESG_yNS9_4plusIvEENS9_8equal_toIvEEyEE10hipError_tPvRmT2_T3_T4_T5_mT6_T7_P12ihipStream_tbENKUlT_T0_E_clISt17integral_constantIbLb0EES10_IbLb1EEEEDaSW_SX_EUlSW_E_NS1_11comp_targetILNS1_3genE2ELNS1_11target_archE906ELNS1_3gpuE6ELNS1_3repE0EEENS1_30default_config_static_selectorELNS0_4arch9wavefront6targetE1EEEvT1_
    .private_segment_fixed_size: 0
    .sgpr_count:     4
    .sgpr_spill_count: 0
    .symbol:         _ZN7rocprim17ROCPRIM_400000_NS6detail17trampoline_kernelINS0_14default_configENS1_27scan_by_key_config_selectorIiyEEZZNS1_16scan_by_key_implILNS1_25lookback_scan_determinismE0ELb0ES3_N6thrust23THRUST_200600_302600_NS6detail15normal_iteratorINS9_10device_ptrIiEEEENSB_INSC_IyEEEESG_yNS9_4plusIvEENS9_8equal_toIvEEyEE10hipError_tPvRmT2_T3_T4_T5_mT6_T7_P12ihipStream_tbENKUlT_T0_E_clISt17integral_constantIbLb0EES10_IbLb1EEEEDaSW_SX_EUlSW_E_NS1_11comp_targetILNS1_3genE2ELNS1_11target_archE906ELNS1_3gpuE6ELNS1_3repE0EEENS1_30default_config_static_selectorELNS0_4arch9wavefront6targetE1EEEvT1_.kd
    .uniform_work_group_size: 1
    .uses_dynamic_stack: false
    .vgpr_count:     0
    .vgpr_spill_count: 0
    .wavefront_size: 64
  - .agpr_count:     0
    .args:
      - .offset:         0
        .size:           136
        .value_kind:     by_value
    .group_segment_fixed_size: 0
    .kernarg_segment_align: 8
    .kernarg_segment_size: 136
    .language:       OpenCL C
    .language_version:
      - 2
      - 0
    .max_flat_workgroup_size: 256
    .name:           _ZN7rocprim17ROCPRIM_400000_NS6detail17trampoline_kernelINS0_14default_configENS1_27scan_by_key_config_selectorIiyEEZZNS1_16scan_by_key_implILNS1_25lookback_scan_determinismE0ELb0ES3_N6thrust23THRUST_200600_302600_NS6detail15normal_iteratorINS9_10device_ptrIiEEEENSB_INSC_IyEEEESG_yNS9_4plusIvEENS9_8equal_toIvEEyEE10hipError_tPvRmT2_T3_T4_T5_mT6_T7_P12ihipStream_tbENKUlT_T0_E_clISt17integral_constantIbLb0EES10_IbLb1EEEEDaSW_SX_EUlSW_E_NS1_11comp_targetILNS1_3genE10ELNS1_11target_archE1200ELNS1_3gpuE4ELNS1_3repE0EEENS1_30default_config_static_selectorELNS0_4arch9wavefront6targetE1EEEvT1_
    .private_segment_fixed_size: 0
    .sgpr_count:     4
    .sgpr_spill_count: 0
    .symbol:         _ZN7rocprim17ROCPRIM_400000_NS6detail17trampoline_kernelINS0_14default_configENS1_27scan_by_key_config_selectorIiyEEZZNS1_16scan_by_key_implILNS1_25lookback_scan_determinismE0ELb0ES3_N6thrust23THRUST_200600_302600_NS6detail15normal_iteratorINS9_10device_ptrIiEEEENSB_INSC_IyEEEESG_yNS9_4plusIvEENS9_8equal_toIvEEyEE10hipError_tPvRmT2_T3_T4_T5_mT6_T7_P12ihipStream_tbENKUlT_T0_E_clISt17integral_constantIbLb0EES10_IbLb1EEEEDaSW_SX_EUlSW_E_NS1_11comp_targetILNS1_3genE10ELNS1_11target_archE1200ELNS1_3gpuE4ELNS1_3repE0EEENS1_30default_config_static_selectorELNS0_4arch9wavefront6targetE1EEEvT1_.kd
    .uniform_work_group_size: 1
    .uses_dynamic_stack: false
    .vgpr_count:     0
    .vgpr_spill_count: 0
    .wavefront_size: 64
  - .agpr_count:     0
    .args:
      - .offset:         0
        .size:           136
        .value_kind:     by_value
    .group_segment_fixed_size: 0
    .kernarg_segment_align: 8
    .kernarg_segment_size: 136
    .language:       OpenCL C
    .language_version:
      - 2
      - 0
    .max_flat_workgroup_size: 256
    .name:           _ZN7rocprim17ROCPRIM_400000_NS6detail17trampoline_kernelINS0_14default_configENS1_27scan_by_key_config_selectorIiyEEZZNS1_16scan_by_key_implILNS1_25lookback_scan_determinismE0ELb0ES3_N6thrust23THRUST_200600_302600_NS6detail15normal_iteratorINS9_10device_ptrIiEEEENSB_INSC_IyEEEESG_yNS9_4plusIvEENS9_8equal_toIvEEyEE10hipError_tPvRmT2_T3_T4_T5_mT6_T7_P12ihipStream_tbENKUlT_T0_E_clISt17integral_constantIbLb0EES10_IbLb1EEEEDaSW_SX_EUlSW_E_NS1_11comp_targetILNS1_3genE9ELNS1_11target_archE1100ELNS1_3gpuE3ELNS1_3repE0EEENS1_30default_config_static_selectorELNS0_4arch9wavefront6targetE1EEEvT1_
    .private_segment_fixed_size: 0
    .sgpr_count:     4
    .sgpr_spill_count: 0
    .symbol:         _ZN7rocprim17ROCPRIM_400000_NS6detail17trampoline_kernelINS0_14default_configENS1_27scan_by_key_config_selectorIiyEEZZNS1_16scan_by_key_implILNS1_25lookback_scan_determinismE0ELb0ES3_N6thrust23THRUST_200600_302600_NS6detail15normal_iteratorINS9_10device_ptrIiEEEENSB_INSC_IyEEEESG_yNS9_4plusIvEENS9_8equal_toIvEEyEE10hipError_tPvRmT2_T3_T4_T5_mT6_T7_P12ihipStream_tbENKUlT_T0_E_clISt17integral_constantIbLb0EES10_IbLb1EEEEDaSW_SX_EUlSW_E_NS1_11comp_targetILNS1_3genE9ELNS1_11target_archE1100ELNS1_3gpuE3ELNS1_3repE0EEENS1_30default_config_static_selectorELNS0_4arch9wavefront6targetE1EEEvT1_.kd
    .uniform_work_group_size: 1
    .uses_dynamic_stack: false
    .vgpr_count:     0
    .vgpr_spill_count: 0
    .wavefront_size: 64
  - .agpr_count:     0
    .args:
      - .offset:         0
        .size:           136
        .value_kind:     by_value
    .group_segment_fixed_size: 0
    .kernarg_segment_align: 8
    .kernarg_segment_size: 136
    .language:       OpenCL C
    .language_version:
      - 2
      - 0
    .max_flat_workgroup_size: 256
    .name:           _ZN7rocprim17ROCPRIM_400000_NS6detail17trampoline_kernelINS0_14default_configENS1_27scan_by_key_config_selectorIiyEEZZNS1_16scan_by_key_implILNS1_25lookback_scan_determinismE0ELb0ES3_N6thrust23THRUST_200600_302600_NS6detail15normal_iteratorINS9_10device_ptrIiEEEENSB_INSC_IyEEEESG_yNS9_4plusIvEENS9_8equal_toIvEEyEE10hipError_tPvRmT2_T3_T4_T5_mT6_T7_P12ihipStream_tbENKUlT_T0_E_clISt17integral_constantIbLb0EES10_IbLb1EEEEDaSW_SX_EUlSW_E_NS1_11comp_targetILNS1_3genE8ELNS1_11target_archE1030ELNS1_3gpuE2ELNS1_3repE0EEENS1_30default_config_static_selectorELNS0_4arch9wavefront6targetE1EEEvT1_
    .private_segment_fixed_size: 0
    .sgpr_count:     4
    .sgpr_spill_count: 0
    .symbol:         _ZN7rocprim17ROCPRIM_400000_NS6detail17trampoline_kernelINS0_14default_configENS1_27scan_by_key_config_selectorIiyEEZZNS1_16scan_by_key_implILNS1_25lookback_scan_determinismE0ELb0ES3_N6thrust23THRUST_200600_302600_NS6detail15normal_iteratorINS9_10device_ptrIiEEEENSB_INSC_IyEEEESG_yNS9_4plusIvEENS9_8equal_toIvEEyEE10hipError_tPvRmT2_T3_T4_T5_mT6_T7_P12ihipStream_tbENKUlT_T0_E_clISt17integral_constantIbLb0EES10_IbLb1EEEEDaSW_SX_EUlSW_E_NS1_11comp_targetILNS1_3genE8ELNS1_11target_archE1030ELNS1_3gpuE2ELNS1_3repE0EEENS1_30default_config_static_selectorELNS0_4arch9wavefront6targetE1EEEvT1_.kd
    .uniform_work_group_size: 1
    .uses_dynamic_stack: false
    .vgpr_count:     0
    .vgpr_spill_count: 0
    .wavefront_size: 64
  - .agpr_count:     0
    .args:
      - .offset:         0
        .size:           16
        .value_kind:     by_value
      - .offset:         16
        .size:           8
        .value_kind:     by_value
      - .offset:         24
        .size:           8
        .value_kind:     by_value
    .group_segment_fixed_size: 0
    .kernarg_segment_align: 8
    .kernarg_segment_size: 32
    .language:       OpenCL C
    .language_version:
      - 2
      - 0
    .max_flat_workgroup_size: 256
    .name:           _ZN6thrust23THRUST_200600_302600_NS11hip_rocprim14__parallel_for6kernelILj256ENS1_20__uninitialized_fill7functorINS0_10device_ptrIjEEjEEmLj1EEEvT0_T1_SA_
    .private_segment_fixed_size: 0
    .sgpr_count:     16
    .sgpr_spill_count: 0
    .symbol:         _ZN6thrust23THRUST_200600_302600_NS11hip_rocprim14__parallel_for6kernelILj256ENS1_20__uninitialized_fill7functorINS0_10device_ptrIjEEjEEmLj1EEEvT0_T1_SA_.kd
    .uniform_work_group_size: 1
    .uses_dynamic_stack: false
    .vgpr_count:     4
    .vgpr_spill_count: 0
    .wavefront_size: 64
  - .agpr_count:     0
    .args:
      - .address_space:  global
        .offset:         0
        .size:           8
        .value_kind:     global_buffer
      - .offset:         8
        .size:           4
        .value_kind:     by_value
      - .offset:         12
        .size:           4
        .value_kind:     by_value
      - .address_space:  global
        .offset:         16
        .size:           8
        .value_kind:     global_buffer
      - .address_space:  global
        .offset:         24
        .size:           8
        .value_kind:     global_buffer
      - .actual_access:  write_only
        .address_space:  global
        .offset:         32
        .size:           8
        .value_kind:     global_buffer
      - .offset:         40
        .size:           8
        .value_kind:     by_value
      - .offset:         48
        .size:           4
        .value_kind:     by_value
      - .offset:         52
        .size:           1
        .value_kind:     by_value
      - .offset:         56
        .size:           4
        .value_kind:     hidden_block_count_x
      - .offset:         60
        .size:           4
        .value_kind:     hidden_block_count_y
      - .offset:         64
        .size:           4
        .value_kind:     hidden_block_count_z
      - .offset:         68
        .size:           2
        .value_kind:     hidden_group_size_x
      - .offset:         70
        .size:           2
        .value_kind:     hidden_group_size_y
      - .offset:         72
        .size:           2
        .value_kind:     hidden_group_size_z
      - .offset:         74
        .size:           2
        .value_kind:     hidden_remainder_x
      - .offset:         76
        .size:           2
        .value_kind:     hidden_remainder_y
      - .offset:         78
        .size:           2
        .value_kind:     hidden_remainder_z
      - .offset:         96
        .size:           8
        .value_kind:     hidden_global_offset_x
      - .offset:         104
        .size:           8
        .value_kind:     hidden_global_offset_y
      - .offset:         112
        .size:           8
        .value_kind:     hidden_global_offset_z
      - .offset:         120
        .size:           2
        .value_kind:     hidden_grid_dims
    .group_segment_fixed_size: 0
    .kernarg_segment_align: 8
    .kernarg_segment_size: 312
    .language:       OpenCL C
    .language_version:
      - 2
      - 0
    .max_flat_workgroup_size: 256
    .name:           _ZN7rocprim17ROCPRIM_400000_NS6detail30init_device_scan_by_key_kernelINS1_19lookback_scan_stateINS0_5tupleIJjbEEELb0ELb1EEEN6thrust23THRUST_200600_302600_NS6detail15normal_iteratorINS8_10device_ptrIiEEEEjNS1_16block_id_wrapperIjLb0EEEEEvT_jjPNSG_10value_typeET0_PNSt15iterator_traitsISJ_E10value_typeEmT1_T2_
    .private_segment_fixed_size: 0
    .sgpr_count:     24
    .sgpr_spill_count: 0
    .symbol:         _ZN7rocprim17ROCPRIM_400000_NS6detail30init_device_scan_by_key_kernelINS1_19lookback_scan_stateINS0_5tupleIJjbEEELb0ELb1EEEN6thrust23THRUST_200600_302600_NS6detail15normal_iteratorINS8_10device_ptrIiEEEEjNS1_16block_id_wrapperIjLb0EEEEEvT_jjPNSG_10value_typeET0_PNSt15iterator_traitsISJ_E10value_typeEmT1_T2_.kd
    .uniform_work_group_size: 1
    .uses_dynamic_stack: false
    .vgpr_count:     10
    .vgpr_spill_count: 0
    .wavefront_size: 64
  - .agpr_count:     0
    .args:
      - .address_space:  global
        .offset:         0
        .size:           8
        .value_kind:     global_buffer
      - .offset:         8
        .size:           4
        .value_kind:     by_value
      - .offset:         12
        .size:           4
        .value_kind:     by_value
      - .address_space:  global
        .offset:         16
        .size:           8
        .value_kind:     global_buffer
      - .offset:         24
        .size:           1
        .value_kind:     by_value
      - .offset:         32
        .size:           4
        .value_kind:     hidden_block_count_x
      - .offset:         36
        .size:           4
        .value_kind:     hidden_block_count_y
      - .offset:         40
        .size:           4
        .value_kind:     hidden_block_count_z
      - .offset:         44
        .size:           2
        .value_kind:     hidden_group_size_x
      - .offset:         46
        .size:           2
        .value_kind:     hidden_group_size_y
      - .offset:         48
        .size:           2
        .value_kind:     hidden_group_size_z
      - .offset:         50
        .size:           2
        .value_kind:     hidden_remainder_x
      - .offset:         52
        .size:           2
        .value_kind:     hidden_remainder_y
      - .offset:         54
        .size:           2
        .value_kind:     hidden_remainder_z
      - .offset:         72
        .size:           8
        .value_kind:     hidden_global_offset_x
      - .offset:         80
        .size:           8
        .value_kind:     hidden_global_offset_y
      - .offset:         88
        .size:           8
        .value_kind:     hidden_global_offset_z
      - .offset:         96
        .size:           2
        .value_kind:     hidden_grid_dims
    .group_segment_fixed_size: 0
    .kernarg_segment_align: 8
    .kernarg_segment_size: 288
    .language:       OpenCL C
    .language_version:
      - 2
      - 0
    .max_flat_workgroup_size: 256
    .name:           _ZN7rocprim17ROCPRIM_400000_NS6detail30init_device_scan_by_key_kernelINS1_19lookback_scan_stateINS0_5tupleIJjbEEELb0ELb1EEENS1_16block_id_wrapperIjLb0EEEEEvT_jjPNS9_10value_typeET0_
    .private_segment_fixed_size: 0
    .sgpr_count:     18
    .sgpr_spill_count: 0
    .symbol:         _ZN7rocprim17ROCPRIM_400000_NS6detail30init_device_scan_by_key_kernelINS1_19lookback_scan_stateINS0_5tupleIJjbEEELb0ELb1EEENS1_16block_id_wrapperIjLb0EEEEEvT_jjPNS9_10value_typeET0_.kd
    .uniform_work_group_size: 1
    .uses_dynamic_stack: false
    .vgpr_count:     10
    .vgpr_spill_count: 0
    .wavefront_size: 64
  - .agpr_count:     0
    .args:
      - .offset:         0
        .size:           112
        .value_kind:     by_value
    .group_segment_fixed_size: 0
    .kernarg_segment_align: 8
    .kernarg_segment_size: 112
    .language:       OpenCL C
    .language_version:
      - 2
      - 0
    .max_flat_workgroup_size: 256
    .name:           _ZN7rocprim17ROCPRIM_400000_NS6detail17trampoline_kernelINS0_14default_configENS1_27scan_by_key_config_selectorIijEEZZNS1_16scan_by_key_implILNS1_25lookback_scan_determinismE0ELb0ES3_N6thrust23THRUST_200600_302600_NS6detail15normal_iteratorINS9_10device_ptrIiEEEENSB_INSC_IjEEEESG_jNS9_4plusIvEENS9_8equal_toIvEEjEE10hipError_tPvRmT2_T3_T4_T5_mT6_T7_P12ihipStream_tbENKUlT_T0_E_clISt17integral_constantIbLb0EES11_EEDaSW_SX_EUlSW_E_NS1_11comp_targetILNS1_3genE0ELNS1_11target_archE4294967295ELNS1_3gpuE0ELNS1_3repE0EEENS1_30default_config_static_selectorELNS0_4arch9wavefront6targetE1EEEvT1_
    .private_segment_fixed_size: 0
    .sgpr_count:     4
    .sgpr_spill_count: 0
    .symbol:         _ZN7rocprim17ROCPRIM_400000_NS6detail17trampoline_kernelINS0_14default_configENS1_27scan_by_key_config_selectorIijEEZZNS1_16scan_by_key_implILNS1_25lookback_scan_determinismE0ELb0ES3_N6thrust23THRUST_200600_302600_NS6detail15normal_iteratorINS9_10device_ptrIiEEEENSB_INSC_IjEEEESG_jNS9_4plusIvEENS9_8equal_toIvEEjEE10hipError_tPvRmT2_T3_T4_T5_mT6_T7_P12ihipStream_tbENKUlT_T0_E_clISt17integral_constantIbLb0EES11_EEDaSW_SX_EUlSW_E_NS1_11comp_targetILNS1_3genE0ELNS1_11target_archE4294967295ELNS1_3gpuE0ELNS1_3repE0EEENS1_30default_config_static_selectorELNS0_4arch9wavefront6targetE1EEEvT1_.kd
    .uniform_work_group_size: 1
    .uses_dynamic_stack: false
    .vgpr_count:     0
    .vgpr_spill_count: 0
    .wavefront_size: 64
  - .agpr_count:     0
    .args:
      - .offset:         0
        .size:           112
        .value_kind:     by_value
    .group_segment_fixed_size: 0
    .kernarg_segment_align: 8
    .kernarg_segment_size: 112
    .language:       OpenCL C
    .language_version:
      - 2
      - 0
    .max_flat_workgroup_size: 256
    .name:           _ZN7rocprim17ROCPRIM_400000_NS6detail17trampoline_kernelINS0_14default_configENS1_27scan_by_key_config_selectorIijEEZZNS1_16scan_by_key_implILNS1_25lookback_scan_determinismE0ELb0ES3_N6thrust23THRUST_200600_302600_NS6detail15normal_iteratorINS9_10device_ptrIiEEEENSB_INSC_IjEEEESG_jNS9_4plusIvEENS9_8equal_toIvEEjEE10hipError_tPvRmT2_T3_T4_T5_mT6_T7_P12ihipStream_tbENKUlT_T0_E_clISt17integral_constantIbLb0EES11_EEDaSW_SX_EUlSW_E_NS1_11comp_targetILNS1_3genE10ELNS1_11target_archE1201ELNS1_3gpuE5ELNS1_3repE0EEENS1_30default_config_static_selectorELNS0_4arch9wavefront6targetE1EEEvT1_
    .private_segment_fixed_size: 0
    .sgpr_count:     4
    .sgpr_spill_count: 0
    .symbol:         _ZN7rocprim17ROCPRIM_400000_NS6detail17trampoline_kernelINS0_14default_configENS1_27scan_by_key_config_selectorIijEEZZNS1_16scan_by_key_implILNS1_25lookback_scan_determinismE0ELb0ES3_N6thrust23THRUST_200600_302600_NS6detail15normal_iteratorINS9_10device_ptrIiEEEENSB_INSC_IjEEEESG_jNS9_4plusIvEENS9_8equal_toIvEEjEE10hipError_tPvRmT2_T3_T4_T5_mT6_T7_P12ihipStream_tbENKUlT_T0_E_clISt17integral_constantIbLb0EES11_EEDaSW_SX_EUlSW_E_NS1_11comp_targetILNS1_3genE10ELNS1_11target_archE1201ELNS1_3gpuE5ELNS1_3repE0EEENS1_30default_config_static_selectorELNS0_4arch9wavefront6targetE1EEEvT1_.kd
    .uniform_work_group_size: 1
    .uses_dynamic_stack: false
    .vgpr_count:     0
    .vgpr_spill_count: 0
    .wavefront_size: 64
  - .agpr_count:     0
    .args:
      - .offset:         0
        .size:           112
        .value_kind:     by_value
    .group_segment_fixed_size: 0
    .kernarg_segment_align: 8
    .kernarg_segment_size: 112
    .language:       OpenCL C
    .language_version:
      - 2
      - 0
    .max_flat_workgroup_size: 256
    .name:           _ZN7rocprim17ROCPRIM_400000_NS6detail17trampoline_kernelINS0_14default_configENS1_27scan_by_key_config_selectorIijEEZZNS1_16scan_by_key_implILNS1_25lookback_scan_determinismE0ELb0ES3_N6thrust23THRUST_200600_302600_NS6detail15normal_iteratorINS9_10device_ptrIiEEEENSB_INSC_IjEEEESG_jNS9_4plusIvEENS9_8equal_toIvEEjEE10hipError_tPvRmT2_T3_T4_T5_mT6_T7_P12ihipStream_tbENKUlT_T0_E_clISt17integral_constantIbLb0EES11_EEDaSW_SX_EUlSW_E_NS1_11comp_targetILNS1_3genE5ELNS1_11target_archE942ELNS1_3gpuE9ELNS1_3repE0EEENS1_30default_config_static_selectorELNS0_4arch9wavefront6targetE1EEEvT1_
    .private_segment_fixed_size: 0
    .sgpr_count:     4
    .sgpr_spill_count: 0
    .symbol:         _ZN7rocprim17ROCPRIM_400000_NS6detail17trampoline_kernelINS0_14default_configENS1_27scan_by_key_config_selectorIijEEZZNS1_16scan_by_key_implILNS1_25lookback_scan_determinismE0ELb0ES3_N6thrust23THRUST_200600_302600_NS6detail15normal_iteratorINS9_10device_ptrIiEEEENSB_INSC_IjEEEESG_jNS9_4plusIvEENS9_8equal_toIvEEjEE10hipError_tPvRmT2_T3_T4_T5_mT6_T7_P12ihipStream_tbENKUlT_T0_E_clISt17integral_constantIbLb0EES11_EEDaSW_SX_EUlSW_E_NS1_11comp_targetILNS1_3genE5ELNS1_11target_archE942ELNS1_3gpuE9ELNS1_3repE0EEENS1_30default_config_static_selectorELNS0_4arch9wavefront6targetE1EEEvT1_.kd
    .uniform_work_group_size: 1
    .uses_dynamic_stack: false
    .vgpr_count:     0
    .vgpr_spill_count: 0
    .wavefront_size: 64
  - .agpr_count:     0
    .args:
      - .offset:         0
        .size:           112
        .value_kind:     by_value
    .group_segment_fixed_size: 16384
    .kernarg_segment_align: 8
    .kernarg_segment_size: 112
    .language:       OpenCL C
    .language_version:
      - 2
      - 0
    .max_flat_workgroup_size: 256
    .name:           _ZN7rocprim17ROCPRIM_400000_NS6detail17trampoline_kernelINS0_14default_configENS1_27scan_by_key_config_selectorIijEEZZNS1_16scan_by_key_implILNS1_25lookback_scan_determinismE0ELb0ES3_N6thrust23THRUST_200600_302600_NS6detail15normal_iteratorINS9_10device_ptrIiEEEENSB_INSC_IjEEEESG_jNS9_4plusIvEENS9_8equal_toIvEEjEE10hipError_tPvRmT2_T3_T4_T5_mT6_T7_P12ihipStream_tbENKUlT_T0_E_clISt17integral_constantIbLb0EES11_EEDaSW_SX_EUlSW_E_NS1_11comp_targetILNS1_3genE4ELNS1_11target_archE910ELNS1_3gpuE8ELNS1_3repE0EEENS1_30default_config_static_selectorELNS0_4arch9wavefront6targetE1EEEvT1_
    .private_segment_fixed_size: 0
    .sgpr_count:     65
    .sgpr_spill_count: 0
    .symbol:         _ZN7rocprim17ROCPRIM_400000_NS6detail17trampoline_kernelINS0_14default_configENS1_27scan_by_key_config_selectorIijEEZZNS1_16scan_by_key_implILNS1_25lookback_scan_determinismE0ELb0ES3_N6thrust23THRUST_200600_302600_NS6detail15normal_iteratorINS9_10device_ptrIiEEEENSB_INSC_IjEEEESG_jNS9_4plusIvEENS9_8equal_toIvEEjEE10hipError_tPvRmT2_T3_T4_T5_mT6_T7_P12ihipStream_tbENKUlT_T0_E_clISt17integral_constantIbLb0EES11_EEDaSW_SX_EUlSW_E_NS1_11comp_targetILNS1_3genE4ELNS1_11target_archE910ELNS1_3gpuE8ELNS1_3repE0EEENS1_30default_config_static_selectorELNS0_4arch9wavefront6targetE1EEEvT1_.kd
    .uniform_work_group_size: 1
    .uses_dynamic_stack: false
    .vgpr_count:     65
    .vgpr_spill_count: 0
    .wavefront_size: 64
  - .agpr_count:     0
    .args:
      - .offset:         0
        .size:           112
        .value_kind:     by_value
    .group_segment_fixed_size: 0
    .kernarg_segment_align: 8
    .kernarg_segment_size: 112
    .language:       OpenCL C
    .language_version:
      - 2
      - 0
    .max_flat_workgroup_size: 256
    .name:           _ZN7rocprim17ROCPRIM_400000_NS6detail17trampoline_kernelINS0_14default_configENS1_27scan_by_key_config_selectorIijEEZZNS1_16scan_by_key_implILNS1_25lookback_scan_determinismE0ELb0ES3_N6thrust23THRUST_200600_302600_NS6detail15normal_iteratorINS9_10device_ptrIiEEEENSB_INSC_IjEEEESG_jNS9_4plusIvEENS9_8equal_toIvEEjEE10hipError_tPvRmT2_T3_T4_T5_mT6_T7_P12ihipStream_tbENKUlT_T0_E_clISt17integral_constantIbLb0EES11_EEDaSW_SX_EUlSW_E_NS1_11comp_targetILNS1_3genE3ELNS1_11target_archE908ELNS1_3gpuE7ELNS1_3repE0EEENS1_30default_config_static_selectorELNS0_4arch9wavefront6targetE1EEEvT1_
    .private_segment_fixed_size: 0
    .sgpr_count:     4
    .sgpr_spill_count: 0
    .symbol:         _ZN7rocprim17ROCPRIM_400000_NS6detail17trampoline_kernelINS0_14default_configENS1_27scan_by_key_config_selectorIijEEZZNS1_16scan_by_key_implILNS1_25lookback_scan_determinismE0ELb0ES3_N6thrust23THRUST_200600_302600_NS6detail15normal_iteratorINS9_10device_ptrIiEEEENSB_INSC_IjEEEESG_jNS9_4plusIvEENS9_8equal_toIvEEjEE10hipError_tPvRmT2_T3_T4_T5_mT6_T7_P12ihipStream_tbENKUlT_T0_E_clISt17integral_constantIbLb0EES11_EEDaSW_SX_EUlSW_E_NS1_11comp_targetILNS1_3genE3ELNS1_11target_archE908ELNS1_3gpuE7ELNS1_3repE0EEENS1_30default_config_static_selectorELNS0_4arch9wavefront6targetE1EEEvT1_.kd
    .uniform_work_group_size: 1
    .uses_dynamic_stack: false
    .vgpr_count:     0
    .vgpr_spill_count: 0
    .wavefront_size: 64
  - .agpr_count:     0
    .args:
      - .offset:         0
        .size:           112
        .value_kind:     by_value
    .group_segment_fixed_size: 0
    .kernarg_segment_align: 8
    .kernarg_segment_size: 112
    .language:       OpenCL C
    .language_version:
      - 2
      - 0
    .max_flat_workgroup_size: 256
    .name:           _ZN7rocprim17ROCPRIM_400000_NS6detail17trampoline_kernelINS0_14default_configENS1_27scan_by_key_config_selectorIijEEZZNS1_16scan_by_key_implILNS1_25lookback_scan_determinismE0ELb0ES3_N6thrust23THRUST_200600_302600_NS6detail15normal_iteratorINS9_10device_ptrIiEEEENSB_INSC_IjEEEESG_jNS9_4plusIvEENS9_8equal_toIvEEjEE10hipError_tPvRmT2_T3_T4_T5_mT6_T7_P12ihipStream_tbENKUlT_T0_E_clISt17integral_constantIbLb0EES11_EEDaSW_SX_EUlSW_E_NS1_11comp_targetILNS1_3genE2ELNS1_11target_archE906ELNS1_3gpuE6ELNS1_3repE0EEENS1_30default_config_static_selectorELNS0_4arch9wavefront6targetE1EEEvT1_
    .private_segment_fixed_size: 0
    .sgpr_count:     4
    .sgpr_spill_count: 0
    .symbol:         _ZN7rocprim17ROCPRIM_400000_NS6detail17trampoline_kernelINS0_14default_configENS1_27scan_by_key_config_selectorIijEEZZNS1_16scan_by_key_implILNS1_25lookback_scan_determinismE0ELb0ES3_N6thrust23THRUST_200600_302600_NS6detail15normal_iteratorINS9_10device_ptrIiEEEENSB_INSC_IjEEEESG_jNS9_4plusIvEENS9_8equal_toIvEEjEE10hipError_tPvRmT2_T3_T4_T5_mT6_T7_P12ihipStream_tbENKUlT_T0_E_clISt17integral_constantIbLb0EES11_EEDaSW_SX_EUlSW_E_NS1_11comp_targetILNS1_3genE2ELNS1_11target_archE906ELNS1_3gpuE6ELNS1_3repE0EEENS1_30default_config_static_selectorELNS0_4arch9wavefront6targetE1EEEvT1_.kd
    .uniform_work_group_size: 1
    .uses_dynamic_stack: false
    .vgpr_count:     0
    .vgpr_spill_count: 0
    .wavefront_size: 64
  - .agpr_count:     0
    .args:
      - .offset:         0
        .size:           112
        .value_kind:     by_value
    .group_segment_fixed_size: 0
    .kernarg_segment_align: 8
    .kernarg_segment_size: 112
    .language:       OpenCL C
    .language_version:
      - 2
      - 0
    .max_flat_workgroup_size: 256
    .name:           _ZN7rocprim17ROCPRIM_400000_NS6detail17trampoline_kernelINS0_14default_configENS1_27scan_by_key_config_selectorIijEEZZNS1_16scan_by_key_implILNS1_25lookback_scan_determinismE0ELb0ES3_N6thrust23THRUST_200600_302600_NS6detail15normal_iteratorINS9_10device_ptrIiEEEENSB_INSC_IjEEEESG_jNS9_4plusIvEENS9_8equal_toIvEEjEE10hipError_tPvRmT2_T3_T4_T5_mT6_T7_P12ihipStream_tbENKUlT_T0_E_clISt17integral_constantIbLb0EES11_EEDaSW_SX_EUlSW_E_NS1_11comp_targetILNS1_3genE10ELNS1_11target_archE1200ELNS1_3gpuE4ELNS1_3repE0EEENS1_30default_config_static_selectorELNS0_4arch9wavefront6targetE1EEEvT1_
    .private_segment_fixed_size: 0
    .sgpr_count:     4
    .sgpr_spill_count: 0
    .symbol:         _ZN7rocprim17ROCPRIM_400000_NS6detail17trampoline_kernelINS0_14default_configENS1_27scan_by_key_config_selectorIijEEZZNS1_16scan_by_key_implILNS1_25lookback_scan_determinismE0ELb0ES3_N6thrust23THRUST_200600_302600_NS6detail15normal_iteratorINS9_10device_ptrIiEEEENSB_INSC_IjEEEESG_jNS9_4plusIvEENS9_8equal_toIvEEjEE10hipError_tPvRmT2_T3_T4_T5_mT6_T7_P12ihipStream_tbENKUlT_T0_E_clISt17integral_constantIbLb0EES11_EEDaSW_SX_EUlSW_E_NS1_11comp_targetILNS1_3genE10ELNS1_11target_archE1200ELNS1_3gpuE4ELNS1_3repE0EEENS1_30default_config_static_selectorELNS0_4arch9wavefront6targetE1EEEvT1_.kd
    .uniform_work_group_size: 1
    .uses_dynamic_stack: false
    .vgpr_count:     0
    .vgpr_spill_count: 0
    .wavefront_size: 64
  - .agpr_count:     0
    .args:
      - .offset:         0
        .size:           112
        .value_kind:     by_value
    .group_segment_fixed_size: 0
    .kernarg_segment_align: 8
    .kernarg_segment_size: 112
    .language:       OpenCL C
    .language_version:
      - 2
      - 0
    .max_flat_workgroup_size: 256
    .name:           _ZN7rocprim17ROCPRIM_400000_NS6detail17trampoline_kernelINS0_14default_configENS1_27scan_by_key_config_selectorIijEEZZNS1_16scan_by_key_implILNS1_25lookback_scan_determinismE0ELb0ES3_N6thrust23THRUST_200600_302600_NS6detail15normal_iteratorINS9_10device_ptrIiEEEENSB_INSC_IjEEEESG_jNS9_4plusIvEENS9_8equal_toIvEEjEE10hipError_tPvRmT2_T3_T4_T5_mT6_T7_P12ihipStream_tbENKUlT_T0_E_clISt17integral_constantIbLb0EES11_EEDaSW_SX_EUlSW_E_NS1_11comp_targetILNS1_3genE9ELNS1_11target_archE1100ELNS1_3gpuE3ELNS1_3repE0EEENS1_30default_config_static_selectorELNS0_4arch9wavefront6targetE1EEEvT1_
    .private_segment_fixed_size: 0
    .sgpr_count:     4
    .sgpr_spill_count: 0
    .symbol:         _ZN7rocprim17ROCPRIM_400000_NS6detail17trampoline_kernelINS0_14default_configENS1_27scan_by_key_config_selectorIijEEZZNS1_16scan_by_key_implILNS1_25lookback_scan_determinismE0ELb0ES3_N6thrust23THRUST_200600_302600_NS6detail15normal_iteratorINS9_10device_ptrIiEEEENSB_INSC_IjEEEESG_jNS9_4plusIvEENS9_8equal_toIvEEjEE10hipError_tPvRmT2_T3_T4_T5_mT6_T7_P12ihipStream_tbENKUlT_T0_E_clISt17integral_constantIbLb0EES11_EEDaSW_SX_EUlSW_E_NS1_11comp_targetILNS1_3genE9ELNS1_11target_archE1100ELNS1_3gpuE3ELNS1_3repE0EEENS1_30default_config_static_selectorELNS0_4arch9wavefront6targetE1EEEvT1_.kd
    .uniform_work_group_size: 1
    .uses_dynamic_stack: false
    .vgpr_count:     0
    .vgpr_spill_count: 0
    .wavefront_size: 64
  - .agpr_count:     0
    .args:
      - .offset:         0
        .size:           112
        .value_kind:     by_value
    .group_segment_fixed_size: 0
    .kernarg_segment_align: 8
    .kernarg_segment_size: 112
    .language:       OpenCL C
    .language_version:
      - 2
      - 0
    .max_flat_workgroup_size: 256
    .name:           _ZN7rocprim17ROCPRIM_400000_NS6detail17trampoline_kernelINS0_14default_configENS1_27scan_by_key_config_selectorIijEEZZNS1_16scan_by_key_implILNS1_25lookback_scan_determinismE0ELb0ES3_N6thrust23THRUST_200600_302600_NS6detail15normal_iteratorINS9_10device_ptrIiEEEENSB_INSC_IjEEEESG_jNS9_4plusIvEENS9_8equal_toIvEEjEE10hipError_tPvRmT2_T3_T4_T5_mT6_T7_P12ihipStream_tbENKUlT_T0_E_clISt17integral_constantIbLb0EES11_EEDaSW_SX_EUlSW_E_NS1_11comp_targetILNS1_3genE8ELNS1_11target_archE1030ELNS1_3gpuE2ELNS1_3repE0EEENS1_30default_config_static_selectorELNS0_4arch9wavefront6targetE1EEEvT1_
    .private_segment_fixed_size: 0
    .sgpr_count:     4
    .sgpr_spill_count: 0
    .symbol:         _ZN7rocprim17ROCPRIM_400000_NS6detail17trampoline_kernelINS0_14default_configENS1_27scan_by_key_config_selectorIijEEZZNS1_16scan_by_key_implILNS1_25lookback_scan_determinismE0ELb0ES3_N6thrust23THRUST_200600_302600_NS6detail15normal_iteratorINS9_10device_ptrIiEEEENSB_INSC_IjEEEESG_jNS9_4plusIvEENS9_8equal_toIvEEjEE10hipError_tPvRmT2_T3_T4_T5_mT6_T7_P12ihipStream_tbENKUlT_T0_E_clISt17integral_constantIbLb0EES11_EEDaSW_SX_EUlSW_E_NS1_11comp_targetILNS1_3genE8ELNS1_11target_archE1030ELNS1_3gpuE2ELNS1_3repE0EEENS1_30default_config_static_selectorELNS0_4arch9wavefront6targetE1EEEvT1_.kd
    .uniform_work_group_size: 1
    .uses_dynamic_stack: false
    .vgpr_count:     0
    .vgpr_spill_count: 0
    .wavefront_size: 64
  - .agpr_count:     0
    .args:
      - .address_space:  global
        .offset:         0
        .size:           8
        .value_kind:     global_buffer
      - .offset:         8
        .size:           4
        .value_kind:     by_value
      - .offset:         12
        .size:           4
        .value_kind:     by_value
      - .address_space:  global
        .offset:         16
        .size:           8
        .value_kind:     global_buffer
      - .address_space:  global
        .offset:         24
        .size:           8
        .value_kind:     global_buffer
      - .actual_access:  write_only
        .address_space:  global
        .offset:         32
        .size:           8
        .value_kind:     global_buffer
      - .offset:         40
        .size:           8
        .value_kind:     by_value
      - .offset:         48
        .size:           4
        .value_kind:     by_value
      - .address_space:  global
        .offset:         56
        .size:           8
        .value_kind:     global_buffer
      - .offset:         64
        .size:           4
        .value_kind:     hidden_block_count_x
      - .offset:         68
        .size:           4
        .value_kind:     hidden_block_count_y
      - .offset:         72
        .size:           4
        .value_kind:     hidden_block_count_z
      - .offset:         76
        .size:           2
        .value_kind:     hidden_group_size_x
      - .offset:         78
        .size:           2
        .value_kind:     hidden_group_size_y
      - .offset:         80
        .size:           2
        .value_kind:     hidden_group_size_z
      - .offset:         82
        .size:           2
        .value_kind:     hidden_remainder_x
      - .offset:         84
        .size:           2
        .value_kind:     hidden_remainder_y
      - .offset:         86
        .size:           2
        .value_kind:     hidden_remainder_z
      - .offset:         104
        .size:           8
        .value_kind:     hidden_global_offset_x
      - .offset:         112
        .size:           8
        .value_kind:     hidden_global_offset_y
      - .offset:         120
        .size:           8
        .value_kind:     hidden_global_offset_z
      - .offset:         128
        .size:           2
        .value_kind:     hidden_grid_dims
    .group_segment_fixed_size: 0
    .kernarg_segment_align: 8
    .kernarg_segment_size: 320
    .language:       OpenCL C
    .language_version:
      - 2
      - 0
    .max_flat_workgroup_size: 256
    .name:           _ZN7rocprim17ROCPRIM_400000_NS6detail30init_device_scan_by_key_kernelINS1_19lookback_scan_stateINS0_5tupleIJjbEEELb1ELb1EEEN6thrust23THRUST_200600_302600_NS6detail15normal_iteratorINS8_10device_ptrIiEEEEjNS1_16block_id_wrapperIjLb1EEEEEvT_jjPNSG_10value_typeET0_PNSt15iterator_traitsISJ_E10value_typeEmT1_T2_
    .private_segment_fixed_size: 0
    .sgpr_count:     24
    .sgpr_spill_count: 0
    .symbol:         _ZN7rocprim17ROCPRIM_400000_NS6detail30init_device_scan_by_key_kernelINS1_19lookback_scan_stateINS0_5tupleIJjbEEELb1ELb1EEEN6thrust23THRUST_200600_302600_NS6detail15normal_iteratorINS8_10device_ptrIiEEEEjNS1_16block_id_wrapperIjLb1EEEEEvT_jjPNSG_10value_typeET0_PNSt15iterator_traitsISJ_E10value_typeEmT1_T2_.kd
    .uniform_work_group_size: 1
    .uses_dynamic_stack: false
    .vgpr_count:     10
    .vgpr_spill_count: 0
    .wavefront_size: 64
  - .agpr_count:     0
    .args:
      - .address_space:  global
        .offset:         0
        .size:           8
        .value_kind:     global_buffer
      - .offset:         8
        .size:           4
        .value_kind:     by_value
      - .offset:         12
        .size:           4
        .value_kind:     by_value
      - .address_space:  global
        .offset:         16
        .size:           8
        .value_kind:     global_buffer
      - .address_space:  global
        .offset:         24
        .size:           8
        .value_kind:     global_buffer
      - .offset:         32
        .size:           4
        .value_kind:     hidden_block_count_x
      - .offset:         36
        .size:           4
        .value_kind:     hidden_block_count_y
      - .offset:         40
        .size:           4
        .value_kind:     hidden_block_count_z
      - .offset:         44
        .size:           2
        .value_kind:     hidden_group_size_x
      - .offset:         46
        .size:           2
        .value_kind:     hidden_group_size_y
      - .offset:         48
        .size:           2
        .value_kind:     hidden_group_size_z
      - .offset:         50
        .size:           2
        .value_kind:     hidden_remainder_x
      - .offset:         52
        .size:           2
        .value_kind:     hidden_remainder_y
      - .offset:         54
        .size:           2
        .value_kind:     hidden_remainder_z
      - .offset:         72
        .size:           8
        .value_kind:     hidden_global_offset_x
      - .offset:         80
        .size:           8
        .value_kind:     hidden_global_offset_y
      - .offset:         88
        .size:           8
        .value_kind:     hidden_global_offset_z
      - .offset:         96
        .size:           2
        .value_kind:     hidden_grid_dims
    .group_segment_fixed_size: 0
    .kernarg_segment_align: 8
    .kernarg_segment_size: 288
    .language:       OpenCL C
    .language_version:
      - 2
      - 0
    .max_flat_workgroup_size: 256
    .name:           _ZN7rocprim17ROCPRIM_400000_NS6detail30init_device_scan_by_key_kernelINS1_19lookback_scan_stateINS0_5tupleIJjbEEELb1ELb1EEENS1_16block_id_wrapperIjLb1EEEEEvT_jjPNS9_10value_typeET0_
    .private_segment_fixed_size: 0
    .sgpr_count:     20
    .sgpr_spill_count: 0
    .symbol:         _ZN7rocprim17ROCPRIM_400000_NS6detail30init_device_scan_by_key_kernelINS1_19lookback_scan_stateINS0_5tupleIJjbEEELb1ELb1EEENS1_16block_id_wrapperIjLb1EEEEEvT_jjPNS9_10value_typeET0_.kd
    .uniform_work_group_size: 1
    .uses_dynamic_stack: false
    .vgpr_count:     10
    .vgpr_spill_count: 0
    .wavefront_size: 64
  - .agpr_count:     0
    .args:
      - .offset:         0
        .size:           112
        .value_kind:     by_value
    .group_segment_fixed_size: 0
    .kernarg_segment_align: 8
    .kernarg_segment_size: 112
    .language:       OpenCL C
    .language_version:
      - 2
      - 0
    .max_flat_workgroup_size: 256
    .name:           _ZN7rocprim17ROCPRIM_400000_NS6detail17trampoline_kernelINS0_14default_configENS1_27scan_by_key_config_selectorIijEEZZNS1_16scan_by_key_implILNS1_25lookback_scan_determinismE0ELb0ES3_N6thrust23THRUST_200600_302600_NS6detail15normal_iteratorINS9_10device_ptrIiEEEENSB_INSC_IjEEEESG_jNS9_4plusIvEENS9_8equal_toIvEEjEE10hipError_tPvRmT2_T3_T4_T5_mT6_T7_P12ihipStream_tbENKUlT_T0_E_clISt17integral_constantIbLb1EES11_EEDaSW_SX_EUlSW_E_NS1_11comp_targetILNS1_3genE0ELNS1_11target_archE4294967295ELNS1_3gpuE0ELNS1_3repE0EEENS1_30default_config_static_selectorELNS0_4arch9wavefront6targetE1EEEvT1_
    .private_segment_fixed_size: 0
    .sgpr_count:     4
    .sgpr_spill_count: 0
    .symbol:         _ZN7rocprim17ROCPRIM_400000_NS6detail17trampoline_kernelINS0_14default_configENS1_27scan_by_key_config_selectorIijEEZZNS1_16scan_by_key_implILNS1_25lookback_scan_determinismE0ELb0ES3_N6thrust23THRUST_200600_302600_NS6detail15normal_iteratorINS9_10device_ptrIiEEEENSB_INSC_IjEEEESG_jNS9_4plusIvEENS9_8equal_toIvEEjEE10hipError_tPvRmT2_T3_T4_T5_mT6_T7_P12ihipStream_tbENKUlT_T0_E_clISt17integral_constantIbLb1EES11_EEDaSW_SX_EUlSW_E_NS1_11comp_targetILNS1_3genE0ELNS1_11target_archE4294967295ELNS1_3gpuE0ELNS1_3repE0EEENS1_30default_config_static_selectorELNS0_4arch9wavefront6targetE1EEEvT1_.kd
    .uniform_work_group_size: 1
    .uses_dynamic_stack: false
    .vgpr_count:     0
    .vgpr_spill_count: 0
    .wavefront_size: 64
  - .agpr_count:     0
    .args:
      - .offset:         0
        .size:           112
        .value_kind:     by_value
    .group_segment_fixed_size: 0
    .kernarg_segment_align: 8
    .kernarg_segment_size: 112
    .language:       OpenCL C
    .language_version:
      - 2
      - 0
    .max_flat_workgroup_size: 256
    .name:           _ZN7rocprim17ROCPRIM_400000_NS6detail17trampoline_kernelINS0_14default_configENS1_27scan_by_key_config_selectorIijEEZZNS1_16scan_by_key_implILNS1_25lookback_scan_determinismE0ELb0ES3_N6thrust23THRUST_200600_302600_NS6detail15normal_iteratorINS9_10device_ptrIiEEEENSB_INSC_IjEEEESG_jNS9_4plusIvEENS9_8equal_toIvEEjEE10hipError_tPvRmT2_T3_T4_T5_mT6_T7_P12ihipStream_tbENKUlT_T0_E_clISt17integral_constantIbLb1EES11_EEDaSW_SX_EUlSW_E_NS1_11comp_targetILNS1_3genE10ELNS1_11target_archE1201ELNS1_3gpuE5ELNS1_3repE0EEENS1_30default_config_static_selectorELNS0_4arch9wavefront6targetE1EEEvT1_
    .private_segment_fixed_size: 0
    .sgpr_count:     4
    .sgpr_spill_count: 0
    .symbol:         _ZN7rocprim17ROCPRIM_400000_NS6detail17trampoline_kernelINS0_14default_configENS1_27scan_by_key_config_selectorIijEEZZNS1_16scan_by_key_implILNS1_25lookback_scan_determinismE0ELb0ES3_N6thrust23THRUST_200600_302600_NS6detail15normal_iteratorINS9_10device_ptrIiEEEENSB_INSC_IjEEEESG_jNS9_4plusIvEENS9_8equal_toIvEEjEE10hipError_tPvRmT2_T3_T4_T5_mT6_T7_P12ihipStream_tbENKUlT_T0_E_clISt17integral_constantIbLb1EES11_EEDaSW_SX_EUlSW_E_NS1_11comp_targetILNS1_3genE10ELNS1_11target_archE1201ELNS1_3gpuE5ELNS1_3repE0EEENS1_30default_config_static_selectorELNS0_4arch9wavefront6targetE1EEEvT1_.kd
    .uniform_work_group_size: 1
    .uses_dynamic_stack: false
    .vgpr_count:     0
    .vgpr_spill_count: 0
    .wavefront_size: 64
  - .agpr_count:     0
    .args:
      - .offset:         0
        .size:           112
        .value_kind:     by_value
    .group_segment_fixed_size: 0
    .kernarg_segment_align: 8
    .kernarg_segment_size: 112
    .language:       OpenCL C
    .language_version:
      - 2
      - 0
    .max_flat_workgroup_size: 256
    .name:           _ZN7rocprim17ROCPRIM_400000_NS6detail17trampoline_kernelINS0_14default_configENS1_27scan_by_key_config_selectorIijEEZZNS1_16scan_by_key_implILNS1_25lookback_scan_determinismE0ELb0ES3_N6thrust23THRUST_200600_302600_NS6detail15normal_iteratorINS9_10device_ptrIiEEEENSB_INSC_IjEEEESG_jNS9_4plusIvEENS9_8equal_toIvEEjEE10hipError_tPvRmT2_T3_T4_T5_mT6_T7_P12ihipStream_tbENKUlT_T0_E_clISt17integral_constantIbLb1EES11_EEDaSW_SX_EUlSW_E_NS1_11comp_targetILNS1_3genE5ELNS1_11target_archE942ELNS1_3gpuE9ELNS1_3repE0EEENS1_30default_config_static_selectorELNS0_4arch9wavefront6targetE1EEEvT1_
    .private_segment_fixed_size: 0
    .sgpr_count:     4
    .sgpr_spill_count: 0
    .symbol:         _ZN7rocprim17ROCPRIM_400000_NS6detail17trampoline_kernelINS0_14default_configENS1_27scan_by_key_config_selectorIijEEZZNS1_16scan_by_key_implILNS1_25lookback_scan_determinismE0ELb0ES3_N6thrust23THRUST_200600_302600_NS6detail15normal_iteratorINS9_10device_ptrIiEEEENSB_INSC_IjEEEESG_jNS9_4plusIvEENS9_8equal_toIvEEjEE10hipError_tPvRmT2_T3_T4_T5_mT6_T7_P12ihipStream_tbENKUlT_T0_E_clISt17integral_constantIbLb1EES11_EEDaSW_SX_EUlSW_E_NS1_11comp_targetILNS1_3genE5ELNS1_11target_archE942ELNS1_3gpuE9ELNS1_3repE0EEENS1_30default_config_static_selectorELNS0_4arch9wavefront6targetE1EEEvT1_.kd
    .uniform_work_group_size: 1
    .uses_dynamic_stack: false
    .vgpr_count:     0
    .vgpr_spill_count: 0
    .wavefront_size: 64
  - .agpr_count:     0
    .args:
      - .offset:         0
        .size:           112
        .value_kind:     by_value
    .group_segment_fixed_size: 16384
    .kernarg_segment_align: 8
    .kernarg_segment_size: 112
    .language:       OpenCL C
    .language_version:
      - 2
      - 0
    .max_flat_workgroup_size: 256
    .name:           _ZN7rocprim17ROCPRIM_400000_NS6detail17trampoline_kernelINS0_14default_configENS1_27scan_by_key_config_selectorIijEEZZNS1_16scan_by_key_implILNS1_25lookback_scan_determinismE0ELb0ES3_N6thrust23THRUST_200600_302600_NS6detail15normal_iteratorINS9_10device_ptrIiEEEENSB_INSC_IjEEEESG_jNS9_4plusIvEENS9_8equal_toIvEEjEE10hipError_tPvRmT2_T3_T4_T5_mT6_T7_P12ihipStream_tbENKUlT_T0_E_clISt17integral_constantIbLb1EES11_EEDaSW_SX_EUlSW_E_NS1_11comp_targetILNS1_3genE4ELNS1_11target_archE910ELNS1_3gpuE8ELNS1_3repE0EEENS1_30default_config_static_selectorELNS0_4arch9wavefront6targetE1EEEvT1_
    .private_segment_fixed_size: 0
    .sgpr_count:     69
    .sgpr_spill_count: 0
    .symbol:         _ZN7rocprim17ROCPRIM_400000_NS6detail17trampoline_kernelINS0_14default_configENS1_27scan_by_key_config_selectorIijEEZZNS1_16scan_by_key_implILNS1_25lookback_scan_determinismE0ELb0ES3_N6thrust23THRUST_200600_302600_NS6detail15normal_iteratorINS9_10device_ptrIiEEEENSB_INSC_IjEEEESG_jNS9_4plusIvEENS9_8equal_toIvEEjEE10hipError_tPvRmT2_T3_T4_T5_mT6_T7_P12ihipStream_tbENKUlT_T0_E_clISt17integral_constantIbLb1EES11_EEDaSW_SX_EUlSW_E_NS1_11comp_targetILNS1_3genE4ELNS1_11target_archE910ELNS1_3gpuE8ELNS1_3repE0EEENS1_30default_config_static_selectorELNS0_4arch9wavefront6targetE1EEEvT1_.kd
    .uniform_work_group_size: 1
    .uses_dynamic_stack: false
    .vgpr_count:     65
    .vgpr_spill_count: 0
    .wavefront_size: 64
  - .agpr_count:     0
    .args:
      - .offset:         0
        .size:           112
        .value_kind:     by_value
    .group_segment_fixed_size: 0
    .kernarg_segment_align: 8
    .kernarg_segment_size: 112
    .language:       OpenCL C
    .language_version:
      - 2
      - 0
    .max_flat_workgroup_size: 256
    .name:           _ZN7rocprim17ROCPRIM_400000_NS6detail17trampoline_kernelINS0_14default_configENS1_27scan_by_key_config_selectorIijEEZZNS1_16scan_by_key_implILNS1_25lookback_scan_determinismE0ELb0ES3_N6thrust23THRUST_200600_302600_NS6detail15normal_iteratorINS9_10device_ptrIiEEEENSB_INSC_IjEEEESG_jNS9_4plusIvEENS9_8equal_toIvEEjEE10hipError_tPvRmT2_T3_T4_T5_mT6_T7_P12ihipStream_tbENKUlT_T0_E_clISt17integral_constantIbLb1EES11_EEDaSW_SX_EUlSW_E_NS1_11comp_targetILNS1_3genE3ELNS1_11target_archE908ELNS1_3gpuE7ELNS1_3repE0EEENS1_30default_config_static_selectorELNS0_4arch9wavefront6targetE1EEEvT1_
    .private_segment_fixed_size: 0
    .sgpr_count:     4
    .sgpr_spill_count: 0
    .symbol:         _ZN7rocprim17ROCPRIM_400000_NS6detail17trampoline_kernelINS0_14default_configENS1_27scan_by_key_config_selectorIijEEZZNS1_16scan_by_key_implILNS1_25lookback_scan_determinismE0ELb0ES3_N6thrust23THRUST_200600_302600_NS6detail15normal_iteratorINS9_10device_ptrIiEEEENSB_INSC_IjEEEESG_jNS9_4plusIvEENS9_8equal_toIvEEjEE10hipError_tPvRmT2_T3_T4_T5_mT6_T7_P12ihipStream_tbENKUlT_T0_E_clISt17integral_constantIbLb1EES11_EEDaSW_SX_EUlSW_E_NS1_11comp_targetILNS1_3genE3ELNS1_11target_archE908ELNS1_3gpuE7ELNS1_3repE0EEENS1_30default_config_static_selectorELNS0_4arch9wavefront6targetE1EEEvT1_.kd
    .uniform_work_group_size: 1
    .uses_dynamic_stack: false
    .vgpr_count:     0
    .vgpr_spill_count: 0
    .wavefront_size: 64
  - .agpr_count:     0
    .args:
      - .offset:         0
        .size:           112
        .value_kind:     by_value
    .group_segment_fixed_size: 0
    .kernarg_segment_align: 8
    .kernarg_segment_size: 112
    .language:       OpenCL C
    .language_version:
      - 2
      - 0
    .max_flat_workgroup_size: 256
    .name:           _ZN7rocprim17ROCPRIM_400000_NS6detail17trampoline_kernelINS0_14default_configENS1_27scan_by_key_config_selectorIijEEZZNS1_16scan_by_key_implILNS1_25lookback_scan_determinismE0ELb0ES3_N6thrust23THRUST_200600_302600_NS6detail15normal_iteratorINS9_10device_ptrIiEEEENSB_INSC_IjEEEESG_jNS9_4plusIvEENS9_8equal_toIvEEjEE10hipError_tPvRmT2_T3_T4_T5_mT6_T7_P12ihipStream_tbENKUlT_T0_E_clISt17integral_constantIbLb1EES11_EEDaSW_SX_EUlSW_E_NS1_11comp_targetILNS1_3genE2ELNS1_11target_archE906ELNS1_3gpuE6ELNS1_3repE0EEENS1_30default_config_static_selectorELNS0_4arch9wavefront6targetE1EEEvT1_
    .private_segment_fixed_size: 0
    .sgpr_count:     4
    .sgpr_spill_count: 0
    .symbol:         _ZN7rocprim17ROCPRIM_400000_NS6detail17trampoline_kernelINS0_14default_configENS1_27scan_by_key_config_selectorIijEEZZNS1_16scan_by_key_implILNS1_25lookback_scan_determinismE0ELb0ES3_N6thrust23THRUST_200600_302600_NS6detail15normal_iteratorINS9_10device_ptrIiEEEENSB_INSC_IjEEEESG_jNS9_4plusIvEENS9_8equal_toIvEEjEE10hipError_tPvRmT2_T3_T4_T5_mT6_T7_P12ihipStream_tbENKUlT_T0_E_clISt17integral_constantIbLb1EES11_EEDaSW_SX_EUlSW_E_NS1_11comp_targetILNS1_3genE2ELNS1_11target_archE906ELNS1_3gpuE6ELNS1_3repE0EEENS1_30default_config_static_selectorELNS0_4arch9wavefront6targetE1EEEvT1_.kd
    .uniform_work_group_size: 1
    .uses_dynamic_stack: false
    .vgpr_count:     0
    .vgpr_spill_count: 0
    .wavefront_size: 64
  - .agpr_count:     0
    .args:
      - .offset:         0
        .size:           112
        .value_kind:     by_value
    .group_segment_fixed_size: 0
    .kernarg_segment_align: 8
    .kernarg_segment_size: 112
    .language:       OpenCL C
    .language_version:
      - 2
      - 0
    .max_flat_workgroup_size: 256
    .name:           _ZN7rocprim17ROCPRIM_400000_NS6detail17trampoline_kernelINS0_14default_configENS1_27scan_by_key_config_selectorIijEEZZNS1_16scan_by_key_implILNS1_25lookback_scan_determinismE0ELb0ES3_N6thrust23THRUST_200600_302600_NS6detail15normal_iteratorINS9_10device_ptrIiEEEENSB_INSC_IjEEEESG_jNS9_4plusIvEENS9_8equal_toIvEEjEE10hipError_tPvRmT2_T3_T4_T5_mT6_T7_P12ihipStream_tbENKUlT_T0_E_clISt17integral_constantIbLb1EES11_EEDaSW_SX_EUlSW_E_NS1_11comp_targetILNS1_3genE10ELNS1_11target_archE1200ELNS1_3gpuE4ELNS1_3repE0EEENS1_30default_config_static_selectorELNS0_4arch9wavefront6targetE1EEEvT1_
    .private_segment_fixed_size: 0
    .sgpr_count:     4
    .sgpr_spill_count: 0
    .symbol:         _ZN7rocprim17ROCPRIM_400000_NS6detail17trampoline_kernelINS0_14default_configENS1_27scan_by_key_config_selectorIijEEZZNS1_16scan_by_key_implILNS1_25lookback_scan_determinismE0ELb0ES3_N6thrust23THRUST_200600_302600_NS6detail15normal_iteratorINS9_10device_ptrIiEEEENSB_INSC_IjEEEESG_jNS9_4plusIvEENS9_8equal_toIvEEjEE10hipError_tPvRmT2_T3_T4_T5_mT6_T7_P12ihipStream_tbENKUlT_T0_E_clISt17integral_constantIbLb1EES11_EEDaSW_SX_EUlSW_E_NS1_11comp_targetILNS1_3genE10ELNS1_11target_archE1200ELNS1_3gpuE4ELNS1_3repE0EEENS1_30default_config_static_selectorELNS0_4arch9wavefront6targetE1EEEvT1_.kd
    .uniform_work_group_size: 1
    .uses_dynamic_stack: false
    .vgpr_count:     0
    .vgpr_spill_count: 0
    .wavefront_size: 64
  - .agpr_count:     0
    .args:
      - .offset:         0
        .size:           112
        .value_kind:     by_value
    .group_segment_fixed_size: 0
    .kernarg_segment_align: 8
    .kernarg_segment_size: 112
    .language:       OpenCL C
    .language_version:
      - 2
      - 0
    .max_flat_workgroup_size: 256
    .name:           _ZN7rocprim17ROCPRIM_400000_NS6detail17trampoline_kernelINS0_14default_configENS1_27scan_by_key_config_selectorIijEEZZNS1_16scan_by_key_implILNS1_25lookback_scan_determinismE0ELb0ES3_N6thrust23THRUST_200600_302600_NS6detail15normal_iteratorINS9_10device_ptrIiEEEENSB_INSC_IjEEEESG_jNS9_4plusIvEENS9_8equal_toIvEEjEE10hipError_tPvRmT2_T3_T4_T5_mT6_T7_P12ihipStream_tbENKUlT_T0_E_clISt17integral_constantIbLb1EES11_EEDaSW_SX_EUlSW_E_NS1_11comp_targetILNS1_3genE9ELNS1_11target_archE1100ELNS1_3gpuE3ELNS1_3repE0EEENS1_30default_config_static_selectorELNS0_4arch9wavefront6targetE1EEEvT1_
    .private_segment_fixed_size: 0
    .sgpr_count:     4
    .sgpr_spill_count: 0
    .symbol:         _ZN7rocprim17ROCPRIM_400000_NS6detail17trampoline_kernelINS0_14default_configENS1_27scan_by_key_config_selectorIijEEZZNS1_16scan_by_key_implILNS1_25lookback_scan_determinismE0ELb0ES3_N6thrust23THRUST_200600_302600_NS6detail15normal_iteratorINS9_10device_ptrIiEEEENSB_INSC_IjEEEESG_jNS9_4plusIvEENS9_8equal_toIvEEjEE10hipError_tPvRmT2_T3_T4_T5_mT6_T7_P12ihipStream_tbENKUlT_T0_E_clISt17integral_constantIbLb1EES11_EEDaSW_SX_EUlSW_E_NS1_11comp_targetILNS1_3genE9ELNS1_11target_archE1100ELNS1_3gpuE3ELNS1_3repE0EEENS1_30default_config_static_selectorELNS0_4arch9wavefront6targetE1EEEvT1_.kd
    .uniform_work_group_size: 1
    .uses_dynamic_stack: false
    .vgpr_count:     0
    .vgpr_spill_count: 0
    .wavefront_size: 64
  - .agpr_count:     0
    .args:
      - .offset:         0
        .size:           112
        .value_kind:     by_value
    .group_segment_fixed_size: 0
    .kernarg_segment_align: 8
    .kernarg_segment_size: 112
    .language:       OpenCL C
    .language_version:
      - 2
      - 0
    .max_flat_workgroup_size: 256
    .name:           _ZN7rocprim17ROCPRIM_400000_NS6detail17trampoline_kernelINS0_14default_configENS1_27scan_by_key_config_selectorIijEEZZNS1_16scan_by_key_implILNS1_25lookback_scan_determinismE0ELb0ES3_N6thrust23THRUST_200600_302600_NS6detail15normal_iteratorINS9_10device_ptrIiEEEENSB_INSC_IjEEEESG_jNS9_4plusIvEENS9_8equal_toIvEEjEE10hipError_tPvRmT2_T3_T4_T5_mT6_T7_P12ihipStream_tbENKUlT_T0_E_clISt17integral_constantIbLb1EES11_EEDaSW_SX_EUlSW_E_NS1_11comp_targetILNS1_3genE8ELNS1_11target_archE1030ELNS1_3gpuE2ELNS1_3repE0EEENS1_30default_config_static_selectorELNS0_4arch9wavefront6targetE1EEEvT1_
    .private_segment_fixed_size: 0
    .sgpr_count:     4
    .sgpr_spill_count: 0
    .symbol:         _ZN7rocprim17ROCPRIM_400000_NS6detail17trampoline_kernelINS0_14default_configENS1_27scan_by_key_config_selectorIijEEZZNS1_16scan_by_key_implILNS1_25lookback_scan_determinismE0ELb0ES3_N6thrust23THRUST_200600_302600_NS6detail15normal_iteratorINS9_10device_ptrIiEEEENSB_INSC_IjEEEESG_jNS9_4plusIvEENS9_8equal_toIvEEjEE10hipError_tPvRmT2_T3_T4_T5_mT6_T7_P12ihipStream_tbENKUlT_T0_E_clISt17integral_constantIbLb1EES11_EEDaSW_SX_EUlSW_E_NS1_11comp_targetILNS1_3genE8ELNS1_11target_archE1030ELNS1_3gpuE2ELNS1_3repE0EEENS1_30default_config_static_selectorELNS0_4arch9wavefront6targetE1EEEvT1_.kd
    .uniform_work_group_size: 1
    .uses_dynamic_stack: false
    .vgpr_count:     0
    .vgpr_spill_count: 0
    .wavefront_size: 64
  - .agpr_count:     0
    .args:
      - .address_space:  global
        .offset:         0
        .size:           8
        .value_kind:     global_buffer
      - .offset:         8
        .size:           4
        .value_kind:     by_value
      - .offset:         12
        .size:           4
        .value_kind:     by_value
      - .address_space:  global
        .offset:         16
        .size:           8
        .value_kind:     global_buffer
      - .address_space:  global
        .offset:         24
        .size:           8
        .value_kind:     global_buffer
      - .actual_access:  write_only
        .address_space:  global
        .offset:         32
        .size:           8
        .value_kind:     global_buffer
      - .offset:         40
        .size:           8
        .value_kind:     by_value
      - .offset:         48
        .size:           4
        .value_kind:     by_value
      - .offset:         52
        .size:           1
        .value_kind:     by_value
      - .offset:         56
        .size:           4
        .value_kind:     hidden_block_count_x
      - .offset:         60
        .size:           4
        .value_kind:     hidden_block_count_y
      - .offset:         64
        .size:           4
        .value_kind:     hidden_block_count_z
      - .offset:         68
        .size:           2
        .value_kind:     hidden_group_size_x
      - .offset:         70
        .size:           2
        .value_kind:     hidden_group_size_y
      - .offset:         72
        .size:           2
        .value_kind:     hidden_group_size_z
      - .offset:         74
        .size:           2
        .value_kind:     hidden_remainder_x
      - .offset:         76
        .size:           2
        .value_kind:     hidden_remainder_y
      - .offset:         78
        .size:           2
        .value_kind:     hidden_remainder_z
      - .offset:         96
        .size:           8
        .value_kind:     hidden_global_offset_x
      - .offset:         104
        .size:           8
        .value_kind:     hidden_global_offset_y
      - .offset:         112
        .size:           8
        .value_kind:     hidden_global_offset_z
      - .offset:         120
        .size:           2
        .value_kind:     hidden_grid_dims
    .group_segment_fixed_size: 0
    .kernarg_segment_align: 8
    .kernarg_segment_size: 312
    .language:       OpenCL C
    .language_version:
      - 2
      - 0
    .max_flat_workgroup_size: 256
    .name:           _ZN7rocprim17ROCPRIM_400000_NS6detail30init_device_scan_by_key_kernelINS1_19lookback_scan_stateINS0_5tupleIJjbEEELb1ELb1EEEN6thrust23THRUST_200600_302600_NS6detail15normal_iteratorINS8_10device_ptrIiEEEEjNS1_16block_id_wrapperIjLb0EEEEEvT_jjPNSG_10value_typeET0_PNSt15iterator_traitsISJ_E10value_typeEmT1_T2_
    .private_segment_fixed_size: 0
    .sgpr_count:     24
    .sgpr_spill_count: 0
    .symbol:         _ZN7rocprim17ROCPRIM_400000_NS6detail30init_device_scan_by_key_kernelINS1_19lookback_scan_stateINS0_5tupleIJjbEEELb1ELb1EEEN6thrust23THRUST_200600_302600_NS6detail15normal_iteratorINS8_10device_ptrIiEEEEjNS1_16block_id_wrapperIjLb0EEEEEvT_jjPNSG_10value_typeET0_PNSt15iterator_traitsISJ_E10value_typeEmT1_T2_.kd
    .uniform_work_group_size: 1
    .uses_dynamic_stack: false
    .vgpr_count:     10
    .vgpr_spill_count: 0
    .wavefront_size: 64
  - .agpr_count:     0
    .args:
      - .address_space:  global
        .offset:         0
        .size:           8
        .value_kind:     global_buffer
      - .offset:         8
        .size:           4
        .value_kind:     by_value
      - .offset:         12
        .size:           4
        .value_kind:     by_value
      - .address_space:  global
        .offset:         16
        .size:           8
        .value_kind:     global_buffer
      - .offset:         24
        .size:           1
        .value_kind:     by_value
      - .offset:         32
        .size:           4
        .value_kind:     hidden_block_count_x
      - .offset:         36
        .size:           4
        .value_kind:     hidden_block_count_y
      - .offset:         40
        .size:           4
        .value_kind:     hidden_block_count_z
      - .offset:         44
        .size:           2
        .value_kind:     hidden_group_size_x
      - .offset:         46
        .size:           2
        .value_kind:     hidden_group_size_y
      - .offset:         48
        .size:           2
        .value_kind:     hidden_group_size_z
      - .offset:         50
        .size:           2
        .value_kind:     hidden_remainder_x
      - .offset:         52
        .size:           2
        .value_kind:     hidden_remainder_y
      - .offset:         54
        .size:           2
        .value_kind:     hidden_remainder_z
      - .offset:         72
        .size:           8
        .value_kind:     hidden_global_offset_x
      - .offset:         80
        .size:           8
        .value_kind:     hidden_global_offset_y
      - .offset:         88
        .size:           8
        .value_kind:     hidden_global_offset_z
      - .offset:         96
        .size:           2
        .value_kind:     hidden_grid_dims
    .group_segment_fixed_size: 0
    .kernarg_segment_align: 8
    .kernarg_segment_size: 288
    .language:       OpenCL C
    .language_version:
      - 2
      - 0
    .max_flat_workgroup_size: 256
    .name:           _ZN7rocprim17ROCPRIM_400000_NS6detail30init_device_scan_by_key_kernelINS1_19lookback_scan_stateINS0_5tupleIJjbEEELb1ELb1EEENS1_16block_id_wrapperIjLb0EEEEEvT_jjPNS9_10value_typeET0_
    .private_segment_fixed_size: 0
    .sgpr_count:     18
    .sgpr_spill_count: 0
    .symbol:         _ZN7rocprim17ROCPRIM_400000_NS6detail30init_device_scan_by_key_kernelINS1_19lookback_scan_stateINS0_5tupleIJjbEEELb1ELb1EEENS1_16block_id_wrapperIjLb0EEEEEvT_jjPNS9_10value_typeET0_.kd
    .uniform_work_group_size: 1
    .uses_dynamic_stack: false
    .vgpr_count:     10
    .vgpr_spill_count: 0
    .wavefront_size: 64
  - .agpr_count:     0
    .args:
      - .offset:         0
        .size:           112
        .value_kind:     by_value
    .group_segment_fixed_size: 0
    .kernarg_segment_align: 8
    .kernarg_segment_size: 112
    .language:       OpenCL C
    .language_version:
      - 2
      - 0
    .max_flat_workgroup_size: 256
    .name:           _ZN7rocprim17ROCPRIM_400000_NS6detail17trampoline_kernelINS0_14default_configENS1_27scan_by_key_config_selectorIijEEZZNS1_16scan_by_key_implILNS1_25lookback_scan_determinismE0ELb0ES3_N6thrust23THRUST_200600_302600_NS6detail15normal_iteratorINS9_10device_ptrIiEEEENSB_INSC_IjEEEESG_jNS9_4plusIvEENS9_8equal_toIvEEjEE10hipError_tPvRmT2_T3_T4_T5_mT6_T7_P12ihipStream_tbENKUlT_T0_E_clISt17integral_constantIbLb1EES10_IbLb0EEEEDaSW_SX_EUlSW_E_NS1_11comp_targetILNS1_3genE0ELNS1_11target_archE4294967295ELNS1_3gpuE0ELNS1_3repE0EEENS1_30default_config_static_selectorELNS0_4arch9wavefront6targetE1EEEvT1_
    .private_segment_fixed_size: 0
    .sgpr_count:     4
    .sgpr_spill_count: 0
    .symbol:         _ZN7rocprim17ROCPRIM_400000_NS6detail17trampoline_kernelINS0_14default_configENS1_27scan_by_key_config_selectorIijEEZZNS1_16scan_by_key_implILNS1_25lookback_scan_determinismE0ELb0ES3_N6thrust23THRUST_200600_302600_NS6detail15normal_iteratorINS9_10device_ptrIiEEEENSB_INSC_IjEEEESG_jNS9_4plusIvEENS9_8equal_toIvEEjEE10hipError_tPvRmT2_T3_T4_T5_mT6_T7_P12ihipStream_tbENKUlT_T0_E_clISt17integral_constantIbLb1EES10_IbLb0EEEEDaSW_SX_EUlSW_E_NS1_11comp_targetILNS1_3genE0ELNS1_11target_archE4294967295ELNS1_3gpuE0ELNS1_3repE0EEENS1_30default_config_static_selectorELNS0_4arch9wavefront6targetE1EEEvT1_.kd
    .uniform_work_group_size: 1
    .uses_dynamic_stack: false
    .vgpr_count:     0
    .vgpr_spill_count: 0
    .wavefront_size: 64
  - .agpr_count:     0
    .args:
      - .offset:         0
        .size:           112
        .value_kind:     by_value
    .group_segment_fixed_size: 0
    .kernarg_segment_align: 8
    .kernarg_segment_size: 112
    .language:       OpenCL C
    .language_version:
      - 2
      - 0
    .max_flat_workgroup_size: 256
    .name:           _ZN7rocprim17ROCPRIM_400000_NS6detail17trampoline_kernelINS0_14default_configENS1_27scan_by_key_config_selectorIijEEZZNS1_16scan_by_key_implILNS1_25lookback_scan_determinismE0ELb0ES3_N6thrust23THRUST_200600_302600_NS6detail15normal_iteratorINS9_10device_ptrIiEEEENSB_INSC_IjEEEESG_jNS9_4plusIvEENS9_8equal_toIvEEjEE10hipError_tPvRmT2_T3_T4_T5_mT6_T7_P12ihipStream_tbENKUlT_T0_E_clISt17integral_constantIbLb1EES10_IbLb0EEEEDaSW_SX_EUlSW_E_NS1_11comp_targetILNS1_3genE10ELNS1_11target_archE1201ELNS1_3gpuE5ELNS1_3repE0EEENS1_30default_config_static_selectorELNS0_4arch9wavefront6targetE1EEEvT1_
    .private_segment_fixed_size: 0
    .sgpr_count:     4
    .sgpr_spill_count: 0
    .symbol:         _ZN7rocprim17ROCPRIM_400000_NS6detail17trampoline_kernelINS0_14default_configENS1_27scan_by_key_config_selectorIijEEZZNS1_16scan_by_key_implILNS1_25lookback_scan_determinismE0ELb0ES3_N6thrust23THRUST_200600_302600_NS6detail15normal_iteratorINS9_10device_ptrIiEEEENSB_INSC_IjEEEESG_jNS9_4plusIvEENS9_8equal_toIvEEjEE10hipError_tPvRmT2_T3_T4_T5_mT6_T7_P12ihipStream_tbENKUlT_T0_E_clISt17integral_constantIbLb1EES10_IbLb0EEEEDaSW_SX_EUlSW_E_NS1_11comp_targetILNS1_3genE10ELNS1_11target_archE1201ELNS1_3gpuE5ELNS1_3repE0EEENS1_30default_config_static_selectorELNS0_4arch9wavefront6targetE1EEEvT1_.kd
    .uniform_work_group_size: 1
    .uses_dynamic_stack: false
    .vgpr_count:     0
    .vgpr_spill_count: 0
    .wavefront_size: 64
  - .agpr_count:     0
    .args:
      - .offset:         0
        .size:           112
        .value_kind:     by_value
    .group_segment_fixed_size: 0
    .kernarg_segment_align: 8
    .kernarg_segment_size: 112
    .language:       OpenCL C
    .language_version:
      - 2
      - 0
    .max_flat_workgroup_size: 256
    .name:           _ZN7rocprim17ROCPRIM_400000_NS6detail17trampoline_kernelINS0_14default_configENS1_27scan_by_key_config_selectorIijEEZZNS1_16scan_by_key_implILNS1_25lookback_scan_determinismE0ELb0ES3_N6thrust23THRUST_200600_302600_NS6detail15normal_iteratorINS9_10device_ptrIiEEEENSB_INSC_IjEEEESG_jNS9_4plusIvEENS9_8equal_toIvEEjEE10hipError_tPvRmT2_T3_T4_T5_mT6_T7_P12ihipStream_tbENKUlT_T0_E_clISt17integral_constantIbLb1EES10_IbLb0EEEEDaSW_SX_EUlSW_E_NS1_11comp_targetILNS1_3genE5ELNS1_11target_archE942ELNS1_3gpuE9ELNS1_3repE0EEENS1_30default_config_static_selectorELNS0_4arch9wavefront6targetE1EEEvT1_
    .private_segment_fixed_size: 0
    .sgpr_count:     4
    .sgpr_spill_count: 0
    .symbol:         _ZN7rocprim17ROCPRIM_400000_NS6detail17trampoline_kernelINS0_14default_configENS1_27scan_by_key_config_selectorIijEEZZNS1_16scan_by_key_implILNS1_25lookback_scan_determinismE0ELb0ES3_N6thrust23THRUST_200600_302600_NS6detail15normal_iteratorINS9_10device_ptrIiEEEENSB_INSC_IjEEEESG_jNS9_4plusIvEENS9_8equal_toIvEEjEE10hipError_tPvRmT2_T3_T4_T5_mT6_T7_P12ihipStream_tbENKUlT_T0_E_clISt17integral_constantIbLb1EES10_IbLb0EEEEDaSW_SX_EUlSW_E_NS1_11comp_targetILNS1_3genE5ELNS1_11target_archE942ELNS1_3gpuE9ELNS1_3repE0EEENS1_30default_config_static_selectorELNS0_4arch9wavefront6targetE1EEEvT1_.kd
    .uniform_work_group_size: 1
    .uses_dynamic_stack: false
    .vgpr_count:     0
    .vgpr_spill_count: 0
    .wavefront_size: 64
  - .agpr_count:     0
    .args:
      - .offset:         0
        .size:           112
        .value_kind:     by_value
    .group_segment_fixed_size: 16384
    .kernarg_segment_align: 8
    .kernarg_segment_size: 112
    .language:       OpenCL C
    .language_version:
      - 2
      - 0
    .max_flat_workgroup_size: 256
    .name:           _ZN7rocprim17ROCPRIM_400000_NS6detail17trampoline_kernelINS0_14default_configENS1_27scan_by_key_config_selectorIijEEZZNS1_16scan_by_key_implILNS1_25lookback_scan_determinismE0ELb0ES3_N6thrust23THRUST_200600_302600_NS6detail15normal_iteratorINS9_10device_ptrIiEEEENSB_INSC_IjEEEESG_jNS9_4plusIvEENS9_8equal_toIvEEjEE10hipError_tPvRmT2_T3_T4_T5_mT6_T7_P12ihipStream_tbENKUlT_T0_E_clISt17integral_constantIbLb1EES10_IbLb0EEEEDaSW_SX_EUlSW_E_NS1_11comp_targetILNS1_3genE4ELNS1_11target_archE910ELNS1_3gpuE8ELNS1_3repE0EEENS1_30default_config_static_selectorELNS0_4arch9wavefront6targetE1EEEvT1_
    .private_segment_fixed_size: 0
    .sgpr_count:     65
    .sgpr_spill_count: 0
    .symbol:         _ZN7rocprim17ROCPRIM_400000_NS6detail17trampoline_kernelINS0_14default_configENS1_27scan_by_key_config_selectorIijEEZZNS1_16scan_by_key_implILNS1_25lookback_scan_determinismE0ELb0ES3_N6thrust23THRUST_200600_302600_NS6detail15normal_iteratorINS9_10device_ptrIiEEEENSB_INSC_IjEEEESG_jNS9_4plusIvEENS9_8equal_toIvEEjEE10hipError_tPvRmT2_T3_T4_T5_mT6_T7_P12ihipStream_tbENKUlT_T0_E_clISt17integral_constantIbLb1EES10_IbLb0EEEEDaSW_SX_EUlSW_E_NS1_11comp_targetILNS1_3genE4ELNS1_11target_archE910ELNS1_3gpuE8ELNS1_3repE0EEENS1_30default_config_static_selectorELNS0_4arch9wavefront6targetE1EEEvT1_.kd
    .uniform_work_group_size: 1
    .uses_dynamic_stack: false
    .vgpr_count:     65
    .vgpr_spill_count: 0
    .wavefront_size: 64
  - .agpr_count:     0
    .args:
      - .offset:         0
        .size:           112
        .value_kind:     by_value
    .group_segment_fixed_size: 0
    .kernarg_segment_align: 8
    .kernarg_segment_size: 112
    .language:       OpenCL C
    .language_version:
      - 2
      - 0
    .max_flat_workgroup_size: 256
    .name:           _ZN7rocprim17ROCPRIM_400000_NS6detail17trampoline_kernelINS0_14default_configENS1_27scan_by_key_config_selectorIijEEZZNS1_16scan_by_key_implILNS1_25lookback_scan_determinismE0ELb0ES3_N6thrust23THRUST_200600_302600_NS6detail15normal_iteratorINS9_10device_ptrIiEEEENSB_INSC_IjEEEESG_jNS9_4plusIvEENS9_8equal_toIvEEjEE10hipError_tPvRmT2_T3_T4_T5_mT6_T7_P12ihipStream_tbENKUlT_T0_E_clISt17integral_constantIbLb1EES10_IbLb0EEEEDaSW_SX_EUlSW_E_NS1_11comp_targetILNS1_3genE3ELNS1_11target_archE908ELNS1_3gpuE7ELNS1_3repE0EEENS1_30default_config_static_selectorELNS0_4arch9wavefront6targetE1EEEvT1_
    .private_segment_fixed_size: 0
    .sgpr_count:     4
    .sgpr_spill_count: 0
    .symbol:         _ZN7rocprim17ROCPRIM_400000_NS6detail17trampoline_kernelINS0_14default_configENS1_27scan_by_key_config_selectorIijEEZZNS1_16scan_by_key_implILNS1_25lookback_scan_determinismE0ELb0ES3_N6thrust23THRUST_200600_302600_NS6detail15normal_iteratorINS9_10device_ptrIiEEEENSB_INSC_IjEEEESG_jNS9_4plusIvEENS9_8equal_toIvEEjEE10hipError_tPvRmT2_T3_T4_T5_mT6_T7_P12ihipStream_tbENKUlT_T0_E_clISt17integral_constantIbLb1EES10_IbLb0EEEEDaSW_SX_EUlSW_E_NS1_11comp_targetILNS1_3genE3ELNS1_11target_archE908ELNS1_3gpuE7ELNS1_3repE0EEENS1_30default_config_static_selectorELNS0_4arch9wavefront6targetE1EEEvT1_.kd
    .uniform_work_group_size: 1
    .uses_dynamic_stack: false
    .vgpr_count:     0
    .vgpr_spill_count: 0
    .wavefront_size: 64
  - .agpr_count:     0
    .args:
      - .offset:         0
        .size:           112
        .value_kind:     by_value
    .group_segment_fixed_size: 0
    .kernarg_segment_align: 8
    .kernarg_segment_size: 112
    .language:       OpenCL C
    .language_version:
      - 2
      - 0
    .max_flat_workgroup_size: 256
    .name:           _ZN7rocprim17ROCPRIM_400000_NS6detail17trampoline_kernelINS0_14default_configENS1_27scan_by_key_config_selectorIijEEZZNS1_16scan_by_key_implILNS1_25lookback_scan_determinismE0ELb0ES3_N6thrust23THRUST_200600_302600_NS6detail15normal_iteratorINS9_10device_ptrIiEEEENSB_INSC_IjEEEESG_jNS9_4plusIvEENS9_8equal_toIvEEjEE10hipError_tPvRmT2_T3_T4_T5_mT6_T7_P12ihipStream_tbENKUlT_T0_E_clISt17integral_constantIbLb1EES10_IbLb0EEEEDaSW_SX_EUlSW_E_NS1_11comp_targetILNS1_3genE2ELNS1_11target_archE906ELNS1_3gpuE6ELNS1_3repE0EEENS1_30default_config_static_selectorELNS0_4arch9wavefront6targetE1EEEvT1_
    .private_segment_fixed_size: 0
    .sgpr_count:     4
    .sgpr_spill_count: 0
    .symbol:         _ZN7rocprim17ROCPRIM_400000_NS6detail17trampoline_kernelINS0_14default_configENS1_27scan_by_key_config_selectorIijEEZZNS1_16scan_by_key_implILNS1_25lookback_scan_determinismE0ELb0ES3_N6thrust23THRUST_200600_302600_NS6detail15normal_iteratorINS9_10device_ptrIiEEEENSB_INSC_IjEEEESG_jNS9_4plusIvEENS9_8equal_toIvEEjEE10hipError_tPvRmT2_T3_T4_T5_mT6_T7_P12ihipStream_tbENKUlT_T0_E_clISt17integral_constantIbLb1EES10_IbLb0EEEEDaSW_SX_EUlSW_E_NS1_11comp_targetILNS1_3genE2ELNS1_11target_archE906ELNS1_3gpuE6ELNS1_3repE0EEENS1_30default_config_static_selectorELNS0_4arch9wavefront6targetE1EEEvT1_.kd
    .uniform_work_group_size: 1
    .uses_dynamic_stack: false
    .vgpr_count:     0
    .vgpr_spill_count: 0
    .wavefront_size: 64
  - .agpr_count:     0
    .args:
      - .offset:         0
        .size:           112
        .value_kind:     by_value
    .group_segment_fixed_size: 0
    .kernarg_segment_align: 8
    .kernarg_segment_size: 112
    .language:       OpenCL C
    .language_version:
      - 2
      - 0
    .max_flat_workgroup_size: 256
    .name:           _ZN7rocprim17ROCPRIM_400000_NS6detail17trampoline_kernelINS0_14default_configENS1_27scan_by_key_config_selectorIijEEZZNS1_16scan_by_key_implILNS1_25lookback_scan_determinismE0ELb0ES3_N6thrust23THRUST_200600_302600_NS6detail15normal_iteratorINS9_10device_ptrIiEEEENSB_INSC_IjEEEESG_jNS9_4plusIvEENS9_8equal_toIvEEjEE10hipError_tPvRmT2_T3_T4_T5_mT6_T7_P12ihipStream_tbENKUlT_T0_E_clISt17integral_constantIbLb1EES10_IbLb0EEEEDaSW_SX_EUlSW_E_NS1_11comp_targetILNS1_3genE10ELNS1_11target_archE1200ELNS1_3gpuE4ELNS1_3repE0EEENS1_30default_config_static_selectorELNS0_4arch9wavefront6targetE1EEEvT1_
    .private_segment_fixed_size: 0
    .sgpr_count:     4
    .sgpr_spill_count: 0
    .symbol:         _ZN7rocprim17ROCPRIM_400000_NS6detail17trampoline_kernelINS0_14default_configENS1_27scan_by_key_config_selectorIijEEZZNS1_16scan_by_key_implILNS1_25lookback_scan_determinismE0ELb0ES3_N6thrust23THRUST_200600_302600_NS6detail15normal_iteratorINS9_10device_ptrIiEEEENSB_INSC_IjEEEESG_jNS9_4plusIvEENS9_8equal_toIvEEjEE10hipError_tPvRmT2_T3_T4_T5_mT6_T7_P12ihipStream_tbENKUlT_T0_E_clISt17integral_constantIbLb1EES10_IbLb0EEEEDaSW_SX_EUlSW_E_NS1_11comp_targetILNS1_3genE10ELNS1_11target_archE1200ELNS1_3gpuE4ELNS1_3repE0EEENS1_30default_config_static_selectorELNS0_4arch9wavefront6targetE1EEEvT1_.kd
    .uniform_work_group_size: 1
    .uses_dynamic_stack: false
    .vgpr_count:     0
    .vgpr_spill_count: 0
    .wavefront_size: 64
  - .agpr_count:     0
    .args:
      - .offset:         0
        .size:           112
        .value_kind:     by_value
    .group_segment_fixed_size: 0
    .kernarg_segment_align: 8
    .kernarg_segment_size: 112
    .language:       OpenCL C
    .language_version:
      - 2
      - 0
    .max_flat_workgroup_size: 256
    .name:           _ZN7rocprim17ROCPRIM_400000_NS6detail17trampoline_kernelINS0_14default_configENS1_27scan_by_key_config_selectorIijEEZZNS1_16scan_by_key_implILNS1_25lookback_scan_determinismE0ELb0ES3_N6thrust23THRUST_200600_302600_NS6detail15normal_iteratorINS9_10device_ptrIiEEEENSB_INSC_IjEEEESG_jNS9_4plusIvEENS9_8equal_toIvEEjEE10hipError_tPvRmT2_T3_T4_T5_mT6_T7_P12ihipStream_tbENKUlT_T0_E_clISt17integral_constantIbLb1EES10_IbLb0EEEEDaSW_SX_EUlSW_E_NS1_11comp_targetILNS1_3genE9ELNS1_11target_archE1100ELNS1_3gpuE3ELNS1_3repE0EEENS1_30default_config_static_selectorELNS0_4arch9wavefront6targetE1EEEvT1_
    .private_segment_fixed_size: 0
    .sgpr_count:     4
    .sgpr_spill_count: 0
    .symbol:         _ZN7rocprim17ROCPRIM_400000_NS6detail17trampoline_kernelINS0_14default_configENS1_27scan_by_key_config_selectorIijEEZZNS1_16scan_by_key_implILNS1_25lookback_scan_determinismE0ELb0ES3_N6thrust23THRUST_200600_302600_NS6detail15normal_iteratorINS9_10device_ptrIiEEEENSB_INSC_IjEEEESG_jNS9_4plusIvEENS9_8equal_toIvEEjEE10hipError_tPvRmT2_T3_T4_T5_mT6_T7_P12ihipStream_tbENKUlT_T0_E_clISt17integral_constantIbLb1EES10_IbLb0EEEEDaSW_SX_EUlSW_E_NS1_11comp_targetILNS1_3genE9ELNS1_11target_archE1100ELNS1_3gpuE3ELNS1_3repE0EEENS1_30default_config_static_selectorELNS0_4arch9wavefront6targetE1EEEvT1_.kd
    .uniform_work_group_size: 1
    .uses_dynamic_stack: false
    .vgpr_count:     0
    .vgpr_spill_count: 0
    .wavefront_size: 64
  - .agpr_count:     0
    .args:
      - .offset:         0
        .size:           112
        .value_kind:     by_value
    .group_segment_fixed_size: 0
    .kernarg_segment_align: 8
    .kernarg_segment_size: 112
    .language:       OpenCL C
    .language_version:
      - 2
      - 0
    .max_flat_workgroup_size: 256
    .name:           _ZN7rocprim17ROCPRIM_400000_NS6detail17trampoline_kernelINS0_14default_configENS1_27scan_by_key_config_selectorIijEEZZNS1_16scan_by_key_implILNS1_25lookback_scan_determinismE0ELb0ES3_N6thrust23THRUST_200600_302600_NS6detail15normal_iteratorINS9_10device_ptrIiEEEENSB_INSC_IjEEEESG_jNS9_4plusIvEENS9_8equal_toIvEEjEE10hipError_tPvRmT2_T3_T4_T5_mT6_T7_P12ihipStream_tbENKUlT_T0_E_clISt17integral_constantIbLb1EES10_IbLb0EEEEDaSW_SX_EUlSW_E_NS1_11comp_targetILNS1_3genE8ELNS1_11target_archE1030ELNS1_3gpuE2ELNS1_3repE0EEENS1_30default_config_static_selectorELNS0_4arch9wavefront6targetE1EEEvT1_
    .private_segment_fixed_size: 0
    .sgpr_count:     4
    .sgpr_spill_count: 0
    .symbol:         _ZN7rocprim17ROCPRIM_400000_NS6detail17trampoline_kernelINS0_14default_configENS1_27scan_by_key_config_selectorIijEEZZNS1_16scan_by_key_implILNS1_25lookback_scan_determinismE0ELb0ES3_N6thrust23THRUST_200600_302600_NS6detail15normal_iteratorINS9_10device_ptrIiEEEENSB_INSC_IjEEEESG_jNS9_4plusIvEENS9_8equal_toIvEEjEE10hipError_tPvRmT2_T3_T4_T5_mT6_T7_P12ihipStream_tbENKUlT_T0_E_clISt17integral_constantIbLb1EES10_IbLb0EEEEDaSW_SX_EUlSW_E_NS1_11comp_targetILNS1_3genE8ELNS1_11target_archE1030ELNS1_3gpuE2ELNS1_3repE0EEENS1_30default_config_static_selectorELNS0_4arch9wavefront6targetE1EEEvT1_.kd
    .uniform_work_group_size: 1
    .uses_dynamic_stack: false
    .vgpr_count:     0
    .vgpr_spill_count: 0
    .wavefront_size: 64
  - .agpr_count:     0
    .args:
      - .address_space:  global
        .offset:         0
        .size:           8
        .value_kind:     global_buffer
      - .offset:         8
        .size:           4
        .value_kind:     by_value
      - .offset:         12
        .size:           4
        .value_kind:     by_value
      - .address_space:  global
        .offset:         16
        .size:           8
        .value_kind:     global_buffer
      - .address_space:  global
        .offset:         24
        .size:           8
        .value_kind:     global_buffer
      - .actual_access:  write_only
        .address_space:  global
        .offset:         32
        .size:           8
        .value_kind:     global_buffer
      - .offset:         40
        .size:           8
        .value_kind:     by_value
      - .offset:         48
        .size:           4
        .value_kind:     by_value
      - .address_space:  global
        .offset:         56
        .size:           8
        .value_kind:     global_buffer
      - .offset:         64
        .size:           4
        .value_kind:     hidden_block_count_x
      - .offset:         68
        .size:           4
        .value_kind:     hidden_block_count_y
      - .offset:         72
        .size:           4
        .value_kind:     hidden_block_count_z
      - .offset:         76
        .size:           2
        .value_kind:     hidden_group_size_x
      - .offset:         78
        .size:           2
        .value_kind:     hidden_group_size_y
      - .offset:         80
        .size:           2
        .value_kind:     hidden_group_size_z
      - .offset:         82
        .size:           2
        .value_kind:     hidden_remainder_x
      - .offset:         84
        .size:           2
        .value_kind:     hidden_remainder_y
      - .offset:         86
        .size:           2
        .value_kind:     hidden_remainder_z
      - .offset:         104
        .size:           8
        .value_kind:     hidden_global_offset_x
      - .offset:         112
        .size:           8
        .value_kind:     hidden_global_offset_y
      - .offset:         120
        .size:           8
        .value_kind:     hidden_global_offset_z
      - .offset:         128
        .size:           2
        .value_kind:     hidden_grid_dims
    .group_segment_fixed_size: 0
    .kernarg_segment_align: 8
    .kernarg_segment_size: 320
    .language:       OpenCL C
    .language_version:
      - 2
      - 0
    .max_flat_workgroup_size: 256
    .name:           _ZN7rocprim17ROCPRIM_400000_NS6detail30init_device_scan_by_key_kernelINS1_19lookback_scan_stateINS0_5tupleIJjbEEELb0ELb1EEEN6thrust23THRUST_200600_302600_NS6detail15normal_iteratorINS8_10device_ptrIiEEEEjNS1_16block_id_wrapperIjLb1EEEEEvT_jjPNSG_10value_typeET0_PNSt15iterator_traitsISJ_E10value_typeEmT1_T2_
    .private_segment_fixed_size: 0
    .sgpr_count:     24
    .sgpr_spill_count: 0
    .symbol:         _ZN7rocprim17ROCPRIM_400000_NS6detail30init_device_scan_by_key_kernelINS1_19lookback_scan_stateINS0_5tupleIJjbEEELb0ELb1EEEN6thrust23THRUST_200600_302600_NS6detail15normal_iteratorINS8_10device_ptrIiEEEEjNS1_16block_id_wrapperIjLb1EEEEEvT_jjPNSG_10value_typeET0_PNSt15iterator_traitsISJ_E10value_typeEmT1_T2_.kd
    .uniform_work_group_size: 1
    .uses_dynamic_stack: false
    .vgpr_count:     10
    .vgpr_spill_count: 0
    .wavefront_size: 64
  - .agpr_count:     0
    .args:
      - .address_space:  global
        .offset:         0
        .size:           8
        .value_kind:     global_buffer
      - .offset:         8
        .size:           4
        .value_kind:     by_value
      - .offset:         12
        .size:           4
        .value_kind:     by_value
      - .address_space:  global
        .offset:         16
        .size:           8
        .value_kind:     global_buffer
      - .address_space:  global
        .offset:         24
        .size:           8
        .value_kind:     global_buffer
      - .offset:         32
        .size:           4
        .value_kind:     hidden_block_count_x
      - .offset:         36
        .size:           4
        .value_kind:     hidden_block_count_y
      - .offset:         40
        .size:           4
        .value_kind:     hidden_block_count_z
      - .offset:         44
        .size:           2
        .value_kind:     hidden_group_size_x
      - .offset:         46
        .size:           2
        .value_kind:     hidden_group_size_y
      - .offset:         48
        .size:           2
        .value_kind:     hidden_group_size_z
      - .offset:         50
        .size:           2
        .value_kind:     hidden_remainder_x
      - .offset:         52
        .size:           2
        .value_kind:     hidden_remainder_y
      - .offset:         54
        .size:           2
        .value_kind:     hidden_remainder_z
      - .offset:         72
        .size:           8
        .value_kind:     hidden_global_offset_x
      - .offset:         80
        .size:           8
        .value_kind:     hidden_global_offset_y
      - .offset:         88
        .size:           8
        .value_kind:     hidden_global_offset_z
      - .offset:         96
        .size:           2
        .value_kind:     hidden_grid_dims
    .group_segment_fixed_size: 0
    .kernarg_segment_align: 8
    .kernarg_segment_size: 288
    .language:       OpenCL C
    .language_version:
      - 2
      - 0
    .max_flat_workgroup_size: 256
    .name:           _ZN7rocprim17ROCPRIM_400000_NS6detail30init_device_scan_by_key_kernelINS1_19lookback_scan_stateINS0_5tupleIJjbEEELb0ELb1EEENS1_16block_id_wrapperIjLb1EEEEEvT_jjPNS9_10value_typeET0_
    .private_segment_fixed_size: 0
    .sgpr_count:     20
    .sgpr_spill_count: 0
    .symbol:         _ZN7rocprim17ROCPRIM_400000_NS6detail30init_device_scan_by_key_kernelINS1_19lookback_scan_stateINS0_5tupleIJjbEEELb0ELb1EEENS1_16block_id_wrapperIjLb1EEEEEvT_jjPNS9_10value_typeET0_.kd
    .uniform_work_group_size: 1
    .uses_dynamic_stack: false
    .vgpr_count:     10
    .vgpr_spill_count: 0
    .wavefront_size: 64
  - .agpr_count:     0
    .args:
      - .offset:         0
        .size:           112
        .value_kind:     by_value
    .group_segment_fixed_size: 0
    .kernarg_segment_align: 8
    .kernarg_segment_size: 112
    .language:       OpenCL C
    .language_version:
      - 2
      - 0
    .max_flat_workgroup_size: 256
    .name:           _ZN7rocprim17ROCPRIM_400000_NS6detail17trampoline_kernelINS0_14default_configENS1_27scan_by_key_config_selectorIijEEZZNS1_16scan_by_key_implILNS1_25lookback_scan_determinismE0ELb0ES3_N6thrust23THRUST_200600_302600_NS6detail15normal_iteratorINS9_10device_ptrIiEEEENSB_INSC_IjEEEESG_jNS9_4plusIvEENS9_8equal_toIvEEjEE10hipError_tPvRmT2_T3_T4_T5_mT6_T7_P12ihipStream_tbENKUlT_T0_E_clISt17integral_constantIbLb0EES10_IbLb1EEEEDaSW_SX_EUlSW_E_NS1_11comp_targetILNS1_3genE0ELNS1_11target_archE4294967295ELNS1_3gpuE0ELNS1_3repE0EEENS1_30default_config_static_selectorELNS0_4arch9wavefront6targetE1EEEvT1_
    .private_segment_fixed_size: 0
    .sgpr_count:     4
    .sgpr_spill_count: 0
    .symbol:         _ZN7rocprim17ROCPRIM_400000_NS6detail17trampoline_kernelINS0_14default_configENS1_27scan_by_key_config_selectorIijEEZZNS1_16scan_by_key_implILNS1_25lookback_scan_determinismE0ELb0ES3_N6thrust23THRUST_200600_302600_NS6detail15normal_iteratorINS9_10device_ptrIiEEEENSB_INSC_IjEEEESG_jNS9_4plusIvEENS9_8equal_toIvEEjEE10hipError_tPvRmT2_T3_T4_T5_mT6_T7_P12ihipStream_tbENKUlT_T0_E_clISt17integral_constantIbLb0EES10_IbLb1EEEEDaSW_SX_EUlSW_E_NS1_11comp_targetILNS1_3genE0ELNS1_11target_archE4294967295ELNS1_3gpuE0ELNS1_3repE0EEENS1_30default_config_static_selectorELNS0_4arch9wavefront6targetE1EEEvT1_.kd
    .uniform_work_group_size: 1
    .uses_dynamic_stack: false
    .vgpr_count:     0
    .vgpr_spill_count: 0
    .wavefront_size: 64
  - .agpr_count:     0
    .args:
      - .offset:         0
        .size:           112
        .value_kind:     by_value
    .group_segment_fixed_size: 0
    .kernarg_segment_align: 8
    .kernarg_segment_size: 112
    .language:       OpenCL C
    .language_version:
      - 2
      - 0
    .max_flat_workgroup_size: 256
    .name:           _ZN7rocprim17ROCPRIM_400000_NS6detail17trampoline_kernelINS0_14default_configENS1_27scan_by_key_config_selectorIijEEZZNS1_16scan_by_key_implILNS1_25lookback_scan_determinismE0ELb0ES3_N6thrust23THRUST_200600_302600_NS6detail15normal_iteratorINS9_10device_ptrIiEEEENSB_INSC_IjEEEESG_jNS9_4plusIvEENS9_8equal_toIvEEjEE10hipError_tPvRmT2_T3_T4_T5_mT6_T7_P12ihipStream_tbENKUlT_T0_E_clISt17integral_constantIbLb0EES10_IbLb1EEEEDaSW_SX_EUlSW_E_NS1_11comp_targetILNS1_3genE10ELNS1_11target_archE1201ELNS1_3gpuE5ELNS1_3repE0EEENS1_30default_config_static_selectorELNS0_4arch9wavefront6targetE1EEEvT1_
    .private_segment_fixed_size: 0
    .sgpr_count:     4
    .sgpr_spill_count: 0
    .symbol:         _ZN7rocprim17ROCPRIM_400000_NS6detail17trampoline_kernelINS0_14default_configENS1_27scan_by_key_config_selectorIijEEZZNS1_16scan_by_key_implILNS1_25lookback_scan_determinismE0ELb0ES3_N6thrust23THRUST_200600_302600_NS6detail15normal_iteratorINS9_10device_ptrIiEEEENSB_INSC_IjEEEESG_jNS9_4plusIvEENS9_8equal_toIvEEjEE10hipError_tPvRmT2_T3_T4_T5_mT6_T7_P12ihipStream_tbENKUlT_T0_E_clISt17integral_constantIbLb0EES10_IbLb1EEEEDaSW_SX_EUlSW_E_NS1_11comp_targetILNS1_3genE10ELNS1_11target_archE1201ELNS1_3gpuE5ELNS1_3repE0EEENS1_30default_config_static_selectorELNS0_4arch9wavefront6targetE1EEEvT1_.kd
    .uniform_work_group_size: 1
    .uses_dynamic_stack: false
    .vgpr_count:     0
    .vgpr_spill_count: 0
    .wavefront_size: 64
  - .agpr_count:     0
    .args:
      - .offset:         0
        .size:           112
        .value_kind:     by_value
    .group_segment_fixed_size: 0
    .kernarg_segment_align: 8
    .kernarg_segment_size: 112
    .language:       OpenCL C
    .language_version:
      - 2
      - 0
    .max_flat_workgroup_size: 256
    .name:           _ZN7rocprim17ROCPRIM_400000_NS6detail17trampoline_kernelINS0_14default_configENS1_27scan_by_key_config_selectorIijEEZZNS1_16scan_by_key_implILNS1_25lookback_scan_determinismE0ELb0ES3_N6thrust23THRUST_200600_302600_NS6detail15normal_iteratorINS9_10device_ptrIiEEEENSB_INSC_IjEEEESG_jNS9_4plusIvEENS9_8equal_toIvEEjEE10hipError_tPvRmT2_T3_T4_T5_mT6_T7_P12ihipStream_tbENKUlT_T0_E_clISt17integral_constantIbLb0EES10_IbLb1EEEEDaSW_SX_EUlSW_E_NS1_11comp_targetILNS1_3genE5ELNS1_11target_archE942ELNS1_3gpuE9ELNS1_3repE0EEENS1_30default_config_static_selectorELNS0_4arch9wavefront6targetE1EEEvT1_
    .private_segment_fixed_size: 0
    .sgpr_count:     4
    .sgpr_spill_count: 0
    .symbol:         _ZN7rocprim17ROCPRIM_400000_NS6detail17trampoline_kernelINS0_14default_configENS1_27scan_by_key_config_selectorIijEEZZNS1_16scan_by_key_implILNS1_25lookback_scan_determinismE0ELb0ES3_N6thrust23THRUST_200600_302600_NS6detail15normal_iteratorINS9_10device_ptrIiEEEENSB_INSC_IjEEEESG_jNS9_4plusIvEENS9_8equal_toIvEEjEE10hipError_tPvRmT2_T3_T4_T5_mT6_T7_P12ihipStream_tbENKUlT_T0_E_clISt17integral_constantIbLb0EES10_IbLb1EEEEDaSW_SX_EUlSW_E_NS1_11comp_targetILNS1_3genE5ELNS1_11target_archE942ELNS1_3gpuE9ELNS1_3repE0EEENS1_30default_config_static_selectorELNS0_4arch9wavefront6targetE1EEEvT1_.kd
    .uniform_work_group_size: 1
    .uses_dynamic_stack: false
    .vgpr_count:     0
    .vgpr_spill_count: 0
    .wavefront_size: 64
  - .agpr_count:     0
    .args:
      - .offset:         0
        .size:           112
        .value_kind:     by_value
    .group_segment_fixed_size: 16384
    .kernarg_segment_align: 8
    .kernarg_segment_size: 112
    .language:       OpenCL C
    .language_version:
      - 2
      - 0
    .max_flat_workgroup_size: 256
    .name:           _ZN7rocprim17ROCPRIM_400000_NS6detail17trampoline_kernelINS0_14default_configENS1_27scan_by_key_config_selectorIijEEZZNS1_16scan_by_key_implILNS1_25lookback_scan_determinismE0ELb0ES3_N6thrust23THRUST_200600_302600_NS6detail15normal_iteratorINS9_10device_ptrIiEEEENSB_INSC_IjEEEESG_jNS9_4plusIvEENS9_8equal_toIvEEjEE10hipError_tPvRmT2_T3_T4_T5_mT6_T7_P12ihipStream_tbENKUlT_T0_E_clISt17integral_constantIbLb0EES10_IbLb1EEEEDaSW_SX_EUlSW_E_NS1_11comp_targetILNS1_3genE4ELNS1_11target_archE910ELNS1_3gpuE8ELNS1_3repE0EEENS1_30default_config_static_selectorELNS0_4arch9wavefront6targetE1EEEvT1_
    .private_segment_fixed_size: 0
    .sgpr_count:     69
    .sgpr_spill_count: 0
    .symbol:         _ZN7rocprim17ROCPRIM_400000_NS6detail17trampoline_kernelINS0_14default_configENS1_27scan_by_key_config_selectorIijEEZZNS1_16scan_by_key_implILNS1_25lookback_scan_determinismE0ELb0ES3_N6thrust23THRUST_200600_302600_NS6detail15normal_iteratorINS9_10device_ptrIiEEEENSB_INSC_IjEEEESG_jNS9_4plusIvEENS9_8equal_toIvEEjEE10hipError_tPvRmT2_T3_T4_T5_mT6_T7_P12ihipStream_tbENKUlT_T0_E_clISt17integral_constantIbLb0EES10_IbLb1EEEEDaSW_SX_EUlSW_E_NS1_11comp_targetILNS1_3genE4ELNS1_11target_archE910ELNS1_3gpuE8ELNS1_3repE0EEENS1_30default_config_static_selectorELNS0_4arch9wavefront6targetE1EEEvT1_.kd
    .uniform_work_group_size: 1
    .uses_dynamic_stack: false
    .vgpr_count:     65
    .vgpr_spill_count: 0
    .wavefront_size: 64
  - .agpr_count:     0
    .args:
      - .offset:         0
        .size:           112
        .value_kind:     by_value
    .group_segment_fixed_size: 0
    .kernarg_segment_align: 8
    .kernarg_segment_size: 112
    .language:       OpenCL C
    .language_version:
      - 2
      - 0
    .max_flat_workgroup_size: 256
    .name:           _ZN7rocprim17ROCPRIM_400000_NS6detail17trampoline_kernelINS0_14default_configENS1_27scan_by_key_config_selectorIijEEZZNS1_16scan_by_key_implILNS1_25lookback_scan_determinismE0ELb0ES3_N6thrust23THRUST_200600_302600_NS6detail15normal_iteratorINS9_10device_ptrIiEEEENSB_INSC_IjEEEESG_jNS9_4plusIvEENS9_8equal_toIvEEjEE10hipError_tPvRmT2_T3_T4_T5_mT6_T7_P12ihipStream_tbENKUlT_T0_E_clISt17integral_constantIbLb0EES10_IbLb1EEEEDaSW_SX_EUlSW_E_NS1_11comp_targetILNS1_3genE3ELNS1_11target_archE908ELNS1_3gpuE7ELNS1_3repE0EEENS1_30default_config_static_selectorELNS0_4arch9wavefront6targetE1EEEvT1_
    .private_segment_fixed_size: 0
    .sgpr_count:     4
    .sgpr_spill_count: 0
    .symbol:         _ZN7rocprim17ROCPRIM_400000_NS6detail17trampoline_kernelINS0_14default_configENS1_27scan_by_key_config_selectorIijEEZZNS1_16scan_by_key_implILNS1_25lookback_scan_determinismE0ELb0ES3_N6thrust23THRUST_200600_302600_NS6detail15normal_iteratorINS9_10device_ptrIiEEEENSB_INSC_IjEEEESG_jNS9_4plusIvEENS9_8equal_toIvEEjEE10hipError_tPvRmT2_T3_T4_T5_mT6_T7_P12ihipStream_tbENKUlT_T0_E_clISt17integral_constantIbLb0EES10_IbLb1EEEEDaSW_SX_EUlSW_E_NS1_11comp_targetILNS1_3genE3ELNS1_11target_archE908ELNS1_3gpuE7ELNS1_3repE0EEENS1_30default_config_static_selectorELNS0_4arch9wavefront6targetE1EEEvT1_.kd
    .uniform_work_group_size: 1
    .uses_dynamic_stack: false
    .vgpr_count:     0
    .vgpr_spill_count: 0
    .wavefront_size: 64
  - .agpr_count:     0
    .args:
      - .offset:         0
        .size:           112
        .value_kind:     by_value
    .group_segment_fixed_size: 0
    .kernarg_segment_align: 8
    .kernarg_segment_size: 112
    .language:       OpenCL C
    .language_version:
      - 2
      - 0
    .max_flat_workgroup_size: 256
    .name:           _ZN7rocprim17ROCPRIM_400000_NS6detail17trampoline_kernelINS0_14default_configENS1_27scan_by_key_config_selectorIijEEZZNS1_16scan_by_key_implILNS1_25lookback_scan_determinismE0ELb0ES3_N6thrust23THRUST_200600_302600_NS6detail15normal_iteratorINS9_10device_ptrIiEEEENSB_INSC_IjEEEESG_jNS9_4plusIvEENS9_8equal_toIvEEjEE10hipError_tPvRmT2_T3_T4_T5_mT6_T7_P12ihipStream_tbENKUlT_T0_E_clISt17integral_constantIbLb0EES10_IbLb1EEEEDaSW_SX_EUlSW_E_NS1_11comp_targetILNS1_3genE2ELNS1_11target_archE906ELNS1_3gpuE6ELNS1_3repE0EEENS1_30default_config_static_selectorELNS0_4arch9wavefront6targetE1EEEvT1_
    .private_segment_fixed_size: 0
    .sgpr_count:     4
    .sgpr_spill_count: 0
    .symbol:         _ZN7rocprim17ROCPRIM_400000_NS6detail17trampoline_kernelINS0_14default_configENS1_27scan_by_key_config_selectorIijEEZZNS1_16scan_by_key_implILNS1_25lookback_scan_determinismE0ELb0ES3_N6thrust23THRUST_200600_302600_NS6detail15normal_iteratorINS9_10device_ptrIiEEEENSB_INSC_IjEEEESG_jNS9_4plusIvEENS9_8equal_toIvEEjEE10hipError_tPvRmT2_T3_T4_T5_mT6_T7_P12ihipStream_tbENKUlT_T0_E_clISt17integral_constantIbLb0EES10_IbLb1EEEEDaSW_SX_EUlSW_E_NS1_11comp_targetILNS1_3genE2ELNS1_11target_archE906ELNS1_3gpuE6ELNS1_3repE0EEENS1_30default_config_static_selectorELNS0_4arch9wavefront6targetE1EEEvT1_.kd
    .uniform_work_group_size: 1
    .uses_dynamic_stack: false
    .vgpr_count:     0
    .vgpr_spill_count: 0
    .wavefront_size: 64
  - .agpr_count:     0
    .args:
      - .offset:         0
        .size:           112
        .value_kind:     by_value
    .group_segment_fixed_size: 0
    .kernarg_segment_align: 8
    .kernarg_segment_size: 112
    .language:       OpenCL C
    .language_version:
      - 2
      - 0
    .max_flat_workgroup_size: 256
    .name:           _ZN7rocprim17ROCPRIM_400000_NS6detail17trampoline_kernelINS0_14default_configENS1_27scan_by_key_config_selectorIijEEZZNS1_16scan_by_key_implILNS1_25lookback_scan_determinismE0ELb0ES3_N6thrust23THRUST_200600_302600_NS6detail15normal_iteratorINS9_10device_ptrIiEEEENSB_INSC_IjEEEESG_jNS9_4plusIvEENS9_8equal_toIvEEjEE10hipError_tPvRmT2_T3_T4_T5_mT6_T7_P12ihipStream_tbENKUlT_T0_E_clISt17integral_constantIbLb0EES10_IbLb1EEEEDaSW_SX_EUlSW_E_NS1_11comp_targetILNS1_3genE10ELNS1_11target_archE1200ELNS1_3gpuE4ELNS1_3repE0EEENS1_30default_config_static_selectorELNS0_4arch9wavefront6targetE1EEEvT1_
    .private_segment_fixed_size: 0
    .sgpr_count:     4
    .sgpr_spill_count: 0
    .symbol:         _ZN7rocprim17ROCPRIM_400000_NS6detail17trampoline_kernelINS0_14default_configENS1_27scan_by_key_config_selectorIijEEZZNS1_16scan_by_key_implILNS1_25lookback_scan_determinismE0ELb0ES3_N6thrust23THRUST_200600_302600_NS6detail15normal_iteratorINS9_10device_ptrIiEEEENSB_INSC_IjEEEESG_jNS9_4plusIvEENS9_8equal_toIvEEjEE10hipError_tPvRmT2_T3_T4_T5_mT6_T7_P12ihipStream_tbENKUlT_T0_E_clISt17integral_constantIbLb0EES10_IbLb1EEEEDaSW_SX_EUlSW_E_NS1_11comp_targetILNS1_3genE10ELNS1_11target_archE1200ELNS1_3gpuE4ELNS1_3repE0EEENS1_30default_config_static_selectorELNS0_4arch9wavefront6targetE1EEEvT1_.kd
    .uniform_work_group_size: 1
    .uses_dynamic_stack: false
    .vgpr_count:     0
    .vgpr_spill_count: 0
    .wavefront_size: 64
  - .agpr_count:     0
    .args:
      - .offset:         0
        .size:           112
        .value_kind:     by_value
    .group_segment_fixed_size: 0
    .kernarg_segment_align: 8
    .kernarg_segment_size: 112
    .language:       OpenCL C
    .language_version:
      - 2
      - 0
    .max_flat_workgroup_size: 256
    .name:           _ZN7rocprim17ROCPRIM_400000_NS6detail17trampoline_kernelINS0_14default_configENS1_27scan_by_key_config_selectorIijEEZZNS1_16scan_by_key_implILNS1_25lookback_scan_determinismE0ELb0ES3_N6thrust23THRUST_200600_302600_NS6detail15normal_iteratorINS9_10device_ptrIiEEEENSB_INSC_IjEEEESG_jNS9_4plusIvEENS9_8equal_toIvEEjEE10hipError_tPvRmT2_T3_T4_T5_mT6_T7_P12ihipStream_tbENKUlT_T0_E_clISt17integral_constantIbLb0EES10_IbLb1EEEEDaSW_SX_EUlSW_E_NS1_11comp_targetILNS1_3genE9ELNS1_11target_archE1100ELNS1_3gpuE3ELNS1_3repE0EEENS1_30default_config_static_selectorELNS0_4arch9wavefront6targetE1EEEvT1_
    .private_segment_fixed_size: 0
    .sgpr_count:     4
    .sgpr_spill_count: 0
    .symbol:         _ZN7rocprim17ROCPRIM_400000_NS6detail17trampoline_kernelINS0_14default_configENS1_27scan_by_key_config_selectorIijEEZZNS1_16scan_by_key_implILNS1_25lookback_scan_determinismE0ELb0ES3_N6thrust23THRUST_200600_302600_NS6detail15normal_iteratorINS9_10device_ptrIiEEEENSB_INSC_IjEEEESG_jNS9_4plusIvEENS9_8equal_toIvEEjEE10hipError_tPvRmT2_T3_T4_T5_mT6_T7_P12ihipStream_tbENKUlT_T0_E_clISt17integral_constantIbLb0EES10_IbLb1EEEEDaSW_SX_EUlSW_E_NS1_11comp_targetILNS1_3genE9ELNS1_11target_archE1100ELNS1_3gpuE3ELNS1_3repE0EEENS1_30default_config_static_selectorELNS0_4arch9wavefront6targetE1EEEvT1_.kd
    .uniform_work_group_size: 1
    .uses_dynamic_stack: false
    .vgpr_count:     0
    .vgpr_spill_count: 0
    .wavefront_size: 64
  - .agpr_count:     0
    .args:
      - .offset:         0
        .size:           112
        .value_kind:     by_value
    .group_segment_fixed_size: 0
    .kernarg_segment_align: 8
    .kernarg_segment_size: 112
    .language:       OpenCL C
    .language_version:
      - 2
      - 0
    .max_flat_workgroup_size: 256
    .name:           _ZN7rocprim17ROCPRIM_400000_NS6detail17trampoline_kernelINS0_14default_configENS1_27scan_by_key_config_selectorIijEEZZNS1_16scan_by_key_implILNS1_25lookback_scan_determinismE0ELb0ES3_N6thrust23THRUST_200600_302600_NS6detail15normal_iteratorINS9_10device_ptrIiEEEENSB_INSC_IjEEEESG_jNS9_4plusIvEENS9_8equal_toIvEEjEE10hipError_tPvRmT2_T3_T4_T5_mT6_T7_P12ihipStream_tbENKUlT_T0_E_clISt17integral_constantIbLb0EES10_IbLb1EEEEDaSW_SX_EUlSW_E_NS1_11comp_targetILNS1_3genE8ELNS1_11target_archE1030ELNS1_3gpuE2ELNS1_3repE0EEENS1_30default_config_static_selectorELNS0_4arch9wavefront6targetE1EEEvT1_
    .private_segment_fixed_size: 0
    .sgpr_count:     4
    .sgpr_spill_count: 0
    .symbol:         _ZN7rocprim17ROCPRIM_400000_NS6detail17trampoline_kernelINS0_14default_configENS1_27scan_by_key_config_selectorIijEEZZNS1_16scan_by_key_implILNS1_25lookback_scan_determinismE0ELb0ES3_N6thrust23THRUST_200600_302600_NS6detail15normal_iteratorINS9_10device_ptrIiEEEENSB_INSC_IjEEEESG_jNS9_4plusIvEENS9_8equal_toIvEEjEE10hipError_tPvRmT2_T3_T4_T5_mT6_T7_P12ihipStream_tbENKUlT_T0_E_clISt17integral_constantIbLb0EES10_IbLb1EEEEDaSW_SX_EUlSW_E_NS1_11comp_targetILNS1_3genE8ELNS1_11target_archE1030ELNS1_3gpuE2ELNS1_3repE0EEENS1_30default_config_static_selectorELNS0_4arch9wavefront6targetE1EEEvT1_.kd
    .uniform_work_group_size: 1
    .uses_dynamic_stack: false
    .vgpr_count:     0
    .vgpr_spill_count: 0
    .wavefront_size: 64
  - .agpr_count:     0
    .args:
      - .offset:         0
        .size:           24
        .value_kind:     by_value
      - .offset:         24
        .size:           8
        .value_kind:     by_value
      - .offset:         32
        .size:           8
        .value_kind:     by_value
    .group_segment_fixed_size: 0
    .kernarg_segment_align: 8
    .kernarg_segment_size: 40
    .language:       OpenCL C
    .language_version:
      - 2
      - 0
    .max_flat_workgroup_size: 256
    .name:           _ZN6thrust23THRUST_200600_302600_NS11hip_rocprim14__parallel_for6kernelILj256ENS1_11__transform17unary_transform_fINS0_7pointerIiNS1_3tagENS0_11use_defaultES8_EENS0_10device_ptrItEENS4_14no_stencil_tagENS0_8identityIiEENS4_21always_true_predicateEEElLj1EEEvT0_T1_SI_
    .private_segment_fixed_size: 0
    .sgpr_count:     16
    .sgpr_spill_count: 0
    .symbol:         _ZN6thrust23THRUST_200600_302600_NS11hip_rocprim14__parallel_for6kernelILj256ENS1_11__transform17unary_transform_fINS0_7pointerIiNS1_3tagENS0_11use_defaultES8_EENS0_10device_ptrItEENS4_14no_stencil_tagENS0_8identityIiEENS4_21always_true_predicateEEElLj1EEEvT0_T1_SI_.kd
    .uniform_work_group_size: 1
    .uses_dynamic_stack: false
    .vgpr_count:     6
    .vgpr_spill_count: 0
    .wavefront_size: 64
  - .agpr_count:     0
    .args:
      - .offset:         0
        .size:           16
        .value_kind:     by_value
      - .offset:         16
        .size:           8
        .value_kind:     by_value
      - .offset:         24
        .size:           8
        .value_kind:     by_value
    .group_segment_fixed_size: 0
    .kernarg_segment_align: 8
    .kernarg_segment_size: 32
    .language:       OpenCL C
    .language_version:
      - 2
      - 0
    .max_flat_workgroup_size: 256
    .name:           _ZN6thrust23THRUST_200600_302600_NS11hip_rocprim14__parallel_for6kernelILj256ENS1_20__uninitialized_fill7functorINS0_10device_ptrItEEtEEmLj1EEEvT0_T1_SA_
    .private_segment_fixed_size: 0
    .sgpr_count:     16
    .sgpr_spill_count: 0
    .symbol:         _ZN6thrust23THRUST_200600_302600_NS11hip_rocprim14__parallel_for6kernelILj256ENS1_20__uninitialized_fill7functorINS0_10device_ptrItEEtEEmLj1EEEvT0_T1_SA_.kd
    .uniform_work_group_size: 1
    .uses_dynamic_stack: false
    .vgpr_count:     4
    .vgpr_spill_count: 0
    .wavefront_size: 64
  - .agpr_count:     0
    .args:
      - .address_space:  global
        .offset:         0
        .size:           8
        .value_kind:     global_buffer
      - .offset:         8
        .size:           4
        .value_kind:     by_value
      - .offset:         12
        .size:           4
        .value_kind:     by_value
      - .address_space:  global
        .offset:         16
        .size:           8
        .value_kind:     global_buffer
      - .address_space:  global
        .offset:         24
        .size:           8
        .value_kind:     global_buffer
      - .actual_access:  write_only
        .address_space:  global
        .offset:         32
        .size:           8
        .value_kind:     global_buffer
      - .offset:         40
        .size:           8
        .value_kind:     by_value
      - .offset:         48
        .size:           4
        .value_kind:     by_value
      - .offset:         52
        .size:           1
        .value_kind:     by_value
      - .offset:         56
        .size:           4
        .value_kind:     hidden_block_count_x
      - .offset:         60
        .size:           4
        .value_kind:     hidden_block_count_y
      - .offset:         64
        .size:           4
        .value_kind:     hidden_block_count_z
      - .offset:         68
        .size:           2
        .value_kind:     hidden_group_size_x
      - .offset:         70
        .size:           2
        .value_kind:     hidden_group_size_y
      - .offset:         72
        .size:           2
        .value_kind:     hidden_group_size_z
      - .offset:         74
        .size:           2
        .value_kind:     hidden_remainder_x
      - .offset:         76
        .size:           2
        .value_kind:     hidden_remainder_y
      - .offset:         78
        .size:           2
        .value_kind:     hidden_remainder_z
      - .offset:         96
        .size:           8
        .value_kind:     hidden_global_offset_x
      - .offset:         104
        .size:           8
        .value_kind:     hidden_global_offset_y
      - .offset:         112
        .size:           8
        .value_kind:     hidden_global_offset_z
      - .offset:         120
        .size:           2
        .value_kind:     hidden_grid_dims
    .group_segment_fixed_size: 0
    .kernarg_segment_align: 8
    .kernarg_segment_size: 312
    .language:       OpenCL C
    .language_version:
      - 2
      - 0
    .max_flat_workgroup_size: 256
    .name:           _ZN7rocprim17ROCPRIM_400000_NS6detail30init_device_scan_by_key_kernelINS1_19lookback_scan_stateINS0_5tupleIJtbEEELb0ELb1EEEN6thrust23THRUST_200600_302600_NS6detail15normal_iteratorINS8_10device_ptrIiEEEEjNS1_16block_id_wrapperIjLb0EEEEEvT_jjPNSG_10value_typeET0_PNSt15iterator_traitsISJ_E10value_typeEmT1_T2_
    .private_segment_fixed_size: 0
    .sgpr_count:     21
    .sgpr_spill_count: 0
    .symbol:         _ZN7rocprim17ROCPRIM_400000_NS6detail30init_device_scan_by_key_kernelINS1_19lookback_scan_stateINS0_5tupleIJtbEEELb0ELb1EEEN6thrust23THRUST_200600_302600_NS6detail15normal_iteratorINS8_10device_ptrIiEEEEjNS1_16block_id_wrapperIjLb0EEEEEvT_jjPNSG_10value_typeET0_PNSt15iterator_traitsISJ_E10value_typeEmT1_T2_.kd
    .uniform_work_group_size: 1
    .uses_dynamic_stack: false
    .vgpr_count:     10
    .vgpr_spill_count: 0
    .wavefront_size: 64
  - .agpr_count:     0
    .args:
      - .address_space:  global
        .offset:         0
        .size:           8
        .value_kind:     global_buffer
      - .offset:         8
        .size:           4
        .value_kind:     by_value
      - .offset:         12
        .size:           4
        .value_kind:     by_value
      - .address_space:  global
        .offset:         16
        .size:           8
        .value_kind:     global_buffer
      - .offset:         24
        .size:           1
        .value_kind:     by_value
      - .offset:         32
        .size:           4
        .value_kind:     hidden_block_count_x
      - .offset:         36
        .size:           4
        .value_kind:     hidden_block_count_y
      - .offset:         40
        .size:           4
        .value_kind:     hidden_block_count_z
      - .offset:         44
        .size:           2
        .value_kind:     hidden_group_size_x
      - .offset:         46
        .size:           2
        .value_kind:     hidden_group_size_y
      - .offset:         48
        .size:           2
        .value_kind:     hidden_group_size_z
      - .offset:         50
        .size:           2
        .value_kind:     hidden_remainder_x
      - .offset:         52
        .size:           2
        .value_kind:     hidden_remainder_y
      - .offset:         54
        .size:           2
        .value_kind:     hidden_remainder_z
      - .offset:         72
        .size:           8
        .value_kind:     hidden_global_offset_x
      - .offset:         80
        .size:           8
        .value_kind:     hidden_global_offset_y
      - .offset:         88
        .size:           8
        .value_kind:     hidden_global_offset_z
      - .offset:         96
        .size:           2
        .value_kind:     hidden_grid_dims
    .group_segment_fixed_size: 0
    .kernarg_segment_align: 8
    .kernarg_segment_size: 288
    .language:       OpenCL C
    .language_version:
      - 2
      - 0
    .max_flat_workgroup_size: 256
    .name:           _ZN7rocprim17ROCPRIM_400000_NS6detail30init_device_scan_by_key_kernelINS1_19lookback_scan_stateINS0_5tupleIJtbEEELb0ELb1EEENS1_16block_id_wrapperIjLb0EEEEEvT_jjPNS9_10value_typeET0_
    .private_segment_fixed_size: 0
    .sgpr_count:     14
    .sgpr_spill_count: 0
    .symbol:         _ZN7rocprim17ROCPRIM_400000_NS6detail30init_device_scan_by_key_kernelINS1_19lookback_scan_stateINS0_5tupleIJtbEEELb0ELb1EEENS1_16block_id_wrapperIjLb0EEEEEvT_jjPNS9_10value_typeET0_.kd
    .uniform_work_group_size: 1
    .uses_dynamic_stack: false
    .vgpr_count:     6
    .vgpr_spill_count: 0
    .wavefront_size: 64
  - .agpr_count:     0
    .args:
      - .offset:         0
        .size:           112
        .value_kind:     by_value
    .group_segment_fixed_size: 0
    .kernarg_segment_align: 8
    .kernarg_segment_size: 112
    .language:       OpenCL C
    .language_version:
      - 2
      - 0
    .max_flat_workgroup_size: 256
    .name:           _ZN7rocprim17ROCPRIM_400000_NS6detail17trampoline_kernelINS0_14default_configENS1_27scan_by_key_config_selectorIitEEZZNS1_16scan_by_key_implILNS1_25lookback_scan_determinismE0ELb0ES3_N6thrust23THRUST_200600_302600_NS6detail15normal_iteratorINS9_10device_ptrIiEEEENSB_INSC_ItEEEESG_tNS9_4plusIvEENS9_8equal_toIvEEtEE10hipError_tPvRmT2_T3_T4_T5_mT6_T7_P12ihipStream_tbENKUlT_T0_E_clISt17integral_constantIbLb0EES11_EEDaSW_SX_EUlSW_E_NS1_11comp_targetILNS1_3genE0ELNS1_11target_archE4294967295ELNS1_3gpuE0ELNS1_3repE0EEENS1_30default_config_static_selectorELNS0_4arch9wavefront6targetE1EEEvT1_
    .private_segment_fixed_size: 0
    .sgpr_count:     4
    .sgpr_spill_count: 0
    .symbol:         _ZN7rocprim17ROCPRIM_400000_NS6detail17trampoline_kernelINS0_14default_configENS1_27scan_by_key_config_selectorIitEEZZNS1_16scan_by_key_implILNS1_25lookback_scan_determinismE0ELb0ES3_N6thrust23THRUST_200600_302600_NS6detail15normal_iteratorINS9_10device_ptrIiEEEENSB_INSC_ItEEEESG_tNS9_4plusIvEENS9_8equal_toIvEEtEE10hipError_tPvRmT2_T3_T4_T5_mT6_T7_P12ihipStream_tbENKUlT_T0_E_clISt17integral_constantIbLb0EES11_EEDaSW_SX_EUlSW_E_NS1_11comp_targetILNS1_3genE0ELNS1_11target_archE4294967295ELNS1_3gpuE0ELNS1_3repE0EEENS1_30default_config_static_selectorELNS0_4arch9wavefront6targetE1EEEvT1_.kd
    .uniform_work_group_size: 1
    .uses_dynamic_stack: false
    .vgpr_count:     0
    .vgpr_spill_count: 0
    .wavefront_size: 64
  - .agpr_count:     0
    .args:
      - .offset:         0
        .size:           112
        .value_kind:     by_value
    .group_segment_fixed_size: 0
    .kernarg_segment_align: 8
    .kernarg_segment_size: 112
    .language:       OpenCL C
    .language_version:
      - 2
      - 0
    .max_flat_workgroup_size: 256
    .name:           _ZN7rocprim17ROCPRIM_400000_NS6detail17trampoline_kernelINS0_14default_configENS1_27scan_by_key_config_selectorIitEEZZNS1_16scan_by_key_implILNS1_25lookback_scan_determinismE0ELb0ES3_N6thrust23THRUST_200600_302600_NS6detail15normal_iteratorINS9_10device_ptrIiEEEENSB_INSC_ItEEEESG_tNS9_4plusIvEENS9_8equal_toIvEEtEE10hipError_tPvRmT2_T3_T4_T5_mT6_T7_P12ihipStream_tbENKUlT_T0_E_clISt17integral_constantIbLb0EES11_EEDaSW_SX_EUlSW_E_NS1_11comp_targetILNS1_3genE10ELNS1_11target_archE1201ELNS1_3gpuE5ELNS1_3repE0EEENS1_30default_config_static_selectorELNS0_4arch9wavefront6targetE1EEEvT1_
    .private_segment_fixed_size: 0
    .sgpr_count:     4
    .sgpr_spill_count: 0
    .symbol:         _ZN7rocprim17ROCPRIM_400000_NS6detail17trampoline_kernelINS0_14default_configENS1_27scan_by_key_config_selectorIitEEZZNS1_16scan_by_key_implILNS1_25lookback_scan_determinismE0ELb0ES3_N6thrust23THRUST_200600_302600_NS6detail15normal_iteratorINS9_10device_ptrIiEEEENSB_INSC_ItEEEESG_tNS9_4plusIvEENS9_8equal_toIvEEtEE10hipError_tPvRmT2_T3_T4_T5_mT6_T7_P12ihipStream_tbENKUlT_T0_E_clISt17integral_constantIbLb0EES11_EEDaSW_SX_EUlSW_E_NS1_11comp_targetILNS1_3genE10ELNS1_11target_archE1201ELNS1_3gpuE5ELNS1_3repE0EEENS1_30default_config_static_selectorELNS0_4arch9wavefront6targetE1EEEvT1_.kd
    .uniform_work_group_size: 1
    .uses_dynamic_stack: false
    .vgpr_count:     0
    .vgpr_spill_count: 0
    .wavefront_size: 64
  - .agpr_count:     0
    .args:
      - .offset:         0
        .size:           112
        .value_kind:     by_value
    .group_segment_fixed_size: 0
    .kernarg_segment_align: 8
    .kernarg_segment_size: 112
    .language:       OpenCL C
    .language_version:
      - 2
      - 0
    .max_flat_workgroup_size: 256
    .name:           _ZN7rocprim17ROCPRIM_400000_NS6detail17trampoline_kernelINS0_14default_configENS1_27scan_by_key_config_selectorIitEEZZNS1_16scan_by_key_implILNS1_25lookback_scan_determinismE0ELb0ES3_N6thrust23THRUST_200600_302600_NS6detail15normal_iteratorINS9_10device_ptrIiEEEENSB_INSC_ItEEEESG_tNS9_4plusIvEENS9_8equal_toIvEEtEE10hipError_tPvRmT2_T3_T4_T5_mT6_T7_P12ihipStream_tbENKUlT_T0_E_clISt17integral_constantIbLb0EES11_EEDaSW_SX_EUlSW_E_NS1_11comp_targetILNS1_3genE5ELNS1_11target_archE942ELNS1_3gpuE9ELNS1_3repE0EEENS1_30default_config_static_selectorELNS0_4arch9wavefront6targetE1EEEvT1_
    .private_segment_fixed_size: 0
    .sgpr_count:     4
    .sgpr_spill_count: 0
    .symbol:         _ZN7rocprim17ROCPRIM_400000_NS6detail17trampoline_kernelINS0_14default_configENS1_27scan_by_key_config_selectorIitEEZZNS1_16scan_by_key_implILNS1_25lookback_scan_determinismE0ELb0ES3_N6thrust23THRUST_200600_302600_NS6detail15normal_iteratorINS9_10device_ptrIiEEEENSB_INSC_ItEEEESG_tNS9_4plusIvEENS9_8equal_toIvEEtEE10hipError_tPvRmT2_T3_T4_T5_mT6_T7_P12ihipStream_tbENKUlT_T0_E_clISt17integral_constantIbLb0EES11_EEDaSW_SX_EUlSW_E_NS1_11comp_targetILNS1_3genE5ELNS1_11target_archE942ELNS1_3gpuE9ELNS1_3repE0EEENS1_30default_config_static_selectorELNS0_4arch9wavefront6targetE1EEEvT1_.kd
    .uniform_work_group_size: 1
    .uses_dynamic_stack: false
    .vgpr_count:     0
    .vgpr_spill_count: 0
    .wavefront_size: 64
  - .agpr_count:     0
    .args:
      - .offset:         0
        .size:           112
        .value_kind:     by_value
    .group_segment_fixed_size: 6656
    .kernarg_segment_align: 8
    .kernarg_segment_size: 112
    .language:       OpenCL C
    .language_version:
      - 2
      - 0
    .max_flat_workgroup_size: 64
    .name:           _ZN7rocprim17ROCPRIM_400000_NS6detail17trampoline_kernelINS0_14default_configENS1_27scan_by_key_config_selectorIitEEZZNS1_16scan_by_key_implILNS1_25lookback_scan_determinismE0ELb0ES3_N6thrust23THRUST_200600_302600_NS6detail15normal_iteratorINS9_10device_ptrIiEEEENSB_INSC_ItEEEESG_tNS9_4plusIvEENS9_8equal_toIvEEtEE10hipError_tPvRmT2_T3_T4_T5_mT6_T7_P12ihipStream_tbENKUlT_T0_E_clISt17integral_constantIbLb0EES11_EEDaSW_SX_EUlSW_E_NS1_11comp_targetILNS1_3genE4ELNS1_11target_archE910ELNS1_3gpuE8ELNS1_3repE0EEENS1_30default_config_static_selectorELNS0_4arch9wavefront6targetE1EEEvT1_
    .private_segment_fixed_size: 0
    .sgpr_count:     87
    .sgpr_spill_count: 0
    .symbol:         _ZN7rocprim17ROCPRIM_400000_NS6detail17trampoline_kernelINS0_14default_configENS1_27scan_by_key_config_selectorIitEEZZNS1_16scan_by_key_implILNS1_25lookback_scan_determinismE0ELb0ES3_N6thrust23THRUST_200600_302600_NS6detail15normal_iteratorINS9_10device_ptrIiEEEENSB_INSC_ItEEEESG_tNS9_4plusIvEENS9_8equal_toIvEEtEE10hipError_tPvRmT2_T3_T4_T5_mT6_T7_P12ihipStream_tbENKUlT_T0_E_clISt17integral_constantIbLb0EES11_EEDaSW_SX_EUlSW_E_NS1_11comp_targetILNS1_3genE4ELNS1_11target_archE910ELNS1_3gpuE8ELNS1_3repE0EEENS1_30default_config_static_selectorELNS0_4arch9wavefront6targetE1EEEvT1_.kd
    .uniform_work_group_size: 1
    .uses_dynamic_stack: false
    .vgpr_count:     58
    .vgpr_spill_count: 0
    .wavefront_size: 64
  - .agpr_count:     0
    .args:
      - .offset:         0
        .size:           112
        .value_kind:     by_value
    .group_segment_fixed_size: 0
    .kernarg_segment_align: 8
    .kernarg_segment_size: 112
    .language:       OpenCL C
    .language_version:
      - 2
      - 0
    .max_flat_workgroup_size: 256
    .name:           _ZN7rocprim17ROCPRIM_400000_NS6detail17trampoline_kernelINS0_14default_configENS1_27scan_by_key_config_selectorIitEEZZNS1_16scan_by_key_implILNS1_25lookback_scan_determinismE0ELb0ES3_N6thrust23THRUST_200600_302600_NS6detail15normal_iteratorINS9_10device_ptrIiEEEENSB_INSC_ItEEEESG_tNS9_4plusIvEENS9_8equal_toIvEEtEE10hipError_tPvRmT2_T3_T4_T5_mT6_T7_P12ihipStream_tbENKUlT_T0_E_clISt17integral_constantIbLb0EES11_EEDaSW_SX_EUlSW_E_NS1_11comp_targetILNS1_3genE3ELNS1_11target_archE908ELNS1_3gpuE7ELNS1_3repE0EEENS1_30default_config_static_selectorELNS0_4arch9wavefront6targetE1EEEvT1_
    .private_segment_fixed_size: 0
    .sgpr_count:     4
    .sgpr_spill_count: 0
    .symbol:         _ZN7rocprim17ROCPRIM_400000_NS6detail17trampoline_kernelINS0_14default_configENS1_27scan_by_key_config_selectorIitEEZZNS1_16scan_by_key_implILNS1_25lookback_scan_determinismE0ELb0ES3_N6thrust23THRUST_200600_302600_NS6detail15normal_iteratorINS9_10device_ptrIiEEEENSB_INSC_ItEEEESG_tNS9_4plusIvEENS9_8equal_toIvEEtEE10hipError_tPvRmT2_T3_T4_T5_mT6_T7_P12ihipStream_tbENKUlT_T0_E_clISt17integral_constantIbLb0EES11_EEDaSW_SX_EUlSW_E_NS1_11comp_targetILNS1_3genE3ELNS1_11target_archE908ELNS1_3gpuE7ELNS1_3repE0EEENS1_30default_config_static_selectorELNS0_4arch9wavefront6targetE1EEEvT1_.kd
    .uniform_work_group_size: 1
    .uses_dynamic_stack: false
    .vgpr_count:     0
    .vgpr_spill_count: 0
    .wavefront_size: 64
  - .agpr_count:     0
    .args:
      - .offset:         0
        .size:           112
        .value_kind:     by_value
    .group_segment_fixed_size: 0
    .kernarg_segment_align: 8
    .kernarg_segment_size: 112
    .language:       OpenCL C
    .language_version:
      - 2
      - 0
    .max_flat_workgroup_size: 64
    .name:           _ZN7rocprim17ROCPRIM_400000_NS6detail17trampoline_kernelINS0_14default_configENS1_27scan_by_key_config_selectorIitEEZZNS1_16scan_by_key_implILNS1_25lookback_scan_determinismE0ELb0ES3_N6thrust23THRUST_200600_302600_NS6detail15normal_iteratorINS9_10device_ptrIiEEEENSB_INSC_ItEEEESG_tNS9_4plusIvEENS9_8equal_toIvEEtEE10hipError_tPvRmT2_T3_T4_T5_mT6_T7_P12ihipStream_tbENKUlT_T0_E_clISt17integral_constantIbLb0EES11_EEDaSW_SX_EUlSW_E_NS1_11comp_targetILNS1_3genE2ELNS1_11target_archE906ELNS1_3gpuE6ELNS1_3repE0EEENS1_30default_config_static_selectorELNS0_4arch9wavefront6targetE1EEEvT1_
    .private_segment_fixed_size: 0
    .sgpr_count:     4
    .sgpr_spill_count: 0
    .symbol:         _ZN7rocprim17ROCPRIM_400000_NS6detail17trampoline_kernelINS0_14default_configENS1_27scan_by_key_config_selectorIitEEZZNS1_16scan_by_key_implILNS1_25lookback_scan_determinismE0ELb0ES3_N6thrust23THRUST_200600_302600_NS6detail15normal_iteratorINS9_10device_ptrIiEEEENSB_INSC_ItEEEESG_tNS9_4plusIvEENS9_8equal_toIvEEtEE10hipError_tPvRmT2_T3_T4_T5_mT6_T7_P12ihipStream_tbENKUlT_T0_E_clISt17integral_constantIbLb0EES11_EEDaSW_SX_EUlSW_E_NS1_11comp_targetILNS1_3genE2ELNS1_11target_archE906ELNS1_3gpuE6ELNS1_3repE0EEENS1_30default_config_static_selectorELNS0_4arch9wavefront6targetE1EEEvT1_.kd
    .uniform_work_group_size: 1
    .uses_dynamic_stack: false
    .vgpr_count:     0
    .vgpr_spill_count: 0
    .wavefront_size: 64
  - .agpr_count:     0
    .args:
      - .offset:         0
        .size:           112
        .value_kind:     by_value
    .group_segment_fixed_size: 0
    .kernarg_segment_align: 8
    .kernarg_segment_size: 112
    .language:       OpenCL C
    .language_version:
      - 2
      - 0
    .max_flat_workgroup_size: 256
    .name:           _ZN7rocprim17ROCPRIM_400000_NS6detail17trampoline_kernelINS0_14default_configENS1_27scan_by_key_config_selectorIitEEZZNS1_16scan_by_key_implILNS1_25lookback_scan_determinismE0ELb0ES3_N6thrust23THRUST_200600_302600_NS6detail15normal_iteratorINS9_10device_ptrIiEEEENSB_INSC_ItEEEESG_tNS9_4plusIvEENS9_8equal_toIvEEtEE10hipError_tPvRmT2_T3_T4_T5_mT6_T7_P12ihipStream_tbENKUlT_T0_E_clISt17integral_constantIbLb0EES11_EEDaSW_SX_EUlSW_E_NS1_11comp_targetILNS1_3genE10ELNS1_11target_archE1200ELNS1_3gpuE4ELNS1_3repE0EEENS1_30default_config_static_selectorELNS0_4arch9wavefront6targetE1EEEvT1_
    .private_segment_fixed_size: 0
    .sgpr_count:     4
    .sgpr_spill_count: 0
    .symbol:         _ZN7rocprim17ROCPRIM_400000_NS6detail17trampoline_kernelINS0_14default_configENS1_27scan_by_key_config_selectorIitEEZZNS1_16scan_by_key_implILNS1_25lookback_scan_determinismE0ELb0ES3_N6thrust23THRUST_200600_302600_NS6detail15normal_iteratorINS9_10device_ptrIiEEEENSB_INSC_ItEEEESG_tNS9_4plusIvEENS9_8equal_toIvEEtEE10hipError_tPvRmT2_T3_T4_T5_mT6_T7_P12ihipStream_tbENKUlT_T0_E_clISt17integral_constantIbLb0EES11_EEDaSW_SX_EUlSW_E_NS1_11comp_targetILNS1_3genE10ELNS1_11target_archE1200ELNS1_3gpuE4ELNS1_3repE0EEENS1_30default_config_static_selectorELNS0_4arch9wavefront6targetE1EEEvT1_.kd
    .uniform_work_group_size: 1
    .uses_dynamic_stack: false
    .vgpr_count:     0
    .vgpr_spill_count: 0
    .wavefront_size: 64
  - .agpr_count:     0
    .args:
      - .offset:         0
        .size:           112
        .value_kind:     by_value
    .group_segment_fixed_size: 0
    .kernarg_segment_align: 8
    .kernarg_segment_size: 112
    .language:       OpenCL C
    .language_version:
      - 2
      - 0
    .max_flat_workgroup_size: 64
    .name:           _ZN7rocprim17ROCPRIM_400000_NS6detail17trampoline_kernelINS0_14default_configENS1_27scan_by_key_config_selectorIitEEZZNS1_16scan_by_key_implILNS1_25lookback_scan_determinismE0ELb0ES3_N6thrust23THRUST_200600_302600_NS6detail15normal_iteratorINS9_10device_ptrIiEEEENSB_INSC_ItEEEESG_tNS9_4plusIvEENS9_8equal_toIvEEtEE10hipError_tPvRmT2_T3_T4_T5_mT6_T7_P12ihipStream_tbENKUlT_T0_E_clISt17integral_constantIbLb0EES11_EEDaSW_SX_EUlSW_E_NS1_11comp_targetILNS1_3genE9ELNS1_11target_archE1100ELNS1_3gpuE3ELNS1_3repE0EEENS1_30default_config_static_selectorELNS0_4arch9wavefront6targetE1EEEvT1_
    .private_segment_fixed_size: 0
    .sgpr_count:     4
    .sgpr_spill_count: 0
    .symbol:         _ZN7rocprim17ROCPRIM_400000_NS6detail17trampoline_kernelINS0_14default_configENS1_27scan_by_key_config_selectorIitEEZZNS1_16scan_by_key_implILNS1_25lookback_scan_determinismE0ELb0ES3_N6thrust23THRUST_200600_302600_NS6detail15normal_iteratorINS9_10device_ptrIiEEEENSB_INSC_ItEEEESG_tNS9_4plusIvEENS9_8equal_toIvEEtEE10hipError_tPvRmT2_T3_T4_T5_mT6_T7_P12ihipStream_tbENKUlT_T0_E_clISt17integral_constantIbLb0EES11_EEDaSW_SX_EUlSW_E_NS1_11comp_targetILNS1_3genE9ELNS1_11target_archE1100ELNS1_3gpuE3ELNS1_3repE0EEENS1_30default_config_static_selectorELNS0_4arch9wavefront6targetE1EEEvT1_.kd
    .uniform_work_group_size: 1
    .uses_dynamic_stack: false
    .vgpr_count:     0
    .vgpr_spill_count: 0
    .wavefront_size: 64
  - .agpr_count:     0
    .args:
      - .offset:         0
        .size:           112
        .value_kind:     by_value
    .group_segment_fixed_size: 0
    .kernarg_segment_align: 8
    .kernarg_segment_size: 112
    .language:       OpenCL C
    .language_version:
      - 2
      - 0
    .max_flat_workgroup_size: 64
    .name:           _ZN7rocprim17ROCPRIM_400000_NS6detail17trampoline_kernelINS0_14default_configENS1_27scan_by_key_config_selectorIitEEZZNS1_16scan_by_key_implILNS1_25lookback_scan_determinismE0ELb0ES3_N6thrust23THRUST_200600_302600_NS6detail15normal_iteratorINS9_10device_ptrIiEEEENSB_INSC_ItEEEESG_tNS9_4plusIvEENS9_8equal_toIvEEtEE10hipError_tPvRmT2_T3_T4_T5_mT6_T7_P12ihipStream_tbENKUlT_T0_E_clISt17integral_constantIbLb0EES11_EEDaSW_SX_EUlSW_E_NS1_11comp_targetILNS1_3genE8ELNS1_11target_archE1030ELNS1_3gpuE2ELNS1_3repE0EEENS1_30default_config_static_selectorELNS0_4arch9wavefront6targetE1EEEvT1_
    .private_segment_fixed_size: 0
    .sgpr_count:     4
    .sgpr_spill_count: 0
    .symbol:         _ZN7rocprim17ROCPRIM_400000_NS6detail17trampoline_kernelINS0_14default_configENS1_27scan_by_key_config_selectorIitEEZZNS1_16scan_by_key_implILNS1_25lookback_scan_determinismE0ELb0ES3_N6thrust23THRUST_200600_302600_NS6detail15normal_iteratorINS9_10device_ptrIiEEEENSB_INSC_ItEEEESG_tNS9_4plusIvEENS9_8equal_toIvEEtEE10hipError_tPvRmT2_T3_T4_T5_mT6_T7_P12ihipStream_tbENKUlT_T0_E_clISt17integral_constantIbLb0EES11_EEDaSW_SX_EUlSW_E_NS1_11comp_targetILNS1_3genE8ELNS1_11target_archE1030ELNS1_3gpuE2ELNS1_3repE0EEENS1_30default_config_static_selectorELNS0_4arch9wavefront6targetE1EEEvT1_.kd
    .uniform_work_group_size: 1
    .uses_dynamic_stack: false
    .vgpr_count:     0
    .vgpr_spill_count: 0
    .wavefront_size: 64
  - .agpr_count:     0
    .args:
      - .address_space:  global
        .offset:         0
        .size:           8
        .value_kind:     global_buffer
      - .offset:         8
        .size:           4
        .value_kind:     by_value
      - .offset:         12
        .size:           4
        .value_kind:     by_value
      - .address_space:  global
        .offset:         16
        .size:           8
        .value_kind:     global_buffer
      - .address_space:  global
        .offset:         24
        .size:           8
        .value_kind:     global_buffer
      - .actual_access:  write_only
        .address_space:  global
        .offset:         32
        .size:           8
        .value_kind:     global_buffer
      - .offset:         40
        .size:           8
        .value_kind:     by_value
      - .offset:         48
        .size:           4
        .value_kind:     by_value
      - .address_space:  global
        .offset:         56
        .size:           8
        .value_kind:     global_buffer
      - .offset:         64
        .size:           4
        .value_kind:     hidden_block_count_x
      - .offset:         68
        .size:           4
        .value_kind:     hidden_block_count_y
      - .offset:         72
        .size:           4
        .value_kind:     hidden_block_count_z
      - .offset:         76
        .size:           2
        .value_kind:     hidden_group_size_x
      - .offset:         78
        .size:           2
        .value_kind:     hidden_group_size_y
      - .offset:         80
        .size:           2
        .value_kind:     hidden_group_size_z
      - .offset:         82
        .size:           2
        .value_kind:     hidden_remainder_x
      - .offset:         84
        .size:           2
        .value_kind:     hidden_remainder_y
      - .offset:         86
        .size:           2
        .value_kind:     hidden_remainder_z
      - .offset:         104
        .size:           8
        .value_kind:     hidden_global_offset_x
      - .offset:         112
        .size:           8
        .value_kind:     hidden_global_offset_y
      - .offset:         120
        .size:           8
        .value_kind:     hidden_global_offset_z
      - .offset:         128
        .size:           2
        .value_kind:     hidden_grid_dims
    .group_segment_fixed_size: 0
    .kernarg_segment_align: 8
    .kernarg_segment_size: 320
    .language:       OpenCL C
    .language_version:
      - 2
      - 0
    .max_flat_workgroup_size: 256
    .name:           _ZN7rocprim17ROCPRIM_400000_NS6detail30init_device_scan_by_key_kernelINS1_19lookback_scan_stateINS0_5tupleIJtbEEELb1ELb1EEEN6thrust23THRUST_200600_302600_NS6detail15normal_iteratorINS8_10device_ptrIiEEEEjNS1_16block_id_wrapperIjLb1EEEEEvT_jjPNSG_10value_typeET0_PNSt15iterator_traitsISJ_E10value_typeEmT1_T2_
    .private_segment_fixed_size: 0
    .sgpr_count:     24
    .sgpr_spill_count: 0
    .symbol:         _ZN7rocprim17ROCPRIM_400000_NS6detail30init_device_scan_by_key_kernelINS1_19lookback_scan_stateINS0_5tupleIJtbEEELb1ELb1EEEN6thrust23THRUST_200600_302600_NS6detail15normal_iteratorINS8_10device_ptrIiEEEEjNS1_16block_id_wrapperIjLb1EEEEEvT_jjPNSG_10value_typeET0_PNSt15iterator_traitsISJ_E10value_typeEmT1_T2_.kd
    .uniform_work_group_size: 1
    .uses_dynamic_stack: false
    .vgpr_count:     10
    .vgpr_spill_count: 0
    .wavefront_size: 64
  - .agpr_count:     0
    .args:
      - .address_space:  global
        .offset:         0
        .size:           8
        .value_kind:     global_buffer
      - .offset:         8
        .size:           4
        .value_kind:     by_value
      - .offset:         12
        .size:           4
        .value_kind:     by_value
      - .address_space:  global
        .offset:         16
        .size:           8
        .value_kind:     global_buffer
      - .address_space:  global
        .offset:         24
        .size:           8
        .value_kind:     global_buffer
      - .offset:         32
        .size:           4
        .value_kind:     hidden_block_count_x
      - .offset:         36
        .size:           4
        .value_kind:     hidden_block_count_y
      - .offset:         40
        .size:           4
        .value_kind:     hidden_block_count_z
      - .offset:         44
        .size:           2
        .value_kind:     hidden_group_size_x
      - .offset:         46
        .size:           2
        .value_kind:     hidden_group_size_y
      - .offset:         48
        .size:           2
        .value_kind:     hidden_group_size_z
      - .offset:         50
        .size:           2
        .value_kind:     hidden_remainder_x
      - .offset:         52
        .size:           2
        .value_kind:     hidden_remainder_y
      - .offset:         54
        .size:           2
        .value_kind:     hidden_remainder_z
      - .offset:         72
        .size:           8
        .value_kind:     hidden_global_offset_x
      - .offset:         80
        .size:           8
        .value_kind:     hidden_global_offset_y
      - .offset:         88
        .size:           8
        .value_kind:     hidden_global_offset_z
      - .offset:         96
        .size:           2
        .value_kind:     hidden_grid_dims
    .group_segment_fixed_size: 0
    .kernarg_segment_align: 8
    .kernarg_segment_size: 288
    .language:       OpenCL C
    .language_version:
      - 2
      - 0
    .max_flat_workgroup_size: 256
    .name:           _ZN7rocprim17ROCPRIM_400000_NS6detail30init_device_scan_by_key_kernelINS1_19lookback_scan_stateINS0_5tupleIJtbEEELb1ELb1EEENS1_16block_id_wrapperIjLb1EEEEEvT_jjPNS9_10value_typeET0_
    .private_segment_fixed_size: 0
    .sgpr_count:     20
    .sgpr_spill_count: 0
    .symbol:         _ZN7rocprim17ROCPRIM_400000_NS6detail30init_device_scan_by_key_kernelINS1_19lookback_scan_stateINS0_5tupleIJtbEEELb1ELb1EEENS1_16block_id_wrapperIjLb1EEEEEvT_jjPNS9_10value_typeET0_.kd
    .uniform_work_group_size: 1
    .uses_dynamic_stack: false
    .vgpr_count:     6
    .vgpr_spill_count: 0
    .wavefront_size: 64
  - .agpr_count:     0
    .args:
      - .offset:         0
        .size:           112
        .value_kind:     by_value
    .group_segment_fixed_size: 0
    .kernarg_segment_align: 8
    .kernarg_segment_size: 112
    .language:       OpenCL C
    .language_version:
      - 2
      - 0
    .max_flat_workgroup_size: 256
    .name:           _ZN7rocprim17ROCPRIM_400000_NS6detail17trampoline_kernelINS0_14default_configENS1_27scan_by_key_config_selectorIitEEZZNS1_16scan_by_key_implILNS1_25lookback_scan_determinismE0ELb0ES3_N6thrust23THRUST_200600_302600_NS6detail15normal_iteratorINS9_10device_ptrIiEEEENSB_INSC_ItEEEESG_tNS9_4plusIvEENS9_8equal_toIvEEtEE10hipError_tPvRmT2_T3_T4_T5_mT6_T7_P12ihipStream_tbENKUlT_T0_E_clISt17integral_constantIbLb1EES11_EEDaSW_SX_EUlSW_E_NS1_11comp_targetILNS1_3genE0ELNS1_11target_archE4294967295ELNS1_3gpuE0ELNS1_3repE0EEENS1_30default_config_static_selectorELNS0_4arch9wavefront6targetE1EEEvT1_
    .private_segment_fixed_size: 0
    .sgpr_count:     4
    .sgpr_spill_count: 0
    .symbol:         _ZN7rocprim17ROCPRIM_400000_NS6detail17trampoline_kernelINS0_14default_configENS1_27scan_by_key_config_selectorIitEEZZNS1_16scan_by_key_implILNS1_25lookback_scan_determinismE0ELb0ES3_N6thrust23THRUST_200600_302600_NS6detail15normal_iteratorINS9_10device_ptrIiEEEENSB_INSC_ItEEEESG_tNS9_4plusIvEENS9_8equal_toIvEEtEE10hipError_tPvRmT2_T3_T4_T5_mT6_T7_P12ihipStream_tbENKUlT_T0_E_clISt17integral_constantIbLb1EES11_EEDaSW_SX_EUlSW_E_NS1_11comp_targetILNS1_3genE0ELNS1_11target_archE4294967295ELNS1_3gpuE0ELNS1_3repE0EEENS1_30default_config_static_selectorELNS0_4arch9wavefront6targetE1EEEvT1_.kd
    .uniform_work_group_size: 1
    .uses_dynamic_stack: false
    .vgpr_count:     0
    .vgpr_spill_count: 0
    .wavefront_size: 64
  - .agpr_count:     0
    .args:
      - .offset:         0
        .size:           112
        .value_kind:     by_value
    .group_segment_fixed_size: 0
    .kernarg_segment_align: 8
    .kernarg_segment_size: 112
    .language:       OpenCL C
    .language_version:
      - 2
      - 0
    .max_flat_workgroup_size: 256
    .name:           _ZN7rocprim17ROCPRIM_400000_NS6detail17trampoline_kernelINS0_14default_configENS1_27scan_by_key_config_selectorIitEEZZNS1_16scan_by_key_implILNS1_25lookback_scan_determinismE0ELb0ES3_N6thrust23THRUST_200600_302600_NS6detail15normal_iteratorINS9_10device_ptrIiEEEENSB_INSC_ItEEEESG_tNS9_4plusIvEENS9_8equal_toIvEEtEE10hipError_tPvRmT2_T3_T4_T5_mT6_T7_P12ihipStream_tbENKUlT_T0_E_clISt17integral_constantIbLb1EES11_EEDaSW_SX_EUlSW_E_NS1_11comp_targetILNS1_3genE10ELNS1_11target_archE1201ELNS1_3gpuE5ELNS1_3repE0EEENS1_30default_config_static_selectorELNS0_4arch9wavefront6targetE1EEEvT1_
    .private_segment_fixed_size: 0
    .sgpr_count:     4
    .sgpr_spill_count: 0
    .symbol:         _ZN7rocprim17ROCPRIM_400000_NS6detail17trampoline_kernelINS0_14default_configENS1_27scan_by_key_config_selectorIitEEZZNS1_16scan_by_key_implILNS1_25lookback_scan_determinismE0ELb0ES3_N6thrust23THRUST_200600_302600_NS6detail15normal_iteratorINS9_10device_ptrIiEEEENSB_INSC_ItEEEESG_tNS9_4plusIvEENS9_8equal_toIvEEtEE10hipError_tPvRmT2_T3_T4_T5_mT6_T7_P12ihipStream_tbENKUlT_T0_E_clISt17integral_constantIbLb1EES11_EEDaSW_SX_EUlSW_E_NS1_11comp_targetILNS1_3genE10ELNS1_11target_archE1201ELNS1_3gpuE5ELNS1_3repE0EEENS1_30default_config_static_selectorELNS0_4arch9wavefront6targetE1EEEvT1_.kd
    .uniform_work_group_size: 1
    .uses_dynamic_stack: false
    .vgpr_count:     0
    .vgpr_spill_count: 0
    .wavefront_size: 64
  - .agpr_count:     0
    .args:
      - .offset:         0
        .size:           112
        .value_kind:     by_value
    .group_segment_fixed_size: 0
    .kernarg_segment_align: 8
    .kernarg_segment_size: 112
    .language:       OpenCL C
    .language_version:
      - 2
      - 0
    .max_flat_workgroup_size: 256
    .name:           _ZN7rocprim17ROCPRIM_400000_NS6detail17trampoline_kernelINS0_14default_configENS1_27scan_by_key_config_selectorIitEEZZNS1_16scan_by_key_implILNS1_25lookback_scan_determinismE0ELb0ES3_N6thrust23THRUST_200600_302600_NS6detail15normal_iteratorINS9_10device_ptrIiEEEENSB_INSC_ItEEEESG_tNS9_4plusIvEENS9_8equal_toIvEEtEE10hipError_tPvRmT2_T3_T4_T5_mT6_T7_P12ihipStream_tbENKUlT_T0_E_clISt17integral_constantIbLb1EES11_EEDaSW_SX_EUlSW_E_NS1_11comp_targetILNS1_3genE5ELNS1_11target_archE942ELNS1_3gpuE9ELNS1_3repE0EEENS1_30default_config_static_selectorELNS0_4arch9wavefront6targetE1EEEvT1_
    .private_segment_fixed_size: 0
    .sgpr_count:     4
    .sgpr_spill_count: 0
    .symbol:         _ZN7rocprim17ROCPRIM_400000_NS6detail17trampoline_kernelINS0_14default_configENS1_27scan_by_key_config_selectorIitEEZZNS1_16scan_by_key_implILNS1_25lookback_scan_determinismE0ELb0ES3_N6thrust23THRUST_200600_302600_NS6detail15normal_iteratorINS9_10device_ptrIiEEEENSB_INSC_ItEEEESG_tNS9_4plusIvEENS9_8equal_toIvEEtEE10hipError_tPvRmT2_T3_T4_T5_mT6_T7_P12ihipStream_tbENKUlT_T0_E_clISt17integral_constantIbLb1EES11_EEDaSW_SX_EUlSW_E_NS1_11comp_targetILNS1_3genE5ELNS1_11target_archE942ELNS1_3gpuE9ELNS1_3repE0EEENS1_30default_config_static_selectorELNS0_4arch9wavefront6targetE1EEEvT1_.kd
    .uniform_work_group_size: 1
    .uses_dynamic_stack: false
    .vgpr_count:     0
    .vgpr_spill_count: 0
    .wavefront_size: 64
  - .agpr_count:     0
    .args:
      - .offset:         0
        .size:           112
        .value_kind:     by_value
    .group_segment_fixed_size: 6656
    .kernarg_segment_align: 8
    .kernarg_segment_size: 112
    .language:       OpenCL C
    .language_version:
      - 2
      - 0
    .max_flat_workgroup_size: 64
    .name:           _ZN7rocprim17ROCPRIM_400000_NS6detail17trampoline_kernelINS0_14default_configENS1_27scan_by_key_config_selectorIitEEZZNS1_16scan_by_key_implILNS1_25lookback_scan_determinismE0ELb0ES3_N6thrust23THRUST_200600_302600_NS6detail15normal_iteratorINS9_10device_ptrIiEEEENSB_INSC_ItEEEESG_tNS9_4plusIvEENS9_8equal_toIvEEtEE10hipError_tPvRmT2_T3_T4_T5_mT6_T7_P12ihipStream_tbENKUlT_T0_E_clISt17integral_constantIbLb1EES11_EEDaSW_SX_EUlSW_E_NS1_11comp_targetILNS1_3genE4ELNS1_11target_archE910ELNS1_3gpuE8ELNS1_3repE0EEENS1_30default_config_static_selectorELNS0_4arch9wavefront6targetE1EEEvT1_
    .private_segment_fixed_size: 0
    .sgpr_count:     91
    .sgpr_spill_count: 0
    .symbol:         _ZN7rocprim17ROCPRIM_400000_NS6detail17trampoline_kernelINS0_14default_configENS1_27scan_by_key_config_selectorIitEEZZNS1_16scan_by_key_implILNS1_25lookback_scan_determinismE0ELb0ES3_N6thrust23THRUST_200600_302600_NS6detail15normal_iteratorINS9_10device_ptrIiEEEENSB_INSC_ItEEEESG_tNS9_4plusIvEENS9_8equal_toIvEEtEE10hipError_tPvRmT2_T3_T4_T5_mT6_T7_P12ihipStream_tbENKUlT_T0_E_clISt17integral_constantIbLb1EES11_EEDaSW_SX_EUlSW_E_NS1_11comp_targetILNS1_3genE4ELNS1_11target_archE910ELNS1_3gpuE8ELNS1_3repE0EEENS1_30default_config_static_selectorELNS0_4arch9wavefront6targetE1EEEvT1_.kd
    .uniform_work_group_size: 1
    .uses_dynamic_stack: false
    .vgpr_count:     58
    .vgpr_spill_count: 0
    .wavefront_size: 64
  - .agpr_count:     0
    .args:
      - .offset:         0
        .size:           112
        .value_kind:     by_value
    .group_segment_fixed_size: 0
    .kernarg_segment_align: 8
    .kernarg_segment_size: 112
    .language:       OpenCL C
    .language_version:
      - 2
      - 0
    .max_flat_workgroup_size: 256
    .name:           _ZN7rocprim17ROCPRIM_400000_NS6detail17trampoline_kernelINS0_14default_configENS1_27scan_by_key_config_selectorIitEEZZNS1_16scan_by_key_implILNS1_25lookback_scan_determinismE0ELb0ES3_N6thrust23THRUST_200600_302600_NS6detail15normal_iteratorINS9_10device_ptrIiEEEENSB_INSC_ItEEEESG_tNS9_4plusIvEENS9_8equal_toIvEEtEE10hipError_tPvRmT2_T3_T4_T5_mT6_T7_P12ihipStream_tbENKUlT_T0_E_clISt17integral_constantIbLb1EES11_EEDaSW_SX_EUlSW_E_NS1_11comp_targetILNS1_3genE3ELNS1_11target_archE908ELNS1_3gpuE7ELNS1_3repE0EEENS1_30default_config_static_selectorELNS0_4arch9wavefront6targetE1EEEvT1_
    .private_segment_fixed_size: 0
    .sgpr_count:     4
    .sgpr_spill_count: 0
    .symbol:         _ZN7rocprim17ROCPRIM_400000_NS6detail17trampoline_kernelINS0_14default_configENS1_27scan_by_key_config_selectorIitEEZZNS1_16scan_by_key_implILNS1_25lookback_scan_determinismE0ELb0ES3_N6thrust23THRUST_200600_302600_NS6detail15normal_iteratorINS9_10device_ptrIiEEEENSB_INSC_ItEEEESG_tNS9_4plusIvEENS9_8equal_toIvEEtEE10hipError_tPvRmT2_T3_T4_T5_mT6_T7_P12ihipStream_tbENKUlT_T0_E_clISt17integral_constantIbLb1EES11_EEDaSW_SX_EUlSW_E_NS1_11comp_targetILNS1_3genE3ELNS1_11target_archE908ELNS1_3gpuE7ELNS1_3repE0EEENS1_30default_config_static_selectorELNS0_4arch9wavefront6targetE1EEEvT1_.kd
    .uniform_work_group_size: 1
    .uses_dynamic_stack: false
    .vgpr_count:     0
    .vgpr_spill_count: 0
    .wavefront_size: 64
  - .agpr_count:     0
    .args:
      - .offset:         0
        .size:           112
        .value_kind:     by_value
    .group_segment_fixed_size: 0
    .kernarg_segment_align: 8
    .kernarg_segment_size: 112
    .language:       OpenCL C
    .language_version:
      - 2
      - 0
    .max_flat_workgroup_size: 64
    .name:           _ZN7rocprim17ROCPRIM_400000_NS6detail17trampoline_kernelINS0_14default_configENS1_27scan_by_key_config_selectorIitEEZZNS1_16scan_by_key_implILNS1_25lookback_scan_determinismE0ELb0ES3_N6thrust23THRUST_200600_302600_NS6detail15normal_iteratorINS9_10device_ptrIiEEEENSB_INSC_ItEEEESG_tNS9_4plusIvEENS9_8equal_toIvEEtEE10hipError_tPvRmT2_T3_T4_T5_mT6_T7_P12ihipStream_tbENKUlT_T0_E_clISt17integral_constantIbLb1EES11_EEDaSW_SX_EUlSW_E_NS1_11comp_targetILNS1_3genE2ELNS1_11target_archE906ELNS1_3gpuE6ELNS1_3repE0EEENS1_30default_config_static_selectorELNS0_4arch9wavefront6targetE1EEEvT1_
    .private_segment_fixed_size: 0
    .sgpr_count:     4
    .sgpr_spill_count: 0
    .symbol:         _ZN7rocprim17ROCPRIM_400000_NS6detail17trampoline_kernelINS0_14default_configENS1_27scan_by_key_config_selectorIitEEZZNS1_16scan_by_key_implILNS1_25lookback_scan_determinismE0ELb0ES3_N6thrust23THRUST_200600_302600_NS6detail15normal_iteratorINS9_10device_ptrIiEEEENSB_INSC_ItEEEESG_tNS9_4plusIvEENS9_8equal_toIvEEtEE10hipError_tPvRmT2_T3_T4_T5_mT6_T7_P12ihipStream_tbENKUlT_T0_E_clISt17integral_constantIbLb1EES11_EEDaSW_SX_EUlSW_E_NS1_11comp_targetILNS1_3genE2ELNS1_11target_archE906ELNS1_3gpuE6ELNS1_3repE0EEENS1_30default_config_static_selectorELNS0_4arch9wavefront6targetE1EEEvT1_.kd
    .uniform_work_group_size: 1
    .uses_dynamic_stack: false
    .vgpr_count:     0
    .vgpr_spill_count: 0
    .wavefront_size: 64
  - .agpr_count:     0
    .args:
      - .offset:         0
        .size:           112
        .value_kind:     by_value
    .group_segment_fixed_size: 0
    .kernarg_segment_align: 8
    .kernarg_segment_size: 112
    .language:       OpenCL C
    .language_version:
      - 2
      - 0
    .max_flat_workgroup_size: 256
    .name:           _ZN7rocprim17ROCPRIM_400000_NS6detail17trampoline_kernelINS0_14default_configENS1_27scan_by_key_config_selectorIitEEZZNS1_16scan_by_key_implILNS1_25lookback_scan_determinismE0ELb0ES3_N6thrust23THRUST_200600_302600_NS6detail15normal_iteratorINS9_10device_ptrIiEEEENSB_INSC_ItEEEESG_tNS9_4plusIvEENS9_8equal_toIvEEtEE10hipError_tPvRmT2_T3_T4_T5_mT6_T7_P12ihipStream_tbENKUlT_T0_E_clISt17integral_constantIbLb1EES11_EEDaSW_SX_EUlSW_E_NS1_11comp_targetILNS1_3genE10ELNS1_11target_archE1200ELNS1_3gpuE4ELNS1_3repE0EEENS1_30default_config_static_selectorELNS0_4arch9wavefront6targetE1EEEvT1_
    .private_segment_fixed_size: 0
    .sgpr_count:     4
    .sgpr_spill_count: 0
    .symbol:         _ZN7rocprim17ROCPRIM_400000_NS6detail17trampoline_kernelINS0_14default_configENS1_27scan_by_key_config_selectorIitEEZZNS1_16scan_by_key_implILNS1_25lookback_scan_determinismE0ELb0ES3_N6thrust23THRUST_200600_302600_NS6detail15normal_iteratorINS9_10device_ptrIiEEEENSB_INSC_ItEEEESG_tNS9_4plusIvEENS9_8equal_toIvEEtEE10hipError_tPvRmT2_T3_T4_T5_mT6_T7_P12ihipStream_tbENKUlT_T0_E_clISt17integral_constantIbLb1EES11_EEDaSW_SX_EUlSW_E_NS1_11comp_targetILNS1_3genE10ELNS1_11target_archE1200ELNS1_3gpuE4ELNS1_3repE0EEENS1_30default_config_static_selectorELNS0_4arch9wavefront6targetE1EEEvT1_.kd
    .uniform_work_group_size: 1
    .uses_dynamic_stack: false
    .vgpr_count:     0
    .vgpr_spill_count: 0
    .wavefront_size: 64
  - .agpr_count:     0
    .args:
      - .offset:         0
        .size:           112
        .value_kind:     by_value
    .group_segment_fixed_size: 0
    .kernarg_segment_align: 8
    .kernarg_segment_size: 112
    .language:       OpenCL C
    .language_version:
      - 2
      - 0
    .max_flat_workgroup_size: 64
    .name:           _ZN7rocprim17ROCPRIM_400000_NS6detail17trampoline_kernelINS0_14default_configENS1_27scan_by_key_config_selectorIitEEZZNS1_16scan_by_key_implILNS1_25lookback_scan_determinismE0ELb0ES3_N6thrust23THRUST_200600_302600_NS6detail15normal_iteratorINS9_10device_ptrIiEEEENSB_INSC_ItEEEESG_tNS9_4plusIvEENS9_8equal_toIvEEtEE10hipError_tPvRmT2_T3_T4_T5_mT6_T7_P12ihipStream_tbENKUlT_T0_E_clISt17integral_constantIbLb1EES11_EEDaSW_SX_EUlSW_E_NS1_11comp_targetILNS1_3genE9ELNS1_11target_archE1100ELNS1_3gpuE3ELNS1_3repE0EEENS1_30default_config_static_selectorELNS0_4arch9wavefront6targetE1EEEvT1_
    .private_segment_fixed_size: 0
    .sgpr_count:     4
    .sgpr_spill_count: 0
    .symbol:         _ZN7rocprim17ROCPRIM_400000_NS6detail17trampoline_kernelINS0_14default_configENS1_27scan_by_key_config_selectorIitEEZZNS1_16scan_by_key_implILNS1_25lookback_scan_determinismE0ELb0ES3_N6thrust23THRUST_200600_302600_NS6detail15normal_iteratorINS9_10device_ptrIiEEEENSB_INSC_ItEEEESG_tNS9_4plusIvEENS9_8equal_toIvEEtEE10hipError_tPvRmT2_T3_T4_T5_mT6_T7_P12ihipStream_tbENKUlT_T0_E_clISt17integral_constantIbLb1EES11_EEDaSW_SX_EUlSW_E_NS1_11comp_targetILNS1_3genE9ELNS1_11target_archE1100ELNS1_3gpuE3ELNS1_3repE0EEENS1_30default_config_static_selectorELNS0_4arch9wavefront6targetE1EEEvT1_.kd
    .uniform_work_group_size: 1
    .uses_dynamic_stack: false
    .vgpr_count:     0
    .vgpr_spill_count: 0
    .wavefront_size: 64
  - .agpr_count:     0
    .args:
      - .offset:         0
        .size:           112
        .value_kind:     by_value
    .group_segment_fixed_size: 0
    .kernarg_segment_align: 8
    .kernarg_segment_size: 112
    .language:       OpenCL C
    .language_version:
      - 2
      - 0
    .max_flat_workgroup_size: 64
    .name:           _ZN7rocprim17ROCPRIM_400000_NS6detail17trampoline_kernelINS0_14default_configENS1_27scan_by_key_config_selectorIitEEZZNS1_16scan_by_key_implILNS1_25lookback_scan_determinismE0ELb0ES3_N6thrust23THRUST_200600_302600_NS6detail15normal_iteratorINS9_10device_ptrIiEEEENSB_INSC_ItEEEESG_tNS9_4plusIvEENS9_8equal_toIvEEtEE10hipError_tPvRmT2_T3_T4_T5_mT6_T7_P12ihipStream_tbENKUlT_T0_E_clISt17integral_constantIbLb1EES11_EEDaSW_SX_EUlSW_E_NS1_11comp_targetILNS1_3genE8ELNS1_11target_archE1030ELNS1_3gpuE2ELNS1_3repE0EEENS1_30default_config_static_selectorELNS0_4arch9wavefront6targetE1EEEvT1_
    .private_segment_fixed_size: 0
    .sgpr_count:     4
    .sgpr_spill_count: 0
    .symbol:         _ZN7rocprim17ROCPRIM_400000_NS6detail17trampoline_kernelINS0_14default_configENS1_27scan_by_key_config_selectorIitEEZZNS1_16scan_by_key_implILNS1_25lookback_scan_determinismE0ELb0ES3_N6thrust23THRUST_200600_302600_NS6detail15normal_iteratorINS9_10device_ptrIiEEEENSB_INSC_ItEEEESG_tNS9_4plusIvEENS9_8equal_toIvEEtEE10hipError_tPvRmT2_T3_T4_T5_mT6_T7_P12ihipStream_tbENKUlT_T0_E_clISt17integral_constantIbLb1EES11_EEDaSW_SX_EUlSW_E_NS1_11comp_targetILNS1_3genE8ELNS1_11target_archE1030ELNS1_3gpuE2ELNS1_3repE0EEENS1_30default_config_static_selectorELNS0_4arch9wavefront6targetE1EEEvT1_.kd
    .uniform_work_group_size: 1
    .uses_dynamic_stack: false
    .vgpr_count:     0
    .vgpr_spill_count: 0
    .wavefront_size: 64
  - .agpr_count:     0
    .args:
      - .address_space:  global
        .offset:         0
        .size:           8
        .value_kind:     global_buffer
      - .offset:         8
        .size:           4
        .value_kind:     by_value
      - .offset:         12
        .size:           4
        .value_kind:     by_value
      - .address_space:  global
        .offset:         16
        .size:           8
        .value_kind:     global_buffer
      - .address_space:  global
        .offset:         24
        .size:           8
        .value_kind:     global_buffer
      - .actual_access:  write_only
        .address_space:  global
        .offset:         32
        .size:           8
        .value_kind:     global_buffer
      - .offset:         40
        .size:           8
        .value_kind:     by_value
      - .offset:         48
        .size:           4
        .value_kind:     by_value
      - .offset:         52
        .size:           1
        .value_kind:     by_value
      - .offset:         56
        .size:           4
        .value_kind:     hidden_block_count_x
      - .offset:         60
        .size:           4
        .value_kind:     hidden_block_count_y
      - .offset:         64
        .size:           4
        .value_kind:     hidden_block_count_z
      - .offset:         68
        .size:           2
        .value_kind:     hidden_group_size_x
      - .offset:         70
        .size:           2
        .value_kind:     hidden_group_size_y
      - .offset:         72
        .size:           2
        .value_kind:     hidden_group_size_z
      - .offset:         74
        .size:           2
        .value_kind:     hidden_remainder_x
      - .offset:         76
        .size:           2
        .value_kind:     hidden_remainder_y
      - .offset:         78
        .size:           2
        .value_kind:     hidden_remainder_z
      - .offset:         96
        .size:           8
        .value_kind:     hidden_global_offset_x
      - .offset:         104
        .size:           8
        .value_kind:     hidden_global_offset_y
      - .offset:         112
        .size:           8
        .value_kind:     hidden_global_offset_z
      - .offset:         120
        .size:           2
        .value_kind:     hidden_grid_dims
    .group_segment_fixed_size: 0
    .kernarg_segment_align: 8
    .kernarg_segment_size: 312
    .language:       OpenCL C
    .language_version:
      - 2
      - 0
    .max_flat_workgroup_size: 256
    .name:           _ZN7rocprim17ROCPRIM_400000_NS6detail30init_device_scan_by_key_kernelINS1_19lookback_scan_stateINS0_5tupleIJtbEEELb1ELb1EEEN6thrust23THRUST_200600_302600_NS6detail15normal_iteratorINS8_10device_ptrIiEEEEjNS1_16block_id_wrapperIjLb0EEEEEvT_jjPNSG_10value_typeET0_PNSt15iterator_traitsISJ_E10value_typeEmT1_T2_
    .private_segment_fixed_size: 0
    .sgpr_count:     24
    .sgpr_spill_count: 0
    .symbol:         _ZN7rocprim17ROCPRIM_400000_NS6detail30init_device_scan_by_key_kernelINS1_19lookback_scan_stateINS0_5tupleIJtbEEELb1ELb1EEEN6thrust23THRUST_200600_302600_NS6detail15normal_iteratorINS8_10device_ptrIiEEEEjNS1_16block_id_wrapperIjLb0EEEEEvT_jjPNSG_10value_typeET0_PNSt15iterator_traitsISJ_E10value_typeEmT1_T2_.kd
    .uniform_work_group_size: 1
    .uses_dynamic_stack: false
    .vgpr_count:     10
    .vgpr_spill_count: 0
    .wavefront_size: 64
  - .agpr_count:     0
    .args:
      - .address_space:  global
        .offset:         0
        .size:           8
        .value_kind:     global_buffer
      - .offset:         8
        .size:           4
        .value_kind:     by_value
      - .offset:         12
        .size:           4
        .value_kind:     by_value
      - .address_space:  global
        .offset:         16
        .size:           8
        .value_kind:     global_buffer
      - .offset:         24
        .size:           1
        .value_kind:     by_value
      - .offset:         32
        .size:           4
        .value_kind:     hidden_block_count_x
      - .offset:         36
        .size:           4
        .value_kind:     hidden_block_count_y
      - .offset:         40
        .size:           4
        .value_kind:     hidden_block_count_z
      - .offset:         44
        .size:           2
        .value_kind:     hidden_group_size_x
      - .offset:         46
        .size:           2
        .value_kind:     hidden_group_size_y
      - .offset:         48
        .size:           2
        .value_kind:     hidden_group_size_z
      - .offset:         50
        .size:           2
        .value_kind:     hidden_remainder_x
      - .offset:         52
        .size:           2
        .value_kind:     hidden_remainder_y
      - .offset:         54
        .size:           2
        .value_kind:     hidden_remainder_z
      - .offset:         72
        .size:           8
        .value_kind:     hidden_global_offset_x
      - .offset:         80
        .size:           8
        .value_kind:     hidden_global_offset_y
      - .offset:         88
        .size:           8
        .value_kind:     hidden_global_offset_z
      - .offset:         96
        .size:           2
        .value_kind:     hidden_grid_dims
    .group_segment_fixed_size: 0
    .kernarg_segment_align: 8
    .kernarg_segment_size: 288
    .language:       OpenCL C
    .language_version:
      - 2
      - 0
    .max_flat_workgroup_size: 256
    .name:           _ZN7rocprim17ROCPRIM_400000_NS6detail30init_device_scan_by_key_kernelINS1_19lookback_scan_stateINS0_5tupleIJtbEEELb1ELb1EEENS1_16block_id_wrapperIjLb0EEEEEvT_jjPNS9_10value_typeET0_
    .private_segment_fixed_size: 0
    .sgpr_count:     16
    .sgpr_spill_count: 0
    .symbol:         _ZN7rocprim17ROCPRIM_400000_NS6detail30init_device_scan_by_key_kernelINS1_19lookback_scan_stateINS0_5tupleIJtbEEELb1ELb1EEENS1_16block_id_wrapperIjLb0EEEEEvT_jjPNS9_10value_typeET0_.kd
    .uniform_work_group_size: 1
    .uses_dynamic_stack: false
    .vgpr_count:     6
    .vgpr_spill_count: 0
    .wavefront_size: 64
  - .agpr_count:     0
    .args:
      - .offset:         0
        .size:           112
        .value_kind:     by_value
    .group_segment_fixed_size: 0
    .kernarg_segment_align: 8
    .kernarg_segment_size: 112
    .language:       OpenCL C
    .language_version:
      - 2
      - 0
    .max_flat_workgroup_size: 256
    .name:           _ZN7rocprim17ROCPRIM_400000_NS6detail17trampoline_kernelINS0_14default_configENS1_27scan_by_key_config_selectorIitEEZZNS1_16scan_by_key_implILNS1_25lookback_scan_determinismE0ELb0ES3_N6thrust23THRUST_200600_302600_NS6detail15normal_iteratorINS9_10device_ptrIiEEEENSB_INSC_ItEEEESG_tNS9_4plusIvEENS9_8equal_toIvEEtEE10hipError_tPvRmT2_T3_T4_T5_mT6_T7_P12ihipStream_tbENKUlT_T0_E_clISt17integral_constantIbLb1EES10_IbLb0EEEEDaSW_SX_EUlSW_E_NS1_11comp_targetILNS1_3genE0ELNS1_11target_archE4294967295ELNS1_3gpuE0ELNS1_3repE0EEENS1_30default_config_static_selectorELNS0_4arch9wavefront6targetE1EEEvT1_
    .private_segment_fixed_size: 0
    .sgpr_count:     4
    .sgpr_spill_count: 0
    .symbol:         _ZN7rocprim17ROCPRIM_400000_NS6detail17trampoline_kernelINS0_14default_configENS1_27scan_by_key_config_selectorIitEEZZNS1_16scan_by_key_implILNS1_25lookback_scan_determinismE0ELb0ES3_N6thrust23THRUST_200600_302600_NS6detail15normal_iteratorINS9_10device_ptrIiEEEENSB_INSC_ItEEEESG_tNS9_4plusIvEENS9_8equal_toIvEEtEE10hipError_tPvRmT2_T3_T4_T5_mT6_T7_P12ihipStream_tbENKUlT_T0_E_clISt17integral_constantIbLb1EES10_IbLb0EEEEDaSW_SX_EUlSW_E_NS1_11comp_targetILNS1_3genE0ELNS1_11target_archE4294967295ELNS1_3gpuE0ELNS1_3repE0EEENS1_30default_config_static_selectorELNS0_4arch9wavefront6targetE1EEEvT1_.kd
    .uniform_work_group_size: 1
    .uses_dynamic_stack: false
    .vgpr_count:     0
    .vgpr_spill_count: 0
    .wavefront_size: 64
  - .agpr_count:     0
    .args:
      - .offset:         0
        .size:           112
        .value_kind:     by_value
    .group_segment_fixed_size: 0
    .kernarg_segment_align: 8
    .kernarg_segment_size: 112
    .language:       OpenCL C
    .language_version:
      - 2
      - 0
    .max_flat_workgroup_size: 256
    .name:           _ZN7rocprim17ROCPRIM_400000_NS6detail17trampoline_kernelINS0_14default_configENS1_27scan_by_key_config_selectorIitEEZZNS1_16scan_by_key_implILNS1_25lookback_scan_determinismE0ELb0ES3_N6thrust23THRUST_200600_302600_NS6detail15normal_iteratorINS9_10device_ptrIiEEEENSB_INSC_ItEEEESG_tNS9_4plusIvEENS9_8equal_toIvEEtEE10hipError_tPvRmT2_T3_T4_T5_mT6_T7_P12ihipStream_tbENKUlT_T0_E_clISt17integral_constantIbLb1EES10_IbLb0EEEEDaSW_SX_EUlSW_E_NS1_11comp_targetILNS1_3genE10ELNS1_11target_archE1201ELNS1_3gpuE5ELNS1_3repE0EEENS1_30default_config_static_selectorELNS0_4arch9wavefront6targetE1EEEvT1_
    .private_segment_fixed_size: 0
    .sgpr_count:     4
    .sgpr_spill_count: 0
    .symbol:         _ZN7rocprim17ROCPRIM_400000_NS6detail17trampoline_kernelINS0_14default_configENS1_27scan_by_key_config_selectorIitEEZZNS1_16scan_by_key_implILNS1_25lookback_scan_determinismE0ELb0ES3_N6thrust23THRUST_200600_302600_NS6detail15normal_iteratorINS9_10device_ptrIiEEEENSB_INSC_ItEEEESG_tNS9_4plusIvEENS9_8equal_toIvEEtEE10hipError_tPvRmT2_T3_T4_T5_mT6_T7_P12ihipStream_tbENKUlT_T0_E_clISt17integral_constantIbLb1EES10_IbLb0EEEEDaSW_SX_EUlSW_E_NS1_11comp_targetILNS1_3genE10ELNS1_11target_archE1201ELNS1_3gpuE5ELNS1_3repE0EEENS1_30default_config_static_selectorELNS0_4arch9wavefront6targetE1EEEvT1_.kd
    .uniform_work_group_size: 1
    .uses_dynamic_stack: false
    .vgpr_count:     0
    .vgpr_spill_count: 0
    .wavefront_size: 64
  - .agpr_count:     0
    .args:
      - .offset:         0
        .size:           112
        .value_kind:     by_value
    .group_segment_fixed_size: 0
    .kernarg_segment_align: 8
    .kernarg_segment_size: 112
    .language:       OpenCL C
    .language_version:
      - 2
      - 0
    .max_flat_workgroup_size: 256
    .name:           _ZN7rocprim17ROCPRIM_400000_NS6detail17trampoline_kernelINS0_14default_configENS1_27scan_by_key_config_selectorIitEEZZNS1_16scan_by_key_implILNS1_25lookback_scan_determinismE0ELb0ES3_N6thrust23THRUST_200600_302600_NS6detail15normal_iteratorINS9_10device_ptrIiEEEENSB_INSC_ItEEEESG_tNS9_4plusIvEENS9_8equal_toIvEEtEE10hipError_tPvRmT2_T3_T4_T5_mT6_T7_P12ihipStream_tbENKUlT_T0_E_clISt17integral_constantIbLb1EES10_IbLb0EEEEDaSW_SX_EUlSW_E_NS1_11comp_targetILNS1_3genE5ELNS1_11target_archE942ELNS1_3gpuE9ELNS1_3repE0EEENS1_30default_config_static_selectorELNS0_4arch9wavefront6targetE1EEEvT1_
    .private_segment_fixed_size: 0
    .sgpr_count:     4
    .sgpr_spill_count: 0
    .symbol:         _ZN7rocprim17ROCPRIM_400000_NS6detail17trampoline_kernelINS0_14default_configENS1_27scan_by_key_config_selectorIitEEZZNS1_16scan_by_key_implILNS1_25lookback_scan_determinismE0ELb0ES3_N6thrust23THRUST_200600_302600_NS6detail15normal_iteratorINS9_10device_ptrIiEEEENSB_INSC_ItEEEESG_tNS9_4plusIvEENS9_8equal_toIvEEtEE10hipError_tPvRmT2_T3_T4_T5_mT6_T7_P12ihipStream_tbENKUlT_T0_E_clISt17integral_constantIbLb1EES10_IbLb0EEEEDaSW_SX_EUlSW_E_NS1_11comp_targetILNS1_3genE5ELNS1_11target_archE942ELNS1_3gpuE9ELNS1_3repE0EEENS1_30default_config_static_selectorELNS0_4arch9wavefront6targetE1EEEvT1_.kd
    .uniform_work_group_size: 1
    .uses_dynamic_stack: false
    .vgpr_count:     0
    .vgpr_spill_count: 0
    .wavefront_size: 64
  - .agpr_count:     0
    .args:
      - .offset:         0
        .size:           112
        .value_kind:     by_value
    .group_segment_fixed_size: 6656
    .kernarg_segment_align: 8
    .kernarg_segment_size: 112
    .language:       OpenCL C
    .language_version:
      - 2
      - 0
    .max_flat_workgroup_size: 64
    .name:           _ZN7rocprim17ROCPRIM_400000_NS6detail17trampoline_kernelINS0_14default_configENS1_27scan_by_key_config_selectorIitEEZZNS1_16scan_by_key_implILNS1_25lookback_scan_determinismE0ELb0ES3_N6thrust23THRUST_200600_302600_NS6detail15normal_iteratorINS9_10device_ptrIiEEEENSB_INSC_ItEEEESG_tNS9_4plusIvEENS9_8equal_toIvEEtEE10hipError_tPvRmT2_T3_T4_T5_mT6_T7_P12ihipStream_tbENKUlT_T0_E_clISt17integral_constantIbLb1EES10_IbLb0EEEEDaSW_SX_EUlSW_E_NS1_11comp_targetILNS1_3genE4ELNS1_11target_archE910ELNS1_3gpuE8ELNS1_3repE0EEENS1_30default_config_static_selectorELNS0_4arch9wavefront6targetE1EEEvT1_
    .private_segment_fixed_size: 0
    .sgpr_count:     87
    .sgpr_spill_count: 0
    .symbol:         _ZN7rocprim17ROCPRIM_400000_NS6detail17trampoline_kernelINS0_14default_configENS1_27scan_by_key_config_selectorIitEEZZNS1_16scan_by_key_implILNS1_25lookback_scan_determinismE0ELb0ES3_N6thrust23THRUST_200600_302600_NS6detail15normal_iteratorINS9_10device_ptrIiEEEENSB_INSC_ItEEEESG_tNS9_4plusIvEENS9_8equal_toIvEEtEE10hipError_tPvRmT2_T3_T4_T5_mT6_T7_P12ihipStream_tbENKUlT_T0_E_clISt17integral_constantIbLb1EES10_IbLb0EEEEDaSW_SX_EUlSW_E_NS1_11comp_targetILNS1_3genE4ELNS1_11target_archE910ELNS1_3gpuE8ELNS1_3repE0EEENS1_30default_config_static_selectorELNS0_4arch9wavefront6targetE1EEEvT1_.kd
    .uniform_work_group_size: 1
    .uses_dynamic_stack: false
    .vgpr_count:     58
    .vgpr_spill_count: 0
    .wavefront_size: 64
  - .agpr_count:     0
    .args:
      - .offset:         0
        .size:           112
        .value_kind:     by_value
    .group_segment_fixed_size: 0
    .kernarg_segment_align: 8
    .kernarg_segment_size: 112
    .language:       OpenCL C
    .language_version:
      - 2
      - 0
    .max_flat_workgroup_size: 256
    .name:           _ZN7rocprim17ROCPRIM_400000_NS6detail17trampoline_kernelINS0_14default_configENS1_27scan_by_key_config_selectorIitEEZZNS1_16scan_by_key_implILNS1_25lookback_scan_determinismE0ELb0ES3_N6thrust23THRUST_200600_302600_NS6detail15normal_iteratorINS9_10device_ptrIiEEEENSB_INSC_ItEEEESG_tNS9_4plusIvEENS9_8equal_toIvEEtEE10hipError_tPvRmT2_T3_T4_T5_mT6_T7_P12ihipStream_tbENKUlT_T0_E_clISt17integral_constantIbLb1EES10_IbLb0EEEEDaSW_SX_EUlSW_E_NS1_11comp_targetILNS1_3genE3ELNS1_11target_archE908ELNS1_3gpuE7ELNS1_3repE0EEENS1_30default_config_static_selectorELNS0_4arch9wavefront6targetE1EEEvT1_
    .private_segment_fixed_size: 0
    .sgpr_count:     4
    .sgpr_spill_count: 0
    .symbol:         _ZN7rocprim17ROCPRIM_400000_NS6detail17trampoline_kernelINS0_14default_configENS1_27scan_by_key_config_selectorIitEEZZNS1_16scan_by_key_implILNS1_25lookback_scan_determinismE0ELb0ES3_N6thrust23THRUST_200600_302600_NS6detail15normal_iteratorINS9_10device_ptrIiEEEENSB_INSC_ItEEEESG_tNS9_4plusIvEENS9_8equal_toIvEEtEE10hipError_tPvRmT2_T3_T4_T5_mT6_T7_P12ihipStream_tbENKUlT_T0_E_clISt17integral_constantIbLb1EES10_IbLb0EEEEDaSW_SX_EUlSW_E_NS1_11comp_targetILNS1_3genE3ELNS1_11target_archE908ELNS1_3gpuE7ELNS1_3repE0EEENS1_30default_config_static_selectorELNS0_4arch9wavefront6targetE1EEEvT1_.kd
    .uniform_work_group_size: 1
    .uses_dynamic_stack: false
    .vgpr_count:     0
    .vgpr_spill_count: 0
    .wavefront_size: 64
  - .agpr_count:     0
    .args:
      - .offset:         0
        .size:           112
        .value_kind:     by_value
    .group_segment_fixed_size: 0
    .kernarg_segment_align: 8
    .kernarg_segment_size: 112
    .language:       OpenCL C
    .language_version:
      - 2
      - 0
    .max_flat_workgroup_size: 64
    .name:           _ZN7rocprim17ROCPRIM_400000_NS6detail17trampoline_kernelINS0_14default_configENS1_27scan_by_key_config_selectorIitEEZZNS1_16scan_by_key_implILNS1_25lookback_scan_determinismE0ELb0ES3_N6thrust23THRUST_200600_302600_NS6detail15normal_iteratorINS9_10device_ptrIiEEEENSB_INSC_ItEEEESG_tNS9_4plusIvEENS9_8equal_toIvEEtEE10hipError_tPvRmT2_T3_T4_T5_mT6_T7_P12ihipStream_tbENKUlT_T0_E_clISt17integral_constantIbLb1EES10_IbLb0EEEEDaSW_SX_EUlSW_E_NS1_11comp_targetILNS1_3genE2ELNS1_11target_archE906ELNS1_3gpuE6ELNS1_3repE0EEENS1_30default_config_static_selectorELNS0_4arch9wavefront6targetE1EEEvT1_
    .private_segment_fixed_size: 0
    .sgpr_count:     4
    .sgpr_spill_count: 0
    .symbol:         _ZN7rocprim17ROCPRIM_400000_NS6detail17trampoline_kernelINS0_14default_configENS1_27scan_by_key_config_selectorIitEEZZNS1_16scan_by_key_implILNS1_25lookback_scan_determinismE0ELb0ES3_N6thrust23THRUST_200600_302600_NS6detail15normal_iteratorINS9_10device_ptrIiEEEENSB_INSC_ItEEEESG_tNS9_4plusIvEENS9_8equal_toIvEEtEE10hipError_tPvRmT2_T3_T4_T5_mT6_T7_P12ihipStream_tbENKUlT_T0_E_clISt17integral_constantIbLb1EES10_IbLb0EEEEDaSW_SX_EUlSW_E_NS1_11comp_targetILNS1_3genE2ELNS1_11target_archE906ELNS1_3gpuE6ELNS1_3repE0EEENS1_30default_config_static_selectorELNS0_4arch9wavefront6targetE1EEEvT1_.kd
    .uniform_work_group_size: 1
    .uses_dynamic_stack: false
    .vgpr_count:     0
    .vgpr_spill_count: 0
    .wavefront_size: 64
  - .agpr_count:     0
    .args:
      - .offset:         0
        .size:           112
        .value_kind:     by_value
    .group_segment_fixed_size: 0
    .kernarg_segment_align: 8
    .kernarg_segment_size: 112
    .language:       OpenCL C
    .language_version:
      - 2
      - 0
    .max_flat_workgroup_size: 256
    .name:           _ZN7rocprim17ROCPRIM_400000_NS6detail17trampoline_kernelINS0_14default_configENS1_27scan_by_key_config_selectorIitEEZZNS1_16scan_by_key_implILNS1_25lookback_scan_determinismE0ELb0ES3_N6thrust23THRUST_200600_302600_NS6detail15normal_iteratorINS9_10device_ptrIiEEEENSB_INSC_ItEEEESG_tNS9_4plusIvEENS9_8equal_toIvEEtEE10hipError_tPvRmT2_T3_T4_T5_mT6_T7_P12ihipStream_tbENKUlT_T0_E_clISt17integral_constantIbLb1EES10_IbLb0EEEEDaSW_SX_EUlSW_E_NS1_11comp_targetILNS1_3genE10ELNS1_11target_archE1200ELNS1_3gpuE4ELNS1_3repE0EEENS1_30default_config_static_selectorELNS0_4arch9wavefront6targetE1EEEvT1_
    .private_segment_fixed_size: 0
    .sgpr_count:     4
    .sgpr_spill_count: 0
    .symbol:         _ZN7rocprim17ROCPRIM_400000_NS6detail17trampoline_kernelINS0_14default_configENS1_27scan_by_key_config_selectorIitEEZZNS1_16scan_by_key_implILNS1_25lookback_scan_determinismE0ELb0ES3_N6thrust23THRUST_200600_302600_NS6detail15normal_iteratorINS9_10device_ptrIiEEEENSB_INSC_ItEEEESG_tNS9_4plusIvEENS9_8equal_toIvEEtEE10hipError_tPvRmT2_T3_T4_T5_mT6_T7_P12ihipStream_tbENKUlT_T0_E_clISt17integral_constantIbLb1EES10_IbLb0EEEEDaSW_SX_EUlSW_E_NS1_11comp_targetILNS1_3genE10ELNS1_11target_archE1200ELNS1_3gpuE4ELNS1_3repE0EEENS1_30default_config_static_selectorELNS0_4arch9wavefront6targetE1EEEvT1_.kd
    .uniform_work_group_size: 1
    .uses_dynamic_stack: false
    .vgpr_count:     0
    .vgpr_spill_count: 0
    .wavefront_size: 64
  - .agpr_count:     0
    .args:
      - .offset:         0
        .size:           112
        .value_kind:     by_value
    .group_segment_fixed_size: 0
    .kernarg_segment_align: 8
    .kernarg_segment_size: 112
    .language:       OpenCL C
    .language_version:
      - 2
      - 0
    .max_flat_workgroup_size: 64
    .name:           _ZN7rocprim17ROCPRIM_400000_NS6detail17trampoline_kernelINS0_14default_configENS1_27scan_by_key_config_selectorIitEEZZNS1_16scan_by_key_implILNS1_25lookback_scan_determinismE0ELb0ES3_N6thrust23THRUST_200600_302600_NS6detail15normal_iteratorINS9_10device_ptrIiEEEENSB_INSC_ItEEEESG_tNS9_4plusIvEENS9_8equal_toIvEEtEE10hipError_tPvRmT2_T3_T4_T5_mT6_T7_P12ihipStream_tbENKUlT_T0_E_clISt17integral_constantIbLb1EES10_IbLb0EEEEDaSW_SX_EUlSW_E_NS1_11comp_targetILNS1_3genE9ELNS1_11target_archE1100ELNS1_3gpuE3ELNS1_3repE0EEENS1_30default_config_static_selectorELNS0_4arch9wavefront6targetE1EEEvT1_
    .private_segment_fixed_size: 0
    .sgpr_count:     4
    .sgpr_spill_count: 0
    .symbol:         _ZN7rocprim17ROCPRIM_400000_NS6detail17trampoline_kernelINS0_14default_configENS1_27scan_by_key_config_selectorIitEEZZNS1_16scan_by_key_implILNS1_25lookback_scan_determinismE0ELb0ES3_N6thrust23THRUST_200600_302600_NS6detail15normal_iteratorINS9_10device_ptrIiEEEENSB_INSC_ItEEEESG_tNS9_4plusIvEENS9_8equal_toIvEEtEE10hipError_tPvRmT2_T3_T4_T5_mT6_T7_P12ihipStream_tbENKUlT_T0_E_clISt17integral_constantIbLb1EES10_IbLb0EEEEDaSW_SX_EUlSW_E_NS1_11comp_targetILNS1_3genE9ELNS1_11target_archE1100ELNS1_3gpuE3ELNS1_3repE0EEENS1_30default_config_static_selectorELNS0_4arch9wavefront6targetE1EEEvT1_.kd
    .uniform_work_group_size: 1
    .uses_dynamic_stack: false
    .vgpr_count:     0
    .vgpr_spill_count: 0
    .wavefront_size: 64
  - .agpr_count:     0
    .args:
      - .offset:         0
        .size:           112
        .value_kind:     by_value
    .group_segment_fixed_size: 0
    .kernarg_segment_align: 8
    .kernarg_segment_size: 112
    .language:       OpenCL C
    .language_version:
      - 2
      - 0
    .max_flat_workgroup_size: 64
    .name:           _ZN7rocprim17ROCPRIM_400000_NS6detail17trampoline_kernelINS0_14default_configENS1_27scan_by_key_config_selectorIitEEZZNS1_16scan_by_key_implILNS1_25lookback_scan_determinismE0ELb0ES3_N6thrust23THRUST_200600_302600_NS6detail15normal_iteratorINS9_10device_ptrIiEEEENSB_INSC_ItEEEESG_tNS9_4plusIvEENS9_8equal_toIvEEtEE10hipError_tPvRmT2_T3_T4_T5_mT6_T7_P12ihipStream_tbENKUlT_T0_E_clISt17integral_constantIbLb1EES10_IbLb0EEEEDaSW_SX_EUlSW_E_NS1_11comp_targetILNS1_3genE8ELNS1_11target_archE1030ELNS1_3gpuE2ELNS1_3repE0EEENS1_30default_config_static_selectorELNS0_4arch9wavefront6targetE1EEEvT1_
    .private_segment_fixed_size: 0
    .sgpr_count:     4
    .sgpr_spill_count: 0
    .symbol:         _ZN7rocprim17ROCPRIM_400000_NS6detail17trampoline_kernelINS0_14default_configENS1_27scan_by_key_config_selectorIitEEZZNS1_16scan_by_key_implILNS1_25lookback_scan_determinismE0ELb0ES3_N6thrust23THRUST_200600_302600_NS6detail15normal_iteratorINS9_10device_ptrIiEEEENSB_INSC_ItEEEESG_tNS9_4plusIvEENS9_8equal_toIvEEtEE10hipError_tPvRmT2_T3_T4_T5_mT6_T7_P12ihipStream_tbENKUlT_T0_E_clISt17integral_constantIbLb1EES10_IbLb0EEEEDaSW_SX_EUlSW_E_NS1_11comp_targetILNS1_3genE8ELNS1_11target_archE1030ELNS1_3gpuE2ELNS1_3repE0EEENS1_30default_config_static_selectorELNS0_4arch9wavefront6targetE1EEEvT1_.kd
    .uniform_work_group_size: 1
    .uses_dynamic_stack: false
    .vgpr_count:     0
    .vgpr_spill_count: 0
    .wavefront_size: 64
  - .agpr_count:     0
    .args:
      - .address_space:  global
        .offset:         0
        .size:           8
        .value_kind:     global_buffer
      - .offset:         8
        .size:           4
        .value_kind:     by_value
      - .offset:         12
        .size:           4
        .value_kind:     by_value
      - .address_space:  global
        .offset:         16
        .size:           8
        .value_kind:     global_buffer
      - .address_space:  global
        .offset:         24
        .size:           8
        .value_kind:     global_buffer
      - .actual_access:  write_only
        .address_space:  global
        .offset:         32
        .size:           8
        .value_kind:     global_buffer
      - .offset:         40
        .size:           8
        .value_kind:     by_value
      - .offset:         48
        .size:           4
        .value_kind:     by_value
      - .address_space:  global
        .offset:         56
        .size:           8
        .value_kind:     global_buffer
      - .offset:         64
        .size:           4
        .value_kind:     hidden_block_count_x
      - .offset:         68
        .size:           4
        .value_kind:     hidden_block_count_y
      - .offset:         72
        .size:           4
        .value_kind:     hidden_block_count_z
      - .offset:         76
        .size:           2
        .value_kind:     hidden_group_size_x
      - .offset:         78
        .size:           2
        .value_kind:     hidden_group_size_y
      - .offset:         80
        .size:           2
        .value_kind:     hidden_group_size_z
      - .offset:         82
        .size:           2
        .value_kind:     hidden_remainder_x
      - .offset:         84
        .size:           2
        .value_kind:     hidden_remainder_y
      - .offset:         86
        .size:           2
        .value_kind:     hidden_remainder_z
      - .offset:         104
        .size:           8
        .value_kind:     hidden_global_offset_x
      - .offset:         112
        .size:           8
        .value_kind:     hidden_global_offset_y
      - .offset:         120
        .size:           8
        .value_kind:     hidden_global_offset_z
      - .offset:         128
        .size:           2
        .value_kind:     hidden_grid_dims
    .group_segment_fixed_size: 0
    .kernarg_segment_align: 8
    .kernarg_segment_size: 320
    .language:       OpenCL C
    .language_version:
      - 2
      - 0
    .max_flat_workgroup_size: 256
    .name:           _ZN7rocprim17ROCPRIM_400000_NS6detail30init_device_scan_by_key_kernelINS1_19lookback_scan_stateINS0_5tupleIJtbEEELb0ELb1EEEN6thrust23THRUST_200600_302600_NS6detail15normal_iteratorINS8_10device_ptrIiEEEEjNS1_16block_id_wrapperIjLb1EEEEEvT_jjPNSG_10value_typeET0_PNSt15iterator_traitsISJ_E10value_typeEmT1_T2_
    .private_segment_fixed_size: 0
    .sgpr_count:     21
    .sgpr_spill_count: 0
    .symbol:         _ZN7rocprim17ROCPRIM_400000_NS6detail30init_device_scan_by_key_kernelINS1_19lookback_scan_stateINS0_5tupleIJtbEEELb0ELb1EEEN6thrust23THRUST_200600_302600_NS6detail15normal_iteratorINS8_10device_ptrIiEEEEjNS1_16block_id_wrapperIjLb1EEEEEvT_jjPNSG_10value_typeET0_PNSt15iterator_traitsISJ_E10value_typeEmT1_T2_.kd
    .uniform_work_group_size: 1
    .uses_dynamic_stack: false
    .vgpr_count:     10
    .vgpr_spill_count: 0
    .wavefront_size: 64
  - .agpr_count:     0
    .args:
      - .address_space:  global
        .offset:         0
        .size:           8
        .value_kind:     global_buffer
      - .offset:         8
        .size:           4
        .value_kind:     by_value
      - .offset:         12
        .size:           4
        .value_kind:     by_value
      - .address_space:  global
        .offset:         16
        .size:           8
        .value_kind:     global_buffer
      - .address_space:  global
        .offset:         24
        .size:           8
        .value_kind:     global_buffer
      - .offset:         32
        .size:           4
        .value_kind:     hidden_block_count_x
      - .offset:         36
        .size:           4
        .value_kind:     hidden_block_count_y
      - .offset:         40
        .size:           4
        .value_kind:     hidden_block_count_z
      - .offset:         44
        .size:           2
        .value_kind:     hidden_group_size_x
      - .offset:         46
        .size:           2
        .value_kind:     hidden_group_size_y
      - .offset:         48
        .size:           2
        .value_kind:     hidden_group_size_z
      - .offset:         50
        .size:           2
        .value_kind:     hidden_remainder_x
      - .offset:         52
        .size:           2
        .value_kind:     hidden_remainder_y
      - .offset:         54
        .size:           2
        .value_kind:     hidden_remainder_z
      - .offset:         72
        .size:           8
        .value_kind:     hidden_global_offset_x
      - .offset:         80
        .size:           8
        .value_kind:     hidden_global_offset_y
      - .offset:         88
        .size:           8
        .value_kind:     hidden_global_offset_z
      - .offset:         96
        .size:           2
        .value_kind:     hidden_grid_dims
    .group_segment_fixed_size: 0
    .kernarg_segment_align: 8
    .kernarg_segment_size: 288
    .language:       OpenCL C
    .language_version:
      - 2
      - 0
    .max_flat_workgroup_size: 256
    .name:           _ZN7rocprim17ROCPRIM_400000_NS6detail30init_device_scan_by_key_kernelINS1_19lookback_scan_stateINS0_5tupleIJtbEEELb0ELb1EEENS1_16block_id_wrapperIjLb1EEEEEvT_jjPNS9_10value_typeET0_
    .private_segment_fixed_size: 0
    .sgpr_count:     20
    .sgpr_spill_count: 0
    .symbol:         _ZN7rocprim17ROCPRIM_400000_NS6detail30init_device_scan_by_key_kernelINS1_19lookback_scan_stateINS0_5tupleIJtbEEELb0ELb1EEENS1_16block_id_wrapperIjLb1EEEEEvT_jjPNS9_10value_typeET0_.kd
    .uniform_work_group_size: 1
    .uses_dynamic_stack: false
    .vgpr_count:     6
    .vgpr_spill_count: 0
    .wavefront_size: 64
  - .agpr_count:     0
    .args:
      - .offset:         0
        .size:           112
        .value_kind:     by_value
    .group_segment_fixed_size: 0
    .kernarg_segment_align: 8
    .kernarg_segment_size: 112
    .language:       OpenCL C
    .language_version:
      - 2
      - 0
    .max_flat_workgroup_size: 256
    .name:           _ZN7rocprim17ROCPRIM_400000_NS6detail17trampoline_kernelINS0_14default_configENS1_27scan_by_key_config_selectorIitEEZZNS1_16scan_by_key_implILNS1_25lookback_scan_determinismE0ELb0ES3_N6thrust23THRUST_200600_302600_NS6detail15normal_iteratorINS9_10device_ptrIiEEEENSB_INSC_ItEEEESG_tNS9_4plusIvEENS9_8equal_toIvEEtEE10hipError_tPvRmT2_T3_T4_T5_mT6_T7_P12ihipStream_tbENKUlT_T0_E_clISt17integral_constantIbLb0EES10_IbLb1EEEEDaSW_SX_EUlSW_E_NS1_11comp_targetILNS1_3genE0ELNS1_11target_archE4294967295ELNS1_3gpuE0ELNS1_3repE0EEENS1_30default_config_static_selectorELNS0_4arch9wavefront6targetE1EEEvT1_
    .private_segment_fixed_size: 0
    .sgpr_count:     4
    .sgpr_spill_count: 0
    .symbol:         _ZN7rocprim17ROCPRIM_400000_NS6detail17trampoline_kernelINS0_14default_configENS1_27scan_by_key_config_selectorIitEEZZNS1_16scan_by_key_implILNS1_25lookback_scan_determinismE0ELb0ES3_N6thrust23THRUST_200600_302600_NS6detail15normal_iteratorINS9_10device_ptrIiEEEENSB_INSC_ItEEEESG_tNS9_4plusIvEENS9_8equal_toIvEEtEE10hipError_tPvRmT2_T3_T4_T5_mT6_T7_P12ihipStream_tbENKUlT_T0_E_clISt17integral_constantIbLb0EES10_IbLb1EEEEDaSW_SX_EUlSW_E_NS1_11comp_targetILNS1_3genE0ELNS1_11target_archE4294967295ELNS1_3gpuE0ELNS1_3repE0EEENS1_30default_config_static_selectorELNS0_4arch9wavefront6targetE1EEEvT1_.kd
    .uniform_work_group_size: 1
    .uses_dynamic_stack: false
    .vgpr_count:     0
    .vgpr_spill_count: 0
    .wavefront_size: 64
  - .agpr_count:     0
    .args:
      - .offset:         0
        .size:           112
        .value_kind:     by_value
    .group_segment_fixed_size: 0
    .kernarg_segment_align: 8
    .kernarg_segment_size: 112
    .language:       OpenCL C
    .language_version:
      - 2
      - 0
    .max_flat_workgroup_size: 256
    .name:           _ZN7rocprim17ROCPRIM_400000_NS6detail17trampoline_kernelINS0_14default_configENS1_27scan_by_key_config_selectorIitEEZZNS1_16scan_by_key_implILNS1_25lookback_scan_determinismE0ELb0ES3_N6thrust23THRUST_200600_302600_NS6detail15normal_iteratorINS9_10device_ptrIiEEEENSB_INSC_ItEEEESG_tNS9_4plusIvEENS9_8equal_toIvEEtEE10hipError_tPvRmT2_T3_T4_T5_mT6_T7_P12ihipStream_tbENKUlT_T0_E_clISt17integral_constantIbLb0EES10_IbLb1EEEEDaSW_SX_EUlSW_E_NS1_11comp_targetILNS1_3genE10ELNS1_11target_archE1201ELNS1_3gpuE5ELNS1_3repE0EEENS1_30default_config_static_selectorELNS0_4arch9wavefront6targetE1EEEvT1_
    .private_segment_fixed_size: 0
    .sgpr_count:     4
    .sgpr_spill_count: 0
    .symbol:         _ZN7rocprim17ROCPRIM_400000_NS6detail17trampoline_kernelINS0_14default_configENS1_27scan_by_key_config_selectorIitEEZZNS1_16scan_by_key_implILNS1_25lookback_scan_determinismE0ELb0ES3_N6thrust23THRUST_200600_302600_NS6detail15normal_iteratorINS9_10device_ptrIiEEEENSB_INSC_ItEEEESG_tNS9_4plusIvEENS9_8equal_toIvEEtEE10hipError_tPvRmT2_T3_T4_T5_mT6_T7_P12ihipStream_tbENKUlT_T0_E_clISt17integral_constantIbLb0EES10_IbLb1EEEEDaSW_SX_EUlSW_E_NS1_11comp_targetILNS1_3genE10ELNS1_11target_archE1201ELNS1_3gpuE5ELNS1_3repE0EEENS1_30default_config_static_selectorELNS0_4arch9wavefront6targetE1EEEvT1_.kd
    .uniform_work_group_size: 1
    .uses_dynamic_stack: false
    .vgpr_count:     0
    .vgpr_spill_count: 0
    .wavefront_size: 64
  - .agpr_count:     0
    .args:
      - .offset:         0
        .size:           112
        .value_kind:     by_value
    .group_segment_fixed_size: 0
    .kernarg_segment_align: 8
    .kernarg_segment_size: 112
    .language:       OpenCL C
    .language_version:
      - 2
      - 0
    .max_flat_workgroup_size: 256
    .name:           _ZN7rocprim17ROCPRIM_400000_NS6detail17trampoline_kernelINS0_14default_configENS1_27scan_by_key_config_selectorIitEEZZNS1_16scan_by_key_implILNS1_25lookback_scan_determinismE0ELb0ES3_N6thrust23THRUST_200600_302600_NS6detail15normal_iteratorINS9_10device_ptrIiEEEENSB_INSC_ItEEEESG_tNS9_4plusIvEENS9_8equal_toIvEEtEE10hipError_tPvRmT2_T3_T4_T5_mT6_T7_P12ihipStream_tbENKUlT_T0_E_clISt17integral_constantIbLb0EES10_IbLb1EEEEDaSW_SX_EUlSW_E_NS1_11comp_targetILNS1_3genE5ELNS1_11target_archE942ELNS1_3gpuE9ELNS1_3repE0EEENS1_30default_config_static_selectorELNS0_4arch9wavefront6targetE1EEEvT1_
    .private_segment_fixed_size: 0
    .sgpr_count:     4
    .sgpr_spill_count: 0
    .symbol:         _ZN7rocprim17ROCPRIM_400000_NS6detail17trampoline_kernelINS0_14default_configENS1_27scan_by_key_config_selectorIitEEZZNS1_16scan_by_key_implILNS1_25lookback_scan_determinismE0ELb0ES3_N6thrust23THRUST_200600_302600_NS6detail15normal_iteratorINS9_10device_ptrIiEEEENSB_INSC_ItEEEESG_tNS9_4plusIvEENS9_8equal_toIvEEtEE10hipError_tPvRmT2_T3_T4_T5_mT6_T7_P12ihipStream_tbENKUlT_T0_E_clISt17integral_constantIbLb0EES10_IbLb1EEEEDaSW_SX_EUlSW_E_NS1_11comp_targetILNS1_3genE5ELNS1_11target_archE942ELNS1_3gpuE9ELNS1_3repE0EEENS1_30default_config_static_selectorELNS0_4arch9wavefront6targetE1EEEvT1_.kd
    .uniform_work_group_size: 1
    .uses_dynamic_stack: false
    .vgpr_count:     0
    .vgpr_spill_count: 0
    .wavefront_size: 64
  - .agpr_count:     0
    .args:
      - .offset:         0
        .size:           112
        .value_kind:     by_value
    .group_segment_fixed_size: 6656
    .kernarg_segment_align: 8
    .kernarg_segment_size: 112
    .language:       OpenCL C
    .language_version:
      - 2
      - 0
    .max_flat_workgroup_size: 64
    .name:           _ZN7rocprim17ROCPRIM_400000_NS6detail17trampoline_kernelINS0_14default_configENS1_27scan_by_key_config_selectorIitEEZZNS1_16scan_by_key_implILNS1_25lookback_scan_determinismE0ELb0ES3_N6thrust23THRUST_200600_302600_NS6detail15normal_iteratorINS9_10device_ptrIiEEEENSB_INSC_ItEEEESG_tNS9_4plusIvEENS9_8equal_toIvEEtEE10hipError_tPvRmT2_T3_T4_T5_mT6_T7_P12ihipStream_tbENKUlT_T0_E_clISt17integral_constantIbLb0EES10_IbLb1EEEEDaSW_SX_EUlSW_E_NS1_11comp_targetILNS1_3genE4ELNS1_11target_archE910ELNS1_3gpuE8ELNS1_3repE0EEENS1_30default_config_static_selectorELNS0_4arch9wavefront6targetE1EEEvT1_
    .private_segment_fixed_size: 0
    .sgpr_count:     91
    .sgpr_spill_count: 0
    .symbol:         _ZN7rocprim17ROCPRIM_400000_NS6detail17trampoline_kernelINS0_14default_configENS1_27scan_by_key_config_selectorIitEEZZNS1_16scan_by_key_implILNS1_25lookback_scan_determinismE0ELb0ES3_N6thrust23THRUST_200600_302600_NS6detail15normal_iteratorINS9_10device_ptrIiEEEENSB_INSC_ItEEEESG_tNS9_4plusIvEENS9_8equal_toIvEEtEE10hipError_tPvRmT2_T3_T4_T5_mT6_T7_P12ihipStream_tbENKUlT_T0_E_clISt17integral_constantIbLb0EES10_IbLb1EEEEDaSW_SX_EUlSW_E_NS1_11comp_targetILNS1_3genE4ELNS1_11target_archE910ELNS1_3gpuE8ELNS1_3repE0EEENS1_30default_config_static_selectorELNS0_4arch9wavefront6targetE1EEEvT1_.kd
    .uniform_work_group_size: 1
    .uses_dynamic_stack: false
    .vgpr_count:     58
    .vgpr_spill_count: 0
    .wavefront_size: 64
  - .agpr_count:     0
    .args:
      - .offset:         0
        .size:           112
        .value_kind:     by_value
    .group_segment_fixed_size: 0
    .kernarg_segment_align: 8
    .kernarg_segment_size: 112
    .language:       OpenCL C
    .language_version:
      - 2
      - 0
    .max_flat_workgroup_size: 256
    .name:           _ZN7rocprim17ROCPRIM_400000_NS6detail17trampoline_kernelINS0_14default_configENS1_27scan_by_key_config_selectorIitEEZZNS1_16scan_by_key_implILNS1_25lookback_scan_determinismE0ELb0ES3_N6thrust23THRUST_200600_302600_NS6detail15normal_iteratorINS9_10device_ptrIiEEEENSB_INSC_ItEEEESG_tNS9_4plusIvEENS9_8equal_toIvEEtEE10hipError_tPvRmT2_T3_T4_T5_mT6_T7_P12ihipStream_tbENKUlT_T0_E_clISt17integral_constantIbLb0EES10_IbLb1EEEEDaSW_SX_EUlSW_E_NS1_11comp_targetILNS1_3genE3ELNS1_11target_archE908ELNS1_3gpuE7ELNS1_3repE0EEENS1_30default_config_static_selectorELNS0_4arch9wavefront6targetE1EEEvT1_
    .private_segment_fixed_size: 0
    .sgpr_count:     4
    .sgpr_spill_count: 0
    .symbol:         _ZN7rocprim17ROCPRIM_400000_NS6detail17trampoline_kernelINS0_14default_configENS1_27scan_by_key_config_selectorIitEEZZNS1_16scan_by_key_implILNS1_25lookback_scan_determinismE0ELb0ES3_N6thrust23THRUST_200600_302600_NS6detail15normal_iteratorINS9_10device_ptrIiEEEENSB_INSC_ItEEEESG_tNS9_4plusIvEENS9_8equal_toIvEEtEE10hipError_tPvRmT2_T3_T4_T5_mT6_T7_P12ihipStream_tbENKUlT_T0_E_clISt17integral_constantIbLb0EES10_IbLb1EEEEDaSW_SX_EUlSW_E_NS1_11comp_targetILNS1_3genE3ELNS1_11target_archE908ELNS1_3gpuE7ELNS1_3repE0EEENS1_30default_config_static_selectorELNS0_4arch9wavefront6targetE1EEEvT1_.kd
    .uniform_work_group_size: 1
    .uses_dynamic_stack: false
    .vgpr_count:     0
    .vgpr_spill_count: 0
    .wavefront_size: 64
  - .agpr_count:     0
    .args:
      - .offset:         0
        .size:           112
        .value_kind:     by_value
    .group_segment_fixed_size: 0
    .kernarg_segment_align: 8
    .kernarg_segment_size: 112
    .language:       OpenCL C
    .language_version:
      - 2
      - 0
    .max_flat_workgroup_size: 64
    .name:           _ZN7rocprim17ROCPRIM_400000_NS6detail17trampoline_kernelINS0_14default_configENS1_27scan_by_key_config_selectorIitEEZZNS1_16scan_by_key_implILNS1_25lookback_scan_determinismE0ELb0ES3_N6thrust23THRUST_200600_302600_NS6detail15normal_iteratorINS9_10device_ptrIiEEEENSB_INSC_ItEEEESG_tNS9_4plusIvEENS9_8equal_toIvEEtEE10hipError_tPvRmT2_T3_T4_T5_mT6_T7_P12ihipStream_tbENKUlT_T0_E_clISt17integral_constantIbLb0EES10_IbLb1EEEEDaSW_SX_EUlSW_E_NS1_11comp_targetILNS1_3genE2ELNS1_11target_archE906ELNS1_3gpuE6ELNS1_3repE0EEENS1_30default_config_static_selectorELNS0_4arch9wavefront6targetE1EEEvT1_
    .private_segment_fixed_size: 0
    .sgpr_count:     4
    .sgpr_spill_count: 0
    .symbol:         _ZN7rocprim17ROCPRIM_400000_NS6detail17trampoline_kernelINS0_14default_configENS1_27scan_by_key_config_selectorIitEEZZNS1_16scan_by_key_implILNS1_25lookback_scan_determinismE0ELb0ES3_N6thrust23THRUST_200600_302600_NS6detail15normal_iteratorINS9_10device_ptrIiEEEENSB_INSC_ItEEEESG_tNS9_4plusIvEENS9_8equal_toIvEEtEE10hipError_tPvRmT2_T3_T4_T5_mT6_T7_P12ihipStream_tbENKUlT_T0_E_clISt17integral_constantIbLb0EES10_IbLb1EEEEDaSW_SX_EUlSW_E_NS1_11comp_targetILNS1_3genE2ELNS1_11target_archE906ELNS1_3gpuE6ELNS1_3repE0EEENS1_30default_config_static_selectorELNS0_4arch9wavefront6targetE1EEEvT1_.kd
    .uniform_work_group_size: 1
    .uses_dynamic_stack: false
    .vgpr_count:     0
    .vgpr_spill_count: 0
    .wavefront_size: 64
  - .agpr_count:     0
    .args:
      - .offset:         0
        .size:           112
        .value_kind:     by_value
    .group_segment_fixed_size: 0
    .kernarg_segment_align: 8
    .kernarg_segment_size: 112
    .language:       OpenCL C
    .language_version:
      - 2
      - 0
    .max_flat_workgroup_size: 256
    .name:           _ZN7rocprim17ROCPRIM_400000_NS6detail17trampoline_kernelINS0_14default_configENS1_27scan_by_key_config_selectorIitEEZZNS1_16scan_by_key_implILNS1_25lookback_scan_determinismE0ELb0ES3_N6thrust23THRUST_200600_302600_NS6detail15normal_iteratorINS9_10device_ptrIiEEEENSB_INSC_ItEEEESG_tNS9_4plusIvEENS9_8equal_toIvEEtEE10hipError_tPvRmT2_T3_T4_T5_mT6_T7_P12ihipStream_tbENKUlT_T0_E_clISt17integral_constantIbLb0EES10_IbLb1EEEEDaSW_SX_EUlSW_E_NS1_11comp_targetILNS1_3genE10ELNS1_11target_archE1200ELNS1_3gpuE4ELNS1_3repE0EEENS1_30default_config_static_selectorELNS0_4arch9wavefront6targetE1EEEvT1_
    .private_segment_fixed_size: 0
    .sgpr_count:     4
    .sgpr_spill_count: 0
    .symbol:         _ZN7rocprim17ROCPRIM_400000_NS6detail17trampoline_kernelINS0_14default_configENS1_27scan_by_key_config_selectorIitEEZZNS1_16scan_by_key_implILNS1_25lookback_scan_determinismE0ELb0ES3_N6thrust23THRUST_200600_302600_NS6detail15normal_iteratorINS9_10device_ptrIiEEEENSB_INSC_ItEEEESG_tNS9_4plusIvEENS9_8equal_toIvEEtEE10hipError_tPvRmT2_T3_T4_T5_mT6_T7_P12ihipStream_tbENKUlT_T0_E_clISt17integral_constantIbLb0EES10_IbLb1EEEEDaSW_SX_EUlSW_E_NS1_11comp_targetILNS1_3genE10ELNS1_11target_archE1200ELNS1_3gpuE4ELNS1_3repE0EEENS1_30default_config_static_selectorELNS0_4arch9wavefront6targetE1EEEvT1_.kd
    .uniform_work_group_size: 1
    .uses_dynamic_stack: false
    .vgpr_count:     0
    .vgpr_spill_count: 0
    .wavefront_size: 64
  - .agpr_count:     0
    .args:
      - .offset:         0
        .size:           112
        .value_kind:     by_value
    .group_segment_fixed_size: 0
    .kernarg_segment_align: 8
    .kernarg_segment_size: 112
    .language:       OpenCL C
    .language_version:
      - 2
      - 0
    .max_flat_workgroup_size: 64
    .name:           _ZN7rocprim17ROCPRIM_400000_NS6detail17trampoline_kernelINS0_14default_configENS1_27scan_by_key_config_selectorIitEEZZNS1_16scan_by_key_implILNS1_25lookback_scan_determinismE0ELb0ES3_N6thrust23THRUST_200600_302600_NS6detail15normal_iteratorINS9_10device_ptrIiEEEENSB_INSC_ItEEEESG_tNS9_4plusIvEENS9_8equal_toIvEEtEE10hipError_tPvRmT2_T3_T4_T5_mT6_T7_P12ihipStream_tbENKUlT_T0_E_clISt17integral_constantIbLb0EES10_IbLb1EEEEDaSW_SX_EUlSW_E_NS1_11comp_targetILNS1_3genE9ELNS1_11target_archE1100ELNS1_3gpuE3ELNS1_3repE0EEENS1_30default_config_static_selectorELNS0_4arch9wavefront6targetE1EEEvT1_
    .private_segment_fixed_size: 0
    .sgpr_count:     4
    .sgpr_spill_count: 0
    .symbol:         _ZN7rocprim17ROCPRIM_400000_NS6detail17trampoline_kernelINS0_14default_configENS1_27scan_by_key_config_selectorIitEEZZNS1_16scan_by_key_implILNS1_25lookback_scan_determinismE0ELb0ES3_N6thrust23THRUST_200600_302600_NS6detail15normal_iteratorINS9_10device_ptrIiEEEENSB_INSC_ItEEEESG_tNS9_4plusIvEENS9_8equal_toIvEEtEE10hipError_tPvRmT2_T3_T4_T5_mT6_T7_P12ihipStream_tbENKUlT_T0_E_clISt17integral_constantIbLb0EES10_IbLb1EEEEDaSW_SX_EUlSW_E_NS1_11comp_targetILNS1_3genE9ELNS1_11target_archE1100ELNS1_3gpuE3ELNS1_3repE0EEENS1_30default_config_static_selectorELNS0_4arch9wavefront6targetE1EEEvT1_.kd
    .uniform_work_group_size: 1
    .uses_dynamic_stack: false
    .vgpr_count:     0
    .vgpr_spill_count: 0
    .wavefront_size: 64
  - .agpr_count:     0
    .args:
      - .offset:         0
        .size:           112
        .value_kind:     by_value
    .group_segment_fixed_size: 0
    .kernarg_segment_align: 8
    .kernarg_segment_size: 112
    .language:       OpenCL C
    .language_version:
      - 2
      - 0
    .max_flat_workgroup_size: 64
    .name:           _ZN7rocprim17ROCPRIM_400000_NS6detail17trampoline_kernelINS0_14default_configENS1_27scan_by_key_config_selectorIitEEZZNS1_16scan_by_key_implILNS1_25lookback_scan_determinismE0ELb0ES3_N6thrust23THRUST_200600_302600_NS6detail15normal_iteratorINS9_10device_ptrIiEEEENSB_INSC_ItEEEESG_tNS9_4plusIvEENS9_8equal_toIvEEtEE10hipError_tPvRmT2_T3_T4_T5_mT6_T7_P12ihipStream_tbENKUlT_T0_E_clISt17integral_constantIbLb0EES10_IbLb1EEEEDaSW_SX_EUlSW_E_NS1_11comp_targetILNS1_3genE8ELNS1_11target_archE1030ELNS1_3gpuE2ELNS1_3repE0EEENS1_30default_config_static_selectorELNS0_4arch9wavefront6targetE1EEEvT1_
    .private_segment_fixed_size: 0
    .sgpr_count:     4
    .sgpr_spill_count: 0
    .symbol:         _ZN7rocprim17ROCPRIM_400000_NS6detail17trampoline_kernelINS0_14default_configENS1_27scan_by_key_config_selectorIitEEZZNS1_16scan_by_key_implILNS1_25lookback_scan_determinismE0ELb0ES3_N6thrust23THRUST_200600_302600_NS6detail15normal_iteratorINS9_10device_ptrIiEEEENSB_INSC_ItEEEESG_tNS9_4plusIvEENS9_8equal_toIvEEtEE10hipError_tPvRmT2_T3_T4_T5_mT6_T7_P12ihipStream_tbENKUlT_T0_E_clISt17integral_constantIbLb0EES10_IbLb1EEEEDaSW_SX_EUlSW_E_NS1_11comp_targetILNS1_3genE8ELNS1_11target_archE1030ELNS1_3gpuE2ELNS1_3repE0EEENS1_30default_config_static_selectorELNS0_4arch9wavefront6targetE1EEEvT1_.kd
    .uniform_work_group_size: 1
    .uses_dynamic_stack: false
    .vgpr_count:     0
    .vgpr_spill_count: 0
    .wavefront_size: 64
  - .agpr_count:     0
    .args:
      - .offset:         0
        .size:           24
        .value_kind:     by_value
      - .offset:         24
        .size:           8
        .value_kind:     by_value
      - .offset:         32
        .size:           8
        .value_kind:     by_value
    .group_segment_fixed_size: 0
    .kernarg_segment_align: 8
    .kernarg_segment_size: 40
    .language:       OpenCL C
    .language_version:
      - 2
      - 0
    .max_flat_workgroup_size: 256
    .name:           _ZN6thrust23THRUST_200600_302600_NS11hip_rocprim14__parallel_for6kernelILj256ENS1_11__transform17unary_transform_fINS0_7pointerIiNS1_3tagENS0_11use_defaultES8_EENS0_10device_ptrIxEENS4_14no_stencil_tagENS0_8identityIiEENS4_21always_true_predicateEEElLj1EEEvT0_T1_SI_
    .private_segment_fixed_size: 0
    .sgpr_count:     16
    .sgpr_spill_count: 0
    .symbol:         _ZN6thrust23THRUST_200600_302600_NS11hip_rocprim14__parallel_for6kernelILj256ENS1_11__transform17unary_transform_fINS0_7pointerIiNS1_3tagENS0_11use_defaultES8_EENS0_10device_ptrIxEENS4_14no_stencil_tagENS0_8identityIiEENS4_21always_true_predicateEEElLj1EEEvT0_T1_SI_.kd
    .uniform_work_group_size: 1
    .uses_dynamic_stack: false
    .vgpr_count:     6
    .vgpr_spill_count: 0
    .wavefront_size: 64
  - .agpr_count:     0
    .args:
      - .offset:         0
        .size:           24
        .value_kind:     by_value
      - .offset:         24
        .size:           4
        .value_kind:     by_value
      - .offset:         28
        .size:           4
        .value_kind:     by_value
      - .address_space:  global
        .offset:         32
        .size:           8
        .value_kind:     global_buffer
      - .address_space:  global
        .offset:         40
        .size:           8
        .value_kind:     global_buffer
      - .actual_access:  write_only
        .address_space:  global
        .offset:         48
        .size:           8
        .value_kind:     global_buffer
      - .offset:         56
        .size:           8
        .value_kind:     by_value
      - .offset:         64
        .size:           4
        .value_kind:     by_value
      - .offset:         68
        .size:           1
        .value_kind:     by_value
      - .offset:         72
        .size:           4
        .value_kind:     hidden_block_count_x
      - .offset:         76
        .size:           4
        .value_kind:     hidden_block_count_y
      - .offset:         80
        .size:           4
        .value_kind:     hidden_block_count_z
      - .offset:         84
        .size:           2
        .value_kind:     hidden_group_size_x
      - .offset:         86
        .size:           2
        .value_kind:     hidden_group_size_y
      - .offset:         88
        .size:           2
        .value_kind:     hidden_group_size_z
      - .offset:         90
        .size:           2
        .value_kind:     hidden_remainder_x
      - .offset:         92
        .size:           2
        .value_kind:     hidden_remainder_y
      - .offset:         94
        .size:           2
        .value_kind:     hidden_remainder_z
      - .offset:         112
        .size:           8
        .value_kind:     hidden_global_offset_x
      - .offset:         120
        .size:           8
        .value_kind:     hidden_global_offset_y
      - .offset:         128
        .size:           8
        .value_kind:     hidden_global_offset_z
      - .offset:         136
        .size:           2
        .value_kind:     hidden_grid_dims
    .group_segment_fixed_size: 0
    .kernarg_segment_align: 8
    .kernarg_segment_size: 328
    .language:       OpenCL C
    .language_version:
      - 2
      - 0
    .max_flat_workgroup_size: 256
    .name:           _ZN7rocprim17ROCPRIM_400000_NS6detail30init_device_scan_by_key_kernelINS1_19lookback_scan_stateINS0_5tupleIJxbEEELb0ELb0EEEN6thrust23THRUST_200600_302600_NS6detail15normal_iteratorINS8_10device_ptrIiEEEEjNS1_16block_id_wrapperIjLb0EEEEEvT_jjPNSG_10value_typeET0_PNSt15iterator_traitsISJ_E10value_typeEmT1_T2_
    .private_segment_fixed_size: 0
    .sgpr_count:     26
    .sgpr_spill_count: 0
    .symbol:         _ZN7rocprim17ROCPRIM_400000_NS6detail30init_device_scan_by_key_kernelINS1_19lookback_scan_stateINS0_5tupleIJxbEEELb0ELb0EEEN6thrust23THRUST_200600_302600_NS6detail15normal_iteratorINS8_10device_ptrIiEEEEjNS1_16block_id_wrapperIjLb0EEEEEvT_jjPNSG_10value_typeET0_PNSt15iterator_traitsISJ_E10value_typeEmT1_T2_.kd
    .uniform_work_group_size: 1
    .uses_dynamic_stack: false
    .vgpr_count:     10
    .vgpr_spill_count: 0
    .wavefront_size: 64
  - .agpr_count:     0
    .args:
      - .offset:         0
        .size:           136
        .value_kind:     by_value
    .group_segment_fixed_size: 0
    .kernarg_segment_align: 8
    .kernarg_segment_size: 136
    .language:       OpenCL C
    .language_version:
      - 2
      - 0
    .max_flat_workgroup_size: 128
    .name:           _ZN7rocprim17ROCPRIM_400000_NS6detail17trampoline_kernelINS0_14default_configENS1_27scan_by_key_config_selectorIixEEZZNS1_16scan_by_key_implILNS1_25lookback_scan_determinismE0ELb0ES3_N6thrust23THRUST_200600_302600_NS6detail15normal_iteratorINS9_10device_ptrIiEEEENSB_INSC_IxEEEESG_xNS9_4plusIvEENS9_8equal_toIvEExEE10hipError_tPvRmT2_T3_T4_T5_mT6_T7_P12ihipStream_tbENKUlT_T0_E_clISt17integral_constantIbLb0EES11_EEDaSW_SX_EUlSW_E_NS1_11comp_targetILNS1_3genE0ELNS1_11target_archE4294967295ELNS1_3gpuE0ELNS1_3repE0EEENS1_30default_config_static_selectorELNS0_4arch9wavefront6targetE1EEEvT1_
    .private_segment_fixed_size: 0
    .sgpr_count:     4
    .sgpr_spill_count: 0
    .symbol:         _ZN7rocprim17ROCPRIM_400000_NS6detail17trampoline_kernelINS0_14default_configENS1_27scan_by_key_config_selectorIixEEZZNS1_16scan_by_key_implILNS1_25lookback_scan_determinismE0ELb0ES3_N6thrust23THRUST_200600_302600_NS6detail15normal_iteratorINS9_10device_ptrIiEEEENSB_INSC_IxEEEESG_xNS9_4plusIvEENS9_8equal_toIvEExEE10hipError_tPvRmT2_T3_T4_T5_mT6_T7_P12ihipStream_tbENKUlT_T0_E_clISt17integral_constantIbLb0EES11_EEDaSW_SX_EUlSW_E_NS1_11comp_targetILNS1_3genE0ELNS1_11target_archE4294967295ELNS1_3gpuE0ELNS1_3repE0EEENS1_30default_config_static_selectorELNS0_4arch9wavefront6targetE1EEEvT1_.kd
    .uniform_work_group_size: 1
    .uses_dynamic_stack: false
    .vgpr_count:     0
    .vgpr_spill_count: 0
    .wavefront_size: 64
  - .agpr_count:     0
    .args:
      - .offset:         0
        .size:           136
        .value_kind:     by_value
    .group_segment_fixed_size: 0
    .kernarg_segment_align: 8
    .kernarg_segment_size: 136
    .language:       OpenCL C
    .language_version:
      - 2
      - 0
    .max_flat_workgroup_size: 256
    .name:           _ZN7rocprim17ROCPRIM_400000_NS6detail17trampoline_kernelINS0_14default_configENS1_27scan_by_key_config_selectorIixEEZZNS1_16scan_by_key_implILNS1_25lookback_scan_determinismE0ELb0ES3_N6thrust23THRUST_200600_302600_NS6detail15normal_iteratorINS9_10device_ptrIiEEEENSB_INSC_IxEEEESG_xNS9_4plusIvEENS9_8equal_toIvEExEE10hipError_tPvRmT2_T3_T4_T5_mT6_T7_P12ihipStream_tbENKUlT_T0_E_clISt17integral_constantIbLb0EES11_EEDaSW_SX_EUlSW_E_NS1_11comp_targetILNS1_3genE10ELNS1_11target_archE1201ELNS1_3gpuE5ELNS1_3repE0EEENS1_30default_config_static_selectorELNS0_4arch9wavefront6targetE1EEEvT1_
    .private_segment_fixed_size: 0
    .sgpr_count:     4
    .sgpr_spill_count: 0
    .symbol:         _ZN7rocprim17ROCPRIM_400000_NS6detail17trampoline_kernelINS0_14default_configENS1_27scan_by_key_config_selectorIixEEZZNS1_16scan_by_key_implILNS1_25lookback_scan_determinismE0ELb0ES3_N6thrust23THRUST_200600_302600_NS6detail15normal_iteratorINS9_10device_ptrIiEEEENSB_INSC_IxEEEESG_xNS9_4plusIvEENS9_8equal_toIvEExEE10hipError_tPvRmT2_T3_T4_T5_mT6_T7_P12ihipStream_tbENKUlT_T0_E_clISt17integral_constantIbLb0EES11_EEDaSW_SX_EUlSW_E_NS1_11comp_targetILNS1_3genE10ELNS1_11target_archE1201ELNS1_3gpuE5ELNS1_3repE0EEENS1_30default_config_static_selectorELNS0_4arch9wavefront6targetE1EEEvT1_.kd
    .uniform_work_group_size: 1
    .uses_dynamic_stack: false
    .vgpr_count:     0
    .vgpr_spill_count: 0
    .wavefront_size: 64
  - .agpr_count:     0
    .args:
      - .offset:         0
        .size:           136
        .value_kind:     by_value
    .group_segment_fixed_size: 0
    .kernarg_segment_align: 8
    .kernarg_segment_size: 136
    .language:       OpenCL C
    .language_version:
      - 2
      - 0
    .max_flat_workgroup_size: 256
    .name:           _ZN7rocprim17ROCPRIM_400000_NS6detail17trampoline_kernelINS0_14default_configENS1_27scan_by_key_config_selectorIixEEZZNS1_16scan_by_key_implILNS1_25lookback_scan_determinismE0ELb0ES3_N6thrust23THRUST_200600_302600_NS6detail15normal_iteratorINS9_10device_ptrIiEEEENSB_INSC_IxEEEESG_xNS9_4plusIvEENS9_8equal_toIvEExEE10hipError_tPvRmT2_T3_T4_T5_mT6_T7_P12ihipStream_tbENKUlT_T0_E_clISt17integral_constantIbLb0EES11_EEDaSW_SX_EUlSW_E_NS1_11comp_targetILNS1_3genE5ELNS1_11target_archE942ELNS1_3gpuE9ELNS1_3repE0EEENS1_30default_config_static_selectorELNS0_4arch9wavefront6targetE1EEEvT1_
    .private_segment_fixed_size: 0
    .sgpr_count:     4
    .sgpr_spill_count: 0
    .symbol:         _ZN7rocprim17ROCPRIM_400000_NS6detail17trampoline_kernelINS0_14default_configENS1_27scan_by_key_config_selectorIixEEZZNS1_16scan_by_key_implILNS1_25lookback_scan_determinismE0ELb0ES3_N6thrust23THRUST_200600_302600_NS6detail15normal_iteratorINS9_10device_ptrIiEEEENSB_INSC_IxEEEESG_xNS9_4plusIvEENS9_8equal_toIvEExEE10hipError_tPvRmT2_T3_T4_T5_mT6_T7_P12ihipStream_tbENKUlT_T0_E_clISt17integral_constantIbLb0EES11_EEDaSW_SX_EUlSW_E_NS1_11comp_targetILNS1_3genE5ELNS1_11target_archE942ELNS1_3gpuE9ELNS1_3repE0EEENS1_30default_config_static_selectorELNS0_4arch9wavefront6targetE1EEEvT1_.kd
    .uniform_work_group_size: 1
    .uses_dynamic_stack: false
    .vgpr_count:     0
    .vgpr_spill_count: 0
    .wavefront_size: 64
  - .agpr_count:     0
    .args:
      - .offset:         0
        .size:           136
        .value_kind:     by_value
    .group_segment_fixed_size: 10752
    .kernarg_segment_align: 8
    .kernarg_segment_size: 136
    .language:       OpenCL C
    .language_version:
      - 2
      - 0
    .max_flat_workgroup_size: 64
    .name:           _ZN7rocprim17ROCPRIM_400000_NS6detail17trampoline_kernelINS0_14default_configENS1_27scan_by_key_config_selectorIixEEZZNS1_16scan_by_key_implILNS1_25lookback_scan_determinismE0ELb0ES3_N6thrust23THRUST_200600_302600_NS6detail15normal_iteratorINS9_10device_ptrIiEEEENSB_INSC_IxEEEESG_xNS9_4plusIvEENS9_8equal_toIvEExEE10hipError_tPvRmT2_T3_T4_T5_mT6_T7_P12ihipStream_tbENKUlT_T0_E_clISt17integral_constantIbLb0EES11_EEDaSW_SX_EUlSW_E_NS1_11comp_targetILNS1_3genE4ELNS1_11target_archE910ELNS1_3gpuE8ELNS1_3repE0EEENS1_30default_config_static_selectorELNS0_4arch9wavefront6targetE1EEEvT1_
    .private_segment_fixed_size: 0
    .sgpr_count:     100
    .sgpr_spill_count: 10
    .symbol:         _ZN7rocprim17ROCPRIM_400000_NS6detail17trampoline_kernelINS0_14default_configENS1_27scan_by_key_config_selectorIixEEZZNS1_16scan_by_key_implILNS1_25lookback_scan_determinismE0ELb0ES3_N6thrust23THRUST_200600_302600_NS6detail15normal_iteratorINS9_10device_ptrIiEEEENSB_INSC_IxEEEESG_xNS9_4plusIvEENS9_8equal_toIvEExEE10hipError_tPvRmT2_T3_T4_T5_mT6_T7_P12ihipStream_tbENKUlT_T0_E_clISt17integral_constantIbLb0EES11_EEDaSW_SX_EUlSW_E_NS1_11comp_targetILNS1_3genE4ELNS1_11target_archE910ELNS1_3gpuE8ELNS1_3repE0EEENS1_30default_config_static_selectorELNS0_4arch9wavefront6targetE1EEEvT1_.kd
    .uniform_work_group_size: 1
    .uses_dynamic_stack: false
    .vgpr_count:     132
    .vgpr_spill_count: 0
    .wavefront_size: 64
  - .agpr_count:     0
    .args:
      - .offset:         0
        .size:           136
        .value_kind:     by_value
    .group_segment_fixed_size: 0
    .kernarg_segment_align: 8
    .kernarg_segment_size: 136
    .language:       OpenCL C
    .language_version:
      - 2
      - 0
    .max_flat_workgroup_size: 128
    .name:           _ZN7rocprim17ROCPRIM_400000_NS6detail17trampoline_kernelINS0_14default_configENS1_27scan_by_key_config_selectorIixEEZZNS1_16scan_by_key_implILNS1_25lookback_scan_determinismE0ELb0ES3_N6thrust23THRUST_200600_302600_NS6detail15normal_iteratorINS9_10device_ptrIiEEEENSB_INSC_IxEEEESG_xNS9_4plusIvEENS9_8equal_toIvEExEE10hipError_tPvRmT2_T3_T4_T5_mT6_T7_P12ihipStream_tbENKUlT_T0_E_clISt17integral_constantIbLb0EES11_EEDaSW_SX_EUlSW_E_NS1_11comp_targetILNS1_3genE3ELNS1_11target_archE908ELNS1_3gpuE7ELNS1_3repE0EEENS1_30default_config_static_selectorELNS0_4arch9wavefront6targetE1EEEvT1_
    .private_segment_fixed_size: 0
    .sgpr_count:     4
    .sgpr_spill_count: 0
    .symbol:         _ZN7rocprim17ROCPRIM_400000_NS6detail17trampoline_kernelINS0_14default_configENS1_27scan_by_key_config_selectorIixEEZZNS1_16scan_by_key_implILNS1_25lookback_scan_determinismE0ELb0ES3_N6thrust23THRUST_200600_302600_NS6detail15normal_iteratorINS9_10device_ptrIiEEEENSB_INSC_IxEEEESG_xNS9_4plusIvEENS9_8equal_toIvEExEE10hipError_tPvRmT2_T3_T4_T5_mT6_T7_P12ihipStream_tbENKUlT_T0_E_clISt17integral_constantIbLb0EES11_EEDaSW_SX_EUlSW_E_NS1_11comp_targetILNS1_3genE3ELNS1_11target_archE908ELNS1_3gpuE7ELNS1_3repE0EEENS1_30default_config_static_selectorELNS0_4arch9wavefront6targetE1EEEvT1_.kd
    .uniform_work_group_size: 1
    .uses_dynamic_stack: false
    .vgpr_count:     0
    .vgpr_spill_count: 0
    .wavefront_size: 64
  - .agpr_count:     0
    .args:
      - .offset:         0
        .size:           136
        .value_kind:     by_value
    .group_segment_fixed_size: 0
    .kernarg_segment_align: 8
    .kernarg_segment_size: 136
    .language:       OpenCL C
    .language_version:
      - 2
      - 0
    .max_flat_workgroup_size: 64
    .name:           _ZN7rocprim17ROCPRIM_400000_NS6detail17trampoline_kernelINS0_14default_configENS1_27scan_by_key_config_selectorIixEEZZNS1_16scan_by_key_implILNS1_25lookback_scan_determinismE0ELb0ES3_N6thrust23THRUST_200600_302600_NS6detail15normal_iteratorINS9_10device_ptrIiEEEENSB_INSC_IxEEEESG_xNS9_4plusIvEENS9_8equal_toIvEExEE10hipError_tPvRmT2_T3_T4_T5_mT6_T7_P12ihipStream_tbENKUlT_T0_E_clISt17integral_constantIbLb0EES11_EEDaSW_SX_EUlSW_E_NS1_11comp_targetILNS1_3genE2ELNS1_11target_archE906ELNS1_3gpuE6ELNS1_3repE0EEENS1_30default_config_static_selectorELNS0_4arch9wavefront6targetE1EEEvT1_
    .private_segment_fixed_size: 0
    .sgpr_count:     4
    .sgpr_spill_count: 0
    .symbol:         _ZN7rocprim17ROCPRIM_400000_NS6detail17trampoline_kernelINS0_14default_configENS1_27scan_by_key_config_selectorIixEEZZNS1_16scan_by_key_implILNS1_25lookback_scan_determinismE0ELb0ES3_N6thrust23THRUST_200600_302600_NS6detail15normal_iteratorINS9_10device_ptrIiEEEENSB_INSC_IxEEEESG_xNS9_4plusIvEENS9_8equal_toIvEExEE10hipError_tPvRmT2_T3_T4_T5_mT6_T7_P12ihipStream_tbENKUlT_T0_E_clISt17integral_constantIbLb0EES11_EEDaSW_SX_EUlSW_E_NS1_11comp_targetILNS1_3genE2ELNS1_11target_archE906ELNS1_3gpuE6ELNS1_3repE0EEENS1_30default_config_static_selectorELNS0_4arch9wavefront6targetE1EEEvT1_.kd
    .uniform_work_group_size: 1
    .uses_dynamic_stack: false
    .vgpr_count:     0
    .vgpr_spill_count: 0
    .wavefront_size: 64
  - .agpr_count:     0
    .args:
      - .offset:         0
        .size:           136
        .value_kind:     by_value
    .group_segment_fixed_size: 0
    .kernarg_segment_align: 8
    .kernarg_segment_size: 136
    .language:       OpenCL C
    .language_version:
      - 2
      - 0
    .max_flat_workgroup_size: 256
    .name:           _ZN7rocprim17ROCPRIM_400000_NS6detail17trampoline_kernelINS0_14default_configENS1_27scan_by_key_config_selectorIixEEZZNS1_16scan_by_key_implILNS1_25lookback_scan_determinismE0ELb0ES3_N6thrust23THRUST_200600_302600_NS6detail15normal_iteratorINS9_10device_ptrIiEEEENSB_INSC_IxEEEESG_xNS9_4plusIvEENS9_8equal_toIvEExEE10hipError_tPvRmT2_T3_T4_T5_mT6_T7_P12ihipStream_tbENKUlT_T0_E_clISt17integral_constantIbLb0EES11_EEDaSW_SX_EUlSW_E_NS1_11comp_targetILNS1_3genE10ELNS1_11target_archE1200ELNS1_3gpuE4ELNS1_3repE0EEENS1_30default_config_static_selectorELNS0_4arch9wavefront6targetE1EEEvT1_
    .private_segment_fixed_size: 0
    .sgpr_count:     4
    .sgpr_spill_count: 0
    .symbol:         _ZN7rocprim17ROCPRIM_400000_NS6detail17trampoline_kernelINS0_14default_configENS1_27scan_by_key_config_selectorIixEEZZNS1_16scan_by_key_implILNS1_25lookback_scan_determinismE0ELb0ES3_N6thrust23THRUST_200600_302600_NS6detail15normal_iteratorINS9_10device_ptrIiEEEENSB_INSC_IxEEEESG_xNS9_4plusIvEENS9_8equal_toIvEExEE10hipError_tPvRmT2_T3_T4_T5_mT6_T7_P12ihipStream_tbENKUlT_T0_E_clISt17integral_constantIbLb0EES11_EEDaSW_SX_EUlSW_E_NS1_11comp_targetILNS1_3genE10ELNS1_11target_archE1200ELNS1_3gpuE4ELNS1_3repE0EEENS1_30default_config_static_selectorELNS0_4arch9wavefront6targetE1EEEvT1_.kd
    .uniform_work_group_size: 1
    .uses_dynamic_stack: false
    .vgpr_count:     0
    .vgpr_spill_count: 0
    .wavefront_size: 64
  - .agpr_count:     0
    .args:
      - .offset:         0
        .size:           136
        .value_kind:     by_value
    .group_segment_fixed_size: 0
    .kernarg_segment_align: 8
    .kernarg_segment_size: 136
    .language:       OpenCL C
    .language_version:
      - 2
      - 0
    .max_flat_workgroup_size: 256
    .name:           _ZN7rocprim17ROCPRIM_400000_NS6detail17trampoline_kernelINS0_14default_configENS1_27scan_by_key_config_selectorIixEEZZNS1_16scan_by_key_implILNS1_25lookback_scan_determinismE0ELb0ES3_N6thrust23THRUST_200600_302600_NS6detail15normal_iteratorINS9_10device_ptrIiEEEENSB_INSC_IxEEEESG_xNS9_4plusIvEENS9_8equal_toIvEExEE10hipError_tPvRmT2_T3_T4_T5_mT6_T7_P12ihipStream_tbENKUlT_T0_E_clISt17integral_constantIbLb0EES11_EEDaSW_SX_EUlSW_E_NS1_11comp_targetILNS1_3genE9ELNS1_11target_archE1100ELNS1_3gpuE3ELNS1_3repE0EEENS1_30default_config_static_selectorELNS0_4arch9wavefront6targetE1EEEvT1_
    .private_segment_fixed_size: 0
    .sgpr_count:     4
    .sgpr_spill_count: 0
    .symbol:         _ZN7rocprim17ROCPRIM_400000_NS6detail17trampoline_kernelINS0_14default_configENS1_27scan_by_key_config_selectorIixEEZZNS1_16scan_by_key_implILNS1_25lookback_scan_determinismE0ELb0ES3_N6thrust23THRUST_200600_302600_NS6detail15normal_iteratorINS9_10device_ptrIiEEEENSB_INSC_IxEEEESG_xNS9_4plusIvEENS9_8equal_toIvEExEE10hipError_tPvRmT2_T3_T4_T5_mT6_T7_P12ihipStream_tbENKUlT_T0_E_clISt17integral_constantIbLb0EES11_EEDaSW_SX_EUlSW_E_NS1_11comp_targetILNS1_3genE9ELNS1_11target_archE1100ELNS1_3gpuE3ELNS1_3repE0EEENS1_30default_config_static_selectorELNS0_4arch9wavefront6targetE1EEEvT1_.kd
    .uniform_work_group_size: 1
    .uses_dynamic_stack: false
    .vgpr_count:     0
    .vgpr_spill_count: 0
    .wavefront_size: 64
  - .agpr_count:     0
    .args:
      - .offset:         0
        .size:           136
        .value_kind:     by_value
    .group_segment_fixed_size: 0
    .kernarg_segment_align: 8
    .kernarg_segment_size: 136
    .language:       OpenCL C
    .language_version:
      - 2
      - 0
    .max_flat_workgroup_size: 256
    .name:           _ZN7rocprim17ROCPRIM_400000_NS6detail17trampoline_kernelINS0_14default_configENS1_27scan_by_key_config_selectorIixEEZZNS1_16scan_by_key_implILNS1_25lookback_scan_determinismE0ELb0ES3_N6thrust23THRUST_200600_302600_NS6detail15normal_iteratorINS9_10device_ptrIiEEEENSB_INSC_IxEEEESG_xNS9_4plusIvEENS9_8equal_toIvEExEE10hipError_tPvRmT2_T3_T4_T5_mT6_T7_P12ihipStream_tbENKUlT_T0_E_clISt17integral_constantIbLb0EES11_EEDaSW_SX_EUlSW_E_NS1_11comp_targetILNS1_3genE8ELNS1_11target_archE1030ELNS1_3gpuE2ELNS1_3repE0EEENS1_30default_config_static_selectorELNS0_4arch9wavefront6targetE1EEEvT1_
    .private_segment_fixed_size: 0
    .sgpr_count:     4
    .sgpr_spill_count: 0
    .symbol:         _ZN7rocprim17ROCPRIM_400000_NS6detail17trampoline_kernelINS0_14default_configENS1_27scan_by_key_config_selectorIixEEZZNS1_16scan_by_key_implILNS1_25lookback_scan_determinismE0ELb0ES3_N6thrust23THRUST_200600_302600_NS6detail15normal_iteratorINS9_10device_ptrIiEEEENSB_INSC_IxEEEESG_xNS9_4plusIvEENS9_8equal_toIvEExEE10hipError_tPvRmT2_T3_T4_T5_mT6_T7_P12ihipStream_tbENKUlT_T0_E_clISt17integral_constantIbLb0EES11_EEDaSW_SX_EUlSW_E_NS1_11comp_targetILNS1_3genE8ELNS1_11target_archE1030ELNS1_3gpuE2ELNS1_3repE0EEENS1_30default_config_static_selectorELNS0_4arch9wavefront6targetE1EEEvT1_.kd
    .uniform_work_group_size: 1
    .uses_dynamic_stack: false
    .vgpr_count:     0
    .vgpr_spill_count: 0
    .wavefront_size: 64
  - .agpr_count:     0
    .args:
      - .offset:         0
        .size:           24
        .value_kind:     by_value
      - .offset:         24
        .size:           4
        .value_kind:     by_value
      - .offset:         28
        .size:           4
        .value_kind:     by_value
      - .address_space:  global
        .offset:         32
        .size:           8
        .value_kind:     global_buffer
      - .address_space:  global
        .offset:         40
        .size:           8
        .value_kind:     global_buffer
      - .actual_access:  write_only
        .address_space:  global
        .offset:         48
        .size:           8
        .value_kind:     global_buffer
      - .offset:         56
        .size:           8
        .value_kind:     by_value
      - .offset:         64
        .size:           4
        .value_kind:     by_value
      - .address_space:  global
        .offset:         72
        .size:           8
        .value_kind:     global_buffer
      - .offset:         80
        .size:           4
        .value_kind:     hidden_block_count_x
      - .offset:         84
        .size:           4
        .value_kind:     hidden_block_count_y
      - .offset:         88
        .size:           4
        .value_kind:     hidden_block_count_z
      - .offset:         92
        .size:           2
        .value_kind:     hidden_group_size_x
      - .offset:         94
        .size:           2
        .value_kind:     hidden_group_size_y
      - .offset:         96
        .size:           2
        .value_kind:     hidden_group_size_z
      - .offset:         98
        .size:           2
        .value_kind:     hidden_remainder_x
      - .offset:         100
        .size:           2
        .value_kind:     hidden_remainder_y
      - .offset:         102
        .size:           2
        .value_kind:     hidden_remainder_z
      - .offset:         120
        .size:           8
        .value_kind:     hidden_global_offset_x
      - .offset:         128
        .size:           8
        .value_kind:     hidden_global_offset_y
      - .offset:         136
        .size:           8
        .value_kind:     hidden_global_offset_z
      - .offset:         144
        .size:           2
        .value_kind:     hidden_grid_dims
    .group_segment_fixed_size: 0
    .kernarg_segment_align: 8
    .kernarg_segment_size: 336
    .language:       OpenCL C
    .language_version:
      - 2
      - 0
    .max_flat_workgroup_size: 256
    .name:           _ZN7rocprim17ROCPRIM_400000_NS6detail30init_device_scan_by_key_kernelINS1_19lookback_scan_stateINS0_5tupleIJxbEEELb1ELb0EEEN6thrust23THRUST_200600_302600_NS6detail15normal_iteratorINS8_10device_ptrIiEEEEjNS1_16block_id_wrapperIjLb1EEEEEvT_jjPNSG_10value_typeET0_PNSt15iterator_traitsISJ_E10value_typeEmT1_T2_
    .private_segment_fixed_size: 0
    .sgpr_count:     28
    .sgpr_spill_count: 0
    .symbol:         _ZN7rocprim17ROCPRIM_400000_NS6detail30init_device_scan_by_key_kernelINS1_19lookback_scan_stateINS0_5tupleIJxbEEELb1ELb0EEEN6thrust23THRUST_200600_302600_NS6detail15normal_iteratorINS8_10device_ptrIiEEEEjNS1_16block_id_wrapperIjLb1EEEEEvT_jjPNSG_10value_typeET0_PNSt15iterator_traitsISJ_E10value_typeEmT1_T2_.kd
    .uniform_work_group_size: 1
    .uses_dynamic_stack: false
    .vgpr_count:     10
    .vgpr_spill_count: 0
    .wavefront_size: 64
  - .agpr_count:     0
    .args:
      - .offset:         0
        .size:           136
        .value_kind:     by_value
    .group_segment_fixed_size: 0
    .kernarg_segment_align: 8
    .kernarg_segment_size: 136
    .language:       OpenCL C
    .language_version:
      - 2
      - 0
    .max_flat_workgroup_size: 128
    .name:           _ZN7rocprim17ROCPRIM_400000_NS6detail17trampoline_kernelINS0_14default_configENS1_27scan_by_key_config_selectorIixEEZZNS1_16scan_by_key_implILNS1_25lookback_scan_determinismE0ELb0ES3_N6thrust23THRUST_200600_302600_NS6detail15normal_iteratorINS9_10device_ptrIiEEEENSB_INSC_IxEEEESG_xNS9_4plusIvEENS9_8equal_toIvEExEE10hipError_tPvRmT2_T3_T4_T5_mT6_T7_P12ihipStream_tbENKUlT_T0_E_clISt17integral_constantIbLb1EES11_EEDaSW_SX_EUlSW_E_NS1_11comp_targetILNS1_3genE0ELNS1_11target_archE4294967295ELNS1_3gpuE0ELNS1_3repE0EEENS1_30default_config_static_selectorELNS0_4arch9wavefront6targetE1EEEvT1_
    .private_segment_fixed_size: 0
    .sgpr_count:     4
    .sgpr_spill_count: 0
    .symbol:         _ZN7rocprim17ROCPRIM_400000_NS6detail17trampoline_kernelINS0_14default_configENS1_27scan_by_key_config_selectorIixEEZZNS1_16scan_by_key_implILNS1_25lookback_scan_determinismE0ELb0ES3_N6thrust23THRUST_200600_302600_NS6detail15normal_iteratorINS9_10device_ptrIiEEEENSB_INSC_IxEEEESG_xNS9_4plusIvEENS9_8equal_toIvEExEE10hipError_tPvRmT2_T3_T4_T5_mT6_T7_P12ihipStream_tbENKUlT_T0_E_clISt17integral_constantIbLb1EES11_EEDaSW_SX_EUlSW_E_NS1_11comp_targetILNS1_3genE0ELNS1_11target_archE4294967295ELNS1_3gpuE0ELNS1_3repE0EEENS1_30default_config_static_selectorELNS0_4arch9wavefront6targetE1EEEvT1_.kd
    .uniform_work_group_size: 1
    .uses_dynamic_stack: false
    .vgpr_count:     0
    .vgpr_spill_count: 0
    .wavefront_size: 64
  - .agpr_count:     0
    .args:
      - .offset:         0
        .size:           136
        .value_kind:     by_value
    .group_segment_fixed_size: 0
    .kernarg_segment_align: 8
    .kernarg_segment_size: 136
    .language:       OpenCL C
    .language_version:
      - 2
      - 0
    .max_flat_workgroup_size: 256
    .name:           _ZN7rocprim17ROCPRIM_400000_NS6detail17trampoline_kernelINS0_14default_configENS1_27scan_by_key_config_selectorIixEEZZNS1_16scan_by_key_implILNS1_25lookback_scan_determinismE0ELb0ES3_N6thrust23THRUST_200600_302600_NS6detail15normal_iteratorINS9_10device_ptrIiEEEENSB_INSC_IxEEEESG_xNS9_4plusIvEENS9_8equal_toIvEExEE10hipError_tPvRmT2_T3_T4_T5_mT6_T7_P12ihipStream_tbENKUlT_T0_E_clISt17integral_constantIbLb1EES11_EEDaSW_SX_EUlSW_E_NS1_11comp_targetILNS1_3genE10ELNS1_11target_archE1201ELNS1_3gpuE5ELNS1_3repE0EEENS1_30default_config_static_selectorELNS0_4arch9wavefront6targetE1EEEvT1_
    .private_segment_fixed_size: 0
    .sgpr_count:     4
    .sgpr_spill_count: 0
    .symbol:         _ZN7rocprim17ROCPRIM_400000_NS6detail17trampoline_kernelINS0_14default_configENS1_27scan_by_key_config_selectorIixEEZZNS1_16scan_by_key_implILNS1_25lookback_scan_determinismE0ELb0ES3_N6thrust23THRUST_200600_302600_NS6detail15normal_iteratorINS9_10device_ptrIiEEEENSB_INSC_IxEEEESG_xNS9_4plusIvEENS9_8equal_toIvEExEE10hipError_tPvRmT2_T3_T4_T5_mT6_T7_P12ihipStream_tbENKUlT_T0_E_clISt17integral_constantIbLb1EES11_EEDaSW_SX_EUlSW_E_NS1_11comp_targetILNS1_3genE10ELNS1_11target_archE1201ELNS1_3gpuE5ELNS1_3repE0EEENS1_30default_config_static_selectorELNS0_4arch9wavefront6targetE1EEEvT1_.kd
    .uniform_work_group_size: 1
    .uses_dynamic_stack: false
    .vgpr_count:     0
    .vgpr_spill_count: 0
    .wavefront_size: 64
  - .agpr_count:     0
    .args:
      - .offset:         0
        .size:           136
        .value_kind:     by_value
    .group_segment_fixed_size: 0
    .kernarg_segment_align: 8
    .kernarg_segment_size: 136
    .language:       OpenCL C
    .language_version:
      - 2
      - 0
    .max_flat_workgroup_size: 256
    .name:           _ZN7rocprim17ROCPRIM_400000_NS6detail17trampoline_kernelINS0_14default_configENS1_27scan_by_key_config_selectorIixEEZZNS1_16scan_by_key_implILNS1_25lookback_scan_determinismE0ELb0ES3_N6thrust23THRUST_200600_302600_NS6detail15normal_iteratorINS9_10device_ptrIiEEEENSB_INSC_IxEEEESG_xNS9_4plusIvEENS9_8equal_toIvEExEE10hipError_tPvRmT2_T3_T4_T5_mT6_T7_P12ihipStream_tbENKUlT_T0_E_clISt17integral_constantIbLb1EES11_EEDaSW_SX_EUlSW_E_NS1_11comp_targetILNS1_3genE5ELNS1_11target_archE942ELNS1_3gpuE9ELNS1_3repE0EEENS1_30default_config_static_selectorELNS0_4arch9wavefront6targetE1EEEvT1_
    .private_segment_fixed_size: 0
    .sgpr_count:     4
    .sgpr_spill_count: 0
    .symbol:         _ZN7rocprim17ROCPRIM_400000_NS6detail17trampoline_kernelINS0_14default_configENS1_27scan_by_key_config_selectorIixEEZZNS1_16scan_by_key_implILNS1_25lookback_scan_determinismE0ELb0ES3_N6thrust23THRUST_200600_302600_NS6detail15normal_iteratorINS9_10device_ptrIiEEEENSB_INSC_IxEEEESG_xNS9_4plusIvEENS9_8equal_toIvEExEE10hipError_tPvRmT2_T3_T4_T5_mT6_T7_P12ihipStream_tbENKUlT_T0_E_clISt17integral_constantIbLb1EES11_EEDaSW_SX_EUlSW_E_NS1_11comp_targetILNS1_3genE5ELNS1_11target_archE942ELNS1_3gpuE9ELNS1_3repE0EEENS1_30default_config_static_selectorELNS0_4arch9wavefront6targetE1EEEvT1_.kd
    .uniform_work_group_size: 1
    .uses_dynamic_stack: false
    .vgpr_count:     0
    .vgpr_spill_count: 0
    .wavefront_size: 64
  - .agpr_count:     0
    .args:
      - .offset:         0
        .size:           136
        .value_kind:     by_value
    .group_segment_fixed_size: 10752
    .kernarg_segment_align: 8
    .kernarg_segment_size: 136
    .language:       OpenCL C
    .language_version:
      - 2
      - 0
    .max_flat_workgroup_size: 64
    .name:           _ZN7rocprim17ROCPRIM_400000_NS6detail17trampoline_kernelINS0_14default_configENS1_27scan_by_key_config_selectorIixEEZZNS1_16scan_by_key_implILNS1_25lookback_scan_determinismE0ELb0ES3_N6thrust23THRUST_200600_302600_NS6detail15normal_iteratorINS9_10device_ptrIiEEEENSB_INSC_IxEEEESG_xNS9_4plusIvEENS9_8equal_toIvEExEE10hipError_tPvRmT2_T3_T4_T5_mT6_T7_P12ihipStream_tbENKUlT_T0_E_clISt17integral_constantIbLb1EES11_EEDaSW_SX_EUlSW_E_NS1_11comp_targetILNS1_3genE4ELNS1_11target_archE910ELNS1_3gpuE8ELNS1_3repE0EEENS1_30default_config_static_selectorELNS0_4arch9wavefront6targetE1EEEvT1_
    .private_segment_fixed_size: 0
    .sgpr_count:     100
    .sgpr_spill_count: 17
    .symbol:         _ZN7rocprim17ROCPRIM_400000_NS6detail17trampoline_kernelINS0_14default_configENS1_27scan_by_key_config_selectorIixEEZZNS1_16scan_by_key_implILNS1_25lookback_scan_determinismE0ELb0ES3_N6thrust23THRUST_200600_302600_NS6detail15normal_iteratorINS9_10device_ptrIiEEEENSB_INSC_IxEEEESG_xNS9_4plusIvEENS9_8equal_toIvEExEE10hipError_tPvRmT2_T3_T4_T5_mT6_T7_P12ihipStream_tbENKUlT_T0_E_clISt17integral_constantIbLb1EES11_EEDaSW_SX_EUlSW_E_NS1_11comp_targetILNS1_3genE4ELNS1_11target_archE910ELNS1_3gpuE8ELNS1_3repE0EEENS1_30default_config_static_selectorELNS0_4arch9wavefront6targetE1EEEvT1_.kd
    .uniform_work_group_size: 1
    .uses_dynamic_stack: false
    .vgpr_count:     132
    .vgpr_spill_count: 0
    .wavefront_size: 64
  - .agpr_count:     0
    .args:
      - .offset:         0
        .size:           136
        .value_kind:     by_value
    .group_segment_fixed_size: 0
    .kernarg_segment_align: 8
    .kernarg_segment_size: 136
    .language:       OpenCL C
    .language_version:
      - 2
      - 0
    .max_flat_workgroup_size: 128
    .name:           _ZN7rocprim17ROCPRIM_400000_NS6detail17trampoline_kernelINS0_14default_configENS1_27scan_by_key_config_selectorIixEEZZNS1_16scan_by_key_implILNS1_25lookback_scan_determinismE0ELb0ES3_N6thrust23THRUST_200600_302600_NS6detail15normal_iteratorINS9_10device_ptrIiEEEENSB_INSC_IxEEEESG_xNS9_4plusIvEENS9_8equal_toIvEExEE10hipError_tPvRmT2_T3_T4_T5_mT6_T7_P12ihipStream_tbENKUlT_T0_E_clISt17integral_constantIbLb1EES11_EEDaSW_SX_EUlSW_E_NS1_11comp_targetILNS1_3genE3ELNS1_11target_archE908ELNS1_3gpuE7ELNS1_3repE0EEENS1_30default_config_static_selectorELNS0_4arch9wavefront6targetE1EEEvT1_
    .private_segment_fixed_size: 0
    .sgpr_count:     4
    .sgpr_spill_count: 0
    .symbol:         _ZN7rocprim17ROCPRIM_400000_NS6detail17trampoline_kernelINS0_14default_configENS1_27scan_by_key_config_selectorIixEEZZNS1_16scan_by_key_implILNS1_25lookback_scan_determinismE0ELb0ES3_N6thrust23THRUST_200600_302600_NS6detail15normal_iteratorINS9_10device_ptrIiEEEENSB_INSC_IxEEEESG_xNS9_4plusIvEENS9_8equal_toIvEExEE10hipError_tPvRmT2_T3_T4_T5_mT6_T7_P12ihipStream_tbENKUlT_T0_E_clISt17integral_constantIbLb1EES11_EEDaSW_SX_EUlSW_E_NS1_11comp_targetILNS1_3genE3ELNS1_11target_archE908ELNS1_3gpuE7ELNS1_3repE0EEENS1_30default_config_static_selectorELNS0_4arch9wavefront6targetE1EEEvT1_.kd
    .uniform_work_group_size: 1
    .uses_dynamic_stack: false
    .vgpr_count:     0
    .vgpr_spill_count: 0
    .wavefront_size: 64
  - .agpr_count:     0
    .args:
      - .offset:         0
        .size:           136
        .value_kind:     by_value
    .group_segment_fixed_size: 0
    .kernarg_segment_align: 8
    .kernarg_segment_size: 136
    .language:       OpenCL C
    .language_version:
      - 2
      - 0
    .max_flat_workgroup_size: 64
    .name:           _ZN7rocprim17ROCPRIM_400000_NS6detail17trampoline_kernelINS0_14default_configENS1_27scan_by_key_config_selectorIixEEZZNS1_16scan_by_key_implILNS1_25lookback_scan_determinismE0ELb0ES3_N6thrust23THRUST_200600_302600_NS6detail15normal_iteratorINS9_10device_ptrIiEEEENSB_INSC_IxEEEESG_xNS9_4plusIvEENS9_8equal_toIvEExEE10hipError_tPvRmT2_T3_T4_T5_mT6_T7_P12ihipStream_tbENKUlT_T0_E_clISt17integral_constantIbLb1EES11_EEDaSW_SX_EUlSW_E_NS1_11comp_targetILNS1_3genE2ELNS1_11target_archE906ELNS1_3gpuE6ELNS1_3repE0EEENS1_30default_config_static_selectorELNS0_4arch9wavefront6targetE1EEEvT1_
    .private_segment_fixed_size: 0
    .sgpr_count:     4
    .sgpr_spill_count: 0
    .symbol:         _ZN7rocprim17ROCPRIM_400000_NS6detail17trampoline_kernelINS0_14default_configENS1_27scan_by_key_config_selectorIixEEZZNS1_16scan_by_key_implILNS1_25lookback_scan_determinismE0ELb0ES3_N6thrust23THRUST_200600_302600_NS6detail15normal_iteratorINS9_10device_ptrIiEEEENSB_INSC_IxEEEESG_xNS9_4plusIvEENS9_8equal_toIvEExEE10hipError_tPvRmT2_T3_T4_T5_mT6_T7_P12ihipStream_tbENKUlT_T0_E_clISt17integral_constantIbLb1EES11_EEDaSW_SX_EUlSW_E_NS1_11comp_targetILNS1_3genE2ELNS1_11target_archE906ELNS1_3gpuE6ELNS1_3repE0EEENS1_30default_config_static_selectorELNS0_4arch9wavefront6targetE1EEEvT1_.kd
    .uniform_work_group_size: 1
    .uses_dynamic_stack: false
    .vgpr_count:     0
    .vgpr_spill_count: 0
    .wavefront_size: 64
  - .agpr_count:     0
    .args:
      - .offset:         0
        .size:           136
        .value_kind:     by_value
    .group_segment_fixed_size: 0
    .kernarg_segment_align: 8
    .kernarg_segment_size: 136
    .language:       OpenCL C
    .language_version:
      - 2
      - 0
    .max_flat_workgroup_size: 256
    .name:           _ZN7rocprim17ROCPRIM_400000_NS6detail17trampoline_kernelINS0_14default_configENS1_27scan_by_key_config_selectorIixEEZZNS1_16scan_by_key_implILNS1_25lookback_scan_determinismE0ELb0ES3_N6thrust23THRUST_200600_302600_NS6detail15normal_iteratorINS9_10device_ptrIiEEEENSB_INSC_IxEEEESG_xNS9_4plusIvEENS9_8equal_toIvEExEE10hipError_tPvRmT2_T3_T4_T5_mT6_T7_P12ihipStream_tbENKUlT_T0_E_clISt17integral_constantIbLb1EES11_EEDaSW_SX_EUlSW_E_NS1_11comp_targetILNS1_3genE10ELNS1_11target_archE1200ELNS1_3gpuE4ELNS1_3repE0EEENS1_30default_config_static_selectorELNS0_4arch9wavefront6targetE1EEEvT1_
    .private_segment_fixed_size: 0
    .sgpr_count:     4
    .sgpr_spill_count: 0
    .symbol:         _ZN7rocprim17ROCPRIM_400000_NS6detail17trampoline_kernelINS0_14default_configENS1_27scan_by_key_config_selectorIixEEZZNS1_16scan_by_key_implILNS1_25lookback_scan_determinismE0ELb0ES3_N6thrust23THRUST_200600_302600_NS6detail15normal_iteratorINS9_10device_ptrIiEEEENSB_INSC_IxEEEESG_xNS9_4plusIvEENS9_8equal_toIvEExEE10hipError_tPvRmT2_T3_T4_T5_mT6_T7_P12ihipStream_tbENKUlT_T0_E_clISt17integral_constantIbLb1EES11_EEDaSW_SX_EUlSW_E_NS1_11comp_targetILNS1_3genE10ELNS1_11target_archE1200ELNS1_3gpuE4ELNS1_3repE0EEENS1_30default_config_static_selectorELNS0_4arch9wavefront6targetE1EEEvT1_.kd
    .uniform_work_group_size: 1
    .uses_dynamic_stack: false
    .vgpr_count:     0
    .vgpr_spill_count: 0
    .wavefront_size: 64
  - .agpr_count:     0
    .args:
      - .offset:         0
        .size:           136
        .value_kind:     by_value
    .group_segment_fixed_size: 0
    .kernarg_segment_align: 8
    .kernarg_segment_size: 136
    .language:       OpenCL C
    .language_version:
      - 2
      - 0
    .max_flat_workgroup_size: 256
    .name:           _ZN7rocprim17ROCPRIM_400000_NS6detail17trampoline_kernelINS0_14default_configENS1_27scan_by_key_config_selectorIixEEZZNS1_16scan_by_key_implILNS1_25lookback_scan_determinismE0ELb0ES3_N6thrust23THRUST_200600_302600_NS6detail15normal_iteratorINS9_10device_ptrIiEEEENSB_INSC_IxEEEESG_xNS9_4plusIvEENS9_8equal_toIvEExEE10hipError_tPvRmT2_T3_T4_T5_mT6_T7_P12ihipStream_tbENKUlT_T0_E_clISt17integral_constantIbLb1EES11_EEDaSW_SX_EUlSW_E_NS1_11comp_targetILNS1_3genE9ELNS1_11target_archE1100ELNS1_3gpuE3ELNS1_3repE0EEENS1_30default_config_static_selectorELNS0_4arch9wavefront6targetE1EEEvT1_
    .private_segment_fixed_size: 0
    .sgpr_count:     4
    .sgpr_spill_count: 0
    .symbol:         _ZN7rocprim17ROCPRIM_400000_NS6detail17trampoline_kernelINS0_14default_configENS1_27scan_by_key_config_selectorIixEEZZNS1_16scan_by_key_implILNS1_25lookback_scan_determinismE0ELb0ES3_N6thrust23THRUST_200600_302600_NS6detail15normal_iteratorINS9_10device_ptrIiEEEENSB_INSC_IxEEEESG_xNS9_4plusIvEENS9_8equal_toIvEExEE10hipError_tPvRmT2_T3_T4_T5_mT6_T7_P12ihipStream_tbENKUlT_T0_E_clISt17integral_constantIbLb1EES11_EEDaSW_SX_EUlSW_E_NS1_11comp_targetILNS1_3genE9ELNS1_11target_archE1100ELNS1_3gpuE3ELNS1_3repE0EEENS1_30default_config_static_selectorELNS0_4arch9wavefront6targetE1EEEvT1_.kd
    .uniform_work_group_size: 1
    .uses_dynamic_stack: false
    .vgpr_count:     0
    .vgpr_spill_count: 0
    .wavefront_size: 64
  - .agpr_count:     0
    .args:
      - .offset:         0
        .size:           136
        .value_kind:     by_value
    .group_segment_fixed_size: 0
    .kernarg_segment_align: 8
    .kernarg_segment_size: 136
    .language:       OpenCL C
    .language_version:
      - 2
      - 0
    .max_flat_workgroup_size: 256
    .name:           _ZN7rocprim17ROCPRIM_400000_NS6detail17trampoline_kernelINS0_14default_configENS1_27scan_by_key_config_selectorIixEEZZNS1_16scan_by_key_implILNS1_25lookback_scan_determinismE0ELb0ES3_N6thrust23THRUST_200600_302600_NS6detail15normal_iteratorINS9_10device_ptrIiEEEENSB_INSC_IxEEEESG_xNS9_4plusIvEENS9_8equal_toIvEExEE10hipError_tPvRmT2_T3_T4_T5_mT6_T7_P12ihipStream_tbENKUlT_T0_E_clISt17integral_constantIbLb1EES11_EEDaSW_SX_EUlSW_E_NS1_11comp_targetILNS1_3genE8ELNS1_11target_archE1030ELNS1_3gpuE2ELNS1_3repE0EEENS1_30default_config_static_selectorELNS0_4arch9wavefront6targetE1EEEvT1_
    .private_segment_fixed_size: 0
    .sgpr_count:     4
    .sgpr_spill_count: 0
    .symbol:         _ZN7rocprim17ROCPRIM_400000_NS6detail17trampoline_kernelINS0_14default_configENS1_27scan_by_key_config_selectorIixEEZZNS1_16scan_by_key_implILNS1_25lookback_scan_determinismE0ELb0ES3_N6thrust23THRUST_200600_302600_NS6detail15normal_iteratorINS9_10device_ptrIiEEEENSB_INSC_IxEEEESG_xNS9_4plusIvEENS9_8equal_toIvEExEE10hipError_tPvRmT2_T3_T4_T5_mT6_T7_P12ihipStream_tbENKUlT_T0_E_clISt17integral_constantIbLb1EES11_EEDaSW_SX_EUlSW_E_NS1_11comp_targetILNS1_3genE8ELNS1_11target_archE1030ELNS1_3gpuE2ELNS1_3repE0EEENS1_30default_config_static_selectorELNS0_4arch9wavefront6targetE1EEEvT1_.kd
    .uniform_work_group_size: 1
    .uses_dynamic_stack: false
    .vgpr_count:     0
    .vgpr_spill_count: 0
    .wavefront_size: 64
  - .agpr_count:     0
    .args:
      - .offset:         0
        .size:           24
        .value_kind:     by_value
      - .offset:         24
        .size:           4
        .value_kind:     by_value
      - .offset:         28
        .size:           4
        .value_kind:     by_value
      - .address_space:  global
        .offset:         32
        .size:           8
        .value_kind:     global_buffer
      - .address_space:  global
        .offset:         40
        .size:           8
        .value_kind:     global_buffer
      - .actual_access:  write_only
        .address_space:  global
        .offset:         48
        .size:           8
        .value_kind:     global_buffer
      - .offset:         56
        .size:           8
        .value_kind:     by_value
      - .offset:         64
        .size:           4
        .value_kind:     by_value
      - .offset:         68
        .size:           1
        .value_kind:     by_value
      - .offset:         72
        .size:           4
        .value_kind:     hidden_block_count_x
      - .offset:         76
        .size:           4
        .value_kind:     hidden_block_count_y
      - .offset:         80
        .size:           4
        .value_kind:     hidden_block_count_z
      - .offset:         84
        .size:           2
        .value_kind:     hidden_group_size_x
      - .offset:         86
        .size:           2
        .value_kind:     hidden_group_size_y
      - .offset:         88
        .size:           2
        .value_kind:     hidden_group_size_z
      - .offset:         90
        .size:           2
        .value_kind:     hidden_remainder_x
      - .offset:         92
        .size:           2
        .value_kind:     hidden_remainder_y
      - .offset:         94
        .size:           2
        .value_kind:     hidden_remainder_z
      - .offset:         112
        .size:           8
        .value_kind:     hidden_global_offset_x
      - .offset:         120
        .size:           8
        .value_kind:     hidden_global_offset_y
      - .offset:         128
        .size:           8
        .value_kind:     hidden_global_offset_z
      - .offset:         136
        .size:           2
        .value_kind:     hidden_grid_dims
    .group_segment_fixed_size: 0
    .kernarg_segment_align: 8
    .kernarg_segment_size: 328
    .language:       OpenCL C
    .language_version:
      - 2
      - 0
    .max_flat_workgroup_size: 256
    .name:           _ZN7rocprim17ROCPRIM_400000_NS6detail30init_device_scan_by_key_kernelINS1_19lookback_scan_stateINS0_5tupleIJxbEEELb1ELb0EEEN6thrust23THRUST_200600_302600_NS6detail15normal_iteratorINS8_10device_ptrIiEEEEjNS1_16block_id_wrapperIjLb0EEEEEvT_jjPNSG_10value_typeET0_PNSt15iterator_traitsISJ_E10value_typeEmT1_T2_
    .private_segment_fixed_size: 0
    .sgpr_count:     28
    .sgpr_spill_count: 0
    .symbol:         _ZN7rocprim17ROCPRIM_400000_NS6detail30init_device_scan_by_key_kernelINS1_19lookback_scan_stateINS0_5tupleIJxbEEELb1ELb0EEEN6thrust23THRUST_200600_302600_NS6detail15normal_iteratorINS8_10device_ptrIiEEEEjNS1_16block_id_wrapperIjLb0EEEEEvT_jjPNSG_10value_typeET0_PNSt15iterator_traitsISJ_E10value_typeEmT1_T2_.kd
    .uniform_work_group_size: 1
    .uses_dynamic_stack: false
    .vgpr_count:     10
    .vgpr_spill_count: 0
    .wavefront_size: 64
  - .agpr_count:     0
    .args:
      - .offset:         0
        .size:           136
        .value_kind:     by_value
    .group_segment_fixed_size: 0
    .kernarg_segment_align: 8
    .kernarg_segment_size: 136
    .language:       OpenCL C
    .language_version:
      - 2
      - 0
    .max_flat_workgroup_size: 128
    .name:           _ZN7rocprim17ROCPRIM_400000_NS6detail17trampoline_kernelINS0_14default_configENS1_27scan_by_key_config_selectorIixEEZZNS1_16scan_by_key_implILNS1_25lookback_scan_determinismE0ELb0ES3_N6thrust23THRUST_200600_302600_NS6detail15normal_iteratorINS9_10device_ptrIiEEEENSB_INSC_IxEEEESG_xNS9_4plusIvEENS9_8equal_toIvEExEE10hipError_tPvRmT2_T3_T4_T5_mT6_T7_P12ihipStream_tbENKUlT_T0_E_clISt17integral_constantIbLb1EES10_IbLb0EEEEDaSW_SX_EUlSW_E_NS1_11comp_targetILNS1_3genE0ELNS1_11target_archE4294967295ELNS1_3gpuE0ELNS1_3repE0EEENS1_30default_config_static_selectorELNS0_4arch9wavefront6targetE1EEEvT1_
    .private_segment_fixed_size: 0
    .sgpr_count:     4
    .sgpr_spill_count: 0
    .symbol:         _ZN7rocprim17ROCPRIM_400000_NS6detail17trampoline_kernelINS0_14default_configENS1_27scan_by_key_config_selectorIixEEZZNS1_16scan_by_key_implILNS1_25lookback_scan_determinismE0ELb0ES3_N6thrust23THRUST_200600_302600_NS6detail15normal_iteratorINS9_10device_ptrIiEEEENSB_INSC_IxEEEESG_xNS9_4plusIvEENS9_8equal_toIvEExEE10hipError_tPvRmT2_T3_T4_T5_mT6_T7_P12ihipStream_tbENKUlT_T0_E_clISt17integral_constantIbLb1EES10_IbLb0EEEEDaSW_SX_EUlSW_E_NS1_11comp_targetILNS1_3genE0ELNS1_11target_archE4294967295ELNS1_3gpuE0ELNS1_3repE0EEENS1_30default_config_static_selectorELNS0_4arch9wavefront6targetE1EEEvT1_.kd
    .uniform_work_group_size: 1
    .uses_dynamic_stack: false
    .vgpr_count:     0
    .vgpr_spill_count: 0
    .wavefront_size: 64
  - .agpr_count:     0
    .args:
      - .offset:         0
        .size:           136
        .value_kind:     by_value
    .group_segment_fixed_size: 0
    .kernarg_segment_align: 8
    .kernarg_segment_size: 136
    .language:       OpenCL C
    .language_version:
      - 2
      - 0
    .max_flat_workgroup_size: 256
    .name:           _ZN7rocprim17ROCPRIM_400000_NS6detail17trampoline_kernelINS0_14default_configENS1_27scan_by_key_config_selectorIixEEZZNS1_16scan_by_key_implILNS1_25lookback_scan_determinismE0ELb0ES3_N6thrust23THRUST_200600_302600_NS6detail15normal_iteratorINS9_10device_ptrIiEEEENSB_INSC_IxEEEESG_xNS9_4plusIvEENS9_8equal_toIvEExEE10hipError_tPvRmT2_T3_T4_T5_mT6_T7_P12ihipStream_tbENKUlT_T0_E_clISt17integral_constantIbLb1EES10_IbLb0EEEEDaSW_SX_EUlSW_E_NS1_11comp_targetILNS1_3genE10ELNS1_11target_archE1201ELNS1_3gpuE5ELNS1_3repE0EEENS1_30default_config_static_selectorELNS0_4arch9wavefront6targetE1EEEvT1_
    .private_segment_fixed_size: 0
    .sgpr_count:     4
    .sgpr_spill_count: 0
    .symbol:         _ZN7rocprim17ROCPRIM_400000_NS6detail17trampoline_kernelINS0_14default_configENS1_27scan_by_key_config_selectorIixEEZZNS1_16scan_by_key_implILNS1_25lookback_scan_determinismE0ELb0ES3_N6thrust23THRUST_200600_302600_NS6detail15normal_iteratorINS9_10device_ptrIiEEEENSB_INSC_IxEEEESG_xNS9_4plusIvEENS9_8equal_toIvEExEE10hipError_tPvRmT2_T3_T4_T5_mT6_T7_P12ihipStream_tbENKUlT_T0_E_clISt17integral_constantIbLb1EES10_IbLb0EEEEDaSW_SX_EUlSW_E_NS1_11comp_targetILNS1_3genE10ELNS1_11target_archE1201ELNS1_3gpuE5ELNS1_3repE0EEENS1_30default_config_static_selectorELNS0_4arch9wavefront6targetE1EEEvT1_.kd
    .uniform_work_group_size: 1
    .uses_dynamic_stack: false
    .vgpr_count:     0
    .vgpr_spill_count: 0
    .wavefront_size: 64
  - .agpr_count:     0
    .args:
      - .offset:         0
        .size:           136
        .value_kind:     by_value
    .group_segment_fixed_size: 0
    .kernarg_segment_align: 8
    .kernarg_segment_size: 136
    .language:       OpenCL C
    .language_version:
      - 2
      - 0
    .max_flat_workgroup_size: 256
    .name:           _ZN7rocprim17ROCPRIM_400000_NS6detail17trampoline_kernelINS0_14default_configENS1_27scan_by_key_config_selectorIixEEZZNS1_16scan_by_key_implILNS1_25lookback_scan_determinismE0ELb0ES3_N6thrust23THRUST_200600_302600_NS6detail15normal_iteratorINS9_10device_ptrIiEEEENSB_INSC_IxEEEESG_xNS9_4plusIvEENS9_8equal_toIvEExEE10hipError_tPvRmT2_T3_T4_T5_mT6_T7_P12ihipStream_tbENKUlT_T0_E_clISt17integral_constantIbLb1EES10_IbLb0EEEEDaSW_SX_EUlSW_E_NS1_11comp_targetILNS1_3genE5ELNS1_11target_archE942ELNS1_3gpuE9ELNS1_3repE0EEENS1_30default_config_static_selectorELNS0_4arch9wavefront6targetE1EEEvT1_
    .private_segment_fixed_size: 0
    .sgpr_count:     4
    .sgpr_spill_count: 0
    .symbol:         _ZN7rocprim17ROCPRIM_400000_NS6detail17trampoline_kernelINS0_14default_configENS1_27scan_by_key_config_selectorIixEEZZNS1_16scan_by_key_implILNS1_25lookback_scan_determinismE0ELb0ES3_N6thrust23THRUST_200600_302600_NS6detail15normal_iteratorINS9_10device_ptrIiEEEENSB_INSC_IxEEEESG_xNS9_4plusIvEENS9_8equal_toIvEExEE10hipError_tPvRmT2_T3_T4_T5_mT6_T7_P12ihipStream_tbENKUlT_T0_E_clISt17integral_constantIbLb1EES10_IbLb0EEEEDaSW_SX_EUlSW_E_NS1_11comp_targetILNS1_3genE5ELNS1_11target_archE942ELNS1_3gpuE9ELNS1_3repE0EEENS1_30default_config_static_selectorELNS0_4arch9wavefront6targetE1EEEvT1_.kd
    .uniform_work_group_size: 1
    .uses_dynamic_stack: false
    .vgpr_count:     0
    .vgpr_spill_count: 0
    .wavefront_size: 64
  - .agpr_count:     0
    .args:
      - .offset:         0
        .size:           136
        .value_kind:     by_value
    .group_segment_fixed_size: 10752
    .kernarg_segment_align: 8
    .kernarg_segment_size: 136
    .language:       OpenCL C
    .language_version:
      - 2
      - 0
    .max_flat_workgroup_size: 64
    .name:           _ZN7rocprim17ROCPRIM_400000_NS6detail17trampoline_kernelINS0_14default_configENS1_27scan_by_key_config_selectorIixEEZZNS1_16scan_by_key_implILNS1_25lookback_scan_determinismE0ELb0ES3_N6thrust23THRUST_200600_302600_NS6detail15normal_iteratorINS9_10device_ptrIiEEEENSB_INSC_IxEEEESG_xNS9_4plusIvEENS9_8equal_toIvEExEE10hipError_tPvRmT2_T3_T4_T5_mT6_T7_P12ihipStream_tbENKUlT_T0_E_clISt17integral_constantIbLb1EES10_IbLb0EEEEDaSW_SX_EUlSW_E_NS1_11comp_targetILNS1_3genE4ELNS1_11target_archE910ELNS1_3gpuE8ELNS1_3repE0EEENS1_30default_config_static_selectorELNS0_4arch9wavefront6targetE1EEEvT1_
    .private_segment_fixed_size: 0
    .sgpr_count:     100
    .sgpr_spill_count: 10
    .symbol:         _ZN7rocprim17ROCPRIM_400000_NS6detail17trampoline_kernelINS0_14default_configENS1_27scan_by_key_config_selectorIixEEZZNS1_16scan_by_key_implILNS1_25lookback_scan_determinismE0ELb0ES3_N6thrust23THRUST_200600_302600_NS6detail15normal_iteratorINS9_10device_ptrIiEEEENSB_INSC_IxEEEESG_xNS9_4plusIvEENS9_8equal_toIvEExEE10hipError_tPvRmT2_T3_T4_T5_mT6_T7_P12ihipStream_tbENKUlT_T0_E_clISt17integral_constantIbLb1EES10_IbLb0EEEEDaSW_SX_EUlSW_E_NS1_11comp_targetILNS1_3genE4ELNS1_11target_archE910ELNS1_3gpuE8ELNS1_3repE0EEENS1_30default_config_static_selectorELNS0_4arch9wavefront6targetE1EEEvT1_.kd
    .uniform_work_group_size: 1
    .uses_dynamic_stack: false
    .vgpr_count:     132
    .vgpr_spill_count: 0
    .wavefront_size: 64
  - .agpr_count:     0
    .args:
      - .offset:         0
        .size:           136
        .value_kind:     by_value
    .group_segment_fixed_size: 0
    .kernarg_segment_align: 8
    .kernarg_segment_size: 136
    .language:       OpenCL C
    .language_version:
      - 2
      - 0
    .max_flat_workgroup_size: 128
    .name:           _ZN7rocprim17ROCPRIM_400000_NS6detail17trampoline_kernelINS0_14default_configENS1_27scan_by_key_config_selectorIixEEZZNS1_16scan_by_key_implILNS1_25lookback_scan_determinismE0ELb0ES3_N6thrust23THRUST_200600_302600_NS6detail15normal_iteratorINS9_10device_ptrIiEEEENSB_INSC_IxEEEESG_xNS9_4plusIvEENS9_8equal_toIvEExEE10hipError_tPvRmT2_T3_T4_T5_mT6_T7_P12ihipStream_tbENKUlT_T0_E_clISt17integral_constantIbLb1EES10_IbLb0EEEEDaSW_SX_EUlSW_E_NS1_11comp_targetILNS1_3genE3ELNS1_11target_archE908ELNS1_3gpuE7ELNS1_3repE0EEENS1_30default_config_static_selectorELNS0_4arch9wavefront6targetE1EEEvT1_
    .private_segment_fixed_size: 0
    .sgpr_count:     4
    .sgpr_spill_count: 0
    .symbol:         _ZN7rocprim17ROCPRIM_400000_NS6detail17trampoline_kernelINS0_14default_configENS1_27scan_by_key_config_selectorIixEEZZNS1_16scan_by_key_implILNS1_25lookback_scan_determinismE0ELb0ES3_N6thrust23THRUST_200600_302600_NS6detail15normal_iteratorINS9_10device_ptrIiEEEENSB_INSC_IxEEEESG_xNS9_4plusIvEENS9_8equal_toIvEExEE10hipError_tPvRmT2_T3_T4_T5_mT6_T7_P12ihipStream_tbENKUlT_T0_E_clISt17integral_constantIbLb1EES10_IbLb0EEEEDaSW_SX_EUlSW_E_NS1_11comp_targetILNS1_3genE3ELNS1_11target_archE908ELNS1_3gpuE7ELNS1_3repE0EEENS1_30default_config_static_selectorELNS0_4arch9wavefront6targetE1EEEvT1_.kd
    .uniform_work_group_size: 1
    .uses_dynamic_stack: false
    .vgpr_count:     0
    .vgpr_spill_count: 0
    .wavefront_size: 64
  - .agpr_count:     0
    .args:
      - .offset:         0
        .size:           136
        .value_kind:     by_value
    .group_segment_fixed_size: 0
    .kernarg_segment_align: 8
    .kernarg_segment_size: 136
    .language:       OpenCL C
    .language_version:
      - 2
      - 0
    .max_flat_workgroup_size: 64
    .name:           _ZN7rocprim17ROCPRIM_400000_NS6detail17trampoline_kernelINS0_14default_configENS1_27scan_by_key_config_selectorIixEEZZNS1_16scan_by_key_implILNS1_25lookback_scan_determinismE0ELb0ES3_N6thrust23THRUST_200600_302600_NS6detail15normal_iteratorINS9_10device_ptrIiEEEENSB_INSC_IxEEEESG_xNS9_4plusIvEENS9_8equal_toIvEExEE10hipError_tPvRmT2_T3_T4_T5_mT6_T7_P12ihipStream_tbENKUlT_T0_E_clISt17integral_constantIbLb1EES10_IbLb0EEEEDaSW_SX_EUlSW_E_NS1_11comp_targetILNS1_3genE2ELNS1_11target_archE906ELNS1_3gpuE6ELNS1_3repE0EEENS1_30default_config_static_selectorELNS0_4arch9wavefront6targetE1EEEvT1_
    .private_segment_fixed_size: 0
    .sgpr_count:     4
    .sgpr_spill_count: 0
    .symbol:         _ZN7rocprim17ROCPRIM_400000_NS6detail17trampoline_kernelINS0_14default_configENS1_27scan_by_key_config_selectorIixEEZZNS1_16scan_by_key_implILNS1_25lookback_scan_determinismE0ELb0ES3_N6thrust23THRUST_200600_302600_NS6detail15normal_iteratorINS9_10device_ptrIiEEEENSB_INSC_IxEEEESG_xNS9_4plusIvEENS9_8equal_toIvEExEE10hipError_tPvRmT2_T3_T4_T5_mT6_T7_P12ihipStream_tbENKUlT_T0_E_clISt17integral_constantIbLb1EES10_IbLb0EEEEDaSW_SX_EUlSW_E_NS1_11comp_targetILNS1_3genE2ELNS1_11target_archE906ELNS1_3gpuE6ELNS1_3repE0EEENS1_30default_config_static_selectorELNS0_4arch9wavefront6targetE1EEEvT1_.kd
    .uniform_work_group_size: 1
    .uses_dynamic_stack: false
    .vgpr_count:     0
    .vgpr_spill_count: 0
    .wavefront_size: 64
  - .agpr_count:     0
    .args:
      - .offset:         0
        .size:           136
        .value_kind:     by_value
    .group_segment_fixed_size: 0
    .kernarg_segment_align: 8
    .kernarg_segment_size: 136
    .language:       OpenCL C
    .language_version:
      - 2
      - 0
    .max_flat_workgroup_size: 256
    .name:           _ZN7rocprim17ROCPRIM_400000_NS6detail17trampoline_kernelINS0_14default_configENS1_27scan_by_key_config_selectorIixEEZZNS1_16scan_by_key_implILNS1_25lookback_scan_determinismE0ELb0ES3_N6thrust23THRUST_200600_302600_NS6detail15normal_iteratorINS9_10device_ptrIiEEEENSB_INSC_IxEEEESG_xNS9_4plusIvEENS9_8equal_toIvEExEE10hipError_tPvRmT2_T3_T4_T5_mT6_T7_P12ihipStream_tbENKUlT_T0_E_clISt17integral_constantIbLb1EES10_IbLb0EEEEDaSW_SX_EUlSW_E_NS1_11comp_targetILNS1_3genE10ELNS1_11target_archE1200ELNS1_3gpuE4ELNS1_3repE0EEENS1_30default_config_static_selectorELNS0_4arch9wavefront6targetE1EEEvT1_
    .private_segment_fixed_size: 0
    .sgpr_count:     4
    .sgpr_spill_count: 0
    .symbol:         _ZN7rocprim17ROCPRIM_400000_NS6detail17trampoline_kernelINS0_14default_configENS1_27scan_by_key_config_selectorIixEEZZNS1_16scan_by_key_implILNS1_25lookback_scan_determinismE0ELb0ES3_N6thrust23THRUST_200600_302600_NS6detail15normal_iteratorINS9_10device_ptrIiEEEENSB_INSC_IxEEEESG_xNS9_4plusIvEENS9_8equal_toIvEExEE10hipError_tPvRmT2_T3_T4_T5_mT6_T7_P12ihipStream_tbENKUlT_T0_E_clISt17integral_constantIbLb1EES10_IbLb0EEEEDaSW_SX_EUlSW_E_NS1_11comp_targetILNS1_3genE10ELNS1_11target_archE1200ELNS1_3gpuE4ELNS1_3repE0EEENS1_30default_config_static_selectorELNS0_4arch9wavefront6targetE1EEEvT1_.kd
    .uniform_work_group_size: 1
    .uses_dynamic_stack: false
    .vgpr_count:     0
    .vgpr_spill_count: 0
    .wavefront_size: 64
  - .agpr_count:     0
    .args:
      - .offset:         0
        .size:           136
        .value_kind:     by_value
    .group_segment_fixed_size: 0
    .kernarg_segment_align: 8
    .kernarg_segment_size: 136
    .language:       OpenCL C
    .language_version:
      - 2
      - 0
    .max_flat_workgroup_size: 256
    .name:           _ZN7rocprim17ROCPRIM_400000_NS6detail17trampoline_kernelINS0_14default_configENS1_27scan_by_key_config_selectorIixEEZZNS1_16scan_by_key_implILNS1_25lookback_scan_determinismE0ELb0ES3_N6thrust23THRUST_200600_302600_NS6detail15normal_iteratorINS9_10device_ptrIiEEEENSB_INSC_IxEEEESG_xNS9_4plusIvEENS9_8equal_toIvEExEE10hipError_tPvRmT2_T3_T4_T5_mT6_T7_P12ihipStream_tbENKUlT_T0_E_clISt17integral_constantIbLb1EES10_IbLb0EEEEDaSW_SX_EUlSW_E_NS1_11comp_targetILNS1_3genE9ELNS1_11target_archE1100ELNS1_3gpuE3ELNS1_3repE0EEENS1_30default_config_static_selectorELNS0_4arch9wavefront6targetE1EEEvT1_
    .private_segment_fixed_size: 0
    .sgpr_count:     4
    .sgpr_spill_count: 0
    .symbol:         _ZN7rocprim17ROCPRIM_400000_NS6detail17trampoline_kernelINS0_14default_configENS1_27scan_by_key_config_selectorIixEEZZNS1_16scan_by_key_implILNS1_25lookback_scan_determinismE0ELb0ES3_N6thrust23THRUST_200600_302600_NS6detail15normal_iteratorINS9_10device_ptrIiEEEENSB_INSC_IxEEEESG_xNS9_4plusIvEENS9_8equal_toIvEExEE10hipError_tPvRmT2_T3_T4_T5_mT6_T7_P12ihipStream_tbENKUlT_T0_E_clISt17integral_constantIbLb1EES10_IbLb0EEEEDaSW_SX_EUlSW_E_NS1_11comp_targetILNS1_3genE9ELNS1_11target_archE1100ELNS1_3gpuE3ELNS1_3repE0EEENS1_30default_config_static_selectorELNS0_4arch9wavefront6targetE1EEEvT1_.kd
    .uniform_work_group_size: 1
    .uses_dynamic_stack: false
    .vgpr_count:     0
    .vgpr_spill_count: 0
    .wavefront_size: 64
  - .agpr_count:     0
    .args:
      - .offset:         0
        .size:           136
        .value_kind:     by_value
    .group_segment_fixed_size: 0
    .kernarg_segment_align: 8
    .kernarg_segment_size: 136
    .language:       OpenCL C
    .language_version:
      - 2
      - 0
    .max_flat_workgroup_size: 256
    .name:           _ZN7rocprim17ROCPRIM_400000_NS6detail17trampoline_kernelINS0_14default_configENS1_27scan_by_key_config_selectorIixEEZZNS1_16scan_by_key_implILNS1_25lookback_scan_determinismE0ELb0ES3_N6thrust23THRUST_200600_302600_NS6detail15normal_iteratorINS9_10device_ptrIiEEEENSB_INSC_IxEEEESG_xNS9_4plusIvEENS9_8equal_toIvEExEE10hipError_tPvRmT2_T3_T4_T5_mT6_T7_P12ihipStream_tbENKUlT_T0_E_clISt17integral_constantIbLb1EES10_IbLb0EEEEDaSW_SX_EUlSW_E_NS1_11comp_targetILNS1_3genE8ELNS1_11target_archE1030ELNS1_3gpuE2ELNS1_3repE0EEENS1_30default_config_static_selectorELNS0_4arch9wavefront6targetE1EEEvT1_
    .private_segment_fixed_size: 0
    .sgpr_count:     4
    .sgpr_spill_count: 0
    .symbol:         _ZN7rocprim17ROCPRIM_400000_NS6detail17trampoline_kernelINS0_14default_configENS1_27scan_by_key_config_selectorIixEEZZNS1_16scan_by_key_implILNS1_25lookback_scan_determinismE0ELb0ES3_N6thrust23THRUST_200600_302600_NS6detail15normal_iteratorINS9_10device_ptrIiEEEENSB_INSC_IxEEEESG_xNS9_4plusIvEENS9_8equal_toIvEExEE10hipError_tPvRmT2_T3_T4_T5_mT6_T7_P12ihipStream_tbENKUlT_T0_E_clISt17integral_constantIbLb1EES10_IbLb0EEEEDaSW_SX_EUlSW_E_NS1_11comp_targetILNS1_3genE8ELNS1_11target_archE1030ELNS1_3gpuE2ELNS1_3repE0EEENS1_30default_config_static_selectorELNS0_4arch9wavefront6targetE1EEEvT1_.kd
    .uniform_work_group_size: 1
    .uses_dynamic_stack: false
    .vgpr_count:     0
    .vgpr_spill_count: 0
    .wavefront_size: 64
  - .agpr_count:     0
    .args:
      - .offset:         0
        .size:           24
        .value_kind:     by_value
      - .offset:         24
        .size:           4
        .value_kind:     by_value
      - .offset:         28
        .size:           4
        .value_kind:     by_value
      - .address_space:  global
        .offset:         32
        .size:           8
        .value_kind:     global_buffer
      - .address_space:  global
        .offset:         40
        .size:           8
        .value_kind:     global_buffer
      - .actual_access:  write_only
        .address_space:  global
        .offset:         48
        .size:           8
        .value_kind:     global_buffer
      - .offset:         56
        .size:           8
        .value_kind:     by_value
      - .offset:         64
        .size:           4
        .value_kind:     by_value
      - .address_space:  global
        .offset:         72
        .size:           8
        .value_kind:     global_buffer
      - .offset:         80
        .size:           4
        .value_kind:     hidden_block_count_x
      - .offset:         84
        .size:           4
        .value_kind:     hidden_block_count_y
      - .offset:         88
        .size:           4
        .value_kind:     hidden_block_count_z
      - .offset:         92
        .size:           2
        .value_kind:     hidden_group_size_x
      - .offset:         94
        .size:           2
        .value_kind:     hidden_group_size_y
      - .offset:         96
        .size:           2
        .value_kind:     hidden_group_size_z
      - .offset:         98
        .size:           2
        .value_kind:     hidden_remainder_x
      - .offset:         100
        .size:           2
        .value_kind:     hidden_remainder_y
      - .offset:         102
        .size:           2
        .value_kind:     hidden_remainder_z
      - .offset:         120
        .size:           8
        .value_kind:     hidden_global_offset_x
      - .offset:         128
        .size:           8
        .value_kind:     hidden_global_offset_y
      - .offset:         136
        .size:           8
        .value_kind:     hidden_global_offset_z
      - .offset:         144
        .size:           2
        .value_kind:     hidden_grid_dims
    .group_segment_fixed_size: 0
    .kernarg_segment_align: 8
    .kernarg_segment_size: 336
    .language:       OpenCL C
    .language_version:
      - 2
      - 0
    .max_flat_workgroup_size: 256
    .name:           _ZN7rocprim17ROCPRIM_400000_NS6detail30init_device_scan_by_key_kernelINS1_19lookback_scan_stateINS0_5tupleIJxbEEELb0ELb0EEEN6thrust23THRUST_200600_302600_NS6detail15normal_iteratorINS8_10device_ptrIiEEEEjNS1_16block_id_wrapperIjLb1EEEEEvT_jjPNSG_10value_typeET0_PNSt15iterator_traitsISJ_E10value_typeEmT1_T2_
    .private_segment_fixed_size: 0
    .sgpr_count:     26
    .sgpr_spill_count: 0
    .symbol:         _ZN7rocprim17ROCPRIM_400000_NS6detail30init_device_scan_by_key_kernelINS1_19lookback_scan_stateINS0_5tupleIJxbEEELb0ELb0EEEN6thrust23THRUST_200600_302600_NS6detail15normal_iteratorINS8_10device_ptrIiEEEEjNS1_16block_id_wrapperIjLb1EEEEEvT_jjPNSG_10value_typeET0_PNSt15iterator_traitsISJ_E10value_typeEmT1_T2_.kd
    .uniform_work_group_size: 1
    .uses_dynamic_stack: false
    .vgpr_count:     10
    .vgpr_spill_count: 0
    .wavefront_size: 64
  - .agpr_count:     0
    .args:
      - .offset:         0
        .size:           136
        .value_kind:     by_value
    .group_segment_fixed_size: 0
    .kernarg_segment_align: 8
    .kernarg_segment_size: 136
    .language:       OpenCL C
    .language_version:
      - 2
      - 0
    .max_flat_workgroup_size: 128
    .name:           _ZN7rocprim17ROCPRIM_400000_NS6detail17trampoline_kernelINS0_14default_configENS1_27scan_by_key_config_selectorIixEEZZNS1_16scan_by_key_implILNS1_25lookback_scan_determinismE0ELb0ES3_N6thrust23THRUST_200600_302600_NS6detail15normal_iteratorINS9_10device_ptrIiEEEENSB_INSC_IxEEEESG_xNS9_4plusIvEENS9_8equal_toIvEExEE10hipError_tPvRmT2_T3_T4_T5_mT6_T7_P12ihipStream_tbENKUlT_T0_E_clISt17integral_constantIbLb0EES10_IbLb1EEEEDaSW_SX_EUlSW_E_NS1_11comp_targetILNS1_3genE0ELNS1_11target_archE4294967295ELNS1_3gpuE0ELNS1_3repE0EEENS1_30default_config_static_selectorELNS0_4arch9wavefront6targetE1EEEvT1_
    .private_segment_fixed_size: 0
    .sgpr_count:     4
    .sgpr_spill_count: 0
    .symbol:         _ZN7rocprim17ROCPRIM_400000_NS6detail17trampoline_kernelINS0_14default_configENS1_27scan_by_key_config_selectorIixEEZZNS1_16scan_by_key_implILNS1_25lookback_scan_determinismE0ELb0ES3_N6thrust23THRUST_200600_302600_NS6detail15normal_iteratorINS9_10device_ptrIiEEEENSB_INSC_IxEEEESG_xNS9_4plusIvEENS9_8equal_toIvEExEE10hipError_tPvRmT2_T3_T4_T5_mT6_T7_P12ihipStream_tbENKUlT_T0_E_clISt17integral_constantIbLb0EES10_IbLb1EEEEDaSW_SX_EUlSW_E_NS1_11comp_targetILNS1_3genE0ELNS1_11target_archE4294967295ELNS1_3gpuE0ELNS1_3repE0EEENS1_30default_config_static_selectorELNS0_4arch9wavefront6targetE1EEEvT1_.kd
    .uniform_work_group_size: 1
    .uses_dynamic_stack: false
    .vgpr_count:     0
    .vgpr_spill_count: 0
    .wavefront_size: 64
  - .agpr_count:     0
    .args:
      - .offset:         0
        .size:           136
        .value_kind:     by_value
    .group_segment_fixed_size: 0
    .kernarg_segment_align: 8
    .kernarg_segment_size: 136
    .language:       OpenCL C
    .language_version:
      - 2
      - 0
    .max_flat_workgroup_size: 256
    .name:           _ZN7rocprim17ROCPRIM_400000_NS6detail17trampoline_kernelINS0_14default_configENS1_27scan_by_key_config_selectorIixEEZZNS1_16scan_by_key_implILNS1_25lookback_scan_determinismE0ELb0ES3_N6thrust23THRUST_200600_302600_NS6detail15normal_iteratorINS9_10device_ptrIiEEEENSB_INSC_IxEEEESG_xNS9_4plusIvEENS9_8equal_toIvEExEE10hipError_tPvRmT2_T3_T4_T5_mT6_T7_P12ihipStream_tbENKUlT_T0_E_clISt17integral_constantIbLb0EES10_IbLb1EEEEDaSW_SX_EUlSW_E_NS1_11comp_targetILNS1_3genE10ELNS1_11target_archE1201ELNS1_3gpuE5ELNS1_3repE0EEENS1_30default_config_static_selectorELNS0_4arch9wavefront6targetE1EEEvT1_
    .private_segment_fixed_size: 0
    .sgpr_count:     4
    .sgpr_spill_count: 0
    .symbol:         _ZN7rocprim17ROCPRIM_400000_NS6detail17trampoline_kernelINS0_14default_configENS1_27scan_by_key_config_selectorIixEEZZNS1_16scan_by_key_implILNS1_25lookback_scan_determinismE0ELb0ES3_N6thrust23THRUST_200600_302600_NS6detail15normal_iteratorINS9_10device_ptrIiEEEENSB_INSC_IxEEEESG_xNS9_4plusIvEENS9_8equal_toIvEExEE10hipError_tPvRmT2_T3_T4_T5_mT6_T7_P12ihipStream_tbENKUlT_T0_E_clISt17integral_constantIbLb0EES10_IbLb1EEEEDaSW_SX_EUlSW_E_NS1_11comp_targetILNS1_3genE10ELNS1_11target_archE1201ELNS1_3gpuE5ELNS1_3repE0EEENS1_30default_config_static_selectorELNS0_4arch9wavefront6targetE1EEEvT1_.kd
    .uniform_work_group_size: 1
    .uses_dynamic_stack: false
    .vgpr_count:     0
    .vgpr_spill_count: 0
    .wavefront_size: 64
  - .agpr_count:     0
    .args:
      - .offset:         0
        .size:           136
        .value_kind:     by_value
    .group_segment_fixed_size: 0
    .kernarg_segment_align: 8
    .kernarg_segment_size: 136
    .language:       OpenCL C
    .language_version:
      - 2
      - 0
    .max_flat_workgroup_size: 256
    .name:           _ZN7rocprim17ROCPRIM_400000_NS6detail17trampoline_kernelINS0_14default_configENS1_27scan_by_key_config_selectorIixEEZZNS1_16scan_by_key_implILNS1_25lookback_scan_determinismE0ELb0ES3_N6thrust23THRUST_200600_302600_NS6detail15normal_iteratorINS9_10device_ptrIiEEEENSB_INSC_IxEEEESG_xNS9_4plusIvEENS9_8equal_toIvEExEE10hipError_tPvRmT2_T3_T4_T5_mT6_T7_P12ihipStream_tbENKUlT_T0_E_clISt17integral_constantIbLb0EES10_IbLb1EEEEDaSW_SX_EUlSW_E_NS1_11comp_targetILNS1_3genE5ELNS1_11target_archE942ELNS1_3gpuE9ELNS1_3repE0EEENS1_30default_config_static_selectorELNS0_4arch9wavefront6targetE1EEEvT1_
    .private_segment_fixed_size: 0
    .sgpr_count:     4
    .sgpr_spill_count: 0
    .symbol:         _ZN7rocprim17ROCPRIM_400000_NS6detail17trampoline_kernelINS0_14default_configENS1_27scan_by_key_config_selectorIixEEZZNS1_16scan_by_key_implILNS1_25lookback_scan_determinismE0ELb0ES3_N6thrust23THRUST_200600_302600_NS6detail15normal_iteratorINS9_10device_ptrIiEEEENSB_INSC_IxEEEESG_xNS9_4plusIvEENS9_8equal_toIvEExEE10hipError_tPvRmT2_T3_T4_T5_mT6_T7_P12ihipStream_tbENKUlT_T0_E_clISt17integral_constantIbLb0EES10_IbLb1EEEEDaSW_SX_EUlSW_E_NS1_11comp_targetILNS1_3genE5ELNS1_11target_archE942ELNS1_3gpuE9ELNS1_3repE0EEENS1_30default_config_static_selectorELNS0_4arch9wavefront6targetE1EEEvT1_.kd
    .uniform_work_group_size: 1
    .uses_dynamic_stack: false
    .vgpr_count:     0
    .vgpr_spill_count: 0
    .wavefront_size: 64
  - .agpr_count:     0
    .args:
      - .offset:         0
        .size:           136
        .value_kind:     by_value
    .group_segment_fixed_size: 10752
    .kernarg_segment_align: 8
    .kernarg_segment_size: 136
    .language:       OpenCL C
    .language_version:
      - 2
      - 0
    .max_flat_workgroup_size: 64
    .name:           _ZN7rocprim17ROCPRIM_400000_NS6detail17trampoline_kernelINS0_14default_configENS1_27scan_by_key_config_selectorIixEEZZNS1_16scan_by_key_implILNS1_25lookback_scan_determinismE0ELb0ES3_N6thrust23THRUST_200600_302600_NS6detail15normal_iteratorINS9_10device_ptrIiEEEENSB_INSC_IxEEEESG_xNS9_4plusIvEENS9_8equal_toIvEExEE10hipError_tPvRmT2_T3_T4_T5_mT6_T7_P12ihipStream_tbENKUlT_T0_E_clISt17integral_constantIbLb0EES10_IbLb1EEEEDaSW_SX_EUlSW_E_NS1_11comp_targetILNS1_3genE4ELNS1_11target_archE910ELNS1_3gpuE8ELNS1_3repE0EEENS1_30default_config_static_selectorELNS0_4arch9wavefront6targetE1EEEvT1_
    .private_segment_fixed_size: 0
    .sgpr_count:     100
    .sgpr_spill_count: 17
    .symbol:         _ZN7rocprim17ROCPRIM_400000_NS6detail17trampoline_kernelINS0_14default_configENS1_27scan_by_key_config_selectorIixEEZZNS1_16scan_by_key_implILNS1_25lookback_scan_determinismE0ELb0ES3_N6thrust23THRUST_200600_302600_NS6detail15normal_iteratorINS9_10device_ptrIiEEEENSB_INSC_IxEEEESG_xNS9_4plusIvEENS9_8equal_toIvEExEE10hipError_tPvRmT2_T3_T4_T5_mT6_T7_P12ihipStream_tbENKUlT_T0_E_clISt17integral_constantIbLb0EES10_IbLb1EEEEDaSW_SX_EUlSW_E_NS1_11comp_targetILNS1_3genE4ELNS1_11target_archE910ELNS1_3gpuE8ELNS1_3repE0EEENS1_30default_config_static_selectorELNS0_4arch9wavefront6targetE1EEEvT1_.kd
    .uniform_work_group_size: 1
    .uses_dynamic_stack: false
    .vgpr_count:     132
    .vgpr_spill_count: 0
    .wavefront_size: 64
  - .agpr_count:     0
    .args:
      - .offset:         0
        .size:           136
        .value_kind:     by_value
    .group_segment_fixed_size: 0
    .kernarg_segment_align: 8
    .kernarg_segment_size: 136
    .language:       OpenCL C
    .language_version:
      - 2
      - 0
    .max_flat_workgroup_size: 128
    .name:           _ZN7rocprim17ROCPRIM_400000_NS6detail17trampoline_kernelINS0_14default_configENS1_27scan_by_key_config_selectorIixEEZZNS1_16scan_by_key_implILNS1_25lookback_scan_determinismE0ELb0ES3_N6thrust23THRUST_200600_302600_NS6detail15normal_iteratorINS9_10device_ptrIiEEEENSB_INSC_IxEEEESG_xNS9_4plusIvEENS9_8equal_toIvEExEE10hipError_tPvRmT2_T3_T4_T5_mT6_T7_P12ihipStream_tbENKUlT_T0_E_clISt17integral_constantIbLb0EES10_IbLb1EEEEDaSW_SX_EUlSW_E_NS1_11comp_targetILNS1_3genE3ELNS1_11target_archE908ELNS1_3gpuE7ELNS1_3repE0EEENS1_30default_config_static_selectorELNS0_4arch9wavefront6targetE1EEEvT1_
    .private_segment_fixed_size: 0
    .sgpr_count:     4
    .sgpr_spill_count: 0
    .symbol:         _ZN7rocprim17ROCPRIM_400000_NS6detail17trampoline_kernelINS0_14default_configENS1_27scan_by_key_config_selectorIixEEZZNS1_16scan_by_key_implILNS1_25lookback_scan_determinismE0ELb0ES3_N6thrust23THRUST_200600_302600_NS6detail15normal_iteratorINS9_10device_ptrIiEEEENSB_INSC_IxEEEESG_xNS9_4plusIvEENS9_8equal_toIvEExEE10hipError_tPvRmT2_T3_T4_T5_mT6_T7_P12ihipStream_tbENKUlT_T0_E_clISt17integral_constantIbLb0EES10_IbLb1EEEEDaSW_SX_EUlSW_E_NS1_11comp_targetILNS1_3genE3ELNS1_11target_archE908ELNS1_3gpuE7ELNS1_3repE0EEENS1_30default_config_static_selectorELNS0_4arch9wavefront6targetE1EEEvT1_.kd
    .uniform_work_group_size: 1
    .uses_dynamic_stack: false
    .vgpr_count:     0
    .vgpr_spill_count: 0
    .wavefront_size: 64
  - .agpr_count:     0
    .args:
      - .offset:         0
        .size:           136
        .value_kind:     by_value
    .group_segment_fixed_size: 0
    .kernarg_segment_align: 8
    .kernarg_segment_size: 136
    .language:       OpenCL C
    .language_version:
      - 2
      - 0
    .max_flat_workgroup_size: 64
    .name:           _ZN7rocprim17ROCPRIM_400000_NS6detail17trampoline_kernelINS0_14default_configENS1_27scan_by_key_config_selectorIixEEZZNS1_16scan_by_key_implILNS1_25lookback_scan_determinismE0ELb0ES3_N6thrust23THRUST_200600_302600_NS6detail15normal_iteratorINS9_10device_ptrIiEEEENSB_INSC_IxEEEESG_xNS9_4plusIvEENS9_8equal_toIvEExEE10hipError_tPvRmT2_T3_T4_T5_mT6_T7_P12ihipStream_tbENKUlT_T0_E_clISt17integral_constantIbLb0EES10_IbLb1EEEEDaSW_SX_EUlSW_E_NS1_11comp_targetILNS1_3genE2ELNS1_11target_archE906ELNS1_3gpuE6ELNS1_3repE0EEENS1_30default_config_static_selectorELNS0_4arch9wavefront6targetE1EEEvT1_
    .private_segment_fixed_size: 0
    .sgpr_count:     4
    .sgpr_spill_count: 0
    .symbol:         _ZN7rocprim17ROCPRIM_400000_NS6detail17trampoline_kernelINS0_14default_configENS1_27scan_by_key_config_selectorIixEEZZNS1_16scan_by_key_implILNS1_25lookback_scan_determinismE0ELb0ES3_N6thrust23THRUST_200600_302600_NS6detail15normal_iteratorINS9_10device_ptrIiEEEENSB_INSC_IxEEEESG_xNS9_4plusIvEENS9_8equal_toIvEExEE10hipError_tPvRmT2_T3_T4_T5_mT6_T7_P12ihipStream_tbENKUlT_T0_E_clISt17integral_constantIbLb0EES10_IbLb1EEEEDaSW_SX_EUlSW_E_NS1_11comp_targetILNS1_3genE2ELNS1_11target_archE906ELNS1_3gpuE6ELNS1_3repE0EEENS1_30default_config_static_selectorELNS0_4arch9wavefront6targetE1EEEvT1_.kd
    .uniform_work_group_size: 1
    .uses_dynamic_stack: false
    .vgpr_count:     0
    .vgpr_spill_count: 0
    .wavefront_size: 64
  - .agpr_count:     0
    .args:
      - .offset:         0
        .size:           136
        .value_kind:     by_value
    .group_segment_fixed_size: 0
    .kernarg_segment_align: 8
    .kernarg_segment_size: 136
    .language:       OpenCL C
    .language_version:
      - 2
      - 0
    .max_flat_workgroup_size: 256
    .name:           _ZN7rocprim17ROCPRIM_400000_NS6detail17trampoline_kernelINS0_14default_configENS1_27scan_by_key_config_selectorIixEEZZNS1_16scan_by_key_implILNS1_25lookback_scan_determinismE0ELb0ES3_N6thrust23THRUST_200600_302600_NS6detail15normal_iteratorINS9_10device_ptrIiEEEENSB_INSC_IxEEEESG_xNS9_4plusIvEENS9_8equal_toIvEExEE10hipError_tPvRmT2_T3_T4_T5_mT6_T7_P12ihipStream_tbENKUlT_T0_E_clISt17integral_constantIbLb0EES10_IbLb1EEEEDaSW_SX_EUlSW_E_NS1_11comp_targetILNS1_3genE10ELNS1_11target_archE1200ELNS1_3gpuE4ELNS1_3repE0EEENS1_30default_config_static_selectorELNS0_4arch9wavefront6targetE1EEEvT1_
    .private_segment_fixed_size: 0
    .sgpr_count:     4
    .sgpr_spill_count: 0
    .symbol:         _ZN7rocprim17ROCPRIM_400000_NS6detail17trampoline_kernelINS0_14default_configENS1_27scan_by_key_config_selectorIixEEZZNS1_16scan_by_key_implILNS1_25lookback_scan_determinismE0ELb0ES3_N6thrust23THRUST_200600_302600_NS6detail15normal_iteratorINS9_10device_ptrIiEEEENSB_INSC_IxEEEESG_xNS9_4plusIvEENS9_8equal_toIvEExEE10hipError_tPvRmT2_T3_T4_T5_mT6_T7_P12ihipStream_tbENKUlT_T0_E_clISt17integral_constantIbLb0EES10_IbLb1EEEEDaSW_SX_EUlSW_E_NS1_11comp_targetILNS1_3genE10ELNS1_11target_archE1200ELNS1_3gpuE4ELNS1_3repE0EEENS1_30default_config_static_selectorELNS0_4arch9wavefront6targetE1EEEvT1_.kd
    .uniform_work_group_size: 1
    .uses_dynamic_stack: false
    .vgpr_count:     0
    .vgpr_spill_count: 0
    .wavefront_size: 64
  - .agpr_count:     0
    .args:
      - .offset:         0
        .size:           136
        .value_kind:     by_value
    .group_segment_fixed_size: 0
    .kernarg_segment_align: 8
    .kernarg_segment_size: 136
    .language:       OpenCL C
    .language_version:
      - 2
      - 0
    .max_flat_workgroup_size: 256
    .name:           _ZN7rocprim17ROCPRIM_400000_NS6detail17trampoline_kernelINS0_14default_configENS1_27scan_by_key_config_selectorIixEEZZNS1_16scan_by_key_implILNS1_25lookback_scan_determinismE0ELb0ES3_N6thrust23THRUST_200600_302600_NS6detail15normal_iteratorINS9_10device_ptrIiEEEENSB_INSC_IxEEEESG_xNS9_4plusIvEENS9_8equal_toIvEExEE10hipError_tPvRmT2_T3_T4_T5_mT6_T7_P12ihipStream_tbENKUlT_T0_E_clISt17integral_constantIbLb0EES10_IbLb1EEEEDaSW_SX_EUlSW_E_NS1_11comp_targetILNS1_3genE9ELNS1_11target_archE1100ELNS1_3gpuE3ELNS1_3repE0EEENS1_30default_config_static_selectorELNS0_4arch9wavefront6targetE1EEEvT1_
    .private_segment_fixed_size: 0
    .sgpr_count:     4
    .sgpr_spill_count: 0
    .symbol:         _ZN7rocprim17ROCPRIM_400000_NS6detail17trampoline_kernelINS0_14default_configENS1_27scan_by_key_config_selectorIixEEZZNS1_16scan_by_key_implILNS1_25lookback_scan_determinismE0ELb0ES3_N6thrust23THRUST_200600_302600_NS6detail15normal_iteratorINS9_10device_ptrIiEEEENSB_INSC_IxEEEESG_xNS9_4plusIvEENS9_8equal_toIvEExEE10hipError_tPvRmT2_T3_T4_T5_mT6_T7_P12ihipStream_tbENKUlT_T0_E_clISt17integral_constantIbLb0EES10_IbLb1EEEEDaSW_SX_EUlSW_E_NS1_11comp_targetILNS1_3genE9ELNS1_11target_archE1100ELNS1_3gpuE3ELNS1_3repE0EEENS1_30default_config_static_selectorELNS0_4arch9wavefront6targetE1EEEvT1_.kd
    .uniform_work_group_size: 1
    .uses_dynamic_stack: false
    .vgpr_count:     0
    .vgpr_spill_count: 0
    .wavefront_size: 64
  - .agpr_count:     0
    .args:
      - .offset:         0
        .size:           136
        .value_kind:     by_value
    .group_segment_fixed_size: 0
    .kernarg_segment_align: 8
    .kernarg_segment_size: 136
    .language:       OpenCL C
    .language_version:
      - 2
      - 0
    .max_flat_workgroup_size: 256
    .name:           _ZN7rocprim17ROCPRIM_400000_NS6detail17trampoline_kernelINS0_14default_configENS1_27scan_by_key_config_selectorIixEEZZNS1_16scan_by_key_implILNS1_25lookback_scan_determinismE0ELb0ES3_N6thrust23THRUST_200600_302600_NS6detail15normal_iteratorINS9_10device_ptrIiEEEENSB_INSC_IxEEEESG_xNS9_4plusIvEENS9_8equal_toIvEExEE10hipError_tPvRmT2_T3_T4_T5_mT6_T7_P12ihipStream_tbENKUlT_T0_E_clISt17integral_constantIbLb0EES10_IbLb1EEEEDaSW_SX_EUlSW_E_NS1_11comp_targetILNS1_3genE8ELNS1_11target_archE1030ELNS1_3gpuE2ELNS1_3repE0EEENS1_30default_config_static_selectorELNS0_4arch9wavefront6targetE1EEEvT1_
    .private_segment_fixed_size: 0
    .sgpr_count:     4
    .sgpr_spill_count: 0
    .symbol:         _ZN7rocprim17ROCPRIM_400000_NS6detail17trampoline_kernelINS0_14default_configENS1_27scan_by_key_config_selectorIixEEZZNS1_16scan_by_key_implILNS1_25lookback_scan_determinismE0ELb0ES3_N6thrust23THRUST_200600_302600_NS6detail15normal_iteratorINS9_10device_ptrIiEEEENSB_INSC_IxEEEESG_xNS9_4plusIvEENS9_8equal_toIvEExEE10hipError_tPvRmT2_T3_T4_T5_mT6_T7_P12ihipStream_tbENKUlT_T0_E_clISt17integral_constantIbLb0EES10_IbLb1EEEEDaSW_SX_EUlSW_E_NS1_11comp_targetILNS1_3genE8ELNS1_11target_archE1030ELNS1_3gpuE2ELNS1_3repE0EEENS1_30default_config_static_selectorELNS0_4arch9wavefront6targetE1EEEvT1_.kd
    .uniform_work_group_size: 1
    .uses_dynamic_stack: false
    .vgpr_count:     0
    .vgpr_spill_count: 0
    .wavefront_size: 64
  - .agpr_count:     0
    .args:
      - .offset:         0
        .size:           24
        .value_kind:     by_value
      - .offset:         24
        .size:           8
        .value_kind:     by_value
      - .offset:         32
        .size:           8
        .value_kind:     by_value
    .group_segment_fixed_size: 0
    .kernarg_segment_align: 8
    .kernarg_segment_size: 40
    .language:       OpenCL C
    .language_version:
      - 2
      - 0
    .max_flat_workgroup_size: 256
    .name:           _ZN6thrust23THRUST_200600_302600_NS11hip_rocprim14__parallel_for6kernelILj256ENS1_11__transform17unary_transform_fINS0_7pointerIiNS1_3tagENS0_11use_defaultES8_EENS0_10device_ptrIsEENS4_14no_stencil_tagENS0_8identityIiEENS4_21always_true_predicateEEElLj1EEEvT0_T1_SI_
    .private_segment_fixed_size: 0
    .sgpr_count:     16
    .sgpr_spill_count: 0
    .symbol:         _ZN6thrust23THRUST_200600_302600_NS11hip_rocprim14__parallel_for6kernelILj256ENS1_11__transform17unary_transform_fINS0_7pointerIiNS1_3tagENS0_11use_defaultES8_EENS0_10device_ptrIsEENS4_14no_stencil_tagENS0_8identityIiEENS4_21always_true_predicateEEElLj1EEEvT0_T1_SI_.kd
    .uniform_work_group_size: 1
    .uses_dynamic_stack: false
    .vgpr_count:     6
    .vgpr_spill_count: 0
    .wavefront_size: 64
  - .agpr_count:     0
    .args:
      - .address_space:  global
        .offset:         0
        .size:           8
        .value_kind:     global_buffer
      - .offset:         8
        .size:           4
        .value_kind:     by_value
      - .offset:         12
        .size:           4
        .value_kind:     by_value
      - .address_space:  global
        .offset:         16
        .size:           8
        .value_kind:     global_buffer
      - .address_space:  global
        .offset:         24
        .size:           8
        .value_kind:     global_buffer
      - .actual_access:  write_only
        .address_space:  global
        .offset:         32
        .size:           8
        .value_kind:     global_buffer
      - .offset:         40
        .size:           8
        .value_kind:     by_value
      - .offset:         48
        .size:           4
        .value_kind:     by_value
      - .offset:         52
        .size:           1
        .value_kind:     by_value
      - .offset:         56
        .size:           4
        .value_kind:     hidden_block_count_x
      - .offset:         60
        .size:           4
        .value_kind:     hidden_block_count_y
      - .offset:         64
        .size:           4
        .value_kind:     hidden_block_count_z
      - .offset:         68
        .size:           2
        .value_kind:     hidden_group_size_x
      - .offset:         70
        .size:           2
        .value_kind:     hidden_group_size_y
      - .offset:         72
        .size:           2
        .value_kind:     hidden_group_size_z
      - .offset:         74
        .size:           2
        .value_kind:     hidden_remainder_x
      - .offset:         76
        .size:           2
        .value_kind:     hidden_remainder_y
      - .offset:         78
        .size:           2
        .value_kind:     hidden_remainder_z
      - .offset:         96
        .size:           8
        .value_kind:     hidden_global_offset_x
      - .offset:         104
        .size:           8
        .value_kind:     hidden_global_offset_y
      - .offset:         112
        .size:           8
        .value_kind:     hidden_global_offset_z
      - .offset:         120
        .size:           2
        .value_kind:     hidden_grid_dims
    .group_segment_fixed_size: 0
    .kernarg_segment_align: 8
    .kernarg_segment_size: 312
    .language:       OpenCL C
    .language_version:
      - 2
      - 0
    .max_flat_workgroup_size: 256
    .name:           _ZN7rocprim17ROCPRIM_400000_NS6detail30init_device_scan_by_key_kernelINS1_19lookback_scan_stateINS0_5tupleIJsbEEELb0ELb1EEEN6thrust23THRUST_200600_302600_NS6detail15normal_iteratorINS8_10device_ptrIiEEEEjNS1_16block_id_wrapperIjLb0EEEEEvT_jjPNSG_10value_typeET0_PNSt15iterator_traitsISJ_E10value_typeEmT1_T2_
    .private_segment_fixed_size: 0
    .sgpr_count:     21
    .sgpr_spill_count: 0
    .symbol:         _ZN7rocprim17ROCPRIM_400000_NS6detail30init_device_scan_by_key_kernelINS1_19lookback_scan_stateINS0_5tupleIJsbEEELb0ELb1EEEN6thrust23THRUST_200600_302600_NS6detail15normal_iteratorINS8_10device_ptrIiEEEEjNS1_16block_id_wrapperIjLb0EEEEEvT_jjPNSG_10value_typeET0_PNSt15iterator_traitsISJ_E10value_typeEmT1_T2_.kd
    .uniform_work_group_size: 1
    .uses_dynamic_stack: false
    .vgpr_count:     10
    .vgpr_spill_count: 0
    .wavefront_size: 64
  - .agpr_count:     0
    .args:
      - .offset:         0
        .size:           112
        .value_kind:     by_value
    .group_segment_fixed_size: 0
    .kernarg_segment_align: 8
    .kernarg_segment_size: 112
    .language:       OpenCL C
    .language_version:
      - 2
      - 0
    .max_flat_workgroup_size: 256
    .name:           _ZN7rocprim17ROCPRIM_400000_NS6detail17trampoline_kernelINS0_14default_configENS1_27scan_by_key_config_selectorIisEEZZNS1_16scan_by_key_implILNS1_25lookback_scan_determinismE0ELb0ES3_N6thrust23THRUST_200600_302600_NS6detail15normal_iteratorINS9_10device_ptrIiEEEENSB_INSC_IsEEEESG_sNS9_4plusIvEENS9_8equal_toIvEEsEE10hipError_tPvRmT2_T3_T4_T5_mT6_T7_P12ihipStream_tbENKUlT_T0_E_clISt17integral_constantIbLb0EES11_EEDaSW_SX_EUlSW_E_NS1_11comp_targetILNS1_3genE0ELNS1_11target_archE4294967295ELNS1_3gpuE0ELNS1_3repE0EEENS1_30default_config_static_selectorELNS0_4arch9wavefront6targetE1EEEvT1_
    .private_segment_fixed_size: 0
    .sgpr_count:     4
    .sgpr_spill_count: 0
    .symbol:         _ZN7rocprim17ROCPRIM_400000_NS6detail17trampoline_kernelINS0_14default_configENS1_27scan_by_key_config_selectorIisEEZZNS1_16scan_by_key_implILNS1_25lookback_scan_determinismE0ELb0ES3_N6thrust23THRUST_200600_302600_NS6detail15normal_iteratorINS9_10device_ptrIiEEEENSB_INSC_IsEEEESG_sNS9_4plusIvEENS9_8equal_toIvEEsEE10hipError_tPvRmT2_T3_T4_T5_mT6_T7_P12ihipStream_tbENKUlT_T0_E_clISt17integral_constantIbLb0EES11_EEDaSW_SX_EUlSW_E_NS1_11comp_targetILNS1_3genE0ELNS1_11target_archE4294967295ELNS1_3gpuE0ELNS1_3repE0EEENS1_30default_config_static_selectorELNS0_4arch9wavefront6targetE1EEEvT1_.kd
    .uniform_work_group_size: 1
    .uses_dynamic_stack: false
    .vgpr_count:     0
    .vgpr_spill_count: 0
    .wavefront_size: 64
  - .agpr_count:     0
    .args:
      - .offset:         0
        .size:           112
        .value_kind:     by_value
    .group_segment_fixed_size: 0
    .kernarg_segment_align: 8
    .kernarg_segment_size: 112
    .language:       OpenCL C
    .language_version:
      - 2
      - 0
    .max_flat_workgroup_size: 256
    .name:           _ZN7rocprim17ROCPRIM_400000_NS6detail17trampoline_kernelINS0_14default_configENS1_27scan_by_key_config_selectorIisEEZZNS1_16scan_by_key_implILNS1_25lookback_scan_determinismE0ELb0ES3_N6thrust23THRUST_200600_302600_NS6detail15normal_iteratorINS9_10device_ptrIiEEEENSB_INSC_IsEEEESG_sNS9_4plusIvEENS9_8equal_toIvEEsEE10hipError_tPvRmT2_T3_T4_T5_mT6_T7_P12ihipStream_tbENKUlT_T0_E_clISt17integral_constantIbLb0EES11_EEDaSW_SX_EUlSW_E_NS1_11comp_targetILNS1_3genE10ELNS1_11target_archE1201ELNS1_3gpuE5ELNS1_3repE0EEENS1_30default_config_static_selectorELNS0_4arch9wavefront6targetE1EEEvT1_
    .private_segment_fixed_size: 0
    .sgpr_count:     4
    .sgpr_spill_count: 0
    .symbol:         _ZN7rocprim17ROCPRIM_400000_NS6detail17trampoline_kernelINS0_14default_configENS1_27scan_by_key_config_selectorIisEEZZNS1_16scan_by_key_implILNS1_25lookback_scan_determinismE0ELb0ES3_N6thrust23THRUST_200600_302600_NS6detail15normal_iteratorINS9_10device_ptrIiEEEENSB_INSC_IsEEEESG_sNS9_4plusIvEENS9_8equal_toIvEEsEE10hipError_tPvRmT2_T3_T4_T5_mT6_T7_P12ihipStream_tbENKUlT_T0_E_clISt17integral_constantIbLb0EES11_EEDaSW_SX_EUlSW_E_NS1_11comp_targetILNS1_3genE10ELNS1_11target_archE1201ELNS1_3gpuE5ELNS1_3repE0EEENS1_30default_config_static_selectorELNS0_4arch9wavefront6targetE1EEEvT1_.kd
    .uniform_work_group_size: 1
    .uses_dynamic_stack: false
    .vgpr_count:     0
    .vgpr_spill_count: 0
    .wavefront_size: 64
  - .agpr_count:     0
    .args:
      - .offset:         0
        .size:           112
        .value_kind:     by_value
    .group_segment_fixed_size: 0
    .kernarg_segment_align: 8
    .kernarg_segment_size: 112
    .language:       OpenCL C
    .language_version:
      - 2
      - 0
    .max_flat_workgroup_size: 256
    .name:           _ZN7rocprim17ROCPRIM_400000_NS6detail17trampoline_kernelINS0_14default_configENS1_27scan_by_key_config_selectorIisEEZZNS1_16scan_by_key_implILNS1_25lookback_scan_determinismE0ELb0ES3_N6thrust23THRUST_200600_302600_NS6detail15normal_iteratorINS9_10device_ptrIiEEEENSB_INSC_IsEEEESG_sNS9_4plusIvEENS9_8equal_toIvEEsEE10hipError_tPvRmT2_T3_T4_T5_mT6_T7_P12ihipStream_tbENKUlT_T0_E_clISt17integral_constantIbLb0EES11_EEDaSW_SX_EUlSW_E_NS1_11comp_targetILNS1_3genE5ELNS1_11target_archE942ELNS1_3gpuE9ELNS1_3repE0EEENS1_30default_config_static_selectorELNS0_4arch9wavefront6targetE1EEEvT1_
    .private_segment_fixed_size: 0
    .sgpr_count:     4
    .sgpr_spill_count: 0
    .symbol:         _ZN7rocprim17ROCPRIM_400000_NS6detail17trampoline_kernelINS0_14default_configENS1_27scan_by_key_config_selectorIisEEZZNS1_16scan_by_key_implILNS1_25lookback_scan_determinismE0ELb0ES3_N6thrust23THRUST_200600_302600_NS6detail15normal_iteratorINS9_10device_ptrIiEEEENSB_INSC_IsEEEESG_sNS9_4plusIvEENS9_8equal_toIvEEsEE10hipError_tPvRmT2_T3_T4_T5_mT6_T7_P12ihipStream_tbENKUlT_T0_E_clISt17integral_constantIbLb0EES11_EEDaSW_SX_EUlSW_E_NS1_11comp_targetILNS1_3genE5ELNS1_11target_archE942ELNS1_3gpuE9ELNS1_3repE0EEENS1_30default_config_static_selectorELNS0_4arch9wavefront6targetE1EEEvT1_.kd
    .uniform_work_group_size: 1
    .uses_dynamic_stack: false
    .vgpr_count:     0
    .vgpr_spill_count: 0
    .wavefront_size: 64
  - .agpr_count:     0
    .args:
      - .offset:         0
        .size:           112
        .value_kind:     by_value
    .group_segment_fixed_size: 6656
    .kernarg_segment_align: 8
    .kernarg_segment_size: 112
    .language:       OpenCL C
    .language_version:
      - 2
      - 0
    .max_flat_workgroup_size: 64
    .name:           _ZN7rocprim17ROCPRIM_400000_NS6detail17trampoline_kernelINS0_14default_configENS1_27scan_by_key_config_selectorIisEEZZNS1_16scan_by_key_implILNS1_25lookback_scan_determinismE0ELb0ES3_N6thrust23THRUST_200600_302600_NS6detail15normal_iteratorINS9_10device_ptrIiEEEENSB_INSC_IsEEEESG_sNS9_4plusIvEENS9_8equal_toIvEEsEE10hipError_tPvRmT2_T3_T4_T5_mT6_T7_P12ihipStream_tbENKUlT_T0_E_clISt17integral_constantIbLb0EES11_EEDaSW_SX_EUlSW_E_NS1_11comp_targetILNS1_3genE4ELNS1_11target_archE910ELNS1_3gpuE8ELNS1_3repE0EEENS1_30default_config_static_selectorELNS0_4arch9wavefront6targetE1EEEvT1_
    .private_segment_fixed_size: 0
    .sgpr_count:     87
    .sgpr_spill_count: 0
    .symbol:         _ZN7rocprim17ROCPRIM_400000_NS6detail17trampoline_kernelINS0_14default_configENS1_27scan_by_key_config_selectorIisEEZZNS1_16scan_by_key_implILNS1_25lookback_scan_determinismE0ELb0ES3_N6thrust23THRUST_200600_302600_NS6detail15normal_iteratorINS9_10device_ptrIiEEEENSB_INSC_IsEEEESG_sNS9_4plusIvEENS9_8equal_toIvEEsEE10hipError_tPvRmT2_T3_T4_T5_mT6_T7_P12ihipStream_tbENKUlT_T0_E_clISt17integral_constantIbLb0EES11_EEDaSW_SX_EUlSW_E_NS1_11comp_targetILNS1_3genE4ELNS1_11target_archE910ELNS1_3gpuE8ELNS1_3repE0EEENS1_30default_config_static_selectorELNS0_4arch9wavefront6targetE1EEEvT1_.kd
    .uniform_work_group_size: 1
    .uses_dynamic_stack: false
    .vgpr_count:     58
    .vgpr_spill_count: 0
    .wavefront_size: 64
  - .agpr_count:     0
    .args:
      - .offset:         0
        .size:           112
        .value_kind:     by_value
    .group_segment_fixed_size: 0
    .kernarg_segment_align: 8
    .kernarg_segment_size: 112
    .language:       OpenCL C
    .language_version:
      - 2
      - 0
    .max_flat_workgroup_size: 256
    .name:           _ZN7rocprim17ROCPRIM_400000_NS6detail17trampoline_kernelINS0_14default_configENS1_27scan_by_key_config_selectorIisEEZZNS1_16scan_by_key_implILNS1_25lookback_scan_determinismE0ELb0ES3_N6thrust23THRUST_200600_302600_NS6detail15normal_iteratorINS9_10device_ptrIiEEEENSB_INSC_IsEEEESG_sNS9_4plusIvEENS9_8equal_toIvEEsEE10hipError_tPvRmT2_T3_T4_T5_mT6_T7_P12ihipStream_tbENKUlT_T0_E_clISt17integral_constantIbLb0EES11_EEDaSW_SX_EUlSW_E_NS1_11comp_targetILNS1_3genE3ELNS1_11target_archE908ELNS1_3gpuE7ELNS1_3repE0EEENS1_30default_config_static_selectorELNS0_4arch9wavefront6targetE1EEEvT1_
    .private_segment_fixed_size: 0
    .sgpr_count:     4
    .sgpr_spill_count: 0
    .symbol:         _ZN7rocprim17ROCPRIM_400000_NS6detail17trampoline_kernelINS0_14default_configENS1_27scan_by_key_config_selectorIisEEZZNS1_16scan_by_key_implILNS1_25lookback_scan_determinismE0ELb0ES3_N6thrust23THRUST_200600_302600_NS6detail15normal_iteratorINS9_10device_ptrIiEEEENSB_INSC_IsEEEESG_sNS9_4plusIvEENS9_8equal_toIvEEsEE10hipError_tPvRmT2_T3_T4_T5_mT6_T7_P12ihipStream_tbENKUlT_T0_E_clISt17integral_constantIbLb0EES11_EEDaSW_SX_EUlSW_E_NS1_11comp_targetILNS1_3genE3ELNS1_11target_archE908ELNS1_3gpuE7ELNS1_3repE0EEENS1_30default_config_static_selectorELNS0_4arch9wavefront6targetE1EEEvT1_.kd
    .uniform_work_group_size: 1
    .uses_dynamic_stack: false
    .vgpr_count:     0
    .vgpr_spill_count: 0
    .wavefront_size: 64
  - .agpr_count:     0
    .args:
      - .offset:         0
        .size:           112
        .value_kind:     by_value
    .group_segment_fixed_size: 0
    .kernarg_segment_align: 8
    .kernarg_segment_size: 112
    .language:       OpenCL C
    .language_version:
      - 2
      - 0
    .max_flat_workgroup_size: 64
    .name:           _ZN7rocprim17ROCPRIM_400000_NS6detail17trampoline_kernelINS0_14default_configENS1_27scan_by_key_config_selectorIisEEZZNS1_16scan_by_key_implILNS1_25lookback_scan_determinismE0ELb0ES3_N6thrust23THRUST_200600_302600_NS6detail15normal_iteratorINS9_10device_ptrIiEEEENSB_INSC_IsEEEESG_sNS9_4plusIvEENS9_8equal_toIvEEsEE10hipError_tPvRmT2_T3_T4_T5_mT6_T7_P12ihipStream_tbENKUlT_T0_E_clISt17integral_constantIbLb0EES11_EEDaSW_SX_EUlSW_E_NS1_11comp_targetILNS1_3genE2ELNS1_11target_archE906ELNS1_3gpuE6ELNS1_3repE0EEENS1_30default_config_static_selectorELNS0_4arch9wavefront6targetE1EEEvT1_
    .private_segment_fixed_size: 0
    .sgpr_count:     4
    .sgpr_spill_count: 0
    .symbol:         _ZN7rocprim17ROCPRIM_400000_NS6detail17trampoline_kernelINS0_14default_configENS1_27scan_by_key_config_selectorIisEEZZNS1_16scan_by_key_implILNS1_25lookback_scan_determinismE0ELb0ES3_N6thrust23THRUST_200600_302600_NS6detail15normal_iteratorINS9_10device_ptrIiEEEENSB_INSC_IsEEEESG_sNS9_4plusIvEENS9_8equal_toIvEEsEE10hipError_tPvRmT2_T3_T4_T5_mT6_T7_P12ihipStream_tbENKUlT_T0_E_clISt17integral_constantIbLb0EES11_EEDaSW_SX_EUlSW_E_NS1_11comp_targetILNS1_3genE2ELNS1_11target_archE906ELNS1_3gpuE6ELNS1_3repE0EEENS1_30default_config_static_selectorELNS0_4arch9wavefront6targetE1EEEvT1_.kd
    .uniform_work_group_size: 1
    .uses_dynamic_stack: false
    .vgpr_count:     0
    .vgpr_spill_count: 0
    .wavefront_size: 64
  - .agpr_count:     0
    .args:
      - .offset:         0
        .size:           112
        .value_kind:     by_value
    .group_segment_fixed_size: 0
    .kernarg_segment_align: 8
    .kernarg_segment_size: 112
    .language:       OpenCL C
    .language_version:
      - 2
      - 0
    .max_flat_workgroup_size: 256
    .name:           _ZN7rocprim17ROCPRIM_400000_NS6detail17trampoline_kernelINS0_14default_configENS1_27scan_by_key_config_selectorIisEEZZNS1_16scan_by_key_implILNS1_25lookback_scan_determinismE0ELb0ES3_N6thrust23THRUST_200600_302600_NS6detail15normal_iteratorINS9_10device_ptrIiEEEENSB_INSC_IsEEEESG_sNS9_4plusIvEENS9_8equal_toIvEEsEE10hipError_tPvRmT2_T3_T4_T5_mT6_T7_P12ihipStream_tbENKUlT_T0_E_clISt17integral_constantIbLb0EES11_EEDaSW_SX_EUlSW_E_NS1_11comp_targetILNS1_3genE10ELNS1_11target_archE1200ELNS1_3gpuE4ELNS1_3repE0EEENS1_30default_config_static_selectorELNS0_4arch9wavefront6targetE1EEEvT1_
    .private_segment_fixed_size: 0
    .sgpr_count:     4
    .sgpr_spill_count: 0
    .symbol:         _ZN7rocprim17ROCPRIM_400000_NS6detail17trampoline_kernelINS0_14default_configENS1_27scan_by_key_config_selectorIisEEZZNS1_16scan_by_key_implILNS1_25lookback_scan_determinismE0ELb0ES3_N6thrust23THRUST_200600_302600_NS6detail15normal_iteratorINS9_10device_ptrIiEEEENSB_INSC_IsEEEESG_sNS9_4plusIvEENS9_8equal_toIvEEsEE10hipError_tPvRmT2_T3_T4_T5_mT6_T7_P12ihipStream_tbENKUlT_T0_E_clISt17integral_constantIbLb0EES11_EEDaSW_SX_EUlSW_E_NS1_11comp_targetILNS1_3genE10ELNS1_11target_archE1200ELNS1_3gpuE4ELNS1_3repE0EEENS1_30default_config_static_selectorELNS0_4arch9wavefront6targetE1EEEvT1_.kd
    .uniform_work_group_size: 1
    .uses_dynamic_stack: false
    .vgpr_count:     0
    .vgpr_spill_count: 0
    .wavefront_size: 64
  - .agpr_count:     0
    .args:
      - .offset:         0
        .size:           112
        .value_kind:     by_value
    .group_segment_fixed_size: 0
    .kernarg_segment_align: 8
    .kernarg_segment_size: 112
    .language:       OpenCL C
    .language_version:
      - 2
      - 0
    .max_flat_workgroup_size: 64
    .name:           _ZN7rocprim17ROCPRIM_400000_NS6detail17trampoline_kernelINS0_14default_configENS1_27scan_by_key_config_selectorIisEEZZNS1_16scan_by_key_implILNS1_25lookback_scan_determinismE0ELb0ES3_N6thrust23THRUST_200600_302600_NS6detail15normal_iteratorINS9_10device_ptrIiEEEENSB_INSC_IsEEEESG_sNS9_4plusIvEENS9_8equal_toIvEEsEE10hipError_tPvRmT2_T3_T4_T5_mT6_T7_P12ihipStream_tbENKUlT_T0_E_clISt17integral_constantIbLb0EES11_EEDaSW_SX_EUlSW_E_NS1_11comp_targetILNS1_3genE9ELNS1_11target_archE1100ELNS1_3gpuE3ELNS1_3repE0EEENS1_30default_config_static_selectorELNS0_4arch9wavefront6targetE1EEEvT1_
    .private_segment_fixed_size: 0
    .sgpr_count:     4
    .sgpr_spill_count: 0
    .symbol:         _ZN7rocprim17ROCPRIM_400000_NS6detail17trampoline_kernelINS0_14default_configENS1_27scan_by_key_config_selectorIisEEZZNS1_16scan_by_key_implILNS1_25lookback_scan_determinismE0ELb0ES3_N6thrust23THRUST_200600_302600_NS6detail15normal_iteratorINS9_10device_ptrIiEEEENSB_INSC_IsEEEESG_sNS9_4plusIvEENS9_8equal_toIvEEsEE10hipError_tPvRmT2_T3_T4_T5_mT6_T7_P12ihipStream_tbENKUlT_T0_E_clISt17integral_constantIbLb0EES11_EEDaSW_SX_EUlSW_E_NS1_11comp_targetILNS1_3genE9ELNS1_11target_archE1100ELNS1_3gpuE3ELNS1_3repE0EEENS1_30default_config_static_selectorELNS0_4arch9wavefront6targetE1EEEvT1_.kd
    .uniform_work_group_size: 1
    .uses_dynamic_stack: false
    .vgpr_count:     0
    .vgpr_spill_count: 0
    .wavefront_size: 64
  - .agpr_count:     0
    .args:
      - .offset:         0
        .size:           112
        .value_kind:     by_value
    .group_segment_fixed_size: 0
    .kernarg_segment_align: 8
    .kernarg_segment_size: 112
    .language:       OpenCL C
    .language_version:
      - 2
      - 0
    .max_flat_workgroup_size: 64
    .name:           _ZN7rocprim17ROCPRIM_400000_NS6detail17trampoline_kernelINS0_14default_configENS1_27scan_by_key_config_selectorIisEEZZNS1_16scan_by_key_implILNS1_25lookback_scan_determinismE0ELb0ES3_N6thrust23THRUST_200600_302600_NS6detail15normal_iteratorINS9_10device_ptrIiEEEENSB_INSC_IsEEEESG_sNS9_4plusIvEENS9_8equal_toIvEEsEE10hipError_tPvRmT2_T3_T4_T5_mT6_T7_P12ihipStream_tbENKUlT_T0_E_clISt17integral_constantIbLb0EES11_EEDaSW_SX_EUlSW_E_NS1_11comp_targetILNS1_3genE8ELNS1_11target_archE1030ELNS1_3gpuE2ELNS1_3repE0EEENS1_30default_config_static_selectorELNS0_4arch9wavefront6targetE1EEEvT1_
    .private_segment_fixed_size: 0
    .sgpr_count:     4
    .sgpr_spill_count: 0
    .symbol:         _ZN7rocprim17ROCPRIM_400000_NS6detail17trampoline_kernelINS0_14default_configENS1_27scan_by_key_config_selectorIisEEZZNS1_16scan_by_key_implILNS1_25lookback_scan_determinismE0ELb0ES3_N6thrust23THRUST_200600_302600_NS6detail15normal_iteratorINS9_10device_ptrIiEEEENSB_INSC_IsEEEESG_sNS9_4plusIvEENS9_8equal_toIvEEsEE10hipError_tPvRmT2_T3_T4_T5_mT6_T7_P12ihipStream_tbENKUlT_T0_E_clISt17integral_constantIbLb0EES11_EEDaSW_SX_EUlSW_E_NS1_11comp_targetILNS1_3genE8ELNS1_11target_archE1030ELNS1_3gpuE2ELNS1_3repE0EEENS1_30default_config_static_selectorELNS0_4arch9wavefront6targetE1EEEvT1_.kd
    .uniform_work_group_size: 1
    .uses_dynamic_stack: false
    .vgpr_count:     0
    .vgpr_spill_count: 0
    .wavefront_size: 64
  - .agpr_count:     0
    .args:
      - .address_space:  global
        .offset:         0
        .size:           8
        .value_kind:     global_buffer
      - .offset:         8
        .size:           4
        .value_kind:     by_value
      - .offset:         12
        .size:           4
        .value_kind:     by_value
      - .address_space:  global
        .offset:         16
        .size:           8
        .value_kind:     global_buffer
      - .address_space:  global
        .offset:         24
        .size:           8
        .value_kind:     global_buffer
      - .actual_access:  write_only
        .address_space:  global
        .offset:         32
        .size:           8
        .value_kind:     global_buffer
      - .offset:         40
        .size:           8
        .value_kind:     by_value
      - .offset:         48
        .size:           4
        .value_kind:     by_value
      - .address_space:  global
        .offset:         56
        .size:           8
        .value_kind:     global_buffer
      - .offset:         64
        .size:           4
        .value_kind:     hidden_block_count_x
      - .offset:         68
        .size:           4
        .value_kind:     hidden_block_count_y
      - .offset:         72
        .size:           4
        .value_kind:     hidden_block_count_z
      - .offset:         76
        .size:           2
        .value_kind:     hidden_group_size_x
      - .offset:         78
        .size:           2
        .value_kind:     hidden_group_size_y
      - .offset:         80
        .size:           2
        .value_kind:     hidden_group_size_z
      - .offset:         82
        .size:           2
        .value_kind:     hidden_remainder_x
      - .offset:         84
        .size:           2
        .value_kind:     hidden_remainder_y
      - .offset:         86
        .size:           2
        .value_kind:     hidden_remainder_z
      - .offset:         104
        .size:           8
        .value_kind:     hidden_global_offset_x
      - .offset:         112
        .size:           8
        .value_kind:     hidden_global_offset_y
      - .offset:         120
        .size:           8
        .value_kind:     hidden_global_offset_z
      - .offset:         128
        .size:           2
        .value_kind:     hidden_grid_dims
    .group_segment_fixed_size: 0
    .kernarg_segment_align: 8
    .kernarg_segment_size: 320
    .language:       OpenCL C
    .language_version:
      - 2
      - 0
    .max_flat_workgroup_size: 256
    .name:           _ZN7rocprim17ROCPRIM_400000_NS6detail30init_device_scan_by_key_kernelINS1_19lookback_scan_stateINS0_5tupleIJsbEEELb1ELb1EEEN6thrust23THRUST_200600_302600_NS6detail15normal_iteratorINS8_10device_ptrIiEEEEjNS1_16block_id_wrapperIjLb1EEEEEvT_jjPNSG_10value_typeET0_PNSt15iterator_traitsISJ_E10value_typeEmT1_T2_
    .private_segment_fixed_size: 0
    .sgpr_count:     24
    .sgpr_spill_count: 0
    .symbol:         _ZN7rocprim17ROCPRIM_400000_NS6detail30init_device_scan_by_key_kernelINS1_19lookback_scan_stateINS0_5tupleIJsbEEELb1ELb1EEEN6thrust23THRUST_200600_302600_NS6detail15normal_iteratorINS8_10device_ptrIiEEEEjNS1_16block_id_wrapperIjLb1EEEEEvT_jjPNSG_10value_typeET0_PNSt15iterator_traitsISJ_E10value_typeEmT1_T2_.kd
    .uniform_work_group_size: 1
    .uses_dynamic_stack: false
    .vgpr_count:     10
    .vgpr_spill_count: 0
    .wavefront_size: 64
  - .agpr_count:     0
    .args:
      - .offset:         0
        .size:           112
        .value_kind:     by_value
    .group_segment_fixed_size: 0
    .kernarg_segment_align: 8
    .kernarg_segment_size: 112
    .language:       OpenCL C
    .language_version:
      - 2
      - 0
    .max_flat_workgroup_size: 256
    .name:           _ZN7rocprim17ROCPRIM_400000_NS6detail17trampoline_kernelINS0_14default_configENS1_27scan_by_key_config_selectorIisEEZZNS1_16scan_by_key_implILNS1_25lookback_scan_determinismE0ELb0ES3_N6thrust23THRUST_200600_302600_NS6detail15normal_iteratorINS9_10device_ptrIiEEEENSB_INSC_IsEEEESG_sNS9_4plusIvEENS9_8equal_toIvEEsEE10hipError_tPvRmT2_T3_T4_T5_mT6_T7_P12ihipStream_tbENKUlT_T0_E_clISt17integral_constantIbLb1EES11_EEDaSW_SX_EUlSW_E_NS1_11comp_targetILNS1_3genE0ELNS1_11target_archE4294967295ELNS1_3gpuE0ELNS1_3repE0EEENS1_30default_config_static_selectorELNS0_4arch9wavefront6targetE1EEEvT1_
    .private_segment_fixed_size: 0
    .sgpr_count:     4
    .sgpr_spill_count: 0
    .symbol:         _ZN7rocprim17ROCPRIM_400000_NS6detail17trampoline_kernelINS0_14default_configENS1_27scan_by_key_config_selectorIisEEZZNS1_16scan_by_key_implILNS1_25lookback_scan_determinismE0ELb0ES3_N6thrust23THRUST_200600_302600_NS6detail15normal_iteratorINS9_10device_ptrIiEEEENSB_INSC_IsEEEESG_sNS9_4plusIvEENS9_8equal_toIvEEsEE10hipError_tPvRmT2_T3_T4_T5_mT6_T7_P12ihipStream_tbENKUlT_T0_E_clISt17integral_constantIbLb1EES11_EEDaSW_SX_EUlSW_E_NS1_11comp_targetILNS1_3genE0ELNS1_11target_archE4294967295ELNS1_3gpuE0ELNS1_3repE0EEENS1_30default_config_static_selectorELNS0_4arch9wavefront6targetE1EEEvT1_.kd
    .uniform_work_group_size: 1
    .uses_dynamic_stack: false
    .vgpr_count:     0
    .vgpr_spill_count: 0
    .wavefront_size: 64
  - .agpr_count:     0
    .args:
      - .offset:         0
        .size:           112
        .value_kind:     by_value
    .group_segment_fixed_size: 0
    .kernarg_segment_align: 8
    .kernarg_segment_size: 112
    .language:       OpenCL C
    .language_version:
      - 2
      - 0
    .max_flat_workgroup_size: 256
    .name:           _ZN7rocprim17ROCPRIM_400000_NS6detail17trampoline_kernelINS0_14default_configENS1_27scan_by_key_config_selectorIisEEZZNS1_16scan_by_key_implILNS1_25lookback_scan_determinismE0ELb0ES3_N6thrust23THRUST_200600_302600_NS6detail15normal_iteratorINS9_10device_ptrIiEEEENSB_INSC_IsEEEESG_sNS9_4plusIvEENS9_8equal_toIvEEsEE10hipError_tPvRmT2_T3_T4_T5_mT6_T7_P12ihipStream_tbENKUlT_T0_E_clISt17integral_constantIbLb1EES11_EEDaSW_SX_EUlSW_E_NS1_11comp_targetILNS1_3genE10ELNS1_11target_archE1201ELNS1_3gpuE5ELNS1_3repE0EEENS1_30default_config_static_selectorELNS0_4arch9wavefront6targetE1EEEvT1_
    .private_segment_fixed_size: 0
    .sgpr_count:     4
    .sgpr_spill_count: 0
    .symbol:         _ZN7rocprim17ROCPRIM_400000_NS6detail17trampoline_kernelINS0_14default_configENS1_27scan_by_key_config_selectorIisEEZZNS1_16scan_by_key_implILNS1_25lookback_scan_determinismE0ELb0ES3_N6thrust23THRUST_200600_302600_NS6detail15normal_iteratorINS9_10device_ptrIiEEEENSB_INSC_IsEEEESG_sNS9_4plusIvEENS9_8equal_toIvEEsEE10hipError_tPvRmT2_T3_T4_T5_mT6_T7_P12ihipStream_tbENKUlT_T0_E_clISt17integral_constantIbLb1EES11_EEDaSW_SX_EUlSW_E_NS1_11comp_targetILNS1_3genE10ELNS1_11target_archE1201ELNS1_3gpuE5ELNS1_3repE0EEENS1_30default_config_static_selectorELNS0_4arch9wavefront6targetE1EEEvT1_.kd
    .uniform_work_group_size: 1
    .uses_dynamic_stack: false
    .vgpr_count:     0
    .vgpr_spill_count: 0
    .wavefront_size: 64
  - .agpr_count:     0
    .args:
      - .offset:         0
        .size:           112
        .value_kind:     by_value
    .group_segment_fixed_size: 0
    .kernarg_segment_align: 8
    .kernarg_segment_size: 112
    .language:       OpenCL C
    .language_version:
      - 2
      - 0
    .max_flat_workgroup_size: 256
    .name:           _ZN7rocprim17ROCPRIM_400000_NS6detail17trampoline_kernelINS0_14default_configENS1_27scan_by_key_config_selectorIisEEZZNS1_16scan_by_key_implILNS1_25lookback_scan_determinismE0ELb0ES3_N6thrust23THRUST_200600_302600_NS6detail15normal_iteratorINS9_10device_ptrIiEEEENSB_INSC_IsEEEESG_sNS9_4plusIvEENS9_8equal_toIvEEsEE10hipError_tPvRmT2_T3_T4_T5_mT6_T7_P12ihipStream_tbENKUlT_T0_E_clISt17integral_constantIbLb1EES11_EEDaSW_SX_EUlSW_E_NS1_11comp_targetILNS1_3genE5ELNS1_11target_archE942ELNS1_3gpuE9ELNS1_3repE0EEENS1_30default_config_static_selectorELNS0_4arch9wavefront6targetE1EEEvT1_
    .private_segment_fixed_size: 0
    .sgpr_count:     4
    .sgpr_spill_count: 0
    .symbol:         _ZN7rocprim17ROCPRIM_400000_NS6detail17trampoline_kernelINS0_14default_configENS1_27scan_by_key_config_selectorIisEEZZNS1_16scan_by_key_implILNS1_25lookback_scan_determinismE0ELb0ES3_N6thrust23THRUST_200600_302600_NS6detail15normal_iteratorINS9_10device_ptrIiEEEENSB_INSC_IsEEEESG_sNS9_4plusIvEENS9_8equal_toIvEEsEE10hipError_tPvRmT2_T3_T4_T5_mT6_T7_P12ihipStream_tbENKUlT_T0_E_clISt17integral_constantIbLb1EES11_EEDaSW_SX_EUlSW_E_NS1_11comp_targetILNS1_3genE5ELNS1_11target_archE942ELNS1_3gpuE9ELNS1_3repE0EEENS1_30default_config_static_selectorELNS0_4arch9wavefront6targetE1EEEvT1_.kd
    .uniform_work_group_size: 1
    .uses_dynamic_stack: false
    .vgpr_count:     0
    .vgpr_spill_count: 0
    .wavefront_size: 64
  - .agpr_count:     0
    .args:
      - .offset:         0
        .size:           112
        .value_kind:     by_value
    .group_segment_fixed_size: 6656
    .kernarg_segment_align: 8
    .kernarg_segment_size: 112
    .language:       OpenCL C
    .language_version:
      - 2
      - 0
    .max_flat_workgroup_size: 64
    .name:           _ZN7rocprim17ROCPRIM_400000_NS6detail17trampoline_kernelINS0_14default_configENS1_27scan_by_key_config_selectorIisEEZZNS1_16scan_by_key_implILNS1_25lookback_scan_determinismE0ELb0ES3_N6thrust23THRUST_200600_302600_NS6detail15normal_iteratorINS9_10device_ptrIiEEEENSB_INSC_IsEEEESG_sNS9_4plusIvEENS9_8equal_toIvEEsEE10hipError_tPvRmT2_T3_T4_T5_mT6_T7_P12ihipStream_tbENKUlT_T0_E_clISt17integral_constantIbLb1EES11_EEDaSW_SX_EUlSW_E_NS1_11comp_targetILNS1_3genE4ELNS1_11target_archE910ELNS1_3gpuE8ELNS1_3repE0EEENS1_30default_config_static_selectorELNS0_4arch9wavefront6targetE1EEEvT1_
    .private_segment_fixed_size: 0
    .sgpr_count:     91
    .sgpr_spill_count: 0
    .symbol:         _ZN7rocprim17ROCPRIM_400000_NS6detail17trampoline_kernelINS0_14default_configENS1_27scan_by_key_config_selectorIisEEZZNS1_16scan_by_key_implILNS1_25lookback_scan_determinismE0ELb0ES3_N6thrust23THRUST_200600_302600_NS6detail15normal_iteratorINS9_10device_ptrIiEEEENSB_INSC_IsEEEESG_sNS9_4plusIvEENS9_8equal_toIvEEsEE10hipError_tPvRmT2_T3_T4_T5_mT6_T7_P12ihipStream_tbENKUlT_T0_E_clISt17integral_constantIbLb1EES11_EEDaSW_SX_EUlSW_E_NS1_11comp_targetILNS1_3genE4ELNS1_11target_archE910ELNS1_3gpuE8ELNS1_3repE0EEENS1_30default_config_static_selectorELNS0_4arch9wavefront6targetE1EEEvT1_.kd
    .uniform_work_group_size: 1
    .uses_dynamic_stack: false
    .vgpr_count:     58
    .vgpr_spill_count: 0
    .wavefront_size: 64
  - .agpr_count:     0
    .args:
      - .offset:         0
        .size:           112
        .value_kind:     by_value
    .group_segment_fixed_size: 0
    .kernarg_segment_align: 8
    .kernarg_segment_size: 112
    .language:       OpenCL C
    .language_version:
      - 2
      - 0
    .max_flat_workgroup_size: 256
    .name:           _ZN7rocprim17ROCPRIM_400000_NS6detail17trampoline_kernelINS0_14default_configENS1_27scan_by_key_config_selectorIisEEZZNS1_16scan_by_key_implILNS1_25lookback_scan_determinismE0ELb0ES3_N6thrust23THRUST_200600_302600_NS6detail15normal_iteratorINS9_10device_ptrIiEEEENSB_INSC_IsEEEESG_sNS9_4plusIvEENS9_8equal_toIvEEsEE10hipError_tPvRmT2_T3_T4_T5_mT6_T7_P12ihipStream_tbENKUlT_T0_E_clISt17integral_constantIbLb1EES11_EEDaSW_SX_EUlSW_E_NS1_11comp_targetILNS1_3genE3ELNS1_11target_archE908ELNS1_3gpuE7ELNS1_3repE0EEENS1_30default_config_static_selectorELNS0_4arch9wavefront6targetE1EEEvT1_
    .private_segment_fixed_size: 0
    .sgpr_count:     4
    .sgpr_spill_count: 0
    .symbol:         _ZN7rocprim17ROCPRIM_400000_NS6detail17trampoline_kernelINS0_14default_configENS1_27scan_by_key_config_selectorIisEEZZNS1_16scan_by_key_implILNS1_25lookback_scan_determinismE0ELb0ES3_N6thrust23THRUST_200600_302600_NS6detail15normal_iteratorINS9_10device_ptrIiEEEENSB_INSC_IsEEEESG_sNS9_4plusIvEENS9_8equal_toIvEEsEE10hipError_tPvRmT2_T3_T4_T5_mT6_T7_P12ihipStream_tbENKUlT_T0_E_clISt17integral_constantIbLb1EES11_EEDaSW_SX_EUlSW_E_NS1_11comp_targetILNS1_3genE3ELNS1_11target_archE908ELNS1_3gpuE7ELNS1_3repE0EEENS1_30default_config_static_selectorELNS0_4arch9wavefront6targetE1EEEvT1_.kd
    .uniform_work_group_size: 1
    .uses_dynamic_stack: false
    .vgpr_count:     0
    .vgpr_spill_count: 0
    .wavefront_size: 64
  - .agpr_count:     0
    .args:
      - .offset:         0
        .size:           112
        .value_kind:     by_value
    .group_segment_fixed_size: 0
    .kernarg_segment_align: 8
    .kernarg_segment_size: 112
    .language:       OpenCL C
    .language_version:
      - 2
      - 0
    .max_flat_workgroup_size: 64
    .name:           _ZN7rocprim17ROCPRIM_400000_NS6detail17trampoline_kernelINS0_14default_configENS1_27scan_by_key_config_selectorIisEEZZNS1_16scan_by_key_implILNS1_25lookback_scan_determinismE0ELb0ES3_N6thrust23THRUST_200600_302600_NS6detail15normal_iteratorINS9_10device_ptrIiEEEENSB_INSC_IsEEEESG_sNS9_4plusIvEENS9_8equal_toIvEEsEE10hipError_tPvRmT2_T3_T4_T5_mT6_T7_P12ihipStream_tbENKUlT_T0_E_clISt17integral_constantIbLb1EES11_EEDaSW_SX_EUlSW_E_NS1_11comp_targetILNS1_3genE2ELNS1_11target_archE906ELNS1_3gpuE6ELNS1_3repE0EEENS1_30default_config_static_selectorELNS0_4arch9wavefront6targetE1EEEvT1_
    .private_segment_fixed_size: 0
    .sgpr_count:     4
    .sgpr_spill_count: 0
    .symbol:         _ZN7rocprim17ROCPRIM_400000_NS6detail17trampoline_kernelINS0_14default_configENS1_27scan_by_key_config_selectorIisEEZZNS1_16scan_by_key_implILNS1_25lookback_scan_determinismE0ELb0ES3_N6thrust23THRUST_200600_302600_NS6detail15normal_iteratorINS9_10device_ptrIiEEEENSB_INSC_IsEEEESG_sNS9_4plusIvEENS9_8equal_toIvEEsEE10hipError_tPvRmT2_T3_T4_T5_mT6_T7_P12ihipStream_tbENKUlT_T0_E_clISt17integral_constantIbLb1EES11_EEDaSW_SX_EUlSW_E_NS1_11comp_targetILNS1_3genE2ELNS1_11target_archE906ELNS1_3gpuE6ELNS1_3repE0EEENS1_30default_config_static_selectorELNS0_4arch9wavefront6targetE1EEEvT1_.kd
    .uniform_work_group_size: 1
    .uses_dynamic_stack: false
    .vgpr_count:     0
    .vgpr_spill_count: 0
    .wavefront_size: 64
  - .agpr_count:     0
    .args:
      - .offset:         0
        .size:           112
        .value_kind:     by_value
    .group_segment_fixed_size: 0
    .kernarg_segment_align: 8
    .kernarg_segment_size: 112
    .language:       OpenCL C
    .language_version:
      - 2
      - 0
    .max_flat_workgroup_size: 256
    .name:           _ZN7rocprim17ROCPRIM_400000_NS6detail17trampoline_kernelINS0_14default_configENS1_27scan_by_key_config_selectorIisEEZZNS1_16scan_by_key_implILNS1_25lookback_scan_determinismE0ELb0ES3_N6thrust23THRUST_200600_302600_NS6detail15normal_iteratorINS9_10device_ptrIiEEEENSB_INSC_IsEEEESG_sNS9_4plusIvEENS9_8equal_toIvEEsEE10hipError_tPvRmT2_T3_T4_T5_mT6_T7_P12ihipStream_tbENKUlT_T0_E_clISt17integral_constantIbLb1EES11_EEDaSW_SX_EUlSW_E_NS1_11comp_targetILNS1_3genE10ELNS1_11target_archE1200ELNS1_3gpuE4ELNS1_3repE0EEENS1_30default_config_static_selectorELNS0_4arch9wavefront6targetE1EEEvT1_
    .private_segment_fixed_size: 0
    .sgpr_count:     4
    .sgpr_spill_count: 0
    .symbol:         _ZN7rocprim17ROCPRIM_400000_NS6detail17trampoline_kernelINS0_14default_configENS1_27scan_by_key_config_selectorIisEEZZNS1_16scan_by_key_implILNS1_25lookback_scan_determinismE0ELb0ES3_N6thrust23THRUST_200600_302600_NS6detail15normal_iteratorINS9_10device_ptrIiEEEENSB_INSC_IsEEEESG_sNS9_4plusIvEENS9_8equal_toIvEEsEE10hipError_tPvRmT2_T3_T4_T5_mT6_T7_P12ihipStream_tbENKUlT_T0_E_clISt17integral_constantIbLb1EES11_EEDaSW_SX_EUlSW_E_NS1_11comp_targetILNS1_3genE10ELNS1_11target_archE1200ELNS1_3gpuE4ELNS1_3repE0EEENS1_30default_config_static_selectorELNS0_4arch9wavefront6targetE1EEEvT1_.kd
    .uniform_work_group_size: 1
    .uses_dynamic_stack: false
    .vgpr_count:     0
    .vgpr_spill_count: 0
    .wavefront_size: 64
  - .agpr_count:     0
    .args:
      - .offset:         0
        .size:           112
        .value_kind:     by_value
    .group_segment_fixed_size: 0
    .kernarg_segment_align: 8
    .kernarg_segment_size: 112
    .language:       OpenCL C
    .language_version:
      - 2
      - 0
    .max_flat_workgroup_size: 64
    .name:           _ZN7rocprim17ROCPRIM_400000_NS6detail17trampoline_kernelINS0_14default_configENS1_27scan_by_key_config_selectorIisEEZZNS1_16scan_by_key_implILNS1_25lookback_scan_determinismE0ELb0ES3_N6thrust23THRUST_200600_302600_NS6detail15normal_iteratorINS9_10device_ptrIiEEEENSB_INSC_IsEEEESG_sNS9_4plusIvEENS9_8equal_toIvEEsEE10hipError_tPvRmT2_T3_T4_T5_mT6_T7_P12ihipStream_tbENKUlT_T0_E_clISt17integral_constantIbLb1EES11_EEDaSW_SX_EUlSW_E_NS1_11comp_targetILNS1_3genE9ELNS1_11target_archE1100ELNS1_3gpuE3ELNS1_3repE0EEENS1_30default_config_static_selectorELNS0_4arch9wavefront6targetE1EEEvT1_
    .private_segment_fixed_size: 0
    .sgpr_count:     4
    .sgpr_spill_count: 0
    .symbol:         _ZN7rocprim17ROCPRIM_400000_NS6detail17trampoline_kernelINS0_14default_configENS1_27scan_by_key_config_selectorIisEEZZNS1_16scan_by_key_implILNS1_25lookback_scan_determinismE0ELb0ES3_N6thrust23THRUST_200600_302600_NS6detail15normal_iteratorINS9_10device_ptrIiEEEENSB_INSC_IsEEEESG_sNS9_4plusIvEENS9_8equal_toIvEEsEE10hipError_tPvRmT2_T3_T4_T5_mT6_T7_P12ihipStream_tbENKUlT_T0_E_clISt17integral_constantIbLb1EES11_EEDaSW_SX_EUlSW_E_NS1_11comp_targetILNS1_3genE9ELNS1_11target_archE1100ELNS1_3gpuE3ELNS1_3repE0EEENS1_30default_config_static_selectorELNS0_4arch9wavefront6targetE1EEEvT1_.kd
    .uniform_work_group_size: 1
    .uses_dynamic_stack: false
    .vgpr_count:     0
    .vgpr_spill_count: 0
    .wavefront_size: 64
  - .agpr_count:     0
    .args:
      - .offset:         0
        .size:           112
        .value_kind:     by_value
    .group_segment_fixed_size: 0
    .kernarg_segment_align: 8
    .kernarg_segment_size: 112
    .language:       OpenCL C
    .language_version:
      - 2
      - 0
    .max_flat_workgroup_size: 64
    .name:           _ZN7rocprim17ROCPRIM_400000_NS6detail17trampoline_kernelINS0_14default_configENS1_27scan_by_key_config_selectorIisEEZZNS1_16scan_by_key_implILNS1_25lookback_scan_determinismE0ELb0ES3_N6thrust23THRUST_200600_302600_NS6detail15normal_iteratorINS9_10device_ptrIiEEEENSB_INSC_IsEEEESG_sNS9_4plusIvEENS9_8equal_toIvEEsEE10hipError_tPvRmT2_T3_T4_T5_mT6_T7_P12ihipStream_tbENKUlT_T0_E_clISt17integral_constantIbLb1EES11_EEDaSW_SX_EUlSW_E_NS1_11comp_targetILNS1_3genE8ELNS1_11target_archE1030ELNS1_3gpuE2ELNS1_3repE0EEENS1_30default_config_static_selectorELNS0_4arch9wavefront6targetE1EEEvT1_
    .private_segment_fixed_size: 0
    .sgpr_count:     4
    .sgpr_spill_count: 0
    .symbol:         _ZN7rocprim17ROCPRIM_400000_NS6detail17trampoline_kernelINS0_14default_configENS1_27scan_by_key_config_selectorIisEEZZNS1_16scan_by_key_implILNS1_25lookback_scan_determinismE0ELb0ES3_N6thrust23THRUST_200600_302600_NS6detail15normal_iteratorINS9_10device_ptrIiEEEENSB_INSC_IsEEEESG_sNS9_4plusIvEENS9_8equal_toIvEEsEE10hipError_tPvRmT2_T3_T4_T5_mT6_T7_P12ihipStream_tbENKUlT_T0_E_clISt17integral_constantIbLb1EES11_EEDaSW_SX_EUlSW_E_NS1_11comp_targetILNS1_3genE8ELNS1_11target_archE1030ELNS1_3gpuE2ELNS1_3repE0EEENS1_30default_config_static_selectorELNS0_4arch9wavefront6targetE1EEEvT1_.kd
    .uniform_work_group_size: 1
    .uses_dynamic_stack: false
    .vgpr_count:     0
    .vgpr_spill_count: 0
    .wavefront_size: 64
  - .agpr_count:     0
    .args:
      - .address_space:  global
        .offset:         0
        .size:           8
        .value_kind:     global_buffer
      - .offset:         8
        .size:           4
        .value_kind:     by_value
      - .offset:         12
        .size:           4
        .value_kind:     by_value
      - .address_space:  global
        .offset:         16
        .size:           8
        .value_kind:     global_buffer
      - .address_space:  global
        .offset:         24
        .size:           8
        .value_kind:     global_buffer
      - .actual_access:  write_only
        .address_space:  global
        .offset:         32
        .size:           8
        .value_kind:     global_buffer
      - .offset:         40
        .size:           8
        .value_kind:     by_value
      - .offset:         48
        .size:           4
        .value_kind:     by_value
      - .offset:         52
        .size:           1
        .value_kind:     by_value
      - .offset:         56
        .size:           4
        .value_kind:     hidden_block_count_x
      - .offset:         60
        .size:           4
        .value_kind:     hidden_block_count_y
      - .offset:         64
        .size:           4
        .value_kind:     hidden_block_count_z
      - .offset:         68
        .size:           2
        .value_kind:     hidden_group_size_x
      - .offset:         70
        .size:           2
        .value_kind:     hidden_group_size_y
      - .offset:         72
        .size:           2
        .value_kind:     hidden_group_size_z
      - .offset:         74
        .size:           2
        .value_kind:     hidden_remainder_x
      - .offset:         76
        .size:           2
        .value_kind:     hidden_remainder_y
      - .offset:         78
        .size:           2
        .value_kind:     hidden_remainder_z
      - .offset:         96
        .size:           8
        .value_kind:     hidden_global_offset_x
      - .offset:         104
        .size:           8
        .value_kind:     hidden_global_offset_y
      - .offset:         112
        .size:           8
        .value_kind:     hidden_global_offset_z
      - .offset:         120
        .size:           2
        .value_kind:     hidden_grid_dims
    .group_segment_fixed_size: 0
    .kernarg_segment_align: 8
    .kernarg_segment_size: 312
    .language:       OpenCL C
    .language_version:
      - 2
      - 0
    .max_flat_workgroup_size: 256
    .name:           _ZN7rocprim17ROCPRIM_400000_NS6detail30init_device_scan_by_key_kernelINS1_19lookback_scan_stateINS0_5tupleIJsbEEELb1ELb1EEEN6thrust23THRUST_200600_302600_NS6detail15normal_iteratorINS8_10device_ptrIiEEEEjNS1_16block_id_wrapperIjLb0EEEEEvT_jjPNSG_10value_typeET0_PNSt15iterator_traitsISJ_E10value_typeEmT1_T2_
    .private_segment_fixed_size: 0
    .sgpr_count:     24
    .sgpr_spill_count: 0
    .symbol:         _ZN7rocprim17ROCPRIM_400000_NS6detail30init_device_scan_by_key_kernelINS1_19lookback_scan_stateINS0_5tupleIJsbEEELb1ELb1EEEN6thrust23THRUST_200600_302600_NS6detail15normal_iteratorINS8_10device_ptrIiEEEEjNS1_16block_id_wrapperIjLb0EEEEEvT_jjPNSG_10value_typeET0_PNSt15iterator_traitsISJ_E10value_typeEmT1_T2_.kd
    .uniform_work_group_size: 1
    .uses_dynamic_stack: false
    .vgpr_count:     10
    .vgpr_spill_count: 0
    .wavefront_size: 64
  - .agpr_count:     0
    .args:
      - .offset:         0
        .size:           112
        .value_kind:     by_value
    .group_segment_fixed_size: 0
    .kernarg_segment_align: 8
    .kernarg_segment_size: 112
    .language:       OpenCL C
    .language_version:
      - 2
      - 0
    .max_flat_workgroup_size: 256
    .name:           _ZN7rocprim17ROCPRIM_400000_NS6detail17trampoline_kernelINS0_14default_configENS1_27scan_by_key_config_selectorIisEEZZNS1_16scan_by_key_implILNS1_25lookback_scan_determinismE0ELb0ES3_N6thrust23THRUST_200600_302600_NS6detail15normal_iteratorINS9_10device_ptrIiEEEENSB_INSC_IsEEEESG_sNS9_4plusIvEENS9_8equal_toIvEEsEE10hipError_tPvRmT2_T3_T4_T5_mT6_T7_P12ihipStream_tbENKUlT_T0_E_clISt17integral_constantIbLb1EES10_IbLb0EEEEDaSW_SX_EUlSW_E_NS1_11comp_targetILNS1_3genE0ELNS1_11target_archE4294967295ELNS1_3gpuE0ELNS1_3repE0EEENS1_30default_config_static_selectorELNS0_4arch9wavefront6targetE1EEEvT1_
    .private_segment_fixed_size: 0
    .sgpr_count:     4
    .sgpr_spill_count: 0
    .symbol:         _ZN7rocprim17ROCPRIM_400000_NS6detail17trampoline_kernelINS0_14default_configENS1_27scan_by_key_config_selectorIisEEZZNS1_16scan_by_key_implILNS1_25lookback_scan_determinismE0ELb0ES3_N6thrust23THRUST_200600_302600_NS6detail15normal_iteratorINS9_10device_ptrIiEEEENSB_INSC_IsEEEESG_sNS9_4plusIvEENS9_8equal_toIvEEsEE10hipError_tPvRmT2_T3_T4_T5_mT6_T7_P12ihipStream_tbENKUlT_T0_E_clISt17integral_constantIbLb1EES10_IbLb0EEEEDaSW_SX_EUlSW_E_NS1_11comp_targetILNS1_3genE0ELNS1_11target_archE4294967295ELNS1_3gpuE0ELNS1_3repE0EEENS1_30default_config_static_selectorELNS0_4arch9wavefront6targetE1EEEvT1_.kd
    .uniform_work_group_size: 1
    .uses_dynamic_stack: false
    .vgpr_count:     0
    .vgpr_spill_count: 0
    .wavefront_size: 64
  - .agpr_count:     0
    .args:
      - .offset:         0
        .size:           112
        .value_kind:     by_value
    .group_segment_fixed_size: 0
    .kernarg_segment_align: 8
    .kernarg_segment_size: 112
    .language:       OpenCL C
    .language_version:
      - 2
      - 0
    .max_flat_workgroup_size: 256
    .name:           _ZN7rocprim17ROCPRIM_400000_NS6detail17trampoline_kernelINS0_14default_configENS1_27scan_by_key_config_selectorIisEEZZNS1_16scan_by_key_implILNS1_25lookback_scan_determinismE0ELb0ES3_N6thrust23THRUST_200600_302600_NS6detail15normal_iteratorINS9_10device_ptrIiEEEENSB_INSC_IsEEEESG_sNS9_4plusIvEENS9_8equal_toIvEEsEE10hipError_tPvRmT2_T3_T4_T5_mT6_T7_P12ihipStream_tbENKUlT_T0_E_clISt17integral_constantIbLb1EES10_IbLb0EEEEDaSW_SX_EUlSW_E_NS1_11comp_targetILNS1_3genE10ELNS1_11target_archE1201ELNS1_3gpuE5ELNS1_3repE0EEENS1_30default_config_static_selectorELNS0_4arch9wavefront6targetE1EEEvT1_
    .private_segment_fixed_size: 0
    .sgpr_count:     4
    .sgpr_spill_count: 0
    .symbol:         _ZN7rocprim17ROCPRIM_400000_NS6detail17trampoline_kernelINS0_14default_configENS1_27scan_by_key_config_selectorIisEEZZNS1_16scan_by_key_implILNS1_25lookback_scan_determinismE0ELb0ES3_N6thrust23THRUST_200600_302600_NS6detail15normal_iteratorINS9_10device_ptrIiEEEENSB_INSC_IsEEEESG_sNS9_4plusIvEENS9_8equal_toIvEEsEE10hipError_tPvRmT2_T3_T4_T5_mT6_T7_P12ihipStream_tbENKUlT_T0_E_clISt17integral_constantIbLb1EES10_IbLb0EEEEDaSW_SX_EUlSW_E_NS1_11comp_targetILNS1_3genE10ELNS1_11target_archE1201ELNS1_3gpuE5ELNS1_3repE0EEENS1_30default_config_static_selectorELNS0_4arch9wavefront6targetE1EEEvT1_.kd
    .uniform_work_group_size: 1
    .uses_dynamic_stack: false
    .vgpr_count:     0
    .vgpr_spill_count: 0
    .wavefront_size: 64
  - .agpr_count:     0
    .args:
      - .offset:         0
        .size:           112
        .value_kind:     by_value
    .group_segment_fixed_size: 0
    .kernarg_segment_align: 8
    .kernarg_segment_size: 112
    .language:       OpenCL C
    .language_version:
      - 2
      - 0
    .max_flat_workgroup_size: 256
    .name:           _ZN7rocprim17ROCPRIM_400000_NS6detail17trampoline_kernelINS0_14default_configENS1_27scan_by_key_config_selectorIisEEZZNS1_16scan_by_key_implILNS1_25lookback_scan_determinismE0ELb0ES3_N6thrust23THRUST_200600_302600_NS6detail15normal_iteratorINS9_10device_ptrIiEEEENSB_INSC_IsEEEESG_sNS9_4plusIvEENS9_8equal_toIvEEsEE10hipError_tPvRmT2_T3_T4_T5_mT6_T7_P12ihipStream_tbENKUlT_T0_E_clISt17integral_constantIbLb1EES10_IbLb0EEEEDaSW_SX_EUlSW_E_NS1_11comp_targetILNS1_3genE5ELNS1_11target_archE942ELNS1_3gpuE9ELNS1_3repE0EEENS1_30default_config_static_selectorELNS0_4arch9wavefront6targetE1EEEvT1_
    .private_segment_fixed_size: 0
    .sgpr_count:     4
    .sgpr_spill_count: 0
    .symbol:         _ZN7rocprim17ROCPRIM_400000_NS6detail17trampoline_kernelINS0_14default_configENS1_27scan_by_key_config_selectorIisEEZZNS1_16scan_by_key_implILNS1_25lookback_scan_determinismE0ELb0ES3_N6thrust23THRUST_200600_302600_NS6detail15normal_iteratorINS9_10device_ptrIiEEEENSB_INSC_IsEEEESG_sNS9_4plusIvEENS9_8equal_toIvEEsEE10hipError_tPvRmT2_T3_T4_T5_mT6_T7_P12ihipStream_tbENKUlT_T0_E_clISt17integral_constantIbLb1EES10_IbLb0EEEEDaSW_SX_EUlSW_E_NS1_11comp_targetILNS1_3genE5ELNS1_11target_archE942ELNS1_3gpuE9ELNS1_3repE0EEENS1_30default_config_static_selectorELNS0_4arch9wavefront6targetE1EEEvT1_.kd
    .uniform_work_group_size: 1
    .uses_dynamic_stack: false
    .vgpr_count:     0
    .vgpr_spill_count: 0
    .wavefront_size: 64
  - .agpr_count:     0
    .args:
      - .offset:         0
        .size:           112
        .value_kind:     by_value
    .group_segment_fixed_size: 6656
    .kernarg_segment_align: 8
    .kernarg_segment_size: 112
    .language:       OpenCL C
    .language_version:
      - 2
      - 0
    .max_flat_workgroup_size: 64
    .name:           _ZN7rocprim17ROCPRIM_400000_NS6detail17trampoline_kernelINS0_14default_configENS1_27scan_by_key_config_selectorIisEEZZNS1_16scan_by_key_implILNS1_25lookback_scan_determinismE0ELb0ES3_N6thrust23THRUST_200600_302600_NS6detail15normal_iteratorINS9_10device_ptrIiEEEENSB_INSC_IsEEEESG_sNS9_4plusIvEENS9_8equal_toIvEEsEE10hipError_tPvRmT2_T3_T4_T5_mT6_T7_P12ihipStream_tbENKUlT_T0_E_clISt17integral_constantIbLb1EES10_IbLb0EEEEDaSW_SX_EUlSW_E_NS1_11comp_targetILNS1_3genE4ELNS1_11target_archE910ELNS1_3gpuE8ELNS1_3repE0EEENS1_30default_config_static_selectorELNS0_4arch9wavefront6targetE1EEEvT1_
    .private_segment_fixed_size: 0
    .sgpr_count:     87
    .sgpr_spill_count: 0
    .symbol:         _ZN7rocprim17ROCPRIM_400000_NS6detail17trampoline_kernelINS0_14default_configENS1_27scan_by_key_config_selectorIisEEZZNS1_16scan_by_key_implILNS1_25lookback_scan_determinismE0ELb0ES3_N6thrust23THRUST_200600_302600_NS6detail15normal_iteratorINS9_10device_ptrIiEEEENSB_INSC_IsEEEESG_sNS9_4plusIvEENS9_8equal_toIvEEsEE10hipError_tPvRmT2_T3_T4_T5_mT6_T7_P12ihipStream_tbENKUlT_T0_E_clISt17integral_constantIbLb1EES10_IbLb0EEEEDaSW_SX_EUlSW_E_NS1_11comp_targetILNS1_3genE4ELNS1_11target_archE910ELNS1_3gpuE8ELNS1_3repE0EEENS1_30default_config_static_selectorELNS0_4arch9wavefront6targetE1EEEvT1_.kd
    .uniform_work_group_size: 1
    .uses_dynamic_stack: false
    .vgpr_count:     58
    .vgpr_spill_count: 0
    .wavefront_size: 64
  - .agpr_count:     0
    .args:
      - .offset:         0
        .size:           112
        .value_kind:     by_value
    .group_segment_fixed_size: 0
    .kernarg_segment_align: 8
    .kernarg_segment_size: 112
    .language:       OpenCL C
    .language_version:
      - 2
      - 0
    .max_flat_workgroup_size: 256
    .name:           _ZN7rocprim17ROCPRIM_400000_NS6detail17trampoline_kernelINS0_14default_configENS1_27scan_by_key_config_selectorIisEEZZNS1_16scan_by_key_implILNS1_25lookback_scan_determinismE0ELb0ES3_N6thrust23THRUST_200600_302600_NS6detail15normal_iteratorINS9_10device_ptrIiEEEENSB_INSC_IsEEEESG_sNS9_4plusIvEENS9_8equal_toIvEEsEE10hipError_tPvRmT2_T3_T4_T5_mT6_T7_P12ihipStream_tbENKUlT_T0_E_clISt17integral_constantIbLb1EES10_IbLb0EEEEDaSW_SX_EUlSW_E_NS1_11comp_targetILNS1_3genE3ELNS1_11target_archE908ELNS1_3gpuE7ELNS1_3repE0EEENS1_30default_config_static_selectorELNS0_4arch9wavefront6targetE1EEEvT1_
    .private_segment_fixed_size: 0
    .sgpr_count:     4
    .sgpr_spill_count: 0
    .symbol:         _ZN7rocprim17ROCPRIM_400000_NS6detail17trampoline_kernelINS0_14default_configENS1_27scan_by_key_config_selectorIisEEZZNS1_16scan_by_key_implILNS1_25lookback_scan_determinismE0ELb0ES3_N6thrust23THRUST_200600_302600_NS6detail15normal_iteratorINS9_10device_ptrIiEEEENSB_INSC_IsEEEESG_sNS9_4plusIvEENS9_8equal_toIvEEsEE10hipError_tPvRmT2_T3_T4_T5_mT6_T7_P12ihipStream_tbENKUlT_T0_E_clISt17integral_constantIbLb1EES10_IbLb0EEEEDaSW_SX_EUlSW_E_NS1_11comp_targetILNS1_3genE3ELNS1_11target_archE908ELNS1_3gpuE7ELNS1_3repE0EEENS1_30default_config_static_selectorELNS0_4arch9wavefront6targetE1EEEvT1_.kd
    .uniform_work_group_size: 1
    .uses_dynamic_stack: false
    .vgpr_count:     0
    .vgpr_spill_count: 0
    .wavefront_size: 64
  - .agpr_count:     0
    .args:
      - .offset:         0
        .size:           112
        .value_kind:     by_value
    .group_segment_fixed_size: 0
    .kernarg_segment_align: 8
    .kernarg_segment_size: 112
    .language:       OpenCL C
    .language_version:
      - 2
      - 0
    .max_flat_workgroup_size: 64
    .name:           _ZN7rocprim17ROCPRIM_400000_NS6detail17trampoline_kernelINS0_14default_configENS1_27scan_by_key_config_selectorIisEEZZNS1_16scan_by_key_implILNS1_25lookback_scan_determinismE0ELb0ES3_N6thrust23THRUST_200600_302600_NS6detail15normal_iteratorINS9_10device_ptrIiEEEENSB_INSC_IsEEEESG_sNS9_4plusIvEENS9_8equal_toIvEEsEE10hipError_tPvRmT2_T3_T4_T5_mT6_T7_P12ihipStream_tbENKUlT_T0_E_clISt17integral_constantIbLb1EES10_IbLb0EEEEDaSW_SX_EUlSW_E_NS1_11comp_targetILNS1_3genE2ELNS1_11target_archE906ELNS1_3gpuE6ELNS1_3repE0EEENS1_30default_config_static_selectorELNS0_4arch9wavefront6targetE1EEEvT1_
    .private_segment_fixed_size: 0
    .sgpr_count:     4
    .sgpr_spill_count: 0
    .symbol:         _ZN7rocprim17ROCPRIM_400000_NS6detail17trampoline_kernelINS0_14default_configENS1_27scan_by_key_config_selectorIisEEZZNS1_16scan_by_key_implILNS1_25lookback_scan_determinismE0ELb0ES3_N6thrust23THRUST_200600_302600_NS6detail15normal_iteratorINS9_10device_ptrIiEEEENSB_INSC_IsEEEESG_sNS9_4plusIvEENS9_8equal_toIvEEsEE10hipError_tPvRmT2_T3_T4_T5_mT6_T7_P12ihipStream_tbENKUlT_T0_E_clISt17integral_constantIbLb1EES10_IbLb0EEEEDaSW_SX_EUlSW_E_NS1_11comp_targetILNS1_3genE2ELNS1_11target_archE906ELNS1_3gpuE6ELNS1_3repE0EEENS1_30default_config_static_selectorELNS0_4arch9wavefront6targetE1EEEvT1_.kd
    .uniform_work_group_size: 1
    .uses_dynamic_stack: false
    .vgpr_count:     0
    .vgpr_spill_count: 0
    .wavefront_size: 64
  - .agpr_count:     0
    .args:
      - .offset:         0
        .size:           112
        .value_kind:     by_value
    .group_segment_fixed_size: 0
    .kernarg_segment_align: 8
    .kernarg_segment_size: 112
    .language:       OpenCL C
    .language_version:
      - 2
      - 0
    .max_flat_workgroup_size: 256
    .name:           _ZN7rocprim17ROCPRIM_400000_NS6detail17trampoline_kernelINS0_14default_configENS1_27scan_by_key_config_selectorIisEEZZNS1_16scan_by_key_implILNS1_25lookback_scan_determinismE0ELb0ES3_N6thrust23THRUST_200600_302600_NS6detail15normal_iteratorINS9_10device_ptrIiEEEENSB_INSC_IsEEEESG_sNS9_4plusIvEENS9_8equal_toIvEEsEE10hipError_tPvRmT2_T3_T4_T5_mT6_T7_P12ihipStream_tbENKUlT_T0_E_clISt17integral_constantIbLb1EES10_IbLb0EEEEDaSW_SX_EUlSW_E_NS1_11comp_targetILNS1_3genE10ELNS1_11target_archE1200ELNS1_3gpuE4ELNS1_3repE0EEENS1_30default_config_static_selectorELNS0_4arch9wavefront6targetE1EEEvT1_
    .private_segment_fixed_size: 0
    .sgpr_count:     4
    .sgpr_spill_count: 0
    .symbol:         _ZN7rocprim17ROCPRIM_400000_NS6detail17trampoline_kernelINS0_14default_configENS1_27scan_by_key_config_selectorIisEEZZNS1_16scan_by_key_implILNS1_25lookback_scan_determinismE0ELb0ES3_N6thrust23THRUST_200600_302600_NS6detail15normal_iteratorINS9_10device_ptrIiEEEENSB_INSC_IsEEEESG_sNS9_4plusIvEENS9_8equal_toIvEEsEE10hipError_tPvRmT2_T3_T4_T5_mT6_T7_P12ihipStream_tbENKUlT_T0_E_clISt17integral_constantIbLb1EES10_IbLb0EEEEDaSW_SX_EUlSW_E_NS1_11comp_targetILNS1_3genE10ELNS1_11target_archE1200ELNS1_3gpuE4ELNS1_3repE0EEENS1_30default_config_static_selectorELNS0_4arch9wavefront6targetE1EEEvT1_.kd
    .uniform_work_group_size: 1
    .uses_dynamic_stack: false
    .vgpr_count:     0
    .vgpr_spill_count: 0
    .wavefront_size: 64
  - .agpr_count:     0
    .args:
      - .offset:         0
        .size:           112
        .value_kind:     by_value
    .group_segment_fixed_size: 0
    .kernarg_segment_align: 8
    .kernarg_segment_size: 112
    .language:       OpenCL C
    .language_version:
      - 2
      - 0
    .max_flat_workgroup_size: 64
    .name:           _ZN7rocprim17ROCPRIM_400000_NS6detail17trampoline_kernelINS0_14default_configENS1_27scan_by_key_config_selectorIisEEZZNS1_16scan_by_key_implILNS1_25lookback_scan_determinismE0ELb0ES3_N6thrust23THRUST_200600_302600_NS6detail15normal_iteratorINS9_10device_ptrIiEEEENSB_INSC_IsEEEESG_sNS9_4plusIvEENS9_8equal_toIvEEsEE10hipError_tPvRmT2_T3_T4_T5_mT6_T7_P12ihipStream_tbENKUlT_T0_E_clISt17integral_constantIbLb1EES10_IbLb0EEEEDaSW_SX_EUlSW_E_NS1_11comp_targetILNS1_3genE9ELNS1_11target_archE1100ELNS1_3gpuE3ELNS1_3repE0EEENS1_30default_config_static_selectorELNS0_4arch9wavefront6targetE1EEEvT1_
    .private_segment_fixed_size: 0
    .sgpr_count:     4
    .sgpr_spill_count: 0
    .symbol:         _ZN7rocprim17ROCPRIM_400000_NS6detail17trampoline_kernelINS0_14default_configENS1_27scan_by_key_config_selectorIisEEZZNS1_16scan_by_key_implILNS1_25lookback_scan_determinismE0ELb0ES3_N6thrust23THRUST_200600_302600_NS6detail15normal_iteratorINS9_10device_ptrIiEEEENSB_INSC_IsEEEESG_sNS9_4plusIvEENS9_8equal_toIvEEsEE10hipError_tPvRmT2_T3_T4_T5_mT6_T7_P12ihipStream_tbENKUlT_T0_E_clISt17integral_constantIbLb1EES10_IbLb0EEEEDaSW_SX_EUlSW_E_NS1_11comp_targetILNS1_3genE9ELNS1_11target_archE1100ELNS1_3gpuE3ELNS1_3repE0EEENS1_30default_config_static_selectorELNS0_4arch9wavefront6targetE1EEEvT1_.kd
    .uniform_work_group_size: 1
    .uses_dynamic_stack: false
    .vgpr_count:     0
    .vgpr_spill_count: 0
    .wavefront_size: 64
  - .agpr_count:     0
    .args:
      - .offset:         0
        .size:           112
        .value_kind:     by_value
    .group_segment_fixed_size: 0
    .kernarg_segment_align: 8
    .kernarg_segment_size: 112
    .language:       OpenCL C
    .language_version:
      - 2
      - 0
    .max_flat_workgroup_size: 64
    .name:           _ZN7rocprim17ROCPRIM_400000_NS6detail17trampoline_kernelINS0_14default_configENS1_27scan_by_key_config_selectorIisEEZZNS1_16scan_by_key_implILNS1_25lookback_scan_determinismE0ELb0ES3_N6thrust23THRUST_200600_302600_NS6detail15normal_iteratorINS9_10device_ptrIiEEEENSB_INSC_IsEEEESG_sNS9_4plusIvEENS9_8equal_toIvEEsEE10hipError_tPvRmT2_T3_T4_T5_mT6_T7_P12ihipStream_tbENKUlT_T0_E_clISt17integral_constantIbLb1EES10_IbLb0EEEEDaSW_SX_EUlSW_E_NS1_11comp_targetILNS1_3genE8ELNS1_11target_archE1030ELNS1_3gpuE2ELNS1_3repE0EEENS1_30default_config_static_selectorELNS0_4arch9wavefront6targetE1EEEvT1_
    .private_segment_fixed_size: 0
    .sgpr_count:     4
    .sgpr_spill_count: 0
    .symbol:         _ZN7rocprim17ROCPRIM_400000_NS6detail17trampoline_kernelINS0_14default_configENS1_27scan_by_key_config_selectorIisEEZZNS1_16scan_by_key_implILNS1_25lookback_scan_determinismE0ELb0ES3_N6thrust23THRUST_200600_302600_NS6detail15normal_iteratorINS9_10device_ptrIiEEEENSB_INSC_IsEEEESG_sNS9_4plusIvEENS9_8equal_toIvEEsEE10hipError_tPvRmT2_T3_T4_T5_mT6_T7_P12ihipStream_tbENKUlT_T0_E_clISt17integral_constantIbLb1EES10_IbLb0EEEEDaSW_SX_EUlSW_E_NS1_11comp_targetILNS1_3genE8ELNS1_11target_archE1030ELNS1_3gpuE2ELNS1_3repE0EEENS1_30default_config_static_selectorELNS0_4arch9wavefront6targetE1EEEvT1_.kd
    .uniform_work_group_size: 1
    .uses_dynamic_stack: false
    .vgpr_count:     0
    .vgpr_spill_count: 0
    .wavefront_size: 64
  - .agpr_count:     0
    .args:
      - .address_space:  global
        .offset:         0
        .size:           8
        .value_kind:     global_buffer
      - .offset:         8
        .size:           4
        .value_kind:     by_value
      - .offset:         12
        .size:           4
        .value_kind:     by_value
      - .address_space:  global
        .offset:         16
        .size:           8
        .value_kind:     global_buffer
      - .address_space:  global
        .offset:         24
        .size:           8
        .value_kind:     global_buffer
      - .actual_access:  write_only
        .address_space:  global
        .offset:         32
        .size:           8
        .value_kind:     global_buffer
      - .offset:         40
        .size:           8
        .value_kind:     by_value
      - .offset:         48
        .size:           4
        .value_kind:     by_value
      - .address_space:  global
        .offset:         56
        .size:           8
        .value_kind:     global_buffer
      - .offset:         64
        .size:           4
        .value_kind:     hidden_block_count_x
      - .offset:         68
        .size:           4
        .value_kind:     hidden_block_count_y
      - .offset:         72
        .size:           4
        .value_kind:     hidden_block_count_z
      - .offset:         76
        .size:           2
        .value_kind:     hidden_group_size_x
      - .offset:         78
        .size:           2
        .value_kind:     hidden_group_size_y
      - .offset:         80
        .size:           2
        .value_kind:     hidden_group_size_z
      - .offset:         82
        .size:           2
        .value_kind:     hidden_remainder_x
      - .offset:         84
        .size:           2
        .value_kind:     hidden_remainder_y
      - .offset:         86
        .size:           2
        .value_kind:     hidden_remainder_z
      - .offset:         104
        .size:           8
        .value_kind:     hidden_global_offset_x
      - .offset:         112
        .size:           8
        .value_kind:     hidden_global_offset_y
      - .offset:         120
        .size:           8
        .value_kind:     hidden_global_offset_z
      - .offset:         128
        .size:           2
        .value_kind:     hidden_grid_dims
    .group_segment_fixed_size: 0
    .kernarg_segment_align: 8
    .kernarg_segment_size: 320
    .language:       OpenCL C
    .language_version:
      - 2
      - 0
    .max_flat_workgroup_size: 256
    .name:           _ZN7rocprim17ROCPRIM_400000_NS6detail30init_device_scan_by_key_kernelINS1_19lookback_scan_stateINS0_5tupleIJsbEEELb0ELb1EEEN6thrust23THRUST_200600_302600_NS6detail15normal_iteratorINS8_10device_ptrIiEEEEjNS1_16block_id_wrapperIjLb1EEEEEvT_jjPNSG_10value_typeET0_PNSt15iterator_traitsISJ_E10value_typeEmT1_T2_
    .private_segment_fixed_size: 0
    .sgpr_count:     21
    .sgpr_spill_count: 0
    .symbol:         _ZN7rocprim17ROCPRIM_400000_NS6detail30init_device_scan_by_key_kernelINS1_19lookback_scan_stateINS0_5tupleIJsbEEELb0ELb1EEEN6thrust23THRUST_200600_302600_NS6detail15normal_iteratorINS8_10device_ptrIiEEEEjNS1_16block_id_wrapperIjLb1EEEEEvT_jjPNSG_10value_typeET0_PNSt15iterator_traitsISJ_E10value_typeEmT1_T2_.kd
    .uniform_work_group_size: 1
    .uses_dynamic_stack: false
    .vgpr_count:     10
    .vgpr_spill_count: 0
    .wavefront_size: 64
  - .agpr_count:     0
    .args:
      - .offset:         0
        .size:           112
        .value_kind:     by_value
    .group_segment_fixed_size: 0
    .kernarg_segment_align: 8
    .kernarg_segment_size: 112
    .language:       OpenCL C
    .language_version:
      - 2
      - 0
    .max_flat_workgroup_size: 256
    .name:           _ZN7rocprim17ROCPRIM_400000_NS6detail17trampoline_kernelINS0_14default_configENS1_27scan_by_key_config_selectorIisEEZZNS1_16scan_by_key_implILNS1_25lookback_scan_determinismE0ELb0ES3_N6thrust23THRUST_200600_302600_NS6detail15normal_iteratorINS9_10device_ptrIiEEEENSB_INSC_IsEEEESG_sNS9_4plusIvEENS9_8equal_toIvEEsEE10hipError_tPvRmT2_T3_T4_T5_mT6_T7_P12ihipStream_tbENKUlT_T0_E_clISt17integral_constantIbLb0EES10_IbLb1EEEEDaSW_SX_EUlSW_E_NS1_11comp_targetILNS1_3genE0ELNS1_11target_archE4294967295ELNS1_3gpuE0ELNS1_3repE0EEENS1_30default_config_static_selectorELNS0_4arch9wavefront6targetE1EEEvT1_
    .private_segment_fixed_size: 0
    .sgpr_count:     4
    .sgpr_spill_count: 0
    .symbol:         _ZN7rocprim17ROCPRIM_400000_NS6detail17trampoline_kernelINS0_14default_configENS1_27scan_by_key_config_selectorIisEEZZNS1_16scan_by_key_implILNS1_25lookback_scan_determinismE0ELb0ES3_N6thrust23THRUST_200600_302600_NS6detail15normal_iteratorINS9_10device_ptrIiEEEENSB_INSC_IsEEEESG_sNS9_4plusIvEENS9_8equal_toIvEEsEE10hipError_tPvRmT2_T3_T4_T5_mT6_T7_P12ihipStream_tbENKUlT_T0_E_clISt17integral_constantIbLb0EES10_IbLb1EEEEDaSW_SX_EUlSW_E_NS1_11comp_targetILNS1_3genE0ELNS1_11target_archE4294967295ELNS1_3gpuE0ELNS1_3repE0EEENS1_30default_config_static_selectorELNS0_4arch9wavefront6targetE1EEEvT1_.kd
    .uniform_work_group_size: 1
    .uses_dynamic_stack: false
    .vgpr_count:     0
    .vgpr_spill_count: 0
    .wavefront_size: 64
  - .agpr_count:     0
    .args:
      - .offset:         0
        .size:           112
        .value_kind:     by_value
    .group_segment_fixed_size: 0
    .kernarg_segment_align: 8
    .kernarg_segment_size: 112
    .language:       OpenCL C
    .language_version:
      - 2
      - 0
    .max_flat_workgroup_size: 256
    .name:           _ZN7rocprim17ROCPRIM_400000_NS6detail17trampoline_kernelINS0_14default_configENS1_27scan_by_key_config_selectorIisEEZZNS1_16scan_by_key_implILNS1_25lookback_scan_determinismE0ELb0ES3_N6thrust23THRUST_200600_302600_NS6detail15normal_iteratorINS9_10device_ptrIiEEEENSB_INSC_IsEEEESG_sNS9_4plusIvEENS9_8equal_toIvEEsEE10hipError_tPvRmT2_T3_T4_T5_mT6_T7_P12ihipStream_tbENKUlT_T0_E_clISt17integral_constantIbLb0EES10_IbLb1EEEEDaSW_SX_EUlSW_E_NS1_11comp_targetILNS1_3genE10ELNS1_11target_archE1201ELNS1_3gpuE5ELNS1_3repE0EEENS1_30default_config_static_selectorELNS0_4arch9wavefront6targetE1EEEvT1_
    .private_segment_fixed_size: 0
    .sgpr_count:     4
    .sgpr_spill_count: 0
    .symbol:         _ZN7rocprim17ROCPRIM_400000_NS6detail17trampoline_kernelINS0_14default_configENS1_27scan_by_key_config_selectorIisEEZZNS1_16scan_by_key_implILNS1_25lookback_scan_determinismE0ELb0ES3_N6thrust23THRUST_200600_302600_NS6detail15normal_iteratorINS9_10device_ptrIiEEEENSB_INSC_IsEEEESG_sNS9_4plusIvEENS9_8equal_toIvEEsEE10hipError_tPvRmT2_T3_T4_T5_mT6_T7_P12ihipStream_tbENKUlT_T0_E_clISt17integral_constantIbLb0EES10_IbLb1EEEEDaSW_SX_EUlSW_E_NS1_11comp_targetILNS1_3genE10ELNS1_11target_archE1201ELNS1_3gpuE5ELNS1_3repE0EEENS1_30default_config_static_selectorELNS0_4arch9wavefront6targetE1EEEvT1_.kd
    .uniform_work_group_size: 1
    .uses_dynamic_stack: false
    .vgpr_count:     0
    .vgpr_spill_count: 0
    .wavefront_size: 64
  - .agpr_count:     0
    .args:
      - .offset:         0
        .size:           112
        .value_kind:     by_value
    .group_segment_fixed_size: 0
    .kernarg_segment_align: 8
    .kernarg_segment_size: 112
    .language:       OpenCL C
    .language_version:
      - 2
      - 0
    .max_flat_workgroup_size: 256
    .name:           _ZN7rocprim17ROCPRIM_400000_NS6detail17trampoline_kernelINS0_14default_configENS1_27scan_by_key_config_selectorIisEEZZNS1_16scan_by_key_implILNS1_25lookback_scan_determinismE0ELb0ES3_N6thrust23THRUST_200600_302600_NS6detail15normal_iteratorINS9_10device_ptrIiEEEENSB_INSC_IsEEEESG_sNS9_4plusIvEENS9_8equal_toIvEEsEE10hipError_tPvRmT2_T3_T4_T5_mT6_T7_P12ihipStream_tbENKUlT_T0_E_clISt17integral_constantIbLb0EES10_IbLb1EEEEDaSW_SX_EUlSW_E_NS1_11comp_targetILNS1_3genE5ELNS1_11target_archE942ELNS1_3gpuE9ELNS1_3repE0EEENS1_30default_config_static_selectorELNS0_4arch9wavefront6targetE1EEEvT1_
    .private_segment_fixed_size: 0
    .sgpr_count:     4
    .sgpr_spill_count: 0
    .symbol:         _ZN7rocprim17ROCPRIM_400000_NS6detail17trampoline_kernelINS0_14default_configENS1_27scan_by_key_config_selectorIisEEZZNS1_16scan_by_key_implILNS1_25lookback_scan_determinismE0ELb0ES3_N6thrust23THRUST_200600_302600_NS6detail15normal_iteratorINS9_10device_ptrIiEEEENSB_INSC_IsEEEESG_sNS9_4plusIvEENS9_8equal_toIvEEsEE10hipError_tPvRmT2_T3_T4_T5_mT6_T7_P12ihipStream_tbENKUlT_T0_E_clISt17integral_constantIbLb0EES10_IbLb1EEEEDaSW_SX_EUlSW_E_NS1_11comp_targetILNS1_3genE5ELNS1_11target_archE942ELNS1_3gpuE9ELNS1_3repE0EEENS1_30default_config_static_selectorELNS0_4arch9wavefront6targetE1EEEvT1_.kd
    .uniform_work_group_size: 1
    .uses_dynamic_stack: false
    .vgpr_count:     0
    .vgpr_spill_count: 0
    .wavefront_size: 64
  - .agpr_count:     0
    .args:
      - .offset:         0
        .size:           112
        .value_kind:     by_value
    .group_segment_fixed_size: 6656
    .kernarg_segment_align: 8
    .kernarg_segment_size: 112
    .language:       OpenCL C
    .language_version:
      - 2
      - 0
    .max_flat_workgroup_size: 64
    .name:           _ZN7rocprim17ROCPRIM_400000_NS6detail17trampoline_kernelINS0_14default_configENS1_27scan_by_key_config_selectorIisEEZZNS1_16scan_by_key_implILNS1_25lookback_scan_determinismE0ELb0ES3_N6thrust23THRUST_200600_302600_NS6detail15normal_iteratorINS9_10device_ptrIiEEEENSB_INSC_IsEEEESG_sNS9_4plusIvEENS9_8equal_toIvEEsEE10hipError_tPvRmT2_T3_T4_T5_mT6_T7_P12ihipStream_tbENKUlT_T0_E_clISt17integral_constantIbLb0EES10_IbLb1EEEEDaSW_SX_EUlSW_E_NS1_11comp_targetILNS1_3genE4ELNS1_11target_archE910ELNS1_3gpuE8ELNS1_3repE0EEENS1_30default_config_static_selectorELNS0_4arch9wavefront6targetE1EEEvT1_
    .private_segment_fixed_size: 0
    .sgpr_count:     91
    .sgpr_spill_count: 0
    .symbol:         _ZN7rocprim17ROCPRIM_400000_NS6detail17trampoline_kernelINS0_14default_configENS1_27scan_by_key_config_selectorIisEEZZNS1_16scan_by_key_implILNS1_25lookback_scan_determinismE0ELb0ES3_N6thrust23THRUST_200600_302600_NS6detail15normal_iteratorINS9_10device_ptrIiEEEENSB_INSC_IsEEEESG_sNS9_4plusIvEENS9_8equal_toIvEEsEE10hipError_tPvRmT2_T3_T4_T5_mT6_T7_P12ihipStream_tbENKUlT_T0_E_clISt17integral_constantIbLb0EES10_IbLb1EEEEDaSW_SX_EUlSW_E_NS1_11comp_targetILNS1_3genE4ELNS1_11target_archE910ELNS1_3gpuE8ELNS1_3repE0EEENS1_30default_config_static_selectorELNS0_4arch9wavefront6targetE1EEEvT1_.kd
    .uniform_work_group_size: 1
    .uses_dynamic_stack: false
    .vgpr_count:     58
    .vgpr_spill_count: 0
    .wavefront_size: 64
  - .agpr_count:     0
    .args:
      - .offset:         0
        .size:           112
        .value_kind:     by_value
    .group_segment_fixed_size: 0
    .kernarg_segment_align: 8
    .kernarg_segment_size: 112
    .language:       OpenCL C
    .language_version:
      - 2
      - 0
    .max_flat_workgroup_size: 256
    .name:           _ZN7rocprim17ROCPRIM_400000_NS6detail17trampoline_kernelINS0_14default_configENS1_27scan_by_key_config_selectorIisEEZZNS1_16scan_by_key_implILNS1_25lookback_scan_determinismE0ELb0ES3_N6thrust23THRUST_200600_302600_NS6detail15normal_iteratorINS9_10device_ptrIiEEEENSB_INSC_IsEEEESG_sNS9_4plusIvEENS9_8equal_toIvEEsEE10hipError_tPvRmT2_T3_T4_T5_mT6_T7_P12ihipStream_tbENKUlT_T0_E_clISt17integral_constantIbLb0EES10_IbLb1EEEEDaSW_SX_EUlSW_E_NS1_11comp_targetILNS1_3genE3ELNS1_11target_archE908ELNS1_3gpuE7ELNS1_3repE0EEENS1_30default_config_static_selectorELNS0_4arch9wavefront6targetE1EEEvT1_
    .private_segment_fixed_size: 0
    .sgpr_count:     4
    .sgpr_spill_count: 0
    .symbol:         _ZN7rocprim17ROCPRIM_400000_NS6detail17trampoline_kernelINS0_14default_configENS1_27scan_by_key_config_selectorIisEEZZNS1_16scan_by_key_implILNS1_25lookback_scan_determinismE0ELb0ES3_N6thrust23THRUST_200600_302600_NS6detail15normal_iteratorINS9_10device_ptrIiEEEENSB_INSC_IsEEEESG_sNS9_4plusIvEENS9_8equal_toIvEEsEE10hipError_tPvRmT2_T3_T4_T5_mT6_T7_P12ihipStream_tbENKUlT_T0_E_clISt17integral_constantIbLb0EES10_IbLb1EEEEDaSW_SX_EUlSW_E_NS1_11comp_targetILNS1_3genE3ELNS1_11target_archE908ELNS1_3gpuE7ELNS1_3repE0EEENS1_30default_config_static_selectorELNS0_4arch9wavefront6targetE1EEEvT1_.kd
    .uniform_work_group_size: 1
    .uses_dynamic_stack: false
    .vgpr_count:     0
    .vgpr_spill_count: 0
    .wavefront_size: 64
  - .agpr_count:     0
    .args:
      - .offset:         0
        .size:           112
        .value_kind:     by_value
    .group_segment_fixed_size: 0
    .kernarg_segment_align: 8
    .kernarg_segment_size: 112
    .language:       OpenCL C
    .language_version:
      - 2
      - 0
    .max_flat_workgroup_size: 64
    .name:           _ZN7rocprim17ROCPRIM_400000_NS6detail17trampoline_kernelINS0_14default_configENS1_27scan_by_key_config_selectorIisEEZZNS1_16scan_by_key_implILNS1_25lookback_scan_determinismE0ELb0ES3_N6thrust23THRUST_200600_302600_NS6detail15normal_iteratorINS9_10device_ptrIiEEEENSB_INSC_IsEEEESG_sNS9_4plusIvEENS9_8equal_toIvEEsEE10hipError_tPvRmT2_T3_T4_T5_mT6_T7_P12ihipStream_tbENKUlT_T0_E_clISt17integral_constantIbLb0EES10_IbLb1EEEEDaSW_SX_EUlSW_E_NS1_11comp_targetILNS1_3genE2ELNS1_11target_archE906ELNS1_3gpuE6ELNS1_3repE0EEENS1_30default_config_static_selectorELNS0_4arch9wavefront6targetE1EEEvT1_
    .private_segment_fixed_size: 0
    .sgpr_count:     4
    .sgpr_spill_count: 0
    .symbol:         _ZN7rocprim17ROCPRIM_400000_NS6detail17trampoline_kernelINS0_14default_configENS1_27scan_by_key_config_selectorIisEEZZNS1_16scan_by_key_implILNS1_25lookback_scan_determinismE0ELb0ES3_N6thrust23THRUST_200600_302600_NS6detail15normal_iteratorINS9_10device_ptrIiEEEENSB_INSC_IsEEEESG_sNS9_4plusIvEENS9_8equal_toIvEEsEE10hipError_tPvRmT2_T3_T4_T5_mT6_T7_P12ihipStream_tbENKUlT_T0_E_clISt17integral_constantIbLb0EES10_IbLb1EEEEDaSW_SX_EUlSW_E_NS1_11comp_targetILNS1_3genE2ELNS1_11target_archE906ELNS1_3gpuE6ELNS1_3repE0EEENS1_30default_config_static_selectorELNS0_4arch9wavefront6targetE1EEEvT1_.kd
    .uniform_work_group_size: 1
    .uses_dynamic_stack: false
    .vgpr_count:     0
    .vgpr_spill_count: 0
    .wavefront_size: 64
  - .agpr_count:     0
    .args:
      - .offset:         0
        .size:           112
        .value_kind:     by_value
    .group_segment_fixed_size: 0
    .kernarg_segment_align: 8
    .kernarg_segment_size: 112
    .language:       OpenCL C
    .language_version:
      - 2
      - 0
    .max_flat_workgroup_size: 256
    .name:           _ZN7rocprim17ROCPRIM_400000_NS6detail17trampoline_kernelINS0_14default_configENS1_27scan_by_key_config_selectorIisEEZZNS1_16scan_by_key_implILNS1_25lookback_scan_determinismE0ELb0ES3_N6thrust23THRUST_200600_302600_NS6detail15normal_iteratorINS9_10device_ptrIiEEEENSB_INSC_IsEEEESG_sNS9_4plusIvEENS9_8equal_toIvEEsEE10hipError_tPvRmT2_T3_T4_T5_mT6_T7_P12ihipStream_tbENKUlT_T0_E_clISt17integral_constantIbLb0EES10_IbLb1EEEEDaSW_SX_EUlSW_E_NS1_11comp_targetILNS1_3genE10ELNS1_11target_archE1200ELNS1_3gpuE4ELNS1_3repE0EEENS1_30default_config_static_selectorELNS0_4arch9wavefront6targetE1EEEvT1_
    .private_segment_fixed_size: 0
    .sgpr_count:     4
    .sgpr_spill_count: 0
    .symbol:         _ZN7rocprim17ROCPRIM_400000_NS6detail17trampoline_kernelINS0_14default_configENS1_27scan_by_key_config_selectorIisEEZZNS1_16scan_by_key_implILNS1_25lookback_scan_determinismE0ELb0ES3_N6thrust23THRUST_200600_302600_NS6detail15normal_iteratorINS9_10device_ptrIiEEEENSB_INSC_IsEEEESG_sNS9_4plusIvEENS9_8equal_toIvEEsEE10hipError_tPvRmT2_T3_T4_T5_mT6_T7_P12ihipStream_tbENKUlT_T0_E_clISt17integral_constantIbLb0EES10_IbLb1EEEEDaSW_SX_EUlSW_E_NS1_11comp_targetILNS1_3genE10ELNS1_11target_archE1200ELNS1_3gpuE4ELNS1_3repE0EEENS1_30default_config_static_selectorELNS0_4arch9wavefront6targetE1EEEvT1_.kd
    .uniform_work_group_size: 1
    .uses_dynamic_stack: false
    .vgpr_count:     0
    .vgpr_spill_count: 0
    .wavefront_size: 64
  - .agpr_count:     0
    .args:
      - .offset:         0
        .size:           112
        .value_kind:     by_value
    .group_segment_fixed_size: 0
    .kernarg_segment_align: 8
    .kernarg_segment_size: 112
    .language:       OpenCL C
    .language_version:
      - 2
      - 0
    .max_flat_workgroup_size: 64
    .name:           _ZN7rocprim17ROCPRIM_400000_NS6detail17trampoline_kernelINS0_14default_configENS1_27scan_by_key_config_selectorIisEEZZNS1_16scan_by_key_implILNS1_25lookback_scan_determinismE0ELb0ES3_N6thrust23THRUST_200600_302600_NS6detail15normal_iteratorINS9_10device_ptrIiEEEENSB_INSC_IsEEEESG_sNS9_4plusIvEENS9_8equal_toIvEEsEE10hipError_tPvRmT2_T3_T4_T5_mT6_T7_P12ihipStream_tbENKUlT_T0_E_clISt17integral_constantIbLb0EES10_IbLb1EEEEDaSW_SX_EUlSW_E_NS1_11comp_targetILNS1_3genE9ELNS1_11target_archE1100ELNS1_3gpuE3ELNS1_3repE0EEENS1_30default_config_static_selectorELNS0_4arch9wavefront6targetE1EEEvT1_
    .private_segment_fixed_size: 0
    .sgpr_count:     4
    .sgpr_spill_count: 0
    .symbol:         _ZN7rocprim17ROCPRIM_400000_NS6detail17trampoline_kernelINS0_14default_configENS1_27scan_by_key_config_selectorIisEEZZNS1_16scan_by_key_implILNS1_25lookback_scan_determinismE0ELb0ES3_N6thrust23THRUST_200600_302600_NS6detail15normal_iteratorINS9_10device_ptrIiEEEENSB_INSC_IsEEEESG_sNS9_4plusIvEENS9_8equal_toIvEEsEE10hipError_tPvRmT2_T3_T4_T5_mT6_T7_P12ihipStream_tbENKUlT_T0_E_clISt17integral_constantIbLb0EES10_IbLb1EEEEDaSW_SX_EUlSW_E_NS1_11comp_targetILNS1_3genE9ELNS1_11target_archE1100ELNS1_3gpuE3ELNS1_3repE0EEENS1_30default_config_static_selectorELNS0_4arch9wavefront6targetE1EEEvT1_.kd
    .uniform_work_group_size: 1
    .uses_dynamic_stack: false
    .vgpr_count:     0
    .vgpr_spill_count: 0
    .wavefront_size: 64
  - .agpr_count:     0
    .args:
      - .offset:         0
        .size:           112
        .value_kind:     by_value
    .group_segment_fixed_size: 0
    .kernarg_segment_align: 8
    .kernarg_segment_size: 112
    .language:       OpenCL C
    .language_version:
      - 2
      - 0
    .max_flat_workgroup_size: 64
    .name:           _ZN7rocprim17ROCPRIM_400000_NS6detail17trampoline_kernelINS0_14default_configENS1_27scan_by_key_config_selectorIisEEZZNS1_16scan_by_key_implILNS1_25lookback_scan_determinismE0ELb0ES3_N6thrust23THRUST_200600_302600_NS6detail15normal_iteratorINS9_10device_ptrIiEEEENSB_INSC_IsEEEESG_sNS9_4plusIvEENS9_8equal_toIvEEsEE10hipError_tPvRmT2_T3_T4_T5_mT6_T7_P12ihipStream_tbENKUlT_T0_E_clISt17integral_constantIbLb0EES10_IbLb1EEEEDaSW_SX_EUlSW_E_NS1_11comp_targetILNS1_3genE8ELNS1_11target_archE1030ELNS1_3gpuE2ELNS1_3repE0EEENS1_30default_config_static_selectorELNS0_4arch9wavefront6targetE1EEEvT1_
    .private_segment_fixed_size: 0
    .sgpr_count:     4
    .sgpr_spill_count: 0
    .symbol:         _ZN7rocprim17ROCPRIM_400000_NS6detail17trampoline_kernelINS0_14default_configENS1_27scan_by_key_config_selectorIisEEZZNS1_16scan_by_key_implILNS1_25lookback_scan_determinismE0ELb0ES3_N6thrust23THRUST_200600_302600_NS6detail15normal_iteratorINS9_10device_ptrIiEEEENSB_INSC_IsEEEESG_sNS9_4plusIvEENS9_8equal_toIvEEsEE10hipError_tPvRmT2_T3_T4_T5_mT6_T7_P12ihipStream_tbENKUlT_T0_E_clISt17integral_constantIbLb0EES10_IbLb1EEEEDaSW_SX_EUlSW_E_NS1_11comp_targetILNS1_3genE8ELNS1_11target_archE1030ELNS1_3gpuE2ELNS1_3repE0EEENS1_30default_config_static_selectorELNS0_4arch9wavefront6targetE1EEEvT1_.kd
    .uniform_work_group_size: 1
    .uses_dynamic_stack: false
    .vgpr_count:     0
    .vgpr_spill_count: 0
    .wavefront_size: 64
  - .agpr_count:     0
    .args:
      - .offset:         0
        .size:           136
        .value_kind:     by_value
    .group_segment_fixed_size: 0
    .kernarg_segment_align: 8
    .kernarg_segment_size: 136
    .language:       OpenCL C
    .language_version:
      - 2
      - 0
    .max_flat_workgroup_size: 128
    .name:           _ZN7rocprim17ROCPRIM_400000_NS6detail17trampoline_kernelINS0_14default_configENS1_27scan_by_key_config_selectorIidEEZZNS1_16scan_by_key_implILNS1_25lookback_scan_determinismE0ELb1ES3_N6thrust23THRUST_200600_302600_NS6detail15normal_iteratorINS9_10device_ptrIiEEEENSB_INSC_IdEEEESG_dNS9_4plusIvEENS9_8equal_toIvEEdEE10hipError_tPvRmT2_T3_T4_T5_mT6_T7_P12ihipStream_tbENKUlT_T0_E_clISt17integral_constantIbLb0EES11_EEDaSW_SX_EUlSW_E_NS1_11comp_targetILNS1_3genE0ELNS1_11target_archE4294967295ELNS1_3gpuE0ELNS1_3repE0EEENS1_30default_config_static_selectorELNS0_4arch9wavefront6targetE1EEEvT1_
    .private_segment_fixed_size: 0
    .sgpr_count:     4
    .sgpr_spill_count: 0
    .symbol:         _ZN7rocprim17ROCPRIM_400000_NS6detail17trampoline_kernelINS0_14default_configENS1_27scan_by_key_config_selectorIidEEZZNS1_16scan_by_key_implILNS1_25lookback_scan_determinismE0ELb1ES3_N6thrust23THRUST_200600_302600_NS6detail15normal_iteratorINS9_10device_ptrIiEEEENSB_INSC_IdEEEESG_dNS9_4plusIvEENS9_8equal_toIvEEdEE10hipError_tPvRmT2_T3_T4_T5_mT6_T7_P12ihipStream_tbENKUlT_T0_E_clISt17integral_constantIbLb0EES11_EEDaSW_SX_EUlSW_E_NS1_11comp_targetILNS1_3genE0ELNS1_11target_archE4294967295ELNS1_3gpuE0ELNS1_3repE0EEENS1_30default_config_static_selectorELNS0_4arch9wavefront6targetE1EEEvT1_.kd
    .uniform_work_group_size: 1
    .uses_dynamic_stack: false
    .vgpr_count:     0
    .vgpr_spill_count: 0
    .wavefront_size: 64
  - .agpr_count:     0
    .args:
      - .offset:         0
        .size:           136
        .value_kind:     by_value
    .group_segment_fixed_size: 0
    .kernarg_segment_align: 8
    .kernarg_segment_size: 136
    .language:       OpenCL C
    .language_version:
      - 2
      - 0
    .max_flat_workgroup_size: 256
    .name:           _ZN7rocprim17ROCPRIM_400000_NS6detail17trampoline_kernelINS0_14default_configENS1_27scan_by_key_config_selectorIidEEZZNS1_16scan_by_key_implILNS1_25lookback_scan_determinismE0ELb1ES3_N6thrust23THRUST_200600_302600_NS6detail15normal_iteratorINS9_10device_ptrIiEEEENSB_INSC_IdEEEESG_dNS9_4plusIvEENS9_8equal_toIvEEdEE10hipError_tPvRmT2_T3_T4_T5_mT6_T7_P12ihipStream_tbENKUlT_T0_E_clISt17integral_constantIbLb0EES11_EEDaSW_SX_EUlSW_E_NS1_11comp_targetILNS1_3genE10ELNS1_11target_archE1201ELNS1_3gpuE5ELNS1_3repE0EEENS1_30default_config_static_selectorELNS0_4arch9wavefront6targetE1EEEvT1_
    .private_segment_fixed_size: 0
    .sgpr_count:     4
    .sgpr_spill_count: 0
    .symbol:         _ZN7rocprim17ROCPRIM_400000_NS6detail17trampoline_kernelINS0_14default_configENS1_27scan_by_key_config_selectorIidEEZZNS1_16scan_by_key_implILNS1_25lookback_scan_determinismE0ELb1ES3_N6thrust23THRUST_200600_302600_NS6detail15normal_iteratorINS9_10device_ptrIiEEEENSB_INSC_IdEEEESG_dNS9_4plusIvEENS9_8equal_toIvEEdEE10hipError_tPvRmT2_T3_T4_T5_mT6_T7_P12ihipStream_tbENKUlT_T0_E_clISt17integral_constantIbLb0EES11_EEDaSW_SX_EUlSW_E_NS1_11comp_targetILNS1_3genE10ELNS1_11target_archE1201ELNS1_3gpuE5ELNS1_3repE0EEENS1_30default_config_static_selectorELNS0_4arch9wavefront6targetE1EEEvT1_.kd
    .uniform_work_group_size: 1
    .uses_dynamic_stack: false
    .vgpr_count:     0
    .vgpr_spill_count: 0
    .wavefront_size: 64
  - .agpr_count:     0
    .args:
      - .offset:         0
        .size:           136
        .value_kind:     by_value
    .group_segment_fixed_size: 0
    .kernarg_segment_align: 8
    .kernarg_segment_size: 136
    .language:       OpenCL C
    .language_version:
      - 2
      - 0
    .max_flat_workgroup_size: 256
    .name:           _ZN7rocprim17ROCPRIM_400000_NS6detail17trampoline_kernelINS0_14default_configENS1_27scan_by_key_config_selectorIidEEZZNS1_16scan_by_key_implILNS1_25lookback_scan_determinismE0ELb1ES3_N6thrust23THRUST_200600_302600_NS6detail15normal_iteratorINS9_10device_ptrIiEEEENSB_INSC_IdEEEESG_dNS9_4plusIvEENS9_8equal_toIvEEdEE10hipError_tPvRmT2_T3_T4_T5_mT6_T7_P12ihipStream_tbENKUlT_T0_E_clISt17integral_constantIbLb0EES11_EEDaSW_SX_EUlSW_E_NS1_11comp_targetILNS1_3genE5ELNS1_11target_archE942ELNS1_3gpuE9ELNS1_3repE0EEENS1_30default_config_static_selectorELNS0_4arch9wavefront6targetE1EEEvT1_
    .private_segment_fixed_size: 0
    .sgpr_count:     4
    .sgpr_spill_count: 0
    .symbol:         _ZN7rocprim17ROCPRIM_400000_NS6detail17trampoline_kernelINS0_14default_configENS1_27scan_by_key_config_selectorIidEEZZNS1_16scan_by_key_implILNS1_25lookback_scan_determinismE0ELb1ES3_N6thrust23THRUST_200600_302600_NS6detail15normal_iteratorINS9_10device_ptrIiEEEENSB_INSC_IdEEEESG_dNS9_4plusIvEENS9_8equal_toIvEEdEE10hipError_tPvRmT2_T3_T4_T5_mT6_T7_P12ihipStream_tbENKUlT_T0_E_clISt17integral_constantIbLb0EES11_EEDaSW_SX_EUlSW_E_NS1_11comp_targetILNS1_3genE5ELNS1_11target_archE942ELNS1_3gpuE9ELNS1_3repE0EEENS1_30default_config_static_selectorELNS0_4arch9wavefront6targetE1EEEvT1_.kd
    .uniform_work_group_size: 1
    .uses_dynamic_stack: false
    .vgpr_count:     0
    .vgpr_spill_count: 0
    .wavefront_size: 64
  - .agpr_count:     0
    .args:
      - .offset:         0
        .size:           136
        .value_kind:     by_value
    .group_segment_fixed_size: 10752
    .kernarg_segment_align: 8
    .kernarg_segment_size: 136
    .language:       OpenCL C
    .language_version:
      - 2
      - 0
    .max_flat_workgroup_size: 64
    .name:           _ZN7rocprim17ROCPRIM_400000_NS6detail17trampoline_kernelINS0_14default_configENS1_27scan_by_key_config_selectorIidEEZZNS1_16scan_by_key_implILNS1_25lookback_scan_determinismE0ELb1ES3_N6thrust23THRUST_200600_302600_NS6detail15normal_iteratorINS9_10device_ptrIiEEEENSB_INSC_IdEEEESG_dNS9_4plusIvEENS9_8equal_toIvEEdEE10hipError_tPvRmT2_T3_T4_T5_mT6_T7_P12ihipStream_tbENKUlT_T0_E_clISt17integral_constantIbLb0EES11_EEDaSW_SX_EUlSW_E_NS1_11comp_targetILNS1_3genE4ELNS1_11target_archE910ELNS1_3gpuE8ELNS1_3repE0EEENS1_30default_config_static_selectorELNS0_4arch9wavefront6targetE1EEEvT1_
    .private_segment_fixed_size: 0
    .sgpr_count:     81
    .sgpr_spill_count: 0
    .symbol:         _ZN7rocprim17ROCPRIM_400000_NS6detail17trampoline_kernelINS0_14default_configENS1_27scan_by_key_config_selectorIidEEZZNS1_16scan_by_key_implILNS1_25lookback_scan_determinismE0ELb1ES3_N6thrust23THRUST_200600_302600_NS6detail15normal_iteratorINS9_10device_ptrIiEEEENSB_INSC_IdEEEESG_dNS9_4plusIvEENS9_8equal_toIvEEdEE10hipError_tPvRmT2_T3_T4_T5_mT6_T7_P12ihipStream_tbENKUlT_T0_E_clISt17integral_constantIbLb0EES11_EEDaSW_SX_EUlSW_E_NS1_11comp_targetILNS1_3genE4ELNS1_11target_archE910ELNS1_3gpuE8ELNS1_3repE0EEENS1_30default_config_static_selectorELNS0_4arch9wavefront6targetE1EEEvT1_.kd
    .uniform_work_group_size: 1
    .uses_dynamic_stack: false
    .vgpr_count:     130
    .vgpr_spill_count: 0
    .wavefront_size: 64
  - .agpr_count:     0
    .args:
      - .offset:         0
        .size:           136
        .value_kind:     by_value
    .group_segment_fixed_size: 0
    .kernarg_segment_align: 8
    .kernarg_segment_size: 136
    .language:       OpenCL C
    .language_version:
      - 2
      - 0
    .max_flat_workgroup_size: 128
    .name:           _ZN7rocprim17ROCPRIM_400000_NS6detail17trampoline_kernelINS0_14default_configENS1_27scan_by_key_config_selectorIidEEZZNS1_16scan_by_key_implILNS1_25lookback_scan_determinismE0ELb1ES3_N6thrust23THRUST_200600_302600_NS6detail15normal_iteratorINS9_10device_ptrIiEEEENSB_INSC_IdEEEESG_dNS9_4plusIvEENS9_8equal_toIvEEdEE10hipError_tPvRmT2_T3_T4_T5_mT6_T7_P12ihipStream_tbENKUlT_T0_E_clISt17integral_constantIbLb0EES11_EEDaSW_SX_EUlSW_E_NS1_11comp_targetILNS1_3genE3ELNS1_11target_archE908ELNS1_3gpuE7ELNS1_3repE0EEENS1_30default_config_static_selectorELNS0_4arch9wavefront6targetE1EEEvT1_
    .private_segment_fixed_size: 0
    .sgpr_count:     4
    .sgpr_spill_count: 0
    .symbol:         _ZN7rocprim17ROCPRIM_400000_NS6detail17trampoline_kernelINS0_14default_configENS1_27scan_by_key_config_selectorIidEEZZNS1_16scan_by_key_implILNS1_25lookback_scan_determinismE0ELb1ES3_N6thrust23THRUST_200600_302600_NS6detail15normal_iteratorINS9_10device_ptrIiEEEENSB_INSC_IdEEEESG_dNS9_4plusIvEENS9_8equal_toIvEEdEE10hipError_tPvRmT2_T3_T4_T5_mT6_T7_P12ihipStream_tbENKUlT_T0_E_clISt17integral_constantIbLb0EES11_EEDaSW_SX_EUlSW_E_NS1_11comp_targetILNS1_3genE3ELNS1_11target_archE908ELNS1_3gpuE7ELNS1_3repE0EEENS1_30default_config_static_selectorELNS0_4arch9wavefront6targetE1EEEvT1_.kd
    .uniform_work_group_size: 1
    .uses_dynamic_stack: false
    .vgpr_count:     0
    .vgpr_spill_count: 0
    .wavefront_size: 64
  - .agpr_count:     0
    .args:
      - .offset:         0
        .size:           136
        .value_kind:     by_value
    .group_segment_fixed_size: 0
    .kernarg_segment_align: 8
    .kernarg_segment_size: 136
    .language:       OpenCL C
    .language_version:
      - 2
      - 0
    .max_flat_workgroup_size: 64
    .name:           _ZN7rocprim17ROCPRIM_400000_NS6detail17trampoline_kernelINS0_14default_configENS1_27scan_by_key_config_selectorIidEEZZNS1_16scan_by_key_implILNS1_25lookback_scan_determinismE0ELb1ES3_N6thrust23THRUST_200600_302600_NS6detail15normal_iteratorINS9_10device_ptrIiEEEENSB_INSC_IdEEEESG_dNS9_4plusIvEENS9_8equal_toIvEEdEE10hipError_tPvRmT2_T3_T4_T5_mT6_T7_P12ihipStream_tbENKUlT_T0_E_clISt17integral_constantIbLb0EES11_EEDaSW_SX_EUlSW_E_NS1_11comp_targetILNS1_3genE2ELNS1_11target_archE906ELNS1_3gpuE6ELNS1_3repE0EEENS1_30default_config_static_selectorELNS0_4arch9wavefront6targetE1EEEvT1_
    .private_segment_fixed_size: 0
    .sgpr_count:     4
    .sgpr_spill_count: 0
    .symbol:         _ZN7rocprim17ROCPRIM_400000_NS6detail17trampoline_kernelINS0_14default_configENS1_27scan_by_key_config_selectorIidEEZZNS1_16scan_by_key_implILNS1_25lookback_scan_determinismE0ELb1ES3_N6thrust23THRUST_200600_302600_NS6detail15normal_iteratorINS9_10device_ptrIiEEEENSB_INSC_IdEEEESG_dNS9_4plusIvEENS9_8equal_toIvEEdEE10hipError_tPvRmT2_T3_T4_T5_mT6_T7_P12ihipStream_tbENKUlT_T0_E_clISt17integral_constantIbLb0EES11_EEDaSW_SX_EUlSW_E_NS1_11comp_targetILNS1_3genE2ELNS1_11target_archE906ELNS1_3gpuE6ELNS1_3repE0EEENS1_30default_config_static_selectorELNS0_4arch9wavefront6targetE1EEEvT1_.kd
    .uniform_work_group_size: 1
    .uses_dynamic_stack: false
    .vgpr_count:     0
    .vgpr_spill_count: 0
    .wavefront_size: 64
  - .agpr_count:     0
    .args:
      - .offset:         0
        .size:           136
        .value_kind:     by_value
    .group_segment_fixed_size: 0
    .kernarg_segment_align: 8
    .kernarg_segment_size: 136
    .language:       OpenCL C
    .language_version:
      - 2
      - 0
    .max_flat_workgroup_size: 256
    .name:           _ZN7rocprim17ROCPRIM_400000_NS6detail17trampoline_kernelINS0_14default_configENS1_27scan_by_key_config_selectorIidEEZZNS1_16scan_by_key_implILNS1_25lookback_scan_determinismE0ELb1ES3_N6thrust23THRUST_200600_302600_NS6detail15normal_iteratorINS9_10device_ptrIiEEEENSB_INSC_IdEEEESG_dNS9_4plusIvEENS9_8equal_toIvEEdEE10hipError_tPvRmT2_T3_T4_T5_mT6_T7_P12ihipStream_tbENKUlT_T0_E_clISt17integral_constantIbLb0EES11_EEDaSW_SX_EUlSW_E_NS1_11comp_targetILNS1_3genE10ELNS1_11target_archE1200ELNS1_3gpuE4ELNS1_3repE0EEENS1_30default_config_static_selectorELNS0_4arch9wavefront6targetE1EEEvT1_
    .private_segment_fixed_size: 0
    .sgpr_count:     4
    .sgpr_spill_count: 0
    .symbol:         _ZN7rocprim17ROCPRIM_400000_NS6detail17trampoline_kernelINS0_14default_configENS1_27scan_by_key_config_selectorIidEEZZNS1_16scan_by_key_implILNS1_25lookback_scan_determinismE0ELb1ES3_N6thrust23THRUST_200600_302600_NS6detail15normal_iteratorINS9_10device_ptrIiEEEENSB_INSC_IdEEEESG_dNS9_4plusIvEENS9_8equal_toIvEEdEE10hipError_tPvRmT2_T3_T4_T5_mT6_T7_P12ihipStream_tbENKUlT_T0_E_clISt17integral_constantIbLb0EES11_EEDaSW_SX_EUlSW_E_NS1_11comp_targetILNS1_3genE10ELNS1_11target_archE1200ELNS1_3gpuE4ELNS1_3repE0EEENS1_30default_config_static_selectorELNS0_4arch9wavefront6targetE1EEEvT1_.kd
    .uniform_work_group_size: 1
    .uses_dynamic_stack: false
    .vgpr_count:     0
    .vgpr_spill_count: 0
    .wavefront_size: 64
  - .agpr_count:     0
    .args:
      - .offset:         0
        .size:           136
        .value_kind:     by_value
    .group_segment_fixed_size: 0
    .kernarg_segment_align: 8
    .kernarg_segment_size: 136
    .language:       OpenCL C
    .language_version:
      - 2
      - 0
    .max_flat_workgroup_size: 256
    .name:           _ZN7rocprim17ROCPRIM_400000_NS6detail17trampoline_kernelINS0_14default_configENS1_27scan_by_key_config_selectorIidEEZZNS1_16scan_by_key_implILNS1_25lookback_scan_determinismE0ELb1ES3_N6thrust23THRUST_200600_302600_NS6detail15normal_iteratorINS9_10device_ptrIiEEEENSB_INSC_IdEEEESG_dNS9_4plusIvEENS9_8equal_toIvEEdEE10hipError_tPvRmT2_T3_T4_T5_mT6_T7_P12ihipStream_tbENKUlT_T0_E_clISt17integral_constantIbLb0EES11_EEDaSW_SX_EUlSW_E_NS1_11comp_targetILNS1_3genE9ELNS1_11target_archE1100ELNS1_3gpuE3ELNS1_3repE0EEENS1_30default_config_static_selectorELNS0_4arch9wavefront6targetE1EEEvT1_
    .private_segment_fixed_size: 0
    .sgpr_count:     4
    .sgpr_spill_count: 0
    .symbol:         _ZN7rocprim17ROCPRIM_400000_NS6detail17trampoline_kernelINS0_14default_configENS1_27scan_by_key_config_selectorIidEEZZNS1_16scan_by_key_implILNS1_25lookback_scan_determinismE0ELb1ES3_N6thrust23THRUST_200600_302600_NS6detail15normal_iteratorINS9_10device_ptrIiEEEENSB_INSC_IdEEEESG_dNS9_4plusIvEENS9_8equal_toIvEEdEE10hipError_tPvRmT2_T3_T4_T5_mT6_T7_P12ihipStream_tbENKUlT_T0_E_clISt17integral_constantIbLb0EES11_EEDaSW_SX_EUlSW_E_NS1_11comp_targetILNS1_3genE9ELNS1_11target_archE1100ELNS1_3gpuE3ELNS1_3repE0EEENS1_30default_config_static_selectorELNS0_4arch9wavefront6targetE1EEEvT1_.kd
    .uniform_work_group_size: 1
    .uses_dynamic_stack: false
    .vgpr_count:     0
    .vgpr_spill_count: 0
    .wavefront_size: 64
  - .agpr_count:     0
    .args:
      - .offset:         0
        .size:           136
        .value_kind:     by_value
    .group_segment_fixed_size: 0
    .kernarg_segment_align: 8
    .kernarg_segment_size: 136
    .language:       OpenCL C
    .language_version:
      - 2
      - 0
    .max_flat_workgroup_size: 256
    .name:           _ZN7rocprim17ROCPRIM_400000_NS6detail17trampoline_kernelINS0_14default_configENS1_27scan_by_key_config_selectorIidEEZZNS1_16scan_by_key_implILNS1_25lookback_scan_determinismE0ELb1ES3_N6thrust23THRUST_200600_302600_NS6detail15normal_iteratorINS9_10device_ptrIiEEEENSB_INSC_IdEEEESG_dNS9_4plusIvEENS9_8equal_toIvEEdEE10hipError_tPvRmT2_T3_T4_T5_mT6_T7_P12ihipStream_tbENKUlT_T0_E_clISt17integral_constantIbLb0EES11_EEDaSW_SX_EUlSW_E_NS1_11comp_targetILNS1_3genE8ELNS1_11target_archE1030ELNS1_3gpuE2ELNS1_3repE0EEENS1_30default_config_static_selectorELNS0_4arch9wavefront6targetE1EEEvT1_
    .private_segment_fixed_size: 0
    .sgpr_count:     4
    .sgpr_spill_count: 0
    .symbol:         _ZN7rocprim17ROCPRIM_400000_NS6detail17trampoline_kernelINS0_14default_configENS1_27scan_by_key_config_selectorIidEEZZNS1_16scan_by_key_implILNS1_25lookback_scan_determinismE0ELb1ES3_N6thrust23THRUST_200600_302600_NS6detail15normal_iteratorINS9_10device_ptrIiEEEENSB_INSC_IdEEEESG_dNS9_4plusIvEENS9_8equal_toIvEEdEE10hipError_tPvRmT2_T3_T4_T5_mT6_T7_P12ihipStream_tbENKUlT_T0_E_clISt17integral_constantIbLb0EES11_EEDaSW_SX_EUlSW_E_NS1_11comp_targetILNS1_3genE8ELNS1_11target_archE1030ELNS1_3gpuE2ELNS1_3repE0EEENS1_30default_config_static_selectorELNS0_4arch9wavefront6targetE1EEEvT1_.kd
    .uniform_work_group_size: 1
    .uses_dynamic_stack: false
    .vgpr_count:     0
    .vgpr_spill_count: 0
    .wavefront_size: 64
  - .agpr_count:     0
    .args:
      - .offset:         0
        .size:           136
        .value_kind:     by_value
    .group_segment_fixed_size: 0
    .kernarg_segment_align: 8
    .kernarg_segment_size: 136
    .language:       OpenCL C
    .language_version:
      - 2
      - 0
    .max_flat_workgroup_size: 128
    .name:           _ZN7rocprim17ROCPRIM_400000_NS6detail17trampoline_kernelINS0_14default_configENS1_27scan_by_key_config_selectorIidEEZZNS1_16scan_by_key_implILNS1_25lookback_scan_determinismE0ELb1ES3_N6thrust23THRUST_200600_302600_NS6detail15normal_iteratorINS9_10device_ptrIiEEEENSB_INSC_IdEEEESG_dNS9_4plusIvEENS9_8equal_toIvEEdEE10hipError_tPvRmT2_T3_T4_T5_mT6_T7_P12ihipStream_tbENKUlT_T0_E_clISt17integral_constantIbLb1EES11_EEDaSW_SX_EUlSW_E_NS1_11comp_targetILNS1_3genE0ELNS1_11target_archE4294967295ELNS1_3gpuE0ELNS1_3repE0EEENS1_30default_config_static_selectorELNS0_4arch9wavefront6targetE1EEEvT1_
    .private_segment_fixed_size: 0
    .sgpr_count:     4
    .sgpr_spill_count: 0
    .symbol:         _ZN7rocprim17ROCPRIM_400000_NS6detail17trampoline_kernelINS0_14default_configENS1_27scan_by_key_config_selectorIidEEZZNS1_16scan_by_key_implILNS1_25lookback_scan_determinismE0ELb1ES3_N6thrust23THRUST_200600_302600_NS6detail15normal_iteratorINS9_10device_ptrIiEEEENSB_INSC_IdEEEESG_dNS9_4plusIvEENS9_8equal_toIvEEdEE10hipError_tPvRmT2_T3_T4_T5_mT6_T7_P12ihipStream_tbENKUlT_T0_E_clISt17integral_constantIbLb1EES11_EEDaSW_SX_EUlSW_E_NS1_11comp_targetILNS1_3genE0ELNS1_11target_archE4294967295ELNS1_3gpuE0ELNS1_3repE0EEENS1_30default_config_static_selectorELNS0_4arch9wavefront6targetE1EEEvT1_.kd
    .uniform_work_group_size: 1
    .uses_dynamic_stack: false
    .vgpr_count:     0
    .vgpr_spill_count: 0
    .wavefront_size: 64
  - .agpr_count:     0
    .args:
      - .offset:         0
        .size:           136
        .value_kind:     by_value
    .group_segment_fixed_size: 0
    .kernarg_segment_align: 8
    .kernarg_segment_size: 136
    .language:       OpenCL C
    .language_version:
      - 2
      - 0
    .max_flat_workgroup_size: 256
    .name:           _ZN7rocprim17ROCPRIM_400000_NS6detail17trampoline_kernelINS0_14default_configENS1_27scan_by_key_config_selectorIidEEZZNS1_16scan_by_key_implILNS1_25lookback_scan_determinismE0ELb1ES3_N6thrust23THRUST_200600_302600_NS6detail15normal_iteratorINS9_10device_ptrIiEEEENSB_INSC_IdEEEESG_dNS9_4plusIvEENS9_8equal_toIvEEdEE10hipError_tPvRmT2_T3_T4_T5_mT6_T7_P12ihipStream_tbENKUlT_T0_E_clISt17integral_constantIbLb1EES11_EEDaSW_SX_EUlSW_E_NS1_11comp_targetILNS1_3genE10ELNS1_11target_archE1201ELNS1_3gpuE5ELNS1_3repE0EEENS1_30default_config_static_selectorELNS0_4arch9wavefront6targetE1EEEvT1_
    .private_segment_fixed_size: 0
    .sgpr_count:     4
    .sgpr_spill_count: 0
    .symbol:         _ZN7rocprim17ROCPRIM_400000_NS6detail17trampoline_kernelINS0_14default_configENS1_27scan_by_key_config_selectorIidEEZZNS1_16scan_by_key_implILNS1_25lookback_scan_determinismE0ELb1ES3_N6thrust23THRUST_200600_302600_NS6detail15normal_iteratorINS9_10device_ptrIiEEEENSB_INSC_IdEEEESG_dNS9_4plusIvEENS9_8equal_toIvEEdEE10hipError_tPvRmT2_T3_T4_T5_mT6_T7_P12ihipStream_tbENKUlT_T0_E_clISt17integral_constantIbLb1EES11_EEDaSW_SX_EUlSW_E_NS1_11comp_targetILNS1_3genE10ELNS1_11target_archE1201ELNS1_3gpuE5ELNS1_3repE0EEENS1_30default_config_static_selectorELNS0_4arch9wavefront6targetE1EEEvT1_.kd
    .uniform_work_group_size: 1
    .uses_dynamic_stack: false
    .vgpr_count:     0
    .vgpr_spill_count: 0
    .wavefront_size: 64
  - .agpr_count:     0
    .args:
      - .offset:         0
        .size:           136
        .value_kind:     by_value
    .group_segment_fixed_size: 0
    .kernarg_segment_align: 8
    .kernarg_segment_size: 136
    .language:       OpenCL C
    .language_version:
      - 2
      - 0
    .max_flat_workgroup_size: 256
    .name:           _ZN7rocprim17ROCPRIM_400000_NS6detail17trampoline_kernelINS0_14default_configENS1_27scan_by_key_config_selectorIidEEZZNS1_16scan_by_key_implILNS1_25lookback_scan_determinismE0ELb1ES3_N6thrust23THRUST_200600_302600_NS6detail15normal_iteratorINS9_10device_ptrIiEEEENSB_INSC_IdEEEESG_dNS9_4plusIvEENS9_8equal_toIvEEdEE10hipError_tPvRmT2_T3_T4_T5_mT6_T7_P12ihipStream_tbENKUlT_T0_E_clISt17integral_constantIbLb1EES11_EEDaSW_SX_EUlSW_E_NS1_11comp_targetILNS1_3genE5ELNS1_11target_archE942ELNS1_3gpuE9ELNS1_3repE0EEENS1_30default_config_static_selectorELNS0_4arch9wavefront6targetE1EEEvT1_
    .private_segment_fixed_size: 0
    .sgpr_count:     4
    .sgpr_spill_count: 0
    .symbol:         _ZN7rocprim17ROCPRIM_400000_NS6detail17trampoline_kernelINS0_14default_configENS1_27scan_by_key_config_selectorIidEEZZNS1_16scan_by_key_implILNS1_25lookback_scan_determinismE0ELb1ES3_N6thrust23THRUST_200600_302600_NS6detail15normal_iteratorINS9_10device_ptrIiEEEENSB_INSC_IdEEEESG_dNS9_4plusIvEENS9_8equal_toIvEEdEE10hipError_tPvRmT2_T3_T4_T5_mT6_T7_P12ihipStream_tbENKUlT_T0_E_clISt17integral_constantIbLb1EES11_EEDaSW_SX_EUlSW_E_NS1_11comp_targetILNS1_3genE5ELNS1_11target_archE942ELNS1_3gpuE9ELNS1_3repE0EEENS1_30default_config_static_selectorELNS0_4arch9wavefront6targetE1EEEvT1_.kd
    .uniform_work_group_size: 1
    .uses_dynamic_stack: false
    .vgpr_count:     0
    .vgpr_spill_count: 0
    .wavefront_size: 64
  - .agpr_count:     0
    .args:
      - .offset:         0
        .size:           136
        .value_kind:     by_value
    .group_segment_fixed_size: 10752
    .kernarg_segment_align: 8
    .kernarg_segment_size: 136
    .language:       OpenCL C
    .language_version:
      - 2
      - 0
    .max_flat_workgroup_size: 64
    .name:           _ZN7rocprim17ROCPRIM_400000_NS6detail17trampoline_kernelINS0_14default_configENS1_27scan_by_key_config_selectorIidEEZZNS1_16scan_by_key_implILNS1_25lookback_scan_determinismE0ELb1ES3_N6thrust23THRUST_200600_302600_NS6detail15normal_iteratorINS9_10device_ptrIiEEEENSB_INSC_IdEEEESG_dNS9_4plusIvEENS9_8equal_toIvEEdEE10hipError_tPvRmT2_T3_T4_T5_mT6_T7_P12ihipStream_tbENKUlT_T0_E_clISt17integral_constantIbLb1EES11_EEDaSW_SX_EUlSW_E_NS1_11comp_targetILNS1_3genE4ELNS1_11target_archE910ELNS1_3gpuE8ELNS1_3repE0EEENS1_30default_config_static_selectorELNS0_4arch9wavefront6targetE1EEEvT1_
    .private_segment_fixed_size: 0
    .sgpr_count:     78
    .sgpr_spill_count: 0
    .symbol:         _ZN7rocprim17ROCPRIM_400000_NS6detail17trampoline_kernelINS0_14default_configENS1_27scan_by_key_config_selectorIidEEZZNS1_16scan_by_key_implILNS1_25lookback_scan_determinismE0ELb1ES3_N6thrust23THRUST_200600_302600_NS6detail15normal_iteratorINS9_10device_ptrIiEEEENSB_INSC_IdEEEESG_dNS9_4plusIvEENS9_8equal_toIvEEdEE10hipError_tPvRmT2_T3_T4_T5_mT6_T7_P12ihipStream_tbENKUlT_T0_E_clISt17integral_constantIbLb1EES11_EEDaSW_SX_EUlSW_E_NS1_11comp_targetILNS1_3genE4ELNS1_11target_archE910ELNS1_3gpuE8ELNS1_3repE0EEENS1_30default_config_static_selectorELNS0_4arch9wavefront6targetE1EEEvT1_.kd
    .uniform_work_group_size: 1
    .uses_dynamic_stack: false
    .vgpr_count:     132
    .vgpr_spill_count: 0
    .wavefront_size: 64
  - .agpr_count:     0
    .args:
      - .offset:         0
        .size:           136
        .value_kind:     by_value
    .group_segment_fixed_size: 0
    .kernarg_segment_align: 8
    .kernarg_segment_size: 136
    .language:       OpenCL C
    .language_version:
      - 2
      - 0
    .max_flat_workgroup_size: 128
    .name:           _ZN7rocprim17ROCPRIM_400000_NS6detail17trampoline_kernelINS0_14default_configENS1_27scan_by_key_config_selectorIidEEZZNS1_16scan_by_key_implILNS1_25lookback_scan_determinismE0ELb1ES3_N6thrust23THRUST_200600_302600_NS6detail15normal_iteratorINS9_10device_ptrIiEEEENSB_INSC_IdEEEESG_dNS9_4plusIvEENS9_8equal_toIvEEdEE10hipError_tPvRmT2_T3_T4_T5_mT6_T7_P12ihipStream_tbENKUlT_T0_E_clISt17integral_constantIbLb1EES11_EEDaSW_SX_EUlSW_E_NS1_11comp_targetILNS1_3genE3ELNS1_11target_archE908ELNS1_3gpuE7ELNS1_3repE0EEENS1_30default_config_static_selectorELNS0_4arch9wavefront6targetE1EEEvT1_
    .private_segment_fixed_size: 0
    .sgpr_count:     4
    .sgpr_spill_count: 0
    .symbol:         _ZN7rocprim17ROCPRIM_400000_NS6detail17trampoline_kernelINS0_14default_configENS1_27scan_by_key_config_selectorIidEEZZNS1_16scan_by_key_implILNS1_25lookback_scan_determinismE0ELb1ES3_N6thrust23THRUST_200600_302600_NS6detail15normal_iteratorINS9_10device_ptrIiEEEENSB_INSC_IdEEEESG_dNS9_4plusIvEENS9_8equal_toIvEEdEE10hipError_tPvRmT2_T3_T4_T5_mT6_T7_P12ihipStream_tbENKUlT_T0_E_clISt17integral_constantIbLb1EES11_EEDaSW_SX_EUlSW_E_NS1_11comp_targetILNS1_3genE3ELNS1_11target_archE908ELNS1_3gpuE7ELNS1_3repE0EEENS1_30default_config_static_selectorELNS0_4arch9wavefront6targetE1EEEvT1_.kd
    .uniform_work_group_size: 1
    .uses_dynamic_stack: false
    .vgpr_count:     0
    .vgpr_spill_count: 0
    .wavefront_size: 64
  - .agpr_count:     0
    .args:
      - .offset:         0
        .size:           136
        .value_kind:     by_value
    .group_segment_fixed_size: 0
    .kernarg_segment_align: 8
    .kernarg_segment_size: 136
    .language:       OpenCL C
    .language_version:
      - 2
      - 0
    .max_flat_workgroup_size: 64
    .name:           _ZN7rocprim17ROCPRIM_400000_NS6detail17trampoline_kernelINS0_14default_configENS1_27scan_by_key_config_selectorIidEEZZNS1_16scan_by_key_implILNS1_25lookback_scan_determinismE0ELb1ES3_N6thrust23THRUST_200600_302600_NS6detail15normal_iteratorINS9_10device_ptrIiEEEENSB_INSC_IdEEEESG_dNS9_4plusIvEENS9_8equal_toIvEEdEE10hipError_tPvRmT2_T3_T4_T5_mT6_T7_P12ihipStream_tbENKUlT_T0_E_clISt17integral_constantIbLb1EES11_EEDaSW_SX_EUlSW_E_NS1_11comp_targetILNS1_3genE2ELNS1_11target_archE906ELNS1_3gpuE6ELNS1_3repE0EEENS1_30default_config_static_selectorELNS0_4arch9wavefront6targetE1EEEvT1_
    .private_segment_fixed_size: 0
    .sgpr_count:     4
    .sgpr_spill_count: 0
    .symbol:         _ZN7rocprim17ROCPRIM_400000_NS6detail17trampoline_kernelINS0_14default_configENS1_27scan_by_key_config_selectorIidEEZZNS1_16scan_by_key_implILNS1_25lookback_scan_determinismE0ELb1ES3_N6thrust23THRUST_200600_302600_NS6detail15normal_iteratorINS9_10device_ptrIiEEEENSB_INSC_IdEEEESG_dNS9_4plusIvEENS9_8equal_toIvEEdEE10hipError_tPvRmT2_T3_T4_T5_mT6_T7_P12ihipStream_tbENKUlT_T0_E_clISt17integral_constantIbLb1EES11_EEDaSW_SX_EUlSW_E_NS1_11comp_targetILNS1_3genE2ELNS1_11target_archE906ELNS1_3gpuE6ELNS1_3repE0EEENS1_30default_config_static_selectorELNS0_4arch9wavefront6targetE1EEEvT1_.kd
    .uniform_work_group_size: 1
    .uses_dynamic_stack: false
    .vgpr_count:     0
    .vgpr_spill_count: 0
    .wavefront_size: 64
  - .agpr_count:     0
    .args:
      - .offset:         0
        .size:           136
        .value_kind:     by_value
    .group_segment_fixed_size: 0
    .kernarg_segment_align: 8
    .kernarg_segment_size: 136
    .language:       OpenCL C
    .language_version:
      - 2
      - 0
    .max_flat_workgroup_size: 256
    .name:           _ZN7rocprim17ROCPRIM_400000_NS6detail17trampoline_kernelINS0_14default_configENS1_27scan_by_key_config_selectorIidEEZZNS1_16scan_by_key_implILNS1_25lookback_scan_determinismE0ELb1ES3_N6thrust23THRUST_200600_302600_NS6detail15normal_iteratorINS9_10device_ptrIiEEEENSB_INSC_IdEEEESG_dNS9_4plusIvEENS9_8equal_toIvEEdEE10hipError_tPvRmT2_T3_T4_T5_mT6_T7_P12ihipStream_tbENKUlT_T0_E_clISt17integral_constantIbLb1EES11_EEDaSW_SX_EUlSW_E_NS1_11comp_targetILNS1_3genE10ELNS1_11target_archE1200ELNS1_3gpuE4ELNS1_3repE0EEENS1_30default_config_static_selectorELNS0_4arch9wavefront6targetE1EEEvT1_
    .private_segment_fixed_size: 0
    .sgpr_count:     4
    .sgpr_spill_count: 0
    .symbol:         _ZN7rocprim17ROCPRIM_400000_NS6detail17trampoline_kernelINS0_14default_configENS1_27scan_by_key_config_selectorIidEEZZNS1_16scan_by_key_implILNS1_25lookback_scan_determinismE0ELb1ES3_N6thrust23THRUST_200600_302600_NS6detail15normal_iteratorINS9_10device_ptrIiEEEENSB_INSC_IdEEEESG_dNS9_4plusIvEENS9_8equal_toIvEEdEE10hipError_tPvRmT2_T3_T4_T5_mT6_T7_P12ihipStream_tbENKUlT_T0_E_clISt17integral_constantIbLb1EES11_EEDaSW_SX_EUlSW_E_NS1_11comp_targetILNS1_3genE10ELNS1_11target_archE1200ELNS1_3gpuE4ELNS1_3repE0EEENS1_30default_config_static_selectorELNS0_4arch9wavefront6targetE1EEEvT1_.kd
    .uniform_work_group_size: 1
    .uses_dynamic_stack: false
    .vgpr_count:     0
    .vgpr_spill_count: 0
    .wavefront_size: 64
  - .agpr_count:     0
    .args:
      - .offset:         0
        .size:           136
        .value_kind:     by_value
    .group_segment_fixed_size: 0
    .kernarg_segment_align: 8
    .kernarg_segment_size: 136
    .language:       OpenCL C
    .language_version:
      - 2
      - 0
    .max_flat_workgroup_size: 256
    .name:           _ZN7rocprim17ROCPRIM_400000_NS6detail17trampoline_kernelINS0_14default_configENS1_27scan_by_key_config_selectorIidEEZZNS1_16scan_by_key_implILNS1_25lookback_scan_determinismE0ELb1ES3_N6thrust23THRUST_200600_302600_NS6detail15normal_iteratorINS9_10device_ptrIiEEEENSB_INSC_IdEEEESG_dNS9_4plusIvEENS9_8equal_toIvEEdEE10hipError_tPvRmT2_T3_T4_T5_mT6_T7_P12ihipStream_tbENKUlT_T0_E_clISt17integral_constantIbLb1EES11_EEDaSW_SX_EUlSW_E_NS1_11comp_targetILNS1_3genE9ELNS1_11target_archE1100ELNS1_3gpuE3ELNS1_3repE0EEENS1_30default_config_static_selectorELNS0_4arch9wavefront6targetE1EEEvT1_
    .private_segment_fixed_size: 0
    .sgpr_count:     4
    .sgpr_spill_count: 0
    .symbol:         _ZN7rocprim17ROCPRIM_400000_NS6detail17trampoline_kernelINS0_14default_configENS1_27scan_by_key_config_selectorIidEEZZNS1_16scan_by_key_implILNS1_25lookback_scan_determinismE0ELb1ES3_N6thrust23THRUST_200600_302600_NS6detail15normal_iteratorINS9_10device_ptrIiEEEENSB_INSC_IdEEEESG_dNS9_4plusIvEENS9_8equal_toIvEEdEE10hipError_tPvRmT2_T3_T4_T5_mT6_T7_P12ihipStream_tbENKUlT_T0_E_clISt17integral_constantIbLb1EES11_EEDaSW_SX_EUlSW_E_NS1_11comp_targetILNS1_3genE9ELNS1_11target_archE1100ELNS1_3gpuE3ELNS1_3repE0EEENS1_30default_config_static_selectorELNS0_4arch9wavefront6targetE1EEEvT1_.kd
    .uniform_work_group_size: 1
    .uses_dynamic_stack: false
    .vgpr_count:     0
    .vgpr_spill_count: 0
    .wavefront_size: 64
  - .agpr_count:     0
    .args:
      - .offset:         0
        .size:           136
        .value_kind:     by_value
    .group_segment_fixed_size: 0
    .kernarg_segment_align: 8
    .kernarg_segment_size: 136
    .language:       OpenCL C
    .language_version:
      - 2
      - 0
    .max_flat_workgroup_size: 256
    .name:           _ZN7rocprim17ROCPRIM_400000_NS6detail17trampoline_kernelINS0_14default_configENS1_27scan_by_key_config_selectorIidEEZZNS1_16scan_by_key_implILNS1_25lookback_scan_determinismE0ELb1ES3_N6thrust23THRUST_200600_302600_NS6detail15normal_iteratorINS9_10device_ptrIiEEEENSB_INSC_IdEEEESG_dNS9_4plusIvEENS9_8equal_toIvEEdEE10hipError_tPvRmT2_T3_T4_T5_mT6_T7_P12ihipStream_tbENKUlT_T0_E_clISt17integral_constantIbLb1EES11_EEDaSW_SX_EUlSW_E_NS1_11comp_targetILNS1_3genE8ELNS1_11target_archE1030ELNS1_3gpuE2ELNS1_3repE0EEENS1_30default_config_static_selectorELNS0_4arch9wavefront6targetE1EEEvT1_
    .private_segment_fixed_size: 0
    .sgpr_count:     4
    .sgpr_spill_count: 0
    .symbol:         _ZN7rocprim17ROCPRIM_400000_NS6detail17trampoline_kernelINS0_14default_configENS1_27scan_by_key_config_selectorIidEEZZNS1_16scan_by_key_implILNS1_25lookback_scan_determinismE0ELb1ES3_N6thrust23THRUST_200600_302600_NS6detail15normal_iteratorINS9_10device_ptrIiEEEENSB_INSC_IdEEEESG_dNS9_4plusIvEENS9_8equal_toIvEEdEE10hipError_tPvRmT2_T3_T4_T5_mT6_T7_P12ihipStream_tbENKUlT_T0_E_clISt17integral_constantIbLb1EES11_EEDaSW_SX_EUlSW_E_NS1_11comp_targetILNS1_3genE8ELNS1_11target_archE1030ELNS1_3gpuE2ELNS1_3repE0EEENS1_30default_config_static_selectorELNS0_4arch9wavefront6targetE1EEEvT1_.kd
    .uniform_work_group_size: 1
    .uses_dynamic_stack: false
    .vgpr_count:     0
    .vgpr_spill_count: 0
    .wavefront_size: 64
  - .agpr_count:     0
    .args:
      - .offset:         0
        .size:           136
        .value_kind:     by_value
    .group_segment_fixed_size: 0
    .kernarg_segment_align: 8
    .kernarg_segment_size: 136
    .language:       OpenCL C
    .language_version:
      - 2
      - 0
    .max_flat_workgroup_size: 128
    .name:           _ZN7rocprim17ROCPRIM_400000_NS6detail17trampoline_kernelINS0_14default_configENS1_27scan_by_key_config_selectorIidEEZZNS1_16scan_by_key_implILNS1_25lookback_scan_determinismE0ELb1ES3_N6thrust23THRUST_200600_302600_NS6detail15normal_iteratorINS9_10device_ptrIiEEEENSB_INSC_IdEEEESG_dNS9_4plusIvEENS9_8equal_toIvEEdEE10hipError_tPvRmT2_T3_T4_T5_mT6_T7_P12ihipStream_tbENKUlT_T0_E_clISt17integral_constantIbLb1EES10_IbLb0EEEEDaSW_SX_EUlSW_E_NS1_11comp_targetILNS1_3genE0ELNS1_11target_archE4294967295ELNS1_3gpuE0ELNS1_3repE0EEENS1_30default_config_static_selectorELNS0_4arch9wavefront6targetE1EEEvT1_
    .private_segment_fixed_size: 0
    .sgpr_count:     4
    .sgpr_spill_count: 0
    .symbol:         _ZN7rocprim17ROCPRIM_400000_NS6detail17trampoline_kernelINS0_14default_configENS1_27scan_by_key_config_selectorIidEEZZNS1_16scan_by_key_implILNS1_25lookback_scan_determinismE0ELb1ES3_N6thrust23THRUST_200600_302600_NS6detail15normal_iteratorINS9_10device_ptrIiEEEENSB_INSC_IdEEEESG_dNS9_4plusIvEENS9_8equal_toIvEEdEE10hipError_tPvRmT2_T3_T4_T5_mT6_T7_P12ihipStream_tbENKUlT_T0_E_clISt17integral_constantIbLb1EES10_IbLb0EEEEDaSW_SX_EUlSW_E_NS1_11comp_targetILNS1_3genE0ELNS1_11target_archE4294967295ELNS1_3gpuE0ELNS1_3repE0EEENS1_30default_config_static_selectorELNS0_4arch9wavefront6targetE1EEEvT1_.kd
    .uniform_work_group_size: 1
    .uses_dynamic_stack: false
    .vgpr_count:     0
    .vgpr_spill_count: 0
    .wavefront_size: 64
  - .agpr_count:     0
    .args:
      - .offset:         0
        .size:           136
        .value_kind:     by_value
    .group_segment_fixed_size: 0
    .kernarg_segment_align: 8
    .kernarg_segment_size: 136
    .language:       OpenCL C
    .language_version:
      - 2
      - 0
    .max_flat_workgroup_size: 256
    .name:           _ZN7rocprim17ROCPRIM_400000_NS6detail17trampoline_kernelINS0_14default_configENS1_27scan_by_key_config_selectorIidEEZZNS1_16scan_by_key_implILNS1_25lookback_scan_determinismE0ELb1ES3_N6thrust23THRUST_200600_302600_NS6detail15normal_iteratorINS9_10device_ptrIiEEEENSB_INSC_IdEEEESG_dNS9_4plusIvEENS9_8equal_toIvEEdEE10hipError_tPvRmT2_T3_T4_T5_mT6_T7_P12ihipStream_tbENKUlT_T0_E_clISt17integral_constantIbLb1EES10_IbLb0EEEEDaSW_SX_EUlSW_E_NS1_11comp_targetILNS1_3genE10ELNS1_11target_archE1201ELNS1_3gpuE5ELNS1_3repE0EEENS1_30default_config_static_selectorELNS0_4arch9wavefront6targetE1EEEvT1_
    .private_segment_fixed_size: 0
    .sgpr_count:     4
    .sgpr_spill_count: 0
    .symbol:         _ZN7rocprim17ROCPRIM_400000_NS6detail17trampoline_kernelINS0_14default_configENS1_27scan_by_key_config_selectorIidEEZZNS1_16scan_by_key_implILNS1_25lookback_scan_determinismE0ELb1ES3_N6thrust23THRUST_200600_302600_NS6detail15normal_iteratorINS9_10device_ptrIiEEEENSB_INSC_IdEEEESG_dNS9_4plusIvEENS9_8equal_toIvEEdEE10hipError_tPvRmT2_T3_T4_T5_mT6_T7_P12ihipStream_tbENKUlT_T0_E_clISt17integral_constantIbLb1EES10_IbLb0EEEEDaSW_SX_EUlSW_E_NS1_11comp_targetILNS1_3genE10ELNS1_11target_archE1201ELNS1_3gpuE5ELNS1_3repE0EEENS1_30default_config_static_selectorELNS0_4arch9wavefront6targetE1EEEvT1_.kd
    .uniform_work_group_size: 1
    .uses_dynamic_stack: false
    .vgpr_count:     0
    .vgpr_spill_count: 0
    .wavefront_size: 64
  - .agpr_count:     0
    .args:
      - .offset:         0
        .size:           136
        .value_kind:     by_value
    .group_segment_fixed_size: 0
    .kernarg_segment_align: 8
    .kernarg_segment_size: 136
    .language:       OpenCL C
    .language_version:
      - 2
      - 0
    .max_flat_workgroup_size: 256
    .name:           _ZN7rocprim17ROCPRIM_400000_NS6detail17trampoline_kernelINS0_14default_configENS1_27scan_by_key_config_selectorIidEEZZNS1_16scan_by_key_implILNS1_25lookback_scan_determinismE0ELb1ES3_N6thrust23THRUST_200600_302600_NS6detail15normal_iteratorINS9_10device_ptrIiEEEENSB_INSC_IdEEEESG_dNS9_4plusIvEENS9_8equal_toIvEEdEE10hipError_tPvRmT2_T3_T4_T5_mT6_T7_P12ihipStream_tbENKUlT_T0_E_clISt17integral_constantIbLb1EES10_IbLb0EEEEDaSW_SX_EUlSW_E_NS1_11comp_targetILNS1_3genE5ELNS1_11target_archE942ELNS1_3gpuE9ELNS1_3repE0EEENS1_30default_config_static_selectorELNS0_4arch9wavefront6targetE1EEEvT1_
    .private_segment_fixed_size: 0
    .sgpr_count:     4
    .sgpr_spill_count: 0
    .symbol:         _ZN7rocprim17ROCPRIM_400000_NS6detail17trampoline_kernelINS0_14default_configENS1_27scan_by_key_config_selectorIidEEZZNS1_16scan_by_key_implILNS1_25lookback_scan_determinismE0ELb1ES3_N6thrust23THRUST_200600_302600_NS6detail15normal_iteratorINS9_10device_ptrIiEEEENSB_INSC_IdEEEESG_dNS9_4plusIvEENS9_8equal_toIvEEdEE10hipError_tPvRmT2_T3_T4_T5_mT6_T7_P12ihipStream_tbENKUlT_T0_E_clISt17integral_constantIbLb1EES10_IbLb0EEEEDaSW_SX_EUlSW_E_NS1_11comp_targetILNS1_3genE5ELNS1_11target_archE942ELNS1_3gpuE9ELNS1_3repE0EEENS1_30default_config_static_selectorELNS0_4arch9wavefront6targetE1EEEvT1_.kd
    .uniform_work_group_size: 1
    .uses_dynamic_stack: false
    .vgpr_count:     0
    .vgpr_spill_count: 0
    .wavefront_size: 64
  - .agpr_count:     0
    .args:
      - .offset:         0
        .size:           136
        .value_kind:     by_value
    .group_segment_fixed_size: 10752
    .kernarg_segment_align: 8
    .kernarg_segment_size: 136
    .language:       OpenCL C
    .language_version:
      - 2
      - 0
    .max_flat_workgroup_size: 64
    .name:           _ZN7rocprim17ROCPRIM_400000_NS6detail17trampoline_kernelINS0_14default_configENS1_27scan_by_key_config_selectorIidEEZZNS1_16scan_by_key_implILNS1_25lookback_scan_determinismE0ELb1ES3_N6thrust23THRUST_200600_302600_NS6detail15normal_iteratorINS9_10device_ptrIiEEEENSB_INSC_IdEEEESG_dNS9_4plusIvEENS9_8equal_toIvEEdEE10hipError_tPvRmT2_T3_T4_T5_mT6_T7_P12ihipStream_tbENKUlT_T0_E_clISt17integral_constantIbLb1EES10_IbLb0EEEEDaSW_SX_EUlSW_E_NS1_11comp_targetILNS1_3genE4ELNS1_11target_archE910ELNS1_3gpuE8ELNS1_3repE0EEENS1_30default_config_static_selectorELNS0_4arch9wavefront6targetE1EEEvT1_
    .private_segment_fixed_size: 0
    .sgpr_count:     81
    .sgpr_spill_count: 0
    .symbol:         _ZN7rocprim17ROCPRIM_400000_NS6detail17trampoline_kernelINS0_14default_configENS1_27scan_by_key_config_selectorIidEEZZNS1_16scan_by_key_implILNS1_25lookback_scan_determinismE0ELb1ES3_N6thrust23THRUST_200600_302600_NS6detail15normal_iteratorINS9_10device_ptrIiEEEENSB_INSC_IdEEEESG_dNS9_4plusIvEENS9_8equal_toIvEEdEE10hipError_tPvRmT2_T3_T4_T5_mT6_T7_P12ihipStream_tbENKUlT_T0_E_clISt17integral_constantIbLb1EES10_IbLb0EEEEDaSW_SX_EUlSW_E_NS1_11comp_targetILNS1_3genE4ELNS1_11target_archE910ELNS1_3gpuE8ELNS1_3repE0EEENS1_30default_config_static_selectorELNS0_4arch9wavefront6targetE1EEEvT1_.kd
    .uniform_work_group_size: 1
    .uses_dynamic_stack: false
    .vgpr_count:     130
    .vgpr_spill_count: 0
    .wavefront_size: 64
  - .agpr_count:     0
    .args:
      - .offset:         0
        .size:           136
        .value_kind:     by_value
    .group_segment_fixed_size: 0
    .kernarg_segment_align: 8
    .kernarg_segment_size: 136
    .language:       OpenCL C
    .language_version:
      - 2
      - 0
    .max_flat_workgroup_size: 128
    .name:           _ZN7rocprim17ROCPRIM_400000_NS6detail17trampoline_kernelINS0_14default_configENS1_27scan_by_key_config_selectorIidEEZZNS1_16scan_by_key_implILNS1_25lookback_scan_determinismE0ELb1ES3_N6thrust23THRUST_200600_302600_NS6detail15normal_iteratorINS9_10device_ptrIiEEEENSB_INSC_IdEEEESG_dNS9_4plusIvEENS9_8equal_toIvEEdEE10hipError_tPvRmT2_T3_T4_T5_mT6_T7_P12ihipStream_tbENKUlT_T0_E_clISt17integral_constantIbLb1EES10_IbLb0EEEEDaSW_SX_EUlSW_E_NS1_11comp_targetILNS1_3genE3ELNS1_11target_archE908ELNS1_3gpuE7ELNS1_3repE0EEENS1_30default_config_static_selectorELNS0_4arch9wavefront6targetE1EEEvT1_
    .private_segment_fixed_size: 0
    .sgpr_count:     4
    .sgpr_spill_count: 0
    .symbol:         _ZN7rocprim17ROCPRIM_400000_NS6detail17trampoline_kernelINS0_14default_configENS1_27scan_by_key_config_selectorIidEEZZNS1_16scan_by_key_implILNS1_25lookback_scan_determinismE0ELb1ES3_N6thrust23THRUST_200600_302600_NS6detail15normal_iteratorINS9_10device_ptrIiEEEENSB_INSC_IdEEEESG_dNS9_4plusIvEENS9_8equal_toIvEEdEE10hipError_tPvRmT2_T3_T4_T5_mT6_T7_P12ihipStream_tbENKUlT_T0_E_clISt17integral_constantIbLb1EES10_IbLb0EEEEDaSW_SX_EUlSW_E_NS1_11comp_targetILNS1_3genE3ELNS1_11target_archE908ELNS1_3gpuE7ELNS1_3repE0EEENS1_30default_config_static_selectorELNS0_4arch9wavefront6targetE1EEEvT1_.kd
    .uniform_work_group_size: 1
    .uses_dynamic_stack: false
    .vgpr_count:     0
    .vgpr_spill_count: 0
    .wavefront_size: 64
  - .agpr_count:     0
    .args:
      - .offset:         0
        .size:           136
        .value_kind:     by_value
    .group_segment_fixed_size: 0
    .kernarg_segment_align: 8
    .kernarg_segment_size: 136
    .language:       OpenCL C
    .language_version:
      - 2
      - 0
    .max_flat_workgroup_size: 64
    .name:           _ZN7rocprim17ROCPRIM_400000_NS6detail17trampoline_kernelINS0_14default_configENS1_27scan_by_key_config_selectorIidEEZZNS1_16scan_by_key_implILNS1_25lookback_scan_determinismE0ELb1ES3_N6thrust23THRUST_200600_302600_NS6detail15normal_iteratorINS9_10device_ptrIiEEEENSB_INSC_IdEEEESG_dNS9_4plusIvEENS9_8equal_toIvEEdEE10hipError_tPvRmT2_T3_T4_T5_mT6_T7_P12ihipStream_tbENKUlT_T0_E_clISt17integral_constantIbLb1EES10_IbLb0EEEEDaSW_SX_EUlSW_E_NS1_11comp_targetILNS1_3genE2ELNS1_11target_archE906ELNS1_3gpuE6ELNS1_3repE0EEENS1_30default_config_static_selectorELNS0_4arch9wavefront6targetE1EEEvT1_
    .private_segment_fixed_size: 0
    .sgpr_count:     4
    .sgpr_spill_count: 0
    .symbol:         _ZN7rocprim17ROCPRIM_400000_NS6detail17trampoline_kernelINS0_14default_configENS1_27scan_by_key_config_selectorIidEEZZNS1_16scan_by_key_implILNS1_25lookback_scan_determinismE0ELb1ES3_N6thrust23THRUST_200600_302600_NS6detail15normal_iteratorINS9_10device_ptrIiEEEENSB_INSC_IdEEEESG_dNS9_4plusIvEENS9_8equal_toIvEEdEE10hipError_tPvRmT2_T3_T4_T5_mT6_T7_P12ihipStream_tbENKUlT_T0_E_clISt17integral_constantIbLb1EES10_IbLb0EEEEDaSW_SX_EUlSW_E_NS1_11comp_targetILNS1_3genE2ELNS1_11target_archE906ELNS1_3gpuE6ELNS1_3repE0EEENS1_30default_config_static_selectorELNS0_4arch9wavefront6targetE1EEEvT1_.kd
    .uniform_work_group_size: 1
    .uses_dynamic_stack: false
    .vgpr_count:     0
    .vgpr_spill_count: 0
    .wavefront_size: 64
  - .agpr_count:     0
    .args:
      - .offset:         0
        .size:           136
        .value_kind:     by_value
    .group_segment_fixed_size: 0
    .kernarg_segment_align: 8
    .kernarg_segment_size: 136
    .language:       OpenCL C
    .language_version:
      - 2
      - 0
    .max_flat_workgroup_size: 256
    .name:           _ZN7rocprim17ROCPRIM_400000_NS6detail17trampoline_kernelINS0_14default_configENS1_27scan_by_key_config_selectorIidEEZZNS1_16scan_by_key_implILNS1_25lookback_scan_determinismE0ELb1ES3_N6thrust23THRUST_200600_302600_NS6detail15normal_iteratorINS9_10device_ptrIiEEEENSB_INSC_IdEEEESG_dNS9_4plusIvEENS9_8equal_toIvEEdEE10hipError_tPvRmT2_T3_T4_T5_mT6_T7_P12ihipStream_tbENKUlT_T0_E_clISt17integral_constantIbLb1EES10_IbLb0EEEEDaSW_SX_EUlSW_E_NS1_11comp_targetILNS1_3genE10ELNS1_11target_archE1200ELNS1_3gpuE4ELNS1_3repE0EEENS1_30default_config_static_selectorELNS0_4arch9wavefront6targetE1EEEvT1_
    .private_segment_fixed_size: 0
    .sgpr_count:     4
    .sgpr_spill_count: 0
    .symbol:         _ZN7rocprim17ROCPRIM_400000_NS6detail17trampoline_kernelINS0_14default_configENS1_27scan_by_key_config_selectorIidEEZZNS1_16scan_by_key_implILNS1_25lookback_scan_determinismE0ELb1ES3_N6thrust23THRUST_200600_302600_NS6detail15normal_iteratorINS9_10device_ptrIiEEEENSB_INSC_IdEEEESG_dNS9_4plusIvEENS9_8equal_toIvEEdEE10hipError_tPvRmT2_T3_T4_T5_mT6_T7_P12ihipStream_tbENKUlT_T0_E_clISt17integral_constantIbLb1EES10_IbLb0EEEEDaSW_SX_EUlSW_E_NS1_11comp_targetILNS1_3genE10ELNS1_11target_archE1200ELNS1_3gpuE4ELNS1_3repE0EEENS1_30default_config_static_selectorELNS0_4arch9wavefront6targetE1EEEvT1_.kd
    .uniform_work_group_size: 1
    .uses_dynamic_stack: false
    .vgpr_count:     0
    .vgpr_spill_count: 0
    .wavefront_size: 64
  - .agpr_count:     0
    .args:
      - .offset:         0
        .size:           136
        .value_kind:     by_value
    .group_segment_fixed_size: 0
    .kernarg_segment_align: 8
    .kernarg_segment_size: 136
    .language:       OpenCL C
    .language_version:
      - 2
      - 0
    .max_flat_workgroup_size: 256
    .name:           _ZN7rocprim17ROCPRIM_400000_NS6detail17trampoline_kernelINS0_14default_configENS1_27scan_by_key_config_selectorIidEEZZNS1_16scan_by_key_implILNS1_25lookback_scan_determinismE0ELb1ES3_N6thrust23THRUST_200600_302600_NS6detail15normal_iteratorINS9_10device_ptrIiEEEENSB_INSC_IdEEEESG_dNS9_4plusIvEENS9_8equal_toIvEEdEE10hipError_tPvRmT2_T3_T4_T5_mT6_T7_P12ihipStream_tbENKUlT_T0_E_clISt17integral_constantIbLb1EES10_IbLb0EEEEDaSW_SX_EUlSW_E_NS1_11comp_targetILNS1_3genE9ELNS1_11target_archE1100ELNS1_3gpuE3ELNS1_3repE0EEENS1_30default_config_static_selectorELNS0_4arch9wavefront6targetE1EEEvT1_
    .private_segment_fixed_size: 0
    .sgpr_count:     4
    .sgpr_spill_count: 0
    .symbol:         _ZN7rocprim17ROCPRIM_400000_NS6detail17trampoline_kernelINS0_14default_configENS1_27scan_by_key_config_selectorIidEEZZNS1_16scan_by_key_implILNS1_25lookback_scan_determinismE0ELb1ES3_N6thrust23THRUST_200600_302600_NS6detail15normal_iteratorINS9_10device_ptrIiEEEENSB_INSC_IdEEEESG_dNS9_4plusIvEENS9_8equal_toIvEEdEE10hipError_tPvRmT2_T3_T4_T5_mT6_T7_P12ihipStream_tbENKUlT_T0_E_clISt17integral_constantIbLb1EES10_IbLb0EEEEDaSW_SX_EUlSW_E_NS1_11comp_targetILNS1_3genE9ELNS1_11target_archE1100ELNS1_3gpuE3ELNS1_3repE0EEENS1_30default_config_static_selectorELNS0_4arch9wavefront6targetE1EEEvT1_.kd
    .uniform_work_group_size: 1
    .uses_dynamic_stack: false
    .vgpr_count:     0
    .vgpr_spill_count: 0
    .wavefront_size: 64
  - .agpr_count:     0
    .args:
      - .offset:         0
        .size:           136
        .value_kind:     by_value
    .group_segment_fixed_size: 0
    .kernarg_segment_align: 8
    .kernarg_segment_size: 136
    .language:       OpenCL C
    .language_version:
      - 2
      - 0
    .max_flat_workgroup_size: 256
    .name:           _ZN7rocprim17ROCPRIM_400000_NS6detail17trampoline_kernelINS0_14default_configENS1_27scan_by_key_config_selectorIidEEZZNS1_16scan_by_key_implILNS1_25lookback_scan_determinismE0ELb1ES3_N6thrust23THRUST_200600_302600_NS6detail15normal_iteratorINS9_10device_ptrIiEEEENSB_INSC_IdEEEESG_dNS9_4plusIvEENS9_8equal_toIvEEdEE10hipError_tPvRmT2_T3_T4_T5_mT6_T7_P12ihipStream_tbENKUlT_T0_E_clISt17integral_constantIbLb1EES10_IbLb0EEEEDaSW_SX_EUlSW_E_NS1_11comp_targetILNS1_3genE8ELNS1_11target_archE1030ELNS1_3gpuE2ELNS1_3repE0EEENS1_30default_config_static_selectorELNS0_4arch9wavefront6targetE1EEEvT1_
    .private_segment_fixed_size: 0
    .sgpr_count:     4
    .sgpr_spill_count: 0
    .symbol:         _ZN7rocprim17ROCPRIM_400000_NS6detail17trampoline_kernelINS0_14default_configENS1_27scan_by_key_config_selectorIidEEZZNS1_16scan_by_key_implILNS1_25lookback_scan_determinismE0ELb1ES3_N6thrust23THRUST_200600_302600_NS6detail15normal_iteratorINS9_10device_ptrIiEEEENSB_INSC_IdEEEESG_dNS9_4plusIvEENS9_8equal_toIvEEdEE10hipError_tPvRmT2_T3_T4_T5_mT6_T7_P12ihipStream_tbENKUlT_T0_E_clISt17integral_constantIbLb1EES10_IbLb0EEEEDaSW_SX_EUlSW_E_NS1_11comp_targetILNS1_3genE8ELNS1_11target_archE1030ELNS1_3gpuE2ELNS1_3repE0EEENS1_30default_config_static_selectorELNS0_4arch9wavefront6targetE1EEEvT1_.kd
    .uniform_work_group_size: 1
    .uses_dynamic_stack: false
    .vgpr_count:     0
    .vgpr_spill_count: 0
    .wavefront_size: 64
  - .agpr_count:     0
    .args:
      - .offset:         0
        .size:           136
        .value_kind:     by_value
    .group_segment_fixed_size: 0
    .kernarg_segment_align: 8
    .kernarg_segment_size: 136
    .language:       OpenCL C
    .language_version:
      - 2
      - 0
    .max_flat_workgroup_size: 128
    .name:           _ZN7rocprim17ROCPRIM_400000_NS6detail17trampoline_kernelINS0_14default_configENS1_27scan_by_key_config_selectorIidEEZZNS1_16scan_by_key_implILNS1_25lookback_scan_determinismE0ELb1ES3_N6thrust23THRUST_200600_302600_NS6detail15normal_iteratorINS9_10device_ptrIiEEEENSB_INSC_IdEEEESG_dNS9_4plusIvEENS9_8equal_toIvEEdEE10hipError_tPvRmT2_T3_T4_T5_mT6_T7_P12ihipStream_tbENKUlT_T0_E_clISt17integral_constantIbLb0EES10_IbLb1EEEEDaSW_SX_EUlSW_E_NS1_11comp_targetILNS1_3genE0ELNS1_11target_archE4294967295ELNS1_3gpuE0ELNS1_3repE0EEENS1_30default_config_static_selectorELNS0_4arch9wavefront6targetE1EEEvT1_
    .private_segment_fixed_size: 0
    .sgpr_count:     4
    .sgpr_spill_count: 0
    .symbol:         _ZN7rocprim17ROCPRIM_400000_NS6detail17trampoline_kernelINS0_14default_configENS1_27scan_by_key_config_selectorIidEEZZNS1_16scan_by_key_implILNS1_25lookback_scan_determinismE0ELb1ES3_N6thrust23THRUST_200600_302600_NS6detail15normal_iteratorINS9_10device_ptrIiEEEENSB_INSC_IdEEEESG_dNS9_4plusIvEENS9_8equal_toIvEEdEE10hipError_tPvRmT2_T3_T4_T5_mT6_T7_P12ihipStream_tbENKUlT_T0_E_clISt17integral_constantIbLb0EES10_IbLb1EEEEDaSW_SX_EUlSW_E_NS1_11comp_targetILNS1_3genE0ELNS1_11target_archE4294967295ELNS1_3gpuE0ELNS1_3repE0EEENS1_30default_config_static_selectorELNS0_4arch9wavefront6targetE1EEEvT1_.kd
    .uniform_work_group_size: 1
    .uses_dynamic_stack: false
    .vgpr_count:     0
    .vgpr_spill_count: 0
    .wavefront_size: 64
  - .agpr_count:     0
    .args:
      - .offset:         0
        .size:           136
        .value_kind:     by_value
    .group_segment_fixed_size: 0
    .kernarg_segment_align: 8
    .kernarg_segment_size: 136
    .language:       OpenCL C
    .language_version:
      - 2
      - 0
    .max_flat_workgroup_size: 256
    .name:           _ZN7rocprim17ROCPRIM_400000_NS6detail17trampoline_kernelINS0_14default_configENS1_27scan_by_key_config_selectorIidEEZZNS1_16scan_by_key_implILNS1_25lookback_scan_determinismE0ELb1ES3_N6thrust23THRUST_200600_302600_NS6detail15normal_iteratorINS9_10device_ptrIiEEEENSB_INSC_IdEEEESG_dNS9_4plusIvEENS9_8equal_toIvEEdEE10hipError_tPvRmT2_T3_T4_T5_mT6_T7_P12ihipStream_tbENKUlT_T0_E_clISt17integral_constantIbLb0EES10_IbLb1EEEEDaSW_SX_EUlSW_E_NS1_11comp_targetILNS1_3genE10ELNS1_11target_archE1201ELNS1_3gpuE5ELNS1_3repE0EEENS1_30default_config_static_selectorELNS0_4arch9wavefront6targetE1EEEvT1_
    .private_segment_fixed_size: 0
    .sgpr_count:     4
    .sgpr_spill_count: 0
    .symbol:         _ZN7rocprim17ROCPRIM_400000_NS6detail17trampoline_kernelINS0_14default_configENS1_27scan_by_key_config_selectorIidEEZZNS1_16scan_by_key_implILNS1_25lookback_scan_determinismE0ELb1ES3_N6thrust23THRUST_200600_302600_NS6detail15normal_iteratorINS9_10device_ptrIiEEEENSB_INSC_IdEEEESG_dNS9_4plusIvEENS9_8equal_toIvEEdEE10hipError_tPvRmT2_T3_T4_T5_mT6_T7_P12ihipStream_tbENKUlT_T0_E_clISt17integral_constantIbLb0EES10_IbLb1EEEEDaSW_SX_EUlSW_E_NS1_11comp_targetILNS1_3genE10ELNS1_11target_archE1201ELNS1_3gpuE5ELNS1_3repE0EEENS1_30default_config_static_selectorELNS0_4arch9wavefront6targetE1EEEvT1_.kd
    .uniform_work_group_size: 1
    .uses_dynamic_stack: false
    .vgpr_count:     0
    .vgpr_spill_count: 0
    .wavefront_size: 64
  - .agpr_count:     0
    .args:
      - .offset:         0
        .size:           136
        .value_kind:     by_value
    .group_segment_fixed_size: 0
    .kernarg_segment_align: 8
    .kernarg_segment_size: 136
    .language:       OpenCL C
    .language_version:
      - 2
      - 0
    .max_flat_workgroup_size: 256
    .name:           _ZN7rocprim17ROCPRIM_400000_NS6detail17trampoline_kernelINS0_14default_configENS1_27scan_by_key_config_selectorIidEEZZNS1_16scan_by_key_implILNS1_25lookback_scan_determinismE0ELb1ES3_N6thrust23THRUST_200600_302600_NS6detail15normal_iteratorINS9_10device_ptrIiEEEENSB_INSC_IdEEEESG_dNS9_4plusIvEENS9_8equal_toIvEEdEE10hipError_tPvRmT2_T3_T4_T5_mT6_T7_P12ihipStream_tbENKUlT_T0_E_clISt17integral_constantIbLb0EES10_IbLb1EEEEDaSW_SX_EUlSW_E_NS1_11comp_targetILNS1_3genE5ELNS1_11target_archE942ELNS1_3gpuE9ELNS1_3repE0EEENS1_30default_config_static_selectorELNS0_4arch9wavefront6targetE1EEEvT1_
    .private_segment_fixed_size: 0
    .sgpr_count:     4
    .sgpr_spill_count: 0
    .symbol:         _ZN7rocprim17ROCPRIM_400000_NS6detail17trampoline_kernelINS0_14default_configENS1_27scan_by_key_config_selectorIidEEZZNS1_16scan_by_key_implILNS1_25lookback_scan_determinismE0ELb1ES3_N6thrust23THRUST_200600_302600_NS6detail15normal_iteratorINS9_10device_ptrIiEEEENSB_INSC_IdEEEESG_dNS9_4plusIvEENS9_8equal_toIvEEdEE10hipError_tPvRmT2_T3_T4_T5_mT6_T7_P12ihipStream_tbENKUlT_T0_E_clISt17integral_constantIbLb0EES10_IbLb1EEEEDaSW_SX_EUlSW_E_NS1_11comp_targetILNS1_3genE5ELNS1_11target_archE942ELNS1_3gpuE9ELNS1_3repE0EEENS1_30default_config_static_selectorELNS0_4arch9wavefront6targetE1EEEvT1_.kd
    .uniform_work_group_size: 1
    .uses_dynamic_stack: false
    .vgpr_count:     0
    .vgpr_spill_count: 0
    .wavefront_size: 64
  - .agpr_count:     0
    .args:
      - .offset:         0
        .size:           136
        .value_kind:     by_value
    .group_segment_fixed_size: 10752
    .kernarg_segment_align: 8
    .kernarg_segment_size: 136
    .language:       OpenCL C
    .language_version:
      - 2
      - 0
    .max_flat_workgroup_size: 64
    .name:           _ZN7rocprim17ROCPRIM_400000_NS6detail17trampoline_kernelINS0_14default_configENS1_27scan_by_key_config_selectorIidEEZZNS1_16scan_by_key_implILNS1_25lookback_scan_determinismE0ELb1ES3_N6thrust23THRUST_200600_302600_NS6detail15normal_iteratorINS9_10device_ptrIiEEEENSB_INSC_IdEEEESG_dNS9_4plusIvEENS9_8equal_toIvEEdEE10hipError_tPvRmT2_T3_T4_T5_mT6_T7_P12ihipStream_tbENKUlT_T0_E_clISt17integral_constantIbLb0EES10_IbLb1EEEEDaSW_SX_EUlSW_E_NS1_11comp_targetILNS1_3genE4ELNS1_11target_archE910ELNS1_3gpuE8ELNS1_3repE0EEENS1_30default_config_static_selectorELNS0_4arch9wavefront6targetE1EEEvT1_
    .private_segment_fixed_size: 0
    .sgpr_count:     77
    .sgpr_spill_count: 0
    .symbol:         _ZN7rocprim17ROCPRIM_400000_NS6detail17trampoline_kernelINS0_14default_configENS1_27scan_by_key_config_selectorIidEEZZNS1_16scan_by_key_implILNS1_25lookback_scan_determinismE0ELb1ES3_N6thrust23THRUST_200600_302600_NS6detail15normal_iteratorINS9_10device_ptrIiEEEENSB_INSC_IdEEEESG_dNS9_4plusIvEENS9_8equal_toIvEEdEE10hipError_tPvRmT2_T3_T4_T5_mT6_T7_P12ihipStream_tbENKUlT_T0_E_clISt17integral_constantIbLb0EES10_IbLb1EEEEDaSW_SX_EUlSW_E_NS1_11comp_targetILNS1_3genE4ELNS1_11target_archE910ELNS1_3gpuE8ELNS1_3repE0EEENS1_30default_config_static_selectorELNS0_4arch9wavefront6targetE1EEEvT1_.kd
    .uniform_work_group_size: 1
    .uses_dynamic_stack: false
    .vgpr_count:     132
    .vgpr_spill_count: 0
    .wavefront_size: 64
  - .agpr_count:     0
    .args:
      - .offset:         0
        .size:           136
        .value_kind:     by_value
    .group_segment_fixed_size: 0
    .kernarg_segment_align: 8
    .kernarg_segment_size: 136
    .language:       OpenCL C
    .language_version:
      - 2
      - 0
    .max_flat_workgroup_size: 128
    .name:           _ZN7rocprim17ROCPRIM_400000_NS6detail17trampoline_kernelINS0_14default_configENS1_27scan_by_key_config_selectorIidEEZZNS1_16scan_by_key_implILNS1_25lookback_scan_determinismE0ELb1ES3_N6thrust23THRUST_200600_302600_NS6detail15normal_iteratorINS9_10device_ptrIiEEEENSB_INSC_IdEEEESG_dNS9_4plusIvEENS9_8equal_toIvEEdEE10hipError_tPvRmT2_T3_T4_T5_mT6_T7_P12ihipStream_tbENKUlT_T0_E_clISt17integral_constantIbLb0EES10_IbLb1EEEEDaSW_SX_EUlSW_E_NS1_11comp_targetILNS1_3genE3ELNS1_11target_archE908ELNS1_3gpuE7ELNS1_3repE0EEENS1_30default_config_static_selectorELNS0_4arch9wavefront6targetE1EEEvT1_
    .private_segment_fixed_size: 0
    .sgpr_count:     4
    .sgpr_spill_count: 0
    .symbol:         _ZN7rocprim17ROCPRIM_400000_NS6detail17trampoline_kernelINS0_14default_configENS1_27scan_by_key_config_selectorIidEEZZNS1_16scan_by_key_implILNS1_25lookback_scan_determinismE0ELb1ES3_N6thrust23THRUST_200600_302600_NS6detail15normal_iteratorINS9_10device_ptrIiEEEENSB_INSC_IdEEEESG_dNS9_4plusIvEENS9_8equal_toIvEEdEE10hipError_tPvRmT2_T3_T4_T5_mT6_T7_P12ihipStream_tbENKUlT_T0_E_clISt17integral_constantIbLb0EES10_IbLb1EEEEDaSW_SX_EUlSW_E_NS1_11comp_targetILNS1_3genE3ELNS1_11target_archE908ELNS1_3gpuE7ELNS1_3repE0EEENS1_30default_config_static_selectorELNS0_4arch9wavefront6targetE1EEEvT1_.kd
    .uniform_work_group_size: 1
    .uses_dynamic_stack: false
    .vgpr_count:     0
    .vgpr_spill_count: 0
    .wavefront_size: 64
  - .agpr_count:     0
    .args:
      - .offset:         0
        .size:           136
        .value_kind:     by_value
    .group_segment_fixed_size: 0
    .kernarg_segment_align: 8
    .kernarg_segment_size: 136
    .language:       OpenCL C
    .language_version:
      - 2
      - 0
    .max_flat_workgroup_size: 64
    .name:           _ZN7rocprim17ROCPRIM_400000_NS6detail17trampoline_kernelINS0_14default_configENS1_27scan_by_key_config_selectorIidEEZZNS1_16scan_by_key_implILNS1_25lookback_scan_determinismE0ELb1ES3_N6thrust23THRUST_200600_302600_NS6detail15normal_iteratorINS9_10device_ptrIiEEEENSB_INSC_IdEEEESG_dNS9_4plusIvEENS9_8equal_toIvEEdEE10hipError_tPvRmT2_T3_T4_T5_mT6_T7_P12ihipStream_tbENKUlT_T0_E_clISt17integral_constantIbLb0EES10_IbLb1EEEEDaSW_SX_EUlSW_E_NS1_11comp_targetILNS1_3genE2ELNS1_11target_archE906ELNS1_3gpuE6ELNS1_3repE0EEENS1_30default_config_static_selectorELNS0_4arch9wavefront6targetE1EEEvT1_
    .private_segment_fixed_size: 0
    .sgpr_count:     4
    .sgpr_spill_count: 0
    .symbol:         _ZN7rocprim17ROCPRIM_400000_NS6detail17trampoline_kernelINS0_14default_configENS1_27scan_by_key_config_selectorIidEEZZNS1_16scan_by_key_implILNS1_25lookback_scan_determinismE0ELb1ES3_N6thrust23THRUST_200600_302600_NS6detail15normal_iteratorINS9_10device_ptrIiEEEENSB_INSC_IdEEEESG_dNS9_4plusIvEENS9_8equal_toIvEEdEE10hipError_tPvRmT2_T3_T4_T5_mT6_T7_P12ihipStream_tbENKUlT_T0_E_clISt17integral_constantIbLb0EES10_IbLb1EEEEDaSW_SX_EUlSW_E_NS1_11comp_targetILNS1_3genE2ELNS1_11target_archE906ELNS1_3gpuE6ELNS1_3repE0EEENS1_30default_config_static_selectorELNS0_4arch9wavefront6targetE1EEEvT1_.kd
    .uniform_work_group_size: 1
    .uses_dynamic_stack: false
    .vgpr_count:     0
    .vgpr_spill_count: 0
    .wavefront_size: 64
  - .agpr_count:     0
    .args:
      - .offset:         0
        .size:           136
        .value_kind:     by_value
    .group_segment_fixed_size: 0
    .kernarg_segment_align: 8
    .kernarg_segment_size: 136
    .language:       OpenCL C
    .language_version:
      - 2
      - 0
    .max_flat_workgroup_size: 256
    .name:           _ZN7rocprim17ROCPRIM_400000_NS6detail17trampoline_kernelINS0_14default_configENS1_27scan_by_key_config_selectorIidEEZZNS1_16scan_by_key_implILNS1_25lookback_scan_determinismE0ELb1ES3_N6thrust23THRUST_200600_302600_NS6detail15normal_iteratorINS9_10device_ptrIiEEEENSB_INSC_IdEEEESG_dNS9_4plusIvEENS9_8equal_toIvEEdEE10hipError_tPvRmT2_T3_T4_T5_mT6_T7_P12ihipStream_tbENKUlT_T0_E_clISt17integral_constantIbLb0EES10_IbLb1EEEEDaSW_SX_EUlSW_E_NS1_11comp_targetILNS1_3genE10ELNS1_11target_archE1200ELNS1_3gpuE4ELNS1_3repE0EEENS1_30default_config_static_selectorELNS0_4arch9wavefront6targetE1EEEvT1_
    .private_segment_fixed_size: 0
    .sgpr_count:     4
    .sgpr_spill_count: 0
    .symbol:         _ZN7rocprim17ROCPRIM_400000_NS6detail17trampoline_kernelINS0_14default_configENS1_27scan_by_key_config_selectorIidEEZZNS1_16scan_by_key_implILNS1_25lookback_scan_determinismE0ELb1ES3_N6thrust23THRUST_200600_302600_NS6detail15normal_iteratorINS9_10device_ptrIiEEEENSB_INSC_IdEEEESG_dNS9_4plusIvEENS9_8equal_toIvEEdEE10hipError_tPvRmT2_T3_T4_T5_mT6_T7_P12ihipStream_tbENKUlT_T0_E_clISt17integral_constantIbLb0EES10_IbLb1EEEEDaSW_SX_EUlSW_E_NS1_11comp_targetILNS1_3genE10ELNS1_11target_archE1200ELNS1_3gpuE4ELNS1_3repE0EEENS1_30default_config_static_selectorELNS0_4arch9wavefront6targetE1EEEvT1_.kd
    .uniform_work_group_size: 1
    .uses_dynamic_stack: false
    .vgpr_count:     0
    .vgpr_spill_count: 0
    .wavefront_size: 64
  - .agpr_count:     0
    .args:
      - .offset:         0
        .size:           136
        .value_kind:     by_value
    .group_segment_fixed_size: 0
    .kernarg_segment_align: 8
    .kernarg_segment_size: 136
    .language:       OpenCL C
    .language_version:
      - 2
      - 0
    .max_flat_workgroup_size: 256
    .name:           _ZN7rocprim17ROCPRIM_400000_NS6detail17trampoline_kernelINS0_14default_configENS1_27scan_by_key_config_selectorIidEEZZNS1_16scan_by_key_implILNS1_25lookback_scan_determinismE0ELb1ES3_N6thrust23THRUST_200600_302600_NS6detail15normal_iteratorINS9_10device_ptrIiEEEENSB_INSC_IdEEEESG_dNS9_4plusIvEENS9_8equal_toIvEEdEE10hipError_tPvRmT2_T3_T4_T5_mT6_T7_P12ihipStream_tbENKUlT_T0_E_clISt17integral_constantIbLb0EES10_IbLb1EEEEDaSW_SX_EUlSW_E_NS1_11comp_targetILNS1_3genE9ELNS1_11target_archE1100ELNS1_3gpuE3ELNS1_3repE0EEENS1_30default_config_static_selectorELNS0_4arch9wavefront6targetE1EEEvT1_
    .private_segment_fixed_size: 0
    .sgpr_count:     4
    .sgpr_spill_count: 0
    .symbol:         _ZN7rocprim17ROCPRIM_400000_NS6detail17trampoline_kernelINS0_14default_configENS1_27scan_by_key_config_selectorIidEEZZNS1_16scan_by_key_implILNS1_25lookback_scan_determinismE0ELb1ES3_N6thrust23THRUST_200600_302600_NS6detail15normal_iteratorINS9_10device_ptrIiEEEENSB_INSC_IdEEEESG_dNS9_4plusIvEENS9_8equal_toIvEEdEE10hipError_tPvRmT2_T3_T4_T5_mT6_T7_P12ihipStream_tbENKUlT_T0_E_clISt17integral_constantIbLb0EES10_IbLb1EEEEDaSW_SX_EUlSW_E_NS1_11comp_targetILNS1_3genE9ELNS1_11target_archE1100ELNS1_3gpuE3ELNS1_3repE0EEENS1_30default_config_static_selectorELNS0_4arch9wavefront6targetE1EEEvT1_.kd
    .uniform_work_group_size: 1
    .uses_dynamic_stack: false
    .vgpr_count:     0
    .vgpr_spill_count: 0
    .wavefront_size: 64
  - .agpr_count:     0
    .args:
      - .offset:         0
        .size:           136
        .value_kind:     by_value
    .group_segment_fixed_size: 0
    .kernarg_segment_align: 8
    .kernarg_segment_size: 136
    .language:       OpenCL C
    .language_version:
      - 2
      - 0
    .max_flat_workgroup_size: 256
    .name:           _ZN7rocprim17ROCPRIM_400000_NS6detail17trampoline_kernelINS0_14default_configENS1_27scan_by_key_config_selectorIidEEZZNS1_16scan_by_key_implILNS1_25lookback_scan_determinismE0ELb1ES3_N6thrust23THRUST_200600_302600_NS6detail15normal_iteratorINS9_10device_ptrIiEEEENSB_INSC_IdEEEESG_dNS9_4plusIvEENS9_8equal_toIvEEdEE10hipError_tPvRmT2_T3_T4_T5_mT6_T7_P12ihipStream_tbENKUlT_T0_E_clISt17integral_constantIbLb0EES10_IbLb1EEEEDaSW_SX_EUlSW_E_NS1_11comp_targetILNS1_3genE8ELNS1_11target_archE1030ELNS1_3gpuE2ELNS1_3repE0EEENS1_30default_config_static_selectorELNS0_4arch9wavefront6targetE1EEEvT1_
    .private_segment_fixed_size: 0
    .sgpr_count:     4
    .sgpr_spill_count: 0
    .symbol:         _ZN7rocprim17ROCPRIM_400000_NS6detail17trampoline_kernelINS0_14default_configENS1_27scan_by_key_config_selectorIidEEZZNS1_16scan_by_key_implILNS1_25lookback_scan_determinismE0ELb1ES3_N6thrust23THRUST_200600_302600_NS6detail15normal_iteratorINS9_10device_ptrIiEEEENSB_INSC_IdEEEESG_dNS9_4plusIvEENS9_8equal_toIvEEdEE10hipError_tPvRmT2_T3_T4_T5_mT6_T7_P12ihipStream_tbENKUlT_T0_E_clISt17integral_constantIbLb0EES10_IbLb1EEEEDaSW_SX_EUlSW_E_NS1_11comp_targetILNS1_3genE8ELNS1_11target_archE1030ELNS1_3gpuE2ELNS1_3repE0EEENS1_30default_config_static_selectorELNS0_4arch9wavefront6targetE1EEEvT1_.kd
    .uniform_work_group_size: 1
    .uses_dynamic_stack: false
    .vgpr_count:     0
    .vgpr_spill_count: 0
    .wavefront_size: 64
  - .agpr_count:     0
    .args:
      - .offset:         0
        .size:           112
        .value_kind:     by_value
    .group_segment_fixed_size: 0
    .kernarg_segment_align: 8
    .kernarg_segment_size: 112
    .language:       OpenCL C
    .language_version:
      - 2
      - 0
    .max_flat_workgroup_size: 256
    .name:           _ZN7rocprim17ROCPRIM_400000_NS6detail17trampoline_kernelINS0_14default_configENS1_27scan_by_key_config_selectorIifEEZZNS1_16scan_by_key_implILNS1_25lookback_scan_determinismE0ELb1ES3_N6thrust23THRUST_200600_302600_NS6detail15normal_iteratorINS9_10device_ptrIiEEEENSB_INSC_IfEEEESG_fNS9_4plusIvEENS9_8equal_toIvEEfEE10hipError_tPvRmT2_T3_T4_T5_mT6_T7_P12ihipStream_tbENKUlT_T0_E_clISt17integral_constantIbLb0EES11_EEDaSW_SX_EUlSW_E_NS1_11comp_targetILNS1_3genE0ELNS1_11target_archE4294967295ELNS1_3gpuE0ELNS1_3repE0EEENS1_30default_config_static_selectorELNS0_4arch9wavefront6targetE1EEEvT1_
    .private_segment_fixed_size: 0
    .sgpr_count:     4
    .sgpr_spill_count: 0
    .symbol:         _ZN7rocprim17ROCPRIM_400000_NS6detail17trampoline_kernelINS0_14default_configENS1_27scan_by_key_config_selectorIifEEZZNS1_16scan_by_key_implILNS1_25lookback_scan_determinismE0ELb1ES3_N6thrust23THRUST_200600_302600_NS6detail15normal_iteratorINS9_10device_ptrIiEEEENSB_INSC_IfEEEESG_fNS9_4plusIvEENS9_8equal_toIvEEfEE10hipError_tPvRmT2_T3_T4_T5_mT6_T7_P12ihipStream_tbENKUlT_T0_E_clISt17integral_constantIbLb0EES11_EEDaSW_SX_EUlSW_E_NS1_11comp_targetILNS1_3genE0ELNS1_11target_archE4294967295ELNS1_3gpuE0ELNS1_3repE0EEENS1_30default_config_static_selectorELNS0_4arch9wavefront6targetE1EEEvT1_.kd
    .uniform_work_group_size: 1
    .uses_dynamic_stack: false
    .vgpr_count:     0
    .vgpr_spill_count: 0
    .wavefront_size: 64
  - .agpr_count:     0
    .args:
      - .offset:         0
        .size:           112
        .value_kind:     by_value
    .group_segment_fixed_size: 0
    .kernarg_segment_align: 8
    .kernarg_segment_size: 112
    .language:       OpenCL C
    .language_version:
      - 2
      - 0
    .max_flat_workgroup_size: 256
    .name:           _ZN7rocprim17ROCPRIM_400000_NS6detail17trampoline_kernelINS0_14default_configENS1_27scan_by_key_config_selectorIifEEZZNS1_16scan_by_key_implILNS1_25lookback_scan_determinismE0ELb1ES3_N6thrust23THRUST_200600_302600_NS6detail15normal_iteratorINS9_10device_ptrIiEEEENSB_INSC_IfEEEESG_fNS9_4plusIvEENS9_8equal_toIvEEfEE10hipError_tPvRmT2_T3_T4_T5_mT6_T7_P12ihipStream_tbENKUlT_T0_E_clISt17integral_constantIbLb0EES11_EEDaSW_SX_EUlSW_E_NS1_11comp_targetILNS1_3genE10ELNS1_11target_archE1201ELNS1_3gpuE5ELNS1_3repE0EEENS1_30default_config_static_selectorELNS0_4arch9wavefront6targetE1EEEvT1_
    .private_segment_fixed_size: 0
    .sgpr_count:     4
    .sgpr_spill_count: 0
    .symbol:         _ZN7rocprim17ROCPRIM_400000_NS6detail17trampoline_kernelINS0_14default_configENS1_27scan_by_key_config_selectorIifEEZZNS1_16scan_by_key_implILNS1_25lookback_scan_determinismE0ELb1ES3_N6thrust23THRUST_200600_302600_NS6detail15normal_iteratorINS9_10device_ptrIiEEEENSB_INSC_IfEEEESG_fNS9_4plusIvEENS9_8equal_toIvEEfEE10hipError_tPvRmT2_T3_T4_T5_mT6_T7_P12ihipStream_tbENKUlT_T0_E_clISt17integral_constantIbLb0EES11_EEDaSW_SX_EUlSW_E_NS1_11comp_targetILNS1_3genE10ELNS1_11target_archE1201ELNS1_3gpuE5ELNS1_3repE0EEENS1_30default_config_static_selectorELNS0_4arch9wavefront6targetE1EEEvT1_.kd
    .uniform_work_group_size: 1
    .uses_dynamic_stack: false
    .vgpr_count:     0
    .vgpr_spill_count: 0
    .wavefront_size: 64
  - .agpr_count:     0
    .args:
      - .offset:         0
        .size:           112
        .value_kind:     by_value
    .group_segment_fixed_size: 0
    .kernarg_segment_align: 8
    .kernarg_segment_size: 112
    .language:       OpenCL C
    .language_version:
      - 2
      - 0
    .max_flat_workgroup_size: 256
    .name:           _ZN7rocprim17ROCPRIM_400000_NS6detail17trampoline_kernelINS0_14default_configENS1_27scan_by_key_config_selectorIifEEZZNS1_16scan_by_key_implILNS1_25lookback_scan_determinismE0ELb1ES3_N6thrust23THRUST_200600_302600_NS6detail15normal_iteratorINS9_10device_ptrIiEEEENSB_INSC_IfEEEESG_fNS9_4plusIvEENS9_8equal_toIvEEfEE10hipError_tPvRmT2_T3_T4_T5_mT6_T7_P12ihipStream_tbENKUlT_T0_E_clISt17integral_constantIbLb0EES11_EEDaSW_SX_EUlSW_E_NS1_11comp_targetILNS1_3genE5ELNS1_11target_archE942ELNS1_3gpuE9ELNS1_3repE0EEENS1_30default_config_static_selectorELNS0_4arch9wavefront6targetE1EEEvT1_
    .private_segment_fixed_size: 0
    .sgpr_count:     4
    .sgpr_spill_count: 0
    .symbol:         _ZN7rocprim17ROCPRIM_400000_NS6detail17trampoline_kernelINS0_14default_configENS1_27scan_by_key_config_selectorIifEEZZNS1_16scan_by_key_implILNS1_25lookback_scan_determinismE0ELb1ES3_N6thrust23THRUST_200600_302600_NS6detail15normal_iteratorINS9_10device_ptrIiEEEENSB_INSC_IfEEEESG_fNS9_4plusIvEENS9_8equal_toIvEEfEE10hipError_tPvRmT2_T3_T4_T5_mT6_T7_P12ihipStream_tbENKUlT_T0_E_clISt17integral_constantIbLb0EES11_EEDaSW_SX_EUlSW_E_NS1_11comp_targetILNS1_3genE5ELNS1_11target_archE942ELNS1_3gpuE9ELNS1_3repE0EEENS1_30default_config_static_selectorELNS0_4arch9wavefront6targetE1EEEvT1_.kd
    .uniform_work_group_size: 1
    .uses_dynamic_stack: false
    .vgpr_count:     0
    .vgpr_spill_count: 0
    .wavefront_size: 64
  - .agpr_count:     0
    .args:
      - .offset:         0
        .size:           112
        .value_kind:     by_value
    .group_segment_fixed_size: 16384
    .kernarg_segment_align: 8
    .kernarg_segment_size: 112
    .language:       OpenCL C
    .language_version:
      - 2
      - 0
    .max_flat_workgroup_size: 256
    .name:           _ZN7rocprim17ROCPRIM_400000_NS6detail17trampoline_kernelINS0_14default_configENS1_27scan_by_key_config_selectorIifEEZZNS1_16scan_by_key_implILNS1_25lookback_scan_determinismE0ELb1ES3_N6thrust23THRUST_200600_302600_NS6detail15normal_iteratorINS9_10device_ptrIiEEEENSB_INSC_IfEEEESG_fNS9_4plusIvEENS9_8equal_toIvEEfEE10hipError_tPvRmT2_T3_T4_T5_mT6_T7_P12ihipStream_tbENKUlT_T0_E_clISt17integral_constantIbLb0EES11_EEDaSW_SX_EUlSW_E_NS1_11comp_targetILNS1_3genE4ELNS1_11target_archE910ELNS1_3gpuE8ELNS1_3repE0EEENS1_30default_config_static_selectorELNS0_4arch9wavefront6targetE1EEEvT1_
    .private_segment_fixed_size: 0
    .sgpr_count:     63
    .sgpr_spill_count: 0
    .symbol:         _ZN7rocprim17ROCPRIM_400000_NS6detail17trampoline_kernelINS0_14default_configENS1_27scan_by_key_config_selectorIifEEZZNS1_16scan_by_key_implILNS1_25lookback_scan_determinismE0ELb1ES3_N6thrust23THRUST_200600_302600_NS6detail15normal_iteratorINS9_10device_ptrIiEEEENSB_INSC_IfEEEESG_fNS9_4plusIvEENS9_8equal_toIvEEfEE10hipError_tPvRmT2_T3_T4_T5_mT6_T7_P12ihipStream_tbENKUlT_T0_E_clISt17integral_constantIbLb0EES11_EEDaSW_SX_EUlSW_E_NS1_11comp_targetILNS1_3genE4ELNS1_11target_archE910ELNS1_3gpuE8ELNS1_3repE0EEENS1_30default_config_static_selectorELNS0_4arch9wavefront6targetE1EEEvT1_.kd
    .uniform_work_group_size: 1
    .uses_dynamic_stack: false
    .vgpr_count:     65
    .vgpr_spill_count: 0
    .wavefront_size: 64
  - .agpr_count:     0
    .args:
      - .offset:         0
        .size:           112
        .value_kind:     by_value
    .group_segment_fixed_size: 0
    .kernarg_segment_align: 8
    .kernarg_segment_size: 112
    .language:       OpenCL C
    .language_version:
      - 2
      - 0
    .max_flat_workgroup_size: 256
    .name:           _ZN7rocprim17ROCPRIM_400000_NS6detail17trampoline_kernelINS0_14default_configENS1_27scan_by_key_config_selectorIifEEZZNS1_16scan_by_key_implILNS1_25lookback_scan_determinismE0ELb1ES3_N6thrust23THRUST_200600_302600_NS6detail15normal_iteratorINS9_10device_ptrIiEEEENSB_INSC_IfEEEESG_fNS9_4plusIvEENS9_8equal_toIvEEfEE10hipError_tPvRmT2_T3_T4_T5_mT6_T7_P12ihipStream_tbENKUlT_T0_E_clISt17integral_constantIbLb0EES11_EEDaSW_SX_EUlSW_E_NS1_11comp_targetILNS1_3genE3ELNS1_11target_archE908ELNS1_3gpuE7ELNS1_3repE0EEENS1_30default_config_static_selectorELNS0_4arch9wavefront6targetE1EEEvT1_
    .private_segment_fixed_size: 0
    .sgpr_count:     4
    .sgpr_spill_count: 0
    .symbol:         _ZN7rocprim17ROCPRIM_400000_NS6detail17trampoline_kernelINS0_14default_configENS1_27scan_by_key_config_selectorIifEEZZNS1_16scan_by_key_implILNS1_25lookback_scan_determinismE0ELb1ES3_N6thrust23THRUST_200600_302600_NS6detail15normal_iteratorINS9_10device_ptrIiEEEENSB_INSC_IfEEEESG_fNS9_4plusIvEENS9_8equal_toIvEEfEE10hipError_tPvRmT2_T3_T4_T5_mT6_T7_P12ihipStream_tbENKUlT_T0_E_clISt17integral_constantIbLb0EES11_EEDaSW_SX_EUlSW_E_NS1_11comp_targetILNS1_3genE3ELNS1_11target_archE908ELNS1_3gpuE7ELNS1_3repE0EEENS1_30default_config_static_selectorELNS0_4arch9wavefront6targetE1EEEvT1_.kd
    .uniform_work_group_size: 1
    .uses_dynamic_stack: false
    .vgpr_count:     0
    .vgpr_spill_count: 0
    .wavefront_size: 64
  - .agpr_count:     0
    .args:
      - .offset:         0
        .size:           112
        .value_kind:     by_value
    .group_segment_fixed_size: 0
    .kernarg_segment_align: 8
    .kernarg_segment_size: 112
    .language:       OpenCL C
    .language_version:
      - 2
      - 0
    .max_flat_workgroup_size: 256
    .name:           _ZN7rocprim17ROCPRIM_400000_NS6detail17trampoline_kernelINS0_14default_configENS1_27scan_by_key_config_selectorIifEEZZNS1_16scan_by_key_implILNS1_25lookback_scan_determinismE0ELb1ES3_N6thrust23THRUST_200600_302600_NS6detail15normal_iteratorINS9_10device_ptrIiEEEENSB_INSC_IfEEEESG_fNS9_4plusIvEENS9_8equal_toIvEEfEE10hipError_tPvRmT2_T3_T4_T5_mT6_T7_P12ihipStream_tbENKUlT_T0_E_clISt17integral_constantIbLb0EES11_EEDaSW_SX_EUlSW_E_NS1_11comp_targetILNS1_3genE2ELNS1_11target_archE906ELNS1_3gpuE6ELNS1_3repE0EEENS1_30default_config_static_selectorELNS0_4arch9wavefront6targetE1EEEvT1_
    .private_segment_fixed_size: 0
    .sgpr_count:     4
    .sgpr_spill_count: 0
    .symbol:         _ZN7rocprim17ROCPRIM_400000_NS6detail17trampoline_kernelINS0_14default_configENS1_27scan_by_key_config_selectorIifEEZZNS1_16scan_by_key_implILNS1_25lookback_scan_determinismE0ELb1ES3_N6thrust23THRUST_200600_302600_NS6detail15normal_iteratorINS9_10device_ptrIiEEEENSB_INSC_IfEEEESG_fNS9_4plusIvEENS9_8equal_toIvEEfEE10hipError_tPvRmT2_T3_T4_T5_mT6_T7_P12ihipStream_tbENKUlT_T0_E_clISt17integral_constantIbLb0EES11_EEDaSW_SX_EUlSW_E_NS1_11comp_targetILNS1_3genE2ELNS1_11target_archE906ELNS1_3gpuE6ELNS1_3repE0EEENS1_30default_config_static_selectorELNS0_4arch9wavefront6targetE1EEEvT1_.kd
    .uniform_work_group_size: 1
    .uses_dynamic_stack: false
    .vgpr_count:     0
    .vgpr_spill_count: 0
    .wavefront_size: 64
  - .agpr_count:     0
    .args:
      - .offset:         0
        .size:           112
        .value_kind:     by_value
    .group_segment_fixed_size: 0
    .kernarg_segment_align: 8
    .kernarg_segment_size: 112
    .language:       OpenCL C
    .language_version:
      - 2
      - 0
    .max_flat_workgroup_size: 256
    .name:           _ZN7rocprim17ROCPRIM_400000_NS6detail17trampoline_kernelINS0_14default_configENS1_27scan_by_key_config_selectorIifEEZZNS1_16scan_by_key_implILNS1_25lookback_scan_determinismE0ELb1ES3_N6thrust23THRUST_200600_302600_NS6detail15normal_iteratorINS9_10device_ptrIiEEEENSB_INSC_IfEEEESG_fNS9_4plusIvEENS9_8equal_toIvEEfEE10hipError_tPvRmT2_T3_T4_T5_mT6_T7_P12ihipStream_tbENKUlT_T0_E_clISt17integral_constantIbLb0EES11_EEDaSW_SX_EUlSW_E_NS1_11comp_targetILNS1_3genE10ELNS1_11target_archE1200ELNS1_3gpuE4ELNS1_3repE0EEENS1_30default_config_static_selectorELNS0_4arch9wavefront6targetE1EEEvT1_
    .private_segment_fixed_size: 0
    .sgpr_count:     4
    .sgpr_spill_count: 0
    .symbol:         _ZN7rocprim17ROCPRIM_400000_NS6detail17trampoline_kernelINS0_14default_configENS1_27scan_by_key_config_selectorIifEEZZNS1_16scan_by_key_implILNS1_25lookback_scan_determinismE0ELb1ES3_N6thrust23THRUST_200600_302600_NS6detail15normal_iteratorINS9_10device_ptrIiEEEENSB_INSC_IfEEEESG_fNS9_4plusIvEENS9_8equal_toIvEEfEE10hipError_tPvRmT2_T3_T4_T5_mT6_T7_P12ihipStream_tbENKUlT_T0_E_clISt17integral_constantIbLb0EES11_EEDaSW_SX_EUlSW_E_NS1_11comp_targetILNS1_3genE10ELNS1_11target_archE1200ELNS1_3gpuE4ELNS1_3repE0EEENS1_30default_config_static_selectorELNS0_4arch9wavefront6targetE1EEEvT1_.kd
    .uniform_work_group_size: 1
    .uses_dynamic_stack: false
    .vgpr_count:     0
    .vgpr_spill_count: 0
    .wavefront_size: 64
  - .agpr_count:     0
    .args:
      - .offset:         0
        .size:           112
        .value_kind:     by_value
    .group_segment_fixed_size: 0
    .kernarg_segment_align: 8
    .kernarg_segment_size: 112
    .language:       OpenCL C
    .language_version:
      - 2
      - 0
    .max_flat_workgroup_size: 256
    .name:           _ZN7rocprim17ROCPRIM_400000_NS6detail17trampoline_kernelINS0_14default_configENS1_27scan_by_key_config_selectorIifEEZZNS1_16scan_by_key_implILNS1_25lookback_scan_determinismE0ELb1ES3_N6thrust23THRUST_200600_302600_NS6detail15normal_iteratorINS9_10device_ptrIiEEEENSB_INSC_IfEEEESG_fNS9_4plusIvEENS9_8equal_toIvEEfEE10hipError_tPvRmT2_T3_T4_T5_mT6_T7_P12ihipStream_tbENKUlT_T0_E_clISt17integral_constantIbLb0EES11_EEDaSW_SX_EUlSW_E_NS1_11comp_targetILNS1_3genE9ELNS1_11target_archE1100ELNS1_3gpuE3ELNS1_3repE0EEENS1_30default_config_static_selectorELNS0_4arch9wavefront6targetE1EEEvT1_
    .private_segment_fixed_size: 0
    .sgpr_count:     4
    .sgpr_spill_count: 0
    .symbol:         _ZN7rocprim17ROCPRIM_400000_NS6detail17trampoline_kernelINS0_14default_configENS1_27scan_by_key_config_selectorIifEEZZNS1_16scan_by_key_implILNS1_25lookback_scan_determinismE0ELb1ES3_N6thrust23THRUST_200600_302600_NS6detail15normal_iteratorINS9_10device_ptrIiEEEENSB_INSC_IfEEEESG_fNS9_4plusIvEENS9_8equal_toIvEEfEE10hipError_tPvRmT2_T3_T4_T5_mT6_T7_P12ihipStream_tbENKUlT_T0_E_clISt17integral_constantIbLb0EES11_EEDaSW_SX_EUlSW_E_NS1_11comp_targetILNS1_3genE9ELNS1_11target_archE1100ELNS1_3gpuE3ELNS1_3repE0EEENS1_30default_config_static_selectorELNS0_4arch9wavefront6targetE1EEEvT1_.kd
    .uniform_work_group_size: 1
    .uses_dynamic_stack: false
    .vgpr_count:     0
    .vgpr_spill_count: 0
    .wavefront_size: 64
  - .agpr_count:     0
    .args:
      - .offset:         0
        .size:           112
        .value_kind:     by_value
    .group_segment_fixed_size: 0
    .kernarg_segment_align: 8
    .kernarg_segment_size: 112
    .language:       OpenCL C
    .language_version:
      - 2
      - 0
    .max_flat_workgroup_size: 256
    .name:           _ZN7rocprim17ROCPRIM_400000_NS6detail17trampoline_kernelINS0_14default_configENS1_27scan_by_key_config_selectorIifEEZZNS1_16scan_by_key_implILNS1_25lookback_scan_determinismE0ELb1ES3_N6thrust23THRUST_200600_302600_NS6detail15normal_iteratorINS9_10device_ptrIiEEEENSB_INSC_IfEEEESG_fNS9_4plusIvEENS9_8equal_toIvEEfEE10hipError_tPvRmT2_T3_T4_T5_mT6_T7_P12ihipStream_tbENKUlT_T0_E_clISt17integral_constantIbLb0EES11_EEDaSW_SX_EUlSW_E_NS1_11comp_targetILNS1_3genE8ELNS1_11target_archE1030ELNS1_3gpuE2ELNS1_3repE0EEENS1_30default_config_static_selectorELNS0_4arch9wavefront6targetE1EEEvT1_
    .private_segment_fixed_size: 0
    .sgpr_count:     4
    .sgpr_spill_count: 0
    .symbol:         _ZN7rocprim17ROCPRIM_400000_NS6detail17trampoline_kernelINS0_14default_configENS1_27scan_by_key_config_selectorIifEEZZNS1_16scan_by_key_implILNS1_25lookback_scan_determinismE0ELb1ES3_N6thrust23THRUST_200600_302600_NS6detail15normal_iteratorINS9_10device_ptrIiEEEENSB_INSC_IfEEEESG_fNS9_4plusIvEENS9_8equal_toIvEEfEE10hipError_tPvRmT2_T3_T4_T5_mT6_T7_P12ihipStream_tbENKUlT_T0_E_clISt17integral_constantIbLb0EES11_EEDaSW_SX_EUlSW_E_NS1_11comp_targetILNS1_3genE8ELNS1_11target_archE1030ELNS1_3gpuE2ELNS1_3repE0EEENS1_30default_config_static_selectorELNS0_4arch9wavefront6targetE1EEEvT1_.kd
    .uniform_work_group_size: 1
    .uses_dynamic_stack: false
    .vgpr_count:     0
    .vgpr_spill_count: 0
    .wavefront_size: 64
  - .agpr_count:     0
    .args:
      - .offset:         0
        .size:           112
        .value_kind:     by_value
    .group_segment_fixed_size: 0
    .kernarg_segment_align: 8
    .kernarg_segment_size: 112
    .language:       OpenCL C
    .language_version:
      - 2
      - 0
    .max_flat_workgroup_size: 256
    .name:           _ZN7rocprim17ROCPRIM_400000_NS6detail17trampoline_kernelINS0_14default_configENS1_27scan_by_key_config_selectorIifEEZZNS1_16scan_by_key_implILNS1_25lookback_scan_determinismE0ELb1ES3_N6thrust23THRUST_200600_302600_NS6detail15normal_iteratorINS9_10device_ptrIiEEEENSB_INSC_IfEEEESG_fNS9_4plusIvEENS9_8equal_toIvEEfEE10hipError_tPvRmT2_T3_T4_T5_mT6_T7_P12ihipStream_tbENKUlT_T0_E_clISt17integral_constantIbLb1EES11_EEDaSW_SX_EUlSW_E_NS1_11comp_targetILNS1_3genE0ELNS1_11target_archE4294967295ELNS1_3gpuE0ELNS1_3repE0EEENS1_30default_config_static_selectorELNS0_4arch9wavefront6targetE1EEEvT1_
    .private_segment_fixed_size: 0
    .sgpr_count:     4
    .sgpr_spill_count: 0
    .symbol:         _ZN7rocprim17ROCPRIM_400000_NS6detail17trampoline_kernelINS0_14default_configENS1_27scan_by_key_config_selectorIifEEZZNS1_16scan_by_key_implILNS1_25lookback_scan_determinismE0ELb1ES3_N6thrust23THRUST_200600_302600_NS6detail15normal_iteratorINS9_10device_ptrIiEEEENSB_INSC_IfEEEESG_fNS9_4plusIvEENS9_8equal_toIvEEfEE10hipError_tPvRmT2_T3_T4_T5_mT6_T7_P12ihipStream_tbENKUlT_T0_E_clISt17integral_constantIbLb1EES11_EEDaSW_SX_EUlSW_E_NS1_11comp_targetILNS1_3genE0ELNS1_11target_archE4294967295ELNS1_3gpuE0ELNS1_3repE0EEENS1_30default_config_static_selectorELNS0_4arch9wavefront6targetE1EEEvT1_.kd
    .uniform_work_group_size: 1
    .uses_dynamic_stack: false
    .vgpr_count:     0
    .vgpr_spill_count: 0
    .wavefront_size: 64
  - .agpr_count:     0
    .args:
      - .offset:         0
        .size:           112
        .value_kind:     by_value
    .group_segment_fixed_size: 0
    .kernarg_segment_align: 8
    .kernarg_segment_size: 112
    .language:       OpenCL C
    .language_version:
      - 2
      - 0
    .max_flat_workgroup_size: 256
    .name:           _ZN7rocprim17ROCPRIM_400000_NS6detail17trampoline_kernelINS0_14default_configENS1_27scan_by_key_config_selectorIifEEZZNS1_16scan_by_key_implILNS1_25lookback_scan_determinismE0ELb1ES3_N6thrust23THRUST_200600_302600_NS6detail15normal_iteratorINS9_10device_ptrIiEEEENSB_INSC_IfEEEESG_fNS9_4plusIvEENS9_8equal_toIvEEfEE10hipError_tPvRmT2_T3_T4_T5_mT6_T7_P12ihipStream_tbENKUlT_T0_E_clISt17integral_constantIbLb1EES11_EEDaSW_SX_EUlSW_E_NS1_11comp_targetILNS1_3genE10ELNS1_11target_archE1201ELNS1_3gpuE5ELNS1_3repE0EEENS1_30default_config_static_selectorELNS0_4arch9wavefront6targetE1EEEvT1_
    .private_segment_fixed_size: 0
    .sgpr_count:     4
    .sgpr_spill_count: 0
    .symbol:         _ZN7rocprim17ROCPRIM_400000_NS6detail17trampoline_kernelINS0_14default_configENS1_27scan_by_key_config_selectorIifEEZZNS1_16scan_by_key_implILNS1_25lookback_scan_determinismE0ELb1ES3_N6thrust23THRUST_200600_302600_NS6detail15normal_iteratorINS9_10device_ptrIiEEEENSB_INSC_IfEEEESG_fNS9_4plusIvEENS9_8equal_toIvEEfEE10hipError_tPvRmT2_T3_T4_T5_mT6_T7_P12ihipStream_tbENKUlT_T0_E_clISt17integral_constantIbLb1EES11_EEDaSW_SX_EUlSW_E_NS1_11comp_targetILNS1_3genE10ELNS1_11target_archE1201ELNS1_3gpuE5ELNS1_3repE0EEENS1_30default_config_static_selectorELNS0_4arch9wavefront6targetE1EEEvT1_.kd
    .uniform_work_group_size: 1
    .uses_dynamic_stack: false
    .vgpr_count:     0
    .vgpr_spill_count: 0
    .wavefront_size: 64
  - .agpr_count:     0
    .args:
      - .offset:         0
        .size:           112
        .value_kind:     by_value
    .group_segment_fixed_size: 0
    .kernarg_segment_align: 8
    .kernarg_segment_size: 112
    .language:       OpenCL C
    .language_version:
      - 2
      - 0
    .max_flat_workgroup_size: 256
    .name:           _ZN7rocprim17ROCPRIM_400000_NS6detail17trampoline_kernelINS0_14default_configENS1_27scan_by_key_config_selectorIifEEZZNS1_16scan_by_key_implILNS1_25lookback_scan_determinismE0ELb1ES3_N6thrust23THRUST_200600_302600_NS6detail15normal_iteratorINS9_10device_ptrIiEEEENSB_INSC_IfEEEESG_fNS9_4plusIvEENS9_8equal_toIvEEfEE10hipError_tPvRmT2_T3_T4_T5_mT6_T7_P12ihipStream_tbENKUlT_T0_E_clISt17integral_constantIbLb1EES11_EEDaSW_SX_EUlSW_E_NS1_11comp_targetILNS1_3genE5ELNS1_11target_archE942ELNS1_3gpuE9ELNS1_3repE0EEENS1_30default_config_static_selectorELNS0_4arch9wavefront6targetE1EEEvT1_
    .private_segment_fixed_size: 0
    .sgpr_count:     4
    .sgpr_spill_count: 0
    .symbol:         _ZN7rocprim17ROCPRIM_400000_NS6detail17trampoline_kernelINS0_14default_configENS1_27scan_by_key_config_selectorIifEEZZNS1_16scan_by_key_implILNS1_25lookback_scan_determinismE0ELb1ES3_N6thrust23THRUST_200600_302600_NS6detail15normal_iteratorINS9_10device_ptrIiEEEENSB_INSC_IfEEEESG_fNS9_4plusIvEENS9_8equal_toIvEEfEE10hipError_tPvRmT2_T3_T4_T5_mT6_T7_P12ihipStream_tbENKUlT_T0_E_clISt17integral_constantIbLb1EES11_EEDaSW_SX_EUlSW_E_NS1_11comp_targetILNS1_3genE5ELNS1_11target_archE942ELNS1_3gpuE9ELNS1_3repE0EEENS1_30default_config_static_selectorELNS0_4arch9wavefront6targetE1EEEvT1_.kd
    .uniform_work_group_size: 1
    .uses_dynamic_stack: false
    .vgpr_count:     0
    .vgpr_spill_count: 0
    .wavefront_size: 64
  - .agpr_count:     0
    .args:
      - .offset:         0
        .size:           112
        .value_kind:     by_value
    .group_segment_fixed_size: 16384
    .kernarg_segment_align: 8
    .kernarg_segment_size: 112
    .language:       OpenCL C
    .language_version:
      - 2
      - 0
    .max_flat_workgroup_size: 256
    .name:           _ZN7rocprim17ROCPRIM_400000_NS6detail17trampoline_kernelINS0_14default_configENS1_27scan_by_key_config_selectorIifEEZZNS1_16scan_by_key_implILNS1_25lookback_scan_determinismE0ELb1ES3_N6thrust23THRUST_200600_302600_NS6detail15normal_iteratorINS9_10device_ptrIiEEEENSB_INSC_IfEEEESG_fNS9_4plusIvEENS9_8equal_toIvEEfEE10hipError_tPvRmT2_T3_T4_T5_mT6_T7_P12ihipStream_tbENKUlT_T0_E_clISt17integral_constantIbLb1EES11_EEDaSW_SX_EUlSW_E_NS1_11comp_targetILNS1_3genE4ELNS1_11target_archE910ELNS1_3gpuE8ELNS1_3repE0EEENS1_30default_config_static_selectorELNS0_4arch9wavefront6targetE1EEEvT1_
    .private_segment_fixed_size: 0
    .sgpr_count:     64
    .sgpr_spill_count: 0
    .symbol:         _ZN7rocprim17ROCPRIM_400000_NS6detail17trampoline_kernelINS0_14default_configENS1_27scan_by_key_config_selectorIifEEZZNS1_16scan_by_key_implILNS1_25lookback_scan_determinismE0ELb1ES3_N6thrust23THRUST_200600_302600_NS6detail15normal_iteratorINS9_10device_ptrIiEEEENSB_INSC_IfEEEESG_fNS9_4plusIvEENS9_8equal_toIvEEfEE10hipError_tPvRmT2_T3_T4_T5_mT6_T7_P12ihipStream_tbENKUlT_T0_E_clISt17integral_constantIbLb1EES11_EEDaSW_SX_EUlSW_E_NS1_11comp_targetILNS1_3genE4ELNS1_11target_archE910ELNS1_3gpuE8ELNS1_3repE0EEENS1_30default_config_static_selectorELNS0_4arch9wavefront6targetE1EEEvT1_.kd
    .uniform_work_group_size: 1
    .uses_dynamic_stack: false
    .vgpr_count:     67
    .vgpr_spill_count: 0
    .wavefront_size: 64
  - .agpr_count:     0
    .args:
      - .offset:         0
        .size:           112
        .value_kind:     by_value
    .group_segment_fixed_size: 0
    .kernarg_segment_align: 8
    .kernarg_segment_size: 112
    .language:       OpenCL C
    .language_version:
      - 2
      - 0
    .max_flat_workgroup_size: 256
    .name:           _ZN7rocprim17ROCPRIM_400000_NS6detail17trampoline_kernelINS0_14default_configENS1_27scan_by_key_config_selectorIifEEZZNS1_16scan_by_key_implILNS1_25lookback_scan_determinismE0ELb1ES3_N6thrust23THRUST_200600_302600_NS6detail15normal_iteratorINS9_10device_ptrIiEEEENSB_INSC_IfEEEESG_fNS9_4plusIvEENS9_8equal_toIvEEfEE10hipError_tPvRmT2_T3_T4_T5_mT6_T7_P12ihipStream_tbENKUlT_T0_E_clISt17integral_constantIbLb1EES11_EEDaSW_SX_EUlSW_E_NS1_11comp_targetILNS1_3genE3ELNS1_11target_archE908ELNS1_3gpuE7ELNS1_3repE0EEENS1_30default_config_static_selectorELNS0_4arch9wavefront6targetE1EEEvT1_
    .private_segment_fixed_size: 0
    .sgpr_count:     4
    .sgpr_spill_count: 0
    .symbol:         _ZN7rocprim17ROCPRIM_400000_NS6detail17trampoline_kernelINS0_14default_configENS1_27scan_by_key_config_selectorIifEEZZNS1_16scan_by_key_implILNS1_25lookback_scan_determinismE0ELb1ES3_N6thrust23THRUST_200600_302600_NS6detail15normal_iteratorINS9_10device_ptrIiEEEENSB_INSC_IfEEEESG_fNS9_4plusIvEENS9_8equal_toIvEEfEE10hipError_tPvRmT2_T3_T4_T5_mT6_T7_P12ihipStream_tbENKUlT_T0_E_clISt17integral_constantIbLb1EES11_EEDaSW_SX_EUlSW_E_NS1_11comp_targetILNS1_3genE3ELNS1_11target_archE908ELNS1_3gpuE7ELNS1_3repE0EEENS1_30default_config_static_selectorELNS0_4arch9wavefront6targetE1EEEvT1_.kd
    .uniform_work_group_size: 1
    .uses_dynamic_stack: false
    .vgpr_count:     0
    .vgpr_spill_count: 0
    .wavefront_size: 64
  - .agpr_count:     0
    .args:
      - .offset:         0
        .size:           112
        .value_kind:     by_value
    .group_segment_fixed_size: 0
    .kernarg_segment_align: 8
    .kernarg_segment_size: 112
    .language:       OpenCL C
    .language_version:
      - 2
      - 0
    .max_flat_workgroup_size: 256
    .name:           _ZN7rocprim17ROCPRIM_400000_NS6detail17trampoline_kernelINS0_14default_configENS1_27scan_by_key_config_selectorIifEEZZNS1_16scan_by_key_implILNS1_25lookback_scan_determinismE0ELb1ES3_N6thrust23THRUST_200600_302600_NS6detail15normal_iteratorINS9_10device_ptrIiEEEENSB_INSC_IfEEEESG_fNS9_4plusIvEENS9_8equal_toIvEEfEE10hipError_tPvRmT2_T3_T4_T5_mT6_T7_P12ihipStream_tbENKUlT_T0_E_clISt17integral_constantIbLb1EES11_EEDaSW_SX_EUlSW_E_NS1_11comp_targetILNS1_3genE2ELNS1_11target_archE906ELNS1_3gpuE6ELNS1_3repE0EEENS1_30default_config_static_selectorELNS0_4arch9wavefront6targetE1EEEvT1_
    .private_segment_fixed_size: 0
    .sgpr_count:     4
    .sgpr_spill_count: 0
    .symbol:         _ZN7rocprim17ROCPRIM_400000_NS6detail17trampoline_kernelINS0_14default_configENS1_27scan_by_key_config_selectorIifEEZZNS1_16scan_by_key_implILNS1_25lookback_scan_determinismE0ELb1ES3_N6thrust23THRUST_200600_302600_NS6detail15normal_iteratorINS9_10device_ptrIiEEEENSB_INSC_IfEEEESG_fNS9_4plusIvEENS9_8equal_toIvEEfEE10hipError_tPvRmT2_T3_T4_T5_mT6_T7_P12ihipStream_tbENKUlT_T0_E_clISt17integral_constantIbLb1EES11_EEDaSW_SX_EUlSW_E_NS1_11comp_targetILNS1_3genE2ELNS1_11target_archE906ELNS1_3gpuE6ELNS1_3repE0EEENS1_30default_config_static_selectorELNS0_4arch9wavefront6targetE1EEEvT1_.kd
    .uniform_work_group_size: 1
    .uses_dynamic_stack: false
    .vgpr_count:     0
    .vgpr_spill_count: 0
    .wavefront_size: 64
  - .agpr_count:     0
    .args:
      - .offset:         0
        .size:           112
        .value_kind:     by_value
    .group_segment_fixed_size: 0
    .kernarg_segment_align: 8
    .kernarg_segment_size: 112
    .language:       OpenCL C
    .language_version:
      - 2
      - 0
    .max_flat_workgroup_size: 256
    .name:           _ZN7rocprim17ROCPRIM_400000_NS6detail17trampoline_kernelINS0_14default_configENS1_27scan_by_key_config_selectorIifEEZZNS1_16scan_by_key_implILNS1_25lookback_scan_determinismE0ELb1ES3_N6thrust23THRUST_200600_302600_NS6detail15normal_iteratorINS9_10device_ptrIiEEEENSB_INSC_IfEEEESG_fNS9_4plusIvEENS9_8equal_toIvEEfEE10hipError_tPvRmT2_T3_T4_T5_mT6_T7_P12ihipStream_tbENKUlT_T0_E_clISt17integral_constantIbLb1EES11_EEDaSW_SX_EUlSW_E_NS1_11comp_targetILNS1_3genE10ELNS1_11target_archE1200ELNS1_3gpuE4ELNS1_3repE0EEENS1_30default_config_static_selectorELNS0_4arch9wavefront6targetE1EEEvT1_
    .private_segment_fixed_size: 0
    .sgpr_count:     4
    .sgpr_spill_count: 0
    .symbol:         _ZN7rocprim17ROCPRIM_400000_NS6detail17trampoline_kernelINS0_14default_configENS1_27scan_by_key_config_selectorIifEEZZNS1_16scan_by_key_implILNS1_25lookback_scan_determinismE0ELb1ES3_N6thrust23THRUST_200600_302600_NS6detail15normal_iteratorINS9_10device_ptrIiEEEENSB_INSC_IfEEEESG_fNS9_4plusIvEENS9_8equal_toIvEEfEE10hipError_tPvRmT2_T3_T4_T5_mT6_T7_P12ihipStream_tbENKUlT_T0_E_clISt17integral_constantIbLb1EES11_EEDaSW_SX_EUlSW_E_NS1_11comp_targetILNS1_3genE10ELNS1_11target_archE1200ELNS1_3gpuE4ELNS1_3repE0EEENS1_30default_config_static_selectorELNS0_4arch9wavefront6targetE1EEEvT1_.kd
    .uniform_work_group_size: 1
    .uses_dynamic_stack: false
    .vgpr_count:     0
    .vgpr_spill_count: 0
    .wavefront_size: 64
  - .agpr_count:     0
    .args:
      - .offset:         0
        .size:           112
        .value_kind:     by_value
    .group_segment_fixed_size: 0
    .kernarg_segment_align: 8
    .kernarg_segment_size: 112
    .language:       OpenCL C
    .language_version:
      - 2
      - 0
    .max_flat_workgroup_size: 256
    .name:           _ZN7rocprim17ROCPRIM_400000_NS6detail17trampoline_kernelINS0_14default_configENS1_27scan_by_key_config_selectorIifEEZZNS1_16scan_by_key_implILNS1_25lookback_scan_determinismE0ELb1ES3_N6thrust23THRUST_200600_302600_NS6detail15normal_iteratorINS9_10device_ptrIiEEEENSB_INSC_IfEEEESG_fNS9_4plusIvEENS9_8equal_toIvEEfEE10hipError_tPvRmT2_T3_T4_T5_mT6_T7_P12ihipStream_tbENKUlT_T0_E_clISt17integral_constantIbLb1EES11_EEDaSW_SX_EUlSW_E_NS1_11comp_targetILNS1_3genE9ELNS1_11target_archE1100ELNS1_3gpuE3ELNS1_3repE0EEENS1_30default_config_static_selectorELNS0_4arch9wavefront6targetE1EEEvT1_
    .private_segment_fixed_size: 0
    .sgpr_count:     4
    .sgpr_spill_count: 0
    .symbol:         _ZN7rocprim17ROCPRIM_400000_NS6detail17trampoline_kernelINS0_14default_configENS1_27scan_by_key_config_selectorIifEEZZNS1_16scan_by_key_implILNS1_25lookback_scan_determinismE0ELb1ES3_N6thrust23THRUST_200600_302600_NS6detail15normal_iteratorINS9_10device_ptrIiEEEENSB_INSC_IfEEEESG_fNS9_4plusIvEENS9_8equal_toIvEEfEE10hipError_tPvRmT2_T3_T4_T5_mT6_T7_P12ihipStream_tbENKUlT_T0_E_clISt17integral_constantIbLb1EES11_EEDaSW_SX_EUlSW_E_NS1_11comp_targetILNS1_3genE9ELNS1_11target_archE1100ELNS1_3gpuE3ELNS1_3repE0EEENS1_30default_config_static_selectorELNS0_4arch9wavefront6targetE1EEEvT1_.kd
    .uniform_work_group_size: 1
    .uses_dynamic_stack: false
    .vgpr_count:     0
    .vgpr_spill_count: 0
    .wavefront_size: 64
  - .agpr_count:     0
    .args:
      - .offset:         0
        .size:           112
        .value_kind:     by_value
    .group_segment_fixed_size: 0
    .kernarg_segment_align: 8
    .kernarg_segment_size: 112
    .language:       OpenCL C
    .language_version:
      - 2
      - 0
    .max_flat_workgroup_size: 256
    .name:           _ZN7rocprim17ROCPRIM_400000_NS6detail17trampoline_kernelINS0_14default_configENS1_27scan_by_key_config_selectorIifEEZZNS1_16scan_by_key_implILNS1_25lookback_scan_determinismE0ELb1ES3_N6thrust23THRUST_200600_302600_NS6detail15normal_iteratorINS9_10device_ptrIiEEEENSB_INSC_IfEEEESG_fNS9_4plusIvEENS9_8equal_toIvEEfEE10hipError_tPvRmT2_T3_T4_T5_mT6_T7_P12ihipStream_tbENKUlT_T0_E_clISt17integral_constantIbLb1EES11_EEDaSW_SX_EUlSW_E_NS1_11comp_targetILNS1_3genE8ELNS1_11target_archE1030ELNS1_3gpuE2ELNS1_3repE0EEENS1_30default_config_static_selectorELNS0_4arch9wavefront6targetE1EEEvT1_
    .private_segment_fixed_size: 0
    .sgpr_count:     4
    .sgpr_spill_count: 0
    .symbol:         _ZN7rocprim17ROCPRIM_400000_NS6detail17trampoline_kernelINS0_14default_configENS1_27scan_by_key_config_selectorIifEEZZNS1_16scan_by_key_implILNS1_25lookback_scan_determinismE0ELb1ES3_N6thrust23THRUST_200600_302600_NS6detail15normal_iteratorINS9_10device_ptrIiEEEENSB_INSC_IfEEEESG_fNS9_4plusIvEENS9_8equal_toIvEEfEE10hipError_tPvRmT2_T3_T4_T5_mT6_T7_P12ihipStream_tbENKUlT_T0_E_clISt17integral_constantIbLb1EES11_EEDaSW_SX_EUlSW_E_NS1_11comp_targetILNS1_3genE8ELNS1_11target_archE1030ELNS1_3gpuE2ELNS1_3repE0EEENS1_30default_config_static_selectorELNS0_4arch9wavefront6targetE1EEEvT1_.kd
    .uniform_work_group_size: 1
    .uses_dynamic_stack: false
    .vgpr_count:     0
    .vgpr_spill_count: 0
    .wavefront_size: 64
  - .agpr_count:     0
    .args:
      - .offset:         0
        .size:           112
        .value_kind:     by_value
    .group_segment_fixed_size: 0
    .kernarg_segment_align: 8
    .kernarg_segment_size: 112
    .language:       OpenCL C
    .language_version:
      - 2
      - 0
    .max_flat_workgroup_size: 256
    .name:           _ZN7rocprim17ROCPRIM_400000_NS6detail17trampoline_kernelINS0_14default_configENS1_27scan_by_key_config_selectorIifEEZZNS1_16scan_by_key_implILNS1_25lookback_scan_determinismE0ELb1ES3_N6thrust23THRUST_200600_302600_NS6detail15normal_iteratorINS9_10device_ptrIiEEEENSB_INSC_IfEEEESG_fNS9_4plusIvEENS9_8equal_toIvEEfEE10hipError_tPvRmT2_T3_T4_T5_mT6_T7_P12ihipStream_tbENKUlT_T0_E_clISt17integral_constantIbLb1EES10_IbLb0EEEEDaSW_SX_EUlSW_E_NS1_11comp_targetILNS1_3genE0ELNS1_11target_archE4294967295ELNS1_3gpuE0ELNS1_3repE0EEENS1_30default_config_static_selectorELNS0_4arch9wavefront6targetE1EEEvT1_
    .private_segment_fixed_size: 0
    .sgpr_count:     4
    .sgpr_spill_count: 0
    .symbol:         _ZN7rocprim17ROCPRIM_400000_NS6detail17trampoline_kernelINS0_14default_configENS1_27scan_by_key_config_selectorIifEEZZNS1_16scan_by_key_implILNS1_25lookback_scan_determinismE0ELb1ES3_N6thrust23THRUST_200600_302600_NS6detail15normal_iteratorINS9_10device_ptrIiEEEENSB_INSC_IfEEEESG_fNS9_4plusIvEENS9_8equal_toIvEEfEE10hipError_tPvRmT2_T3_T4_T5_mT6_T7_P12ihipStream_tbENKUlT_T0_E_clISt17integral_constantIbLb1EES10_IbLb0EEEEDaSW_SX_EUlSW_E_NS1_11comp_targetILNS1_3genE0ELNS1_11target_archE4294967295ELNS1_3gpuE0ELNS1_3repE0EEENS1_30default_config_static_selectorELNS0_4arch9wavefront6targetE1EEEvT1_.kd
    .uniform_work_group_size: 1
    .uses_dynamic_stack: false
    .vgpr_count:     0
    .vgpr_spill_count: 0
    .wavefront_size: 64
  - .agpr_count:     0
    .args:
      - .offset:         0
        .size:           112
        .value_kind:     by_value
    .group_segment_fixed_size: 0
    .kernarg_segment_align: 8
    .kernarg_segment_size: 112
    .language:       OpenCL C
    .language_version:
      - 2
      - 0
    .max_flat_workgroup_size: 256
    .name:           _ZN7rocprim17ROCPRIM_400000_NS6detail17trampoline_kernelINS0_14default_configENS1_27scan_by_key_config_selectorIifEEZZNS1_16scan_by_key_implILNS1_25lookback_scan_determinismE0ELb1ES3_N6thrust23THRUST_200600_302600_NS6detail15normal_iteratorINS9_10device_ptrIiEEEENSB_INSC_IfEEEESG_fNS9_4plusIvEENS9_8equal_toIvEEfEE10hipError_tPvRmT2_T3_T4_T5_mT6_T7_P12ihipStream_tbENKUlT_T0_E_clISt17integral_constantIbLb1EES10_IbLb0EEEEDaSW_SX_EUlSW_E_NS1_11comp_targetILNS1_3genE10ELNS1_11target_archE1201ELNS1_3gpuE5ELNS1_3repE0EEENS1_30default_config_static_selectorELNS0_4arch9wavefront6targetE1EEEvT1_
    .private_segment_fixed_size: 0
    .sgpr_count:     4
    .sgpr_spill_count: 0
    .symbol:         _ZN7rocprim17ROCPRIM_400000_NS6detail17trampoline_kernelINS0_14default_configENS1_27scan_by_key_config_selectorIifEEZZNS1_16scan_by_key_implILNS1_25lookback_scan_determinismE0ELb1ES3_N6thrust23THRUST_200600_302600_NS6detail15normal_iteratorINS9_10device_ptrIiEEEENSB_INSC_IfEEEESG_fNS9_4plusIvEENS9_8equal_toIvEEfEE10hipError_tPvRmT2_T3_T4_T5_mT6_T7_P12ihipStream_tbENKUlT_T0_E_clISt17integral_constantIbLb1EES10_IbLb0EEEEDaSW_SX_EUlSW_E_NS1_11comp_targetILNS1_3genE10ELNS1_11target_archE1201ELNS1_3gpuE5ELNS1_3repE0EEENS1_30default_config_static_selectorELNS0_4arch9wavefront6targetE1EEEvT1_.kd
    .uniform_work_group_size: 1
    .uses_dynamic_stack: false
    .vgpr_count:     0
    .vgpr_spill_count: 0
    .wavefront_size: 64
  - .agpr_count:     0
    .args:
      - .offset:         0
        .size:           112
        .value_kind:     by_value
    .group_segment_fixed_size: 0
    .kernarg_segment_align: 8
    .kernarg_segment_size: 112
    .language:       OpenCL C
    .language_version:
      - 2
      - 0
    .max_flat_workgroup_size: 256
    .name:           _ZN7rocprim17ROCPRIM_400000_NS6detail17trampoline_kernelINS0_14default_configENS1_27scan_by_key_config_selectorIifEEZZNS1_16scan_by_key_implILNS1_25lookback_scan_determinismE0ELb1ES3_N6thrust23THRUST_200600_302600_NS6detail15normal_iteratorINS9_10device_ptrIiEEEENSB_INSC_IfEEEESG_fNS9_4plusIvEENS9_8equal_toIvEEfEE10hipError_tPvRmT2_T3_T4_T5_mT6_T7_P12ihipStream_tbENKUlT_T0_E_clISt17integral_constantIbLb1EES10_IbLb0EEEEDaSW_SX_EUlSW_E_NS1_11comp_targetILNS1_3genE5ELNS1_11target_archE942ELNS1_3gpuE9ELNS1_3repE0EEENS1_30default_config_static_selectorELNS0_4arch9wavefront6targetE1EEEvT1_
    .private_segment_fixed_size: 0
    .sgpr_count:     4
    .sgpr_spill_count: 0
    .symbol:         _ZN7rocprim17ROCPRIM_400000_NS6detail17trampoline_kernelINS0_14default_configENS1_27scan_by_key_config_selectorIifEEZZNS1_16scan_by_key_implILNS1_25lookback_scan_determinismE0ELb1ES3_N6thrust23THRUST_200600_302600_NS6detail15normal_iteratorINS9_10device_ptrIiEEEENSB_INSC_IfEEEESG_fNS9_4plusIvEENS9_8equal_toIvEEfEE10hipError_tPvRmT2_T3_T4_T5_mT6_T7_P12ihipStream_tbENKUlT_T0_E_clISt17integral_constantIbLb1EES10_IbLb0EEEEDaSW_SX_EUlSW_E_NS1_11comp_targetILNS1_3genE5ELNS1_11target_archE942ELNS1_3gpuE9ELNS1_3repE0EEENS1_30default_config_static_selectorELNS0_4arch9wavefront6targetE1EEEvT1_.kd
    .uniform_work_group_size: 1
    .uses_dynamic_stack: false
    .vgpr_count:     0
    .vgpr_spill_count: 0
    .wavefront_size: 64
  - .agpr_count:     0
    .args:
      - .offset:         0
        .size:           112
        .value_kind:     by_value
    .group_segment_fixed_size: 16384
    .kernarg_segment_align: 8
    .kernarg_segment_size: 112
    .language:       OpenCL C
    .language_version:
      - 2
      - 0
    .max_flat_workgroup_size: 256
    .name:           _ZN7rocprim17ROCPRIM_400000_NS6detail17trampoline_kernelINS0_14default_configENS1_27scan_by_key_config_selectorIifEEZZNS1_16scan_by_key_implILNS1_25lookback_scan_determinismE0ELb1ES3_N6thrust23THRUST_200600_302600_NS6detail15normal_iteratorINS9_10device_ptrIiEEEENSB_INSC_IfEEEESG_fNS9_4plusIvEENS9_8equal_toIvEEfEE10hipError_tPvRmT2_T3_T4_T5_mT6_T7_P12ihipStream_tbENKUlT_T0_E_clISt17integral_constantIbLb1EES10_IbLb0EEEEDaSW_SX_EUlSW_E_NS1_11comp_targetILNS1_3genE4ELNS1_11target_archE910ELNS1_3gpuE8ELNS1_3repE0EEENS1_30default_config_static_selectorELNS0_4arch9wavefront6targetE1EEEvT1_
    .private_segment_fixed_size: 0
    .sgpr_count:     63
    .sgpr_spill_count: 0
    .symbol:         _ZN7rocprim17ROCPRIM_400000_NS6detail17trampoline_kernelINS0_14default_configENS1_27scan_by_key_config_selectorIifEEZZNS1_16scan_by_key_implILNS1_25lookback_scan_determinismE0ELb1ES3_N6thrust23THRUST_200600_302600_NS6detail15normal_iteratorINS9_10device_ptrIiEEEENSB_INSC_IfEEEESG_fNS9_4plusIvEENS9_8equal_toIvEEfEE10hipError_tPvRmT2_T3_T4_T5_mT6_T7_P12ihipStream_tbENKUlT_T0_E_clISt17integral_constantIbLb1EES10_IbLb0EEEEDaSW_SX_EUlSW_E_NS1_11comp_targetILNS1_3genE4ELNS1_11target_archE910ELNS1_3gpuE8ELNS1_3repE0EEENS1_30default_config_static_selectorELNS0_4arch9wavefront6targetE1EEEvT1_.kd
    .uniform_work_group_size: 1
    .uses_dynamic_stack: false
    .vgpr_count:     65
    .vgpr_spill_count: 0
    .wavefront_size: 64
  - .agpr_count:     0
    .args:
      - .offset:         0
        .size:           112
        .value_kind:     by_value
    .group_segment_fixed_size: 0
    .kernarg_segment_align: 8
    .kernarg_segment_size: 112
    .language:       OpenCL C
    .language_version:
      - 2
      - 0
    .max_flat_workgroup_size: 256
    .name:           _ZN7rocprim17ROCPRIM_400000_NS6detail17trampoline_kernelINS0_14default_configENS1_27scan_by_key_config_selectorIifEEZZNS1_16scan_by_key_implILNS1_25lookback_scan_determinismE0ELb1ES3_N6thrust23THRUST_200600_302600_NS6detail15normal_iteratorINS9_10device_ptrIiEEEENSB_INSC_IfEEEESG_fNS9_4plusIvEENS9_8equal_toIvEEfEE10hipError_tPvRmT2_T3_T4_T5_mT6_T7_P12ihipStream_tbENKUlT_T0_E_clISt17integral_constantIbLb1EES10_IbLb0EEEEDaSW_SX_EUlSW_E_NS1_11comp_targetILNS1_3genE3ELNS1_11target_archE908ELNS1_3gpuE7ELNS1_3repE0EEENS1_30default_config_static_selectorELNS0_4arch9wavefront6targetE1EEEvT1_
    .private_segment_fixed_size: 0
    .sgpr_count:     4
    .sgpr_spill_count: 0
    .symbol:         _ZN7rocprim17ROCPRIM_400000_NS6detail17trampoline_kernelINS0_14default_configENS1_27scan_by_key_config_selectorIifEEZZNS1_16scan_by_key_implILNS1_25lookback_scan_determinismE0ELb1ES3_N6thrust23THRUST_200600_302600_NS6detail15normal_iteratorINS9_10device_ptrIiEEEENSB_INSC_IfEEEESG_fNS9_4plusIvEENS9_8equal_toIvEEfEE10hipError_tPvRmT2_T3_T4_T5_mT6_T7_P12ihipStream_tbENKUlT_T0_E_clISt17integral_constantIbLb1EES10_IbLb0EEEEDaSW_SX_EUlSW_E_NS1_11comp_targetILNS1_3genE3ELNS1_11target_archE908ELNS1_3gpuE7ELNS1_3repE0EEENS1_30default_config_static_selectorELNS0_4arch9wavefront6targetE1EEEvT1_.kd
    .uniform_work_group_size: 1
    .uses_dynamic_stack: false
    .vgpr_count:     0
    .vgpr_spill_count: 0
    .wavefront_size: 64
  - .agpr_count:     0
    .args:
      - .offset:         0
        .size:           112
        .value_kind:     by_value
    .group_segment_fixed_size: 0
    .kernarg_segment_align: 8
    .kernarg_segment_size: 112
    .language:       OpenCL C
    .language_version:
      - 2
      - 0
    .max_flat_workgroup_size: 256
    .name:           _ZN7rocprim17ROCPRIM_400000_NS6detail17trampoline_kernelINS0_14default_configENS1_27scan_by_key_config_selectorIifEEZZNS1_16scan_by_key_implILNS1_25lookback_scan_determinismE0ELb1ES3_N6thrust23THRUST_200600_302600_NS6detail15normal_iteratorINS9_10device_ptrIiEEEENSB_INSC_IfEEEESG_fNS9_4plusIvEENS9_8equal_toIvEEfEE10hipError_tPvRmT2_T3_T4_T5_mT6_T7_P12ihipStream_tbENKUlT_T0_E_clISt17integral_constantIbLb1EES10_IbLb0EEEEDaSW_SX_EUlSW_E_NS1_11comp_targetILNS1_3genE2ELNS1_11target_archE906ELNS1_3gpuE6ELNS1_3repE0EEENS1_30default_config_static_selectorELNS0_4arch9wavefront6targetE1EEEvT1_
    .private_segment_fixed_size: 0
    .sgpr_count:     4
    .sgpr_spill_count: 0
    .symbol:         _ZN7rocprim17ROCPRIM_400000_NS6detail17trampoline_kernelINS0_14default_configENS1_27scan_by_key_config_selectorIifEEZZNS1_16scan_by_key_implILNS1_25lookback_scan_determinismE0ELb1ES3_N6thrust23THRUST_200600_302600_NS6detail15normal_iteratorINS9_10device_ptrIiEEEENSB_INSC_IfEEEESG_fNS9_4plusIvEENS9_8equal_toIvEEfEE10hipError_tPvRmT2_T3_T4_T5_mT6_T7_P12ihipStream_tbENKUlT_T0_E_clISt17integral_constantIbLb1EES10_IbLb0EEEEDaSW_SX_EUlSW_E_NS1_11comp_targetILNS1_3genE2ELNS1_11target_archE906ELNS1_3gpuE6ELNS1_3repE0EEENS1_30default_config_static_selectorELNS0_4arch9wavefront6targetE1EEEvT1_.kd
    .uniform_work_group_size: 1
    .uses_dynamic_stack: false
    .vgpr_count:     0
    .vgpr_spill_count: 0
    .wavefront_size: 64
  - .agpr_count:     0
    .args:
      - .offset:         0
        .size:           112
        .value_kind:     by_value
    .group_segment_fixed_size: 0
    .kernarg_segment_align: 8
    .kernarg_segment_size: 112
    .language:       OpenCL C
    .language_version:
      - 2
      - 0
    .max_flat_workgroup_size: 256
    .name:           _ZN7rocprim17ROCPRIM_400000_NS6detail17trampoline_kernelINS0_14default_configENS1_27scan_by_key_config_selectorIifEEZZNS1_16scan_by_key_implILNS1_25lookback_scan_determinismE0ELb1ES3_N6thrust23THRUST_200600_302600_NS6detail15normal_iteratorINS9_10device_ptrIiEEEENSB_INSC_IfEEEESG_fNS9_4plusIvEENS9_8equal_toIvEEfEE10hipError_tPvRmT2_T3_T4_T5_mT6_T7_P12ihipStream_tbENKUlT_T0_E_clISt17integral_constantIbLb1EES10_IbLb0EEEEDaSW_SX_EUlSW_E_NS1_11comp_targetILNS1_3genE10ELNS1_11target_archE1200ELNS1_3gpuE4ELNS1_3repE0EEENS1_30default_config_static_selectorELNS0_4arch9wavefront6targetE1EEEvT1_
    .private_segment_fixed_size: 0
    .sgpr_count:     4
    .sgpr_spill_count: 0
    .symbol:         _ZN7rocprim17ROCPRIM_400000_NS6detail17trampoline_kernelINS0_14default_configENS1_27scan_by_key_config_selectorIifEEZZNS1_16scan_by_key_implILNS1_25lookback_scan_determinismE0ELb1ES3_N6thrust23THRUST_200600_302600_NS6detail15normal_iteratorINS9_10device_ptrIiEEEENSB_INSC_IfEEEESG_fNS9_4plusIvEENS9_8equal_toIvEEfEE10hipError_tPvRmT2_T3_T4_T5_mT6_T7_P12ihipStream_tbENKUlT_T0_E_clISt17integral_constantIbLb1EES10_IbLb0EEEEDaSW_SX_EUlSW_E_NS1_11comp_targetILNS1_3genE10ELNS1_11target_archE1200ELNS1_3gpuE4ELNS1_3repE0EEENS1_30default_config_static_selectorELNS0_4arch9wavefront6targetE1EEEvT1_.kd
    .uniform_work_group_size: 1
    .uses_dynamic_stack: false
    .vgpr_count:     0
    .vgpr_spill_count: 0
    .wavefront_size: 64
  - .agpr_count:     0
    .args:
      - .offset:         0
        .size:           112
        .value_kind:     by_value
    .group_segment_fixed_size: 0
    .kernarg_segment_align: 8
    .kernarg_segment_size: 112
    .language:       OpenCL C
    .language_version:
      - 2
      - 0
    .max_flat_workgroup_size: 256
    .name:           _ZN7rocprim17ROCPRIM_400000_NS6detail17trampoline_kernelINS0_14default_configENS1_27scan_by_key_config_selectorIifEEZZNS1_16scan_by_key_implILNS1_25lookback_scan_determinismE0ELb1ES3_N6thrust23THRUST_200600_302600_NS6detail15normal_iteratorINS9_10device_ptrIiEEEENSB_INSC_IfEEEESG_fNS9_4plusIvEENS9_8equal_toIvEEfEE10hipError_tPvRmT2_T3_T4_T5_mT6_T7_P12ihipStream_tbENKUlT_T0_E_clISt17integral_constantIbLb1EES10_IbLb0EEEEDaSW_SX_EUlSW_E_NS1_11comp_targetILNS1_3genE9ELNS1_11target_archE1100ELNS1_3gpuE3ELNS1_3repE0EEENS1_30default_config_static_selectorELNS0_4arch9wavefront6targetE1EEEvT1_
    .private_segment_fixed_size: 0
    .sgpr_count:     4
    .sgpr_spill_count: 0
    .symbol:         _ZN7rocprim17ROCPRIM_400000_NS6detail17trampoline_kernelINS0_14default_configENS1_27scan_by_key_config_selectorIifEEZZNS1_16scan_by_key_implILNS1_25lookback_scan_determinismE0ELb1ES3_N6thrust23THRUST_200600_302600_NS6detail15normal_iteratorINS9_10device_ptrIiEEEENSB_INSC_IfEEEESG_fNS9_4plusIvEENS9_8equal_toIvEEfEE10hipError_tPvRmT2_T3_T4_T5_mT6_T7_P12ihipStream_tbENKUlT_T0_E_clISt17integral_constantIbLb1EES10_IbLb0EEEEDaSW_SX_EUlSW_E_NS1_11comp_targetILNS1_3genE9ELNS1_11target_archE1100ELNS1_3gpuE3ELNS1_3repE0EEENS1_30default_config_static_selectorELNS0_4arch9wavefront6targetE1EEEvT1_.kd
    .uniform_work_group_size: 1
    .uses_dynamic_stack: false
    .vgpr_count:     0
    .vgpr_spill_count: 0
    .wavefront_size: 64
  - .agpr_count:     0
    .args:
      - .offset:         0
        .size:           112
        .value_kind:     by_value
    .group_segment_fixed_size: 0
    .kernarg_segment_align: 8
    .kernarg_segment_size: 112
    .language:       OpenCL C
    .language_version:
      - 2
      - 0
    .max_flat_workgroup_size: 256
    .name:           _ZN7rocprim17ROCPRIM_400000_NS6detail17trampoline_kernelINS0_14default_configENS1_27scan_by_key_config_selectorIifEEZZNS1_16scan_by_key_implILNS1_25lookback_scan_determinismE0ELb1ES3_N6thrust23THRUST_200600_302600_NS6detail15normal_iteratorINS9_10device_ptrIiEEEENSB_INSC_IfEEEESG_fNS9_4plusIvEENS9_8equal_toIvEEfEE10hipError_tPvRmT2_T3_T4_T5_mT6_T7_P12ihipStream_tbENKUlT_T0_E_clISt17integral_constantIbLb1EES10_IbLb0EEEEDaSW_SX_EUlSW_E_NS1_11comp_targetILNS1_3genE8ELNS1_11target_archE1030ELNS1_3gpuE2ELNS1_3repE0EEENS1_30default_config_static_selectorELNS0_4arch9wavefront6targetE1EEEvT1_
    .private_segment_fixed_size: 0
    .sgpr_count:     4
    .sgpr_spill_count: 0
    .symbol:         _ZN7rocprim17ROCPRIM_400000_NS6detail17trampoline_kernelINS0_14default_configENS1_27scan_by_key_config_selectorIifEEZZNS1_16scan_by_key_implILNS1_25lookback_scan_determinismE0ELb1ES3_N6thrust23THRUST_200600_302600_NS6detail15normal_iteratorINS9_10device_ptrIiEEEENSB_INSC_IfEEEESG_fNS9_4plusIvEENS9_8equal_toIvEEfEE10hipError_tPvRmT2_T3_T4_T5_mT6_T7_P12ihipStream_tbENKUlT_T0_E_clISt17integral_constantIbLb1EES10_IbLb0EEEEDaSW_SX_EUlSW_E_NS1_11comp_targetILNS1_3genE8ELNS1_11target_archE1030ELNS1_3gpuE2ELNS1_3repE0EEENS1_30default_config_static_selectorELNS0_4arch9wavefront6targetE1EEEvT1_.kd
    .uniform_work_group_size: 1
    .uses_dynamic_stack: false
    .vgpr_count:     0
    .vgpr_spill_count: 0
    .wavefront_size: 64
  - .agpr_count:     0
    .args:
      - .offset:         0
        .size:           112
        .value_kind:     by_value
    .group_segment_fixed_size: 0
    .kernarg_segment_align: 8
    .kernarg_segment_size: 112
    .language:       OpenCL C
    .language_version:
      - 2
      - 0
    .max_flat_workgroup_size: 256
    .name:           _ZN7rocprim17ROCPRIM_400000_NS6detail17trampoline_kernelINS0_14default_configENS1_27scan_by_key_config_selectorIifEEZZNS1_16scan_by_key_implILNS1_25lookback_scan_determinismE0ELb1ES3_N6thrust23THRUST_200600_302600_NS6detail15normal_iteratorINS9_10device_ptrIiEEEENSB_INSC_IfEEEESG_fNS9_4plusIvEENS9_8equal_toIvEEfEE10hipError_tPvRmT2_T3_T4_T5_mT6_T7_P12ihipStream_tbENKUlT_T0_E_clISt17integral_constantIbLb0EES10_IbLb1EEEEDaSW_SX_EUlSW_E_NS1_11comp_targetILNS1_3genE0ELNS1_11target_archE4294967295ELNS1_3gpuE0ELNS1_3repE0EEENS1_30default_config_static_selectorELNS0_4arch9wavefront6targetE1EEEvT1_
    .private_segment_fixed_size: 0
    .sgpr_count:     4
    .sgpr_spill_count: 0
    .symbol:         _ZN7rocprim17ROCPRIM_400000_NS6detail17trampoline_kernelINS0_14default_configENS1_27scan_by_key_config_selectorIifEEZZNS1_16scan_by_key_implILNS1_25lookback_scan_determinismE0ELb1ES3_N6thrust23THRUST_200600_302600_NS6detail15normal_iteratorINS9_10device_ptrIiEEEENSB_INSC_IfEEEESG_fNS9_4plusIvEENS9_8equal_toIvEEfEE10hipError_tPvRmT2_T3_T4_T5_mT6_T7_P12ihipStream_tbENKUlT_T0_E_clISt17integral_constantIbLb0EES10_IbLb1EEEEDaSW_SX_EUlSW_E_NS1_11comp_targetILNS1_3genE0ELNS1_11target_archE4294967295ELNS1_3gpuE0ELNS1_3repE0EEENS1_30default_config_static_selectorELNS0_4arch9wavefront6targetE1EEEvT1_.kd
    .uniform_work_group_size: 1
    .uses_dynamic_stack: false
    .vgpr_count:     0
    .vgpr_spill_count: 0
    .wavefront_size: 64
  - .agpr_count:     0
    .args:
      - .offset:         0
        .size:           112
        .value_kind:     by_value
    .group_segment_fixed_size: 0
    .kernarg_segment_align: 8
    .kernarg_segment_size: 112
    .language:       OpenCL C
    .language_version:
      - 2
      - 0
    .max_flat_workgroup_size: 256
    .name:           _ZN7rocprim17ROCPRIM_400000_NS6detail17trampoline_kernelINS0_14default_configENS1_27scan_by_key_config_selectorIifEEZZNS1_16scan_by_key_implILNS1_25lookback_scan_determinismE0ELb1ES3_N6thrust23THRUST_200600_302600_NS6detail15normal_iteratorINS9_10device_ptrIiEEEENSB_INSC_IfEEEESG_fNS9_4plusIvEENS9_8equal_toIvEEfEE10hipError_tPvRmT2_T3_T4_T5_mT6_T7_P12ihipStream_tbENKUlT_T0_E_clISt17integral_constantIbLb0EES10_IbLb1EEEEDaSW_SX_EUlSW_E_NS1_11comp_targetILNS1_3genE10ELNS1_11target_archE1201ELNS1_3gpuE5ELNS1_3repE0EEENS1_30default_config_static_selectorELNS0_4arch9wavefront6targetE1EEEvT1_
    .private_segment_fixed_size: 0
    .sgpr_count:     4
    .sgpr_spill_count: 0
    .symbol:         _ZN7rocprim17ROCPRIM_400000_NS6detail17trampoline_kernelINS0_14default_configENS1_27scan_by_key_config_selectorIifEEZZNS1_16scan_by_key_implILNS1_25lookback_scan_determinismE0ELb1ES3_N6thrust23THRUST_200600_302600_NS6detail15normal_iteratorINS9_10device_ptrIiEEEENSB_INSC_IfEEEESG_fNS9_4plusIvEENS9_8equal_toIvEEfEE10hipError_tPvRmT2_T3_T4_T5_mT6_T7_P12ihipStream_tbENKUlT_T0_E_clISt17integral_constantIbLb0EES10_IbLb1EEEEDaSW_SX_EUlSW_E_NS1_11comp_targetILNS1_3genE10ELNS1_11target_archE1201ELNS1_3gpuE5ELNS1_3repE0EEENS1_30default_config_static_selectorELNS0_4arch9wavefront6targetE1EEEvT1_.kd
    .uniform_work_group_size: 1
    .uses_dynamic_stack: false
    .vgpr_count:     0
    .vgpr_spill_count: 0
    .wavefront_size: 64
  - .agpr_count:     0
    .args:
      - .offset:         0
        .size:           112
        .value_kind:     by_value
    .group_segment_fixed_size: 0
    .kernarg_segment_align: 8
    .kernarg_segment_size: 112
    .language:       OpenCL C
    .language_version:
      - 2
      - 0
    .max_flat_workgroup_size: 256
    .name:           _ZN7rocprim17ROCPRIM_400000_NS6detail17trampoline_kernelINS0_14default_configENS1_27scan_by_key_config_selectorIifEEZZNS1_16scan_by_key_implILNS1_25lookback_scan_determinismE0ELb1ES3_N6thrust23THRUST_200600_302600_NS6detail15normal_iteratorINS9_10device_ptrIiEEEENSB_INSC_IfEEEESG_fNS9_4plusIvEENS9_8equal_toIvEEfEE10hipError_tPvRmT2_T3_T4_T5_mT6_T7_P12ihipStream_tbENKUlT_T0_E_clISt17integral_constantIbLb0EES10_IbLb1EEEEDaSW_SX_EUlSW_E_NS1_11comp_targetILNS1_3genE5ELNS1_11target_archE942ELNS1_3gpuE9ELNS1_3repE0EEENS1_30default_config_static_selectorELNS0_4arch9wavefront6targetE1EEEvT1_
    .private_segment_fixed_size: 0
    .sgpr_count:     4
    .sgpr_spill_count: 0
    .symbol:         _ZN7rocprim17ROCPRIM_400000_NS6detail17trampoline_kernelINS0_14default_configENS1_27scan_by_key_config_selectorIifEEZZNS1_16scan_by_key_implILNS1_25lookback_scan_determinismE0ELb1ES3_N6thrust23THRUST_200600_302600_NS6detail15normal_iteratorINS9_10device_ptrIiEEEENSB_INSC_IfEEEESG_fNS9_4plusIvEENS9_8equal_toIvEEfEE10hipError_tPvRmT2_T3_T4_T5_mT6_T7_P12ihipStream_tbENKUlT_T0_E_clISt17integral_constantIbLb0EES10_IbLb1EEEEDaSW_SX_EUlSW_E_NS1_11comp_targetILNS1_3genE5ELNS1_11target_archE942ELNS1_3gpuE9ELNS1_3repE0EEENS1_30default_config_static_selectorELNS0_4arch9wavefront6targetE1EEEvT1_.kd
    .uniform_work_group_size: 1
    .uses_dynamic_stack: false
    .vgpr_count:     0
    .vgpr_spill_count: 0
    .wavefront_size: 64
  - .agpr_count:     0
    .args:
      - .offset:         0
        .size:           112
        .value_kind:     by_value
    .group_segment_fixed_size: 16384
    .kernarg_segment_align: 8
    .kernarg_segment_size: 112
    .language:       OpenCL C
    .language_version:
      - 2
      - 0
    .max_flat_workgroup_size: 256
    .name:           _ZN7rocprim17ROCPRIM_400000_NS6detail17trampoline_kernelINS0_14default_configENS1_27scan_by_key_config_selectorIifEEZZNS1_16scan_by_key_implILNS1_25lookback_scan_determinismE0ELb1ES3_N6thrust23THRUST_200600_302600_NS6detail15normal_iteratorINS9_10device_ptrIiEEEENSB_INSC_IfEEEESG_fNS9_4plusIvEENS9_8equal_toIvEEfEE10hipError_tPvRmT2_T3_T4_T5_mT6_T7_P12ihipStream_tbENKUlT_T0_E_clISt17integral_constantIbLb0EES10_IbLb1EEEEDaSW_SX_EUlSW_E_NS1_11comp_targetILNS1_3genE4ELNS1_11target_archE910ELNS1_3gpuE8ELNS1_3repE0EEENS1_30default_config_static_selectorELNS0_4arch9wavefront6targetE1EEEvT1_
    .private_segment_fixed_size: 0
    .sgpr_count:     64
    .sgpr_spill_count: 0
    .symbol:         _ZN7rocprim17ROCPRIM_400000_NS6detail17trampoline_kernelINS0_14default_configENS1_27scan_by_key_config_selectorIifEEZZNS1_16scan_by_key_implILNS1_25lookback_scan_determinismE0ELb1ES3_N6thrust23THRUST_200600_302600_NS6detail15normal_iteratorINS9_10device_ptrIiEEEENSB_INSC_IfEEEESG_fNS9_4plusIvEENS9_8equal_toIvEEfEE10hipError_tPvRmT2_T3_T4_T5_mT6_T7_P12ihipStream_tbENKUlT_T0_E_clISt17integral_constantIbLb0EES10_IbLb1EEEEDaSW_SX_EUlSW_E_NS1_11comp_targetILNS1_3genE4ELNS1_11target_archE910ELNS1_3gpuE8ELNS1_3repE0EEENS1_30default_config_static_selectorELNS0_4arch9wavefront6targetE1EEEvT1_.kd
    .uniform_work_group_size: 1
    .uses_dynamic_stack: false
    .vgpr_count:     67
    .vgpr_spill_count: 0
    .wavefront_size: 64
  - .agpr_count:     0
    .args:
      - .offset:         0
        .size:           112
        .value_kind:     by_value
    .group_segment_fixed_size: 0
    .kernarg_segment_align: 8
    .kernarg_segment_size: 112
    .language:       OpenCL C
    .language_version:
      - 2
      - 0
    .max_flat_workgroup_size: 256
    .name:           _ZN7rocprim17ROCPRIM_400000_NS6detail17trampoline_kernelINS0_14default_configENS1_27scan_by_key_config_selectorIifEEZZNS1_16scan_by_key_implILNS1_25lookback_scan_determinismE0ELb1ES3_N6thrust23THRUST_200600_302600_NS6detail15normal_iteratorINS9_10device_ptrIiEEEENSB_INSC_IfEEEESG_fNS9_4plusIvEENS9_8equal_toIvEEfEE10hipError_tPvRmT2_T3_T4_T5_mT6_T7_P12ihipStream_tbENKUlT_T0_E_clISt17integral_constantIbLb0EES10_IbLb1EEEEDaSW_SX_EUlSW_E_NS1_11comp_targetILNS1_3genE3ELNS1_11target_archE908ELNS1_3gpuE7ELNS1_3repE0EEENS1_30default_config_static_selectorELNS0_4arch9wavefront6targetE1EEEvT1_
    .private_segment_fixed_size: 0
    .sgpr_count:     4
    .sgpr_spill_count: 0
    .symbol:         _ZN7rocprim17ROCPRIM_400000_NS6detail17trampoline_kernelINS0_14default_configENS1_27scan_by_key_config_selectorIifEEZZNS1_16scan_by_key_implILNS1_25lookback_scan_determinismE0ELb1ES3_N6thrust23THRUST_200600_302600_NS6detail15normal_iteratorINS9_10device_ptrIiEEEENSB_INSC_IfEEEESG_fNS9_4plusIvEENS9_8equal_toIvEEfEE10hipError_tPvRmT2_T3_T4_T5_mT6_T7_P12ihipStream_tbENKUlT_T0_E_clISt17integral_constantIbLb0EES10_IbLb1EEEEDaSW_SX_EUlSW_E_NS1_11comp_targetILNS1_3genE3ELNS1_11target_archE908ELNS1_3gpuE7ELNS1_3repE0EEENS1_30default_config_static_selectorELNS0_4arch9wavefront6targetE1EEEvT1_.kd
    .uniform_work_group_size: 1
    .uses_dynamic_stack: false
    .vgpr_count:     0
    .vgpr_spill_count: 0
    .wavefront_size: 64
  - .agpr_count:     0
    .args:
      - .offset:         0
        .size:           112
        .value_kind:     by_value
    .group_segment_fixed_size: 0
    .kernarg_segment_align: 8
    .kernarg_segment_size: 112
    .language:       OpenCL C
    .language_version:
      - 2
      - 0
    .max_flat_workgroup_size: 256
    .name:           _ZN7rocprim17ROCPRIM_400000_NS6detail17trampoline_kernelINS0_14default_configENS1_27scan_by_key_config_selectorIifEEZZNS1_16scan_by_key_implILNS1_25lookback_scan_determinismE0ELb1ES3_N6thrust23THRUST_200600_302600_NS6detail15normal_iteratorINS9_10device_ptrIiEEEENSB_INSC_IfEEEESG_fNS9_4plusIvEENS9_8equal_toIvEEfEE10hipError_tPvRmT2_T3_T4_T5_mT6_T7_P12ihipStream_tbENKUlT_T0_E_clISt17integral_constantIbLb0EES10_IbLb1EEEEDaSW_SX_EUlSW_E_NS1_11comp_targetILNS1_3genE2ELNS1_11target_archE906ELNS1_3gpuE6ELNS1_3repE0EEENS1_30default_config_static_selectorELNS0_4arch9wavefront6targetE1EEEvT1_
    .private_segment_fixed_size: 0
    .sgpr_count:     4
    .sgpr_spill_count: 0
    .symbol:         _ZN7rocprim17ROCPRIM_400000_NS6detail17trampoline_kernelINS0_14default_configENS1_27scan_by_key_config_selectorIifEEZZNS1_16scan_by_key_implILNS1_25lookback_scan_determinismE0ELb1ES3_N6thrust23THRUST_200600_302600_NS6detail15normal_iteratorINS9_10device_ptrIiEEEENSB_INSC_IfEEEESG_fNS9_4plusIvEENS9_8equal_toIvEEfEE10hipError_tPvRmT2_T3_T4_T5_mT6_T7_P12ihipStream_tbENKUlT_T0_E_clISt17integral_constantIbLb0EES10_IbLb1EEEEDaSW_SX_EUlSW_E_NS1_11comp_targetILNS1_3genE2ELNS1_11target_archE906ELNS1_3gpuE6ELNS1_3repE0EEENS1_30default_config_static_selectorELNS0_4arch9wavefront6targetE1EEEvT1_.kd
    .uniform_work_group_size: 1
    .uses_dynamic_stack: false
    .vgpr_count:     0
    .vgpr_spill_count: 0
    .wavefront_size: 64
  - .agpr_count:     0
    .args:
      - .offset:         0
        .size:           112
        .value_kind:     by_value
    .group_segment_fixed_size: 0
    .kernarg_segment_align: 8
    .kernarg_segment_size: 112
    .language:       OpenCL C
    .language_version:
      - 2
      - 0
    .max_flat_workgroup_size: 256
    .name:           _ZN7rocprim17ROCPRIM_400000_NS6detail17trampoline_kernelINS0_14default_configENS1_27scan_by_key_config_selectorIifEEZZNS1_16scan_by_key_implILNS1_25lookback_scan_determinismE0ELb1ES3_N6thrust23THRUST_200600_302600_NS6detail15normal_iteratorINS9_10device_ptrIiEEEENSB_INSC_IfEEEESG_fNS9_4plusIvEENS9_8equal_toIvEEfEE10hipError_tPvRmT2_T3_T4_T5_mT6_T7_P12ihipStream_tbENKUlT_T0_E_clISt17integral_constantIbLb0EES10_IbLb1EEEEDaSW_SX_EUlSW_E_NS1_11comp_targetILNS1_3genE10ELNS1_11target_archE1200ELNS1_3gpuE4ELNS1_3repE0EEENS1_30default_config_static_selectorELNS0_4arch9wavefront6targetE1EEEvT1_
    .private_segment_fixed_size: 0
    .sgpr_count:     4
    .sgpr_spill_count: 0
    .symbol:         _ZN7rocprim17ROCPRIM_400000_NS6detail17trampoline_kernelINS0_14default_configENS1_27scan_by_key_config_selectorIifEEZZNS1_16scan_by_key_implILNS1_25lookback_scan_determinismE0ELb1ES3_N6thrust23THRUST_200600_302600_NS6detail15normal_iteratorINS9_10device_ptrIiEEEENSB_INSC_IfEEEESG_fNS9_4plusIvEENS9_8equal_toIvEEfEE10hipError_tPvRmT2_T3_T4_T5_mT6_T7_P12ihipStream_tbENKUlT_T0_E_clISt17integral_constantIbLb0EES10_IbLb1EEEEDaSW_SX_EUlSW_E_NS1_11comp_targetILNS1_3genE10ELNS1_11target_archE1200ELNS1_3gpuE4ELNS1_3repE0EEENS1_30default_config_static_selectorELNS0_4arch9wavefront6targetE1EEEvT1_.kd
    .uniform_work_group_size: 1
    .uses_dynamic_stack: false
    .vgpr_count:     0
    .vgpr_spill_count: 0
    .wavefront_size: 64
  - .agpr_count:     0
    .args:
      - .offset:         0
        .size:           112
        .value_kind:     by_value
    .group_segment_fixed_size: 0
    .kernarg_segment_align: 8
    .kernarg_segment_size: 112
    .language:       OpenCL C
    .language_version:
      - 2
      - 0
    .max_flat_workgroup_size: 256
    .name:           _ZN7rocprim17ROCPRIM_400000_NS6detail17trampoline_kernelINS0_14default_configENS1_27scan_by_key_config_selectorIifEEZZNS1_16scan_by_key_implILNS1_25lookback_scan_determinismE0ELb1ES3_N6thrust23THRUST_200600_302600_NS6detail15normal_iteratorINS9_10device_ptrIiEEEENSB_INSC_IfEEEESG_fNS9_4plusIvEENS9_8equal_toIvEEfEE10hipError_tPvRmT2_T3_T4_T5_mT6_T7_P12ihipStream_tbENKUlT_T0_E_clISt17integral_constantIbLb0EES10_IbLb1EEEEDaSW_SX_EUlSW_E_NS1_11comp_targetILNS1_3genE9ELNS1_11target_archE1100ELNS1_3gpuE3ELNS1_3repE0EEENS1_30default_config_static_selectorELNS0_4arch9wavefront6targetE1EEEvT1_
    .private_segment_fixed_size: 0
    .sgpr_count:     4
    .sgpr_spill_count: 0
    .symbol:         _ZN7rocprim17ROCPRIM_400000_NS6detail17trampoline_kernelINS0_14default_configENS1_27scan_by_key_config_selectorIifEEZZNS1_16scan_by_key_implILNS1_25lookback_scan_determinismE0ELb1ES3_N6thrust23THRUST_200600_302600_NS6detail15normal_iteratorINS9_10device_ptrIiEEEENSB_INSC_IfEEEESG_fNS9_4plusIvEENS9_8equal_toIvEEfEE10hipError_tPvRmT2_T3_T4_T5_mT6_T7_P12ihipStream_tbENKUlT_T0_E_clISt17integral_constantIbLb0EES10_IbLb1EEEEDaSW_SX_EUlSW_E_NS1_11comp_targetILNS1_3genE9ELNS1_11target_archE1100ELNS1_3gpuE3ELNS1_3repE0EEENS1_30default_config_static_selectorELNS0_4arch9wavefront6targetE1EEEvT1_.kd
    .uniform_work_group_size: 1
    .uses_dynamic_stack: false
    .vgpr_count:     0
    .vgpr_spill_count: 0
    .wavefront_size: 64
  - .agpr_count:     0
    .args:
      - .offset:         0
        .size:           112
        .value_kind:     by_value
    .group_segment_fixed_size: 0
    .kernarg_segment_align: 8
    .kernarg_segment_size: 112
    .language:       OpenCL C
    .language_version:
      - 2
      - 0
    .max_flat_workgroup_size: 256
    .name:           _ZN7rocprim17ROCPRIM_400000_NS6detail17trampoline_kernelINS0_14default_configENS1_27scan_by_key_config_selectorIifEEZZNS1_16scan_by_key_implILNS1_25lookback_scan_determinismE0ELb1ES3_N6thrust23THRUST_200600_302600_NS6detail15normal_iteratorINS9_10device_ptrIiEEEENSB_INSC_IfEEEESG_fNS9_4plusIvEENS9_8equal_toIvEEfEE10hipError_tPvRmT2_T3_T4_T5_mT6_T7_P12ihipStream_tbENKUlT_T0_E_clISt17integral_constantIbLb0EES10_IbLb1EEEEDaSW_SX_EUlSW_E_NS1_11comp_targetILNS1_3genE8ELNS1_11target_archE1030ELNS1_3gpuE2ELNS1_3repE0EEENS1_30default_config_static_selectorELNS0_4arch9wavefront6targetE1EEEvT1_
    .private_segment_fixed_size: 0
    .sgpr_count:     4
    .sgpr_spill_count: 0
    .symbol:         _ZN7rocprim17ROCPRIM_400000_NS6detail17trampoline_kernelINS0_14default_configENS1_27scan_by_key_config_selectorIifEEZZNS1_16scan_by_key_implILNS1_25lookback_scan_determinismE0ELb1ES3_N6thrust23THRUST_200600_302600_NS6detail15normal_iteratorINS9_10device_ptrIiEEEENSB_INSC_IfEEEESG_fNS9_4plusIvEENS9_8equal_toIvEEfEE10hipError_tPvRmT2_T3_T4_T5_mT6_T7_P12ihipStream_tbENKUlT_T0_E_clISt17integral_constantIbLb0EES10_IbLb1EEEEDaSW_SX_EUlSW_E_NS1_11comp_targetILNS1_3genE8ELNS1_11target_archE1030ELNS1_3gpuE2ELNS1_3repE0EEENS1_30default_config_static_selectorELNS0_4arch9wavefront6targetE1EEEvT1_.kd
    .uniform_work_group_size: 1
    .uses_dynamic_stack: false
    .vgpr_count:     0
    .vgpr_spill_count: 0
    .wavefront_size: 64
  - .agpr_count:     0
    .args:
      - .offset:         0
        .size:           136
        .value_kind:     by_value
    .group_segment_fixed_size: 0
    .kernarg_segment_align: 8
    .kernarg_segment_size: 136
    .language:       OpenCL C
    .language_version:
      - 2
      - 0
    .max_flat_workgroup_size: 128
    .name:           _ZN7rocprim17ROCPRIM_400000_NS6detail17trampoline_kernelINS0_14default_configENS1_27scan_by_key_config_selectorIiyEEZZNS1_16scan_by_key_implILNS1_25lookback_scan_determinismE0ELb1ES3_N6thrust23THRUST_200600_302600_NS6detail15normal_iteratorINS9_10device_ptrIiEEEENSB_INSC_IyEEEESG_yNS9_4plusIvEENS9_8equal_toIvEEyEE10hipError_tPvRmT2_T3_T4_T5_mT6_T7_P12ihipStream_tbENKUlT_T0_E_clISt17integral_constantIbLb0EES11_EEDaSW_SX_EUlSW_E_NS1_11comp_targetILNS1_3genE0ELNS1_11target_archE4294967295ELNS1_3gpuE0ELNS1_3repE0EEENS1_30default_config_static_selectorELNS0_4arch9wavefront6targetE1EEEvT1_
    .private_segment_fixed_size: 0
    .sgpr_count:     4
    .sgpr_spill_count: 0
    .symbol:         _ZN7rocprim17ROCPRIM_400000_NS6detail17trampoline_kernelINS0_14default_configENS1_27scan_by_key_config_selectorIiyEEZZNS1_16scan_by_key_implILNS1_25lookback_scan_determinismE0ELb1ES3_N6thrust23THRUST_200600_302600_NS6detail15normal_iteratorINS9_10device_ptrIiEEEENSB_INSC_IyEEEESG_yNS9_4plusIvEENS9_8equal_toIvEEyEE10hipError_tPvRmT2_T3_T4_T5_mT6_T7_P12ihipStream_tbENKUlT_T0_E_clISt17integral_constantIbLb0EES11_EEDaSW_SX_EUlSW_E_NS1_11comp_targetILNS1_3genE0ELNS1_11target_archE4294967295ELNS1_3gpuE0ELNS1_3repE0EEENS1_30default_config_static_selectorELNS0_4arch9wavefront6targetE1EEEvT1_.kd
    .uniform_work_group_size: 1
    .uses_dynamic_stack: false
    .vgpr_count:     0
    .vgpr_spill_count: 0
    .wavefront_size: 64
  - .agpr_count:     0
    .args:
      - .offset:         0
        .size:           136
        .value_kind:     by_value
    .group_segment_fixed_size: 0
    .kernarg_segment_align: 8
    .kernarg_segment_size: 136
    .language:       OpenCL C
    .language_version:
      - 2
      - 0
    .max_flat_workgroup_size: 256
    .name:           _ZN7rocprim17ROCPRIM_400000_NS6detail17trampoline_kernelINS0_14default_configENS1_27scan_by_key_config_selectorIiyEEZZNS1_16scan_by_key_implILNS1_25lookback_scan_determinismE0ELb1ES3_N6thrust23THRUST_200600_302600_NS6detail15normal_iteratorINS9_10device_ptrIiEEEENSB_INSC_IyEEEESG_yNS9_4plusIvEENS9_8equal_toIvEEyEE10hipError_tPvRmT2_T3_T4_T5_mT6_T7_P12ihipStream_tbENKUlT_T0_E_clISt17integral_constantIbLb0EES11_EEDaSW_SX_EUlSW_E_NS1_11comp_targetILNS1_3genE10ELNS1_11target_archE1201ELNS1_3gpuE5ELNS1_3repE0EEENS1_30default_config_static_selectorELNS0_4arch9wavefront6targetE1EEEvT1_
    .private_segment_fixed_size: 0
    .sgpr_count:     4
    .sgpr_spill_count: 0
    .symbol:         _ZN7rocprim17ROCPRIM_400000_NS6detail17trampoline_kernelINS0_14default_configENS1_27scan_by_key_config_selectorIiyEEZZNS1_16scan_by_key_implILNS1_25lookback_scan_determinismE0ELb1ES3_N6thrust23THRUST_200600_302600_NS6detail15normal_iteratorINS9_10device_ptrIiEEEENSB_INSC_IyEEEESG_yNS9_4plusIvEENS9_8equal_toIvEEyEE10hipError_tPvRmT2_T3_T4_T5_mT6_T7_P12ihipStream_tbENKUlT_T0_E_clISt17integral_constantIbLb0EES11_EEDaSW_SX_EUlSW_E_NS1_11comp_targetILNS1_3genE10ELNS1_11target_archE1201ELNS1_3gpuE5ELNS1_3repE0EEENS1_30default_config_static_selectorELNS0_4arch9wavefront6targetE1EEEvT1_.kd
    .uniform_work_group_size: 1
    .uses_dynamic_stack: false
    .vgpr_count:     0
    .vgpr_spill_count: 0
    .wavefront_size: 64
  - .agpr_count:     0
    .args:
      - .offset:         0
        .size:           136
        .value_kind:     by_value
    .group_segment_fixed_size: 0
    .kernarg_segment_align: 8
    .kernarg_segment_size: 136
    .language:       OpenCL C
    .language_version:
      - 2
      - 0
    .max_flat_workgroup_size: 256
    .name:           _ZN7rocprim17ROCPRIM_400000_NS6detail17trampoline_kernelINS0_14default_configENS1_27scan_by_key_config_selectorIiyEEZZNS1_16scan_by_key_implILNS1_25lookback_scan_determinismE0ELb1ES3_N6thrust23THRUST_200600_302600_NS6detail15normal_iteratorINS9_10device_ptrIiEEEENSB_INSC_IyEEEESG_yNS9_4plusIvEENS9_8equal_toIvEEyEE10hipError_tPvRmT2_T3_T4_T5_mT6_T7_P12ihipStream_tbENKUlT_T0_E_clISt17integral_constantIbLb0EES11_EEDaSW_SX_EUlSW_E_NS1_11comp_targetILNS1_3genE5ELNS1_11target_archE942ELNS1_3gpuE9ELNS1_3repE0EEENS1_30default_config_static_selectorELNS0_4arch9wavefront6targetE1EEEvT1_
    .private_segment_fixed_size: 0
    .sgpr_count:     4
    .sgpr_spill_count: 0
    .symbol:         _ZN7rocprim17ROCPRIM_400000_NS6detail17trampoline_kernelINS0_14default_configENS1_27scan_by_key_config_selectorIiyEEZZNS1_16scan_by_key_implILNS1_25lookback_scan_determinismE0ELb1ES3_N6thrust23THRUST_200600_302600_NS6detail15normal_iteratorINS9_10device_ptrIiEEEENSB_INSC_IyEEEESG_yNS9_4plusIvEENS9_8equal_toIvEEyEE10hipError_tPvRmT2_T3_T4_T5_mT6_T7_P12ihipStream_tbENKUlT_T0_E_clISt17integral_constantIbLb0EES11_EEDaSW_SX_EUlSW_E_NS1_11comp_targetILNS1_3genE5ELNS1_11target_archE942ELNS1_3gpuE9ELNS1_3repE0EEENS1_30default_config_static_selectorELNS0_4arch9wavefront6targetE1EEEvT1_.kd
    .uniform_work_group_size: 1
    .uses_dynamic_stack: false
    .vgpr_count:     0
    .vgpr_spill_count: 0
    .wavefront_size: 64
  - .agpr_count:     0
    .args:
      - .offset:         0
        .size:           136
        .value_kind:     by_value
    .group_segment_fixed_size: 10752
    .kernarg_segment_align: 8
    .kernarg_segment_size: 136
    .language:       OpenCL C
    .language_version:
      - 2
      - 0
    .max_flat_workgroup_size: 64
    .name:           _ZN7rocprim17ROCPRIM_400000_NS6detail17trampoline_kernelINS0_14default_configENS1_27scan_by_key_config_selectorIiyEEZZNS1_16scan_by_key_implILNS1_25lookback_scan_determinismE0ELb1ES3_N6thrust23THRUST_200600_302600_NS6detail15normal_iteratorINS9_10device_ptrIiEEEENSB_INSC_IyEEEESG_yNS9_4plusIvEENS9_8equal_toIvEEyEE10hipError_tPvRmT2_T3_T4_T5_mT6_T7_P12ihipStream_tbENKUlT_T0_E_clISt17integral_constantIbLb0EES11_EEDaSW_SX_EUlSW_E_NS1_11comp_targetILNS1_3genE4ELNS1_11target_archE910ELNS1_3gpuE8ELNS1_3repE0EEENS1_30default_config_static_selectorELNS0_4arch9wavefront6targetE1EEEvT1_
    .private_segment_fixed_size: 0
    .sgpr_count:     81
    .sgpr_spill_count: 0
    .symbol:         _ZN7rocprim17ROCPRIM_400000_NS6detail17trampoline_kernelINS0_14default_configENS1_27scan_by_key_config_selectorIiyEEZZNS1_16scan_by_key_implILNS1_25lookback_scan_determinismE0ELb1ES3_N6thrust23THRUST_200600_302600_NS6detail15normal_iteratorINS9_10device_ptrIiEEEENSB_INSC_IyEEEESG_yNS9_4plusIvEENS9_8equal_toIvEEyEE10hipError_tPvRmT2_T3_T4_T5_mT6_T7_P12ihipStream_tbENKUlT_T0_E_clISt17integral_constantIbLb0EES11_EEDaSW_SX_EUlSW_E_NS1_11comp_targetILNS1_3genE4ELNS1_11target_archE910ELNS1_3gpuE8ELNS1_3repE0EEENS1_30default_config_static_selectorELNS0_4arch9wavefront6targetE1EEEvT1_.kd
    .uniform_work_group_size: 1
    .uses_dynamic_stack: false
    .vgpr_count:     128
    .vgpr_spill_count: 0
    .wavefront_size: 64
  - .agpr_count:     0
    .args:
      - .offset:         0
        .size:           136
        .value_kind:     by_value
    .group_segment_fixed_size: 0
    .kernarg_segment_align: 8
    .kernarg_segment_size: 136
    .language:       OpenCL C
    .language_version:
      - 2
      - 0
    .max_flat_workgroup_size: 128
    .name:           _ZN7rocprim17ROCPRIM_400000_NS6detail17trampoline_kernelINS0_14default_configENS1_27scan_by_key_config_selectorIiyEEZZNS1_16scan_by_key_implILNS1_25lookback_scan_determinismE0ELb1ES3_N6thrust23THRUST_200600_302600_NS6detail15normal_iteratorINS9_10device_ptrIiEEEENSB_INSC_IyEEEESG_yNS9_4plusIvEENS9_8equal_toIvEEyEE10hipError_tPvRmT2_T3_T4_T5_mT6_T7_P12ihipStream_tbENKUlT_T0_E_clISt17integral_constantIbLb0EES11_EEDaSW_SX_EUlSW_E_NS1_11comp_targetILNS1_3genE3ELNS1_11target_archE908ELNS1_3gpuE7ELNS1_3repE0EEENS1_30default_config_static_selectorELNS0_4arch9wavefront6targetE1EEEvT1_
    .private_segment_fixed_size: 0
    .sgpr_count:     4
    .sgpr_spill_count: 0
    .symbol:         _ZN7rocprim17ROCPRIM_400000_NS6detail17trampoline_kernelINS0_14default_configENS1_27scan_by_key_config_selectorIiyEEZZNS1_16scan_by_key_implILNS1_25lookback_scan_determinismE0ELb1ES3_N6thrust23THRUST_200600_302600_NS6detail15normal_iteratorINS9_10device_ptrIiEEEENSB_INSC_IyEEEESG_yNS9_4plusIvEENS9_8equal_toIvEEyEE10hipError_tPvRmT2_T3_T4_T5_mT6_T7_P12ihipStream_tbENKUlT_T0_E_clISt17integral_constantIbLb0EES11_EEDaSW_SX_EUlSW_E_NS1_11comp_targetILNS1_3genE3ELNS1_11target_archE908ELNS1_3gpuE7ELNS1_3repE0EEENS1_30default_config_static_selectorELNS0_4arch9wavefront6targetE1EEEvT1_.kd
    .uniform_work_group_size: 1
    .uses_dynamic_stack: false
    .vgpr_count:     0
    .vgpr_spill_count: 0
    .wavefront_size: 64
  - .agpr_count:     0
    .args:
      - .offset:         0
        .size:           136
        .value_kind:     by_value
    .group_segment_fixed_size: 0
    .kernarg_segment_align: 8
    .kernarg_segment_size: 136
    .language:       OpenCL C
    .language_version:
      - 2
      - 0
    .max_flat_workgroup_size: 64
    .name:           _ZN7rocprim17ROCPRIM_400000_NS6detail17trampoline_kernelINS0_14default_configENS1_27scan_by_key_config_selectorIiyEEZZNS1_16scan_by_key_implILNS1_25lookback_scan_determinismE0ELb1ES3_N6thrust23THRUST_200600_302600_NS6detail15normal_iteratorINS9_10device_ptrIiEEEENSB_INSC_IyEEEESG_yNS9_4plusIvEENS9_8equal_toIvEEyEE10hipError_tPvRmT2_T3_T4_T5_mT6_T7_P12ihipStream_tbENKUlT_T0_E_clISt17integral_constantIbLb0EES11_EEDaSW_SX_EUlSW_E_NS1_11comp_targetILNS1_3genE2ELNS1_11target_archE906ELNS1_3gpuE6ELNS1_3repE0EEENS1_30default_config_static_selectorELNS0_4arch9wavefront6targetE1EEEvT1_
    .private_segment_fixed_size: 0
    .sgpr_count:     4
    .sgpr_spill_count: 0
    .symbol:         _ZN7rocprim17ROCPRIM_400000_NS6detail17trampoline_kernelINS0_14default_configENS1_27scan_by_key_config_selectorIiyEEZZNS1_16scan_by_key_implILNS1_25lookback_scan_determinismE0ELb1ES3_N6thrust23THRUST_200600_302600_NS6detail15normal_iteratorINS9_10device_ptrIiEEEENSB_INSC_IyEEEESG_yNS9_4plusIvEENS9_8equal_toIvEEyEE10hipError_tPvRmT2_T3_T4_T5_mT6_T7_P12ihipStream_tbENKUlT_T0_E_clISt17integral_constantIbLb0EES11_EEDaSW_SX_EUlSW_E_NS1_11comp_targetILNS1_3genE2ELNS1_11target_archE906ELNS1_3gpuE6ELNS1_3repE0EEENS1_30default_config_static_selectorELNS0_4arch9wavefront6targetE1EEEvT1_.kd
    .uniform_work_group_size: 1
    .uses_dynamic_stack: false
    .vgpr_count:     0
    .vgpr_spill_count: 0
    .wavefront_size: 64
  - .agpr_count:     0
    .args:
      - .offset:         0
        .size:           136
        .value_kind:     by_value
    .group_segment_fixed_size: 0
    .kernarg_segment_align: 8
    .kernarg_segment_size: 136
    .language:       OpenCL C
    .language_version:
      - 2
      - 0
    .max_flat_workgroup_size: 256
    .name:           _ZN7rocprim17ROCPRIM_400000_NS6detail17trampoline_kernelINS0_14default_configENS1_27scan_by_key_config_selectorIiyEEZZNS1_16scan_by_key_implILNS1_25lookback_scan_determinismE0ELb1ES3_N6thrust23THRUST_200600_302600_NS6detail15normal_iteratorINS9_10device_ptrIiEEEENSB_INSC_IyEEEESG_yNS9_4plusIvEENS9_8equal_toIvEEyEE10hipError_tPvRmT2_T3_T4_T5_mT6_T7_P12ihipStream_tbENKUlT_T0_E_clISt17integral_constantIbLb0EES11_EEDaSW_SX_EUlSW_E_NS1_11comp_targetILNS1_3genE10ELNS1_11target_archE1200ELNS1_3gpuE4ELNS1_3repE0EEENS1_30default_config_static_selectorELNS0_4arch9wavefront6targetE1EEEvT1_
    .private_segment_fixed_size: 0
    .sgpr_count:     4
    .sgpr_spill_count: 0
    .symbol:         _ZN7rocprim17ROCPRIM_400000_NS6detail17trampoline_kernelINS0_14default_configENS1_27scan_by_key_config_selectorIiyEEZZNS1_16scan_by_key_implILNS1_25lookback_scan_determinismE0ELb1ES3_N6thrust23THRUST_200600_302600_NS6detail15normal_iteratorINS9_10device_ptrIiEEEENSB_INSC_IyEEEESG_yNS9_4plusIvEENS9_8equal_toIvEEyEE10hipError_tPvRmT2_T3_T4_T5_mT6_T7_P12ihipStream_tbENKUlT_T0_E_clISt17integral_constantIbLb0EES11_EEDaSW_SX_EUlSW_E_NS1_11comp_targetILNS1_3genE10ELNS1_11target_archE1200ELNS1_3gpuE4ELNS1_3repE0EEENS1_30default_config_static_selectorELNS0_4arch9wavefront6targetE1EEEvT1_.kd
    .uniform_work_group_size: 1
    .uses_dynamic_stack: false
    .vgpr_count:     0
    .vgpr_spill_count: 0
    .wavefront_size: 64
  - .agpr_count:     0
    .args:
      - .offset:         0
        .size:           136
        .value_kind:     by_value
    .group_segment_fixed_size: 0
    .kernarg_segment_align: 8
    .kernarg_segment_size: 136
    .language:       OpenCL C
    .language_version:
      - 2
      - 0
    .max_flat_workgroup_size: 256
    .name:           _ZN7rocprim17ROCPRIM_400000_NS6detail17trampoline_kernelINS0_14default_configENS1_27scan_by_key_config_selectorIiyEEZZNS1_16scan_by_key_implILNS1_25lookback_scan_determinismE0ELb1ES3_N6thrust23THRUST_200600_302600_NS6detail15normal_iteratorINS9_10device_ptrIiEEEENSB_INSC_IyEEEESG_yNS9_4plusIvEENS9_8equal_toIvEEyEE10hipError_tPvRmT2_T3_T4_T5_mT6_T7_P12ihipStream_tbENKUlT_T0_E_clISt17integral_constantIbLb0EES11_EEDaSW_SX_EUlSW_E_NS1_11comp_targetILNS1_3genE9ELNS1_11target_archE1100ELNS1_3gpuE3ELNS1_3repE0EEENS1_30default_config_static_selectorELNS0_4arch9wavefront6targetE1EEEvT1_
    .private_segment_fixed_size: 0
    .sgpr_count:     4
    .sgpr_spill_count: 0
    .symbol:         _ZN7rocprim17ROCPRIM_400000_NS6detail17trampoline_kernelINS0_14default_configENS1_27scan_by_key_config_selectorIiyEEZZNS1_16scan_by_key_implILNS1_25lookback_scan_determinismE0ELb1ES3_N6thrust23THRUST_200600_302600_NS6detail15normal_iteratorINS9_10device_ptrIiEEEENSB_INSC_IyEEEESG_yNS9_4plusIvEENS9_8equal_toIvEEyEE10hipError_tPvRmT2_T3_T4_T5_mT6_T7_P12ihipStream_tbENKUlT_T0_E_clISt17integral_constantIbLb0EES11_EEDaSW_SX_EUlSW_E_NS1_11comp_targetILNS1_3genE9ELNS1_11target_archE1100ELNS1_3gpuE3ELNS1_3repE0EEENS1_30default_config_static_selectorELNS0_4arch9wavefront6targetE1EEEvT1_.kd
    .uniform_work_group_size: 1
    .uses_dynamic_stack: false
    .vgpr_count:     0
    .vgpr_spill_count: 0
    .wavefront_size: 64
  - .agpr_count:     0
    .args:
      - .offset:         0
        .size:           136
        .value_kind:     by_value
    .group_segment_fixed_size: 0
    .kernarg_segment_align: 8
    .kernarg_segment_size: 136
    .language:       OpenCL C
    .language_version:
      - 2
      - 0
    .max_flat_workgroup_size: 256
    .name:           _ZN7rocprim17ROCPRIM_400000_NS6detail17trampoline_kernelINS0_14default_configENS1_27scan_by_key_config_selectorIiyEEZZNS1_16scan_by_key_implILNS1_25lookback_scan_determinismE0ELb1ES3_N6thrust23THRUST_200600_302600_NS6detail15normal_iteratorINS9_10device_ptrIiEEEENSB_INSC_IyEEEESG_yNS9_4plusIvEENS9_8equal_toIvEEyEE10hipError_tPvRmT2_T3_T4_T5_mT6_T7_P12ihipStream_tbENKUlT_T0_E_clISt17integral_constantIbLb0EES11_EEDaSW_SX_EUlSW_E_NS1_11comp_targetILNS1_3genE8ELNS1_11target_archE1030ELNS1_3gpuE2ELNS1_3repE0EEENS1_30default_config_static_selectorELNS0_4arch9wavefront6targetE1EEEvT1_
    .private_segment_fixed_size: 0
    .sgpr_count:     4
    .sgpr_spill_count: 0
    .symbol:         _ZN7rocprim17ROCPRIM_400000_NS6detail17trampoline_kernelINS0_14default_configENS1_27scan_by_key_config_selectorIiyEEZZNS1_16scan_by_key_implILNS1_25lookback_scan_determinismE0ELb1ES3_N6thrust23THRUST_200600_302600_NS6detail15normal_iteratorINS9_10device_ptrIiEEEENSB_INSC_IyEEEESG_yNS9_4plusIvEENS9_8equal_toIvEEyEE10hipError_tPvRmT2_T3_T4_T5_mT6_T7_P12ihipStream_tbENKUlT_T0_E_clISt17integral_constantIbLb0EES11_EEDaSW_SX_EUlSW_E_NS1_11comp_targetILNS1_3genE8ELNS1_11target_archE1030ELNS1_3gpuE2ELNS1_3repE0EEENS1_30default_config_static_selectorELNS0_4arch9wavefront6targetE1EEEvT1_.kd
    .uniform_work_group_size: 1
    .uses_dynamic_stack: false
    .vgpr_count:     0
    .vgpr_spill_count: 0
    .wavefront_size: 64
  - .agpr_count:     0
    .args:
      - .offset:         0
        .size:           136
        .value_kind:     by_value
    .group_segment_fixed_size: 0
    .kernarg_segment_align: 8
    .kernarg_segment_size: 136
    .language:       OpenCL C
    .language_version:
      - 2
      - 0
    .max_flat_workgroup_size: 128
    .name:           _ZN7rocprim17ROCPRIM_400000_NS6detail17trampoline_kernelINS0_14default_configENS1_27scan_by_key_config_selectorIiyEEZZNS1_16scan_by_key_implILNS1_25lookback_scan_determinismE0ELb1ES3_N6thrust23THRUST_200600_302600_NS6detail15normal_iteratorINS9_10device_ptrIiEEEENSB_INSC_IyEEEESG_yNS9_4plusIvEENS9_8equal_toIvEEyEE10hipError_tPvRmT2_T3_T4_T5_mT6_T7_P12ihipStream_tbENKUlT_T0_E_clISt17integral_constantIbLb1EES11_EEDaSW_SX_EUlSW_E_NS1_11comp_targetILNS1_3genE0ELNS1_11target_archE4294967295ELNS1_3gpuE0ELNS1_3repE0EEENS1_30default_config_static_selectorELNS0_4arch9wavefront6targetE1EEEvT1_
    .private_segment_fixed_size: 0
    .sgpr_count:     4
    .sgpr_spill_count: 0
    .symbol:         _ZN7rocprim17ROCPRIM_400000_NS6detail17trampoline_kernelINS0_14default_configENS1_27scan_by_key_config_selectorIiyEEZZNS1_16scan_by_key_implILNS1_25lookback_scan_determinismE0ELb1ES3_N6thrust23THRUST_200600_302600_NS6detail15normal_iteratorINS9_10device_ptrIiEEEENSB_INSC_IyEEEESG_yNS9_4plusIvEENS9_8equal_toIvEEyEE10hipError_tPvRmT2_T3_T4_T5_mT6_T7_P12ihipStream_tbENKUlT_T0_E_clISt17integral_constantIbLb1EES11_EEDaSW_SX_EUlSW_E_NS1_11comp_targetILNS1_3genE0ELNS1_11target_archE4294967295ELNS1_3gpuE0ELNS1_3repE0EEENS1_30default_config_static_selectorELNS0_4arch9wavefront6targetE1EEEvT1_.kd
    .uniform_work_group_size: 1
    .uses_dynamic_stack: false
    .vgpr_count:     0
    .vgpr_spill_count: 0
    .wavefront_size: 64
  - .agpr_count:     0
    .args:
      - .offset:         0
        .size:           136
        .value_kind:     by_value
    .group_segment_fixed_size: 0
    .kernarg_segment_align: 8
    .kernarg_segment_size: 136
    .language:       OpenCL C
    .language_version:
      - 2
      - 0
    .max_flat_workgroup_size: 256
    .name:           _ZN7rocprim17ROCPRIM_400000_NS6detail17trampoline_kernelINS0_14default_configENS1_27scan_by_key_config_selectorIiyEEZZNS1_16scan_by_key_implILNS1_25lookback_scan_determinismE0ELb1ES3_N6thrust23THRUST_200600_302600_NS6detail15normal_iteratorINS9_10device_ptrIiEEEENSB_INSC_IyEEEESG_yNS9_4plusIvEENS9_8equal_toIvEEyEE10hipError_tPvRmT2_T3_T4_T5_mT6_T7_P12ihipStream_tbENKUlT_T0_E_clISt17integral_constantIbLb1EES11_EEDaSW_SX_EUlSW_E_NS1_11comp_targetILNS1_3genE10ELNS1_11target_archE1201ELNS1_3gpuE5ELNS1_3repE0EEENS1_30default_config_static_selectorELNS0_4arch9wavefront6targetE1EEEvT1_
    .private_segment_fixed_size: 0
    .sgpr_count:     4
    .sgpr_spill_count: 0
    .symbol:         _ZN7rocprim17ROCPRIM_400000_NS6detail17trampoline_kernelINS0_14default_configENS1_27scan_by_key_config_selectorIiyEEZZNS1_16scan_by_key_implILNS1_25lookback_scan_determinismE0ELb1ES3_N6thrust23THRUST_200600_302600_NS6detail15normal_iteratorINS9_10device_ptrIiEEEENSB_INSC_IyEEEESG_yNS9_4plusIvEENS9_8equal_toIvEEyEE10hipError_tPvRmT2_T3_T4_T5_mT6_T7_P12ihipStream_tbENKUlT_T0_E_clISt17integral_constantIbLb1EES11_EEDaSW_SX_EUlSW_E_NS1_11comp_targetILNS1_3genE10ELNS1_11target_archE1201ELNS1_3gpuE5ELNS1_3repE0EEENS1_30default_config_static_selectorELNS0_4arch9wavefront6targetE1EEEvT1_.kd
    .uniform_work_group_size: 1
    .uses_dynamic_stack: false
    .vgpr_count:     0
    .vgpr_spill_count: 0
    .wavefront_size: 64
  - .agpr_count:     0
    .args:
      - .offset:         0
        .size:           136
        .value_kind:     by_value
    .group_segment_fixed_size: 0
    .kernarg_segment_align: 8
    .kernarg_segment_size: 136
    .language:       OpenCL C
    .language_version:
      - 2
      - 0
    .max_flat_workgroup_size: 256
    .name:           _ZN7rocprim17ROCPRIM_400000_NS6detail17trampoline_kernelINS0_14default_configENS1_27scan_by_key_config_selectorIiyEEZZNS1_16scan_by_key_implILNS1_25lookback_scan_determinismE0ELb1ES3_N6thrust23THRUST_200600_302600_NS6detail15normal_iteratorINS9_10device_ptrIiEEEENSB_INSC_IyEEEESG_yNS9_4plusIvEENS9_8equal_toIvEEyEE10hipError_tPvRmT2_T3_T4_T5_mT6_T7_P12ihipStream_tbENKUlT_T0_E_clISt17integral_constantIbLb1EES11_EEDaSW_SX_EUlSW_E_NS1_11comp_targetILNS1_3genE5ELNS1_11target_archE942ELNS1_3gpuE9ELNS1_3repE0EEENS1_30default_config_static_selectorELNS0_4arch9wavefront6targetE1EEEvT1_
    .private_segment_fixed_size: 0
    .sgpr_count:     4
    .sgpr_spill_count: 0
    .symbol:         _ZN7rocprim17ROCPRIM_400000_NS6detail17trampoline_kernelINS0_14default_configENS1_27scan_by_key_config_selectorIiyEEZZNS1_16scan_by_key_implILNS1_25lookback_scan_determinismE0ELb1ES3_N6thrust23THRUST_200600_302600_NS6detail15normal_iteratorINS9_10device_ptrIiEEEENSB_INSC_IyEEEESG_yNS9_4plusIvEENS9_8equal_toIvEEyEE10hipError_tPvRmT2_T3_T4_T5_mT6_T7_P12ihipStream_tbENKUlT_T0_E_clISt17integral_constantIbLb1EES11_EEDaSW_SX_EUlSW_E_NS1_11comp_targetILNS1_3genE5ELNS1_11target_archE942ELNS1_3gpuE9ELNS1_3repE0EEENS1_30default_config_static_selectorELNS0_4arch9wavefront6targetE1EEEvT1_.kd
    .uniform_work_group_size: 1
    .uses_dynamic_stack: false
    .vgpr_count:     0
    .vgpr_spill_count: 0
    .wavefront_size: 64
  - .agpr_count:     0
    .args:
      - .offset:         0
        .size:           136
        .value_kind:     by_value
    .group_segment_fixed_size: 10752
    .kernarg_segment_align: 8
    .kernarg_segment_size: 136
    .language:       OpenCL C
    .language_version:
      - 2
      - 0
    .max_flat_workgroup_size: 64
    .name:           _ZN7rocprim17ROCPRIM_400000_NS6detail17trampoline_kernelINS0_14default_configENS1_27scan_by_key_config_selectorIiyEEZZNS1_16scan_by_key_implILNS1_25lookback_scan_determinismE0ELb1ES3_N6thrust23THRUST_200600_302600_NS6detail15normal_iteratorINS9_10device_ptrIiEEEENSB_INSC_IyEEEESG_yNS9_4plusIvEENS9_8equal_toIvEEyEE10hipError_tPvRmT2_T3_T4_T5_mT6_T7_P12ihipStream_tbENKUlT_T0_E_clISt17integral_constantIbLb1EES11_EEDaSW_SX_EUlSW_E_NS1_11comp_targetILNS1_3genE4ELNS1_11target_archE910ELNS1_3gpuE8ELNS1_3repE0EEENS1_30default_config_static_selectorELNS0_4arch9wavefront6targetE1EEEvT1_
    .private_segment_fixed_size: 0
    .sgpr_count:     78
    .sgpr_spill_count: 0
    .symbol:         _ZN7rocprim17ROCPRIM_400000_NS6detail17trampoline_kernelINS0_14default_configENS1_27scan_by_key_config_selectorIiyEEZZNS1_16scan_by_key_implILNS1_25lookback_scan_determinismE0ELb1ES3_N6thrust23THRUST_200600_302600_NS6detail15normal_iteratorINS9_10device_ptrIiEEEENSB_INSC_IyEEEESG_yNS9_4plusIvEENS9_8equal_toIvEEyEE10hipError_tPvRmT2_T3_T4_T5_mT6_T7_P12ihipStream_tbENKUlT_T0_E_clISt17integral_constantIbLb1EES11_EEDaSW_SX_EUlSW_E_NS1_11comp_targetILNS1_3genE4ELNS1_11target_archE910ELNS1_3gpuE8ELNS1_3repE0EEENS1_30default_config_static_selectorELNS0_4arch9wavefront6targetE1EEEvT1_.kd
    .uniform_work_group_size: 1
    .uses_dynamic_stack: false
    .vgpr_count:     130
    .vgpr_spill_count: 0
    .wavefront_size: 64
  - .agpr_count:     0
    .args:
      - .offset:         0
        .size:           136
        .value_kind:     by_value
    .group_segment_fixed_size: 0
    .kernarg_segment_align: 8
    .kernarg_segment_size: 136
    .language:       OpenCL C
    .language_version:
      - 2
      - 0
    .max_flat_workgroup_size: 128
    .name:           _ZN7rocprim17ROCPRIM_400000_NS6detail17trampoline_kernelINS0_14default_configENS1_27scan_by_key_config_selectorIiyEEZZNS1_16scan_by_key_implILNS1_25lookback_scan_determinismE0ELb1ES3_N6thrust23THRUST_200600_302600_NS6detail15normal_iteratorINS9_10device_ptrIiEEEENSB_INSC_IyEEEESG_yNS9_4plusIvEENS9_8equal_toIvEEyEE10hipError_tPvRmT2_T3_T4_T5_mT6_T7_P12ihipStream_tbENKUlT_T0_E_clISt17integral_constantIbLb1EES11_EEDaSW_SX_EUlSW_E_NS1_11comp_targetILNS1_3genE3ELNS1_11target_archE908ELNS1_3gpuE7ELNS1_3repE0EEENS1_30default_config_static_selectorELNS0_4arch9wavefront6targetE1EEEvT1_
    .private_segment_fixed_size: 0
    .sgpr_count:     4
    .sgpr_spill_count: 0
    .symbol:         _ZN7rocprim17ROCPRIM_400000_NS6detail17trampoline_kernelINS0_14default_configENS1_27scan_by_key_config_selectorIiyEEZZNS1_16scan_by_key_implILNS1_25lookback_scan_determinismE0ELb1ES3_N6thrust23THRUST_200600_302600_NS6detail15normal_iteratorINS9_10device_ptrIiEEEENSB_INSC_IyEEEESG_yNS9_4plusIvEENS9_8equal_toIvEEyEE10hipError_tPvRmT2_T3_T4_T5_mT6_T7_P12ihipStream_tbENKUlT_T0_E_clISt17integral_constantIbLb1EES11_EEDaSW_SX_EUlSW_E_NS1_11comp_targetILNS1_3genE3ELNS1_11target_archE908ELNS1_3gpuE7ELNS1_3repE0EEENS1_30default_config_static_selectorELNS0_4arch9wavefront6targetE1EEEvT1_.kd
    .uniform_work_group_size: 1
    .uses_dynamic_stack: false
    .vgpr_count:     0
    .vgpr_spill_count: 0
    .wavefront_size: 64
  - .agpr_count:     0
    .args:
      - .offset:         0
        .size:           136
        .value_kind:     by_value
    .group_segment_fixed_size: 0
    .kernarg_segment_align: 8
    .kernarg_segment_size: 136
    .language:       OpenCL C
    .language_version:
      - 2
      - 0
    .max_flat_workgroup_size: 64
    .name:           _ZN7rocprim17ROCPRIM_400000_NS6detail17trampoline_kernelINS0_14default_configENS1_27scan_by_key_config_selectorIiyEEZZNS1_16scan_by_key_implILNS1_25lookback_scan_determinismE0ELb1ES3_N6thrust23THRUST_200600_302600_NS6detail15normal_iteratorINS9_10device_ptrIiEEEENSB_INSC_IyEEEESG_yNS9_4plusIvEENS9_8equal_toIvEEyEE10hipError_tPvRmT2_T3_T4_T5_mT6_T7_P12ihipStream_tbENKUlT_T0_E_clISt17integral_constantIbLb1EES11_EEDaSW_SX_EUlSW_E_NS1_11comp_targetILNS1_3genE2ELNS1_11target_archE906ELNS1_3gpuE6ELNS1_3repE0EEENS1_30default_config_static_selectorELNS0_4arch9wavefront6targetE1EEEvT1_
    .private_segment_fixed_size: 0
    .sgpr_count:     4
    .sgpr_spill_count: 0
    .symbol:         _ZN7rocprim17ROCPRIM_400000_NS6detail17trampoline_kernelINS0_14default_configENS1_27scan_by_key_config_selectorIiyEEZZNS1_16scan_by_key_implILNS1_25lookback_scan_determinismE0ELb1ES3_N6thrust23THRUST_200600_302600_NS6detail15normal_iteratorINS9_10device_ptrIiEEEENSB_INSC_IyEEEESG_yNS9_4plusIvEENS9_8equal_toIvEEyEE10hipError_tPvRmT2_T3_T4_T5_mT6_T7_P12ihipStream_tbENKUlT_T0_E_clISt17integral_constantIbLb1EES11_EEDaSW_SX_EUlSW_E_NS1_11comp_targetILNS1_3genE2ELNS1_11target_archE906ELNS1_3gpuE6ELNS1_3repE0EEENS1_30default_config_static_selectorELNS0_4arch9wavefront6targetE1EEEvT1_.kd
    .uniform_work_group_size: 1
    .uses_dynamic_stack: false
    .vgpr_count:     0
    .vgpr_spill_count: 0
    .wavefront_size: 64
  - .agpr_count:     0
    .args:
      - .offset:         0
        .size:           136
        .value_kind:     by_value
    .group_segment_fixed_size: 0
    .kernarg_segment_align: 8
    .kernarg_segment_size: 136
    .language:       OpenCL C
    .language_version:
      - 2
      - 0
    .max_flat_workgroup_size: 256
    .name:           _ZN7rocprim17ROCPRIM_400000_NS6detail17trampoline_kernelINS0_14default_configENS1_27scan_by_key_config_selectorIiyEEZZNS1_16scan_by_key_implILNS1_25lookback_scan_determinismE0ELb1ES3_N6thrust23THRUST_200600_302600_NS6detail15normal_iteratorINS9_10device_ptrIiEEEENSB_INSC_IyEEEESG_yNS9_4plusIvEENS9_8equal_toIvEEyEE10hipError_tPvRmT2_T3_T4_T5_mT6_T7_P12ihipStream_tbENKUlT_T0_E_clISt17integral_constantIbLb1EES11_EEDaSW_SX_EUlSW_E_NS1_11comp_targetILNS1_3genE10ELNS1_11target_archE1200ELNS1_3gpuE4ELNS1_3repE0EEENS1_30default_config_static_selectorELNS0_4arch9wavefront6targetE1EEEvT1_
    .private_segment_fixed_size: 0
    .sgpr_count:     4
    .sgpr_spill_count: 0
    .symbol:         _ZN7rocprim17ROCPRIM_400000_NS6detail17trampoline_kernelINS0_14default_configENS1_27scan_by_key_config_selectorIiyEEZZNS1_16scan_by_key_implILNS1_25lookback_scan_determinismE0ELb1ES3_N6thrust23THRUST_200600_302600_NS6detail15normal_iteratorINS9_10device_ptrIiEEEENSB_INSC_IyEEEESG_yNS9_4plusIvEENS9_8equal_toIvEEyEE10hipError_tPvRmT2_T3_T4_T5_mT6_T7_P12ihipStream_tbENKUlT_T0_E_clISt17integral_constantIbLb1EES11_EEDaSW_SX_EUlSW_E_NS1_11comp_targetILNS1_3genE10ELNS1_11target_archE1200ELNS1_3gpuE4ELNS1_3repE0EEENS1_30default_config_static_selectorELNS0_4arch9wavefront6targetE1EEEvT1_.kd
    .uniform_work_group_size: 1
    .uses_dynamic_stack: false
    .vgpr_count:     0
    .vgpr_spill_count: 0
    .wavefront_size: 64
  - .agpr_count:     0
    .args:
      - .offset:         0
        .size:           136
        .value_kind:     by_value
    .group_segment_fixed_size: 0
    .kernarg_segment_align: 8
    .kernarg_segment_size: 136
    .language:       OpenCL C
    .language_version:
      - 2
      - 0
    .max_flat_workgroup_size: 256
    .name:           _ZN7rocprim17ROCPRIM_400000_NS6detail17trampoline_kernelINS0_14default_configENS1_27scan_by_key_config_selectorIiyEEZZNS1_16scan_by_key_implILNS1_25lookback_scan_determinismE0ELb1ES3_N6thrust23THRUST_200600_302600_NS6detail15normal_iteratorINS9_10device_ptrIiEEEENSB_INSC_IyEEEESG_yNS9_4plusIvEENS9_8equal_toIvEEyEE10hipError_tPvRmT2_T3_T4_T5_mT6_T7_P12ihipStream_tbENKUlT_T0_E_clISt17integral_constantIbLb1EES11_EEDaSW_SX_EUlSW_E_NS1_11comp_targetILNS1_3genE9ELNS1_11target_archE1100ELNS1_3gpuE3ELNS1_3repE0EEENS1_30default_config_static_selectorELNS0_4arch9wavefront6targetE1EEEvT1_
    .private_segment_fixed_size: 0
    .sgpr_count:     4
    .sgpr_spill_count: 0
    .symbol:         _ZN7rocprim17ROCPRIM_400000_NS6detail17trampoline_kernelINS0_14default_configENS1_27scan_by_key_config_selectorIiyEEZZNS1_16scan_by_key_implILNS1_25lookback_scan_determinismE0ELb1ES3_N6thrust23THRUST_200600_302600_NS6detail15normal_iteratorINS9_10device_ptrIiEEEENSB_INSC_IyEEEESG_yNS9_4plusIvEENS9_8equal_toIvEEyEE10hipError_tPvRmT2_T3_T4_T5_mT6_T7_P12ihipStream_tbENKUlT_T0_E_clISt17integral_constantIbLb1EES11_EEDaSW_SX_EUlSW_E_NS1_11comp_targetILNS1_3genE9ELNS1_11target_archE1100ELNS1_3gpuE3ELNS1_3repE0EEENS1_30default_config_static_selectorELNS0_4arch9wavefront6targetE1EEEvT1_.kd
    .uniform_work_group_size: 1
    .uses_dynamic_stack: false
    .vgpr_count:     0
    .vgpr_spill_count: 0
    .wavefront_size: 64
  - .agpr_count:     0
    .args:
      - .offset:         0
        .size:           136
        .value_kind:     by_value
    .group_segment_fixed_size: 0
    .kernarg_segment_align: 8
    .kernarg_segment_size: 136
    .language:       OpenCL C
    .language_version:
      - 2
      - 0
    .max_flat_workgroup_size: 256
    .name:           _ZN7rocprim17ROCPRIM_400000_NS6detail17trampoline_kernelINS0_14default_configENS1_27scan_by_key_config_selectorIiyEEZZNS1_16scan_by_key_implILNS1_25lookback_scan_determinismE0ELb1ES3_N6thrust23THRUST_200600_302600_NS6detail15normal_iteratorINS9_10device_ptrIiEEEENSB_INSC_IyEEEESG_yNS9_4plusIvEENS9_8equal_toIvEEyEE10hipError_tPvRmT2_T3_T4_T5_mT6_T7_P12ihipStream_tbENKUlT_T0_E_clISt17integral_constantIbLb1EES11_EEDaSW_SX_EUlSW_E_NS1_11comp_targetILNS1_3genE8ELNS1_11target_archE1030ELNS1_3gpuE2ELNS1_3repE0EEENS1_30default_config_static_selectorELNS0_4arch9wavefront6targetE1EEEvT1_
    .private_segment_fixed_size: 0
    .sgpr_count:     4
    .sgpr_spill_count: 0
    .symbol:         _ZN7rocprim17ROCPRIM_400000_NS6detail17trampoline_kernelINS0_14default_configENS1_27scan_by_key_config_selectorIiyEEZZNS1_16scan_by_key_implILNS1_25lookback_scan_determinismE0ELb1ES3_N6thrust23THRUST_200600_302600_NS6detail15normal_iteratorINS9_10device_ptrIiEEEENSB_INSC_IyEEEESG_yNS9_4plusIvEENS9_8equal_toIvEEyEE10hipError_tPvRmT2_T3_T4_T5_mT6_T7_P12ihipStream_tbENKUlT_T0_E_clISt17integral_constantIbLb1EES11_EEDaSW_SX_EUlSW_E_NS1_11comp_targetILNS1_3genE8ELNS1_11target_archE1030ELNS1_3gpuE2ELNS1_3repE0EEENS1_30default_config_static_selectorELNS0_4arch9wavefront6targetE1EEEvT1_.kd
    .uniform_work_group_size: 1
    .uses_dynamic_stack: false
    .vgpr_count:     0
    .vgpr_spill_count: 0
    .wavefront_size: 64
  - .agpr_count:     0
    .args:
      - .offset:         0
        .size:           136
        .value_kind:     by_value
    .group_segment_fixed_size: 0
    .kernarg_segment_align: 8
    .kernarg_segment_size: 136
    .language:       OpenCL C
    .language_version:
      - 2
      - 0
    .max_flat_workgroup_size: 128
    .name:           _ZN7rocprim17ROCPRIM_400000_NS6detail17trampoline_kernelINS0_14default_configENS1_27scan_by_key_config_selectorIiyEEZZNS1_16scan_by_key_implILNS1_25lookback_scan_determinismE0ELb1ES3_N6thrust23THRUST_200600_302600_NS6detail15normal_iteratorINS9_10device_ptrIiEEEENSB_INSC_IyEEEESG_yNS9_4plusIvEENS9_8equal_toIvEEyEE10hipError_tPvRmT2_T3_T4_T5_mT6_T7_P12ihipStream_tbENKUlT_T0_E_clISt17integral_constantIbLb1EES10_IbLb0EEEEDaSW_SX_EUlSW_E_NS1_11comp_targetILNS1_3genE0ELNS1_11target_archE4294967295ELNS1_3gpuE0ELNS1_3repE0EEENS1_30default_config_static_selectorELNS0_4arch9wavefront6targetE1EEEvT1_
    .private_segment_fixed_size: 0
    .sgpr_count:     4
    .sgpr_spill_count: 0
    .symbol:         _ZN7rocprim17ROCPRIM_400000_NS6detail17trampoline_kernelINS0_14default_configENS1_27scan_by_key_config_selectorIiyEEZZNS1_16scan_by_key_implILNS1_25lookback_scan_determinismE0ELb1ES3_N6thrust23THRUST_200600_302600_NS6detail15normal_iteratorINS9_10device_ptrIiEEEENSB_INSC_IyEEEESG_yNS9_4plusIvEENS9_8equal_toIvEEyEE10hipError_tPvRmT2_T3_T4_T5_mT6_T7_P12ihipStream_tbENKUlT_T0_E_clISt17integral_constantIbLb1EES10_IbLb0EEEEDaSW_SX_EUlSW_E_NS1_11comp_targetILNS1_3genE0ELNS1_11target_archE4294967295ELNS1_3gpuE0ELNS1_3repE0EEENS1_30default_config_static_selectorELNS0_4arch9wavefront6targetE1EEEvT1_.kd
    .uniform_work_group_size: 1
    .uses_dynamic_stack: false
    .vgpr_count:     0
    .vgpr_spill_count: 0
    .wavefront_size: 64
  - .agpr_count:     0
    .args:
      - .offset:         0
        .size:           136
        .value_kind:     by_value
    .group_segment_fixed_size: 0
    .kernarg_segment_align: 8
    .kernarg_segment_size: 136
    .language:       OpenCL C
    .language_version:
      - 2
      - 0
    .max_flat_workgroup_size: 256
    .name:           _ZN7rocprim17ROCPRIM_400000_NS6detail17trampoline_kernelINS0_14default_configENS1_27scan_by_key_config_selectorIiyEEZZNS1_16scan_by_key_implILNS1_25lookback_scan_determinismE0ELb1ES3_N6thrust23THRUST_200600_302600_NS6detail15normal_iteratorINS9_10device_ptrIiEEEENSB_INSC_IyEEEESG_yNS9_4plusIvEENS9_8equal_toIvEEyEE10hipError_tPvRmT2_T3_T4_T5_mT6_T7_P12ihipStream_tbENKUlT_T0_E_clISt17integral_constantIbLb1EES10_IbLb0EEEEDaSW_SX_EUlSW_E_NS1_11comp_targetILNS1_3genE10ELNS1_11target_archE1201ELNS1_3gpuE5ELNS1_3repE0EEENS1_30default_config_static_selectorELNS0_4arch9wavefront6targetE1EEEvT1_
    .private_segment_fixed_size: 0
    .sgpr_count:     4
    .sgpr_spill_count: 0
    .symbol:         _ZN7rocprim17ROCPRIM_400000_NS6detail17trampoline_kernelINS0_14default_configENS1_27scan_by_key_config_selectorIiyEEZZNS1_16scan_by_key_implILNS1_25lookback_scan_determinismE0ELb1ES3_N6thrust23THRUST_200600_302600_NS6detail15normal_iteratorINS9_10device_ptrIiEEEENSB_INSC_IyEEEESG_yNS9_4plusIvEENS9_8equal_toIvEEyEE10hipError_tPvRmT2_T3_T4_T5_mT6_T7_P12ihipStream_tbENKUlT_T0_E_clISt17integral_constantIbLb1EES10_IbLb0EEEEDaSW_SX_EUlSW_E_NS1_11comp_targetILNS1_3genE10ELNS1_11target_archE1201ELNS1_3gpuE5ELNS1_3repE0EEENS1_30default_config_static_selectorELNS0_4arch9wavefront6targetE1EEEvT1_.kd
    .uniform_work_group_size: 1
    .uses_dynamic_stack: false
    .vgpr_count:     0
    .vgpr_spill_count: 0
    .wavefront_size: 64
  - .agpr_count:     0
    .args:
      - .offset:         0
        .size:           136
        .value_kind:     by_value
    .group_segment_fixed_size: 0
    .kernarg_segment_align: 8
    .kernarg_segment_size: 136
    .language:       OpenCL C
    .language_version:
      - 2
      - 0
    .max_flat_workgroup_size: 256
    .name:           _ZN7rocprim17ROCPRIM_400000_NS6detail17trampoline_kernelINS0_14default_configENS1_27scan_by_key_config_selectorIiyEEZZNS1_16scan_by_key_implILNS1_25lookback_scan_determinismE0ELb1ES3_N6thrust23THRUST_200600_302600_NS6detail15normal_iteratorINS9_10device_ptrIiEEEENSB_INSC_IyEEEESG_yNS9_4plusIvEENS9_8equal_toIvEEyEE10hipError_tPvRmT2_T3_T4_T5_mT6_T7_P12ihipStream_tbENKUlT_T0_E_clISt17integral_constantIbLb1EES10_IbLb0EEEEDaSW_SX_EUlSW_E_NS1_11comp_targetILNS1_3genE5ELNS1_11target_archE942ELNS1_3gpuE9ELNS1_3repE0EEENS1_30default_config_static_selectorELNS0_4arch9wavefront6targetE1EEEvT1_
    .private_segment_fixed_size: 0
    .sgpr_count:     4
    .sgpr_spill_count: 0
    .symbol:         _ZN7rocprim17ROCPRIM_400000_NS6detail17trampoline_kernelINS0_14default_configENS1_27scan_by_key_config_selectorIiyEEZZNS1_16scan_by_key_implILNS1_25lookback_scan_determinismE0ELb1ES3_N6thrust23THRUST_200600_302600_NS6detail15normal_iteratorINS9_10device_ptrIiEEEENSB_INSC_IyEEEESG_yNS9_4plusIvEENS9_8equal_toIvEEyEE10hipError_tPvRmT2_T3_T4_T5_mT6_T7_P12ihipStream_tbENKUlT_T0_E_clISt17integral_constantIbLb1EES10_IbLb0EEEEDaSW_SX_EUlSW_E_NS1_11comp_targetILNS1_3genE5ELNS1_11target_archE942ELNS1_3gpuE9ELNS1_3repE0EEENS1_30default_config_static_selectorELNS0_4arch9wavefront6targetE1EEEvT1_.kd
    .uniform_work_group_size: 1
    .uses_dynamic_stack: false
    .vgpr_count:     0
    .vgpr_spill_count: 0
    .wavefront_size: 64
  - .agpr_count:     0
    .args:
      - .offset:         0
        .size:           136
        .value_kind:     by_value
    .group_segment_fixed_size: 10752
    .kernarg_segment_align: 8
    .kernarg_segment_size: 136
    .language:       OpenCL C
    .language_version:
      - 2
      - 0
    .max_flat_workgroup_size: 64
    .name:           _ZN7rocprim17ROCPRIM_400000_NS6detail17trampoline_kernelINS0_14default_configENS1_27scan_by_key_config_selectorIiyEEZZNS1_16scan_by_key_implILNS1_25lookback_scan_determinismE0ELb1ES3_N6thrust23THRUST_200600_302600_NS6detail15normal_iteratorINS9_10device_ptrIiEEEENSB_INSC_IyEEEESG_yNS9_4plusIvEENS9_8equal_toIvEEyEE10hipError_tPvRmT2_T3_T4_T5_mT6_T7_P12ihipStream_tbENKUlT_T0_E_clISt17integral_constantIbLb1EES10_IbLb0EEEEDaSW_SX_EUlSW_E_NS1_11comp_targetILNS1_3genE4ELNS1_11target_archE910ELNS1_3gpuE8ELNS1_3repE0EEENS1_30default_config_static_selectorELNS0_4arch9wavefront6targetE1EEEvT1_
    .private_segment_fixed_size: 0
    .sgpr_count:     81
    .sgpr_spill_count: 0
    .symbol:         _ZN7rocprim17ROCPRIM_400000_NS6detail17trampoline_kernelINS0_14default_configENS1_27scan_by_key_config_selectorIiyEEZZNS1_16scan_by_key_implILNS1_25lookback_scan_determinismE0ELb1ES3_N6thrust23THRUST_200600_302600_NS6detail15normal_iteratorINS9_10device_ptrIiEEEENSB_INSC_IyEEEESG_yNS9_4plusIvEENS9_8equal_toIvEEyEE10hipError_tPvRmT2_T3_T4_T5_mT6_T7_P12ihipStream_tbENKUlT_T0_E_clISt17integral_constantIbLb1EES10_IbLb0EEEEDaSW_SX_EUlSW_E_NS1_11comp_targetILNS1_3genE4ELNS1_11target_archE910ELNS1_3gpuE8ELNS1_3repE0EEENS1_30default_config_static_selectorELNS0_4arch9wavefront6targetE1EEEvT1_.kd
    .uniform_work_group_size: 1
    .uses_dynamic_stack: false
    .vgpr_count:     128
    .vgpr_spill_count: 0
    .wavefront_size: 64
  - .agpr_count:     0
    .args:
      - .offset:         0
        .size:           136
        .value_kind:     by_value
    .group_segment_fixed_size: 0
    .kernarg_segment_align: 8
    .kernarg_segment_size: 136
    .language:       OpenCL C
    .language_version:
      - 2
      - 0
    .max_flat_workgroup_size: 128
    .name:           _ZN7rocprim17ROCPRIM_400000_NS6detail17trampoline_kernelINS0_14default_configENS1_27scan_by_key_config_selectorIiyEEZZNS1_16scan_by_key_implILNS1_25lookback_scan_determinismE0ELb1ES3_N6thrust23THRUST_200600_302600_NS6detail15normal_iteratorINS9_10device_ptrIiEEEENSB_INSC_IyEEEESG_yNS9_4plusIvEENS9_8equal_toIvEEyEE10hipError_tPvRmT2_T3_T4_T5_mT6_T7_P12ihipStream_tbENKUlT_T0_E_clISt17integral_constantIbLb1EES10_IbLb0EEEEDaSW_SX_EUlSW_E_NS1_11comp_targetILNS1_3genE3ELNS1_11target_archE908ELNS1_3gpuE7ELNS1_3repE0EEENS1_30default_config_static_selectorELNS0_4arch9wavefront6targetE1EEEvT1_
    .private_segment_fixed_size: 0
    .sgpr_count:     4
    .sgpr_spill_count: 0
    .symbol:         _ZN7rocprim17ROCPRIM_400000_NS6detail17trampoline_kernelINS0_14default_configENS1_27scan_by_key_config_selectorIiyEEZZNS1_16scan_by_key_implILNS1_25lookback_scan_determinismE0ELb1ES3_N6thrust23THRUST_200600_302600_NS6detail15normal_iteratorINS9_10device_ptrIiEEEENSB_INSC_IyEEEESG_yNS9_4plusIvEENS9_8equal_toIvEEyEE10hipError_tPvRmT2_T3_T4_T5_mT6_T7_P12ihipStream_tbENKUlT_T0_E_clISt17integral_constantIbLb1EES10_IbLb0EEEEDaSW_SX_EUlSW_E_NS1_11comp_targetILNS1_3genE3ELNS1_11target_archE908ELNS1_3gpuE7ELNS1_3repE0EEENS1_30default_config_static_selectorELNS0_4arch9wavefront6targetE1EEEvT1_.kd
    .uniform_work_group_size: 1
    .uses_dynamic_stack: false
    .vgpr_count:     0
    .vgpr_spill_count: 0
    .wavefront_size: 64
  - .agpr_count:     0
    .args:
      - .offset:         0
        .size:           136
        .value_kind:     by_value
    .group_segment_fixed_size: 0
    .kernarg_segment_align: 8
    .kernarg_segment_size: 136
    .language:       OpenCL C
    .language_version:
      - 2
      - 0
    .max_flat_workgroup_size: 64
    .name:           _ZN7rocprim17ROCPRIM_400000_NS6detail17trampoline_kernelINS0_14default_configENS1_27scan_by_key_config_selectorIiyEEZZNS1_16scan_by_key_implILNS1_25lookback_scan_determinismE0ELb1ES3_N6thrust23THRUST_200600_302600_NS6detail15normal_iteratorINS9_10device_ptrIiEEEENSB_INSC_IyEEEESG_yNS9_4plusIvEENS9_8equal_toIvEEyEE10hipError_tPvRmT2_T3_T4_T5_mT6_T7_P12ihipStream_tbENKUlT_T0_E_clISt17integral_constantIbLb1EES10_IbLb0EEEEDaSW_SX_EUlSW_E_NS1_11comp_targetILNS1_3genE2ELNS1_11target_archE906ELNS1_3gpuE6ELNS1_3repE0EEENS1_30default_config_static_selectorELNS0_4arch9wavefront6targetE1EEEvT1_
    .private_segment_fixed_size: 0
    .sgpr_count:     4
    .sgpr_spill_count: 0
    .symbol:         _ZN7rocprim17ROCPRIM_400000_NS6detail17trampoline_kernelINS0_14default_configENS1_27scan_by_key_config_selectorIiyEEZZNS1_16scan_by_key_implILNS1_25lookback_scan_determinismE0ELb1ES3_N6thrust23THRUST_200600_302600_NS6detail15normal_iteratorINS9_10device_ptrIiEEEENSB_INSC_IyEEEESG_yNS9_4plusIvEENS9_8equal_toIvEEyEE10hipError_tPvRmT2_T3_T4_T5_mT6_T7_P12ihipStream_tbENKUlT_T0_E_clISt17integral_constantIbLb1EES10_IbLb0EEEEDaSW_SX_EUlSW_E_NS1_11comp_targetILNS1_3genE2ELNS1_11target_archE906ELNS1_3gpuE6ELNS1_3repE0EEENS1_30default_config_static_selectorELNS0_4arch9wavefront6targetE1EEEvT1_.kd
    .uniform_work_group_size: 1
    .uses_dynamic_stack: false
    .vgpr_count:     0
    .vgpr_spill_count: 0
    .wavefront_size: 64
  - .agpr_count:     0
    .args:
      - .offset:         0
        .size:           136
        .value_kind:     by_value
    .group_segment_fixed_size: 0
    .kernarg_segment_align: 8
    .kernarg_segment_size: 136
    .language:       OpenCL C
    .language_version:
      - 2
      - 0
    .max_flat_workgroup_size: 256
    .name:           _ZN7rocprim17ROCPRIM_400000_NS6detail17trampoline_kernelINS0_14default_configENS1_27scan_by_key_config_selectorIiyEEZZNS1_16scan_by_key_implILNS1_25lookback_scan_determinismE0ELb1ES3_N6thrust23THRUST_200600_302600_NS6detail15normal_iteratorINS9_10device_ptrIiEEEENSB_INSC_IyEEEESG_yNS9_4plusIvEENS9_8equal_toIvEEyEE10hipError_tPvRmT2_T3_T4_T5_mT6_T7_P12ihipStream_tbENKUlT_T0_E_clISt17integral_constantIbLb1EES10_IbLb0EEEEDaSW_SX_EUlSW_E_NS1_11comp_targetILNS1_3genE10ELNS1_11target_archE1200ELNS1_3gpuE4ELNS1_3repE0EEENS1_30default_config_static_selectorELNS0_4arch9wavefront6targetE1EEEvT1_
    .private_segment_fixed_size: 0
    .sgpr_count:     4
    .sgpr_spill_count: 0
    .symbol:         _ZN7rocprim17ROCPRIM_400000_NS6detail17trampoline_kernelINS0_14default_configENS1_27scan_by_key_config_selectorIiyEEZZNS1_16scan_by_key_implILNS1_25lookback_scan_determinismE0ELb1ES3_N6thrust23THRUST_200600_302600_NS6detail15normal_iteratorINS9_10device_ptrIiEEEENSB_INSC_IyEEEESG_yNS9_4plusIvEENS9_8equal_toIvEEyEE10hipError_tPvRmT2_T3_T4_T5_mT6_T7_P12ihipStream_tbENKUlT_T0_E_clISt17integral_constantIbLb1EES10_IbLb0EEEEDaSW_SX_EUlSW_E_NS1_11comp_targetILNS1_3genE10ELNS1_11target_archE1200ELNS1_3gpuE4ELNS1_3repE0EEENS1_30default_config_static_selectorELNS0_4arch9wavefront6targetE1EEEvT1_.kd
    .uniform_work_group_size: 1
    .uses_dynamic_stack: false
    .vgpr_count:     0
    .vgpr_spill_count: 0
    .wavefront_size: 64
  - .agpr_count:     0
    .args:
      - .offset:         0
        .size:           136
        .value_kind:     by_value
    .group_segment_fixed_size: 0
    .kernarg_segment_align: 8
    .kernarg_segment_size: 136
    .language:       OpenCL C
    .language_version:
      - 2
      - 0
    .max_flat_workgroup_size: 256
    .name:           _ZN7rocprim17ROCPRIM_400000_NS6detail17trampoline_kernelINS0_14default_configENS1_27scan_by_key_config_selectorIiyEEZZNS1_16scan_by_key_implILNS1_25lookback_scan_determinismE0ELb1ES3_N6thrust23THRUST_200600_302600_NS6detail15normal_iteratorINS9_10device_ptrIiEEEENSB_INSC_IyEEEESG_yNS9_4plusIvEENS9_8equal_toIvEEyEE10hipError_tPvRmT2_T3_T4_T5_mT6_T7_P12ihipStream_tbENKUlT_T0_E_clISt17integral_constantIbLb1EES10_IbLb0EEEEDaSW_SX_EUlSW_E_NS1_11comp_targetILNS1_3genE9ELNS1_11target_archE1100ELNS1_3gpuE3ELNS1_3repE0EEENS1_30default_config_static_selectorELNS0_4arch9wavefront6targetE1EEEvT1_
    .private_segment_fixed_size: 0
    .sgpr_count:     4
    .sgpr_spill_count: 0
    .symbol:         _ZN7rocprim17ROCPRIM_400000_NS6detail17trampoline_kernelINS0_14default_configENS1_27scan_by_key_config_selectorIiyEEZZNS1_16scan_by_key_implILNS1_25lookback_scan_determinismE0ELb1ES3_N6thrust23THRUST_200600_302600_NS6detail15normal_iteratorINS9_10device_ptrIiEEEENSB_INSC_IyEEEESG_yNS9_4plusIvEENS9_8equal_toIvEEyEE10hipError_tPvRmT2_T3_T4_T5_mT6_T7_P12ihipStream_tbENKUlT_T0_E_clISt17integral_constantIbLb1EES10_IbLb0EEEEDaSW_SX_EUlSW_E_NS1_11comp_targetILNS1_3genE9ELNS1_11target_archE1100ELNS1_3gpuE3ELNS1_3repE0EEENS1_30default_config_static_selectorELNS0_4arch9wavefront6targetE1EEEvT1_.kd
    .uniform_work_group_size: 1
    .uses_dynamic_stack: false
    .vgpr_count:     0
    .vgpr_spill_count: 0
    .wavefront_size: 64
  - .agpr_count:     0
    .args:
      - .offset:         0
        .size:           136
        .value_kind:     by_value
    .group_segment_fixed_size: 0
    .kernarg_segment_align: 8
    .kernarg_segment_size: 136
    .language:       OpenCL C
    .language_version:
      - 2
      - 0
    .max_flat_workgroup_size: 256
    .name:           _ZN7rocprim17ROCPRIM_400000_NS6detail17trampoline_kernelINS0_14default_configENS1_27scan_by_key_config_selectorIiyEEZZNS1_16scan_by_key_implILNS1_25lookback_scan_determinismE0ELb1ES3_N6thrust23THRUST_200600_302600_NS6detail15normal_iteratorINS9_10device_ptrIiEEEENSB_INSC_IyEEEESG_yNS9_4plusIvEENS9_8equal_toIvEEyEE10hipError_tPvRmT2_T3_T4_T5_mT6_T7_P12ihipStream_tbENKUlT_T0_E_clISt17integral_constantIbLb1EES10_IbLb0EEEEDaSW_SX_EUlSW_E_NS1_11comp_targetILNS1_3genE8ELNS1_11target_archE1030ELNS1_3gpuE2ELNS1_3repE0EEENS1_30default_config_static_selectorELNS0_4arch9wavefront6targetE1EEEvT1_
    .private_segment_fixed_size: 0
    .sgpr_count:     4
    .sgpr_spill_count: 0
    .symbol:         _ZN7rocprim17ROCPRIM_400000_NS6detail17trampoline_kernelINS0_14default_configENS1_27scan_by_key_config_selectorIiyEEZZNS1_16scan_by_key_implILNS1_25lookback_scan_determinismE0ELb1ES3_N6thrust23THRUST_200600_302600_NS6detail15normal_iteratorINS9_10device_ptrIiEEEENSB_INSC_IyEEEESG_yNS9_4plusIvEENS9_8equal_toIvEEyEE10hipError_tPvRmT2_T3_T4_T5_mT6_T7_P12ihipStream_tbENKUlT_T0_E_clISt17integral_constantIbLb1EES10_IbLb0EEEEDaSW_SX_EUlSW_E_NS1_11comp_targetILNS1_3genE8ELNS1_11target_archE1030ELNS1_3gpuE2ELNS1_3repE0EEENS1_30default_config_static_selectorELNS0_4arch9wavefront6targetE1EEEvT1_.kd
    .uniform_work_group_size: 1
    .uses_dynamic_stack: false
    .vgpr_count:     0
    .vgpr_spill_count: 0
    .wavefront_size: 64
  - .agpr_count:     0
    .args:
      - .offset:         0
        .size:           136
        .value_kind:     by_value
    .group_segment_fixed_size: 0
    .kernarg_segment_align: 8
    .kernarg_segment_size: 136
    .language:       OpenCL C
    .language_version:
      - 2
      - 0
    .max_flat_workgroup_size: 128
    .name:           _ZN7rocprim17ROCPRIM_400000_NS6detail17trampoline_kernelINS0_14default_configENS1_27scan_by_key_config_selectorIiyEEZZNS1_16scan_by_key_implILNS1_25lookback_scan_determinismE0ELb1ES3_N6thrust23THRUST_200600_302600_NS6detail15normal_iteratorINS9_10device_ptrIiEEEENSB_INSC_IyEEEESG_yNS9_4plusIvEENS9_8equal_toIvEEyEE10hipError_tPvRmT2_T3_T4_T5_mT6_T7_P12ihipStream_tbENKUlT_T0_E_clISt17integral_constantIbLb0EES10_IbLb1EEEEDaSW_SX_EUlSW_E_NS1_11comp_targetILNS1_3genE0ELNS1_11target_archE4294967295ELNS1_3gpuE0ELNS1_3repE0EEENS1_30default_config_static_selectorELNS0_4arch9wavefront6targetE1EEEvT1_
    .private_segment_fixed_size: 0
    .sgpr_count:     4
    .sgpr_spill_count: 0
    .symbol:         _ZN7rocprim17ROCPRIM_400000_NS6detail17trampoline_kernelINS0_14default_configENS1_27scan_by_key_config_selectorIiyEEZZNS1_16scan_by_key_implILNS1_25lookback_scan_determinismE0ELb1ES3_N6thrust23THRUST_200600_302600_NS6detail15normal_iteratorINS9_10device_ptrIiEEEENSB_INSC_IyEEEESG_yNS9_4plusIvEENS9_8equal_toIvEEyEE10hipError_tPvRmT2_T3_T4_T5_mT6_T7_P12ihipStream_tbENKUlT_T0_E_clISt17integral_constantIbLb0EES10_IbLb1EEEEDaSW_SX_EUlSW_E_NS1_11comp_targetILNS1_3genE0ELNS1_11target_archE4294967295ELNS1_3gpuE0ELNS1_3repE0EEENS1_30default_config_static_selectorELNS0_4arch9wavefront6targetE1EEEvT1_.kd
    .uniform_work_group_size: 1
    .uses_dynamic_stack: false
    .vgpr_count:     0
    .vgpr_spill_count: 0
    .wavefront_size: 64
  - .agpr_count:     0
    .args:
      - .offset:         0
        .size:           136
        .value_kind:     by_value
    .group_segment_fixed_size: 0
    .kernarg_segment_align: 8
    .kernarg_segment_size: 136
    .language:       OpenCL C
    .language_version:
      - 2
      - 0
    .max_flat_workgroup_size: 256
    .name:           _ZN7rocprim17ROCPRIM_400000_NS6detail17trampoline_kernelINS0_14default_configENS1_27scan_by_key_config_selectorIiyEEZZNS1_16scan_by_key_implILNS1_25lookback_scan_determinismE0ELb1ES3_N6thrust23THRUST_200600_302600_NS6detail15normal_iteratorINS9_10device_ptrIiEEEENSB_INSC_IyEEEESG_yNS9_4plusIvEENS9_8equal_toIvEEyEE10hipError_tPvRmT2_T3_T4_T5_mT6_T7_P12ihipStream_tbENKUlT_T0_E_clISt17integral_constantIbLb0EES10_IbLb1EEEEDaSW_SX_EUlSW_E_NS1_11comp_targetILNS1_3genE10ELNS1_11target_archE1201ELNS1_3gpuE5ELNS1_3repE0EEENS1_30default_config_static_selectorELNS0_4arch9wavefront6targetE1EEEvT1_
    .private_segment_fixed_size: 0
    .sgpr_count:     4
    .sgpr_spill_count: 0
    .symbol:         _ZN7rocprim17ROCPRIM_400000_NS6detail17trampoline_kernelINS0_14default_configENS1_27scan_by_key_config_selectorIiyEEZZNS1_16scan_by_key_implILNS1_25lookback_scan_determinismE0ELb1ES3_N6thrust23THRUST_200600_302600_NS6detail15normal_iteratorINS9_10device_ptrIiEEEENSB_INSC_IyEEEESG_yNS9_4plusIvEENS9_8equal_toIvEEyEE10hipError_tPvRmT2_T3_T4_T5_mT6_T7_P12ihipStream_tbENKUlT_T0_E_clISt17integral_constantIbLb0EES10_IbLb1EEEEDaSW_SX_EUlSW_E_NS1_11comp_targetILNS1_3genE10ELNS1_11target_archE1201ELNS1_3gpuE5ELNS1_3repE0EEENS1_30default_config_static_selectorELNS0_4arch9wavefront6targetE1EEEvT1_.kd
    .uniform_work_group_size: 1
    .uses_dynamic_stack: false
    .vgpr_count:     0
    .vgpr_spill_count: 0
    .wavefront_size: 64
  - .agpr_count:     0
    .args:
      - .offset:         0
        .size:           136
        .value_kind:     by_value
    .group_segment_fixed_size: 0
    .kernarg_segment_align: 8
    .kernarg_segment_size: 136
    .language:       OpenCL C
    .language_version:
      - 2
      - 0
    .max_flat_workgroup_size: 256
    .name:           _ZN7rocprim17ROCPRIM_400000_NS6detail17trampoline_kernelINS0_14default_configENS1_27scan_by_key_config_selectorIiyEEZZNS1_16scan_by_key_implILNS1_25lookback_scan_determinismE0ELb1ES3_N6thrust23THRUST_200600_302600_NS6detail15normal_iteratorINS9_10device_ptrIiEEEENSB_INSC_IyEEEESG_yNS9_4plusIvEENS9_8equal_toIvEEyEE10hipError_tPvRmT2_T3_T4_T5_mT6_T7_P12ihipStream_tbENKUlT_T0_E_clISt17integral_constantIbLb0EES10_IbLb1EEEEDaSW_SX_EUlSW_E_NS1_11comp_targetILNS1_3genE5ELNS1_11target_archE942ELNS1_3gpuE9ELNS1_3repE0EEENS1_30default_config_static_selectorELNS0_4arch9wavefront6targetE1EEEvT1_
    .private_segment_fixed_size: 0
    .sgpr_count:     4
    .sgpr_spill_count: 0
    .symbol:         _ZN7rocprim17ROCPRIM_400000_NS6detail17trampoline_kernelINS0_14default_configENS1_27scan_by_key_config_selectorIiyEEZZNS1_16scan_by_key_implILNS1_25lookback_scan_determinismE0ELb1ES3_N6thrust23THRUST_200600_302600_NS6detail15normal_iteratorINS9_10device_ptrIiEEEENSB_INSC_IyEEEESG_yNS9_4plusIvEENS9_8equal_toIvEEyEE10hipError_tPvRmT2_T3_T4_T5_mT6_T7_P12ihipStream_tbENKUlT_T0_E_clISt17integral_constantIbLb0EES10_IbLb1EEEEDaSW_SX_EUlSW_E_NS1_11comp_targetILNS1_3genE5ELNS1_11target_archE942ELNS1_3gpuE9ELNS1_3repE0EEENS1_30default_config_static_selectorELNS0_4arch9wavefront6targetE1EEEvT1_.kd
    .uniform_work_group_size: 1
    .uses_dynamic_stack: false
    .vgpr_count:     0
    .vgpr_spill_count: 0
    .wavefront_size: 64
  - .agpr_count:     0
    .args:
      - .offset:         0
        .size:           136
        .value_kind:     by_value
    .group_segment_fixed_size: 10752
    .kernarg_segment_align: 8
    .kernarg_segment_size: 136
    .language:       OpenCL C
    .language_version:
      - 2
      - 0
    .max_flat_workgroup_size: 64
    .name:           _ZN7rocprim17ROCPRIM_400000_NS6detail17trampoline_kernelINS0_14default_configENS1_27scan_by_key_config_selectorIiyEEZZNS1_16scan_by_key_implILNS1_25lookback_scan_determinismE0ELb1ES3_N6thrust23THRUST_200600_302600_NS6detail15normal_iteratorINS9_10device_ptrIiEEEENSB_INSC_IyEEEESG_yNS9_4plusIvEENS9_8equal_toIvEEyEE10hipError_tPvRmT2_T3_T4_T5_mT6_T7_P12ihipStream_tbENKUlT_T0_E_clISt17integral_constantIbLb0EES10_IbLb1EEEEDaSW_SX_EUlSW_E_NS1_11comp_targetILNS1_3genE4ELNS1_11target_archE910ELNS1_3gpuE8ELNS1_3repE0EEENS1_30default_config_static_selectorELNS0_4arch9wavefront6targetE1EEEvT1_
    .private_segment_fixed_size: 0
    .sgpr_count:     77
    .sgpr_spill_count: 0
    .symbol:         _ZN7rocprim17ROCPRIM_400000_NS6detail17trampoline_kernelINS0_14default_configENS1_27scan_by_key_config_selectorIiyEEZZNS1_16scan_by_key_implILNS1_25lookback_scan_determinismE0ELb1ES3_N6thrust23THRUST_200600_302600_NS6detail15normal_iteratorINS9_10device_ptrIiEEEENSB_INSC_IyEEEESG_yNS9_4plusIvEENS9_8equal_toIvEEyEE10hipError_tPvRmT2_T3_T4_T5_mT6_T7_P12ihipStream_tbENKUlT_T0_E_clISt17integral_constantIbLb0EES10_IbLb1EEEEDaSW_SX_EUlSW_E_NS1_11comp_targetILNS1_3genE4ELNS1_11target_archE910ELNS1_3gpuE8ELNS1_3repE0EEENS1_30default_config_static_selectorELNS0_4arch9wavefront6targetE1EEEvT1_.kd
    .uniform_work_group_size: 1
    .uses_dynamic_stack: false
    .vgpr_count:     130
    .vgpr_spill_count: 0
    .wavefront_size: 64
  - .agpr_count:     0
    .args:
      - .offset:         0
        .size:           136
        .value_kind:     by_value
    .group_segment_fixed_size: 0
    .kernarg_segment_align: 8
    .kernarg_segment_size: 136
    .language:       OpenCL C
    .language_version:
      - 2
      - 0
    .max_flat_workgroup_size: 128
    .name:           _ZN7rocprim17ROCPRIM_400000_NS6detail17trampoline_kernelINS0_14default_configENS1_27scan_by_key_config_selectorIiyEEZZNS1_16scan_by_key_implILNS1_25lookback_scan_determinismE0ELb1ES3_N6thrust23THRUST_200600_302600_NS6detail15normal_iteratorINS9_10device_ptrIiEEEENSB_INSC_IyEEEESG_yNS9_4plusIvEENS9_8equal_toIvEEyEE10hipError_tPvRmT2_T3_T4_T5_mT6_T7_P12ihipStream_tbENKUlT_T0_E_clISt17integral_constantIbLb0EES10_IbLb1EEEEDaSW_SX_EUlSW_E_NS1_11comp_targetILNS1_3genE3ELNS1_11target_archE908ELNS1_3gpuE7ELNS1_3repE0EEENS1_30default_config_static_selectorELNS0_4arch9wavefront6targetE1EEEvT1_
    .private_segment_fixed_size: 0
    .sgpr_count:     4
    .sgpr_spill_count: 0
    .symbol:         _ZN7rocprim17ROCPRIM_400000_NS6detail17trampoline_kernelINS0_14default_configENS1_27scan_by_key_config_selectorIiyEEZZNS1_16scan_by_key_implILNS1_25lookback_scan_determinismE0ELb1ES3_N6thrust23THRUST_200600_302600_NS6detail15normal_iteratorINS9_10device_ptrIiEEEENSB_INSC_IyEEEESG_yNS9_4plusIvEENS9_8equal_toIvEEyEE10hipError_tPvRmT2_T3_T4_T5_mT6_T7_P12ihipStream_tbENKUlT_T0_E_clISt17integral_constantIbLb0EES10_IbLb1EEEEDaSW_SX_EUlSW_E_NS1_11comp_targetILNS1_3genE3ELNS1_11target_archE908ELNS1_3gpuE7ELNS1_3repE0EEENS1_30default_config_static_selectorELNS0_4arch9wavefront6targetE1EEEvT1_.kd
    .uniform_work_group_size: 1
    .uses_dynamic_stack: false
    .vgpr_count:     0
    .vgpr_spill_count: 0
    .wavefront_size: 64
  - .agpr_count:     0
    .args:
      - .offset:         0
        .size:           136
        .value_kind:     by_value
    .group_segment_fixed_size: 0
    .kernarg_segment_align: 8
    .kernarg_segment_size: 136
    .language:       OpenCL C
    .language_version:
      - 2
      - 0
    .max_flat_workgroup_size: 64
    .name:           _ZN7rocprim17ROCPRIM_400000_NS6detail17trampoline_kernelINS0_14default_configENS1_27scan_by_key_config_selectorIiyEEZZNS1_16scan_by_key_implILNS1_25lookback_scan_determinismE0ELb1ES3_N6thrust23THRUST_200600_302600_NS6detail15normal_iteratorINS9_10device_ptrIiEEEENSB_INSC_IyEEEESG_yNS9_4plusIvEENS9_8equal_toIvEEyEE10hipError_tPvRmT2_T3_T4_T5_mT6_T7_P12ihipStream_tbENKUlT_T0_E_clISt17integral_constantIbLb0EES10_IbLb1EEEEDaSW_SX_EUlSW_E_NS1_11comp_targetILNS1_3genE2ELNS1_11target_archE906ELNS1_3gpuE6ELNS1_3repE0EEENS1_30default_config_static_selectorELNS0_4arch9wavefront6targetE1EEEvT1_
    .private_segment_fixed_size: 0
    .sgpr_count:     4
    .sgpr_spill_count: 0
    .symbol:         _ZN7rocprim17ROCPRIM_400000_NS6detail17trampoline_kernelINS0_14default_configENS1_27scan_by_key_config_selectorIiyEEZZNS1_16scan_by_key_implILNS1_25lookback_scan_determinismE0ELb1ES3_N6thrust23THRUST_200600_302600_NS6detail15normal_iteratorINS9_10device_ptrIiEEEENSB_INSC_IyEEEESG_yNS9_4plusIvEENS9_8equal_toIvEEyEE10hipError_tPvRmT2_T3_T4_T5_mT6_T7_P12ihipStream_tbENKUlT_T0_E_clISt17integral_constantIbLb0EES10_IbLb1EEEEDaSW_SX_EUlSW_E_NS1_11comp_targetILNS1_3genE2ELNS1_11target_archE906ELNS1_3gpuE6ELNS1_3repE0EEENS1_30default_config_static_selectorELNS0_4arch9wavefront6targetE1EEEvT1_.kd
    .uniform_work_group_size: 1
    .uses_dynamic_stack: false
    .vgpr_count:     0
    .vgpr_spill_count: 0
    .wavefront_size: 64
  - .agpr_count:     0
    .args:
      - .offset:         0
        .size:           136
        .value_kind:     by_value
    .group_segment_fixed_size: 0
    .kernarg_segment_align: 8
    .kernarg_segment_size: 136
    .language:       OpenCL C
    .language_version:
      - 2
      - 0
    .max_flat_workgroup_size: 256
    .name:           _ZN7rocprim17ROCPRIM_400000_NS6detail17trampoline_kernelINS0_14default_configENS1_27scan_by_key_config_selectorIiyEEZZNS1_16scan_by_key_implILNS1_25lookback_scan_determinismE0ELb1ES3_N6thrust23THRUST_200600_302600_NS6detail15normal_iteratorINS9_10device_ptrIiEEEENSB_INSC_IyEEEESG_yNS9_4plusIvEENS9_8equal_toIvEEyEE10hipError_tPvRmT2_T3_T4_T5_mT6_T7_P12ihipStream_tbENKUlT_T0_E_clISt17integral_constantIbLb0EES10_IbLb1EEEEDaSW_SX_EUlSW_E_NS1_11comp_targetILNS1_3genE10ELNS1_11target_archE1200ELNS1_3gpuE4ELNS1_3repE0EEENS1_30default_config_static_selectorELNS0_4arch9wavefront6targetE1EEEvT1_
    .private_segment_fixed_size: 0
    .sgpr_count:     4
    .sgpr_spill_count: 0
    .symbol:         _ZN7rocprim17ROCPRIM_400000_NS6detail17trampoline_kernelINS0_14default_configENS1_27scan_by_key_config_selectorIiyEEZZNS1_16scan_by_key_implILNS1_25lookback_scan_determinismE0ELb1ES3_N6thrust23THRUST_200600_302600_NS6detail15normal_iteratorINS9_10device_ptrIiEEEENSB_INSC_IyEEEESG_yNS9_4plusIvEENS9_8equal_toIvEEyEE10hipError_tPvRmT2_T3_T4_T5_mT6_T7_P12ihipStream_tbENKUlT_T0_E_clISt17integral_constantIbLb0EES10_IbLb1EEEEDaSW_SX_EUlSW_E_NS1_11comp_targetILNS1_3genE10ELNS1_11target_archE1200ELNS1_3gpuE4ELNS1_3repE0EEENS1_30default_config_static_selectorELNS0_4arch9wavefront6targetE1EEEvT1_.kd
    .uniform_work_group_size: 1
    .uses_dynamic_stack: false
    .vgpr_count:     0
    .vgpr_spill_count: 0
    .wavefront_size: 64
  - .agpr_count:     0
    .args:
      - .offset:         0
        .size:           136
        .value_kind:     by_value
    .group_segment_fixed_size: 0
    .kernarg_segment_align: 8
    .kernarg_segment_size: 136
    .language:       OpenCL C
    .language_version:
      - 2
      - 0
    .max_flat_workgroup_size: 256
    .name:           _ZN7rocprim17ROCPRIM_400000_NS6detail17trampoline_kernelINS0_14default_configENS1_27scan_by_key_config_selectorIiyEEZZNS1_16scan_by_key_implILNS1_25lookback_scan_determinismE0ELb1ES3_N6thrust23THRUST_200600_302600_NS6detail15normal_iteratorINS9_10device_ptrIiEEEENSB_INSC_IyEEEESG_yNS9_4plusIvEENS9_8equal_toIvEEyEE10hipError_tPvRmT2_T3_T4_T5_mT6_T7_P12ihipStream_tbENKUlT_T0_E_clISt17integral_constantIbLb0EES10_IbLb1EEEEDaSW_SX_EUlSW_E_NS1_11comp_targetILNS1_3genE9ELNS1_11target_archE1100ELNS1_3gpuE3ELNS1_3repE0EEENS1_30default_config_static_selectorELNS0_4arch9wavefront6targetE1EEEvT1_
    .private_segment_fixed_size: 0
    .sgpr_count:     4
    .sgpr_spill_count: 0
    .symbol:         _ZN7rocprim17ROCPRIM_400000_NS6detail17trampoline_kernelINS0_14default_configENS1_27scan_by_key_config_selectorIiyEEZZNS1_16scan_by_key_implILNS1_25lookback_scan_determinismE0ELb1ES3_N6thrust23THRUST_200600_302600_NS6detail15normal_iteratorINS9_10device_ptrIiEEEENSB_INSC_IyEEEESG_yNS9_4plusIvEENS9_8equal_toIvEEyEE10hipError_tPvRmT2_T3_T4_T5_mT6_T7_P12ihipStream_tbENKUlT_T0_E_clISt17integral_constantIbLb0EES10_IbLb1EEEEDaSW_SX_EUlSW_E_NS1_11comp_targetILNS1_3genE9ELNS1_11target_archE1100ELNS1_3gpuE3ELNS1_3repE0EEENS1_30default_config_static_selectorELNS0_4arch9wavefront6targetE1EEEvT1_.kd
    .uniform_work_group_size: 1
    .uses_dynamic_stack: false
    .vgpr_count:     0
    .vgpr_spill_count: 0
    .wavefront_size: 64
  - .agpr_count:     0
    .args:
      - .offset:         0
        .size:           136
        .value_kind:     by_value
    .group_segment_fixed_size: 0
    .kernarg_segment_align: 8
    .kernarg_segment_size: 136
    .language:       OpenCL C
    .language_version:
      - 2
      - 0
    .max_flat_workgroup_size: 256
    .name:           _ZN7rocprim17ROCPRIM_400000_NS6detail17trampoline_kernelINS0_14default_configENS1_27scan_by_key_config_selectorIiyEEZZNS1_16scan_by_key_implILNS1_25lookback_scan_determinismE0ELb1ES3_N6thrust23THRUST_200600_302600_NS6detail15normal_iteratorINS9_10device_ptrIiEEEENSB_INSC_IyEEEESG_yNS9_4plusIvEENS9_8equal_toIvEEyEE10hipError_tPvRmT2_T3_T4_T5_mT6_T7_P12ihipStream_tbENKUlT_T0_E_clISt17integral_constantIbLb0EES10_IbLb1EEEEDaSW_SX_EUlSW_E_NS1_11comp_targetILNS1_3genE8ELNS1_11target_archE1030ELNS1_3gpuE2ELNS1_3repE0EEENS1_30default_config_static_selectorELNS0_4arch9wavefront6targetE1EEEvT1_
    .private_segment_fixed_size: 0
    .sgpr_count:     4
    .sgpr_spill_count: 0
    .symbol:         _ZN7rocprim17ROCPRIM_400000_NS6detail17trampoline_kernelINS0_14default_configENS1_27scan_by_key_config_selectorIiyEEZZNS1_16scan_by_key_implILNS1_25lookback_scan_determinismE0ELb1ES3_N6thrust23THRUST_200600_302600_NS6detail15normal_iteratorINS9_10device_ptrIiEEEENSB_INSC_IyEEEESG_yNS9_4plusIvEENS9_8equal_toIvEEyEE10hipError_tPvRmT2_T3_T4_T5_mT6_T7_P12ihipStream_tbENKUlT_T0_E_clISt17integral_constantIbLb0EES10_IbLb1EEEEDaSW_SX_EUlSW_E_NS1_11comp_targetILNS1_3genE8ELNS1_11target_archE1030ELNS1_3gpuE2ELNS1_3repE0EEENS1_30default_config_static_selectorELNS0_4arch9wavefront6targetE1EEEvT1_.kd
    .uniform_work_group_size: 1
    .uses_dynamic_stack: false
    .vgpr_count:     0
    .vgpr_spill_count: 0
    .wavefront_size: 64
  - .agpr_count:     0
    .args:
      - .offset:         0
        .size:           112
        .value_kind:     by_value
    .group_segment_fixed_size: 0
    .kernarg_segment_align: 8
    .kernarg_segment_size: 112
    .language:       OpenCL C
    .language_version:
      - 2
      - 0
    .max_flat_workgroup_size: 256
    .name:           _ZN7rocprim17ROCPRIM_400000_NS6detail17trampoline_kernelINS0_14default_configENS1_27scan_by_key_config_selectorIijEEZZNS1_16scan_by_key_implILNS1_25lookback_scan_determinismE0ELb1ES3_N6thrust23THRUST_200600_302600_NS6detail15normal_iteratorINS9_10device_ptrIiEEEENSB_INSC_IjEEEESG_jNS9_4plusIvEENS9_8equal_toIvEEjEE10hipError_tPvRmT2_T3_T4_T5_mT6_T7_P12ihipStream_tbENKUlT_T0_E_clISt17integral_constantIbLb0EES11_EEDaSW_SX_EUlSW_E_NS1_11comp_targetILNS1_3genE0ELNS1_11target_archE4294967295ELNS1_3gpuE0ELNS1_3repE0EEENS1_30default_config_static_selectorELNS0_4arch9wavefront6targetE1EEEvT1_
    .private_segment_fixed_size: 0
    .sgpr_count:     4
    .sgpr_spill_count: 0
    .symbol:         _ZN7rocprim17ROCPRIM_400000_NS6detail17trampoline_kernelINS0_14default_configENS1_27scan_by_key_config_selectorIijEEZZNS1_16scan_by_key_implILNS1_25lookback_scan_determinismE0ELb1ES3_N6thrust23THRUST_200600_302600_NS6detail15normal_iteratorINS9_10device_ptrIiEEEENSB_INSC_IjEEEESG_jNS9_4plusIvEENS9_8equal_toIvEEjEE10hipError_tPvRmT2_T3_T4_T5_mT6_T7_P12ihipStream_tbENKUlT_T0_E_clISt17integral_constantIbLb0EES11_EEDaSW_SX_EUlSW_E_NS1_11comp_targetILNS1_3genE0ELNS1_11target_archE4294967295ELNS1_3gpuE0ELNS1_3repE0EEENS1_30default_config_static_selectorELNS0_4arch9wavefront6targetE1EEEvT1_.kd
    .uniform_work_group_size: 1
    .uses_dynamic_stack: false
    .vgpr_count:     0
    .vgpr_spill_count: 0
    .wavefront_size: 64
  - .agpr_count:     0
    .args:
      - .offset:         0
        .size:           112
        .value_kind:     by_value
    .group_segment_fixed_size: 0
    .kernarg_segment_align: 8
    .kernarg_segment_size: 112
    .language:       OpenCL C
    .language_version:
      - 2
      - 0
    .max_flat_workgroup_size: 256
    .name:           _ZN7rocprim17ROCPRIM_400000_NS6detail17trampoline_kernelINS0_14default_configENS1_27scan_by_key_config_selectorIijEEZZNS1_16scan_by_key_implILNS1_25lookback_scan_determinismE0ELb1ES3_N6thrust23THRUST_200600_302600_NS6detail15normal_iteratorINS9_10device_ptrIiEEEENSB_INSC_IjEEEESG_jNS9_4plusIvEENS9_8equal_toIvEEjEE10hipError_tPvRmT2_T3_T4_T5_mT6_T7_P12ihipStream_tbENKUlT_T0_E_clISt17integral_constantIbLb0EES11_EEDaSW_SX_EUlSW_E_NS1_11comp_targetILNS1_3genE10ELNS1_11target_archE1201ELNS1_3gpuE5ELNS1_3repE0EEENS1_30default_config_static_selectorELNS0_4arch9wavefront6targetE1EEEvT1_
    .private_segment_fixed_size: 0
    .sgpr_count:     4
    .sgpr_spill_count: 0
    .symbol:         _ZN7rocprim17ROCPRIM_400000_NS6detail17trampoline_kernelINS0_14default_configENS1_27scan_by_key_config_selectorIijEEZZNS1_16scan_by_key_implILNS1_25lookback_scan_determinismE0ELb1ES3_N6thrust23THRUST_200600_302600_NS6detail15normal_iteratorINS9_10device_ptrIiEEEENSB_INSC_IjEEEESG_jNS9_4plusIvEENS9_8equal_toIvEEjEE10hipError_tPvRmT2_T3_T4_T5_mT6_T7_P12ihipStream_tbENKUlT_T0_E_clISt17integral_constantIbLb0EES11_EEDaSW_SX_EUlSW_E_NS1_11comp_targetILNS1_3genE10ELNS1_11target_archE1201ELNS1_3gpuE5ELNS1_3repE0EEENS1_30default_config_static_selectorELNS0_4arch9wavefront6targetE1EEEvT1_.kd
    .uniform_work_group_size: 1
    .uses_dynamic_stack: false
    .vgpr_count:     0
    .vgpr_spill_count: 0
    .wavefront_size: 64
  - .agpr_count:     0
    .args:
      - .offset:         0
        .size:           112
        .value_kind:     by_value
    .group_segment_fixed_size: 0
    .kernarg_segment_align: 8
    .kernarg_segment_size: 112
    .language:       OpenCL C
    .language_version:
      - 2
      - 0
    .max_flat_workgroup_size: 256
    .name:           _ZN7rocprim17ROCPRIM_400000_NS6detail17trampoline_kernelINS0_14default_configENS1_27scan_by_key_config_selectorIijEEZZNS1_16scan_by_key_implILNS1_25lookback_scan_determinismE0ELb1ES3_N6thrust23THRUST_200600_302600_NS6detail15normal_iteratorINS9_10device_ptrIiEEEENSB_INSC_IjEEEESG_jNS9_4plusIvEENS9_8equal_toIvEEjEE10hipError_tPvRmT2_T3_T4_T5_mT6_T7_P12ihipStream_tbENKUlT_T0_E_clISt17integral_constantIbLb0EES11_EEDaSW_SX_EUlSW_E_NS1_11comp_targetILNS1_3genE5ELNS1_11target_archE942ELNS1_3gpuE9ELNS1_3repE0EEENS1_30default_config_static_selectorELNS0_4arch9wavefront6targetE1EEEvT1_
    .private_segment_fixed_size: 0
    .sgpr_count:     4
    .sgpr_spill_count: 0
    .symbol:         _ZN7rocprim17ROCPRIM_400000_NS6detail17trampoline_kernelINS0_14default_configENS1_27scan_by_key_config_selectorIijEEZZNS1_16scan_by_key_implILNS1_25lookback_scan_determinismE0ELb1ES3_N6thrust23THRUST_200600_302600_NS6detail15normal_iteratorINS9_10device_ptrIiEEEENSB_INSC_IjEEEESG_jNS9_4plusIvEENS9_8equal_toIvEEjEE10hipError_tPvRmT2_T3_T4_T5_mT6_T7_P12ihipStream_tbENKUlT_T0_E_clISt17integral_constantIbLb0EES11_EEDaSW_SX_EUlSW_E_NS1_11comp_targetILNS1_3genE5ELNS1_11target_archE942ELNS1_3gpuE9ELNS1_3repE0EEENS1_30default_config_static_selectorELNS0_4arch9wavefront6targetE1EEEvT1_.kd
    .uniform_work_group_size: 1
    .uses_dynamic_stack: false
    .vgpr_count:     0
    .vgpr_spill_count: 0
    .wavefront_size: 64
  - .agpr_count:     0
    .args:
      - .offset:         0
        .size:           112
        .value_kind:     by_value
    .group_segment_fixed_size: 16384
    .kernarg_segment_align: 8
    .kernarg_segment_size: 112
    .language:       OpenCL C
    .language_version:
      - 2
      - 0
    .max_flat_workgroup_size: 256
    .name:           _ZN7rocprim17ROCPRIM_400000_NS6detail17trampoline_kernelINS0_14default_configENS1_27scan_by_key_config_selectorIijEEZZNS1_16scan_by_key_implILNS1_25lookback_scan_determinismE0ELb1ES3_N6thrust23THRUST_200600_302600_NS6detail15normal_iteratorINS9_10device_ptrIiEEEENSB_INSC_IjEEEESG_jNS9_4plusIvEENS9_8equal_toIvEEjEE10hipError_tPvRmT2_T3_T4_T5_mT6_T7_P12ihipStream_tbENKUlT_T0_E_clISt17integral_constantIbLb0EES11_EEDaSW_SX_EUlSW_E_NS1_11comp_targetILNS1_3genE4ELNS1_11target_archE910ELNS1_3gpuE8ELNS1_3repE0EEENS1_30default_config_static_selectorELNS0_4arch9wavefront6targetE1EEEvT1_
    .private_segment_fixed_size: 0
    .sgpr_count:     64
    .sgpr_spill_count: 0
    .symbol:         _ZN7rocprim17ROCPRIM_400000_NS6detail17trampoline_kernelINS0_14default_configENS1_27scan_by_key_config_selectorIijEEZZNS1_16scan_by_key_implILNS1_25lookback_scan_determinismE0ELb1ES3_N6thrust23THRUST_200600_302600_NS6detail15normal_iteratorINS9_10device_ptrIiEEEENSB_INSC_IjEEEESG_jNS9_4plusIvEENS9_8equal_toIvEEjEE10hipError_tPvRmT2_T3_T4_T5_mT6_T7_P12ihipStream_tbENKUlT_T0_E_clISt17integral_constantIbLb0EES11_EEDaSW_SX_EUlSW_E_NS1_11comp_targetILNS1_3genE4ELNS1_11target_archE910ELNS1_3gpuE8ELNS1_3repE0EEENS1_30default_config_static_selectorELNS0_4arch9wavefront6targetE1EEEvT1_.kd
    .uniform_work_group_size: 1
    .uses_dynamic_stack: false
    .vgpr_count:     65
    .vgpr_spill_count: 0
    .wavefront_size: 64
  - .agpr_count:     0
    .args:
      - .offset:         0
        .size:           112
        .value_kind:     by_value
    .group_segment_fixed_size: 0
    .kernarg_segment_align: 8
    .kernarg_segment_size: 112
    .language:       OpenCL C
    .language_version:
      - 2
      - 0
    .max_flat_workgroup_size: 256
    .name:           _ZN7rocprim17ROCPRIM_400000_NS6detail17trampoline_kernelINS0_14default_configENS1_27scan_by_key_config_selectorIijEEZZNS1_16scan_by_key_implILNS1_25lookback_scan_determinismE0ELb1ES3_N6thrust23THRUST_200600_302600_NS6detail15normal_iteratorINS9_10device_ptrIiEEEENSB_INSC_IjEEEESG_jNS9_4plusIvEENS9_8equal_toIvEEjEE10hipError_tPvRmT2_T3_T4_T5_mT6_T7_P12ihipStream_tbENKUlT_T0_E_clISt17integral_constantIbLb0EES11_EEDaSW_SX_EUlSW_E_NS1_11comp_targetILNS1_3genE3ELNS1_11target_archE908ELNS1_3gpuE7ELNS1_3repE0EEENS1_30default_config_static_selectorELNS0_4arch9wavefront6targetE1EEEvT1_
    .private_segment_fixed_size: 0
    .sgpr_count:     4
    .sgpr_spill_count: 0
    .symbol:         _ZN7rocprim17ROCPRIM_400000_NS6detail17trampoline_kernelINS0_14default_configENS1_27scan_by_key_config_selectorIijEEZZNS1_16scan_by_key_implILNS1_25lookback_scan_determinismE0ELb1ES3_N6thrust23THRUST_200600_302600_NS6detail15normal_iteratorINS9_10device_ptrIiEEEENSB_INSC_IjEEEESG_jNS9_4plusIvEENS9_8equal_toIvEEjEE10hipError_tPvRmT2_T3_T4_T5_mT6_T7_P12ihipStream_tbENKUlT_T0_E_clISt17integral_constantIbLb0EES11_EEDaSW_SX_EUlSW_E_NS1_11comp_targetILNS1_3genE3ELNS1_11target_archE908ELNS1_3gpuE7ELNS1_3repE0EEENS1_30default_config_static_selectorELNS0_4arch9wavefront6targetE1EEEvT1_.kd
    .uniform_work_group_size: 1
    .uses_dynamic_stack: false
    .vgpr_count:     0
    .vgpr_spill_count: 0
    .wavefront_size: 64
  - .agpr_count:     0
    .args:
      - .offset:         0
        .size:           112
        .value_kind:     by_value
    .group_segment_fixed_size: 0
    .kernarg_segment_align: 8
    .kernarg_segment_size: 112
    .language:       OpenCL C
    .language_version:
      - 2
      - 0
    .max_flat_workgroup_size: 256
    .name:           _ZN7rocprim17ROCPRIM_400000_NS6detail17trampoline_kernelINS0_14default_configENS1_27scan_by_key_config_selectorIijEEZZNS1_16scan_by_key_implILNS1_25lookback_scan_determinismE0ELb1ES3_N6thrust23THRUST_200600_302600_NS6detail15normal_iteratorINS9_10device_ptrIiEEEENSB_INSC_IjEEEESG_jNS9_4plusIvEENS9_8equal_toIvEEjEE10hipError_tPvRmT2_T3_T4_T5_mT6_T7_P12ihipStream_tbENKUlT_T0_E_clISt17integral_constantIbLb0EES11_EEDaSW_SX_EUlSW_E_NS1_11comp_targetILNS1_3genE2ELNS1_11target_archE906ELNS1_3gpuE6ELNS1_3repE0EEENS1_30default_config_static_selectorELNS0_4arch9wavefront6targetE1EEEvT1_
    .private_segment_fixed_size: 0
    .sgpr_count:     4
    .sgpr_spill_count: 0
    .symbol:         _ZN7rocprim17ROCPRIM_400000_NS6detail17trampoline_kernelINS0_14default_configENS1_27scan_by_key_config_selectorIijEEZZNS1_16scan_by_key_implILNS1_25lookback_scan_determinismE0ELb1ES3_N6thrust23THRUST_200600_302600_NS6detail15normal_iteratorINS9_10device_ptrIiEEEENSB_INSC_IjEEEESG_jNS9_4plusIvEENS9_8equal_toIvEEjEE10hipError_tPvRmT2_T3_T4_T5_mT6_T7_P12ihipStream_tbENKUlT_T0_E_clISt17integral_constantIbLb0EES11_EEDaSW_SX_EUlSW_E_NS1_11comp_targetILNS1_3genE2ELNS1_11target_archE906ELNS1_3gpuE6ELNS1_3repE0EEENS1_30default_config_static_selectorELNS0_4arch9wavefront6targetE1EEEvT1_.kd
    .uniform_work_group_size: 1
    .uses_dynamic_stack: false
    .vgpr_count:     0
    .vgpr_spill_count: 0
    .wavefront_size: 64
  - .agpr_count:     0
    .args:
      - .offset:         0
        .size:           112
        .value_kind:     by_value
    .group_segment_fixed_size: 0
    .kernarg_segment_align: 8
    .kernarg_segment_size: 112
    .language:       OpenCL C
    .language_version:
      - 2
      - 0
    .max_flat_workgroup_size: 256
    .name:           _ZN7rocprim17ROCPRIM_400000_NS6detail17trampoline_kernelINS0_14default_configENS1_27scan_by_key_config_selectorIijEEZZNS1_16scan_by_key_implILNS1_25lookback_scan_determinismE0ELb1ES3_N6thrust23THRUST_200600_302600_NS6detail15normal_iteratorINS9_10device_ptrIiEEEENSB_INSC_IjEEEESG_jNS9_4plusIvEENS9_8equal_toIvEEjEE10hipError_tPvRmT2_T3_T4_T5_mT6_T7_P12ihipStream_tbENKUlT_T0_E_clISt17integral_constantIbLb0EES11_EEDaSW_SX_EUlSW_E_NS1_11comp_targetILNS1_3genE10ELNS1_11target_archE1200ELNS1_3gpuE4ELNS1_3repE0EEENS1_30default_config_static_selectorELNS0_4arch9wavefront6targetE1EEEvT1_
    .private_segment_fixed_size: 0
    .sgpr_count:     4
    .sgpr_spill_count: 0
    .symbol:         _ZN7rocprim17ROCPRIM_400000_NS6detail17trampoline_kernelINS0_14default_configENS1_27scan_by_key_config_selectorIijEEZZNS1_16scan_by_key_implILNS1_25lookback_scan_determinismE0ELb1ES3_N6thrust23THRUST_200600_302600_NS6detail15normal_iteratorINS9_10device_ptrIiEEEENSB_INSC_IjEEEESG_jNS9_4plusIvEENS9_8equal_toIvEEjEE10hipError_tPvRmT2_T3_T4_T5_mT6_T7_P12ihipStream_tbENKUlT_T0_E_clISt17integral_constantIbLb0EES11_EEDaSW_SX_EUlSW_E_NS1_11comp_targetILNS1_3genE10ELNS1_11target_archE1200ELNS1_3gpuE4ELNS1_3repE0EEENS1_30default_config_static_selectorELNS0_4arch9wavefront6targetE1EEEvT1_.kd
    .uniform_work_group_size: 1
    .uses_dynamic_stack: false
    .vgpr_count:     0
    .vgpr_spill_count: 0
    .wavefront_size: 64
  - .agpr_count:     0
    .args:
      - .offset:         0
        .size:           112
        .value_kind:     by_value
    .group_segment_fixed_size: 0
    .kernarg_segment_align: 8
    .kernarg_segment_size: 112
    .language:       OpenCL C
    .language_version:
      - 2
      - 0
    .max_flat_workgroup_size: 256
    .name:           _ZN7rocprim17ROCPRIM_400000_NS6detail17trampoline_kernelINS0_14default_configENS1_27scan_by_key_config_selectorIijEEZZNS1_16scan_by_key_implILNS1_25lookback_scan_determinismE0ELb1ES3_N6thrust23THRUST_200600_302600_NS6detail15normal_iteratorINS9_10device_ptrIiEEEENSB_INSC_IjEEEESG_jNS9_4plusIvEENS9_8equal_toIvEEjEE10hipError_tPvRmT2_T3_T4_T5_mT6_T7_P12ihipStream_tbENKUlT_T0_E_clISt17integral_constantIbLb0EES11_EEDaSW_SX_EUlSW_E_NS1_11comp_targetILNS1_3genE9ELNS1_11target_archE1100ELNS1_3gpuE3ELNS1_3repE0EEENS1_30default_config_static_selectorELNS0_4arch9wavefront6targetE1EEEvT1_
    .private_segment_fixed_size: 0
    .sgpr_count:     4
    .sgpr_spill_count: 0
    .symbol:         _ZN7rocprim17ROCPRIM_400000_NS6detail17trampoline_kernelINS0_14default_configENS1_27scan_by_key_config_selectorIijEEZZNS1_16scan_by_key_implILNS1_25lookback_scan_determinismE0ELb1ES3_N6thrust23THRUST_200600_302600_NS6detail15normal_iteratorINS9_10device_ptrIiEEEENSB_INSC_IjEEEESG_jNS9_4plusIvEENS9_8equal_toIvEEjEE10hipError_tPvRmT2_T3_T4_T5_mT6_T7_P12ihipStream_tbENKUlT_T0_E_clISt17integral_constantIbLb0EES11_EEDaSW_SX_EUlSW_E_NS1_11comp_targetILNS1_3genE9ELNS1_11target_archE1100ELNS1_3gpuE3ELNS1_3repE0EEENS1_30default_config_static_selectorELNS0_4arch9wavefront6targetE1EEEvT1_.kd
    .uniform_work_group_size: 1
    .uses_dynamic_stack: false
    .vgpr_count:     0
    .vgpr_spill_count: 0
    .wavefront_size: 64
  - .agpr_count:     0
    .args:
      - .offset:         0
        .size:           112
        .value_kind:     by_value
    .group_segment_fixed_size: 0
    .kernarg_segment_align: 8
    .kernarg_segment_size: 112
    .language:       OpenCL C
    .language_version:
      - 2
      - 0
    .max_flat_workgroup_size: 256
    .name:           _ZN7rocprim17ROCPRIM_400000_NS6detail17trampoline_kernelINS0_14default_configENS1_27scan_by_key_config_selectorIijEEZZNS1_16scan_by_key_implILNS1_25lookback_scan_determinismE0ELb1ES3_N6thrust23THRUST_200600_302600_NS6detail15normal_iteratorINS9_10device_ptrIiEEEENSB_INSC_IjEEEESG_jNS9_4plusIvEENS9_8equal_toIvEEjEE10hipError_tPvRmT2_T3_T4_T5_mT6_T7_P12ihipStream_tbENKUlT_T0_E_clISt17integral_constantIbLb0EES11_EEDaSW_SX_EUlSW_E_NS1_11comp_targetILNS1_3genE8ELNS1_11target_archE1030ELNS1_3gpuE2ELNS1_3repE0EEENS1_30default_config_static_selectorELNS0_4arch9wavefront6targetE1EEEvT1_
    .private_segment_fixed_size: 0
    .sgpr_count:     4
    .sgpr_spill_count: 0
    .symbol:         _ZN7rocprim17ROCPRIM_400000_NS6detail17trampoline_kernelINS0_14default_configENS1_27scan_by_key_config_selectorIijEEZZNS1_16scan_by_key_implILNS1_25lookback_scan_determinismE0ELb1ES3_N6thrust23THRUST_200600_302600_NS6detail15normal_iteratorINS9_10device_ptrIiEEEENSB_INSC_IjEEEESG_jNS9_4plusIvEENS9_8equal_toIvEEjEE10hipError_tPvRmT2_T3_T4_T5_mT6_T7_P12ihipStream_tbENKUlT_T0_E_clISt17integral_constantIbLb0EES11_EEDaSW_SX_EUlSW_E_NS1_11comp_targetILNS1_3genE8ELNS1_11target_archE1030ELNS1_3gpuE2ELNS1_3repE0EEENS1_30default_config_static_selectorELNS0_4arch9wavefront6targetE1EEEvT1_.kd
    .uniform_work_group_size: 1
    .uses_dynamic_stack: false
    .vgpr_count:     0
    .vgpr_spill_count: 0
    .wavefront_size: 64
  - .agpr_count:     0
    .args:
      - .offset:         0
        .size:           112
        .value_kind:     by_value
    .group_segment_fixed_size: 0
    .kernarg_segment_align: 8
    .kernarg_segment_size: 112
    .language:       OpenCL C
    .language_version:
      - 2
      - 0
    .max_flat_workgroup_size: 256
    .name:           _ZN7rocprim17ROCPRIM_400000_NS6detail17trampoline_kernelINS0_14default_configENS1_27scan_by_key_config_selectorIijEEZZNS1_16scan_by_key_implILNS1_25lookback_scan_determinismE0ELb1ES3_N6thrust23THRUST_200600_302600_NS6detail15normal_iteratorINS9_10device_ptrIiEEEENSB_INSC_IjEEEESG_jNS9_4plusIvEENS9_8equal_toIvEEjEE10hipError_tPvRmT2_T3_T4_T5_mT6_T7_P12ihipStream_tbENKUlT_T0_E_clISt17integral_constantIbLb1EES11_EEDaSW_SX_EUlSW_E_NS1_11comp_targetILNS1_3genE0ELNS1_11target_archE4294967295ELNS1_3gpuE0ELNS1_3repE0EEENS1_30default_config_static_selectorELNS0_4arch9wavefront6targetE1EEEvT1_
    .private_segment_fixed_size: 0
    .sgpr_count:     4
    .sgpr_spill_count: 0
    .symbol:         _ZN7rocprim17ROCPRIM_400000_NS6detail17trampoline_kernelINS0_14default_configENS1_27scan_by_key_config_selectorIijEEZZNS1_16scan_by_key_implILNS1_25lookback_scan_determinismE0ELb1ES3_N6thrust23THRUST_200600_302600_NS6detail15normal_iteratorINS9_10device_ptrIiEEEENSB_INSC_IjEEEESG_jNS9_4plusIvEENS9_8equal_toIvEEjEE10hipError_tPvRmT2_T3_T4_T5_mT6_T7_P12ihipStream_tbENKUlT_T0_E_clISt17integral_constantIbLb1EES11_EEDaSW_SX_EUlSW_E_NS1_11comp_targetILNS1_3genE0ELNS1_11target_archE4294967295ELNS1_3gpuE0ELNS1_3repE0EEENS1_30default_config_static_selectorELNS0_4arch9wavefront6targetE1EEEvT1_.kd
    .uniform_work_group_size: 1
    .uses_dynamic_stack: false
    .vgpr_count:     0
    .vgpr_spill_count: 0
    .wavefront_size: 64
  - .agpr_count:     0
    .args:
      - .offset:         0
        .size:           112
        .value_kind:     by_value
    .group_segment_fixed_size: 0
    .kernarg_segment_align: 8
    .kernarg_segment_size: 112
    .language:       OpenCL C
    .language_version:
      - 2
      - 0
    .max_flat_workgroup_size: 256
    .name:           _ZN7rocprim17ROCPRIM_400000_NS6detail17trampoline_kernelINS0_14default_configENS1_27scan_by_key_config_selectorIijEEZZNS1_16scan_by_key_implILNS1_25lookback_scan_determinismE0ELb1ES3_N6thrust23THRUST_200600_302600_NS6detail15normal_iteratorINS9_10device_ptrIiEEEENSB_INSC_IjEEEESG_jNS9_4plusIvEENS9_8equal_toIvEEjEE10hipError_tPvRmT2_T3_T4_T5_mT6_T7_P12ihipStream_tbENKUlT_T0_E_clISt17integral_constantIbLb1EES11_EEDaSW_SX_EUlSW_E_NS1_11comp_targetILNS1_3genE10ELNS1_11target_archE1201ELNS1_3gpuE5ELNS1_3repE0EEENS1_30default_config_static_selectorELNS0_4arch9wavefront6targetE1EEEvT1_
    .private_segment_fixed_size: 0
    .sgpr_count:     4
    .sgpr_spill_count: 0
    .symbol:         _ZN7rocprim17ROCPRIM_400000_NS6detail17trampoline_kernelINS0_14default_configENS1_27scan_by_key_config_selectorIijEEZZNS1_16scan_by_key_implILNS1_25lookback_scan_determinismE0ELb1ES3_N6thrust23THRUST_200600_302600_NS6detail15normal_iteratorINS9_10device_ptrIiEEEENSB_INSC_IjEEEESG_jNS9_4plusIvEENS9_8equal_toIvEEjEE10hipError_tPvRmT2_T3_T4_T5_mT6_T7_P12ihipStream_tbENKUlT_T0_E_clISt17integral_constantIbLb1EES11_EEDaSW_SX_EUlSW_E_NS1_11comp_targetILNS1_3genE10ELNS1_11target_archE1201ELNS1_3gpuE5ELNS1_3repE0EEENS1_30default_config_static_selectorELNS0_4arch9wavefront6targetE1EEEvT1_.kd
    .uniform_work_group_size: 1
    .uses_dynamic_stack: false
    .vgpr_count:     0
    .vgpr_spill_count: 0
    .wavefront_size: 64
  - .agpr_count:     0
    .args:
      - .offset:         0
        .size:           112
        .value_kind:     by_value
    .group_segment_fixed_size: 0
    .kernarg_segment_align: 8
    .kernarg_segment_size: 112
    .language:       OpenCL C
    .language_version:
      - 2
      - 0
    .max_flat_workgroup_size: 256
    .name:           _ZN7rocprim17ROCPRIM_400000_NS6detail17trampoline_kernelINS0_14default_configENS1_27scan_by_key_config_selectorIijEEZZNS1_16scan_by_key_implILNS1_25lookback_scan_determinismE0ELb1ES3_N6thrust23THRUST_200600_302600_NS6detail15normal_iteratorINS9_10device_ptrIiEEEENSB_INSC_IjEEEESG_jNS9_4plusIvEENS9_8equal_toIvEEjEE10hipError_tPvRmT2_T3_T4_T5_mT6_T7_P12ihipStream_tbENKUlT_T0_E_clISt17integral_constantIbLb1EES11_EEDaSW_SX_EUlSW_E_NS1_11comp_targetILNS1_3genE5ELNS1_11target_archE942ELNS1_3gpuE9ELNS1_3repE0EEENS1_30default_config_static_selectorELNS0_4arch9wavefront6targetE1EEEvT1_
    .private_segment_fixed_size: 0
    .sgpr_count:     4
    .sgpr_spill_count: 0
    .symbol:         _ZN7rocprim17ROCPRIM_400000_NS6detail17trampoline_kernelINS0_14default_configENS1_27scan_by_key_config_selectorIijEEZZNS1_16scan_by_key_implILNS1_25lookback_scan_determinismE0ELb1ES3_N6thrust23THRUST_200600_302600_NS6detail15normal_iteratorINS9_10device_ptrIiEEEENSB_INSC_IjEEEESG_jNS9_4plusIvEENS9_8equal_toIvEEjEE10hipError_tPvRmT2_T3_T4_T5_mT6_T7_P12ihipStream_tbENKUlT_T0_E_clISt17integral_constantIbLb1EES11_EEDaSW_SX_EUlSW_E_NS1_11comp_targetILNS1_3genE5ELNS1_11target_archE942ELNS1_3gpuE9ELNS1_3repE0EEENS1_30default_config_static_selectorELNS0_4arch9wavefront6targetE1EEEvT1_.kd
    .uniform_work_group_size: 1
    .uses_dynamic_stack: false
    .vgpr_count:     0
    .vgpr_spill_count: 0
    .wavefront_size: 64
  - .agpr_count:     0
    .args:
      - .offset:         0
        .size:           112
        .value_kind:     by_value
    .group_segment_fixed_size: 16384
    .kernarg_segment_align: 8
    .kernarg_segment_size: 112
    .language:       OpenCL C
    .language_version:
      - 2
      - 0
    .max_flat_workgroup_size: 256
    .name:           _ZN7rocprim17ROCPRIM_400000_NS6detail17trampoline_kernelINS0_14default_configENS1_27scan_by_key_config_selectorIijEEZZNS1_16scan_by_key_implILNS1_25lookback_scan_determinismE0ELb1ES3_N6thrust23THRUST_200600_302600_NS6detail15normal_iteratorINS9_10device_ptrIiEEEENSB_INSC_IjEEEESG_jNS9_4plusIvEENS9_8equal_toIvEEjEE10hipError_tPvRmT2_T3_T4_T5_mT6_T7_P12ihipStream_tbENKUlT_T0_E_clISt17integral_constantIbLb1EES11_EEDaSW_SX_EUlSW_E_NS1_11comp_targetILNS1_3genE4ELNS1_11target_archE910ELNS1_3gpuE8ELNS1_3repE0EEENS1_30default_config_static_selectorELNS0_4arch9wavefront6targetE1EEEvT1_
    .private_segment_fixed_size: 0
    .sgpr_count:     64
    .sgpr_spill_count: 0
    .symbol:         _ZN7rocprim17ROCPRIM_400000_NS6detail17trampoline_kernelINS0_14default_configENS1_27scan_by_key_config_selectorIijEEZZNS1_16scan_by_key_implILNS1_25lookback_scan_determinismE0ELb1ES3_N6thrust23THRUST_200600_302600_NS6detail15normal_iteratorINS9_10device_ptrIiEEEENSB_INSC_IjEEEESG_jNS9_4plusIvEENS9_8equal_toIvEEjEE10hipError_tPvRmT2_T3_T4_T5_mT6_T7_P12ihipStream_tbENKUlT_T0_E_clISt17integral_constantIbLb1EES11_EEDaSW_SX_EUlSW_E_NS1_11comp_targetILNS1_3genE4ELNS1_11target_archE910ELNS1_3gpuE8ELNS1_3repE0EEENS1_30default_config_static_selectorELNS0_4arch9wavefront6targetE1EEEvT1_.kd
    .uniform_work_group_size: 1
    .uses_dynamic_stack: false
    .vgpr_count:     67
    .vgpr_spill_count: 0
    .wavefront_size: 64
  - .agpr_count:     0
    .args:
      - .offset:         0
        .size:           112
        .value_kind:     by_value
    .group_segment_fixed_size: 0
    .kernarg_segment_align: 8
    .kernarg_segment_size: 112
    .language:       OpenCL C
    .language_version:
      - 2
      - 0
    .max_flat_workgroup_size: 256
    .name:           _ZN7rocprim17ROCPRIM_400000_NS6detail17trampoline_kernelINS0_14default_configENS1_27scan_by_key_config_selectorIijEEZZNS1_16scan_by_key_implILNS1_25lookback_scan_determinismE0ELb1ES3_N6thrust23THRUST_200600_302600_NS6detail15normal_iteratorINS9_10device_ptrIiEEEENSB_INSC_IjEEEESG_jNS9_4plusIvEENS9_8equal_toIvEEjEE10hipError_tPvRmT2_T3_T4_T5_mT6_T7_P12ihipStream_tbENKUlT_T0_E_clISt17integral_constantIbLb1EES11_EEDaSW_SX_EUlSW_E_NS1_11comp_targetILNS1_3genE3ELNS1_11target_archE908ELNS1_3gpuE7ELNS1_3repE0EEENS1_30default_config_static_selectorELNS0_4arch9wavefront6targetE1EEEvT1_
    .private_segment_fixed_size: 0
    .sgpr_count:     4
    .sgpr_spill_count: 0
    .symbol:         _ZN7rocprim17ROCPRIM_400000_NS6detail17trampoline_kernelINS0_14default_configENS1_27scan_by_key_config_selectorIijEEZZNS1_16scan_by_key_implILNS1_25lookback_scan_determinismE0ELb1ES3_N6thrust23THRUST_200600_302600_NS6detail15normal_iteratorINS9_10device_ptrIiEEEENSB_INSC_IjEEEESG_jNS9_4plusIvEENS9_8equal_toIvEEjEE10hipError_tPvRmT2_T3_T4_T5_mT6_T7_P12ihipStream_tbENKUlT_T0_E_clISt17integral_constantIbLb1EES11_EEDaSW_SX_EUlSW_E_NS1_11comp_targetILNS1_3genE3ELNS1_11target_archE908ELNS1_3gpuE7ELNS1_3repE0EEENS1_30default_config_static_selectorELNS0_4arch9wavefront6targetE1EEEvT1_.kd
    .uniform_work_group_size: 1
    .uses_dynamic_stack: false
    .vgpr_count:     0
    .vgpr_spill_count: 0
    .wavefront_size: 64
  - .agpr_count:     0
    .args:
      - .offset:         0
        .size:           112
        .value_kind:     by_value
    .group_segment_fixed_size: 0
    .kernarg_segment_align: 8
    .kernarg_segment_size: 112
    .language:       OpenCL C
    .language_version:
      - 2
      - 0
    .max_flat_workgroup_size: 256
    .name:           _ZN7rocprim17ROCPRIM_400000_NS6detail17trampoline_kernelINS0_14default_configENS1_27scan_by_key_config_selectorIijEEZZNS1_16scan_by_key_implILNS1_25lookback_scan_determinismE0ELb1ES3_N6thrust23THRUST_200600_302600_NS6detail15normal_iteratorINS9_10device_ptrIiEEEENSB_INSC_IjEEEESG_jNS9_4plusIvEENS9_8equal_toIvEEjEE10hipError_tPvRmT2_T3_T4_T5_mT6_T7_P12ihipStream_tbENKUlT_T0_E_clISt17integral_constantIbLb1EES11_EEDaSW_SX_EUlSW_E_NS1_11comp_targetILNS1_3genE2ELNS1_11target_archE906ELNS1_3gpuE6ELNS1_3repE0EEENS1_30default_config_static_selectorELNS0_4arch9wavefront6targetE1EEEvT1_
    .private_segment_fixed_size: 0
    .sgpr_count:     4
    .sgpr_spill_count: 0
    .symbol:         _ZN7rocprim17ROCPRIM_400000_NS6detail17trampoline_kernelINS0_14default_configENS1_27scan_by_key_config_selectorIijEEZZNS1_16scan_by_key_implILNS1_25lookback_scan_determinismE0ELb1ES3_N6thrust23THRUST_200600_302600_NS6detail15normal_iteratorINS9_10device_ptrIiEEEENSB_INSC_IjEEEESG_jNS9_4plusIvEENS9_8equal_toIvEEjEE10hipError_tPvRmT2_T3_T4_T5_mT6_T7_P12ihipStream_tbENKUlT_T0_E_clISt17integral_constantIbLb1EES11_EEDaSW_SX_EUlSW_E_NS1_11comp_targetILNS1_3genE2ELNS1_11target_archE906ELNS1_3gpuE6ELNS1_3repE0EEENS1_30default_config_static_selectorELNS0_4arch9wavefront6targetE1EEEvT1_.kd
    .uniform_work_group_size: 1
    .uses_dynamic_stack: false
    .vgpr_count:     0
    .vgpr_spill_count: 0
    .wavefront_size: 64
  - .agpr_count:     0
    .args:
      - .offset:         0
        .size:           112
        .value_kind:     by_value
    .group_segment_fixed_size: 0
    .kernarg_segment_align: 8
    .kernarg_segment_size: 112
    .language:       OpenCL C
    .language_version:
      - 2
      - 0
    .max_flat_workgroup_size: 256
    .name:           _ZN7rocprim17ROCPRIM_400000_NS6detail17trampoline_kernelINS0_14default_configENS1_27scan_by_key_config_selectorIijEEZZNS1_16scan_by_key_implILNS1_25lookback_scan_determinismE0ELb1ES3_N6thrust23THRUST_200600_302600_NS6detail15normal_iteratorINS9_10device_ptrIiEEEENSB_INSC_IjEEEESG_jNS9_4plusIvEENS9_8equal_toIvEEjEE10hipError_tPvRmT2_T3_T4_T5_mT6_T7_P12ihipStream_tbENKUlT_T0_E_clISt17integral_constantIbLb1EES11_EEDaSW_SX_EUlSW_E_NS1_11comp_targetILNS1_3genE10ELNS1_11target_archE1200ELNS1_3gpuE4ELNS1_3repE0EEENS1_30default_config_static_selectorELNS0_4arch9wavefront6targetE1EEEvT1_
    .private_segment_fixed_size: 0
    .sgpr_count:     4
    .sgpr_spill_count: 0
    .symbol:         _ZN7rocprim17ROCPRIM_400000_NS6detail17trampoline_kernelINS0_14default_configENS1_27scan_by_key_config_selectorIijEEZZNS1_16scan_by_key_implILNS1_25lookback_scan_determinismE0ELb1ES3_N6thrust23THRUST_200600_302600_NS6detail15normal_iteratorINS9_10device_ptrIiEEEENSB_INSC_IjEEEESG_jNS9_4plusIvEENS9_8equal_toIvEEjEE10hipError_tPvRmT2_T3_T4_T5_mT6_T7_P12ihipStream_tbENKUlT_T0_E_clISt17integral_constantIbLb1EES11_EEDaSW_SX_EUlSW_E_NS1_11comp_targetILNS1_3genE10ELNS1_11target_archE1200ELNS1_3gpuE4ELNS1_3repE0EEENS1_30default_config_static_selectorELNS0_4arch9wavefront6targetE1EEEvT1_.kd
    .uniform_work_group_size: 1
    .uses_dynamic_stack: false
    .vgpr_count:     0
    .vgpr_spill_count: 0
    .wavefront_size: 64
  - .agpr_count:     0
    .args:
      - .offset:         0
        .size:           112
        .value_kind:     by_value
    .group_segment_fixed_size: 0
    .kernarg_segment_align: 8
    .kernarg_segment_size: 112
    .language:       OpenCL C
    .language_version:
      - 2
      - 0
    .max_flat_workgroup_size: 256
    .name:           _ZN7rocprim17ROCPRIM_400000_NS6detail17trampoline_kernelINS0_14default_configENS1_27scan_by_key_config_selectorIijEEZZNS1_16scan_by_key_implILNS1_25lookback_scan_determinismE0ELb1ES3_N6thrust23THRUST_200600_302600_NS6detail15normal_iteratorINS9_10device_ptrIiEEEENSB_INSC_IjEEEESG_jNS9_4plusIvEENS9_8equal_toIvEEjEE10hipError_tPvRmT2_T3_T4_T5_mT6_T7_P12ihipStream_tbENKUlT_T0_E_clISt17integral_constantIbLb1EES11_EEDaSW_SX_EUlSW_E_NS1_11comp_targetILNS1_3genE9ELNS1_11target_archE1100ELNS1_3gpuE3ELNS1_3repE0EEENS1_30default_config_static_selectorELNS0_4arch9wavefront6targetE1EEEvT1_
    .private_segment_fixed_size: 0
    .sgpr_count:     4
    .sgpr_spill_count: 0
    .symbol:         _ZN7rocprim17ROCPRIM_400000_NS6detail17trampoline_kernelINS0_14default_configENS1_27scan_by_key_config_selectorIijEEZZNS1_16scan_by_key_implILNS1_25lookback_scan_determinismE0ELb1ES3_N6thrust23THRUST_200600_302600_NS6detail15normal_iteratorINS9_10device_ptrIiEEEENSB_INSC_IjEEEESG_jNS9_4plusIvEENS9_8equal_toIvEEjEE10hipError_tPvRmT2_T3_T4_T5_mT6_T7_P12ihipStream_tbENKUlT_T0_E_clISt17integral_constantIbLb1EES11_EEDaSW_SX_EUlSW_E_NS1_11comp_targetILNS1_3genE9ELNS1_11target_archE1100ELNS1_3gpuE3ELNS1_3repE0EEENS1_30default_config_static_selectorELNS0_4arch9wavefront6targetE1EEEvT1_.kd
    .uniform_work_group_size: 1
    .uses_dynamic_stack: false
    .vgpr_count:     0
    .vgpr_spill_count: 0
    .wavefront_size: 64
  - .agpr_count:     0
    .args:
      - .offset:         0
        .size:           112
        .value_kind:     by_value
    .group_segment_fixed_size: 0
    .kernarg_segment_align: 8
    .kernarg_segment_size: 112
    .language:       OpenCL C
    .language_version:
      - 2
      - 0
    .max_flat_workgroup_size: 256
    .name:           _ZN7rocprim17ROCPRIM_400000_NS6detail17trampoline_kernelINS0_14default_configENS1_27scan_by_key_config_selectorIijEEZZNS1_16scan_by_key_implILNS1_25lookback_scan_determinismE0ELb1ES3_N6thrust23THRUST_200600_302600_NS6detail15normal_iteratorINS9_10device_ptrIiEEEENSB_INSC_IjEEEESG_jNS9_4plusIvEENS9_8equal_toIvEEjEE10hipError_tPvRmT2_T3_T4_T5_mT6_T7_P12ihipStream_tbENKUlT_T0_E_clISt17integral_constantIbLb1EES11_EEDaSW_SX_EUlSW_E_NS1_11comp_targetILNS1_3genE8ELNS1_11target_archE1030ELNS1_3gpuE2ELNS1_3repE0EEENS1_30default_config_static_selectorELNS0_4arch9wavefront6targetE1EEEvT1_
    .private_segment_fixed_size: 0
    .sgpr_count:     4
    .sgpr_spill_count: 0
    .symbol:         _ZN7rocprim17ROCPRIM_400000_NS6detail17trampoline_kernelINS0_14default_configENS1_27scan_by_key_config_selectorIijEEZZNS1_16scan_by_key_implILNS1_25lookback_scan_determinismE0ELb1ES3_N6thrust23THRUST_200600_302600_NS6detail15normal_iteratorINS9_10device_ptrIiEEEENSB_INSC_IjEEEESG_jNS9_4plusIvEENS9_8equal_toIvEEjEE10hipError_tPvRmT2_T3_T4_T5_mT6_T7_P12ihipStream_tbENKUlT_T0_E_clISt17integral_constantIbLb1EES11_EEDaSW_SX_EUlSW_E_NS1_11comp_targetILNS1_3genE8ELNS1_11target_archE1030ELNS1_3gpuE2ELNS1_3repE0EEENS1_30default_config_static_selectorELNS0_4arch9wavefront6targetE1EEEvT1_.kd
    .uniform_work_group_size: 1
    .uses_dynamic_stack: false
    .vgpr_count:     0
    .vgpr_spill_count: 0
    .wavefront_size: 64
  - .agpr_count:     0
    .args:
      - .offset:         0
        .size:           112
        .value_kind:     by_value
    .group_segment_fixed_size: 0
    .kernarg_segment_align: 8
    .kernarg_segment_size: 112
    .language:       OpenCL C
    .language_version:
      - 2
      - 0
    .max_flat_workgroup_size: 256
    .name:           _ZN7rocprim17ROCPRIM_400000_NS6detail17trampoline_kernelINS0_14default_configENS1_27scan_by_key_config_selectorIijEEZZNS1_16scan_by_key_implILNS1_25lookback_scan_determinismE0ELb1ES3_N6thrust23THRUST_200600_302600_NS6detail15normal_iteratorINS9_10device_ptrIiEEEENSB_INSC_IjEEEESG_jNS9_4plusIvEENS9_8equal_toIvEEjEE10hipError_tPvRmT2_T3_T4_T5_mT6_T7_P12ihipStream_tbENKUlT_T0_E_clISt17integral_constantIbLb1EES10_IbLb0EEEEDaSW_SX_EUlSW_E_NS1_11comp_targetILNS1_3genE0ELNS1_11target_archE4294967295ELNS1_3gpuE0ELNS1_3repE0EEENS1_30default_config_static_selectorELNS0_4arch9wavefront6targetE1EEEvT1_
    .private_segment_fixed_size: 0
    .sgpr_count:     4
    .sgpr_spill_count: 0
    .symbol:         _ZN7rocprim17ROCPRIM_400000_NS6detail17trampoline_kernelINS0_14default_configENS1_27scan_by_key_config_selectorIijEEZZNS1_16scan_by_key_implILNS1_25lookback_scan_determinismE0ELb1ES3_N6thrust23THRUST_200600_302600_NS6detail15normal_iteratorINS9_10device_ptrIiEEEENSB_INSC_IjEEEESG_jNS9_4plusIvEENS9_8equal_toIvEEjEE10hipError_tPvRmT2_T3_T4_T5_mT6_T7_P12ihipStream_tbENKUlT_T0_E_clISt17integral_constantIbLb1EES10_IbLb0EEEEDaSW_SX_EUlSW_E_NS1_11comp_targetILNS1_3genE0ELNS1_11target_archE4294967295ELNS1_3gpuE0ELNS1_3repE0EEENS1_30default_config_static_selectorELNS0_4arch9wavefront6targetE1EEEvT1_.kd
    .uniform_work_group_size: 1
    .uses_dynamic_stack: false
    .vgpr_count:     0
    .vgpr_spill_count: 0
    .wavefront_size: 64
  - .agpr_count:     0
    .args:
      - .offset:         0
        .size:           112
        .value_kind:     by_value
    .group_segment_fixed_size: 0
    .kernarg_segment_align: 8
    .kernarg_segment_size: 112
    .language:       OpenCL C
    .language_version:
      - 2
      - 0
    .max_flat_workgroup_size: 256
    .name:           _ZN7rocprim17ROCPRIM_400000_NS6detail17trampoline_kernelINS0_14default_configENS1_27scan_by_key_config_selectorIijEEZZNS1_16scan_by_key_implILNS1_25lookback_scan_determinismE0ELb1ES3_N6thrust23THRUST_200600_302600_NS6detail15normal_iteratorINS9_10device_ptrIiEEEENSB_INSC_IjEEEESG_jNS9_4plusIvEENS9_8equal_toIvEEjEE10hipError_tPvRmT2_T3_T4_T5_mT6_T7_P12ihipStream_tbENKUlT_T0_E_clISt17integral_constantIbLb1EES10_IbLb0EEEEDaSW_SX_EUlSW_E_NS1_11comp_targetILNS1_3genE10ELNS1_11target_archE1201ELNS1_3gpuE5ELNS1_3repE0EEENS1_30default_config_static_selectorELNS0_4arch9wavefront6targetE1EEEvT1_
    .private_segment_fixed_size: 0
    .sgpr_count:     4
    .sgpr_spill_count: 0
    .symbol:         _ZN7rocprim17ROCPRIM_400000_NS6detail17trampoline_kernelINS0_14default_configENS1_27scan_by_key_config_selectorIijEEZZNS1_16scan_by_key_implILNS1_25lookback_scan_determinismE0ELb1ES3_N6thrust23THRUST_200600_302600_NS6detail15normal_iteratorINS9_10device_ptrIiEEEENSB_INSC_IjEEEESG_jNS9_4plusIvEENS9_8equal_toIvEEjEE10hipError_tPvRmT2_T3_T4_T5_mT6_T7_P12ihipStream_tbENKUlT_T0_E_clISt17integral_constantIbLb1EES10_IbLb0EEEEDaSW_SX_EUlSW_E_NS1_11comp_targetILNS1_3genE10ELNS1_11target_archE1201ELNS1_3gpuE5ELNS1_3repE0EEENS1_30default_config_static_selectorELNS0_4arch9wavefront6targetE1EEEvT1_.kd
    .uniform_work_group_size: 1
    .uses_dynamic_stack: false
    .vgpr_count:     0
    .vgpr_spill_count: 0
    .wavefront_size: 64
  - .agpr_count:     0
    .args:
      - .offset:         0
        .size:           112
        .value_kind:     by_value
    .group_segment_fixed_size: 0
    .kernarg_segment_align: 8
    .kernarg_segment_size: 112
    .language:       OpenCL C
    .language_version:
      - 2
      - 0
    .max_flat_workgroup_size: 256
    .name:           _ZN7rocprim17ROCPRIM_400000_NS6detail17trampoline_kernelINS0_14default_configENS1_27scan_by_key_config_selectorIijEEZZNS1_16scan_by_key_implILNS1_25lookback_scan_determinismE0ELb1ES3_N6thrust23THRUST_200600_302600_NS6detail15normal_iteratorINS9_10device_ptrIiEEEENSB_INSC_IjEEEESG_jNS9_4plusIvEENS9_8equal_toIvEEjEE10hipError_tPvRmT2_T3_T4_T5_mT6_T7_P12ihipStream_tbENKUlT_T0_E_clISt17integral_constantIbLb1EES10_IbLb0EEEEDaSW_SX_EUlSW_E_NS1_11comp_targetILNS1_3genE5ELNS1_11target_archE942ELNS1_3gpuE9ELNS1_3repE0EEENS1_30default_config_static_selectorELNS0_4arch9wavefront6targetE1EEEvT1_
    .private_segment_fixed_size: 0
    .sgpr_count:     4
    .sgpr_spill_count: 0
    .symbol:         _ZN7rocprim17ROCPRIM_400000_NS6detail17trampoline_kernelINS0_14default_configENS1_27scan_by_key_config_selectorIijEEZZNS1_16scan_by_key_implILNS1_25lookback_scan_determinismE0ELb1ES3_N6thrust23THRUST_200600_302600_NS6detail15normal_iteratorINS9_10device_ptrIiEEEENSB_INSC_IjEEEESG_jNS9_4plusIvEENS9_8equal_toIvEEjEE10hipError_tPvRmT2_T3_T4_T5_mT6_T7_P12ihipStream_tbENKUlT_T0_E_clISt17integral_constantIbLb1EES10_IbLb0EEEEDaSW_SX_EUlSW_E_NS1_11comp_targetILNS1_3genE5ELNS1_11target_archE942ELNS1_3gpuE9ELNS1_3repE0EEENS1_30default_config_static_selectorELNS0_4arch9wavefront6targetE1EEEvT1_.kd
    .uniform_work_group_size: 1
    .uses_dynamic_stack: false
    .vgpr_count:     0
    .vgpr_spill_count: 0
    .wavefront_size: 64
  - .agpr_count:     0
    .args:
      - .offset:         0
        .size:           112
        .value_kind:     by_value
    .group_segment_fixed_size: 16384
    .kernarg_segment_align: 8
    .kernarg_segment_size: 112
    .language:       OpenCL C
    .language_version:
      - 2
      - 0
    .max_flat_workgroup_size: 256
    .name:           _ZN7rocprim17ROCPRIM_400000_NS6detail17trampoline_kernelINS0_14default_configENS1_27scan_by_key_config_selectorIijEEZZNS1_16scan_by_key_implILNS1_25lookback_scan_determinismE0ELb1ES3_N6thrust23THRUST_200600_302600_NS6detail15normal_iteratorINS9_10device_ptrIiEEEENSB_INSC_IjEEEESG_jNS9_4plusIvEENS9_8equal_toIvEEjEE10hipError_tPvRmT2_T3_T4_T5_mT6_T7_P12ihipStream_tbENKUlT_T0_E_clISt17integral_constantIbLb1EES10_IbLb0EEEEDaSW_SX_EUlSW_E_NS1_11comp_targetILNS1_3genE4ELNS1_11target_archE910ELNS1_3gpuE8ELNS1_3repE0EEENS1_30default_config_static_selectorELNS0_4arch9wavefront6targetE1EEEvT1_
    .private_segment_fixed_size: 0
    .sgpr_count:     64
    .sgpr_spill_count: 0
    .symbol:         _ZN7rocprim17ROCPRIM_400000_NS6detail17trampoline_kernelINS0_14default_configENS1_27scan_by_key_config_selectorIijEEZZNS1_16scan_by_key_implILNS1_25lookback_scan_determinismE0ELb1ES3_N6thrust23THRUST_200600_302600_NS6detail15normal_iteratorINS9_10device_ptrIiEEEENSB_INSC_IjEEEESG_jNS9_4plusIvEENS9_8equal_toIvEEjEE10hipError_tPvRmT2_T3_T4_T5_mT6_T7_P12ihipStream_tbENKUlT_T0_E_clISt17integral_constantIbLb1EES10_IbLb0EEEEDaSW_SX_EUlSW_E_NS1_11comp_targetILNS1_3genE4ELNS1_11target_archE910ELNS1_3gpuE8ELNS1_3repE0EEENS1_30default_config_static_selectorELNS0_4arch9wavefront6targetE1EEEvT1_.kd
    .uniform_work_group_size: 1
    .uses_dynamic_stack: false
    .vgpr_count:     65
    .vgpr_spill_count: 0
    .wavefront_size: 64
  - .agpr_count:     0
    .args:
      - .offset:         0
        .size:           112
        .value_kind:     by_value
    .group_segment_fixed_size: 0
    .kernarg_segment_align: 8
    .kernarg_segment_size: 112
    .language:       OpenCL C
    .language_version:
      - 2
      - 0
    .max_flat_workgroup_size: 256
    .name:           _ZN7rocprim17ROCPRIM_400000_NS6detail17trampoline_kernelINS0_14default_configENS1_27scan_by_key_config_selectorIijEEZZNS1_16scan_by_key_implILNS1_25lookback_scan_determinismE0ELb1ES3_N6thrust23THRUST_200600_302600_NS6detail15normal_iteratorINS9_10device_ptrIiEEEENSB_INSC_IjEEEESG_jNS9_4plusIvEENS9_8equal_toIvEEjEE10hipError_tPvRmT2_T3_T4_T5_mT6_T7_P12ihipStream_tbENKUlT_T0_E_clISt17integral_constantIbLb1EES10_IbLb0EEEEDaSW_SX_EUlSW_E_NS1_11comp_targetILNS1_3genE3ELNS1_11target_archE908ELNS1_3gpuE7ELNS1_3repE0EEENS1_30default_config_static_selectorELNS0_4arch9wavefront6targetE1EEEvT1_
    .private_segment_fixed_size: 0
    .sgpr_count:     4
    .sgpr_spill_count: 0
    .symbol:         _ZN7rocprim17ROCPRIM_400000_NS6detail17trampoline_kernelINS0_14default_configENS1_27scan_by_key_config_selectorIijEEZZNS1_16scan_by_key_implILNS1_25lookback_scan_determinismE0ELb1ES3_N6thrust23THRUST_200600_302600_NS6detail15normal_iteratorINS9_10device_ptrIiEEEENSB_INSC_IjEEEESG_jNS9_4plusIvEENS9_8equal_toIvEEjEE10hipError_tPvRmT2_T3_T4_T5_mT6_T7_P12ihipStream_tbENKUlT_T0_E_clISt17integral_constantIbLb1EES10_IbLb0EEEEDaSW_SX_EUlSW_E_NS1_11comp_targetILNS1_3genE3ELNS1_11target_archE908ELNS1_3gpuE7ELNS1_3repE0EEENS1_30default_config_static_selectorELNS0_4arch9wavefront6targetE1EEEvT1_.kd
    .uniform_work_group_size: 1
    .uses_dynamic_stack: false
    .vgpr_count:     0
    .vgpr_spill_count: 0
    .wavefront_size: 64
  - .agpr_count:     0
    .args:
      - .offset:         0
        .size:           112
        .value_kind:     by_value
    .group_segment_fixed_size: 0
    .kernarg_segment_align: 8
    .kernarg_segment_size: 112
    .language:       OpenCL C
    .language_version:
      - 2
      - 0
    .max_flat_workgroup_size: 256
    .name:           _ZN7rocprim17ROCPRIM_400000_NS6detail17trampoline_kernelINS0_14default_configENS1_27scan_by_key_config_selectorIijEEZZNS1_16scan_by_key_implILNS1_25lookback_scan_determinismE0ELb1ES3_N6thrust23THRUST_200600_302600_NS6detail15normal_iteratorINS9_10device_ptrIiEEEENSB_INSC_IjEEEESG_jNS9_4plusIvEENS9_8equal_toIvEEjEE10hipError_tPvRmT2_T3_T4_T5_mT6_T7_P12ihipStream_tbENKUlT_T0_E_clISt17integral_constantIbLb1EES10_IbLb0EEEEDaSW_SX_EUlSW_E_NS1_11comp_targetILNS1_3genE2ELNS1_11target_archE906ELNS1_3gpuE6ELNS1_3repE0EEENS1_30default_config_static_selectorELNS0_4arch9wavefront6targetE1EEEvT1_
    .private_segment_fixed_size: 0
    .sgpr_count:     4
    .sgpr_spill_count: 0
    .symbol:         _ZN7rocprim17ROCPRIM_400000_NS6detail17trampoline_kernelINS0_14default_configENS1_27scan_by_key_config_selectorIijEEZZNS1_16scan_by_key_implILNS1_25lookback_scan_determinismE0ELb1ES3_N6thrust23THRUST_200600_302600_NS6detail15normal_iteratorINS9_10device_ptrIiEEEENSB_INSC_IjEEEESG_jNS9_4plusIvEENS9_8equal_toIvEEjEE10hipError_tPvRmT2_T3_T4_T5_mT6_T7_P12ihipStream_tbENKUlT_T0_E_clISt17integral_constantIbLb1EES10_IbLb0EEEEDaSW_SX_EUlSW_E_NS1_11comp_targetILNS1_3genE2ELNS1_11target_archE906ELNS1_3gpuE6ELNS1_3repE0EEENS1_30default_config_static_selectorELNS0_4arch9wavefront6targetE1EEEvT1_.kd
    .uniform_work_group_size: 1
    .uses_dynamic_stack: false
    .vgpr_count:     0
    .vgpr_spill_count: 0
    .wavefront_size: 64
  - .agpr_count:     0
    .args:
      - .offset:         0
        .size:           112
        .value_kind:     by_value
    .group_segment_fixed_size: 0
    .kernarg_segment_align: 8
    .kernarg_segment_size: 112
    .language:       OpenCL C
    .language_version:
      - 2
      - 0
    .max_flat_workgroup_size: 256
    .name:           _ZN7rocprim17ROCPRIM_400000_NS6detail17trampoline_kernelINS0_14default_configENS1_27scan_by_key_config_selectorIijEEZZNS1_16scan_by_key_implILNS1_25lookback_scan_determinismE0ELb1ES3_N6thrust23THRUST_200600_302600_NS6detail15normal_iteratorINS9_10device_ptrIiEEEENSB_INSC_IjEEEESG_jNS9_4plusIvEENS9_8equal_toIvEEjEE10hipError_tPvRmT2_T3_T4_T5_mT6_T7_P12ihipStream_tbENKUlT_T0_E_clISt17integral_constantIbLb1EES10_IbLb0EEEEDaSW_SX_EUlSW_E_NS1_11comp_targetILNS1_3genE10ELNS1_11target_archE1200ELNS1_3gpuE4ELNS1_3repE0EEENS1_30default_config_static_selectorELNS0_4arch9wavefront6targetE1EEEvT1_
    .private_segment_fixed_size: 0
    .sgpr_count:     4
    .sgpr_spill_count: 0
    .symbol:         _ZN7rocprim17ROCPRIM_400000_NS6detail17trampoline_kernelINS0_14default_configENS1_27scan_by_key_config_selectorIijEEZZNS1_16scan_by_key_implILNS1_25lookback_scan_determinismE0ELb1ES3_N6thrust23THRUST_200600_302600_NS6detail15normal_iteratorINS9_10device_ptrIiEEEENSB_INSC_IjEEEESG_jNS9_4plusIvEENS9_8equal_toIvEEjEE10hipError_tPvRmT2_T3_T4_T5_mT6_T7_P12ihipStream_tbENKUlT_T0_E_clISt17integral_constantIbLb1EES10_IbLb0EEEEDaSW_SX_EUlSW_E_NS1_11comp_targetILNS1_3genE10ELNS1_11target_archE1200ELNS1_3gpuE4ELNS1_3repE0EEENS1_30default_config_static_selectorELNS0_4arch9wavefront6targetE1EEEvT1_.kd
    .uniform_work_group_size: 1
    .uses_dynamic_stack: false
    .vgpr_count:     0
    .vgpr_spill_count: 0
    .wavefront_size: 64
  - .agpr_count:     0
    .args:
      - .offset:         0
        .size:           112
        .value_kind:     by_value
    .group_segment_fixed_size: 0
    .kernarg_segment_align: 8
    .kernarg_segment_size: 112
    .language:       OpenCL C
    .language_version:
      - 2
      - 0
    .max_flat_workgroup_size: 256
    .name:           _ZN7rocprim17ROCPRIM_400000_NS6detail17trampoline_kernelINS0_14default_configENS1_27scan_by_key_config_selectorIijEEZZNS1_16scan_by_key_implILNS1_25lookback_scan_determinismE0ELb1ES3_N6thrust23THRUST_200600_302600_NS6detail15normal_iteratorINS9_10device_ptrIiEEEENSB_INSC_IjEEEESG_jNS9_4plusIvEENS9_8equal_toIvEEjEE10hipError_tPvRmT2_T3_T4_T5_mT6_T7_P12ihipStream_tbENKUlT_T0_E_clISt17integral_constantIbLb1EES10_IbLb0EEEEDaSW_SX_EUlSW_E_NS1_11comp_targetILNS1_3genE9ELNS1_11target_archE1100ELNS1_3gpuE3ELNS1_3repE0EEENS1_30default_config_static_selectorELNS0_4arch9wavefront6targetE1EEEvT1_
    .private_segment_fixed_size: 0
    .sgpr_count:     4
    .sgpr_spill_count: 0
    .symbol:         _ZN7rocprim17ROCPRIM_400000_NS6detail17trampoline_kernelINS0_14default_configENS1_27scan_by_key_config_selectorIijEEZZNS1_16scan_by_key_implILNS1_25lookback_scan_determinismE0ELb1ES3_N6thrust23THRUST_200600_302600_NS6detail15normal_iteratorINS9_10device_ptrIiEEEENSB_INSC_IjEEEESG_jNS9_4plusIvEENS9_8equal_toIvEEjEE10hipError_tPvRmT2_T3_T4_T5_mT6_T7_P12ihipStream_tbENKUlT_T0_E_clISt17integral_constantIbLb1EES10_IbLb0EEEEDaSW_SX_EUlSW_E_NS1_11comp_targetILNS1_3genE9ELNS1_11target_archE1100ELNS1_3gpuE3ELNS1_3repE0EEENS1_30default_config_static_selectorELNS0_4arch9wavefront6targetE1EEEvT1_.kd
    .uniform_work_group_size: 1
    .uses_dynamic_stack: false
    .vgpr_count:     0
    .vgpr_spill_count: 0
    .wavefront_size: 64
  - .agpr_count:     0
    .args:
      - .offset:         0
        .size:           112
        .value_kind:     by_value
    .group_segment_fixed_size: 0
    .kernarg_segment_align: 8
    .kernarg_segment_size: 112
    .language:       OpenCL C
    .language_version:
      - 2
      - 0
    .max_flat_workgroup_size: 256
    .name:           _ZN7rocprim17ROCPRIM_400000_NS6detail17trampoline_kernelINS0_14default_configENS1_27scan_by_key_config_selectorIijEEZZNS1_16scan_by_key_implILNS1_25lookback_scan_determinismE0ELb1ES3_N6thrust23THRUST_200600_302600_NS6detail15normal_iteratorINS9_10device_ptrIiEEEENSB_INSC_IjEEEESG_jNS9_4plusIvEENS9_8equal_toIvEEjEE10hipError_tPvRmT2_T3_T4_T5_mT6_T7_P12ihipStream_tbENKUlT_T0_E_clISt17integral_constantIbLb1EES10_IbLb0EEEEDaSW_SX_EUlSW_E_NS1_11comp_targetILNS1_3genE8ELNS1_11target_archE1030ELNS1_3gpuE2ELNS1_3repE0EEENS1_30default_config_static_selectorELNS0_4arch9wavefront6targetE1EEEvT1_
    .private_segment_fixed_size: 0
    .sgpr_count:     4
    .sgpr_spill_count: 0
    .symbol:         _ZN7rocprim17ROCPRIM_400000_NS6detail17trampoline_kernelINS0_14default_configENS1_27scan_by_key_config_selectorIijEEZZNS1_16scan_by_key_implILNS1_25lookback_scan_determinismE0ELb1ES3_N6thrust23THRUST_200600_302600_NS6detail15normal_iteratorINS9_10device_ptrIiEEEENSB_INSC_IjEEEESG_jNS9_4plusIvEENS9_8equal_toIvEEjEE10hipError_tPvRmT2_T3_T4_T5_mT6_T7_P12ihipStream_tbENKUlT_T0_E_clISt17integral_constantIbLb1EES10_IbLb0EEEEDaSW_SX_EUlSW_E_NS1_11comp_targetILNS1_3genE8ELNS1_11target_archE1030ELNS1_3gpuE2ELNS1_3repE0EEENS1_30default_config_static_selectorELNS0_4arch9wavefront6targetE1EEEvT1_.kd
    .uniform_work_group_size: 1
    .uses_dynamic_stack: false
    .vgpr_count:     0
    .vgpr_spill_count: 0
    .wavefront_size: 64
  - .agpr_count:     0
    .args:
      - .offset:         0
        .size:           112
        .value_kind:     by_value
    .group_segment_fixed_size: 0
    .kernarg_segment_align: 8
    .kernarg_segment_size: 112
    .language:       OpenCL C
    .language_version:
      - 2
      - 0
    .max_flat_workgroup_size: 256
    .name:           _ZN7rocprim17ROCPRIM_400000_NS6detail17trampoline_kernelINS0_14default_configENS1_27scan_by_key_config_selectorIijEEZZNS1_16scan_by_key_implILNS1_25lookback_scan_determinismE0ELb1ES3_N6thrust23THRUST_200600_302600_NS6detail15normal_iteratorINS9_10device_ptrIiEEEENSB_INSC_IjEEEESG_jNS9_4plusIvEENS9_8equal_toIvEEjEE10hipError_tPvRmT2_T3_T4_T5_mT6_T7_P12ihipStream_tbENKUlT_T0_E_clISt17integral_constantIbLb0EES10_IbLb1EEEEDaSW_SX_EUlSW_E_NS1_11comp_targetILNS1_3genE0ELNS1_11target_archE4294967295ELNS1_3gpuE0ELNS1_3repE0EEENS1_30default_config_static_selectorELNS0_4arch9wavefront6targetE1EEEvT1_
    .private_segment_fixed_size: 0
    .sgpr_count:     4
    .sgpr_spill_count: 0
    .symbol:         _ZN7rocprim17ROCPRIM_400000_NS6detail17trampoline_kernelINS0_14default_configENS1_27scan_by_key_config_selectorIijEEZZNS1_16scan_by_key_implILNS1_25lookback_scan_determinismE0ELb1ES3_N6thrust23THRUST_200600_302600_NS6detail15normal_iteratorINS9_10device_ptrIiEEEENSB_INSC_IjEEEESG_jNS9_4plusIvEENS9_8equal_toIvEEjEE10hipError_tPvRmT2_T3_T4_T5_mT6_T7_P12ihipStream_tbENKUlT_T0_E_clISt17integral_constantIbLb0EES10_IbLb1EEEEDaSW_SX_EUlSW_E_NS1_11comp_targetILNS1_3genE0ELNS1_11target_archE4294967295ELNS1_3gpuE0ELNS1_3repE0EEENS1_30default_config_static_selectorELNS0_4arch9wavefront6targetE1EEEvT1_.kd
    .uniform_work_group_size: 1
    .uses_dynamic_stack: false
    .vgpr_count:     0
    .vgpr_spill_count: 0
    .wavefront_size: 64
  - .agpr_count:     0
    .args:
      - .offset:         0
        .size:           112
        .value_kind:     by_value
    .group_segment_fixed_size: 0
    .kernarg_segment_align: 8
    .kernarg_segment_size: 112
    .language:       OpenCL C
    .language_version:
      - 2
      - 0
    .max_flat_workgroup_size: 256
    .name:           _ZN7rocprim17ROCPRIM_400000_NS6detail17trampoline_kernelINS0_14default_configENS1_27scan_by_key_config_selectorIijEEZZNS1_16scan_by_key_implILNS1_25lookback_scan_determinismE0ELb1ES3_N6thrust23THRUST_200600_302600_NS6detail15normal_iteratorINS9_10device_ptrIiEEEENSB_INSC_IjEEEESG_jNS9_4plusIvEENS9_8equal_toIvEEjEE10hipError_tPvRmT2_T3_T4_T5_mT6_T7_P12ihipStream_tbENKUlT_T0_E_clISt17integral_constantIbLb0EES10_IbLb1EEEEDaSW_SX_EUlSW_E_NS1_11comp_targetILNS1_3genE10ELNS1_11target_archE1201ELNS1_3gpuE5ELNS1_3repE0EEENS1_30default_config_static_selectorELNS0_4arch9wavefront6targetE1EEEvT1_
    .private_segment_fixed_size: 0
    .sgpr_count:     4
    .sgpr_spill_count: 0
    .symbol:         _ZN7rocprim17ROCPRIM_400000_NS6detail17trampoline_kernelINS0_14default_configENS1_27scan_by_key_config_selectorIijEEZZNS1_16scan_by_key_implILNS1_25lookback_scan_determinismE0ELb1ES3_N6thrust23THRUST_200600_302600_NS6detail15normal_iteratorINS9_10device_ptrIiEEEENSB_INSC_IjEEEESG_jNS9_4plusIvEENS9_8equal_toIvEEjEE10hipError_tPvRmT2_T3_T4_T5_mT6_T7_P12ihipStream_tbENKUlT_T0_E_clISt17integral_constantIbLb0EES10_IbLb1EEEEDaSW_SX_EUlSW_E_NS1_11comp_targetILNS1_3genE10ELNS1_11target_archE1201ELNS1_3gpuE5ELNS1_3repE0EEENS1_30default_config_static_selectorELNS0_4arch9wavefront6targetE1EEEvT1_.kd
    .uniform_work_group_size: 1
    .uses_dynamic_stack: false
    .vgpr_count:     0
    .vgpr_spill_count: 0
    .wavefront_size: 64
  - .agpr_count:     0
    .args:
      - .offset:         0
        .size:           112
        .value_kind:     by_value
    .group_segment_fixed_size: 0
    .kernarg_segment_align: 8
    .kernarg_segment_size: 112
    .language:       OpenCL C
    .language_version:
      - 2
      - 0
    .max_flat_workgroup_size: 256
    .name:           _ZN7rocprim17ROCPRIM_400000_NS6detail17trampoline_kernelINS0_14default_configENS1_27scan_by_key_config_selectorIijEEZZNS1_16scan_by_key_implILNS1_25lookback_scan_determinismE0ELb1ES3_N6thrust23THRUST_200600_302600_NS6detail15normal_iteratorINS9_10device_ptrIiEEEENSB_INSC_IjEEEESG_jNS9_4plusIvEENS9_8equal_toIvEEjEE10hipError_tPvRmT2_T3_T4_T5_mT6_T7_P12ihipStream_tbENKUlT_T0_E_clISt17integral_constantIbLb0EES10_IbLb1EEEEDaSW_SX_EUlSW_E_NS1_11comp_targetILNS1_3genE5ELNS1_11target_archE942ELNS1_3gpuE9ELNS1_3repE0EEENS1_30default_config_static_selectorELNS0_4arch9wavefront6targetE1EEEvT1_
    .private_segment_fixed_size: 0
    .sgpr_count:     4
    .sgpr_spill_count: 0
    .symbol:         _ZN7rocprim17ROCPRIM_400000_NS6detail17trampoline_kernelINS0_14default_configENS1_27scan_by_key_config_selectorIijEEZZNS1_16scan_by_key_implILNS1_25lookback_scan_determinismE0ELb1ES3_N6thrust23THRUST_200600_302600_NS6detail15normal_iteratorINS9_10device_ptrIiEEEENSB_INSC_IjEEEESG_jNS9_4plusIvEENS9_8equal_toIvEEjEE10hipError_tPvRmT2_T3_T4_T5_mT6_T7_P12ihipStream_tbENKUlT_T0_E_clISt17integral_constantIbLb0EES10_IbLb1EEEEDaSW_SX_EUlSW_E_NS1_11comp_targetILNS1_3genE5ELNS1_11target_archE942ELNS1_3gpuE9ELNS1_3repE0EEENS1_30default_config_static_selectorELNS0_4arch9wavefront6targetE1EEEvT1_.kd
    .uniform_work_group_size: 1
    .uses_dynamic_stack: false
    .vgpr_count:     0
    .vgpr_spill_count: 0
    .wavefront_size: 64
  - .agpr_count:     0
    .args:
      - .offset:         0
        .size:           112
        .value_kind:     by_value
    .group_segment_fixed_size: 16384
    .kernarg_segment_align: 8
    .kernarg_segment_size: 112
    .language:       OpenCL C
    .language_version:
      - 2
      - 0
    .max_flat_workgroup_size: 256
    .name:           _ZN7rocprim17ROCPRIM_400000_NS6detail17trampoline_kernelINS0_14default_configENS1_27scan_by_key_config_selectorIijEEZZNS1_16scan_by_key_implILNS1_25lookback_scan_determinismE0ELb1ES3_N6thrust23THRUST_200600_302600_NS6detail15normal_iteratorINS9_10device_ptrIiEEEENSB_INSC_IjEEEESG_jNS9_4plusIvEENS9_8equal_toIvEEjEE10hipError_tPvRmT2_T3_T4_T5_mT6_T7_P12ihipStream_tbENKUlT_T0_E_clISt17integral_constantIbLb0EES10_IbLb1EEEEDaSW_SX_EUlSW_E_NS1_11comp_targetILNS1_3genE4ELNS1_11target_archE910ELNS1_3gpuE8ELNS1_3repE0EEENS1_30default_config_static_selectorELNS0_4arch9wavefront6targetE1EEEvT1_
    .private_segment_fixed_size: 0
    .sgpr_count:     64
    .sgpr_spill_count: 0
    .symbol:         _ZN7rocprim17ROCPRIM_400000_NS6detail17trampoline_kernelINS0_14default_configENS1_27scan_by_key_config_selectorIijEEZZNS1_16scan_by_key_implILNS1_25lookback_scan_determinismE0ELb1ES3_N6thrust23THRUST_200600_302600_NS6detail15normal_iteratorINS9_10device_ptrIiEEEENSB_INSC_IjEEEESG_jNS9_4plusIvEENS9_8equal_toIvEEjEE10hipError_tPvRmT2_T3_T4_T5_mT6_T7_P12ihipStream_tbENKUlT_T0_E_clISt17integral_constantIbLb0EES10_IbLb1EEEEDaSW_SX_EUlSW_E_NS1_11comp_targetILNS1_3genE4ELNS1_11target_archE910ELNS1_3gpuE8ELNS1_3repE0EEENS1_30default_config_static_selectorELNS0_4arch9wavefront6targetE1EEEvT1_.kd
    .uniform_work_group_size: 1
    .uses_dynamic_stack: false
    .vgpr_count:     67
    .vgpr_spill_count: 0
    .wavefront_size: 64
  - .agpr_count:     0
    .args:
      - .offset:         0
        .size:           112
        .value_kind:     by_value
    .group_segment_fixed_size: 0
    .kernarg_segment_align: 8
    .kernarg_segment_size: 112
    .language:       OpenCL C
    .language_version:
      - 2
      - 0
    .max_flat_workgroup_size: 256
    .name:           _ZN7rocprim17ROCPRIM_400000_NS6detail17trampoline_kernelINS0_14default_configENS1_27scan_by_key_config_selectorIijEEZZNS1_16scan_by_key_implILNS1_25lookback_scan_determinismE0ELb1ES3_N6thrust23THRUST_200600_302600_NS6detail15normal_iteratorINS9_10device_ptrIiEEEENSB_INSC_IjEEEESG_jNS9_4plusIvEENS9_8equal_toIvEEjEE10hipError_tPvRmT2_T3_T4_T5_mT6_T7_P12ihipStream_tbENKUlT_T0_E_clISt17integral_constantIbLb0EES10_IbLb1EEEEDaSW_SX_EUlSW_E_NS1_11comp_targetILNS1_3genE3ELNS1_11target_archE908ELNS1_3gpuE7ELNS1_3repE0EEENS1_30default_config_static_selectorELNS0_4arch9wavefront6targetE1EEEvT1_
    .private_segment_fixed_size: 0
    .sgpr_count:     4
    .sgpr_spill_count: 0
    .symbol:         _ZN7rocprim17ROCPRIM_400000_NS6detail17trampoline_kernelINS0_14default_configENS1_27scan_by_key_config_selectorIijEEZZNS1_16scan_by_key_implILNS1_25lookback_scan_determinismE0ELb1ES3_N6thrust23THRUST_200600_302600_NS6detail15normal_iteratorINS9_10device_ptrIiEEEENSB_INSC_IjEEEESG_jNS9_4plusIvEENS9_8equal_toIvEEjEE10hipError_tPvRmT2_T3_T4_T5_mT6_T7_P12ihipStream_tbENKUlT_T0_E_clISt17integral_constantIbLb0EES10_IbLb1EEEEDaSW_SX_EUlSW_E_NS1_11comp_targetILNS1_3genE3ELNS1_11target_archE908ELNS1_3gpuE7ELNS1_3repE0EEENS1_30default_config_static_selectorELNS0_4arch9wavefront6targetE1EEEvT1_.kd
    .uniform_work_group_size: 1
    .uses_dynamic_stack: false
    .vgpr_count:     0
    .vgpr_spill_count: 0
    .wavefront_size: 64
  - .agpr_count:     0
    .args:
      - .offset:         0
        .size:           112
        .value_kind:     by_value
    .group_segment_fixed_size: 0
    .kernarg_segment_align: 8
    .kernarg_segment_size: 112
    .language:       OpenCL C
    .language_version:
      - 2
      - 0
    .max_flat_workgroup_size: 256
    .name:           _ZN7rocprim17ROCPRIM_400000_NS6detail17trampoline_kernelINS0_14default_configENS1_27scan_by_key_config_selectorIijEEZZNS1_16scan_by_key_implILNS1_25lookback_scan_determinismE0ELb1ES3_N6thrust23THRUST_200600_302600_NS6detail15normal_iteratorINS9_10device_ptrIiEEEENSB_INSC_IjEEEESG_jNS9_4plusIvEENS9_8equal_toIvEEjEE10hipError_tPvRmT2_T3_T4_T5_mT6_T7_P12ihipStream_tbENKUlT_T0_E_clISt17integral_constantIbLb0EES10_IbLb1EEEEDaSW_SX_EUlSW_E_NS1_11comp_targetILNS1_3genE2ELNS1_11target_archE906ELNS1_3gpuE6ELNS1_3repE0EEENS1_30default_config_static_selectorELNS0_4arch9wavefront6targetE1EEEvT1_
    .private_segment_fixed_size: 0
    .sgpr_count:     4
    .sgpr_spill_count: 0
    .symbol:         _ZN7rocprim17ROCPRIM_400000_NS6detail17trampoline_kernelINS0_14default_configENS1_27scan_by_key_config_selectorIijEEZZNS1_16scan_by_key_implILNS1_25lookback_scan_determinismE0ELb1ES3_N6thrust23THRUST_200600_302600_NS6detail15normal_iteratorINS9_10device_ptrIiEEEENSB_INSC_IjEEEESG_jNS9_4plusIvEENS9_8equal_toIvEEjEE10hipError_tPvRmT2_T3_T4_T5_mT6_T7_P12ihipStream_tbENKUlT_T0_E_clISt17integral_constantIbLb0EES10_IbLb1EEEEDaSW_SX_EUlSW_E_NS1_11comp_targetILNS1_3genE2ELNS1_11target_archE906ELNS1_3gpuE6ELNS1_3repE0EEENS1_30default_config_static_selectorELNS0_4arch9wavefront6targetE1EEEvT1_.kd
    .uniform_work_group_size: 1
    .uses_dynamic_stack: false
    .vgpr_count:     0
    .vgpr_spill_count: 0
    .wavefront_size: 64
  - .agpr_count:     0
    .args:
      - .offset:         0
        .size:           112
        .value_kind:     by_value
    .group_segment_fixed_size: 0
    .kernarg_segment_align: 8
    .kernarg_segment_size: 112
    .language:       OpenCL C
    .language_version:
      - 2
      - 0
    .max_flat_workgroup_size: 256
    .name:           _ZN7rocprim17ROCPRIM_400000_NS6detail17trampoline_kernelINS0_14default_configENS1_27scan_by_key_config_selectorIijEEZZNS1_16scan_by_key_implILNS1_25lookback_scan_determinismE0ELb1ES3_N6thrust23THRUST_200600_302600_NS6detail15normal_iteratorINS9_10device_ptrIiEEEENSB_INSC_IjEEEESG_jNS9_4plusIvEENS9_8equal_toIvEEjEE10hipError_tPvRmT2_T3_T4_T5_mT6_T7_P12ihipStream_tbENKUlT_T0_E_clISt17integral_constantIbLb0EES10_IbLb1EEEEDaSW_SX_EUlSW_E_NS1_11comp_targetILNS1_3genE10ELNS1_11target_archE1200ELNS1_3gpuE4ELNS1_3repE0EEENS1_30default_config_static_selectorELNS0_4arch9wavefront6targetE1EEEvT1_
    .private_segment_fixed_size: 0
    .sgpr_count:     4
    .sgpr_spill_count: 0
    .symbol:         _ZN7rocprim17ROCPRIM_400000_NS6detail17trampoline_kernelINS0_14default_configENS1_27scan_by_key_config_selectorIijEEZZNS1_16scan_by_key_implILNS1_25lookback_scan_determinismE0ELb1ES3_N6thrust23THRUST_200600_302600_NS6detail15normal_iteratorINS9_10device_ptrIiEEEENSB_INSC_IjEEEESG_jNS9_4plusIvEENS9_8equal_toIvEEjEE10hipError_tPvRmT2_T3_T4_T5_mT6_T7_P12ihipStream_tbENKUlT_T0_E_clISt17integral_constantIbLb0EES10_IbLb1EEEEDaSW_SX_EUlSW_E_NS1_11comp_targetILNS1_3genE10ELNS1_11target_archE1200ELNS1_3gpuE4ELNS1_3repE0EEENS1_30default_config_static_selectorELNS0_4arch9wavefront6targetE1EEEvT1_.kd
    .uniform_work_group_size: 1
    .uses_dynamic_stack: false
    .vgpr_count:     0
    .vgpr_spill_count: 0
    .wavefront_size: 64
  - .agpr_count:     0
    .args:
      - .offset:         0
        .size:           112
        .value_kind:     by_value
    .group_segment_fixed_size: 0
    .kernarg_segment_align: 8
    .kernarg_segment_size: 112
    .language:       OpenCL C
    .language_version:
      - 2
      - 0
    .max_flat_workgroup_size: 256
    .name:           _ZN7rocprim17ROCPRIM_400000_NS6detail17trampoline_kernelINS0_14default_configENS1_27scan_by_key_config_selectorIijEEZZNS1_16scan_by_key_implILNS1_25lookback_scan_determinismE0ELb1ES3_N6thrust23THRUST_200600_302600_NS6detail15normal_iteratorINS9_10device_ptrIiEEEENSB_INSC_IjEEEESG_jNS9_4plusIvEENS9_8equal_toIvEEjEE10hipError_tPvRmT2_T3_T4_T5_mT6_T7_P12ihipStream_tbENKUlT_T0_E_clISt17integral_constantIbLb0EES10_IbLb1EEEEDaSW_SX_EUlSW_E_NS1_11comp_targetILNS1_3genE9ELNS1_11target_archE1100ELNS1_3gpuE3ELNS1_3repE0EEENS1_30default_config_static_selectorELNS0_4arch9wavefront6targetE1EEEvT1_
    .private_segment_fixed_size: 0
    .sgpr_count:     4
    .sgpr_spill_count: 0
    .symbol:         _ZN7rocprim17ROCPRIM_400000_NS6detail17trampoline_kernelINS0_14default_configENS1_27scan_by_key_config_selectorIijEEZZNS1_16scan_by_key_implILNS1_25lookback_scan_determinismE0ELb1ES3_N6thrust23THRUST_200600_302600_NS6detail15normal_iteratorINS9_10device_ptrIiEEEENSB_INSC_IjEEEESG_jNS9_4plusIvEENS9_8equal_toIvEEjEE10hipError_tPvRmT2_T3_T4_T5_mT6_T7_P12ihipStream_tbENKUlT_T0_E_clISt17integral_constantIbLb0EES10_IbLb1EEEEDaSW_SX_EUlSW_E_NS1_11comp_targetILNS1_3genE9ELNS1_11target_archE1100ELNS1_3gpuE3ELNS1_3repE0EEENS1_30default_config_static_selectorELNS0_4arch9wavefront6targetE1EEEvT1_.kd
    .uniform_work_group_size: 1
    .uses_dynamic_stack: false
    .vgpr_count:     0
    .vgpr_spill_count: 0
    .wavefront_size: 64
  - .agpr_count:     0
    .args:
      - .offset:         0
        .size:           112
        .value_kind:     by_value
    .group_segment_fixed_size: 0
    .kernarg_segment_align: 8
    .kernarg_segment_size: 112
    .language:       OpenCL C
    .language_version:
      - 2
      - 0
    .max_flat_workgroup_size: 256
    .name:           _ZN7rocprim17ROCPRIM_400000_NS6detail17trampoline_kernelINS0_14default_configENS1_27scan_by_key_config_selectorIijEEZZNS1_16scan_by_key_implILNS1_25lookback_scan_determinismE0ELb1ES3_N6thrust23THRUST_200600_302600_NS6detail15normal_iteratorINS9_10device_ptrIiEEEENSB_INSC_IjEEEESG_jNS9_4plusIvEENS9_8equal_toIvEEjEE10hipError_tPvRmT2_T3_T4_T5_mT6_T7_P12ihipStream_tbENKUlT_T0_E_clISt17integral_constantIbLb0EES10_IbLb1EEEEDaSW_SX_EUlSW_E_NS1_11comp_targetILNS1_3genE8ELNS1_11target_archE1030ELNS1_3gpuE2ELNS1_3repE0EEENS1_30default_config_static_selectorELNS0_4arch9wavefront6targetE1EEEvT1_
    .private_segment_fixed_size: 0
    .sgpr_count:     4
    .sgpr_spill_count: 0
    .symbol:         _ZN7rocprim17ROCPRIM_400000_NS6detail17trampoline_kernelINS0_14default_configENS1_27scan_by_key_config_selectorIijEEZZNS1_16scan_by_key_implILNS1_25lookback_scan_determinismE0ELb1ES3_N6thrust23THRUST_200600_302600_NS6detail15normal_iteratorINS9_10device_ptrIiEEEENSB_INSC_IjEEEESG_jNS9_4plusIvEENS9_8equal_toIvEEjEE10hipError_tPvRmT2_T3_T4_T5_mT6_T7_P12ihipStream_tbENKUlT_T0_E_clISt17integral_constantIbLb0EES10_IbLb1EEEEDaSW_SX_EUlSW_E_NS1_11comp_targetILNS1_3genE8ELNS1_11target_archE1030ELNS1_3gpuE2ELNS1_3repE0EEENS1_30default_config_static_selectorELNS0_4arch9wavefront6targetE1EEEvT1_.kd
    .uniform_work_group_size: 1
    .uses_dynamic_stack: false
    .vgpr_count:     0
    .vgpr_spill_count: 0
    .wavefront_size: 64
  - .agpr_count:     0
    .args:
      - .offset:         0
        .size:           112
        .value_kind:     by_value
    .group_segment_fixed_size: 0
    .kernarg_segment_align: 8
    .kernarg_segment_size: 112
    .language:       OpenCL C
    .language_version:
      - 2
      - 0
    .max_flat_workgroup_size: 256
    .name:           _ZN7rocprim17ROCPRIM_400000_NS6detail17trampoline_kernelINS0_14default_configENS1_27scan_by_key_config_selectorIitEEZZNS1_16scan_by_key_implILNS1_25lookback_scan_determinismE0ELb1ES3_N6thrust23THRUST_200600_302600_NS6detail15normal_iteratorINS9_10device_ptrIiEEEENSB_INSC_ItEEEESG_tNS9_4plusIvEENS9_8equal_toIvEEtEE10hipError_tPvRmT2_T3_T4_T5_mT6_T7_P12ihipStream_tbENKUlT_T0_E_clISt17integral_constantIbLb0EES11_EEDaSW_SX_EUlSW_E_NS1_11comp_targetILNS1_3genE0ELNS1_11target_archE4294967295ELNS1_3gpuE0ELNS1_3repE0EEENS1_30default_config_static_selectorELNS0_4arch9wavefront6targetE1EEEvT1_
    .private_segment_fixed_size: 0
    .sgpr_count:     4
    .sgpr_spill_count: 0
    .symbol:         _ZN7rocprim17ROCPRIM_400000_NS6detail17trampoline_kernelINS0_14default_configENS1_27scan_by_key_config_selectorIitEEZZNS1_16scan_by_key_implILNS1_25lookback_scan_determinismE0ELb1ES3_N6thrust23THRUST_200600_302600_NS6detail15normal_iteratorINS9_10device_ptrIiEEEENSB_INSC_ItEEEESG_tNS9_4plusIvEENS9_8equal_toIvEEtEE10hipError_tPvRmT2_T3_T4_T5_mT6_T7_P12ihipStream_tbENKUlT_T0_E_clISt17integral_constantIbLb0EES11_EEDaSW_SX_EUlSW_E_NS1_11comp_targetILNS1_3genE0ELNS1_11target_archE4294967295ELNS1_3gpuE0ELNS1_3repE0EEENS1_30default_config_static_selectorELNS0_4arch9wavefront6targetE1EEEvT1_.kd
    .uniform_work_group_size: 1
    .uses_dynamic_stack: false
    .vgpr_count:     0
    .vgpr_spill_count: 0
    .wavefront_size: 64
  - .agpr_count:     0
    .args:
      - .offset:         0
        .size:           112
        .value_kind:     by_value
    .group_segment_fixed_size: 0
    .kernarg_segment_align: 8
    .kernarg_segment_size: 112
    .language:       OpenCL C
    .language_version:
      - 2
      - 0
    .max_flat_workgroup_size: 256
    .name:           _ZN7rocprim17ROCPRIM_400000_NS6detail17trampoline_kernelINS0_14default_configENS1_27scan_by_key_config_selectorIitEEZZNS1_16scan_by_key_implILNS1_25lookback_scan_determinismE0ELb1ES3_N6thrust23THRUST_200600_302600_NS6detail15normal_iteratorINS9_10device_ptrIiEEEENSB_INSC_ItEEEESG_tNS9_4plusIvEENS9_8equal_toIvEEtEE10hipError_tPvRmT2_T3_T4_T5_mT6_T7_P12ihipStream_tbENKUlT_T0_E_clISt17integral_constantIbLb0EES11_EEDaSW_SX_EUlSW_E_NS1_11comp_targetILNS1_3genE10ELNS1_11target_archE1201ELNS1_3gpuE5ELNS1_3repE0EEENS1_30default_config_static_selectorELNS0_4arch9wavefront6targetE1EEEvT1_
    .private_segment_fixed_size: 0
    .sgpr_count:     4
    .sgpr_spill_count: 0
    .symbol:         _ZN7rocprim17ROCPRIM_400000_NS6detail17trampoline_kernelINS0_14default_configENS1_27scan_by_key_config_selectorIitEEZZNS1_16scan_by_key_implILNS1_25lookback_scan_determinismE0ELb1ES3_N6thrust23THRUST_200600_302600_NS6detail15normal_iteratorINS9_10device_ptrIiEEEENSB_INSC_ItEEEESG_tNS9_4plusIvEENS9_8equal_toIvEEtEE10hipError_tPvRmT2_T3_T4_T5_mT6_T7_P12ihipStream_tbENKUlT_T0_E_clISt17integral_constantIbLb0EES11_EEDaSW_SX_EUlSW_E_NS1_11comp_targetILNS1_3genE10ELNS1_11target_archE1201ELNS1_3gpuE5ELNS1_3repE0EEENS1_30default_config_static_selectorELNS0_4arch9wavefront6targetE1EEEvT1_.kd
    .uniform_work_group_size: 1
    .uses_dynamic_stack: false
    .vgpr_count:     0
    .vgpr_spill_count: 0
    .wavefront_size: 64
  - .agpr_count:     0
    .args:
      - .offset:         0
        .size:           112
        .value_kind:     by_value
    .group_segment_fixed_size: 0
    .kernarg_segment_align: 8
    .kernarg_segment_size: 112
    .language:       OpenCL C
    .language_version:
      - 2
      - 0
    .max_flat_workgroup_size: 256
    .name:           _ZN7rocprim17ROCPRIM_400000_NS6detail17trampoline_kernelINS0_14default_configENS1_27scan_by_key_config_selectorIitEEZZNS1_16scan_by_key_implILNS1_25lookback_scan_determinismE0ELb1ES3_N6thrust23THRUST_200600_302600_NS6detail15normal_iteratorINS9_10device_ptrIiEEEENSB_INSC_ItEEEESG_tNS9_4plusIvEENS9_8equal_toIvEEtEE10hipError_tPvRmT2_T3_T4_T5_mT6_T7_P12ihipStream_tbENKUlT_T0_E_clISt17integral_constantIbLb0EES11_EEDaSW_SX_EUlSW_E_NS1_11comp_targetILNS1_3genE5ELNS1_11target_archE942ELNS1_3gpuE9ELNS1_3repE0EEENS1_30default_config_static_selectorELNS0_4arch9wavefront6targetE1EEEvT1_
    .private_segment_fixed_size: 0
    .sgpr_count:     4
    .sgpr_spill_count: 0
    .symbol:         _ZN7rocprim17ROCPRIM_400000_NS6detail17trampoline_kernelINS0_14default_configENS1_27scan_by_key_config_selectorIitEEZZNS1_16scan_by_key_implILNS1_25lookback_scan_determinismE0ELb1ES3_N6thrust23THRUST_200600_302600_NS6detail15normal_iteratorINS9_10device_ptrIiEEEENSB_INSC_ItEEEESG_tNS9_4plusIvEENS9_8equal_toIvEEtEE10hipError_tPvRmT2_T3_T4_T5_mT6_T7_P12ihipStream_tbENKUlT_T0_E_clISt17integral_constantIbLb0EES11_EEDaSW_SX_EUlSW_E_NS1_11comp_targetILNS1_3genE5ELNS1_11target_archE942ELNS1_3gpuE9ELNS1_3repE0EEENS1_30default_config_static_selectorELNS0_4arch9wavefront6targetE1EEEvT1_.kd
    .uniform_work_group_size: 1
    .uses_dynamic_stack: false
    .vgpr_count:     0
    .vgpr_spill_count: 0
    .wavefront_size: 64
  - .agpr_count:     0
    .args:
      - .offset:         0
        .size:           112
        .value_kind:     by_value
    .group_segment_fixed_size: 6656
    .kernarg_segment_align: 8
    .kernarg_segment_size: 112
    .language:       OpenCL C
    .language_version:
      - 2
      - 0
    .max_flat_workgroup_size: 64
    .name:           _ZN7rocprim17ROCPRIM_400000_NS6detail17trampoline_kernelINS0_14default_configENS1_27scan_by_key_config_selectorIitEEZZNS1_16scan_by_key_implILNS1_25lookback_scan_determinismE0ELb1ES3_N6thrust23THRUST_200600_302600_NS6detail15normal_iteratorINS9_10device_ptrIiEEEENSB_INSC_ItEEEESG_tNS9_4plusIvEENS9_8equal_toIvEEtEE10hipError_tPvRmT2_T3_T4_T5_mT6_T7_P12ihipStream_tbENKUlT_T0_E_clISt17integral_constantIbLb0EES11_EEDaSW_SX_EUlSW_E_NS1_11comp_targetILNS1_3genE4ELNS1_11target_archE910ELNS1_3gpuE8ELNS1_3repE0EEENS1_30default_config_static_selectorELNS0_4arch9wavefront6targetE1EEEvT1_
    .private_segment_fixed_size: 0
    .sgpr_count:     92
    .sgpr_spill_count: 0
    .symbol:         _ZN7rocprim17ROCPRIM_400000_NS6detail17trampoline_kernelINS0_14default_configENS1_27scan_by_key_config_selectorIitEEZZNS1_16scan_by_key_implILNS1_25lookback_scan_determinismE0ELb1ES3_N6thrust23THRUST_200600_302600_NS6detail15normal_iteratorINS9_10device_ptrIiEEEENSB_INSC_ItEEEESG_tNS9_4plusIvEENS9_8equal_toIvEEtEE10hipError_tPvRmT2_T3_T4_T5_mT6_T7_P12ihipStream_tbENKUlT_T0_E_clISt17integral_constantIbLb0EES11_EEDaSW_SX_EUlSW_E_NS1_11comp_targetILNS1_3genE4ELNS1_11target_archE910ELNS1_3gpuE8ELNS1_3repE0EEENS1_30default_config_static_selectorELNS0_4arch9wavefront6targetE1EEEvT1_.kd
    .uniform_work_group_size: 1
    .uses_dynamic_stack: false
    .vgpr_count:     56
    .vgpr_spill_count: 0
    .wavefront_size: 64
  - .agpr_count:     0
    .args:
      - .offset:         0
        .size:           112
        .value_kind:     by_value
    .group_segment_fixed_size: 0
    .kernarg_segment_align: 8
    .kernarg_segment_size: 112
    .language:       OpenCL C
    .language_version:
      - 2
      - 0
    .max_flat_workgroup_size: 256
    .name:           _ZN7rocprim17ROCPRIM_400000_NS6detail17trampoline_kernelINS0_14default_configENS1_27scan_by_key_config_selectorIitEEZZNS1_16scan_by_key_implILNS1_25lookback_scan_determinismE0ELb1ES3_N6thrust23THRUST_200600_302600_NS6detail15normal_iteratorINS9_10device_ptrIiEEEENSB_INSC_ItEEEESG_tNS9_4plusIvEENS9_8equal_toIvEEtEE10hipError_tPvRmT2_T3_T4_T5_mT6_T7_P12ihipStream_tbENKUlT_T0_E_clISt17integral_constantIbLb0EES11_EEDaSW_SX_EUlSW_E_NS1_11comp_targetILNS1_3genE3ELNS1_11target_archE908ELNS1_3gpuE7ELNS1_3repE0EEENS1_30default_config_static_selectorELNS0_4arch9wavefront6targetE1EEEvT1_
    .private_segment_fixed_size: 0
    .sgpr_count:     4
    .sgpr_spill_count: 0
    .symbol:         _ZN7rocprim17ROCPRIM_400000_NS6detail17trampoline_kernelINS0_14default_configENS1_27scan_by_key_config_selectorIitEEZZNS1_16scan_by_key_implILNS1_25lookback_scan_determinismE0ELb1ES3_N6thrust23THRUST_200600_302600_NS6detail15normal_iteratorINS9_10device_ptrIiEEEENSB_INSC_ItEEEESG_tNS9_4plusIvEENS9_8equal_toIvEEtEE10hipError_tPvRmT2_T3_T4_T5_mT6_T7_P12ihipStream_tbENKUlT_T0_E_clISt17integral_constantIbLb0EES11_EEDaSW_SX_EUlSW_E_NS1_11comp_targetILNS1_3genE3ELNS1_11target_archE908ELNS1_3gpuE7ELNS1_3repE0EEENS1_30default_config_static_selectorELNS0_4arch9wavefront6targetE1EEEvT1_.kd
    .uniform_work_group_size: 1
    .uses_dynamic_stack: false
    .vgpr_count:     0
    .vgpr_spill_count: 0
    .wavefront_size: 64
  - .agpr_count:     0
    .args:
      - .offset:         0
        .size:           112
        .value_kind:     by_value
    .group_segment_fixed_size: 0
    .kernarg_segment_align: 8
    .kernarg_segment_size: 112
    .language:       OpenCL C
    .language_version:
      - 2
      - 0
    .max_flat_workgroup_size: 64
    .name:           _ZN7rocprim17ROCPRIM_400000_NS6detail17trampoline_kernelINS0_14default_configENS1_27scan_by_key_config_selectorIitEEZZNS1_16scan_by_key_implILNS1_25lookback_scan_determinismE0ELb1ES3_N6thrust23THRUST_200600_302600_NS6detail15normal_iteratorINS9_10device_ptrIiEEEENSB_INSC_ItEEEESG_tNS9_4plusIvEENS9_8equal_toIvEEtEE10hipError_tPvRmT2_T3_T4_T5_mT6_T7_P12ihipStream_tbENKUlT_T0_E_clISt17integral_constantIbLb0EES11_EEDaSW_SX_EUlSW_E_NS1_11comp_targetILNS1_3genE2ELNS1_11target_archE906ELNS1_3gpuE6ELNS1_3repE0EEENS1_30default_config_static_selectorELNS0_4arch9wavefront6targetE1EEEvT1_
    .private_segment_fixed_size: 0
    .sgpr_count:     4
    .sgpr_spill_count: 0
    .symbol:         _ZN7rocprim17ROCPRIM_400000_NS6detail17trampoline_kernelINS0_14default_configENS1_27scan_by_key_config_selectorIitEEZZNS1_16scan_by_key_implILNS1_25lookback_scan_determinismE0ELb1ES3_N6thrust23THRUST_200600_302600_NS6detail15normal_iteratorINS9_10device_ptrIiEEEENSB_INSC_ItEEEESG_tNS9_4plusIvEENS9_8equal_toIvEEtEE10hipError_tPvRmT2_T3_T4_T5_mT6_T7_P12ihipStream_tbENKUlT_T0_E_clISt17integral_constantIbLb0EES11_EEDaSW_SX_EUlSW_E_NS1_11comp_targetILNS1_3genE2ELNS1_11target_archE906ELNS1_3gpuE6ELNS1_3repE0EEENS1_30default_config_static_selectorELNS0_4arch9wavefront6targetE1EEEvT1_.kd
    .uniform_work_group_size: 1
    .uses_dynamic_stack: false
    .vgpr_count:     0
    .vgpr_spill_count: 0
    .wavefront_size: 64
  - .agpr_count:     0
    .args:
      - .offset:         0
        .size:           112
        .value_kind:     by_value
    .group_segment_fixed_size: 0
    .kernarg_segment_align: 8
    .kernarg_segment_size: 112
    .language:       OpenCL C
    .language_version:
      - 2
      - 0
    .max_flat_workgroup_size: 256
    .name:           _ZN7rocprim17ROCPRIM_400000_NS6detail17trampoline_kernelINS0_14default_configENS1_27scan_by_key_config_selectorIitEEZZNS1_16scan_by_key_implILNS1_25lookback_scan_determinismE0ELb1ES3_N6thrust23THRUST_200600_302600_NS6detail15normal_iteratorINS9_10device_ptrIiEEEENSB_INSC_ItEEEESG_tNS9_4plusIvEENS9_8equal_toIvEEtEE10hipError_tPvRmT2_T3_T4_T5_mT6_T7_P12ihipStream_tbENKUlT_T0_E_clISt17integral_constantIbLb0EES11_EEDaSW_SX_EUlSW_E_NS1_11comp_targetILNS1_3genE10ELNS1_11target_archE1200ELNS1_3gpuE4ELNS1_3repE0EEENS1_30default_config_static_selectorELNS0_4arch9wavefront6targetE1EEEvT1_
    .private_segment_fixed_size: 0
    .sgpr_count:     4
    .sgpr_spill_count: 0
    .symbol:         _ZN7rocprim17ROCPRIM_400000_NS6detail17trampoline_kernelINS0_14default_configENS1_27scan_by_key_config_selectorIitEEZZNS1_16scan_by_key_implILNS1_25lookback_scan_determinismE0ELb1ES3_N6thrust23THRUST_200600_302600_NS6detail15normal_iteratorINS9_10device_ptrIiEEEENSB_INSC_ItEEEESG_tNS9_4plusIvEENS9_8equal_toIvEEtEE10hipError_tPvRmT2_T3_T4_T5_mT6_T7_P12ihipStream_tbENKUlT_T0_E_clISt17integral_constantIbLb0EES11_EEDaSW_SX_EUlSW_E_NS1_11comp_targetILNS1_3genE10ELNS1_11target_archE1200ELNS1_3gpuE4ELNS1_3repE0EEENS1_30default_config_static_selectorELNS0_4arch9wavefront6targetE1EEEvT1_.kd
    .uniform_work_group_size: 1
    .uses_dynamic_stack: false
    .vgpr_count:     0
    .vgpr_spill_count: 0
    .wavefront_size: 64
  - .agpr_count:     0
    .args:
      - .offset:         0
        .size:           112
        .value_kind:     by_value
    .group_segment_fixed_size: 0
    .kernarg_segment_align: 8
    .kernarg_segment_size: 112
    .language:       OpenCL C
    .language_version:
      - 2
      - 0
    .max_flat_workgroup_size: 64
    .name:           _ZN7rocprim17ROCPRIM_400000_NS6detail17trampoline_kernelINS0_14default_configENS1_27scan_by_key_config_selectorIitEEZZNS1_16scan_by_key_implILNS1_25lookback_scan_determinismE0ELb1ES3_N6thrust23THRUST_200600_302600_NS6detail15normal_iteratorINS9_10device_ptrIiEEEENSB_INSC_ItEEEESG_tNS9_4plusIvEENS9_8equal_toIvEEtEE10hipError_tPvRmT2_T3_T4_T5_mT6_T7_P12ihipStream_tbENKUlT_T0_E_clISt17integral_constantIbLb0EES11_EEDaSW_SX_EUlSW_E_NS1_11comp_targetILNS1_3genE9ELNS1_11target_archE1100ELNS1_3gpuE3ELNS1_3repE0EEENS1_30default_config_static_selectorELNS0_4arch9wavefront6targetE1EEEvT1_
    .private_segment_fixed_size: 0
    .sgpr_count:     4
    .sgpr_spill_count: 0
    .symbol:         _ZN7rocprim17ROCPRIM_400000_NS6detail17trampoline_kernelINS0_14default_configENS1_27scan_by_key_config_selectorIitEEZZNS1_16scan_by_key_implILNS1_25lookback_scan_determinismE0ELb1ES3_N6thrust23THRUST_200600_302600_NS6detail15normal_iteratorINS9_10device_ptrIiEEEENSB_INSC_ItEEEESG_tNS9_4plusIvEENS9_8equal_toIvEEtEE10hipError_tPvRmT2_T3_T4_T5_mT6_T7_P12ihipStream_tbENKUlT_T0_E_clISt17integral_constantIbLb0EES11_EEDaSW_SX_EUlSW_E_NS1_11comp_targetILNS1_3genE9ELNS1_11target_archE1100ELNS1_3gpuE3ELNS1_3repE0EEENS1_30default_config_static_selectorELNS0_4arch9wavefront6targetE1EEEvT1_.kd
    .uniform_work_group_size: 1
    .uses_dynamic_stack: false
    .vgpr_count:     0
    .vgpr_spill_count: 0
    .wavefront_size: 64
  - .agpr_count:     0
    .args:
      - .offset:         0
        .size:           112
        .value_kind:     by_value
    .group_segment_fixed_size: 0
    .kernarg_segment_align: 8
    .kernarg_segment_size: 112
    .language:       OpenCL C
    .language_version:
      - 2
      - 0
    .max_flat_workgroup_size: 64
    .name:           _ZN7rocprim17ROCPRIM_400000_NS6detail17trampoline_kernelINS0_14default_configENS1_27scan_by_key_config_selectorIitEEZZNS1_16scan_by_key_implILNS1_25lookback_scan_determinismE0ELb1ES3_N6thrust23THRUST_200600_302600_NS6detail15normal_iteratorINS9_10device_ptrIiEEEENSB_INSC_ItEEEESG_tNS9_4plusIvEENS9_8equal_toIvEEtEE10hipError_tPvRmT2_T3_T4_T5_mT6_T7_P12ihipStream_tbENKUlT_T0_E_clISt17integral_constantIbLb0EES11_EEDaSW_SX_EUlSW_E_NS1_11comp_targetILNS1_3genE8ELNS1_11target_archE1030ELNS1_3gpuE2ELNS1_3repE0EEENS1_30default_config_static_selectorELNS0_4arch9wavefront6targetE1EEEvT1_
    .private_segment_fixed_size: 0
    .sgpr_count:     4
    .sgpr_spill_count: 0
    .symbol:         _ZN7rocprim17ROCPRIM_400000_NS6detail17trampoline_kernelINS0_14default_configENS1_27scan_by_key_config_selectorIitEEZZNS1_16scan_by_key_implILNS1_25lookback_scan_determinismE0ELb1ES3_N6thrust23THRUST_200600_302600_NS6detail15normal_iteratorINS9_10device_ptrIiEEEENSB_INSC_ItEEEESG_tNS9_4plusIvEENS9_8equal_toIvEEtEE10hipError_tPvRmT2_T3_T4_T5_mT6_T7_P12ihipStream_tbENKUlT_T0_E_clISt17integral_constantIbLb0EES11_EEDaSW_SX_EUlSW_E_NS1_11comp_targetILNS1_3genE8ELNS1_11target_archE1030ELNS1_3gpuE2ELNS1_3repE0EEENS1_30default_config_static_selectorELNS0_4arch9wavefront6targetE1EEEvT1_.kd
    .uniform_work_group_size: 1
    .uses_dynamic_stack: false
    .vgpr_count:     0
    .vgpr_spill_count: 0
    .wavefront_size: 64
  - .agpr_count:     0
    .args:
      - .offset:         0
        .size:           112
        .value_kind:     by_value
    .group_segment_fixed_size: 0
    .kernarg_segment_align: 8
    .kernarg_segment_size: 112
    .language:       OpenCL C
    .language_version:
      - 2
      - 0
    .max_flat_workgroup_size: 256
    .name:           _ZN7rocprim17ROCPRIM_400000_NS6detail17trampoline_kernelINS0_14default_configENS1_27scan_by_key_config_selectorIitEEZZNS1_16scan_by_key_implILNS1_25lookback_scan_determinismE0ELb1ES3_N6thrust23THRUST_200600_302600_NS6detail15normal_iteratorINS9_10device_ptrIiEEEENSB_INSC_ItEEEESG_tNS9_4plusIvEENS9_8equal_toIvEEtEE10hipError_tPvRmT2_T3_T4_T5_mT6_T7_P12ihipStream_tbENKUlT_T0_E_clISt17integral_constantIbLb1EES11_EEDaSW_SX_EUlSW_E_NS1_11comp_targetILNS1_3genE0ELNS1_11target_archE4294967295ELNS1_3gpuE0ELNS1_3repE0EEENS1_30default_config_static_selectorELNS0_4arch9wavefront6targetE1EEEvT1_
    .private_segment_fixed_size: 0
    .sgpr_count:     4
    .sgpr_spill_count: 0
    .symbol:         _ZN7rocprim17ROCPRIM_400000_NS6detail17trampoline_kernelINS0_14default_configENS1_27scan_by_key_config_selectorIitEEZZNS1_16scan_by_key_implILNS1_25lookback_scan_determinismE0ELb1ES3_N6thrust23THRUST_200600_302600_NS6detail15normal_iteratorINS9_10device_ptrIiEEEENSB_INSC_ItEEEESG_tNS9_4plusIvEENS9_8equal_toIvEEtEE10hipError_tPvRmT2_T3_T4_T5_mT6_T7_P12ihipStream_tbENKUlT_T0_E_clISt17integral_constantIbLb1EES11_EEDaSW_SX_EUlSW_E_NS1_11comp_targetILNS1_3genE0ELNS1_11target_archE4294967295ELNS1_3gpuE0ELNS1_3repE0EEENS1_30default_config_static_selectorELNS0_4arch9wavefront6targetE1EEEvT1_.kd
    .uniform_work_group_size: 1
    .uses_dynamic_stack: false
    .vgpr_count:     0
    .vgpr_spill_count: 0
    .wavefront_size: 64
  - .agpr_count:     0
    .args:
      - .offset:         0
        .size:           112
        .value_kind:     by_value
    .group_segment_fixed_size: 0
    .kernarg_segment_align: 8
    .kernarg_segment_size: 112
    .language:       OpenCL C
    .language_version:
      - 2
      - 0
    .max_flat_workgroup_size: 256
    .name:           _ZN7rocprim17ROCPRIM_400000_NS6detail17trampoline_kernelINS0_14default_configENS1_27scan_by_key_config_selectorIitEEZZNS1_16scan_by_key_implILNS1_25lookback_scan_determinismE0ELb1ES3_N6thrust23THRUST_200600_302600_NS6detail15normal_iteratorINS9_10device_ptrIiEEEENSB_INSC_ItEEEESG_tNS9_4plusIvEENS9_8equal_toIvEEtEE10hipError_tPvRmT2_T3_T4_T5_mT6_T7_P12ihipStream_tbENKUlT_T0_E_clISt17integral_constantIbLb1EES11_EEDaSW_SX_EUlSW_E_NS1_11comp_targetILNS1_3genE10ELNS1_11target_archE1201ELNS1_3gpuE5ELNS1_3repE0EEENS1_30default_config_static_selectorELNS0_4arch9wavefront6targetE1EEEvT1_
    .private_segment_fixed_size: 0
    .sgpr_count:     4
    .sgpr_spill_count: 0
    .symbol:         _ZN7rocprim17ROCPRIM_400000_NS6detail17trampoline_kernelINS0_14default_configENS1_27scan_by_key_config_selectorIitEEZZNS1_16scan_by_key_implILNS1_25lookback_scan_determinismE0ELb1ES3_N6thrust23THRUST_200600_302600_NS6detail15normal_iteratorINS9_10device_ptrIiEEEENSB_INSC_ItEEEESG_tNS9_4plusIvEENS9_8equal_toIvEEtEE10hipError_tPvRmT2_T3_T4_T5_mT6_T7_P12ihipStream_tbENKUlT_T0_E_clISt17integral_constantIbLb1EES11_EEDaSW_SX_EUlSW_E_NS1_11comp_targetILNS1_3genE10ELNS1_11target_archE1201ELNS1_3gpuE5ELNS1_3repE0EEENS1_30default_config_static_selectorELNS0_4arch9wavefront6targetE1EEEvT1_.kd
    .uniform_work_group_size: 1
    .uses_dynamic_stack: false
    .vgpr_count:     0
    .vgpr_spill_count: 0
    .wavefront_size: 64
  - .agpr_count:     0
    .args:
      - .offset:         0
        .size:           112
        .value_kind:     by_value
    .group_segment_fixed_size: 0
    .kernarg_segment_align: 8
    .kernarg_segment_size: 112
    .language:       OpenCL C
    .language_version:
      - 2
      - 0
    .max_flat_workgroup_size: 256
    .name:           _ZN7rocprim17ROCPRIM_400000_NS6detail17trampoline_kernelINS0_14default_configENS1_27scan_by_key_config_selectorIitEEZZNS1_16scan_by_key_implILNS1_25lookback_scan_determinismE0ELb1ES3_N6thrust23THRUST_200600_302600_NS6detail15normal_iteratorINS9_10device_ptrIiEEEENSB_INSC_ItEEEESG_tNS9_4plusIvEENS9_8equal_toIvEEtEE10hipError_tPvRmT2_T3_T4_T5_mT6_T7_P12ihipStream_tbENKUlT_T0_E_clISt17integral_constantIbLb1EES11_EEDaSW_SX_EUlSW_E_NS1_11comp_targetILNS1_3genE5ELNS1_11target_archE942ELNS1_3gpuE9ELNS1_3repE0EEENS1_30default_config_static_selectorELNS0_4arch9wavefront6targetE1EEEvT1_
    .private_segment_fixed_size: 0
    .sgpr_count:     4
    .sgpr_spill_count: 0
    .symbol:         _ZN7rocprim17ROCPRIM_400000_NS6detail17trampoline_kernelINS0_14default_configENS1_27scan_by_key_config_selectorIitEEZZNS1_16scan_by_key_implILNS1_25lookback_scan_determinismE0ELb1ES3_N6thrust23THRUST_200600_302600_NS6detail15normal_iteratorINS9_10device_ptrIiEEEENSB_INSC_ItEEEESG_tNS9_4plusIvEENS9_8equal_toIvEEtEE10hipError_tPvRmT2_T3_T4_T5_mT6_T7_P12ihipStream_tbENKUlT_T0_E_clISt17integral_constantIbLb1EES11_EEDaSW_SX_EUlSW_E_NS1_11comp_targetILNS1_3genE5ELNS1_11target_archE942ELNS1_3gpuE9ELNS1_3repE0EEENS1_30default_config_static_selectorELNS0_4arch9wavefront6targetE1EEEvT1_.kd
    .uniform_work_group_size: 1
    .uses_dynamic_stack: false
    .vgpr_count:     0
    .vgpr_spill_count: 0
    .wavefront_size: 64
  - .agpr_count:     0
    .args:
      - .offset:         0
        .size:           112
        .value_kind:     by_value
    .group_segment_fixed_size: 6656
    .kernarg_segment_align: 8
    .kernarg_segment_size: 112
    .language:       OpenCL C
    .language_version:
      - 2
      - 0
    .max_flat_workgroup_size: 64
    .name:           _ZN7rocprim17ROCPRIM_400000_NS6detail17trampoline_kernelINS0_14default_configENS1_27scan_by_key_config_selectorIitEEZZNS1_16scan_by_key_implILNS1_25lookback_scan_determinismE0ELb1ES3_N6thrust23THRUST_200600_302600_NS6detail15normal_iteratorINS9_10device_ptrIiEEEENSB_INSC_ItEEEESG_tNS9_4plusIvEENS9_8equal_toIvEEtEE10hipError_tPvRmT2_T3_T4_T5_mT6_T7_P12ihipStream_tbENKUlT_T0_E_clISt17integral_constantIbLb1EES11_EEDaSW_SX_EUlSW_E_NS1_11comp_targetILNS1_3genE4ELNS1_11target_archE910ELNS1_3gpuE8ELNS1_3repE0EEENS1_30default_config_static_selectorELNS0_4arch9wavefront6targetE1EEEvT1_
    .private_segment_fixed_size: 0
    .sgpr_count:     88
    .sgpr_spill_count: 0
    .symbol:         _ZN7rocprim17ROCPRIM_400000_NS6detail17trampoline_kernelINS0_14default_configENS1_27scan_by_key_config_selectorIitEEZZNS1_16scan_by_key_implILNS1_25lookback_scan_determinismE0ELb1ES3_N6thrust23THRUST_200600_302600_NS6detail15normal_iteratorINS9_10device_ptrIiEEEENSB_INSC_ItEEEESG_tNS9_4plusIvEENS9_8equal_toIvEEtEE10hipError_tPvRmT2_T3_T4_T5_mT6_T7_P12ihipStream_tbENKUlT_T0_E_clISt17integral_constantIbLb1EES11_EEDaSW_SX_EUlSW_E_NS1_11comp_targetILNS1_3genE4ELNS1_11target_archE910ELNS1_3gpuE8ELNS1_3repE0EEENS1_30default_config_static_selectorELNS0_4arch9wavefront6targetE1EEEvT1_.kd
    .uniform_work_group_size: 1
    .uses_dynamic_stack: false
    .vgpr_count:     61
    .vgpr_spill_count: 0
    .wavefront_size: 64
  - .agpr_count:     0
    .args:
      - .offset:         0
        .size:           112
        .value_kind:     by_value
    .group_segment_fixed_size: 0
    .kernarg_segment_align: 8
    .kernarg_segment_size: 112
    .language:       OpenCL C
    .language_version:
      - 2
      - 0
    .max_flat_workgroup_size: 256
    .name:           _ZN7rocprim17ROCPRIM_400000_NS6detail17trampoline_kernelINS0_14default_configENS1_27scan_by_key_config_selectorIitEEZZNS1_16scan_by_key_implILNS1_25lookback_scan_determinismE0ELb1ES3_N6thrust23THRUST_200600_302600_NS6detail15normal_iteratorINS9_10device_ptrIiEEEENSB_INSC_ItEEEESG_tNS9_4plusIvEENS9_8equal_toIvEEtEE10hipError_tPvRmT2_T3_T4_T5_mT6_T7_P12ihipStream_tbENKUlT_T0_E_clISt17integral_constantIbLb1EES11_EEDaSW_SX_EUlSW_E_NS1_11comp_targetILNS1_3genE3ELNS1_11target_archE908ELNS1_3gpuE7ELNS1_3repE0EEENS1_30default_config_static_selectorELNS0_4arch9wavefront6targetE1EEEvT1_
    .private_segment_fixed_size: 0
    .sgpr_count:     4
    .sgpr_spill_count: 0
    .symbol:         _ZN7rocprim17ROCPRIM_400000_NS6detail17trampoline_kernelINS0_14default_configENS1_27scan_by_key_config_selectorIitEEZZNS1_16scan_by_key_implILNS1_25lookback_scan_determinismE0ELb1ES3_N6thrust23THRUST_200600_302600_NS6detail15normal_iteratorINS9_10device_ptrIiEEEENSB_INSC_ItEEEESG_tNS9_4plusIvEENS9_8equal_toIvEEtEE10hipError_tPvRmT2_T3_T4_T5_mT6_T7_P12ihipStream_tbENKUlT_T0_E_clISt17integral_constantIbLb1EES11_EEDaSW_SX_EUlSW_E_NS1_11comp_targetILNS1_3genE3ELNS1_11target_archE908ELNS1_3gpuE7ELNS1_3repE0EEENS1_30default_config_static_selectorELNS0_4arch9wavefront6targetE1EEEvT1_.kd
    .uniform_work_group_size: 1
    .uses_dynamic_stack: false
    .vgpr_count:     0
    .vgpr_spill_count: 0
    .wavefront_size: 64
  - .agpr_count:     0
    .args:
      - .offset:         0
        .size:           112
        .value_kind:     by_value
    .group_segment_fixed_size: 0
    .kernarg_segment_align: 8
    .kernarg_segment_size: 112
    .language:       OpenCL C
    .language_version:
      - 2
      - 0
    .max_flat_workgroup_size: 64
    .name:           _ZN7rocprim17ROCPRIM_400000_NS6detail17trampoline_kernelINS0_14default_configENS1_27scan_by_key_config_selectorIitEEZZNS1_16scan_by_key_implILNS1_25lookback_scan_determinismE0ELb1ES3_N6thrust23THRUST_200600_302600_NS6detail15normal_iteratorINS9_10device_ptrIiEEEENSB_INSC_ItEEEESG_tNS9_4plusIvEENS9_8equal_toIvEEtEE10hipError_tPvRmT2_T3_T4_T5_mT6_T7_P12ihipStream_tbENKUlT_T0_E_clISt17integral_constantIbLb1EES11_EEDaSW_SX_EUlSW_E_NS1_11comp_targetILNS1_3genE2ELNS1_11target_archE906ELNS1_3gpuE6ELNS1_3repE0EEENS1_30default_config_static_selectorELNS0_4arch9wavefront6targetE1EEEvT1_
    .private_segment_fixed_size: 0
    .sgpr_count:     4
    .sgpr_spill_count: 0
    .symbol:         _ZN7rocprim17ROCPRIM_400000_NS6detail17trampoline_kernelINS0_14default_configENS1_27scan_by_key_config_selectorIitEEZZNS1_16scan_by_key_implILNS1_25lookback_scan_determinismE0ELb1ES3_N6thrust23THRUST_200600_302600_NS6detail15normal_iteratorINS9_10device_ptrIiEEEENSB_INSC_ItEEEESG_tNS9_4plusIvEENS9_8equal_toIvEEtEE10hipError_tPvRmT2_T3_T4_T5_mT6_T7_P12ihipStream_tbENKUlT_T0_E_clISt17integral_constantIbLb1EES11_EEDaSW_SX_EUlSW_E_NS1_11comp_targetILNS1_3genE2ELNS1_11target_archE906ELNS1_3gpuE6ELNS1_3repE0EEENS1_30default_config_static_selectorELNS0_4arch9wavefront6targetE1EEEvT1_.kd
    .uniform_work_group_size: 1
    .uses_dynamic_stack: false
    .vgpr_count:     0
    .vgpr_spill_count: 0
    .wavefront_size: 64
  - .agpr_count:     0
    .args:
      - .offset:         0
        .size:           112
        .value_kind:     by_value
    .group_segment_fixed_size: 0
    .kernarg_segment_align: 8
    .kernarg_segment_size: 112
    .language:       OpenCL C
    .language_version:
      - 2
      - 0
    .max_flat_workgroup_size: 256
    .name:           _ZN7rocprim17ROCPRIM_400000_NS6detail17trampoline_kernelINS0_14default_configENS1_27scan_by_key_config_selectorIitEEZZNS1_16scan_by_key_implILNS1_25lookback_scan_determinismE0ELb1ES3_N6thrust23THRUST_200600_302600_NS6detail15normal_iteratorINS9_10device_ptrIiEEEENSB_INSC_ItEEEESG_tNS9_4plusIvEENS9_8equal_toIvEEtEE10hipError_tPvRmT2_T3_T4_T5_mT6_T7_P12ihipStream_tbENKUlT_T0_E_clISt17integral_constantIbLb1EES11_EEDaSW_SX_EUlSW_E_NS1_11comp_targetILNS1_3genE10ELNS1_11target_archE1200ELNS1_3gpuE4ELNS1_3repE0EEENS1_30default_config_static_selectorELNS0_4arch9wavefront6targetE1EEEvT1_
    .private_segment_fixed_size: 0
    .sgpr_count:     4
    .sgpr_spill_count: 0
    .symbol:         _ZN7rocprim17ROCPRIM_400000_NS6detail17trampoline_kernelINS0_14default_configENS1_27scan_by_key_config_selectorIitEEZZNS1_16scan_by_key_implILNS1_25lookback_scan_determinismE0ELb1ES3_N6thrust23THRUST_200600_302600_NS6detail15normal_iteratorINS9_10device_ptrIiEEEENSB_INSC_ItEEEESG_tNS9_4plusIvEENS9_8equal_toIvEEtEE10hipError_tPvRmT2_T3_T4_T5_mT6_T7_P12ihipStream_tbENKUlT_T0_E_clISt17integral_constantIbLb1EES11_EEDaSW_SX_EUlSW_E_NS1_11comp_targetILNS1_3genE10ELNS1_11target_archE1200ELNS1_3gpuE4ELNS1_3repE0EEENS1_30default_config_static_selectorELNS0_4arch9wavefront6targetE1EEEvT1_.kd
    .uniform_work_group_size: 1
    .uses_dynamic_stack: false
    .vgpr_count:     0
    .vgpr_spill_count: 0
    .wavefront_size: 64
  - .agpr_count:     0
    .args:
      - .offset:         0
        .size:           112
        .value_kind:     by_value
    .group_segment_fixed_size: 0
    .kernarg_segment_align: 8
    .kernarg_segment_size: 112
    .language:       OpenCL C
    .language_version:
      - 2
      - 0
    .max_flat_workgroup_size: 64
    .name:           _ZN7rocprim17ROCPRIM_400000_NS6detail17trampoline_kernelINS0_14default_configENS1_27scan_by_key_config_selectorIitEEZZNS1_16scan_by_key_implILNS1_25lookback_scan_determinismE0ELb1ES3_N6thrust23THRUST_200600_302600_NS6detail15normal_iteratorINS9_10device_ptrIiEEEENSB_INSC_ItEEEESG_tNS9_4plusIvEENS9_8equal_toIvEEtEE10hipError_tPvRmT2_T3_T4_T5_mT6_T7_P12ihipStream_tbENKUlT_T0_E_clISt17integral_constantIbLb1EES11_EEDaSW_SX_EUlSW_E_NS1_11comp_targetILNS1_3genE9ELNS1_11target_archE1100ELNS1_3gpuE3ELNS1_3repE0EEENS1_30default_config_static_selectorELNS0_4arch9wavefront6targetE1EEEvT1_
    .private_segment_fixed_size: 0
    .sgpr_count:     4
    .sgpr_spill_count: 0
    .symbol:         _ZN7rocprim17ROCPRIM_400000_NS6detail17trampoline_kernelINS0_14default_configENS1_27scan_by_key_config_selectorIitEEZZNS1_16scan_by_key_implILNS1_25lookback_scan_determinismE0ELb1ES3_N6thrust23THRUST_200600_302600_NS6detail15normal_iteratorINS9_10device_ptrIiEEEENSB_INSC_ItEEEESG_tNS9_4plusIvEENS9_8equal_toIvEEtEE10hipError_tPvRmT2_T3_T4_T5_mT6_T7_P12ihipStream_tbENKUlT_T0_E_clISt17integral_constantIbLb1EES11_EEDaSW_SX_EUlSW_E_NS1_11comp_targetILNS1_3genE9ELNS1_11target_archE1100ELNS1_3gpuE3ELNS1_3repE0EEENS1_30default_config_static_selectorELNS0_4arch9wavefront6targetE1EEEvT1_.kd
    .uniform_work_group_size: 1
    .uses_dynamic_stack: false
    .vgpr_count:     0
    .vgpr_spill_count: 0
    .wavefront_size: 64
  - .agpr_count:     0
    .args:
      - .offset:         0
        .size:           112
        .value_kind:     by_value
    .group_segment_fixed_size: 0
    .kernarg_segment_align: 8
    .kernarg_segment_size: 112
    .language:       OpenCL C
    .language_version:
      - 2
      - 0
    .max_flat_workgroup_size: 64
    .name:           _ZN7rocprim17ROCPRIM_400000_NS6detail17trampoline_kernelINS0_14default_configENS1_27scan_by_key_config_selectorIitEEZZNS1_16scan_by_key_implILNS1_25lookback_scan_determinismE0ELb1ES3_N6thrust23THRUST_200600_302600_NS6detail15normal_iteratorINS9_10device_ptrIiEEEENSB_INSC_ItEEEESG_tNS9_4plusIvEENS9_8equal_toIvEEtEE10hipError_tPvRmT2_T3_T4_T5_mT6_T7_P12ihipStream_tbENKUlT_T0_E_clISt17integral_constantIbLb1EES11_EEDaSW_SX_EUlSW_E_NS1_11comp_targetILNS1_3genE8ELNS1_11target_archE1030ELNS1_3gpuE2ELNS1_3repE0EEENS1_30default_config_static_selectorELNS0_4arch9wavefront6targetE1EEEvT1_
    .private_segment_fixed_size: 0
    .sgpr_count:     4
    .sgpr_spill_count: 0
    .symbol:         _ZN7rocprim17ROCPRIM_400000_NS6detail17trampoline_kernelINS0_14default_configENS1_27scan_by_key_config_selectorIitEEZZNS1_16scan_by_key_implILNS1_25lookback_scan_determinismE0ELb1ES3_N6thrust23THRUST_200600_302600_NS6detail15normal_iteratorINS9_10device_ptrIiEEEENSB_INSC_ItEEEESG_tNS9_4plusIvEENS9_8equal_toIvEEtEE10hipError_tPvRmT2_T3_T4_T5_mT6_T7_P12ihipStream_tbENKUlT_T0_E_clISt17integral_constantIbLb1EES11_EEDaSW_SX_EUlSW_E_NS1_11comp_targetILNS1_3genE8ELNS1_11target_archE1030ELNS1_3gpuE2ELNS1_3repE0EEENS1_30default_config_static_selectorELNS0_4arch9wavefront6targetE1EEEvT1_.kd
    .uniform_work_group_size: 1
    .uses_dynamic_stack: false
    .vgpr_count:     0
    .vgpr_spill_count: 0
    .wavefront_size: 64
  - .agpr_count:     0
    .args:
      - .offset:         0
        .size:           112
        .value_kind:     by_value
    .group_segment_fixed_size: 0
    .kernarg_segment_align: 8
    .kernarg_segment_size: 112
    .language:       OpenCL C
    .language_version:
      - 2
      - 0
    .max_flat_workgroup_size: 256
    .name:           _ZN7rocprim17ROCPRIM_400000_NS6detail17trampoline_kernelINS0_14default_configENS1_27scan_by_key_config_selectorIitEEZZNS1_16scan_by_key_implILNS1_25lookback_scan_determinismE0ELb1ES3_N6thrust23THRUST_200600_302600_NS6detail15normal_iteratorINS9_10device_ptrIiEEEENSB_INSC_ItEEEESG_tNS9_4plusIvEENS9_8equal_toIvEEtEE10hipError_tPvRmT2_T3_T4_T5_mT6_T7_P12ihipStream_tbENKUlT_T0_E_clISt17integral_constantIbLb1EES10_IbLb0EEEEDaSW_SX_EUlSW_E_NS1_11comp_targetILNS1_3genE0ELNS1_11target_archE4294967295ELNS1_3gpuE0ELNS1_3repE0EEENS1_30default_config_static_selectorELNS0_4arch9wavefront6targetE1EEEvT1_
    .private_segment_fixed_size: 0
    .sgpr_count:     4
    .sgpr_spill_count: 0
    .symbol:         _ZN7rocprim17ROCPRIM_400000_NS6detail17trampoline_kernelINS0_14default_configENS1_27scan_by_key_config_selectorIitEEZZNS1_16scan_by_key_implILNS1_25lookback_scan_determinismE0ELb1ES3_N6thrust23THRUST_200600_302600_NS6detail15normal_iteratorINS9_10device_ptrIiEEEENSB_INSC_ItEEEESG_tNS9_4plusIvEENS9_8equal_toIvEEtEE10hipError_tPvRmT2_T3_T4_T5_mT6_T7_P12ihipStream_tbENKUlT_T0_E_clISt17integral_constantIbLb1EES10_IbLb0EEEEDaSW_SX_EUlSW_E_NS1_11comp_targetILNS1_3genE0ELNS1_11target_archE4294967295ELNS1_3gpuE0ELNS1_3repE0EEENS1_30default_config_static_selectorELNS0_4arch9wavefront6targetE1EEEvT1_.kd
    .uniform_work_group_size: 1
    .uses_dynamic_stack: false
    .vgpr_count:     0
    .vgpr_spill_count: 0
    .wavefront_size: 64
  - .agpr_count:     0
    .args:
      - .offset:         0
        .size:           112
        .value_kind:     by_value
    .group_segment_fixed_size: 0
    .kernarg_segment_align: 8
    .kernarg_segment_size: 112
    .language:       OpenCL C
    .language_version:
      - 2
      - 0
    .max_flat_workgroup_size: 256
    .name:           _ZN7rocprim17ROCPRIM_400000_NS6detail17trampoline_kernelINS0_14default_configENS1_27scan_by_key_config_selectorIitEEZZNS1_16scan_by_key_implILNS1_25lookback_scan_determinismE0ELb1ES3_N6thrust23THRUST_200600_302600_NS6detail15normal_iteratorINS9_10device_ptrIiEEEENSB_INSC_ItEEEESG_tNS9_4plusIvEENS9_8equal_toIvEEtEE10hipError_tPvRmT2_T3_T4_T5_mT6_T7_P12ihipStream_tbENKUlT_T0_E_clISt17integral_constantIbLb1EES10_IbLb0EEEEDaSW_SX_EUlSW_E_NS1_11comp_targetILNS1_3genE10ELNS1_11target_archE1201ELNS1_3gpuE5ELNS1_3repE0EEENS1_30default_config_static_selectorELNS0_4arch9wavefront6targetE1EEEvT1_
    .private_segment_fixed_size: 0
    .sgpr_count:     4
    .sgpr_spill_count: 0
    .symbol:         _ZN7rocprim17ROCPRIM_400000_NS6detail17trampoline_kernelINS0_14default_configENS1_27scan_by_key_config_selectorIitEEZZNS1_16scan_by_key_implILNS1_25lookback_scan_determinismE0ELb1ES3_N6thrust23THRUST_200600_302600_NS6detail15normal_iteratorINS9_10device_ptrIiEEEENSB_INSC_ItEEEESG_tNS9_4plusIvEENS9_8equal_toIvEEtEE10hipError_tPvRmT2_T3_T4_T5_mT6_T7_P12ihipStream_tbENKUlT_T0_E_clISt17integral_constantIbLb1EES10_IbLb0EEEEDaSW_SX_EUlSW_E_NS1_11comp_targetILNS1_3genE10ELNS1_11target_archE1201ELNS1_3gpuE5ELNS1_3repE0EEENS1_30default_config_static_selectorELNS0_4arch9wavefront6targetE1EEEvT1_.kd
    .uniform_work_group_size: 1
    .uses_dynamic_stack: false
    .vgpr_count:     0
    .vgpr_spill_count: 0
    .wavefront_size: 64
  - .agpr_count:     0
    .args:
      - .offset:         0
        .size:           112
        .value_kind:     by_value
    .group_segment_fixed_size: 0
    .kernarg_segment_align: 8
    .kernarg_segment_size: 112
    .language:       OpenCL C
    .language_version:
      - 2
      - 0
    .max_flat_workgroup_size: 256
    .name:           _ZN7rocprim17ROCPRIM_400000_NS6detail17trampoline_kernelINS0_14default_configENS1_27scan_by_key_config_selectorIitEEZZNS1_16scan_by_key_implILNS1_25lookback_scan_determinismE0ELb1ES3_N6thrust23THRUST_200600_302600_NS6detail15normal_iteratorINS9_10device_ptrIiEEEENSB_INSC_ItEEEESG_tNS9_4plusIvEENS9_8equal_toIvEEtEE10hipError_tPvRmT2_T3_T4_T5_mT6_T7_P12ihipStream_tbENKUlT_T0_E_clISt17integral_constantIbLb1EES10_IbLb0EEEEDaSW_SX_EUlSW_E_NS1_11comp_targetILNS1_3genE5ELNS1_11target_archE942ELNS1_3gpuE9ELNS1_3repE0EEENS1_30default_config_static_selectorELNS0_4arch9wavefront6targetE1EEEvT1_
    .private_segment_fixed_size: 0
    .sgpr_count:     4
    .sgpr_spill_count: 0
    .symbol:         _ZN7rocprim17ROCPRIM_400000_NS6detail17trampoline_kernelINS0_14default_configENS1_27scan_by_key_config_selectorIitEEZZNS1_16scan_by_key_implILNS1_25lookback_scan_determinismE0ELb1ES3_N6thrust23THRUST_200600_302600_NS6detail15normal_iteratorINS9_10device_ptrIiEEEENSB_INSC_ItEEEESG_tNS9_4plusIvEENS9_8equal_toIvEEtEE10hipError_tPvRmT2_T3_T4_T5_mT6_T7_P12ihipStream_tbENKUlT_T0_E_clISt17integral_constantIbLb1EES10_IbLb0EEEEDaSW_SX_EUlSW_E_NS1_11comp_targetILNS1_3genE5ELNS1_11target_archE942ELNS1_3gpuE9ELNS1_3repE0EEENS1_30default_config_static_selectorELNS0_4arch9wavefront6targetE1EEEvT1_.kd
    .uniform_work_group_size: 1
    .uses_dynamic_stack: false
    .vgpr_count:     0
    .vgpr_spill_count: 0
    .wavefront_size: 64
  - .agpr_count:     0
    .args:
      - .offset:         0
        .size:           112
        .value_kind:     by_value
    .group_segment_fixed_size: 6656
    .kernarg_segment_align: 8
    .kernarg_segment_size: 112
    .language:       OpenCL C
    .language_version:
      - 2
      - 0
    .max_flat_workgroup_size: 64
    .name:           _ZN7rocprim17ROCPRIM_400000_NS6detail17trampoline_kernelINS0_14default_configENS1_27scan_by_key_config_selectorIitEEZZNS1_16scan_by_key_implILNS1_25lookback_scan_determinismE0ELb1ES3_N6thrust23THRUST_200600_302600_NS6detail15normal_iteratorINS9_10device_ptrIiEEEENSB_INSC_ItEEEESG_tNS9_4plusIvEENS9_8equal_toIvEEtEE10hipError_tPvRmT2_T3_T4_T5_mT6_T7_P12ihipStream_tbENKUlT_T0_E_clISt17integral_constantIbLb1EES10_IbLb0EEEEDaSW_SX_EUlSW_E_NS1_11comp_targetILNS1_3genE4ELNS1_11target_archE910ELNS1_3gpuE8ELNS1_3repE0EEENS1_30default_config_static_selectorELNS0_4arch9wavefront6targetE1EEEvT1_
    .private_segment_fixed_size: 0
    .sgpr_count:     92
    .sgpr_spill_count: 0
    .symbol:         _ZN7rocprim17ROCPRIM_400000_NS6detail17trampoline_kernelINS0_14default_configENS1_27scan_by_key_config_selectorIitEEZZNS1_16scan_by_key_implILNS1_25lookback_scan_determinismE0ELb1ES3_N6thrust23THRUST_200600_302600_NS6detail15normal_iteratorINS9_10device_ptrIiEEEENSB_INSC_ItEEEESG_tNS9_4plusIvEENS9_8equal_toIvEEtEE10hipError_tPvRmT2_T3_T4_T5_mT6_T7_P12ihipStream_tbENKUlT_T0_E_clISt17integral_constantIbLb1EES10_IbLb0EEEEDaSW_SX_EUlSW_E_NS1_11comp_targetILNS1_3genE4ELNS1_11target_archE910ELNS1_3gpuE8ELNS1_3repE0EEENS1_30default_config_static_selectorELNS0_4arch9wavefront6targetE1EEEvT1_.kd
    .uniform_work_group_size: 1
    .uses_dynamic_stack: false
    .vgpr_count:     56
    .vgpr_spill_count: 0
    .wavefront_size: 64
  - .agpr_count:     0
    .args:
      - .offset:         0
        .size:           112
        .value_kind:     by_value
    .group_segment_fixed_size: 0
    .kernarg_segment_align: 8
    .kernarg_segment_size: 112
    .language:       OpenCL C
    .language_version:
      - 2
      - 0
    .max_flat_workgroup_size: 256
    .name:           _ZN7rocprim17ROCPRIM_400000_NS6detail17trampoline_kernelINS0_14default_configENS1_27scan_by_key_config_selectorIitEEZZNS1_16scan_by_key_implILNS1_25lookback_scan_determinismE0ELb1ES3_N6thrust23THRUST_200600_302600_NS6detail15normal_iteratorINS9_10device_ptrIiEEEENSB_INSC_ItEEEESG_tNS9_4plusIvEENS9_8equal_toIvEEtEE10hipError_tPvRmT2_T3_T4_T5_mT6_T7_P12ihipStream_tbENKUlT_T0_E_clISt17integral_constantIbLb1EES10_IbLb0EEEEDaSW_SX_EUlSW_E_NS1_11comp_targetILNS1_3genE3ELNS1_11target_archE908ELNS1_3gpuE7ELNS1_3repE0EEENS1_30default_config_static_selectorELNS0_4arch9wavefront6targetE1EEEvT1_
    .private_segment_fixed_size: 0
    .sgpr_count:     4
    .sgpr_spill_count: 0
    .symbol:         _ZN7rocprim17ROCPRIM_400000_NS6detail17trampoline_kernelINS0_14default_configENS1_27scan_by_key_config_selectorIitEEZZNS1_16scan_by_key_implILNS1_25lookback_scan_determinismE0ELb1ES3_N6thrust23THRUST_200600_302600_NS6detail15normal_iteratorINS9_10device_ptrIiEEEENSB_INSC_ItEEEESG_tNS9_4plusIvEENS9_8equal_toIvEEtEE10hipError_tPvRmT2_T3_T4_T5_mT6_T7_P12ihipStream_tbENKUlT_T0_E_clISt17integral_constantIbLb1EES10_IbLb0EEEEDaSW_SX_EUlSW_E_NS1_11comp_targetILNS1_3genE3ELNS1_11target_archE908ELNS1_3gpuE7ELNS1_3repE0EEENS1_30default_config_static_selectorELNS0_4arch9wavefront6targetE1EEEvT1_.kd
    .uniform_work_group_size: 1
    .uses_dynamic_stack: false
    .vgpr_count:     0
    .vgpr_spill_count: 0
    .wavefront_size: 64
  - .agpr_count:     0
    .args:
      - .offset:         0
        .size:           112
        .value_kind:     by_value
    .group_segment_fixed_size: 0
    .kernarg_segment_align: 8
    .kernarg_segment_size: 112
    .language:       OpenCL C
    .language_version:
      - 2
      - 0
    .max_flat_workgroup_size: 64
    .name:           _ZN7rocprim17ROCPRIM_400000_NS6detail17trampoline_kernelINS0_14default_configENS1_27scan_by_key_config_selectorIitEEZZNS1_16scan_by_key_implILNS1_25lookback_scan_determinismE0ELb1ES3_N6thrust23THRUST_200600_302600_NS6detail15normal_iteratorINS9_10device_ptrIiEEEENSB_INSC_ItEEEESG_tNS9_4plusIvEENS9_8equal_toIvEEtEE10hipError_tPvRmT2_T3_T4_T5_mT6_T7_P12ihipStream_tbENKUlT_T0_E_clISt17integral_constantIbLb1EES10_IbLb0EEEEDaSW_SX_EUlSW_E_NS1_11comp_targetILNS1_3genE2ELNS1_11target_archE906ELNS1_3gpuE6ELNS1_3repE0EEENS1_30default_config_static_selectorELNS0_4arch9wavefront6targetE1EEEvT1_
    .private_segment_fixed_size: 0
    .sgpr_count:     4
    .sgpr_spill_count: 0
    .symbol:         _ZN7rocprim17ROCPRIM_400000_NS6detail17trampoline_kernelINS0_14default_configENS1_27scan_by_key_config_selectorIitEEZZNS1_16scan_by_key_implILNS1_25lookback_scan_determinismE0ELb1ES3_N6thrust23THRUST_200600_302600_NS6detail15normal_iteratorINS9_10device_ptrIiEEEENSB_INSC_ItEEEESG_tNS9_4plusIvEENS9_8equal_toIvEEtEE10hipError_tPvRmT2_T3_T4_T5_mT6_T7_P12ihipStream_tbENKUlT_T0_E_clISt17integral_constantIbLb1EES10_IbLb0EEEEDaSW_SX_EUlSW_E_NS1_11comp_targetILNS1_3genE2ELNS1_11target_archE906ELNS1_3gpuE6ELNS1_3repE0EEENS1_30default_config_static_selectorELNS0_4arch9wavefront6targetE1EEEvT1_.kd
    .uniform_work_group_size: 1
    .uses_dynamic_stack: false
    .vgpr_count:     0
    .vgpr_spill_count: 0
    .wavefront_size: 64
  - .agpr_count:     0
    .args:
      - .offset:         0
        .size:           112
        .value_kind:     by_value
    .group_segment_fixed_size: 0
    .kernarg_segment_align: 8
    .kernarg_segment_size: 112
    .language:       OpenCL C
    .language_version:
      - 2
      - 0
    .max_flat_workgroup_size: 256
    .name:           _ZN7rocprim17ROCPRIM_400000_NS6detail17trampoline_kernelINS0_14default_configENS1_27scan_by_key_config_selectorIitEEZZNS1_16scan_by_key_implILNS1_25lookback_scan_determinismE0ELb1ES3_N6thrust23THRUST_200600_302600_NS6detail15normal_iteratorINS9_10device_ptrIiEEEENSB_INSC_ItEEEESG_tNS9_4plusIvEENS9_8equal_toIvEEtEE10hipError_tPvRmT2_T3_T4_T5_mT6_T7_P12ihipStream_tbENKUlT_T0_E_clISt17integral_constantIbLb1EES10_IbLb0EEEEDaSW_SX_EUlSW_E_NS1_11comp_targetILNS1_3genE10ELNS1_11target_archE1200ELNS1_3gpuE4ELNS1_3repE0EEENS1_30default_config_static_selectorELNS0_4arch9wavefront6targetE1EEEvT1_
    .private_segment_fixed_size: 0
    .sgpr_count:     4
    .sgpr_spill_count: 0
    .symbol:         _ZN7rocprim17ROCPRIM_400000_NS6detail17trampoline_kernelINS0_14default_configENS1_27scan_by_key_config_selectorIitEEZZNS1_16scan_by_key_implILNS1_25lookback_scan_determinismE0ELb1ES3_N6thrust23THRUST_200600_302600_NS6detail15normal_iteratorINS9_10device_ptrIiEEEENSB_INSC_ItEEEESG_tNS9_4plusIvEENS9_8equal_toIvEEtEE10hipError_tPvRmT2_T3_T4_T5_mT6_T7_P12ihipStream_tbENKUlT_T0_E_clISt17integral_constantIbLb1EES10_IbLb0EEEEDaSW_SX_EUlSW_E_NS1_11comp_targetILNS1_3genE10ELNS1_11target_archE1200ELNS1_3gpuE4ELNS1_3repE0EEENS1_30default_config_static_selectorELNS0_4arch9wavefront6targetE1EEEvT1_.kd
    .uniform_work_group_size: 1
    .uses_dynamic_stack: false
    .vgpr_count:     0
    .vgpr_spill_count: 0
    .wavefront_size: 64
  - .agpr_count:     0
    .args:
      - .offset:         0
        .size:           112
        .value_kind:     by_value
    .group_segment_fixed_size: 0
    .kernarg_segment_align: 8
    .kernarg_segment_size: 112
    .language:       OpenCL C
    .language_version:
      - 2
      - 0
    .max_flat_workgroup_size: 64
    .name:           _ZN7rocprim17ROCPRIM_400000_NS6detail17trampoline_kernelINS0_14default_configENS1_27scan_by_key_config_selectorIitEEZZNS1_16scan_by_key_implILNS1_25lookback_scan_determinismE0ELb1ES3_N6thrust23THRUST_200600_302600_NS6detail15normal_iteratorINS9_10device_ptrIiEEEENSB_INSC_ItEEEESG_tNS9_4plusIvEENS9_8equal_toIvEEtEE10hipError_tPvRmT2_T3_T4_T5_mT6_T7_P12ihipStream_tbENKUlT_T0_E_clISt17integral_constantIbLb1EES10_IbLb0EEEEDaSW_SX_EUlSW_E_NS1_11comp_targetILNS1_3genE9ELNS1_11target_archE1100ELNS1_3gpuE3ELNS1_3repE0EEENS1_30default_config_static_selectorELNS0_4arch9wavefront6targetE1EEEvT1_
    .private_segment_fixed_size: 0
    .sgpr_count:     4
    .sgpr_spill_count: 0
    .symbol:         _ZN7rocprim17ROCPRIM_400000_NS6detail17trampoline_kernelINS0_14default_configENS1_27scan_by_key_config_selectorIitEEZZNS1_16scan_by_key_implILNS1_25lookback_scan_determinismE0ELb1ES3_N6thrust23THRUST_200600_302600_NS6detail15normal_iteratorINS9_10device_ptrIiEEEENSB_INSC_ItEEEESG_tNS9_4plusIvEENS9_8equal_toIvEEtEE10hipError_tPvRmT2_T3_T4_T5_mT6_T7_P12ihipStream_tbENKUlT_T0_E_clISt17integral_constantIbLb1EES10_IbLb0EEEEDaSW_SX_EUlSW_E_NS1_11comp_targetILNS1_3genE9ELNS1_11target_archE1100ELNS1_3gpuE3ELNS1_3repE0EEENS1_30default_config_static_selectorELNS0_4arch9wavefront6targetE1EEEvT1_.kd
    .uniform_work_group_size: 1
    .uses_dynamic_stack: false
    .vgpr_count:     0
    .vgpr_spill_count: 0
    .wavefront_size: 64
  - .agpr_count:     0
    .args:
      - .offset:         0
        .size:           112
        .value_kind:     by_value
    .group_segment_fixed_size: 0
    .kernarg_segment_align: 8
    .kernarg_segment_size: 112
    .language:       OpenCL C
    .language_version:
      - 2
      - 0
    .max_flat_workgroup_size: 64
    .name:           _ZN7rocprim17ROCPRIM_400000_NS6detail17trampoline_kernelINS0_14default_configENS1_27scan_by_key_config_selectorIitEEZZNS1_16scan_by_key_implILNS1_25lookback_scan_determinismE0ELb1ES3_N6thrust23THRUST_200600_302600_NS6detail15normal_iteratorINS9_10device_ptrIiEEEENSB_INSC_ItEEEESG_tNS9_4plusIvEENS9_8equal_toIvEEtEE10hipError_tPvRmT2_T3_T4_T5_mT6_T7_P12ihipStream_tbENKUlT_T0_E_clISt17integral_constantIbLb1EES10_IbLb0EEEEDaSW_SX_EUlSW_E_NS1_11comp_targetILNS1_3genE8ELNS1_11target_archE1030ELNS1_3gpuE2ELNS1_3repE0EEENS1_30default_config_static_selectorELNS0_4arch9wavefront6targetE1EEEvT1_
    .private_segment_fixed_size: 0
    .sgpr_count:     4
    .sgpr_spill_count: 0
    .symbol:         _ZN7rocprim17ROCPRIM_400000_NS6detail17trampoline_kernelINS0_14default_configENS1_27scan_by_key_config_selectorIitEEZZNS1_16scan_by_key_implILNS1_25lookback_scan_determinismE0ELb1ES3_N6thrust23THRUST_200600_302600_NS6detail15normal_iteratorINS9_10device_ptrIiEEEENSB_INSC_ItEEEESG_tNS9_4plusIvEENS9_8equal_toIvEEtEE10hipError_tPvRmT2_T3_T4_T5_mT6_T7_P12ihipStream_tbENKUlT_T0_E_clISt17integral_constantIbLb1EES10_IbLb0EEEEDaSW_SX_EUlSW_E_NS1_11comp_targetILNS1_3genE8ELNS1_11target_archE1030ELNS1_3gpuE2ELNS1_3repE0EEENS1_30default_config_static_selectorELNS0_4arch9wavefront6targetE1EEEvT1_.kd
    .uniform_work_group_size: 1
    .uses_dynamic_stack: false
    .vgpr_count:     0
    .vgpr_spill_count: 0
    .wavefront_size: 64
  - .agpr_count:     0
    .args:
      - .offset:         0
        .size:           112
        .value_kind:     by_value
    .group_segment_fixed_size: 0
    .kernarg_segment_align: 8
    .kernarg_segment_size: 112
    .language:       OpenCL C
    .language_version:
      - 2
      - 0
    .max_flat_workgroup_size: 256
    .name:           _ZN7rocprim17ROCPRIM_400000_NS6detail17trampoline_kernelINS0_14default_configENS1_27scan_by_key_config_selectorIitEEZZNS1_16scan_by_key_implILNS1_25lookback_scan_determinismE0ELb1ES3_N6thrust23THRUST_200600_302600_NS6detail15normal_iteratorINS9_10device_ptrIiEEEENSB_INSC_ItEEEESG_tNS9_4plusIvEENS9_8equal_toIvEEtEE10hipError_tPvRmT2_T3_T4_T5_mT6_T7_P12ihipStream_tbENKUlT_T0_E_clISt17integral_constantIbLb0EES10_IbLb1EEEEDaSW_SX_EUlSW_E_NS1_11comp_targetILNS1_3genE0ELNS1_11target_archE4294967295ELNS1_3gpuE0ELNS1_3repE0EEENS1_30default_config_static_selectorELNS0_4arch9wavefront6targetE1EEEvT1_
    .private_segment_fixed_size: 0
    .sgpr_count:     4
    .sgpr_spill_count: 0
    .symbol:         _ZN7rocprim17ROCPRIM_400000_NS6detail17trampoline_kernelINS0_14default_configENS1_27scan_by_key_config_selectorIitEEZZNS1_16scan_by_key_implILNS1_25lookback_scan_determinismE0ELb1ES3_N6thrust23THRUST_200600_302600_NS6detail15normal_iteratorINS9_10device_ptrIiEEEENSB_INSC_ItEEEESG_tNS9_4plusIvEENS9_8equal_toIvEEtEE10hipError_tPvRmT2_T3_T4_T5_mT6_T7_P12ihipStream_tbENKUlT_T0_E_clISt17integral_constantIbLb0EES10_IbLb1EEEEDaSW_SX_EUlSW_E_NS1_11comp_targetILNS1_3genE0ELNS1_11target_archE4294967295ELNS1_3gpuE0ELNS1_3repE0EEENS1_30default_config_static_selectorELNS0_4arch9wavefront6targetE1EEEvT1_.kd
    .uniform_work_group_size: 1
    .uses_dynamic_stack: false
    .vgpr_count:     0
    .vgpr_spill_count: 0
    .wavefront_size: 64
  - .agpr_count:     0
    .args:
      - .offset:         0
        .size:           112
        .value_kind:     by_value
    .group_segment_fixed_size: 0
    .kernarg_segment_align: 8
    .kernarg_segment_size: 112
    .language:       OpenCL C
    .language_version:
      - 2
      - 0
    .max_flat_workgroup_size: 256
    .name:           _ZN7rocprim17ROCPRIM_400000_NS6detail17trampoline_kernelINS0_14default_configENS1_27scan_by_key_config_selectorIitEEZZNS1_16scan_by_key_implILNS1_25lookback_scan_determinismE0ELb1ES3_N6thrust23THRUST_200600_302600_NS6detail15normal_iteratorINS9_10device_ptrIiEEEENSB_INSC_ItEEEESG_tNS9_4plusIvEENS9_8equal_toIvEEtEE10hipError_tPvRmT2_T3_T4_T5_mT6_T7_P12ihipStream_tbENKUlT_T0_E_clISt17integral_constantIbLb0EES10_IbLb1EEEEDaSW_SX_EUlSW_E_NS1_11comp_targetILNS1_3genE10ELNS1_11target_archE1201ELNS1_3gpuE5ELNS1_3repE0EEENS1_30default_config_static_selectorELNS0_4arch9wavefront6targetE1EEEvT1_
    .private_segment_fixed_size: 0
    .sgpr_count:     4
    .sgpr_spill_count: 0
    .symbol:         _ZN7rocprim17ROCPRIM_400000_NS6detail17trampoline_kernelINS0_14default_configENS1_27scan_by_key_config_selectorIitEEZZNS1_16scan_by_key_implILNS1_25lookback_scan_determinismE0ELb1ES3_N6thrust23THRUST_200600_302600_NS6detail15normal_iteratorINS9_10device_ptrIiEEEENSB_INSC_ItEEEESG_tNS9_4plusIvEENS9_8equal_toIvEEtEE10hipError_tPvRmT2_T3_T4_T5_mT6_T7_P12ihipStream_tbENKUlT_T0_E_clISt17integral_constantIbLb0EES10_IbLb1EEEEDaSW_SX_EUlSW_E_NS1_11comp_targetILNS1_3genE10ELNS1_11target_archE1201ELNS1_3gpuE5ELNS1_3repE0EEENS1_30default_config_static_selectorELNS0_4arch9wavefront6targetE1EEEvT1_.kd
    .uniform_work_group_size: 1
    .uses_dynamic_stack: false
    .vgpr_count:     0
    .vgpr_spill_count: 0
    .wavefront_size: 64
  - .agpr_count:     0
    .args:
      - .offset:         0
        .size:           112
        .value_kind:     by_value
    .group_segment_fixed_size: 0
    .kernarg_segment_align: 8
    .kernarg_segment_size: 112
    .language:       OpenCL C
    .language_version:
      - 2
      - 0
    .max_flat_workgroup_size: 256
    .name:           _ZN7rocprim17ROCPRIM_400000_NS6detail17trampoline_kernelINS0_14default_configENS1_27scan_by_key_config_selectorIitEEZZNS1_16scan_by_key_implILNS1_25lookback_scan_determinismE0ELb1ES3_N6thrust23THRUST_200600_302600_NS6detail15normal_iteratorINS9_10device_ptrIiEEEENSB_INSC_ItEEEESG_tNS9_4plusIvEENS9_8equal_toIvEEtEE10hipError_tPvRmT2_T3_T4_T5_mT6_T7_P12ihipStream_tbENKUlT_T0_E_clISt17integral_constantIbLb0EES10_IbLb1EEEEDaSW_SX_EUlSW_E_NS1_11comp_targetILNS1_3genE5ELNS1_11target_archE942ELNS1_3gpuE9ELNS1_3repE0EEENS1_30default_config_static_selectorELNS0_4arch9wavefront6targetE1EEEvT1_
    .private_segment_fixed_size: 0
    .sgpr_count:     4
    .sgpr_spill_count: 0
    .symbol:         _ZN7rocprim17ROCPRIM_400000_NS6detail17trampoline_kernelINS0_14default_configENS1_27scan_by_key_config_selectorIitEEZZNS1_16scan_by_key_implILNS1_25lookback_scan_determinismE0ELb1ES3_N6thrust23THRUST_200600_302600_NS6detail15normal_iteratorINS9_10device_ptrIiEEEENSB_INSC_ItEEEESG_tNS9_4plusIvEENS9_8equal_toIvEEtEE10hipError_tPvRmT2_T3_T4_T5_mT6_T7_P12ihipStream_tbENKUlT_T0_E_clISt17integral_constantIbLb0EES10_IbLb1EEEEDaSW_SX_EUlSW_E_NS1_11comp_targetILNS1_3genE5ELNS1_11target_archE942ELNS1_3gpuE9ELNS1_3repE0EEENS1_30default_config_static_selectorELNS0_4arch9wavefront6targetE1EEEvT1_.kd
    .uniform_work_group_size: 1
    .uses_dynamic_stack: false
    .vgpr_count:     0
    .vgpr_spill_count: 0
    .wavefront_size: 64
  - .agpr_count:     0
    .args:
      - .offset:         0
        .size:           112
        .value_kind:     by_value
    .group_segment_fixed_size: 6656
    .kernarg_segment_align: 8
    .kernarg_segment_size: 112
    .language:       OpenCL C
    .language_version:
      - 2
      - 0
    .max_flat_workgroup_size: 64
    .name:           _ZN7rocprim17ROCPRIM_400000_NS6detail17trampoline_kernelINS0_14default_configENS1_27scan_by_key_config_selectorIitEEZZNS1_16scan_by_key_implILNS1_25lookback_scan_determinismE0ELb1ES3_N6thrust23THRUST_200600_302600_NS6detail15normal_iteratorINS9_10device_ptrIiEEEENSB_INSC_ItEEEESG_tNS9_4plusIvEENS9_8equal_toIvEEtEE10hipError_tPvRmT2_T3_T4_T5_mT6_T7_P12ihipStream_tbENKUlT_T0_E_clISt17integral_constantIbLb0EES10_IbLb1EEEEDaSW_SX_EUlSW_E_NS1_11comp_targetILNS1_3genE4ELNS1_11target_archE910ELNS1_3gpuE8ELNS1_3repE0EEENS1_30default_config_static_selectorELNS0_4arch9wavefront6targetE1EEEvT1_
    .private_segment_fixed_size: 0
    .sgpr_count:     88
    .sgpr_spill_count: 0
    .symbol:         _ZN7rocprim17ROCPRIM_400000_NS6detail17trampoline_kernelINS0_14default_configENS1_27scan_by_key_config_selectorIitEEZZNS1_16scan_by_key_implILNS1_25lookback_scan_determinismE0ELb1ES3_N6thrust23THRUST_200600_302600_NS6detail15normal_iteratorINS9_10device_ptrIiEEEENSB_INSC_ItEEEESG_tNS9_4plusIvEENS9_8equal_toIvEEtEE10hipError_tPvRmT2_T3_T4_T5_mT6_T7_P12ihipStream_tbENKUlT_T0_E_clISt17integral_constantIbLb0EES10_IbLb1EEEEDaSW_SX_EUlSW_E_NS1_11comp_targetILNS1_3genE4ELNS1_11target_archE910ELNS1_3gpuE8ELNS1_3repE0EEENS1_30default_config_static_selectorELNS0_4arch9wavefront6targetE1EEEvT1_.kd
    .uniform_work_group_size: 1
    .uses_dynamic_stack: false
    .vgpr_count:     61
    .vgpr_spill_count: 0
    .wavefront_size: 64
  - .agpr_count:     0
    .args:
      - .offset:         0
        .size:           112
        .value_kind:     by_value
    .group_segment_fixed_size: 0
    .kernarg_segment_align: 8
    .kernarg_segment_size: 112
    .language:       OpenCL C
    .language_version:
      - 2
      - 0
    .max_flat_workgroup_size: 256
    .name:           _ZN7rocprim17ROCPRIM_400000_NS6detail17trampoline_kernelINS0_14default_configENS1_27scan_by_key_config_selectorIitEEZZNS1_16scan_by_key_implILNS1_25lookback_scan_determinismE0ELb1ES3_N6thrust23THRUST_200600_302600_NS6detail15normal_iteratorINS9_10device_ptrIiEEEENSB_INSC_ItEEEESG_tNS9_4plusIvEENS9_8equal_toIvEEtEE10hipError_tPvRmT2_T3_T4_T5_mT6_T7_P12ihipStream_tbENKUlT_T0_E_clISt17integral_constantIbLb0EES10_IbLb1EEEEDaSW_SX_EUlSW_E_NS1_11comp_targetILNS1_3genE3ELNS1_11target_archE908ELNS1_3gpuE7ELNS1_3repE0EEENS1_30default_config_static_selectorELNS0_4arch9wavefront6targetE1EEEvT1_
    .private_segment_fixed_size: 0
    .sgpr_count:     4
    .sgpr_spill_count: 0
    .symbol:         _ZN7rocprim17ROCPRIM_400000_NS6detail17trampoline_kernelINS0_14default_configENS1_27scan_by_key_config_selectorIitEEZZNS1_16scan_by_key_implILNS1_25lookback_scan_determinismE0ELb1ES3_N6thrust23THRUST_200600_302600_NS6detail15normal_iteratorINS9_10device_ptrIiEEEENSB_INSC_ItEEEESG_tNS9_4plusIvEENS9_8equal_toIvEEtEE10hipError_tPvRmT2_T3_T4_T5_mT6_T7_P12ihipStream_tbENKUlT_T0_E_clISt17integral_constantIbLb0EES10_IbLb1EEEEDaSW_SX_EUlSW_E_NS1_11comp_targetILNS1_3genE3ELNS1_11target_archE908ELNS1_3gpuE7ELNS1_3repE0EEENS1_30default_config_static_selectorELNS0_4arch9wavefront6targetE1EEEvT1_.kd
    .uniform_work_group_size: 1
    .uses_dynamic_stack: false
    .vgpr_count:     0
    .vgpr_spill_count: 0
    .wavefront_size: 64
  - .agpr_count:     0
    .args:
      - .offset:         0
        .size:           112
        .value_kind:     by_value
    .group_segment_fixed_size: 0
    .kernarg_segment_align: 8
    .kernarg_segment_size: 112
    .language:       OpenCL C
    .language_version:
      - 2
      - 0
    .max_flat_workgroup_size: 64
    .name:           _ZN7rocprim17ROCPRIM_400000_NS6detail17trampoline_kernelINS0_14default_configENS1_27scan_by_key_config_selectorIitEEZZNS1_16scan_by_key_implILNS1_25lookback_scan_determinismE0ELb1ES3_N6thrust23THRUST_200600_302600_NS6detail15normal_iteratorINS9_10device_ptrIiEEEENSB_INSC_ItEEEESG_tNS9_4plusIvEENS9_8equal_toIvEEtEE10hipError_tPvRmT2_T3_T4_T5_mT6_T7_P12ihipStream_tbENKUlT_T0_E_clISt17integral_constantIbLb0EES10_IbLb1EEEEDaSW_SX_EUlSW_E_NS1_11comp_targetILNS1_3genE2ELNS1_11target_archE906ELNS1_3gpuE6ELNS1_3repE0EEENS1_30default_config_static_selectorELNS0_4arch9wavefront6targetE1EEEvT1_
    .private_segment_fixed_size: 0
    .sgpr_count:     4
    .sgpr_spill_count: 0
    .symbol:         _ZN7rocprim17ROCPRIM_400000_NS6detail17trampoline_kernelINS0_14default_configENS1_27scan_by_key_config_selectorIitEEZZNS1_16scan_by_key_implILNS1_25lookback_scan_determinismE0ELb1ES3_N6thrust23THRUST_200600_302600_NS6detail15normal_iteratorINS9_10device_ptrIiEEEENSB_INSC_ItEEEESG_tNS9_4plusIvEENS9_8equal_toIvEEtEE10hipError_tPvRmT2_T3_T4_T5_mT6_T7_P12ihipStream_tbENKUlT_T0_E_clISt17integral_constantIbLb0EES10_IbLb1EEEEDaSW_SX_EUlSW_E_NS1_11comp_targetILNS1_3genE2ELNS1_11target_archE906ELNS1_3gpuE6ELNS1_3repE0EEENS1_30default_config_static_selectorELNS0_4arch9wavefront6targetE1EEEvT1_.kd
    .uniform_work_group_size: 1
    .uses_dynamic_stack: false
    .vgpr_count:     0
    .vgpr_spill_count: 0
    .wavefront_size: 64
  - .agpr_count:     0
    .args:
      - .offset:         0
        .size:           112
        .value_kind:     by_value
    .group_segment_fixed_size: 0
    .kernarg_segment_align: 8
    .kernarg_segment_size: 112
    .language:       OpenCL C
    .language_version:
      - 2
      - 0
    .max_flat_workgroup_size: 256
    .name:           _ZN7rocprim17ROCPRIM_400000_NS6detail17trampoline_kernelINS0_14default_configENS1_27scan_by_key_config_selectorIitEEZZNS1_16scan_by_key_implILNS1_25lookback_scan_determinismE0ELb1ES3_N6thrust23THRUST_200600_302600_NS6detail15normal_iteratorINS9_10device_ptrIiEEEENSB_INSC_ItEEEESG_tNS9_4plusIvEENS9_8equal_toIvEEtEE10hipError_tPvRmT2_T3_T4_T5_mT6_T7_P12ihipStream_tbENKUlT_T0_E_clISt17integral_constantIbLb0EES10_IbLb1EEEEDaSW_SX_EUlSW_E_NS1_11comp_targetILNS1_3genE10ELNS1_11target_archE1200ELNS1_3gpuE4ELNS1_3repE0EEENS1_30default_config_static_selectorELNS0_4arch9wavefront6targetE1EEEvT1_
    .private_segment_fixed_size: 0
    .sgpr_count:     4
    .sgpr_spill_count: 0
    .symbol:         _ZN7rocprim17ROCPRIM_400000_NS6detail17trampoline_kernelINS0_14default_configENS1_27scan_by_key_config_selectorIitEEZZNS1_16scan_by_key_implILNS1_25lookback_scan_determinismE0ELb1ES3_N6thrust23THRUST_200600_302600_NS6detail15normal_iteratorINS9_10device_ptrIiEEEENSB_INSC_ItEEEESG_tNS9_4plusIvEENS9_8equal_toIvEEtEE10hipError_tPvRmT2_T3_T4_T5_mT6_T7_P12ihipStream_tbENKUlT_T0_E_clISt17integral_constantIbLb0EES10_IbLb1EEEEDaSW_SX_EUlSW_E_NS1_11comp_targetILNS1_3genE10ELNS1_11target_archE1200ELNS1_3gpuE4ELNS1_3repE0EEENS1_30default_config_static_selectorELNS0_4arch9wavefront6targetE1EEEvT1_.kd
    .uniform_work_group_size: 1
    .uses_dynamic_stack: false
    .vgpr_count:     0
    .vgpr_spill_count: 0
    .wavefront_size: 64
  - .agpr_count:     0
    .args:
      - .offset:         0
        .size:           112
        .value_kind:     by_value
    .group_segment_fixed_size: 0
    .kernarg_segment_align: 8
    .kernarg_segment_size: 112
    .language:       OpenCL C
    .language_version:
      - 2
      - 0
    .max_flat_workgroup_size: 64
    .name:           _ZN7rocprim17ROCPRIM_400000_NS6detail17trampoline_kernelINS0_14default_configENS1_27scan_by_key_config_selectorIitEEZZNS1_16scan_by_key_implILNS1_25lookback_scan_determinismE0ELb1ES3_N6thrust23THRUST_200600_302600_NS6detail15normal_iteratorINS9_10device_ptrIiEEEENSB_INSC_ItEEEESG_tNS9_4plusIvEENS9_8equal_toIvEEtEE10hipError_tPvRmT2_T3_T4_T5_mT6_T7_P12ihipStream_tbENKUlT_T0_E_clISt17integral_constantIbLb0EES10_IbLb1EEEEDaSW_SX_EUlSW_E_NS1_11comp_targetILNS1_3genE9ELNS1_11target_archE1100ELNS1_3gpuE3ELNS1_3repE0EEENS1_30default_config_static_selectorELNS0_4arch9wavefront6targetE1EEEvT1_
    .private_segment_fixed_size: 0
    .sgpr_count:     4
    .sgpr_spill_count: 0
    .symbol:         _ZN7rocprim17ROCPRIM_400000_NS6detail17trampoline_kernelINS0_14default_configENS1_27scan_by_key_config_selectorIitEEZZNS1_16scan_by_key_implILNS1_25lookback_scan_determinismE0ELb1ES3_N6thrust23THRUST_200600_302600_NS6detail15normal_iteratorINS9_10device_ptrIiEEEENSB_INSC_ItEEEESG_tNS9_4plusIvEENS9_8equal_toIvEEtEE10hipError_tPvRmT2_T3_T4_T5_mT6_T7_P12ihipStream_tbENKUlT_T0_E_clISt17integral_constantIbLb0EES10_IbLb1EEEEDaSW_SX_EUlSW_E_NS1_11comp_targetILNS1_3genE9ELNS1_11target_archE1100ELNS1_3gpuE3ELNS1_3repE0EEENS1_30default_config_static_selectorELNS0_4arch9wavefront6targetE1EEEvT1_.kd
    .uniform_work_group_size: 1
    .uses_dynamic_stack: false
    .vgpr_count:     0
    .vgpr_spill_count: 0
    .wavefront_size: 64
  - .agpr_count:     0
    .args:
      - .offset:         0
        .size:           112
        .value_kind:     by_value
    .group_segment_fixed_size: 0
    .kernarg_segment_align: 8
    .kernarg_segment_size: 112
    .language:       OpenCL C
    .language_version:
      - 2
      - 0
    .max_flat_workgroup_size: 64
    .name:           _ZN7rocprim17ROCPRIM_400000_NS6detail17trampoline_kernelINS0_14default_configENS1_27scan_by_key_config_selectorIitEEZZNS1_16scan_by_key_implILNS1_25lookback_scan_determinismE0ELb1ES3_N6thrust23THRUST_200600_302600_NS6detail15normal_iteratorINS9_10device_ptrIiEEEENSB_INSC_ItEEEESG_tNS9_4plusIvEENS9_8equal_toIvEEtEE10hipError_tPvRmT2_T3_T4_T5_mT6_T7_P12ihipStream_tbENKUlT_T0_E_clISt17integral_constantIbLb0EES10_IbLb1EEEEDaSW_SX_EUlSW_E_NS1_11comp_targetILNS1_3genE8ELNS1_11target_archE1030ELNS1_3gpuE2ELNS1_3repE0EEENS1_30default_config_static_selectorELNS0_4arch9wavefront6targetE1EEEvT1_
    .private_segment_fixed_size: 0
    .sgpr_count:     4
    .sgpr_spill_count: 0
    .symbol:         _ZN7rocprim17ROCPRIM_400000_NS6detail17trampoline_kernelINS0_14default_configENS1_27scan_by_key_config_selectorIitEEZZNS1_16scan_by_key_implILNS1_25lookback_scan_determinismE0ELb1ES3_N6thrust23THRUST_200600_302600_NS6detail15normal_iteratorINS9_10device_ptrIiEEEENSB_INSC_ItEEEESG_tNS9_4plusIvEENS9_8equal_toIvEEtEE10hipError_tPvRmT2_T3_T4_T5_mT6_T7_P12ihipStream_tbENKUlT_T0_E_clISt17integral_constantIbLb0EES10_IbLb1EEEEDaSW_SX_EUlSW_E_NS1_11comp_targetILNS1_3genE8ELNS1_11target_archE1030ELNS1_3gpuE2ELNS1_3repE0EEENS1_30default_config_static_selectorELNS0_4arch9wavefront6targetE1EEEvT1_.kd
    .uniform_work_group_size: 1
    .uses_dynamic_stack: false
    .vgpr_count:     0
    .vgpr_spill_count: 0
    .wavefront_size: 64
  - .agpr_count:     0
    .args:
      - .offset:         0
        .size:           136
        .value_kind:     by_value
    .group_segment_fixed_size: 0
    .kernarg_segment_align: 8
    .kernarg_segment_size: 136
    .language:       OpenCL C
    .language_version:
      - 2
      - 0
    .max_flat_workgroup_size: 128
    .name:           _ZN7rocprim17ROCPRIM_400000_NS6detail17trampoline_kernelINS0_14default_configENS1_27scan_by_key_config_selectorIixEEZZNS1_16scan_by_key_implILNS1_25lookback_scan_determinismE0ELb1ES3_N6thrust23THRUST_200600_302600_NS6detail15normal_iteratorINS9_10device_ptrIiEEEENSB_INSC_IxEEEESG_xNS9_4plusIvEENS9_8equal_toIvEExEE10hipError_tPvRmT2_T3_T4_T5_mT6_T7_P12ihipStream_tbENKUlT_T0_E_clISt17integral_constantIbLb0EES11_EEDaSW_SX_EUlSW_E_NS1_11comp_targetILNS1_3genE0ELNS1_11target_archE4294967295ELNS1_3gpuE0ELNS1_3repE0EEENS1_30default_config_static_selectorELNS0_4arch9wavefront6targetE1EEEvT1_
    .private_segment_fixed_size: 0
    .sgpr_count:     4
    .sgpr_spill_count: 0
    .symbol:         _ZN7rocprim17ROCPRIM_400000_NS6detail17trampoline_kernelINS0_14default_configENS1_27scan_by_key_config_selectorIixEEZZNS1_16scan_by_key_implILNS1_25lookback_scan_determinismE0ELb1ES3_N6thrust23THRUST_200600_302600_NS6detail15normal_iteratorINS9_10device_ptrIiEEEENSB_INSC_IxEEEESG_xNS9_4plusIvEENS9_8equal_toIvEExEE10hipError_tPvRmT2_T3_T4_T5_mT6_T7_P12ihipStream_tbENKUlT_T0_E_clISt17integral_constantIbLb0EES11_EEDaSW_SX_EUlSW_E_NS1_11comp_targetILNS1_3genE0ELNS1_11target_archE4294967295ELNS1_3gpuE0ELNS1_3repE0EEENS1_30default_config_static_selectorELNS0_4arch9wavefront6targetE1EEEvT1_.kd
    .uniform_work_group_size: 1
    .uses_dynamic_stack: false
    .vgpr_count:     0
    .vgpr_spill_count: 0
    .wavefront_size: 64
  - .agpr_count:     0
    .args:
      - .offset:         0
        .size:           136
        .value_kind:     by_value
    .group_segment_fixed_size: 0
    .kernarg_segment_align: 8
    .kernarg_segment_size: 136
    .language:       OpenCL C
    .language_version:
      - 2
      - 0
    .max_flat_workgroup_size: 256
    .name:           _ZN7rocprim17ROCPRIM_400000_NS6detail17trampoline_kernelINS0_14default_configENS1_27scan_by_key_config_selectorIixEEZZNS1_16scan_by_key_implILNS1_25lookback_scan_determinismE0ELb1ES3_N6thrust23THRUST_200600_302600_NS6detail15normal_iteratorINS9_10device_ptrIiEEEENSB_INSC_IxEEEESG_xNS9_4plusIvEENS9_8equal_toIvEExEE10hipError_tPvRmT2_T3_T4_T5_mT6_T7_P12ihipStream_tbENKUlT_T0_E_clISt17integral_constantIbLb0EES11_EEDaSW_SX_EUlSW_E_NS1_11comp_targetILNS1_3genE10ELNS1_11target_archE1201ELNS1_3gpuE5ELNS1_3repE0EEENS1_30default_config_static_selectorELNS0_4arch9wavefront6targetE1EEEvT1_
    .private_segment_fixed_size: 0
    .sgpr_count:     4
    .sgpr_spill_count: 0
    .symbol:         _ZN7rocprim17ROCPRIM_400000_NS6detail17trampoline_kernelINS0_14default_configENS1_27scan_by_key_config_selectorIixEEZZNS1_16scan_by_key_implILNS1_25lookback_scan_determinismE0ELb1ES3_N6thrust23THRUST_200600_302600_NS6detail15normal_iteratorINS9_10device_ptrIiEEEENSB_INSC_IxEEEESG_xNS9_4plusIvEENS9_8equal_toIvEExEE10hipError_tPvRmT2_T3_T4_T5_mT6_T7_P12ihipStream_tbENKUlT_T0_E_clISt17integral_constantIbLb0EES11_EEDaSW_SX_EUlSW_E_NS1_11comp_targetILNS1_3genE10ELNS1_11target_archE1201ELNS1_3gpuE5ELNS1_3repE0EEENS1_30default_config_static_selectorELNS0_4arch9wavefront6targetE1EEEvT1_.kd
    .uniform_work_group_size: 1
    .uses_dynamic_stack: false
    .vgpr_count:     0
    .vgpr_spill_count: 0
    .wavefront_size: 64
  - .agpr_count:     0
    .args:
      - .offset:         0
        .size:           136
        .value_kind:     by_value
    .group_segment_fixed_size: 0
    .kernarg_segment_align: 8
    .kernarg_segment_size: 136
    .language:       OpenCL C
    .language_version:
      - 2
      - 0
    .max_flat_workgroup_size: 256
    .name:           _ZN7rocprim17ROCPRIM_400000_NS6detail17trampoline_kernelINS0_14default_configENS1_27scan_by_key_config_selectorIixEEZZNS1_16scan_by_key_implILNS1_25lookback_scan_determinismE0ELb1ES3_N6thrust23THRUST_200600_302600_NS6detail15normal_iteratorINS9_10device_ptrIiEEEENSB_INSC_IxEEEESG_xNS9_4plusIvEENS9_8equal_toIvEExEE10hipError_tPvRmT2_T3_T4_T5_mT6_T7_P12ihipStream_tbENKUlT_T0_E_clISt17integral_constantIbLb0EES11_EEDaSW_SX_EUlSW_E_NS1_11comp_targetILNS1_3genE5ELNS1_11target_archE942ELNS1_3gpuE9ELNS1_3repE0EEENS1_30default_config_static_selectorELNS0_4arch9wavefront6targetE1EEEvT1_
    .private_segment_fixed_size: 0
    .sgpr_count:     4
    .sgpr_spill_count: 0
    .symbol:         _ZN7rocprim17ROCPRIM_400000_NS6detail17trampoline_kernelINS0_14default_configENS1_27scan_by_key_config_selectorIixEEZZNS1_16scan_by_key_implILNS1_25lookback_scan_determinismE0ELb1ES3_N6thrust23THRUST_200600_302600_NS6detail15normal_iteratorINS9_10device_ptrIiEEEENSB_INSC_IxEEEESG_xNS9_4plusIvEENS9_8equal_toIvEExEE10hipError_tPvRmT2_T3_T4_T5_mT6_T7_P12ihipStream_tbENKUlT_T0_E_clISt17integral_constantIbLb0EES11_EEDaSW_SX_EUlSW_E_NS1_11comp_targetILNS1_3genE5ELNS1_11target_archE942ELNS1_3gpuE9ELNS1_3repE0EEENS1_30default_config_static_selectorELNS0_4arch9wavefront6targetE1EEEvT1_.kd
    .uniform_work_group_size: 1
    .uses_dynamic_stack: false
    .vgpr_count:     0
    .vgpr_spill_count: 0
    .wavefront_size: 64
  - .agpr_count:     0
    .args:
      - .offset:         0
        .size:           136
        .value_kind:     by_value
    .group_segment_fixed_size: 10752
    .kernarg_segment_align: 8
    .kernarg_segment_size: 136
    .language:       OpenCL C
    .language_version:
      - 2
      - 0
    .max_flat_workgroup_size: 64
    .name:           _ZN7rocprim17ROCPRIM_400000_NS6detail17trampoline_kernelINS0_14default_configENS1_27scan_by_key_config_selectorIixEEZZNS1_16scan_by_key_implILNS1_25lookback_scan_determinismE0ELb1ES3_N6thrust23THRUST_200600_302600_NS6detail15normal_iteratorINS9_10device_ptrIiEEEENSB_INSC_IxEEEESG_xNS9_4plusIvEENS9_8equal_toIvEExEE10hipError_tPvRmT2_T3_T4_T5_mT6_T7_P12ihipStream_tbENKUlT_T0_E_clISt17integral_constantIbLb0EES11_EEDaSW_SX_EUlSW_E_NS1_11comp_targetILNS1_3genE4ELNS1_11target_archE910ELNS1_3gpuE8ELNS1_3repE0EEENS1_30default_config_static_selectorELNS0_4arch9wavefront6targetE1EEEvT1_
    .private_segment_fixed_size: 0
    .sgpr_count:     81
    .sgpr_spill_count: 0
    .symbol:         _ZN7rocprim17ROCPRIM_400000_NS6detail17trampoline_kernelINS0_14default_configENS1_27scan_by_key_config_selectorIixEEZZNS1_16scan_by_key_implILNS1_25lookback_scan_determinismE0ELb1ES3_N6thrust23THRUST_200600_302600_NS6detail15normal_iteratorINS9_10device_ptrIiEEEENSB_INSC_IxEEEESG_xNS9_4plusIvEENS9_8equal_toIvEExEE10hipError_tPvRmT2_T3_T4_T5_mT6_T7_P12ihipStream_tbENKUlT_T0_E_clISt17integral_constantIbLb0EES11_EEDaSW_SX_EUlSW_E_NS1_11comp_targetILNS1_3genE4ELNS1_11target_archE910ELNS1_3gpuE8ELNS1_3repE0EEENS1_30default_config_static_selectorELNS0_4arch9wavefront6targetE1EEEvT1_.kd
    .uniform_work_group_size: 1
    .uses_dynamic_stack: false
    .vgpr_count:     128
    .vgpr_spill_count: 0
    .wavefront_size: 64
  - .agpr_count:     0
    .args:
      - .offset:         0
        .size:           136
        .value_kind:     by_value
    .group_segment_fixed_size: 0
    .kernarg_segment_align: 8
    .kernarg_segment_size: 136
    .language:       OpenCL C
    .language_version:
      - 2
      - 0
    .max_flat_workgroup_size: 128
    .name:           _ZN7rocprim17ROCPRIM_400000_NS6detail17trampoline_kernelINS0_14default_configENS1_27scan_by_key_config_selectorIixEEZZNS1_16scan_by_key_implILNS1_25lookback_scan_determinismE0ELb1ES3_N6thrust23THRUST_200600_302600_NS6detail15normal_iteratorINS9_10device_ptrIiEEEENSB_INSC_IxEEEESG_xNS9_4plusIvEENS9_8equal_toIvEExEE10hipError_tPvRmT2_T3_T4_T5_mT6_T7_P12ihipStream_tbENKUlT_T0_E_clISt17integral_constantIbLb0EES11_EEDaSW_SX_EUlSW_E_NS1_11comp_targetILNS1_3genE3ELNS1_11target_archE908ELNS1_3gpuE7ELNS1_3repE0EEENS1_30default_config_static_selectorELNS0_4arch9wavefront6targetE1EEEvT1_
    .private_segment_fixed_size: 0
    .sgpr_count:     4
    .sgpr_spill_count: 0
    .symbol:         _ZN7rocprim17ROCPRIM_400000_NS6detail17trampoline_kernelINS0_14default_configENS1_27scan_by_key_config_selectorIixEEZZNS1_16scan_by_key_implILNS1_25lookback_scan_determinismE0ELb1ES3_N6thrust23THRUST_200600_302600_NS6detail15normal_iteratorINS9_10device_ptrIiEEEENSB_INSC_IxEEEESG_xNS9_4plusIvEENS9_8equal_toIvEExEE10hipError_tPvRmT2_T3_T4_T5_mT6_T7_P12ihipStream_tbENKUlT_T0_E_clISt17integral_constantIbLb0EES11_EEDaSW_SX_EUlSW_E_NS1_11comp_targetILNS1_3genE3ELNS1_11target_archE908ELNS1_3gpuE7ELNS1_3repE0EEENS1_30default_config_static_selectorELNS0_4arch9wavefront6targetE1EEEvT1_.kd
    .uniform_work_group_size: 1
    .uses_dynamic_stack: false
    .vgpr_count:     0
    .vgpr_spill_count: 0
    .wavefront_size: 64
  - .agpr_count:     0
    .args:
      - .offset:         0
        .size:           136
        .value_kind:     by_value
    .group_segment_fixed_size: 0
    .kernarg_segment_align: 8
    .kernarg_segment_size: 136
    .language:       OpenCL C
    .language_version:
      - 2
      - 0
    .max_flat_workgroup_size: 64
    .name:           _ZN7rocprim17ROCPRIM_400000_NS6detail17trampoline_kernelINS0_14default_configENS1_27scan_by_key_config_selectorIixEEZZNS1_16scan_by_key_implILNS1_25lookback_scan_determinismE0ELb1ES3_N6thrust23THRUST_200600_302600_NS6detail15normal_iteratorINS9_10device_ptrIiEEEENSB_INSC_IxEEEESG_xNS9_4plusIvEENS9_8equal_toIvEExEE10hipError_tPvRmT2_T3_T4_T5_mT6_T7_P12ihipStream_tbENKUlT_T0_E_clISt17integral_constantIbLb0EES11_EEDaSW_SX_EUlSW_E_NS1_11comp_targetILNS1_3genE2ELNS1_11target_archE906ELNS1_3gpuE6ELNS1_3repE0EEENS1_30default_config_static_selectorELNS0_4arch9wavefront6targetE1EEEvT1_
    .private_segment_fixed_size: 0
    .sgpr_count:     4
    .sgpr_spill_count: 0
    .symbol:         _ZN7rocprim17ROCPRIM_400000_NS6detail17trampoline_kernelINS0_14default_configENS1_27scan_by_key_config_selectorIixEEZZNS1_16scan_by_key_implILNS1_25lookback_scan_determinismE0ELb1ES3_N6thrust23THRUST_200600_302600_NS6detail15normal_iteratorINS9_10device_ptrIiEEEENSB_INSC_IxEEEESG_xNS9_4plusIvEENS9_8equal_toIvEExEE10hipError_tPvRmT2_T3_T4_T5_mT6_T7_P12ihipStream_tbENKUlT_T0_E_clISt17integral_constantIbLb0EES11_EEDaSW_SX_EUlSW_E_NS1_11comp_targetILNS1_3genE2ELNS1_11target_archE906ELNS1_3gpuE6ELNS1_3repE0EEENS1_30default_config_static_selectorELNS0_4arch9wavefront6targetE1EEEvT1_.kd
    .uniform_work_group_size: 1
    .uses_dynamic_stack: false
    .vgpr_count:     0
    .vgpr_spill_count: 0
    .wavefront_size: 64
  - .agpr_count:     0
    .args:
      - .offset:         0
        .size:           136
        .value_kind:     by_value
    .group_segment_fixed_size: 0
    .kernarg_segment_align: 8
    .kernarg_segment_size: 136
    .language:       OpenCL C
    .language_version:
      - 2
      - 0
    .max_flat_workgroup_size: 256
    .name:           _ZN7rocprim17ROCPRIM_400000_NS6detail17trampoline_kernelINS0_14default_configENS1_27scan_by_key_config_selectorIixEEZZNS1_16scan_by_key_implILNS1_25lookback_scan_determinismE0ELb1ES3_N6thrust23THRUST_200600_302600_NS6detail15normal_iteratorINS9_10device_ptrIiEEEENSB_INSC_IxEEEESG_xNS9_4plusIvEENS9_8equal_toIvEExEE10hipError_tPvRmT2_T3_T4_T5_mT6_T7_P12ihipStream_tbENKUlT_T0_E_clISt17integral_constantIbLb0EES11_EEDaSW_SX_EUlSW_E_NS1_11comp_targetILNS1_3genE10ELNS1_11target_archE1200ELNS1_3gpuE4ELNS1_3repE0EEENS1_30default_config_static_selectorELNS0_4arch9wavefront6targetE1EEEvT1_
    .private_segment_fixed_size: 0
    .sgpr_count:     4
    .sgpr_spill_count: 0
    .symbol:         _ZN7rocprim17ROCPRIM_400000_NS6detail17trampoline_kernelINS0_14default_configENS1_27scan_by_key_config_selectorIixEEZZNS1_16scan_by_key_implILNS1_25lookback_scan_determinismE0ELb1ES3_N6thrust23THRUST_200600_302600_NS6detail15normal_iteratorINS9_10device_ptrIiEEEENSB_INSC_IxEEEESG_xNS9_4plusIvEENS9_8equal_toIvEExEE10hipError_tPvRmT2_T3_T4_T5_mT6_T7_P12ihipStream_tbENKUlT_T0_E_clISt17integral_constantIbLb0EES11_EEDaSW_SX_EUlSW_E_NS1_11comp_targetILNS1_3genE10ELNS1_11target_archE1200ELNS1_3gpuE4ELNS1_3repE0EEENS1_30default_config_static_selectorELNS0_4arch9wavefront6targetE1EEEvT1_.kd
    .uniform_work_group_size: 1
    .uses_dynamic_stack: false
    .vgpr_count:     0
    .vgpr_spill_count: 0
    .wavefront_size: 64
  - .agpr_count:     0
    .args:
      - .offset:         0
        .size:           136
        .value_kind:     by_value
    .group_segment_fixed_size: 0
    .kernarg_segment_align: 8
    .kernarg_segment_size: 136
    .language:       OpenCL C
    .language_version:
      - 2
      - 0
    .max_flat_workgroup_size: 256
    .name:           _ZN7rocprim17ROCPRIM_400000_NS6detail17trampoline_kernelINS0_14default_configENS1_27scan_by_key_config_selectorIixEEZZNS1_16scan_by_key_implILNS1_25lookback_scan_determinismE0ELb1ES3_N6thrust23THRUST_200600_302600_NS6detail15normal_iteratorINS9_10device_ptrIiEEEENSB_INSC_IxEEEESG_xNS9_4plusIvEENS9_8equal_toIvEExEE10hipError_tPvRmT2_T3_T4_T5_mT6_T7_P12ihipStream_tbENKUlT_T0_E_clISt17integral_constantIbLb0EES11_EEDaSW_SX_EUlSW_E_NS1_11comp_targetILNS1_3genE9ELNS1_11target_archE1100ELNS1_3gpuE3ELNS1_3repE0EEENS1_30default_config_static_selectorELNS0_4arch9wavefront6targetE1EEEvT1_
    .private_segment_fixed_size: 0
    .sgpr_count:     4
    .sgpr_spill_count: 0
    .symbol:         _ZN7rocprim17ROCPRIM_400000_NS6detail17trampoline_kernelINS0_14default_configENS1_27scan_by_key_config_selectorIixEEZZNS1_16scan_by_key_implILNS1_25lookback_scan_determinismE0ELb1ES3_N6thrust23THRUST_200600_302600_NS6detail15normal_iteratorINS9_10device_ptrIiEEEENSB_INSC_IxEEEESG_xNS9_4plusIvEENS9_8equal_toIvEExEE10hipError_tPvRmT2_T3_T4_T5_mT6_T7_P12ihipStream_tbENKUlT_T0_E_clISt17integral_constantIbLb0EES11_EEDaSW_SX_EUlSW_E_NS1_11comp_targetILNS1_3genE9ELNS1_11target_archE1100ELNS1_3gpuE3ELNS1_3repE0EEENS1_30default_config_static_selectorELNS0_4arch9wavefront6targetE1EEEvT1_.kd
    .uniform_work_group_size: 1
    .uses_dynamic_stack: false
    .vgpr_count:     0
    .vgpr_spill_count: 0
    .wavefront_size: 64
  - .agpr_count:     0
    .args:
      - .offset:         0
        .size:           136
        .value_kind:     by_value
    .group_segment_fixed_size: 0
    .kernarg_segment_align: 8
    .kernarg_segment_size: 136
    .language:       OpenCL C
    .language_version:
      - 2
      - 0
    .max_flat_workgroup_size: 256
    .name:           _ZN7rocprim17ROCPRIM_400000_NS6detail17trampoline_kernelINS0_14default_configENS1_27scan_by_key_config_selectorIixEEZZNS1_16scan_by_key_implILNS1_25lookback_scan_determinismE0ELb1ES3_N6thrust23THRUST_200600_302600_NS6detail15normal_iteratorINS9_10device_ptrIiEEEENSB_INSC_IxEEEESG_xNS9_4plusIvEENS9_8equal_toIvEExEE10hipError_tPvRmT2_T3_T4_T5_mT6_T7_P12ihipStream_tbENKUlT_T0_E_clISt17integral_constantIbLb0EES11_EEDaSW_SX_EUlSW_E_NS1_11comp_targetILNS1_3genE8ELNS1_11target_archE1030ELNS1_3gpuE2ELNS1_3repE0EEENS1_30default_config_static_selectorELNS0_4arch9wavefront6targetE1EEEvT1_
    .private_segment_fixed_size: 0
    .sgpr_count:     4
    .sgpr_spill_count: 0
    .symbol:         _ZN7rocprim17ROCPRIM_400000_NS6detail17trampoline_kernelINS0_14default_configENS1_27scan_by_key_config_selectorIixEEZZNS1_16scan_by_key_implILNS1_25lookback_scan_determinismE0ELb1ES3_N6thrust23THRUST_200600_302600_NS6detail15normal_iteratorINS9_10device_ptrIiEEEENSB_INSC_IxEEEESG_xNS9_4plusIvEENS9_8equal_toIvEExEE10hipError_tPvRmT2_T3_T4_T5_mT6_T7_P12ihipStream_tbENKUlT_T0_E_clISt17integral_constantIbLb0EES11_EEDaSW_SX_EUlSW_E_NS1_11comp_targetILNS1_3genE8ELNS1_11target_archE1030ELNS1_3gpuE2ELNS1_3repE0EEENS1_30default_config_static_selectorELNS0_4arch9wavefront6targetE1EEEvT1_.kd
    .uniform_work_group_size: 1
    .uses_dynamic_stack: false
    .vgpr_count:     0
    .vgpr_spill_count: 0
    .wavefront_size: 64
  - .agpr_count:     0
    .args:
      - .offset:         0
        .size:           136
        .value_kind:     by_value
    .group_segment_fixed_size: 0
    .kernarg_segment_align: 8
    .kernarg_segment_size: 136
    .language:       OpenCL C
    .language_version:
      - 2
      - 0
    .max_flat_workgroup_size: 128
    .name:           _ZN7rocprim17ROCPRIM_400000_NS6detail17trampoline_kernelINS0_14default_configENS1_27scan_by_key_config_selectorIixEEZZNS1_16scan_by_key_implILNS1_25lookback_scan_determinismE0ELb1ES3_N6thrust23THRUST_200600_302600_NS6detail15normal_iteratorINS9_10device_ptrIiEEEENSB_INSC_IxEEEESG_xNS9_4plusIvEENS9_8equal_toIvEExEE10hipError_tPvRmT2_T3_T4_T5_mT6_T7_P12ihipStream_tbENKUlT_T0_E_clISt17integral_constantIbLb1EES11_EEDaSW_SX_EUlSW_E_NS1_11comp_targetILNS1_3genE0ELNS1_11target_archE4294967295ELNS1_3gpuE0ELNS1_3repE0EEENS1_30default_config_static_selectorELNS0_4arch9wavefront6targetE1EEEvT1_
    .private_segment_fixed_size: 0
    .sgpr_count:     4
    .sgpr_spill_count: 0
    .symbol:         _ZN7rocprim17ROCPRIM_400000_NS6detail17trampoline_kernelINS0_14default_configENS1_27scan_by_key_config_selectorIixEEZZNS1_16scan_by_key_implILNS1_25lookback_scan_determinismE0ELb1ES3_N6thrust23THRUST_200600_302600_NS6detail15normal_iteratorINS9_10device_ptrIiEEEENSB_INSC_IxEEEESG_xNS9_4plusIvEENS9_8equal_toIvEExEE10hipError_tPvRmT2_T3_T4_T5_mT6_T7_P12ihipStream_tbENKUlT_T0_E_clISt17integral_constantIbLb1EES11_EEDaSW_SX_EUlSW_E_NS1_11comp_targetILNS1_3genE0ELNS1_11target_archE4294967295ELNS1_3gpuE0ELNS1_3repE0EEENS1_30default_config_static_selectorELNS0_4arch9wavefront6targetE1EEEvT1_.kd
    .uniform_work_group_size: 1
    .uses_dynamic_stack: false
    .vgpr_count:     0
    .vgpr_spill_count: 0
    .wavefront_size: 64
  - .agpr_count:     0
    .args:
      - .offset:         0
        .size:           136
        .value_kind:     by_value
    .group_segment_fixed_size: 0
    .kernarg_segment_align: 8
    .kernarg_segment_size: 136
    .language:       OpenCL C
    .language_version:
      - 2
      - 0
    .max_flat_workgroup_size: 256
    .name:           _ZN7rocprim17ROCPRIM_400000_NS6detail17trampoline_kernelINS0_14default_configENS1_27scan_by_key_config_selectorIixEEZZNS1_16scan_by_key_implILNS1_25lookback_scan_determinismE0ELb1ES3_N6thrust23THRUST_200600_302600_NS6detail15normal_iteratorINS9_10device_ptrIiEEEENSB_INSC_IxEEEESG_xNS9_4plusIvEENS9_8equal_toIvEExEE10hipError_tPvRmT2_T3_T4_T5_mT6_T7_P12ihipStream_tbENKUlT_T0_E_clISt17integral_constantIbLb1EES11_EEDaSW_SX_EUlSW_E_NS1_11comp_targetILNS1_3genE10ELNS1_11target_archE1201ELNS1_3gpuE5ELNS1_3repE0EEENS1_30default_config_static_selectorELNS0_4arch9wavefront6targetE1EEEvT1_
    .private_segment_fixed_size: 0
    .sgpr_count:     4
    .sgpr_spill_count: 0
    .symbol:         _ZN7rocprim17ROCPRIM_400000_NS6detail17trampoline_kernelINS0_14default_configENS1_27scan_by_key_config_selectorIixEEZZNS1_16scan_by_key_implILNS1_25lookback_scan_determinismE0ELb1ES3_N6thrust23THRUST_200600_302600_NS6detail15normal_iteratorINS9_10device_ptrIiEEEENSB_INSC_IxEEEESG_xNS9_4plusIvEENS9_8equal_toIvEExEE10hipError_tPvRmT2_T3_T4_T5_mT6_T7_P12ihipStream_tbENKUlT_T0_E_clISt17integral_constantIbLb1EES11_EEDaSW_SX_EUlSW_E_NS1_11comp_targetILNS1_3genE10ELNS1_11target_archE1201ELNS1_3gpuE5ELNS1_3repE0EEENS1_30default_config_static_selectorELNS0_4arch9wavefront6targetE1EEEvT1_.kd
    .uniform_work_group_size: 1
    .uses_dynamic_stack: false
    .vgpr_count:     0
    .vgpr_spill_count: 0
    .wavefront_size: 64
  - .agpr_count:     0
    .args:
      - .offset:         0
        .size:           136
        .value_kind:     by_value
    .group_segment_fixed_size: 0
    .kernarg_segment_align: 8
    .kernarg_segment_size: 136
    .language:       OpenCL C
    .language_version:
      - 2
      - 0
    .max_flat_workgroup_size: 256
    .name:           _ZN7rocprim17ROCPRIM_400000_NS6detail17trampoline_kernelINS0_14default_configENS1_27scan_by_key_config_selectorIixEEZZNS1_16scan_by_key_implILNS1_25lookback_scan_determinismE0ELb1ES3_N6thrust23THRUST_200600_302600_NS6detail15normal_iteratorINS9_10device_ptrIiEEEENSB_INSC_IxEEEESG_xNS9_4plusIvEENS9_8equal_toIvEExEE10hipError_tPvRmT2_T3_T4_T5_mT6_T7_P12ihipStream_tbENKUlT_T0_E_clISt17integral_constantIbLb1EES11_EEDaSW_SX_EUlSW_E_NS1_11comp_targetILNS1_3genE5ELNS1_11target_archE942ELNS1_3gpuE9ELNS1_3repE0EEENS1_30default_config_static_selectorELNS0_4arch9wavefront6targetE1EEEvT1_
    .private_segment_fixed_size: 0
    .sgpr_count:     4
    .sgpr_spill_count: 0
    .symbol:         _ZN7rocprim17ROCPRIM_400000_NS6detail17trampoline_kernelINS0_14default_configENS1_27scan_by_key_config_selectorIixEEZZNS1_16scan_by_key_implILNS1_25lookback_scan_determinismE0ELb1ES3_N6thrust23THRUST_200600_302600_NS6detail15normal_iteratorINS9_10device_ptrIiEEEENSB_INSC_IxEEEESG_xNS9_4plusIvEENS9_8equal_toIvEExEE10hipError_tPvRmT2_T3_T4_T5_mT6_T7_P12ihipStream_tbENKUlT_T0_E_clISt17integral_constantIbLb1EES11_EEDaSW_SX_EUlSW_E_NS1_11comp_targetILNS1_3genE5ELNS1_11target_archE942ELNS1_3gpuE9ELNS1_3repE0EEENS1_30default_config_static_selectorELNS0_4arch9wavefront6targetE1EEEvT1_.kd
    .uniform_work_group_size: 1
    .uses_dynamic_stack: false
    .vgpr_count:     0
    .vgpr_spill_count: 0
    .wavefront_size: 64
  - .agpr_count:     0
    .args:
      - .offset:         0
        .size:           136
        .value_kind:     by_value
    .group_segment_fixed_size: 10752
    .kernarg_segment_align: 8
    .kernarg_segment_size: 136
    .language:       OpenCL C
    .language_version:
      - 2
      - 0
    .max_flat_workgroup_size: 64
    .name:           _ZN7rocprim17ROCPRIM_400000_NS6detail17trampoline_kernelINS0_14default_configENS1_27scan_by_key_config_selectorIixEEZZNS1_16scan_by_key_implILNS1_25lookback_scan_determinismE0ELb1ES3_N6thrust23THRUST_200600_302600_NS6detail15normal_iteratorINS9_10device_ptrIiEEEENSB_INSC_IxEEEESG_xNS9_4plusIvEENS9_8equal_toIvEExEE10hipError_tPvRmT2_T3_T4_T5_mT6_T7_P12ihipStream_tbENKUlT_T0_E_clISt17integral_constantIbLb1EES11_EEDaSW_SX_EUlSW_E_NS1_11comp_targetILNS1_3genE4ELNS1_11target_archE910ELNS1_3gpuE8ELNS1_3repE0EEENS1_30default_config_static_selectorELNS0_4arch9wavefront6targetE1EEEvT1_
    .private_segment_fixed_size: 0
    .sgpr_count:     78
    .sgpr_spill_count: 0
    .symbol:         _ZN7rocprim17ROCPRIM_400000_NS6detail17trampoline_kernelINS0_14default_configENS1_27scan_by_key_config_selectorIixEEZZNS1_16scan_by_key_implILNS1_25lookback_scan_determinismE0ELb1ES3_N6thrust23THRUST_200600_302600_NS6detail15normal_iteratorINS9_10device_ptrIiEEEENSB_INSC_IxEEEESG_xNS9_4plusIvEENS9_8equal_toIvEExEE10hipError_tPvRmT2_T3_T4_T5_mT6_T7_P12ihipStream_tbENKUlT_T0_E_clISt17integral_constantIbLb1EES11_EEDaSW_SX_EUlSW_E_NS1_11comp_targetILNS1_3genE4ELNS1_11target_archE910ELNS1_3gpuE8ELNS1_3repE0EEENS1_30default_config_static_selectorELNS0_4arch9wavefront6targetE1EEEvT1_.kd
    .uniform_work_group_size: 1
    .uses_dynamic_stack: false
    .vgpr_count:     130
    .vgpr_spill_count: 0
    .wavefront_size: 64
  - .agpr_count:     0
    .args:
      - .offset:         0
        .size:           136
        .value_kind:     by_value
    .group_segment_fixed_size: 0
    .kernarg_segment_align: 8
    .kernarg_segment_size: 136
    .language:       OpenCL C
    .language_version:
      - 2
      - 0
    .max_flat_workgroup_size: 128
    .name:           _ZN7rocprim17ROCPRIM_400000_NS6detail17trampoline_kernelINS0_14default_configENS1_27scan_by_key_config_selectorIixEEZZNS1_16scan_by_key_implILNS1_25lookback_scan_determinismE0ELb1ES3_N6thrust23THRUST_200600_302600_NS6detail15normal_iteratorINS9_10device_ptrIiEEEENSB_INSC_IxEEEESG_xNS9_4plusIvEENS9_8equal_toIvEExEE10hipError_tPvRmT2_T3_T4_T5_mT6_T7_P12ihipStream_tbENKUlT_T0_E_clISt17integral_constantIbLb1EES11_EEDaSW_SX_EUlSW_E_NS1_11comp_targetILNS1_3genE3ELNS1_11target_archE908ELNS1_3gpuE7ELNS1_3repE0EEENS1_30default_config_static_selectorELNS0_4arch9wavefront6targetE1EEEvT1_
    .private_segment_fixed_size: 0
    .sgpr_count:     4
    .sgpr_spill_count: 0
    .symbol:         _ZN7rocprim17ROCPRIM_400000_NS6detail17trampoline_kernelINS0_14default_configENS1_27scan_by_key_config_selectorIixEEZZNS1_16scan_by_key_implILNS1_25lookback_scan_determinismE0ELb1ES3_N6thrust23THRUST_200600_302600_NS6detail15normal_iteratorINS9_10device_ptrIiEEEENSB_INSC_IxEEEESG_xNS9_4plusIvEENS9_8equal_toIvEExEE10hipError_tPvRmT2_T3_T4_T5_mT6_T7_P12ihipStream_tbENKUlT_T0_E_clISt17integral_constantIbLb1EES11_EEDaSW_SX_EUlSW_E_NS1_11comp_targetILNS1_3genE3ELNS1_11target_archE908ELNS1_3gpuE7ELNS1_3repE0EEENS1_30default_config_static_selectorELNS0_4arch9wavefront6targetE1EEEvT1_.kd
    .uniform_work_group_size: 1
    .uses_dynamic_stack: false
    .vgpr_count:     0
    .vgpr_spill_count: 0
    .wavefront_size: 64
  - .agpr_count:     0
    .args:
      - .offset:         0
        .size:           136
        .value_kind:     by_value
    .group_segment_fixed_size: 0
    .kernarg_segment_align: 8
    .kernarg_segment_size: 136
    .language:       OpenCL C
    .language_version:
      - 2
      - 0
    .max_flat_workgroup_size: 64
    .name:           _ZN7rocprim17ROCPRIM_400000_NS6detail17trampoline_kernelINS0_14default_configENS1_27scan_by_key_config_selectorIixEEZZNS1_16scan_by_key_implILNS1_25lookback_scan_determinismE0ELb1ES3_N6thrust23THRUST_200600_302600_NS6detail15normal_iteratorINS9_10device_ptrIiEEEENSB_INSC_IxEEEESG_xNS9_4plusIvEENS9_8equal_toIvEExEE10hipError_tPvRmT2_T3_T4_T5_mT6_T7_P12ihipStream_tbENKUlT_T0_E_clISt17integral_constantIbLb1EES11_EEDaSW_SX_EUlSW_E_NS1_11comp_targetILNS1_3genE2ELNS1_11target_archE906ELNS1_3gpuE6ELNS1_3repE0EEENS1_30default_config_static_selectorELNS0_4arch9wavefront6targetE1EEEvT1_
    .private_segment_fixed_size: 0
    .sgpr_count:     4
    .sgpr_spill_count: 0
    .symbol:         _ZN7rocprim17ROCPRIM_400000_NS6detail17trampoline_kernelINS0_14default_configENS1_27scan_by_key_config_selectorIixEEZZNS1_16scan_by_key_implILNS1_25lookback_scan_determinismE0ELb1ES3_N6thrust23THRUST_200600_302600_NS6detail15normal_iteratorINS9_10device_ptrIiEEEENSB_INSC_IxEEEESG_xNS9_4plusIvEENS9_8equal_toIvEExEE10hipError_tPvRmT2_T3_T4_T5_mT6_T7_P12ihipStream_tbENKUlT_T0_E_clISt17integral_constantIbLb1EES11_EEDaSW_SX_EUlSW_E_NS1_11comp_targetILNS1_3genE2ELNS1_11target_archE906ELNS1_3gpuE6ELNS1_3repE0EEENS1_30default_config_static_selectorELNS0_4arch9wavefront6targetE1EEEvT1_.kd
    .uniform_work_group_size: 1
    .uses_dynamic_stack: false
    .vgpr_count:     0
    .vgpr_spill_count: 0
    .wavefront_size: 64
  - .agpr_count:     0
    .args:
      - .offset:         0
        .size:           136
        .value_kind:     by_value
    .group_segment_fixed_size: 0
    .kernarg_segment_align: 8
    .kernarg_segment_size: 136
    .language:       OpenCL C
    .language_version:
      - 2
      - 0
    .max_flat_workgroup_size: 256
    .name:           _ZN7rocprim17ROCPRIM_400000_NS6detail17trampoline_kernelINS0_14default_configENS1_27scan_by_key_config_selectorIixEEZZNS1_16scan_by_key_implILNS1_25lookback_scan_determinismE0ELb1ES3_N6thrust23THRUST_200600_302600_NS6detail15normal_iteratorINS9_10device_ptrIiEEEENSB_INSC_IxEEEESG_xNS9_4plusIvEENS9_8equal_toIvEExEE10hipError_tPvRmT2_T3_T4_T5_mT6_T7_P12ihipStream_tbENKUlT_T0_E_clISt17integral_constantIbLb1EES11_EEDaSW_SX_EUlSW_E_NS1_11comp_targetILNS1_3genE10ELNS1_11target_archE1200ELNS1_3gpuE4ELNS1_3repE0EEENS1_30default_config_static_selectorELNS0_4arch9wavefront6targetE1EEEvT1_
    .private_segment_fixed_size: 0
    .sgpr_count:     4
    .sgpr_spill_count: 0
    .symbol:         _ZN7rocprim17ROCPRIM_400000_NS6detail17trampoline_kernelINS0_14default_configENS1_27scan_by_key_config_selectorIixEEZZNS1_16scan_by_key_implILNS1_25lookback_scan_determinismE0ELb1ES3_N6thrust23THRUST_200600_302600_NS6detail15normal_iteratorINS9_10device_ptrIiEEEENSB_INSC_IxEEEESG_xNS9_4plusIvEENS9_8equal_toIvEExEE10hipError_tPvRmT2_T3_T4_T5_mT6_T7_P12ihipStream_tbENKUlT_T0_E_clISt17integral_constantIbLb1EES11_EEDaSW_SX_EUlSW_E_NS1_11comp_targetILNS1_3genE10ELNS1_11target_archE1200ELNS1_3gpuE4ELNS1_3repE0EEENS1_30default_config_static_selectorELNS0_4arch9wavefront6targetE1EEEvT1_.kd
    .uniform_work_group_size: 1
    .uses_dynamic_stack: false
    .vgpr_count:     0
    .vgpr_spill_count: 0
    .wavefront_size: 64
  - .agpr_count:     0
    .args:
      - .offset:         0
        .size:           136
        .value_kind:     by_value
    .group_segment_fixed_size: 0
    .kernarg_segment_align: 8
    .kernarg_segment_size: 136
    .language:       OpenCL C
    .language_version:
      - 2
      - 0
    .max_flat_workgroup_size: 256
    .name:           _ZN7rocprim17ROCPRIM_400000_NS6detail17trampoline_kernelINS0_14default_configENS1_27scan_by_key_config_selectorIixEEZZNS1_16scan_by_key_implILNS1_25lookback_scan_determinismE0ELb1ES3_N6thrust23THRUST_200600_302600_NS6detail15normal_iteratorINS9_10device_ptrIiEEEENSB_INSC_IxEEEESG_xNS9_4plusIvEENS9_8equal_toIvEExEE10hipError_tPvRmT2_T3_T4_T5_mT6_T7_P12ihipStream_tbENKUlT_T0_E_clISt17integral_constantIbLb1EES11_EEDaSW_SX_EUlSW_E_NS1_11comp_targetILNS1_3genE9ELNS1_11target_archE1100ELNS1_3gpuE3ELNS1_3repE0EEENS1_30default_config_static_selectorELNS0_4arch9wavefront6targetE1EEEvT1_
    .private_segment_fixed_size: 0
    .sgpr_count:     4
    .sgpr_spill_count: 0
    .symbol:         _ZN7rocprim17ROCPRIM_400000_NS6detail17trampoline_kernelINS0_14default_configENS1_27scan_by_key_config_selectorIixEEZZNS1_16scan_by_key_implILNS1_25lookback_scan_determinismE0ELb1ES3_N6thrust23THRUST_200600_302600_NS6detail15normal_iteratorINS9_10device_ptrIiEEEENSB_INSC_IxEEEESG_xNS9_4plusIvEENS9_8equal_toIvEExEE10hipError_tPvRmT2_T3_T4_T5_mT6_T7_P12ihipStream_tbENKUlT_T0_E_clISt17integral_constantIbLb1EES11_EEDaSW_SX_EUlSW_E_NS1_11comp_targetILNS1_3genE9ELNS1_11target_archE1100ELNS1_3gpuE3ELNS1_3repE0EEENS1_30default_config_static_selectorELNS0_4arch9wavefront6targetE1EEEvT1_.kd
    .uniform_work_group_size: 1
    .uses_dynamic_stack: false
    .vgpr_count:     0
    .vgpr_spill_count: 0
    .wavefront_size: 64
  - .agpr_count:     0
    .args:
      - .offset:         0
        .size:           136
        .value_kind:     by_value
    .group_segment_fixed_size: 0
    .kernarg_segment_align: 8
    .kernarg_segment_size: 136
    .language:       OpenCL C
    .language_version:
      - 2
      - 0
    .max_flat_workgroup_size: 256
    .name:           _ZN7rocprim17ROCPRIM_400000_NS6detail17trampoline_kernelINS0_14default_configENS1_27scan_by_key_config_selectorIixEEZZNS1_16scan_by_key_implILNS1_25lookback_scan_determinismE0ELb1ES3_N6thrust23THRUST_200600_302600_NS6detail15normal_iteratorINS9_10device_ptrIiEEEENSB_INSC_IxEEEESG_xNS9_4plusIvEENS9_8equal_toIvEExEE10hipError_tPvRmT2_T3_T4_T5_mT6_T7_P12ihipStream_tbENKUlT_T0_E_clISt17integral_constantIbLb1EES11_EEDaSW_SX_EUlSW_E_NS1_11comp_targetILNS1_3genE8ELNS1_11target_archE1030ELNS1_3gpuE2ELNS1_3repE0EEENS1_30default_config_static_selectorELNS0_4arch9wavefront6targetE1EEEvT1_
    .private_segment_fixed_size: 0
    .sgpr_count:     4
    .sgpr_spill_count: 0
    .symbol:         _ZN7rocprim17ROCPRIM_400000_NS6detail17trampoline_kernelINS0_14default_configENS1_27scan_by_key_config_selectorIixEEZZNS1_16scan_by_key_implILNS1_25lookback_scan_determinismE0ELb1ES3_N6thrust23THRUST_200600_302600_NS6detail15normal_iteratorINS9_10device_ptrIiEEEENSB_INSC_IxEEEESG_xNS9_4plusIvEENS9_8equal_toIvEExEE10hipError_tPvRmT2_T3_T4_T5_mT6_T7_P12ihipStream_tbENKUlT_T0_E_clISt17integral_constantIbLb1EES11_EEDaSW_SX_EUlSW_E_NS1_11comp_targetILNS1_3genE8ELNS1_11target_archE1030ELNS1_3gpuE2ELNS1_3repE0EEENS1_30default_config_static_selectorELNS0_4arch9wavefront6targetE1EEEvT1_.kd
    .uniform_work_group_size: 1
    .uses_dynamic_stack: false
    .vgpr_count:     0
    .vgpr_spill_count: 0
    .wavefront_size: 64
  - .agpr_count:     0
    .args:
      - .offset:         0
        .size:           136
        .value_kind:     by_value
    .group_segment_fixed_size: 0
    .kernarg_segment_align: 8
    .kernarg_segment_size: 136
    .language:       OpenCL C
    .language_version:
      - 2
      - 0
    .max_flat_workgroup_size: 128
    .name:           _ZN7rocprim17ROCPRIM_400000_NS6detail17trampoline_kernelINS0_14default_configENS1_27scan_by_key_config_selectorIixEEZZNS1_16scan_by_key_implILNS1_25lookback_scan_determinismE0ELb1ES3_N6thrust23THRUST_200600_302600_NS6detail15normal_iteratorINS9_10device_ptrIiEEEENSB_INSC_IxEEEESG_xNS9_4plusIvEENS9_8equal_toIvEExEE10hipError_tPvRmT2_T3_T4_T5_mT6_T7_P12ihipStream_tbENKUlT_T0_E_clISt17integral_constantIbLb1EES10_IbLb0EEEEDaSW_SX_EUlSW_E_NS1_11comp_targetILNS1_3genE0ELNS1_11target_archE4294967295ELNS1_3gpuE0ELNS1_3repE0EEENS1_30default_config_static_selectorELNS0_4arch9wavefront6targetE1EEEvT1_
    .private_segment_fixed_size: 0
    .sgpr_count:     4
    .sgpr_spill_count: 0
    .symbol:         _ZN7rocprim17ROCPRIM_400000_NS6detail17trampoline_kernelINS0_14default_configENS1_27scan_by_key_config_selectorIixEEZZNS1_16scan_by_key_implILNS1_25lookback_scan_determinismE0ELb1ES3_N6thrust23THRUST_200600_302600_NS6detail15normal_iteratorINS9_10device_ptrIiEEEENSB_INSC_IxEEEESG_xNS9_4plusIvEENS9_8equal_toIvEExEE10hipError_tPvRmT2_T3_T4_T5_mT6_T7_P12ihipStream_tbENKUlT_T0_E_clISt17integral_constantIbLb1EES10_IbLb0EEEEDaSW_SX_EUlSW_E_NS1_11comp_targetILNS1_3genE0ELNS1_11target_archE4294967295ELNS1_3gpuE0ELNS1_3repE0EEENS1_30default_config_static_selectorELNS0_4arch9wavefront6targetE1EEEvT1_.kd
    .uniform_work_group_size: 1
    .uses_dynamic_stack: false
    .vgpr_count:     0
    .vgpr_spill_count: 0
    .wavefront_size: 64
  - .agpr_count:     0
    .args:
      - .offset:         0
        .size:           136
        .value_kind:     by_value
    .group_segment_fixed_size: 0
    .kernarg_segment_align: 8
    .kernarg_segment_size: 136
    .language:       OpenCL C
    .language_version:
      - 2
      - 0
    .max_flat_workgroup_size: 256
    .name:           _ZN7rocprim17ROCPRIM_400000_NS6detail17trampoline_kernelINS0_14default_configENS1_27scan_by_key_config_selectorIixEEZZNS1_16scan_by_key_implILNS1_25lookback_scan_determinismE0ELb1ES3_N6thrust23THRUST_200600_302600_NS6detail15normal_iteratorINS9_10device_ptrIiEEEENSB_INSC_IxEEEESG_xNS9_4plusIvEENS9_8equal_toIvEExEE10hipError_tPvRmT2_T3_T4_T5_mT6_T7_P12ihipStream_tbENKUlT_T0_E_clISt17integral_constantIbLb1EES10_IbLb0EEEEDaSW_SX_EUlSW_E_NS1_11comp_targetILNS1_3genE10ELNS1_11target_archE1201ELNS1_3gpuE5ELNS1_3repE0EEENS1_30default_config_static_selectorELNS0_4arch9wavefront6targetE1EEEvT1_
    .private_segment_fixed_size: 0
    .sgpr_count:     4
    .sgpr_spill_count: 0
    .symbol:         _ZN7rocprim17ROCPRIM_400000_NS6detail17trampoline_kernelINS0_14default_configENS1_27scan_by_key_config_selectorIixEEZZNS1_16scan_by_key_implILNS1_25lookback_scan_determinismE0ELb1ES3_N6thrust23THRUST_200600_302600_NS6detail15normal_iteratorINS9_10device_ptrIiEEEENSB_INSC_IxEEEESG_xNS9_4plusIvEENS9_8equal_toIvEExEE10hipError_tPvRmT2_T3_T4_T5_mT6_T7_P12ihipStream_tbENKUlT_T0_E_clISt17integral_constantIbLb1EES10_IbLb0EEEEDaSW_SX_EUlSW_E_NS1_11comp_targetILNS1_3genE10ELNS1_11target_archE1201ELNS1_3gpuE5ELNS1_3repE0EEENS1_30default_config_static_selectorELNS0_4arch9wavefront6targetE1EEEvT1_.kd
    .uniform_work_group_size: 1
    .uses_dynamic_stack: false
    .vgpr_count:     0
    .vgpr_spill_count: 0
    .wavefront_size: 64
  - .agpr_count:     0
    .args:
      - .offset:         0
        .size:           136
        .value_kind:     by_value
    .group_segment_fixed_size: 0
    .kernarg_segment_align: 8
    .kernarg_segment_size: 136
    .language:       OpenCL C
    .language_version:
      - 2
      - 0
    .max_flat_workgroup_size: 256
    .name:           _ZN7rocprim17ROCPRIM_400000_NS6detail17trampoline_kernelINS0_14default_configENS1_27scan_by_key_config_selectorIixEEZZNS1_16scan_by_key_implILNS1_25lookback_scan_determinismE0ELb1ES3_N6thrust23THRUST_200600_302600_NS6detail15normal_iteratorINS9_10device_ptrIiEEEENSB_INSC_IxEEEESG_xNS9_4plusIvEENS9_8equal_toIvEExEE10hipError_tPvRmT2_T3_T4_T5_mT6_T7_P12ihipStream_tbENKUlT_T0_E_clISt17integral_constantIbLb1EES10_IbLb0EEEEDaSW_SX_EUlSW_E_NS1_11comp_targetILNS1_3genE5ELNS1_11target_archE942ELNS1_3gpuE9ELNS1_3repE0EEENS1_30default_config_static_selectorELNS0_4arch9wavefront6targetE1EEEvT1_
    .private_segment_fixed_size: 0
    .sgpr_count:     4
    .sgpr_spill_count: 0
    .symbol:         _ZN7rocprim17ROCPRIM_400000_NS6detail17trampoline_kernelINS0_14default_configENS1_27scan_by_key_config_selectorIixEEZZNS1_16scan_by_key_implILNS1_25lookback_scan_determinismE0ELb1ES3_N6thrust23THRUST_200600_302600_NS6detail15normal_iteratorINS9_10device_ptrIiEEEENSB_INSC_IxEEEESG_xNS9_4plusIvEENS9_8equal_toIvEExEE10hipError_tPvRmT2_T3_T4_T5_mT6_T7_P12ihipStream_tbENKUlT_T0_E_clISt17integral_constantIbLb1EES10_IbLb0EEEEDaSW_SX_EUlSW_E_NS1_11comp_targetILNS1_3genE5ELNS1_11target_archE942ELNS1_3gpuE9ELNS1_3repE0EEENS1_30default_config_static_selectorELNS0_4arch9wavefront6targetE1EEEvT1_.kd
    .uniform_work_group_size: 1
    .uses_dynamic_stack: false
    .vgpr_count:     0
    .vgpr_spill_count: 0
    .wavefront_size: 64
  - .agpr_count:     0
    .args:
      - .offset:         0
        .size:           136
        .value_kind:     by_value
    .group_segment_fixed_size: 10752
    .kernarg_segment_align: 8
    .kernarg_segment_size: 136
    .language:       OpenCL C
    .language_version:
      - 2
      - 0
    .max_flat_workgroup_size: 64
    .name:           _ZN7rocprim17ROCPRIM_400000_NS6detail17trampoline_kernelINS0_14default_configENS1_27scan_by_key_config_selectorIixEEZZNS1_16scan_by_key_implILNS1_25lookback_scan_determinismE0ELb1ES3_N6thrust23THRUST_200600_302600_NS6detail15normal_iteratorINS9_10device_ptrIiEEEENSB_INSC_IxEEEESG_xNS9_4plusIvEENS9_8equal_toIvEExEE10hipError_tPvRmT2_T3_T4_T5_mT6_T7_P12ihipStream_tbENKUlT_T0_E_clISt17integral_constantIbLb1EES10_IbLb0EEEEDaSW_SX_EUlSW_E_NS1_11comp_targetILNS1_3genE4ELNS1_11target_archE910ELNS1_3gpuE8ELNS1_3repE0EEENS1_30default_config_static_selectorELNS0_4arch9wavefront6targetE1EEEvT1_
    .private_segment_fixed_size: 0
    .sgpr_count:     81
    .sgpr_spill_count: 0
    .symbol:         _ZN7rocprim17ROCPRIM_400000_NS6detail17trampoline_kernelINS0_14default_configENS1_27scan_by_key_config_selectorIixEEZZNS1_16scan_by_key_implILNS1_25lookback_scan_determinismE0ELb1ES3_N6thrust23THRUST_200600_302600_NS6detail15normal_iteratorINS9_10device_ptrIiEEEENSB_INSC_IxEEEESG_xNS9_4plusIvEENS9_8equal_toIvEExEE10hipError_tPvRmT2_T3_T4_T5_mT6_T7_P12ihipStream_tbENKUlT_T0_E_clISt17integral_constantIbLb1EES10_IbLb0EEEEDaSW_SX_EUlSW_E_NS1_11comp_targetILNS1_3genE4ELNS1_11target_archE910ELNS1_3gpuE8ELNS1_3repE0EEENS1_30default_config_static_selectorELNS0_4arch9wavefront6targetE1EEEvT1_.kd
    .uniform_work_group_size: 1
    .uses_dynamic_stack: false
    .vgpr_count:     128
    .vgpr_spill_count: 0
    .wavefront_size: 64
  - .agpr_count:     0
    .args:
      - .offset:         0
        .size:           136
        .value_kind:     by_value
    .group_segment_fixed_size: 0
    .kernarg_segment_align: 8
    .kernarg_segment_size: 136
    .language:       OpenCL C
    .language_version:
      - 2
      - 0
    .max_flat_workgroup_size: 128
    .name:           _ZN7rocprim17ROCPRIM_400000_NS6detail17trampoline_kernelINS0_14default_configENS1_27scan_by_key_config_selectorIixEEZZNS1_16scan_by_key_implILNS1_25lookback_scan_determinismE0ELb1ES3_N6thrust23THRUST_200600_302600_NS6detail15normal_iteratorINS9_10device_ptrIiEEEENSB_INSC_IxEEEESG_xNS9_4plusIvEENS9_8equal_toIvEExEE10hipError_tPvRmT2_T3_T4_T5_mT6_T7_P12ihipStream_tbENKUlT_T0_E_clISt17integral_constantIbLb1EES10_IbLb0EEEEDaSW_SX_EUlSW_E_NS1_11comp_targetILNS1_3genE3ELNS1_11target_archE908ELNS1_3gpuE7ELNS1_3repE0EEENS1_30default_config_static_selectorELNS0_4arch9wavefront6targetE1EEEvT1_
    .private_segment_fixed_size: 0
    .sgpr_count:     4
    .sgpr_spill_count: 0
    .symbol:         _ZN7rocprim17ROCPRIM_400000_NS6detail17trampoline_kernelINS0_14default_configENS1_27scan_by_key_config_selectorIixEEZZNS1_16scan_by_key_implILNS1_25lookback_scan_determinismE0ELb1ES3_N6thrust23THRUST_200600_302600_NS6detail15normal_iteratorINS9_10device_ptrIiEEEENSB_INSC_IxEEEESG_xNS9_4plusIvEENS9_8equal_toIvEExEE10hipError_tPvRmT2_T3_T4_T5_mT6_T7_P12ihipStream_tbENKUlT_T0_E_clISt17integral_constantIbLb1EES10_IbLb0EEEEDaSW_SX_EUlSW_E_NS1_11comp_targetILNS1_3genE3ELNS1_11target_archE908ELNS1_3gpuE7ELNS1_3repE0EEENS1_30default_config_static_selectorELNS0_4arch9wavefront6targetE1EEEvT1_.kd
    .uniform_work_group_size: 1
    .uses_dynamic_stack: false
    .vgpr_count:     0
    .vgpr_spill_count: 0
    .wavefront_size: 64
  - .agpr_count:     0
    .args:
      - .offset:         0
        .size:           136
        .value_kind:     by_value
    .group_segment_fixed_size: 0
    .kernarg_segment_align: 8
    .kernarg_segment_size: 136
    .language:       OpenCL C
    .language_version:
      - 2
      - 0
    .max_flat_workgroup_size: 64
    .name:           _ZN7rocprim17ROCPRIM_400000_NS6detail17trampoline_kernelINS0_14default_configENS1_27scan_by_key_config_selectorIixEEZZNS1_16scan_by_key_implILNS1_25lookback_scan_determinismE0ELb1ES3_N6thrust23THRUST_200600_302600_NS6detail15normal_iteratorINS9_10device_ptrIiEEEENSB_INSC_IxEEEESG_xNS9_4plusIvEENS9_8equal_toIvEExEE10hipError_tPvRmT2_T3_T4_T5_mT6_T7_P12ihipStream_tbENKUlT_T0_E_clISt17integral_constantIbLb1EES10_IbLb0EEEEDaSW_SX_EUlSW_E_NS1_11comp_targetILNS1_3genE2ELNS1_11target_archE906ELNS1_3gpuE6ELNS1_3repE0EEENS1_30default_config_static_selectorELNS0_4arch9wavefront6targetE1EEEvT1_
    .private_segment_fixed_size: 0
    .sgpr_count:     4
    .sgpr_spill_count: 0
    .symbol:         _ZN7rocprim17ROCPRIM_400000_NS6detail17trampoline_kernelINS0_14default_configENS1_27scan_by_key_config_selectorIixEEZZNS1_16scan_by_key_implILNS1_25lookback_scan_determinismE0ELb1ES3_N6thrust23THRUST_200600_302600_NS6detail15normal_iteratorINS9_10device_ptrIiEEEENSB_INSC_IxEEEESG_xNS9_4plusIvEENS9_8equal_toIvEExEE10hipError_tPvRmT2_T3_T4_T5_mT6_T7_P12ihipStream_tbENKUlT_T0_E_clISt17integral_constantIbLb1EES10_IbLb0EEEEDaSW_SX_EUlSW_E_NS1_11comp_targetILNS1_3genE2ELNS1_11target_archE906ELNS1_3gpuE6ELNS1_3repE0EEENS1_30default_config_static_selectorELNS0_4arch9wavefront6targetE1EEEvT1_.kd
    .uniform_work_group_size: 1
    .uses_dynamic_stack: false
    .vgpr_count:     0
    .vgpr_spill_count: 0
    .wavefront_size: 64
  - .agpr_count:     0
    .args:
      - .offset:         0
        .size:           136
        .value_kind:     by_value
    .group_segment_fixed_size: 0
    .kernarg_segment_align: 8
    .kernarg_segment_size: 136
    .language:       OpenCL C
    .language_version:
      - 2
      - 0
    .max_flat_workgroup_size: 256
    .name:           _ZN7rocprim17ROCPRIM_400000_NS6detail17trampoline_kernelINS0_14default_configENS1_27scan_by_key_config_selectorIixEEZZNS1_16scan_by_key_implILNS1_25lookback_scan_determinismE0ELb1ES3_N6thrust23THRUST_200600_302600_NS6detail15normal_iteratorINS9_10device_ptrIiEEEENSB_INSC_IxEEEESG_xNS9_4plusIvEENS9_8equal_toIvEExEE10hipError_tPvRmT2_T3_T4_T5_mT6_T7_P12ihipStream_tbENKUlT_T0_E_clISt17integral_constantIbLb1EES10_IbLb0EEEEDaSW_SX_EUlSW_E_NS1_11comp_targetILNS1_3genE10ELNS1_11target_archE1200ELNS1_3gpuE4ELNS1_3repE0EEENS1_30default_config_static_selectorELNS0_4arch9wavefront6targetE1EEEvT1_
    .private_segment_fixed_size: 0
    .sgpr_count:     4
    .sgpr_spill_count: 0
    .symbol:         _ZN7rocprim17ROCPRIM_400000_NS6detail17trampoline_kernelINS0_14default_configENS1_27scan_by_key_config_selectorIixEEZZNS1_16scan_by_key_implILNS1_25lookback_scan_determinismE0ELb1ES3_N6thrust23THRUST_200600_302600_NS6detail15normal_iteratorINS9_10device_ptrIiEEEENSB_INSC_IxEEEESG_xNS9_4plusIvEENS9_8equal_toIvEExEE10hipError_tPvRmT2_T3_T4_T5_mT6_T7_P12ihipStream_tbENKUlT_T0_E_clISt17integral_constantIbLb1EES10_IbLb0EEEEDaSW_SX_EUlSW_E_NS1_11comp_targetILNS1_3genE10ELNS1_11target_archE1200ELNS1_3gpuE4ELNS1_3repE0EEENS1_30default_config_static_selectorELNS0_4arch9wavefront6targetE1EEEvT1_.kd
    .uniform_work_group_size: 1
    .uses_dynamic_stack: false
    .vgpr_count:     0
    .vgpr_spill_count: 0
    .wavefront_size: 64
  - .agpr_count:     0
    .args:
      - .offset:         0
        .size:           136
        .value_kind:     by_value
    .group_segment_fixed_size: 0
    .kernarg_segment_align: 8
    .kernarg_segment_size: 136
    .language:       OpenCL C
    .language_version:
      - 2
      - 0
    .max_flat_workgroup_size: 256
    .name:           _ZN7rocprim17ROCPRIM_400000_NS6detail17trampoline_kernelINS0_14default_configENS1_27scan_by_key_config_selectorIixEEZZNS1_16scan_by_key_implILNS1_25lookback_scan_determinismE0ELb1ES3_N6thrust23THRUST_200600_302600_NS6detail15normal_iteratorINS9_10device_ptrIiEEEENSB_INSC_IxEEEESG_xNS9_4plusIvEENS9_8equal_toIvEExEE10hipError_tPvRmT2_T3_T4_T5_mT6_T7_P12ihipStream_tbENKUlT_T0_E_clISt17integral_constantIbLb1EES10_IbLb0EEEEDaSW_SX_EUlSW_E_NS1_11comp_targetILNS1_3genE9ELNS1_11target_archE1100ELNS1_3gpuE3ELNS1_3repE0EEENS1_30default_config_static_selectorELNS0_4arch9wavefront6targetE1EEEvT1_
    .private_segment_fixed_size: 0
    .sgpr_count:     4
    .sgpr_spill_count: 0
    .symbol:         _ZN7rocprim17ROCPRIM_400000_NS6detail17trampoline_kernelINS0_14default_configENS1_27scan_by_key_config_selectorIixEEZZNS1_16scan_by_key_implILNS1_25lookback_scan_determinismE0ELb1ES3_N6thrust23THRUST_200600_302600_NS6detail15normal_iteratorINS9_10device_ptrIiEEEENSB_INSC_IxEEEESG_xNS9_4plusIvEENS9_8equal_toIvEExEE10hipError_tPvRmT2_T3_T4_T5_mT6_T7_P12ihipStream_tbENKUlT_T0_E_clISt17integral_constantIbLb1EES10_IbLb0EEEEDaSW_SX_EUlSW_E_NS1_11comp_targetILNS1_3genE9ELNS1_11target_archE1100ELNS1_3gpuE3ELNS1_3repE0EEENS1_30default_config_static_selectorELNS0_4arch9wavefront6targetE1EEEvT1_.kd
    .uniform_work_group_size: 1
    .uses_dynamic_stack: false
    .vgpr_count:     0
    .vgpr_spill_count: 0
    .wavefront_size: 64
  - .agpr_count:     0
    .args:
      - .offset:         0
        .size:           136
        .value_kind:     by_value
    .group_segment_fixed_size: 0
    .kernarg_segment_align: 8
    .kernarg_segment_size: 136
    .language:       OpenCL C
    .language_version:
      - 2
      - 0
    .max_flat_workgroup_size: 256
    .name:           _ZN7rocprim17ROCPRIM_400000_NS6detail17trampoline_kernelINS0_14default_configENS1_27scan_by_key_config_selectorIixEEZZNS1_16scan_by_key_implILNS1_25lookback_scan_determinismE0ELb1ES3_N6thrust23THRUST_200600_302600_NS6detail15normal_iteratorINS9_10device_ptrIiEEEENSB_INSC_IxEEEESG_xNS9_4plusIvEENS9_8equal_toIvEExEE10hipError_tPvRmT2_T3_T4_T5_mT6_T7_P12ihipStream_tbENKUlT_T0_E_clISt17integral_constantIbLb1EES10_IbLb0EEEEDaSW_SX_EUlSW_E_NS1_11comp_targetILNS1_3genE8ELNS1_11target_archE1030ELNS1_3gpuE2ELNS1_3repE0EEENS1_30default_config_static_selectorELNS0_4arch9wavefront6targetE1EEEvT1_
    .private_segment_fixed_size: 0
    .sgpr_count:     4
    .sgpr_spill_count: 0
    .symbol:         _ZN7rocprim17ROCPRIM_400000_NS6detail17trampoline_kernelINS0_14default_configENS1_27scan_by_key_config_selectorIixEEZZNS1_16scan_by_key_implILNS1_25lookback_scan_determinismE0ELb1ES3_N6thrust23THRUST_200600_302600_NS6detail15normal_iteratorINS9_10device_ptrIiEEEENSB_INSC_IxEEEESG_xNS9_4plusIvEENS9_8equal_toIvEExEE10hipError_tPvRmT2_T3_T4_T5_mT6_T7_P12ihipStream_tbENKUlT_T0_E_clISt17integral_constantIbLb1EES10_IbLb0EEEEDaSW_SX_EUlSW_E_NS1_11comp_targetILNS1_3genE8ELNS1_11target_archE1030ELNS1_3gpuE2ELNS1_3repE0EEENS1_30default_config_static_selectorELNS0_4arch9wavefront6targetE1EEEvT1_.kd
    .uniform_work_group_size: 1
    .uses_dynamic_stack: false
    .vgpr_count:     0
    .vgpr_spill_count: 0
    .wavefront_size: 64
  - .agpr_count:     0
    .args:
      - .offset:         0
        .size:           136
        .value_kind:     by_value
    .group_segment_fixed_size: 0
    .kernarg_segment_align: 8
    .kernarg_segment_size: 136
    .language:       OpenCL C
    .language_version:
      - 2
      - 0
    .max_flat_workgroup_size: 128
    .name:           _ZN7rocprim17ROCPRIM_400000_NS6detail17trampoline_kernelINS0_14default_configENS1_27scan_by_key_config_selectorIixEEZZNS1_16scan_by_key_implILNS1_25lookback_scan_determinismE0ELb1ES3_N6thrust23THRUST_200600_302600_NS6detail15normal_iteratorINS9_10device_ptrIiEEEENSB_INSC_IxEEEESG_xNS9_4plusIvEENS9_8equal_toIvEExEE10hipError_tPvRmT2_T3_T4_T5_mT6_T7_P12ihipStream_tbENKUlT_T0_E_clISt17integral_constantIbLb0EES10_IbLb1EEEEDaSW_SX_EUlSW_E_NS1_11comp_targetILNS1_3genE0ELNS1_11target_archE4294967295ELNS1_3gpuE0ELNS1_3repE0EEENS1_30default_config_static_selectorELNS0_4arch9wavefront6targetE1EEEvT1_
    .private_segment_fixed_size: 0
    .sgpr_count:     4
    .sgpr_spill_count: 0
    .symbol:         _ZN7rocprim17ROCPRIM_400000_NS6detail17trampoline_kernelINS0_14default_configENS1_27scan_by_key_config_selectorIixEEZZNS1_16scan_by_key_implILNS1_25lookback_scan_determinismE0ELb1ES3_N6thrust23THRUST_200600_302600_NS6detail15normal_iteratorINS9_10device_ptrIiEEEENSB_INSC_IxEEEESG_xNS9_4plusIvEENS9_8equal_toIvEExEE10hipError_tPvRmT2_T3_T4_T5_mT6_T7_P12ihipStream_tbENKUlT_T0_E_clISt17integral_constantIbLb0EES10_IbLb1EEEEDaSW_SX_EUlSW_E_NS1_11comp_targetILNS1_3genE0ELNS1_11target_archE4294967295ELNS1_3gpuE0ELNS1_3repE0EEENS1_30default_config_static_selectorELNS0_4arch9wavefront6targetE1EEEvT1_.kd
    .uniform_work_group_size: 1
    .uses_dynamic_stack: false
    .vgpr_count:     0
    .vgpr_spill_count: 0
    .wavefront_size: 64
  - .agpr_count:     0
    .args:
      - .offset:         0
        .size:           136
        .value_kind:     by_value
    .group_segment_fixed_size: 0
    .kernarg_segment_align: 8
    .kernarg_segment_size: 136
    .language:       OpenCL C
    .language_version:
      - 2
      - 0
    .max_flat_workgroup_size: 256
    .name:           _ZN7rocprim17ROCPRIM_400000_NS6detail17trampoline_kernelINS0_14default_configENS1_27scan_by_key_config_selectorIixEEZZNS1_16scan_by_key_implILNS1_25lookback_scan_determinismE0ELb1ES3_N6thrust23THRUST_200600_302600_NS6detail15normal_iteratorINS9_10device_ptrIiEEEENSB_INSC_IxEEEESG_xNS9_4plusIvEENS9_8equal_toIvEExEE10hipError_tPvRmT2_T3_T4_T5_mT6_T7_P12ihipStream_tbENKUlT_T0_E_clISt17integral_constantIbLb0EES10_IbLb1EEEEDaSW_SX_EUlSW_E_NS1_11comp_targetILNS1_3genE10ELNS1_11target_archE1201ELNS1_3gpuE5ELNS1_3repE0EEENS1_30default_config_static_selectorELNS0_4arch9wavefront6targetE1EEEvT1_
    .private_segment_fixed_size: 0
    .sgpr_count:     4
    .sgpr_spill_count: 0
    .symbol:         _ZN7rocprim17ROCPRIM_400000_NS6detail17trampoline_kernelINS0_14default_configENS1_27scan_by_key_config_selectorIixEEZZNS1_16scan_by_key_implILNS1_25lookback_scan_determinismE0ELb1ES3_N6thrust23THRUST_200600_302600_NS6detail15normal_iteratorINS9_10device_ptrIiEEEENSB_INSC_IxEEEESG_xNS9_4plusIvEENS9_8equal_toIvEExEE10hipError_tPvRmT2_T3_T4_T5_mT6_T7_P12ihipStream_tbENKUlT_T0_E_clISt17integral_constantIbLb0EES10_IbLb1EEEEDaSW_SX_EUlSW_E_NS1_11comp_targetILNS1_3genE10ELNS1_11target_archE1201ELNS1_3gpuE5ELNS1_3repE0EEENS1_30default_config_static_selectorELNS0_4arch9wavefront6targetE1EEEvT1_.kd
    .uniform_work_group_size: 1
    .uses_dynamic_stack: false
    .vgpr_count:     0
    .vgpr_spill_count: 0
    .wavefront_size: 64
  - .agpr_count:     0
    .args:
      - .offset:         0
        .size:           136
        .value_kind:     by_value
    .group_segment_fixed_size: 0
    .kernarg_segment_align: 8
    .kernarg_segment_size: 136
    .language:       OpenCL C
    .language_version:
      - 2
      - 0
    .max_flat_workgroup_size: 256
    .name:           _ZN7rocprim17ROCPRIM_400000_NS6detail17trampoline_kernelINS0_14default_configENS1_27scan_by_key_config_selectorIixEEZZNS1_16scan_by_key_implILNS1_25lookback_scan_determinismE0ELb1ES3_N6thrust23THRUST_200600_302600_NS6detail15normal_iteratorINS9_10device_ptrIiEEEENSB_INSC_IxEEEESG_xNS9_4plusIvEENS9_8equal_toIvEExEE10hipError_tPvRmT2_T3_T4_T5_mT6_T7_P12ihipStream_tbENKUlT_T0_E_clISt17integral_constantIbLb0EES10_IbLb1EEEEDaSW_SX_EUlSW_E_NS1_11comp_targetILNS1_3genE5ELNS1_11target_archE942ELNS1_3gpuE9ELNS1_3repE0EEENS1_30default_config_static_selectorELNS0_4arch9wavefront6targetE1EEEvT1_
    .private_segment_fixed_size: 0
    .sgpr_count:     4
    .sgpr_spill_count: 0
    .symbol:         _ZN7rocprim17ROCPRIM_400000_NS6detail17trampoline_kernelINS0_14default_configENS1_27scan_by_key_config_selectorIixEEZZNS1_16scan_by_key_implILNS1_25lookback_scan_determinismE0ELb1ES3_N6thrust23THRUST_200600_302600_NS6detail15normal_iteratorINS9_10device_ptrIiEEEENSB_INSC_IxEEEESG_xNS9_4plusIvEENS9_8equal_toIvEExEE10hipError_tPvRmT2_T3_T4_T5_mT6_T7_P12ihipStream_tbENKUlT_T0_E_clISt17integral_constantIbLb0EES10_IbLb1EEEEDaSW_SX_EUlSW_E_NS1_11comp_targetILNS1_3genE5ELNS1_11target_archE942ELNS1_3gpuE9ELNS1_3repE0EEENS1_30default_config_static_selectorELNS0_4arch9wavefront6targetE1EEEvT1_.kd
    .uniform_work_group_size: 1
    .uses_dynamic_stack: false
    .vgpr_count:     0
    .vgpr_spill_count: 0
    .wavefront_size: 64
  - .agpr_count:     0
    .args:
      - .offset:         0
        .size:           136
        .value_kind:     by_value
    .group_segment_fixed_size: 10752
    .kernarg_segment_align: 8
    .kernarg_segment_size: 136
    .language:       OpenCL C
    .language_version:
      - 2
      - 0
    .max_flat_workgroup_size: 64
    .name:           _ZN7rocprim17ROCPRIM_400000_NS6detail17trampoline_kernelINS0_14default_configENS1_27scan_by_key_config_selectorIixEEZZNS1_16scan_by_key_implILNS1_25lookback_scan_determinismE0ELb1ES3_N6thrust23THRUST_200600_302600_NS6detail15normal_iteratorINS9_10device_ptrIiEEEENSB_INSC_IxEEEESG_xNS9_4plusIvEENS9_8equal_toIvEExEE10hipError_tPvRmT2_T3_T4_T5_mT6_T7_P12ihipStream_tbENKUlT_T0_E_clISt17integral_constantIbLb0EES10_IbLb1EEEEDaSW_SX_EUlSW_E_NS1_11comp_targetILNS1_3genE4ELNS1_11target_archE910ELNS1_3gpuE8ELNS1_3repE0EEENS1_30default_config_static_selectorELNS0_4arch9wavefront6targetE1EEEvT1_
    .private_segment_fixed_size: 0
    .sgpr_count:     77
    .sgpr_spill_count: 0
    .symbol:         _ZN7rocprim17ROCPRIM_400000_NS6detail17trampoline_kernelINS0_14default_configENS1_27scan_by_key_config_selectorIixEEZZNS1_16scan_by_key_implILNS1_25lookback_scan_determinismE0ELb1ES3_N6thrust23THRUST_200600_302600_NS6detail15normal_iteratorINS9_10device_ptrIiEEEENSB_INSC_IxEEEESG_xNS9_4plusIvEENS9_8equal_toIvEExEE10hipError_tPvRmT2_T3_T4_T5_mT6_T7_P12ihipStream_tbENKUlT_T0_E_clISt17integral_constantIbLb0EES10_IbLb1EEEEDaSW_SX_EUlSW_E_NS1_11comp_targetILNS1_3genE4ELNS1_11target_archE910ELNS1_3gpuE8ELNS1_3repE0EEENS1_30default_config_static_selectorELNS0_4arch9wavefront6targetE1EEEvT1_.kd
    .uniform_work_group_size: 1
    .uses_dynamic_stack: false
    .vgpr_count:     130
    .vgpr_spill_count: 0
    .wavefront_size: 64
  - .agpr_count:     0
    .args:
      - .offset:         0
        .size:           136
        .value_kind:     by_value
    .group_segment_fixed_size: 0
    .kernarg_segment_align: 8
    .kernarg_segment_size: 136
    .language:       OpenCL C
    .language_version:
      - 2
      - 0
    .max_flat_workgroup_size: 128
    .name:           _ZN7rocprim17ROCPRIM_400000_NS6detail17trampoline_kernelINS0_14default_configENS1_27scan_by_key_config_selectorIixEEZZNS1_16scan_by_key_implILNS1_25lookback_scan_determinismE0ELb1ES3_N6thrust23THRUST_200600_302600_NS6detail15normal_iteratorINS9_10device_ptrIiEEEENSB_INSC_IxEEEESG_xNS9_4plusIvEENS9_8equal_toIvEExEE10hipError_tPvRmT2_T3_T4_T5_mT6_T7_P12ihipStream_tbENKUlT_T0_E_clISt17integral_constantIbLb0EES10_IbLb1EEEEDaSW_SX_EUlSW_E_NS1_11comp_targetILNS1_3genE3ELNS1_11target_archE908ELNS1_3gpuE7ELNS1_3repE0EEENS1_30default_config_static_selectorELNS0_4arch9wavefront6targetE1EEEvT1_
    .private_segment_fixed_size: 0
    .sgpr_count:     4
    .sgpr_spill_count: 0
    .symbol:         _ZN7rocprim17ROCPRIM_400000_NS6detail17trampoline_kernelINS0_14default_configENS1_27scan_by_key_config_selectorIixEEZZNS1_16scan_by_key_implILNS1_25lookback_scan_determinismE0ELb1ES3_N6thrust23THRUST_200600_302600_NS6detail15normal_iteratorINS9_10device_ptrIiEEEENSB_INSC_IxEEEESG_xNS9_4plusIvEENS9_8equal_toIvEExEE10hipError_tPvRmT2_T3_T4_T5_mT6_T7_P12ihipStream_tbENKUlT_T0_E_clISt17integral_constantIbLb0EES10_IbLb1EEEEDaSW_SX_EUlSW_E_NS1_11comp_targetILNS1_3genE3ELNS1_11target_archE908ELNS1_3gpuE7ELNS1_3repE0EEENS1_30default_config_static_selectorELNS0_4arch9wavefront6targetE1EEEvT1_.kd
    .uniform_work_group_size: 1
    .uses_dynamic_stack: false
    .vgpr_count:     0
    .vgpr_spill_count: 0
    .wavefront_size: 64
  - .agpr_count:     0
    .args:
      - .offset:         0
        .size:           136
        .value_kind:     by_value
    .group_segment_fixed_size: 0
    .kernarg_segment_align: 8
    .kernarg_segment_size: 136
    .language:       OpenCL C
    .language_version:
      - 2
      - 0
    .max_flat_workgroup_size: 64
    .name:           _ZN7rocprim17ROCPRIM_400000_NS6detail17trampoline_kernelINS0_14default_configENS1_27scan_by_key_config_selectorIixEEZZNS1_16scan_by_key_implILNS1_25lookback_scan_determinismE0ELb1ES3_N6thrust23THRUST_200600_302600_NS6detail15normal_iteratorINS9_10device_ptrIiEEEENSB_INSC_IxEEEESG_xNS9_4plusIvEENS9_8equal_toIvEExEE10hipError_tPvRmT2_T3_T4_T5_mT6_T7_P12ihipStream_tbENKUlT_T0_E_clISt17integral_constantIbLb0EES10_IbLb1EEEEDaSW_SX_EUlSW_E_NS1_11comp_targetILNS1_3genE2ELNS1_11target_archE906ELNS1_3gpuE6ELNS1_3repE0EEENS1_30default_config_static_selectorELNS0_4arch9wavefront6targetE1EEEvT1_
    .private_segment_fixed_size: 0
    .sgpr_count:     4
    .sgpr_spill_count: 0
    .symbol:         _ZN7rocprim17ROCPRIM_400000_NS6detail17trampoline_kernelINS0_14default_configENS1_27scan_by_key_config_selectorIixEEZZNS1_16scan_by_key_implILNS1_25lookback_scan_determinismE0ELb1ES3_N6thrust23THRUST_200600_302600_NS6detail15normal_iteratorINS9_10device_ptrIiEEEENSB_INSC_IxEEEESG_xNS9_4plusIvEENS9_8equal_toIvEExEE10hipError_tPvRmT2_T3_T4_T5_mT6_T7_P12ihipStream_tbENKUlT_T0_E_clISt17integral_constantIbLb0EES10_IbLb1EEEEDaSW_SX_EUlSW_E_NS1_11comp_targetILNS1_3genE2ELNS1_11target_archE906ELNS1_3gpuE6ELNS1_3repE0EEENS1_30default_config_static_selectorELNS0_4arch9wavefront6targetE1EEEvT1_.kd
    .uniform_work_group_size: 1
    .uses_dynamic_stack: false
    .vgpr_count:     0
    .vgpr_spill_count: 0
    .wavefront_size: 64
  - .agpr_count:     0
    .args:
      - .offset:         0
        .size:           136
        .value_kind:     by_value
    .group_segment_fixed_size: 0
    .kernarg_segment_align: 8
    .kernarg_segment_size: 136
    .language:       OpenCL C
    .language_version:
      - 2
      - 0
    .max_flat_workgroup_size: 256
    .name:           _ZN7rocprim17ROCPRIM_400000_NS6detail17trampoline_kernelINS0_14default_configENS1_27scan_by_key_config_selectorIixEEZZNS1_16scan_by_key_implILNS1_25lookback_scan_determinismE0ELb1ES3_N6thrust23THRUST_200600_302600_NS6detail15normal_iteratorINS9_10device_ptrIiEEEENSB_INSC_IxEEEESG_xNS9_4plusIvEENS9_8equal_toIvEExEE10hipError_tPvRmT2_T3_T4_T5_mT6_T7_P12ihipStream_tbENKUlT_T0_E_clISt17integral_constantIbLb0EES10_IbLb1EEEEDaSW_SX_EUlSW_E_NS1_11comp_targetILNS1_3genE10ELNS1_11target_archE1200ELNS1_3gpuE4ELNS1_3repE0EEENS1_30default_config_static_selectorELNS0_4arch9wavefront6targetE1EEEvT1_
    .private_segment_fixed_size: 0
    .sgpr_count:     4
    .sgpr_spill_count: 0
    .symbol:         _ZN7rocprim17ROCPRIM_400000_NS6detail17trampoline_kernelINS0_14default_configENS1_27scan_by_key_config_selectorIixEEZZNS1_16scan_by_key_implILNS1_25lookback_scan_determinismE0ELb1ES3_N6thrust23THRUST_200600_302600_NS6detail15normal_iteratorINS9_10device_ptrIiEEEENSB_INSC_IxEEEESG_xNS9_4plusIvEENS9_8equal_toIvEExEE10hipError_tPvRmT2_T3_T4_T5_mT6_T7_P12ihipStream_tbENKUlT_T0_E_clISt17integral_constantIbLb0EES10_IbLb1EEEEDaSW_SX_EUlSW_E_NS1_11comp_targetILNS1_3genE10ELNS1_11target_archE1200ELNS1_3gpuE4ELNS1_3repE0EEENS1_30default_config_static_selectorELNS0_4arch9wavefront6targetE1EEEvT1_.kd
    .uniform_work_group_size: 1
    .uses_dynamic_stack: false
    .vgpr_count:     0
    .vgpr_spill_count: 0
    .wavefront_size: 64
  - .agpr_count:     0
    .args:
      - .offset:         0
        .size:           136
        .value_kind:     by_value
    .group_segment_fixed_size: 0
    .kernarg_segment_align: 8
    .kernarg_segment_size: 136
    .language:       OpenCL C
    .language_version:
      - 2
      - 0
    .max_flat_workgroup_size: 256
    .name:           _ZN7rocprim17ROCPRIM_400000_NS6detail17trampoline_kernelINS0_14default_configENS1_27scan_by_key_config_selectorIixEEZZNS1_16scan_by_key_implILNS1_25lookback_scan_determinismE0ELb1ES3_N6thrust23THRUST_200600_302600_NS6detail15normal_iteratorINS9_10device_ptrIiEEEENSB_INSC_IxEEEESG_xNS9_4plusIvEENS9_8equal_toIvEExEE10hipError_tPvRmT2_T3_T4_T5_mT6_T7_P12ihipStream_tbENKUlT_T0_E_clISt17integral_constantIbLb0EES10_IbLb1EEEEDaSW_SX_EUlSW_E_NS1_11comp_targetILNS1_3genE9ELNS1_11target_archE1100ELNS1_3gpuE3ELNS1_3repE0EEENS1_30default_config_static_selectorELNS0_4arch9wavefront6targetE1EEEvT1_
    .private_segment_fixed_size: 0
    .sgpr_count:     4
    .sgpr_spill_count: 0
    .symbol:         _ZN7rocprim17ROCPRIM_400000_NS6detail17trampoline_kernelINS0_14default_configENS1_27scan_by_key_config_selectorIixEEZZNS1_16scan_by_key_implILNS1_25lookback_scan_determinismE0ELb1ES3_N6thrust23THRUST_200600_302600_NS6detail15normal_iteratorINS9_10device_ptrIiEEEENSB_INSC_IxEEEESG_xNS9_4plusIvEENS9_8equal_toIvEExEE10hipError_tPvRmT2_T3_T4_T5_mT6_T7_P12ihipStream_tbENKUlT_T0_E_clISt17integral_constantIbLb0EES10_IbLb1EEEEDaSW_SX_EUlSW_E_NS1_11comp_targetILNS1_3genE9ELNS1_11target_archE1100ELNS1_3gpuE3ELNS1_3repE0EEENS1_30default_config_static_selectorELNS0_4arch9wavefront6targetE1EEEvT1_.kd
    .uniform_work_group_size: 1
    .uses_dynamic_stack: false
    .vgpr_count:     0
    .vgpr_spill_count: 0
    .wavefront_size: 64
  - .agpr_count:     0
    .args:
      - .offset:         0
        .size:           136
        .value_kind:     by_value
    .group_segment_fixed_size: 0
    .kernarg_segment_align: 8
    .kernarg_segment_size: 136
    .language:       OpenCL C
    .language_version:
      - 2
      - 0
    .max_flat_workgroup_size: 256
    .name:           _ZN7rocprim17ROCPRIM_400000_NS6detail17trampoline_kernelINS0_14default_configENS1_27scan_by_key_config_selectorIixEEZZNS1_16scan_by_key_implILNS1_25lookback_scan_determinismE0ELb1ES3_N6thrust23THRUST_200600_302600_NS6detail15normal_iteratorINS9_10device_ptrIiEEEENSB_INSC_IxEEEESG_xNS9_4plusIvEENS9_8equal_toIvEExEE10hipError_tPvRmT2_T3_T4_T5_mT6_T7_P12ihipStream_tbENKUlT_T0_E_clISt17integral_constantIbLb0EES10_IbLb1EEEEDaSW_SX_EUlSW_E_NS1_11comp_targetILNS1_3genE8ELNS1_11target_archE1030ELNS1_3gpuE2ELNS1_3repE0EEENS1_30default_config_static_selectorELNS0_4arch9wavefront6targetE1EEEvT1_
    .private_segment_fixed_size: 0
    .sgpr_count:     4
    .sgpr_spill_count: 0
    .symbol:         _ZN7rocprim17ROCPRIM_400000_NS6detail17trampoline_kernelINS0_14default_configENS1_27scan_by_key_config_selectorIixEEZZNS1_16scan_by_key_implILNS1_25lookback_scan_determinismE0ELb1ES3_N6thrust23THRUST_200600_302600_NS6detail15normal_iteratorINS9_10device_ptrIiEEEENSB_INSC_IxEEEESG_xNS9_4plusIvEENS9_8equal_toIvEExEE10hipError_tPvRmT2_T3_T4_T5_mT6_T7_P12ihipStream_tbENKUlT_T0_E_clISt17integral_constantIbLb0EES10_IbLb1EEEEDaSW_SX_EUlSW_E_NS1_11comp_targetILNS1_3genE8ELNS1_11target_archE1030ELNS1_3gpuE2ELNS1_3repE0EEENS1_30default_config_static_selectorELNS0_4arch9wavefront6targetE1EEEvT1_.kd
    .uniform_work_group_size: 1
    .uses_dynamic_stack: false
    .vgpr_count:     0
    .vgpr_spill_count: 0
    .wavefront_size: 64
  - .agpr_count:     0
    .args:
      - .offset:         0
        .size:           112
        .value_kind:     by_value
    .group_segment_fixed_size: 0
    .kernarg_segment_align: 8
    .kernarg_segment_size: 112
    .language:       OpenCL C
    .language_version:
      - 2
      - 0
    .max_flat_workgroup_size: 256
    .name:           _ZN7rocprim17ROCPRIM_400000_NS6detail17trampoline_kernelINS0_14default_configENS1_27scan_by_key_config_selectorIisEEZZNS1_16scan_by_key_implILNS1_25lookback_scan_determinismE0ELb1ES3_N6thrust23THRUST_200600_302600_NS6detail15normal_iteratorINS9_10device_ptrIiEEEENSB_INSC_IsEEEESG_sNS9_4plusIvEENS9_8equal_toIvEEsEE10hipError_tPvRmT2_T3_T4_T5_mT6_T7_P12ihipStream_tbENKUlT_T0_E_clISt17integral_constantIbLb0EES11_EEDaSW_SX_EUlSW_E_NS1_11comp_targetILNS1_3genE0ELNS1_11target_archE4294967295ELNS1_3gpuE0ELNS1_3repE0EEENS1_30default_config_static_selectorELNS0_4arch9wavefront6targetE1EEEvT1_
    .private_segment_fixed_size: 0
    .sgpr_count:     4
    .sgpr_spill_count: 0
    .symbol:         _ZN7rocprim17ROCPRIM_400000_NS6detail17trampoline_kernelINS0_14default_configENS1_27scan_by_key_config_selectorIisEEZZNS1_16scan_by_key_implILNS1_25lookback_scan_determinismE0ELb1ES3_N6thrust23THRUST_200600_302600_NS6detail15normal_iteratorINS9_10device_ptrIiEEEENSB_INSC_IsEEEESG_sNS9_4plusIvEENS9_8equal_toIvEEsEE10hipError_tPvRmT2_T3_T4_T5_mT6_T7_P12ihipStream_tbENKUlT_T0_E_clISt17integral_constantIbLb0EES11_EEDaSW_SX_EUlSW_E_NS1_11comp_targetILNS1_3genE0ELNS1_11target_archE4294967295ELNS1_3gpuE0ELNS1_3repE0EEENS1_30default_config_static_selectorELNS0_4arch9wavefront6targetE1EEEvT1_.kd
    .uniform_work_group_size: 1
    .uses_dynamic_stack: false
    .vgpr_count:     0
    .vgpr_spill_count: 0
    .wavefront_size: 64
  - .agpr_count:     0
    .args:
      - .offset:         0
        .size:           112
        .value_kind:     by_value
    .group_segment_fixed_size: 0
    .kernarg_segment_align: 8
    .kernarg_segment_size: 112
    .language:       OpenCL C
    .language_version:
      - 2
      - 0
    .max_flat_workgroup_size: 256
    .name:           _ZN7rocprim17ROCPRIM_400000_NS6detail17trampoline_kernelINS0_14default_configENS1_27scan_by_key_config_selectorIisEEZZNS1_16scan_by_key_implILNS1_25lookback_scan_determinismE0ELb1ES3_N6thrust23THRUST_200600_302600_NS6detail15normal_iteratorINS9_10device_ptrIiEEEENSB_INSC_IsEEEESG_sNS9_4plusIvEENS9_8equal_toIvEEsEE10hipError_tPvRmT2_T3_T4_T5_mT6_T7_P12ihipStream_tbENKUlT_T0_E_clISt17integral_constantIbLb0EES11_EEDaSW_SX_EUlSW_E_NS1_11comp_targetILNS1_3genE10ELNS1_11target_archE1201ELNS1_3gpuE5ELNS1_3repE0EEENS1_30default_config_static_selectorELNS0_4arch9wavefront6targetE1EEEvT1_
    .private_segment_fixed_size: 0
    .sgpr_count:     4
    .sgpr_spill_count: 0
    .symbol:         _ZN7rocprim17ROCPRIM_400000_NS6detail17trampoline_kernelINS0_14default_configENS1_27scan_by_key_config_selectorIisEEZZNS1_16scan_by_key_implILNS1_25lookback_scan_determinismE0ELb1ES3_N6thrust23THRUST_200600_302600_NS6detail15normal_iteratorINS9_10device_ptrIiEEEENSB_INSC_IsEEEESG_sNS9_4plusIvEENS9_8equal_toIvEEsEE10hipError_tPvRmT2_T3_T4_T5_mT6_T7_P12ihipStream_tbENKUlT_T0_E_clISt17integral_constantIbLb0EES11_EEDaSW_SX_EUlSW_E_NS1_11comp_targetILNS1_3genE10ELNS1_11target_archE1201ELNS1_3gpuE5ELNS1_3repE0EEENS1_30default_config_static_selectorELNS0_4arch9wavefront6targetE1EEEvT1_.kd
    .uniform_work_group_size: 1
    .uses_dynamic_stack: false
    .vgpr_count:     0
    .vgpr_spill_count: 0
    .wavefront_size: 64
  - .agpr_count:     0
    .args:
      - .offset:         0
        .size:           112
        .value_kind:     by_value
    .group_segment_fixed_size: 0
    .kernarg_segment_align: 8
    .kernarg_segment_size: 112
    .language:       OpenCL C
    .language_version:
      - 2
      - 0
    .max_flat_workgroup_size: 256
    .name:           _ZN7rocprim17ROCPRIM_400000_NS6detail17trampoline_kernelINS0_14default_configENS1_27scan_by_key_config_selectorIisEEZZNS1_16scan_by_key_implILNS1_25lookback_scan_determinismE0ELb1ES3_N6thrust23THRUST_200600_302600_NS6detail15normal_iteratorINS9_10device_ptrIiEEEENSB_INSC_IsEEEESG_sNS9_4plusIvEENS9_8equal_toIvEEsEE10hipError_tPvRmT2_T3_T4_T5_mT6_T7_P12ihipStream_tbENKUlT_T0_E_clISt17integral_constantIbLb0EES11_EEDaSW_SX_EUlSW_E_NS1_11comp_targetILNS1_3genE5ELNS1_11target_archE942ELNS1_3gpuE9ELNS1_3repE0EEENS1_30default_config_static_selectorELNS0_4arch9wavefront6targetE1EEEvT1_
    .private_segment_fixed_size: 0
    .sgpr_count:     4
    .sgpr_spill_count: 0
    .symbol:         _ZN7rocprim17ROCPRIM_400000_NS6detail17trampoline_kernelINS0_14default_configENS1_27scan_by_key_config_selectorIisEEZZNS1_16scan_by_key_implILNS1_25lookback_scan_determinismE0ELb1ES3_N6thrust23THRUST_200600_302600_NS6detail15normal_iteratorINS9_10device_ptrIiEEEENSB_INSC_IsEEEESG_sNS9_4plusIvEENS9_8equal_toIvEEsEE10hipError_tPvRmT2_T3_T4_T5_mT6_T7_P12ihipStream_tbENKUlT_T0_E_clISt17integral_constantIbLb0EES11_EEDaSW_SX_EUlSW_E_NS1_11comp_targetILNS1_3genE5ELNS1_11target_archE942ELNS1_3gpuE9ELNS1_3repE0EEENS1_30default_config_static_selectorELNS0_4arch9wavefront6targetE1EEEvT1_.kd
    .uniform_work_group_size: 1
    .uses_dynamic_stack: false
    .vgpr_count:     0
    .vgpr_spill_count: 0
    .wavefront_size: 64
  - .agpr_count:     0
    .args:
      - .offset:         0
        .size:           112
        .value_kind:     by_value
    .group_segment_fixed_size: 6656
    .kernarg_segment_align: 8
    .kernarg_segment_size: 112
    .language:       OpenCL C
    .language_version:
      - 2
      - 0
    .max_flat_workgroup_size: 64
    .name:           _ZN7rocprim17ROCPRIM_400000_NS6detail17trampoline_kernelINS0_14default_configENS1_27scan_by_key_config_selectorIisEEZZNS1_16scan_by_key_implILNS1_25lookback_scan_determinismE0ELb1ES3_N6thrust23THRUST_200600_302600_NS6detail15normal_iteratorINS9_10device_ptrIiEEEENSB_INSC_IsEEEESG_sNS9_4plusIvEENS9_8equal_toIvEEsEE10hipError_tPvRmT2_T3_T4_T5_mT6_T7_P12ihipStream_tbENKUlT_T0_E_clISt17integral_constantIbLb0EES11_EEDaSW_SX_EUlSW_E_NS1_11comp_targetILNS1_3genE4ELNS1_11target_archE910ELNS1_3gpuE8ELNS1_3repE0EEENS1_30default_config_static_selectorELNS0_4arch9wavefront6targetE1EEEvT1_
    .private_segment_fixed_size: 0
    .sgpr_count:     92
    .sgpr_spill_count: 0
    .symbol:         _ZN7rocprim17ROCPRIM_400000_NS6detail17trampoline_kernelINS0_14default_configENS1_27scan_by_key_config_selectorIisEEZZNS1_16scan_by_key_implILNS1_25lookback_scan_determinismE0ELb1ES3_N6thrust23THRUST_200600_302600_NS6detail15normal_iteratorINS9_10device_ptrIiEEEENSB_INSC_IsEEEESG_sNS9_4plusIvEENS9_8equal_toIvEEsEE10hipError_tPvRmT2_T3_T4_T5_mT6_T7_P12ihipStream_tbENKUlT_T0_E_clISt17integral_constantIbLb0EES11_EEDaSW_SX_EUlSW_E_NS1_11comp_targetILNS1_3genE4ELNS1_11target_archE910ELNS1_3gpuE8ELNS1_3repE0EEENS1_30default_config_static_selectorELNS0_4arch9wavefront6targetE1EEEvT1_.kd
    .uniform_work_group_size: 1
    .uses_dynamic_stack: false
    .vgpr_count:     56
    .vgpr_spill_count: 0
    .wavefront_size: 64
  - .agpr_count:     0
    .args:
      - .offset:         0
        .size:           112
        .value_kind:     by_value
    .group_segment_fixed_size: 0
    .kernarg_segment_align: 8
    .kernarg_segment_size: 112
    .language:       OpenCL C
    .language_version:
      - 2
      - 0
    .max_flat_workgroup_size: 256
    .name:           _ZN7rocprim17ROCPRIM_400000_NS6detail17trampoline_kernelINS0_14default_configENS1_27scan_by_key_config_selectorIisEEZZNS1_16scan_by_key_implILNS1_25lookback_scan_determinismE0ELb1ES3_N6thrust23THRUST_200600_302600_NS6detail15normal_iteratorINS9_10device_ptrIiEEEENSB_INSC_IsEEEESG_sNS9_4plusIvEENS9_8equal_toIvEEsEE10hipError_tPvRmT2_T3_T4_T5_mT6_T7_P12ihipStream_tbENKUlT_T0_E_clISt17integral_constantIbLb0EES11_EEDaSW_SX_EUlSW_E_NS1_11comp_targetILNS1_3genE3ELNS1_11target_archE908ELNS1_3gpuE7ELNS1_3repE0EEENS1_30default_config_static_selectorELNS0_4arch9wavefront6targetE1EEEvT1_
    .private_segment_fixed_size: 0
    .sgpr_count:     4
    .sgpr_spill_count: 0
    .symbol:         _ZN7rocprim17ROCPRIM_400000_NS6detail17trampoline_kernelINS0_14default_configENS1_27scan_by_key_config_selectorIisEEZZNS1_16scan_by_key_implILNS1_25lookback_scan_determinismE0ELb1ES3_N6thrust23THRUST_200600_302600_NS6detail15normal_iteratorINS9_10device_ptrIiEEEENSB_INSC_IsEEEESG_sNS9_4plusIvEENS9_8equal_toIvEEsEE10hipError_tPvRmT2_T3_T4_T5_mT6_T7_P12ihipStream_tbENKUlT_T0_E_clISt17integral_constantIbLb0EES11_EEDaSW_SX_EUlSW_E_NS1_11comp_targetILNS1_3genE3ELNS1_11target_archE908ELNS1_3gpuE7ELNS1_3repE0EEENS1_30default_config_static_selectorELNS0_4arch9wavefront6targetE1EEEvT1_.kd
    .uniform_work_group_size: 1
    .uses_dynamic_stack: false
    .vgpr_count:     0
    .vgpr_spill_count: 0
    .wavefront_size: 64
  - .agpr_count:     0
    .args:
      - .offset:         0
        .size:           112
        .value_kind:     by_value
    .group_segment_fixed_size: 0
    .kernarg_segment_align: 8
    .kernarg_segment_size: 112
    .language:       OpenCL C
    .language_version:
      - 2
      - 0
    .max_flat_workgroup_size: 64
    .name:           _ZN7rocprim17ROCPRIM_400000_NS6detail17trampoline_kernelINS0_14default_configENS1_27scan_by_key_config_selectorIisEEZZNS1_16scan_by_key_implILNS1_25lookback_scan_determinismE0ELb1ES3_N6thrust23THRUST_200600_302600_NS6detail15normal_iteratorINS9_10device_ptrIiEEEENSB_INSC_IsEEEESG_sNS9_4plusIvEENS9_8equal_toIvEEsEE10hipError_tPvRmT2_T3_T4_T5_mT6_T7_P12ihipStream_tbENKUlT_T0_E_clISt17integral_constantIbLb0EES11_EEDaSW_SX_EUlSW_E_NS1_11comp_targetILNS1_3genE2ELNS1_11target_archE906ELNS1_3gpuE6ELNS1_3repE0EEENS1_30default_config_static_selectorELNS0_4arch9wavefront6targetE1EEEvT1_
    .private_segment_fixed_size: 0
    .sgpr_count:     4
    .sgpr_spill_count: 0
    .symbol:         _ZN7rocprim17ROCPRIM_400000_NS6detail17trampoline_kernelINS0_14default_configENS1_27scan_by_key_config_selectorIisEEZZNS1_16scan_by_key_implILNS1_25lookback_scan_determinismE0ELb1ES3_N6thrust23THRUST_200600_302600_NS6detail15normal_iteratorINS9_10device_ptrIiEEEENSB_INSC_IsEEEESG_sNS9_4plusIvEENS9_8equal_toIvEEsEE10hipError_tPvRmT2_T3_T4_T5_mT6_T7_P12ihipStream_tbENKUlT_T0_E_clISt17integral_constantIbLb0EES11_EEDaSW_SX_EUlSW_E_NS1_11comp_targetILNS1_3genE2ELNS1_11target_archE906ELNS1_3gpuE6ELNS1_3repE0EEENS1_30default_config_static_selectorELNS0_4arch9wavefront6targetE1EEEvT1_.kd
    .uniform_work_group_size: 1
    .uses_dynamic_stack: false
    .vgpr_count:     0
    .vgpr_spill_count: 0
    .wavefront_size: 64
  - .agpr_count:     0
    .args:
      - .offset:         0
        .size:           112
        .value_kind:     by_value
    .group_segment_fixed_size: 0
    .kernarg_segment_align: 8
    .kernarg_segment_size: 112
    .language:       OpenCL C
    .language_version:
      - 2
      - 0
    .max_flat_workgroup_size: 256
    .name:           _ZN7rocprim17ROCPRIM_400000_NS6detail17trampoline_kernelINS0_14default_configENS1_27scan_by_key_config_selectorIisEEZZNS1_16scan_by_key_implILNS1_25lookback_scan_determinismE0ELb1ES3_N6thrust23THRUST_200600_302600_NS6detail15normal_iteratorINS9_10device_ptrIiEEEENSB_INSC_IsEEEESG_sNS9_4plusIvEENS9_8equal_toIvEEsEE10hipError_tPvRmT2_T3_T4_T5_mT6_T7_P12ihipStream_tbENKUlT_T0_E_clISt17integral_constantIbLb0EES11_EEDaSW_SX_EUlSW_E_NS1_11comp_targetILNS1_3genE10ELNS1_11target_archE1200ELNS1_3gpuE4ELNS1_3repE0EEENS1_30default_config_static_selectorELNS0_4arch9wavefront6targetE1EEEvT1_
    .private_segment_fixed_size: 0
    .sgpr_count:     4
    .sgpr_spill_count: 0
    .symbol:         _ZN7rocprim17ROCPRIM_400000_NS6detail17trampoline_kernelINS0_14default_configENS1_27scan_by_key_config_selectorIisEEZZNS1_16scan_by_key_implILNS1_25lookback_scan_determinismE0ELb1ES3_N6thrust23THRUST_200600_302600_NS6detail15normal_iteratorINS9_10device_ptrIiEEEENSB_INSC_IsEEEESG_sNS9_4plusIvEENS9_8equal_toIvEEsEE10hipError_tPvRmT2_T3_T4_T5_mT6_T7_P12ihipStream_tbENKUlT_T0_E_clISt17integral_constantIbLb0EES11_EEDaSW_SX_EUlSW_E_NS1_11comp_targetILNS1_3genE10ELNS1_11target_archE1200ELNS1_3gpuE4ELNS1_3repE0EEENS1_30default_config_static_selectorELNS0_4arch9wavefront6targetE1EEEvT1_.kd
    .uniform_work_group_size: 1
    .uses_dynamic_stack: false
    .vgpr_count:     0
    .vgpr_spill_count: 0
    .wavefront_size: 64
  - .agpr_count:     0
    .args:
      - .offset:         0
        .size:           112
        .value_kind:     by_value
    .group_segment_fixed_size: 0
    .kernarg_segment_align: 8
    .kernarg_segment_size: 112
    .language:       OpenCL C
    .language_version:
      - 2
      - 0
    .max_flat_workgroup_size: 64
    .name:           _ZN7rocprim17ROCPRIM_400000_NS6detail17trampoline_kernelINS0_14default_configENS1_27scan_by_key_config_selectorIisEEZZNS1_16scan_by_key_implILNS1_25lookback_scan_determinismE0ELb1ES3_N6thrust23THRUST_200600_302600_NS6detail15normal_iteratorINS9_10device_ptrIiEEEENSB_INSC_IsEEEESG_sNS9_4plusIvEENS9_8equal_toIvEEsEE10hipError_tPvRmT2_T3_T4_T5_mT6_T7_P12ihipStream_tbENKUlT_T0_E_clISt17integral_constantIbLb0EES11_EEDaSW_SX_EUlSW_E_NS1_11comp_targetILNS1_3genE9ELNS1_11target_archE1100ELNS1_3gpuE3ELNS1_3repE0EEENS1_30default_config_static_selectorELNS0_4arch9wavefront6targetE1EEEvT1_
    .private_segment_fixed_size: 0
    .sgpr_count:     4
    .sgpr_spill_count: 0
    .symbol:         _ZN7rocprim17ROCPRIM_400000_NS6detail17trampoline_kernelINS0_14default_configENS1_27scan_by_key_config_selectorIisEEZZNS1_16scan_by_key_implILNS1_25lookback_scan_determinismE0ELb1ES3_N6thrust23THRUST_200600_302600_NS6detail15normal_iteratorINS9_10device_ptrIiEEEENSB_INSC_IsEEEESG_sNS9_4plusIvEENS9_8equal_toIvEEsEE10hipError_tPvRmT2_T3_T4_T5_mT6_T7_P12ihipStream_tbENKUlT_T0_E_clISt17integral_constantIbLb0EES11_EEDaSW_SX_EUlSW_E_NS1_11comp_targetILNS1_3genE9ELNS1_11target_archE1100ELNS1_3gpuE3ELNS1_3repE0EEENS1_30default_config_static_selectorELNS0_4arch9wavefront6targetE1EEEvT1_.kd
    .uniform_work_group_size: 1
    .uses_dynamic_stack: false
    .vgpr_count:     0
    .vgpr_spill_count: 0
    .wavefront_size: 64
  - .agpr_count:     0
    .args:
      - .offset:         0
        .size:           112
        .value_kind:     by_value
    .group_segment_fixed_size: 0
    .kernarg_segment_align: 8
    .kernarg_segment_size: 112
    .language:       OpenCL C
    .language_version:
      - 2
      - 0
    .max_flat_workgroup_size: 64
    .name:           _ZN7rocprim17ROCPRIM_400000_NS6detail17trampoline_kernelINS0_14default_configENS1_27scan_by_key_config_selectorIisEEZZNS1_16scan_by_key_implILNS1_25lookback_scan_determinismE0ELb1ES3_N6thrust23THRUST_200600_302600_NS6detail15normal_iteratorINS9_10device_ptrIiEEEENSB_INSC_IsEEEESG_sNS9_4plusIvEENS9_8equal_toIvEEsEE10hipError_tPvRmT2_T3_T4_T5_mT6_T7_P12ihipStream_tbENKUlT_T0_E_clISt17integral_constantIbLb0EES11_EEDaSW_SX_EUlSW_E_NS1_11comp_targetILNS1_3genE8ELNS1_11target_archE1030ELNS1_3gpuE2ELNS1_3repE0EEENS1_30default_config_static_selectorELNS0_4arch9wavefront6targetE1EEEvT1_
    .private_segment_fixed_size: 0
    .sgpr_count:     4
    .sgpr_spill_count: 0
    .symbol:         _ZN7rocprim17ROCPRIM_400000_NS6detail17trampoline_kernelINS0_14default_configENS1_27scan_by_key_config_selectorIisEEZZNS1_16scan_by_key_implILNS1_25lookback_scan_determinismE0ELb1ES3_N6thrust23THRUST_200600_302600_NS6detail15normal_iteratorINS9_10device_ptrIiEEEENSB_INSC_IsEEEESG_sNS9_4plusIvEENS9_8equal_toIvEEsEE10hipError_tPvRmT2_T3_T4_T5_mT6_T7_P12ihipStream_tbENKUlT_T0_E_clISt17integral_constantIbLb0EES11_EEDaSW_SX_EUlSW_E_NS1_11comp_targetILNS1_3genE8ELNS1_11target_archE1030ELNS1_3gpuE2ELNS1_3repE0EEENS1_30default_config_static_selectorELNS0_4arch9wavefront6targetE1EEEvT1_.kd
    .uniform_work_group_size: 1
    .uses_dynamic_stack: false
    .vgpr_count:     0
    .vgpr_spill_count: 0
    .wavefront_size: 64
  - .agpr_count:     0
    .args:
      - .offset:         0
        .size:           112
        .value_kind:     by_value
    .group_segment_fixed_size: 0
    .kernarg_segment_align: 8
    .kernarg_segment_size: 112
    .language:       OpenCL C
    .language_version:
      - 2
      - 0
    .max_flat_workgroup_size: 256
    .name:           _ZN7rocprim17ROCPRIM_400000_NS6detail17trampoline_kernelINS0_14default_configENS1_27scan_by_key_config_selectorIisEEZZNS1_16scan_by_key_implILNS1_25lookback_scan_determinismE0ELb1ES3_N6thrust23THRUST_200600_302600_NS6detail15normal_iteratorINS9_10device_ptrIiEEEENSB_INSC_IsEEEESG_sNS9_4plusIvEENS9_8equal_toIvEEsEE10hipError_tPvRmT2_T3_T4_T5_mT6_T7_P12ihipStream_tbENKUlT_T0_E_clISt17integral_constantIbLb1EES11_EEDaSW_SX_EUlSW_E_NS1_11comp_targetILNS1_3genE0ELNS1_11target_archE4294967295ELNS1_3gpuE0ELNS1_3repE0EEENS1_30default_config_static_selectorELNS0_4arch9wavefront6targetE1EEEvT1_
    .private_segment_fixed_size: 0
    .sgpr_count:     4
    .sgpr_spill_count: 0
    .symbol:         _ZN7rocprim17ROCPRIM_400000_NS6detail17trampoline_kernelINS0_14default_configENS1_27scan_by_key_config_selectorIisEEZZNS1_16scan_by_key_implILNS1_25lookback_scan_determinismE0ELb1ES3_N6thrust23THRUST_200600_302600_NS6detail15normal_iteratorINS9_10device_ptrIiEEEENSB_INSC_IsEEEESG_sNS9_4plusIvEENS9_8equal_toIvEEsEE10hipError_tPvRmT2_T3_T4_T5_mT6_T7_P12ihipStream_tbENKUlT_T0_E_clISt17integral_constantIbLb1EES11_EEDaSW_SX_EUlSW_E_NS1_11comp_targetILNS1_3genE0ELNS1_11target_archE4294967295ELNS1_3gpuE0ELNS1_3repE0EEENS1_30default_config_static_selectorELNS0_4arch9wavefront6targetE1EEEvT1_.kd
    .uniform_work_group_size: 1
    .uses_dynamic_stack: false
    .vgpr_count:     0
    .vgpr_spill_count: 0
    .wavefront_size: 64
  - .agpr_count:     0
    .args:
      - .offset:         0
        .size:           112
        .value_kind:     by_value
    .group_segment_fixed_size: 0
    .kernarg_segment_align: 8
    .kernarg_segment_size: 112
    .language:       OpenCL C
    .language_version:
      - 2
      - 0
    .max_flat_workgroup_size: 256
    .name:           _ZN7rocprim17ROCPRIM_400000_NS6detail17trampoline_kernelINS0_14default_configENS1_27scan_by_key_config_selectorIisEEZZNS1_16scan_by_key_implILNS1_25lookback_scan_determinismE0ELb1ES3_N6thrust23THRUST_200600_302600_NS6detail15normal_iteratorINS9_10device_ptrIiEEEENSB_INSC_IsEEEESG_sNS9_4plusIvEENS9_8equal_toIvEEsEE10hipError_tPvRmT2_T3_T4_T5_mT6_T7_P12ihipStream_tbENKUlT_T0_E_clISt17integral_constantIbLb1EES11_EEDaSW_SX_EUlSW_E_NS1_11comp_targetILNS1_3genE10ELNS1_11target_archE1201ELNS1_3gpuE5ELNS1_3repE0EEENS1_30default_config_static_selectorELNS0_4arch9wavefront6targetE1EEEvT1_
    .private_segment_fixed_size: 0
    .sgpr_count:     4
    .sgpr_spill_count: 0
    .symbol:         _ZN7rocprim17ROCPRIM_400000_NS6detail17trampoline_kernelINS0_14default_configENS1_27scan_by_key_config_selectorIisEEZZNS1_16scan_by_key_implILNS1_25lookback_scan_determinismE0ELb1ES3_N6thrust23THRUST_200600_302600_NS6detail15normal_iteratorINS9_10device_ptrIiEEEENSB_INSC_IsEEEESG_sNS9_4plusIvEENS9_8equal_toIvEEsEE10hipError_tPvRmT2_T3_T4_T5_mT6_T7_P12ihipStream_tbENKUlT_T0_E_clISt17integral_constantIbLb1EES11_EEDaSW_SX_EUlSW_E_NS1_11comp_targetILNS1_3genE10ELNS1_11target_archE1201ELNS1_3gpuE5ELNS1_3repE0EEENS1_30default_config_static_selectorELNS0_4arch9wavefront6targetE1EEEvT1_.kd
    .uniform_work_group_size: 1
    .uses_dynamic_stack: false
    .vgpr_count:     0
    .vgpr_spill_count: 0
    .wavefront_size: 64
  - .agpr_count:     0
    .args:
      - .offset:         0
        .size:           112
        .value_kind:     by_value
    .group_segment_fixed_size: 0
    .kernarg_segment_align: 8
    .kernarg_segment_size: 112
    .language:       OpenCL C
    .language_version:
      - 2
      - 0
    .max_flat_workgroup_size: 256
    .name:           _ZN7rocprim17ROCPRIM_400000_NS6detail17trampoline_kernelINS0_14default_configENS1_27scan_by_key_config_selectorIisEEZZNS1_16scan_by_key_implILNS1_25lookback_scan_determinismE0ELb1ES3_N6thrust23THRUST_200600_302600_NS6detail15normal_iteratorINS9_10device_ptrIiEEEENSB_INSC_IsEEEESG_sNS9_4plusIvEENS9_8equal_toIvEEsEE10hipError_tPvRmT2_T3_T4_T5_mT6_T7_P12ihipStream_tbENKUlT_T0_E_clISt17integral_constantIbLb1EES11_EEDaSW_SX_EUlSW_E_NS1_11comp_targetILNS1_3genE5ELNS1_11target_archE942ELNS1_3gpuE9ELNS1_3repE0EEENS1_30default_config_static_selectorELNS0_4arch9wavefront6targetE1EEEvT1_
    .private_segment_fixed_size: 0
    .sgpr_count:     4
    .sgpr_spill_count: 0
    .symbol:         _ZN7rocprim17ROCPRIM_400000_NS6detail17trampoline_kernelINS0_14default_configENS1_27scan_by_key_config_selectorIisEEZZNS1_16scan_by_key_implILNS1_25lookback_scan_determinismE0ELb1ES3_N6thrust23THRUST_200600_302600_NS6detail15normal_iteratorINS9_10device_ptrIiEEEENSB_INSC_IsEEEESG_sNS9_4plusIvEENS9_8equal_toIvEEsEE10hipError_tPvRmT2_T3_T4_T5_mT6_T7_P12ihipStream_tbENKUlT_T0_E_clISt17integral_constantIbLb1EES11_EEDaSW_SX_EUlSW_E_NS1_11comp_targetILNS1_3genE5ELNS1_11target_archE942ELNS1_3gpuE9ELNS1_3repE0EEENS1_30default_config_static_selectorELNS0_4arch9wavefront6targetE1EEEvT1_.kd
    .uniform_work_group_size: 1
    .uses_dynamic_stack: false
    .vgpr_count:     0
    .vgpr_spill_count: 0
    .wavefront_size: 64
  - .agpr_count:     0
    .args:
      - .offset:         0
        .size:           112
        .value_kind:     by_value
    .group_segment_fixed_size: 6656
    .kernarg_segment_align: 8
    .kernarg_segment_size: 112
    .language:       OpenCL C
    .language_version:
      - 2
      - 0
    .max_flat_workgroup_size: 64
    .name:           _ZN7rocprim17ROCPRIM_400000_NS6detail17trampoline_kernelINS0_14default_configENS1_27scan_by_key_config_selectorIisEEZZNS1_16scan_by_key_implILNS1_25lookback_scan_determinismE0ELb1ES3_N6thrust23THRUST_200600_302600_NS6detail15normal_iteratorINS9_10device_ptrIiEEEENSB_INSC_IsEEEESG_sNS9_4plusIvEENS9_8equal_toIvEEsEE10hipError_tPvRmT2_T3_T4_T5_mT6_T7_P12ihipStream_tbENKUlT_T0_E_clISt17integral_constantIbLb1EES11_EEDaSW_SX_EUlSW_E_NS1_11comp_targetILNS1_3genE4ELNS1_11target_archE910ELNS1_3gpuE8ELNS1_3repE0EEENS1_30default_config_static_selectorELNS0_4arch9wavefront6targetE1EEEvT1_
    .private_segment_fixed_size: 0
    .sgpr_count:     88
    .sgpr_spill_count: 0
    .symbol:         _ZN7rocprim17ROCPRIM_400000_NS6detail17trampoline_kernelINS0_14default_configENS1_27scan_by_key_config_selectorIisEEZZNS1_16scan_by_key_implILNS1_25lookback_scan_determinismE0ELb1ES3_N6thrust23THRUST_200600_302600_NS6detail15normal_iteratorINS9_10device_ptrIiEEEENSB_INSC_IsEEEESG_sNS9_4plusIvEENS9_8equal_toIvEEsEE10hipError_tPvRmT2_T3_T4_T5_mT6_T7_P12ihipStream_tbENKUlT_T0_E_clISt17integral_constantIbLb1EES11_EEDaSW_SX_EUlSW_E_NS1_11comp_targetILNS1_3genE4ELNS1_11target_archE910ELNS1_3gpuE8ELNS1_3repE0EEENS1_30default_config_static_selectorELNS0_4arch9wavefront6targetE1EEEvT1_.kd
    .uniform_work_group_size: 1
    .uses_dynamic_stack: false
    .vgpr_count:     61
    .vgpr_spill_count: 0
    .wavefront_size: 64
  - .agpr_count:     0
    .args:
      - .offset:         0
        .size:           112
        .value_kind:     by_value
    .group_segment_fixed_size: 0
    .kernarg_segment_align: 8
    .kernarg_segment_size: 112
    .language:       OpenCL C
    .language_version:
      - 2
      - 0
    .max_flat_workgroup_size: 256
    .name:           _ZN7rocprim17ROCPRIM_400000_NS6detail17trampoline_kernelINS0_14default_configENS1_27scan_by_key_config_selectorIisEEZZNS1_16scan_by_key_implILNS1_25lookback_scan_determinismE0ELb1ES3_N6thrust23THRUST_200600_302600_NS6detail15normal_iteratorINS9_10device_ptrIiEEEENSB_INSC_IsEEEESG_sNS9_4plusIvEENS9_8equal_toIvEEsEE10hipError_tPvRmT2_T3_T4_T5_mT6_T7_P12ihipStream_tbENKUlT_T0_E_clISt17integral_constantIbLb1EES11_EEDaSW_SX_EUlSW_E_NS1_11comp_targetILNS1_3genE3ELNS1_11target_archE908ELNS1_3gpuE7ELNS1_3repE0EEENS1_30default_config_static_selectorELNS0_4arch9wavefront6targetE1EEEvT1_
    .private_segment_fixed_size: 0
    .sgpr_count:     4
    .sgpr_spill_count: 0
    .symbol:         _ZN7rocprim17ROCPRIM_400000_NS6detail17trampoline_kernelINS0_14default_configENS1_27scan_by_key_config_selectorIisEEZZNS1_16scan_by_key_implILNS1_25lookback_scan_determinismE0ELb1ES3_N6thrust23THRUST_200600_302600_NS6detail15normal_iteratorINS9_10device_ptrIiEEEENSB_INSC_IsEEEESG_sNS9_4plusIvEENS9_8equal_toIvEEsEE10hipError_tPvRmT2_T3_T4_T5_mT6_T7_P12ihipStream_tbENKUlT_T0_E_clISt17integral_constantIbLb1EES11_EEDaSW_SX_EUlSW_E_NS1_11comp_targetILNS1_3genE3ELNS1_11target_archE908ELNS1_3gpuE7ELNS1_3repE0EEENS1_30default_config_static_selectorELNS0_4arch9wavefront6targetE1EEEvT1_.kd
    .uniform_work_group_size: 1
    .uses_dynamic_stack: false
    .vgpr_count:     0
    .vgpr_spill_count: 0
    .wavefront_size: 64
  - .agpr_count:     0
    .args:
      - .offset:         0
        .size:           112
        .value_kind:     by_value
    .group_segment_fixed_size: 0
    .kernarg_segment_align: 8
    .kernarg_segment_size: 112
    .language:       OpenCL C
    .language_version:
      - 2
      - 0
    .max_flat_workgroup_size: 64
    .name:           _ZN7rocprim17ROCPRIM_400000_NS6detail17trampoline_kernelINS0_14default_configENS1_27scan_by_key_config_selectorIisEEZZNS1_16scan_by_key_implILNS1_25lookback_scan_determinismE0ELb1ES3_N6thrust23THRUST_200600_302600_NS6detail15normal_iteratorINS9_10device_ptrIiEEEENSB_INSC_IsEEEESG_sNS9_4plusIvEENS9_8equal_toIvEEsEE10hipError_tPvRmT2_T3_T4_T5_mT6_T7_P12ihipStream_tbENKUlT_T0_E_clISt17integral_constantIbLb1EES11_EEDaSW_SX_EUlSW_E_NS1_11comp_targetILNS1_3genE2ELNS1_11target_archE906ELNS1_3gpuE6ELNS1_3repE0EEENS1_30default_config_static_selectorELNS0_4arch9wavefront6targetE1EEEvT1_
    .private_segment_fixed_size: 0
    .sgpr_count:     4
    .sgpr_spill_count: 0
    .symbol:         _ZN7rocprim17ROCPRIM_400000_NS6detail17trampoline_kernelINS0_14default_configENS1_27scan_by_key_config_selectorIisEEZZNS1_16scan_by_key_implILNS1_25lookback_scan_determinismE0ELb1ES3_N6thrust23THRUST_200600_302600_NS6detail15normal_iteratorINS9_10device_ptrIiEEEENSB_INSC_IsEEEESG_sNS9_4plusIvEENS9_8equal_toIvEEsEE10hipError_tPvRmT2_T3_T4_T5_mT6_T7_P12ihipStream_tbENKUlT_T0_E_clISt17integral_constantIbLb1EES11_EEDaSW_SX_EUlSW_E_NS1_11comp_targetILNS1_3genE2ELNS1_11target_archE906ELNS1_3gpuE6ELNS1_3repE0EEENS1_30default_config_static_selectorELNS0_4arch9wavefront6targetE1EEEvT1_.kd
    .uniform_work_group_size: 1
    .uses_dynamic_stack: false
    .vgpr_count:     0
    .vgpr_spill_count: 0
    .wavefront_size: 64
  - .agpr_count:     0
    .args:
      - .offset:         0
        .size:           112
        .value_kind:     by_value
    .group_segment_fixed_size: 0
    .kernarg_segment_align: 8
    .kernarg_segment_size: 112
    .language:       OpenCL C
    .language_version:
      - 2
      - 0
    .max_flat_workgroup_size: 256
    .name:           _ZN7rocprim17ROCPRIM_400000_NS6detail17trampoline_kernelINS0_14default_configENS1_27scan_by_key_config_selectorIisEEZZNS1_16scan_by_key_implILNS1_25lookback_scan_determinismE0ELb1ES3_N6thrust23THRUST_200600_302600_NS6detail15normal_iteratorINS9_10device_ptrIiEEEENSB_INSC_IsEEEESG_sNS9_4plusIvEENS9_8equal_toIvEEsEE10hipError_tPvRmT2_T3_T4_T5_mT6_T7_P12ihipStream_tbENKUlT_T0_E_clISt17integral_constantIbLb1EES11_EEDaSW_SX_EUlSW_E_NS1_11comp_targetILNS1_3genE10ELNS1_11target_archE1200ELNS1_3gpuE4ELNS1_3repE0EEENS1_30default_config_static_selectorELNS0_4arch9wavefront6targetE1EEEvT1_
    .private_segment_fixed_size: 0
    .sgpr_count:     4
    .sgpr_spill_count: 0
    .symbol:         _ZN7rocprim17ROCPRIM_400000_NS6detail17trampoline_kernelINS0_14default_configENS1_27scan_by_key_config_selectorIisEEZZNS1_16scan_by_key_implILNS1_25lookback_scan_determinismE0ELb1ES3_N6thrust23THRUST_200600_302600_NS6detail15normal_iteratorINS9_10device_ptrIiEEEENSB_INSC_IsEEEESG_sNS9_4plusIvEENS9_8equal_toIvEEsEE10hipError_tPvRmT2_T3_T4_T5_mT6_T7_P12ihipStream_tbENKUlT_T0_E_clISt17integral_constantIbLb1EES11_EEDaSW_SX_EUlSW_E_NS1_11comp_targetILNS1_3genE10ELNS1_11target_archE1200ELNS1_3gpuE4ELNS1_3repE0EEENS1_30default_config_static_selectorELNS0_4arch9wavefront6targetE1EEEvT1_.kd
    .uniform_work_group_size: 1
    .uses_dynamic_stack: false
    .vgpr_count:     0
    .vgpr_spill_count: 0
    .wavefront_size: 64
  - .agpr_count:     0
    .args:
      - .offset:         0
        .size:           112
        .value_kind:     by_value
    .group_segment_fixed_size: 0
    .kernarg_segment_align: 8
    .kernarg_segment_size: 112
    .language:       OpenCL C
    .language_version:
      - 2
      - 0
    .max_flat_workgroup_size: 64
    .name:           _ZN7rocprim17ROCPRIM_400000_NS6detail17trampoline_kernelINS0_14default_configENS1_27scan_by_key_config_selectorIisEEZZNS1_16scan_by_key_implILNS1_25lookback_scan_determinismE0ELb1ES3_N6thrust23THRUST_200600_302600_NS6detail15normal_iteratorINS9_10device_ptrIiEEEENSB_INSC_IsEEEESG_sNS9_4plusIvEENS9_8equal_toIvEEsEE10hipError_tPvRmT2_T3_T4_T5_mT6_T7_P12ihipStream_tbENKUlT_T0_E_clISt17integral_constantIbLb1EES11_EEDaSW_SX_EUlSW_E_NS1_11comp_targetILNS1_3genE9ELNS1_11target_archE1100ELNS1_3gpuE3ELNS1_3repE0EEENS1_30default_config_static_selectorELNS0_4arch9wavefront6targetE1EEEvT1_
    .private_segment_fixed_size: 0
    .sgpr_count:     4
    .sgpr_spill_count: 0
    .symbol:         _ZN7rocprim17ROCPRIM_400000_NS6detail17trampoline_kernelINS0_14default_configENS1_27scan_by_key_config_selectorIisEEZZNS1_16scan_by_key_implILNS1_25lookback_scan_determinismE0ELb1ES3_N6thrust23THRUST_200600_302600_NS6detail15normal_iteratorINS9_10device_ptrIiEEEENSB_INSC_IsEEEESG_sNS9_4plusIvEENS9_8equal_toIvEEsEE10hipError_tPvRmT2_T3_T4_T5_mT6_T7_P12ihipStream_tbENKUlT_T0_E_clISt17integral_constantIbLb1EES11_EEDaSW_SX_EUlSW_E_NS1_11comp_targetILNS1_3genE9ELNS1_11target_archE1100ELNS1_3gpuE3ELNS1_3repE0EEENS1_30default_config_static_selectorELNS0_4arch9wavefront6targetE1EEEvT1_.kd
    .uniform_work_group_size: 1
    .uses_dynamic_stack: false
    .vgpr_count:     0
    .vgpr_spill_count: 0
    .wavefront_size: 64
  - .agpr_count:     0
    .args:
      - .offset:         0
        .size:           112
        .value_kind:     by_value
    .group_segment_fixed_size: 0
    .kernarg_segment_align: 8
    .kernarg_segment_size: 112
    .language:       OpenCL C
    .language_version:
      - 2
      - 0
    .max_flat_workgroup_size: 64
    .name:           _ZN7rocprim17ROCPRIM_400000_NS6detail17trampoline_kernelINS0_14default_configENS1_27scan_by_key_config_selectorIisEEZZNS1_16scan_by_key_implILNS1_25lookback_scan_determinismE0ELb1ES3_N6thrust23THRUST_200600_302600_NS6detail15normal_iteratorINS9_10device_ptrIiEEEENSB_INSC_IsEEEESG_sNS9_4plusIvEENS9_8equal_toIvEEsEE10hipError_tPvRmT2_T3_T4_T5_mT6_T7_P12ihipStream_tbENKUlT_T0_E_clISt17integral_constantIbLb1EES11_EEDaSW_SX_EUlSW_E_NS1_11comp_targetILNS1_3genE8ELNS1_11target_archE1030ELNS1_3gpuE2ELNS1_3repE0EEENS1_30default_config_static_selectorELNS0_4arch9wavefront6targetE1EEEvT1_
    .private_segment_fixed_size: 0
    .sgpr_count:     4
    .sgpr_spill_count: 0
    .symbol:         _ZN7rocprim17ROCPRIM_400000_NS6detail17trampoline_kernelINS0_14default_configENS1_27scan_by_key_config_selectorIisEEZZNS1_16scan_by_key_implILNS1_25lookback_scan_determinismE0ELb1ES3_N6thrust23THRUST_200600_302600_NS6detail15normal_iteratorINS9_10device_ptrIiEEEENSB_INSC_IsEEEESG_sNS9_4plusIvEENS9_8equal_toIvEEsEE10hipError_tPvRmT2_T3_T4_T5_mT6_T7_P12ihipStream_tbENKUlT_T0_E_clISt17integral_constantIbLb1EES11_EEDaSW_SX_EUlSW_E_NS1_11comp_targetILNS1_3genE8ELNS1_11target_archE1030ELNS1_3gpuE2ELNS1_3repE0EEENS1_30default_config_static_selectorELNS0_4arch9wavefront6targetE1EEEvT1_.kd
    .uniform_work_group_size: 1
    .uses_dynamic_stack: false
    .vgpr_count:     0
    .vgpr_spill_count: 0
    .wavefront_size: 64
  - .agpr_count:     0
    .args:
      - .offset:         0
        .size:           112
        .value_kind:     by_value
    .group_segment_fixed_size: 0
    .kernarg_segment_align: 8
    .kernarg_segment_size: 112
    .language:       OpenCL C
    .language_version:
      - 2
      - 0
    .max_flat_workgroup_size: 256
    .name:           _ZN7rocprim17ROCPRIM_400000_NS6detail17trampoline_kernelINS0_14default_configENS1_27scan_by_key_config_selectorIisEEZZNS1_16scan_by_key_implILNS1_25lookback_scan_determinismE0ELb1ES3_N6thrust23THRUST_200600_302600_NS6detail15normal_iteratorINS9_10device_ptrIiEEEENSB_INSC_IsEEEESG_sNS9_4plusIvEENS9_8equal_toIvEEsEE10hipError_tPvRmT2_T3_T4_T5_mT6_T7_P12ihipStream_tbENKUlT_T0_E_clISt17integral_constantIbLb1EES10_IbLb0EEEEDaSW_SX_EUlSW_E_NS1_11comp_targetILNS1_3genE0ELNS1_11target_archE4294967295ELNS1_3gpuE0ELNS1_3repE0EEENS1_30default_config_static_selectorELNS0_4arch9wavefront6targetE1EEEvT1_
    .private_segment_fixed_size: 0
    .sgpr_count:     4
    .sgpr_spill_count: 0
    .symbol:         _ZN7rocprim17ROCPRIM_400000_NS6detail17trampoline_kernelINS0_14default_configENS1_27scan_by_key_config_selectorIisEEZZNS1_16scan_by_key_implILNS1_25lookback_scan_determinismE0ELb1ES3_N6thrust23THRUST_200600_302600_NS6detail15normal_iteratorINS9_10device_ptrIiEEEENSB_INSC_IsEEEESG_sNS9_4plusIvEENS9_8equal_toIvEEsEE10hipError_tPvRmT2_T3_T4_T5_mT6_T7_P12ihipStream_tbENKUlT_T0_E_clISt17integral_constantIbLb1EES10_IbLb0EEEEDaSW_SX_EUlSW_E_NS1_11comp_targetILNS1_3genE0ELNS1_11target_archE4294967295ELNS1_3gpuE0ELNS1_3repE0EEENS1_30default_config_static_selectorELNS0_4arch9wavefront6targetE1EEEvT1_.kd
    .uniform_work_group_size: 1
    .uses_dynamic_stack: false
    .vgpr_count:     0
    .vgpr_spill_count: 0
    .wavefront_size: 64
  - .agpr_count:     0
    .args:
      - .offset:         0
        .size:           112
        .value_kind:     by_value
    .group_segment_fixed_size: 0
    .kernarg_segment_align: 8
    .kernarg_segment_size: 112
    .language:       OpenCL C
    .language_version:
      - 2
      - 0
    .max_flat_workgroup_size: 256
    .name:           _ZN7rocprim17ROCPRIM_400000_NS6detail17trampoline_kernelINS0_14default_configENS1_27scan_by_key_config_selectorIisEEZZNS1_16scan_by_key_implILNS1_25lookback_scan_determinismE0ELb1ES3_N6thrust23THRUST_200600_302600_NS6detail15normal_iteratorINS9_10device_ptrIiEEEENSB_INSC_IsEEEESG_sNS9_4plusIvEENS9_8equal_toIvEEsEE10hipError_tPvRmT2_T3_T4_T5_mT6_T7_P12ihipStream_tbENKUlT_T0_E_clISt17integral_constantIbLb1EES10_IbLb0EEEEDaSW_SX_EUlSW_E_NS1_11comp_targetILNS1_3genE10ELNS1_11target_archE1201ELNS1_3gpuE5ELNS1_3repE0EEENS1_30default_config_static_selectorELNS0_4arch9wavefront6targetE1EEEvT1_
    .private_segment_fixed_size: 0
    .sgpr_count:     4
    .sgpr_spill_count: 0
    .symbol:         _ZN7rocprim17ROCPRIM_400000_NS6detail17trampoline_kernelINS0_14default_configENS1_27scan_by_key_config_selectorIisEEZZNS1_16scan_by_key_implILNS1_25lookback_scan_determinismE0ELb1ES3_N6thrust23THRUST_200600_302600_NS6detail15normal_iteratorINS9_10device_ptrIiEEEENSB_INSC_IsEEEESG_sNS9_4plusIvEENS9_8equal_toIvEEsEE10hipError_tPvRmT2_T3_T4_T5_mT6_T7_P12ihipStream_tbENKUlT_T0_E_clISt17integral_constantIbLb1EES10_IbLb0EEEEDaSW_SX_EUlSW_E_NS1_11comp_targetILNS1_3genE10ELNS1_11target_archE1201ELNS1_3gpuE5ELNS1_3repE0EEENS1_30default_config_static_selectorELNS0_4arch9wavefront6targetE1EEEvT1_.kd
    .uniform_work_group_size: 1
    .uses_dynamic_stack: false
    .vgpr_count:     0
    .vgpr_spill_count: 0
    .wavefront_size: 64
  - .agpr_count:     0
    .args:
      - .offset:         0
        .size:           112
        .value_kind:     by_value
    .group_segment_fixed_size: 0
    .kernarg_segment_align: 8
    .kernarg_segment_size: 112
    .language:       OpenCL C
    .language_version:
      - 2
      - 0
    .max_flat_workgroup_size: 256
    .name:           _ZN7rocprim17ROCPRIM_400000_NS6detail17trampoline_kernelINS0_14default_configENS1_27scan_by_key_config_selectorIisEEZZNS1_16scan_by_key_implILNS1_25lookback_scan_determinismE0ELb1ES3_N6thrust23THRUST_200600_302600_NS6detail15normal_iteratorINS9_10device_ptrIiEEEENSB_INSC_IsEEEESG_sNS9_4plusIvEENS9_8equal_toIvEEsEE10hipError_tPvRmT2_T3_T4_T5_mT6_T7_P12ihipStream_tbENKUlT_T0_E_clISt17integral_constantIbLb1EES10_IbLb0EEEEDaSW_SX_EUlSW_E_NS1_11comp_targetILNS1_3genE5ELNS1_11target_archE942ELNS1_3gpuE9ELNS1_3repE0EEENS1_30default_config_static_selectorELNS0_4arch9wavefront6targetE1EEEvT1_
    .private_segment_fixed_size: 0
    .sgpr_count:     4
    .sgpr_spill_count: 0
    .symbol:         _ZN7rocprim17ROCPRIM_400000_NS6detail17trampoline_kernelINS0_14default_configENS1_27scan_by_key_config_selectorIisEEZZNS1_16scan_by_key_implILNS1_25lookback_scan_determinismE0ELb1ES3_N6thrust23THRUST_200600_302600_NS6detail15normal_iteratorINS9_10device_ptrIiEEEENSB_INSC_IsEEEESG_sNS9_4plusIvEENS9_8equal_toIvEEsEE10hipError_tPvRmT2_T3_T4_T5_mT6_T7_P12ihipStream_tbENKUlT_T0_E_clISt17integral_constantIbLb1EES10_IbLb0EEEEDaSW_SX_EUlSW_E_NS1_11comp_targetILNS1_3genE5ELNS1_11target_archE942ELNS1_3gpuE9ELNS1_3repE0EEENS1_30default_config_static_selectorELNS0_4arch9wavefront6targetE1EEEvT1_.kd
    .uniform_work_group_size: 1
    .uses_dynamic_stack: false
    .vgpr_count:     0
    .vgpr_spill_count: 0
    .wavefront_size: 64
  - .agpr_count:     0
    .args:
      - .offset:         0
        .size:           112
        .value_kind:     by_value
    .group_segment_fixed_size: 6656
    .kernarg_segment_align: 8
    .kernarg_segment_size: 112
    .language:       OpenCL C
    .language_version:
      - 2
      - 0
    .max_flat_workgroup_size: 64
    .name:           _ZN7rocprim17ROCPRIM_400000_NS6detail17trampoline_kernelINS0_14default_configENS1_27scan_by_key_config_selectorIisEEZZNS1_16scan_by_key_implILNS1_25lookback_scan_determinismE0ELb1ES3_N6thrust23THRUST_200600_302600_NS6detail15normal_iteratorINS9_10device_ptrIiEEEENSB_INSC_IsEEEESG_sNS9_4plusIvEENS9_8equal_toIvEEsEE10hipError_tPvRmT2_T3_T4_T5_mT6_T7_P12ihipStream_tbENKUlT_T0_E_clISt17integral_constantIbLb1EES10_IbLb0EEEEDaSW_SX_EUlSW_E_NS1_11comp_targetILNS1_3genE4ELNS1_11target_archE910ELNS1_3gpuE8ELNS1_3repE0EEENS1_30default_config_static_selectorELNS0_4arch9wavefront6targetE1EEEvT1_
    .private_segment_fixed_size: 0
    .sgpr_count:     92
    .sgpr_spill_count: 0
    .symbol:         _ZN7rocprim17ROCPRIM_400000_NS6detail17trampoline_kernelINS0_14default_configENS1_27scan_by_key_config_selectorIisEEZZNS1_16scan_by_key_implILNS1_25lookback_scan_determinismE0ELb1ES3_N6thrust23THRUST_200600_302600_NS6detail15normal_iteratorINS9_10device_ptrIiEEEENSB_INSC_IsEEEESG_sNS9_4plusIvEENS9_8equal_toIvEEsEE10hipError_tPvRmT2_T3_T4_T5_mT6_T7_P12ihipStream_tbENKUlT_T0_E_clISt17integral_constantIbLb1EES10_IbLb0EEEEDaSW_SX_EUlSW_E_NS1_11comp_targetILNS1_3genE4ELNS1_11target_archE910ELNS1_3gpuE8ELNS1_3repE0EEENS1_30default_config_static_selectorELNS0_4arch9wavefront6targetE1EEEvT1_.kd
    .uniform_work_group_size: 1
    .uses_dynamic_stack: false
    .vgpr_count:     56
    .vgpr_spill_count: 0
    .wavefront_size: 64
  - .agpr_count:     0
    .args:
      - .offset:         0
        .size:           112
        .value_kind:     by_value
    .group_segment_fixed_size: 0
    .kernarg_segment_align: 8
    .kernarg_segment_size: 112
    .language:       OpenCL C
    .language_version:
      - 2
      - 0
    .max_flat_workgroup_size: 256
    .name:           _ZN7rocprim17ROCPRIM_400000_NS6detail17trampoline_kernelINS0_14default_configENS1_27scan_by_key_config_selectorIisEEZZNS1_16scan_by_key_implILNS1_25lookback_scan_determinismE0ELb1ES3_N6thrust23THRUST_200600_302600_NS6detail15normal_iteratorINS9_10device_ptrIiEEEENSB_INSC_IsEEEESG_sNS9_4plusIvEENS9_8equal_toIvEEsEE10hipError_tPvRmT2_T3_T4_T5_mT6_T7_P12ihipStream_tbENKUlT_T0_E_clISt17integral_constantIbLb1EES10_IbLb0EEEEDaSW_SX_EUlSW_E_NS1_11comp_targetILNS1_3genE3ELNS1_11target_archE908ELNS1_3gpuE7ELNS1_3repE0EEENS1_30default_config_static_selectorELNS0_4arch9wavefront6targetE1EEEvT1_
    .private_segment_fixed_size: 0
    .sgpr_count:     4
    .sgpr_spill_count: 0
    .symbol:         _ZN7rocprim17ROCPRIM_400000_NS6detail17trampoline_kernelINS0_14default_configENS1_27scan_by_key_config_selectorIisEEZZNS1_16scan_by_key_implILNS1_25lookback_scan_determinismE0ELb1ES3_N6thrust23THRUST_200600_302600_NS6detail15normal_iteratorINS9_10device_ptrIiEEEENSB_INSC_IsEEEESG_sNS9_4plusIvEENS9_8equal_toIvEEsEE10hipError_tPvRmT2_T3_T4_T5_mT6_T7_P12ihipStream_tbENKUlT_T0_E_clISt17integral_constantIbLb1EES10_IbLb0EEEEDaSW_SX_EUlSW_E_NS1_11comp_targetILNS1_3genE3ELNS1_11target_archE908ELNS1_3gpuE7ELNS1_3repE0EEENS1_30default_config_static_selectorELNS0_4arch9wavefront6targetE1EEEvT1_.kd
    .uniform_work_group_size: 1
    .uses_dynamic_stack: false
    .vgpr_count:     0
    .vgpr_spill_count: 0
    .wavefront_size: 64
  - .agpr_count:     0
    .args:
      - .offset:         0
        .size:           112
        .value_kind:     by_value
    .group_segment_fixed_size: 0
    .kernarg_segment_align: 8
    .kernarg_segment_size: 112
    .language:       OpenCL C
    .language_version:
      - 2
      - 0
    .max_flat_workgroup_size: 64
    .name:           _ZN7rocprim17ROCPRIM_400000_NS6detail17trampoline_kernelINS0_14default_configENS1_27scan_by_key_config_selectorIisEEZZNS1_16scan_by_key_implILNS1_25lookback_scan_determinismE0ELb1ES3_N6thrust23THRUST_200600_302600_NS6detail15normal_iteratorINS9_10device_ptrIiEEEENSB_INSC_IsEEEESG_sNS9_4plusIvEENS9_8equal_toIvEEsEE10hipError_tPvRmT2_T3_T4_T5_mT6_T7_P12ihipStream_tbENKUlT_T0_E_clISt17integral_constantIbLb1EES10_IbLb0EEEEDaSW_SX_EUlSW_E_NS1_11comp_targetILNS1_3genE2ELNS1_11target_archE906ELNS1_3gpuE6ELNS1_3repE0EEENS1_30default_config_static_selectorELNS0_4arch9wavefront6targetE1EEEvT1_
    .private_segment_fixed_size: 0
    .sgpr_count:     4
    .sgpr_spill_count: 0
    .symbol:         _ZN7rocprim17ROCPRIM_400000_NS6detail17trampoline_kernelINS0_14default_configENS1_27scan_by_key_config_selectorIisEEZZNS1_16scan_by_key_implILNS1_25lookback_scan_determinismE0ELb1ES3_N6thrust23THRUST_200600_302600_NS6detail15normal_iteratorINS9_10device_ptrIiEEEENSB_INSC_IsEEEESG_sNS9_4plusIvEENS9_8equal_toIvEEsEE10hipError_tPvRmT2_T3_T4_T5_mT6_T7_P12ihipStream_tbENKUlT_T0_E_clISt17integral_constantIbLb1EES10_IbLb0EEEEDaSW_SX_EUlSW_E_NS1_11comp_targetILNS1_3genE2ELNS1_11target_archE906ELNS1_3gpuE6ELNS1_3repE0EEENS1_30default_config_static_selectorELNS0_4arch9wavefront6targetE1EEEvT1_.kd
    .uniform_work_group_size: 1
    .uses_dynamic_stack: false
    .vgpr_count:     0
    .vgpr_spill_count: 0
    .wavefront_size: 64
  - .agpr_count:     0
    .args:
      - .offset:         0
        .size:           112
        .value_kind:     by_value
    .group_segment_fixed_size: 0
    .kernarg_segment_align: 8
    .kernarg_segment_size: 112
    .language:       OpenCL C
    .language_version:
      - 2
      - 0
    .max_flat_workgroup_size: 256
    .name:           _ZN7rocprim17ROCPRIM_400000_NS6detail17trampoline_kernelINS0_14default_configENS1_27scan_by_key_config_selectorIisEEZZNS1_16scan_by_key_implILNS1_25lookback_scan_determinismE0ELb1ES3_N6thrust23THRUST_200600_302600_NS6detail15normal_iteratorINS9_10device_ptrIiEEEENSB_INSC_IsEEEESG_sNS9_4plusIvEENS9_8equal_toIvEEsEE10hipError_tPvRmT2_T3_T4_T5_mT6_T7_P12ihipStream_tbENKUlT_T0_E_clISt17integral_constantIbLb1EES10_IbLb0EEEEDaSW_SX_EUlSW_E_NS1_11comp_targetILNS1_3genE10ELNS1_11target_archE1200ELNS1_3gpuE4ELNS1_3repE0EEENS1_30default_config_static_selectorELNS0_4arch9wavefront6targetE1EEEvT1_
    .private_segment_fixed_size: 0
    .sgpr_count:     4
    .sgpr_spill_count: 0
    .symbol:         _ZN7rocprim17ROCPRIM_400000_NS6detail17trampoline_kernelINS0_14default_configENS1_27scan_by_key_config_selectorIisEEZZNS1_16scan_by_key_implILNS1_25lookback_scan_determinismE0ELb1ES3_N6thrust23THRUST_200600_302600_NS6detail15normal_iteratorINS9_10device_ptrIiEEEENSB_INSC_IsEEEESG_sNS9_4plusIvEENS9_8equal_toIvEEsEE10hipError_tPvRmT2_T3_T4_T5_mT6_T7_P12ihipStream_tbENKUlT_T0_E_clISt17integral_constantIbLb1EES10_IbLb0EEEEDaSW_SX_EUlSW_E_NS1_11comp_targetILNS1_3genE10ELNS1_11target_archE1200ELNS1_3gpuE4ELNS1_3repE0EEENS1_30default_config_static_selectorELNS0_4arch9wavefront6targetE1EEEvT1_.kd
    .uniform_work_group_size: 1
    .uses_dynamic_stack: false
    .vgpr_count:     0
    .vgpr_spill_count: 0
    .wavefront_size: 64
  - .agpr_count:     0
    .args:
      - .offset:         0
        .size:           112
        .value_kind:     by_value
    .group_segment_fixed_size: 0
    .kernarg_segment_align: 8
    .kernarg_segment_size: 112
    .language:       OpenCL C
    .language_version:
      - 2
      - 0
    .max_flat_workgroup_size: 64
    .name:           _ZN7rocprim17ROCPRIM_400000_NS6detail17trampoline_kernelINS0_14default_configENS1_27scan_by_key_config_selectorIisEEZZNS1_16scan_by_key_implILNS1_25lookback_scan_determinismE0ELb1ES3_N6thrust23THRUST_200600_302600_NS6detail15normal_iteratorINS9_10device_ptrIiEEEENSB_INSC_IsEEEESG_sNS9_4plusIvEENS9_8equal_toIvEEsEE10hipError_tPvRmT2_T3_T4_T5_mT6_T7_P12ihipStream_tbENKUlT_T0_E_clISt17integral_constantIbLb1EES10_IbLb0EEEEDaSW_SX_EUlSW_E_NS1_11comp_targetILNS1_3genE9ELNS1_11target_archE1100ELNS1_3gpuE3ELNS1_3repE0EEENS1_30default_config_static_selectorELNS0_4arch9wavefront6targetE1EEEvT1_
    .private_segment_fixed_size: 0
    .sgpr_count:     4
    .sgpr_spill_count: 0
    .symbol:         _ZN7rocprim17ROCPRIM_400000_NS6detail17trampoline_kernelINS0_14default_configENS1_27scan_by_key_config_selectorIisEEZZNS1_16scan_by_key_implILNS1_25lookback_scan_determinismE0ELb1ES3_N6thrust23THRUST_200600_302600_NS6detail15normal_iteratorINS9_10device_ptrIiEEEENSB_INSC_IsEEEESG_sNS9_4plusIvEENS9_8equal_toIvEEsEE10hipError_tPvRmT2_T3_T4_T5_mT6_T7_P12ihipStream_tbENKUlT_T0_E_clISt17integral_constantIbLb1EES10_IbLb0EEEEDaSW_SX_EUlSW_E_NS1_11comp_targetILNS1_3genE9ELNS1_11target_archE1100ELNS1_3gpuE3ELNS1_3repE0EEENS1_30default_config_static_selectorELNS0_4arch9wavefront6targetE1EEEvT1_.kd
    .uniform_work_group_size: 1
    .uses_dynamic_stack: false
    .vgpr_count:     0
    .vgpr_spill_count: 0
    .wavefront_size: 64
  - .agpr_count:     0
    .args:
      - .offset:         0
        .size:           112
        .value_kind:     by_value
    .group_segment_fixed_size: 0
    .kernarg_segment_align: 8
    .kernarg_segment_size: 112
    .language:       OpenCL C
    .language_version:
      - 2
      - 0
    .max_flat_workgroup_size: 64
    .name:           _ZN7rocprim17ROCPRIM_400000_NS6detail17trampoline_kernelINS0_14default_configENS1_27scan_by_key_config_selectorIisEEZZNS1_16scan_by_key_implILNS1_25lookback_scan_determinismE0ELb1ES3_N6thrust23THRUST_200600_302600_NS6detail15normal_iteratorINS9_10device_ptrIiEEEENSB_INSC_IsEEEESG_sNS9_4plusIvEENS9_8equal_toIvEEsEE10hipError_tPvRmT2_T3_T4_T5_mT6_T7_P12ihipStream_tbENKUlT_T0_E_clISt17integral_constantIbLb1EES10_IbLb0EEEEDaSW_SX_EUlSW_E_NS1_11comp_targetILNS1_3genE8ELNS1_11target_archE1030ELNS1_3gpuE2ELNS1_3repE0EEENS1_30default_config_static_selectorELNS0_4arch9wavefront6targetE1EEEvT1_
    .private_segment_fixed_size: 0
    .sgpr_count:     4
    .sgpr_spill_count: 0
    .symbol:         _ZN7rocprim17ROCPRIM_400000_NS6detail17trampoline_kernelINS0_14default_configENS1_27scan_by_key_config_selectorIisEEZZNS1_16scan_by_key_implILNS1_25lookback_scan_determinismE0ELb1ES3_N6thrust23THRUST_200600_302600_NS6detail15normal_iteratorINS9_10device_ptrIiEEEENSB_INSC_IsEEEESG_sNS9_4plusIvEENS9_8equal_toIvEEsEE10hipError_tPvRmT2_T3_T4_T5_mT6_T7_P12ihipStream_tbENKUlT_T0_E_clISt17integral_constantIbLb1EES10_IbLb0EEEEDaSW_SX_EUlSW_E_NS1_11comp_targetILNS1_3genE8ELNS1_11target_archE1030ELNS1_3gpuE2ELNS1_3repE0EEENS1_30default_config_static_selectorELNS0_4arch9wavefront6targetE1EEEvT1_.kd
    .uniform_work_group_size: 1
    .uses_dynamic_stack: false
    .vgpr_count:     0
    .vgpr_spill_count: 0
    .wavefront_size: 64
  - .agpr_count:     0
    .args:
      - .offset:         0
        .size:           112
        .value_kind:     by_value
    .group_segment_fixed_size: 0
    .kernarg_segment_align: 8
    .kernarg_segment_size: 112
    .language:       OpenCL C
    .language_version:
      - 2
      - 0
    .max_flat_workgroup_size: 256
    .name:           _ZN7rocprim17ROCPRIM_400000_NS6detail17trampoline_kernelINS0_14default_configENS1_27scan_by_key_config_selectorIisEEZZNS1_16scan_by_key_implILNS1_25lookback_scan_determinismE0ELb1ES3_N6thrust23THRUST_200600_302600_NS6detail15normal_iteratorINS9_10device_ptrIiEEEENSB_INSC_IsEEEESG_sNS9_4plusIvEENS9_8equal_toIvEEsEE10hipError_tPvRmT2_T3_T4_T5_mT6_T7_P12ihipStream_tbENKUlT_T0_E_clISt17integral_constantIbLb0EES10_IbLb1EEEEDaSW_SX_EUlSW_E_NS1_11comp_targetILNS1_3genE0ELNS1_11target_archE4294967295ELNS1_3gpuE0ELNS1_3repE0EEENS1_30default_config_static_selectorELNS0_4arch9wavefront6targetE1EEEvT1_
    .private_segment_fixed_size: 0
    .sgpr_count:     4
    .sgpr_spill_count: 0
    .symbol:         _ZN7rocprim17ROCPRIM_400000_NS6detail17trampoline_kernelINS0_14default_configENS1_27scan_by_key_config_selectorIisEEZZNS1_16scan_by_key_implILNS1_25lookback_scan_determinismE0ELb1ES3_N6thrust23THRUST_200600_302600_NS6detail15normal_iteratorINS9_10device_ptrIiEEEENSB_INSC_IsEEEESG_sNS9_4plusIvEENS9_8equal_toIvEEsEE10hipError_tPvRmT2_T3_T4_T5_mT6_T7_P12ihipStream_tbENKUlT_T0_E_clISt17integral_constantIbLb0EES10_IbLb1EEEEDaSW_SX_EUlSW_E_NS1_11comp_targetILNS1_3genE0ELNS1_11target_archE4294967295ELNS1_3gpuE0ELNS1_3repE0EEENS1_30default_config_static_selectorELNS0_4arch9wavefront6targetE1EEEvT1_.kd
    .uniform_work_group_size: 1
    .uses_dynamic_stack: false
    .vgpr_count:     0
    .vgpr_spill_count: 0
    .wavefront_size: 64
  - .agpr_count:     0
    .args:
      - .offset:         0
        .size:           112
        .value_kind:     by_value
    .group_segment_fixed_size: 0
    .kernarg_segment_align: 8
    .kernarg_segment_size: 112
    .language:       OpenCL C
    .language_version:
      - 2
      - 0
    .max_flat_workgroup_size: 256
    .name:           _ZN7rocprim17ROCPRIM_400000_NS6detail17trampoline_kernelINS0_14default_configENS1_27scan_by_key_config_selectorIisEEZZNS1_16scan_by_key_implILNS1_25lookback_scan_determinismE0ELb1ES3_N6thrust23THRUST_200600_302600_NS6detail15normal_iteratorINS9_10device_ptrIiEEEENSB_INSC_IsEEEESG_sNS9_4plusIvEENS9_8equal_toIvEEsEE10hipError_tPvRmT2_T3_T4_T5_mT6_T7_P12ihipStream_tbENKUlT_T0_E_clISt17integral_constantIbLb0EES10_IbLb1EEEEDaSW_SX_EUlSW_E_NS1_11comp_targetILNS1_3genE10ELNS1_11target_archE1201ELNS1_3gpuE5ELNS1_3repE0EEENS1_30default_config_static_selectorELNS0_4arch9wavefront6targetE1EEEvT1_
    .private_segment_fixed_size: 0
    .sgpr_count:     4
    .sgpr_spill_count: 0
    .symbol:         _ZN7rocprim17ROCPRIM_400000_NS6detail17trampoline_kernelINS0_14default_configENS1_27scan_by_key_config_selectorIisEEZZNS1_16scan_by_key_implILNS1_25lookback_scan_determinismE0ELb1ES3_N6thrust23THRUST_200600_302600_NS6detail15normal_iteratorINS9_10device_ptrIiEEEENSB_INSC_IsEEEESG_sNS9_4plusIvEENS9_8equal_toIvEEsEE10hipError_tPvRmT2_T3_T4_T5_mT6_T7_P12ihipStream_tbENKUlT_T0_E_clISt17integral_constantIbLb0EES10_IbLb1EEEEDaSW_SX_EUlSW_E_NS1_11comp_targetILNS1_3genE10ELNS1_11target_archE1201ELNS1_3gpuE5ELNS1_3repE0EEENS1_30default_config_static_selectorELNS0_4arch9wavefront6targetE1EEEvT1_.kd
    .uniform_work_group_size: 1
    .uses_dynamic_stack: false
    .vgpr_count:     0
    .vgpr_spill_count: 0
    .wavefront_size: 64
  - .agpr_count:     0
    .args:
      - .offset:         0
        .size:           112
        .value_kind:     by_value
    .group_segment_fixed_size: 0
    .kernarg_segment_align: 8
    .kernarg_segment_size: 112
    .language:       OpenCL C
    .language_version:
      - 2
      - 0
    .max_flat_workgroup_size: 256
    .name:           _ZN7rocprim17ROCPRIM_400000_NS6detail17trampoline_kernelINS0_14default_configENS1_27scan_by_key_config_selectorIisEEZZNS1_16scan_by_key_implILNS1_25lookback_scan_determinismE0ELb1ES3_N6thrust23THRUST_200600_302600_NS6detail15normal_iteratorINS9_10device_ptrIiEEEENSB_INSC_IsEEEESG_sNS9_4plusIvEENS9_8equal_toIvEEsEE10hipError_tPvRmT2_T3_T4_T5_mT6_T7_P12ihipStream_tbENKUlT_T0_E_clISt17integral_constantIbLb0EES10_IbLb1EEEEDaSW_SX_EUlSW_E_NS1_11comp_targetILNS1_3genE5ELNS1_11target_archE942ELNS1_3gpuE9ELNS1_3repE0EEENS1_30default_config_static_selectorELNS0_4arch9wavefront6targetE1EEEvT1_
    .private_segment_fixed_size: 0
    .sgpr_count:     4
    .sgpr_spill_count: 0
    .symbol:         _ZN7rocprim17ROCPRIM_400000_NS6detail17trampoline_kernelINS0_14default_configENS1_27scan_by_key_config_selectorIisEEZZNS1_16scan_by_key_implILNS1_25lookback_scan_determinismE0ELb1ES3_N6thrust23THRUST_200600_302600_NS6detail15normal_iteratorINS9_10device_ptrIiEEEENSB_INSC_IsEEEESG_sNS9_4plusIvEENS9_8equal_toIvEEsEE10hipError_tPvRmT2_T3_T4_T5_mT6_T7_P12ihipStream_tbENKUlT_T0_E_clISt17integral_constantIbLb0EES10_IbLb1EEEEDaSW_SX_EUlSW_E_NS1_11comp_targetILNS1_3genE5ELNS1_11target_archE942ELNS1_3gpuE9ELNS1_3repE0EEENS1_30default_config_static_selectorELNS0_4arch9wavefront6targetE1EEEvT1_.kd
    .uniform_work_group_size: 1
    .uses_dynamic_stack: false
    .vgpr_count:     0
    .vgpr_spill_count: 0
    .wavefront_size: 64
  - .agpr_count:     0
    .args:
      - .offset:         0
        .size:           112
        .value_kind:     by_value
    .group_segment_fixed_size: 6656
    .kernarg_segment_align: 8
    .kernarg_segment_size: 112
    .language:       OpenCL C
    .language_version:
      - 2
      - 0
    .max_flat_workgroup_size: 64
    .name:           _ZN7rocprim17ROCPRIM_400000_NS6detail17trampoline_kernelINS0_14default_configENS1_27scan_by_key_config_selectorIisEEZZNS1_16scan_by_key_implILNS1_25lookback_scan_determinismE0ELb1ES3_N6thrust23THRUST_200600_302600_NS6detail15normal_iteratorINS9_10device_ptrIiEEEENSB_INSC_IsEEEESG_sNS9_4plusIvEENS9_8equal_toIvEEsEE10hipError_tPvRmT2_T3_T4_T5_mT6_T7_P12ihipStream_tbENKUlT_T0_E_clISt17integral_constantIbLb0EES10_IbLb1EEEEDaSW_SX_EUlSW_E_NS1_11comp_targetILNS1_3genE4ELNS1_11target_archE910ELNS1_3gpuE8ELNS1_3repE0EEENS1_30default_config_static_selectorELNS0_4arch9wavefront6targetE1EEEvT1_
    .private_segment_fixed_size: 0
    .sgpr_count:     88
    .sgpr_spill_count: 0
    .symbol:         _ZN7rocprim17ROCPRIM_400000_NS6detail17trampoline_kernelINS0_14default_configENS1_27scan_by_key_config_selectorIisEEZZNS1_16scan_by_key_implILNS1_25lookback_scan_determinismE0ELb1ES3_N6thrust23THRUST_200600_302600_NS6detail15normal_iteratorINS9_10device_ptrIiEEEENSB_INSC_IsEEEESG_sNS9_4plusIvEENS9_8equal_toIvEEsEE10hipError_tPvRmT2_T3_T4_T5_mT6_T7_P12ihipStream_tbENKUlT_T0_E_clISt17integral_constantIbLb0EES10_IbLb1EEEEDaSW_SX_EUlSW_E_NS1_11comp_targetILNS1_3genE4ELNS1_11target_archE910ELNS1_3gpuE8ELNS1_3repE0EEENS1_30default_config_static_selectorELNS0_4arch9wavefront6targetE1EEEvT1_.kd
    .uniform_work_group_size: 1
    .uses_dynamic_stack: false
    .vgpr_count:     61
    .vgpr_spill_count: 0
    .wavefront_size: 64
  - .agpr_count:     0
    .args:
      - .offset:         0
        .size:           112
        .value_kind:     by_value
    .group_segment_fixed_size: 0
    .kernarg_segment_align: 8
    .kernarg_segment_size: 112
    .language:       OpenCL C
    .language_version:
      - 2
      - 0
    .max_flat_workgroup_size: 256
    .name:           _ZN7rocprim17ROCPRIM_400000_NS6detail17trampoline_kernelINS0_14default_configENS1_27scan_by_key_config_selectorIisEEZZNS1_16scan_by_key_implILNS1_25lookback_scan_determinismE0ELb1ES3_N6thrust23THRUST_200600_302600_NS6detail15normal_iteratorINS9_10device_ptrIiEEEENSB_INSC_IsEEEESG_sNS9_4plusIvEENS9_8equal_toIvEEsEE10hipError_tPvRmT2_T3_T4_T5_mT6_T7_P12ihipStream_tbENKUlT_T0_E_clISt17integral_constantIbLb0EES10_IbLb1EEEEDaSW_SX_EUlSW_E_NS1_11comp_targetILNS1_3genE3ELNS1_11target_archE908ELNS1_3gpuE7ELNS1_3repE0EEENS1_30default_config_static_selectorELNS0_4arch9wavefront6targetE1EEEvT1_
    .private_segment_fixed_size: 0
    .sgpr_count:     4
    .sgpr_spill_count: 0
    .symbol:         _ZN7rocprim17ROCPRIM_400000_NS6detail17trampoline_kernelINS0_14default_configENS1_27scan_by_key_config_selectorIisEEZZNS1_16scan_by_key_implILNS1_25lookback_scan_determinismE0ELb1ES3_N6thrust23THRUST_200600_302600_NS6detail15normal_iteratorINS9_10device_ptrIiEEEENSB_INSC_IsEEEESG_sNS9_4plusIvEENS9_8equal_toIvEEsEE10hipError_tPvRmT2_T3_T4_T5_mT6_T7_P12ihipStream_tbENKUlT_T0_E_clISt17integral_constantIbLb0EES10_IbLb1EEEEDaSW_SX_EUlSW_E_NS1_11comp_targetILNS1_3genE3ELNS1_11target_archE908ELNS1_3gpuE7ELNS1_3repE0EEENS1_30default_config_static_selectorELNS0_4arch9wavefront6targetE1EEEvT1_.kd
    .uniform_work_group_size: 1
    .uses_dynamic_stack: false
    .vgpr_count:     0
    .vgpr_spill_count: 0
    .wavefront_size: 64
  - .agpr_count:     0
    .args:
      - .offset:         0
        .size:           112
        .value_kind:     by_value
    .group_segment_fixed_size: 0
    .kernarg_segment_align: 8
    .kernarg_segment_size: 112
    .language:       OpenCL C
    .language_version:
      - 2
      - 0
    .max_flat_workgroup_size: 64
    .name:           _ZN7rocprim17ROCPRIM_400000_NS6detail17trampoline_kernelINS0_14default_configENS1_27scan_by_key_config_selectorIisEEZZNS1_16scan_by_key_implILNS1_25lookback_scan_determinismE0ELb1ES3_N6thrust23THRUST_200600_302600_NS6detail15normal_iteratorINS9_10device_ptrIiEEEENSB_INSC_IsEEEESG_sNS9_4plusIvEENS9_8equal_toIvEEsEE10hipError_tPvRmT2_T3_T4_T5_mT6_T7_P12ihipStream_tbENKUlT_T0_E_clISt17integral_constantIbLb0EES10_IbLb1EEEEDaSW_SX_EUlSW_E_NS1_11comp_targetILNS1_3genE2ELNS1_11target_archE906ELNS1_3gpuE6ELNS1_3repE0EEENS1_30default_config_static_selectorELNS0_4arch9wavefront6targetE1EEEvT1_
    .private_segment_fixed_size: 0
    .sgpr_count:     4
    .sgpr_spill_count: 0
    .symbol:         _ZN7rocprim17ROCPRIM_400000_NS6detail17trampoline_kernelINS0_14default_configENS1_27scan_by_key_config_selectorIisEEZZNS1_16scan_by_key_implILNS1_25lookback_scan_determinismE0ELb1ES3_N6thrust23THRUST_200600_302600_NS6detail15normal_iteratorINS9_10device_ptrIiEEEENSB_INSC_IsEEEESG_sNS9_4plusIvEENS9_8equal_toIvEEsEE10hipError_tPvRmT2_T3_T4_T5_mT6_T7_P12ihipStream_tbENKUlT_T0_E_clISt17integral_constantIbLb0EES10_IbLb1EEEEDaSW_SX_EUlSW_E_NS1_11comp_targetILNS1_3genE2ELNS1_11target_archE906ELNS1_3gpuE6ELNS1_3repE0EEENS1_30default_config_static_selectorELNS0_4arch9wavefront6targetE1EEEvT1_.kd
    .uniform_work_group_size: 1
    .uses_dynamic_stack: false
    .vgpr_count:     0
    .vgpr_spill_count: 0
    .wavefront_size: 64
  - .agpr_count:     0
    .args:
      - .offset:         0
        .size:           112
        .value_kind:     by_value
    .group_segment_fixed_size: 0
    .kernarg_segment_align: 8
    .kernarg_segment_size: 112
    .language:       OpenCL C
    .language_version:
      - 2
      - 0
    .max_flat_workgroup_size: 256
    .name:           _ZN7rocprim17ROCPRIM_400000_NS6detail17trampoline_kernelINS0_14default_configENS1_27scan_by_key_config_selectorIisEEZZNS1_16scan_by_key_implILNS1_25lookback_scan_determinismE0ELb1ES3_N6thrust23THRUST_200600_302600_NS6detail15normal_iteratorINS9_10device_ptrIiEEEENSB_INSC_IsEEEESG_sNS9_4plusIvEENS9_8equal_toIvEEsEE10hipError_tPvRmT2_T3_T4_T5_mT6_T7_P12ihipStream_tbENKUlT_T0_E_clISt17integral_constantIbLb0EES10_IbLb1EEEEDaSW_SX_EUlSW_E_NS1_11comp_targetILNS1_3genE10ELNS1_11target_archE1200ELNS1_3gpuE4ELNS1_3repE0EEENS1_30default_config_static_selectorELNS0_4arch9wavefront6targetE1EEEvT1_
    .private_segment_fixed_size: 0
    .sgpr_count:     4
    .sgpr_spill_count: 0
    .symbol:         _ZN7rocprim17ROCPRIM_400000_NS6detail17trampoline_kernelINS0_14default_configENS1_27scan_by_key_config_selectorIisEEZZNS1_16scan_by_key_implILNS1_25lookback_scan_determinismE0ELb1ES3_N6thrust23THRUST_200600_302600_NS6detail15normal_iteratorINS9_10device_ptrIiEEEENSB_INSC_IsEEEESG_sNS9_4plusIvEENS9_8equal_toIvEEsEE10hipError_tPvRmT2_T3_T4_T5_mT6_T7_P12ihipStream_tbENKUlT_T0_E_clISt17integral_constantIbLb0EES10_IbLb1EEEEDaSW_SX_EUlSW_E_NS1_11comp_targetILNS1_3genE10ELNS1_11target_archE1200ELNS1_3gpuE4ELNS1_3repE0EEENS1_30default_config_static_selectorELNS0_4arch9wavefront6targetE1EEEvT1_.kd
    .uniform_work_group_size: 1
    .uses_dynamic_stack: false
    .vgpr_count:     0
    .vgpr_spill_count: 0
    .wavefront_size: 64
  - .agpr_count:     0
    .args:
      - .offset:         0
        .size:           112
        .value_kind:     by_value
    .group_segment_fixed_size: 0
    .kernarg_segment_align: 8
    .kernarg_segment_size: 112
    .language:       OpenCL C
    .language_version:
      - 2
      - 0
    .max_flat_workgroup_size: 64
    .name:           _ZN7rocprim17ROCPRIM_400000_NS6detail17trampoline_kernelINS0_14default_configENS1_27scan_by_key_config_selectorIisEEZZNS1_16scan_by_key_implILNS1_25lookback_scan_determinismE0ELb1ES3_N6thrust23THRUST_200600_302600_NS6detail15normal_iteratorINS9_10device_ptrIiEEEENSB_INSC_IsEEEESG_sNS9_4plusIvEENS9_8equal_toIvEEsEE10hipError_tPvRmT2_T3_T4_T5_mT6_T7_P12ihipStream_tbENKUlT_T0_E_clISt17integral_constantIbLb0EES10_IbLb1EEEEDaSW_SX_EUlSW_E_NS1_11comp_targetILNS1_3genE9ELNS1_11target_archE1100ELNS1_3gpuE3ELNS1_3repE0EEENS1_30default_config_static_selectorELNS0_4arch9wavefront6targetE1EEEvT1_
    .private_segment_fixed_size: 0
    .sgpr_count:     4
    .sgpr_spill_count: 0
    .symbol:         _ZN7rocprim17ROCPRIM_400000_NS6detail17trampoline_kernelINS0_14default_configENS1_27scan_by_key_config_selectorIisEEZZNS1_16scan_by_key_implILNS1_25lookback_scan_determinismE0ELb1ES3_N6thrust23THRUST_200600_302600_NS6detail15normal_iteratorINS9_10device_ptrIiEEEENSB_INSC_IsEEEESG_sNS9_4plusIvEENS9_8equal_toIvEEsEE10hipError_tPvRmT2_T3_T4_T5_mT6_T7_P12ihipStream_tbENKUlT_T0_E_clISt17integral_constantIbLb0EES10_IbLb1EEEEDaSW_SX_EUlSW_E_NS1_11comp_targetILNS1_3genE9ELNS1_11target_archE1100ELNS1_3gpuE3ELNS1_3repE0EEENS1_30default_config_static_selectorELNS0_4arch9wavefront6targetE1EEEvT1_.kd
    .uniform_work_group_size: 1
    .uses_dynamic_stack: false
    .vgpr_count:     0
    .vgpr_spill_count: 0
    .wavefront_size: 64
  - .agpr_count:     0
    .args:
      - .offset:         0
        .size:           112
        .value_kind:     by_value
    .group_segment_fixed_size: 0
    .kernarg_segment_align: 8
    .kernarg_segment_size: 112
    .language:       OpenCL C
    .language_version:
      - 2
      - 0
    .max_flat_workgroup_size: 64
    .name:           _ZN7rocprim17ROCPRIM_400000_NS6detail17trampoline_kernelINS0_14default_configENS1_27scan_by_key_config_selectorIisEEZZNS1_16scan_by_key_implILNS1_25lookback_scan_determinismE0ELb1ES3_N6thrust23THRUST_200600_302600_NS6detail15normal_iteratorINS9_10device_ptrIiEEEENSB_INSC_IsEEEESG_sNS9_4plusIvEENS9_8equal_toIvEEsEE10hipError_tPvRmT2_T3_T4_T5_mT6_T7_P12ihipStream_tbENKUlT_T0_E_clISt17integral_constantIbLb0EES10_IbLb1EEEEDaSW_SX_EUlSW_E_NS1_11comp_targetILNS1_3genE8ELNS1_11target_archE1030ELNS1_3gpuE2ELNS1_3repE0EEENS1_30default_config_static_selectorELNS0_4arch9wavefront6targetE1EEEvT1_
    .private_segment_fixed_size: 0
    .sgpr_count:     4
    .sgpr_spill_count: 0
    .symbol:         _ZN7rocprim17ROCPRIM_400000_NS6detail17trampoline_kernelINS0_14default_configENS1_27scan_by_key_config_selectorIisEEZZNS1_16scan_by_key_implILNS1_25lookback_scan_determinismE0ELb1ES3_N6thrust23THRUST_200600_302600_NS6detail15normal_iteratorINS9_10device_ptrIiEEEENSB_INSC_IsEEEESG_sNS9_4plusIvEENS9_8equal_toIvEEsEE10hipError_tPvRmT2_T3_T4_T5_mT6_T7_P12ihipStream_tbENKUlT_T0_E_clISt17integral_constantIbLb0EES10_IbLb1EEEEDaSW_SX_EUlSW_E_NS1_11comp_targetILNS1_3genE8ELNS1_11target_archE1030ELNS1_3gpuE2ELNS1_3repE0EEENS1_30default_config_static_selectorELNS0_4arch9wavefront6targetE1EEEvT1_.kd
    .uniform_work_group_size: 1
    .uses_dynamic_stack: false
    .vgpr_count:     0
    .vgpr_spill_count: 0
    .wavefront_size: 64
  - .agpr_count:     0
    .args:
      - .offset:         0
        .size:           16
        .value_kind:     by_value
      - .offset:         16
        .size:           8
        .value_kind:     by_value
      - .offset:         24
        .size:           8
        .value_kind:     by_value
    .group_segment_fixed_size: 0
    .kernarg_segment_align: 8
    .kernarg_segment_size: 32
    .language:       OpenCL C
    .language_version:
      - 2
      - 0
    .max_flat_workgroup_size: 256
    .name:           _ZN6thrust23THRUST_200600_302600_NS11hip_rocprim14__parallel_for6kernelILj256ENS1_20__uninitialized_fill7functorINS0_10device_ptrIfEEfEEmLj1EEEvT0_T1_SA_
    .private_segment_fixed_size: 0
    .sgpr_count:     16
    .sgpr_spill_count: 0
    .symbol:         _ZN6thrust23THRUST_200600_302600_NS11hip_rocprim14__parallel_for6kernelILj256ENS1_20__uninitialized_fill7functorINS0_10device_ptrIfEEfEEmLj1EEEvT0_T1_SA_.kd
    .uniform_work_group_size: 1
    .uses_dynamic_stack: false
    .vgpr_count:     4
    .vgpr_spill_count: 0
    .wavefront_size: 64
  - .agpr_count:     0
    .args:
      - .offset:         0
        .size:           112
        .value_kind:     by_value
    .group_segment_fixed_size: 0
    .kernarg_segment_align: 8
    .kernarg_segment_size: 112
    .language:       OpenCL C
    .language_version:
      - 2
      - 0
    .max_flat_workgroup_size: 256
    .name:           _ZN7rocprim17ROCPRIM_400000_NS6detail17trampoline_kernelINS0_14default_configENS1_27scan_by_key_config_selectorIijEEZZNS1_16scan_by_key_implILNS1_25lookback_scan_determinismE0ELb0ES3_N6thrust23THRUST_200600_302600_NS6detail15normal_iteratorINS9_10device_ptrIiEEEENSB_INSC_IjEEEENSB_INSC_IfEEEEjNS9_4plusIvEENS9_8equal_toIvEEjEE10hipError_tPvRmT2_T3_T4_T5_mT6_T7_P12ihipStream_tbENKUlT_T0_E_clISt17integral_constantIbLb0EES13_EEDaSY_SZ_EUlSY_E_NS1_11comp_targetILNS1_3genE0ELNS1_11target_archE4294967295ELNS1_3gpuE0ELNS1_3repE0EEENS1_30default_config_static_selectorELNS0_4arch9wavefront6targetE1EEEvT1_
    .private_segment_fixed_size: 0
    .sgpr_count:     4
    .sgpr_spill_count: 0
    .symbol:         _ZN7rocprim17ROCPRIM_400000_NS6detail17trampoline_kernelINS0_14default_configENS1_27scan_by_key_config_selectorIijEEZZNS1_16scan_by_key_implILNS1_25lookback_scan_determinismE0ELb0ES3_N6thrust23THRUST_200600_302600_NS6detail15normal_iteratorINS9_10device_ptrIiEEEENSB_INSC_IjEEEENSB_INSC_IfEEEEjNS9_4plusIvEENS9_8equal_toIvEEjEE10hipError_tPvRmT2_T3_T4_T5_mT6_T7_P12ihipStream_tbENKUlT_T0_E_clISt17integral_constantIbLb0EES13_EEDaSY_SZ_EUlSY_E_NS1_11comp_targetILNS1_3genE0ELNS1_11target_archE4294967295ELNS1_3gpuE0ELNS1_3repE0EEENS1_30default_config_static_selectorELNS0_4arch9wavefront6targetE1EEEvT1_.kd
    .uniform_work_group_size: 1
    .uses_dynamic_stack: false
    .vgpr_count:     0
    .vgpr_spill_count: 0
    .wavefront_size: 64
  - .agpr_count:     0
    .args:
      - .offset:         0
        .size:           112
        .value_kind:     by_value
    .group_segment_fixed_size: 0
    .kernarg_segment_align: 8
    .kernarg_segment_size: 112
    .language:       OpenCL C
    .language_version:
      - 2
      - 0
    .max_flat_workgroup_size: 256
    .name:           _ZN7rocprim17ROCPRIM_400000_NS6detail17trampoline_kernelINS0_14default_configENS1_27scan_by_key_config_selectorIijEEZZNS1_16scan_by_key_implILNS1_25lookback_scan_determinismE0ELb0ES3_N6thrust23THRUST_200600_302600_NS6detail15normal_iteratorINS9_10device_ptrIiEEEENSB_INSC_IjEEEENSB_INSC_IfEEEEjNS9_4plusIvEENS9_8equal_toIvEEjEE10hipError_tPvRmT2_T3_T4_T5_mT6_T7_P12ihipStream_tbENKUlT_T0_E_clISt17integral_constantIbLb0EES13_EEDaSY_SZ_EUlSY_E_NS1_11comp_targetILNS1_3genE10ELNS1_11target_archE1201ELNS1_3gpuE5ELNS1_3repE0EEENS1_30default_config_static_selectorELNS0_4arch9wavefront6targetE1EEEvT1_
    .private_segment_fixed_size: 0
    .sgpr_count:     4
    .sgpr_spill_count: 0
    .symbol:         _ZN7rocprim17ROCPRIM_400000_NS6detail17trampoline_kernelINS0_14default_configENS1_27scan_by_key_config_selectorIijEEZZNS1_16scan_by_key_implILNS1_25lookback_scan_determinismE0ELb0ES3_N6thrust23THRUST_200600_302600_NS6detail15normal_iteratorINS9_10device_ptrIiEEEENSB_INSC_IjEEEENSB_INSC_IfEEEEjNS9_4plusIvEENS9_8equal_toIvEEjEE10hipError_tPvRmT2_T3_T4_T5_mT6_T7_P12ihipStream_tbENKUlT_T0_E_clISt17integral_constantIbLb0EES13_EEDaSY_SZ_EUlSY_E_NS1_11comp_targetILNS1_3genE10ELNS1_11target_archE1201ELNS1_3gpuE5ELNS1_3repE0EEENS1_30default_config_static_selectorELNS0_4arch9wavefront6targetE1EEEvT1_.kd
    .uniform_work_group_size: 1
    .uses_dynamic_stack: false
    .vgpr_count:     0
    .vgpr_spill_count: 0
    .wavefront_size: 64
  - .agpr_count:     0
    .args:
      - .offset:         0
        .size:           112
        .value_kind:     by_value
    .group_segment_fixed_size: 0
    .kernarg_segment_align: 8
    .kernarg_segment_size: 112
    .language:       OpenCL C
    .language_version:
      - 2
      - 0
    .max_flat_workgroup_size: 256
    .name:           _ZN7rocprim17ROCPRIM_400000_NS6detail17trampoline_kernelINS0_14default_configENS1_27scan_by_key_config_selectorIijEEZZNS1_16scan_by_key_implILNS1_25lookback_scan_determinismE0ELb0ES3_N6thrust23THRUST_200600_302600_NS6detail15normal_iteratorINS9_10device_ptrIiEEEENSB_INSC_IjEEEENSB_INSC_IfEEEEjNS9_4plusIvEENS9_8equal_toIvEEjEE10hipError_tPvRmT2_T3_T4_T5_mT6_T7_P12ihipStream_tbENKUlT_T0_E_clISt17integral_constantIbLb0EES13_EEDaSY_SZ_EUlSY_E_NS1_11comp_targetILNS1_3genE5ELNS1_11target_archE942ELNS1_3gpuE9ELNS1_3repE0EEENS1_30default_config_static_selectorELNS0_4arch9wavefront6targetE1EEEvT1_
    .private_segment_fixed_size: 0
    .sgpr_count:     4
    .sgpr_spill_count: 0
    .symbol:         _ZN7rocprim17ROCPRIM_400000_NS6detail17trampoline_kernelINS0_14default_configENS1_27scan_by_key_config_selectorIijEEZZNS1_16scan_by_key_implILNS1_25lookback_scan_determinismE0ELb0ES3_N6thrust23THRUST_200600_302600_NS6detail15normal_iteratorINS9_10device_ptrIiEEEENSB_INSC_IjEEEENSB_INSC_IfEEEEjNS9_4plusIvEENS9_8equal_toIvEEjEE10hipError_tPvRmT2_T3_T4_T5_mT6_T7_P12ihipStream_tbENKUlT_T0_E_clISt17integral_constantIbLb0EES13_EEDaSY_SZ_EUlSY_E_NS1_11comp_targetILNS1_3genE5ELNS1_11target_archE942ELNS1_3gpuE9ELNS1_3repE0EEENS1_30default_config_static_selectorELNS0_4arch9wavefront6targetE1EEEvT1_.kd
    .uniform_work_group_size: 1
    .uses_dynamic_stack: false
    .vgpr_count:     0
    .vgpr_spill_count: 0
    .wavefront_size: 64
  - .agpr_count:     0
    .args:
      - .offset:         0
        .size:           112
        .value_kind:     by_value
    .group_segment_fixed_size: 16384
    .kernarg_segment_align: 8
    .kernarg_segment_size: 112
    .language:       OpenCL C
    .language_version:
      - 2
      - 0
    .max_flat_workgroup_size: 256
    .name:           _ZN7rocprim17ROCPRIM_400000_NS6detail17trampoline_kernelINS0_14default_configENS1_27scan_by_key_config_selectorIijEEZZNS1_16scan_by_key_implILNS1_25lookback_scan_determinismE0ELb0ES3_N6thrust23THRUST_200600_302600_NS6detail15normal_iteratorINS9_10device_ptrIiEEEENSB_INSC_IjEEEENSB_INSC_IfEEEEjNS9_4plusIvEENS9_8equal_toIvEEjEE10hipError_tPvRmT2_T3_T4_T5_mT6_T7_P12ihipStream_tbENKUlT_T0_E_clISt17integral_constantIbLb0EES13_EEDaSY_SZ_EUlSY_E_NS1_11comp_targetILNS1_3genE4ELNS1_11target_archE910ELNS1_3gpuE8ELNS1_3repE0EEENS1_30default_config_static_selectorELNS0_4arch9wavefront6targetE1EEEvT1_
    .private_segment_fixed_size: 0
    .sgpr_count:     65
    .sgpr_spill_count: 0
    .symbol:         _ZN7rocprim17ROCPRIM_400000_NS6detail17trampoline_kernelINS0_14default_configENS1_27scan_by_key_config_selectorIijEEZZNS1_16scan_by_key_implILNS1_25lookback_scan_determinismE0ELb0ES3_N6thrust23THRUST_200600_302600_NS6detail15normal_iteratorINS9_10device_ptrIiEEEENSB_INSC_IjEEEENSB_INSC_IfEEEEjNS9_4plusIvEENS9_8equal_toIvEEjEE10hipError_tPvRmT2_T3_T4_T5_mT6_T7_P12ihipStream_tbENKUlT_T0_E_clISt17integral_constantIbLb0EES13_EEDaSY_SZ_EUlSY_E_NS1_11comp_targetILNS1_3genE4ELNS1_11target_archE910ELNS1_3gpuE8ELNS1_3repE0EEENS1_30default_config_static_selectorELNS0_4arch9wavefront6targetE1EEEvT1_.kd
    .uniform_work_group_size: 1
    .uses_dynamic_stack: false
    .vgpr_count:     65
    .vgpr_spill_count: 0
    .wavefront_size: 64
  - .agpr_count:     0
    .args:
      - .offset:         0
        .size:           112
        .value_kind:     by_value
    .group_segment_fixed_size: 0
    .kernarg_segment_align: 8
    .kernarg_segment_size: 112
    .language:       OpenCL C
    .language_version:
      - 2
      - 0
    .max_flat_workgroup_size: 256
    .name:           _ZN7rocprim17ROCPRIM_400000_NS6detail17trampoline_kernelINS0_14default_configENS1_27scan_by_key_config_selectorIijEEZZNS1_16scan_by_key_implILNS1_25lookback_scan_determinismE0ELb0ES3_N6thrust23THRUST_200600_302600_NS6detail15normal_iteratorINS9_10device_ptrIiEEEENSB_INSC_IjEEEENSB_INSC_IfEEEEjNS9_4plusIvEENS9_8equal_toIvEEjEE10hipError_tPvRmT2_T3_T4_T5_mT6_T7_P12ihipStream_tbENKUlT_T0_E_clISt17integral_constantIbLb0EES13_EEDaSY_SZ_EUlSY_E_NS1_11comp_targetILNS1_3genE3ELNS1_11target_archE908ELNS1_3gpuE7ELNS1_3repE0EEENS1_30default_config_static_selectorELNS0_4arch9wavefront6targetE1EEEvT1_
    .private_segment_fixed_size: 0
    .sgpr_count:     4
    .sgpr_spill_count: 0
    .symbol:         _ZN7rocprim17ROCPRIM_400000_NS6detail17trampoline_kernelINS0_14default_configENS1_27scan_by_key_config_selectorIijEEZZNS1_16scan_by_key_implILNS1_25lookback_scan_determinismE0ELb0ES3_N6thrust23THRUST_200600_302600_NS6detail15normal_iteratorINS9_10device_ptrIiEEEENSB_INSC_IjEEEENSB_INSC_IfEEEEjNS9_4plusIvEENS9_8equal_toIvEEjEE10hipError_tPvRmT2_T3_T4_T5_mT6_T7_P12ihipStream_tbENKUlT_T0_E_clISt17integral_constantIbLb0EES13_EEDaSY_SZ_EUlSY_E_NS1_11comp_targetILNS1_3genE3ELNS1_11target_archE908ELNS1_3gpuE7ELNS1_3repE0EEENS1_30default_config_static_selectorELNS0_4arch9wavefront6targetE1EEEvT1_.kd
    .uniform_work_group_size: 1
    .uses_dynamic_stack: false
    .vgpr_count:     0
    .vgpr_spill_count: 0
    .wavefront_size: 64
  - .agpr_count:     0
    .args:
      - .offset:         0
        .size:           112
        .value_kind:     by_value
    .group_segment_fixed_size: 0
    .kernarg_segment_align: 8
    .kernarg_segment_size: 112
    .language:       OpenCL C
    .language_version:
      - 2
      - 0
    .max_flat_workgroup_size: 256
    .name:           _ZN7rocprim17ROCPRIM_400000_NS6detail17trampoline_kernelINS0_14default_configENS1_27scan_by_key_config_selectorIijEEZZNS1_16scan_by_key_implILNS1_25lookback_scan_determinismE0ELb0ES3_N6thrust23THRUST_200600_302600_NS6detail15normal_iteratorINS9_10device_ptrIiEEEENSB_INSC_IjEEEENSB_INSC_IfEEEEjNS9_4plusIvEENS9_8equal_toIvEEjEE10hipError_tPvRmT2_T3_T4_T5_mT6_T7_P12ihipStream_tbENKUlT_T0_E_clISt17integral_constantIbLb0EES13_EEDaSY_SZ_EUlSY_E_NS1_11comp_targetILNS1_3genE2ELNS1_11target_archE906ELNS1_3gpuE6ELNS1_3repE0EEENS1_30default_config_static_selectorELNS0_4arch9wavefront6targetE1EEEvT1_
    .private_segment_fixed_size: 0
    .sgpr_count:     4
    .sgpr_spill_count: 0
    .symbol:         _ZN7rocprim17ROCPRIM_400000_NS6detail17trampoline_kernelINS0_14default_configENS1_27scan_by_key_config_selectorIijEEZZNS1_16scan_by_key_implILNS1_25lookback_scan_determinismE0ELb0ES3_N6thrust23THRUST_200600_302600_NS6detail15normal_iteratorINS9_10device_ptrIiEEEENSB_INSC_IjEEEENSB_INSC_IfEEEEjNS9_4plusIvEENS9_8equal_toIvEEjEE10hipError_tPvRmT2_T3_T4_T5_mT6_T7_P12ihipStream_tbENKUlT_T0_E_clISt17integral_constantIbLb0EES13_EEDaSY_SZ_EUlSY_E_NS1_11comp_targetILNS1_3genE2ELNS1_11target_archE906ELNS1_3gpuE6ELNS1_3repE0EEENS1_30default_config_static_selectorELNS0_4arch9wavefront6targetE1EEEvT1_.kd
    .uniform_work_group_size: 1
    .uses_dynamic_stack: false
    .vgpr_count:     0
    .vgpr_spill_count: 0
    .wavefront_size: 64
  - .agpr_count:     0
    .args:
      - .offset:         0
        .size:           112
        .value_kind:     by_value
    .group_segment_fixed_size: 0
    .kernarg_segment_align: 8
    .kernarg_segment_size: 112
    .language:       OpenCL C
    .language_version:
      - 2
      - 0
    .max_flat_workgroup_size: 256
    .name:           _ZN7rocprim17ROCPRIM_400000_NS6detail17trampoline_kernelINS0_14default_configENS1_27scan_by_key_config_selectorIijEEZZNS1_16scan_by_key_implILNS1_25lookback_scan_determinismE0ELb0ES3_N6thrust23THRUST_200600_302600_NS6detail15normal_iteratorINS9_10device_ptrIiEEEENSB_INSC_IjEEEENSB_INSC_IfEEEEjNS9_4plusIvEENS9_8equal_toIvEEjEE10hipError_tPvRmT2_T3_T4_T5_mT6_T7_P12ihipStream_tbENKUlT_T0_E_clISt17integral_constantIbLb0EES13_EEDaSY_SZ_EUlSY_E_NS1_11comp_targetILNS1_3genE10ELNS1_11target_archE1200ELNS1_3gpuE4ELNS1_3repE0EEENS1_30default_config_static_selectorELNS0_4arch9wavefront6targetE1EEEvT1_
    .private_segment_fixed_size: 0
    .sgpr_count:     4
    .sgpr_spill_count: 0
    .symbol:         _ZN7rocprim17ROCPRIM_400000_NS6detail17trampoline_kernelINS0_14default_configENS1_27scan_by_key_config_selectorIijEEZZNS1_16scan_by_key_implILNS1_25lookback_scan_determinismE0ELb0ES3_N6thrust23THRUST_200600_302600_NS6detail15normal_iteratorINS9_10device_ptrIiEEEENSB_INSC_IjEEEENSB_INSC_IfEEEEjNS9_4plusIvEENS9_8equal_toIvEEjEE10hipError_tPvRmT2_T3_T4_T5_mT6_T7_P12ihipStream_tbENKUlT_T0_E_clISt17integral_constantIbLb0EES13_EEDaSY_SZ_EUlSY_E_NS1_11comp_targetILNS1_3genE10ELNS1_11target_archE1200ELNS1_3gpuE4ELNS1_3repE0EEENS1_30default_config_static_selectorELNS0_4arch9wavefront6targetE1EEEvT1_.kd
    .uniform_work_group_size: 1
    .uses_dynamic_stack: false
    .vgpr_count:     0
    .vgpr_spill_count: 0
    .wavefront_size: 64
  - .agpr_count:     0
    .args:
      - .offset:         0
        .size:           112
        .value_kind:     by_value
    .group_segment_fixed_size: 0
    .kernarg_segment_align: 8
    .kernarg_segment_size: 112
    .language:       OpenCL C
    .language_version:
      - 2
      - 0
    .max_flat_workgroup_size: 256
    .name:           _ZN7rocprim17ROCPRIM_400000_NS6detail17trampoline_kernelINS0_14default_configENS1_27scan_by_key_config_selectorIijEEZZNS1_16scan_by_key_implILNS1_25lookback_scan_determinismE0ELb0ES3_N6thrust23THRUST_200600_302600_NS6detail15normal_iteratorINS9_10device_ptrIiEEEENSB_INSC_IjEEEENSB_INSC_IfEEEEjNS9_4plusIvEENS9_8equal_toIvEEjEE10hipError_tPvRmT2_T3_T4_T5_mT6_T7_P12ihipStream_tbENKUlT_T0_E_clISt17integral_constantIbLb0EES13_EEDaSY_SZ_EUlSY_E_NS1_11comp_targetILNS1_3genE9ELNS1_11target_archE1100ELNS1_3gpuE3ELNS1_3repE0EEENS1_30default_config_static_selectorELNS0_4arch9wavefront6targetE1EEEvT1_
    .private_segment_fixed_size: 0
    .sgpr_count:     4
    .sgpr_spill_count: 0
    .symbol:         _ZN7rocprim17ROCPRIM_400000_NS6detail17trampoline_kernelINS0_14default_configENS1_27scan_by_key_config_selectorIijEEZZNS1_16scan_by_key_implILNS1_25lookback_scan_determinismE0ELb0ES3_N6thrust23THRUST_200600_302600_NS6detail15normal_iteratorINS9_10device_ptrIiEEEENSB_INSC_IjEEEENSB_INSC_IfEEEEjNS9_4plusIvEENS9_8equal_toIvEEjEE10hipError_tPvRmT2_T3_T4_T5_mT6_T7_P12ihipStream_tbENKUlT_T0_E_clISt17integral_constantIbLb0EES13_EEDaSY_SZ_EUlSY_E_NS1_11comp_targetILNS1_3genE9ELNS1_11target_archE1100ELNS1_3gpuE3ELNS1_3repE0EEENS1_30default_config_static_selectorELNS0_4arch9wavefront6targetE1EEEvT1_.kd
    .uniform_work_group_size: 1
    .uses_dynamic_stack: false
    .vgpr_count:     0
    .vgpr_spill_count: 0
    .wavefront_size: 64
  - .agpr_count:     0
    .args:
      - .offset:         0
        .size:           112
        .value_kind:     by_value
    .group_segment_fixed_size: 0
    .kernarg_segment_align: 8
    .kernarg_segment_size: 112
    .language:       OpenCL C
    .language_version:
      - 2
      - 0
    .max_flat_workgroup_size: 256
    .name:           _ZN7rocprim17ROCPRIM_400000_NS6detail17trampoline_kernelINS0_14default_configENS1_27scan_by_key_config_selectorIijEEZZNS1_16scan_by_key_implILNS1_25lookback_scan_determinismE0ELb0ES3_N6thrust23THRUST_200600_302600_NS6detail15normal_iteratorINS9_10device_ptrIiEEEENSB_INSC_IjEEEENSB_INSC_IfEEEEjNS9_4plusIvEENS9_8equal_toIvEEjEE10hipError_tPvRmT2_T3_T4_T5_mT6_T7_P12ihipStream_tbENKUlT_T0_E_clISt17integral_constantIbLb0EES13_EEDaSY_SZ_EUlSY_E_NS1_11comp_targetILNS1_3genE8ELNS1_11target_archE1030ELNS1_3gpuE2ELNS1_3repE0EEENS1_30default_config_static_selectorELNS0_4arch9wavefront6targetE1EEEvT1_
    .private_segment_fixed_size: 0
    .sgpr_count:     4
    .sgpr_spill_count: 0
    .symbol:         _ZN7rocprim17ROCPRIM_400000_NS6detail17trampoline_kernelINS0_14default_configENS1_27scan_by_key_config_selectorIijEEZZNS1_16scan_by_key_implILNS1_25lookback_scan_determinismE0ELb0ES3_N6thrust23THRUST_200600_302600_NS6detail15normal_iteratorINS9_10device_ptrIiEEEENSB_INSC_IjEEEENSB_INSC_IfEEEEjNS9_4plusIvEENS9_8equal_toIvEEjEE10hipError_tPvRmT2_T3_T4_T5_mT6_T7_P12ihipStream_tbENKUlT_T0_E_clISt17integral_constantIbLb0EES13_EEDaSY_SZ_EUlSY_E_NS1_11comp_targetILNS1_3genE8ELNS1_11target_archE1030ELNS1_3gpuE2ELNS1_3repE0EEENS1_30default_config_static_selectorELNS0_4arch9wavefront6targetE1EEEvT1_.kd
    .uniform_work_group_size: 1
    .uses_dynamic_stack: false
    .vgpr_count:     0
    .vgpr_spill_count: 0
    .wavefront_size: 64
  - .agpr_count:     0
    .args:
      - .offset:         0
        .size:           112
        .value_kind:     by_value
    .group_segment_fixed_size: 0
    .kernarg_segment_align: 8
    .kernarg_segment_size: 112
    .language:       OpenCL C
    .language_version:
      - 2
      - 0
    .max_flat_workgroup_size: 256
    .name:           _ZN7rocprim17ROCPRIM_400000_NS6detail17trampoline_kernelINS0_14default_configENS1_27scan_by_key_config_selectorIijEEZZNS1_16scan_by_key_implILNS1_25lookback_scan_determinismE0ELb0ES3_N6thrust23THRUST_200600_302600_NS6detail15normal_iteratorINS9_10device_ptrIiEEEENSB_INSC_IjEEEENSB_INSC_IfEEEEjNS9_4plusIvEENS9_8equal_toIvEEjEE10hipError_tPvRmT2_T3_T4_T5_mT6_T7_P12ihipStream_tbENKUlT_T0_E_clISt17integral_constantIbLb1EES13_EEDaSY_SZ_EUlSY_E_NS1_11comp_targetILNS1_3genE0ELNS1_11target_archE4294967295ELNS1_3gpuE0ELNS1_3repE0EEENS1_30default_config_static_selectorELNS0_4arch9wavefront6targetE1EEEvT1_
    .private_segment_fixed_size: 0
    .sgpr_count:     4
    .sgpr_spill_count: 0
    .symbol:         _ZN7rocprim17ROCPRIM_400000_NS6detail17trampoline_kernelINS0_14default_configENS1_27scan_by_key_config_selectorIijEEZZNS1_16scan_by_key_implILNS1_25lookback_scan_determinismE0ELb0ES3_N6thrust23THRUST_200600_302600_NS6detail15normal_iteratorINS9_10device_ptrIiEEEENSB_INSC_IjEEEENSB_INSC_IfEEEEjNS9_4plusIvEENS9_8equal_toIvEEjEE10hipError_tPvRmT2_T3_T4_T5_mT6_T7_P12ihipStream_tbENKUlT_T0_E_clISt17integral_constantIbLb1EES13_EEDaSY_SZ_EUlSY_E_NS1_11comp_targetILNS1_3genE0ELNS1_11target_archE4294967295ELNS1_3gpuE0ELNS1_3repE0EEENS1_30default_config_static_selectorELNS0_4arch9wavefront6targetE1EEEvT1_.kd
    .uniform_work_group_size: 1
    .uses_dynamic_stack: false
    .vgpr_count:     0
    .vgpr_spill_count: 0
    .wavefront_size: 64
  - .agpr_count:     0
    .args:
      - .offset:         0
        .size:           112
        .value_kind:     by_value
    .group_segment_fixed_size: 0
    .kernarg_segment_align: 8
    .kernarg_segment_size: 112
    .language:       OpenCL C
    .language_version:
      - 2
      - 0
    .max_flat_workgroup_size: 256
    .name:           _ZN7rocprim17ROCPRIM_400000_NS6detail17trampoline_kernelINS0_14default_configENS1_27scan_by_key_config_selectorIijEEZZNS1_16scan_by_key_implILNS1_25lookback_scan_determinismE0ELb0ES3_N6thrust23THRUST_200600_302600_NS6detail15normal_iteratorINS9_10device_ptrIiEEEENSB_INSC_IjEEEENSB_INSC_IfEEEEjNS9_4plusIvEENS9_8equal_toIvEEjEE10hipError_tPvRmT2_T3_T4_T5_mT6_T7_P12ihipStream_tbENKUlT_T0_E_clISt17integral_constantIbLb1EES13_EEDaSY_SZ_EUlSY_E_NS1_11comp_targetILNS1_3genE10ELNS1_11target_archE1201ELNS1_3gpuE5ELNS1_3repE0EEENS1_30default_config_static_selectorELNS0_4arch9wavefront6targetE1EEEvT1_
    .private_segment_fixed_size: 0
    .sgpr_count:     4
    .sgpr_spill_count: 0
    .symbol:         _ZN7rocprim17ROCPRIM_400000_NS6detail17trampoline_kernelINS0_14default_configENS1_27scan_by_key_config_selectorIijEEZZNS1_16scan_by_key_implILNS1_25lookback_scan_determinismE0ELb0ES3_N6thrust23THRUST_200600_302600_NS6detail15normal_iteratorINS9_10device_ptrIiEEEENSB_INSC_IjEEEENSB_INSC_IfEEEEjNS9_4plusIvEENS9_8equal_toIvEEjEE10hipError_tPvRmT2_T3_T4_T5_mT6_T7_P12ihipStream_tbENKUlT_T0_E_clISt17integral_constantIbLb1EES13_EEDaSY_SZ_EUlSY_E_NS1_11comp_targetILNS1_3genE10ELNS1_11target_archE1201ELNS1_3gpuE5ELNS1_3repE0EEENS1_30default_config_static_selectorELNS0_4arch9wavefront6targetE1EEEvT1_.kd
    .uniform_work_group_size: 1
    .uses_dynamic_stack: false
    .vgpr_count:     0
    .vgpr_spill_count: 0
    .wavefront_size: 64
  - .agpr_count:     0
    .args:
      - .offset:         0
        .size:           112
        .value_kind:     by_value
    .group_segment_fixed_size: 0
    .kernarg_segment_align: 8
    .kernarg_segment_size: 112
    .language:       OpenCL C
    .language_version:
      - 2
      - 0
    .max_flat_workgroup_size: 256
    .name:           _ZN7rocprim17ROCPRIM_400000_NS6detail17trampoline_kernelINS0_14default_configENS1_27scan_by_key_config_selectorIijEEZZNS1_16scan_by_key_implILNS1_25lookback_scan_determinismE0ELb0ES3_N6thrust23THRUST_200600_302600_NS6detail15normal_iteratorINS9_10device_ptrIiEEEENSB_INSC_IjEEEENSB_INSC_IfEEEEjNS9_4plusIvEENS9_8equal_toIvEEjEE10hipError_tPvRmT2_T3_T4_T5_mT6_T7_P12ihipStream_tbENKUlT_T0_E_clISt17integral_constantIbLb1EES13_EEDaSY_SZ_EUlSY_E_NS1_11comp_targetILNS1_3genE5ELNS1_11target_archE942ELNS1_3gpuE9ELNS1_3repE0EEENS1_30default_config_static_selectorELNS0_4arch9wavefront6targetE1EEEvT1_
    .private_segment_fixed_size: 0
    .sgpr_count:     4
    .sgpr_spill_count: 0
    .symbol:         _ZN7rocprim17ROCPRIM_400000_NS6detail17trampoline_kernelINS0_14default_configENS1_27scan_by_key_config_selectorIijEEZZNS1_16scan_by_key_implILNS1_25lookback_scan_determinismE0ELb0ES3_N6thrust23THRUST_200600_302600_NS6detail15normal_iteratorINS9_10device_ptrIiEEEENSB_INSC_IjEEEENSB_INSC_IfEEEEjNS9_4plusIvEENS9_8equal_toIvEEjEE10hipError_tPvRmT2_T3_T4_T5_mT6_T7_P12ihipStream_tbENKUlT_T0_E_clISt17integral_constantIbLb1EES13_EEDaSY_SZ_EUlSY_E_NS1_11comp_targetILNS1_3genE5ELNS1_11target_archE942ELNS1_3gpuE9ELNS1_3repE0EEENS1_30default_config_static_selectorELNS0_4arch9wavefront6targetE1EEEvT1_.kd
    .uniform_work_group_size: 1
    .uses_dynamic_stack: false
    .vgpr_count:     0
    .vgpr_spill_count: 0
    .wavefront_size: 64
  - .agpr_count:     0
    .args:
      - .offset:         0
        .size:           112
        .value_kind:     by_value
    .group_segment_fixed_size: 16384
    .kernarg_segment_align: 8
    .kernarg_segment_size: 112
    .language:       OpenCL C
    .language_version:
      - 2
      - 0
    .max_flat_workgroup_size: 256
    .name:           _ZN7rocprim17ROCPRIM_400000_NS6detail17trampoline_kernelINS0_14default_configENS1_27scan_by_key_config_selectorIijEEZZNS1_16scan_by_key_implILNS1_25lookback_scan_determinismE0ELb0ES3_N6thrust23THRUST_200600_302600_NS6detail15normal_iteratorINS9_10device_ptrIiEEEENSB_INSC_IjEEEENSB_INSC_IfEEEEjNS9_4plusIvEENS9_8equal_toIvEEjEE10hipError_tPvRmT2_T3_T4_T5_mT6_T7_P12ihipStream_tbENKUlT_T0_E_clISt17integral_constantIbLb1EES13_EEDaSY_SZ_EUlSY_E_NS1_11comp_targetILNS1_3genE4ELNS1_11target_archE910ELNS1_3gpuE8ELNS1_3repE0EEENS1_30default_config_static_selectorELNS0_4arch9wavefront6targetE1EEEvT1_
    .private_segment_fixed_size: 0
    .sgpr_count:     69
    .sgpr_spill_count: 0
    .symbol:         _ZN7rocprim17ROCPRIM_400000_NS6detail17trampoline_kernelINS0_14default_configENS1_27scan_by_key_config_selectorIijEEZZNS1_16scan_by_key_implILNS1_25lookback_scan_determinismE0ELb0ES3_N6thrust23THRUST_200600_302600_NS6detail15normal_iteratorINS9_10device_ptrIiEEEENSB_INSC_IjEEEENSB_INSC_IfEEEEjNS9_4plusIvEENS9_8equal_toIvEEjEE10hipError_tPvRmT2_T3_T4_T5_mT6_T7_P12ihipStream_tbENKUlT_T0_E_clISt17integral_constantIbLb1EES13_EEDaSY_SZ_EUlSY_E_NS1_11comp_targetILNS1_3genE4ELNS1_11target_archE910ELNS1_3gpuE8ELNS1_3repE0EEENS1_30default_config_static_selectorELNS0_4arch9wavefront6targetE1EEEvT1_.kd
    .uniform_work_group_size: 1
    .uses_dynamic_stack: false
    .vgpr_count:     65
    .vgpr_spill_count: 0
    .wavefront_size: 64
  - .agpr_count:     0
    .args:
      - .offset:         0
        .size:           112
        .value_kind:     by_value
    .group_segment_fixed_size: 0
    .kernarg_segment_align: 8
    .kernarg_segment_size: 112
    .language:       OpenCL C
    .language_version:
      - 2
      - 0
    .max_flat_workgroup_size: 256
    .name:           _ZN7rocprim17ROCPRIM_400000_NS6detail17trampoline_kernelINS0_14default_configENS1_27scan_by_key_config_selectorIijEEZZNS1_16scan_by_key_implILNS1_25lookback_scan_determinismE0ELb0ES3_N6thrust23THRUST_200600_302600_NS6detail15normal_iteratorINS9_10device_ptrIiEEEENSB_INSC_IjEEEENSB_INSC_IfEEEEjNS9_4plusIvEENS9_8equal_toIvEEjEE10hipError_tPvRmT2_T3_T4_T5_mT6_T7_P12ihipStream_tbENKUlT_T0_E_clISt17integral_constantIbLb1EES13_EEDaSY_SZ_EUlSY_E_NS1_11comp_targetILNS1_3genE3ELNS1_11target_archE908ELNS1_3gpuE7ELNS1_3repE0EEENS1_30default_config_static_selectorELNS0_4arch9wavefront6targetE1EEEvT1_
    .private_segment_fixed_size: 0
    .sgpr_count:     4
    .sgpr_spill_count: 0
    .symbol:         _ZN7rocprim17ROCPRIM_400000_NS6detail17trampoline_kernelINS0_14default_configENS1_27scan_by_key_config_selectorIijEEZZNS1_16scan_by_key_implILNS1_25lookback_scan_determinismE0ELb0ES3_N6thrust23THRUST_200600_302600_NS6detail15normal_iteratorINS9_10device_ptrIiEEEENSB_INSC_IjEEEENSB_INSC_IfEEEEjNS9_4plusIvEENS9_8equal_toIvEEjEE10hipError_tPvRmT2_T3_T4_T5_mT6_T7_P12ihipStream_tbENKUlT_T0_E_clISt17integral_constantIbLb1EES13_EEDaSY_SZ_EUlSY_E_NS1_11comp_targetILNS1_3genE3ELNS1_11target_archE908ELNS1_3gpuE7ELNS1_3repE0EEENS1_30default_config_static_selectorELNS0_4arch9wavefront6targetE1EEEvT1_.kd
    .uniform_work_group_size: 1
    .uses_dynamic_stack: false
    .vgpr_count:     0
    .vgpr_spill_count: 0
    .wavefront_size: 64
  - .agpr_count:     0
    .args:
      - .offset:         0
        .size:           112
        .value_kind:     by_value
    .group_segment_fixed_size: 0
    .kernarg_segment_align: 8
    .kernarg_segment_size: 112
    .language:       OpenCL C
    .language_version:
      - 2
      - 0
    .max_flat_workgroup_size: 256
    .name:           _ZN7rocprim17ROCPRIM_400000_NS6detail17trampoline_kernelINS0_14default_configENS1_27scan_by_key_config_selectorIijEEZZNS1_16scan_by_key_implILNS1_25lookback_scan_determinismE0ELb0ES3_N6thrust23THRUST_200600_302600_NS6detail15normal_iteratorINS9_10device_ptrIiEEEENSB_INSC_IjEEEENSB_INSC_IfEEEEjNS9_4plusIvEENS9_8equal_toIvEEjEE10hipError_tPvRmT2_T3_T4_T5_mT6_T7_P12ihipStream_tbENKUlT_T0_E_clISt17integral_constantIbLb1EES13_EEDaSY_SZ_EUlSY_E_NS1_11comp_targetILNS1_3genE2ELNS1_11target_archE906ELNS1_3gpuE6ELNS1_3repE0EEENS1_30default_config_static_selectorELNS0_4arch9wavefront6targetE1EEEvT1_
    .private_segment_fixed_size: 0
    .sgpr_count:     4
    .sgpr_spill_count: 0
    .symbol:         _ZN7rocprim17ROCPRIM_400000_NS6detail17trampoline_kernelINS0_14default_configENS1_27scan_by_key_config_selectorIijEEZZNS1_16scan_by_key_implILNS1_25lookback_scan_determinismE0ELb0ES3_N6thrust23THRUST_200600_302600_NS6detail15normal_iteratorINS9_10device_ptrIiEEEENSB_INSC_IjEEEENSB_INSC_IfEEEEjNS9_4plusIvEENS9_8equal_toIvEEjEE10hipError_tPvRmT2_T3_T4_T5_mT6_T7_P12ihipStream_tbENKUlT_T0_E_clISt17integral_constantIbLb1EES13_EEDaSY_SZ_EUlSY_E_NS1_11comp_targetILNS1_3genE2ELNS1_11target_archE906ELNS1_3gpuE6ELNS1_3repE0EEENS1_30default_config_static_selectorELNS0_4arch9wavefront6targetE1EEEvT1_.kd
    .uniform_work_group_size: 1
    .uses_dynamic_stack: false
    .vgpr_count:     0
    .vgpr_spill_count: 0
    .wavefront_size: 64
  - .agpr_count:     0
    .args:
      - .offset:         0
        .size:           112
        .value_kind:     by_value
    .group_segment_fixed_size: 0
    .kernarg_segment_align: 8
    .kernarg_segment_size: 112
    .language:       OpenCL C
    .language_version:
      - 2
      - 0
    .max_flat_workgroup_size: 256
    .name:           _ZN7rocprim17ROCPRIM_400000_NS6detail17trampoline_kernelINS0_14default_configENS1_27scan_by_key_config_selectorIijEEZZNS1_16scan_by_key_implILNS1_25lookback_scan_determinismE0ELb0ES3_N6thrust23THRUST_200600_302600_NS6detail15normal_iteratorINS9_10device_ptrIiEEEENSB_INSC_IjEEEENSB_INSC_IfEEEEjNS9_4plusIvEENS9_8equal_toIvEEjEE10hipError_tPvRmT2_T3_T4_T5_mT6_T7_P12ihipStream_tbENKUlT_T0_E_clISt17integral_constantIbLb1EES13_EEDaSY_SZ_EUlSY_E_NS1_11comp_targetILNS1_3genE10ELNS1_11target_archE1200ELNS1_3gpuE4ELNS1_3repE0EEENS1_30default_config_static_selectorELNS0_4arch9wavefront6targetE1EEEvT1_
    .private_segment_fixed_size: 0
    .sgpr_count:     4
    .sgpr_spill_count: 0
    .symbol:         _ZN7rocprim17ROCPRIM_400000_NS6detail17trampoline_kernelINS0_14default_configENS1_27scan_by_key_config_selectorIijEEZZNS1_16scan_by_key_implILNS1_25lookback_scan_determinismE0ELb0ES3_N6thrust23THRUST_200600_302600_NS6detail15normal_iteratorINS9_10device_ptrIiEEEENSB_INSC_IjEEEENSB_INSC_IfEEEEjNS9_4plusIvEENS9_8equal_toIvEEjEE10hipError_tPvRmT2_T3_T4_T5_mT6_T7_P12ihipStream_tbENKUlT_T0_E_clISt17integral_constantIbLb1EES13_EEDaSY_SZ_EUlSY_E_NS1_11comp_targetILNS1_3genE10ELNS1_11target_archE1200ELNS1_3gpuE4ELNS1_3repE0EEENS1_30default_config_static_selectorELNS0_4arch9wavefront6targetE1EEEvT1_.kd
    .uniform_work_group_size: 1
    .uses_dynamic_stack: false
    .vgpr_count:     0
    .vgpr_spill_count: 0
    .wavefront_size: 64
  - .agpr_count:     0
    .args:
      - .offset:         0
        .size:           112
        .value_kind:     by_value
    .group_segment_fixed_size: 0
    .kernarg_segment_align: 8
    .kernarg_segment_size: 112
    .language:       OpenCL C
    .language_version:
      - 2
      - 0
    .max_flat_workgroup_size: 256
    .name:           _ZN7rocprim17ROCPRIM_400000_NS6detail17trampoline_kernelINS0_14default_configENS1_27scan_by_key_config_selectorIijEEZZNS1_16scan_by_key_implILNS1_25lookback_scan_determinismE0ELb0ES3_N6thrust23THRUST_200600_302600_NS6detail15normal_iteratorINS9_10device_ptrIiEEEENSB_INSC_IjEEEENSB_INSC_IfEEEEjNS9_4plusIvEENS9_8equal_toIvEEjEE10hipError_tPvRmT2_T3_T4_T5_mT6_T7_P12ihipStream_tbENKUlT_T0_E_clISt17integral_constantIbLb1EES13_EEDaSY_SZ_EUlSY_E_NS1_11comp_targetILNS1_3genE9ELNS1_11target_archE1100ELNS1_3gpuE3ELNS1_3repE0EEENS1_30default_config_static_selectorELNS0_4arch9wavefront6targetE1EEEvT1_
    .private_segment_fixed_size: 0
    .sgpr_count:     4
    .sgpr_spill_count: 0
    .symbol:         _ZN7rocprim17ROCPRIM_400000_NS6detail17trampoline_kernelINS0_14default_configENS1_27scan_by_key_config_selectorIijEEZZNS1_16scan_by_key_implILNS1_25lookback_scan_determinismE0ELb0ES3_N6thrust23THRUST_200600_302600_NS6detail15normal_iteratorINS9_10device_ptrIiEEEENSB_INSC_IjEEEENSB_INSC_IfEEEEjNS9_4plusIvEENS9_8equal_toIvEEjEE10hipError_tPvRmT2_T3_T4_T5_mT6_T7_P12ihipStream_tbENKUlT_T0_E_clISt17integral_constantIbLb1EES13_EEDaSY_SZ_EUlSY_E_NS1_11comp_targetILNS1_3genE9ELNS1_11target_archE1100ELNS1_3gpuE3ELNS1_3repE0EEENS1_30default_config_static_selectorELNS0_4arch9wavefront6targetE1EEEvT1_.kd
    .uniform_work_group_size: 1
    .uses_dynamic_stack: false
    .vgpr_count:     0
    .vgpr_spill_count: 0
    .wavefront_size: 64
  - .agpr_count:     0
    .args:
      - .offset:         0
        .size:           112
        .value_kind:     by_value
    .group_segment_fixed_size: 0
    .kernarg_segment_align: 8
    .kernarg_segment_size: 112
    .language:       OpenCL C
    .language_version:
      - 2
      - 0
    .max_flat_workgroup_size: 256
    .name:           _ZN7rocprim17ROCPRIM_400000_NS6detail17trampoline_kernelINS0_14default_configENS1_27scan_by_key_config_selectorIijEEZZNS1_16scan_by_key_implILNS1_25lookback_scan_determinismE0ELb0ES3_N6thrust23THRUST_200600_302600_NS6detail15normal_iteratorINS9_10device_ptrIiEEEENSB_INSC_IjEEEENSB_INSC_IfEEEEjNS9_4plusIvEENS9_8equal_toIvEEjEE10hipError_tPvRmT2_T3_T4_T5_mT6_T7_P12ihipStream_tbENKUlT_T0_E_clISt17integral_constantIbLb1EES13_EEDaSY_SZ_EUlSY_E_NS1_11comp_targetILNS1_3genE8ELNS1_11target_archE1030ELNS1_3gpuE2ELNS1_3repE0EEENS1_30default_config_static_selectorELNS0_4arch9wavefront6targetE1EEEvT1_
    .private_segment_fixed_size: 0
    .sgpr_count:     4
    .sgpr_spill_count: 0
    .symbol:         _ZN7rocprim17ROCPRIM_400000_NS6detail17trampoline_kernelINS0_14default_configENS1_27scan_by_key_config_selectorIijEEZZNS1_16scan_by_key_implILNS1_25lookback_scan_determinismE0ELb0ES3_N6thrust23THRUST_200600_302600_NS6detail15normal_iteratorINS9_10device_ptrIiEEEENSB_INSC_IjEEEENSB_INSC_IfEEEEjNS9_4plusIvEENS9_8equal_toIvEEjEE10hipError_tPvRmT2_T3_T4_T5_mT6_T7_P12ihipStream_tbENKUlT_T0_E_clISt17integral_constantIbLb1EES13_EEDaSY_SZ_EUlSY_E_NS1_11comp_targetILNS1_3genE8ELNS1_11target_archE1030ELNS1_3gpuE2ELNS1_3repE0EEENS1_30default_config_static_selectorELNS0_4arch9wavefront6targetE1EEEvT1_.kd
    .uniform_work_group_size: 1
    .uses_dynamic_stack: false
    .vgpr_count:     0
    .vgpr_spill_count: 0
    .wavefront_size: 64
  - .agpr_count:     0
    .args:
      - .offset:         0
        .size:           112
        .value_kind:     by_value
    .group_segment_fixed_size: 0
    .kernarg_segment_align: 8
    .kernarg_segment_size: 112
    .language:       OpenCL C
    .language_version:
      - 2
      - 0
    .max_flat_workgroup_size: 256
    .name:           _ZN7rocprim17ROCPRIM_400000_NS6detail17trampoline_kernelINS0_14default_configENS1_27scan_by_key_config_selectorIijEEZZNS1_16scan_by_key_implILNS1_25lookback_scan_determinismE0ELb0ES3_N6thrust23THRUST_200600_302600_NS6detail15normal_iteratorINS9_10device_ptrIiEEEENSB_INSC_IjEEEENSB_INSC_IfEEEEjNS9_4plusIvEENS9_8equal_toIvEEjEE10hipError_tPvRmT2_T3_T4_T5_mT6_T7_P12ihipStream_tbENKUlT_T0_E_clISt17integral_constantIbLb1EES12_IbLb0EEEEDaSY_SZ_EUlSY_E_NS1_11comp_targetILNS1_3genE0ELNS1_11target_archE4294967295ELNS1_3gpuE0ELNS1_3repE0EEENS1_30default_config_static_selectorELNS0_4arch9wavefront6targetE1EEEvT1_
    .private_segment_fixed_size: 0
    .sgpr_count:     4
    .sgpr_spill_count: 0
    .symbol:         _ZN7rocprim17ROCPRIM_400000_NS6detail17trampoline_kernelINS0_14default_configENS1_27scan_by_key_config_selectorIijEEZZNS1_16scan_by_key_implILNS1_25lookback_scan_determinismE0ELb0ES3_N6thrust23THRUST_200600_302600_NS6detail15normal_iteratorINS9_10device_ptrIiEEEENSB_INSC_IjEEEENSB_INSC_IfEEEEjNS9_4plusIvEENS9_8equal_toIvEEjEE10hipError_tPvRmT2_T3_T4_T5_mT6_T7_P12ihipStream_tbENKUlT_T0_E_clISt17integral_constantIbLb1EES12_IbLb0EEEEDaSY_SZ_EUlSY_E_NS1_11comp_targetILNS1_3genE0ELNS1_11target_archE4294967295ELNS1_3gpuE0ELNS1_3repE0EEENS1_30default_config_static_selectorELNS0_4arch9wavefront6targetE1EEEvT1_.kd
    .uniform_work_group_size: 1
    .uses_dynamic_stack: false
    .vgpr_count:     0
    .vgpr_spill_count: 0
    .wavefront_size: 64
  - .agpr_count:     0
    .args:
      - .offset:         0
        .size:           112
        .value_kind:     by_value
    .group_segment_fixed_size: 0
    .kernarg_segment_align: 8
    .kernarg_segment_size: 112
    .language:       OpenCL C
    .language_version:
      - 2
      - 0
    .max_flat_workgroup_size: 256
    .name:           _ZN7rocprim17ROCPRIM_400000_NS6detail17trampoline_kernelINS0_14default_configENS1_27scan_by_key_config_selectorIijEEZZNS1_16scan_by_key_implILNS1_25lookback_scan_determinismE0ELb0ES3_N6thrust23THRUST_200600_302600_NS6detail15normal_iteratorINS9_10device_ptrIiEEEENSB_INSC_IjEEEENSB_INSC_IfEEEEjNS9_4plusIvEENS9_8equal_toIvEEjEE10hipError_tPvRmT2_T3_T4_T5_mT6_T7_P12ihipStream_tbENKUlT_T0_E_clISt17integral_constantIbLb1EES12_IbLb0EEEEDaSY_SZ_EUlSY_E_NS1_11comp_targetILNS1_3genE10ELNS1_11target_archE1201ELNS1_3gpuE5ELNS1_3repE0EEENS1_30default_config_static_selectorELNS0_4arch9wavefront6targetE1EEEvT1_
    .private_segment_fixed_size: 0
    .sgpr_count:     4
    .sgpr_spill_count: 0
    .symbol:         _ZN7rocprim17ROCPRIM_400000_NS6detail17trampoline_kernelINS0_14default_configENS1_27scan_by_key_config_selectorIijEEZZNS1_16scan_by_key_implILNS1_25lookback_scan_determinismE0ELb0ES3_N6thrust23THRUST_200600_302600_NS6detail15normal_iteratorINS9_10device_ptrIiEEEENSB_INSC_IjEEEENSB_INSC_IfEEEEjNS9_4plusIvEENS9_8equal_toIvEEjEE10hipError_tPvRmT2_T3_T4_T5_mT6_T7_P12ihipStream_tbENKUlT_T0_E_clISt17integral_constantIbLb1EES12_IbLb0EEEEDaSY_SZ_EUlSY_E_NS1_11comp_targetILNS1_3genE10ELNS1_11target_archE1201ELNS1_3gpuE5ELNS1_3repE0EEENS1_30default_config_static_selectorELNS0_4arch9wavefront6targetE1EEEvT1_.kd
    .uniform_work_group_size: 1
    .uses_dynamic_stack: false
    .vgpr_count:     0
    .vgpr_spill_count: 0
    .wavefront_size: 64
  - .agpr_count:     0
    .args:
      - .offset:         0
        .size:           112
        .value_kind:     by_value
    .group_segment_fixed_size: 0
    .kernarg_segment_align: 8
    .kernarg_segment_size: 112
    .language:       OpenCL C
    .language_version:
      - 2
      - 0
    .max_flat_workgroup_size: 256
    .name:           _ZN7rocprim17ROCPRIM_400000_NS6detail17trampoline_kernelINS0_14default_configENS1_27scan_by_key_config_selectorIijEEZZNS1_16scan_by_key_implILNS1_25lookback_scan_determinismE0ELb0ES3_N6thrust23THRUST_200600_302600_NS6detail15normal_iteratorINS9_10device_ptrIiEEEENSB_INSC_IjEEEENSB_INSC_IfEEEEjNS9_4plusIvEENS9_8equal_toIvEEjEE10hipError_tPvRmT2_T3_T4_T5_mT6_T7_P12ihipStream_tbENKUlT_T0_E_clISt17integral_constantIbLb1EES12_IbLb0EEEEDaSY_SZ_EUlSY_E_NS1_11comp_targetILNS1_3genE5ELNS1_11target_archE942ELNS1_3gpuE9ELNS1_3repE0EEENS1_30default_config_static_selectorELNS0_4arch9wavefront6targetE1EEEvT1_
    .private_segment_fixed_size: 0
    .sgpr_count:     4
    .sgpr_spill_count: 0
    .symbol:         _ZN7rocprim17ROCPRIM_400000_NS6detail17trampoline_kernelINS0_14default_configENS1_27scan_by_key_config_selectorIijEEZZNS1_16scan_by_key_implILNS1_25lookback_scan_determinismE0ELb0ES3_N6thrust23THRUST_200600_302600_NS6detail15normal_iteratorINS9_10device_ptrIiEEEENSB_INSC_IjEEEENSB_INSC_IfEEEEjNS9_4plusIvEENS9_8equal_toIvEEjEE10hipError_tPvRmT2_T3_T4_T5_mT6_T7_P12ihipStream_tbENKUlT_T0_E_clISt17integral_constantIbLb1EES12_IbLb0EEEEDaSY_SZ_EUlSY_E_NS1_11comp_targetILNS1_3genE5ELNS1_11target_archE942ELNS1_3gpuE9ELNS1_3repE0EEENS1_30default_config_static_selectorELNS0_4arch9wavefront6targetE1EEEvT1_.kd
    .uniform_work_group_size: 1
    .uses_dynamic_stack: false
    .vgpr_count:     0
    .vgpr_spill_count: 0
    .wavefront_size: 64
  - .agpr_count:     0
    .args:
      - .offset:         0
        .size:           112
        .value_kind:     by_value
    .group_segment_fixed_size: 16384
    .kernarg_segment_align: 8
    .kernarg_segment_size: 112
    .language:       OpenCL C
    .language_version:
      - 2
      - 0
    .max_flat_workgroup_size: 256
    .name:           _ZN7rocprim17ROCPRIM_400000_NS6detail17trampoline_kernelINS0_14default_configENS1_27scan_by_key_config_selectorIijEEZZNS1_16scan_by_key_implILNS1_25lookback_scan_determinismE0ELb0ES3_N6thrust23THRUST_200600_302600_NS6detail15normal_iteratorINS9_10device_ptrIiEEEENSB_INSC_IjEEEENSB_INSC_IfEEEEjNS9_4plusIvEENS9_8equal_toIvEEjEE10hipError_tPvRmT2_T3_T4_T5_mT6_T7_P12ihipStream_tbENKUlT_T0_E_clISt17integral_constantIbLb1EES12_IbLb0EEEEDaSY_SZ_EUlSY_E_NS1_11comp_targetILNS1_3genE4ELNS1_11target_archE910ELNS1_3gpuE8ELNS1_3repE0EEENS1_30default_config_static_selectorELNS0_4arch9wavefront6targetE1EEEvT1_
    .private_segment_fixed_size: 0
    .sgpr_count:     65
    .sgpr_spill_count: 0
    .symbol:         _ZN7rocprim17ROCPRIM_400000_NS6detail17trampoline_kernelINS0_14default_configENS1_27scan_by_key_config_selectorIijEEZZNS1_16scan_by_key_implILNS1_25lookback_scan_determinismE0ELb0ES3_N6thrust23THRUST_200600_302600_NS6detail15normal_iteratorINS9_10device_ptrIiEEEENSB_INSC_IjEEEENSB_INSC_IfEEEEjNS9_4plusIvEENS9_8equal_toIvEEjEE10hipError_tPvRmT2_T3_T4_T5_mT6_T7_P12ihipStream_tbENKUlT_T0_E_clISt17integral_constantIbLb1EES12_IbLb0EEEEDaSY_SZ_EUlSY_E_NS1_11comp_targetILNS1_3genE4ELNS1_11target_archE910ELNS1_3gpuE8ELNS1_3repE0EEENS1_30default_config_static_selectorELNS0_4arch9wavefront6targetE1EEEvT1_.kd
    .uniform_work_group_size: 1
    .uses_dynamic_stack: false
    .vgpr_count:     65
    .vgpr_spill_count: 0
    .wavefront_size: 64
  - .agpr_count:     0
    .args:
      - .offset:         0
        .size:           112
        .value_kind:     by_value
    .group_segment_fixed_size: 0
    .kernarg_segment_align: 8
    .kernarg_segment_size: 112
    .language:       OpenCL C
    .language_version:
      - 2
      - 0
    .max_flat_workgroup_size: 256
    .name:           _ZN7rocprim17ROCPRIM_400000_NS6detail17trampoline_kernelINS0_14default_configENS1_27scan_by_key_config_selectorIijEEZZNS1_16scan_by_key_implILNS1_25lookback_scan_determinismE0ELb0ES3_N6thrust23THRUST_200600_302600_NS6detail15normal_iteratorINS9_10device_ptrIiEEEENSB_INSC_IjEEEENSB_INSC_IfEEEEjNS9_4plusIvEENS9_8equal_toIvEEjEE10hipError_tPvRmT2_T3_T4_T5_mT6_T7_P12ihipStream_tbENKUlT_T0_E_clISt17integral_constantIbLb1EES12_IbLb0EEEEDaSY_SZ_EUlSY_E_NS1_11comp_targetILNS1_3genE3ELNS1_11target_archE908ELNS1_3gpuE7ELNS1_3repE0EEENS1_30default_config_static_selectorELNS0_4arch9wavefront6targetE1EEEvT1_
    .private_segment_fixed_size: 0
    .sgpr_count:     4
    .sgpr_spill_count: 0
    .symbol:         _ZN7rocprim17ROCPRIM_400000_NS6detail17trampoline_kernelINS0_14default_configENS1_27scan_by_key_config_selectorIijEEZZNS1_16scan_by_key_implILNS1_25lookback_scan_determinismE0ELb0ES3_N6thrust23THRUST_200600_302600_NS6detail15normal_iteratorINS9_10device_ptrIiEEEENSB_INSC_IjEEEENSB_INSC_IfEEEEjNS9_4plusIvEENS9_8equal_toIvEEjEE10hipError_tPvRmT2_T3_T4_T5_mT6_T7_P12ihipStream_tbENKUlT_T0_E_clISt17integral_constantIbLb1EES12_IbLb0EEEEDaSY_SZ_EUlSY_E_NS1_11comp_targetILNS1_3genE3ELNS1_11target_archE908ELNS1_3gpuE7ELNS1_3repE0EEENS1_30default_config_static_selectorELNS0_4arch9wavefront6targetE1EEEvT1_.kd
    .uniform_work_group_size: 1
    .uses_dynamic_stack: false
    .vgpr_count:     0
    .vgpr_spill_count: 0
    .wavefront_size: 64
  - .agpr_count:     0
    .args:
      - .offset:         0
        .size:           112
        .value_kind:     by_value
    .group_segment_fixed_size: 0
    .kernarg_segment_align: 8
    .kernarg_segment_size: 112
    .language:       OpenCL C
    .language_version:
      - 2
      - 0
    .max_flat_workgroup_size: 256
    .name:           _ZN7rocprim17ROCPRIM_400000_NS6detail17trampoline_kernelINS0_14default_configENS1_27scan_by_key_config_selectorIijEEZZNS1_16scan_by_key_implILNS1_25lookback_scan_determinismE0ELb0ES3_N6thrust23THRUST_200600_302600_NS6detail15normal_iteratorINS9_10device_ptrIiEEEENSB_INSC_IjEEEENSB_INSC_IfEEEEjNS9_4plusIvEENS9_8equal_toIvEEjEE10hipError_tPvRmT2_T3_T4_T5_mT6_T7_P12ihipStream_tbENKUlT_T0_E_clISt17integral_constantIbLb1EES12_IbLb0EEEEDaSY_SZ_EUlSY_E_NS1_11comp_targetILNS1_3genE2ELNS1_11target_archE906ELNS1_3gpuE6ELNS1_3repE0EEENS1_30default_config_static_selectorELNS0_4arch9wavefront6targetE1EEEvT1_
    .private_segment_fixed_size: 0
    .sgpr_count:     4
    .sgpr_spill_count: 0
    .symbol:         _ZN7rocprim17ROCPRIM_400000_NS6detail17trampoline_kernelINS0_14default_configENS1_27scan_by_key_config_selectorIijEEZZNS1_16scan_by_key_implILNS1_25lookback_scan_determinismE0ELb0ES3_N6thrust23THRUST_200600_302600_NS6detail15normal_iteratorINS9_10device_ptrIiEEEENSB_INSC_IjEEEENSB_INSC_IfEEEEjNS9_4plusIvEENS9_8equal_toIvEEjEE10hipError_tPvRmT2_T3_T4_T5_mT6_T7_P12ihipStream_tbENKUlT_T0_E_clISt17integral_constantIbLb1EES12_IbLb0EEEEDaSY_SZ_EUlSY_E_NS1_11comp_targetILNS1_3genE2ELNS1_11target_archE906ELNS1_3gpuE6ELNS1_3repE0EEENS1_30default_config_static_selectorELNS0_4arch9wavefront6targetE1EEEvT1_.kd
    .uniform_work_group_size: 1
    .uses_dynamic_stack: false
    .vgpr_count:     0
    .vgpr_spill_count: 0
    .wavefront_size: 64
  - .agpr_count:     0
    .args:
      - .offset:         0
        .size:           112
        .value_kind:     by_value
    .group_segment_fixed_size: 0
    .kernarg_segment_align: 8
    .kernarg_segment_size: 112
    .language:       OpenCL C
    .language_version:
      - 2
      - 0
    .max_flat_workgroup_size: 256
    .name:           _ZN7rocprim17ROCPRIM_400000_NS6detail17trampoline_kernelINS0_14default_configENS1_27scan_by_key_config_selectorIijEEZZNS1_16scan_by_key_implILNS1_25lookback_scan_determinismE0ELb0ES3_N6thrust23THRUST_200600_302600_NS6detail15normal_iteratorINS9_10device_ptrIiEEEENSB_INSC_IjEEEENSB_INSC_IfEEEEjNS9_4plusIvEENS9_8equal_toIvEEjEE10hipError_tPvRmT2_T3_T4_T5_mT6_T7_P12ihipStream_tbENKUlT_T0_E_clISt17integral_constantIbLb1EES12_IbLb0EEEEDaSY_SZ_EUlSY_E_NS1_11comp_targetILNS1_3genE10ELNS1_11target_archE1200ELNS1_3gpuE4ELNS1_3repE0EEENS1_30default_config_static_selectorELNS0_4arch9wavefront6targetE1EEEvT1_
    .private_segment_fixed_size: 0
    .sgpr_count:     4
    .sgpr_spill_count: 0
    .symbol:         _ZN7rocprim17ROCPRIM_400000_NS6detail17trampoline_kernelINS0_14default_configENS1_27scan_by_key_config_selectorIijEEZZNS1_16scan_by_key_implILNS1_25lookback_scan_determinismE0ELb0ES3_N6thrust23THRUST_200600_302600_NS6detail15normal_iteratorINS9_10device_ptrIiEEEENSB_INSC_IjEEEENSB_INSC_IfEEEEjNS9_4plusIvEENS9_8equal_toIvEEjEE10hipError_tPvRmT2_T3_T4_T5_mT6_T7_P12ihipStream_tbENKUlT_T0_E_clISt17integral_constantIbLb1EES12_IbLb0EEEEDaSY_SZ_EUlSY_E_NS1_11comp_targetILNS1_3genE10ELNS1_11target_archE1200ELNS1_3gpuE4ELNS1_3repE0EEENS1_30default_config_static_selectorELNS0_4arch9wavefront6targetE1EEEvT1_.kd
    .uniform_work_group_size: 1
    .uses_dynamic_stack: false
    .vgpr_count:     0
    .vgpr_spill_count: 0
    .wavefront_size: 64
  - .agpr_count:     0
    .args:
      - .offset:         0
        .size:           112
        .value_kind:     by_value
    .group_segment_fixed_size: 0
    .kernarg_segment_align: 8
    .kernarg_segment_size: 112
    .language:       OpenCL C
    .language_version:
      - 2
      - 0
    .max_flat_workgroup_size: 256
    .name:           _ZN7rocprim17ROCPRIM_400000_NS6detail17trampoline_kernelINS0_14default_configENS1_27scan_by_key_config_selectorIijEEZZNS1_16scan_by_key_implILNS1_25lookback_scan_determinismE0ELb0ES3_N6thrust23THRUST_200600_302600_NS6detail15normal_iteratorINS9_10device_ptrIiEEEENSB_INSC_IjEEEENSB_INSC_IfEEEEjNS9_4plusIvEENS9_8equal_toIvEEjEE10hipError_tPvRmT2_T3_T4_T5_mT6_T7_P12ihipStream_tbENKUlT_T0_E_clISt17integral_constantIbLb1EES12_IbLb0EEEEDaSY_SZ_EUlSY_E_NS1_11comp_targetILNS1_3genE9ELNS1_11target_archE1100ELNS1_3gpuE3ELNS1_3repE0EEENS1_30default_config_static_selectorELNS0_4arch9wavefront6targetE1EEEvT1_
    .private_segment_fixed_size: 0
    .sgpr_count:     4
    .sgpr_spill_count: 0
    .symbol:         _ZN7rocprim17ROCPRIM_400000_NS6detail17trampoline_kernelINS0_14default_configENS1_27scan_by_key_config_selectorIijEEZZNS1_16scan_by_key_implILNS1_25lookback_scan_determinismE0ELb0ES3_N6thrust23THRUST_200600_302600_NS6detail15normal_iteratorINS9_10device_ptrIiEEEENSB_INSC_IjEEEENSB_INSC_IfEEEEjNS9_4plusIvEENS9_8equal_toIvEEjEE10hipError_tPvRmT2_T3_T4_T5_mT6_T7_P12ihipStream_tbENKUlT_T0_E_clISt17integral_constantIbLb1EES12_IbLb0EEEEDaSY_SZ_EUlSY_E_NS1_11comp_targetILNS1_3genE9ELNS1_11target_archE1100ELNS1_3gpuE3ELNS1_3repE0EEENS1_30default_config_static_selectorELNS0_4arch9wavefront6targetE1EEEvT1_.kd
    .uniform_work_group_size: 1
    .uses_dynamic_stack: false
    .vgpr_count:     0
    .vgpr_spill_count: 0
    .wavefront_size: 64
  - .agpr_count:     0
    .args:
      - .offset:         0
        .size:           112
        .value_kind:     by_value
    .group_segment_fixed_size: 0
    .kernarg_segment_align: 8
    .kernarg_segment_size: 112
    .language:       OpenCL C
    .language_version:
      - 2
      - 0
    .max_flat_workgroup_size: 256
    .name:           _ZN7rocprim17ROCPRIM_400000_NS6detail17trampoline_kernelINS0_14default_configENS1_27scan_by_key_config_selectorIijEEZZNS1_16scan_by_key_implILNS1_25lookback_scan_determinismE0ELb0ES3_N6thrust23THRUST_200600_302600_NS6detail15normal_iteratorINS9_10device_ptrIiEEEENSB_INSC_IjEEEENSB_INSC_IfEEEEjNS9_4plusIvEENS9_8equal_toIvEEjEE10hipError_tPvRmT2_T3_T4_T5_mT6_T7_P12ihipStream_tbENKUlT_T0_E_clISt17integral_constantIbLb1EES12_IbLb0EEEEDaSY_SZ_EUlSY_E_NS1_11comp_targetILNS1_3genE8ELNS1_11target_archE1030ELNS1_3gpuE2ELNS1_3repE0EEENS1_30default_config_static_selectorELNS0_4arch9wavefront6targetE1EEEvT1_
    .private_segment_fixed_size: 0
    .sgpr_count:     4
    .sgpr_spill_count: 0
    .symbol:         _ZN7rocprim17ROCPRIM_400000_NS6detail17trampoline_kernelINS0_14default_configENS1_27scan_by_key_config_selectorIijEEZZNS1_16scan_by_key_implILNS1_25lookback_scan_determinismE0ELb0ES3_N6thrust23THRUST_200600_302600_NS6detail15normal_iteratorINS9_10device_ptrIiEEEENSB_INSC_IjEEEENSB_INSC_IfEEEEjNS9_4plusIvEENS9_8equal_toIvEEjEE10hipError_tPvRmT2_T3_T4_T5_mT6_T7_P12ihipStream_tbENKUlT_T0_E_clISt17integral_constantIbLb1EES12_IbLb0EEEEDaSY_SZ_EUlSY_E_NS1_11comp_targetILNS1_3genE8ELNS1_11target_archE1030ELNS1_3gpuE2ELNS1_3repE0EEENS1_30default_config_static_selectorELNS0_4arch9wavefront6targetE1EEEvT1_.kd
    .uniform_work_group_size: 1
    .uses_dynamic_stack: false
    .vgpr_count:     0
    .vgpr_spill_count: 0
    .wavefront_size: 64
  - .agpr_count:     0
    .args:
      - .offset:         0
        .size:           112
        .value_kind:     by_value
    .group_segment_fixed_size: 0
    .kernarg_segment_align: 8
    .kernarg_segment_size: 112
    .language:       OpenCL C
    .language_version:
      - 2
      - 0
    .max_flat_workgroup_size: 256
    .name:           _ZN7rocprim17ROCPRIM_400000_NS6detail17trampoline_kernelINS0_14default_configENS1_27scan_by_key_config_selectorIijEEZZNS1_16scan_by_key_implILNS1_25lookback_scan_determinismE0ELb0ES3_N6thrust23THRUST_200600_302600_NS6detail15normal_iteratorINS9_10device_ptrIiEEEENSB_INSC_IjEEEENSB_INSC_IfEEEEjNS9_4plusIvEENS9_8equal_toIvEEjEE10hipError_tPvRmT2_T3_T4_T5_mT6_T7_P12ihipStream_tbENKUlT_T0_E_clISt17integral_constantIbLb0EES12_IbLb1EEEEDaSY_SZ_EUlSY_E_NS1_11comp_targetILNS1_3genE0ELNS1_11target_archE4294967295ELNS1_3gpuE0ELNS1_3repE0EEENS1_30default_config_static_selectorELNS0_4arch9wavefront6targetE1EEEvT1_
    .private_segment_fixed_size: 0
    .sgpr_count:     4
    .sgpr_spill_count: 0
    .symbol:         _ZN7rocprim17ROCPRIM_400000_NS6detail17trampoline_kernelINS0_14default_configENS1_27scan_by_key_config_selectorIijEEZZNS1_16scan_by_key_implILNS1_25lookback_scan_determinismE0ELb0ES3_N6thrust23THRUST_200600_302600_NS6detail15normal_iteratorINS9_10device_ptrIiEEEENSB_INSC_IjEEEENSB_INSC_IfEEEEjNS9_4plusIvEENS9_8equal_toIvEEjEE10hipError_tPvRmT2_T3_T4_T5_mT6_T7_P12ihipStream_tbENKUlT_T0_E_clISt17integral_constantIbLb0EES12_IbLb1EEEEDaSY_SZ_EUlSY_E_NS1_11comp_targetILNS1_3genE0ELNS1_11target_archE4294967295ELNS1_3gpuE0ELNS1_3repE0EEENS1_30default_config_static_selectorELNS0_4arch9wavefront6targetE1EEEvT1_.kd
    .uniform_work_group_size: 1
    .uses_dynamic_stack: false
    .vgpr_count:     0
    .vgpr_spill_count: 0
    .wavefront_size: 64
  - .agpr_count:     0
    .args:
      - .offset:         0
        .size:           112
        .value_kind:     by_value
    .group_segment_fixed_size: 0
    .kernarg_segment_align: 8
    .kernarg_segment_size: 112
    .language:       OpenCL C
    .language_version:
      - 2
      - 0
    .max_flat_workgroup_size: 256
    .name:           _ZN7rocprim17ROCPRIM_400000_NS6detail17trampoline_kernelINS0_14default_configENS1_27scan_by_key_config_selectorIijEEZZNS1_16scan_by_key_implILNS1_25lookback_scan_determinismE0ELb0ES3_N6thrust23THRUST_200600_302600_NS6detail15normal_iteratorINS9_10device_ptrIiEEEENSB_INSC_IjEEEENSB_INSC_IfEEEEjNS9_4plusIvEENS9_8equal_toIvEEjEE10hipError_tPvRmT2_T3_T4_T5_mT6_T7_P12ihipStream_tbENKUlT_T0_E_clISt17integral_constantIbLb0EES12_IbLb1EEEEDaSY_SZ_EUlSY_E_NS1_11comp_targetILNS1_3genE10ELNS1_11target_archE1201ELNS1_3gpuE5ELNS1_3repE0EEENS1_30default_config_static_selectorELNS0_4arch9wavefront6targetE1EEEvT1_
    .private_segment_fixed_size: 0
    .sgpr_count:     4
    .sgpr_spill_count: 0
    .symbol:         _ZN7rocprim17ROCPRIM_400000_NS6detail17trampoline_kernelINS0_14default_configENS1_27scan_by_key_config_selectorIijEEZZNS1_16scan_by_key_implILNS1_25lookback_scan_determinismE0ELb0ES3_N6thrust23THRUST_200600_302600_NS6detail15normal_iteratorINS9_10device_ptrIiEEEENSB_INSC_IjEEEENSB_INSC_IfEEEEjNS9_4plusIvEENS9_8equal_toIvEEjEE10hipError_tPvRmT2_T3_T4_T5_mT6_T7_P12ihipStream_tbENKUlT_T0_E_clISt17integral_constantIbLb0EES12_IbLb1EEEEDaSY_SZ_EUlSY_E_NS1_11comp_targetILNS1_3genE10ELNS1_11target_archE1201ELNS1_3gpuE5ELNS1_3repE0EEENS1_30default_config_static_selectorELNS0_4arch9wavefront6targetE1EEEvT1_.kd
    .uniform_work_group_size: 1
    .uses_dynamic_stack: false
    .vgpr_count:     0
    .vgpr_spill_count: 0
    .wavefront_size: 64
  - .agpr_count:     0
    .args:
      - .offset:         0
        .size:           112
        .value_kind:     by_value
    .group_segment_fixed_size: 0
    .kernarg_segment_align: 8
    .kernarg_segment_size: 112
    .language:       OpenCL C
    .language_version:
      - 2
      - 0
    .max_flat_workgroup_size: 256
    .name:           _ZN7rocprim17ROCPRIM_400000_NS6detail17trampoline_kernelINS0_14default_configENS1_27scan_by_key_config_selectorIijEEZZNS1_16scan_by_key_implILNS1_25lookback_scan_determinismE0ELb0ES3_N6thrust23THRUST_200600_302600_NS6detail15normal_iteratorINS9_10device_ptrIiEEEENSB_INSC_IjEEEENSB_INSC_IfEEEEjNS9_4plusIvEENS9_8equal_toIvEEjEE10hipError_tPvRmT2_T3_T4_T5_mT6_T7_P12ihipStream_tbENKUlT_T0_E_clISt17integral_constantIbLb0EES12_IbLb1EEEEDaSY_SZ_EUlSY_E_NS1_11comp_targetILNS1_3genE5ELNS1_11target_archE942ELNS1_3gpuE9ELNS1_3repE0EEENS1_30default_config_static_selectorELNS0_4arch9wavefront6targetE1EEEvT1_
    .private_segment_fixed_size: 0
    .sgpr_count:     4
    .sgpr_spill_count: 0
    .symbol:         _ZN7rocprim17ROCPRIM_400000_NS6detail17trampoline_kernelINS0_14default_configENS1_27scan_by_key_config_selectorIijEEZZNS1_16scan_by_key_implILNS1_25lookback_scan_determinismE0ELb0ES3_N6thrust23THRUST_200600_302600_NS6detail15normal_iteratorINS9_10device_ptrIiEEEENSB_INSC_IjEEEENSB_INSC_IfEEEEjNS9_4plusIvEENS9_8equal_toIvEEjEE10hipError_tPvRmT2_T3_T4_T5_mT6_T7_P12ihipStream_tbENKUlT_T0_E_clISt17integral_constantIbLb0EES12_IbLb1EEEEDaSY_SZ_EUlSY_E_NS1_11comp_targetILNS1_3genE5ELNS1_11target_archE942ELNS1_3gpuE9ELNS1_3repE0EEENS1_30default_config_static_selectorELNS0_4arch9wavefront6targetE1EEEvT1_.kd
    .uniform_work_group_size: 1
    .uses_dynamic_stack: false
    .vgpr_count:     0
    .vgpr_spill_count: 0
    .wavefront_size: 64
  - .agpr_count:     0
    .args:
      - .offset:         0
        .size:           112
        .value_kind:     by_value
    .group_segment_fixed_size: 16384
    .kernarg_segment_align: 8
    .kernarg_segment_size: 112
    .language:       OpenCL C
    .language_version:
      - 2
      - 0
    .max_flat_workgroup_size: 256
    .name:           _ZN7rocprim17ROCPRIM_400000_NS6detail17trampoline_kernelINS0_14default_configENS1_27scan_by_key_config_selectorIijEEZZNS1_16scan_by_key_implILNS1_25lookback_scan_determinismE0ELb0ES3_N6thrust23THRUST_200600_302600_NS6detail15normal_iteratorINS9_10device_ptrIiEEEENSB_INSC_IjEEEENSB_INSC_IfEEEEjNS9_4plusIvEENS9_8equal_toIvEEjEE10hipError_tPvRmT2_T3_T4_T5_mT6_T7_P12ihipStream_tbENKUlT_T0_E_clISt17integral_constantIbLb0EES12_IbLb1EEEEDaSY_SZ_EUlSY_E_NS1_11comp_targetILNS1_3genE4ELNS1_11target_archE910ELNS1_3gpuE8ELNS1_3repE0EEENS1_30default_config_static_selectorELNS0_4arch9wavefront6targetE1EEEvT1_
    .private_segment_fixed_size: 0
    .sgpr_count:     69
    .sgpr_spill_count: 0
    .symbol:         _ZN7rocprim17ROCPRIM_400000_NS6detail17trampoline_kernelINS0_14default_configENS1_27scan_by_key_config_selectorIijEEZZNS1_16scan_by_key_implILNS1_25lookback_scan_determinismE0ELb0ES3_N6thrust23THRUST_200600_302600_NS6detail15normal_iteratorINS9_10device_ptrIiEEEENSB_INSC_IjEEEENSB_INSC_IfEEEEjNS9_4plusIvEENS9_8equal_toIvEEjEE10hipError_tPvRmT2_T3_T4_T5_mT6_T7_P12ihipStream_tbENKUlT_T0_E_clISt17integral_constantIbLb0EES12_IbLb1EEEEDaSY_SZ_EUlSY_E_NS1_11comp_targetILNS1_3genE4ELNS1_11target_archE910ELNS1_3gpuE8ELNS1_3repE0EEENS1_30default_config_static_selectorELNS0_4arch9wavefront6targetE1EEEvT1_.kd
    .uniform_work_group_size: 1
    .uses_dynamic_stack: false
    .vgpr_count:     65
    .vgpr_spill_count: 0
    .wavefront_size: 64
  - .agpr_count:     0
    .args:
      - .offset:         0
        .size:           112
        .value_kind:     by_value
    .group_segment_fixed_size: 0
    .kernarg_segment_align: 8
    .kernarg_segment_size: 112
    .language:       OpenCL C
    .language_version:
      - 2
      - 0
    .max_flat_workgroup_size: 256
    .name:           _ZN7rocprim17ROCPRIM_400000_NS6detail17trampoline_kernelINS0_14default_configENS1_27scan_by_key_config_selectorIijEEZZNS1_16scan_by_key_implILNS1_25lookback_scan_determinismE0ELb0ES3_N6thrust23THRUST_200600_302600_NS6detail15normal_iteratorINS9_10device_ptrIiEEEENSB_INSC_IjEEEENSB_INSC_IfEEEEjNS9_4plusIvEENS9_8equal_toIvEEjEE10hipError_tPvRmT2_T3_T4_T5_mT6_T7_P12ihipStream_tbENKUlT_T0_E_clISt17integral_constantIbLb0EES12_IbLb1EEEEDaSY_SZ_EUlSY_E_NS1_11comp_targetILNS1_3genE3ELNS1_11target_archE908ELNS1_3gpuE7ELNS1_3repE0EEENS1_30default_config_static_selectorELNS0_4arch9wavefront6targetE1EEEvT1_
    .private_segment_fixed_size: 0
    .sgpr_count:     4
    .sgpr_spill_count: 0
    .symbol:         _ZN7rocprim17ROCPRIM_400000_NS6detail17trampoline_kernelINS0_14default_configENS1_27scan_by_key_config_selectorIijEEZZNS1_16scan_by_key_implILNS1_25lookback_scan_determinismE0ELb0ES3_N6thrust23THRUST_200600_302600_NS6detail15normal_iteratorINS9_10device_ptrIiEEEENSB_INSC_IjEEEENSB_INSC_IfEEEEjNS9_4plusIvEENS9_8equal_toIvEEjEE10hipError_tPvRmT2_T3_T4_T5_mT6_T7_P12ihipStream_tbENKUlT_T0_E_clISt17integral_constantIbLb0EES12_IbLb1EEEEDaSY_SZ_EUlSY_E_NS1_11comp_targetILNS1_3genE3ELNS1_11target_archE908ELNS1_3gpuE7ELNS1_3repE0EEENS1_30default_config_static_selectorELNS0_4arch9wavefront6targetE1EEEvT1_.kd
    .uniform_work_group_size: 1
    .uses_dynamic_stack: false
    .vgpr_count:     0
    .vgpr_spill_count: 0
    .wavefront_size: 64
  - .agpr_count:     0
    .args:
      - .offset:         0
        .size:           112
        .value_kind:     by_value
    .group_segment_fixed_size: 0
    .kernarg_segment_align: 8
    .kernarg_segment_size: 112
    .language:       OpenCL C
    .language_version:
      - 2
      - 0
    .max_flat_workgroup_size: 256
    .name:           _ZN7rocprim17ROCPRIM_400000_NS6detail17trampoline_kernelINS0_14default_configENS1_27scan_by_key_config_selectorIijEEZZNS1_16scan_by_key_implILNS1_25lookback_scan_determinismE0ELb0ES3_N6thrust23THRUST_200600_302600_NS6detail15normal_iteratorINS9_10device_ptrIiEEEENSB_INSC_IjEEEENSB_INSC_IfEEEEjNS9_4plusIvEENS9_8equal_toIvEEjEE10hipError_tPvRmT2_T3_T4_T5_mT6_T7_P12ihipStream_tbENKUlT_T0_E_clISt17integral_constantIbLb0EES12_IbLb1EEEEDaSY_SZ_EUlSY_E_NS1_11comp_targetILNS1_3genE2ELNS1_11target_archE906ELNS1_3gpuE6ELNS1_3repE0EEENS1_30default_config_static_selectorELNS0_4arch9wavefront6targetE1EEEvT1_
    .private_segment_fixed_size: 0
    .sgpr_count:     4
    .sgpr_spill_count: 0
    .symbol:         _ZN7rocprim17ROCPRIM_400000_NS6detail17trampoline_kernelINS0_14default_configENS1_27scan_by_key_config_selectorIijEEZZNS1_16scan_by_key_implILNS1_25lookback_scan_determinismE0ELb0ES3_N6thrust23THRUST_200600_302600_NS6detail15normal_iteratorINS9_10device_ptrIiEEEENSB_INSC_IjEEEENSB_INSC_IfEEEEjNS9_4plusIvEENS9_8equal_toIvEEjEE10hipError_tPvRmT2_T3_T4_T5_mT6_T7_P12ihipStream_tbENKUlT_T0_E_clISt17integral_constantIbLb0EES12_IbLb1EEEEDaSY_SZ_EUlSY_E_NS1_11comp_targetILNS1_3genE2ELNS1_11target_archE906ELNS1_3gpuE6ELNS1_3repE0EEENS1_30default_config_static_selectorELNS0_4arch9wavefront6targetE1EEEvT1_.kd
    .uniform_work_group_size: 1
    .uses_dynamic_stack: false
    .vgpr_count:     0
    .vgpr_spill_count: 0
    .wavefront_size: 64
  - .agpr_count:     0
    .args:
      - .offset:         0
        .size:           112
        .value_kind:     by_value
    .group_segment_fixed_size: 0
    .kernarg_segment_align: 8
    .kernarg_segment_size: 112
    .language:       OpenCL C
    .language_version:
      - 2
      - 0
    .max_flat_workgroup_size: 256
    .name:           _ZN7rocprim17ROCPRIM_400000_NS6detail17trampoline_kernelINS0_14default_configENS1_27scan_by_key_config_selectorIijEEZZNS1_16scan_by_key_implILNS1_25lookback_scan_determinismE0ELb0ES3_N6thrust23THRUST_200600_302600_NS6detail15normal_iteratorINS9_10device_ptrIiEEEENSB_INSC_IjEEEENSB_INSC_IfEEEEjNS9_4plusIvEENS9_8equal_toIvEEjEE10hipError_tPvRmT2_T3_T4_T5_mT6_T7_P12ihipStream_tbENKUlT_T0_E_clISt17integral_constantIbLb0EES12_IbLb1EEEEDaSY_SZ_EUlSY_E_NS1_11comp_targetILNS1_3genE10ELNS1_11target_archE1200ELNS1_3gpuE4ELNS1_3repE0EEENS1_30default_config_static_selectorELNS0_4arch9wavefront6targetE1EEEvT1_
    .private_segment_fixed_size: 0
    .sgpr_count:     4
    .sgpr_spill_count: 0
    .symbol:         _ZN7rocprim17ROCPRIM_400000_NS6detail17trampoline_kernelINS0_14default_configENS1_27scan_by_key_config_selectorIijEEZZNS1_16scan_by_key_implILNS1_25lookback_scan_determinismE0ELb0ES3_N6thrust23THRUST_200600_302600_NS6detail15normal_iteratorINS9_10device_ptrIiEEEENSB_INSC_IjEEEENSB_INSC_IfEEEEjNS9_4plusIvEENS9_8equal_toIvEEjEE10hipError_tPvRmT2_T3_T4_T5_mT6_T7_P12ihipStream_tbENKUlT_T0_E_clISt17integral_constantIbLb0EES12_IbLb1EEEEDaSY_SZ_EUlSY_E_NS1_11comp_targetILNS1_3genE10ELNS1_11target_archE1200ELNS1_3gpuE4ELNS1_3repE0EEENS1_30default_config_static_selectorELNS0_4arch9wavefront6targetE1EEEvT1_.kd
    .uniform_work_group_size: 1
    .uses_dynamic_stack: false
    .vgpr_count:     0
    .vgpr_spill_count: 0
    .wavefront_size: 64
  - .agpr_count:     0
    .args:
      - .offset:         0
        .size:           112
        .value_kind:     by_value
    .group_segment_fixed_size: 0
    .kernarg_segment_align: 8
    .kernarg_segment_size: 112
    .language:       OpenCL C
    .language_version:
      - 2
      - 0
    .max_flat_workgroup_size: 256
    .name:           _ZN7rocprim17ROCPRIM_400000_NS6detail17trampoline_kernelINS0_14default_configENS1_27scan_by_key_config_selectorIijEEZZNS1_16scan_by_key_implILNS1_25lookback_scan_determinismE0ELb0ES3_N6thrust23THRUST_200600_302600_NS6detail15normal_iteratorINS9_10device_ptrIiEEEENSB_INSC_IjEEEENSB_INSC_IfEEEEjNS9_4plusIvEENS9_8equal_toIvEEjEE10hipError_tPvRmT2_T3_T4_T5_mT6_T7_P12ihipStream_tbENKUlT_T0_E_clISt17integral_constantIbLb0EES12_IbLb1EEEEDaSY_SZ_EUlSY_E_NS1_11comp_targetILNS1_3genE9ELNS1_11target_archE1100ELNS1_3gpuE3ELNS1_3repE0EEENS1_30default_config_static_selectorELNS0_4arch9wavefront6targetE1EEEvT1_
    .private_segment_fixed_size: 0
    .sgpr_count:     4
    .sgpr_spill_count: 0
    .symbol:         _ZN7rocprim17ROCPRIM_400000_NS6detail17trampoline_kernelINS0_14default_configENS1_27scan_by_key_config_selectorIijEEZZNS1_16scan_by_key_implILNS1_25lookback_scan_determinismE0ELb0ES3_N6thrust23THRUST_200600_302600_NS6detail15normal_iteratorINS9_10device_ptrIiEEEENSB_INSC_IjEEEENSB_INSC_IfEEEEjNS9_4plusIvEENS9_8equal_toIvEEjEE10hipError_tPvRmT2_T3_T4_T5_mT6_T7_P12ihipStream_tbENKUlT_T0_E_clISt17integral_constantIbLb0EES12_IbLb1EEEEDaSY_SZ_EUlSY_E_NS1_11comp_targetILNS1_3genE9ELNS1_11target_archE1100ELNS1_3gpuE3ELNS1_3repE0EEENS1_30default_config_static_selectorELNS0_4arch9wavefront6targetE1EEEvT1_.kd
    .uniform_work_group_size: 1
    .uses_dynamic_stack: false
    .vgpr_count:     0
    .vgpr_spill_count: 0
    .wavefront_size: 64
  - .agpr_count:     0
    .args:
      - .offset:         0
        .size:           112
        .value_kind:     by_value
    .group_segment_fixed_size: 0
    .kernarg_segment_align: 8
    .kernarg_segment_size: 112
    .language:       OpenCL C
    .language_version:
      - 2
      - 0
    .max_flat_workgroup_size: 256
    .name:           _ZN7rocprim17ROCPRIM_400000_NS6detail17trampoline_kernelINS0_14default_configENS1_27scan_by_key_config_selectorIijEEZZNS1_16scan_by_key_implILNS1_25lookback_scan_determinismE0ELb0ES3_N6thrust23THRUST_200600_302600_NS6detail15normal_iteratorINS9_10device_ptrIiEEEENSB_INSC_IjEEEENSB_INSC_IfEEEEjNS9_4plusIvEENS9_8equal_toIvEEjEE10hipError_tPvRmT2_T3_T4_T5_mT6_T7_P12ihipStream_tbENKUlT_T0_E_clISt17integral_constantIbLb0EES12_IbLb1EEEEDaSY_SZ_EUlSY_E_NS1_11comp_targetILNS1_3genE8ELNS1_11target_archE1030ELNS1_3gpuE2ELNS1_3repE0EEENS1_30default_config_static_selectorELNS0_4arch9wavefront6targetE1EEEvT1_
    .private_segment_fixed_size: 0
    .sgpr_count:     4
    .sgpr_spill_count: 0
    .symbol:         _ZN7rocprim17ROCPRIM_400000_NS6detail17trampoline_kernelINS0_14default_configENS1_27scan_by_key_config_selectorIijEEZZNS1_16scan_by_key_implILNS1_25lookback_scan_determinismE0ELb0ES3_N6thrust23THRUST_200600_302600_NS6detail15normal_iteratorINS9_10device_ptrIiEEEENSB_INSC_IjEEEENSB_INSC_IfEEEEjNS9_4plusIvEENS9_8equal_toIvEEjEE10hipError_tPvRmT2_T3_T4_T5_mT6_T7_P12ihipStream_tbENKUlT_T0_E_clISt17integral_constantIbLb0EES12_IbLb1EEEEDaSY_SZ_EUlSY_E_NS1_11comp_targetILNS1_3genE8ELNS1_11target_archE1030ELNS1_3gpuE2ELNS1_3repE0EEENS1_30default_config_static_selectorELNS0_4arch9wavefront6targetE1EEEvT1_.kd
    .uniform_work_group_size: 1
    .uses_dynamic_stack: false
    .vgpr_count:     0
    .vgpr_spill_count: 0
    .wavefront_size: 64
  - .agpr_count:     0
    .args:
      - .offset:         0
        .size:           112
        .value_kind:     by_value
    .group_segment_fixed_size: 0
    .kernarg_segment_align: 8
    .kernarg_segment_size: 112
    .language:       OpenCL C
    .language_version:
      - 2
      - 0
    .max_flat_workgroup_size: 256
    .name:           _ZN7rocprim17ROCPRIM_400000_NS6detail17trampoline_kernelINS0_14default_configENS1_27scan_by_key_config_selectorIifEEZZNS1_16scan_by_key_implILNS1_25lookback_scan_determinismE0ELb1ES3_N6thrust23THRUST_200600_302600_NS6detail15normal_iteratorINS9_10device_ptrIiEEEENSB_INSC_IjEEEENSB_INSC_IfEEEEfNS9_4plusIvEENS9_8equal_toIvEEfEE10hipError_tPvRmT2_T3_T4_T5_mT6_T7_P12ihipStream_tbENKUlT_T0_E_clISt17integral_constantIbLb0EES13_EEDaSY_SZ_EUlSY_E_NS1_11comp_targetILNS1_3genE0ELNS1_11target_archE4294967295ELNS1_3gpuE0ELNS1_3repE0EEENS1_30default_config_static_selectorELNS0_4arch9wavefront6targetE1EEEvT1_
    .private_segment_fixed_size: 0
    .sgpr_count:     4
    .sgpr_spill_count: 0
    .symbol:         _ZN7rocprim17ROCPRIM_400000_NS6detail17trampoline_kernelINS0_14default_configENS1_27scan_by_key_config_selectorIifEEZZNS1_16scan_by_key_implILNS1_25lookback_scan_determinismE0ELb1ES3_N6thrust23THRUST_200600_302600_NS6detail15normal_iteratorINS9_10device_ptrIiEEEENSB_INSC_IjEEEENSB_INSC_IfEEEEfNS9_4plusIvEENS9_8equal_toIvEEfEE10hipError_tPvRmT2_T3_T4_T5_mT6_T7_P12ihipStream_tbENKUlT_T0_E_clISt17integral_constantIbLb0EES13_EEDaSY_SZ_EUlSY_E_NS1_11comp_targetILNS1_3genE0ELNS1_11target_archE4294967295ELNS1_3gpuE0ELNS1_3repE0EEENS1_30default_config_static_selectorELNS0_4arch9wavefront6targetE1EEEvT1_.kd
    .uniform_work_group_size: 1
    .uses_dynamic_stack: false
    .vgpr_count:     0
    .vgpr_spill_count: 0
    .wavefront_size: 64
  - .agpr_count:     0
    .args:
      - .offset:         0
        .size:           112
        .value_kind:     by_value
    .group_segment_fixed_size: 0
    .kernarg_segment_align: 8
    .kernarg_segment_size: 112
    .language:       OpenCL C
    .language_version:
      - 2
      - 0
    .max_flat_workgroup_size: 256
    .name:           _ZN7rocprim17ROCPRIM_400000_NS6detail17trampoline_kernelINS0_14default_configENS1_27scan_by_key_config_selectorIifEEZZNS1_16scan_by_key_implILNS1_25lookback_scan_determinismE0ELb1ES3_N6thrust23THRUST_200600_302600_NS6detail15normal_iteratorINS9_10device_ptrIiEEEENSB_INSC_IjEEEENSB_INSC_IfEEEEfNS9_4plusIvEENS9_8equal_toIvEEfEE10hipError_tPvRmT2_T3_T4_T5_mT6_T7_P12ihipStream_tbENKUlT_T0_E_clISt17integral_constantIbLb0EES13_EEDaSY_SZ_EUlSY_E_NS1_11comp_targetILNS1_3genE10ELNS1_11target_archE1201ELNS1_3gpuE5ELNS1_3repE0EEENS1_30default_config_static_selectorELNS0_4arch9wavefront6targetE1EEEvT1_
    .private_segment_fixed_size: 0
    .sgpr_count:     4
    .sgpr_spill_count: 0
    .symbol:         _ZN7rocprim17ROCPRIM_400000_NS6detail17trampoline_kernelINS0_14default_configENS1_27scan_by_key_config_selectorIifEEZZNS1_16scan_by_key_implILNS1_25lookback_scan_determinismE0ELb1ES3_N6thrust23THRUST_200600_302600_NS6detail15normal_iteratorINS9_10device_ptrIiEEEENSB_INSC_IjEEEENSB_INSC_IfEEEEfNS9_4plusIvEENS9_8equal_toIvEEfEE10hipError_tPvRmT2_T3_T4_T5_mT6_T7_P12ihipStream_tbENKUlT_T0_E_clISt17integral_constantIbLb0EES13_EEDaSY_SZ_EUlSY_E_NS1_11comp_targetILNS1_3genE10ELNS1_11target_archE1201ELNS1_3gpuE5ELNS1_3repE0EEENS1_30default_config_static_selectorELNS0_4arch9wavefront6targetE1EEEvT1_.kd
    .uniform_work_group_size: 1
    .uses_dynamic_stack: false
    .vgpr_count:     0
    .vgpr_spill_count: 0
    .wavefront_size: 64
  - .agpr_count:     0
    .args:
      - .offset:         0
        .size:           112
        .value_kind:     by_value
    .group_segment_fixed_size: 0
    .kernarg_segment_align: 8
    .kernarg_segment_size: 112
    .language:       OpenCL C
    .language_version:
      - 2
      - 0
    .max_flat_workgroup_size: 256
    .name:           _ZN7rocprim17ROCPRIM_400000_NS6detail17trampoline_kernelINS0_14default_configENS1_27scan_by_key_config_selectorIifEEZZNS1_16scan_by_key_implILNS1_25lookback_scan_determinismE0ELb1ES3_N6thrust23THRUST_200600_302600_NS6detail15normal_iteratorINS9_10device_ptrIiEEEENSB_INSC_IjEEEENSB_INSC_IfEEEEfNS9_4plusIvEENS9_8equal_toIvEEfEE10hipError_tPvRmT2_T3_T4_T5_mT6_T7_P12ihipStream_tbENKUlT_T0_E_clISt17integral_constantIbLb0EES13_EEDaSY_SZ_EUlSY_E_NS1_11comp_targetILNS1_3genE5ELNS1_11target_archE942ELNS1_3gpuE9ELNS1_3repE0EEENS1_30default_config_static_selectorELNS0_4arch9wavefront6targetE1EEEvT1_
    .private_segment_fixed_size: 0
    .sgpr_count:     4
    .sgpr_spill_count: 0
    .symbol:         _ZN7rocprim17ROCPRIM_400000_NS6detail17trampoline_kernelINS0_14default_configENS1_27scan_by_key_config_selectorIifEEZZNS1_16scan_by_key_implILNS1_25lookback_scan_determinismE0ELb1ES3_N6thrust23THRUST_200600_302600_NS6detail15normal_iteratorINS9_10device_ptrIiEEEENSB_INSC_IjEEEENSB_INSC_IfEEEEfNS9_4plusIvEENS9_8equal_toIvEEfEE10hipError_tPvRmT2_T3_T4_T5_mT6_T7_P12ihipStream_tbENKUlT_T0_E_clISt17integral_constantIbLb0EES13_EEDaSY_SZ_EUlSY_E_NS1_11comp_targetILNS1_3genE5ELNS1_11target_archE942ELNS1_3gpuE9ELNS1_3repE0EEENS1_30default_config_static_selectorELNS0_4arch9wavefront6targetE1EEEvT1_.kd
    .uniform_work_group_size: 1
    .uses_dynamic_stack: false
    .vgpr_count:     0
    .vgpr_spill_count: 0
    .wavefront_size: 64
  - .agpr_count:     0
    .args:
      - .offset:         0
        .size:           112
        .value_kind:     by_value
    .group_segment_fixed_size: 16384
    .kernarg_segment_align: 8
    .kernarg_segment_size: 112
    .language:       OpenCL C
    .language_version:
      - 2
      - 0
    .max_flat_workgroup_size: 256
    .name:           _ZN7rocprim17ROCPRIM_400000_NS6detail17trampoline_kernelINS0_14default_configENS1_27scan_by_key_config_selectorIifEEZZNS1_16scan_by_key_implILNS1_25lookback_scan_determinismE0ELb1ES3_N6thrust23THRUST_200600_302600_NS6detail15normal_iteratorINS9_10device_ptrIiEEEENSB_INSC_IjEEEENSB_INSC_IfEEEEfNS9_4plusIvEENS9_8equal_toIvEEfEE10hipError_tPvRmT2_T3_T4_T5_mT6_T7_P12ihipStream_tbENKUlT_T0_E_clISt17integral_constantIbLb0EES13_EEDaSY_SZ_EUlSY_E_NS1_11comp_targetILNS1_3genE4ELNS1_11target_archE910ELNS1_3gpuE8ELNS1_3repE0EEENS1_30default_config_static_selectorELNS0_4arch9wavefront6targetE1EEEvT1_
    .private_segment_fixed_size: 0
    .sgpr_count:     63
    .sgpr_spill_count: 0
    .symbol:         _ZN7rocprim17ROCPRIM_400000_NS6detail17trampoline_kernelINS0_14default_configENS1_27scan_by_key_config_selectorIifEEZZNS1_16scan_by_key_implILNS1_25lookback_scan_determinismE0ELb1ES3_N6thrust23THRUST_200600_302600_NS6detail15normal_iteratorINS9_10device_ptrIiEEEENSB_INSC_IjEEEENSB_INSC_IfEEEEfNS9_4plusIvEENS9_8equal_toIvEEfEE10hipError_tPvRmT2_T3_T4_T5_mT6_T7_P12ihipStream_tbENKUlT_T0_E_clISt17integral_constantIbLb0EES13_EEDaSY_SZ_EUlSY_E_NS1_11comp_targetILNS1_3genE4ELNS1_11target_archE910ELNS1_3gpuE8ELNS1_3repE0EEENS1_30default_config_static_selectorELNS0_4arch9wavefront6targetE1EEEvT1_.kd
    .uniform_work_group_size: 1
    .uses_dynamic_stack: false
    .vgpr_count:     65
    .vgpr_spill_count: 0
    .wavefront_size: 64
  - .agpr_count:     0
    .args:
      - .offset:         0
        .size:           112
        .value_kind:     by_value
    .group_segment_fixed_size: 0
    .kernarg_segment_align: 8
    .kernarg_segment_size: 112
    .language:       OpenCL C
    .language_version:
      - 2
      - 0
    .max_flat_workgroup_size: 256
    .name:           _ZN7rocprim17ROCPRIM_400000_NS6detail17trampoline_kernelINS0_14default_configENS1_27scan_by_key_config_selectorIifEEZZNS1_16scan_by_key_implILNS1_25lookback_scan_determinismE0ELb1ES3_N6thrust23THRUST_200600_302600_NS6detail15normal_iteratorINS9_10device_ptrIiEEEENSB_INSC_IjEEEENSB_INSC_IfEEEEfNS9_4plusIvEENS9_8equal_toIvEEfEE10hipError_tPvRmT2_T3_T4_T5_mT6_T7_P12ihipStream_tbENKUlT_T0_E_clISt17integral_constantIbLb0EES13_EEDaSY_SZ_EUlSY_E_NS1_11comp_targetILNS1_3genE3ELNS1_11target_archE908ELNS1_3gpuE7ELNS1_3repE0EEENS1_30default_config_static_selectorELNS0_4arch9wavefront6targetE1EEEvT1_
    .private_segment_fixed_size: 0
    .sgpr_count:     4
    .sgpr_spill_count: 0
    .symbol:         _ZN7rocprim17ROCPRIM_400000_NS6detail17trampoline_kernelINS0_14default_configENS1_27scan_by_key_config_selectorIifEEZZNS1_16scan_by_key_implILNS1_25lookback_scan_determinismE0ELb1ES3_N6thrust23THRUST_200600_302600_NS6detail15normal_iteratorINS9_10device_ptrIiEEEENSB_INSC_IjEEEENSB_INSC_IfEEEEfNS9_4plusIvEENS9_8equal_toIvEEfEE10hipError_tPvRmT2_T3_T4_T5_mT6_T7_P12ihipStream_tbENKUlT_T0_E_clISt17integral_constantIbLb0EES13_EEDaSY_SZ_EUlSY_E_NS1_11comp_targetILNS1_3genE3ELNS1_11target_archE908ELNS1_3gpuE7ELNS1_3repE0EEENS1_30default_config_static_selectorELNS0_4arch9wavefront6targetE1EEEvT1_.kd
    .uniform_work_group_size: 1
    .uses_dynamic_stack: false
    .vgpr_count:     0
    .vgpr_spill_count: 0
    .wavefront_size: 64
  - .agpr_count:     0
    .args:
      - .offset:         0
        .size:           112
        .value_kind:     by_value
    .group_segment_fixed_size: 0
    .kernarg_segment_align: 8
    .kernarg_segment_size: 112
    .language:       OpenCL C
    .language_version:
      - 2
      - 0
    .max_flat_workgroup_size: 256
    .name:           _ZN7rocprim17ROCPRIM_400000_NS6detail17trampoline_kernelINS0_14default_configENS1_27scan_by_key_config_selectorIifEEZZNS1_16scan_by_key_implILNS1_25lookback_scan_determinismE0ELb1ES3_N6thrust23THRUST_200600_302600_NS6detail15normal_iteratorINS9_10device_ptrIiEEEENSB_INSC_IjEEEENSB_INSC_IfEEEEfNS9_4plusIvEENS9_8equal_toIvEEfEE10hipError_tPvRmT2_T3_T4_T5_mT6_T7_P12ihipStream_tbENKUlT_T0_E_clISt17integral_constantIbLb0EES13_EEDaSY_SZ_EUlSY_E_NS1_11comp_targetILNS1_3genE2ELNS1_11target_archE906ELNS1_3gpuE6ELNS1_3repE0EEENS1_30default_config_static_selectorELNS0_4arch9wavefront6targetE1EEEvT1_
    .private_segment_fixed_size: 0
    .sgpr_count:     4
    .sgpr_spill_count: 0
    .symbol:         _ZN7rocprim17ROCPRIM_400000_NS6detail17trampoline_kernelINS0_14default_configENS1_27scan_by_key_config_selectorIifEEZZNS1_16scan_by_key_implILNS1_25lookback_scan_determinismE0ELb1ES3_N6thrust23THRUST_200600_302600_NS6detail15normal_iteratorINS9_10device_ptrIiEEEENSB_INSC_IjEEEENSB_INSC_IfEEEEfNS9_4plusIvEENS9_8equal_toIvEEfEE10hipError_tPvRmT2_T3_T4_T5_mT6_T7_P12ihipStream_tbENKUlT_T0_E_clISt17integral_constantIbLb0EES13_EEDaSY_SZ_EUlSY_E_NS1_11comp_targetILNS1_3genE2ELNS1_11target_archE906ELNS1_3gpuE6ELNS1_3repE0EEENS1_30default_config_static_selectorELNS0_4arch9wavefront6targetE1EEEvT1_.kd
    .uniform_work_group_size: 1
    .uses_dynamic_stack: false
    .vgpr_count:     0
    .vgpr_spill_count: 0
    .wavefront_size: 64
  - .agpr_count:     0
    .args:
      - .offset:         0
        .size:           112
        .value_kind:     by_value
    .group_segment_fixed_size: 0
    .kernarg_segment_align: 8
    .kernarg_segment_size: 112
    .language:       OpenCL C
    .language_version:
      - 2
      - 0
    .max_flat_workgroup_size: 256
    .name:           _ZN7rocprim17ROCPRIM_400000_NS6detail17trampoline_kernelINS0_14default_configENS1_27scan_by_key_config_selectorIifEEZZNS1_16scan_by_key_implILNS1_25lookback_scan_determinismE0ELb1ES3_N6thrust23THRUST_200600_302600_NS6detail15normal_iteratorINS9_10device_ptrIiEEEENSB_INSC_IjEEEENSB_INSC_IfEEEEfNS9_4plusIvEENS9_8equal_toIvEEfEE10hipError_tPvRmT2_T3_T4_T5_mT6_T7_P12ihipStream_tbENKUlT_T0_E_clISt17integral_constantIbLb0EES13_EEDaSY_SZ_EUlSY_E_NS1_11comp_targetILNS1_3genE10ELNS1_11target_archE1200ELNS1_3gpuE4ELNS1_3repE0EEENS1_30default_config_static_selectorELNS0_4arch9wavefront6targetE1EEEvT1_
    .private_segment_fixed_size: 0
    .sgpr_count:     4
    .sgpr_spill_count: 0
    .symbol:         _ZN7rocprim17ROCPRIM_400000_NS6detail17trampoline_kernelINS0_14default_configENS1_27scan_by_key_config_selectorIifEEZZNS1_16scan_by_key_implILNS1_25lookback_scan_determinismE0ELb1ES3_N6thrust23THRUST_200600_302600_NS6detail15normal_iteratorINS9_10device_ptrIiEEEENSB_INSC_IjEEEENSB_INSC_IfEEEEfNS9_4plusIvEENS9_8equal_toIvEEfEE10hipError_tPvRmT2_T3_T4_T5_mT6_T7_P12ihipStream_tbENKUlT_T0_E_clISt17integral_constantIbLb0EES13_EEDaSY_SZ_EUlSY_E_NS1_11comp_targetILNS1_3genE10ELNS1_11target_archE1200ELNS1_3gpuE4ELNS1_3repE0EEENS1_30default_config_static_selectorELNS0_4arch9wavefront6targetE1EEEvT1_.kd
    .uniform_work_group_size: 1
    .uses_dynamic_stack: false
    .vgpr_count:     0
    .vgpr_spill_count: 0
    .wavefront_size: 64
  - .agpr_count:     0
    .args:
      - .offset:         0
        .size:           112
        .value_kind:     by_value
    .group_segment_fixed_size: 0
    .kernarg_segment_align: 8
    .kernarg_segment_size: 112
    .language:       OpenCL C
    .language_version:
      - 2
      - 0
    .max_flat_workgroup_size: 256
    .name:           _ZN7rocprim17ROCPRIM_400000_NS6detail17trampoline_kernelINS0_14default_configENS1_27scan_by_key_config_selectorIifEEZZNS1_16scan_by_key_implILNS1_25lookback_scan_determinismE0ELb1ES3_N6thrust23THRUST_200600_302600_NS6detail15normal_iteratorINS9_10device_ptrIiEEEENSB_INSC_IjEEEENSB_INSC_IfEEEEfNS9_4plusIvEENS9_8equal_toIvEEfEE10hipError_tPvRmT2_T3_T4_T5_mT6_T7_P12ihipStream_tbENKUlT_T0_E_clISt17integral_constantIbLb0EES13_EEDaSY_SZ_EUlSY_E_NS1_11comp_targetILNS1_3genE9ELNS1_11target_archE1100ELNS1_3gpuE3ELNS1_3repE0EEENS1_30default_config_static_selectorELNS0_4arch9wavefront6targetE1EEEvT1_
    .private_segment_fixed_size: 0
    .sgpr_count:     4
    .sgpr_spill_count: 0
    .symbol:         _ZN7rocprim17ROCPRIM_400000_NS6detail17trampoline_kernelINS0_14default_configENS1_27scan_by_key_config_selectorIifEEZZNS1_16scan_by_key_implILNS1_25lookback_scan_determinismE0ELb1ES3_N6thrust23THRUST_200600_302600_NS6detail15normal_iteratorINS9_10device_ptrIiEEEENSB_INSC_IjEEEENSB_INSC_IfEEEEfNS9_4plusIvEENS9_8equal_toIvEEfEE10hipError_tPvRmT2_T3_T4_T5_mT6_T7_P12ihipStream_tbENKUlT_T0_E_clISt17integral_constantIbLb0EES13_EEDaSY_SZ_EUlSY_E_NS1_11comp_targetILNS1_3genE9ELNS1_11target_archE1100ELNS1_3gpuE3ELNS1_3repE0EEENS1_30default_config_static_selectorELNS0_4arch9wavefront6targetE1EEEvT1_.kd
    .uniform_work_group_size: 1
    .uses_dynamic_stack: false
    .vgpr_count:     0
    .vgpr_spill_count: 0
    .wavefront_size: 64
  - .agpr_count:     0
    .args:
      - .offset:         0
        .size:           112
        .value_kind:     by_value
    .group_segment_fixed_size: 0
    .kernarg_segment_align: 8
    .kernarg_segment_size: 112
    .language:       OpenCL C
    .language_version:
      - 2
      - 0
    .max_flat_workgroup_size: 256
    .name:           _ZN7rocprim17ROCPRIM_400000_NS6detail17trampoline_kernelINS0_14default_configENS1_27scan_by_key_config_selectorIifEEZZNS1_16scan_by_key_implILNS1_25lookback_scan_determinismE0ELb1ES3_N6thrust23THRUST_200600_302600_NS6detail15normal_iteratorINS9_10device_ptrIiEEEENSB_INSC_IjEEEENSB_INSC_IfEEEEfNS9_4plusIvEENS9_8equal_toIvEEfEE10hipError_tPvRmT2_T3_T4_T5_mT6_T7_P12ihipStream_tbENKUlT_T0_E_clISt17integral_constantIbLb0EES13_EEDaSY_SZ_EUlSY_E_NS1_11comp_targetILNS1_3genE8ELNS1_11target_archE1030ELNS1_3gpuE2ELNS1_3repE0EEENS1_30default_config_static_selectorELNS0_4arch9wavefront6targetE1EEEvT1_
    .private_segment_fixed_size: 0
    .sgpr_count:     4
    .sgpr_spill_count: 0
    .symbol:         _ZN7rocprim17ROCPRIM_400000_NS6detail17trampoline_kernelINS0_14default_configENS1_27scan_by_key_config_selectorIifEEZZNS1_16scan_by_key_implILNS1_25lookback_scan_determinismE0ELb1ES3_N6thrust23THRUST_200600_302600_NS6detail15normal_iteratorINS9_10device_ptrIiEEEENSB_INSC_IjEEEENSB_INSC_IfEEEEfNS9_4plusIvEENS9_8equal_toIvEEfEE10hipError_tPvRmT2_T3_T4_T5_mT6_T7_P12ihipStream_tbENKUlT_T0_E_clISt17integral_constantIbLb0EES13_EEDaSY_SZ_EUlSY_E_NS1_11comp_targetILNS1_3genE8ELNS1_11target_archE1030ELNS1_3gpuE2ELNS1_3repE0EEENS1_30default_config_static_selectorELNS0_4arch9wavefront6targetE1EEEvT1_.kd
    .uniform_work_group_size: 1
    .uses_dynamic_stack: false
    .vgpr_count:     0
    .vgpr_spill_count: 0
    .wavefront_size: 64
  - .agpr_count:     0
    .args:
      - .offset:         0
        .size:           112
        .value_kind:     by_value
    .group_segment_fixed_size: 0
    .kernarg_segment_align: 8
    .kernarg_segment_size: 112
    .language:       OpenCL C
    .language_version:
      - 2
      - 0
    .max_flat_workgroup_size: 256
    .name:           _ZN7rocprim17ROCPRIM_400000_NS6detail17trampoline_kernelINS0_14default_configENS1_27scan_by_key_config_selectorIifEEZZNS1_16scan_by_key_implILNS1_25lookback_scan_determinismE0ELb1ES3_N6thrust23THRUST_200600_302600_NS6detail15normal_iteratorINS9_10device_ptrIiEEEENSB_INSC_IjEEEENSB_INSC_IfEEEEfNS9_4plusIvEENS9_8equal_toIvEEfEE10hipError_tPvRmT2_T3_T4_T5_mT6_T7_P12ihipStream_tbENKUlT_T0_E_clISt17integral_constantIbLb1EES13_EEDaSY_SZ_EUlSY_E_NS1_11comp_targetILNS1_3genE0ELNS1_11target_archE4294967295ELNS1_3gpuE0ELNS1_3repE0EEENS1_30default_config_static_selectorELNS0_4arch9wavefront6targetE1EEEvT1_
    .private_segment_fixed_size: 0
    .sgpr_count:     4
    .sgpr_spill_count: 0
    .symbol:         _ZN7rocprim17ROCPRIM_400000_NS6detail17trampoline_kernelINS0_14default_configENS1_27scan_by_key_config_selectorIifEEZZNS1_16scan_by_key_implILNS1_25lookback_scan_determinismE0ELb1ES3_N6thrust23THRUST_200600_302600_NS6detail15normal_iteratorINS9_10device_ptrIiEEEENSB_INSC_IjEEEENSB_INSC_IfEEEEfNS9_4plusIvEENS9_8equal_toIvEEfEE10hipError_tPvRmT2_T3_T4_T5_mT6_T7_P12ihipStream_tbENKUlT_T0_E_clISt17integral_constantIbLb1EES13_EEDaSY_SZ_EUlSY_E_NS1_11comp_targetILNS1_3genE0ELNS1_11target_archE4294967295ELNS1_3gpuE0ELNS1_3repE0EEENS1_30default_config_static_selectorELNS0_4arch9wavefront6targetE1EEEvT1_.kd
    .uniform_work_group_size: 1
    .uses_dynamic_stack: false
    .vgpr_count:     0
    .vgpr_spill_count: 0
    .wavefront_size: 64
  - .agpr_count:     0
    .args:
      - .offset:         0
        .size:           112
        .value_kind:     by_value
    .group_segment_fixed_size: 0
    .kernarg_segment_align: 8
    .kernarg_segment_size: 112
    .language:       OpenCL C
    .language_version:
      - 2
      - 0
    .max_flat_workgroup_size: 256
    .name:           _ZN7rocprim17ROCPRIM_400000_NS6detail17trampoline_kernelINS0_14default_configENS1_27scan_by_key_config_selectorIifEEZZNS1_16scan_by_key_implILNS1_25lookback_scan_determinismE0ELb1ES3_N6thrust23THRUST_200600_302600_NS6detail15normal_iteratorINS9_10device_ptrIiEEEENSB_INSC_IjEEEENSB_INSC_IfEEEEfNS9_4plusIvEENS9_8equal_toIvEEfEE10hipError_tPvRmT2_T3_T4_T5_mT6_T7_P12ihipStream_tbENKUlT_T0_E_clISt17integral_constantIbLb1EES13_EEDaSY_SZ_EUlSY_E_NS1_11comp_targetILNS1_3genE10ELNS1_11target_archE1201ELNS1_3gpuE5ELNS1_3repE0EEENS1_30default_config_static_selectorELNS0_4arch9wavefront6targetE1EEEvT1_
    .private_segment_fixed_size: 0
    .sgpr_count:     4
    .sgpr_spill_count: 0
    .symbol:         _ZN7rocprim17ROCPRIM_400000_NS6detail17trampoline_kernelINS0_14default_configENS1_27scan_by_key_config_selectorIifEEZZNS1_16scan_by_key_implILNS1_25lookback_scan_determinismE0ELb1ES3_N6thrust23THRUST_200600_302600_NS6detail15normal_iteratorINS9_10device_ptrIiEEEENSB_INSC_IjEEEENSB_INSC_IfEEEEfNS9_4plusIvEENS9_8equal_toIvEEfEE10hipError_tPvRmT2_T3_T4_T5_mT6_T7_P12ihipStream_tbENKUlT_T0_E_clISt17integral_constantIbLb1EES13_EEDaSY_SZ_EUlSY_E_NS1_11comp_targetILNS1_3genE10ELNS1_11target_archE1201ELNS1_3gpuE5ELNS1_3repE0EEENS1_30default_config_static_selectorELNS0_4arch9wavefront6targetE1EEEvT1_.kd
    .uniform_work_group_size: 1
    .uses_dynamic_stack: false
    .vgpr_count:     0
    .vgpr_spill_count: 0
    .wavefront_size: 64
  - .agpr_count:     0
    .args:
      - .offset:         0
        .size:           112
        .value_kind:     by_value
    .group_segment_fixed_size: 0
    .kernarg_segment_align: 8
    .kernarg_segment_size: 112
    .language:       OpenCL C
    .language_version:
      - 2
      - 0
    .max_flat_workgroup_size: 256
    .name:           _ZN7rocprim17ROCPRIM_400000_NS6detail17trampoline_kernelINS0_14default_configENS1_27scan_by_key_config_selectorIifEEZZNS1_16scan_by_key_implILNS1_25lookback_scan_determinismE0ELb1ES3_N6thrust23THRUST_200600_302600_NS6detail15normal_iteratorINS9_10device_ptrIiEEEENSB_INSC_IjEEEENSB_INSC_IfEEEEfNS9_4plusIvEENS9_8equal_toIvEEfEE10hipError_tPvRmT2_T3_T4_T5_mT6_T7_P12ihipStream_tbENKUlT_T0_E_clISt17integral_constantIbLb1EES13_EEDaSY_SZ_EUlSY_E_NS1_11comp_targetILNS1_3genE5ELNS1_11target_archE942ELNS1_3gpuE9ELNS1_3repE0EEENS1_30default_config_static_selectorELNS0_4arch9wavefront6targetE1EEEvT1_
    .private_segment_fixed_size: 0
    .sgpr_count:     4
    .sgpr_spill_count: 0
    .symbol:         _ZN7rocprim17ROCPRIM_400000_NS6detail17trampoline_kernelINS0_14default_configENS1_27scan_by_key_config_selectorIifEEZZNS1_16scan_by_key_implILNS1_25lookback_scan_determinismE0ELb1ES3_N6thrust23THRUST_200600_302600_NS6detail15normal_iteratorINS9_10device_ptrIiEEEENSB_INSC_IjEEEENSB_INSC_IfEEEEfNS9_4plusIvEENS9_8equal_toIvEEfEE10hipError_tPvRmT2_T3_T4_T5_mT6_T7_P12ihipStream_tbENKUlT_T0_E_clISt17integral_constantIbLb1EES13_EEDaSY_SZ_EUlSY_E_NS1_11comp_targetILNS1_3genE5ELNS1_11target_archE942ELNS1_3gpuE9ELNS1_3repE0EEENS1_30default_config_static_selectorELNS0_4arch9wavefront6targetE1EEEvT1_.kd
    .uniform_work_group_size: 1
    .uses_dynamic_stack: false
    .vgpr_count:     0
    .vgpr_spill_count: 0
    .wavefront_size: 64
  - .agpr_count:     0
    .args:
      - .offset:         0
        .size:           112
        .value_kind:     by_value
    .group_segment_fixed_size: 16384
    .kernarg_segment_align: 8
    .kernarg_segment_size: 112
    .language:       OpenCL C
    .language_version:
      - 2
      - 0
    .max_flat_workgroup_size: 256
    .name:           _ZN7rocprim17ROCPRIM_400000_NS6detail17trampoline_kernelINS0_14default_configENS1_27scan_by_key_config_selectorIifEEZZNS1_16scan_by_key_implILNS1_25lookback_scan_determinismE0ELb1ES3_N6thrust23THRUST_200600_302600_NS6detail15normal_iteratorINS9_10device_ptrIiEEEENSB_INSC_IjEEEENSB_INSC_IfEEEEfNS9_4plusIvEENS9_8equal_toIvEEfEE10hipError_tPvRmT2_T3_T4_T5_mT6_T7_P12ihipStream_tbENKUlT_T0_E_clISt17integral_constantIbLb1EES13_EEDaSY_SZ_EUlSY_E_NS1_11comp_targetILNS1_3genE4ELNS1_11target_archE910ELNS1_3gpuE8ELNS1_3repE0EEENS1_30default_config_static_selectorELNS0_4arch9wavefront6targetE1EEEvT1_
    .private_segment_fixed_size: 0
    .sgpr_count:     64
    .sgpr_spill_count: 0
    .symbol:         _ZN7rocprim17ROCPRIM_400000_NS6detail17trampoline_kernelINS0_14default_configENS1_27scan_by_key_config_selectorIifEEZZNS1_16scan_by_key_implILNS1_25lookback_scan_determinismE0ELb1ES3_N6thrust23THRUST_200600_302600_NS6detail15normal_iteratorINS9_10device_ptrIiEEEENSB_INSC_IjEEEENSB_INSC_IfEEEEfNS9_4plusIvEENS9_8equal_toIvEEfEE10hipError_tPvRmT2_T3_T4_T5_mT6_T7_P12ihipStream_tbENKUlT_T0_E_clISt17integral_constantIbLb1EES13_EEDaSY_SZ_EUlSY_E_NS1_11comp_targetILNS1_3genE4ELNS1_11target_archE910ELNS1_3gpuE8ELNS1_3repE0EEENS1_30default_config_static_selectorELNS0_4arch9wavefront6targetE1EEEvT1_.kd
    .uniform_work_group_size: 1
    .uses_dynamic_stack: false
    .vgpr_count:     67
    .vgpr_spill_count: 0
    .wavefront_size: 64
  - .agpr_count:     0
    .args:
      - .offset:         0
        .size:           112
        .value_kind:     by_value
    .group_segment_fixed_size: 0
    .kernarg_segment_align: 8
    .kernarg_segment_size: 112
    .language:       OpenCL C
    .language_version:
      - 2
      - 0
    .max_flat_workgroup_size: 256
    .name:           _ZN7rocprim17ROCPRIM_400000_NS6detail17trampoline_kernelINS0_14default_configENS1_27scan_by_key_config_selectorIifEEZZNS1_16scan_by_key_implILNS1_25lookback_scan_determinismE0ELb1ES3_N6thrust23THRUST_200600_302600_NS6detail15normal_iteratorINS9_10device_ptrIiEEEENSB_INSC_IjEEEENSB_INSC_IfEEEEfNS9_4plusIvEENS9_8equal_toIvEEfEE10hipError_tPvRmT2_T3_T4_T5_mT6_T7_P12ihipStream_tbENKUlT_T0_E_clISt17integral_constantIbLb1EES13_EEDaSY_SZ_EUlSY_E_NS1_11comp_targetILNS1_3genE3ELNS1_11target_archE908ELNS1_3gpuE7ELNS1_3repE0EEENS1_30default_config_static_selectorELNS0_4arch9wavefront6targetE1EEEvT1_
    .private_segment_fixed_size: 0
    .sgpr_count:     4
    .sgpr_spill_count: 0
    .symbol:         _ZN7rocprim17ROCPRIM_400000_NS6detail17trampoline_kernelINS0_14default_configENS1_27scan_by_key_config_selectorIifEEZZNS1_16scan_by_key_implILNS1_25lookback_scan_determinismE0ELb1ES3_N6thrust23THRUST_200600_302600_NS6detail15normal_iteratorINS9_10device_ptrIiEEEENSB_INSC_IjEEEENSB_INSC_IfEEEEfNS9_4plusIvEENS9_8equal_toIvEEfEE10hipError_tPvRmT2_T3_T4_T5_mT6_T7_P12ihipStream_tbENKUlT_T0_E_clISt17integral_constantIbLb1EES13_EEDaSY_SZ_EUlSY_E_NS1_11comp_targetILNS1_3genE3ELNS1_11target_archE908ELNS1_3gpuE7ELNS1_3repE0EEENS1_30default_config_static_selectorELNS0_4arch9wavefront6targetE1EEEvT1_.kd
    .uniform_work_group_size: 1
    .uses_dynamic_stack: false
    .vgpr_count:     0
    .vgpr_spill_count: 0
    .wavefront_size: 64
  - .agpr_count:     0
    .args:
      - .offset:         0
        .size:           112
        .value_kind:     by_value
    .group_segment_fixed_size: 0
    .kernarg_segment_align: 8
    .kernarg_segment_size: 112
    .language:       OpenCL C
    .language_version:
      - 2
      - 0
    .max_flat_workgroup_size: 256
    .name:           _ZN7rocprim17ROCPRIM_400000_NS6detail17trampoline_kernelINS0_14default_configENS1_27scan_by_key_config_selectorIifEEZZNS1_16scan_by_key_implILNS1_25lookback_scan_determinismE0ELb1ES3_N6thrust23THRUST_200600_302600_NS6detail15normal_iteratorINS9_10device_ptrIiEEEENSB_INSC_IjEEEENSB_INSC_IfEEEEfNS9_4plusIvEENS9_8equal_toIvEEfEE10hipError_tPvRmT2_T3_T4_T5_mT6_T7_P12ihipStream_tbENKUlT_T0_E_clISt17integral_constantIbLb1EES13_EEDaSY_SZ_EUlSY_E_NS1_11comp_targetILNS1_3genE2ELNS1_11target_archE906ELNS1_3gpuE6ELNS1_3repE0EEENS1_30default_config_static_selectorELNS0_4arch9wavefront6targetE1EEEvT1_
    .private_segment_fixed_size: 0
    .sgpr_count:     4
    .sgpr_spill_count: 0
    .symbol:         _ZN7rocprim17ROCPRIM_400000_NS6detail17trampoline_kernelINS0_14default_configENS1_27scan_by_key_config_selectorIifEEZZNS1_16scan_by_key_implILNS1_25lookback_scan_determinismE0ELb1ES3_N6thrust23THRUST_200600_302600_NS6detail15normal_iteratorINS9_10device_ptrIiEEEENSB_INSC_IjEEEENSB_INSC_IfEEEEfNS9_4plusIvEENS9_8equal_toIvEEfEE10hipError_tPvRmT2_T3_T4_T5_mT6_T7_P12ihipStream_tbENKUlT_T0_E_clISt17integral_constantIbLb1EES13_EEDaSY_SZ_EUlSY_E_NS1_11comp_targetILNS1_3genE2ELNS1_11target_archE906ELNS1_3gpuE6ELNS1_3repE0EEENS1_30default_config_static_selectorELNS0_4arch9wavefront6targetE1EEEvT1_.kd
    .uniform_work_group_size: 1
    .uses_dynamic_stack: false
    .vgpr_count:     0
    .vgpr_spill_count: 0
    .wavefront_size: 64
  - .agpr_count:     0
    .args:
      - .offset:         0
        .size:           112
        .value_kind:     by_value
    .group_segment_fixed_size: 0
    .kernarg_segment_align: 8
    .kernarg_segment_size: 112
    .language:       OpenCL C
    .language_version:
      - 2
      - 0
    .max_flat_workgroup_size: 256
    .name:           _ZN7rocprim17ROCPRIM_400000_NS6detail17trampoline_kernelINS0_14default_configENS1_27scan_by_key_config_selectorIifEEZZNS1_16scan_by_key_implILNS1_25lookback_scan_determinismE0ELb1ES3_N6thrust23THRUST_200600_302600_NS6detail15normal_iteratorINS9_10device_ptrIiEEEENSB_INSC_IjEEEENSB_INSC_IfEEEEfNS9_4plusIvEENS9_8equal_toIvEEfEE10hipError_tPvRmT2_T3_T4_T5_mT6_T7_P12ihipStream_tbENKUlT_T0_E_clISt17integral_constantIbLb1EES13_EEDaSY_SZ_EUlSY_E_NS1_11comp_targetILNS1_3genE10ELNS1_11target_archE1200ELNS1_3gpuE4ELNS1_3repE0EEENS1_30default_config_static_selectorELNS0_4arch9wavefront6targetE1EEEvT1_
    .private_segment_fixed_size: 0
    .sgpr_count:     4
    .sgpr_spill_count: 0
    .symbol:         _ZN7rocprim17ROCPRIM_400000_NS6detail17trampoline_kernelINS0_14default_configENS1_27scan_by_key_config_selectorIifEEZZNS1_16scan_by_key_implILNS1_25lookback_scan_determinismE0ELb1ES3_N6thrust23THRUST_200600_302600_NS6detail15normal_iteratorINS9_10device_ptrIiEEEENSB_INSC_IjEEEENSB_INSC_IfEEEEfNS9_4plusIvEENS9_8equal_toIvEEfEE10hipError_tPvRmT2_T3_T4_T5_mT6_T7_P12ihipStream_tbENKUlT_T0_E_clISt17integral_constantIbLb1EES13_EEDaSY_SZ_EUlSY_E_NS1_11comp_targetILNS1_3genE10ELNS1_11target_archE1200ELNS1_3gpuE4ELNS1_3repE0EEENS1_30default_config_static_selectorELNS0_4arch9wavefront6targetE1EEEvT1_.kd
    .uniform_work_group_size: 1
    .uses_dynamic_stack: false
    .vgpr_count:     0
    .vgpr_spill_count: 0
    .wavefront_size: 64
  - .agpr_count:     0
    .args:
      - .offset:         0
        .size:           112
        .value_kind:     by_value
    .group_segment_fixed_size: 0
    .kernarg_segment_align: 8
    .kernarg_segment_size: 112
    .language:       OpenCL C
    .language_version:
      - 2
      - 0
    .max_flat_workgroup_size: 256
    .name:           _ZN7rocprim17ROCPRIM_400000_NS6detail17trampoline_kernelINS0_14default_configENS1_27scan_by_key_config_selectorIifEEZZNS1_16scan_by_key_implILNS1_25lookback_scan_determinismE0ELb1ES3_N6thrust23THRUST_200600_302600_NS6detail15normal_iteratorINS9_10device_ptrIiEEEENSB_INSC_IjEEEENSB_INSC_IfEEEEfNS9_4plusIvEENS9_8equal_toIvEEfEE10hipError_tPvRmT2_T3_T4_T5_mT6_T7_P12ihipStream_tbENKUlT_T0_E_clISt17integral_constantIbLb1EES13_EEDaSY_SZ_EUlSY_E_NS1_11comp_targetILNS1_3genE9ELNS1_11target_archE1100ELNS1_3gpuE3ELNS1_3repE0EEENS1_30default_config_static_selectorELNS0_4arch9wavefront6targetE1EEEvT1_
    .private_segment_fixed_size: 0
    .sgpr_count:     4
    .sgpr_spill_count: 0
    .symbol:         _ZN7rocprim17ROCPRIM_400000_NS6detail17trampoline_kernelINS0_14default_configENS1_27scan_by_key_config_selectorIifEEZZNS1_16scan_by_key_implILNS1_25lookback_scan_determinismE0ELb1ES3_N6thrust23THRUST_200600_302600_NS6detail15normal_iteratorINS9_10device_ptrIiEEEENSB_INSC_IjEEEENSB_INSC_IfEEEEfNS9_4plusIvEENS9_8equal_toIvEEfEE10hipError_tPvRmT2_T3_T4_T5_mT6_T7_P12ihipStream_tbENKUlT_T0_E_clISt17integral_constantIbLb1EES13_EEDaSY_SZ_EUlSY_E_NS1_11comp_targetILNS1_3genE9ELNS1_11target_archE1100ELNS1_3gpuE3ELNS1_3repE0EEENS1_30default_config_static_selectorELNS0_4arch9wavefront6targetE1EEEvT1_.kd
    .uniform_work_group_size: 1
    .uses_dynamic_stack: false
    .vgpr_count:     0
    .vgpr_spill_count: 0
    .wavefront_size: 64
  - .agpr_count:     0
    .args:
      - .offset:         0
        .size:           112
        .value_kind:     by_value
    .group_segment_fixed_size: 0
    .kernarg_segment_align: 8
    .kernarg_segment_size: 112
    .language:       OpenCL C
    .language_version:
      - 2
      - 0
    .max_flat_workgroup_size: 256
    .name:           _ZN7rocprim17ROCPRIM_400000_NS6detail17trampoline_kernelINS0_14default_configENS1_27scan_by_key_config_selectorIifEEZZNS1_16scan_by_key_implILNS1_25lookback_scan_determinismE0ELb1ES3_N6thrust23THRUST_200600_302600_NS6detail15normal_iteratorINS9_10device_ptrIiEEEENSB_INSC_IjEEEENSB_INSC_IfEEEEfNS9_4plusIvEENS9_8equal_toIvEEfEE10hipError_tPvRmT2_T3_T4_T5_mT6_T7_P12ihipStream_tbENKUlT_T0_E_clISt17integral_constantIbLb1EES13_EEDaSY_SZ_EUlSY_E_NS1_11comp_targetILNS1_3genE8ELNS1_11target_archE1030ELNS1_3gpuE2ELNS1_3repE0EEENS1_30default_config_static_selectorELNS0_4arch9wavefront6targetE1EEEvT1_
    .private_segment_fixed_size: 0
    .sgpr_count:     4
    .sgpr_spill_count: 0
    .symbol:         _ZN7rocprim17ROCPRIM_400000_NS6detail17trampoline_kernelINS0_14default_configENS1_27scan_by_key_config_selectorIifEEZZNS1_16scan_by_key_implILNS1_25lookback_scan_determinismE0ELb1ES3_N6thrust23THRUST_200600_302600_NS6detail15normal_iteratorINS9_10device_ptrIiEEEENSB_INSC_IjEEEENSB_INSC_IfEEEEfNS9_4plusIvEENS9_8equal_toIvEEfEE10hipError_tPvRmT2_T3_T4_T5_mT6_T7_P12ihipStream_tbENKUlT_T0_E_clISt17integral_constantIbLb1EES13_EEDaSY_SZ_EUlSY_E_NS1_11comp_targetILNS1_3genE8ELNS1_11target_archE1030ELNS1_3gpuE2ELNS1_3repE0EEENS1_30default_config_static_selectorELNS0_4arch9wavefront6targetE1EEEvT1_.kd
    .uniform_work_group_size: 1
    .uses_dynamic_stack: false
    .vgpr_count:     0
    .vgpr_spill_count: 0
    .wavefront_size: 64
  - .agpr_count:     0
    .args:
      - .offset:         0
        .size:           112
        .value_kind:     by_value
    .group_segment_fixed_size: 0
    .kernarg_segment_align: 8
    .kernarg_segment_size: 112
    .language:       OpenCL C
    .language_version:
      - 2
      - 0
    .max_flat_workgroup_size: 256
    .name:           _ZN7rocprim17ROCPRIM_400000_NS6detail17trampoline_kernelINS0_14default_configENS1_27scan_by_key_config_selectorIifEEZZNS1_16scan_by_key_implILNS1_25lookback_scan_determinismE0ELb1ES3_N6thrust23THRUST_200600_302600_NS6detail15normal_iteratorINS9_10device_ptrIiEEEENSB_INSC_IjEEEENSB_INSC_IfEEEEfNS9_4plusIvEENS9_8equal_toIvEEfEE10hipError_tPvRmT2_T3_T4_T5_mT6_T7_P12ihipStream_tbENKUlT_T0_E_clISt17integral_constantIbLb1EES12_IbLb0EEEEDaSY_SZ_EUlSY_E_NS1_11comp_targetILNS1_3genE0ELNS1_11target_archE4294967295ELNS1_3gpuE0ELNS1_3repE0EEENS1_30default_config_static_selectorELNS0_4arch9wavefront6targetE1EEEvT1_
    .private_segment_fixed_size: 0
    .sgpr_count:     4
    .sgpr_spill_count: 0
    .symbol:         _ZN7rocprim17ROCPRIM_400000_NS6detail17trampoline_kernelINS0_14default_configENS1_27scan_by_key_config_selectorIifEEZZNS1_16scan_by_key_implILNS1_25lookback_scan_determinismE0ELb1ES3_N6thrust23THRUST_200600_302600_NS6detail15normal_iteratorINS9_10device_ptrIiEEEENSB_INSC_IjEEEENSB_INSC_IfEEEEfNS9_4plusIvEENS9_8equal_toIvEEfEE10hipError_tPvRmT2_T3_T4_T5_mT6_T7_P12ihipStream_tbENKUlT_T0_E_clISt17integral_constantIbLb1EES12_IbLb0EEEEDaSY_SZ_EUlSY_E_NS1_11comp_targetILNS1_3genE0ELNS1_11target_archE4294967295ELNS1_3gpuE0ELNS1_3repE0EEENS1_30default_config_static_selectorELNS0_4arch9wavefront6targetE1EEEvT1_.kd
    .uniform_work_group_size: 1
    .uses_dynamic_stack: false
    .vgpr_count:     0
    .vgpr_spill_count: 0
    .wavefront_size: 64
  - .agpr_count:     0
    .args:
      - .offset:         0
        .size:           112
        .value_kind:     by_value
    .group_segment_fixed_size: 0
    .kernarg_segment_align: 8
    .kernarg_segment_size: 112
    .language:       OpenCL C
    .language_version:
      - 2
      - 0
    .max_flat_workgroup_size: 256
    .name:           _ZN7rocprim17ROCPRIM_400000_NS6detail17trampoline_kernelINS0_14default_configENS1_27scan_by_key_config_selectorIifEEZZNS1_16scan_by_key_implILNS1_25lookback_scan_determinismE0ELb1ES3_N6thrust23THRUST_200600_302600_NS6detail15normal_iteratorINS9_10device_ptrIiEEEENSB_INSC_IjEEEENSB_INSC_IfEEEEfNS9_4plusIvEENS9_8equal_toIvEEfEE10hipError_tPvRmT2_T3_T4_T5_mT6_T7_P12ihipStream_tbENKUlT_T0_E_clISt17integral_constantIbLb1EES12_IbLb0EEEEDaSY_SZ_EUlSY_E_NS1_11comp_targetILNS1_3genE10ELNS1_11target_archE1201ELNS1_3gpuE5ELNS1_3repE0EEENS1_30default_config_static_selectorELNS0_4arch9wavefront6targetE1EEEvT1_
    .private_segment_fixed_size: 0
    .sgpr_count:     4
    .sgpr_spill_count: 0
    .symbol:         _ZN7rocprim17ROCPRIM_400000_NS6detail17trampoline_kernelINS0_14default_configENS1_27scan_by_key_config_selectorIifEEZZNS1_16scan_by_key_implILNS1_25lookback_scan_determinismE0ELb1ES3_N6thrust23THRUST_200600_302600_NS6detail15normal_iteratorINS9_10device_ptrIiEEEENSB_INSC_IjEEEENSB_INSC_IfEEEEfNS9_4plusIvEENS9_8equal_toIvEEfEE10hipError_tPvRmT2_T3_T4_T5_mT6_T7_P12ihipStream_tbENKUlT_T0_E_clISt17integral_constantIbLb1EES12_IbLb0EEEEDaSY_SZ_EUlSY_E_NS1_11comp_targetILNS1_3genE10ELNS1_11target_archE1201ELNS1_3gpuE5ELNS1_3repE0EEENS1_30default_config_static_selectorELNS0_4arch9wavefront6targetE1EEEvT1_.kd
    .uniform_work_group_size: 1
    .uses_dynamic_stack: false
    .vgpr_count:     0
    .vgpr_spill_count: 0
    .wavefront_size: 64
  - .agpr_count:     0
    .args:
      - .offset:         0
        .size:           112
        .value_kind:     by_value
    .group_segment_fixed_size: 0
    .kernarg_segment_align: 8
    .kernarg_segment_size: 112
    .language:       OpenCL C
    .language_version:
      - 2
      - 0
    .max_flat_workgroup_size: 256
    .name:           _ZN7rocprim17ROCPRIM_400000_NS6detail17trampoline_kernelINS0_14default_configENS1_27scan_by_key_config_selectorIifEEZZNS1_16scan_by_key_implILNS1_25lookback_scan_determinismE0ELb1ES3_N6thrust23THRUST_200600_302600_NS6detail15normal_iteratorINS9_10device_ptrIiEEEENSB_INSC_IjEEEENSB_INSC_IfEEEEfNS9_4plusIvEENS9_8equal_toIvEEfEE10hipError_tPvRmT2_T3_T4_T5_mT6_T7_P12ihipStream_tbENKUlT_T0_E_clISt17integral_constantIbLb1EES12_IbLb0EEEEDaSY_SZ_EUlSY_E_NS1_11comp_targetILNS1_3genE5ELNS1_11target_archE942ELNS1_3gpuE9ELNS1_3repE0EEENS1_30default_config_static_selectorELNS0_4arch9wavefront6targetE1EEEvT1_
    .private_segment_fixed_size: 0
    .sgpr_count:     4
    .sgpr_spill_count: 0
    .symbol:         _ZN7rocprim17ROCPRIM_400000_NS6detail17trampoline_kernelINS0_14default_configENS1_27scan_by_key_config_selectorIifEEZZNS1_16scan_by_key_implILNS1_25lookback_scan_determinismE0ELb1ES3_N6thrust23THRUST_200600_302600_NS6detail15normal_iteratorINS9_10device_ptrIiEEEENSB_INSC_IjEEEENSB_INSC_IfEEEEfNS9_4plusIvEENS9_8equal_toIvEEfEE10hipError_tPvRmT2_T3_T4_T5_mT6_T7_P12ihipStream_tbENKUlT_T0_E_clISt17integral_constantIbLb1EES12_IbLb0EEEEDaSY_SZ_EUlSY_E_NS1_11comp_targetILNS1_3genE5ELNS1_11target_archE942ELNS1_3gpuE9ELNS1_3repE0EEENS1_30default_config_static_selectorELNS0_4arch9wavefront6targetE1EEEvT1_.kd
    .uniform_work_group_size: 1
    .uses_dynamic_stack: false
    .vgpr_count:     0
    .vgpr_spill_count: 0
    .wavefront_size: 64
  - .agpr_count:     0
    .args:
      - .offset:         0
        .size:           112
        .value_kind:     by_value
    .group_segment_fixed_size: 16384
    .kernarg_segment_align: 8
    .kernarg_segment_size: 112
    .language:       OpenCL C
    .language_version:
      - 2
      - 0
    .max_flat_workgroup_size: 256
    .name:           _ZN7rocprim17ROCPRIM_400000_NS6detail17trampoline_kernelINS0_14default_configENS1_27scan_by_key_config_selectorIifEEZZNS1_16scan_by_key_implILNS1_25lookback_scan_determinismE0ELb1ES3_N6thrust23THRUST_200600_302600_NS6detail15normal_iteratorINS9_10device_ptrIiEEEENSB_INSC_IjEEEENSB_INSC_IfEEEEfNS9_4plusIvEENS9_8equal_toIvEEfEE10hipError_tPvRmT2_T3_T4_T5_mT6_T7_P12ihipStream_tbENKUlT_T0_E_clISt17integral_constantIbLb1EES12_IbLb0EEEEDaSY_SZ_EUlSY_E_NS1_11comp_targetILNS1_3genE4ELNS1_11target_archE910ELNS1_3gpuE8ELNS1_3repE0EEENS1_30default_config_static_selectorELNS0_4arch9wavefront6targetE1EEEvT1_
    .private_segment_fixed_size: 0
    .sgpr_count:     63
    .sgpr_spill_count: 0
    .symbol:         _ZN7rocprim17ROCPRIM_400000_NS6detail17trampoline_kernelINS0_14default_configENS1_27scan_by_key_config_selectorIifEEZZNS1_16scan_by_key_implILNS1_25lookback_scan_determinismE0ELb1ES3_N6thrust23THRUST_200600_302600_NS6detail15normal_iteratorINS9_10device_ptrIiEEEENSB_INSC_IjEEEENSB_INSC_IfEEEEfNS9_4plusIvEENS9_8equal_toIvEEfEE10hipError_tPvRmT2_T3_T4_T5_mT6_T7_P12ihipStream_tbENKUlT_T0_E_clISt17integral_constantIbLb1EES12_IbLb0EEEEDaSY_SZ_EUlSY_E_NS1_11comp_targetILNS1_3genE4ELNS1_11target_archE910ELNS1_3gpuE8ELNS1_3repE0EEENS1_30default_config_static_selectorELNS0_4arch9wavefront6targetE1EEEvT1_.kd
    .uniform_work_group_size: 1
    .uses_dynamic_stack: false
    .vgpr_count:     65
    .vgpr_spill_count: 0
    .wavefront_size: 64
  - .agpr_count:     0
    .args:
      - .offset:         0
        .size:           112
        .value_kind:     by_value
    .group_segment_fixed_size: 0
    .kernarg_segment_align: 8
    .kernarg_segment_size: 112
    .language:       OpenCL C
    .language_version:
      - 2
      - 0
    .max_flat_workgroup_size: 256
    .name:           _ZN7rocprim17ROCPRIM_400000_NS6detail17trampoline_kernelINS0_14default_configENS1_27scan_by_key_config_selectorIifEEZZNS1_16scan_by_key_implILNS1_25lookback_scan_determinismE0ELb1ES3_N6thrust23THRUST_200600_302600_NS6detail15normal_iteratorINS9_10device_ptrIiEEEENSB_INSC_IjEEEENSB_INSC_IfEEEEfNS9_4plusIvEENS9_8equal_toIvEEfEE10hipError_tPvRmT2_T3_T4_T5_mT6_T7_P12ihipStream_tbENKUlT_T0_E_clISt17integral_constantIbLb1EES12_IbLb0EEEEDaSY_SZ_EUlSY_E_NS1_11comp_targetILNS1_3genE3ELNS1_11target_archE908ELNS1_3gpuE7ELNS1_3repE0EEENS1_30default_config_static_selectorELNS0_4arch9wavefront6targetE1EEEvT1_
    .private_segment_fixed_size: 0
    .sgpr_count:     4
    .sgpr_spill_count: 0
    .symbol:         _ZN7rocprim17ROCPRIM_400000_NS6detail17trampoline_kernelINS0_14default_configENS1_27scan_by_key_config_selectorIifEEZZNS1_16scan_by_key_implILNS1_25lookback_scan_determinismE0ELb1ES3_N6thrust23THRUST_200600_302600_NS6detail15normal_iteratorINS9_10device_ptrIiEEEENSB_INSC_IjEEEENSB_INSC_IfEEEEfNS9_4plusIvEENS9_8equal_toIvEEfEE10hipError_tPvRmT2_T3_T4_T5_mT6_T7_P12ihipStream_tbENKUlT_T0_E_clISt17integral_constantIbLb1EES12_IbLb0EEEEDaSY_SZ_EUlSY_E_NS1_11comp_targetILNS1_3genE3ELNS1_11target_archE908ELNS1_3gpuE7ELNS1_3repE0EEENS1_30default_config_static_selectorELNS0_4arch9wavefront6targetE1EEEvT1_.kd
    .uniform_work_group_size: 1
    .uses_dynamic_stack: false
    .vgpr_count:     0
    .vgpr_spill_count: 0
    .wavefront_size: 64
  - .agpr_count:     0
    .args:
      - .offset:         0
        .size:           112
        .value_kind:     by_value
    .group_segment_fixed_size: 0
    .kernarg_segment_align: 8
    .kernarg_segment_size: 112
    .language:       OpenCL C
    .language_version:
      - 2
      - 0
    .max_flat_workgroup_size: 256
    .name:           _ZN7rocprim17ROCPRIM_400000_NS6detail17trampoline_kernelINS0_14default_configENS1_27scan_by_key_config_selectorIifEEZZNS1_16scan_by_key_implILNS1_25lookback_scan_determinismE0ELb1ES3_N6thrust23THRUST_200600_302600_NS6detail15normal_iteratorINS9_10device_ptrIiEEEENSB_INSC_IjEEEENSB_INSC_IfEEEEfNS9_4plusIvEENS9_8equal_toIvEEfEE10hipError_tPvRmT2_T3_T4_T5_mT6_T7_P12ihipStream_tbENKUlT_T0_E_clISt17integral_constantIbLb1EES12_IbLb0EEEEDaSY_SZ_EUlSY_E_NS1_11comp_targetILNS1_3genE2ELNS1_11target_archE906ELNS1_3gpuE6ELNS1_3repE0EEENS1_30default_config_static_selectorELNS0_4arch9wavefront6targetE1EEEvT1_
    .private_segment_fixed_size: 0
    .sgpr_count:     4
    .sgpr_spill_count: 0
    .symbol:         _ZN7rocprim17ROCPRIM_400000_NS6detail17trampoline_kernelINS0_14default_configENS1_27scan_by_key_config_selectorIifEEZZNS1_16scan_by_key_implILNS1_25lookback_scan_determinismE0ELb1ES3_N6thrust23THRUST_200600_302600_NS6detail15normal_iteratorINS9_10device_ptrIiEEEENSB_INSC_IjEEEENSB_INSC_IfEEEEfNS9_4plusIvEENS9_8equal_toIvEEfEE10hipError_tPvRmT2_T3_T4_T5_mT6_T7_P12ihipStream_tbENKUlT_T0_E_clISt17integral_constantIbLb1EES12_IbLb0EEEEDaSY_SZ_EUlSY_E_NS1_11comp_targetILNS1_3genE2ELNS1_11target_archE906ELNS1_3gpuE6ELNS1_3repE0EEENS1_30default_config_static_selectorELNS0_4arch9wavefront6targetE1EEEvT1_.kd
    .uniform_work_group_size: 1
    .uses_dynamic_stack: false
    .vgpr_count:     0
    .vgpr_spill_count: 0
    .wavefront_size: 64
  - .agpr_count:     0
    .args:
      - .offset:         0
        .size:           112
        .value_kind:     by_value
    .group_segment_fixed_size: 0
    .kernarg_segment_align: 8
    .kernarg_segment_size: 112
    .language:       OpenCL C
    .language_version:
      - 2
      - 0
    .max_flat_workgroup_size: 256
    .name:           _ZN7rocprim17ROCPRIM_400000_NS6detail17trampoline_kernelINS0_14default_configENS1_27scan_by_key_config_selectorIifEEZZNS1_16scan_by_key_implILNS1_25lookback_scan_determinismE0ELb1ES3_N6thrust23THRUST_200600_302600_NS6detail15normal_iteratorINS9_10device_ptrIiEEEENSB_INSC_IjEEEENSB_INSC_IfEEEEfNS9_4plusIvEENS9_8equal_toIvEEfEE10hipError_tPvRmT2_T3_T4_T5_mT6_T7_P12ihipStream_tbENKUlT_T0_E_clISt17integral_constantIbLb1EES12_IbLb0EEEEDaSY_SZ_EUlSY_E_NS1_11comp_targetILNS1_3genE10ELNS1_11target_archE1200ELNS1_3gpuE4ELNS1_3repE0EEENS1_30default_config_static_selectorELNS0_4arch9wavefront6targetE1EEEvT1_
    .private_segment_fixed_size: 0
    .sgpr_count:     4
    .sgpr_spill_count: 0
    .symbol:         _ZN7rocprim17ROCPRIM_400000_NS6detail17trampoline_kernelINS0_14default_configENS1_27scan_by_key_config_selectorIifEEZZNS1_16scan_by_key_implILNS1_25lookback_scan_determinismE0ELb1ES3_N6thrust23THRUST_200600_302600_NS6detail15normal_iteratorINS9_10device_ptrIiEEEENSB_INSC_IjEEEENSB_INSC_IfEEEEfNS9_4plusIvEENS9_8equal_toIvEEfEE10hipError_tPvRmT2_T3_T4_T5_mT6_T7_P12ihipStream_tbENKUlT_T0_E_clISt17integral_constantIbLb1EES12_IbLb0EEEEDaSY_SZ_EUlSY_E_NS1_11comp_targetILNS1_3genE10ELNS1_11target_archE1200ELNS1_3gpuE4ELNS1_3repE0EEENS1_30default_config_static_selectorELNS0_4arch9wavefront6targetE1EEEvT1_.kd
    .uniform_work_group_size: 1
    .uses_dynamic_stack: false
    .vgpr_count:     0
    .vgpr_spill_count: 0
    .wavefront_size: 64
  - .agpr_count:     0
    .args:
      - .offset:         0
        .size:           112
        .value_kind:     by_value
    .group_segment_fixed_size: 0
    .kernarg_segment_align: 8
    .kernarg_segment_size: 112
    .language:       OpenCL C
    .language_version:
      - 2
      - 0
    .max_flat_workgroup_size: 256
    .name:           _ZN7rocprim17ROCPRIM_400000_NS6detail17trampoline_kernelINS0_14default_configENS1_27scan_by_key_config_selectorIifEEZZNS1_16scan_by_key_implILNS1_25lookback_scan_determinismE0ELb1ES3_N6thrust23THRUST_200600_302600_NS6detail15normal_iteratorINS9_10device_ptrIiEEEENSB_INSC_IjEEEENSB_INSC_IfEEEEfNS9_4plusIvEENS9_8equal_toIvEEfEE10hipError_tPvRmT2_T3_T4_T5_mT6_T7_P12ihipStream_tbENKUlT_T0_E_clISt17integral_constantIbLb1EES12_IbLb0EEEEDaSY_SZ_EUlSY_E_NS1_11comp_targetILNS1_3genE9ELNS1_11target_archE1100ELNS1_3gpuE3ELNS1_3repE0EEENS1_30default_config_static_selectorELNS0_4arch9wavefront6targetE1EEEvT1_
    .private_segment_fixed_size: 0
    .sgpr_count:     4
    .sgpr_spill_count: 0
    .symbol:         _ZN7rocprim17ROCPRIM_400000_NS6detail17trampoline_kernelINS0_14default_configENS1_27scan_by_key_config_selectorIifEEZZNS1_16scan_by_key_implILNS1_25lookback_scan_determinismE0ELb1ES3_N6thrust23THRUST_200600_302600_NS6detail15normal_iteratorINS9_10device_ptrIiEEEENSB_INSC_IjEEEENSB_INSC_IfEEEEfNS9_4plusIvEENS9_8equal_toIvEEfEE10hipError_tPvRmT2_T3_T4_T5_mT6_T7_P12ihipStream_tbENKUlT_T0_E_clISt17integral_constantIbLb1EES12_IbLb0EEEEDaSY_SZ_EUlSY_E_NS1_11comp_targetILNS1_3genE9ELNS1_11target_archE1100ELNS1_3gpuE3ELNS1_3repE0EEENS1_30default_config_static_selectorELNS0_4arch9wavefront6targetE1EEEvT1_.kd
    .uniform_work_group_size: 1
    .uses_dynamic_stack: false
    .vgpr_count:     0
    .vgpr_spill_count: 0
    .wavefront_size: 64
  - .agpr_count:     0
    .args:
      - .offset:         0
        .size:           112
        .value_kind:     by_value
    .group_segment_fixed_size: 0
    .kernarg_segment_align: 8
    .kernarg_segment_size: 112
    .language:       OpenCL C
    .language_version:
      - 2
      - 0
    .max_flat_workgroup_size: 256
    .name:           _ZN7rocprim17ROCPRIM_400000_NS6detail17trampoline_kernelINS0_14default_configENS1_27scan_by_key_config_selectorIifEEZZNS1_16scan_by_key_implILNS1_25lookback_scan_determinismE0ELb1ES3_N6thrust23THRUST_200600_302600_NS6detail15normal_iteratorINS9_10device_ptrIiEEEENSB_INSC_IjEEEENSB_INSC_IfEEEEfNS9_4plusIvEENS9_8equal_toIvEEfEE10hipError_tPvRmT2_T3_T4_T5_mT6_T7_P12ihipStream_tbENKUlT_T0_E_clISt17integral_constantIbLb1EES12_IbLb0EEEEDaSY_SZ_EUlSY_E_NS1_11comp_targetILNS1_3genE8ELNS1_11target_archE1030ELNS1_3gpuE2ELNS1_3repE0EEENS1_30default_config_static_selectorELNS0_4arch9wavefront6targetE1EEEvT1_
    .private_segment_fixed_size: 0
    .sgpr_count:     4
    .sgpr_spill_count: 0
    .symbol:         _ZN7rocprim17ROCPRIM_400000_NS6detail17trampoline_kernelINS0_14default_configENS1_27scan_by_key_config_selectorIifEEZZNS1_16scan_by_key_implILNS1_25lookback_scan_determinismE0ELb1ES3_N6thrust23THRUST_200600_302600_NS6detail15normal_iteratorINS9_10device_ptrIiEEEENSB_INSC_IjEEEENSB_INSC_IfEEEEfNS9_4plusIvEENS9_8equal_toIvEEfEE10hipError_tPvRmT2_T3_T4_T5_mT6_T7_P12ihipStream_tbENKUlT_T0_E_clISt17integral_constantIbLb1EES12_IbLb0EEEEDaSY_SZ_EUlSY_E_NS1_11comp_targetILNS1_3genE8ELNS1_11target_archE1030ELNS1_3gpuE2ELNS1_3repE0EEENS1_30default_config_static_selectorELNS0_4arch9wavefront6targetE1EEEvT1_.kd
    .uniform_work_group_size: 1
    .uses_dynamic_stack: false
    .vgpr_count:     0
    .vgpr_spill_count: 0
    .wavefront_size: 64
  - .agpr_count:     0
    .args:
      - .offset:         0
        .size:           112
        .value_kind:     by_value
    .group_segment_fixed_size: 0
    .kernarg_segment_align: 8
    .kernarg_segment_size: 112
    .language:       OpenCL C
    .language_version:
      - 2
      - 0
    .max_flat_workgroup_size: 256
    .name:           _ZN7rocprim17ROCPRIM_400000_NS6detail17trampoline_kernelINS0_14default_configENS1_27scan_by_key_config_selectorIifEEZZNS1_16scan_by_key_implILNS1_25lookback_scan_determinismE0ELb1ES3_N6thrust23THRUST_200600_302600_NS6detail15normal_iteratorINS9_10device_ptrIiEEEENSB_INSC_IjEEEENSB_INSC_IfEEEEfNS9_4plusIvEENS9_8equal_toIvEEfEE10hipError_tPvRmT2_T3_T4_T5_mT6_T7_P12ihipStream_tbENKUlT_T0_E_clISt17integral_constantIbLb0EES12_IbLb1EEEEDaSY_SZ_EUlSY_E_NS1_11comp_targetILNS1_3genE0ELNS1_11target_archE4294967295ELNS1_3gpuE0ELNS1_3repE0EEENS1_30default_config_static_selectorELNS0_4arch9wavefront6targetE1EEEvT1_
    .private_segment_fixed_size: 0
    .sgpr_count:     4
    .sgpr_spill_count: 0
    .symbol:         _ZN7rocprim17ROCPRIM_400000_NS6detail17trampoline_kernelINS0_14default_configENS1_27scan_by_key_config_selectorIifEEZZNS1_16scan_by_key_implILNS1_25lookback_scan_determinismE0ELb1ES3_N6thrust23THRUST_200600_302600_NS6detail15normal_iteratorINS9_10device_ptrIiEEEENSB_INSC_IjEEEENSB_INSC_IfEEEEfNS9_4plusIvEENS9_8equal_toIvEEfEE10hipError_tPvRmT2_T3_T4_T5_mT6_T7_P12ihipStream_tbENKUlT_T0_E_clISt17integral_constantIbLb0EES12_IbLb1EEEEDaSY_SZ_EUlSY_E_NS1_11comp_targetILNS1_3genE0ELNS1_11target_archE4294967295ELNS1_3gpuE0ELNS1_3repE0EEENS1_30default_config_static_selectorELNS0_4arch9wavefront6targetE1EEEvT1_.kd
    .uniform_work_group_size: 1
    .uses_dynamic_stack: false
    .vgpr_count:     0
    .vgpr_spill_count: 0
    .wavefront_size: 64
  - .agpr_count:     0
    .args:
      - .offset:         0
        .size:           112
        .value_kind:     by_value
    .group_segment_fixed_size: 0
    .kernarg_segment_align: 8
    .kernarg_segment_size: 112
    .language:       OpenCL C
    .language_version:
      - 2
      - 0
    .max_flat_workgroup_size: 256
    .name:           _ZN7rocprim17ROCPRIM_400000_NS6detail17trampoline_kernelINS0_14default_configENS1_27scan_by_key_config_selectorIifEEZZNS1_16scan_by_key_implILNS1_25lookback_scan_determinismE0ELb1ES3_N6thrust23THRUST_200600_302600_NS6detail15normal_iteratorINS9_10device_ptrIiEEEENSB_INSC_IjEEEENSB_INSC_IfEEEEfNS9_4plusIvEENS9_8equal_toIvEEfEE10hipError_tPvRmT2_T3_T4_T5_mT6_T7_P12ihipStream_tbENKUlT_T0_E_clISt17integral_constantIbLb0EES12_IbLb1EEEEDaSY_SZ_EUlSY_E_NS1_11comp_targetILNS1_3genE10ELNS1_11target_archE1201ELNS1_3gpuE5ELNS1_3repE0EEENS1_30default_config_static_selectorELNS0_4arch9wavefront6targetE1EEEvT1_
    .private_segment_fixed_size: 0
    .sgpr_count:     4
    .sgpr_spill_count: 0
    .symbol:         _ZN7rocprim17ROCPRIM_400000_NS6detail17trampoline_kernelINS0_14default_configENS1_27scan_by_key_config_selectorIifEEZZNS1_16scan_by_key_implILNS1_25lookback_scan_determinismE0ELb1ES3_N6thrust23THRUST_200600_302600_NS6detail15normal_iteratorINS9_10device_ptrIiEEEENSB_INSC_IjEEEENSB_INSC_IfEEEEfNS9_4plusIvEENS9_8equal_toIvEEfEE10hipError_tPvRmT2_T3_T4_T5_mT6_T7_P12ihipStream_tbENKUlT_T0_E_clISt17integral_constantIbLb0EES12_IbLb1EEEEDaSY_SZ_EUlSY_E_NS1_11comp_targetILNS1_3genE10ELNS1_11target_archE1201ELNS1_3gpuE5ELNS1_3repE0EEENS1_30default_config_static_selectorELNS0_4arch9wavefront6targetE1EEEvT1_.kd
    .uniform_work_group_size: 1
    .uses_dynamic_stack: false
    .vgpr_count:     0
    .vgpr_spill_count: 0
    .wavefront_size: 64
  - .agpr_count:     0
    .args:
      - .offset:         0
        .size:           112
        .value_kind:     by_value
    .group_segment_fixed_size: 0
    .kernarg_segment_align: 8
    .kernarg_segment_size: 112
    .language:       OpenCL C
    .language_version:
      - 2
      - 0
    .max_flat_workgroup_size: 256
    .name:           _ZN7rocprim17ROCPRIM_400000_NS6detail17trampoline_kernelINS0_14default_configENS1_27scan_by_key_config_selectorIifEEZZNS1_16scan_by_key_implILNS1_25lookback_scan_determinismE0ELb1ES3_N6thrust23THRUST_200600_302600_NS6detail15normal_iteratorINS9_10device_ptrIiEEEENSB_INSC_IjEEEENSB_INSC_IfEEEEfNS9_4plusIvEENS9_8equal_toIvEEfEE10hipError_tPvRmT2_T3_T4_T5_mT6_T7_P12ihipStream_tbENKUlT_T0_E_clISt17integral_constantIbLb0EES12_IbLb1EEEEDaSY_SZ_EUlSY_E_NS1_11comp_targetILNS1_3genE5ELNS1_11target_archE942ELNS1_3gpuE9ELNS1_3repE0EEENS1_30default_config_static_selectorELNS0_4arch9wavefront6targetE1EEEvT1_
    .private_segment_fixed_size: 0
    .sgpr_count:     4
    .sgpr_spill_count: 0
    .symbol:         _ZN7rocprim17ROCPRIM_400000_NS6detail17trampoline_kernelINS0_14default_configENS1_27scan_by_key_config_selectorIifEEZZNS1_16scan_by_key_implILNS1_25lookback_scan_determinismE0ELb1ES3_N6thrust23THRUST_200600_302600_NS6detail15normal_iteratorINS9_10device_ptrIiEEEENSB_INSC_IjEEEENSB_INSC_IfEEEEfNS9_4plusIvEENS9_8equal_toIvEEfEE10hipError_tPvRmT2_T3_T4_T5_mT6_T7_P12ihipStream_tbENKUlT_T0_E_clISt17integral_constantIbLb0EES12_IbLb1EEEEDaSY_SZ_EUlSY_E_NS1_11comp_targetILNS1_3genE5ELNS1_11target_archE942ELNS1_3gpuE9ELNS1_3repE0EEENS1_30default_config_static_selectorELNS0_4arch9wavefront6targetE1EEEvT1_.kd
    .uniform_work_group_size: 1
    .uses_dynamic_stack: false
    .vgpr_count:     0
    .vgpr_spill_count: 0
    .wavefront_size: 64
  - .agpr_count:     0
    .args:
      - .offset:         0
        .size:           112
        .value_kind:     by_value
    .group_segment_fixed_size: 16384
    .kernarg_segment_align: 8
    .kernarg_segment_size: 112
    .language:       OpenCL C
    .language_version:
      - 2
      - 0
    .max_flat_workgroup_size: 256
    .name:           _ZN7rocprim17ROCPRIM_400000_NS6detail17trampoline_kernelINS0_14default_configENS1_27scan_by_key_config_selectorIifEEZZNS1_16scan_by_key_implILNS1_25lookback_scan_determinismE0ELb1ES3_N6thrust23THRUST_200600_302600_NS6detail15normal_iteratorINS9_10device_ptrIiEEEENSB_INSC_IjEEEENSB_INSC_IfEEEEfNS9_4plusIvEENS9_8equal_toIvEEfEE10hipError_tPvRmT2_T3_T4_T5_mT6_T7_P12ihipStream_tbENKUlT_T0_E_clISt17integral_constantIbLb0EES12_IbLb1EEEEDaSY_SZ_EUlSY_E_NS1_11comp_targetILNS1_3genE4ELNS1_11target_archE910ELNS1_3gpuE8ELNS1_3repE0EEENS1_30default_config_static_selectorELNS0_4arch9wavefront6targetE1EEEvT1_
    .private_segment_fixed_size: 0
    .sgpr_count:     64
    .sgpr_spill_count: 0
    .symbol:         _ZN7rocprim17ROCPRIM_400000_NS6detail17trampoline_kernelINS0_14default_configENS1_27scan_by_key_config_selectorIifEEZZNS1_16scan_by_key_implILNS1_25lookback_scan_determinismE0ELb1ES3_N6thrust23THRUST_200600_302600_NS6detail15normal_iteratorINS9_10device_ptrIiEEEENSB_INSC_IjEEEENSB_INSC_IfEEEEfNS9_4plusIvEENS9_8equal_toIvEEfEE10hipError_tPvRmT2_T3_T4_T5_mT6_T7_P12ihipStream_tbENKUlT_T0_E_clISt17integral_constantIbLb0EES12_IbLb1EEEEDaSY_SZ_EUlSY_E_NS1_11comp_targetILNS1_3genE4ELNS1_11target_archE910ELNS1_3gpuE8ELNS1_3repE0EEENS1_30default_config_static_selectorELNS0_4arch9wavefront6targetE1EEEvT1_.kd
    .uniform_work_group_size: 1
    .uses_dynamic_stack: false
    .vgpr_count:     67
    .vgpr_spill_count: 0
    .wavefront_size: 64
  - .agpr_count:     0
    .args:
      - .offset:         0
        .size:           112
        .value_kind:     by_value
    .group_segment_fixed_size: 0
    .kernarg_segment_align: 8
    .kernarg_segment_size: 112
    .language:       OpenCL C
    .language_version:
      - 2
      - 0
    .max_flat_workgroup_size: 256
    .name:           _ZN7rocprim17ROCPRIM_400000_NS6detail17trampoline_kernelINS0_14default_configENS1_27scan_by_key_config_selectorIifEEZZNS1_16scan_by_key_implILNS1_25lookback_scan_determinismE0ELb1ES3_N6thrust23THRUST_200600_302600_NS6detail15normal_iteratorINS9_10device_ptrIiEEEENSB_INSC_IjEEEENSB_INSC_IfEEEEfNS9_4plusIvEENS9_8equal_toIvEEfEE10hipError_tPvRmT2_T3_T4_T5_mT6_T7_P12ihipStream_tbENKUlT_T0_E_clISt17integral_constantIbLb0EES12_IbLb1EEEEDaSY_SZ_EUlSY_E_NS1_11comp_targetILNS1_3genE3ELNS1_11target_archE908ELNS1_3gpuE7ELNS1_3repE0EEENS1_30default_config_static_selectorELNS0_4arch9wavefront6targetE1EEEvT1_
    .private_segment_fixed_size: 0
    .sgpr_count:     4
    .sgpr_spill_count: 0
    .symbol:         _ZN7rocprim17ROCPRIM_400000_NS6detail17trampoline_kernelINS0_14default_configENS1_27scan_by_key_config_selectorIifEEZZNS1_16scan_by_key_implILNS1_25lookback_scan_determinismE0ELb1ES3_N6thrust23THRUST_200600_302600_NS6detail15normal_iteratorINS9_10device_ptrIiEEEENSB_INSC_IjEEEENSB_INSC_IfEEEEfNS9_4plusIvEENS9_8equal_toIvEEfEE10hipError_tPvRmT2_T3_T4_T5_mT6_T7_P12ihipStream_tbENKUlT_T0_E_clISt17integral_constantIbLb0EES12_IbLb1EEEEDaSY_SZ_EUlSY_E_NS1_11comp_targetILNS1_3genE3ELNS1_11target_archE908ELNS1_3gpuE7ELNS1_3repE0EEENS1_30default_config_static_selectorELNS0_4arch9wavefront6targetE1EEEvT1_.kd
    .uniform_work_group_size: 1
    .uses_dynamic_stack: false
    .vgpr_count:     0
    .vgpr_spill_count: 0
    .wavefront_size: 64
  - .agpr_count:     0
    .args:
      - .offset:         0
        .size:           112
        .value_kind:     by_value
    .group_segment_fixed_size: 0
    .kernarg_segment_align: 8
    .kernarg_segment_size: 112
    .language:       OpenCL C
    .language_version:
      - 2
      - 0
    .max_flat_workgroup_size: 256
    .name:           _ZN7rocprim17ROCPRIM_400000_NS6detail17trampoline_kernelINS0_14default_configENS1_27scan_by_key_config_selectorIifEEZZNS1_16scan_by_key_implILNS1_25lookback_scan_determinismE0ELb1ES3_N6thrust23THRUST_200600_302600_NS6detail15normal_iteratorINS9_10device_ptrIiEEEENSB_INSC_IjEEEENSB_INSC_IfEEEEfNS9_4plusIvEENS9_8equal_toIvEEfEE10hipError_tPvRmT2_T3_T4_T5_mT6_T7_P12ihipStream_tbENKUlT_T0_E_clISt17integral_constantIbLb0EES12_IbLb1EEEEDaSY_SZ_EUlSY_E_NS1_11comp_targetILNS1_3genE2ELNS1_11target_archE906ELNS1_3gpuE6ELNS1_3repE0EEENS1_30default_config_static_selectorELNS0_4arch9wavefront6targetE1EEEvT1_
    .private_segment_fixed_size: 0
    .sgpr_count:     4
    .sgpr_spill_count: 0
    .symbol:         _ZN7rocprim17ROCPRIM_400000_NS6detail17trampoline_kernelINS0_14default_configENS1_27scan_by_key_config_selectorIifEEZZNS1_16scan_by_key_implILNS1_25lookback_scan_determinismE0ELb1ES3_N6thrust23THRUST_200600_302600_NS6detail15normal_iteratorINS9_10device_ptrIiEEEENSB_INSC_IjEEEENSB_INSC_IfEEEEfNS9_4plusIvEENS9_8equal_toIvEEfEE10hipError_tPvRmT2_T3_T4_T5_mT6_T7_P12ihipStream_tbENKUlT_T0_E_clISt17integral_constantIbLb0EES12_IbLb1EEEEDaSY_SZ_EUlSY_E_NS1_11comp_targetILNS1_3genE2ELNS1_11target_archE906ELNS1_3gpuE6ELNS1_3repE0EEENS1_30default_config_static_selectorELNS0_4arch9wavefront6targetE1EEEvT1_.kd
    .uniform_work_group_size: 1
    .uses_dynamic_stack: false
    .vgpr_count:     0
    .vgpr_spill_count: 0
    .wavefront_size: 64
  - .agpr_count:     0
    .args:
      - .offset:         0
        .size:           112
        .value_kind:     by_value
    .group_segment_fixed_size: 0
    .kernarg_segment_align: 8
    .kernarg_segment_size: 112
    .language:       OpenCL C
    .language_version:
      - 2
      - 0
    .max_flat_workgroup_size: 256
    .name:           _ZN7rocprim17ROCPRIM_400000_NS6detail17trampoline_kernelINS0_14default_configENS1_27scan_by_key_config_selectorIifEEZZNS1_16scan_by_key_implILNS1_25lookback_scan_determinismE0ELb1ES3_N6thrust23THRUST_200600_302600_NS6detail15normal_iteratorINS9_10device_ptrIiEEEENSB_INSC_IjEEEENSB_INSC_IfEEEEfNS9_4plusIvEENS9_8equal_toIvEEfEE10hipError_tPvRmT2_T3_T4_T5_mT6_T7_P12ihipStream_tbENKUlT_T0_E_clISt17integral_constantIbLb0EES12_IbLb1EEEEDaSY_SZ_EUlSY_E_NS1_11comp_targetILNS1_3genE10ELNS1_11target_archE1200ELNS1_3gpuE4ELNS1_3repE0EEENS1_30default_config_static_selectorELNS0_4arch9wavefront6targetE1EEEvT1_
    .private_segment_fixed_size: 0
    .sgpr_count:     4
    .sgpr_spill_count: 0
    .symbol:         _ZN7rocprim17ROCPRIM_400000_NS6detail17trampoline_kernelINS0_14default_configENS1_27scan_by_key_config_selectorIifEEZZNS1_16scan_by_key_implILNS1_25lookback_scan_determinismE0ELb1ES3_N6thrust23THRUST_200600_302600_NS6detail15normal_iteratorINS9_10device_ptrIiEEEENSB_INSC_IjEEEENSB_INSC_IfEEEEfNS9_4plusIvEENS9_8equal_toIvEEfEE10hipError_tPvRmT2_T3_T4_T5_mT6_T7_P12ihipStream_tbENKUlT_T0_E_clISt17integral_constantIbLb0EES12_IbLb1EEEEDaSY_SZ_EUlSY_E_NS1_11comp_targetILNS1_3genE10ELNS1_11target_archE1200ELNS1_3gpuE4ELNS1_3repE0EEENS1_30default_config_static_selectorELNS0_4arch9wavefront6targetE1EEEvT1_.kd
    .uniform_work_group_size: 1
    .uses_dynamic_stack: false
    .vgpr_count:     0
    .vgpr_spill_count: 0
    .wavefront_size: 64
  - .agpr_count:     0
    .args:
      - .offset:         0
        .size:           112
        .value_kind:     by_value
    .group_segment_fixed_size: 0
    .kernarg_segment_align: 8
    .kernarg_segment_size: 112
    .language:       OpenCL C
    .language_version:
      - 2
      - 0
    .max_flat_workgroup_size: 256
    .name:           _ZN7rocprim17ROCPRIM_400000_NS6detail17trampoline_kernelINS0_14default_configENS1_27scan_by_key_config_selectorIifEEZZNS1_16scan_by_key_implILNS1_25lookback_scan_determinismE0ELb1ES3_N6thrust23THRUST_200600_302600_NS6detail15normal_iteratorINS9_10device_ptrIiEEEENSB_INSC_IjEEEENSB_INSC_IfEEEEfNS9_4plusIvEENS9_8equal_toIvEEfEE10hipError_tPvRmT2_T3_T4_T5_mT6_T7_P12ihipStream_tbENKUlT_T0_E_clISt17integral_constantIbLb0EES12_IbLb1EEEEDaSY_SZ_EUlSY_E_NS1_11comp_targetILNS1_3genE9ELNS1_11target_archE1100ELNS1_3gpuE3ELNS1_3repE0EEENS1_30default_config_static_selectorELNS0_4arch9wavefront6targetE1EEEvT1_
    .private_segment_fixed_size: 0
    .sgpr_count:     4
    .sgpr_spill_count: 0
    .symbol:         _ZN7rocprim17ROCPRIM_400000_NS6detail17trampoline_kernelINS0_14default_configENS1_27scan_by_key_config_selectorIifEEZZNS1_16scan_by_key_implILNS1_25lookback_scan_determinismE0ELb1ES3_N6thrust23THRUST_200600_302600_NS6detail15normal_iteratorINS9_10device_ptrIiEEEENSB_INSC_IjEEEENSB_INSC_IfEEEEfNS9_4plusIvEENS9_8equal_toIvEEfEE10hipError_tPvRmT2_T3_T4_T5_mT6_T7_P12ihipStream_tbENKUlT_T0_E_clISt17integral_constantIbLb0EES12_IbLb1EEEEDaSY_SZ_EUlSY_E_NS1_11comp_targetILNS1_3genE9ELNS1_11target_archE1100ELNS1_3gpuE3ELNS1_3repE0EEENS1_30default_config_static_selectorELNS0_4arch9wavefront6targetE1EEEvT1_.kd
    .uniform_work_group_size: 1
    .uses_dynamic_stack: false
    .vgpr_count:     0
    .vgpr_spill_count: 0
    .wavefront_size: 64
  - .agpr_count:     0
    .args:
      - .offset:         0
        .size:           112
        .value_kind:     by_value
    .group_segment_fixed_size: 0
    .kernarg_segment_align: 8
    .kernarg_segment_size: 112
    .language:       OpenCL C
    .language_version:
      - 2
      - 0
    .max_flat_workgroup_size: 256
    .name:           _ZN7rocprim17ROCPRIM_400000_NS6detail17trampoline_kernelINS0_14default_configENS1_27scan_by_key_config_selectorIifEEZZNS1_16scan_by_key_implILNS1_25lookback_scan_determinismE0ELb1ES3_N6thrust23THRUST_200600_302600_NS6detail15normal_iteratorINS9_10device_ptrIiEEEENSB_INSC_IjEEEENSB_INSC_IfEEEEfNS9_4plusIvEENS9_8equal_toIvEEfEE10hipError_tPvRmT2_T3_T4_T5_mT6_T7_P12ihipStream_tbENKUlT_T0_E_clISt17integral_constantIbLb0EES12_IbLb1EEEEDaSY_SZ_EUlSY_E_NS1_11comp_targetILNS1_3genE8ELNS1_11target_archE1030ELNS1_3gpuE2ELNS1_3repE0EEENS1_30default_config_static_selectorELNS0_4arch9wavefront6targetE1EEEvT1_
    .private_segment_fixed_size: 0
    .sgpr_count:     4
    .sgpr_spill_count: 0
    .symbol:         _ZN7rocprim17ROCPRIM_400000_NS6detail17trampoline_kernelINS0_14default_configENS1_27scan_by_key_config_selectorIifEEZZNS1_16scan_by_key_implILNS1_25lookback_scan_determinismE0ELb1ES3_N6thrust23THRUST_200600_302600_NS6detail15normal_iteratorINS9_10device_ptrIiEEEENSB_INSC_IjEEEENSB_INSC_IfEEEEfNS9_4plusIvEENS9_8equal_toIvEEfEE10hipError_tPvRmT2_T3_T4_T5_mT6_T7_P12ihipStream_tbENKUlT_T0_E_clISt17integral_constantIbLb0EES12_IbLb1EEEEDaSY_SZ_EUlSY_E_NS1_11comp_targetILNS1_3genE8ELNS1_11target_archE1030ELNS1_3gpuE2ELNS1_3repE0EEENS1_30default_config_static_selectorELNS0_4arch9wavefront6targetE1EEEvT1_.kd
    .uniform_work_group_size: 1
    .uses_dynamic_stack: false
    .vgpr_count:     0
    .vgpr_spill_count: 0
    .wavefront_size: 64
  - .agpr_count:     0
    .args:
      - .offset:         0
        .size:           112
        .value_kind:     by_value
    .group_segment_fixed_size: 0
    .kernarg_segment_align: 8
    .kernarg_segment_size: 112
    .language:       OpenCL C
    .language_version:
      - 2
      - 0
    .max_flat_workgroup_size: 256
    .name:           _ZN7rocprim17ROCPRIM_400000_NS6detail17trampoline_kernelINS0_14default_configENS1_27scan_by_key_config_selectorIiiEEZZNS1_16scan_by_key_implILNS1_25lookback_scan_determinismE0ELb1ES3_N6thrust23THRUST_200600_302600_NS6detail15normal_iteratorINS9_10device_ptrIiEEEENSB_INSC_IjEEEENSB_INSC_IfEEEEiNS9_4plusIvEENS9_8equal_toIvEEiEE10hipError_tPvRmT2_T3_T4_T5_mT6_T7_P12ihipStream_tbENKUlT_T0_E_clISt17integral_constantIbLb0EES13_EEDaSY_SZ_EUlSY_E_NS1_11comp_targetILNS1_3genE0ELNS1_11target_archE4294967295ELNS1_3gpuE0ELNS1_3repE0EEENS1_30default_config_static_selectorELNS0_4arch9wavefront6targetE1EEEvT1_
    .private_segment_fixed_size: 0
    .sgpr_count:     4
    .sgpr_spill_count: 0
    .symbol:         _ZN7rocprim17ROCPRIM_400000_NS6detail17trampoline_kernelINS0_14default_configENS1_27scan_by_key_config_selectorIiiEEZZNS1_16scan_by_key_implILNS1_25lookback_scan_determinismE0ELb1ES3_N6thrust23THRUST_200600_302600_NS6detail15normal_iteratorINS9_10device_ptrIiEEEENSB_INSC_IjEEEENSB_INSC_IfEEEEiNS9_4plusIvEENS9_8equal_toIvEEiEE10hipError_tPvRmT2_T3_T4_T5_mT6_T7_P12ihipStream_tbENKUlT_T0_E_clISt17integral_constantIbLb0EES13_EEDaSY_SZ_EUlSY_E_NS1_11comp_targetILNS1_3genE0ELNS1_11target_archE4294967295ELNS1_3gpuE0ELNS1_3repE0EEENS1_30default_config_static_selectorELNS0_4arch9wavefront6targetE1EEEvT1_.kd
    .uniform_work_group_size: 1
    .uses_dynamic_stack: false
    .vgpr_count:     0
    .vgpr_spill_count: 0
    .wavefront_size: 64
  - .agpr_count:     0
    .args:
      - .offset:         0
        .size:           112
        .value_kind:     by_value
    .group_segment_fixed_size: 0
    .kernarg_segment_align: 8
    .kernarg_segment_size: 112
    .language:       OpenCL C
    .language_version:
      - 2
      - 0
    .max_flat_workgroup_size: 256
    .name:           _ZN7rocprim17ROCPRIM_400000_NS6detail17trampoline_kernelINS0_14default_configENS1_27scan_by_key_config_selectorIiiEEZZNS1_16scan_by_key_implILNS1_25lookback_scan_determinismE0ELb1ES3_N6thrust23THRUST_200600_302600_NS6detail15normal_iteratorINS9_10device_ptrIiEEEENSB_INSC_IjEEEENSB_INSC_IfEEEEiNS9_4plusIvEENS9_8equal_toIvEEiEE10hipError_tPvRmT2_T3_T4_T5_mT6_T7_P12ihipStream_tbENKUlT_T0_E_clISt17integral_constantIbLb0EES13_EEDaSY_SZ_EUlSY_E_NS1_11comp_targetILNS1_3genE10ELNS1_11target_archE1201ELNS1_3gpuE5ELNS1_3repE0EEENS1_30default_config_static_selectorELNS0_4arch9wavefront6targetE1EEEvT1_
    .private_segment_fixed_size: 0
    .sgpr_count:     4
    .sgpr_spill_count: 0
    .symbol:         _ZN7rocprim17ROCPRIM_400000_NS6detail17trampoline_kernelINS0_14default_configENS1_27scan_by_key_config_selectorIiiEEZZNS1_16scan_by_key_implILNS1_25lookback_scan_determinismE0ELb1ES3_N6thrust23THRUST_200600_302600_NS6detail15normal_iteratorINS9_10device_ptrIiEEEENSB_INSC_IjEEEENSB_INSC_IfEEEEiNS9_4plusIvEENS9_8equal_toIvEEiEE10hipError_tPvRmT2_T3_T4_T5_mT6_T7_P12ihipStream_tbENKUlT_T0_E_clISt17integral_constantIbLb0EES13_EEDaSY_SZ_EUlSY_E_NS1_11comp_targetILNS1_3genE10ELNS1_11target_archE1201ELNS1_3gpuE5ELNS1_3repE0EEENS1_30default_config_static_selectorELNS0_4arch9wavefront6targetE1EEEvT1_.kd
    .uniform_work_group_size: 1
    .uses_dynamic_stack: false
    .vgpr_count:     0
    .vgpr_spill_count: 0
    .wavefront_size: 64
  - .agpr_count:     0
    .args:
      - .offset:         0
        .size:           112
        .value_kind:     by_value
    .group_segment_fixed_size: 0
    .kernarg_segment_align: 8
    .kernarg_segment_size: 112
    .language:       OpenCL C
    .language_version:
      - 2
      - 0
    .max_flat_workgroup_size: 256
    .name:           _ZN7rocprim17ROCPRIM_400000_NS6detail17trampoline_kernelINS0_14default_configENS1_27scan_by_key_config_selectorIiiEEZZNS1_16scan_by_key_implILNS1_25lookback_scan_determinismE0ELb1ES3_N6thrust23THRUST_200600_302600_NS6detail15normal_iteratorINS9_10device_ptrIiEEEENSB_INSC_IjEEEENSB_INSC_IfEEEEiNS9_4plusIvEENS9_8equal_toIvEEiEE10hipError_tPvRmT2_T3_T4_T5_mT6_T7_P12ihipStream_tbENKUlT_T0_E_clISt17integral_constantIbLb0EES13_EEDaSY_SZ_EUlSY_E_NS1_11comp_targetILNS1_3genE5ELNS1_11target_archE942ELNS1_3gpuE9ELNS1_3repE0EEENS1_30default_config_static_selectorELNS0_4arch9wavefront6targetE1EEEvT1_
    .private_segment_fixed_size: 0
    .sgpr_count:     4
    .sgpr_spill_count: 0
    .symbol:         _ZN7rocprim17ROCPRIM_400000_NS6detail17trampoline_kernelINS0_14default_configENS1_27scan_by_key_config_selectorIiiEEZZNS1_16scan_by_key_implILNS1_25lookback_scan_determinismE0ELb1ES3_N6thrust23THRUST_200600_302600_NS6detail15normal_iteratorINS9_10device_ptrIiEEEENSB_INSC_IjEEEENSB_INSC_IfEEEEiNS9_4plusIvEENS9_8equal_toIvEEiEE10hipError_tPvRmT2_T3_T4_T5_mT6_T7_P12ihipStream_tbENKUlT_T0_E_clISt17integral_constantIbLb0EES13_EEDaSY_SZ_EUlSY_E_NS1_11comp_targetILNS1_3genE5ELNS1_11target_archE942ELNS1_3gpuE9ELNS1_3repE0EEENS1_30default_config_static_selectorELNS0_4arch9wavefront6targetE1EEEvT1_.kd
    .uniform_work_group_size: 1
    .uses_dynamic_stack: false
    .vgpr_count:     0
    .vgpr_spill_count: 0
    .wavefront_size: 64
  - .agpr_count:     0
    .args:
      - .offset:         0
        .size:           112
        .value_kind:     by_value
    .group_segment_fixed_size: 16384
    .kernarg_segment_align: 8
    .kernarg_segment_size: 112
    .language:       OpenCL C
    .language_version:
      - 2
      - 0
    .max_flat_workgroup_size: 256
    .name:           _ZN7rocprim17ROCPRIM_400000_NS6detail17trampoline_kernelINS0_14default_configENS1_27scan_by_key_config_selectorIiiEEZZNS1_16scan_by_key_implILNS1_25lookback_scan_determinismE0ELb1ES3_N6thrust23THRUST_200600_302600_NS6detail15normal_iteratorINS9_10device_ptrIiEEEENSB_INSC_IjEEEENSB_INSC_IfEEEEiNS9_4plusIvEENS9_8equal_toIvEEiEE10hipError_tPvRmT2_T3_T4_T5_mT6_T7_P12ihipStream_tbENKUlT_T0_E_clISt17integral_constantIbLb0EES13_EEDaSY_SZ_EUlSY_E_NS1_11comp_targetILNS1_3genE4ELNS1_11target_archE910ELNS1_3gpuE8ELNS1_3repE0EEENS1_30default_config_static_selectorELNS0_4arch9wavefront6targetE1EEEvT1_
    .private_segment_fixed_size: 0
    .sgpr_count:     64
    .sgpr_spill_count: 0
    .symbol:         _ZN7rocprim17ROCPRIM_400000_NS6detail17trampoline_kernelINS0_14default_configENS1_27scan_by_key_config_selectorIiiEEZZNS1_16scan_by_key_implILNS1_25lookback_scan_determinismE0ELb1ES3_N6thrust23THRUST_200600_302600_NS6detail15normal_iteratorINS9_10device_ptrIiEEEENSB_INSC_IjEEEENSB_INSC_IfEEEEiNS9_4plusIvEENS9_8equal_toIvEEiEE10hipError_tPvRmT2_T3_T4_T5_mT6_T7_P12ihipStream_tbENKUlT_T0_E_clISt17integral_constantIbLb0EES13_EEDaSY_SZ_EUlSY_E_NS1_11comp_targetILNS1_3genE4ELNS1_11target_archE910ELNS1_3gpuE8ELNS1_3repE0EEENS1_30default_config_static_selectorELNS0_4arch9wavefront6targetE1EEEvT1_.kd
    .uniform_work_group_size: 1
    .uses_dynamic_stack: false
    .vgpr_count:     65
    .vgpr_spill_count: 0
    .wavefront_size: 64
  - .agpr_count:     0
    .args:
      - .offset:         0
        .size:           112
        .value_kind:     by_value
    .group_segment_fixed_size: 0
    .kernarg_segment_align: 8
    .kernarg_segment_size: 112
    .language:       OpenCL C
    .language_version:
      - 2
      - 0
    .max_flat_workgroup_size: 256
    .name:           _ZN7rocprim17ROCPRIM_400000_NS6detail17trampoline_kernelINS0_14default_configENS1_27scan_by_key_config_selectorIiiEEZZNS1_16scan_by_key_implILNS1_25lookback_scan_determinismE0ELb1ES3_N6thrust23THRUST_200600_302600_NS6detail15normal_iteratorINS9_10device_ptrIiEEEENSB_INSC_IjEEEENSB_INSC_IfEEEEiNS9_4plusIvEENS9_8equal_toIvEEiEE10hipError_tPvRmT2_T3_T4_T5_mT6_T7_P12ihipStream_tbENKUlT_T0_E_clISt17integral_constantIbLb0EES13_EEDaSY_SZ_EUlSY_E_NS1_11comp_targetILNS1_3genE3ELNS1_11target_archE908ELNS1_3gpuE7ELNS1_3repE0EEENS1_30default_config_static_selectorELNS0_4arch9wavefront6targetE1EEEvT1_
    .private_segment_fixed_size: 0
    .sgpr_count:     4
    .sgpr_spill_count: 0
    .symbol:         _ZN7rocprim17ROCPRIM_400000_NS6detail17trampoline_kernelINS0_14default_configENS1_27scan_by_key_config_selectorIiiEEZZNS1_16scan_by_key_implILNS1_25lookback_scan_determinismE0ELb1ES3_N6thrust23THRUST_200600_302600_NS6detail15normal_iteratorINS9_10device_ptrIiEEEENSB_INSC_IjEEEENSB_INSC_IfEEEEiNS9_4plusIvEENS9_8equal_toIvEEiEE10hipError_tPvRmT2_T3_T4_T5_mT6_T7_P12ihipStream_tbENKUlT_T0_E_clISt17integral_constantIbLb0EES13_EEDaSY_SZ_EUlSY_E_NS1_11comp_targetILNS1_3genE3ELNS1_11target_archE908ELNS1_3gpuE7ELNS1_3repE0EEENS1_30default_config_static_selectorELNS0_4arch9wavefront6targetE1EEEvT1_.kd
    .uniform_work_group_size: 1
    .uses_dynamic_stack: false
    .vgpr_count:     0
    .vgpr_spill_count: 0
    .wavefront_size: 64
  - .agpr_count:     0
    .args:
      - .offset:         0
        .size:           112
        .value_kind:     by_value
    .group_segment_fixed_size: 0
    .kernarg_segment_align: 8
    .kernarg_segment_size: 112
    .language:       OpenCL C
    .language_version:
      - 2
      - 0
    .max_flat_workgroup_size: 256
    .name:           _ZN7rocprim17ROCPRIM_400000_NS6detail17trampoline_kernelINS0_14default_configENS1_27scan_by_key_config_selectorIiiEEZZNS1_16scan_by_key_implILNS1_25lookback_scan_determinismE0ELb1ES3_N6thrust23THRUST_200600_302600_NS6detail15normal_iteratorINS9_10device_ptrIiEEEENSB_INSC_IjEEEENSB_INSC_IfEEEEiNS9_4plusIvEENS9_8equal_toIvEEiEE10hipError_tPvRmT2_T3_T4_T5_mT6_T7_P12ihipStream_tbENKUlT_T0_E_clISt17integral_constantIbLb0EES13_EEDaSY_SZ_EUlSY_E_NS1_11comp_targetILNS1_3genE2ELNS1_11target_archE906ELNS1_3gpuE6ELNS1_3repE0EEENS1_30default_config_static_selectorELNS0_4arch9wavefront6targetE1EEEvT1_
    .private_segment_fixed_size: 0
    .sgpr_count:     4
    .sgpr_spill_count: 0
    .symbol:         _ZN7rocprim17ROCPRIM_400000_NS6detail17trampoline_kernelINS0_14default_configENS1_27scan_by_key_config_selectorIiiEEZZNS1_16scan_by_key_implILNS1_25lookback_scan_determinismE0ELb1ES3_N6thrust23THRUST_200600_302600_NS6detail15normal_iteratorINS9_10device_ptrIiEEEENSB_INSC_IjEEEENSB_INSC_IfEEEEiNS9_4plusIvEENS9_8equal_toIvEEiEE10hipError_tPvRmT2_T3_T4_T5_mT6_T7_P12ihipStream_tbENKUlT_T0_E_clISt17integral_constantIbLb0EES13_EEDaSY_SZ_EUlSY_E_NS1_11comp_targetILNS1_3genE2ELNS1_11target_archE906ELNS1_3gpuE6ELNS1_3repE0EEENS1_30default_config_static_selectorELNS0_4arch9wavefront6targetE1EEEvT1_.kd
    .uniform_work_group_size: 1
    .uses_dynamic_stack: false
    .vgpr_count:     0
    .vgpr_spill_count: 0
    .wavefront_size: 64
  - .agpr_count:     0
    .args:
      - .offset:         0
        .size:           112
        .value_kind:     by_value
    .group_segment_fixed_size: 0
    .kernarg_segment_align: 8
    .kernarg_segment_size: 112
    .language:       OpenCL C
    .language_version:
      - 2
      - 0
    .max_flat_workgroup_size: 256
    .name:           _ZN7rocprim17ROCPRIM_400000_NS6detail17trampoline_kernelINS0_14default_configENS1_27scan_by_key_config_selectorIiiEEZZNS1_16scan_by_key_implILNS1_25lookback_scan_determinismE0ELb1ES3_N6thrust23THRUST_200600_302600_NS6detail15normal_iteratorINS9_10device_ptrIiEEEENSB_INSC_IjEEEENSB_INSC_IfEEEEiNS9_4plusIvEENS9_8equal_toIvEEiEE10hipError_tPvRmT2_T3_T4_T5_mT6_T7_P12ihipStream_tbENKUlT_T0_E_clISt17integral_constantIbLb0EES13_EEDaSY_SZ_EUlSY_E_NS1_11comp_targetILNS1_3genE10ELNS1_11target_archE1200ELNS1_3gpuE4ELNS1_3repE0EEENS1_30default_config_static_selectorELNS0_4arch9wavefront6targetE1EEEvT1_
    .private_segment_fixed_size: 0
    .sgpr_count:     4
    .sgpr_spill_count: 0
    .symbol:         _ZN7rocprim17ROCPRIM_400000_NS6detail17trampoline_kernelINS0_14default_configENS1_27scan_by_key_config_selectorIiiEEZZNS1_16scan_by_key_implILNS1_25lookback_scan_determinismE0ELb1ES3_N6thrust23THRUST_200600_302600_NS6detail15normal_iteratorINS9_10device_ptrIiEEEENSB_INSC_IjEEEENSB_INSC_IfEEEEiNS9_4plusIvEENS9_8equal_toIvEEiEE10hipError_tPvRmT2_T3_T4_T5_mT6_T7_P12ihipStream_tbENKUlT_T0_E_clISt17integral_constantIbLb0EES13_EEDaSY_SZ_EUlSY_E_NS1_11comp_targetILNS1_3genE10ELNS1_11target_archE1200ELNS1_3gpuE4ELNS1_3repE0EEENS1_30default_config_static_selectorELNS0_4arch9wavefront6targetE1EEEvT1_.kd
    .uniform_work_group_size: 1
    .uses_dynamic_stack: false
    .vgpr_count:     0
    .vgpr_spill_count: 0
    .wavefront_size: 64
  - .agpr_count:     0
    .args:
      - .offset:         0
        .size:           112
        .value_kind:     by_value
    .group_segment_fixed_size: 0
    .kernarg_segment_align: 8
    .kernarg_segment_size: 112
    .language:       OpenCL C
    .language_version:
      - 2
      - 0
    .max_flat_workgroup_size: 256
    .name:           _ZN7rocprim17ROCPRIM_400000_NS6detail17trampoline_kernelINS0_14default_configENS1_27scan_by_key_config_selectorIiiEEZZNS1_16scan_by_key_implILNS1_25lookback_scan_determinismE0ELb1ES3_N6thrust23THRUST_200600_302600_NS6detail15normal_iteratorINS9_10device_ptrIiEEEENSB_INSC_IjEEEENSB_INSC_IfEEEEiNS9_4plusIvEENS9_8equal_toIvEEiEE10hipError_tPvRmT2_T3_T4_T5_mT6_T7_P12ihipStream_tbENKUlT_T0_E_clISt17integral_constantIbLb0EES13_EEDaSY_SZ_EUlSY_E_NS1_11comp_targetILNS1_3genE9ELNS1_11target_archE1100ELNS1_3gpuE3ELNS1_3repE0EEENS1_30default_config_static_selectorELNS0_4arch9wavefront6targetE1EEEvT1_
    .private_segment_fixed_size: 0
    .sgpr_count:     4
    .sgpr_spill_count: 0
    .symbol:         _ZN7rocprim17ROCPRIM_400000_NS6detail17trampoline_kernelINS0_14default_configENS1_27scan_by_key_config_selectorIiiEEZZNS1_16scan_by_key_implILNS1_25lookback_scan_determinismE0ELb1ES3_N6thrust23THRUST_200600_302600_NS6detail15normal_iteratorINS9_10device_ptrIiEEEENSB_INSC_IjEEEENSB_INSC_IfEEEEiNS9_4plusIvEENS9_8equal_toIvEEiEE10hipError_tPvRmT2_T3_T4_T5_mT6_T7_P12ihipStream_tbENKUlT_T0_E_clISt17integral_constantIbLb0EES13_EEDaSY_SZ_EUlSY_E_NS1_11comp_targetILNS1_3genE9ELNS1_11target_archE1100ELNS1_3gpuE3ELNS1_3repE0EEENS1_30default_config_static_selectorELNS0_4arch9wavefront6targetE1EEEvT1_.kd
    .uniform_work_group_size: 1
    .uses_dynamic_stack: false
    .vgpr_count:     0
    .vgpr_spill_count: 0
    .wavefront_size: 64
  - .agpr_count:     0
    .args:
      - .offset:         0
        .size:           112
        .value_kind:     by_value
    .group_segment_fixed_size: 0
    .kernarg_segment_align: 8
    .kernarg_segment_size: 112
    .language:       OpenCL C
    .language_version:
      - 2
      - 0
    .max_flat_workgroup_size: 256
    .name:           _ZN7rocprim17ROCPRIM_400000_NS6detail17trampoline_kernelINS0_14default_configENS1_27scan_by_key_config_selectorIiiEEZZNS1_16scan_by_key_implILNS1_25lookback_scan_determinismE0ELb1ES3_N6thrust23THRUST_200600_302600_NS6detail15normal_iteratorINS9_10device_ptrIiEEEENSB_INSC_IjEEEENSB_INSC_IfEEEEiNS9_4plusIvEENS9_8equal_toIvEEiEE10hipError_tPvRmT2_T3_T4_T5_mT6_T7_P12ihipStream_tbENKUlT_T0_E_clISt17integral_constantIbLb0EES13_EEDaSY_SZ_EUlSY_E_NS1_11comp_targetILNS1_3genE8ELNS1_11target_archE1030ELNS1_3gpuE2ELNS1_3repE0EEENS1_30default_config_static_selectorELNS0_4arch9wavefront6targetE1EEEvT1_
    .private_segment_fixed_size: 0
    .sgpr_count:     4
    .sgpr_spill_count: 0
    .symbol:         _ZN7rocprim17ROCPRIM_400000_NS6detail17trampoline_kernelINS0_14default_configENS1_27scan_by_key_config_selectorIiiEEZZNS1_16scan_by_key_implILNS1_25lookback_scan_determinismE0ELb1ES3_N6thrust23THRUST_200600_302600_NS6detail15normal_iteratorINS9_10device_ptrIiEEEENSB_INSC_IjEEEENSB_INSC_IfEEEEiNS9_4plusIvEENS9_8equal_toIvEEiEE10hipError_tPvRmT2_T3_T4_T5_mT6_T7_P12ihipStream_tbENKUlT_T0_E_clISt17integral_constantIbLb0EES13_EEDaSY_SZ_EUlSY_E_NS1_11comp_targetILNS1_3genE8ELNS1_11target_archE1030ELNS1_3gpuE2ELNS1_3repE0EEENS1_30default_config_static_selectorELNS0_4arch9wavefront6targetE1EEEvT1_.kd
    .uniform_work_group_size: 1
    .uses_dynamic_stack: false
    .vgpr_count:     0
    .vgpr_spill_count: 0
    .wavefront_size: 64
  - .agpr_count:     0
    .args:
      - .offset:         0
        .size:           112
        .value_kind:     by_value
    .group_segment_fixed_size: 0
    .kernarg_segment_align: 8
    .kernarg_segment_size: 112
    .language:       OpenCL C
    .language_version:
      - 2
      - 0
    .max_flat_workgroup_size: 256
    .name:           _ZN7rocprim17ROCPRIM_400000_NS6detail17trampoline_kernelINS0_14default_configENS1_27scan_by_key_config_selectorIiiEEZZNS1_16scan_by_key_implILNS1_25lookback_scan_determinismE0ELb1ES3_N6thrust23THRUST_200600_302600_NS6detail15normal_iteratorINS9_10device_ptrIiEEEENSB_INSC_IjEEEENSB_INSC_IfEEEEiNS9_4plusIvEENS9_8equal_toIvEEiEE10hipError_tPvRmT2_T3_T4_T5_mT6_T7_P12ihipStream_tbENKUlT_T0_E_clISt17integral_constantIbLb1EES13_EEDaSY_SZ_EUlSY_E_NS1_11comp_targetILNS1_3genE0ELNS1_11target_archE4294967295ELNS1_3gpuE0ELNS1_3repE0EEENS1_30default_config_static_selectorELNS0_4arch9wavefront6targetE1EEEvT1_
    .private_segment_fixed_size: 0
    .sgpr_count:     4
    .sgpr_spill_count: 0
    .symbol:         _ZN7rocprim17ROCPRIM_400000_NS6detail17trampoline_kernelINS0_14default_configENS1_27scan_by_key_config_selectorIiiEEZZNS1_16scan_by_key_implILNS1_25lookback_scan_determinismE0ELb1ES3_N6thrust23THRUST_200600_302600_NS6detail15normal_iteratorINS9_10device_ptrIiEEEENSB_INSC_IjEEEENSB_INSC_IfEEEEiNS9_4plusIvEENS9_8equal_toIvEEiEE10hipError_tPvRmT2_T3_T4_T5_mT6_T7_P12ihipStream_tbENKUlT_T0_E_clISt17integral_constantIbLb1EES13_EEDaSY_SZ_EUlSY_E_NS1_11comp_targetILNS1_3genE0ELNS1_11target_archE4294967295ELNS1_3gpuE0ELNS1_3repE0EEENS1_30default_config_static_selectorELNS0_4arch9wavefront6targetE1EEEvT1_.kd
    .uniform_work_group_size: 1
    .uses_dynamic_stack: false
    .vgpr_count:     0
    .vgpr_spill_count: 0
    .wavefront_size: 64
  - .agpr_count:     0
    .args:
      - .offset:         0
        .size:           112
        .value_kind:     by_value
    .group_segment_fixed_size: 0
    .kernarg_segment_align: 8
    .kernarg_segment_size: 112
    .language:       OpenCL C
    .language_version:
      - 2
      - 0
    .max_flat_workgroup_size: 256
    .name:           _ZN7rocprim17ROCPRIM_400000_NS6detail17trampoline_kernelINS0_14default_configENS1_27scan_by_key_config_selectorIiiEEZZNS1_16scan_by_key_implILNS1_25lookback_scan_determinismE0ELb1ES3_N6thrust23THRUST_200600_302600_NS6detail15normal_iteratorINS9_10device_ptrIiEEEENSB_INSC_IjEEEENSB_INSC_IfEEEEiNS9_4plusIvEENS9_8equal_toIvEEiEE10hipError_tPvRmT2_T3_T4_T5_mT6_T7_P12ihipStream_tbENKUlT_T0_E_clISt17integral_constantIbLb1EES13_EEDaSY_SZ_EUlSY_E_NS1_11comp_targetILNS1_3genE10ELNS1_11target_archE1201ELNS1_3gpuE5ELNS1_3repE0EEENS1_30default_config_static_selectorELNS0_4arch9wavefront6targetE1EEEvT1_
    .private_segment_fixed_size: 0
    .sgpr_count:     4
    .sgpr_spill_count: 0
    .symbol:         _ZN7rocprim17ROCPRIM_400000_NS6detail17trampoline_kernelINS0_14default_configENS1_27scan_by_key_config_selectorIiiEEZZNS1_16scan_by_key_implILNS1_25lookback_scan_determinismE0ELb1ES3_N6thrust23THRUST_200600_302600_NS6detail15normal_iteratorINS9_10device_ptrIiEEEENSB_INSC_IjEEEENSB_INSC_IfEEEEiNS9_4plusIvEENS9_8equal_toIvEEiEE10hipError_tPvRmT2_T3_T4_T5_mT6_T7_P12ihipStream_tbENKUlT_T0_E_clISt17integral_constantIbLb1EES13_EEDaSY_SZ_EUlSY_E_NS1_11comp_targetILNS1_3genE10ELNS1_11target_archE1201ELNS1_3gpuE5ELNS1_3repE0EEENS1_30default_config_static_selectorELNS0_4arch9wavefront6targetE1EEEvT1_.kd
    .uniform_work_group_size: 1
    .uses_dynamic_stack: false
    .vgpr_count:     0
    .vgpr_spill_count: 0
    .wavefront_size: 64
  - .agpr_count:     0
    .args:
      - .offset:         0
        .size:           112
        .value_kind:     by_value
    .group_segment_fixed_size: 0
    .kernarg_segment_align: 8
    .kernarg_segment_size: 112
    .language:       OpenCL C
    .language_version:
      - 2
      - 0
    .max_flat_workgroup_size: 256
    .name:           _ZN7rocprim17ROCPRIM_400000_NS6detail17trampoline_kernelINS0_14default_configENS1_27scan_by_key_config_selectorIiiEEZZNS1_16scan_by_key_implILNS1_25lookback_scan_determinismE0ELb1ES3_N6thrust23THRUST_200600_302600_NS6detail15normal_iteratorINS9_10device_ptrIiEEEENSB_INSC_IjEEEENSB_INSC_IfEEEEiNS9_4plusIvEENS9_8equal_toIvEEiEE10hipError_tPvRmT2_T3_T4_T5_mT6_T7_P12ihipStream_tbENKUlT_T0_E_clISt17integral_constantIbLb1EES13_EEDaSY_SZ_EUlSY_E_NS1_11comp_targetILNS1_3genE5ELNS1_11target_archE942ELNS1_3gpuE9ELNS1_3repE0EEENS1_30default_config_static_selectorELNS0_4arch9wavefront6targetE1EEEvT1_
    .private_segment_fixed_size: 0
    .sgpr_count:     4
    .sgpr_spill_count: 0
    .symbol:         _ZN7rocprim17ROCPRIM_400000_NS6detail17trampoline_kernelINS0_14default_configENS1_27scan_by_key_config_selectorIiiEEZZNS1_16scan_by_key_implILNS1_25lookback_scan_determinismE0ELb1ES3_N6thrust23THRUST_200600_302600_NS6detail15normal_iteratorINS9_10device_ptrIiEEEENSB_INSC_IjEEEENSB_INSC_IfEEEEiNS9_4plusIvEENS9_8equal_toIvEEiEE10hipError_tPvRmT2_T3_T4_T5_mT6_T7_P12ihipStream_tbENKUlT_T0_E_clISt17integral_constantIbLb1EES13_EEDaSY_SZ_EUlSY_E_NS1_11comp_targetILNS1_3genE5ELNS1_11target_archE942ELNS1_3gpuE9ELNS1_3repE0EEENS1_30default_config_static_selectorELNS0_4arch9wavefront6targetE1EEEvT1_.kd
    .uniform_work_group_size: 1
    .uses_dynamic_stack: false
    .vgpr_count:     0
    .vgpr_spill_count: 0
    .wavefront_size: 64
  - .agpr_count:     0
    .args:
      - .offset:         0
        .size:           112
        .value_kind:     by_value
    .group_segment_fixed_size: 16384
    .kernarg_segment_align: 8
    .kernarg_segment_size: 112
    .language:       OpenCL C
    .language_version:
      - 2
      - 0
    .max_flat_workgroup_size: 256
    .name:           _ZN7rocprim17ROCPRIM_400000_NS6detail17trampoline_kernelINS0_14default_configENS1_27scan_by_key_config_selectorIiiEEZZNS1_16scan_by_key_implILNS1_25lookback_scan_determinismE0ELb1ES3_N6thrust23THRUST_200600_302600_NS6detail15normal_iteratorINS9_10device_ptrIiEEEENSB_INSC_IjEEEENSB_INSC_IfEEEEiNS9_4plusIvEENS9_8equal_toIvEEiEE10hipError_tPvRmT2_T3_T4_T5_mT6_T7_P12ihipStream_tbENKUlT_T0_E_clISt17integral_constantIbLb1EES13_EEDaSY_SZ_EUlSY_E_NS1_11comp_targetILNS1_3genE4ELNS1_11target_archE910ELNS1_3gpuE8ELNS1_3repE0EEENS1_30default_config_static_selectorELNS0_4arch9wavefront6targetE1EEEvT1_
    .private_segment_fixed_size: 0
    .sgpr_count:     64
    .sgpr_spill_count: 0
    .symbol:         _ZN7rocprim17ROCPRIM_400000_NS6detail17trampoline_kernelINS0_14default_configENS1_27scan_by_key_config_selectorIiiEEZZNS1_16scan_by_key_implILNS1_25lookback_scan_determinismE0ELb1ES3_N6thrust23THRUST_200600_302600_NS6detail15normal_iteratorINS9_10device_ptrIiEEEENSB_INSC_IjEEEENSB_INSC_IfEEEEiNS9_4plusIvEENS9_8equal_toIvEEiEE10hipError_tPvRmT2_T3_T4_T5_mT6_T7_P12ihipStream_tbENKUlT_T0_E_clISt17integral_constantIbLb1EES13_EEDaSY_SZ_EUlSY_E_NS1_11comp_targetILNS1_3genE4ELNS1_11target_archE910ELNS1_3gpuE8ELNS1_3repE0EEENS1_30default_config_static_selectorELNS0_4arch9wavefront6targetE1EEEvT1_.kd
    .uniform_work_group_size: 1
    .uses_dynamic_stack: false
    .vgpr_count:     67
    .vgpr_spill_count: 0
    .wavefront_size: 64
  - .agpr_count:     0
    .args:
      - .offset:         0
        .size:           112
        .value_kind:     by_value
    .group_segment_fixed_size: 0
    .kernarg_segment_align: 8
    .kernarg_segment_size: 112
    .language:       OpenCL C
    .language_version:
      - 2
      - 0
    .max_flat_workgroup_size: 256
    .name:           _ZN7rocprim17ROCPRIM_400000_NS6detail17trampoline_kernelINS0_14default_configENS1_27scan_by_key_config_selectorIiiEEZZNS1_16scan_by_key_implILNS1_25lookback_scan_determinismE0ELb1ES3_N6thrust23THRUST_200600_302600_NS6detail15normal_iteratorINS9_10device_ptrIiEEEENSB_INSC_IjEEEENSB_INSC_IfEEEEiNS9_4plusIvEENS9_8equal_toIvEEiEE10hipError_tPvRmT2_T3_T4_T5_mT6_T7_P12ihipStream_tbENKUlT_T0_E_clISt17integral_constantIbLb1EES13_EEDaSY_SZ_EUlSY_E_NS1_11comp_targetILNS1_3genE3ELNS1_11target_archE908ELNS1_3gpuE7ELNS1_3repE0EEENS1_30default_config_static_selectorELNS0_4arch9wavefront6targetE1EEEvT1_
    .private_segment_fixed_size: 0
    .sgpr_count:     4
    .sgpr_spill_count: 0
    .symbol:         _ZN7rocprim17ROCPRIM_400000_NS6detail17trampoline_kernelINS0_14default_configENS1_27scan_by_key_config_selectorIiiEEZZNS1_16scan_by_key_implILNS1_25lookback_scan_determinismE0ELb1ES3_N6thrust23THRUST_200600_302600_NS6detail15normal_iteratorINS9_10device_ptrIiEEEENSB_INSC_IjEEEENSB_INSC_IfEEEEiNS9_4plusIvEENS9_8equal_toIvEEiEE10hipError_tPvRmT2_T3_T4_T5_mT6_T7_P12ihipStream_tbENKUlT_T0_E_clISt17integral_constantIbLb1EES13_EEDaSY_SZ_EUlSY_E_NS1_11comp_targetILNS1_3genE3ELNS1_11target_archE908ELNS1_3gpuE7ELNS1_3repE0EEENS1_30default_config_static_selectorELNS0_4arch9wavefront6targetE1EEEvT1_.kd
    .uniform_work_group_size: 1
    .uses_dynamic_stack: false
    .vgpr_count:     0
    .vgpr_spill_count: 0
    .wavefront_size: 64
  - .agpr_count:     0
    .args:
      - .offset:         0
        .size:           112
        .value_kind:     by_value
    .group_segment_fixed_size: 0
    .kernarg_segment_align: 8
    .kernarg_segment_size: 112
    .language:       OpenCL C
    .language_version:
      - 2
      - 0
    .max_flat_workgroup_size: 256
    .name:           _ZN7rocprim17ROCPRIM_400000_NS6detail17trampoline_kernelINS0_14default_configENS1_27scan_by_key_config_selectorIiiEEZZNS1_16scan_by_key_implILNS1_25lookback_scan_determinismE0ELb1ES3_N6thrust23THRUST_200600_302600_NS6detail15normal_iteratorINS9_10device_ptrIiEEEENSB_INSC_IjEEEENSB_INSC_IfEEEEiNS9_4plusIvEENS9_8equal_toIvEEiEE10hipError_tPvRmT2_T3_T4_T5_mT6_T7_P12ihipStream_tbENKUlT_T0_E_clISt17integral_constantIbLb1EES13_EEDaSY_SZ_EUlSY_E_NS1_11comp_targetILNS1_3genE2ELNS1_11target_archE906ELNS1_3gpuE6ELNS1_3repE0EEENS1_30default_config_static_selectorELNS0_4arch9wavefront6targetE1EEEvT1_
    .private_segment_fixed_size: 0
    .sgpr_count:     4
    .sgpr_spill_count: 0
    .symbol:         _ZN7rocprim17ROCPRIM_400000_NS6detail17trampoline_kernelINS0_14default_configENS1_27scan_by_key_config_selectorIiiEEZZNS1_16scan_by_key_implILNS1_25lookback_scan_determinismE0ELb1ES3_N6thrust23THRUST_200600_302600_NS6detail15normal_iteratorINS9_10device_ptrIiEEEENSB_INSC_IjEEEENSB_INSC_IfEEEEiNS9_4plusIvEENS9_8equal_toIvEEiEE10hipError_tPvRmT2_T3_T4_T5_mT6_T7_P12ihipStream_tbENKUlT_T0_E_clISt17integral_constantIbLb1EES13_EEDaSY_SZ_EUlSY_E_NS1_11comp_targetILNS1_3genE2ELNS1_11target_archE906ELNS1_3gpuE6ELNS1_3repE0EEENS1_30default_config_static_selectorELNS0_4arch9wavefront6targetE1EEEvT1_.kd
    .uniform_work_group_size: 1
    .uses_dynamic_stack: false
    .vgpr_count:     0
    .vgpr_spill_count: 0
    .wavefront_size: 64
  - .agpr_count:     0
    .args:
      - .offset:         0
        .size:           112
        .value_kind:     by_value
    .group_segment_fixed_size: 0
    .kernarg_segment_align: 8
    .kernarg_segment_size: 112
    .language:       OpenCL C
    .language_version:
      - 2
      - 0
    .max_flat_workgroup_size: 256
    .name:           _ZN7rocprim17ROCPRIM_400000_NS6detail17trampoline_kernelINS0_14default_configENS1_27scan_by_key_config_selectorIiiEEZZNS1_16scan_by_key_implILNS1_25lookback_scan_determinismE0ELb1ES3_N6thrust23THRUST_200600_302600_NS6detail15normal_iteratorINS9_10device_ptrIiEEEENSB_INSC_IjEEEENSB_INSC_IfEEEEiNS9_4plusIvEENS9_8equal_toIvEEiEE10hipError_tPvRmT2_T3_T4_T5_mT6_T7_P12ihipStream_tbENKUlT_T0_E_clISt17integral_constantIbLb1EES13_EEDaSY_SZ_EUlSY_E_NS1_11comp_targetILNS1_3genE10ELNS1_11target_archE1200ELNS1_3gpuE4ELNS1_3repE0EEENS1_30default_config_static_selectorELNS0_4arch9wavefront6targetE1EEEvT1_
    .private_segment_fixed_size: 0
    .sgpr_count:     4
    .sgpr_spill_count: 0
    .symbol:         _ZN7rocprim17ROCPRIM_400000_NS6detail17trampoline_kernelINS0_14default_configENS1_27scan_by_key_config_selectorIiiEEZZNS1_16scan_by_key_implILNS1_25lookback_scan_determinismE0ELb1ES3_N6thrust23THRUST_200600_302600_NS6detail15normal_iteratorINS9_10device_ptrIiEEEENSB_INSC_IjEEEENSB_INSC_IfEEEEiNS9_4plusIvEENS9_8equal_toIvEEiEE10hipError_tPvRmT2_T3_T4_T5_mT6_T7_P12ihipStream_tbENKUlT_T0_E_clISt17integral_constantIbLb1EES13_EEDaSY_SZ_EUlSY_E_NS1_11comp_targetILNS1_3genE10ELNS1_11target_archE1200ELNS1_3gpuE4ELNS1_3repE0EEENS1_30default_config_static_selectorELNS0_4arch9wavefront6targetE1EEEvT1_.kd
    .uniform_work_group_size: 1
    .uses_dynamic_stack: false
    .vgpr_count:     0
    .vgpr_spill_count: 0
    .wavefront_size: 64
  - .agpr_count:     0
    .args:
      - .offset:         0
        .size:           112
        .value_kind:     by_value
    .group_segment_fixed_size: 0
    .kernarg_segment_align: 8
    .kernarg_segment_size: 112
    .language:       OpenCL C
    .language_version:
      - 2
      - 0
    .max_flat_workgroup_size: 256
    .name:           _ZN7rocprim17ROCPRIM_400000_NS6detail17trampoline_kernelINS0_14default_configENS1_27scan_by_key_config_selectorIiiEEZZNS1_16scan_by_key_implILNS1_25lookback_scan_determinismE0ELb1ES3_N6thrust23THRUST_200600_302600_NS6detail15normal_iteratorINS9_10device_ptrIiEEEENSB_INSC_IjEEEENSB_INSC_IfEEEEiNS9_4plusIvEENS9_8equal_toIvEEiEE10hipError_tPvRmT2_T3_T4_T5_mT6_T7_P12ihipStream_tbENKUlT_T0_E_clISt17integral_constantIbLb1EES13_EEDaSY_SZ_EUlSY_E_NS1_11comp_targetILNS1_3genE9ELNS1_11target_archE1100ELNS1_3gpuE3ELNS1_3repE0EEENS1_30default_config_static_selectorELNS0_4arch9wavefront6targetE1EEEvT1_
    .private_segment_fixed_size: 0
    .sgpr_count:     4
    .sgpr_spill_count: 0
    .symbol:         _ZN7rocprim17ROCPRIM_400000_NS6detail17trampoline_kernelINS0_14default_configENS1_27scan_by_key_config_selectorIiiEEZZNS1_16scan_by_key_implILNS1_25lookback_scan_determinismE0ELb1ES3_N6thrust23THRUST_200600_302600_NS6detail15normal_iteratorINS9_10device_ptrIiEEEENSB_INSC_IjEEEENSB_INSC_IfEEEEiNS9_4plusIvEENS9_8equal_toIvEEiEE10hipError_tPvRmT2_T3_T4_T5_mT6_T7_P12ihipStream_tbENKUlT_T0_E_clISt17integral_constantIbLb1EES13_EEDaSY_SZ_EUlSY_E_NS1_11comp_targetILNS1_3genE9ELNS1_11target_archE1100ELNS1_3gpuE3ELNS1_3repE0EEENS1_30default_config_static_selectorELNS0_4arch9wavefront6targetE1EEEvT1_.kd
    .uniform_work_group_size: 1
    .uses_dynamic_stack: false
    .vgpr_count:     0
    .vgpr_spill_count: 0
    .wavefront_size: 64
  - .agpr_count:     0
    .args:
      - .offset:         0
        .size:           112
        .value_kind:     by_value
    .group_segment_fixed_size: 0
    .kernarg_segment_align: 8
    .kernarg_segment_size: 112
    .language:       OpenCL C
    .language_version:
      - 2
      - 0
    .max_flat_workgroup_size: 256
    .name:           _ZN7rocprim17ROCPRIM_400000_NS6detail17trampoline_kernelINS0_14default_configENS1_27scan_by_key_config_selectorIiiEEZZNS1_16scan_by_key_implILNS1_25lookback_scan_determinismE0ELb1ES3_N6thrust23THRUST_200600_302600_NS6detail15normal_iteratorINS9_10device_ptrIiEEEENSB_INSC_IjEEEENSB_INSC_IfEEEEiNS9_4plusIvEENS9_8equal_toIvEEiEE10hipError_tPvRmT2_T3_T4_T5_mT6_T7_P12ihipStream_tbENKUlT_T0_E_clISt17integral_constantIbLb1EES13_EEDaSY_SZ_EUlSY_E_NS1_11comp_targetILNS1_3genE8ELNS1_11target_archE1030ELNS1_3gpuE2ELNS1_3repE0EEENS1_30default_config_static_selectorELNS0_4arch9wavefront6targetE1EEEvT1_
    .private_segment_fixed_size: 0
    .sgpr_count:     4
    .sgpr_spill_count: 0
    .symbol:         _ZN7rocprim17ROCPRIM_400000_NS6detail17trampoline_kernelINS0_14default_configENS1_27scan_by_key_config_selectorIiiEEZZNS1_16scan_by_key_implILNS1_25lookback_scan_determinismE0ELb1ES3_N6thrust23THRUST_200600_302600_NS6detail15normal_iteratorINS9_10device_ptrIiEEEENSB_INSC_IjEEEENSB_INSC_IfEEEEiNS9_4plusIvEENS9_8equal_toIvEEiEE10hipError_tPvRmT2_T3_T4_T5_mT6_T7_P12ihipStream_tbENKUlT_T0_E_clISt17integral_constantIbLb1EES13_EEDaSY_SZ_EUlSY_E_NS1_11comp_targetILNS1_3genE8ELNS1_11target_archE1030ELNS1_3gpuE2ELNS1_3repE0EEENS1_30default_config_static_selectorELNS0_4arch9wavefront6targetE1EEEvT1_.kd
    .uniform_work_group_size: 1
    .uses_dynamic_stack: false
    .vgpr_count:     0
    .vgpr_spill_count: 0
    .wavefront_size: 64
  - .agpr_count:     0
    .args:
      - .offset:         0
        .size:           112
        .value_kind:     by_value
    .group_segment_fixed_size: 0
    .kernarg_segment_align: 8
    .kernarg_segment_size: 112
    .language:       OpenCL C
    .language_version:
      - 2
      - 0
    .max_flat_workgroup_size: 256
    .name:           _ZN7rocprim17ROCPRIM_400000_NS6detail17trampoline_kernelINS0_14default_configENS1_27scan_by_key_config_selectorIiiEEZZNS1_16scan_by_key_implILNS1_25lookback_scan_determinismE0ELb1ES3_N6thrust23THRUST_200600_302600_NS6detail15normal_iteratorINS9_10device_ptrIiEEEENSB_INSC_IjEEEENSB_INSC_IfEEEEiNS9_4plusIvEENS9_8equal_toIvEEiEE10hipError_tPvRmT2_T3_T4_T5_mT6_T7_P12ihipStream_tbENKUlT_T0_E_clISt17integral_constantIbLb1EES12_IbLb0EEEEDaSY_SZ_EUlSY_E_NS1_11comp_targetILNS1_3genE0ELNS1_11target_archE4294967295ELNS1_3gpuE0ELNS1_3repE0EEENS1_30default_config_static_selectorELNS0_4arch9wavefront6targetE1EEEvT1_
    .private_segment_fixed_size: 0
    .sgpr_count:     4
    .sgpr_spill_count: 0
    .symbol:         _ZN7rocprim17ROCPRIM_400000_NS6detail17trampoline_kernelINS0_14default_configENS1_27scan_by_key_config_selectorIiiEEZZNS1_16scan_by_key_implILNS1_25lookback_scan_determinismE0ELb1ES3_N6thrust23THRUST_200600_302600_NS6detail15normal_iteratorINS9_10device_ptrIiEEEENSB_INSC_IjEEEENSB_INSC_IfEEEEiNS9_4plusIvEENS9_8equal_toIvEEiEE10hipError_tPvRmT2_T3_T4_T5_mT6_T7_P12ihipStream_tbENKUlT_T0_E_clISt17integral_constantIbLb1EES12_IbLb0EEEEDaSY_SZ_EUlSY_E_NS1_11comp_targetILNS1_3genE0ELNS1_11target_archE4294967295ELNS1_3gpuE0ELNS1_3repE0EEENS1_30default_config_static_selectorELNS0_4arch9wavefront6targetE1EEEvT1_.kd
    .uniform_work_group_size: 1
    .uses_dynamic_stack: false
    .vgpr_count:     0
    .vgpr_spill_count: 0
    .wavefront_size: 64
  - .agpr_count:     0
    .args:
      - .offset:         0
        .size:           112
        .value_kind:     by_value
    .group_segment_fixed_size: 0
    .kernarg_segment_align: 8
    .kernarg_segment_size: 112
    .language:       OpenCL C
    .language_version:
      - 2
      - 0
    .max_flat_workgroup_size: 256
    .name:           _ZN7rocprim17ROCPRIM_400000_NS6detail17trampoline_kernelINS0_14default_configENS1_27scan_by_key_config_selectorIiiEEZZNS1_16scan_by_key_implILNS1_25lookback_scan_determinismE0ELb1ES3_N6thrust23THRUST_200600_302600_NS6detail15normal_iteratorINS9_10device_ptrIiEEEENSB_INSC_IjEEEENSB_INSC_IfEEEEiNS9_4plusIvEENS9_8equal_toIvEEiEE10hipError_tPvRmT2_T3_T4_T5_mT6_T7_P12ihipStream_tbENKUlT_T0_E_clISt17integral_constantIbLb1EES12_IbLb0EEEEDaSY_SZ_EUlSY_E_NS1_11comp_targetILNS1_3genE10ELNS1_11target_archE1201ELNS1_3gpuE5ELNS1_3repE0EEENS1_30default_config_static_selectorELNS0_4arch9wavefront6targetE1EEEvT1_
    .private_segment_fixed_size: 0
    .sgpr_count:     4
    .sgpr_spill_count: 0
    .symbol:         _ZN7rocprim17ROCPRIM_400000_NS6detail17trampoline_kernelINS0_14default_configENS1_27scan_by_key_config_selectorIiiEEZZNS1_16scan_by_key_implILNS1_25lookback_scan_determinismE0ELb1ES3_N6thrust23THRUST_200600_302600_NS6detail15normal_iteratorINS9_10device_ptrIiEEEENSB_INSC_IjEEEENSB_INSC_IfEEEEiNS9_4plusIvEENS9_8equal_toIvEEiEE10hipError_tPvRmT2_T3_T4_T5_mT6_T7_P12ihipStream_tbENKUlT_T0_E_clISt17integral_constantIbLb1EES12_IbLb0EEEEDaSY_SZ_EUlSY_E_NS1_11comp_targetILNS1_3genE10ELNS1_11target_archE1201ELNS1_3gpuE5ELNS1_3repE0EEENS1_30default_config_static_selectorELNS0_4arch9wavefront6targetE1EEEvT1_.kd
    .uniform_work_group_size: 1
    .uses_dynamic_stack: false
    .vgpr_count:     0
    .vgpr_spill_count: 0
    .wavefront_size: 64
  - .agpr_count:     0
    .args:
      - .offset:         0
        .size:           112
        .value_kind:     by_value
    .group_segment_fixed_size: 0
    .kernarg_segment_align: 8
    .kernarg_segment_size: 112
    .language:       OpenCL C
    .language_version:
      - 2
      - 0
    .max_flat_workgroup_size: 256
    .name:           _ZN7rocprim17ROCPRIM_400000_NS6detail17trampoline_kernelINS0_14default_configENS1_27scan_by_key_config_selectorIiiEEZZNS1_16scan_by_key_implILNS1_25lookback_scan_determinismE0ELb1ES3_N6thrust23THRUST_200600_302600_NS6detail15normal_iteratorINS9_10device_ptrIiEEEENSB_INSC_IjEEEENSB_INSC_IfEEEEiNS9_4plusIvEENS9_8equal_toIvEEiEE10hipError_tPvRmT2_T3_T4_T5_mT6_T7_P12ihipStream_tbENKUlT_T0_E_clISt17integral_constantIbLb1EES12_IbLb0EEEEDaSY_SZ_EUlSY_E_NS1_11comp_targetILNS1_3genE5ELNS1_11target_archE942ELNS1_3gpuE9ELNS1_3repE0EEENS1_30default_config_static_selectorELNS0_4arch9wavefront6targetE1EEEvT1_
    .private_segment_fixed_size: 0
    .sgpr_count:     4
    .sgpr_spill_count: 0
    .symbol:         _ZN7rocprim17ROCPRIM_400000_NS6detail17trampoline_kernelINS0_14default_configENS1_27scan_by_key_config_selectorIiiEEZZNS1_16scan_by_key_implILNS1_25lookback_scan_determinismE0ELb1ES3_N6thrust23THRUST_200600_302600_NS6detail15normal_iteratorINS9_10device_ptrIiEEEENSB_INSC_IjEEEENSB_INSC_IfEEEEiNS9_4plusIvEENS9_8equal_toIvEEiEE10hipError_tPvRmT2_T3_T4_T5_mT6_T7_P12ihipStream_tbENKUlT_T0_E_clISt17integral_constantIbLb1EES12_IbLb0EEEEDaSY_SZ_EUlSY_E_NS1_11comp_targetILNS1_3genE5ELNS1_11target_archE942ELNS1_3gpuE9ELNS1_3repE0EEENS1_30default_config_static_selectorELNS0_4arch9wavefront6targetE1EEEvT1_.kd
    .uniform_work_group_size: 1
    .uses_dynamic_stack: false
    .vgpr_count:     0
    .vgpr_spill_count: 0
    .wavefront_size: 64
  - .agpr_count:     0
    .args:
      - .offset:         0
        .size:           112
        .value_kind:     by_value
    .group_segment_fixed_size: 16384
    .kernarg_segment_align: 8
    .kernarg_segment_size: 112
    .language:       OpenCL C
    .language_version:
      - 2
      - 0
    .max_flat_workgroup_size: 256
    .name:           _ZN7rocprim17ROCPRIM_400000_NS6detail17trampoline_kernelINS0_14default_configENS1_27scan_by_key_config_selectorIiiEEZZNS1_16scan_by_key_implILNS1_25lookback_scan_determinismE0ELb1ES3_N6thrust23THRUST_200600_302600_NS6detail15normal_iteratorINS9_10device_ptrIiEEEENSB_INSC_IjEEEENSB_INSC_IfEEEEiNS9_4plusIvEENS9_8equal_toIvEEiEE10hipError_tPvRmT2_T3_T4_T5_mT6_T7_P12ihipStream_tbENKUlT_T0_E_clISt17integral_constantIbLb1EES12_IbLb0EEEEDaSY_SZ_EUlSY_E_NS1_11comp_targetILNS1_3genE4ELNS1_11target_archE910ELNS1_3gpuE8ELNS1_3repE0EEENS1_30default_config_static_selectorELNS0_4arch9wavefront6targetE1EEEvT1_
    .private_segment_fixed_size: 0
    .sgpr_count:     64
    .sgpr_spill_count: 0
    .symbol:         _ZN7rocprim17ROCPRIM_400000_NS6detail17trampoline_kernelINS0_14default_configENS1_27scan_by_key_config_selectorIiiEEZZNS1_16scan_by_key_implILNS1_25lookback_scan_determinismE0ELb1ES3_N6thrust23THRUST_200600_302600_NS6detail15normal_iteratorINS9_10device_ptrIiEEEENSB_INSC_IjEEEENSB_INSC_IfEEEEiNS9_4plusIvEENS9_8equal_toIvEEiEE10hipError_tPvRmT2_T3_T4_T5_mT6_T7_P12ihipStream_tbENKUlT_T0_E_clISt17integral_constantIbLb1EES12_IbLb0EEEEDaSY_SZ_EUlSY_E_NS1_11comp_targetILNS1_3genE4ELNS1_11target_archE910ELNS1_3gpuE8ELNS1_3repE0EEENS1_30default_config_static_selectorELNS0_4arch9wavefront6targetE1EEEvT1_.kd
    .uniform_work_group_size: 1
    .uses_dynamic_stack: false
    .vgpr_count:     65
    .vgpr_spill_count: 0
    .wavefront_size: 64
  - .agpr_count:     0
    .args:
      - .offset:         0
        .size:           112
        .value_kind:     by_value
    .group_segment_fixed_size: 0
    .kernarg_segment_align: 8
    .kernarg_segment_size: 112
    .language:       OpenCL C
    .language_version:
      - 2
      - 0
    .max_flat_workgroup_size: 256
    .name:           _ZN7rocprim17ROCPRIM_400000_NS6detail17trampoline_kernelINS0_14default_configENS1_27scan_by_key_config_selectorIiiEEZZNS1_16scan_by_key_implILNS1_25lookback_scan_determinismE0ELb1ES3_N6thrust23THRUST_200600_302600_NS6detail15normal_iteratorINS9_10device_ptrIiEEEENSB_INSC_IjEEEENSB_INSC_IfEEEEiNS9_4plusIvEENS9_8equal_toIvEEiEE10hipError_tPvRmT2_T3_T4_T5_mT6_T7_P12ihipStream_tbENKUlT_T0_E_clISt17integral_constantIbLb1EES12_IbLb0EEEEDaSY_SZ_EUlSY_E_NS1_11comp_targetILNS1_3genE3ELNS1_11target_archE908ELNS1_3gpuE7ELNS1_3repE0EEENS1_30default_config_static_selectorELNS0_4arch9wavefront6targetE1EEEvT1_
    .private_segment_fixed_size: 0
    .sgpr_count:     4
    .sgpr_spill_count: 0
    .symbol:         _ZN7rocprim17ROCPRIM_400000_NS6detail17trampoline_kernelINS0_14default_configENS1_27scan_by_key_config_selectorIiiEEZZNS1_16scan_by_key_implILNS1_25lookback_scan_determinismE0ELb1ES3_N6thrust23THRUST_200600_302600_NS6detail15normal_iteratorINS9_10device_ptrIiEEEENSB_INSC_IjEEEENSB_INSC_IfEEEEiNS9_4plusIvEENS9_8equal_toIvEEiEE10hipError_tPvRmT2_T3_T4_T5_mT6_T7_P12ihipStream_tbENKUlT_T0_E_clISt17integral_constantIbLb1EES12_IbLb0EEEEDaSY_SZ_EUlSY_E_NS1_11comp_targetILNS1_3genE3ELNS1_11target_archE908ELNS1_3gpuE7ELNS1_3repE0EEENS1_30default_config_static_selectorELNS0_4arch9wavefront6targetE1EEEvT1_.kd
    .uniform_work_group_size: 1
    .uses_dynamic_stack: false
    .vgpr_count:     0
    .vgpr_spill_count: 0
    .wavefront_size: 64
  - .agpr_count:     0
    .args:
      - .offset:         0
        .size:           112
        .value_kind:     by_value
    .group_segment_fixed_size: 0
    .kernarg_segment_align: 8
    .kernarg_segment_size: 112
    .language:       OpenCL C
    .language_version:
      - 2
      - 0
    .max_flat_workgroup_size: 256
    .name:           _ZN7rocprim17ROCPRIM_400000_NS6detail17trampoline_kernelINS0_14default_configENS1_27scan_by_key_config_selectorIiiEEZZNS1_16scan_by_key_implILNS1_25lookback_scan_determinismE0ELb1ES3_N6thrust23THRUST_200600_302600_NS6detail15normal_iteratorINS9_10device_ptrIiEEEENSB_INSC_IjEEEENSB_INSC_IfEEEEiNS9_4plusIvEENS9_8equal_toIvEEiEE10hipError_tPvRmT2_T3_T4_T5_mT6_T7_P12ihipStream_tbENKUlT_T0_E_clISt17integral_constantIbLb1EES12_IbLb0EEEEDaSY_SZ_EUlSY_E_NS1_11comp_targetILNS1_3genE2ELNS1_11target_archE906ELNS1_3gpuE6ELNS1_3repE0EEENS1_30default_config_static_selectorELNS0_4arch9wavefront6targetE1EEEvT1_
    .private_segment_fixed_size: 0
    .sgpr_count:     4
    .sgpr_spill_count: 0
    .symbol:         _ZN7rocprim17ROCPRIM_400000_NS6detail17trampoline_kernelINS0_14default_configENS1_27scan_by_key_config_selectorIiiEEZZNS1_16scan_by_key_implILNS1_25lookback_scan_determinismE0ELb1ES3_N6thrust23THRUST_200600_302600_NS6detail15normal_iteratorINS9_10device_ptrIiEEEENSB_INSC_IjEEEENSB_INSC_IfEEEEiNS9_4plusIvEENS9_8equal_toIvEEiEE10hipError_tPvRmT2_T3_T4_T5_mT6_T7_P12ihipStream_tbENKUlT_T0_E_clISt17integral_constantIbLb1EES12_IbLb0EEEEDaSY_SZ_EUlSY_E_NS1_11comp_targetILNS1_3genE2ELNS1_11target_archE906ELNS1_3gpuE6ELNS1_3repE0EEENS1_30default_config_static_selectorELNS0_4arch9wavefront6targetE1EEEvT1_.kd
    .uniform_work_group_size: 1
    .uses_dynamic_stack: false
    .vgpr_count:     0
    .vgpr_spill_count: 0
    .wavefront_size: 64
  - .agpr_count:     0
    .args:
      - .offset:         0
        .size:           112
        .value_kind:     by_value
    .group_segment_fixed_size: 0
    .kernarg_segment_align: 8
    .kernarg_segment_size: 112
    .language:       OpenCL C
    .language_version:
      - 2
      - 0
    .max_flat_workgroup_size: 256
    .name:           _ZN7rocprim17ROCPRIM_400000_NS6detail17trampoline_kernelINS0_14default_configENS1_27scan_by_key_config_selectorIiiEEZZNS1_16scan_by_key_implILNS1_25lookback_scan_determinismE0ELb1ES3_N6thrust23THRUST_200600_302600_NS6detail15normal_iteratorINS9_10device_ptrIiEEEENSB_INSC_IjEEEENSB_INSC_IfEEEEiNS9_4plusIvEENS9_8equal_toIvEEiEE10hipError_tPvRmT2_T3_T4_T5_mT6_T7_P12ihipStream_tbENKUlT_T0_E_clISt17integral_constantIbLb1EES12_IbLb0EEEEDaSY_SZ_EUlSY_E_NS1_11comp_targetILNS1_3genE10ELNS1_11target_archE1200ELNS1_3gpuE4ELNS1_3repE0EEENS1_30default_config_static_selectorELNS0_4arch9wavefront6targetE1EEEvT1_
    .private_segment_fixed_size: 0
    .sgpr_count:     4
    .sgpr_spill_count: 0
    .symbol:         _ZN7rocprim17ROCPRIM_400000_NS6detail17trampoline_kernelINS0_14default_configENS1_27scan_by_key_config_selectorIiiEEZZNS1_16scan_by_key_implILNS1_25lookback_scan_determinismE0ELb1ES3_N6thrust23THRUST_200600_302600_NS6detail15normal_iteratorINS9_10device_ptrIiEEEENSB_INSC_IjEEEENSB_INSC_IfEEEEiNS9_4plusIvEENS9_8equal_toIvEEiEE10hipError_tPvRmT2_T3_T4_T5_mT6_T7_P12ihipStream_tbENKUlT_T0_E_clISt17integral_constantIbLb1EES12_IbLb0EEEEDaSY_SZ_EUlSY_E_NS1_11comp_targetILNS1_3genE10ELNS1_11target_archE1200ELNS1_3gpuE4ELNS1_3repE0EEENS1_30default_config_static_selectorELNS0_4arch9wavefront6targetE1EEEvT1_.kd
    .uniform_work_group_size: 1
    .uses_dynamic_stack: false
    .vgpr_count:     0
    .vgpr_spill_count: 0
    .wavefront_size: 64
  - .agpr_count:     0
    .args:
      - .offset:         0
        .size:           112
        .value_kind:     by_value
    .group_segment_fixed_size: 0
    .kernarg_segment_align: 8
    .kernarg_segment_size: 112
    .language:       OpenCL C
    .language_version:
      - 2
      - 0
    .max_flat_workgroup_size: 256
    .name:           _ZN7rocprim17ROCPRIM_400000_NS6detail17trampoline_kernelINS0_14default_configENS1_27scan_by_key_config_selectorIiiEEZZNS1_16scan_by_key_implILNS1_25lookback_scan_determinismE0ELb1ES3_N6thrust23THRUST_200600_302600_NS6detail15normal_iteratorINS9_10device_ptrIiEEEENSB_INSC_IjEEEENSB_INSC_IfEEEEiNS9_4plusIvEENS9_8equal_toIvEEiEE10hipError_tPvRmT2_T3_T4_T5_mT6_T7_P12ihipStream_tbENKUlT_T0_E_clISt17integral_constantIbLb1EES12_IbLb0EEEEDaSY_SZ_EUlSY_E_NS1_11comp_targetILNS1_3genE9ELNS1_11target_archE1100ELNS1_3gpuE3ELNS1_3repE0EEENS1_30default_config_static_selectorELNS0_4arch9wavefront6targetE1EEEvT1_
    .private_segment_fixed_size: 0
    .sgpr_count:     4
    .sgpr_spill_count: 0
    .symbol:         _ZN7rocprim17ROCPRIM_400000_NS6detail17trampoline_kernelINS0_14default_configENS1_27scan_by_key_config_selectorIiiEEZZNS1_16scan_by_key_implILNS1_25lookback_scan_determinismE0ELb1ES3_N6thrust23THRUST_200600_302600_NS6detail15normal_iteratorINS9_10device_ptrIiEEEENSB_INSC_IjEEEENSB_INSC_IfEEEEiNS9_4plusIvEENS9_8equal_toIvEEiEE10hipError_tPvRmT2_T3_T4_T5_mT6_T7_P12ihipStream_tbENKUlT_T0_E_clISt17integral_constantIbLb1EES12_IbLb0EEEEDaSY_SZ_EUlSY_E_NS1_11comp_targetILNS1_3genE9ELNS1_11target_archE1100ELNS1_3gpuE3ELNS1_3repE0EEENS1_30default_config_static_selectorELNS0_4arch9wavefront6targetE1EEEvT1_.kd
    .uniform_work_group_size: 1
    .uses_dynamic_stack: false
    .vgpr_count:     0
    .vgpr_spill_count: 0
    .wavefront_size: 64
  - .agpr_count:     0
    .args:
      - .offset:         0
        .size:           112
        .value_kind:     by_value
    .group_segment_fixed_size: 0
    .kernarg_segment_align: 8
    .kernarg_segment_size: 112
    .language:       OpenCL C
    .language_version:
      - 2
      - 0
    .max_flat_workgroup_size: 256
    .name:           _ZN7rocprim17ROCPRIM_400000_NS6detail17trampoline_kernelINS0_14default_configENS1_27scan_by_key_config_selectorIiiEEZZNS1_16scan_by_key_implILNS1_25lookback_scan_determinismE0ELb1ES3_N6thrust23THRUST_200600_302600_NS6detail15normal_iteratorINS9_10device_ptrIiEEEENSB_INSC_IjEEEENSB_INSC_IfEEEEiNS9_4plusIvEENS9_8equal_toIvEEiEE10hipError_tPvRmT2_T3_T4_T5_mT6_T7_P12ihipStream_tbENKUlT_T0_E_clISt17integral_constantIbLb1EES12_IbLb0EEEEDaSY_SZ_EUlSY_E_NS1_11comp_targetILNS1_3genE8ELNS1_11target_archE1030ELNS1_3gpuE2ELNS1_3repE0EEENS1_30default_config_static_selectorELNS0_4arch9wavefront6targetE1EEEvT1_
    .private_segment_fixed_size: 0
    .sgpr_count:     4
    .sgpr_spill_count: 0
    .symbol:         _ZN7rocprim17ROCPRIM_400000_NS6detail17trampoline_kernelINS0_14default_configENS1_27scan_by_key_config_selectorIiiEEZZNS1_16scan_by_key_implILNS1_25lookback_scan_determinismE0ELb1ES3_N6thrust23THRUST_200600_302600_NS6detail15normal_iteratorINS9_10device_ptrIiEEEENSB_INSC_IjEEEENSB_INSC_IfEEEEiNS9_4plusIvEENS9_8equal_toIvEEiEE10hipError_tPvRmT2_T3_T4_T5_mT6_T7_P12ihipStream_tbENKUlT_T0_E_clISt17integral_constantIbLb1EES12_IbLb0EEEEDaSY_SZ_EUlSY_E_NS1_11comp_targetILNS1_3genE8ELNS1_11target_archE1030ELNS1_3gpuE2ELNS1_3repE0EEENS1_30default_config_static_selectorELNS0_4arch9wavefront6targetE1EEEvT1_.kd
    .uniform_work_group_size: 1
    .uses_dynamic_stack: false
    .vgpr_count:     0
    .vgpr_spill_count: 0
    .wavefront_size: 64
  - .agpr_count:     0
    .args:
      - .offset:         0
        .size:           112
        .value_kind:     by_value
    .group_segment_fixed_size: 0
    .kernarg_segment_align: 8
    .kernarg_segment_size: 112
    .language:       OpenCL C
    .language_version:
      - 2
      - 0
    .max_flat_workgroup_size: 256
    .name:           _ZN7rocprim17ROCPRIM_400000_NS6detail17trampoline_kernelINS0_14default_configENS1_27scan_by_key_config_selectorIiiEEZZNS1_16scan_by_key_implILNS1_25lookback_scan_determinismE0ELb1ES3_N6thrust23THRUST_200600_302600_NS6detail15normal_iteratorINS9_10device_ptrIiEEEENSB_INSC_IjEEEENSB_INSC_IfEEEEiNS9_4plusIvEENS9_8equal_toIvEEiEE10hipError_tPvRmT2_T3_T4_T5_mT6_T7_P12ihipStream_tbENKUlT_T0_E_clISt17integral_constantIbLb0EES12_IbLb1EEEEDaSY_SZ_EUlSY_E_NS1_11comp_targetILNS1_3genE0ELNS1_11target_archE4294967295ELNS1_3gpuE0ELNS1_3repE0EEENS1_30default_config_static_selectorELNS0_4arch9wavefront6targetE1EEEvT1_
    .private_segment_fixed_size: 0
    .sgpr_count:     4
    .sgpr_spill_count: 0
    .symbol:         _ZN7rocprim17ROCPRIM_400000_NS6detail17trampoline_kernelINS0_14default_configENS1_27scan_by_key_config_selectorIiiEEZZNS1_16scan_by_key_implILNS1_25lookback_scan_determinismE0ELb1ES3_N6thrust23THRUST_200600_302600_NS6detail15normal_iteratorINS9_10device_ptrIiEEEENSB_INSC_IjEEEENSB_INSC_IfEEEEiNS9_4plusIvEENS9_8equal_toIvEEiEE10hipError_tPvRmT2_T3_T4_T5_mT6_T7_P12ihipStream_tbENKUlT_T0_E_clISt17integral_constantIbLb0EES12_IbLb1EEEEDaSY_SZ_EUlSY_E_NS1_11comp_targetILNS1_3genE0ELNS1_11target_archE4294967295ELNS1_3gpuE0ELNS1_3repE0EEENS1_30default_config_static_selectorELNS0_4arch9wavefront6targetE1EEEvT1_.kd
    .uniform_work_group_size: 1
    .uses_dynamic_stack: false
    .vgpr_count:     0
    .vgpr_spill_count: 0
    .wavefront_size: 64
  - .agpr_count:     0
    .args:
      - .offset:         0
        .size:           112
        .value_kind:     by_value
    .group_segment_fixed_size: 0
    .kernarg_segment_align: 8
    .kernarg_segment_size: 112
    .language:       OpenCL C
    .language_version:
      - 2
      - 0
    .max_flat_workgroup_size: 256
    .name:           _ZN7rocprim17ROCPRIM_400000_NS6detail17trampoline_kernelINS0_14default_configENS1_27scan_by_key_config_selectorIiiEEZZNS1_16scan_by_key_implILNS1_25lookback_scan_determinismE0ELb1ES3_N6thrust23THRUST_200600_302600_NS6detail15normal_iteratorINS9_10device_ptrIiEEEENSB_INSC_IjEEEENSB_INSC_IfEEEEiNS9_4plusIvEENS9_8equal_toIvEEiEE10hipError_tPvRmT2_T3_T4_T5_mT6_T7_P12ihipStream_tbENKUlT_T0_E_clISt17integral_constantIbLb0EES12_IbLb1EEEEDaSY_SZ_EUlSY_E_NS1_11comp_targetILNS1_3genE10ELNS1_11target_archE1201ELNS1_3gpuE5ELNS1_3repE0EEENS1_30default_config_static_selectorELNS0_4arch9wavefront6targetE1EEEvT1_
    .private_segment_fixed_size: 0
    .sgpr_count:     4
    .sgpr_spill_count: 0
    .symbol:         _ZN7rocprim17ROCPRIM_400000_NS6detail17trampoline_kernelINS0_14default_configENS1_27scan_by_key_config_selectorIiiEEZZNS1_16scan_by_key_implILNS1_25lookback_scan_determinismE0ELb1ES3_N6thrust23THRUST_200600_302600_NS6detail15normal_iteratorINS9_10device_ptrIiEEEENSB_INSC_IjEEEENSB_INSC_IfEEEEiNS9_4plusIvEENS9_8equal_toIvEEiEE10hipError_tPvRmT2_T3_T4_T5_mT6_T7_P12ihipStream_tbENKUlT_T0_E_clISt17integral_constantIbLb0EES12_IbLb1EEEEDaSY_SZ_EUlSY_E_NS1_11comp_targetILNS1_3genE10ELNS1_11target_archE1201ELNS1_3gpuE5ELNS1_3repE0EEENS1_30default_config_static_selectorELNS0_4arch9wavefront6targetE1EEEvT1_.kd
    .uniform_work_group_size: 1
    .uses_dynamic_stack: false
    .vgpr_count:     0
    .vgpr_spill_count: 0
    .wavefront_size: 64
  - .agpr_count:     0
    .args:
      - .offset:         0
        .size:           112
        .value_kind:     by_value
    .group_segment_fixed_size: 0
    .kernarg_segment_align: 8
    .kernarg_segment_size: 112
    .language:       OpenCL C
    .language_version:
      - 2
      - 0
    .max_flat_workgroup_size: 256
    .name:           _ZN7rocprim17ROCPRIM_400000_NS6detail17trampoline_kernelINS0_14default_configENS1_27scan_by_key_config_selectorIiiEEZZNS1_16scan_by_key_implILNS1_25lookback_scan_determinismE0ELb1ES3_N6thrust23THRUST_200600_302600_NS6detail15normal_iteratorINS9_10device_ptrIiEEEENSB_INSC_IjEEEENSB_INSC_IfEEEEiNS9_4plusIvEENS9_8equal_toIvEEiEE10hipError_tPvRmT2_T3_T4_T5_mT6_T7_P12ihipStream_tbENKUlT_T0_E_clISt17integral_constantIbLb0EES12_IbLb1EEEEDaSY_SZ_EUlSY_E_NS1_11comp_targetILNS1_3genE5ELNS1_11target_archE942ELNS1_3gpuE9ELNS1_3repE0EEENS1_30default_config_static_selectorELNS0_4arch9wavefront6targetE1EEEvT1_
    .private_segment_fixed_size: 0
    .sgpr_count:     4
    .sgpr_spill_count: 0
    .symbol:         _ZN7rocprim17ROCPRIM_400000_NS6detail17trampoline_kernelINS0_14default_configENS1_27scan_by_key_config_selectorIiiEEZZNS1_16scan_by_key_implILNS1_25lookback_scan_determinismE0ELb1ES3_N6thrust23THRUST_200600_302600_NS6detail15normal_iteratorINS9_10device_ptrIiEEEENSB_INSC_IjEEEENSB_INSC_IfEEEEiNS9_4plusIvEENS9_8equal_toIvEEiEE10hipError_tPvRmT2_T3_T4_T5_mT6_T7_P12ihipStream_tbENKUlT_T0_E_clISt17integral_constantIbLb0EES12_IbLb1EEEEDaSY_SZ_EUlSY_E_NS1_11comp_targetILNS1_3genE5ELNS1_11target_archE942ELNS1_3gpuE9ELNS1_3repE0EEENS1_30default_config_static_selectorELNS0_4arch9wavefront6targetE1EEEvT1_.kd
    .uniform_work_group_size: 1
    .uses_dynamic_stack: false
    .vgpr_count:     0
    .vgpr_spill_count: 0
    .wavefront_size: 64
  - .agpr_count:     0
    .args:
      - .offset:         0
        .size:           112
        .value_kind:     by_value
    .group_segment_fixed_size: 16384
    .kernarg_segment_align: 8
    .kernarg_segment_size: 112
    .language:       OpenCL C
    .language_version:
      - 2
      - 0
    .max_flat_workgroup_size: 256
    .name:           _ZN7rocprim17ROCPRIM_400000_NS6detail17trampoline_kernelINS0_14default_configENS1_27scan_by_key_config_selectorIiiEEZZNS1_16scan_by_key_implILNS1_25lookback_scan_determinismE0ELb1ES3_N6thrust23THRUST_200600_302600_NS6detail15normal_iteratorINS9_10device_ptrIiEEEENSB_INSC_IjEEEENSB_INSC_IfEEEEiNS9_4plusIvEENS9_8equal_toIvEEiEE10hipError_tPvRmT2_T3_T4_T5_mT6_T7_P12ihipStream_tbENKUlT_T0_E_clISt17integral_constantIbLb0EES12_IbLb1EEEEDaSY_SZ_EUlSY_E_NS1_11comp_targetILNS1_3genE4ELNS1_11target_archE910ELNS1_3gpuE8ELNS1_3repE0EEENS1_30default_config_static_selectorELNS0_4arch9wavefront6targetE1EEEvT1_
    .private_segment_fixed_size: 0
    .sgpr_count:     64
    .sgpr_spill_count: 0
    .symbol:         _ZN7rocprim17ROCPRIM_400000_NS6detail17trampoline_kernelINS0_14default_configENS1_27scan_by_key_config_selectorIiiEEZZNS1_16scan_by_key_implILNS1_25lookback_scan_determinismE0ELb1ES3_N6thrust23THRUST_200600_302600_NS6detail15normal_iteratorINS9_10device_ptrIiEEEENSB_INSC_IjEEEENSB_INSC_IfEEEEiNS9_4plusIvEENS9_8equal_toIvEEiEE10hipError_tPvRmT2_T3_T4_T5_mT6_T7_P12ihipStream_tbENKUlT_T0_E_clISt17integral_constantIbLb0EES12_IbLb1EEEEDaSY_SZ_EUlSY_E_NS1_11comp_targetILNS1_3genE4ELNS1_11target_archE910ELNS1_3gpuE8ELNS1_3repE0EEENS1_30default_config_static_selectorELNS0_4arch9wavefront6targetE1EEEvT1_.kd
    .uniform_work_group_size: 1
    .uses_dynamic_stack: false
    .vgpr_count:     67
    .vgpr_spill_count: 0
    .wavefront_size: 64
  - .agpr_count:     0
    .args:
      - .offset:         0
        .size:           112
        .value_kind:     by_value
    .group_segment_fixed_size: 0
    .kernarg_segment_align: 8
    .kernarg_segment_size: 112
    .language:       OpenCL C
    .language_version:
      - 2
      - 0
    .max_flat_workgroup_size: 256
    .name:           _ZN7rocprim17ROCPRIM_400000_NS6detail17trampoline_kernelINS0_14default_configENS1_27scan_by_key_config_selectorIiiEEZZNS1_16scan_by_key_implILNS1_25lookback_scan_determinismE0ELb1ES3_N6thrust23THRUST_200600_302600_NS6detail15normal_iteratorINS9_10device_ptrIiEEEENSB_INSC_IjEEEENSB_INSC_IfEEEEiNS9_4plusIvEENS9_8equal_toIvEEiEE10hipError_tPvRmT2_T3_T4_T5_mT6_T7_P12ihipStream_tbENKUlT_T0_E_clISt17integral_constantIbLb0EES12_IbLb1EEEEDaSY_SZ_EUlSY_E_NS1_11comp_targetILNS1_3genE3ELNS1_11target_archE908ELNS1_3gpuE7ELNS1_3repE0EEENS1_30default_config_static_selectorELNS0_4arch9wavefront6targetE1EEEvT1_
    .private_segment_fixed_size: 0
    .sgpr_count:     4
    .sgpr_spill_count: 0
    .symbol:         _ZN7rocprim17ROCPRIM_400000_NS6detail17trampoline_kernelINS0_14default_configENS1_27scan_by_key_config_selectorIiiEEZZNS1_16scan_by_key_implILNS1_25lookback_scan_determinismE0ELb1ES3_N6thrust23THRUST_200600_302600_NS6detail15normal_iteratorINS9_10device_ptrIiEEEENSB_INSC_IjEEEENSB_INSC_IfEEEEiNS9_4plusIvEENS9_8equal_toIvEEiEE10hipError_tPvRmT2_T3_T4_T5_mT6_T7_P12ihipStream_tbENKUlT_T0_E_clISt17integral_constantIbLb0EES12_IbLb1EEEEDaSY_SZ_EUlSY_E_NS1_11comp_targetILNS1_3genE3ELNS1_11target_archE908ELNS1_3gpuE7ELNS1_3repE0EEENS1_30default_config_static_selectorELNS0_4arch9wavefront6targetE1EEEvT1_.kd
    .uniform_work_group_size: 1
    .uses_dynamic_stack: false
    .vgpr_count:     0
    .vgpr_spill_count: 0
    .wavefront_size: 64
  - .agpr_count:     0
    .args:
      - .offset:         0
        .size:           112
        .value_kind:     by_value
    .group_segment_fixed_size: 0
    .kernarg_segment_align: 8
    .kernarg_segment_size: 112
    .language:       OpenCL C
    .language_version:
      - 2
      - 0
    .max_flat_workgroup_size: 256
    .name:           _ZN7rocprim17ROCPRIM_400000_NS6detail17trampoline_kernelINS0_14default_configENS1_27scan_by_key_config_selectorIiiEEZZNS1_16scan_by_key_implILNS1_25lookback_scan_determinismE0ELb1ES3_N6thrust23THRUST_200600_302600_NS6detail15normal_iteratorINS9_10device_ptrIiEEEENSB_INSC_IjEEEENSB_INSC_IfEEEEiNS9_4plusIvEENS9_8equal_toIvEEiEE10hipError_tPvRmT2_T3_T4_T5_mT6_T7_P12ihipStream_tbENKUlT_T0_E_clISt17integral_constantIbLb0EES12_IbLb1EEEEDaSY_SZ_EUlSY_E_NS1_11comp_targetILNS1_3genE2ELNS1_11target_archE906ELNS1_3gpuE6ELNS1_3repE0EEENS1_30default_config_static_selectorELNS0_4arch9wavefront6targetE1EEEvT1_
    .private_segment_fixed_size: 0
    .sgpr_count:     4
    .sgpr_spill_count: 0
    .symbol:         _ZN7rocprim17ROCPRIM_400000_NS6detail17trampoline_kernelINS0_14default_configENS1_27scan_by_key_config_selectorIiiEEZZNS1_16scan_by_key_implILNS1_25lookback_scan_determinismE0ELb1ES3_N6thrust23THRUST_200600_302600_NS6detail15normal_iteratorINS9_10device_ptrIiEEEENSB_INSC_IjEEEENSB_INSC_IfEEEEiNS9_4plusIvEENS9_8equal_toIvEEiEE10hipError_tPvRmT2_T3_T4_T5_mT6_T7_P12ihipStream_tbENKUlT_T0_E_clISt17integral_constantIbLb0EES12_IbLb1EEEEDaSY_SZ_EUlSY_E_NS1_11comp_targetILNS1_3genE2ELNS1_11target_archE906ELNS1_3gpuE6ELNS1_3repE0EEENS1_30default_config_static_selectorELNS0_4arch9wavefront6targetE1EEEvT1_.kd
    .uniform_work_group_size: 1
    .uses_dynamic_stack: false
    .vgpr_count:     0
    .vgpr_spill_count: 0
    .wavefront_size: 64
  - .agpr_count:     0
    .args:
      - .offset:         0
        .size:           112
        .value_kind:     by_value
    .group_segment_fixed_size: 0
    .kernarg_segment_align: 8
    .kernarg_segment_size: 112
    .language:       OpenCL C
    .language_version:
      - 2
      - 0
    .max_flat_workgroup_size: 256
    .name:           _ZN7rocprim17ROCPRIM_400000_NS6detail17trampoline_kernelINS0_14default_configENS1_27scan_by_key_config_selectorIiiEEZZNS1_16scan_by_key_implILNS1_25lookback_scan_determinismE0ELb1ES3_N6thrust23THRUST_200600_302600_NS6detail15normal_iteratorINS9_10device_ptrIiEEEENSB_INSC_IjEEEENSB_INSC_IfEEEEiNS9_4plusIvEENS9_8equal_toIvEEiEE10hipError_tPvRmT2_T3_T4_T5_mT6_T7_P12ihipStream_tbENKUlT_T0_E_clISt17integral_constantIbLb0EES12_IbLb1EEEEDaSY_SZ_EUlSY_E_NS1_11comp_targetILNS1_3genE10ELNS1_11target_archE1200ELNS1_3gpuE4ELNS1_3repE0EEENS1_30default_config_static_selectorELNS0_4arch9wavefront6targetE1EEEvT1_
    .private_segment_fixed_size: 0
    .sgpr_count:     4
    .sgpr_spill_count: 0
    .symbol:         _ZN7rocprim17ROCPRIM_400000_NS6detail17trampoline_kernelINS0_14default_configENS1_27scan_by_key_config_selectorIiiEEZZNS1_16scan_by_key_implILNS1_25lookback_scan_determinismE0ELb1ES3_N6thrust23THRUST_200600_302600_NS6detail15normal_iteratorINS9_10device_ptrIiEEEENSB_INSC_IjEEEENSB_INSC_IfEEEEiNS9_4plusIvEENS9_8equal_toIvEEiEE10hipError_tPvRmT2_T3_T4_T5_mT6_T7_P12ihipStream_tbENKUlT_T0_E_clISt17integral_constantIbLb0EES12_IbLb1EEEEDaSY_SZ_EUlSY_E_NS1_11comp_targetILNS1_3genE10ELNS1_11target_archE1200ELNS1_3gpuE4ELNS1_3repE0EEENS1_30default_config_static_selectorELNS0_4arch9wavefront6targetE1EEEvT1_.kd
    .uniform_work_group_size: 1
    .uses_dynamic_stack: false
    .vgpr_count:     0
    .vgpr_spill_count: 0
    .wavefront_size: 64
  - .agpr_count:     0
    .args:
      - .offset:         0
        .size:           112
        .value_kind:     by_value
    .group_segment_fixed_size: 0
    .kernarg_segment_align: 8
    .kernarg_segment_size: 112
    .language:       OpenCL C
    .language_version:
      - 2
      - 0
    .max_flat_workgroup_size: 256
    .name:           _ZN7rocprim17ROCPRIM_400000_NS6detail17trampoline_kernelINS0_14default_configENS1_27scan_by_key_config_selectorIiiEEZZNS1_16scan_by_key_implILNS1_25lookback_scan_determinismE0ELb1ES3_N6thrust23THRUST_200600_302600_NS6detail15normal_iteratorINS9_10device_ptrIiEEEENSB_INSC_IjEEEENSB_INSC_IfEEEEiNS9_4plusIvEENS9_8equal_toIvEEiEE10hipError_tPvRmT2_T3_T4_T5_mT6_T7_P12ihipStream_tbENKUlT_T0_E_clISt17integral_constantIbLb0EES12_IbLb1EEEEDaSY_SZ_EUlSY_E_NS1_11comp_targetILNS1_3genE9ELNS1_11target_archE1100ELNS1_3gpuE3ELNS1_3repE0EEENS1_30default_config_static_selectorELNS0_4arch9wavefront6targetE1EEEvT1_
    .private_segment_fixed_size: 0
    .sgpr_count:     4
    .sgpr_spill_count: 0
    .symbol:         _ZN7rocprim17ROCPRIM_400000_NS6detail17trampoline_kernelINS0_14default_configENS1_27scan_by_key_config_selectorIiiEEZZNS1_16scan_by_key_implILNS1_25lookback_scan_determinismE0ELb1ES3_N6thrust23THRUST_200600_302600_NS6detail15normal_iteratorINS9_10device_ptrIiEEEENSB_INSC_IjEEEENSB_INSC_IfEEEEiNS9_4plusIvEENS9_8equal_toIvEEiEE10hipError_tPvRmT2_T3_T4_T5_mT6_T7_P12ihipStream_tbENKUlT_T0_E_clISt17integral_constantIbLb0EES12_IbLb1EEEEDaSY_SZ_EUlSY_E_NS1_11comp_targetILNS1_3genE9ELNS1_11target_archE1100ELNS1_3gpuE3ELNS1_3repE0EEENS1_30default_config_static_selectorELNS0_4arch9wavefront6targetE1EEEvT1_.kd
    .uniform_work_group_size: 1
    .uses_dynamic_stack: false
    .vgpr_count:     0
    .vgpr_spill_count: 0
    .wavefront_size: 64
  - .agpr_count:     0
    .args:
      - .offset:         0
        .size:           112
        .value_kind:     by_value
    .group_segment_fixed_size: 0
    .kernarg_segment_align: 8
    .kernarg_segment_size: 112
    .language:       OpenCL C
    .language_version:
      - 2
      - 0
    .max_flat_workgroup_size: 256
    .name:           _ZN7rocprim17ROCPRIM_400000_NS6detail17trampoline_kernelINS0_14default_configENS1_27scan_by_key_config_selectorIiiEEZZNS1_16scan_by_key_implILNS1_25lookback_scan_determinismE0ELb1ES3_N6thrust23THRUST_200600_302600_NS6detail15normal_iteratorINS9_10device_ptrIiEEEENSB_INSC_IjEEEENSB_INSC_IfEEEEiNS9_4plusIvEENS9_8equal_toIvEEiEE10hipError_tPvRmT2_T3_T4_T5_mT6_T7_P12ihipStream_tbENKUlT_T0_E_clISt17integral_constantIbLb0EES12_IbLb1EEEEDaSY_SZ_EUlSY_E_NS1_11comp_targetILNS1_3genE8ELNS1_11target_archE1030ELNS1_3gpuE2ELNS1_3repE0EEENS1_30default_config_static_selectorELNS0_4arch9wavefront6targetE1EEEvT1_
    .private_segment_fixed_size: 0
    .sgpr_count:     4
    .sgpr_spill_count: 0
    .symbol:         _ZN7rocprim17ROCPRIM_400000_NS6detail17trampoline_kernelINS0_14default_configENS1_27scan_by_key_config_selectorIiiEEZZNS1_16scan_by_key_implILNS1_25lookback_scan_determinismE0ELb1ES3_N6thrust23THRUST_200600_302600_NS6detail15normal_iteratorINS9_10device_ptrIiEEEENSB_INSC_IjEEEENSB_INSC_IfEEEEiNS9_4plusIvEENS9_8equal_toIvEEiEE10hipError_tPvRmT2_T3_T4_T5_mT6_T7_P12ihipStream_tbENKUlT_T0_E_clISt17integral_constantIbLb0EES12_IbLb1EEEEDaSY_SZ_EUlSY_E_NS1_11comp_targetILNS1_3genE8ELNS1_11target_archE1030ELNS1_3gpuE2ELNS1_3repE0EEENS1_30default_config_static_selectorELNS0_4arch9wavefront6targetE1EEEvT1_.kd
    .uniform_work_group_size: 1
    .uses_dynamic_stack: false
    .vgpr_count:     0
    .vgpr_spill_count: 0
    .wavefront_size: 64
  - .agpr_count:     0
    .args:
      - .offset:         0
        .size:           112
        .value_kind:     by_value
    .group_segment_fixed_size: 0
    .kernarg_segment_align: 8
    .kernarg_segment_size: 112
    .language:       OpenCL C
    .language_version:
      - 2
      - 0
    .max_flat_workgroup_size: 256
    .name:           _ZN7rocprim17ROCPRIM_400000_NS6detail17trampoline_kernelINS0_14default_configENS1_27scan_by_key_config_selectorIiiEEZZNS1_16scan_by_key_implILNS1_25lookback_scan_determinismE0ELb1ES3_N6thrust23THRUST_200600_302600_NS6detail15normal_iteratorINS9_10device_ptrIiEEEENSB_INSC_IjEEEESE_iNS9_4plusIvEENS9_8equal_toIvEEiEE10hipError_tPvRmT2_T3_T4_T5_mT6_T7_P12ihipStream_tbENKUlT_T0_E_clISt17integral_constantIbLb0EES11_EEDaSW_SX_EUlSW_E_NS1_11comp_targetILNS1_3genE0ELNS1_11target_archE4294967295ELNS1_3gpuE0ELNS1_3repE0EEENS1_30default_config_static_selectorELNS0_4arch9wavefront6targetE1EEEvT1_
    .private_segment_fixed_size: 0
    .sgpr_count:     4
    .sgpr_spill_count: 0
    .symbol:         _ZN7rocprim17ROCPRIM_400000_NS6detail17trampoline_kernelINS0_14default_configENS1_27scan_by_key_config_selectorIiiEEZZNS1_16scan_by_key_implILNS1_25lookback_scan_determinismE0ELb1ES3_N6thrust23THRUST_200600_302600_NS6detail15normal_iteratorINS9_10device_ptrIiEEEENSB_INSC_IjEEEESE_iNS9_4plusIvEENS9_8equal_toIvEEiEE10hipError_tPvRmT2_T3_T4_T5_mT6_T7_P12ihipStream_tbENKUlT_T0_E_clISt17integral_constantIbLb0EES11_EEDaSW_SX_EUlSW_E_NS1_11comp_targetILNS1_3genE0ELNS1_11target_archE4294967295ELNS1_3gpuE0ELNS1_3repE0EEENS1_30default_config_static_selectorELNS0_4arch9wavefront6targetE1EEEvT1_.kd
    .uniform_work_group_size: 1
    .uses_dynamic_stack: false
    .vgpr_count:     0
    .vgpr_spill_count: 0
    .wavefront_size: 64
  - .agpr_count:     0
    .args:
      - .offset:         0
        .size:           112
        .value_kind:     by_value
    .group_segment_fixed_size: 0
    .kernarg_segment_align: 8
    .kernarg_segment_size: 112
    .language:       OpenCL C
    .language_version:
      - 2
      - 0
    .max_flat_workgroup_size: 256
    .name:           _ZN7rocprim17ROCPRIM_400000_NS6detail17trampoline_kernelINS0_14default_configENS1_27scan_by_key_config_selectorIiiEEZZNS1_16scan_by_key_implILNS1_25lookback_scan_determinismE0ELb1ES3_N6thrust23THRUST_200600_302600_NS6detail15normal_iteratorINS9_10device_ptrIiEEEENSB_INSC_IjEEEESE_iNS9_4plusIvEENS9_8equal_toIvEEiEE10hipError_tPvRmT2_T3_T4_T5_mT6_T7_P12ihipStream_tbENKUlT_T0_E_clISt17integral_constantIbLb0EES11_EEDaSW_SX_EUlSW_E_NS1_11comp_targetILNS1_3genE10ELNS1_11target_archE1201ELNS1_3gpuE5ELNS1_3repE0EEENS1_30default_config_static_selectorELNS0_4arch9wavefront6targetE1EEEvT1_
    .private_segment_fixed_size: 0
    .sgpr_count:     4
    .sgpr_spill_count: 0
    .symbol:         _ZN7rocprim17ROCPRIM_400000_NS6detail17trampoline_kernelINS0_14default_configENS1_27scan_by_key_config_selectorIiiEEZZNS1_16scan_by_key_implILNS1_25lookback_scan_determinismE0ELb1ES3_N6thrust23THRUST_200600_302600_NS6detail15normal_iteratorINS9_10device_ptrIiEEEENSB_INSC_IjEEEESE_iNS9_4plusIvEENS9_8equal_toIvEEiEE10hipError_tPvRmT2_T3_T4_T5_mT6_T7_P12ihipStream_tbENKUlT_T0_E_clISt17integral_constantIbLb0EES11_EEDaSW_SX_EUlSW_E_NS1_11comp_targetILNS1_3genE10ELNS1_11target_archE1201ELNS1_3gpuE5ELNS1_3repE0EEENS1_30default_config_static_selectorELNS0_4arch9wavefront6targetE1EEEvT1_.kd
    .uniform_work_group_size: 1
    .uses_dynamic_stack: false
    .vgpr_count:     0
    .vgpr_spill_count: 0
    .wavefront_size: 64
  - .agpr_count:     0
    .args:
      - .offset:         0
        .size:           112
        .value_kind:     by_value
    .group_segment_fixed_size: 0
    .kernarg_segment_align: 8
    .kernarg_segment_size: 112
    .language:       OpenCL C
    .language_version:
      - 2
      - 0
    .max_flat_workgroup_size: 256
    .name:           _ZN7rocprim17ROCPRIM_400000_NS6detail17trampoline_kernelINS0_14default_configENS1_27scan_by_key_config_selectorIiiEEZZNS1_16scan_by_key_implILNS1_25lookback_scan_determinismE0ELb1ES3_N6thrust23THRUST_200600_302600_NS6detail15normal_iteratorINS9_10device_ptrIiEEEENSB_INSC_IjEEEESE_iNS9_4plusIvEENS9_8equal_toIvEEiEE10hipError_tPvRmT2_T3_T4_T5_mT6_T7_P12ihipStream_tbENKUlT_T0_E_clISt17integral_constantIbLb0EES11_EEDaSW_SX_EUlSW_E_NS1_11comp_targetILNS1_3genE5ELNS1_11target_archE942ELNS1_3gpuE9ELNS1_3repE0EEENS1_30default_config_static_selectorELNS0_4arch9wavefront6targetE1EEEvT1_
    .private_segment_fixed_size: 0
    .sgpr_count:     4
    .sgpr_spill_count: 0
    .symbol:         _ZN7rocprim17ROCPRIM_400000_NS6detail17trampoline_kernelINS0_14default_configENS1_27scan_by_key_config_selectorIiiEEZZNS1_16scan_by_key_implILNS1_25lookback_scan_determinismE0ELb1ES3_N6thrust23THRUST_200600_302600_NS6detail15normal_iteratorINS9_10device_ptrIiEEEENSB_INSC_IjEEEESE_iNS9_4plusIvEENS9_8equal_toIvEEiEE10hipError_tPvRmT2_T3_T4_T5_mT6_T7_P12ihipStream_tbENKUlT_T0_E_clISt17integral_constantIbLb0EES11_EEDaSW_SX_EUlSW_E_NS1_11comp_targetILNS1_3genE5ELNS1_11target_archE942ELNS1_3gpuE9ELNS1_3repE0EEENS1_30default_config_static_selectorELNS0_4arch9wavefront6targetE1EEEvT1_.kd
    .uniform_work_group_size: 1
    .uses_dynamic_stack: false
    .vgpr_count:     0
    .vgpr_spill_count: 0
    .wavefront_size: 64
  - .agpr_count:     0
    .args:
      - .offset:         0
        .size:           112
        .value_kind:     by_value
    .group_segment_fixed_size: 16384
    .kernarg_segment_align: 8
    .kernarg_segment_size: 112
    .language:       OpenCL C
    .language_version:
      - 2
      - 0
    .max_flat_workgroup_size: 256
    .name:           _ZN7rocprim17ROCPRIM_400000_NS6detail17trampoline_kernelINS0_14default_configENS1_27scan_by_key_config_selectorIiiEEZZNS1_16scan_by_key_implILNS1_25lookback_scan_determinismE0ELb1ES3_N6thrust23THRUST_200600_302600_NS6detail15normal_iteratorINS9_10device_ptrIiEEEENSB_INSC_IjEEEESE_iNS9_4plusIvEENS9_8equal_toIvEEiEE10hipError_tPvRmT2_T3_T4_T5_mT6_T7_P12ihipStream_tbENKUlT_T0_E_clISt17integral_constantIbLb0EES11_EEDaSW_SX_EUlSW_E_NS1_11comp_targetILNS1_3genE4ELNS1_11target_archE910ELNS1_3gpuE8ELNS1_3repE0EEENS1_30default_config_static_selectorELNS0_4arch9wavefront6targetE1EEEvT1_
    .private_segment_fixed_size: 0
    .sgpr_count:     64
    .sgpr_spill_count: 0
    .symbol:         _ZN7rocprim17ROCPRIM_400000_NS6detail17trampoline_kernelINS0_14default_configENS1_27scan_by_key_config_selectorIiiEEZZNS1_16scan_by_key_implILNS1_25lookback_scan_determinismE0ELb1ES3_N6thrust23THRUST_200600_302600_NS6detail15normal_iteratorINS9_10device_ptrIiEEEENSB_INSC_IjEEEESE_iNS9_4plusIvEENS9_8equal_toIvEEiEE10hipError_tPvRmT2_T3_T4_T5_mT6_T7_P12ihipStream_tbENKUlT_T0_E_clISt17integral_constantIbLb0EES11_EEDaSW_SX_EUlSW_E_NS1_11comp_targetILNS1_3genE4ELNS1_11target_archE910ELNS1_3gpuE8ELNS1_3repE0EEENS1_30default_config_static_selectorELNS0_4arch9wavefront6targetE1EEEvT1_.kd
    .uniform_work_group_size: 1
    .uses_dynamic_stack: false
    .vgpr_count:     65
    .vgpr_spill_count: 0
    .wavefront_size: 64
  - .agpr_count:     0
    .args:
      - .offset:         0
        .size:           112
        .value_kind:     by_value
    .group_segment_fixed_size: 0
    .kernarg_segment_align: 8
    .kernarg_segment_size: 112
    .language:       OpenCL C
    .language_version:
      - 2
      - 0
    .max_flat_workgroup_size: 256
    .name:           _ZN7rocprim17ROCPRIM_400000_NS6detail17trampoline_kernelINS0_14default_configENS1_27scan_by_key_config_selectorIiiEEZZNS1_16scan_by_key_implILNS1_25lookback_scan_determinismE0ELb1ES3_N6thrust23THRUST_200600_302600_NS6detail15normal_iteratorINS9_10device_ptrIiEEEENSB_INSC_IjEEEESE_iNS9_4plusIvEENS9_8equal_toIvEEiEE10hipError_tPvRmT2_T3_T4_T5_mT6_T7_P12ihipStream_tbENKUlT_T0_E_clISt17integral_constantIbLb0EES11_EEDaSW_SX_EUlSW_E_NS1_11comp_targetILNS1_3genE3ELNS1_11target_archE908ELNS1_3gpuE7ELNS1_3repE0EEENS1_30default_config_static_selectorELNS0_4arch9wavefront6targetE1EEEvT1_
    .private_segment_fixed_size: 0
    .sgpr_count:     4
    .sgpr_spill_count: 0
    .symbol:         _ZN7rocprim17ROCPRIM_400000_NS6detail17trampoline_kernelINS0_14default_configENS1_27scan_by_key_config_selectorIiiEEZZNS1_16scan_by_key_implILNS1_25lookback_scan_determinismE0ELb1ES3_N6thrust23THRUST_200600_302600_NS6detail15normal_iteratorINS9_10device_ptrIiEEEENSB_INSC_IjEEEESE_iNS9_4plusIvEENS9_8equal_toIvEEiEE10hipError_tPvRmT2_T3_T4_T5_mT6_T7_P12ihipStream_tbENKUlT_T0_E_clISt17integral_constantIbLb0EES11_EEDaSW_SX_EUlSW_E_NS1_11comp_targetILNS1_3genE3ELNS1_11target_archE908ELNS1_3gpuE7ELNS1_3repE0EEENS1_30default_config_static_selectorELNS0_4arch9wavefront6targetE1EEEvT1_.kd
    .uniform_work_group_size: 1
    .uses_dynamic_stack: false
    .vgpr_count:     0
    .vgpr_spill_count: 0
    .wavefront_size: 64
  - .agpr_count:     0
    .args:
      - .offset:         0
        .size:           112
        .value_kind:     by_value
    .group_segment_fixed_size: 0
    .kernarg_segment_align: 8
    .kernarg_segment_size: 112
    .language:       OpenCL C
    .language_version:
      - 2
      - 0
    .max_flat_workgroup_size: 256
    .name:           _ZN7rocprim17ROCPRIM_400000_NS6detail17trampoline_kernelINS0_14default_configENS1_27scan_by_key_config_selectorIiiEEZZNS1_16scan_by_key_implILNS1_25lookback_scan_determinismE0ELb1ES3_N6thrust23THRUST_200600_302600_NS6detail15normal_iteratorINS9_10device_ptrIiEEEENSB_INSC_IjEEEESE_iNS9_4plusIvEENS9_8equal_toIvEEiEE10hipError_tPvRmT2_T3_T4_T5_mT6_T7_P12ihipStream_tbENKUlT_T0_E_clISt17integral_constantIbLb0EES11_EEDaSW_SX_EUlSW_E_NS1_11comp_targetILNS1_3genE2ELNS1_11target_archE906ELNS1_3gpuE6ELNS1_3repE0EEENS1_30default_config_static_selectorELNS0_4arch9wavefront6targetE1EEEvT1_
    .private_segment_fixed_size: 0
    .sgpr_count:     4
    .sgpr_spill_count: 0
    .symbol:         _ZN7rocprim17ROCPRIM_400000_NS6detail17trampoline_kernelINS0_14default_configENS1_27scan_by_key_config_selectorIiiEEZZNS1_16scan_by_key_implILNS1_25lookback_scan_determinismE0ELb1ES3_N6thrust23THRUST_200600_302600_NS6detail15normal_iteratorINS9_10device_ptrIiEEEENSB_INSC_IjEEEESE_iNS9_4plusIvEENS9_8equal_toIvEEiEE10hipError_tPvRmT2_T3_T4_T5_mT6_T7_P12ihipStream_tbENKUlT_T0_E_clISt17integral_constantIbLb0EES11_EEDaSW_SX_EUlSW_E_NS1_11comp_targetILNS1_3genE2ELNS1_11target_archE906ELNS1_3gpuE6ELNS1_3repE0EEENS1_30default_config_static_selectorELNS0_4arch9wavefront6targetE1EEEvT1_.kd
    .uniform_work_group_size: 1
    .uses_dynamic_stack: false
    .vgpr_count:     0
    .vgpr_spill_count: 0
    .wavefront_size: 64
  - .agpr_count:     0
    .args:
      - .offset:         0
        .size:           112
        .value_kind:     by_value
    .group_segment_fixed_size: 0
    .kernarg_segment_align: 8
    .kernarg_segment_size: 112
    .language:       OpenCL C
    .language_version:
      - 2
      - 0
    .max_flat_workgroup_size: 256
    .name:           _ZN7rocprim17ROCPRIM_400000_NS6detail17trampoline_kernelINS0_14default_configENS1_27scan_by_key_config_selectorIiiEEZZNS1_16scan_by_key_implILNS1_25lookback_scan_determinismE0ELb1ES3_N6thrust23THRUST_200600_302600_NS6detail15normal_iteratorINS9_10device_ptrIiEEEENSB_INSC_IjEEEESE_iNS9_4plusIvEENS9_8equal_toIvEEiEE10hipError_tPvRmT2_T3_T4_T5_mT6_T7_P12ihipStream_tbENKUlT_T0_E_clISt17integral_constantIbLb0EES11_EEDaSW_SX_EUlSW_E_NS1_11comp_targetILNS1_3genE10ELNS1_11target_archE1200ELNS1_3gpuE4ELNS1_3repE0EEENS1_30default_config_static_selectorELNS0_4arch9wavefront6targetE1EEEvT1_
    .private_segment_fixed_size: 0
    .sgpr_count:     4
    .sgpr_spill_count: 0
    .symbol:         _ZN7rocprim17ROCPRIM_400000_NS6detail17trampoline_kernelINS0_14default_configENS1_27scan_by_key_config_selectorIiiEEZZNS1_16scan_by_key_implILNS1_25lookback_scan_determinismE0ELb1ES3_N6thrust23THRUST_200600_302600_NS6detail15normal_iteratorINS9_10device_ptrIiEEEENSB_INSC_IjEEEESE_iNS9_4plusIvEENS9_8equal_toIvEEiEE10hipError_tPvRmT2_T3_T4_T5_mT6_T7_P12ihipStream_tbENKUlT_T0_E_clISt17integral_constantIbLb0EES11_EEDaSW_SX_EUlSW_E_NS1_11comp_targetILNS1_3genE10ELNS1_11target_archE1200ELNS1_3gpuE4ELNS1_3repE0EEENS1_30default_config_static_selectorELNS0_4arch9wavefront6targetE1EEEvT1_.kd
    .uniform_work_group_size: 1
    .uses_dynamic_stack: false
    .vgpr_count:     0
    .vgpr_spill_count: 0
    .wavefront_size: 64
  - .agpr_count:     0
    .args:
      - .offset:         0
        .size:           112
        .value_kind:     by_value
    .group_segment_fixed_size: 0
    .kernarg_segment_align: 8
    .kernarg_segment_size: 112
    .language:       OpenCL C
    .language_version:
      - 2
      - 0
    .max_flat_workgroup_size: 256
    .name:           _ZN7rocprim17ROCPRIM_400000_NS6detail17trampoline_kernelINS0_14default_configENS1_27scan_by_key_config_selectorIiiEEZZNS1_16scan_by_key_implILNS1_25lookback_scan_determinismE0ELb1ES3_N6thrust23THRUST_200600_302600_NS6detail15normal_iteratorINS9_10device_ptrIiEEEENSB_INSC_IjEEEESE_iNS9_4plusIvEENS9_8equal_toIvEEiEE10hipError_tPvRmT2_T3_T4_T5_mT6_T7_P12ihipStream_tbENKUlT_T0_E_clISt17integral_constantIbLb0EES11_EEDaSW_SX_EUlSW_E_NS1_11comp_targetILNS1_3genE9ELNS1_11target_archE1100ELNS1_3gpuE3ELNS1_3repE0EEENS1_30default_config_static_selectorELNS0_4arch9wavefront6targetE1EEEvT1_
    .private_segment_fixed_size: 0
    .sgpr_count:     4
    .sgpr_spill_count: 0
    .symbol:         _ZN7rocprim17ROCPRIM_400000_NS6detail17trampoline_kernelINS0_14default_configENS1_27scan_by_key_config_selectorIiiEEZZNS1_16scan_by_key_implILNS1_25lookback_scan_determinismE0ELb1ES3_N6thrust23THRUST_200600_302600_NS6detail15normal_iteratorINS9_10device_ptrIiEEEENSB_INSC_IjEEEESE_iNS9_4plusIvEENS9_8equal_toIvEEiEE10hipError_tPvRmT2_T3_T4_T5_mT6_T7_P12ihipStream_tbENKUlT_T0_E_clISt17integral_constantIbLb0EES11_EEDaSW_SX_EUlSW_E_NS1_11comp_targetILNS1_3genE9ELNS1_11target_archE1100ELNS1_3gpuE3ELNS1_3repE0EEENS1_30default_config_static_selectorELNS0_4arch9wavefront6targetE1EEEvT1_.kd
    .uniform_work_group_size: 1
    .uses_dynamic_stack: false
    .vgpr_count:     0
    .vgpr_spill_count: 0
    .wavefront_size: 64
  - .agpr_count:     0
    .args:
      - .offset:         0
        .size:           112
        .value_kind:     by_value
    .group_segment_fixed_size: 0
    .kernarg_segment_align: 8
    .kernarg_segment_size: 112
    .language:       OpenCL C
    .language_version:
      - 2
      - 0
    .max_flat_workgroup_size: 256
    .name:           _ZN7rocprim17ROCPRIM_400000_NS6detail17trampoline_kernelINS0_14default_configENS1_27scan_by_key_config_selectorIiiEEZZNS1_16scan_by_key_implILNS1_25lookback_scan_determinismE0ELb1ES3_N6thrust23THRUST_200600_302600_NS6detail15normal_iteratorINS9_10device_ptrIiEEEENSB_INSC_IjEEEESE_iNS9_4plusIvEENS9_8equal_toIvEEiEE10hipError_tPvRmT2_T3_T4_T5_mT6_T7_P12ihipStream_tbENKUlT_T0_E_clISt17integral_constantIbLb0EES11_EEDaSW_SX_EUlSW_E_NS1_11comp_targetILNS1_3genE8ELNS1_11target_archE1030ELNS1_3gpuE2ELNS1_3repE0EEENS1_30default_config_static_selectorELNS0_4arch9wavefront6targetE1EEEvT1_
    .private_segment_fixed_size: 0
    .sgpr_count:     4
    .sgpr_spill_count: 0
    .symbol:         _ZN7rocprim17ROCPRIM_400000_NS6detail17trampoline_kernelINS0_14default_configENS1_27scan_by_key_config_selectorIiiEEZZNS1_16scan_by_key_implILNS1_25lookback_scan_determinismE0ELb1ES3_N6thrust23THRUST_200600_302600_NS6detail15normal_iteratorINS9_10device_ptrIiEEEENSB_INSC_IjEEEESE_iNS9_4plusIvEENS9_8equal_toIvEEiEE10hipError_tPvRmT2_T3_T4_T5_mT6_T7_P12ihipStream_tbENKUlT_T0_E_clISt17integral_constantIbLb0EES11_EEDaSW_SX_EUlSW_E_NS1_11comp_targetILNS1_3genE8ELNS1_11target_archE1030ELNS1_3gpuE2ELNS1_3repE0EEENS1_30default_config_static_selectorELNS0_4arch9wavefront6targetE1EEEvT1_.kd
    .uniform_work_group_size: 1
    .uses_dynamic_stack: false
    .vgpr_count:     0
    .vgpr_spill_count: 0
    .wavefront_size: 64
  - .agpr_count:     0
    .args:
      - .offset:         0
        .size:           112
        .value_kind:     by_value
    .group_segment_fixed_size: 0
    .kernarg_segment_align: 8
    .kernarg_segment_size: 112
    .language:       OpenCL C
    .language_version:
      - 2
      - 0
    .max_flat_workgroup_size: 256
    .name:           _ZN7rocprim17ROCPRIM_400000_NS6detail17trampoline_kernelINS0_14default_configENS1_27scan_by_key_config_selectorIiiEEZZNS1_16scan_by_key_implILNS1_25lookback_scan_determinismE0ELb1ES3_N6thrust23THRUST_200600_302600_NS6detail15normal_iteratorINS9_10device_ptrIiEEEENSB_INSC_IjEEEESE_iNS9_4plusIvEENS9_8equal_toIvEEiEE10hipError_tPvRmT2_T3_T4_T5_mT6_T7_P12ihipStream_tbENKUlT_T0_E_clISt17integral_constantIbLb1EES11_EEDaSW_SX_EUlSW_E_NS1_11comp_targetILNS1_3genE0ELNS1_11target_archE4294967295ELNS1_3gpuE0ELNS1_3repE0EEENS1_30default_config_static_selectorELNS0_4arch9wavefront6targetE1EEEvT1_
    .private_segment_fixed_size: 0
    .sgpr_count:     4
    .sgpr_spill_count: 0
    .symbol:         _ZN7rocprim17ROCPRIM_400000_NS6detail17trampoline_kernelINS0_14default_configENS1_27scan_by_key_config_selectorIiiEEZZNS1_16scan_by_key_implILNS1_25lookback_scan_determinismE0ELb1ES3_N6thrust23THRUST_200600_302600_NS6detail15normal_iteratorINS9_10device_ptrIiEEEENSB_INSC_IjEEEESE_iNS9_4plusIvEENS9_8equal_toIvEEiEE10hipError_tPvRmT2_T3_T4_T5_mT6_T7_P12ihipStream_tbENKUlT_T0_E_clISt17integral_constantIbLb1EES11_EEDaSW_SX_EUlSW_E_NS1_11comp_targetILNS1_3genE0ELNS1_11target_archE4294967295ELNS1_3gpuE0ELNS1_3repE0EEENS1_30default_config_static_selectorELNS0_4arch9wavefront6targetE1EEEvT1_.kd
    .uniform_work_group_size: 1
    .uses_dynamic_stack: false
    .vgpr_count:     0
    .vgpr_spill_count: 0
    .wavefront_size: 64
  - .agpr_count:     0
    .args:
      - .offset:         0
        .size:           112
        .value_kind:     by_value
    .group_segment_fixed_size: 0
    .kernarg_segment_align: 8
    .kernarg_segment_size: 112
    .language:       OpenCL C
    .language_version:
      - 2
      - 0
    .max_flat_workgroup_size: 256
    .name:           _ZN7rocprim17ROCPRIM_400000_NS6detail17trampoline_kernelINS0_14default_configENS1_27scan_by_key_config_selectorIiiEEZZNS1_16scan_by_key_implILNS1_25lookback_scan_determinismE0ELb1ES3_N6thrust23THRUST_200600_302600_NS6detail15normal_iteratorINS9_10device_ptrIiEEEENSB_INSC_IjEEEESE_iNS9_4plusIvEENS9_8equal_toIvEEiEE10hipError_tPvRmT2_T3_T4_T5_mT6_T7_P12ihipStream_tbENKUlT_T0_E_clISt17integral_constantIbLb1EES11_EEDaSW_SX_EUlSW_E_NS1_11comp_targetILNS1_3genE10ELNS1_11target_archE1201ELNS1_3gpuE5ELNS1_3repE0EEENS1_30default_config_static_selectorELNS0_4arch9wavefront6targetE1EEEvT1_
    .private_segment_fixed_size: 0
    .sgpr_count:     4
    .sgpr_spill_count: 0
    .symbol:         _ZN7rocprim17ROCPRIM_400000_NS6detail17trampoline_kernelINS0_14default_configENS1_27scan_by_key_config_selectorIiiEEZZNS1_16scan_by_key_implILNS1_25lookback_scan_determinismE0ELb1ES3_N6thrust23THRUST_200600_302600_NS6detail15normal_iteratorINS9_10device_ptrIiEEEENSB_INSC_IjEEEESE_iNS9_4plusIvEENS9_8equal_toIvEEiEE10hipError_tPvRmT2_T3_T4_T5_mT6_T7_P12ihipStream_tbENKUlT_T0_E_clISt17integral_constantIbLb1EES11_EEDaSW_SX_EUlSW_E_NS1_11comp_targetILNS1_3genE10ELNS1_11target_archE1201ELNS1_3gpuE5ELNS1_3repE0EEENS1_30default_config_static_selectorELNS0_4arch9wavefront6targetE1EEEvT1_.kd
    .uniform_work_group_size: 1
    .uses_dynamic_stack: false
    .vgpr_count:     0
    .vgpr_spill_count: 0
    .wavefront_size: 64
  - .agpr_count:     0
    .args:
      - .offset:         0
        .size:           112
        .value_kind:     by_value
    .group_segment_fixed_size: 0
    .kernarg_segment_align: 8
    .kernarg_segment_size: 112
    .language:       OpenCL C
    .language_version:
      - 2
      - 0
    .max_flat_workgroup_size: 256
    .name:           _ZN7rocprim17ROCPRIM_400000_NS6detail17trampoline_kernelINS0_14default_configENS1_27scan_by_key_config_selectorIiiEEZZNS1_16scan_by_key_implILNS1_25lookback_scan_determinismE0ELb1ES3_N6thrust23THRUST_200600_302600_NS6detail15normal_iteratorINS9_10device_ptrIiEEEENSB_INSC_IjEEEESE_iNS9_4plusIvEENS9_8equal_toIvEEiEE10hipError_tPvRmT2_T3_T4_T5_mT6_T7_P12ihipStream_tbENKUlT_T0_E_clISt17integral_constantIbLb1EES11_EEDaSW_SX_EUlSW_E_NS1_11comp_targetILNS1_3genE5ELNS1_11target_archE942ELNS1_3gpuE9ELNS1_3repE0EEENS1_30default_config_static_selectorELNS0_4arch9wavefront6targetE1EEEvT1_
    .private_segment_fixed_size: 0
    .sgpr_count:     4
    .sgpr_spill_count: 0
    .symbol:         _ZN7rocprim17ROCPRIM_400000_NS6detail17trampoline_kernelINS0_14default_configENS1_27scan_by_key_config_selectorIiiEEZZNS1_16scan_by_key_implILNS1_25lookback_scan_determinismE0ELb1ES3_N6thrust23THRUST_200600_302600_NS6detail15normal_iteratorINS9_10device_ptrIiEEEENSB_INSC_IjEEEESE_iNS9_4plusIvEENS9_8equal_toIvEEiEE10hipError_tPvRmT2_T3_T4_T5_mT6_T7_P12ihipStream_tbENKUlT_T0_E_clISt17integral_constantIbLb1EES11_EEDaSW_SX_EUlSW_E_NS1_11comp_targetILNS1_3genE5ELNS1_11target_archE942ELNS1_3gpuE9ELNS1_3repE0EEENS1_30default_config_static_selectorELNS0_4arch9wavefront6targetE1EEEvT1_.kd
    .uniform_work_group_size: 1
    .uses_dynamic_stack: false
    .vgpr_count:     0
    .vgpr_spill_count: 0
    .wavefront_size: 64
  - .agpr_count:     0
    .args:
      - .offset:         0
        .size:           112
        .value_kind:     by_value
    .group_segment_fixed_size: 16384
    .kernarg_segment_align: 8
    .kernarg_segment_size: 112
    .language:       OpenCL C
    .language_version:
      - 2
      - 0
    .max_flat_workgroup_size: 256
    .name:           _ZN7rocprim17ROCPRIM_400000_NS6detail17trampoline_kernelINS0_14default_configENS1_27scan_by_key_config_selectorIiiEEZZNS1_16scan_by_key_implILNS1_25lookback_scan_determinismE0ELb1ES3_N6thrust23THRUST_200600_302600_NS6detail15normal_iteratorINS9_10device_ptrIiEEEENSB_INSC_IjEEEESE_iNS9_4plusIvEENS9_8equal_toIvEEiEE10hipError_tPvRmT2_T3_T4_T5_mT6_T7_P12ihipStream_tbENKUlT_T0_E_clISt17integral_constantIbLb1EES11_EEDaSW_SX_EUlSW_E_NS1_11comp_targetILNS1_3genE4ELNS1_11target_archE910ELNS1_3gpuE8ELNS1_3repE0EEENS1_30default_config_static_selectorELNS0_4arch9wavefront6targetE1EEEvT1_
    .private_segment_fixed_size: 0
    .sgpr_count:     64
    .sgpr_spill_count: 0
    .symbol:         _ZN7rocprim17ROCPRIM_400000_NS6detail17trampoline_kernelINS0_14default_configENS1_27scan_by_key_config_selectorIiiEEZZNS1_16scan_by_key_implILNS1_25lookback_scan_determinismE0ELb1ES3_N6thrust23THRUST_200600_302600_NS6detail15normal_iteratorINS9_10device_ptrIiEEEENSB_INSC_IjEEEESE_iNS9_4plusIvEENS9_8equal_toIvEEiEE10hipError_tPvRmT2_T3_T4_T5_mT6_T7_P12ihipStream_tbENKUlT_T0_E_clISt17integral_constantIbLb1EES11_EEDaSW_SX_EUlSW_E_NS1_11comp_targetILNS1_3genE4ELNS1_11target_archE910ELNS1_3gpuE8ELNS1_3repE0EEENS1_30default_config_static_selectorELNS0_4arch9wavefront6targetE1EEEvT1_.kd
    .uniform_work_group_size: 1
    .uses_dynamic_stack: false
    .vgpr_count:     67
    .vgpr_spill_count: 0
    .wavefront_size: 64
  - .agpr_count:     0
    .args:
      - .offset:         0
        .size:           112
        .value_kind:     by_value
    .group_segment_fixed_size: 0
    .kernarg_segment_align: 8
    .kernarg_segment_size: 112
    .language:       OpenCL C
    .language_version:
      - 2
      - 0
    .max_flat_workgroup_size: 256
    .name:           _ZN7rocprim17ROCPRIM_400000_NS6detail17trampoline_kernelINS0_14default_configENS1_27scan_by_key_config_selectorIiiEEZZNS1_16scan_by_key_implILNS1_25lookback_scan_determinismE0ELb1ES3_N6thrust23THRUST_200600_302600_NS6detail15normal_iteratorINS9_10device_ptrIiEEEENSB_INSC_IjEEEESE_iNS9_4plusIvEENS9_8equal_toIvEEiEE10hipError_tPvRmT2_T3_T4_T5_mT6_T7_P12ihipStream_tbENKUlT_T0_E_clISt17integral_constantIbLb1EES11_EEDaSW_SX_EUlSW_E_NS1_11comp_targetILNS1_3genE3ELNS1_11target_archE908ELNS1_3gpuE7ELNS1_3repE0EEENS1_30default_config_static_selectorELNS0_4arch9wavefront6targetE1EEEvT1_
    .private_segment_fixed_size: 0
    .sgpr_count:     4
    .sgpr_spill_count: 0
    .symbol:         _ZN7rocprim17ROCPRIM_400000_NS6detail17trampoline_kernelINS0_14default_configENS1_27scan_by_key_config_selectorIiiEEZZNS1_16scan_by_key_implILNS1_25lookback_scan_determinismE0ELb1ES3_N6thrust23THRUST_200600_302600_NS6detail15normal_iteratorINS9_10device_ptrIiEEEENSB_INSC_IjEEEESE_iNS9_4plusIvEENS9_8equal_toIvEEiEE10hipError_tPvRmT2_T3_T4_T5_mT6_T7_P12ihipStream_tbENKUlT_T0_E_clISt17integral_constantIbLb1EES11_EEDaSW_SX_EUlSW_E_NS1_11comp_targetILNS1_3genE3ELNS1_11target_archE908ELNS1_3gpuE7ELNS1_3repE0EEENS1_30default_config_static_selectorELNS0_4arch9wavefront6targetE1EEEvT1_.kd
    .uniform_work_group_size: 1
    .uses_dynamic_stack: false
    .vgpr_count:     0
    .vgpr_spill_count: 0
    .wavefront_size: 64
  - .agpr_count:     0
    .args:
      - .offset:         0
        .size:           112
        .value_kind:     by_value
    .group_segment_fixed_size: 0
    .kernarg_segment_align: 8
    .kernarg_segment_size: 112
    .language:       OpenCL C
    .language_version:
      - 2
      - 0
    .max_flat_workgroup_size: 256
    .name:           _ZN7rocprim17ROCPRIM_400000_NS6detail17trampoline_kernelINS0_14default_configENS1_27scan_by_key_config_selectorIiiEEZZNS1_16scan_by_key_implILNS1_25lookback_scan_determinismE0ELb1ES3_N6thrust23THRUST_200600_302600_NS6detail15normal_iteratorINS9_10device_ptrIiEEEENSB_INSC_IjEEEESE_iNS9_4plusIvEENS9_8equal_toIvEEiEE10hipError_tPvRmT2_T3_T4_T5_mT6_T7_P12ihipStream_tbENKUlT_T0_E_clISt17integral_constantIbLb1EES11_EEDaSW_SX_EUlSW_E_NS1_11comp_targetILNS1_3genE2ELNS1_11target_archE906ELNS1_3gpuE6ELNS1_3repE0EEENS1_30default_config_static_selectorELNS0_4arch9wavefront6targetE1EEEvT1_
    .private_segment_fixed_size: 0
    .sgpr_count:     4
    .sgpr_spill_count: 0
    .symbol:         _ZN7rocprim17ROCPRIM_400000_NS6detail17trampoline_kernelINS0_14default_configENS1_27scan_by_key_config_selectorIiiEEZZNS1_16scan_by_key_implILNS1_25lookback_scan_determinismE0ELb1ES3_N6thrust23THRUST_200600_302600_NS6detail15normal_iteratorINS9_10device_ptrIiEEEENSB_INSC_IjEEEESE_iNS9_4plusIvEENS9_8equal_toIvEEiEE10hipError_tPvRmT2_T3_T4_T5_mT6_T7_P12ihipStream_tbENKUlT_T0_E_clISt17integral_constantIbLb1EES11_EEDaSW_SX_EUlSW_E_NS1_11comp_targetILNS1_3genE2ELNS1_11target_archE906ELNS1_3gpuE6ELNS1_3repE0EEENS1_30default_config_static_selectorELNS0_4arch9wavefront6targetE1EEEvT1_.kd
    .uniform_work_group_size: 1
    .uses_dynamic_stack: false
    .vgpr_count:     0
    .vgpr_spill_count: 0
    .wavefront_size: 64
  - .agpr_count:     0
    .args:
      - .offset:         0
        .size:           112
        .value_kind:     by_value
    .group_segment_fixed_size: 0
    .kernarg_segment_align: 8
    .kernarg_segment_size: 112
    .language:       OpenCL C
    .language_version:
      - 2
      - 0
    .max_flat_workgroup_size: 256
    .name:           _ZN7rocprim17ROCPRIM_400000_NS6detail17trampoline_kernelINS0_14default_configENS1_27scan_by_key_config_selectorIiiEEZZNS1_16scan_by_key_implILNS1_25lookback_scan_determinismE0ELb1ES3_N6thrust23THRUST_200600_302600_NS6detail15normal_iteratorINS9_10device_ptrIiEEEENSB_INSC_IjEEEESE_iNS9_4plusIvEENS9_8equal_toIvEEiEE10hipError_tPvRmT2_T3_T4_T5_mT6_T7_P12ihipStream_tbENKUlT_T0_E_clISt17integral_constantIbLb1EES11_EEDaSW_SX_EUlSW_E_NS1_11comp_targetILNS1_3genE10ELNS1_11target_archE1200ELNS1_3gpuE4ELNS1_3repE0EEENS1_30default_config_static_selectorELNS0_4arch9wavefront6targetE1EEEvT1_
    .private_segment_fixed_size: 0
    .sgpr_count:     4
    .sgpr_spill_count: 0
    .symbol:         _ZN7rocprim17ROCPRIM_400000_NS6detail17trampoline_kernelINS0_14default_configENS1_27scan_by_key_config_selectorIiiEEZZNS1_16scan_by_key_implILNS1_25lookback_scan_determinismE0ELb1ES3_N6thrust23THRUST_200600_302600_NS6detail15normal_iteratorINS9_10device_ptrIiEEEENSB_INSC_IjEEEESE_iNS9_4plusIvEENS9_8equal_toIvEEiEE10hipError_tPvRmT2_T3_T4_T5_mT6_T7_P12ihipStream_tbENKUlT_T0_E_clISt17integral_constantIbLb1EES11_EEDaSW_SX_EUlSW_E_NS1_11comp_targetILNS1_3genE10ELNS1_11target_archE1200ELNS1_3gpuE4ELNS1_3repE0EEENS1_30default_config_static_selectorELNS0_4arch9wavefront6targetE1EEEvT1_.kd
    .uniform_work_group_size: 1
    .uses_dynamic_stack: false
    .vgpr_count:     0
    .vgpr_spill_count: 0
    .wavefront_size: 64
  - .agpr_count:     0
    .args:
      - .offset:         0
        .size:           112
        .value_kind:     by_value
    .group_segment_fixed_size: 0
    .kernarg_segment_align: 8
    .kernarg_segment_size: 112
    .language:       OpenCL C
    .language_version:
      - 2
      - 0
    .max_flat_workgroup_size: 256
    .name:           _ZN7rocprim17ROCPRIM_400000_NS6detail17trampoline_kernelINS0_14default_configENS1_27scan_by_key_config_selectorIiiEEZZNS1_16scan_by_key_implILNS1_25lookback_scan_determinismE0ELb1ES3_N6thrust23THRUST_200600_302600_NS6detail15normal_iteratorINS9_10device_ptrIiEEEENSB_INSC_IjEEEESE_iNS9_4plusIvEENS9_8equal_toIvEEiEE10hipError_tPvRmT2_T3_T4_T5_mT6_T7_P12ihipStream_tbENKUlT_T0_E_clISt17integral_constantIbLb1EES11_EEDaSW_SX_EUlSW_E_NS1_11comp_targetILNS1_3genE9ELNS1_11target_archE1100ELNS1_3gpuE3ELNS1_3repE0EEENS1_30default_config_static_selectorELNS0_4arch9wavefront6targetE1EEEvT1_
    .private_segment_fixed_size: 0
    .sgpr_count:     4
    .sgpr_spill_count: 0
    .symbol:         _ZN7rocprim17ROCPRIM_400000_NS6detail17trampoline_kernelINS0_14default_configENS1_27scan_by_key_config_selectorIiiEEZZNS1_16scan_by_key_implILNS1_25lookback_scan_determinismE0ELb1ES3_N6thrust23THRUST_200600_302600_NS6detail15normal_iteratorINS9_10device_ptrIiEEEENSB_INSC_IjEEEESE_iNS9_4plusIvEENS9_8equal_toIvEEiEE10hipError_tPvRmT2_T3_T4_T5_mT6_T7_P12ihipStream_tbENKUlT_T0_E_clISt17integral_constantIbLb1EES11_EEDaSW_SX_EUlSW_E_NS1_11comp_targetILNS1_3genE9ELNS1_11target_archE1100ELNS1_3gpuE3ELNS1_3repE0EEENS1_30default_config_static_selectorELNS0_4arch9wavefront6targetE1EEEvT1_.kd
    .uniform_work_group_size: 1
    .uses_dynamic_stack: false
    .vgpr_count:     0
    .vgpr_spill_count: 0
    .wavefront_size: 64
  - .agpr_count:     0
    .args:
      - .offset:         0
        .size:           112
        .value_kind:     by_value
    .group_segment_fixed_size: 0
    .kernarg_segment_align: 8
    .kernarg_segment_size: 112
    .language:       OpenCL C
    .language_version:
      - 2
      - 0
    .max_flat_workgroup_size: 256
    .name:           _ZN7rocprim17ROCPRIM_400000_NS6detail17trampoline_kernelINS0_14default_configENS1_27scan_by_key_config_selectorIiiEEZZNS1_16scan_by_key_implILNS1_25lookback_scan_determinismE0ELb1ES3_N6thrust23THRUST_200600_302600_NS6detail15normal_iteratorINS9_10device_ptrIiEEEENSB_INSC_IjEEEESE_iNS9_4plusIvEENS9_8equal_toIvEEiEE10hipError_tPvRmT2_T3_T4_T5_mT6_T7_P12ihipStream_tbENKUlT_T0_E_clISt17integral_constantIbLb1EES11_EEDaSW_SX_EUlSW_E_NS1_11comp_targetILNS1_3genE8ELNS1_11target_archE1030ELNS1_3gpuE2ELNS1_3repE0EEENS1_30default_config_static_selectorELNS0_4arch9wavefront6targetE1EEEvT1_
    .private_segment_fixed_size: 0
    .sgpr_count:     4
    .sgpr_spill_count: 0
    .symbol:         _ZN7rocprim17ROCPRIM_400000_NS6detail17trampoline_kernelINS0_14default_configENS1_27scan_by_key_config_selectorIiiEEZZNS1_16scan_by_key_implILNS1_25lookback_scan_determinismE0ELb1ES3_N6thrust23THRUST_200600_302600_NS6detail15normal_iteratorINS9_10device_ptrIiEEEENSB_INSC_IjEEEESE_iNS9_4plusIvEENS9_8equal_toIvEEiEE10hipError_tPvRmT2_T3_T4_T5_mT6_T7_P12ihipStream_tbENKUlT_T0_E_clISt17integral_constantIbLb1EES11_EEDaSW_SX_EUlSW_E_NS1_11comp_targetILNS1_3genE8ELNS1_11target_archE1030ELNS1_3gpuE2ELNS1_3repE0EEENS1_30default_config_static_selectorELNS0_4arch9wavefront6targetE1EEEvT1_.kd
    .uniform_work_group_size: 1
    .uses_dynamic_stack: false
    .vgpr_count:     0
    .vgpr_spill_count: 0
    .wavefront_size: 64
  - .agpr_count:     0
    .args:
      - .offset:         0
        .size:           112
        .value_kind:     by_value
    .group_segment_fixed_size: 0
    .kernarg_segment_align: 8
    .kernarg_segment_size: 112
    .language:       OpenCL C
    .language_version:
      - 2
      - 0
    .max_flat_workgroup_size: 256
    .name:           _ZN7rocprim17ROCPRIM_400000_NS6detail17trampoline_kernelINS0_14default_configENS1_27scan_by_key_config_selectorIiiEEZZNS1_16scan_by_key_implILNS1_25lookback_scan_determinismE0ELb1ES3_N6thrust23THRUST_200600_302600_NS6detail15normal_iteratorINS9_10device_ptrIiEEEENSB_INSC_IjEEEESE_iNS9_4plusIvEENS9_8equal_toIvEEiEE10hipError_tPvRmT2_T3_T4_T5_mT6_T7_P12ihipStream_tbENKUlT_T0_E_clISt17integral_constantIbLb1EES10_IbLb0EEEEDaSW_SX_EUlSW_E_NS1_11comp_targetILNS1_3genE0ELNS1_11target_archE4294967295ELNS1_3gpuE0ELNS1_3repE0EEENS1_30default_config_static_selectorELNS0_4arch9wavefront6targetE1EEEvT1_
    .private_segment_fixed_size: 0
    .sgpr_count:     4
    .sgpr_spill_count: 0
    .symbol:         _ZN7rocprim17ROCPRIM_400000_NS6detail17trampoline_kernelINS0_14default_configENS1_27scan_by_key_config_selectorIiiEEZZNS1_16scan_by_key_implILNS1_25lookback_scan_determinismE0ELb1ES3_N6thrust23THRUST_200600_302600_NS6detail15normal_iteratorINS9_10device_ptrIiEEEENSB_INSC_IjEEEESE_iNS9_4plusIvEENS9_8equal_toIvEEiEE10hipError_tPvRmT2_T3_T4_T5_mT6_T7_P12ihipStream_tbENKUlT_T0_E_clISt17integral_constantIbLb1EES10_IbLb0EEEEDaSW_SX_EUlSW_E_NS1_11comp_targetILNS1_3genE0ELNS1_11target_archE4294967295ELNS1_3gpuE0ELNS1_3repE0EEENS1_30default_config_static_selectorELNS0_4arch9wavefront6targetE1EEEvT1_.kd
    .uniform_work_group_size: 1
    .uses_dynamic_stack: false
    .vgpr_count:     0
    .vgpr_spill_count: 0
    .wavefront_size: 64
  - .agpr_count:     0
    .args:
      - .offset:         0
        .size:           112
        .value_kind:     by_value
    .group_segment_fixed_size: 0
    .kernarg_segment_align: 8
    .kernarg_segment_size: 112
    .language:       OpenCL C
    .language_version:
      - 2
      - 0
    .max_flat_workgroup_size: 256
    .name:           _ZN7rocprim17ROCPRIM_400000_NS6detail17trampoline_kernelINS0_14default_configENS1_27scan_by_key_config_selectorIiiEEZZNS1_16scan_by_key_implILNS1_25lookback_scan_determinismE0ELb1ES3_N6thrust23THRUST_200600_302600_NS6detail15normal_iteratorINS9_10device_ptrIiEEEENSB_INSC_IjEEEESE_iNS9_4plusIvEENS9_8equal_toIvEEiEE10hipError_tPvRmT2_T3_T4_T5_mT6_T7_P12ihipStream_tbENKUlT_T0_E_clISt17integral_constantIbLb1EES10_IbLb0EEEEDaSW_SX_EUlSW_E_NS1_11comp_targetILNS1_3genE10ELNS1_11target_archE1201ELNS1_3gpuE5ELNS1_3repE0EEENS1_30default_config_static_selectorELNS0_4arch9wavefront6targetE1EEEvT1_
    .private_segment_fixed_size: 0
    .sgpr_count:     4
    .sgpr_spill_count: 0
    .symbol:         _ZN7rocprim17ROCPRIM_400000_NS6detail17trampoline_kernelINS0_14default_configENS1_27scan_by_key_config_selectorIiiEEZZNS1_16scan_by_key_implILNS1_25lookback_scan_determinismE0ELb1ES3_N6thrust23THRUST_200600_302600_NS6detail15normal_iteratorINS9_10device_ptrIiEEEENSB_INSC_IjEEEESE_iNS9_4plusIvEENS9_8equal_toIvEEiEE10hipError_tPvRmT2_T3_T4_T5_mT6_T7_P12ihipStream_tbENKUlT_T0_E_clISt17integral_constantIbLb1EES10_IbLb0EEEEDaSW_SX_EUlSW_E_NS1_11comp_targetILNS1_3genE10ELNS1_11target_archE1201ELNS1_3gpuE5ELNS1_3repE0EEENS1_30default_config_static_selectorELNS0_4arch9wavefront6targetE1EEEvT1_.kd
    .uniform_work_group_size: 1
    .uses_dynamic_stack: false
    .vgpr_count:     0
    .vgpr_spill_count: 0
    .wavefront_size: 64
  - .agpr_count:     0
    .args:
      - .offset:         0
        .size:           112
        .value_kind:     by_value
    .group_segment_fixed_size: 0
    .kernarg_segment_align: 8
    .kernarg_segment_size: 112
    .language:       OpenCL C
    .language_version:
      - 2
      - 0
    .max_flat_workgroup_size: 256
    .name:           _ZN7rocprim17ROCPRIM_400000_NS6detail17trampoline_kernelINS0_14default_configENS1_27scan_by_key_config_selectorIiiEEZZNS1_16scan_by_key_implILNS1_25lookback_scan_determinismE0ELb1ES3_N6thrust23THRUST_200600_302600_NS6detail15normal_iteratorINS9_10device_ptrIiEEEENSB_INSC_IjEEEESE_iNS9_4plusIvEENS9_8equal_toIvEEiEE10hipError_tPvRmT2_T3_T4_T5_mT6_T7_P12ihipStream_tbENKUlT_T0_E_clISt17integral_constantIbLb1EES10_IbLb0EEEEDaSW_SX_EUlSW_E_NS1_11comp_targetILNS1_3genE5ELNS1_11target_archE942ELNS1_3gpuE9ELNS1_3repE0EEENS1_30default_config_static_selectorELNS0_4arch9wavefront6targetE1EEEvT1_
    .private_segment_fixed_size: 0
    .sgpr_count:     4
    .sgpr_spill_count: 0
    .symbol:         _ZN7rocprim17ROCPRIM_400000_NS6detail17trampoline_kernelINS0_14default_configENS1_27scan_by_key_config_selectorIiiEEZZNS1_16scan_by_key_implILNS1_25lookback_scan_determinismE0ELb1ES3_N6thrust23THRUST_200600_302600_NS6detail15normal_iteratorINS9_10device_ptrIiEEEENSB_INSC_IjEEEESE_iNS9_4plusIvEENS9_8equal_toIvEEiEE10hipError_tPvRmT2_T3_T4_T5_mT6_T7_P12ihipStream_tbENKUlT_T0_E_clISt17integral_constantIbLb1EES10_IbLb0EEEEDaSW_SX_EUlSW_E_NS1_11comp_targetILNS1_3genE5ELNS1_11target_archE942ELNS1_3gpuE9ELNS1_3repE0EEENS1_30default_config_static_selectorELNS0_4arch9wavefront6targetE1EEEvT1_.kd
    .uniform_work_group_size: 1
    .uses_dynamic_stack: false
    .vgpr_count:     0
    .vgpr_spill_count: 0
    .wavefront_size: 64
  - .agpr_count:     0
    .args:
      - .offset:         0
        .size:           112
        .value_kind:     by_value
    .group_segment_fixed_size: 16384
    .kernarg_segment_align: 8
    .kernarg_segment_size: 112
    .language:       OpenCL C
    .language_version:
      - 2
      - 0
    .max_flat_workgroup_size: 256
    .name:           _ZN7rocprim17ROCPRIM_400000_NS6detail17trampoline_kernelINS0_14default_configENS1_27scan_by_key_config_selectorIiiEEZZNS1_16scan_by_key_implILNS1_25lookback_scan_determinismE0ELb1ES3_N6thrust23THRUST_200600_302600_NS6detail15normal_iteratorINS9_10device_ptrIiEEEENSB_INSC_IjEEEESE_iNS9_4plusIvEENS9_8equal_toIvEEiEE10hipError_tPvRmT2_T3_T4_T5_mT6_T7_P12ihipStream_tbENKUlT_T0_E_clISt17integral_constantIbLb1EES10_IbLb0EEEEDaSW_SX_EUlSW_E_NS1_11comp_targetILNS1_3genE4ELNS1_11target_archE910ELNS1_3gpuE8ELNS1_3repE0EEENS1_30default_config_static_selectorELNS0_4arch9wavefront6targetE1EEEvT1_
    .private_segment_fixed_size: 0
    .sgpr_count:     64
    .sgpr_spill_count: 0
    .symbol:         _ZN7rocprim17ROCPRIM_400000_NS6detail17trampoline_kernelINS0_14default_configENS1_27scan_by_key_config_selectorIiiEEZZNS1_16scan_by_key_implILNS1_25lookback_scan_determinismE0ELb1ES3_N6thrust23THRUST_200600_302600_NS6detail15normal_iteratorINS9_10device_ptrIiEEEENSB_INSC_IjEEEESE_iNS9_4plusIvEENS9_8equal_toIvEEiEE10hipError_tPvRmT2_T3_T4_T5_mT6_T7_P12ihipStream_tbENKUlT_T0_E_clISt17integral_constantIbLb1EES10_IbLb0EEEEDaSW_SX_EUlSW_E_NS1_11comp_targetILNS1_3genE4ELNS1_11target_archE910ELNS1_3gpuE8ELNS1_3repE0EEENS1_30default_config_static_selectorELNS0_4arch9wavefront6targetE1EEEvT1_.kd
    .uniform_work_group_size: 1
    .uses_dynamic_stack: false
    .vgpr_count:     65
    .vgpr_spill_count: 0
    .wavefront_size: 64
  - .agpr_count:     0
    .args:
      - .offset:         0
        .size:           112
        .value_kind:     by_value
    .group_segment_fixed_size: 0
    .kernarg_segment_align: 8
    .kernarg_segment_size: 112
    .language:       OpenCL C
    .language_version:
      - 2
      - 0
    .max_flat_workgroup_size: 256
    .name:           _ZN7rocprim17ROCPRIM_400000_NS6detail17trampoline_kernelINS0_14default_configENS1_27scan_by_key_config_selectorIiiEEZZNS1_16scan_by_key_implILNS1_25lookback_scan_determinismE0ELb1ES3_N6thrust23THRUST_200600_302600_NS6detail15normal_iteratorINS9_10device_ptrIiEEEENSB_INSC_IjEEEESE_iNS9_4plusIvEENS9_8equal_toIvEEiEE10hipError_tPvRmT2_T3_T4_T5_mT6_T7_P12ihipStream_tbENKUlT_T0_E_clISt17integral_constantIbLb1EES10_IbLb0EEEEDaSW_SX_EUlSW_E_NS1_11comp_targetILNS1_3genE3ELNS1_11target_archE908ELNS1_3gpuE7ELNS1_3repE0EEENS1_30default_config_static_selectorELNS0_4arch9wavefront6targetE1EEEvT1_
    .private_segment_fixed_size: 0
    .sgpr_count:     4
    .sgpr_spill_count: 0
    .symbol:         _ZN7rocprim17ROCPRIM_400000_NS6detail17trampoline_kernelINS0_14default_configENS1_27scan_by_key_config_selectorIiiEEZZNS1_16scan_by_key_implILNS1_25lookback_scan_determinismE0ELb1ES3_N6thrust23THRUST_200600_302600_NS6detail15normal_iteratorINS9_10device_ptrIiEEEENSB_INSC_IjEEEESE_iNS9_4plusIvEENS9_8equal_toIvEEiEE10hipError_tPvRmT2_T3_T4_T5_mT6_T7_P12ihipStream_tbENKUlT_T0_E_clISt17integral_constantIbLb1EES10_IbLb0EEEEDaSW_SX_EUlSW_E_NS1_11comp_targetILNS1_3genE3ELNS1_11target_archE908ELNS1_3gpuE7ELNS1_3repE0EEENS1_30default_config_static_selectorELNS0_4arch9wavefront6targetE1EEEvT1_.kd
    .uniform_work_group_size: 1
    .uses_dynamic_stack: false
    .vgpr_count:     0
    .vgpr_spill_count: 0
    .wavefront_size: 64
  - .agpr_count:     0
    .args:
      - .offset:         0
        .size:           112
        .value_kind:     by_value
    .group_segment_fixed_size: 0
    .kernarg_segment_align: 8
    .kernarg_segment_size: 112
    .language:       OpenCL C
    .language_version:
      - 2
      - 0
    .max_flat_workgroup_size: 256
    .name:           _ZN7rocprim17ROCPRIM_400000_NS6detail17trampoline_kernelINS0_14default_configENS1_27scan_by_key_config_selectorIiiEEZZNS1_16scan_by_key_implILNS1_25lookback_scan_determinismE0ELb1ES3_N6thrust23THRUST_200600_302600_NS6detail15normal_iteratorINS9_10device_ptrIiEEEENSB_INSC_IjEEEESE_iNS9_4plusIvEENS9_8equal_toIvEEiEE10hipError_tPvRmT2_T3_T4_T5_mT6_T7_P12ihipStream_tbENKUlT_T0_E_clISt17integral_constantIbLb1EES10_IbLb0EEEEDaSW_SX_EUlSW_E_NS1_11comp_targetILNS1_3genE2ELNS1_11target_archE906ELNS1_3gpuE6ELNS1_3repE0EEENS1_30default_config_static_selectorELNS0_4arch9wavefront6targetE1EEEvT1_
    .private_segment_fixed_size: 0
    .sgpr_count:     4
    .sgpr_spill_count: 0
    .symbol:         _ZN7rocprim17ROCPRIM_400000_NS6detail17trampoline_kernelINS0_14default_configENS1_27scan_by_key_config_selectorIiiEEZZNS1_16scan_by_key_implILNS1_25lookback_scan_determinismE0ELb1ES3_N6thrust23THRUST_200600_302600_NS6detail15normal_iteratorINS9_10device_ptrIiEEEENSB_INSC_IjEEEESE_iNS9_4plusIvEENS9_8equal_toIvEEiEE10hipError_tPvRmT2_T3_T4_T5_mT6_T7_P12ihipStream_tbENKUlT_T0_E_clISt17integral_constantIbLb1EES10_IbLb0EEEEDaSW_SX_EUlSW_E_NS1_11comp_targetILNS1_3genE2ELNS1_11target_archE906ELNS1_3gpuE6ELNS1_3repE0EEENS1_30default_config_static_selectorELNS0_4arch9wavefront6targetE1EEEvT1_.kd
    .uniform_work_group_size: 1
    .uses_dynamic_stack: false
    .vgpr_count:     0
    .vgpr_spill_count: 0
    .wavefront_size: 64
  - .agpr_count:     0
    .args:
      - .offset:         0
        .size:           112
        .value_kind:     by_value
    .group_segment_fixed_size: 0
    .kernarg_segment_align: 8
    .kernarg_segment_size: 112
    .language:       OpenCL C
    .language_version:
      - 2
      - 0
    .max_flat_workgroup_size: 256
    .name:           _ZN7rocprim17ROCPRIM_400000_NS6detail17trampoline_kernelINS0_14default_configENS1_27scan_by_key_config_selectorIiiEEZZNS1_16scan_by_key_implILNS1_25lookback_scan_determinismE0ELb1ES3_N6thrust23THRUST_200600_302600_NS6detail15normal_iteratorINS9_10device_ptrIiEEEENSB_INSC_IjEEEESE_iNS9_4plusIvEENS9_8equal_toIvEEiEE10hipError_tPvRmT2_T3_T4_T5_mT6_T7_P12ihipStream_tbENKUlT_T0_E_clISt17integral_constantIbLb1EES10_IbLb0EEEEDaSW_SX_EUlSW_E_NS1_11comp_targetILNS1_3genE10ELNS1_11target_archE1200ELNS1_3gpuE4ELNS1_3repE0EEENS1_30default_config_static_selectorELNS0_4arch9wavefront6targetE1EEEvT1_
    .private_segment_fixed_size: 0
    .sgpr_count:     4
    .sgpr_spill_count: 0
    .symbol:         _ZN7rocprim17ROCPRIM_400000_NS6detail17trampoline_kernelINS0_14default_configENS1_27scan_by_key_config_selectorIiiEEZZNS1_16scan_by_key_implILNS1_25lookback_scan_determinismE0ELb1ES3_N6thrust23THRUST_200600_302600_NS6detail15normal_iteratorINS9_10device_ptrIiEEEENSB_INSC_IjEEEESE_iNS9_4plusIvEENS9_8equal_toIvEEiEE10hipError_tPvRmT2_T3_T4_T5_mT6_T7_P12ihipStream_tbENKUlT_T0_E_clISt17integral_constantIbLb1EES10_IbLb0EEEEDaSW_SX_EUlSW_E_NS1_11comp_targetILNS1_3genE10ELNS1_11target_archE1200ELNS1_3gpuE4ELNS1_3repE0EEENS1_30default_config_static_selectorELNS0_4arch9wavefront6targetE1EEEvT1_.kd
    .uniform_work_group_size: 1
    .uses_dynamic_stack: false
    .vgpr_count:     0
    .vgpr_spill_count: 0
    .wavefront_size: 64
  - .agpr_count:     0
    .args:
      - .offset:         0
        .size:           112
        .value_kind:     by_value
    .group_segment_fixed_size: 0
    .kernarg_segment_align: 8
    .kernarg_segment_size: 112
    .language:       OpenCL C
    .language_version:
      - 2
      - 0
    .max_flat_workgroup_size: 256
    .name:           _ZN7rocprim17ROCPRIM_400000_NS6detail17trampoline_kernelINS0_14default_configENS1_27scan_by_key_config_selectorIiiEEZZNS1_16scan_by_key_implILNS1_25lookback_scan_determinismE0ELb1ES3_N6thrust23THRUST_200600_302600_NS6detail15normal_iteratorINS9_10device_ptrIiEEEENSB_INSC_IjEEEESE_iNS9_4plusIvEENS9_8equal_toIvEEiEE10hipError_tPvRmT2_T3_T4_T5_mT6_T7_P12ihipStream_tbENKUlT_T0_E_clISt17integral_constantIbLb1EES10_IbLb0EEEEDaSW_SX_EUlSW_E_NS1_11comp_targetILNS1_3genE9ELNS1_11target_archE1100ELNS1_3gpuE3ELNS1_3repE0EEENS1_30default_config_static_selectorELNS0_4arch9wavefront6targetE1EEEvT1_
    .private_segment_fixed_size: 0
    .sgpr_count:     4
    .sgpr_spill_count: 0
    .symbol:         _ZN7rocprim17ROCPRIM_400000_NS6detail17trampoline_kernelINS0_14default_configENS1_27scan_by_key_config_selectorIiiEEZZNS1_16scan_by_key_implILNS1_25lookback_scan_determinismE0ELb1ES3_N6thrust23THRUST_200600_302600_NS6detail15normal_iteratorINS9_10device_ptrIiEEEENSB_INSC_IjEEEESE_iNS9_4plusIvEENS9_8equal_toIvEEiEE10hipError_tPvRmT2_T3_T4_T5_mT6_T7_P12ihipStream_tbENKUlT_T0_E_clISt17integral_constantIbLb1EES10_IbLb0EEEEDaSW_SX_EUlSW_E_NS1_11comp_targetILNS1_3genE9ELNS1_11target_archE1100ELNS1_3gpuE3ELNS1_3repE0EEENS1_30default_config_static_selectorELNS0_4arch9wavefront6targetE1EEEvT1_.kd
    .uniform_work_group_size: 1
    .uses_dynamic_stack: false
    .vgpr_count:     0
    .vgpr_spill_count: 0
    .wavefront_size: 64
  - .agpr_count:     0
    .args:
      - .offset:         0
        .size:           112
        .value_kind:     by_value
    .group_segment_fixed_size: 0
    .kernarg_segment_align: 8
    .kernarg_segment_size: 112
    .language:       OpenCL C
    .language_version:
      - 2
      - 0
    .max_flat_workgroup_size: 256
    .name:           _ZN7rocprim17ROCPRIM_400000_NS6detail17trampoline_kernelINS0_14default_configENS1_27scan_by_key_config_selectorIiiEEZZNS1_16scan_by_key_implILNS1_25lookback_scan_determinismE0ELb1ES3_N6thrust23THRUST_200600_302600_NS6detail15normal_iteratorINS9_10device_ptrIiEEEENSB_INSC_IjEEEESE_iNS9_4plusIvEENS9_8equal_toIvEEiEE10hipError_tPvRmT2_T3_T4_T5_mT6_T7_P12ihipStream_tbENKUlT_T0_E_clISt17integral_constantIbLb1EES10_IbLb0EEEEDaSW_SX_EUlSW_E_NS1_11comp_targetILNS1_3genE8ELNS1_11target_archE1030ELNS1_3gpuE2ELNS1_3repE0EEENS1_30default_config_static_selectorELNS0_4arch9wavefront6targetE1EEEvT1_
    .private_segment_fixed_size: 0
    .sgpr_count:     4
    .sgpr_spill_count: 0
    .symbol:         _ZN7rocprim17ROCPRIM_400000_NS6detail17trampoline_kernelINS0_14default_configENS1_27scan_by_key_config_selectorIiiEEZZNS1_16scan_by_key_implILNS1_25lookback_scan_determinismE0ELb1ES3_N6thrust23THRUST_200600_302600_NS6detail15normal_iteratorINS9_10device_ptrIiEEEENSB_INSC_IjEEEESE_iNS9_4plusIvEENS9_8equal_toIvEEiEE10hipError_tPvRmT2_T3_T4_T5_mT6_T7_P12ihipStream_tbENKUlT_T0_E_clISt17integral_constantIbLb1EES10_IbLb0EEEEDaSW_SX_EUlSW_E_NS1_11comp_targetILNS1_3genE8ELNS1_11target_archE1030ELNS1_3gpuE2ELNS1_3repE0EEENS1_30default_config_static_selectorELNS0_4arch9wavefront6targetE1EEEvT1_.kd
    .uniform_work_group_size: 1
    .uses_dynamic_stack: false
    .vgpr_count:     0
    .vgpr_spill_count: 0
    .wavefront_size: 64
  - .agpr_count:     0
    .args:
      - .offset:         0
        .size:           112
        .value_kind:     by_value
    .group_segment_fixed_size: 0
    .kernarg_segment_align: 8
    .kernarg_segment_size: 112
    .language:       OpenCL C
    .language_version:
      - 2
      - 0
    .max_flat_workgroup_size: 256
    .name:           _ZN7rocprim17ROCPRIM_400000_NS6detail17trampoline_kernelINS0_14default_configENS1_27scan_by_key_config_selectorIiiEEZZNS1_16scan_by_key_implILNS1_25lookback_scan_determinismE0ELb1ES3_N6thrust23THRUST_200600_302600_NS6detail15normal_iteratorINS9_10device_ptrIiEEEENSB_INSC_IjEEEESE_iNS9_4plusIvEENS9_8equal_toIvEEiEE10hipError_tPvRmT2_T3_T4_T5_mT6_T7_P12ihipStream_tbENKUlT_T0_E_clISt17integral_constantIbLb0EES10_IbLb1EEEEDaSW_SX_EUlSW_E_NS1_11comp_targetILNS1_3genE0ELNS1_11target_archE4294967295ELNS1_3gpuE0ELNS1_3repE0EEENS1_30default_config_static_selectorELNS0_4arch9wavefront6targetE1EEEvT1_
    .private_segment_fixed_size: 0
    .sgpr_count:     4
    .sgpr_spill_count: 0
    .symbol:         _ZN7rocprim17ROCPRIM_400000_NS6detail17trampoline_kernelINS0_14default_configENS1_27scan_by_key_config_selectorIiiEEZZNS1_16scan_by_key_implILNS1_25lookback_scan_determinismE0ELb1ES3_N6thrust23THRUST_200600_302600_NS6detail15normal_iteratorINS9_10device_ptrIiEEEENSB_INSC_IjEEEESE_iNS9_4plusIvEENS9_8equal_toIvEEiEE10hipError_tPvRmT2_T3_T4_T5_mT6_T7_P12ihipStream_tbENKUlT_T0_E_clISt17integral_constantIbLb0EES10_IbLb1EEEEDaSW_SX_EUlSW_E_NS1_11comp_targetILNS1_3genE0ELNS1_11target_archE4294967295ELNS1_3gpuE0ELNS1_3repE0EEENS1_30default_config_static_selectorELNS0_4arch9wavefront6targetE1EEEvT1_.kd
    .uniform_work_group_size: 1
    .uses_dynamic_stack: false
    .vgpr_count:     0
    .vgpr_spill_count: 0
    .wavefront_size: 64
  - .agpr_count:     0
    .args:
      - .offset:         0
        .size:           112
        .value_kind:     by_value
    .group_segment_fixed_size: 0
    .kernarg_segment_align: 8
    .kernarg_segment_size: 112
    .language:       OpenCL C
    .language_version:
      - 2
      - 0
    .max_flat_workgroup_size: 256
    .name:           _ZN7rocprim17ROCPRIM_400000_NS6detail17trampoline_kernelINS0_14default_configENS1_27scan_by_key_config_selectorIiiEEZZNS1_16scan_by_key_implILNS1_25lookback_scan_determinismE0ELb1ES3_N6thrust23THRUST_200600_302600_NS6detail15normal_iteratorINS9_10device_ptrIiEEEENSB_INSC_IjEEEESE_iNS9_4plusIvEENS9_8equal_toIvEEiEE10hipError_tPvRmT2_T3_T4_T5_mT6_T7_P12ihipStream_tbENKUlT_T0_E_clISt17integral_constantIbLb0EES10_IbLb1EEEEDaSW_SX_EUlSW_E_NS1_11comp_targetILNS1_3genE10ELNS1_11target_archE1201ELNS1_3gpuE5ELNS1_3repE0EEENS1_30default_config_static_selectorELNS0_4arch9wavefront6targetE1EEEvT1_
    .private_segment_fixed_size: 0
    .sgpr_count:     4
    .sgpr_spill_count: 0
    .symbol:         _ZN7rocprim17ROCPRIM_400000_NS6detail17trampoline_kernelINS0_14default_configENS1_27scan_by_key_config_selectorIiiEEZZNS1_16scan_by_key_implILNS1_25lookback_scan_determinismE0ELb1ES3_N6thrust23THRUST_200600_302600_NS6detail15normal_iteratorINS9_10device_ptrIiEEEENSB_INSC_IjEEEESE_iNS9_4plusIvEENS9_8equal_toIvEEiEE10hipError_tPvRmT2_T3_T4_T5_mT6_T7_P12ihipStream_tbENKUlT_T0_E_clISt17integral_constantIbLb0EES10_IbLb1EEEEDaSW_SX_EUlSW_E_NS1_11comp_targetILNS1_3genE10ELNS1_11target_archE1201ELNS1_3gpuE5ELNS1_3repE0EEENS1_30default_config_static_selectorELNS0_4arch9wavefront6targetE1EEEvT1_.kd
    .uniform_work_group_size: 1
    .uses_dynamic_stack: false
    .vgpr_count:     0
    .vgpr_spill_count: 0
    .wavefront_size: 64
  - .agpr_count:     0
    .args:
      - .offset:         0
        .size:           112
        .value_kind:     by_value
    .group_segment_fixed_size: 0
    .kernarg_segment_align: 8
    .kernarg_segment_size: 112
    .language:       OpenCL C
    .language_version:
      - 2
      - 0
    .max_flat_workgroup_size: 256
    .name:           _ZN7rocprim17ROCPRIM_400000_NS6detail17trampoline_kernelINS0_14default_configENS1_27scan_by_key_config_selectorIiiEEZZNS1_16scan_by_key_implILNS1_25lookback_scan_determinismE0ELb1ES3_N6thrust23THRUST_200600_302600_NS6detail15normal_iteratorINS9_10device_ptrIiEEEENSB_INSC_IjEEEESE_iNS9_4plusIvEENS9_8equal_toIvEEiEE10hipError_tPvRmT2_T3_T4_T5_mT6_T7_P12ihipStream_tbENKUlT_T0_E_clISt17integral_constantIbLb0EES10_IbLb1EEEEDaSW_SX_EUlSW_E_NS1_11comp_targetILNS1_3genE5ELNS1_11target_archE942ELNS1_3gpuE9ELNS1_3repE0EEENS1_30default_config_static_selectorELNS0_4arch9wavefront6targetE1EEEvT1_
    .private_segment_fixed_size: 0
    .sgpr_count:     4
    .sgpr_spill_count: 0
    .symbol:         _ZN7rocprim17ROCPRIM_400000_NS6detail17trampoline_kernelINS0_14default_configENS1_27scan_by_key_config_selectorIiiEEZZNS1_16scan_by_key_implILNS1_25lookback_scan_determinismE0ELb1ES3_N6thrust23THRUST_200600_302600_NS6detail15normal_iteratorINS9_10device_ptrIiEEEENSB_INSC_IjEEEESE_iNS9_4plusIvEENS9_8equal_toIvEEiEE10hipError_tPvRmT2_T3_T4_T5_mT6_T7_P12ihipStream_tbENKUlT_T0_E_clISt17integral_constantIbLb0EES10_IbLb1EEEEDaSW_SX_EUlSW_E_NS1_11comp_targetILNS1_3genE5ELNS1_11target_archE942ELNS1_3gpuE9ELNS1_3repE0EEENS1_30default_config_static_selectorELNS0_4arch9wavefront6targetE1EEEvT1_.kd
    .uniform_work_group_size: 1
    .uses_dynamic_stack: false
    .vgpr_count:     0
    .vgpr_spill_count: 0
    .wavefront_size: 64
  - .agpr_count:     0
    .args:
      - .offset:         0
        .size:           112
        .value_kind:     by_value
    .group_segment_fixed_size: 16384
    .kernarg_segment_align: 8
    .kernarg_segment_size: 112
    .language:       OpenCL C
    .language_version:
      - 2
      - 0
    .max_flat_workgroup_size: 256
    .name:           _ZN7rocprim17ROCPRIM_400000_NS6detail17trampoline_kernelINS0_14default_configENS1_27scan_by_key_config_selectorIiiEEZZNS1_16scan_by_key_implILNS1_25lookback_scan_determinismE0ELb1ES3_N6thrust23THRUST_200600_302600_NS6detail15normal_iteratorINS9_10device_ptrIiEEEENSB_INSC_IjEEEESE_iNS9_4plusIvEENS9_8equal_toIvEEiEE10hipError_tPvRmT2_T3_T4_T5_mT6_T7_P12ihipStream_tbENKUlT_T0_E_clISt17integral_constantIbLb0EES10_IbLb1EEEEDaSW_SX_EUlSW_E_NS1_11comp_targetILNS1_3genE4ELNS1_11target_archE910ELNS1_3gpuE8ELNS1_3repE0EEENS1_30default_config_static_selectorELNS0_4arch9wavefront6targetE1EEEvT1_
    .private_segment_fixed_size: 0
    .sgpr_count:     64
    .sgpr_spill_count: 0
    .symbol:         _ZN7rocprim17ROCPRIM_400000_NS6detail17trampoline_kernelINS0_14default_configENS1_27scan_by_key_config_selectorIiiEEZZNS1_16scan_by_key_implILNS1_25lookback_scan_determinismE0ELb1ES3_N6thrust23THRUST_200600_302600_NS6detail15normal_iteratorINS9_10device_ptrIiEEEENSB_INSC_IjEEEESE_iNS9_4plusIvEENS9_8equal_toIvEEiEE10hipError_tPvRmT2_T3_T4_T5_mT6_T7_P12ihipStream_tbENKUlT_T0_E_clISt17integral_constantIbLb0EES10_IbLb1EEEEDaSW_SX_EUlSW_E_NS1_11comp_targetILNS1_3genE4ELNS1_11target_archE910ELNS1_3gpuE8ELNS1_3repE0EEENS1_30default_config_static_selectorELNS0_4arch9wavefront6targetE1EEEvT1_.kd
    .uniform_work_group_size: 1
    .uses_dynamic_stack: false
    .vgpr_count:     67
    .vgpr_spill_count: 0
    .wavefront_size: 64
  - .agpr_count:     0
    .args:
      - .offset:         0
        .size:           112
        .value_kind:     by_value
    .group_segment_fixed_size: 0
    .kernarg_segment_align: 8
    .kernarg_segment_size: 112
    .language:       OpenCL C
    .language_version:
      - 2
      - 0
    .max_flat_workgroup_size: 256
    .name:           _ZN7rocprim17ROCPRIM_400000_NS6detail17trampoline_kernelINS0_14default_configENS1_27scan_by_key_config_selectorIiiEEZZNS1_16scan_by_key_implILNS1_25lookback_scan_determinismE0ELb1ES3_N6thrust23THRUST_200600_302600_NS6detail15normal_iteratorINS9_10device_ptrIiEEEENSB_INSC_IjEEEESE_iNS9_4plusIvEENS9_8equal_toIvEEiEE10hipError_tPvRmT2_T3_T4_T5_mT6_T7_P12ihipStream_tbENKUlT_T0_E_clISt17integral_constantIbLb0EES10_IbLb1EEEEDaSW_SX_EUlSW_E_NS1_11comp_targetILNS1_3genE3ELNS1_11target_archE908ELNS1_3gpuE7ELNS1_3repE0EEENS1_30default_config_static_selectorELNS0_4arch9wavefront6targetE1EEEvT1_
    .private_segment_fixed_size: 0
    .sgpr_count:     4
    .sgpr_spill_count: 0
    .symbol:         _ZN7rocprim17ROCPRIM_400000_NS6detail17trampoline_kernelINS0_14default_configENS1_27scan_by_key_config_selectorIiiEEZZNS1_16scan_by_key_implILNS1_25lookback_scan_determinismE0ELb1ES3_N6thrust23THRUST_200600_302600_NS6detail15normal_iteratorINS9_10device_ptrIiEEEENSB_INSC_IjEEEESE_iNS9_4plusIvEENS9_8equal_toIvEEiEE10hipError_tPvRmT2_T3_T4_T5_mT6_T7_P12ihipStream_tbENKUlT_T0_E_clISt17integral_constantIbLb0EES10_IbLb1EEEEDaSW_SX_EUlSW_E_NS1_11comp_targetILNS1_3genE3ELNS1_11target_archE908ELNS1_3gpuE7ELNS1_3repE0EEENS1_30default_config_static_selectorELNS0_4arch9wavefront6targetE1EEEvT1_.kd
    .uniform_work_group_size: 1
    .uses_dynamic_stack: false
    .vgpr_count:     0
    .vgpr_spill_count: 0
    .wavefront_size: 64
  - .agpr_count:     0
    .args:
      - .offset:         0
        .size:           112
        .value_kind:     by_value
    .group_segment_fixed_size: 0
    .kernarg_segment_align: 8
    .kernarg_segment_size: 112
    .language:       OpenCL C
    .language_version:
      - 2
      - 0
    .max_flat_workgroup_size: 256
    .name:           _ZN7rocprim17ROCPRIM_400000_NS6detail17trampoline_kernelINS0_14default_configENS1_27scan_by_key_config_selectorIiiEEZZNS1_16scan_by_key_implILNS1_25lookback_scan_determinismE0ELb1ES3_N6thrust23THRUST_200600_302600_NS6detail15normal_iteratorINS9_10device_ptrIiEEEENSB_INSC_IjEEEESE_iNS9_4plusIvEENS9_8equal_toIvEEiEE10hipError_tPvRmT2_T3_T4_T5_mT6_T7_P12ihipStream_tbENKUlT_T0_E_clISt17integral_constantIbLb0EES10_IbLb1EEEEDaSW_SX_EUlSW_E_NS1_11comp_targetILNS1_3genE2ELNS1_11target_archE906ELNS1_3gpuE6ELNS1_3repE0EEENS1_30default_config_static_selectorELNS0_4arch9wavefront6targetE1EEEvT1_
    .private_segment_fixed_size: 0
    .sgpr_count:     4
    .sgpr_spill_count: 0
    .symbol:         _ZN7rocprim17ROCPRIM_400000_NS6detail17trampoline_kernelINS0_14default_configENS1_27scan_by_key_config_selectorIiiEEZZNS1_16scan_by_key_implILNS1_25lookback_scan_determinismE0ELb1ES3_N6thrust23THRUST_200600_302600_NS6detail15normal_iteratorINS9_10device_ptrIiEEEENSB_INSC_IjEEEESE_iNS9_4plusIvEENS9_8equal_toIvEEiEE10hipError_tPvRmT2_T3_T4_T5_mT6_T7_P12ihipStream_tbENKUlT_T0_E_clISt17integral_constantIbLb0EES10_IbLb1EEEEDaSW_SX_EUlSW_E_NS1_11comp_targetILNS1_3genE2ELNS1_11target_archE906ELNS1_3gpuE6ELNS1_3repE0EEENS1_30default_config_static_selectorELNS0_4arch9wavefront6targetE1EEEvT1_.kd
    .uniform_work_group_size: 1
    .uses_dynamic_stack: false
    .vgpr_count:     0
    .vgpr_spill_count: 0
    .wavefront_size: 64
  - .agpr_count:     0
    .args:
      - .offset:         0
        .size:           112
        .value_kind:     by_value
    .group_segment_fixed_size: 0
    .kernarg_segment_align: 8
    .kernarg_segment_size: 112
    .language:       OpenCL C
    .language_version:
      - 2
      - 0
    .max_flat_workgroup_size: 256
    .name:           _ZN7rocprim17ROCPRIM_400000_NS6detail17trampoline_kernelINS0_14default_configENS1_27scan_by_key_config_selectorIiiEEZZNS1_16scan_by_key_implILNS1_25lookback_scan_determinismE0ELb1ES3_N6thrust23THRUST_200600_302600_NS6detail15normal_iteratorINS9_10device_ptrIiEEEENSB_INSC_IjEEEESE_iNS9_4plusIvEENS9_8equal_toIvEEiEE10hipError_tPvRmT2_T3_T4_T5_mT6_T7_P12ihipStream_tbENKUlT_T0_E_clISt17integral_constantIbLb0EES10_IbLb1EEEEDaSW_SX_EUlSW_E_NS1_11comp_targetILNS1_3genE10ELNS1_11target_archE1200ELNS1_3gpuE4ELNS1_3repE0EEENS1_30default_config_static_selectorELNS0_4arch9wavefront6targetE1EEEvT1_
    .private_segment_fixed_size: 0
    .sgpr_count:     4
    .sgpr_spill_count: 0
    .symbol:         _ZN7rocprim17ROCPRIM_400000_NS6detail17trampoline_kernelINS0_14default_configENS1_27scan_by_key_config_selectorIiiEEZZNS1_16scan_by_key_implILNS1_25lookback_scan_determinismE0ELb1ES3_N6thrust23THRUST_200600_302600_NS6detail15normal_iteratorINS9_10device_ptrIiEEEENSB_INSC_IjEEEESE_iNS9_4plusIvEENS9_8equal_toIvEEiEE10hipError_tPvRmT2_T3_T4_T5_mT6_T7_P12ihipStream_tbENKUlT_T0_E_clISt17integral_constantIbLb0EES10_IbLb1EEEEDaSW_SX_EUlSW_E_NS1_11comp_targetILNS1_3genE10ELNS1_11target_archE1200ELNS1_3gpuE4ELNS1_3repE0EEENS1_30default_config_static_selectorELNS0_4arch9wavefront6targetE1EEEvT1_.kd
    .uniform_work_group_size: 1
    .uses_dynamic_stack: false
    .vgpr_count:     0
    .vgpr_spill_count: 0
    .wavefront_size: 64
  - .agpr_count:     0
    .args:
      - .offset:         0
        .size:           112
        .value_kind:     by_value
    .group_segment_fixed_size: 0
    .kernarg_segment_align: 8
    .kernarg_segment_size: 112
    .language:       OpenCL C
    .language_version:
      - 2
      - 0
    .max_flat_workgroup_size: 256
    .name:           _ZN7rocprim17ROCPRIM_400000_NS6detail17trampoline_kernelINS0_14default_configENS1_27scan_by_key_config_selectorIiiEEZZNS1_16scan_by_key_implILNS1_25lookback_scan_determinismE0ELb1ES3_N6thrust23THRUST_200600_302600_NS6detail15normal_iteratorINS9_10device_ptrIiEEEENSB_INSC_IjEEEESE_iNS9_4plusIvEENS9_8equal_toIvEEiEE10hipError_tPvRmT2_T3_T4_T5_mT6_T7_P12ihipStream_tbENKUlT_T0_E_clISt17integral_constantIbLb0EES10_IbLb1EEEEDaSW_SX_EUlSW_E_NS1_11comp_targetILNS1_3genE9ELNS1_11target_archE1100ELNS1_3gpuE3ELNS1_3repE0EEENS1_30default_config_static_selectorELNS0_4arch9wavefront6targetE1EEEvT1_
    .private_segment_fixed_size: 0
    .sgpr_count:     4
    .sgpr_spill_count: 0
    .symbol:         _ZN7rocprim17ROCPRIM_400000_NS6detail17trampoline_kernelINS0_14default_configENS1_27scan_by_key_config_selectorIiiEEZZNS1_16scan_by_key_implILNS1_25lookback_scan_determinismE0ELb1ES3_N6thrust23THRUST_200600_302600_NS6detail15normal_iteratorINS9_10device_ptrIiEEEENSB_INSC_IjEEEESE_iNS9_4plusIvEENS9_8equal_toIvEEiEE10hipError_tPvRmT2_T3_T4_T5_mT6_T7_P12ihipStream_tbENKUlT_T0_E_clISt17integral_constantIbLb0EES10_IbLb1EEEEDaSW_SX_EUlSW_E_NS1_11comp_targetILNS1_3genE9ELNS1_11target_archE1100ELNS1_3gpuE3ELNS1_3repE0EEENS1_30default_config_static_selectorELNS0_4arch9wavefront6targetE1EEEvT1_.kd
    .uniform_work_group_size: 1
    .uses_dynamic_stack: false
    .vgpr_count:     0
    .vgpr_spill_count: 0
    .wavefront_size: 64
  - .agpr_count:     0
    .args:
      - .offset:         0
        .size:           112
        .value_kind:     by_value
    .group_segment_fixed_size: 0
    .kernarg_segment_align: 8
    .kernarg_segment_size: 112
    .language:       OpenCL C
    .language_version:
      - 2
      - 0
    .max_flat_workgroup_size: 256
    .name:           _ZN7rocprim17ROCPRIM_400000_NS6detail17trampoline_kernelINS0_14default_configENS1_27scan_by_key_config_selectorIiiEEZZNS1_16scan_by_key_implILNS1_25lookback_scan_determinismE0ELb1ES3_N6thrust23THRUST_200600_302600_NS6detail15normal_iteratorINS9_10device_ptrIiEEEENSB_INSC_IjEEEESE_iNS9_4plusIvEENS9_8equal_toIvEEiEE10hipError_tPvRmT2_T3_T4_T5_mT6_T7_P12ihipStream_tbENKUlT_T0_E_clISt17integral_constantIbLb0EES10_IbLb1EEEEDaSW_SX_EUlSW_E_NS1_11comp_targetILNS1_3genE8ELNS1_11target_archE1030ELNS1_3gpuE2ELNS1_3repE0EEENS1_30default_config_static_selectorELNS0_4arch9wavefront6targetE1EEEvT1_
    .private_segment_fixed_size: 0
    .sgpr_count:     4
    .sgpr_spill_count: 0
    .symbol:         _ZN7rocprim17ROCPRIM_400000_NS6detail17trampoline_kernelINS0_14default_configENS1_27scan_by_key_config_selectorIiiEEZZNS1_16scan_by_key_implILNS1_25lookback_scan_determinismE0ELb1ES3_N6thrust23THRUST_200600_302600_NS6detail15normal_iteratorINS9_10device_ptrIiEEEENSB_INSC_IjEEEESE_iNS9_4plusIvEENS9_8equal_toIvEEiEE10hipError_tPvRmT2_T3_T4_T5_mT6_T7_P12ihipStream_tbENKUlT_T0_E_clISt17integral_constantIbLb0EES10_IbLb1EEEEDaSW_SX_EUlSW_E_NS1_11comp_targetILNS1_3genE8ELNS1_11target_archE1030ELNS1_3gpuE2ELNS1_3repE0EEENS1_30default_config_static_selectorELNS0_4arch9wavefront6targetE1EEEvT1_.kd
    .uniform_work_group_size: 1
    .uses_dynamic_stack: false
    .vgpr_count:     0
    .vgpr_spill_count: 0
    .wavefront_size: 64
  - .agpr_count:     0
    .args:
      - .offset:         0
        .size:           112
        .value_kind:     by_value
    .group_segment_fixed_size: 0
    .kernarg_segment_align: 8
    .kernarg_segment_size: 112
    .language:       OpenCL C
    .language_version:
      - 2
      - 0
    .max_flat_workgroup_size: 256
    .name:           _ZN7rocprim17ROCPRIM_400000_NS6detail17trampoline_kernelINS0_14default_configENS1_27scan_by_key_config_selectorIifEEZZNS1_16scan_by_key_implILNS1_25lookback_scan_determinismE0ELb1ES3_N6thrust23THRUST_200600_302600_NS6detail15normal_iteratorINS9_10device_ptrIiEEEENSB_INSC_IjEEEESE_fNS9_4plusIvEENS9_8equal_toIvEEfEE10hipError_tPvRmT2_T3_T4_T5_mT6_T7_P12ihipStream_tbENKUlT_T0_E_clISt17integral_constantIbLb0EES11_EEDaSW_SX_EUlSW_E_NS1_11comp_targetILNS1_3genE0ELNS1_11target_archE4294967295ELNS1_3gpuE0ELNS1_3repE0EEENS1_30default_config_static_selectorELNS0_4arch9wavefront6targetE1EEEvT1_
    .private_segment_fixed_size: 0
    .sgpr_count:     4
    .sgpr_spill_count: 0
    .symbol:         _ZN7rocprim17ROCPRIM_400000_NS6detail17trampoline_kernelINS0_14default_configENS1_27scan_by_key_config_selectorIifEEZZNS1_16scan_by_key_implILNS1_25lookback_scan_determinismE0ELb1ES3_N6thrust23THRUST_200600_302600_NS6detail15normal_iteratorINS9_10device_ptrIiEEEENSB_INSC_IjEEEESE_fNS9_4plusIvEENS9_8equal_toIvEEfEE10hipError_tPvRmT2_T3_T4_T5_mT6_T7_P12ihipStream_tbENKUlT_T0_E_clISt17integral_constantIbLb0EES11_EEDaSW_SX_EUlSW_E_NS1_11comp_targetILNS1_3genE0ELNS1_11target_archE4294967295ELNS1_3gpuE0ELNS1_3repE0EEENS1_30default_config_static_selectorELNS0_4arch9wavefront6targetE1EEEvT1_.kd
    .uniform_work_group_size: 1
    .uses_dynamic_stack: false
    .vgpr_count:     0
    .vgpr_spill_count: 0
    .wavefront_size: 64
  - .agpr_count:     0
    .args:
      - .offset:         0
        .size:           112
        .value_kind:     by_value
    .group_segment_fixed_size: 0
    .kernarg_segment_align: 8
    .kernarg_segment_size: 112
    .language:       OpenCL C
    .language_version:
      - 2
      - 0
    .max_flat_workgroup_size: 256
    .name:           _ZN7rocprim17ROCPRIM_400000_NS6detail17trampoline_kernelINS0_14default_configENS1_27scan_by_key_config_selectorIifEEZZNS1_16scan_by_key_implILNS1_25lookback_scan_determinismE0ELb1ES3_N6thrust23THRUST_200600_302600_NS6detail15normal_iteratorINS9_10device_ptrIiEEEENSB_INSC_IjEEEESE_fNS9_4plusIvEENS9_8equal_toIvEEfEE10hipError_tPvRmT2_T3_T4_T5_mT6_T7_P12ihipStream_tbENKUlT_T0_E_clISt17integral_constantIbLb0EES11_EEDaSW_SX_EUlSW_E_NS1_11comp_targetILNS1_3genE10ELNS1_11target_archE1201ELNS1_3gpuE5ELNS1_3repE0EEENS1_30default_config_static_selectorELNS0_4arch9wavefront6targetE1EEEvT1_
    .private_segment_fixed_size: 0
    .sgpr_count:     4
    .sgpr_spill_count: 0
    .symbol:         _ZN7rocprim17ROCPRIM_400000_NS6detail17trampoline_kernelINS0_14default_configENS1_27scan_by_key_config_selectorIifEEZZNS1_16scan_by_key_implILNS1_25lookback_scan_determinismE0ELb1ES3_N6thrust23THRUST_200600_302600_NS6detail15normal_iteratorINS9_10device_ptrIiEEEENSB_INSC_IjEEEESE_fNS9_4plusIvEENS9_8equal_toIvEEfEE10hipError_tPvRmT2_T3_T4_T5_mT6_T7_P12ihipStream_tbENKUlT_T0_E_clISt17integral_constantIbLb0EES11_EEDaSW_SX_EUlSW_E_NS1_11comp_targetILNS1_3genE10ELNS1_11target_archE1201ELNS1_3gpuE5ELNS1_3repE0EEENS1_30default_config_static_selectorELNS0_4arch9wavefront6targetE1EEEvT1_.kd
    .uniform_work_group_size: 1
    .uses_dynamic_stack: false
    .vgpr_count:     0
    .vgpr_spill_count: 0
    .wavefront_size: 64
  - .agpr_count:     0
    .args:
      - .offset:         0
        .size:           112
        .value_kind:     by_value
    .group_segment_fixed_size: 0
    .kernarg_segment_align: 8
    .kernarg_segment_size: 112
    .language:       OpenCL C
    .language_version:
      - 2
      - 0
    .max_flat_workgroup_size: 256
    .name:           _ZN7rocprim17ROCPRIM_400000_NS6detail17trampoline_kernelINS0_14default_configENS1_27scan_by_key_config_selectorIifEEZZNS1_16scan_by_key_implILNS1_25lookback_scan_determinismE0ELb1ES3_N6thrust23THRUST_200600_302600_NS6detail15normal_iteratorINS9_10device_ptrIiEEEENSB_INSC_IjEEEESE_fNS9_4plusIvEENS9_8equal_toIvEEfEE10hipError_tPvRmT2_T3_T4_T5_mT6_T7_P12ihipStream_tbENKUlT_T0_E_clISt17integral_constantIbLb0EES11_EEDaSW_SX_EUlSW_E_NS1_11comp_targetILNS1_3genE5ELNS1_11target_archE942ELNS1_3gpuE9ELNS1_3repE0EEENS1_30default_config_static_selectorELNS0_4arch9wavefront6targetE1EEEvT1_
    .private_segment_fixed_size: 0
    .sgpr_count:     4
    .sgpr_spill_count: 0
    .symbol:         _ZN7rocprim17ROCPRIM_400000_NS6detail17trampoline_kernelINS0_14default_configENS1_27scan_by_key_config_selectorIifEEZZNS1_16scan_by_key_implILNS1_25lookback_scan_determinismE0ELb1ES3_N6thrust23THRUST_200600_302600_NS6detail15normal_iteratorINS9_10device_ptrIiEEEENSB_INSC_IjEEEESE_fNS9_4plusIvEENS9_8equal_toIvEEfEE10hipError_tPvRmT2_T3_T4_T5_mT6_T7_P12ihipStream_tbENKUlT_T0_E_clISt17integral_constantIbLb0EES11_EEDaSW_SX_EUlSW_E_NS1_11comp_targetILNS1_3genE5ELNS1_11target_archE942ELNS1_3gpuE9ELNS1_3repE0EEENS1_30default_config_static_selectorELNS0_4arch9wavefront6targetE1EEEvT1_.kd
    .uniform_work_group_size: 1
    .uses_dynamic_stack: false
    .vgpr_count:     0
    .vgpr_spill_count: 0
    .wavefront_size: 64
  - .agpr_count:     0
    .args:
      - .offset:         0
        .size:           112
        .value_kind:     by_value
    .group_segment_fixed_size: 16384
    .kernarg_segment_align: 8
    .kernarg_segment_size: 112
    .language:       OpenCL C
    .language_version:
      - 2
      - 0
    .max_flat_workgroup_size: 256
    .name:           _ZN7rocprim17ROCPRIM_400000_NS6detail17trampoline_kernelINS0_14default_configENS1_27scan_by_key_config_selectorIifEEZZNS1_16scan_by_key_implILNS1_25lookback_scan_determinismE0ELb1ES3_N6thrust23THRUST_200600_302600_NS6detail15normal_iteratorINS9_10device_ptrIiEEEENSB_INSC_IjEEEESE_fNS9_4plusIvEENS9_8equal_toIvEEfEE10hipError_tPvRmT2_T3_T4_T5_mT6_T7_P12ihipStream_tbENKUlT_T0_E_clISt17integral_constantIbLb0EES11_EEDaSW_SX_EUlSW_E_NS1_11comp_targetILNS1_3genE4ELNS1_11target_archE910ELNS1_3gpuE8ELNS1_3repE0EEENS1_30default_config_static_selectorELNS0_4arch9wavefront6targetE1EEEvT1_
    .private_segment_fixed_size: 0
    .sgpr_count:     63
    .sgpr_spill_count: 0
    .symbol:         _ZN7rocprim17ROCPRIM_400000_NS6detail17trampoline_kernelINS0_14default_configENS1_27scan_by_key_config_selectorIifEEZZNS1_16scan_by_key_implILNS1_25lookback_scan_determinismE0ELb1ES3_N6thrust23THRUST_200600_302600_NS6detail15normal_iteratorINS9_10device_ptrIiEEEENSB_INSC_IjEEEESE_fNS9_4plusIvEENS9_8equal_toIvEEfEE10hipError_tPvRmT2_T3_T4_T5_mT6_T7_P12ihipStream_tbENKUlT_T0_E_clISt17integral_constantIbLb0EES11_EEDaSW_SX_EUlSW_E_NS1_11comp_targetILNS1_3genE4ELNS1_11target_archE910ELNS1_3gpuE8ELNS1_3repE0EEENS1_30default_config_static_selectorELNS0_4arch9wavefront6targetE1EEEvT1_.kd
    .uniform_work_group_size: 1
    .uses_dynamic_stack: false
    .vgpr_count:     65
    .vgpr_spill_count: 0
    .wavefront_size: 64
  - .agpr_count:     0
    .args:
      - .offset:         0
        .size:           112
        .value_kind:     by_value
    .group_segment_fixed_size: 0
    .kernarg_segment_align: 8
    .kernarg_segment_size: 112
    .language:       OpenCL C
    .language_version:
      - 2
      - 0
    .max_flat_workgroup_size: 256
    .name:           _ZN7rocprim17ROCPRIM_400000_NS6detail17trampoline_kernelINS0_14default_configENS1_27scan_by_key_config_selectorIifEEZZNS1_16scan_by_key_implILNS1_25lookback_scan_determinismE0ELb1ES3_N6thrust23THRUST_200600_302600_NS6detail15normal_iteratorINS9_10device_ptrIiEEEENSB_INSC_IjEEEESE_fNS9_4plusIvEENS9_8equal_toIvEEfEE10hipError_tPvRmT2_T3_T4_T5_mT6_T7_P12ihipStream_tbENKUlT_T0_E_clISt17integral_constantIbLb0EES11_EEDaSW_SX_EUlSW_E_NS1_11comp_targetILNS1_3genE3ELNS1_11target_archE908ELNS1_3gpuE7ELNS1_3repE0EEENS1_30default_config_static_selectorELNS0_4arch9wavefront6targetE1EEEvT1_
    .private_segment_fixed_size: 0
    .sgpr_count:     4
    .sgpr_spill_count: 0
    .symbol:         _ZN7rocprim17ROCPRIM_400000_NS6detail17trampoline_kernelINS0_14default_configENS1_27scan_by_key_config_selectorIifEEZZNS1_16scan_by_key_implILNS1_25lookback_scan_determinismE0ELb1ES3_N6thrust23THRUST_200600_302600_NS6detail15normal_iteratorINS9_10device_ptrIiEEEENSB_INSC_IjEEEESE_fNS9_4plusIvEENS9_8equal_toIvEEfEE10hipError_tPvRmT2_T3_T4_T5_mT6_T7_P12ihipStream_tbENKUlT_T0_E_clISt17integral_constantIbLb0EES11_EEDaSW_SX_EUlSW_E_NS1_11comp_targetILNS1_3genE3ELNS1_11target_archE908ELNS1_3gpuE7ELNS1_3repE0EEENS1_30default_config_static_selectorELNS0_4arch9wavefront6targetE1EEEvT1_.kd
    .uniform_work_group_size: 1
    .uses_dynamic_stack: false
    .vgpr_count:     0
    .vgpr_spill_count: 0
    .wavefront_size: 64
  - .agpr_count:     0
    .args:
      - .offset:         0
        .size:           112
        .value_kind:     by_value
    .group_segment_fixed_size: 0
    .kernarg_segment_align: 8
    .kernarg_segment_size: 112
    .language:       OpenCL C
    .language_version:
      - 2
      - 0
    .max_flat_workgroup_size: 256
    .name:           _ZN7rocprim17ROCPRIM_400000_NS6detail17trampoline_kernelINS0_14default_configENS1_27scan_by_key_config_selectorIifEEZZNS1_16scan_by_key_implILNS1_25lookback_scan_determinismE0ELb1ES3_N6thrust23THRUST_200600_302600_NS6detail15normal_iteratorINS9_10device_ptrIiEEEENSB_INSC_IjEEEESE_fNS9_4plusIvEENS9_8equal_toIvEEfEE10hipError_tPvRmT2_T3_T4_T5_mT6_T7_P12ihipStream_tbENKUlT_T0_E_clISt17integral_constantIbLb0EES11_EEDaSW_SX_EUlSW_E_NS1_11comp_targetILNS1_3genE2ELNS1_11target_archE906ELNS1_3gpuE6ELNS1_3repE0EEENS1_30default_config_static_selectorELNS0_4arch9wavefront6targetE1EEEvT1_
    .private_segment_fixed_size: 0
    .sgpr_count:     4
    .sgpr_spill_count: 0
    .symbol:         _ZN7rocprim17ROCPRIM_400000_NS6detail17trampoline_kernelINS0_14default_configENS1_27scan_by_key_config_selectorIifEEZZNS1_16scan_by_key_implILNS1_25lookback_scan_determinismE0ELb1ES3_N6thrust23THRUST_200600_302600_NS6detail15normal_iteratorINS9_10device_ptrIiEEEENSB_INSC_IjEEEESE_fNS9_4plusIvEENS9_8equal_toIvEEfEE10hipError_tPvRmT2_T3_T4_T5_mT6_T7_P12ihipStream_tbENKUlT_T0_E_clISt17integral_constantIbLb0EES11_EEDaSW_SX_EUlSW_E_NS1_11comp_targetILNS1_3genE2ELNS1_11target_archE906ELNS1_3gpuE6ELNS1_3repE0EEENS1_30default_config_static_selectorELNS0_4arch9wavefront6targetE1EEEvT1_.kd
    .uniform_work_group_size: 1
    .uses_dynamic_stack: false
    .vgpr_count:     0
    .vgpr_spill_count: 0
    .wavefront_size: 64
  - .agpr_count:     0
    .args:
      - .offset:         0
        .size:           112
        .value_kind:     by_value
    .group_segment_fixed_size: 0
    .kernarg_segment_align: 8
    .kernarg_segment_size: 112
    .language:       OpenCL C
    .language_version:
      - 2
      - 0
    .max_flat_workgroup_size: 256
    .name:           _ZN7rocprim17ROCPRIM_400000_NS6detail17trampoline_kernelINS0_14default_configENS1_27scan_by_key_config_selectorIifEEZZNS1_16scan_by_key_implILNS1_25lookback_scan_determinismE0ELb1ES3_N6thrust23THRUST_200600_302600_NS6detail15normal_iteratorINS9_10device_ptrIiEEEENSB_INSC_IjEEEESE_fNS9_4plusIvEENS9_8equal_toIvEEfEE10hipError_tPvRmT2_T3_T4_T5_mT6_T7_P12ihipStream_tbENKUlT_T0_E_clISt17integral_constantIbLb0EES11_EEDaSW_SX_EUlSW_E_NS1_11comp_targetILNS1_3genE10ELNS1_11target_archE1200ELNS1_3gpuE4ELNS1_3repE0EEENS1_30default_config_static_selectorELNS0_4arch9wavefront6targetE1EEEvT1_
    .private_segment_fixed_size: 0
    .sgpr_count:     4
    .sgpr_spill_count: 0
    .symbol:         _ZN7rocprim17ROCPRIM_400000_NS6detail17trampoline_kernelINS0_14default_configENS1_27scan_by_key_config_selectorIifEEZZNS1_16scan_by_key_implILNS1_25lookback_scan_determinismE0ELb1ES3_N6thrust23THRUST_200600_302600_NS6detail15normal_iteratorINS9_10device_ptrIiEEEENSB_INSC_IjEEEESE_fNS9_4plusIvEENS9_8equal_toIvEEfEE10hipError_tPvRmT2_T3_T4_T5_mT6_T7_P12ihipStream_tbENKUlT_T0_E_clISt17integral_constantIbLb0EES11_EEDaSW_SX_EUlSW_E_NS1_11comp_targetILNS1_3genE10ELNS1_11target_archE1200ELNS1_3gpuE4ELNS1_3repE0EEENS1_30default_config_static_selectorELNS0_4arch9wavefront6targetE1EEEvT1_.kd
    .uniform_work_group_size: 1
    .uses_dynamic_stack: false
    .vgpr_count:     0
    .vgpr_spill_count: 0
    .wavefront_size: 64
  - .agpr_count:     0
    .args:
      - .offset:         0
        .size:           112
        .value_kind:     by_value
    .group_segment_fixed_size: 0
    .kernarg_segment_align: 8
    .kernarg_segment_size: 112
    .language:       OpenCL C
    .language_version:
      - 2
      - 0
    .max_flat_workgroup_size: 256
    .name:           _ZN7rocprim17ROCPRIM_400000_NS6detail17trampoline_kernelINS0_14default_configENS1_27scan_by_key_config_selectorIifEEZZNS1_16scan_by_key_implILNS1_25lookback_scan_determinismE0ELb1ES3_N6thrust23THRUST_200600_302600_NS6detail15normal_iteratorINS9_10device_ptrIiEEEENSB_INSC_IjEEEESE_fNS9_4plusIvEENS9_8equal_toIvEEfEE10hipError_tPvRmT2_T3_T4_T5_mT6_T7_P12ihipStream_tbENKUlT_T0_E_clISt17integral_constantIbLb0EES11_EEDaSW_SX_EUlSW_E_NS1_11comp_targetILNS1_3genE9ELNS1_11target_archE1100ELNS1_3gpuE3ELNS1_3repE0EEENS1_30default_config_static_selectorELNS0_4arch9wavefront6targetE1EEEvT1_
    .private_segment_fixed_size: 0
    .sgpr_count:     4
    .sgpr_spill_count: 0
    .symbol:         _ZN7rocprim17ROCPRIM_400000_NS6detail17trampoline_kernelINS0_14default_configENS1_27scan_by_key_config_selectorIifEEZZNS1_16scan_by_key_implILNS1_25lookback_scan_determinismE0ELb1ES3_N6thrust23THRUST_200600_302600_NS6detail15normal_iteratorINS9_10device_ptrIiEEEENSB_INSC_IjEEEESE_fNS9_4plusIvEENS9_8equal_toIvEEfEE10hipError_tPvRmT2_T3_T4_T5_mT6_T7_P12ihipStream_tbENKUlT_T0_E_clISt17integral_constantIbLb0EES11_EEDaSW_SX_EUlSW_E_NS1_11comp_targetILNS1_3genE9ELNS1_11target_archE1100ELNS1_3gpuE3ELNS1_3repE0EEENS1_30default_config_static_selectorELNS0_4arch9wavefront6targetE1EEEvT1_.kd
    .uniform_work_group_size: 1
    .uses_dynamic_stack: false
    .vgpr_count:     0
    .vgpr_spill_count: 0
    .wavefront_size: 64
  - .agpr_count:     0
    .args:
      - .offset:         0
        .size:           112
        .value_kind:     by_value
    .group_segment_fixed_size: 0
    .kernarg_segment_align: 8
    .kernarg_segment_size: 112
    .language:       OpenCL C
    .language_version:
      - 2
      - 0
    .max_flat_workgroup_size: 256
    .name:           _ZN7rocprim17ROCPRIM_400000_NS6detail17trampoline_kernelINS0_14default_configENS1_27scan_by_key_config_selectorIifEEZZNS1_16scan_by_key_implILNS1_25lookback_scan_determinismE0ELb1ES3_N6thrust23THRUST_200600_302600_NS6detail15normal_iteratorINS9_10device_ptrIiEEEENSB_INSC_IjEEEESE_fNS9_4plusIvEENS9_8equal_toIvEEfEE10hipError_tPvRmT2_T3_T4_T5_mT6_T7_P12ihipStream_tbENKUlT_T0_E_clISt17integral_constantIbLb0EES11_EEDaSW_SX_EUlSW_E_NS1_11comp_targetILNS1_3genE8ELNS1_11target_archE1030ELNS1_3gpuE2ELNS1_3repE0EEENS1_30default_config_static_selectorELNS0_4arch9wavefront6targetE1EEEvT1_
    .private_segment_fixed_size: 0
    .sgpr_count:     4
    .sgpr_spill_count: 0
    .symbol:         _ZN7rocprim17ROCPRIM_400000_NS6detail17trampoline_kernelINS0_14default_configENS1_27scan_by_key_config_selectorIifEEZZNS1_16scan_by_key_implILNS1_25lookback_scan_determinismE0ELb1ES3_N6thrust23THRUST_200600_302600_NS6detail15normal_iteratorINS9_10device_ptrIiEEEENSB_INSC_IjEEEESE_fNS9_4plusIvEENS9_8equal_toIvEEfEE10hipError_tPvRmT2_T3_T4_T5_mT6_T7_P12ihipStream_tbENKUlT_T0_E_clISt17integral_constantIbLb0EES11_EEDaSW_SX_EUlSW_E_NS1_11comp_targetILNS1_3genE8ELNS1_11target_archE1030ELNS1_3gpuE2ELNS1_3repE0EEENS1_30default_config_static_selectorELNS0_4arch9wavefront6targetE1EEEvT1_.kd
    .uniform_work_group_size: 1
    .uses_dynamic_stack: false
    .vgpr_count:     0
    .vgpr_spill_count: 0
    .wavefront_size: 64
  - .agpr_count:     0
    .args:
      - .offset:         0
        .size:           112
        .value_kind:     by_value
    .group_segment_fixed_size: 0
    .kernarg_segment_align: 8
    .kernarg_segment_size: 112
    .language:       OpenCL C
    .language_version:
      - 2
      - 0
    .max_flat_workgroup_size: 256
    .name:           _ZN7rocprim17ROCPRIM_400000_NS6detail17trampoline_kernelINS0_14default_configENS1_27scan_by_key_config_selectorIifEEZZNS1_16scan_by_key_implILNS1_25lookback_scan_determinismE0ELb1ES3_N6thrust23THRUST_200600_302600_NS6detail15normal_iteratorINS9_10device_ptrIiEEEENSB_INSC_IjEEEESE_fNS9_4plusIvEENS9_8equal_toIvEEfEE10hipError_tPvRmT2_T3_T4_T5_mT6_T7_P12ihipStream_tbENKUlT_T0_E_clISt17integral_constantIbLb1EES11_EEDaSW_SX_EUlSW_E_NS1_11comp_targetILNS1_3genE0ELNS1_11target_archE4294967295ELNS1_3gpuE0ELNS1_3repE0EEENS1_30default_config_static_selectorELNS0_4arch9wavefront6targetE1EEEvT1_
    .private_segment_fixed_size: 0
    .sgpr_count:     4
    .sgpr_spill_count: 0
    .symbol:         _ZN7rocprim17ROCPRIM_400000_NS6detail17trampoline_kernelINS0_14default_configENS1_27scan_by_key_config_selectorIifEEZZNS1_16scan_by_key_implILNS1_25lookback_scan_determinismE0ELb1ES3_N6thrust23THRUST_200600_302600_NS6detail15normal_iteratorINS9_10device_ptrIiEEEENSB_INSC_IjEEEESE_fNS9_4plusIvEENS9_8equal_toIvEEfEE10hipError_tPvRmT2_T3_T4_T5_mT6_T7_P12ihipStream_tbENKUlT_T0_E_clISt17integral_constantIbLb1EES11_EEDaSW_SX_EUlSW_E_NS1_11comp_targetILNS1_3genE0ELNS1_11target_archE4294967295ELNS1_3gpuE0ELNS1_3repE0EEENS1_30default_config_static_selectorELNS0_4arch9wavefront6targetE1EEEvT1_.kd
    .uniform_work_group_size: 1
    .uses_dynamic_stack: false
    .vgpr_count:     0
    .vgpr_spill_count: 0
    .wavefront_size: 64
  - .agpr_count:     0
    .args:
      - .offset:         0
        .size:           112
        .value_kind:     by_value
    .group_segment_fixed_size: 0
    .kernarg_segment_align: 8
    .kernarg_segment_size: 112
    .language:       OpenCL C
    .language_version:
      - 2
      - 0
    .max_flat_workgroup_size: 256
    .name:           _ZN7rocprim17ROCPRIM_400000_NS6detail17trampoline_kernelINS0_14default_configENS1_27scan_by_key_config_selectorIifEEZZNS1_16scan_by_key_implILNS1_25lookback_scan_determinismE0ELb1ES3_N6thrust23THRUST_200600_302600_NS6detail15normal_iteratorINS9_10device_ptrIiEEEENSB_INSC_IjEEEESE_fNS9_4plusIvEENS9_8equal_toIvEEfEE10hipError_tPvRmT2_T3_T4_T5_mT6_T7_P12ihipStream_tbENKUlT_T0_E_clISt17integral_constantIbLb1EES11_EEDaSW_SX_EUlSW_E_NS1_11comp_targetILNS1_3genE10ELNS1_11target_archE1201ELNS1_3gpuE5ELNS1_3repE0EEENS1_30default_config_static_selectorELNS0_4arch9wavefront6targetE1EEEvT1_
    .private_segment_fixed_size: 0
    .sgpr_count:     4
    .sgpr_spill_count: 0
    .symbol:         _ZN7rocprim17ROCPRIM_400000_NS6detail17trampoline_kernelINS0_14default_configENS1_27scan_by_key_config_selectorIifEEZZNS1_16scan_by_key_implILNS1_25lookback_scan_determinismE0ELb1ES3_N6thrust23THRUST_200600_302600_NS6detail15normal_iteratorINS9_10device_ptrIiEEEENSB_INSC_IjEEEESE_fNS9_4plusIvEENS9_8equal_toIvEEfEE10hipError_tPvRmT2_T3_T4_T5_mT6_T7_P12ihipStream_tbENKUlT_T0_E_clISt17integral_constantIbLb1EES11_EEDaSW_SX_EUlSW_E_NS1_11comp_targetILNS1_3genE10ELNS1_11target_archE1201ELNS1_3gpuE5ELNS1_3repE0EEENS1_30default_config_static_selectorELNS0_4arch9wavefront6targetE1EEEvT1_.kd
    .uniform_work_group_size: 1
    .uses_dynamic_stack: false
    .vgpr_count:     0
    .vgpr_spill_count: 0
    .wavefront_size: 64
  - .agpr_count:     0
    .args:
      - .offset:         0
        .size:           112
        .value_kind:     by_value
    .group_segment_fixed_size: 0
    .kernarg_segment_align: 8
    .kernarg_segment_size: 112
    .language:       OpenCL C
    .language_version:
      - 2
      - 0
    .max_flat_workgroup_size: 256
    .name:           _ZN7rocprim17ROCPRIM_400000_NS6detail17trampoline_kernelINS0_14default_configENS1_27scan_by_key_config_selectorIifEEZZNS1_16scan_by_key_implILNS1_25lookback_scan_determinismE0ELb1ES3_N6thrust23THRUST_200600_302600_NS6detail15normal_iteratorINS9_10device_ptrIiEEEENSB_INSC_IjEEEESE_fNS9_4plusIvEENS9_8equal_toIvEEfEE10hipError_tPvRmT2_T3_T4_T5_mT6_T7_P12ihipStream_tbENKUlT_T0_E_clISt17integral_constantIbLb1EES11_EEDaSW_SX_EUlSW_E_NS1_11comp_targetILNS1_3genE5ELNS1_11target_archE942ELNS1_3gpuE9ELNS1_3repE0EEENS1_30default_config_static_selectorELNS0_4arch9wavefront6targetE1EEEvT1_
    .private_segment_fixed_size: 0
    .sgpr_count:     4
    .sgpr_spill_count: 0
    .symbol:         _ZN7rocprim17ROCPRIM_400000_NS6detail17trampoline_kernelINS0_14default_configENS1_27scan_by_key_config_selectorIifEEZZNS1_16scan_by_key_implILNS1_25lookback_scan_determinismE0ELb1ES3_N6thrust23THRUST_200600_302600_NS6detail15normal_iteratorINS9_10device_ptrIiEEEENSB_INSC_IjEEEESE_fNS9_4plusIvEENS9_8equal_toIvEEfEE10hipError_tPvRmT2_T3_T4_T5_mT6_T7_P12ihipStream_tbENKUlT_T0_E_clISt17integral_constantIbLb1EES11_EEDaSW_SX_EUlSW_E_NS1_11comp_targetILNS1_3genE5ELNS1_11target_archE942ELNS1_3gpuE9ELNS1_3repE0EEENS1_30default_config_static_selectorELNS0_4arch9wavefront6targetE1EEEvT1_.kd
    .uniform_work_group_size: 1
    .uses_dynamic_stack: false
    .vgpr_count:     0
    .vgpr_spill_count: 0
    .wavefront_size: 64
  - .agpr_count:     0
    .args:
      - .offset:         0
        .size:           112
        .value_kind:     by_value
    .group_segment_fixed_size: 16384
    .kernarg_segment_align: 8
    .kernarg_segment_size: 112
    .language:       OpenCL C
    .language_version:
      - 2
      - 0
    .max_flat_workgroup_size: 256
    .name:           _ZN7rocprim17ROCPRIM_400000_NS6detail17trampoline_kernelINS0_14default_configENS1_27scan_by_key_config_selectorIifEEZZNS1_16scan_by_key_implILNS1_25lookback_scan_determinismE0ELb1ES3_N6thrust23THRUST_200600_302600_NS6detail15normal_iteratorINS9_10device_ptrIiEEEENSB_INSC_IjEEEESE_fNS9_4plusIvEENS9_8equal_toIvEEfEE10hipError_tPvRmT2_T3_T4_T5_mT6_T7_P12ihipStream_tbENKUlT_T0_E_clISt17integral_constantIbLb1EES11_EEDaSW_SX_EUlSW_E_NS1_11comp_targetILNS1_3genE4ELNS1_11target_archE910ELNS1_3gpuE8ELNS1_3repE0EEENS1_30default_config_static_selectorELNS0_4arch9wavefront6targetE1EEEvT1_
    .private_segment_fixed_size: 0
    .sgpr_count:     64
    .sgpr_spill_count: 0
    .symbol:         _ZN7rocprim17ROCPRIM_400000_NS6detail17trampoline_kernelINS0_14default_configENS1_27scan_by_key_config_selectorIifEEZZNS1_16scan_by_key_implILNS1_25lookback_scan_determinismE0ELb1ES3_N6thrust23THRUST_200600_302600_NS6detail15normal_iteratorINS9_10device_ptrIiEEEENSB_INSC_IjEEEESE_fNS9_4plusIvEENS9_8equal_toIvEEfEE10hipError_tPvRmT2_T3_T4_T5_mT6_T7_P12ihipStream_tbENKUlT_T0_E_clISt17integral_constantIbLb1EES11_EEDaSW_SX_EUlSW_E_NS1_11comp_targetILNS1_3genE4ELNS1_11target_archE910ELNS1_3gpuE8ELNS1_3repE0EEENS1_30default_config_static_selectorELNS0_4arch9wavefront6targetE1EEEvT1_.kd
    .uniform_work_group_size: 1
    .uses_dynamic_stack: false
    .vgpr_count:     67
    .vgpr_spill_count: 0
    .wavefront_size: 64
  - .agpr_count:     0
    .args:
      - .offset:         0
        .size:           112
        .value_kind:     by_value
    .group_segment_fixed_size: 0
    .kernarg_segment_align: 8
    .kernarg_segment_size: 112
    .language:       OpenCL C
    .language_version:
      - 2
      - 0
    .max_flat_workgroup_size: 256
    .name:           _ZN7rocprim17ROCPRIM_400000_NS6detail17trampoline_kernelINS0_14default_configENS1_27scan_by_key_config_selectorIifEEZZNS1_16scan_by_key_implILNS1_25lookback_scan_determinismE0ELb1ES3_N6thrust23THRUST_200600_302600_NS6detail15normal_iteratorINS9_10device_ptrIiEEEENSB_INSC_IjEEEESE_fNS9_4plusIvEENS9_8equal_toIvEEfEE10hipError_tPvRmT2_T3_T4_T5_mT6_T7_P12ihipStream_tbENKUlT_T0_E_clISt17integral_constantIbLb1EES11_EEDaSW_SX_EUlSW_E_NS1_11comp_targetILNS1_3genE3ELNS1_11target_archE908ELNS1_3gpuE7ELNS1_3repE0EEENS1_30default_config_static_selectorELNS0_4arch9wavefront6targetE1EEEvT1_
    .private_segment_fixed_size: 0
    .sgpr_count:     4
    .sgpr_spill_count: 0
    .symbol:         _ZN7rocprim17ROCPRIM_400000_NS6detail17trampoline_kernelINS0_14default_configENS1_27scan_by_key_config_selectorIifEEZZNS1_16scan_by_key_implILNS1_25lookback_scan_determinismE0ELb1ES3_N6thrust23THRUST_200600_302600_NS6detail15normal_iteratorINS9_10device_ptrIiEEEENSB_INSC_IjEEEESE_fNS9_4plusIvEENS9_8equal_toIvEEfEE10hipError_tPvRmT2_T3_T4_T5_mT6_T7_P12ihipStream_tbENKUlT_T0_E_clISt17integral_constantIbLb1EES11_EEDaSW_SX_EUlSW_E_NS1_11comp_targetILNS1_3genE3ELNS1_11target_archE908ELNS1_3gpuE7ELNS1_3repE0EEENS1_30default_config_static_selectorELNS0_4arch9wavefront6targetE1EEEvT1_.kd
    .uniform_work_group_size: 1
    .uses_dynamic_stack: false
    .vgpr_count:     0
    .vgpr_spill_count: 0
    .wavefront_size: 64
  - .agpr_count:     0
    .args:
      - .offset:         0
        .size:           112
        .value_kind:     by_value
    .group_segment_fixed_size: 0
    .kernarg_segment_align: 8
    .kernarg_segment_size: 112
    .language:       OpenCL C
    .language_version:
      - 2
      - 0
    .max_flat_workgroup_size: 256
    .name:           _ZN7rocprim17ROCPRIM_400000_NS6detail17trampoline_kernelINS0_14default_configENS1_27scan_by_key_config_selectorIifEEZZNS1_16scan_by_key_implILNS1_25lookback_scan_determinismE0ELb1ES3_N6thrust23THRUST_200600_302600_NS6detail15normal_iteratorINS9_10device_ptrIiEEEENSB_INSC_IjEEEESE_fNS9_4plusIvEENS9_8equal_toIvEEfEE10hipError_tPvRmT2_T3_T4_T5_mT6_T7_P12ihipStream_tbENKUlT_T0_E_clISt17integral_constantIbLb1EES11_EEDaSW_SX_EUlSW_E_NS1_11comp_targetILNS1_3genE2ELNS1_11target_archE906ELNS1_3gpuE6ELNS1_3repE0EEENS1_30default_config_static_selectorELNS0_4arch9wavefront6targetE1EEEvT1_
    .private_segment_fixed_size: 0
    .sgpr_count:     4
    .sgpr_spill_count: 0
    .symbol:         _ZN7rocprim17ROCPRIM_400000_NS6detail17trampoline_kernelINS0_14default_configENS1_27scan_by_key_config_selectorIifEEZZNS1_16scan_by_key_implILNS1_25lookback_scan_determinismE0ELb1ES3_N6thrust23THRUST_200600_302600_NS6detail15normal_iteratorINS9_10device_ptrIiEEEENSB_INSC_IjEEEESE_fNS9_4plusIvEENS9_8equal_toIvEEfEE10hipError_tPvRmT2_T3_T4_T5_mT6_T7_P12ihipStream_tbENKUlT_T0_E_clISt17integral_constantIbLb1EES11_EEDaSW_SX_EUlSW_E_NS1_11comp_targetILNS1_3genE2ELNS1_11target_archE906ELNS1_3gpuE6ELNS1_3repE0EEENS1_30default_config_static_selectorELNS0_4arch9wavefront6targetE1EEEvT1_.kd
    .uniform_work_group_size: 1
    .uses_dynamic_stack: false
    .vgpr_count:     0
    .vgpr_spill_count: 0
    .wavefront_size: 64
  - .agpr_count:     0
    .args:
      - .offset:         0
        .size:           112
        .value_kind:     by_value
    .group_segment_fixed_size: 0
    .kernarg_segment_align: 8
    .kernarg_segment_size: 112
    .language:       OpenCL C
    .language_version:
      - 2
      - 0
    .max_flat_workgroup_size: 256
    .name:           _ZN7rocprim17ROCPRIM_400000_NS6detail17trampoline_kernelINS0_14default_configENS1_27scan_by_key_config_selectorIifEEZZNS1_16scan_by_key_implILNS1_25lookback_scan_determinismE0ELb1ES3_N6thrust23THRUST_200600_302600_NS6detail15normal_iteratorINS9_10device_ptrIiEEEENSB_INSC_IjEEEESE_fNS9_4plusIvEENS9_8equal_toIvEEfEE10hipError_tPvRmT2_T3_T4_T5_mT6_T7_P12ihipStream_tbENKUlT_T0_E_clISt17integral_constantIbLb1EES11_EEDaSW_SX_EUlSW_E_NS1_11comp_targetILNS1_3genE10ELNS1_11target_archE1200ELNS1_3gpuE4ELNS1_3repE0EEENS1_30default_config_static_selectorELNS0_4arch9wavefront6targetE1EEEvT1_
    .private_segment_fixed_size: 0
    .sgpr_count:     4
    .sgpr_spill_count: 0
    .symbol:         _ZN7rocprim17ROCPRIM_400000_NS6detail17trampoline_kernelINS0_14default_configENS1_27scan_by_key_config_selectorIifEEZZNS1_16scan_by_key_implILNS1_25lookback_scan_determinismE0ELb1ES3_N6thrust23THRUST_200600_302600_NS6detail15normal_iteratorINS9_10device_ptrIiEEEENSB_INSC_IjEEEESE_fNS9_4plusIvEENS9_8equal_toIvEEfEE10hipError_tPvRmT2_T3_T4_T5_mT6_T7_P12ihipStream_tbENKUlT_T0_E_clISt17integral_constantIbLb1EES11_EEDaSW_SX_EUlSW_E_NS1_11comp_targetILNS1_3genE10ELNS1_11target_archE1200ELNS1_3gpuE4ELNS1_3repE0EEENS1_30default_config_static_selectorELNS0_4arch9wavefront6targetE1EEEvT1_.kd
    .uniform_work_group_size: 1
    .uses_dynamic_stack: false
    .vgpr_count:     0
    .vgpr_spill_count: 0
    .wavefront_size: 64
  - .agpr_count:     0
    .args:
      - .offset:         0
        .size:           112
        .value_kind:     by_value
    .group_segment_fixed_size: 0
    .kernarg_segment_align: 8
    .kernarg_segment_size: 112
    .language:       OpenCL C
    .language_version:
      - 2
      - 0
    .max_flat_workgroup_size: 256
    .name:           _ZN7rocprim17ROCPRIM_400000_NS6detail17trampoline_kernelINS0_14default_configENS1_27scan_by_key_config_selectorIifEEZZNS1_16scan_by_key_implILNS1_25lookback_scan_determinismE0ELb1ES3_N6thrust23THRUST_200600_302600_NS6detail15normal_iteratorINS9_10device_ptrIiEEEENSB_INSC_IjEEEESE_fNS9_4plusIvEENS9_8equal_toIvEEfEE10hipError_tPvRmT2_T3_T4_T5_mT6_T7_P12ihipStream_tbENKUlT_T0_E_clISt17integral_constantIbLb1EES11_EEDaSW_SX_EUlSW_E_NS1_11comp_targetILNS1_3genE9ELNS1_11target_archE1100ELNS1_3gpuE3ELNS1_3repE0EEENS1_30default_config_static_selectorELNS0_4arch9wavefront6targetE1EEEvT1_
    .private_segment_fixed_size: 0
    .sgpr_count:     4
    .sgpr_spill_count: 0
    .symbol:         _ZN7rocprim17ROCPRIM_400000_NS6detail17trampoline_kernelINS0_14default_configENS1_27scan_by_key_config_selectorIifEEZZNS1_16scan_by_key_implILNS1_25lookback_scan_determinismE0ELb1ES3_N6thrust23THRUST_200600_302600_NS6detail15normal_iteratorINS9_10device_ptrIiEEEENSB_INSC_IjEEEESE_fNS9_4plusIvEENS9_8equal_toIvEEfEE10hipError_tPvRmT2_T3_T4_T5_mT6_T7_P12ihipStream_tbENKUlT_T0_E_clISt17integral_constantIbLb1EES11_EEDaSW_SX_EUlSW_E_NS1_11comp_targetILNS1_3genE9ELNS1_11target_archE1100ELNS1_3gpuE3ELNS1_3repE0EEENS1_30default_config_static_selectorELNS0_4arch9wavefront6targetE1EEEvT1_.kd
    .uniform_work_group_size: 1
    .uses_dynamic_stack: false
    .vgpr_count:     0
    .vgpr_spill_count: 0
    .wavefront_size: 64
  - .agpr_count:     0
    .args:
      - .offset:         0
        .size:           112
        .value_kind:     by_value
    .group_segment_fixed_size: 0
    .kernarg_segment_align: 8
    .kernarg_segment_size: 112
    .language:       OpenCL C
    .language_version:
      - 2
      - 0
    .max_flat_workgroup_size: 256
    .name:           _ZN7rocprim17ROCPRIM_400000_NS6detail17trampoline_kernelINS0_14default_configENS1_27scan_by_key_config_selectorIifEEZZNS1_16scan_by_key_implILNS1_25lookback_scan_determinismE0ELb1ES3_N6thrust23THRUST_200600_302600_NS6detail15normal_iteratorINS9_10device_ptrIiEEEENSB_INSC_IjEEEESE_fNS9_4plusIvEENS9_8equal_toIvEEfEE10hipError_tPvRmT2_T3_T4_T5_mT6_T7_P12ihipStream_tbENKUlT_T0_E_clISt17integral_constantIbLb1EES11_EEDaSW_SX_EUlSW_E_NS1_11comp_targetILNS1_3genE8ELNS1_11target_archE1030ELNS1_3gpuE2ELNS1_3repE0EEENS1_30default_config_static_selectorELNS0_4arch9wavefront6targetE1EEEvT1_
    .private_segment_fixed_size: 0
    .sgpr_count:     4
    .sgpr_spill_count: 0
    .symbol:         _ZN7rocprim17ROCPRIM_400000_NS6detail17trampoline_kernelINS0_14default_configENS1_27scan_by_key_config_selectorIifEEZZNS1_16scan_by_key_implILNS1_25lookback_scan_determinismE0ELb1ES3_N6thrust23THRUST_200600_302600_NS6detail15normal_iteratorINS9_10device_ptrIiEEEENSB_INSC_IjEEEESE_fNS9_4plusIvEENS9_8equal_toIvEEfEE10hipError_tPvRmT2_T3_T4_T5_mT6_T7_P12ihipStream_tbENKUlT_T0_E_clISt17integral_constantIbLb1EES11_EEDaSW_SX_EUlSW_E_NS1_11comp_targetILNS1_3genE8ELNS1_11target_archE1030ELNS1_3gpuE2ELNS1_3repE0EEENS1_30default_config_static_selectorELNS0_4arch9wavefront6targetE1EEEvT1_.kd
    .uniform_work_group_size: 1
    .uses_dynamic_stack: false
    .vgpr_count:     0
    .vgpr_spill_count: 0
    .wavefront_size: 64
  - .agpr_count:     0
    .args:
      - .offset:         0
        .size:           112
        .value_kind:     by_value
    .group_segment_fixed_size: 0
    .kernarg_segment_align: 8
    .kernarg_segment_size: 112
    .language:       OpenCL C
    .language_version:
      - 2
      - 0
    .max_flat_workgroup_size: 256
    .name:           _ZN7rocprim17ROCPRIM_400000_NS6detail17trampoline_kernelINS0_14default_configENS1_27scan_by_key_config_selectorIifEEZZNS1_16scan_by_key_implILNS1_25lookback_scan_determinismE0ELb1ES3_N6thrust23THRUST_200600_302600_NS6detail15normal_iteratorINS9_10device_ptrIiEEEENSB_INSC_IjEEEESE_fNS9_4plusIvEENS9_8equal_toIvEEfEE10hipError_tPvRmT2_T3_T4_T5_mT6_T7_P12ihipStream_tbENKUlT_T0_E_clISt17integral_constantIbLb1EES10_IbLb0EEEEDaSW_SX_EUlSW_E_NS1_11comp_targetILNS1_3genE0ELNS1_11target_archE4294967295ELNS1_3gpuE0ELNS1_3repE0EEENS1_30default_config_static_selectorELNS0_4arch9wavefront6targetE1EEEvT1_
    .private_segment_fixed_size: 0
    .sgpr_count:     4
    .sgpr_spill_count: 0
    .symbol:         _ZN7rocprim17ROCPRIM_400000_NS6detail17trampoline_kernelINS0_14default_configENS1_27scan_by_key_config_selectorIifEEZZNS1_16scan_by_key_implILNS1_25lookback_scan_determinismE0ELb1ES3_N6thrust23THRUST_200600_302600_NS6detail15normal_iteratorINS9_10device_ptrIiEEEENSB_INSC_IjEEEESE_fNS9_4plusIvEENS9_8equal_toIvEEfEE10hipError_tPvRmT2_T3_T4_T5_mT6_T7_P12ihipStream_tbENKUlT_T0_E_clISt17integral_constantIbLb1EES10_IbLb0EEEEDaSW_SX_EUlSW_E_NS1_11comp_targetILNS1_3genE0ELNS1_11target_archE4294967295ELNS1_3gpuE0ELNS1_3repE0EEENS1_30default_config_static_selectorELNS0_4arch9wavefront6targetE1EEEvT1_.kd
    .uniform_work_group_size: 1
    .uses_dynamic_stack: false
    .vgpr_count:     0
    .vgpr_spill_count: 0
    .wavefront_size: 64
  - .agpr_count:     0
    .args:
      - .offset:         0
        .size:           112
        .value_kind:     by_value
    .group_segment_fixed_size: 0
    .kernarg_segment_align: 8
    .kernarg_segment_size: 112
    .language:       OpenCL C
    .language_version:
      - 2
      - 0
    .max_flat_workgroup_size: 256
    .name:           _ZN7rocprim17ROCPRIM_400000_NS6detail17trampoline_kernelINS0_14default_configENS1_27scan_by_key_config_selectorIifEEZZNS1_16scan_by_key_implILNS1_25lookback_scan_determinismE0ELb1ES3_N6thrust23THRUST_200600_302600_NS6detail15normal_iteratorINS9_10device_ptrIiEEEENSB_INSC_IjEEEESE_fNS9_4plusIvEENS9_8equal_toIvEEfEE10hipError_tPvRmT2_T3_T4_T5_mT6_T7_P12ihipStream_tbENKUlT_T0_E_clISt17integral_constantIbLb1EES10_IbLb0EEEEDaSW_SX_EUlSW_E_NS1_11comp_targetILNS1_3genE10ELNS1_11target_archE1201ELNS1_3gpuE5ELNS1_3repE0EEENS1_30default_config_static_selectorELNS0_4arch9wavefront6targetE1EEEvT1_
    .private_segment_fixed_size: 0
    .sgpr_count:     4
    .sgpr_spill_count: 0
    .symbol:         _ZN7rocprim17ROCPRIM_400000_NS6detail17trampoline_kernelINS0_14default_configENS1_27scan_by_key_config_selectorIifEEZZNS1_16scan_by_key_implILNS1_25lookback_scan_determinismE0ELb1ES3_N6thrust23THRUST_200600_302600_NS6detail15normal_iteratorINS9_10device_ptrIiEEEENSB_INSC_IjEEEESE_fNS9_4plusIvEENS9_8equal_toIvEEfEE10hipError_tPvRmT2_T3_T4_T5_mT6_T7_P12ihipStream_tbENKUlT_T0_E_clISt17integral_constantIbLb1EES10_IbLb0EEEEDaSW_SX_EUlSW_E_NS1_11comp_targetILNS1_3genE10ELNS1_11target_archE1201ELNS1_3gpuE5ELNS1_3repE0EEENS1_30default_config_static_selectorELNS0_4arch9wavefront6targetE1EEEvT1_.kd
    .uniform_work_group_size: 1
    .uses_dynamic_stack: false
    .vgpr_count:     0
    .vgpr_spill_count: 0
    .wavefront_size: 64
  - .agpr_count:     0
    .args:
      - .offset:         0
        .size:           112
        .value_kind:     by_value
    .group_segment_fixed_size: 0
    .kernarg_segment_align: 8
    .kernarg_segment_size: 112
    .language:       OpenCL C
    .language_version:
      - 2
      - 0
    .max_flat_workgroup_size: 256
    .name:           _ZN7rocprim17ROCPRIM_400000_NS6detail17trampoline_kernelINS0_14default_configENS1_27scan_by_key_config_selectorIifEEZZNS1_16scan_by_key_implILNS1_25lookback_scan_determinismE0ELb1ES3_N6thrust23THRUST_200600_302600_NS6detail15normal_iteratorINS9_10device_ptrIiEEEENSB_INSC_IjEEEESE_fNS9_4plusIvEENS9_8equal_toIvEEfEE10hipError_tPvRmT2_T3_T4_T5_mT6_T7_P12ihipStream_tbENKUlT_T0_E_clISt17integral_constantIbLb1EES10_IbLb0EEEEDaSW_SX_EUlSW_E_NS1_11comp_targetILNS1_3genE5ELNS1_11target_archE942ELNS1_3gpuE9ELNS1_3repE0EEENS1_30default_config_static_selectorELNS0_4arch9wavefront6targetE1EEEvT1_
    .private_segment_fixed_size: 0
    .sgpr_count:     4
    .sgpr_spill_count: 0
    .symbol:         _ZN7rocprim17ROCPRIM_400000_NS6detail17trampoline_kernelINS0_14default_configENS1_27scan_by_key_config_selectorIifEEZZNS1_16scan_by_key_implILNS1_25lookback_scan_determinismE0ELb1ES3_N6thrust23THRUST_200600_302600_NS6detail15normal_iteratorINS9_10device_ptrIiEEEENSB_INSC_IjEEEESE_fNS9_4plusIvEENS9_8equal_toIvEEfEE10hipError_tPvRmT2_T3_T4_T5_mT6_T7_P12ihipStream_tbENKUlT_T0_E_clISt17integral_constantIbLb1EES10_IbLb0EEEEDaSW_SX_EUlSW_E_NS1_11comp_targetILNS1_3genE5ELNS1_11target_archE942ELNS1_3gpuE9ELNS1_3repE0EEENS1_30default_config_static_selectorELNS0_4arch9wavefront6targetE1EEEvT1_.kd
    .uniform_work_group_size: 1
    .uses_dynamic_stack: false
    .vgpr_count:     0
    .vgpr_spill_count: 0
    .wavefront_size: 64
  - .agpr_count:     0
    .args:
      - .offset:         0
        .size:           112
        .value_kind:     by_value
    .group_segment_fixed_size: 16384
    .kernarg_segment_align: 8
    .kernarg_segment_size: 112
    .language:       OpenCL C
    .language_version:
      - 2
      - 0
    .max_flat_workgroup_size: 256
    .name:           _ZN7rocprim17ROCPRIM_400000_NS6detail17trampoline_kernelINS0_14default_configENS1_27scan_by_key_config_selectorIifEEZZNS1_16scan_by_key_implILNS1_25lookback_scan_determinismE0ELb1ES3_N6thrust23THRUST_200600_302600_NS6detail15normal_iteratorINS9_10device_ptrIiEEEENSB_INSC_IjEEEESE_fNS9_4plusIvEENS9_8equal_toIvEEfEE10hipError_tPvRmT2_T3_T4_T5_mT6_T7_P12ihipStream_tbENKUlT_T0_E_clISt17integral_constantIbLb1EES10_IbLb0EEEEDaSW_SX_EUlSW_E_NS1_11comp_targetILNS1_3genE4ELNS1_11target_archE910ELNS1_3gpuE8ELNS1_3repE0EEENS1_30default_config_static_selectorELNS0_4arch9wavefront6targetE1EEEvT1_
    .private_segment_fixed_size: 0
    .sgpr_count:     63
    .sgpr_spill_count: 0
    .symbol:         _ZN7rocprim17ROCPRIM_400000_NS6detail17trampoline_kernelINS0_14default_configENS1_27scan_by_key_config_selectorIifEEZZNS1_16scan_by_key_implILNS1_25lookback_scan_determinismE0ELb1ES3_N6thrust23THRUST_200600_302600_NS6detail15normal_iteratorINS9_10device_ptrIiEEEENSB_INSC_IjEEEESE_fNS9_4plusIvEENS9_8equal_toIvEEfEE10hipError_tPvRmT2_T3_T4_T5_mT6_T7_P12ihipStream_tbENKUlT_T0_E_clISt17integral_constantIbLb1EES10_IbLb0EEEEDaSW_SX_EUlSW_E_NS1_11comp_targetILNS1_3genE4ELNS1_11target_archE910ELNS1_3gpuE8ELNS1_3repE0EEENS1_30default_config_static_selectorELNS0_4arch9wavefront6targetE1EEEvT1_.kd
    .uniform_work_group_size: 1
    .uses_dynamic_stack: false
    .vgpr_count:     65
    .vgpr_spill_count: 0
    .wavefront_size: 64
  - .agpr_count:     0
    .args:
      - .offset:         0
        .size:           112
        .value_kind:     by_value
    .group_segment_fixed_size: 0
    .kernarg_segment_align: 8
    .kernarg_segment_size: 112
    .language:       OpenCL C
    .language_version:
      - 2
      - 0
    .max_flat_workgroup_size: 256
    .name:           _ZN7rocprim17ROCPRIM_400000_NS6detail17trampoline_kernelINS0_14default_configENS1_27scan_by_key_config_selectorIifEEZZNS1_16scan_by_key_implILNS1_25lookback_scan_determinismE0ELb1ES3_N6thrust23THRUST_200600_302600_NS6detail15normal_iteratorINS9_10device_ptrIiEEEENSB_INSC_IjEEEESE_fNS9_4plusIvEENS9_8equal_toIvEEfEE10hipError_tPvRmT2_T3_T4_T5_mT6_T7_P12ihipStream_tbENKUlT_T0_E_clISt17integral_constantIbLb1EES10_IbLb0EEEEDaSW_SX_EUlSW_E_NS1_11comp_targetILNS1_3genE3ELNS1_11target_archE908ELNS1_3gpuE7ELNS1_3repE0EEENS1_30default_config_static_selectorELNS0_4arch9wavefront6targetE1EEEvT1_
    .private_segment_fixed_size: 0
    .sgpr_count:     4
    .sgpr_spill_count: 0
    .symbol:         _ZN7rocprim17ROCPRIM_400000_NS6detail17trampoline_kernelINS0_14default_configENS1_27scan_by_key_config_selectorIifEEZZNS1_16scan_by_key_implILNS1_25lookback_scan_determinismE0ELb1ES3_N6thrust23THRUST_200600_302600_NS6detail15normal_iteratorINS9_10device_ptrIiEEEENSB_INSC_IjEEEESE_fNS9_4plusIvEENS9_8equal_toIvEEfEE10hipError_tPvRmT2_T3_T4_T5_mT6_T7_P12ihipStream_tbENKUlT_T0_E_clISt17integral_constantIbLb1EES10_IbLb0EEEEDaSW_SX_EUlSW_E_NS1_11comp_targetILNS1_3genE3ELNS1_11target_archE908ELNS1_3gpuE7ELNS1_3repE0EEENS1_30default_config_static_selectorELNS0_4arch9wavefront6targetE1EEEvT1_.kd
    .uniform_work_group_size: 1
    .uses_dynamic_stack: false
    .vgpr_count:     0
    .vgpr_spill_count: 0
    .wavefront_size: 64
  - .agpr_count:     0
    .args:
      - .offset:         0
        .size:           112
        .value_kind:     by_value
    .group_segment_fixed_size: 0
    .kernarg_segment_align: 8
    .kernarg_segment_size: 112
    .language:       OpenCL C
    .language_version:
      - 2
      - 0
    .max_flat_workgroup_size: 256
    .name:           _ZN7rocprim17ROCPRIM_400000_NS6detail17trampoline_kernelINS0_14default_configENS1_27scan_by_key_config_selectorIifEEZZNS1_16scan_by_key_implILNS1_25lookback_scan_determinismE0ELb1ES3_N6thrust23THRUST_200600_302600_NS6detail15normal_iteratorINS9_10device_ptrIiEEEENSB_INSC_IjEEEESE_fNS9_4plusIvEENS9_8equal_toIvEEfEE10hipError_tPvRmT2_T3_T4_T5_mT6_T7_P12ihipStream_tbENKUlT_T0_E_clISt17integral_constantIbLb1EES10_IbLb0EEEEDaSW_SX_EUlSW_E_NS1_11comp_targetILNS1_3genE2ELNS1_11target_archE906ELNS1_3gpuE6ELNS1_3repE0EEENS1_30default_config_static_selectorELNS0_4arch9wavefront6targetE1EEEvT1_
    .private_segment_fixed_size: 0
    .sgpr_count:     4
    .sgpr_spill_count: 0
    .symbol:         _ZN7rocprim17ROCPRIM_400000_NS6detail17trampoline_kernelINS0_14default_configENS1_27scan_by_key_config_selectorIifEEZZNS1_16scan_by_key_implILNS1_25lookback_scan_determinismE0ELb1ES3_N6thrust23THRUST_200600_302600_NS6detail15normal_iteratorINS9_10device_ptrIiEEEENSB_INSC_IjEEEESE_fNS9_4plusIvEENS9_8equal_toIvEEfEE10hipError_tPvRmT2_T3_T4_T5_mT6_T7_P12ihipStream_tbENKUlT_T0_E_clISt17integral_constantIbLb1EES10_IbLb0EEEEDaSW_SX_EUlSW_E_NS1_11comp_targetILNS1_3genE2ELNS1_11target_archE906ELNS1_3gpuE6ELNS1_3repE0EEENS1_30default_config_static_selectorELNS0_4arch9wavefront6targetE1EEEvT1_.kd
    .uniform_work_group_size: 1
    .uses_dynamic_stack: false
    .vgpr_count:     0
    .vgpr_spill_count: 0
    .wavefront_size: 64
  - .agpr_count:     0
    .args:
      - .offset:         0
        .size:           112
        .value_kind:     by_value
    .group_segment_fixed_size: 0
    .kernarg_segment_align: 8
    .kernarg_segment_size: 112
    .language:       OpenCL C
    .language_version:
      - 2
      - 0
    .max_flat_workgroup_size: 256
    .name:           _ZN7rocprim17ROCPRIM_400000_NS6detail17trampoline_kernelINS0_14default_configENS1_27scan_by_key_config_selectorIifEEZZNS1_16scan_by_key_implILNS1_25lookback_scan_determinismE0ELb1ES3_N6thrust23THRUST_200600_302600_NS6detail15normal_iteratorINS9_10device_ptrIiEEEENSB_INSC_IjEEEESE_fNS9_4plusIvEENS9_8equal_toIvEEfEE10hipError_tPvRmT2_T3_T4_T5_mT6_T7_P12ihipStream_tbENKUlT_T0_E_clISt17integral_constantIbLb1EES10_IbLb0EEEEDaSW_SX_EUlSW_E_NS1_11comp_targetILNS1_3genE10ELNS1_11target_archE1200ELNS1_3gpuE4ELNS1_3repE0EEENS1_30default_config_static_selectorELNS0_4arch9wavefront6targetE1EEEvT1_
    .private_segment_fixed_size: 0
    .sgpr_count:     4
    .sgpr_spill_count: 0
    .symbol:         _ZN7rocprim17ROCPRIM_400000_NS6detail17trampoline_kernelINS0_14default_configENS1_27scan_by_key_config_selectorIifEEZZNS1_16scan_by_key_implILNS1_25lookback_scan_determinismE0ELb1ES3_N6thrust23THRUST_200600_302600_NS6detail15normal_iteratorINS9_10device_ptrIiEEEENSB_INSC_IjEEEESE_fNS9_4plusIvEENS9_8equal_toIvEEfEE10hipError_tPvRmT2_T3_T4_T5_mT6_T7_P12ihipStream_tbENKUlT_T0_E_clISt17integral_constantIbLb1EES10_IbLb0EEEEDaSW_SX_EUlSW_E_NS1_11comp_targetILNS1_3genE10ELNS1_11target_archE1200ELNS1_3gpuE4ELNS1_3repE0EEENS1_30default_config_static_selectorELNS0_4arch9wavefront6targetE1EEEvT1_.kd
    .uniform_work_group_size: 1
    .uses_dynamic_stack: false
    .vgpr_count:     0
    .vgpr_spill_count: 0
    .wavefront_size: 64
  - .agpr_count:     0
    .args:
      - .offset:         0
        .size:           112
        .value_kind:     by_value
    .group_segment_fixed_size: 0
    .kernarg_segment_align: 8
    .kernarg_segment_size: 112
    .language:       OpenCL C
    .language_version:
      - 2
      - 0
    .max_flat_workgroup_size: 256
    .name:           _ZN7rocprim17ROCPRIM_400000_NS6detail17trampoline_kernelINS0_14default_configENS1_27scan_by_key_config_selectorIifEEZZNS1_16scan_by_key_implILNS1_25lookback_scan_determinismE0ELb1ES3_N6thrust23THRUST_200600_302600_NS6detail15normal_iteratorINS9_10device_ptrIiEEEENSB_INSC_IjEEEESE_fNS9_4plusIvEENS9_8equal_toIvEEfEE10hipError_tPvRmT2_T3_T4_T5_mT6_T7_P12ihipStream_tbENKUlT_T0_E_clISt17integral_constantIbLb1EES10_IbLb0EEEEDaSW_SX_EUlSW_E_NS1_11comp_targetILNS1_3genE9ELNS1_11target_archE1100ELNS1_3gpuE3ELNS1_3repE0EEENS1_30default_config_static_selectorELNS0_4arch9wavefront6targetE1EEEvT1_
    .private_segment_fixed_size: 0
    .sgpr_count:     4
    .sgpr_spill_count: 0
    .symbol:         _ZN7rocprim17ROCPRIM_400000_NS6detail17trampoline_kernelINS0_14default_configENS1_27scan_by_key_config_selectorIifEEZZNS1_16scan_by_key_implILNS1_25lookback_scan_determinismE0ELb1ES3_N6thrust23THRUST_200600_302600_NS6detail15normal_iteratorINS9_10device_ptrIiEEEENSB_INSC_IjEEEESE_fNS9_4plusIvEENS9_8equal_toIvEEfEE10hipError_tPvRmT2_T3_T4_T5_mT6_T7_P12ihipStream_tbENKUlT_T0_E_clISt17integral_constantIbLb1EES10_IbLb0EEEEDaSW_SX_EUlSW_E_NS1_11comp_targetILNS1_3genE9ELNS1_11target_archE1100ELNS1_3gpuE3ELNS1_3repE0EEENS1_30default_config_static_selectorELNS0_4arch9wavefront6targetE1EEEvT1_.kd
    .uniform_work_group_size: 1
    .uses_dynamic_stack: false
    .vgpr_count:     0
    .vgpr_spill_count: 0
    .wavefront_size: 64
  - .agpr_count:     0
    .args:
      - .offset:         0
        .size:           112
        .value_kind:     by_value
    .group_segment_fixed_size: 0
    .kernarg_segment_align: 8
    .kernarg_segment_size: 112
    .language:       OpenCL C
    .language_version:
      - 2
      - 0
    .max_flat_workgroup_size: 256
    .name:           _ZN7rocprim17ROCPRIM_400000_NS6detail17trampoline_kernelINS0_14default_configENS1_27scan_by_key_config_selectorIifEEZZNS1_16scan_by_key_implILNS1_25lookback_scan_determinismE0ELb1ES3_N6thrust23THRUST_200600_302600_NS6detail15normal_iteratorINS9_10device_ptrIiEEEENSB_INSC_IjEEEESE_fNS9_4plusIvEENS9_8equal_toIvEEfEE10hipError_tPvRmT2_T3_T4_T5_mT6_T7_P12ihipStream_tbENKUlT_T0_E_clISt17integral_constantIbLb1EES10_IbLb0EEEEDaSW_SX_EUlSW_E_NS1_11comp_targetILNS1_3genE8ELNS1_11target_archE1030ELNS1_3gpuE2ELNS1_3repE0EEENS1_30default_config_static_selectorELNS0_4arch9wavefront6targetE1EEEvT1_
    .private_segment_fixed_size: 0
    .sgpr_count:     4
    .sgpr_spill_count: 0
    .symbol:         _ZN7rocprim17ROCPRIM_400000_NS6detail17trampoline_kernelINS0_14default_configENS1_27scan_by_key_config_selectorIifEEZZNS1_16scan_by_key_implILNS1_25lookback_scan_determinismE0ELb1ES3_N6thrust23THRUST_200600_302600_NS6detail15normal_iteratorINS9_10device_ptrIiEEEENSB_INSC_IjEEEESE_fNS9_4plusIvEENS9_8equal_toIvEEfEE10hipError_tPvRmT2_T3_T4_T5_mT6_T7_P12ihipStream_tbENKUlT_T0_E_clISt17integral_constantIbLb1EES10_IbLb0EEEEDaSW_SX_EUlSW_E_NS1_11comp_targetILNS1_3genE8ELNS1_11target_archE1030ELNS1_3gpuE2ELNS1_3repE0EEENS1_30default_config_static_selectorELNS0_4arch9wavefront6targetE1EEEvT1_.kd
    .uniform_work_group_size: 1
    .uses_dynamic_stack: false
    .vgpr_count:     0
    .vgpr_spill_count: 0
    .wavefront_size: 64
  - .agpr_count:     0
    .args:
      - .offset:         0
        .size:           112
        .value_kind:     by_value
    .group_segment_fixed_size: 0
    .kernarg_segment_align: 8
    .kernarg_segment_size: 112
    .language:       OpenCL C
    .language_version:
      - 2
      - 0
    .max_flat_workgroup_size: 256
    .name:           _ZN7rocprim17ROCPRIM_400000_NS6detail17trampoline_kernelINS0_14default_configENS1_27scan_by_key_config_selectorIifEEZZNS1_16scan_by_key_implILNS1_25lookback_scan_determinismE0ELb1ES3_N6thrust23THRUST_200600_302600_NS6detail15normal_iteratorINS9_10device_ptrIiEEEENSB_INSC_IjEEEESE_fNS9_4plusIvEENS9_8equal_toIvEEfEE10hipError_tPvRmT2_T3_T4_T5_mT6_T7_P12ihipStream_tbENKUlT_T0_E_clISt17integral_constantIbLb0EES10_IbLb1EEEEDaSW_SX_EUlSW_E_NS1_11comp_targetILNS1_3genE0ELNS1_11target_archE4294967295ELNS1_3gpuE0ELNS1_3repE0EEENS1_30default_config_static_selectorELNS0_4arch9wavefront6targetE1EEEvT1_
    .private_segment_fixed_size: 0
    .sgpr_count:     4
    .sgpr_spill_count: 0
    .symbol:         _ZN7rocprim17ROCPRIM_400000_NS6detail17trampoline_kernelINS0_14default_configENS1_27scan_by_key_config_selectorIifEEZZNS1_16scan_by_key_implILNS1_25lookback_scan_determinismE0ELb1ES3_N6thrust23THRUST_200600_302600_NS6detail15normal_iteratorINS9_10device_ptrIiEEEENSB_INSC_IjEEEESE_fNS9_4plusIvEENS9_8equal_toIvEEfEE10hipError_tPvRmT2_T3_T4_T5_mT6_T7_P12ihipStream_tbENKUlT_T0_E_clISt17integral_constantIbLb0EES10_IbLb1EEEEDaSW_SX_EUlSW_E_NS1_11comp_targetILNS1_3genE0ELNS1_11target_archE4294967295ELNS1_3gpuE0ELNS1_3repE0EEENS1_30default_config_static_selectorELNS0_4arch9wavefront6targetE1EEEvT1_.kd
    .uniform_work_group_size: 1
    .uses_dynamic_stack: false
    .vgpr_count:     0
    .vgpr_spill_count: 0
    .wavefront_size: 64
  - .agpr_count:     0
    .args:
      - .offset:         0
        .size:           112
        .value_kind:     by_value
    .group_segment_fixed_size: 0
    .kernarg_segment_align: 8
    .kernarg_segment_size: 112
    .language:       OpenCL C
    .language_version:
      - 2
      - 0
    .max_flat_workgroup_size: 256
    .name:           _ZN7rocprim17ROCPRIM_400000_NS6detail17trampoline_kernelINS0_14default_configENS1_27scan_by_key_config_selectorIifEEZZNS1_16scan_by_key_implILNS1_25lookback_scan_determinismE0ELb1ES3_N6thrust23THRUST_200600_302600_NS6detail15normal_iteratorINS9_10device_ptrIiEEEENSB_INSC_IjEEEESE_fNS9_4plusIvEENS9_8equal_toIvEEfEE10hipError_tPvRmT2_T3_T4_T5_mT6_T7_P12ihipStream_tbENKUlT_T0_E_clISt17integral_constantIbLb0EES10_IbLb1EEEEDaSW_SX_EUlSW_E_NS1_11comp_targetILNS1_3genE10ELNS1_11target_archE1201ELNS1_3gpuE5ELNS1_3repE0EEENS1_30default_config_static_selectorELNS0_4arch9wavefront6targetE1EEEvT1_
    .private_segment_fixed_size: 0
    .sgpr_count:     4
    .sgpr_spill_count: 0
    .symbol:         _ZN7rocprim17ROCPRIM_400000_NS6detail17trampoline_kernelINS0_14default_configENS1_27scan_by_key_config_selectorIifEEZZNS1_16scan_by_key_implILNS1_25lookback_scan_determinismE0ELb1ES3_N6thrust23THRUST_200600_302600_NS6detail15normal_iteratorINS9_10device_ptrIiEEEENSB_INSC_IjEEEESE_fNS9_4plusIvEENS9_8equal_toIvEEfEE10hipError_tPvRmT2_T3_T4_T5_mT6_T7_P12ihipStream_tbENKUlT_T0_E_clISt17integral_constantIbLb0EES10_IbLb1EEEEDaSW_SX_EUlSW_E_NS1_11comp_targetILNS1_3genE10ELNS1_11target_archE1201ELNS1_3gpuE5ELNS1_3repE0EEENS1_30default_config_static_selectorELNS0_4arch9wavefront6targetE1EEEvT1_.kd
    .uniform_work_group_size: 1
    .uses_dynamic_stack: false
    .vgpr_count:     0
    .vgpr_spill_count: 0
    .wavefront_size: 64
  - .agpr_count:     0
    .args:
      - .offset:         0
        .size:           112
        .value_kind:     by_value
    .group_segment_fixed_size: 0
    .kernarg_segment_align: 8
    .kernarg_segment_size: 112
    .language:       OpenCL C
    .language_version:
      - 2
      - 0
    .max_flat_workgroup_size: 256
    .name:           _ZN7rocprim17ROCPRIM_400000_NS6detail17trampoline_kernelINS0_14default_configENS1_27scan_by_key_config_selectorIifEEZZNS1_16scan_by_key_implILNS1_25lookback_scan_determinismE0ELb1ES3_N6thrust23THRUST_200600_302600_NS6detail15normal_iteratorINS9_10device_ptrIiEEEENSB_INSC_IjEEEESE_fNS9_4plusIvEENS9_8equal_toIvEEfEE10hipError_tPvRmT2_T3_T4_T5_mT6_T7_P12ihipStream_tbENKUlT_T0_E_clISt17integral_constantIbLb0EES10_IbLb1EEEEDaSW_SX_EUlSW_E_NS1_11comp_targetILNS1_3genE5ELNS1_11target_archE942ELNS1_3gpuE9ELNS1_3repE0EEENS1_30default_config_static_selectorELNS0_4arch9wavefront6targetE1EEEvT1_
    .private_segment_fixed_size: 0
    .sgpr_count:     4
    .sgpr_spill_count: 0
    .symbol:         _ZN7rocprim17ROCPRIM_400000_NS6detail17trampoline_kernelINS0_14default_configENS1_27scan_by_key_config_selectorIifEEZZNS1_16scan_by_key_implILNS1_25lookback_scan_determinismE0ELb1ES3_N6thrust23THRUST_200600_302600_NS6detail15normal_iteratorINS9_10device_ptrIiEEEENSB_INSC_IjEEEESE_fNS9_4plusIvEENS9_8equal_toIvEEfEE10hipError_tPvRmT2_T3_T4_T5_mT6_T7_P12ihipStream_tbENKUlT_T0_E_clISt17integral_constantIbLb0EES10_IbLb1EEEEDaSW_SX_EUlSW_E_NS1_11comp_targetILNS1_3genE5ELNS1_11target_archE942ELNS1_3gpuE9ELNS1_3repE0EEENS1_30default_config_static_selectorELNS0_4arch9wavefront6targetE1EEEvT1_.kd
    .uniform_work_group_size: 1
    .uses_dynamic_stack: false
    .vgpr_count:     0
    .vgpr_spill_count: 0
    .wavefront_size: 64
  - .agpr_count:     0
    .args:
      - .offset:         0
        .size:           112
        .value_kind:     by_value
    .group_segment_fixed_size: 16384
    .kernarg_segment_align: 8
    .kernarg_segment_size: 112
    .language:       OpenCL C
    .language_version:
      - 2
      - 0
    .max_flat_workgroup_size: 256
    .name:           _ZN7rocprim17ROCPRIM_400000_NS6detail17trampoline_kernelINS0_14default_configENS1_27scan_by_key_config_selectorIifEEZZNS1_16scan_by_key_implILNS1_25lookback_scan_determinismE0ELb1ES3_N6thrust23THRUST_200600_302600_NS6detail15normal_iteratorINS9_10device_ptrIiEEEENSB_INSC_IjEEEESE_fNS9_4plusIvEENS9_8equal_toIvEEfEE10hipError_tPvRmT2_T3_T4_T5_mT6_T7_P12ihipStream_tbENKUlT_T0_E_clISt17integral_constantIbLb0EES10_IbLb1EEEEDaSW_SX_EUlSW_E_NS1_11comp_targetILNS1_3genE4ELNS1_11target_archE910ELNS1_3gpuE8ELNS1_3repE0EEENS1_30default_config_static_selectorELNS0_4arch9wavefront6targetE1EEEvT1_
    .private_segment_fixed_size: 0
    .sgpr_count:     64
    .sgpr_spill_count: 0
    .symbol:         _ZN7rocprim17ROCPRIM_400000_NS6detail17trampoline_kernelINS0_14default_configENS1_27scan_by_key_config_selectorIifEEZZNS1_16scan_by_key_implILNS1_25lookback_scan_determinismE0ELb1ES3_N6thrust23THRUST_200600_302600_NS6detail15normal_iteratorINS9_10device_ptrIiEEEENSB_INSC_IjEEEESE_fNS9_4plusIvEENS9_8equal_toIvEEfEE10hipError_tPvRmT2_T3_T4_T5_mT6_T7_P12ihipStream_tbENKUlT_T0_E_clISt17integral_constantIbLb0EES10_IbLb1EEEEDaSW_SX_EUlSW_E_NS1_11comp_targetILNS1_3genE4ELNS1_11target_archE910ELNS1_3gpuE8ELNS1_3repE0EEENS1_30default_config_static_selectorELNS0_4arch9wavefront6targetE1EEEvT1_.kd
    .uniform_work_group_size: 1
    .uses_dynamic_stack: false
    .vgpr_count:     67
    .vgpr_spill_count: 0
    .wavefront_size: 64
  - .agpr_count:     0
    .args:
      - .offset:         0
        .size:           112
        .value_kind:     by_value
    .group_segment_fixed_size: 0
    .kernarg_segment_align: 8
    .kernarg_segment_size: 112
    .language:       OpenCL C
    .language_version:
      - 2
      - 0
    .max_flat_workgroup_size: 256
    .name:           _ZN7rocprim17ROCPRIM_400000_NS6detail17trampoline_kernelINS0_14default_configENS1_27scan_by_key_config_selectorIifEEZZNS1_16scan_by_key_implILNS1_25lookback_scan_determinismE0ELb1ES3_N6thrust23THRUST_200600_302600_NS6detail15normal_iteratorINS9_10device_ptrIiEEEENSB_INSC_IjEEEESE_fNS9_4plusIvEENS9_8equal_toIvEEfEE10hipError_tPvRmT2_T3_T4_T5_mT6_T7_P12ihipStream_tbENKUlT_T0_E_clISt17integral_constantIbLb0EES10_IbLb1EEEEDaSW_SX_EUlSW_E_NS1_11comp_targetILNS1_3genE3ELNS1_11target_archE908ELNS1_3gpuE7ELNS1_3repE0EEENS1_30default_config_static_selectorELNS0_4arch9wavefront6targetE1EEEvT1_
    .private_segment_fixed_size: 0
    .sgpr_count:     4
    .sgpr_spill_count: 0
    .symbol:         _ZN7rocprim17ROCPRIM_400000_NS6detail17trampoline_kernelINS0_14default_configENS1_27scan_by_key_config_selectorIifEEZZNS1_16scan_by_key_implILNS1_25lookback_scan_determinismE0ELb1ES3_N6thrust23THRUST_200600_302600_NS6detail15normal_iteratorINS9_10device_ptrIiEEEENSB_INSC_IjEEEESE_fNS9_4plusIvEENS9_8equal_toIvEEfEE10hipError_tPvRmT2_T3_T4_T5_mT6_T7_P12ihipStream_tbENKUlT_T0_E_clISt17integral_constantIbLb0EES10_IbLb1EEEEDaSW_SX_EUlSW_E_NS1_11comp_targetILNS1_3genE3ELNS1_11target_archE908ELNS1_3gpuE7ELNS1_3repE0EEENS1_30default_config_static_selectorELNS0_4arch9wavefront6targetE1EEEvT1_.kd
    .uniform_work_group_size: 1
    .uses_dynamic_stack: false
    .vgpr_count:     0
    .vgpr_spill_count: 0
    .wavefront_size: 64
  - .agpr_count:     0
    .args:
      - .offset:         0
        .size:           112
        .value_kind:     by_value
    .group_segment_fixed_size: 0
    .kernarg_segment_align: 8
    .kernarg_segment_size: 112
    .language:       OpenCL C
    .language_version:
      - 2
      - 0
    .max_flat_workgroup_size: 256
    .name:           _ZN7rocprim17ROCPRIM_400000_NS6detail17trampoline_kernelINS0_14default_configENS1_27scan_by_key_config_selectorIifEEZZNS1_16scan_by_key_implILNS1_25lookback_scan_determinismE0ELb1ES3_N6thrust23THRUST_200600_302600_NS6detail15normal_iteratorINS9_10device_ptrIiEEEENSB_INSC_IjEEEESE_fNS9_4plusIvEENS9_8equal_toIvEEfEE10hipError_tPvRmT2_T3_T4_T5_mT6_T7_P12ihipStream_tbENKUlT_T0_E_clISt17integral_constantIbLb0EES10_IbLb1EEEEDaSW_SX_EUlSW_E_NS1_11comp_targetILNS1_3genE2ELNS1_11target_archE906ELNS1_3gpuE6ELNS1_3repE0EEENS1_30default_config_static_selectorELNS0_4arch9wavefront6targetE1EEEvT1_
    .private_segment_fixed_size: 0
    .sgpr_count:     4
    .sgpr_spill_count: 0
    .symbol:         _ZN7rocprim17ROCPRIM_400000_NS6detail17trampoline_kernelINS0_14default_configENS1_27scan_by_key_config_selectorIifEEZZNS1_16scan_by_key_implILNS1_25lookback_scan_determinismE0ELb1ES3_N6thrust23THRUST_200600_302600_NS6detail15normal_iteratorINS9_10device_ptrIiEEEENSB_INSC_IjEEEESE_fNS9_4plusIvEENS9_8equal_toIvEEfEE10hipError_tPvRmT2_T3_T4_T5_mT6_T7_P12ihipStream_tbENKUlT_T0_E_clISt17integral_constantIbLb0EES10_IbLb1EEEEDaSW_SX_EUlSW_E_NS1_11comp_targetILNS1_3genE2ELNS1_11target_archE906ELNS1_3gpuE6ELNS1_3repE0EEENS1_30default_config_static_selectorELNS0_4arch9wavefront6targetE1EEEvT1_.kd
    .uniform_work_group_size: 1
    .uses_dynamic_stack: false
    .vgpr_count:     0
    .vgpr_spill_count: 0
    .wavefront_size: 64
  - .agpr_count:     0
    .args:
      - .offset:         0
        .size:           112
        .value_kind:     by_value
    .group_segment_fixed_size: 0
    .kernarg_segment_align: 8
    .kernarg_segment_size: 112
    .language:       OpenCL C
    .language_version:
      - 2
      - 0
    .max_flat_workgroup_size: 256
    .name:           _ZN7rocprim17ROCPRIM_400000_NS6detail17trampoline_kernelINS0_14default_configENS1_27scan_by_key_config_selectorIifEEZZNS1_16scan_by_key_implILNS1_25lookback_scan_determinismE0ELb1ES3_N6thrust23THRUST_200600_302600_NS6detail15normal_iteratorINS9_10device_ptrIiEEEENSB_INSC_IjEEEESE_fNS9_4plusIvEENS9_8equal_toIvEEfEE10hipError_tPvRmT2_T3_T4_T5_mT6_T7_P12ihipStream_tbENKUlT_T0_E_clISt17integral_constantIbLb0EES10_IbLb1EEEEDaSW_SX_EUlSW_E_NS1_11comp_targetILNS1_3genE10ELNS1_11target_archE1200ELNS1_3gpuE4ELNS1_3repE0EEENS1_30default_config_static_selectorELNS0_4arch9wavefront6targetE1EEEvT1_
    .private_segment_fixed_size: 0
    .sgpr_count:     4
    .sgpr_spill_count: 0
    .symbol:         _ZN7rocprim17ROCPRIM_400000_NS6detail17trampoline_kernelINS0_14default_configENS1_27scan_by_key_config_selectorIifEEZZNS1_16scan_by_key_implILNS1_25lookback_scan_determinismE0ELb1ES3_N6thrust23THRUST_200600_302600_NS6detail15normal_iteratorINS9_10device_ptrIiEEEENSB_INSC_IjEEEESE_fNS9_4plusIvEENS9_8equal_toIvEEfEE10hipError_tPvRmT2_T3_T4_T5_mT6_T7_P12ihipStream_tbENKUlT_T0_E_clISt17integral_constantIbLb0EES10_IbLb1EEEEDaSW_SX_EUlSW_E_NS1_11comp_targetILNS1_3genE10ELNS1_11target_archE1200ELNS1_3gpuE4ELNS1_3repE0EEENS1_30default_config_static_selectorELNS0_4arch9wavefront6targetE1EEEvT1_.kd
    .uniform_work_group_size: 1
    .uses_dynamic_stack: false
    .vgpr_count:     0
    .vgpr_spill_count: 0
    .wavefront_size: 64
  - .agpr_count:     0
    .args:
      - .offset:         0
        .size:           112
        .value_kind:     by_value
    .group_segment_fixed_size: 0
    .kernarg_segment_align: 8
    .kernarg_segment_size: 112
    .language:       OpenCL C
    .language_version:
      - 2
      - 0
    .max_flat_workgroup_size: 256
    .name:           _ZN7rocprim17ROCPRIM_400000_NS6detail17trampoline_kernelINS0_14default_configENS1_27scan_by_key_config_selectorIifEEZZNS1_16scan_by_key_implILNS1_25lookback_scan_determinismE0ELb1ES3_N6thrust23THRUST_200600_302600_NS6detail15normal_iteratorINS9_10device_ptrIiEEEENSB_INSC_IjEEEESE_fNS9_4plusIvEENS9_8equal_toIvEEfEE10hipError_tPvRmT2_T3_T4_T5_mT6_T7_P12ihipStream_tbENKUlT_T0_E_clISt17integral_constantIbLb0EES10_IbLb1EEEEDaSW_SX_EUlSW_E_NS1_11comp_targetILNS1_3genE9ELNS1_11target_archE1100ELNS1_3gpuE3ELNS1_3repE0EEENS1_30default_config_static_selectorELNS0_4arch9wavefront6targetE1EEEvT1_
    .private_segment_fixed_size: 0
    .sgpr_count:     4
    .sgpr_spill_count: 0
    .symbol:         _ZN7rocprim17ROCPRIM_400000_NS6detail17trampoline_kernelINS0_14default_configENS1_27scan_by_key_config_selectorIifEEZZNS1_16scan_by_key_implILNS1_25lookback_scan_determinismE0ELb1ES3_N6thrust23THRUST_200600_302600_NS6detail15normal_iteratorINS9_10device_ptrIiEEEENSB_INSC_IjEEEESE_fNS9_4plusIvEENS9_8equal_toIvEEfEE10hipError_tPvRmT2_T3_T4_T5_mT6_T7_P12ihipStream_tbENKUlT_T0_E_clISt17integral_constantIbLb0EES10_IbLb1EEEEDaSW_SX_EUlSW_E_NS1_11comp_targetILNS1_3genE9ELNS1_11target_archE1100ELNS1_3gpuE3ELNS1_3repE0EEENS1_30default_config_static_selectorELNS0_4arch9wavefront6targetE1EEEvT1_.kd
    .uniform_work_group_size: 1
    .uses_dynamic_stack: false
    .vgpr_count:     0
    .vgpr_spill_count: 0
    .wavefront_size: 64
  - .agpr_count:     0
    .args:
      - .offset:         0
        .size:           112
        .value_kind:     by_value
    .group_segment_fixed_size: 0
    .kernarg_segment_align: 8
    .kernarg_segment_size: 112
    .language:       OpenCL C
    .language_version:
      - 2
      - 0
    .max_flat_workgroup_size: 256
    .name:           _ZN7rocprim17ROCPRIM_400000_NS6detail17trampoline_kernelINS0_14default_configENS1_27scan_by_key_config_selectorIifEEZZNS1_16scan_by_key_implILNS1_25lookback_scan_determinismE0ELb1ES3_N6thrust23THRUST_200600_302600_NS6detail15normal_iteratorINS9_10device_ptrIiEEEENSB_INSC_IjEEEESE_fNS9_4plusIvEENS9_8equal_toIvEEfEE10hipError_tPvRmT2_T3_T4_T5_mT6_T7_P12ihipStream_tbENKUlT_T0_E_clISt17integral_constantIbLb0EES10_IbLb1EEEEDaSW_SX_EUlSW_E_NS1_11comp_targetILNS1_3genE8ELNS1_11target_archE1030ELNS1_3gpuE2ELNS1_3repE0EEENS1_30default_config_static_selectorELNS0_4arch9wavefront6targetE1EEEvT1_
    .private_segment_fixed_size: 0
    .sgpr_count:     4
    .sgpr_spill_count: 0
    .symbol:         _ZN7rocprim17ROCPRIM_400000_NS6detail17trampoline_kernelINS0_14default_configENS1_27scan_by_key_config_selectorIifEEZZNS1_16scan_by_key_implILNS1_25lookback_scan_determinismE0ELb1ES3_N6thrust23THRUST_200600_302600_NS6detail15normal_iteratorINS9_10device_ptrIiEEEENSB_INSC_IjEEEESE_fNS9_4plusIvEENS9_8equal_toIvEEfEE10hipError_tPvRmT2_T3_T4_T5_mT6_T7_P12ihipStream_tbENKUlT_T0_E_clISt17integral_constantIbLb0EES10_IbLb1EEEEDaSW_SX_EUlSW_E_NS1_11comp_targetILNS1_3genE8ELNS1_11target_archE1030ELNS1_3gpuE2ELNS1_3repE0EEENS1_30default_config_static_selectorELNS0_4arch9wavefront6targetE1EEEvT1_.kd
    .uniform_work_group_size: 1
    .uses_dynamic_stack: false
    .vgpr_count:     0
    .vgpr_spill_count: 0
    .wavefront_size: 64
  - .agpr_count:     0
    .args:
      - .offset:         0
        .size:           24
        .value_kind:     by_value
      - .offset:         24
        .size:           8
        .value_kind:     by_value
      - .offset:         32
        .size:           8
        .value_kind:     by_value
    .group_segment_fixed_size: 0
    .kernarg_segment_align: 8
    .kernarg_segment_size: 40
    .language:       OpenCL C
    .language_version:
      - 2
      - 0
    .max_flat_workgroup_size: 256
    .name:           _ZN6thrust23THRUST_200600_302600_NS11hip_rocprim14__parallel_for6kernelILj256ENS1_11__transform17unary_transform_fINS0_7pointerIiNS1_3tagENS0_11use_defaultES8_EENS0_10device_ptrIjEENS4_14no_stencil_tagENS0_8identityIiEENS4_21always_true_predicateEEElLj1EEEvT0_T1_SI_
    .private_segment_fixed_size: 0
    .sgpr_count:     16
    .sgpr_spill_count: 0
    .symbol:         _ZN6thrust23THRUST_200600_302600_NS11hip_rocprim14__parallel_for6kernelILj256ENS1_11__transform17unary_transform_fINS0_7pointerIiNS1_3tagENS0_11use_defaultES8_EENS0_10device_ptrIjEENS4_14no_stencil_tagENS0_8identityIiEENS4_21always_true_predicateEEElLj1EEEvT0_T1_SI_.kd
    .uniform_work_group_size: 1
    .uses_dynamic_stack: false
    .vgpr_count:     6
    .vgpr_spill_count: 0
    .wavefront_size: 64
  - .agpr_count:     0
    .args:
      - .address_space:  global
        .offset:         0
        .size:           8
        .value_kind:     global_buffer
      - .offset:         8
        .size:           4
        .value_kind:     by_value
      - .offset:         12
        .size:           4
        .value_kind:     by_value
      - .address_space:  global
        .offset:         16
        .size:           8
        .value_kind:     global_buffer
      - .address_space:  global
        .offset:         24
        .size:           8
        .value_kind:     global_buffer
      - .actual_access:  write_only
        .address_space:  global
        .offset:         32
        .size:           8
        .value_kind:     global_buffer
      - .offset:         40
        .size:           8
        .value_kind:     by_value
      - .offset:         48
        .size:           4
        .value_kind:     by_value
      - .offset:         52
        .size:           1
        .value_kind:     by_value
      - .offset:         56
        .size:           4
        .value_kind:     hidden_block_count_x
      - .offset:         60
        .size:           4
        .value_kind:     hidden_block_count_y
      - .offset:         64
        .size:           4
        .value_kind:     hidden_block_count_z
      - .offset:         68
        .size:           2
        .value_kind:     hidden_group_size_x
      - .offset:         70
        .size:           2
        .value_kind:     hidden_group_size_y
      - .offset:         72
        .size:           2
        .value_kind:     hidden_group_size_z
      - .offset:         74
        .size:           2
        .value_kind:     hidden_remainder_x
      - .offset:         76
        .size:           2
        .value_kind:     hidden_remainder_y
      - .offset:         78
        .size:           2
        .value_kind:     hidden_remainder_z
      - .offset:         96
        .size:           8
        .value_kind:     hidden_global_offset_x
      - .offset:         104
        .size:           8
        .value_kind:     hidden_global_offset_y
      - .offset:         112
        .size:           8
        .value_kind:     hidden_global_offset_z
      - .offset:         120
        .size:           2
        .value_kind:     hidden_grid_dims
    .group_segment_fixed_size: 0
    .kernarg_segment_align: 8
    .kernarg_segment_size: 312
    .language:       OpenCL C
    .language_version:
      - 2
      - 0
    .max_flat_workgroup_size: 256
    .name:           _ZN7rocprim17ROCPRIM_400000_NS6detail30init_device_scan_by_key_kernelINS1_19lookback_scan_stateINS0_5tupleIJjbEEELb0ELb1EEEN6thrust23THRUST_200600_302600_NS6detail15normal_iteratorINS8_10device_ptrIjEEEEjNS1_16block_id_wrapperIjLb0EEEEEvT_jjPNSG_10value_typeET0_PNSt15iterator_traitsISJ_E10value_typeEmT1_T2_
    .private_segment_fixed_size: 0
    .sgpr_count:     24
    .sgpr_spill_count: 0
    .symbol:         _ZN7rocprim17ROCPRIM_400000_NS6detail30init_device_scan_by_key_kernelINS1_19lookback_scan_stateINS0_5tupleIJjbEEELb0ELb1EEEN6thrust23THRUST_200600_302600_NS6detail15normal_iteratorINS8_10device_ptrIjEEEEjNS1_16block_id_wrapperIjLb0EEEEEvT_jjPNSG_10value_typeET0_PNSt15iterator_traitsISJ_E10value_typeEmT1_T2_.kd
    .uniform_work_group_size: 1
    .uses_dynamic_stack: false
    .vgpr_count:     10
    .vgpr_spill_count: 0
    .wavefront_size: 64
  - .agpr_count:     0
    .args:
      - .offset:         0
        .size:           112
        .value_kind:     by_value
    .group_segment_fixed_size: 0
    .kernarg_segment_align: 8
    .kernarg_segment_size: 112
    .language:       OpenCL C
    .language_version:
      - 2
      - 0
    .max_flat_workgroup_size: 256
    .name:           _ZN7rocprim17ROCPRIM_400000_NS6detail17trampoline_kernelINS0_14default_configENS1_27scan_by_key_config_selectorIjjEEZZNS1_16scan_by_key_implILNS1_25lookback_scan_determinismE0ELb0ES3_N6thrust23THRUST_200600_302600_NS6detail15normal_iteratorINS9_10device_ptrIjEEEESE_SE_jNS9_4plusIvEENS9_8equal_toIvEEjEE10hipError_tPvRmT2_T3_T4_T5_mT6_T7_P12ihipStream_tbENKUlT_T0_E_clISt17integral_constantIbLb0EESZ_EEDaSU_SV_EUlSU_E_NS1_11comp_targetILNS1_3genE0ELNS1_11target_archE4294967295ELNS1_3gpuE0ELNS1_3repE0EEENS1_30default_config_static_selectorELNS0_4arch9wavefront6targetE1EEEvT1_
    .private_segment_fixed_size: 0
    .sgpr_count:     4
    .sgpr_spill_count: 0
    .symbol:         _ZN7rocprim17ROCPRIM_400000_NS6detail17trampoline_kernelINS0_14default_configENS1_27scan_by_key_config_selectorIjjEEZZNS1_16scan_by_key_implILNS1_25lookback_scan_determinismE0ELb0ES3_N6thrust23THRUST_200600_302600_NS6detail15normal_iteratorINS9_10device_ptrIjEEEESE_SE_jNS9_4plusIvEENS9_8equal_toIvEEjEE10hipError_tPvRmT2_T3_T4_T5_mT6_T7_P12ihipStream_tbENKUlT_T0_E_clISt17integral_constantIbLb0EESZ_EEDaSU_SV_EUlSU_E_NS1_11comp_targetILNS1_3genE0ELNS1_11target_archE4294967295ELNS1_3gpuE0ELNS1_3repE0EEENS1_30default_config_static_selectorELNS0_4arch9wavefront6targetE1EEEvT1_.kd
    .uniform_work_group_size: 1
    .uses_dynamic_stack: false
    .vgpr_count:     0
    .vgpr_spill_count: 0
    .wavefront_size: 64
  - .agpr_count:     0
    .args:
      - .offset:         0
        .size:           112
        .value_kind:     by_value
    .group_segment_fixed_size: 0
    .kernarg_segment_align: 8
    .kernarg_segment_size: 112
    .language:       OpenCL C
    .language_version:
      - 2
      - 0
    .max_flat_workgroup_size: 256
    .name:           _ZN7rocprim17ROCPRIM_400000_NS6detail17trampoline_kernelINS0_14default_configENS1_27scan_by_key_config_selectorIjjEEZZNS1_16scan_by_key_implILNS1_25lookback_scan_determinismE0ELb0ES3_N6thrust23THRUST_200600_302600_NS6detail15normal_iteratorINS9_10device_ptrIjEEEESE_SE_jNS9_4plusIvEENS9_8equal_toIvEEjEE10hipError_tPvRmT2_T3_T4_T5_mT6_T7_P12ihipStream_tbENKUlT_T0_E_clISt17integral_constantIbLb0EESZ_EEDaSU_SV_EUlSU_E_NS1_11comp_targetILNS1_3genE10ELNS1_11target_archE1201ELNS1_3gpuE5ELNS1_3repE0EEENS1_30default_config_static_selectorELNS0_4arch9wavefront6targetE1EEEvT1_
    .private_segment_fixed_size: 0
    .sgpr_count:     4
    .sgpr_spill_count: 0
    .symbol:         _ZN7rocprim17ROCPRIM_400000_NS6detail17trampoline_kernelINS0_14default_configENS1_27scan_by_key_config_selectorIjjEEZZNS1_16scan_by_key_implILNS1_25lookback_scan_determinismE0ELb0ES3_N6thrust23THRUST_200600_302600_NS6detail15normal_iteratorINS9_10device_ptrIjEEEESE_SE_jNS9_4plusIvEENS9_8equal_toIvEEjEE10hipError_tPvRmT2_T3_T4_T5_mT6_T7_P12ihipStream_tbENKUlT_T0_E_clISt17integral_constantIbLb0EESZ_EEDaSU_SV_EUlSU_E_NS1_11comp_targetILNS1_3genE10ELNS1_11target_archE1201ELNS1_3gpuE5ELNS1_3repE0EEENS1_30default_config_static_selectorELNS0_4arch9wavefront6targetE1EEEvT1_.kd
    .uniform_work_group_size: 1
    .uses_dynamic_stack: false
    .vgpr_count:     0
    .vgpr_spill_count: 0
    .wavefront_size: 64
  - .agpr_count:     0
    .args:
      - .offset:         0
        .size:           112
        .value_kind:     by_value
    .group_segment_fixed_size: 0
    .kernarg_segment_align: 8
    .kernarg_segment_size: 112
    .language:       OpenCL C
    .language_version:
      - 2
      - 0
    .max_flat_workgroup_size: 256
    .name:           _ZN7rocprim17ROCPRIM_400000_NS6detail17trampoline_kernelINS0_14default_configENS1_27scan_by_key_config_selectorIjjEEZZNS1_16scan_by_key_implILNS1_25lookback_scan_determinismE0ELb0ES3_N6thrust23THRUST_200600_302600_NS6detail15normal_iteratorINS9_10device_ptrIjEEEESE_SE_jNS9_4plusIvEENS9_8equal_toIvEEjEE10hipError_tPvRmT2_T3_T4_T5_mT6_T7_P12ihipStream_tbENKUlT_T0_E_clISt17integral_constantIbLb0EESZ_EEDaSU_SV_EUlSU_E_NS1_11comp_targetILNS1_3genE5ELNS1_11target_archE942ELNS1_3gpuE9ELNS1_3repE0EEENS1_30default_config_static_selectorELNS0_4arch9wavefront6targetE1EEEvT1_
    .private_segment_fixed_size: 0
    .sgpr_count:     4
    .sgpr_spill_count: 0
    .symbol:         _ZN7rocprim17ROCPRIM_400000_NS6detail17trampoline_kernelINS0_14default_configENS1_27scan_by_key_config_selectorIjjEEZZNS1_16scan_by_key_implILNS1_25lookback_scan_determinismE0ELb0ES3_N6thrust23THRUST_200600_302600_NS6detail15normal_iteratorINS9_10device_ptrIjEEEESE_SE_jNS9_4plusIvEENS9_8equal_toIvEEjEE10hipError_tPvRmT2_T3_T4_T5_mT6_T7_P12ihipStream_tbENKUlT_T0_E_clISt17integral_constantIbLb0EESZ_EEDaSU_SV_EUlSU_E_NS1_11comp_targetILNS1_3genE5ELNS1_11target_archE942ELNS1_3gpuE9ELNS1_3repE0EEENS1_30default_config_static_selectorELNS0_4arch9wavefront6targetE1EEEvT1_.kd
    .uniform_work_group_size: 1
    .uses_dynamic_stack: false
    .vgpr_count:     0
    .vgpr_spill_count: 0
    .wavefront_size: 64
  - .agpr_count:     0
    .args:
      - .offset:         0
        .size:           112
        .value_kind:     by_value
    .group_segment_fixed_size: 16384
    .kernarg_segment_align: 8
    .kernarg_segment_size: 112
    .language:       OpenCL C
    .language_version:
      - 2
      - 0
    .max_flat_workgroup_size: 256
    .name:           _ZN7rocprim17ROCPRIM_400000_NS6detail17trampoline_kernelINS0_14default_configENS1_27scan_by_key_config_selectorIjjEEZZNS1_16scan_by_key_implILNS1_25lookback_scan_determinismE0ELb0ES3_N6thrust23THRUST_200600_302600_NS6detail15normal_iteratorINS9_10device_ptrIjEEEESE_SE_jNS9_4plusIvEENS9_8equal_toIvEEjEE10hipError_tPvRmT2_T3_T4_T5_mT6_T7_P12ihipStream_tbENKUlT_T0_E_clISt17integral_constantIbLb0EESZ_EEDaSU_SV_EUlSU_E_NS1_11comp_targetILNS1_3genE4ELNS1_11target_archE910ELNS1_3gpuE8ELNS1_3repE0EEENS1_30default_config_static_selectorELNS0_4arch9wavefront6targetE1EEEvT1_
    .private_segment_fixed_size: 0
    .sgpr_count:     65
    .sgpr_spill_count: 0
    .symbol:         _ZN7rocprim17ROCPRIM_400000_NS6detail17trampoline_kernelINS0_14default_configENS1_27scan_by_key_config_selectorIjjEEZZNS1_16scan_by_key_implILNS1_25lookback_scan_determinismE0ELb0ES3_N6thrust23THRUST_200600_302600_NS6detail15normal_iteratorINS9_10device_ptrIjEEEESE_SE_jNS9_4plusIvEENS9_8equal_toIvEEjEE10hipError_tPvRmT2_T3_T4_T5_mT6_T7_P12ihipStream_tbENKUlT_T0_E_clISt17integral_constantIbLb0EESZ_EEDaSU_SV_EUlSU_E_NS1_11comp_targetILNS1_3genE4ELNS1_11target_archE910ELNS1_3gpuE8ELNS1_3repE0EEENS1_30default_config_static_selectorELNS0_4arch9wavefront6targetE1EEEvT1_.kd
    .uniform_work_group_size: 1
    .uses_dynamic_stack: false
    .vgpr_count:     65
    .vgpr_spill_count: 0
    .wavefront_size: 64
  - .agpr_count:     0
    .args:
      - .offset:         0
        .size:           112
        .value_kind:     by_value
    .group_segment_fixed_size: 0
    .kernarg_segment_align: 8
    .kernarg_segment_size: 112
    .language:       OpenCL C
    .language_version:
      - 2
      - 0
    .max_flat_workgroup_size: 256
    .name:           _ZN7rocprim17ROCPRIM_400000_NS6detail17trampoline_kernelINS0_14default_configENS1_27scan_by_key_config_selectorIjjEEZZNS1_16scan_by_key_implILNS1_25lookback_scan_determinismE0ELb0ES3_N6thrust23THRUST_200600_302600_NS6detail15normal_iteratorINS9_10device_ptrIjEEEESE_SE_jNS9_4plusIvEENS9_8equal_toIvEEjEE10hipError_tPvRmT2_T3_T4_T5_mT6_T7_P12ihipStream_tbENKUlT_T0_E_clISt17integral_constantIbLb0EESZ_EEDaSU_SV_EUlSU_E_NS1_11comp_targetILNS1_3genE3ELNS1_11target_archE908ELNS1_3gpuE7ELNS1_3repE0EEENS1_30default_config_static_selectorELNS0_4arch9wavefront6targetE1EEEvT1_
    .private_segment_fixed_size: 0
    .sgpr_count:     4
    .sgpr_spill_count: 0
    .symbol:         _ZN7rocprim17ROCPRIM_400000_NS6detail17trampoline_kernelINS0_14default_configENS1_27scan_by_key_config_selectorIjjEEZZNS1_16scan_by_key_implILNS1_25lookback_scan_determinismE0ELb0ES3_N6thrust23THRUST_200600_302600_NS6detail15normal_iteratorINS9_10device_ptrIjEEEESE_SE_jNS9_4plusIvEENS9_8equal_toIvEEjEE10hipError_tPvRmT2_T3_T4_T5_mT6_T7_P12ihipStream_tbENKUlT_T0_E_clISt17integral_constantIbLb0EESZ_EEDaSU_SV_EUlSU_E_NS1_11comp_targetILNS1_3genE3ELNS1_11target_archE908ELNS1_3gpuE7ELNS1_3repE0EEENS1_30default_config_static_selectorELNS0_4arch9wavefront6targetE1EEEvT1_.kd
    .uniform_work_group_size: 1
    .uses_dynamic_stack: false
    .vgpr_count:     0
    .vgpr_spill_count: 0
    .wavefront_size: 64
  - .agpr_count:     0
    .args:
      - .offset:         0
        .size:           112
        .value_kind:     by_value
    .group_segment_fixed_size: 0
    .kernarg_segment_align: 8
    .kernarg_segment_size: 112
    .language:       OpenCL C
    .language_version:
      - 2
      - 0
    .max_flat_workgroup_size: 256
    .name:           _ZN7rocprim17ROCPRIM_400000_NS6detail17trampoline_kernelINS0_14default_configENS1_27scan_by_key_config_selectorIjjEEZZNS1_16scan_by_key_implILNS1_25lookback_scan_determinismE0ELb0ES3_N6thrust23THRUST_200600_302600_NS6detail15normal_iteratorINS9_10device_ptrIjEEEESE_SE_jNS9_4plusIvEENS9_8equal_toIvEEjEE10hipError_tPvRmT2_T3_T4_T5_mT6_T7_P12ihipStream_tbENKUlT_T0_E_clISt17integral_constantIbLb0EESZ_EEDaSU_SV_EUlSU_E_NS1_11comp_targetILNS1_3genE2ELNS1_11target_archE906ELNS1_3gpuE6ELNS1_3repE0EEENS1_30default_config_static_selectorELNS0_4arch9wavefront6targetE1EEEvT1_
    .private_segment_fixed_size: 0
    .sgpr_count:     4
    .sgpr_spill_count: 0
    .symbol:         _ZN7rocprim17ROCPRIM_400000_NS6detail17trampoline_kernelINS0_14default_configENS1_27scan_by_key_config_selectorIjjEEZZNS1_16scan_by_key_implILNS1_25lookback_scan_determinismE0ELb0ES3_N6thrust23THRUST_200600_302600_NS6detail15normal_iteratorINS9_10device_ptrIjEEEESE_SE_jNS9_4plusIvEENS9_8equal_toIvEEjEE10hipError_tPvRmT2_T3_T4_T5_mT6_T7_P12ihipStream_tbENKUlT_T0_E_clISt17integral_constantIbLb0EESZ_EEDaSU_SV_EUlSU_E_NS1_11comp_targetILNS1_3genE2ELNS1_11target_archE906ELNS1_3gpuE6ELNS1_3repE0EEENS1_30default_config_static_selectorELNS0_4arch9wavefront6targetE1EEEvT1_.kd
    .uniform_work_group_size: 1
    .uses_dynamic_stack: false
    .vgpr_count:     0
    .vgpr_spill_count: 0
    .wavefront_size: 64
  - .agpr_count:     0
    .args:
      - .offset:         0
        .size:           112
        .value_kind:     by_value
    .group_segment_fixed_size: 0
    .kernarg_segment_align: 8
    .kernarg_segment_size: 112
    .language:       OpenCL C
    .language_version:
      - 2
      - 0
    .max_flat_workgroup_size: 256
    .name:           _ZN7rocprim17ROCPRIM_400000_NS6detail17trampoline_kernelINS0_14default_configENS1_27scan_by_key_config_selectorIjjEEZZNS1_16scan_by_key_implILNS1_25lookback_scan_determinismE0ELb0ES3_N6thrust23THRUST_200600_302600_NS6detail15normal_iteratorINS9_10device_ptrIjEEEESE_SE_jNS9_4plusIvEENS9_8equal_toIvEEjEE10hipError_tPvRmT2_T3_T4_T5_mT6_T7_P12ihipStream_tbENKUlT_T0_E_clISt17integral_constantIbLb0EESZ_EEDaSU_SV_EUlSU_E_NS1_11comp_targetILNS1_3genE10ELNS1_11target_archE1200ELNS1_3gpuE4ELNS1_3repE0EEENS1_30default_config_static_selectorELNS0_4arch9wavefront6targetE1EEEvT1_
    .private_segment_fixed_size: 0
    .sgpr_count:     4
    .sgpr_spill_count: 0
    .symbol:         _ZN7rocprim17ROCPRIM_400000_NS6detail17trampoline_kernelINS0_14default_configENS1_27scan_by_key_config_selectorIjjEEZZNS1_16scan_by_key_implILNS1_25lookback_scan_determinismE0ELb0ES3_N6thrust23THRUST_200600_302600_NS6detail15normal_iteratorINS9_10device_ptrIjEEEESE_SE_jNS9_4plusIvEENS9_8equal_toIvEEjEE10hipError_tPvRmT2_T3_T4_T5_mT6_T7_P12ihipStream_tbENKUlT_T0_E_clISt17integral_constantIbLb0EESZ_EEDaSU_SV_EUlSU_E_NS1_11comp_targetILNS1_3genE10ELNS1_11target_archE1200ELNS1_3gpuE4ELNS1_3repE0EEENS1_30default_config_static_selectorELNS0_4arch9wavefront6targetE1EEEvT1_.kd
    .uniform_work_group_size: 1
    .uses_dynamic_stack: false
    .vgpr_count:     0
    .vgpr_spill_count: 0
    .wavefront_size: 64
  - .agpr_count:     0
    .args:
      - .offset:         0
        .size:           112
        .value_kind:     by_value
    .group_segment_fixed_size: 0
    .kernarg_segment_align: 8
    .kernarg_segment_size: 112
    .language:       OpenCL C
    .language_version:
      - 2
      - 0
    .max_flat_workgroup_size: 256
    .name:           _ZN7rocprim17ROCPRIM_400000_NS6detail17trampoline_kernelINS0_14default_configENS1_27scan_by_key_config_selectorIjjEEZZNS1_16scan_by_key_implILNS1_25lookback_scan_determinismE0ELb0ES3_N6thrust23THRUST_200600_302600_NS6detail15normal_iteratorINS9_10device_ptrIjEEEESE_SE_jNS9_4plusIvEENS9_8equal_toIvEEjEE10hipError_tPvRmT2_T3_T4_T5_mT6_T7_P12ihipStream_tbENKUlT_T0_E_clISt17integral_constantIbLb0EESZ_EEDaSU_SV_EUlSU_E_NS1_11comp_targetILNS1_3genE9ELNS1_11target_archE1100ELNS1_3gpuE3ELNS1_3repE0EEENS1_30default_config_static_selectorELNS0_4arch9wavefront6targetE1EEEvT1_
    .private_segment_fixed_size: 0
    .sgpr_count:     4
    .sgpr_spill_count: 0
    .symbol:         _ZN7rocprim17ROCPRIM_400000_NS6detail17trampoline_kernelINS0_14default_configENS1_27scan_by_key_config_selectorIjjEEZZNS1_16scan_by_key_implILNS1_25lookback_scan_determinismE0ELb0ES3_N6thrust23THRUST_200600_302600_NS6detail15normal_iteratorINS9_10device_ptrIjEEEESE_SE_jNS9_4plusIvEENS9_8equal_toIvEEjEE10hipError_tPvRmT2_T3_T4_T5_mT6_T7_P12ihipStream_tbENKUlT_T0_E_clISt17integral_constantIbLb0EESZ_EEDaSU_SV_EUlSU_E_NS1_11comp_targetILNS1_3genE9ELNS1_11target_archE1100ELNS1_3gpuE3ELNS1_3repE0EEENS1_30default_config_static_selectorELNS0_4arch9wavefront6targetE1EEEvT1_.kd
    .uniform_work_group_size: 1
    .uses_dynamic_stack: false
    .vgpr_count:     0
    .vgpr_spill_count: 0
    .wavefront_size: 64
  - .agpr_count:     0
    .args:
      - .offset:         0
        .size:           112
        .value_kind:     by_value
    .group_segment_fixed_size: 0
    .kernarg_segment_align: 8
    .kernarg_segment_size: 112
    .language:       OpenCL C
    .language_version:
      - 2
      - 0
    .max_flat_workgroup_size: 256
    .name:           _ZN7rocprim17ROCPRIM_400000_NS6detail17trampoline_kernelINS0_14default_configENS1_27scan_by_key_config_selectorIjjEEZZNS1_16scan_by_key_implILNS1_25lookback_scan_determinismE0ELb0ES3_N6thrust23THRUST_200600_302600_NS6detail15normal_iteratorINS9_10device_ptrIjEEEESE_SE_jNS9_4plusIvEENS9_8equal_toIvEEjEE10hipError_tPvRmT2_T3_T4_T5_mT6_T7_P12ihipStream_tbENKUlT_T0_E_clISt17integral_constantIbLb0EESZ_EEDaSU_SV_EUlSU_E_NS1_11comp_targetILNS1_3genE8ELNS1_11target_archE1030ELNS1_3gpuE2ELNS1_3repE0EEENS1_30default_config_static_selectorELNS0_4arch9wavefront6targetE1EEEvT1_
    .private_segment_fixed_size: 0
    .sgpr_count:     4
    .sgpr_spill_count: 0
    .symbol:         _ZN7rocprim17ROCPRIM_400000_NS6detail17trampoline_kernelINS0_14default_configENS1_27scan_by_key_config_selectorIjjEEZZNS1_16scan_by_key_implILNS1_25lookback_scan_determinismE0ELb0ES3_N6thrust23THRUST_200600_302600_NS6detail15normal_iteratorINS9_10device_ptrIjEEEESE_SE_jNS9_4plusIvEENS9_8equal_toIvEEjEE10hipError_tPvRmT2_T3_T4_T5_mT6_T7_P12ihipStream_tbENKUlT_T0_E_clISt17integral_constantIbLb0EESZ_EEDaSU_SV_EUlSU_E_NS1_11comp_targetILNS1_3genE8ELNS1_11target_archE1030ELNS1_3gpuE2ELNS1_3repE0EEENS1_30default_config_static_selectorELNS0_4arch9wavefront6targetE1EEEvT1_.kd
    .uniform_work_group_size: 1
    .uses_dynamic_stack: false
    .vgpr_count:     0
    .vgpr_spill_count: 0
    .wavefront_size: 64
  - .agpr_count:     0
    .args:
      - .address_space:  global
        .offset:         0
        .size:           8
        .value_kind:     global_buffer
      - .offset:         8
        .size:           4
        .value_kind:     by_value
      - .offset:         12
        .size:           4
        .value_kind:     by_value
      - .address_space:  global
        .offset:         16
        .size:           8
        .value_kind:     global_buffer
      - .address_space:  global
        .offset:         24
        .size:           8
        .value_kind:     global_buffer
      - .actual_access:  write_only
        .address_space:  global
        .offset:         32
        .size:           8
        .value_kind:     global_buffer
      - .offset:         40
        .size:           8
        .value_kind:     by_value
      - .offset:         48
        .size:           4
        .value_kind:     by_value
      - .address_space:  global
        .offset:         56
        .size:           8
        .value_kind:     global_buffer
      - .offset:         64
        .size:           4
        .value_kind:     hidden_block_count_x
      - .offset:         68
        .size:           4
        .value_kind:     hidden_block_count_y
      - .offset:         72
        .size:           4
        .value_kind:     hidden_block_count_z
      - .offset:         76
        .size:           2
        .value_kind:     hidden_group_size_x
      - .offset:         78
        .size:           2
        .value_kind:     hidden_group_size_y
      - .offset:         80
        .size:           2
        .value_kind:     hidden_group_size_z
      - .offset:         82
        .size:           2
        .value_kind:     hidden_remainder_x
      - .offset:         84
        .size:           2
        .value_kind:     hidden_remainder_y
      - .offset:         86
        .size:           2
        .value_kind:     hidden_remainder_z
      - .offset:         104
        .size:           8
        .value_kind:     hidden_global_offset_x
      - .offset:         112
        .size:           8
        .value_kind:     hidden_global_offset_y
      - .offset:         120
        .size:           8
        .value_kind:     hidden_global_offset_z
      - .offset:         128
        .size:           2
        .value_kind:     hidden_grid_dims
    .group_segment_fixed_size: 0
    .kernarg_segment_align: 8
    .kernarg_segment_size: 320
    .language:       OpenCL C
    .language_version:
      - 2
      - 0
    .max_flat_workgroup_size: 256
    .name:           _ZN7rocprim17ROCPRIM_400000_NS6detail30init_device_scan_by_key_kernelINS1_19lookback_scan_stateINS0_5tupleIJjbEEELb1ELb1EEEN6thrust23THRUST_200600_302600_NS6detail15normal_iteratorINS8_10device_ptrIjEEEEjNS1_16block_id_wrapperIjLb1EEEEEvT_jjPNSG_10value_typeET0_PNSt15iterator_traitsISJ_E10value_typeEmT1_T2_
    .private_segment_fixed_size: 0
    .sgpr_count:     24
    .sgpr_spill_count: 0
    .symbol:         _ZN7rocprim17ROCPRIM_400000_NS6detail30init_device_scan_by_key_kernelINS1_19lookback_scan_stateINS0_5tupleIJjbEEELb1ELb1EEEN6thrust23THRUST_200600_302600_NS6detail15normal_iteratorINS8_10device_ptrIjEEEEjNS1_16block_id_wrapperIjLb1EEEEEvT_jjPNSG_10value_typeET0_PNSt15iterator_traitsISJ_E10value_typeEmT1_T2_.kd
    .uniform_work_group_size: 1
    .uses_dynamic_stack: false
    .vgpr_count:     10
    .vgpr_spill_count: 0
    .wavefront_size: 64
  - .agpr_count:     0
    .args:
      - .offset:         0
        .size:           112
        .value_kind:     by_value
    .group_segment_fixed_size: 0
    .kernarg_segment_align: 8
    .kernarg_segment_size: 112
    .language:       OpenCL C
    .language_version:
      - 2
      - 0
    .max_flat_workgroup_size: 256
    .name:           _ZN7rocprim17ROCPRIM_400000_NS6detail17trampoline_kernelINS0_14default_configENS1_27scan_by_key_config_selectorIjjEEZZNS1_16scan_by_key_implILNS1_25lookback_scan_determinismE0ELb0ES3_N6thrust23THRUST_200600_302600_NS6detail15normal_iteratorINS9_10device_ptrIjEEEESE_SE_jNS9_4plusIvEENS9_8equal_toIvEEjEE10hipError_tPvRmT2_T3_T4_T5_mT6_T7_P12ihipStream_tbENKUlT_T0_E_clISt17integral_constantIbLb1EESZ_EEDaSU_SV_EUlSU_E_NS1_11comp_targetILNS1_3genE0ELNS1_11target_archE4294967295ELNS1_3gpuE0ELNS1_3repE0EEENS1_30default_config_static_selectorELNS0_4arch9wavefront6targetE1EEEvT1_
    .private_segment_fixed_size: 0
    .sgpr_count:     4
    .sgpr_spill_count: 0
    .symbol:         _ZN7rocprim17ROCPRIM_400000_NS6detail17trampoline_kernelINS0_14default_configENS1_27scan_by_key_config_selectorIjjEEZZNS1_16scan_by_key_implILNS1_25lookback_scan_determinismE0ELb0ES3_N6thrust23THRUST_200600_302600_NS6detail15normal_iteratorINS9_10device_ptrIjEEEESE_SE_jNS9_4plusIvEENS9_8equal_toIvEEjEE10hipError_tPvRmT2_T3_T4_T5_mT6_T7_P12ihipStream_tbENKUlT_T0_E_clISt17integral_constantIbLb1EESZ_EEDaSU_SV_EUlSU_E_NS1_11comp_targetILNS1_3genE0ELNS1_11target_archE4294967295ELNS1_3gpuE0ELNS1_3repE0EEENS1_30default_config_static_selectorELNS0_4arch9wavefront6targetE1EEEvT1_.kd
    .uniform_work_group_size: 1
    .uses_dynamic_stack: false
    .vgpr_count:     0
    .vgpr_spill_count: 0
    .wavefront_size: 64
  - .agpr_count:     0
    .args:
      - .offset:         0
        .size:           112
        .value_kind:     by_value
    .group_segment_fixed_size: 0
    .kernarg_segment_align: 8
    .kernarg_segment_size: 112
    .language:       OpenCL C
    .language_version:
      - 2
      - 0
    .max_flat_workgroup_size: 256
    .name:           _ZN7rocprim17ROCPRIM_400000_NS6detail17trampoline_kernelINS0_14default_configENS1_27scan_by_key_config_selectorIjjEEZZNS1_16scan_by_key_implILNS1_25lookback_scan_determinismE0ELb0ES3_N6thrust23THRUST_200600_302600_NS6detail15normal_iteratorINS9_10device_ptrIjEEEESE_SE_jNS9_4plusIvEENS9_8equal_toIvEEjEE10hipError_tPvRmT2_T3_T4_T5_mT6_T7_P12ihipStream_tbENKUlT_T0_E_clISt17integral_constantIbLb1EESZ_EEDaSU_SV_EUlSU_E_NS1_11comp_targetILNS1_3genE10ELNS1_11target_archE1201ELNS1_3gpuE5ELNS1_3repE0EEENS1_30default_config_static_selectorELNS0_4arch9wavefront6targetE1EEEvT1_
    .private_segment_fixed_size: 0
    .sgpr_count:     4
    .sgpr_spill_count: 0
    .symbol:         _ZN7rocprim17ROCPRIM_400000_NS6detail17trampoline_kernelINS0_14default_configENS1_27scan_by_key_config_selectorIjjEEZZNS1_16scan_by_key_implILNS1_25lookback_scan_determinismE0ELb0ES3_N6thrust23THRUST_200600_302600_NS6detail15normal_iteratorINS9_10device_ptrIjEEEESE_SE_jNS9_4plusIvEENS9_8equal_toIvEEjEE10hipError_tPvRmT2_T3_T4_T5_mT6_T7_P12ihipStream_tbENKUlT_T0_E_clISt17integral_constantIbLb1EESZ_EEDaSU_SV_EUlSU_E_NS1_11comp_targetILNS1_3genE10ELNS1_11target_archE1201ELNS1_3gpuE5ELNS1_3repE0EEENS1_30default_config_static_selectorELNS0_4arch9wavefront6targetE1EEEvT1_.kd
    .uniform_work_group_size: 1
    .uses_dynamic_stack: false
    .vgpr_count:     0
    .vgpr_spill_count: 0
    .wavefront_size: 64
  - .agpr_count:     0
    .args:
      - .offset:         0
        .size:           112
        .value_kind:     by_value
    .group_segment_fixed_size: 0
    .kernarg_segment_align: 8
    .kernarg_segment_size: 112
    .language:       OpenCL C
    .language_version:
      - 2
      - 0
    .max_flat_workgroup_size: 256
    .name:           _ZN7rocprim17ROCPRIM_400000_NS6detail17trampoline_kernelINS0_14default_configENS1_27scan_by_key_config_selectorIjjEEZZNS1_16scan_by_key_implILNS1_25lookback_scan_determinismE0ELb0ES3_N6thrust23THRUST_200600_302600_NS6detail15normal_iteratorINS9_10device_ptrIjEEEESE_SE_jNS9_4plusIvEENS9_8equal_toIvEEjEE10hipError_tPvRmT2_T3_T4_T5_mT6_T7_P12ihipStream_tbENKUlT_T0_E_clISt17integral_constantIbLb1EESZ_EEDaSU_SV_EUlSU_E_NS1_11comp_targetILNS1_3genE5ELNS1_11target_archE942ELNS1_3gpuE9ELNS1_3repE0EEENS1_30default_config_static_selectorELNS0_4arch9wavefront6targetE1EEEvT1_
    .private_segment_fixed_size: 0
    .sgpr_count:     4
    .sgpr_spill_count: 0
    .symbol:         _ZN7rocprim17ROCPRIM_400000_NS6detail17trampoline_kernelINS0_14default_configENS1_27scan_by_key_config_selectorIjjEEZZNS1_16scan_by_key_implILNS1_25lookback_scan_determinismE0ELb0ES3_N6thrust23THRUST_200600_302600_NS6detail15normal_iteratorINS9_10device_ptrIjEEEESE_SE_jNS9_4plusIvEENS9_8equal_toIvEEjEE10hipError_tPvRmT2_T3_T4_T5_mT6_T7_P12ihipStream_tbENKUlT_T0_E_clISt17integral_constantIbLb1EESZ_EEDaSU_SV_EUlSU_E_NS1_11comp_targetILNS1_3genE5ELNS1_11target_archE942ELNS1_3gpuE9ELNS1_3repE0EEENS1_30default_config_static_selectorELNS0_4arch9wavefront6targetE1EEEvT1_.kd
    .uniform_work_group_size: 1
    .uses_dynamic_stack: false
    .vgpr_count:     0
    .vgpr_spill_count: 0
    .wavefront_size: 64
  - .agpr_count:     0
    .args:
      - .offset:         0
        .size:           112
        .value_kind:     by_value
    .group_segment_fixed_size: 16384
    .kernarg_segment_align: 8
    .kernarg_segment_size: 112
    .language:       OpenCL C
    .language_version:
      - 2
      - 0
    .max_flat_workgroup_size: 256
    .name:           _ZN7rocprim17ROCPRIM_400000_NS6detail17trampoline_kernelINS0_14default_configENS1_27scan_by_key_config_selectorIjjEEZZNS1_16scan_by_key_implILNS1_25lookback_scan_determinismE0ELb0ES3_N6thrust23THRUST_200600_302600_NS6detail15normal_iteratorINS9_10device_ptrIjEEEESE_SE_jNS9_4plusIvEENS9_8equal_toIvEEjEE10hipError_tPvRmT2_T3_T4_T5_mT6_T7_P12ihipStream_tbENKUlT_T0_E_clISt17integral_constantIbLb1EESZ_EEDaSU_SV_EUlSU_E_NS1_11comp_targetILNS1_3genE4ELNS1_11target_archE910ELNS1_3gpuE8ELNS1_3repE0EEENS1_30default_config_static_selectorELNS0_4arch9wavefront6targetE1EEEvT1_
    .private_segment_fixed_size: 0
    .sgpr_count:     69
    .sgpr_spill_count: 0
    .symbol:         _ZN7rocprim17ROCPRIM_400000_NS6detail17trampoline_kernelINS0_14default_configENS1_27scan_by_key_config_selectorIjjEEZZNS1_16scan_by_key_implILNS1_25lookback_scan_determinismE0ELb0ES3_N6thrust23THRUST_200600_302600_NS6detail15normal_iteratorINS9_10device_ptrIjEEEESE_SE_jNS9_4plusIvEENS9_8equal_toIvEEjEE10hipError_tPvRmT2_T3_T4_T5_mT6_T7_P12ihipStream_tbENKUlT_T0_E_clISt17integral_constantIbLb1EESZ_EEDaSU_SV_EUlSU_E_NS1_11comp_targetILNS1_3genE4ELNS1_11target_archE910ELNS1_3gpuE8ELNS1_3repE0EEENS1_30default_config_static_selectorELNS0_4arch9wavefront6targetE1EEEvT1_.kd
    .uniform_work_group_size: 1
    .uses_dynamic_stack: false
    .vgpr_count:     65
    .vgpr_spill_count: 0
    .wavefront_size: 64
  - .agpr_count:     0
    .args:
      - .offset:         0
        .size:           112
        .value_kind:     by_value
    .group_segment_fixed_size: 0
    .kernarg_segment_align: 8
    .kernarg_segment_size: 112
    .language:       OpenCL C
    .language_version:
      - 2
      - 0
    .max_flat_workgroup_size: 256
    .name:           _ZN7rocprim17ROCPRIM_400000_NS6detail17trampoline_kernelINS0_14default_configENS1_27scan_by_key_config_selectorIjjEEZZNS1_16scan_by_key_implILNS1_25lookback_scan_determinismE0ELb0ES3_N6thrust23THRUST_200600_302600_NS6detail15normal_iteratorINS9_10device_ptrIjEEEESE_SE_jNS9_4plusIvEENS9_8equal_toIvEEjEE10hipError_tPvRmT2_T3_T4_T5_mT6_T7_P12ihipStream_tbENKUlT_T0_E_clISt17integral_constantIbLb1EESZ_EEDaSU_SV_EUlSU_E_NS1_11comp_targetILNS1_3genE3ELNS1_11target_archE908ELNS1_3gpuE7ELNS1_3repE0EEENS1_30default_config_static_selectorELNS0_4arch9wavefront6targetE1EEEvT1_
    .private_segment_fixed_size: 0
    .sgpr_count:     4
    .sgpr_spill_count: 0
    .symbol:         _ZN7rocprim17ROCPRIM_400000_NS6detail17trampoline_kernelINS0_14default_configENS1_27scan_by_key_config_selectorIjjEEZZNS1_16scan_by_key_implILNS1_25lookback_scan_determinismE0ELb0ES3_N6thrust23THRUST_200600_302600_NS6detail15normal_iteratorINS9_10device_ptrIjEEEESE_SE_jNS9_4plusIvEENS9_8equal_toIvEEjEE10hipError_tPvRmT2_T3_T4_T5_mT6_T7_P12ihipStream_tbENKUlT_T0_E_clISt17integral_constantIbLb1EESZ_EEDaSU_SV_EUlSU_E_NS1_11comp_targetILNS1_3genE3ELNS1_11target_archE908ELNS1_3gpuE7ELNS1_3repE0EEENS1_30default_config_static_selectorELNS0_4arch9wavefront6targetE1EEEvT1_.kd
    .uniform_work_group_size: 1
    .uses_dynamic_stack: false
    .vgpr_count:     0
    .vgpr_spill_count: 0
    .wavefront_size: 64
  - .agpr_count:     0
    .args:
      - .offset:         0
        .size:           112
        .value_kind:     by_value
    .group_segment_fixed_size: 0
    .kernarg_segment_align: 8
    .kernarg_segment_size: 112
    .language:       OpenCL C
    .language_version:
      - 2
      - 0
    .max_flat_workgroup_size: 256
    .name:           _ZN7rocprim17ROCPRIM_400000_NS6detail17trampoline_kernelINS0_14default_configENS1_27scan_by_key_config_selectorIjjEEZZNS1_16scan_by_key_implILNS1_25lookback_scan_determinismE0ELb0ES3_N6thrust23THRUST_200600_302600_NS6detail15normal_iteratorINS9_10device_ptrIjEEEESE_SE_jNS9_4plusIvEENS9_8equal_toIvEEjEE10hipError_tPvRmT2_T3_T4_T5_mT6_T7_P12ihipStream_tbENKUlT_T0_E_clISt17integral_constantIbLb1EESZ_EEDaSU_SV_EUlSU_E_NS1_11comp_targetILNS1_3genE2ELNS1_11target_archE906ELNS1_3gpuE6ELNS1_3repE0EEENS1_30default_config_static_selectorELNS0_4arch9wavefront6targetE1EEEvT1_
    .private_segment_fixed_size: 0
    .sgpr_count:     4
    .sgpr_spill_count: 0
    .symbol:         _ZN7rocprim17ROCPRIM_400000_NS6detail17trampoline_kernelINS0_14default_configENS1_27scan_by_key_config_selectorIjjEEZZNS1_16scan_by_key_implILNS1_25lookback_scan_determinismE0ELb0ES3_N6thrust23THRUST_200600_302600_NS6detail15normal_iteratorINS9_10device_ptrIjEEEESE_SE_jNS9_4plusIvEENS9_8equal_toIvEEjEE10hipError_tPvRmT2_T3_T4_T5_mT6_T7_P12ihipStream_tbENKUlT_T0_E_clISt17integral_constantIbLb1EESZ_EEDaSU_SV_EUlSU_E_NS1_11comp_targetILNS1_3genE2ELNS1_11target_archE906ELNS1_3gpuE6ELNS1_3repE0EEENS1_30default_config_static_selectorELNS0_4arch9wavefront6targetE1EEEvT1_.kd
    .uniform_work_group_size: 1
    .uses_dynamic_stack: false
    .vgpr_count:     0
    .vgpr_spill_count: 0
    .wavefront_size: 64
  - .agpr_count:     0
    .args:
      - .offset:         0
        .size:           112
        .value_kind:     by_value
    .group_segment_fixed_size: 0
    .kernarg_segment_align: 8
    .kernarg_segment_size: 112
    .language:       OpenCL C
    .language_version:
      - 2
      - 0
    .max_flat_workgroup_size: 256
    .name:           _ZN7rocprim17ROCPRIM_400000_NS6detail17trampoline_kernelINS0_14default_configENS1_27scan_by_key_config_selectorIjjEEZZNS1_16scan_by_key_implILNS1_25lookback_scan_determinismE0ELb0ES3_N6thrust23THRUST_200600_302600_NS6detail15normal_iteratorINS9_10device_ptrIjEEEESE_SE_jNS9_4plusIvEENS9_8equal_toIvEEjEE10hipError_tPvRmT2_T3_T4_T5_mT6_T7_P12ihipStream_tbENKUlT_T0_E_clISt17integral_constantIbLb1EESZ_EEDaSU_SV_EUlSU_E_NS1_11comp_targetILNS1_3genE10ELNS1_11target_archE1200ELNS1_3gpuE4ELNS1_3repE0EEENS1_30default_config_static_selectorELNS0_4arch9wavefront6targetE1EEEvT1_
    .private_segment_fixed_size: 0
    .sgpr_count:     4
    .sgpr_spill_count: 0
    .symbol:         _ZN7rocprim17ROCPRIM_400000_NS6detail17trampoline_kernelINS0_14default_configENS1_27scan_by_key_config_selectorIjjEEZZNS1_16scan_by_key_implILNS1_25lookback_scan_determinismE0ELb0ES3_N6thrust23THRUST_200600_302600_NS6detail15normal_iteratorINS9_10device_ptrIjEEEESE_SE_jNS9_4plusIvEENS9_8equal_toIvEEjEE10hipError_tPvRmT2_T3_T4_T5_mT6_T7_P12ihipStream_tbENKUlT_T0_E_clISt17integral_constantIbLb1EESZ_EEDaSU_SV_EUlSU_E_NS1_11comp_targetILNS1_3genE10ELNS1_11target_archE1200ELNS1_3gpuE4ELNS1_3repE0EEENS1_30default_config_static_selectorELNS0_4arch9wavefront6targetE1EEEvT1_.kd
    .uniform_work_group_size: 1
    .uses_dynamic_stack: false
    .vgpr_count:     0
    .vgpr_spill_count: 0
    .wavefront_size: 64
  - .agpr_count:     0
    .args:
      - .offset:         0
        .size:           112
        .value_kind:     by_value
    .group_segment_fixed_size: 0
    .kernarg_segment_align: 8
    .kernarg_segment_size: 112
    .language:       OpenCL C
    .language_version:
      - 2
      - 0
    .max_flat_workgroup_size: 256
    .name:           _ZN7rocprim17ROCPRIM_400000_NS6detail17trampoline_kernelINS0_14default_configENS1_27scan_by_key_config_selectorIjjEEZZNS1_16scan_by_key_implILNS1_25lookback_scan_determinismE0ELb0ES3_N6thrust23THRUST_200600_302600_NS6detail15normal_iteratorINS9_10device_ptrIjEEEESE_SE_jNS9_4plusIvEENS9_8equal_toIvEEjEE10hipError_tPvRmT2_T3_T4_T5_mT6_T7_P12ihipStream_tbENKUlT_T0_E_clISt17integral_constantIbLb1EESZ_EEDaSU_SV_EUlSU_E_NS1_11comp_targetILNS1_3genE9ELNS1_11target_archE1100ELNS1_3gpuE3ELNS1_3repE0EEENS1_30default_config_static_selectorELNS0_4arch9wavefront6targetE1EEEvT1_
    .private_segment_fixed_size: 0
    .sgpr_count:     4
    .sgpr_spill_count: 0
    .symbol:         _ZN7rocprim17ROCPRIM_400000_NS6detail17trampoline_kernelINS0_14default_configENS1_27scan_by_key_config_selectorIjjEEZZNS1_16scan_by_key_implILNS1_25lookback_scan_determinismE0ELb0ES3_N6thrust23THRUST_200600_302600_NS6detail15normal_iteratorINS9_10device_ptrIjEEEESE_SE_jNS9_4plusIvEENS9_8equal_toIvEEjEE10hipError_tPvRmT2_T3_T4_T5_mT6_T7_P12ihipStream_tbENKUlT_T0_E_clISt17integral_constantIbLb1EESZ_EEDaSU_SV_EUlSU_E_NS1_11comp_targetILNS1_3genE9ELNS1_11target_archE1100ELNS1_3gpuE3ELNS1_3repE0EEENS1_30default_config_static_selectorELNS0_4arch9wavefront6targetE1EEEvT1_.kd
    .uniform_work_group_size: 1
    .uses_dynamic_stack: false
    .vgpr_count:     0
    .vgpr_spill_count: 0
    .wavefront_size: 64
  - .agpr_count:     0
    .args:
      - .offset:         0
        .size:           112
        .value_kind:     by_value
    .group_segment_fixed_size: 0
    .kernarg_segment_align: 8
    .kernarg_segment_size: 112
    .language:       OpenCL C
    .language_version:
      - 2
      - 0
    .max_flat_workgroup_size: 256
    .name:           _ZN7rocprim17ROCPRIM_400000_NS6detail17trampoline_kernelINS0_14default_configENS1_27scan_by_key_config_selectorIjjEEZZNS1_16scan_by_key_implILNS1_25lookback_scan_determinismE0ELb0ES3_N6thrust23THRUST_200600_302600_NS6detail15normal_iteratorINS9_10device_ptrIjEEEESE_SE_jNS9_4plusIvEENS9_8equal_toIvEEjEE10hipError_tPvRmT2_T3_T4_T5_mT6_T7_P12ihipStream_tbENKUlT_T0_E_clISt17integral_constantIbLb1EESZ_EEDaSU_SV_EUlSU_E_NS1_11comp_targetILNS1_3genE8ELNS1_11target_archE1030ELNS1_3gpuE2ELNS1_3repE0EEENS1_30default_config_static_selectorELNS0_4arch9wavefront6targetE1EEEvT1_
    .private_segment_fixed_size: 0
    .sgpr_count:     4
    .sgpr_spill_count: 0
    .symbol:         _ZN7rocprim17ROCPRIM_400000_NS6detail17trampoline_kernelINS0_14default_configENS1_27scan_by_key_config_selectorIjjEEZZNS1_16scan_by_key_implILNS1_25lookback_scan_determinismE0ELb0ES3_N6thrust23THRUST_200600_302600_NS6detail15normal_iteratorINS9_10device_ptrIjEEEESE_SE_jNS9_4plusIvEENS9_8equal_toIvEEjEE10hipError_tPvRmT2_T3_T4_T5_mT6_T7_P12ihipStream_tbENKUlT_T0_E_clISt17integral_constantIbLb1EESZ_EEDaSU_SV_EUlSU_E_NS1_11comp_targetILNS1_3genE8ELNS1_11target_archE1030ELNS1_3gpuE2ELNS1_3repE0EEENS1_30default_config_static_selectorELNS0_4arch9wavefront6targetE1EEEvT1_.kd
    .uniform_work_group_size: 1
    .uses_dynamic_stack: false
    .vgpr_count:     0
    .vgpr_spill_count: 0
    .wavefront_size: 64
  - .agpr_count:     0
    .args:
      - .address_space:  global
        .offset:         0
        .size:           8
        .value_kind:     global_buffer
      - .offset:         8
        .size:           4
        .value_kind:     by_value
      - .offset:         12
        .size:           4
        .value_kind:     by_value
      - .address_space:  global
        .offset:         16
        .size:           8
        .value_kind:     global_buffer
      - .address_space:  global
        .offset:         24
        .size:           8
        .value_kind:     global_buffer
      - .actual_access:  write_only
        .address_space:  global
        .offset:         32
        .size:           8
        .value_kind:     global_buffer
      - .offset:         40
        .size:           8
        .value_kind:     by_value
      - .offset:         48
        .size:           4
        .value_kind:     by_value
      - .offset:         52
        .size:           1
        .value_kind:     by_value
      - .offset:         56
        .size:           4
        .value_kind:     hidden_block_count_x
      - .offset:         60
        .size:           4
        .value_kind:     hidden_block_count_y
      - .offset:         64
        .size:           4
        .value_kind:     hidden_block_count_z
      - .offset:         68
        .size:           2
        .value_kind:     hidden_group_size_x
      - .offset:         70
        .size:           2
        .value_kind:     hidden_group_size_y
      - .offset:         72
        .size:           2
        .value_kind:     hidden_group_size_z
      - .offset:         74
        .size:           2
        .value_kind:     hidden_remainder_x
      - .offset:         76
        .size:           2
        .value_kind:     hidden_remainder_y
      - .offset:         78
        .size:           2
        .value_kind:     hidden_remainder_z
      - .offset:         96
        .size:           8
        .value_kind:     hidden_global_offset_x
      - .offset:         104
        .size:           8
        .value_kind:     hidden_global_offset_y
      - .offset:         112
        .size:           8
        .value_kind:     hidden_global_offset_z
      - .offset:         120
        .size:           2
        .value_kind:     hidden_grid_dims
    .group_segment_fixed_size: 0
    .kernarg_segment_align: 8
    .kernarg_segment_size: 312
    .language:       OpenCL C
    .language_version:
      - 2
      - 0
    .max_flat_workgroup_size: 256
    .name:           _ZN7rocprim17ROCPRIM_400000_NS6detail30init_device_scan_by_key_kernelINS1_19lookback_scan_stateINS0_5tupleIJjbEEELb1ELb1EEEN6thrust23THRUST_200600_302600_NS6detail15normal_iteratorINS8_10device_ptrIjEEEEjNS1_16block_id_wrapperIjLb0EEEEEvT_jjPNSG_10value_typeET0_PNSt15iterator_traitsISJ_E10value_typeEmT1_T2_
    .private_segment_fixed_size: 0
    .sgpr_count:     24
    .sgpr_spill_count: 0
    .symbol:         _ZN7rocprim17ROCPRIM_400000_NS6detail30init_device_scan_by_key_kernelINS1_19lookback_scan_stateINS0_5tupleIJjbEEELb1ELb1EEEN6thrust23THRUST_200600_302600_NS6detail15normal_iteratorINS8_10device_ptrIjEEEEjNS1_16block_id_wrapperIjLb0EEEEEvT_jjPNSG_10value_typeET0_PNSt15iterator_traitsISJ_E10value_typeEmT1_T2_.kd
    .uniform_work_group_size: 1
    .uses_dynamic_stack: false
    .vgpr_count:     10
    .vgpr_spill_count: 0
    .wavefront_size: 64
  - .agpr_count:     0
    .args:
      - .offset:         0
        .size:           112
        .value_kind:     by_value
    .group_segment_fixed_size: 0
    .kernarg_segment_align: 8
    .kernarg_segment_size: 112
    .language:       OpenCL C
    .language_version:
      - 2
      - 0
    .max_flat_workgroup_size: 256
    .name:           _ZN7rocprim17ROCPRIM_400000_NS6detail17trampoline_kernelINS0_14default_configENS1_27scan_by_key_config_selectorIjjEEZZNS1_16scan_by_key_implILNS1_25lookback_scan_determinismE0ELb0ES3_N6thrust23THRUST_200600_302600_NS6detail15normal_iteratorINS9_10device_ptrIjEEEESE_SE_jNS9_4plusIvEENS9_8equal_toIvEEjEE10hipError_tPvRmT2_T3_T4_T5_mT6_T7_P12ihipStream_tbENKUlT_T0_E_clISt17integral_constantIbLb1EESY_IbLb0EEEEDaSU_SV_EUlSU_E_NS1_11comp_targetILNS1_3genE0ELNS1_11target_archE4294967295ELNS1_3gpuE0ELNS1_3repE0EEENS1_30default_config_static_selectorELNS0_4arch9wavefront6targetE1EEEvT1_
    .private_segment_fixed_size: 0
    .sgpr_count:     4
    .sgpr_spill_count: 0
    .symbol:         _ZN7rocprim17ROCPRIM_400000_NS6detail17trampoline_kernelINS0_14default_configENS1_27scan_by_key_config_selectorIjjEEZZNS1_16scan_by_key_implILNS1_25lookback_scan_determinismE0ELb0ES3_N6thrust23THRUST_200600_302600_NS6detail15normal_iteratorINS9_10device_ptrIjEEEESE_SE_jNS9_4plusIvEENS9_8equal_toIvEEjEE10hipError_tPvRmT2_T3_T4_T5_mT6_T7_P12ihipStream_tbENKUlT_T0_E_clISt17integral_constantIbLb1EESY_IbLb0EEEEDaSU_SV_EUlSU_E_NS1_11comp_targetILNS1_3genE0ELNS1_11target_archE4294967295ELNS1_3gpuE0ELNS1_3repE0EEENS1_30default_config_static_selectorELNS0_4arch9wavefront6targetE1EEEvT1_.kd
    .uniform_work_group_size: 1
    .uses_dynamic_stack: false
    .vgpr_count:     0
    .vgpr_spill_count: 0
    .wavefront_size: 64
  - .agpr_count:     0
    .args:
      - .offset:         0
        .size:           112
        .value_kind:     by_value
    .group_segment_fixed_size: 0
    .kernarg_segment_align: 8
    .kernarg_segment_size: 112
    .language:       OpenCL C
    .language_version:
      - 2
      - 0
    .max_flat_workgroup_size: 256
    .name:           _ZN7rocprim17ROCPRIM_400000_NS6detail17trampoline_kernelINS0_14default_configENS1_27scan_by_key_config_selectorIjjEEZZNS1_16scan_by_key_implILNS1_25lookback_scan_determinismE0ELb0ES3_N6thrust23THRUST_200600_302600_NS6detail15normal_iteratorINS9_10device_ptrIjEEEESE_SE_jNS9_4plusIvEENS9_8equal_toIvEEjEE10hipError_tPvRmT2_T3_T4_T5_mT6_T7_P12ihipStream_tbENKUlT_T0_E_clISt17integral_constantIbLb1EESY_IbLb0EEEEDaSU_SV_EUlSU_E_NS1_11comp_targetILNS1_3genE10ELNS1_11target_archE1201ELNS1_3gpuE5ELNS1_3repE0EEENS1_30default_config_static_selectorELNS0_4arch9wavefront6targetE1EEEvT1_
    .private_segment_fixed_size: 0
    .sgpr_count:     4
    .sgpr_spill_count: 0
    .symbol:         _ZN7rocprim17ROCPRIM_400000_NS6detail17trampoline_kernelINS0_14default_configENS1_27scan_by_key_config_selectorIjjEEZZNS1_16scan_by_key_implILNS1_25lookback_scan_determinismE0ELb0ES3_N6thrust23THRUST_200600_302600_NS6detail15normal_iteratorINS9_10device_ptrIjEEEESE_SE_jNS9_4plusIvEENS9_8equal_toIvEEjEE10hipError_tPvRmT2_T3_T4_T5_mT6_T7_P12ihipStream_tbENKUlT_T0_E_clISt17integral_constantIbLb1EESY_IbLb0EEEEDaSU_SV_EUlSU_E_NS1_11comp_targetILNS1_3genE10ELNS1_11target_archE1201ELNS1_3gpuE5ELNS1_3repE0EEENS1_30default_config_static_selectorELNS0_4arch9wavefront6targetE1EEEvT1_.kd
    .uniform_work_group_size: 1
    .uses_dynamic_stack: false
    .vgpr_count:     0
    .vgpr_spill_count: 0
    .wavefront_size: 64
  - .agpr_count:     0
    .args:
      - .offset:         0
        .size:           112
        .value_kind:     by_value
    .group_segment_fixed_size: 0
    .kernarg_segment_align: 8
    .kernarg_segment_size: 112
    .language:       OpenCL C
    .language_version:
      - 2
      - 0
    .max_flat_workgroup_size: 256
    .name:           _ZN7rocprim17ROCPRIM_400000_NS6detail17trampoline_kernelINS0_14default_configENS1_27scan_by_key_config_selectorIjjEEZZNS1_16scan_by_key_implILNS1_25lookback_scan_determinismE0ELb0ES3_N6thrust23THRUST_200600_302600_NS6detail15normal_iteratorINS9_10device_ptrIjEEEESE_SE_jNS9_4plusIvEENS9_8equal_toIvEEjEE10hipError_tPvRmT2_T3_T4_T5_mT6_T7_P12ihipStream_tbENKUlT_T0_E_clISt17integral_constantIbLb1EESY_IbLb0EEEEDaSU_SV_EUlSU_E_NS1_11comp_targetILNS1_3genE5ELNS1_11target_archE942ELNS1_3gpuE9ELNS1_3repE0EEENS1_30default_config_static_selectorELNS0_4arch9wavefront6targetE1EEEvT1_
    .private_segment_fixed_size: 0
    .sgpr_count:     4
    .sgpr_spill_count: 0
    .symbol:         _ZN7rocprim17ROCPRIM_400000_NS6detail17trampoline_kernelINS0_14default_configENS1_27scan_by_key_config_selectorIjjEEZZNS1_16scan_by_key_implILNS1_25lookback_scan_determinismE0ELb0ES3_N6thrust23THRUST_200600_302600_NS6detail15normal_iteratorINS9_10device_ptrIjEEEESE_SE_jNS9_4plusIvEENS9_8equal_toIvEEjEE10hipError_tPvRmT2_T3_T4_T5_mT6_T7_P12ihipStream_tbENKUlT_T0_E_clISt17integral_constantIbLb1EESY_IbLb0EEEEDaSU_SV_EUlSU_E_NS1_11comp_targetILNS1_3genE5ELNS1_11target_archE942ELNS1_3gpuE9ELNS1_3repE0EEENS1_30default_config_static_selectorELNS0_4arch9wavefront6targetE1EEEvT1_.kd
    .uniform_work_group_size: 1
    .uses_dynamic_stack: false
    .vgpr_count:     0
    .vgpr_spill_count: 0
    .wavefront_size: 64
  - .agpr_count:     0
    .args:
      - .offset:         0
        .size:           112
        .value_kind:     by_value
    .group_segment_fixed_size: 16384
    .kernarg_segment_align: 8
    .kernarg_segment_size: 112
    .language:       OpenCL C
    .language_version:
      - 2
      - 0
    .max_flat_workgroup_size: 256
    .name:           _ZN7rocprim17ROCPRIM_400000_NS6detail17trampoline_kernelINS0_14default_configENS1_27scan_by_key_config_selectorIjjEEZZNS1_16scan_by_key_implILNS1_25lookback_scan_determinismE0ELb0ES3_N6thrust23THRUST_200600_302600_NS6detail15normal_iteratorINS9_10device_ptrIjEEEESE_SE_jNS9_4plusIvEENS9_8equal_toIvEEjEE10hipError_tPvRmT2_T3_T4_T5_mT6_T7_P12ihipStream_tbENKUlT_T0_E_clISt17integral_constantIbLb1EESY_IbLb0EEEEDaSU_SV_EUlSU_E_NS1_11comp_targetILNS1_3genE4ELNS1_11target_archE910ELNS1_3gpuE8ELNS1_3repE0EEENS1_30default_config_static_selectorELNS0_4arch9wavefront6targetE1EEEvT1_
    .private_segment_fixed_size: 0
    .sgpr_count:     65
    .sgpr_spill_count: 0
    .symbol:         _ZN7rocprim17ROCPRIM_400000_NS6detail17trampoline_kernelINS0_14default_configENS1_27scan_by_key_config_selectorIjjEEZZNS1_16scan_by_key_implILNS1_25lookback_scan_determinismE0ELb0ES3_N6thrust23THRUST_200600_302600_NS6detail15normal_iteratorINS9_10device_ptrIjEEEESE_SE_jNS9_4plusIvEENS9_8equal_toIvEEjEE10hipError_tPvRmT2_T3_T4_T5_mT6_T7_P12ihipStream_tbENKUlT_T0_E_clISt17integral_constantIbLb1EESY_IbLb0EEEEDaSU_SV_EUlSU_E_NS1_11comp_targetILNS1_3genE4ELNS1_11target_archE910ELNS1_3gpuE8ELNS1_3repE0EEENS1_30default_config_static_selectorELNS0_4arch9wavefront6targetE1EEEvT1_.kd
    .uniform_work_group_size: 1
    .uses_dynamic_stack: false
    .vgpr_count:     65
    .vgpr_spill_count: 0
    .wavefront_size: 64
  - .agpr_count:     0
    .args:
      - .offset:         0
        .size:           112
        .value_kind:     by_value
    .group_segment_fixed_size: 0
    .kernarg_segment_align: 8
    .kernarg_segment_size: 112
    .language:       OpenCL C
    .language_version:
      - 2
      - 0
    .max_flat_workgroup_size: 256
    .name:           _ZN7rocprim17ROCPRIM_400000_NS6detail17trampoline_kernelINS0_14default_configENS1_27scan_by_key_config_selectorIjjEEZZNS1_16scan_by_key_implILNS1_25lookback_scan_determinismE0ELb0ES3_N6thrust23THRUST_200600_302600_NS6detail15normal_iteratorINS9_10device_ptrIjEEEESE_SE_jNS9_4plusIvEENS9_8equal_toIvEEjEE10hipError_tPvRmT2_T3_T4_T5_mT6_T7_P12ihipStream_tbENKUlT_T0_E_clISt17integral_constantIbLb1EESY_IbLb0EEEEDaSU_SV_EUlSU_E_NS1_11comp_targetILNS1_3genE3ELNS1_11target_archE908ELNS1_3gpuE7ELNS1_3repE0EEENS1_30default_config_static_selectorELNS0_4arch9wavefront6targetE1EEEvT1_
    .private_segment_fixed_size: 0
    .sgpr_count:     4
    .sgpr_spill_count: 0
    .symbol:         _ZN7rocprim17ROCPRIM_400000_NS6detail17trampoline_kernelINS0_14default_configENS1_27scan_by_key_config_selectorIjjEEZZNS1_16scan_by_key_implILNS1_25lookback_scan_determinismE0ELb0ES3_N6thrust23THRUST_200600_302600_NS6detail15normal_iteratorINS9_10device_ptrIjEEEESE_SE_jNS9_4plusIvEENS9_8equal_toIvEEjEE10hipError_tPvRmT2_T3_T4_T5_mT6_T7_P12ihipStream_tbENKUlT_T0_E_clISt17integral_constantIbLb1EESY_IbLb0EEEEDaSU_SV_EUlSU_E_NS1_11comp_targetILNS1_3genE3ELNS1_11target_archE908ELNS1_3gpuE7ELNS1_3repE0EEENS1_30default_config_static_selectorELNS0_4arch9wavefront6targetE1EEEvT1_.kd
    .uniform_work_group_size: 1
    .uses_dynamic_stack: false
    .vgpr_count:     0
    .vgpr_spill_count: 0
    .wavefront_size: 64
  - .agpr_count:     0
    .args:
      - .offset:         0
        .size:           112
        .value_kind:     by_value
    .group_segment_fixed_size: 0
    .kernarg_segment_align: 8
    .kernarg_segment_size: 112
    .language:       OpenCL C
    .language_version:
      - 2
      - 0
    .max_flat_workgroup_size: 256
    .name:           _ZN7rocprim17ROCPRIM_400000_NS6detail17trampoline_kernelINS0_14default_configENS1_27scan_by_key_config_selectorIjjEEZZNS1_16scan_by_key_implILNS1_25lookback_scan_determinismE0ELb0ES3_N6thrust23THRUST_200600_302600_NS6detail15normal_iteratorINS9_10device_ptrIjEEEESE_SE_jNS9_4plusIvEENS9_8equal_toIvEEjEE10hipError_tPvRmT2_T3_T4_T5_mT6_T7_P12ihipStream_tbENKUlT_T0_E_clISt17integral_constantIbLb1EESY_IbLb0EEEEDaSU_SV_EUlSU_E_NS1_11comp_targetILNS1_3genE2ELNS1_11target_archE906ELNS1_3gpuE6ELNS1_3repE0EEENS1_30default_config_static_selectorELNS0_4arch9wavefront6targetE1EEEvT1_
    .private_segment_fixed_size: 0
    .sgpr_count:     4
    .sgpr_spill_count: 0
    .symbol:         _ZN7rocprim17ROCPRIM_400000_NS6detail17trampoline_kernelINS0_14default_configENS1_27scan_by_key_config_selectorIjjEEZZNS1_16scan_by_key_implILNS1_25lookback_scan_determinismE0ELb0ES3_N6thrust23THRUST_200600_302600_NS6detail15normal_iteratorINS9_10device_ptrIjEEEESE_SE_jNS9_4plusIvEENS9_8equal_toIvEEjEE10hipError_tPvRmT2_T3_T4_T5_mT6_T7_P12ihipStream_tbENKUlT_T0_E_clISt17integral_constantIbLb1EESY_IbLb0EEEEDaSU_SV_EUlSU_E_NS1_11comp_targetILNS1_3genE2ELNS1_11target_archE906ELNS1_3gpuE6ELNS1_3repE0EEENS1_30default_config_static_selectorELNS0_4arch9wavefront6targetE1EEEvT1_.kd
    .uniform_work_group_size: 1
    .uses_dynamic_stack: false
    .vgpr_count:     0
    .vgpr_spill_count: 0
    .wavefront_size: 64
  - .agpr_count:     0
    .args:
      - .offset:         0
        .size:           112
        .value_kind:     by_value
    .group_segment_fixed_size: 0
    .kernarg_segment_align: 8
    .kernarg_segment_size: 112
    .language:       OpenCL C
    .language_version:
      - 2
      - 0
    .max_flat_workgroup_size: 256
    .name:           _ZN7rocprim17ROCPRIM_400000_NS6detail17trampoline_kernelINS0_14default_configENS1_27scan_by_key_config_selectorIjjEEZZNS1_16scan_by_key_implILNS1_25lookback_scan_determinismE0ELb0ES3_N6thrust23THRUST_200600_302600_NS6detail15normal_iteratorINS9_10device_ptrIjEEEESE_SE_jNS9_4plusIvEENS9_8equal_toIvEEjEE10hipError_tPvRmT2_T3_T4_T5_mT6_T7_P12ihipStream_tbENKUlT_T0_E_clISt17integral_constantIbLb1EESY_IbLb0EEEEDaSU_SV_EUlSU_E_NS1_11comp_targetILNS1_3genE10ELNS1_11target_archE1200ELNS1_3gpuE4ELNS1_3repE0EEENS1_30default_config_static_selectorELNS0_4arch9wavefront6targetE1EEEvT1_
    .private_segment_fixed_size: 0
    .sgpr_count:     4
    .sgpr_spill_count: 0
    .symbol:         _ZN7rocprim17ROCPRIM_400000_NS6detail17trampoline_kernelINS0_14default_configENS1_27scan_by_key_config_selectorIjjEEZZNS1_16scan_by_key_implILNS1_25lookback_scan_determinismE0ELb0ES3_N6thrust23THRUST_200600_302600_NS6detail15normal_iteratorINS9_10device_ptrIjEEEESE_SE_jNS9_4plusIvEENS9_8equal_toIvEEjEE10hipError_tPvRmT2_T3_T4_T5_mT6_T7_P12ihipStream_tbENKUlT_T0_E_clISt17integral_constantIbLb1EESY_IbLb0EEEEDaSU_SV_EUlSU_E_NS1_11comp_targetILNS1_3genE10ELNS1_11target_archE1200ELNS1_3gpuE4ELNS1_3repE0EEENS1_30default_config_static_selectorELNS0_4arch9wavefront6targetE1EEEvT1_.kd
    .uniform_work_group_size: 1
    .uses_dynamic_stack: false
    .vgpr_count:     0
    .vgpr_spill_count: 0
    .wavefront_size: 64
  - .agpr_count:     0
    .args:
      - .offset:         0
        .size:           112
        .value_kind:     by_value
    .group_segment_fixed_size: 0
    .kernarg_segment_align: 8
    .kernarg_segment_size: 112
    .language:       OpenCL C
    .language_version:
      - 2
      - 0
    .max_flat_workgroup_size: 256
    .name:           _ZN7rocprim17ROCPRIM_400000_NS6detail17trampoline_kernelINS0_14default_configENS1_27scan_by_key_config_selectorIjjEEZZNS1_16scan_by_key_implILNS1_25lookback_scan_determinismE0ELb0ES3_N6thrust23THRUST_200600_302600_NS6detail15normal_iteratorINS9_10device_ptrIjEEEESE_SE_jNS9_4plusIvEENS9_8equal_toIvEEjEE10hipError_tPvRmT2_T3_T4_T5_mT6_T7_P12ihipStream_tbENKUlT_T0_E_clISt17integral_constantIbLb1EESY_IbLb0EEEEDaSU_SV_EUlSU_E_NS1_11comp_targetILNS1_3genE9ELNS1_11target_archE1100ELNS1_3gpuE3ELNS1_3repE0EEENS1_30default_config_static_selectorELNS0_4arch9wavefront6targetE1EEEvT1_
    .private_segment_fixed_size: 0
    .sgpr_count:     4
    .sgpr_spill_count: 0
    .symbol:         _ZN7rocprim17ROCPRIM_400000_NS6detail17trampoline_kernelINS0_14default_configENS1_27scan_by_key_config_selectorIjjEEZZNS1_16scan_by_key_implILNS1_25lookback_scan_determinismE0ELb0ES3_N6thrust23THRUST_200600_302600_NS6detail15normal_iteratorINS9_10device_ptrIjEEEESE_SE_jNS9_4plusIvEENS9_8equal_toIvEEjEE10hipError_tPvRmT2_T3_T4_T5_mT6_T7_P12ihipStream_tbENKUlT_T0_E_clISt17integral_constantIbLb1EESY_IbLb0EEEEDaSU_SV_EUlSU_E_NS1_11comp_targetILNS1_3genE9ELNS1_11target_archE1100ELNS1_3gpuE3ELNS1_3repE0EEENS1_30default_config_static_selectorELNS0_4arch9wavefront6targetE1EEEvT1_.kd
    .uniform_work_group_size: 1
    .uses_dynamic_stack: false
    .vgpr_count:     0
    .vgpr_spill_count: 0
    .wavefront_size: 64
  - .agpr_count:     0
    .args:
      - .offset:         0
        .size:           112
        .value_kind:     by_value
    .group_segment_fixed_size: 0
    .kernarg_segment_align: 8
    .kernarg_segment_size: 112
    .language:       OpenCL C
    .language_version:
      - 2
      - 0
    .max_flat_workgroup_size: 256
    .name:           _ZN7rocprim17ROCPRIM_400000_NS6detail17trampoline_kernelINS0_14default_configENS1_27scan_by_key_config_selectorIjjEEZZNS1_16scan_by_key_implILNS1_25lookback_scan_determinismE0ELb0ES3_N6thrust23THRUST_200600_302600_NS6detail15normal_iteratorINS9_10device_ptrIjEEEESE_SE_jNS9_4plusIvEENS9_8equal_toIvEEjEE10hipError_tPvRmT2_T3_T4_T5_mT6_T7_P12ihipStream_tbENKUlT_T0_E_clISt17integral_constantIbLb1EESY_IbLb0EEEEDaSU_SV_EUlSU_E_NS1_11comp_targetILNS1_3genE8ELNS1_11target_archE1030ELNS1_3gpuE2ELNS1_3repE0EEENS1_30default_config_static_selectorELNS0_4arch9wavefront6targetE1EEEvT1_
    .private_segment_fixed_size: 0
    .sgpr_count:     4
    .sgpr_spill_count: 0
    .symbol:         _ZN7rocprim17ROCPRIM_400000_NS6detail17trampoline_kernelINS0_14default_configENS1_27scan_by_key_config_selectorIjjEEZZNS1_16scan_by_key_implILNS1_25lookback_scan_determinismE0ELb0ES3_N6thrust23THRUST_200600_302600_NS6detail15normal_iteratorINS9_10device_ptrIjEEEESE_SE_jNS9_4plusIvEENS9_8equal_toIvEEjEE10hipError_tPvRmT2_T3_T4_T5_mT6_T7_P12ihipStream_tbENKUlT_T0_E_clISt17integral_constantIbLb1EESY_IbLb0EEEEDaSU_SV_EUlSU_E_NS1_11comp_targetILNS1_3genE8ELNS1_11target_archE1030ELNS1_3gpuE2ELNS1_3repE0EEENS1_30default_config_static_selectorELNS0_4arch9wavefront6targetE1EEEvT1_.kd
    .uniform_work_group_size: 1
    .uses_dynamic_stack: false
    .vgpr_count:     0
    .vgpr_spill_count: 0
    .wavefront_size: 64
  - .agpr_count:     0
    .args:
      - .address_space:  global
        .offset:         0
        .size:           8
        .value_kind:     global_buffer
      - .offset:         8
        .size:           4
        .value_kind:     by_value
      - .offset:         12
        .size:           4
        .value_kind:     by_value
      - .address_space:  global
        .offset:         16
        .size:           8
        .value_kind:     global_buffer
      - .address_space:  global
        .offset:         24
        .size:           8
        .value_kind:     global_buffer
      - .actual_access:  write_only
        .address_space:  global
        .offset:         32
        .size:           8
        .value_kind:     global_buffer
      - .offset:         40
        .size:           8
        .value_kind:     by_value
      - .offset:         48
        .size:           4
        .value_kind:     by_value
      - .address_space:  global
        .offset:         56
        .size:           8
        .value_kind:     global_buffer
      - .offset:         64
        .size:           4
        .value_kind:     hidden_block_count_x
      - .offset:         68
        .size:           4
        .value_kind:     hidden_block_count_y
      - .offset:         72
        .size:           4
        .value_kind:     hidden_block_count_z
      - .offset:         76
        .size:           2
        .value_kind:     hidden_group_size_x
      - .offset:         78
        .size:           2
        .value_kind:     hidden_group_size_y
      - .offset:         80
        .size:           2
        .value_kind:     hidden_group_size_z
      - .offset:         82
        .size:           2
        .value_kind:     hidden_remainder_x
      - .offset:         84
        .size:           2
        .value_kind:     hidden_remainder_y
      - .offset:         86
        .size:           2
        .value_kind:     hidden_remainder_z
      - .offset:         104
        .size:           8
        .value_kind:     hidden_global_offset_x
      - .offset:         112
        .size:           8
        .value_kind:     hidden_global_offset_y
      - .offset:         120
        .size:           8
        .value_kind:     hidden_global_offset_z
      - .offset:         128
        .size:           2
        .value_kind:     hidden_grid_dims
    .group_segment_fixed_size: 0
    .kernarg_segment_align: 8
    .kernarg_segment_size: 320
    .language:       OpenCL C
    .language_version:
      - 2
      - 0
    .max_flat_workgroup_size: 256
    .name:           _ZN7rocprim17ROCPRIM_400000_NS6detail30init_device_scan_by_key_kernelINS1_19lookback_scan_stateINS0_5tupleIJjbEEELb0ELb1EEEN6thrust23THRUST_200600_302600_NS6detail15normal_iteratorINS8_10device_ptrIjEEEEjNS1_16block_id_wrapperIjLb1EEEEEvT_jjPNSG_10value_typeET0_PNSt15iterator_traitsISJ_E10value_typeEmT1_T2_
    .private_segment_fixed_size: 0
    .sgpr_count:     24
    .sgpr_spill_count: 0
    .symbol:         _ZN7rocprim17ROCPRIM_400000_NS6detail30init_device_scan_by_key_kernelINS1_19lookback_scan_stateINS0_5tupleIJjbEEELb0ELb1EEEN6thrust23THRUST_200600_302600_NS6detail15normal_iteratorINS8_10device_ptrIjEEEEjNS1_16block_id_wrapperIjLb1EEEEEvT_jjPNSG_10value_typeET0_PNSt15iterator_traitsISJ_E10value_typeEmT1_T2_.kd
    .uniform_work_group_size: 1
    .uses_dynamic_stack: false
    .vgpr_count:     10
    .vgpr_spill_count: 0
    .wavefront_size: 64
  - .agpr_count:     0
    .args:
      - .offset:         0
        .size:           112
        .value_kind:     by_value
    .group_segment_fixed_size: 0
    .kernarg_segment_align: 8
    .kernarg_segment_size: 112
    .language:       OpenCL C
    .language_version:
      - 2
      - 0
    .max_flat_workgroup_size: 256
    .name:           _ZN7rocprim17ROCPRIM_400000_NS6detail17trampoline_kernelINS0_14default_configENS1_27scan_by_key_config_selectorIjjEEZZNS1_16scan_by_key_implILNS1_25lookback_scan_determinismE0ELb0ES3_N6thrust23THRUST_200600_302600_NS6detail15normal_iteratorINS9_10device_ptrIjEEEESE_SE_jNS9_4plusIvEENS9_8equal_toIvEEjEE10hipError_tPvRmT2_T3_T4_T5_mT6_T7_P12ihipStream_tbENKUlT_T0_E_clISt17integral_constantIbLb0EESY_IbLb1EEEEDaSU_SV_EUlSU_E_NS1_11comp_targetILNS1_3genE0ELNS1_11target_archE4294967295ELNS1_3gpuE0ELNS1_3repE0EEENS1_30default_config_static_selectorELNS0_4arch9wavefront6targetE1EEEvT1_
    .private_segment_fixed_size: 0
    .sgpr_count:     4
    .sgpr_spill_count: 0
    .symbol:         _ZN7rocprim17ROCPRIM_400000_NS6detail17trampoline_kernelINS0_14default_configENS1_27scan_by_key_config_selectorIjjEEZZNS1_16scan_by_key_implILNS1_25lookback_scan_determinismE0ELb0ES3_N6thrust23THRUST_200600_302600_NS6detail15normal_iteratorINS9_10device_ptrIjEEEESE_SE_jNS9_4plusIvEENS9_8equal_toIvEEjEE10hipError_tPvRmT2_T3_T4_T5_mT6_T7_P12ihipStream_tbENKUlT_T0_E_clISt17integral_constantIbLb0EESY_IbLb1EEEEDaSU_SV_EUlSU_E_NS1_11comp_targetILNS1_3genE0ELNS1_11target_archE4294967295ELNS1_3gpuE0ELNS1_3repE0EEENS1_30default_config_static_selectorELNS0_4arch9wavefront6targetE1EEEvT1_.kd
    .uniform_work_group_size: 1
    .uses_dynamic_stack: false
    .vgpr_count:     0
    .vgpr_spill_count: 0
    .wavefront_size: 64
  - .agpr_count:     0
    .args:
      - .offset:         0
        .size:           112
        .value_kind:     by_value
    .group_segment_fixed_size: 0
    .kernarg_segment_align: 8
    .kernarg_segment_size: 112
    .language:       OpenCL C
    .language_version:
      - 2
      - 0
    .max_flat_workgroup_size: 256
    .name:           _ZN7rocprim17ROCPRIM_400000_NS6detail17trampoline_kernelINS0_14default_configENS1_27scan_by_key_config_selectorIjjEEZZNS1_16scan_by_key_implILNS1_25lookback_scan_determinismE0ELb0ES3_N6thrust23THRUST_200600_302600_NS6detail15normal_iteratorINS9_10device_ptrIjEEEESE_SE_jNS9_4plusIvEENS9_8equal_toIvEEjEE10hipError_tPvRmT2_T3_T4_T5_mT6_T7_P12ihipStream_tbENKUlT_T0_E_clISt17integral_constantIbLb0EESY_IbLb1EEEEDaSU_SV_EUlSU_E_NS1_11comp_targetILNS1_3genE10ELNS1_11target_archE1201ELNS1_3gpuE5ELNS1_3repE0EEENS1_30default_config_static_selectorELNS0_4arch9wavefront6targetE1EEEvT1_
    .private_segment_fixed_size: 0
    .sgpr_count:     4
    .sgpr_spill_count: 0
    .symbol:         _ZN7rocprim17ROCPRIM_400000_NS6detail17trampoline_kernelINS0_14default_configENS1_27scan_by_key_config_selectorIjjEEZZNS1_16scan_by_key_implILNS1_25lookback_scan_determinismE0ELb0ES3_N6thrust23THRUST_200600_302600_NS6detail15normal_iteratorINS9_10device_ptrIjEEEESE_SE_jNS9_4plusIvEENS9_8equal_toIvEEjEE10hipError_tPvRmT2_T3_T4_T5_mT6_T7_P12ihipStream_tbENKUlT_T0_E_clISt17integral_constantIbLb0EESY_IbLb1EEEEDaSU_SV_EUlSU_E_NS1_11comp_targetILNS1_3genE10ELNS1_11target_archE1201ELNS1_3gpuE5ELNS1_3repE0EEENS1_30default_config_static_selectorELNS0_4arch9wavefront6targetE1EEEvT1_.kd
    .uniform_work_group_size: 1
    .uses_dynamic_stack: false
    .vgpr_count:     0
    .vgpr_spill_count: 0
    .wavefront_size: 64
  - .agpr_count:     0
    .args:
      - .offset:         0
        .size:           112
        .value_kind:     by_value
    .group_segment_fixed_size: 0
    .kernarg_segment_align: 8
    .kernarg_segment_size: 112
    .language:       OpenCL C
    .language_version:
      - 2
      - 0
    .max_flat_workgroup_size: 256
    .name:           _ZN7rocprim17ROCPRIM_400000_NS6detail17trampoline_kernelINS0_14default_configENS1_27scan_by_key_config_selectorIjjEEZZNS1_16scan_by_key_implILNS1_25lookback_scan_determinismE0ELb0ES3_N6thrust23THRUST_200600_302600_NS6detail15normal_iteratorINS9_10device_ptrIjEEEESE_SE_jNS9_4plusIvEENS9_8equal_toIvEEjEE10hipError_tPvRmT2_T3_T4_T5_mT6_T7_P12ihipStream_tbENKUlT_T0_E_clISt17integral_constantIbLb0EESY_IbLb1EEEEDaSU_SV_EUlSU_E_NS1_11comp_targetILNS1_3genE5ELNS1_11target_archE942ELNS1_3gpuE9ELNS1_3repE0EEENS1_30default_config_static_selectorELNS0_4arch9wavefront6targetE1EEEvT1_
    .private_segment_fixed_size: 0
    .sgpr_count:     4
    .sgpr_spill_count: 0
    .symbol:         _ZN7rocprim17ROCPRIM_400000_NS6detail17trampoline_kernelINS0_14default_configENS1_27scan_by_key_config_selectorIjjEEZZNS1_16scan_by_key_implILNS1_25lookback_scan_determinismE0ELb0ES3_N6thrust23THRUST_200600_302600_NS6detail15normal_iteratorINS9_10device_ptrIjEEEESE_SE_jNS9_4plusIvEENS9_8equal_toIvEEjEE10hipError_tPvRmT2_T3_T4_T5_mT6_T7_P12ihipStream_tbENKUlT_T0_E_clISt17integral_constantIbLb0EESY_IbLb1EEEEDaSU_SV_EUlSU_E_NS1_11comp_targetILNS1_3genE5ELNS1_11target_archE942ELNS1_3gpuE9ELNS1_3repE0EEENS1_30default_config_static_selectorELNS0_4arch9wavefront6targetE1EEEvT1_.kd
    .uniform_work_group_size: 1
    .uses_dynamic_stack: false
    .vgpr_count:     0
    .vgpr_spill_count: 0
    .wavefront_size: 64
  - .agpr_count:     0
    .args:
      - .offset:         0
        .size:           112
        .value_kind:     by_value
    .group_segment_fixed_size: 16384
    .kernarg_segment_align: 8
    .kernarg_segment_size: 112
    .language:       OpenCL C
    .language_version:
      - 2
      - 0
    .max_flat_workgroup_size: 256
    .name:           _ZN7rocprim17ROCPRIM_400000_NS6detail17trampoline_kernelINS0_14default_configENS1_27scan_by_key_config_selectorIjjEEZZNS1_16scan_by_key_implILNS1_25lookback_scan_determinismE0ELb0ES3_N6thrust23THRUST_200600_302600_NS6detail15normal_iteratorINS9_10device_ptrIjEEEESE_SE_jNS9_4plusIvEENS9_8equal_toIvEEjEE10hipError_tPvRmT2_T3_T4_T5_mT6_T7_P12ihipStream_tbENKUlT_T0_E_clISt17integral_constantIbLb0EESY_IbLb1EEEEDaSU_SV_EUlSU_E_NS1_11comp_targetILNS1_3genE4ELNS1_11target_archE910ELNS1_3gpuE8ELNS1_3repE0EEENS1_30default_config_static_selectorELNS0_4arch9wavefront6targetE1EEEvT1_
    .private_segment_fixed_size: 0
    .sgpr_count:     69
    .sgpr_spill_count: 0
    .symbol:         _ZN7rocprim17ROCPRIM_400000_NS6detail17trampoline_kernelINS0_14default_configENS1_27scan_by_key_config_selectorIjjEEZZNS1_16scan_by_key_implILNS1_25lookback_scan_determinismE0ELb0ES3_N6thrust23THRUST_200600_302600_NS6detail15normal_iteratorINS9_10device_ptrIjEEEESE_SE_jNS9_4plusIvEENS9_8equal_toIvEEjEE10hipError_tPvRmT2_T3_T4_T5_mT6_T7_P12ihipStream_tbENKUlT_T0_E_clISt17integral_constantIbLb0EESY_IbLb1EEEEDaSU_SV_EUlSU_E_NS1_11comp_targetILNS1_3genE4ELNS1_11target_archE910ELNS1_3gpuE8ELNS1_3repE0EEENS1_30default_config_static_selectorELNS0_4arch9wavefront6targetE1EEEvT1_.kd
    .uniform_work_group_size: 1
    .uses_dynamic_stack: false
    .vgpr_count:     65
    .vgpr_spill_count: 0
    .wavefront_size: 64
  - .agpr_count:     0
    .args:
      - .offset:         0
        .size:           112
        .value_kind:     by_value
    .group_segment_fixed_size: 0
    .kernarg_segment_align: 8
    .kernarg_segment_size: 112
    .language:       OpenCL C
    .language_version:
      - 2
      - 0
    .max_flat_workgroup_size: 256
    .name:           _ZN7rocprim17ROCPRIM_400000_NS6detail17trampoline_kernelINS0_14default_configENS1_27scan_by_key_config_selectorIjjEEZZNS1_16scan_by_key_implILNS1_25lookback_scan_determinismE0ELb0ES3_N6thrust23THRUST_200600_302600_NS6detail15normal_iteratorINS9_10device_ptrIjEEEESE_SE_jNS9_4plusIvEENS9_8equal_toIvEEjEE10hipError_tPvRmT2_T3_T4_T5_mT6_T7_P12ihipStream_tbENKUlT_T0_E_clISt17integral_constantIbLb0EESY_IbLb1EEEEDaSU_SV_EUlSU_E_NS1_11comp_targetILNS1_3genE3ELNS1_11target_archE908ELNS1_3gpuE7ELNS1_3repE0EEENS1_30default_config_static_selectorELNS0_4arch9wavefront6targetE1EEEvT1_
    .private_segment_fixed_size: 0
    .sgpr_count:     4
    .sgpr_spill_count: 0
    .symbol:         _ZN7rocprim17ROCPRIM_400000_NS6detail17trampoline_kernelINS0_14default_configENS1_27scan_by_key_config_selectorIjjEEZZNS1_16scan_by_key_implILNS1_25lookback_scan_determinismE0ELb0ES3_N6thrust23THRUST_200600_302600_NS6detail15normal_iteratorINS9_10device_ptrIjEEEESE_SE_jNS9_4plusIvEENS9_8equal_toIvEEjEE10hipError_tPvRmT2_T3_T4_T5_mT6_T7_P12ihipStream_tbENKUlT_T0_E_clISt17integral_constantIbLb0EESY_IbLb1EEEEDaSU_SV_EUlSU_E_NS1_11comp_targetILNS1_3genE3ELNS1_11target_archE908ELNS1_3gpuE7ELNS1_3repE0EEENS1_30default_config_static_selectorELNS0_4arch9wavefront6targetE1EEEvT1_.kd
    .uniform_work_group_size: 1
    .uses_dynamic_stack: false
    .vgpr_count:     0
    .vgpr_spill_count: 0
    .wavefront_size: 64
  - .agpr_count:     0
    .args:
      - .offset:         0
        .size:           112
        .value_kind:     by_value
    .group_segment_fixed_size: 0
    .kernarg_segment_align: 8
    .kernarg_segment_size: 112
    .language:       OpenCL C
    .language_version:
      - 2
      - 0
    .max_flat_workgroup_size: 256
    .name:           _ZN7rocprim17ROCPRIM_400000_NS6detail17trampoline_kernelINS0_14default_configENS1_27scan_by_key_config_selectorIjjEEZZNS1_16scan_by_key_implILNS1_25lookback_scan_determinismE0ELb0ES3_N6thrust23THRUST_200600_302600_NS6detail15normal_iteratorINS9_10device_ptrIjEEEESE_SE_jNS9_4plusIvEENS9_8equal_toIvEEjEE10hipError_tPvRmT2_T3_T4_T5_mT6_T7_P12ihipStream_tbENKUlT_T0_E_clISt17integral_constantIbLb0EESY_IbLb1EEEEDaSU_SV_EUlSU_E_NS1_11comp_targetILNS1_3genE2ELNS1_11target_archE906ELNS1_3gpuE6ELNS1_3repE0EEENS1_30default_config_static_selectorELNS0_4arch9wavefront6targetE1EEEvT1_
    .private_segment_fixed_size: 0
    .sgpr_count:     4
    .sgpr_spill_count: 0
    .symbol:         _ZN7rocprim17ROCPRIM_400000_NS6detail17trampoline_kernelINS0_14default_configENS1_27scan_by_key_config_selectorIjjEEZZNS1_16scan_by_key_implILNS1_25lookback_scan_determinismE0ELb0ES3_N6thrust23THRUST_200600_302600_NS6detail15normal_iteratorINS9_10device_ptrIjEEEESE_SE_jNS9_4plusIvEENS9_8equal_toIvEEjEE10hipError_tPvRmT2_T3_T4_T5_mT6_T7_P12ihipStream_tbENKUlT_T0_E_clISt17integral_constantIbLb0EESY_IbLb1EEEEDaSU_SV_EUlSU_E_NS1_11comp_targetILNS1_3genE2ELNS1_11target_archE906ELNS1_3gpuE6ELNS1_3repE0EEENS1_30default_config_static_selectorELNS0_4arch9wavefront6targetE1EEEvT1_.kd
    .uniform_work_group_size: 1
    .uses_dynamic_stack: false
    .vgpr_count:     0
    .vgpr_spill_count: 0
    .wavefront_size: 64
  - .agpr_count:     0
    .args:
      - .offset:         0
        .size:           112
        .value_kind:     by_value
    .group_segment_fixed_size: 0
    .kernarg_segment_align: 8
    .kernarg_segment_size: 112
    .language:       OpenCL C
    .language_version:
      - 2
      - 0
    .max_flat_workgroup_size: 256
    .name:           _ZN7rocprim17ROCPRIM_400000_NS6detail17trampoline_kernelINS0_14default_configENS1_27scan_by_key_config_selectorIjjEEZZNS1_16scan_by_key_implILNS1_25lookback_scan_determinismE0ELb0ES3_N6thrust23THRUST_200600_302600_NS6detail15normal_iteratorINS9_10device_ptrIjEEEESE_SE_jNS9_4plusIvEENS9_8equal_toIvEEjEE10hipError_tPvRmT2_T3_T4_T5_mT6_T7_P12ihipStream_tbENKUlT_T0_E_clISt17integral_constantIbLb0EESY_IbLb1EEEEDaSU_SV_EUlSU_E_NS1_11comp_targetILNS1_3genE10ELNS1_11target_archE1200ELNS1_3gpuE4ELNS1_3repE0EEENS1_30default_config_static_selectorELNS0_4arch9wavefront6targetE1EEEvT1_
    .private_segment_fixed_size: 0
    .sgpr_count:     4
    .sgpr_spill_count: 0
    .symbol:         _ZN7rocprim17ROCPRIM_400000_NS6detail17trampoline_kernelINS0_14default_configENS1_27scan_by_key_config_selectorIjjEEZZNS1_16scan_by_key_implILNS1_25lookback_scan_determinismE0ELb0ES3_N6thrust23THRUST_200600_302600_NS6detail15normal_iteratorINS9_10device_ptrIjEEEESE_SE_jNS9_4plusIvEENS9_8equal_toIvEEjEE10hipError_tPvRmT2_T3_T4_T5_mT6_T7_P12ihipStream_tbENKUlT_T0_E_clISt17integral_constantIbLb0EESY_IbLb1EEEEDaSU_SV_EUlSU_E_NS1_11comp_targetILNS1_3genE10ELNS1_11target_archE1200ELNS1_3gpuE4ELNS1_3repE0EEENS1_30default_config_static_selectorELNS0_4arch9wavefront6targetE1EEEvT1_.kd
    .uniform_work_group_size: 1
    .uses_dynamic_stack: false
    .vgpr_count:     0
    .vgpr_spill_count: 0
    .wavefront_size: 64
  - .agpr_count:     0
    .args:
      - .offset:         0
        .size:           112
        .value_kind:     by_value
    .group_segment_fixed_size: 0
    .kernarg_segment_align: 8
    .kernarg_segment_size: 112
    .language:       OpenCL C
    .language_version:
      - 2
      - 0
    .max_flat_workgroup_size: 256
    .name:           _ZN7rocprim17ROCPRIM_400000_NS6detail17trampoline_kernelINS0_14default_configENS1_27scan_by_key_config_selectorIjjEEZZNS1_16scan_by_key_implILNS1_25lookback_scan_determinismE0ELb0ES3_N6thrust23THRUST_200600_302600_NS6detail15normal_iteratorINS9_10device_ptrIjEEEESE_SE_jNS9_4plusIvEENS9_8equal_toIvEEjEE10hipError_tPvRmT2_T3_T4_T5_mT6_T7_P12ihipStream_tbENKUlT_T0_E_clISt17integral_constantIbLb0EESY_IbLb1EEEEDaSU_SV_EUlSU_E_NS1_11comp_targetILNS1_3genE9ELNS1_11target_archE1100ELNS1_3gpuE3ELNS1_3repE0EEENS1_30default_config_static_selectorELNS0_4arch9wavefront6targetE1EEEvT1_
    .private_segment_fixed_size: 0
    .sgpr_count:     4
    .sgpr_spill_count: 0
    .symbol:         _ZN7rocprim17ROCPRIM_400000_NS6detail17trampoline_kernelINS0_14default_configENS1_27scan_by_key_config_selectorIjjEEZZNS1_16scan_by_key_implILNS1_25lookback_scan_determinismE0ELb0ES3_N6thrust23THRUST_200600_302600_NS6detail15normal_iteratorINS9_10device_ptrIjEEEESE_SE_jNS9_4plusIvEENS9_8equal_toIvEEjEE10hipError_tPvRmT2_T3_T4_T5_mT6_T7_P12ihipStream_tbENKUlT_T0_E_clISt17integral_constantIbLb0EESY_IbLb1EEEEDaSU_SV_EUlSU_E_NS1_11comp_targetILNS1_3genE9ELNS1_11target_archE1100ELNS1_3gpuE3ELNS1_3repE0EEENS1_30default_config_static_selectorELNS0_4arch9wavefront6targetE1EEEvT1_.kd
    .uniform_work_group_size: 1
    .uses_dynamic_stack: false
    .vgpr_count:     0
    .vgpr_spill_count: 0
    .wavefront_size: 64
  - .agpr_count:     0
    .args:
      - .offset:         0
        .size:           112
        .value_kind:     by_value
    .group_segment_fixed_size: 0
    .kernarg_segment_align: 8
    .kernarg_segment_size: 112
    .language:       OpenCL C
    .language_version:
      - 2
      - 0
    .max_flat_workgroup_size: 256
    .name:           _ZN7rocprim17ROCPRIM_400000_NS6detail17trampoline_kernelINS0_14default_configENS1_27scan_by_key_config_selectorIjjEEZZNS1_16scan_by_key_implILNS1_25lookback_scan_determinismE0ELb0ES3_N6thrust23THRUST_200600_302600_NS6detail15normal_iteratorINS9_10device_ptrIjEEEESE_SE_jNS9_4plusIvEENS9_8equal_toIvEEjEE10hipError_tPvRmT2_T3_T4_T5_mT6_T7_P12ihipStream_tbENKUlT_T0_E_clISt17integral_constantIbLb0EESY_IbLb1EEEEDaSU_SV_EUlSU_E_NS1_11comp_targetILNS1_3genE8ELNS1_11target_archE1030ELNS1_3gpuE2ELNS1_3repE0EEENS1_30default_config_static_selectorELNS0_4arch9wavefront6targetE1EEEvT1_
    .private_segment_fixed_size: 0
    .sgpr_count:     4
    .sgpr_spill_count: 0
    .symbol:         _ZN7rocprim17ROCPRIM_400000_NS6detail17trampoline_kernelINS0_14default_configENS1_27scan_by_key_config_selectorIjjEEZZNS1_16scan_by_key_implILNS1_25lookback_scan_determinismE0ELb0ES3_N6thrust23THRUST_200600_302600_NS6detail15normal_iteratorINS9_10device_ptrIjEEEESE_SE_jNS9_4plusIvEENS9_8equal_toIvEEjEE10hipError_tPvRmT2_T3_T4_T5_mT6_T7_P12ihipStream_tbENKUlT_T0_E_clISt17integral_constantIbLb0EESY_IbLb1EEEEDaSU_SV_EUlSU_E_NS1_11comp_targetILNS1_3genE8ELNS1_11target_archE1030ELNS1_3gpuE2ELNS1_3repE0EEENS1_30default_config_static_selectorELNS0_4arch9wavefront6targetE1EEEvT1_.kd
    .uniform_work_group_size: 1
    .uses_dynamic_stack: false
    .vgpr_count:     0
    .vgpr_spill_count: 0
    .wavefront_size: 64
  - .agpr_count:     0
    .args:
      - .offset:         0
        .size:           16
        .value_kind:     by_value
      - .offset:         16
        .size:           8
        .value_kind:     by_value
      - .offset:         24
        .size:           8
        .value_kind:     by_value
    .group_segment_fixed_size: 0
    .kernarg_segment_align: 8
    .kernarg_segment_size: 32
    .language:       OpenCL C
    .language_version:
      - 2
      - 0
    .max_flat_workgroup_size: 256
    .name:           _ZN6thrust23THRUST_200600_302600_NS11hip_rocprim14__parallel_for6kernelILj256ENS1_10for_each_fINS0_10device_ptrI11FixedVectorIiLj1EEEENS0_6detail16wrapped_functionINS9_23allocator_traits_detail5gozerEvEEEElLj1EEEvT0_T1_SG_
    .private_segment_fixed_size: 0
    .sgpr_count:     4
    .sgpr_spill_count: 0
    .symbol:         _ZN6thrust23THRUST_200600_302600_NS11hip_rocprim14__parallel_for6kernelILj256ENS1_10for_each_fINS0_10device_ptrI11FixedVectorIiLj1EEEENS0_6detail16wrapped_functionINS9_23allocator_traits_detail5gozerEvEEEElLj1EEEvT0_T1_SG_.kd
    .uniform_work_group_size: 1
    .uses_dynamic_stack: false
    .vgpr_count:     0
    .vgpr_spill_count: 0
    .wavefront_size: 64
  - .agpr_count:     0
    .args:
      - .offset:         0
        .size:           16
        .value_kind:     by_value
      - .offset:         16
        .size:           8
        .value_kind:     by_value
      - .offset:         24
        .size:           8
        .value_kind:     by_value
    .group_segment_fixed_size: 0
    .kernarg_segment_align: 8
    .kernarg_segment_size: 32
    .language:       OpenCL C
    .language_version:
      - 2
      - 0
    .max_flat_workgroup_size: 256
    .name:           _ZN6thrust23THRUST_200600_302600_NS11hip_rocprim14__parallel_for6kernelILj256ENS1_10for_each_fINS0_10device_ptrI11FixedVectorIiLj1EEEENS0_6detail16wrapped_functionINS9_23allocator_traits_detail24construct1_via_allocatorINS0_16device_allocatorIS7_EEEEvEEEEmLj1EEEvT0_T1_SJ_
    .private_segment_fixed_size: 0
    .sgpr_count:     16
    .sgpr_spill_count: 0
    .symbol:         _ZN6thrust23THRUST_200600_302600_NS11hip_rocprim14__parallel_for6kernelILj256ENS1_10for_each_fINS0_10device_ptrI11FixedVectorIiLj1EEEENS0_6detail16wrapped_functionINS9_23allocator_traits_detail24construct1_via_allocatorINS0_16device_allocatorIS7_EEEEvEEEEmLj1EEEvT0_T1_SJ_.kd
    .uniform_work_group_size: 1
    .uses_dynamic_stack: false
    .vgpr_count:     4
    .vgpr_spill_count: 0
    .wavefront_size: 64
  - .agpr_count:     0
    .args:
      - .address_space:  global
        .offset:         0
        .size:           8
        .value_kind:     global_buffer
      - .offset:         8
        .size:           4
        .value_kind:     by_value
      - .offset:         12
        .size:           4
        .value_kind:     by_value
      - .address_space:  global
        .offset:         16
        .size:           8
        .value_kind:     global_buffer
      - .address_space:  global
        .offset:         24
        .size:           8
        .value_kind:     global_buffer
      - .actual_access:  write_only
        .address_space:  global
        .offset:         32
        .size:           8
        .value_kind:     global_buffer
      - .offset:         40
        .size:           8
        .value_kind:     by_value
      - .offset:         48
        .size:           4
        .value_kind:     by_value
      - .offset:         52
        .size:           1
        .value_kind:     by_value
      - .offset:         56
        .size:           4
        .value_kind:     hidden_block_count_x
      - .offset:         60
        .size:           4
        .value_kind:     hidden_block_count_y
      - .offset:         64
        .size:           4
        .value_kind:     hidden_block_count_z
      - .offset:         68
        .size:           2
        .value_kind:     hidden_group_size_x
      - .offset:         70
        .size:           2
        .value_kind:     hidden_group_size_y
      - .offset:         72
        .size:           2
        .value_kind:     hidden_group_size_z
      - .offset:         74
        .size:           2
        .value_kind:     hidden_remainder_x
      - .offset:         76
        .size:           2
        .value_kind:     hidden_remainder_y
      - .offset:         78
        .size:           2
        .value_kind:     hidden_remainder_z
      - .offset:         96
        .size:           8
        .value_kind:     hidden_global_offset_x
      - .offset:         104
        .size:           8
        .value_kind:     hidden_global_offset_y
      - .offset:         112
        .size:           8
        .value_kind:     hidden_global_offset_z
      - .offset:         120
        .size:           2
        .value_kind:     hidden_grid_dims
    .group_segment_fixed_size: 0
    .kernarg_segment_align: 8
    .kernarg_segment_size: 312
    .language:       OpenCL C
    .language_version:
      - 2
      - 0
    .max_flat_workgroup_size: 256
    .name:           _ZN7rocprim17ROCPRIM_400000_NS6detail30init_device_scan_by_key_kernelINS1_19lookback_scan_stateINS0_5tupleIJ11FixedVectorIiLj1EEbEEELb0ELb1EEEN6thrust23THRUST_200600_302600_NS6detail15normal_iteratorINSA_10device_ptrIjEEEEjNS1_16block_id_wrapperIjLb0EEEEEvT_jjPNSI_10value_typeET0_PNSt15iterator_traitsISL_E10value_typeEmT1_T2_
    .private_segment_fixed_size: 0
    .sgpr_count:     24
    .sgpr_spill_count: 0
    .symbol:         _ZN7rocprim17ROCPRIM_400000_NS6detail30init_device_scan_by_key_kernelINS1_19lookback_scan_stateINS0_5tupleIJ11FixedVectorIiLj1EEbEEELb0ELb1EEEN6thrust23THRUST_200600_302600_NS6detail15normal_iteratorINSA_10device_ptrIjEEEEjNS1_16block_id_wrapperIjLb0EEEEEvT_jjPNSI_10value_typeET0_PNSt15iterator_traitsISL_E10value_typeEmT1_T2_.kd
    .uniform_work_group_size: 1
    .uses_dynamic_stack: false
    .vgpr_count:     10
    .vgpr_spill_count: 0
    .wavefront_size: 64
  - .agpr_count:     0
    .args:
      - .address_space:  global
        .offset:         0
        .size:           8
        .value_kind:     global_buffer
      - .offset:         8
        .size:           4
        .value_kind:     by_value
      - .offset:         12
        .size:           4
        .value_kind:     by_value
      - .address_space:  global
        .offset:         16
        .size:           8
        .value_kind:     global_buffer
      - .offset:         24
        .size:           1
        .value_kind:     by_value
      - .offset:         32
        .size:           4
        .value_kind:     hidden_block_count_x
      - .offset:         36
        .size:           4
        .value_kind:     hidden_block_count_y
      - .offset:         40
        .size:           4
        .value_kind:     hidden_block_count_z
      - .offset:         44
        .size:           2
        .value_kind:     hidden_group_size_x
      - .offset:         46
        .size:           2
        .value_kind:     hidden_group_size_y
      - .offset:         48
        .size:           2
        .value_kind:     hidden_group_size_z
      - .offset:         50
        .size:           2
        .value_kind:     hidden_remainder_x
      - .offset:         52
        .size:           2
        .value_kind:     hidden_remainder_y
      - .offset:         54
        .size:           2
        .value_kind:     hidden_remainder_z
      - .offset:         72
        .size:           8
        .value_kind:     hidden_global_offset_x
      - .offset:         80
        .size:           8
        .value_kind:     hidden_global_offset_y
      - .offset:         88
        .size:           8
        .value_kind:     hidden_global_offset_z
      - .offset:         96
        .size:           2
        .value_kind:     hidden_grid_dims
    .group_segment_fixed_size: 0
    .kernarg_segment_align: 8
    .kernarg_segment_size: 288
    .language:       OpenCL C
    .language_version:
      - 2
      - 0
    .max_flat_workgroup_size: 256
    .name:           _ZN7rocprim17ROCPRIM_400000_NS6detail30init_device_scan_by_key_kernelINS1_19lookback_scan_stateINS0_5tupleIJ11FixedVectorIiLj1EEbEEELb0ELb1EEENS1_16block_id_wrapperIjLb0EEEEEvT_jjPNSB_10value_typeET0_
    .private_segment_fixed_size: 0
    .sgpr_count:     18
    .sgpr_spill_count: 0
    .symbol:         _ZN7rocprim17ROCPRIM_400000_NS6detail30init_device_scan_by_key_kernelINS1_19lookback_scan_stateINS0_5tupleIJ11FixedVectorIiLj1EEbEEELb0ELb1EEENS1_16block_id_wrapperIjLb0EEEEEvT_jjPNSB_10value_typeET0_.kd
    .uniform_work_group_size: 1
    .uses_dynamic_stack: false
    .vgpr_count:     10
    .vgpr_spill_count: 0
    .wavefront_size: 64
  - .agpr_count:     0
    .args:
      - .offset:         0
        .size:           112
        .value_kind:     by_value
    .group_segment_fixed_size: 0
    .kernarg_segment_align: 8
    .kernarg_segment_size: 112
    .language:       OpenCL C
    .language_version:
      - 2
      - 0
    .max_flat_workgroup_size: 256
    .name:           _ZN7rocprim17ROCPRIM_400000_NS6detail17trampoline_kernelINS0_14default_configENS1_27scan_by_key_config_selectorIj11FixedVectorIiLj1EEEEZZNS1_16scan_by_key_implILNS1_25lookback_scan_determinismE0ELb0ES3_N6thrust23THRUST_200600_302600_NS6detail15normal_iteratorINSB_10device_ptrIjEEEENSD_INSE_IS6_EEEESI_S6_NSB_4plusIvEENSB_8equal_toIvEES6_EE10hipError_tPvRmT2_T3_T4_T5_mT6_T7_P12ihipStream_tbENKUlT_T0_E_clISt17integral_constantIbLb0EES13_EEDaSY_SZ_EUlSY_E_NS1_11comp_targetILNS1_3genE0ELNS1_11target_archE4294967295ELNS1_3gpuE0ELNS1_3repE0EEENS1_30default_config_static_selectorELNS0_4arch9wavefront6targetE1EEEvT1_
    .private_segment_fixed_size: 0
    .sgpr_count:     4
    .sgpr_spill_count: 0
    .symbol:         _ZN7rocprim17ROCPRIM_400000_NS6detail17trampoline_kernelINS0_14default_configENS1_27scan_by_key_config_selectorIj11FixedVectorIiLj1EEEEZZNS1_16scan_by_key_implILNS1_25lookback_scan_determinismE0ELb0ES3_N6thrust23THRUST_200600_302600_NS6detail15normal_iteratorINSB_10device_ptrIjEEEENSD_INSE_IS6_EEEESI_S6_NSB_4plusIvEENSB_8equal_toIvEES6_EE10hipError_tPvRmT2_T3_T4_T5_mT6_T7_P12ihipStream_tbENKUlT_T0_E_clISt17integral_constantIbLb0EES13_EEDaSY_SZ_EUlSY_E_NS1_11comp_targetILNS1_3genE0ELNS1_11target_archE4294967295ELNS1_3gpuE0ELNS1_3repE0EEENS1_30default_config_static_selectorELNS0_4arch9wavefront6targetE1EEEvT1_.kd
    .uniform_work_group_size: 1
    .uses_dynamic_stack: false
    .vgpr_count:     0
    .vgpr_spill_count: 0
    .wavefront_size: 64
  - .agpr_count:     0
    .args:
      - .offset:         0
        .size:           112
        .value_kind:     by_value
    .group_segment_fixed_size: 0
    .kernarg_segment_align: 8
    .kernarg_segment_size: 112
    .language:       OpenCL C
    .language_version:
      - 2
      - 0
    .max_flat_workgroup_size: 256
    .name:           _ZN7rocprim17ROCPRIM_400000_NS6detail17trampoline_kernelINS0_14default_configENS1_27scan_by_key_config_selectorIj11FixedVectorIiLj1EEEEZZNS1_16scan_by_key_implILNS1_25lookback_scan_determinismE0ELb0ES3_N6thrust23THRUST_200600_302600_NS6detail15normal_iteratorINSB_10device_ptrIjEEEENSD_INSE_IS6_EEEESI_S6_NSB_4plusIvEENSB_8equal_toIvEES6_EE10hipError_tPvRmT2_T3_T4_T5_mT6_T7_P12ihipStream_tbENKUlT_T0_E_clISt17integral_constantIbLb0EES13_EEDaSY_SZ_EUlSY_E_NS1_11comp_targetILNS1_3genE10ELNS1_11target_archE1201ELNS1_3gpuE5ELNS1_3repE0EEENS1_30default_config_static_selectorELNS0_4arch9wavefront6targetE1EEEvT1_
    .private_segment_fixed_size: 0
    .sgpr_count:     4
    .sgpr_spill_count: 0
    .symbol:         _ZN7rocprim17ROCPRIM_400000_NS6detail17trampoline_kernelINS0_14default_configENS1_27scan_by_key_config_selectorIj11FixedVectorIiLj1EEEEZZNS1_16scan_by_key_implILNS1_25lookback_scan_determinismE0ELb0ES3_N6thrust23THRUST_200600_302600_NS6detail15normal_iteratorINSB_10device_ptrIjEEEENSD_INSE_IS6_EEEESI_S6_NSB_4plusIvEENSB_8equal_toIvEES6_EE10hipError_tPvRmT2_T3_T4_T5_mT6_T7_P12ihipStream_tbENKUlT_T0_E_clISt17integral_constantIbLb0EES13_EEDaSY_SZ_EUlSY_E_NS1_11comp_targetILNS1_3genE10ELNS1_11target_archE1201ELNS1_3gpuE5ELNS1_3repE0EEENS1_30default_config_static_selectorELNS0_4arch9wavefront6targetE1EEEvT1_.kd
    .uniform_work_group_size: 1
    .uses_dynamic_stack: false
    .vgpr_count:     0
    .vgpr_spill_count: 0
    .wavefront_size: 64
  - .agpr_count:     0
    .args:
      - .offset:         0
        .size:           112
        .value_kind:     by_value
    .group_segment_fixed_size: 0
    .kernarg_segment_align: 8
    .kernarg_segment_size: 112
    .language:       OpenCL C
    .language_version:
      - 2
      - 0
    .max_flat_workgroup_size: 256
    .name:           _ZN7rocprim17ROCPRIM_400000_NS6detail17trampoline_kernelINS0_14default_configENS1_27scan_by_key_config_selectorIj11FixedVectorIiLj1EEEEZZNS1_16scan_by_key_implILNS1_25lookback_scan_determinismE0ELb0ES3_N6thrust23THRUST_200600_302600_NS6detail15normal_iteratorINSB_10device_ptrIjEEEENSD_INSE_IS6_EEEESI_S6_NSB_4plusIvEENSB_8equal_toIvEES6_EE10hipError_tPvRmT2_T3_T4_T5_mT6_T7_P12ihipStream_tbENKUlT_T0_E_clISt17integral_constantIbLb0EES13_EEDaSY_SZ_EUlSY_E_NS1_11comp_targetILNS1_3genE5ELNS1_11target_archE942ELNS1_3gpuE9ELNS1_3repE0EEENS1_30default_config_static_selectorELNS0_4arch9wavefront6targetE1EEEvT1_
    .private_segment_fixed_size: 0
    .sgpr_count:     4
    .sgpr_spill_count: 0
    .symbol:         _ZN7rocprim17ROCPRIM_400000_NS6detail17trampoline_kernelINS0_14default_configENS1_27scan_by_key_config_selectorIj11FixedVectorIiLj1EEEEZZNS1_16scan_by_key_implILNS1_25lookback_scan_determinismE0ELb0ES3_N6thrust23THRUST_200600_302600_NS6detail15normal_iteratorINSB_10device_ptrIjEEEENSD_INSE_IS6_EEEESI_S6_NSB_4plusIvEENSB_8equal_toIvEES6_EE10hipError_tPvRmT2_T3_T4_T5_mT6_T7_P12ihipStream_tbENKUlT_T0_E_clISt17integral_constantIbLb0EES13_EEDaSY_SZ_EUlSY_E_NS1_11comp_targetILNS1_3genE5ELNS1_11target_archE942ELNS1_3gpuE9ELNS1_3repE0EEENS1_30default_config_static_selectorELNS0_4arch9wavefront6targetE1EEEvT1_.kd
    .uniform_work_group_size: 1
    .uses_dynamic_stack: false
    .vgpr_count:     0
    .vgpr_spill_count: 0
    .wavefront_size: 64
  - .agpr_count:     0
    .args:
      - .offset:         0
        .size:           112
        .value_kind:     by_value
    .group_segment_fixed_size: 16384
    .kernarg_segment_align: 8
    .kernarg_segment_size: 112
    .language:       OpenCL C
    .language_version:
      - 2
      - 0
    .max_flat_workgroup_size: 256
    .name:           _ZN7rocprim17ROCPRIM_400000_NS6detail17trampoline_kernelINS0_14default_configENS1_27scan_by_key_config_selectorIj11FixedVectorIiLj1EEEEZZNS1_16scan_by_key_implILNS1_25lookback_scan_determinismE0ELb0ES3_N6thrust23THRUST_200600_302600_NS6detail15normal_iteratorINSB_10device_ptrIjEEEENSD_INSE_IS6_EEEESI_S6_NSB_4plusIvEENSB_8equal_toIvEES6_EE10hipError_tPvRmT2_T3_T4_T5_mT6_T7_P12ihipStream_tbENKUlT_T0_E_clISt17integral_constantIbLb0EES13_EEDaSY_SZ_EUlSY_E_NS1_11comp_targetILNS1_3genE4ELNS1_11target_archE910ELNS1_3gpuE8ELNS1_3repE0EEENS1_30default_config_static_selectorELNS0_4arch9wavefront6targetE1EEEvT1_
    .private_segment_fixed_size: 0
    .sgpr_count:     65
    .sgpr_spill_count: 0
    .symbol:         _ZN7rocprim17ROCPRIM_400000_NS6detail17trampoline_kernelINS0_14default_configENS1_27scan_by_key_config_selectorIj11FixedVectorIiLj1EEEEZZNS1_16scan_by_key_implILNS1_25lookback_scan_determinismE0ELb0ES3_N6thrust23THRUST_200600_302600_NS6detail15normal_iteratorINSB_10device_ptrIjEEEENSD_INSE_IS6_EEEESI_S6_NSB_4plusIvEENSB_8equal_toIvEES6_EE10hipError_tPvRmT2_T3_T4_T5_mT6_T7_P12ihipStream_tbENKUlT_T0_E_clISt17integral_constantIbLb0EES13_EEDaSY_SZ_EUlSY_E_NS1_11comp_targetILNS1_3genE4ELNS1_11target_archE910ELNS1_3gpuE8ELNS1_3repE0EEENS1_30default_config_static_selectorELNS0_4arch9wavefront6targetE1EEEvT1_.kd
    .uniform_work_group_size: 1
    .uses_dynamic_stack: false
    .vgpr_count:     65
    .vgpr_spill_count: 0
    .wavefront_size: 64
  - .agpr_count:     0
    .args:
      - .offset:         0
        .size:           112
        .value_kind:     by_value
    .group_segment_fixed_size: 0
    .kernarg_segment_align: 8
    .kernarg_segment_size: 112
    .language:       OpenCL C
    .language_version:
      - 2
      - 0
    .max_flat_workgroup_size: 256
    .name:           _ZN7rocprim17ROCPRIM_400000_NS6detail17trampoline_kernelINS0_14default_configENS1_27scan_by_key_config_selectorIj11FixedVectorIiLj1EEEEZZNS1_16scan_by_key_implILNS1_25lookback_scan_determinismE0ELb0ES3_N6thrust23THRUST_200600_302600_NS6detail15normal_iteratorINSB_10device_ptrIjEEEENSD_INSE_IS6_EEEESI_S6_NSB_4plusIvEENSB_8equal_toIvEES6_EE10hipError_tPvRmT2_T3_T4_T5_mT6_T7_P12ihipStream_tbENKUlT_T0_E_clISt17integral_constantIbLb0EES13_EEDaSY_SZ_EUlSY_E_NS1_11comp_targetILNS1_3genE3ELNS1_11target_archE908ELNS1_3gpuE7ELNS1_3repE0EEENS1_30default_config_static_selectorELNS0_4arch9wavefront6targetE1EEEvT1_
    .private_segment_fixed_size: 0
    .sgpr_count:     4
    .sgpr_spill_count: 0
    .symbol:         _ZN7rocprim17ROCPRIM_400000_NS6detail17trampoline_kernelINS0_14default_configENS1_27scan_by_key_config_selectorIj11FixedVectorIiLj1EEEEZZNS1_16scan_by_key_implILNS1_25lookback_scan_determinismE0ELb0ES3_N6thrust23THRUST_200600_302600_NS6detail15normal_iteratorINSB_10device_ptrIjEEEENSD_INSE_IS6_EEEESI_S6_NSB_4plusIvEENSB_8equal_toIvEES6_EE10hipError_tPvRmT2_T3_T4_T5_mT6_T7_P12ihipStream_tbENKUlT_T0_E_clISt17integral_constantIbLb0EES13_EEDaSY_SZ_EUlSY_E_NS1_11comp_targetILNS1_3genE3ELNS1_11target_archE908ELNS1_3gpuE7ELNS1_3repE0EEENS1_30default_config_static_selectorELNS0_4arch9wavefront6targetE1EEEvT1_.kd
    .uniform_work_group_size: 1
    .uses_dynamic_stack: false
    .vgpr_count:     0
    .vgpr_spill_count: 0
    .wavefront_size: 64
  - .agpr_count:     0
    .args:
      - .offset:         0
        .size:           112
        .value_kind:     by_value
    .group_segment_fixed_size: 0
    .kernarg_segment_align: 8
    .kernarg_segment_size: 112
    .language:       OpenCL C
    .language_version:
      - 2
      - 0
    .max_flat_workgroup_size: 256
    .name:           _ZN7rocprim17ROCPRIM_400000_NS6detail17trampoline_kernelINS0_14default_configENS1_27scan_by_key_config_selectorIj11FixedVectorIiLj1EEEEZZNS1_16scan_by_key_implILNS1_25lookback_scan_determinismE0ELb0ES3_N6thrust23THRUST_200600_302600_NS6detail15normal_iteratorINSB_10device_ptrIjEEEENSD_INSE_IS6_EEEESI_S6_NSB_4plusIvEENSB_8equal_toIvEES6_EE10hipError_tPvRmT2_T3_T4_T5_mT6_T7_P12ihipStream_tbENKUlT_T0_E_clISt17integral_constantIbLb0EES13_EEDaSY_SZ_EUlSY_E_NS1_11comp_targetILNS1_3genE2ELNS1_11target_archE906ELNS1_3gpuE6ELNS1_3repE0EEENS1_30default_config_static_selectorELNS0_4arch9wavefront6targetE1EEEvT1_
    .private_segment_fixed_size: 0
    .sgpr_count:     4
    .sgpr_spill_count: 0
    .symbol:         _ZN7rocprim17ROCPRIM_400000_NS6detail17trampoline_kernelINS0_14default_configENS1_27scan_by_key_config_selectorIj11FixedVectorIiLj1EEEEZZNS1_16scan_by_key_implILNS1_25lookback_scan_determinismE0ELb0ES3_N6thrust23THRUST_200600_302600_NS6detail15normal_iteratorINSB_10device_ptrIjEEEENSD_INSE_IS6_EEEESI_S6_NSB_4plusIvEENSB_8equal_toIvEES6_EE10hipError_tPvRmT2_T3_T4_T5_mT6_T7_P12ihipStream_tbENKUlT_T0_E_clISt17integral_constantIbLb0EES13_EEDaSY_SZ_EUlSY_E_NS1_11comp_targetILNS1_3genE2ELNS1_11target_archE906ELNS1_3gpuE6ELNS1_3repE0EEENS1_30default_config_static_selectorELNS0_4arch9wavefront6targetE1EEEvT1_.kd
    .uniform_work_group_size: 1
    .uses_dynamic_stack: false
    .vgpr_count:     0
    .vgpr_spill_count: 0
    .wavefront_size: 64
  - .agpr_count:     0
    .args:
      - .offset:         0
        .size:           112
        .value_kind:     by_value
    .group_segment_fixed_size: 0
    .kernarg_segment_align: 8
    .kernarg_segment_size: 112
    .language:       OpenCL C
    .language_version:
      - 2
      - 0
    .max_flat_workgroup_size: 256
    .name:           _ZN7rocprim17ROCPRIM_400000_NS6detail17trampoline_kernelINS0_14default_configENS1_27scan_by_key_config_selectorIj11FixedVectorIiLj1EEEEZZNS1_16scan_by_key_implILNS1_25lookback_scan_determinismE0ELb0ES3_N6thrust23THRUST_200600_302600_NS6detail15normal_iteratorINSB_10device_ptrIjEEEENSD_INSE_IS6_EEEESI_S6_NSB_4plusIvEENSB_8equal_toIvEES6_EE10hipError_tPvRmT2_T3_T4_T5_mT6_T7_P12ihipStream_tbENKUlT_T0_E_clISt17integral_constantIbLb0EES13_EEDaSY_SZ_EUlSY_E_NS1_11comp_targetILNS1_3genE10ELNS1_11target_archE1200ELNS1_3gpuE4ELNS1_3repE0EEENS1_30default_config_static_selectorELNS0_4arch9wavefront6targetE1EEEvT1_
    .private_segment_fixed_size: 0
    .sgpr_count:     4
    .sgpr_spill_count: 0
    .symbol:         _ZN7rocprim17ROCPRIM_400000_NS6detail17trampoline_kernelINS0_14default_configENS1_27scan_by_key_config_selectorIj11FixedVectorIiLj1EEEEZZNS1_16scan_by_key_implILNS1_25lookback_scan_determinismE0ELb0ES3_N6thrust23THRUST_200600_302600_NS6detail15normal_iteratorINSB_10device_ptrIjEEEENSD_INSE_IS6_EEEESI_S6_NSB_4plusIvEENSB_8equal_toIvEES6_EE10hipError_tPvRmT2_T3_T4_T5_mT6_T7_P12ihipStream_tbENKUlT_T0_E_clISt17integral_constantIbLb0EES13_EEDaSY_SZ_EUlSY_E_NS1_11comp_targetILNS1_3genE10ELNS1_11target_archE1200ELNS1_3gpuE4ELNS1_3repE0EEENS1_30default_config_static_selectorELNS0_4arch9wavefront6targetE1EEEvT1_.kd
    .uniform_work_group_size: 1
    .uses_dynamic_stack: false
    .vgpr_count:     0
    .vgpr_spill_count: 0
    .wavefront_size: 64
  - .agpr_count:     0
    .args:
      - .offset:         0
        .size:           112
        .value_kind:     by_value
    .group_segment_fixed_size: 0
    .kernarg_segment_align: 8
    .kernarg_segment_size: 112
    .language:       OpenCL C
    .language_version:
      - 2
      - 0
    .max_flat_workgroup_size: 256
    .name:           _ZN7rocprim17ROCPRIM_400000_NS6detail17trampoline_kernelINS0_14default_configENS1_27scan_by_key_config_selectorIj11FixedVectorIiLj1EEEEZZNS1_16scan_by_key_implILNS1_25lookback_scan_determinismE0ELb0ES3_N6thrust23THRUST_200600_302600_NS6detail15normal_iteratorINSB_10device_ptrIjEEEENSD_INSE_IS6_EEEESI_S6_NSB_4plusIvEENSB_8equal_toIvEES6_EE10hipError_tPvRmT2_T3_T4_T5_mT6_T7_P12ihipStream_tbENKUlT_T0_E_clISt17integral_constantIbLb0EES13_EEDaSY_SZ_EUlSY_E_NS1_11comp_targetILNS1_3genE9ELNS1_11target_archE1100ELNS1_3gpuE3ELNS1_3repE0EEENS1_30default_config_static_selectorELNS0_4arch9wavefront6targetE1EEEvT1_
    .private_segment_fixed_size: 0
    .sgpr_count:     4
    .sgpr_spill_count: 0
    .symbol:         _ZN7rocprim17ROCPRIM_400000_NS6detail17trampoline_kernelINS0_14default_configENS1_27scan_by_key_config_selectorIj11FixedVectorIiLj1EEEEZZNS1_16scan_by_key_implILNS1_25lookback_scan_determinismE0ELb0ES3_N6thrust23THRUST_200600_302600_NS6detail15normal_iteratorINSB_10device_ptrIjEEEENSD_INSE_IS6_EEEESI_S6_NSB_4plusIvEENSB_8equal_toIvEES6_EE10hipError_tPvRmT2_T3_T4_T5_mT6_T7_P12ihipStream_tbENKUlT_T0_E_clISt17integral_constantIbLb0EES13_EEDaSY_SZ_EUlSY_E_NS1_11comp_targetILNS1_3genE9ELNS1_11target_archE1100ELNS1_3gpuE3ELNS1_3repE0EEENS1_30default_config_static_selectorELNS0_4arch9wavefront6targetE1EEEvT1_.kd
    .uniform_work_group_size: 1
    .uses_dynamic_stack: false
    .vgpr_count:     0
    .vgpr_spill_count: 0
    .wavefront_size: 64
  - .agpr_count:     0
    .args:
      - .offset:         0
        .size:           112
        .value_kind:     by_value
    .group_segment_fixed_size: 0
    .kernarg_segment_align: 8
    .kernarg_segment_size: 112
    .language:       OpenCL C
    .language_version:
      - 2
      - 0
    .max_flat_workgroup_size: 256
    .name:           _ZN7rocprim17ROCPRIM_400000_NS6detail17trampoline_kernelINS0_14default_configENS1_27scan_by_key_config_selectorIj11FixedVectorIiLj1EEEEZZNS1_16scan_by_key_implILNS1_25lookback_scan_determinismE0ELb0ES3_N6thrust23THRUST_200600_302600_NS6detail15normal_iteratorINSB_10device_ptrIjEEEENSD_INSE_IS6_EEEESI_S6_NSB_4plusIvEENSB_8equal_toIvEES6_EE10hipError_tPvRmT2_T3_T4_T5_mT6_T7_P12ihipStream_tbENKUlT_T0_E_clISt17integral_constantIbLb0EES13_EEDaSY_SZ_EUlSY_E_NS1_11comp_targetILNS1_3genE8ELNS1_11target_archE1030ELNS1_3gpuE2ELNS1_3repE0EEENS1_30default_config_static_selectorELNS0_4arch9wavefront6targetE1EEEvT1_
    .private_segment_fixed_size: 0
    .sgpr_count:     4
    .sgpr_spill_count: 0
    .symbol:         _ZN7rocprim17ROCPRIM_400000_NS6detail17trampoline_kernelINS0_14default_configENS1_27scan_by_key_config_selectorIj11FixedVectorIiLj1EEEEZZNS1_16scan_by_key_implILNS1_25lookback_scan_determinismE0ELb0ES3_N6thrust23THRUST_200600_302600_NS6detail15normal_iteratorINSB_10device_ptrIjEEEENSD_INSE_IS6_EEEESI_S6_NSB_4plusIvEENSB_8equal_toIvEES6_EE10hipError_tPvRmT2_T3_T4_T5_mT6_T7_P12ihipStream_tbENKUlT_T0_E_clISt17integral_constantIbLb0EES13_EEDaSY_SZ_EUlSY_E_NS1_11comp_targetILNS1_3genE8ELNS1_11target_archE1030ELNS1_3gpuE2ELNS1_3repE0EEENS1_30default_config_static_selectorELNS0_4arch9wavefront6targetE1EEEvT1_.kd
    .uniform_work_group_size: 1
    .uses_dynamic_stack: false
    .vgpr_count:     0
    .vgpr_spill_count: 0
    .wavefront_size: 64
  - .agpr_count:     0
    .args:
      - .address_space:  global
        .offset:         0
        .size:           8
        .value_kind:     global_buffer
      - .offset:         8
        .size:           4
        .value_kind:     by_value
      - .offset:         12
        .size:           4
        .value_kind:     by_value
      - .address_space:  global
        .offset:         16
        .size:           8
        .value_kind:     global_buffer
      - .address_space:  global
        .offset:         24
        .size:           8
        .value_kind:     global_buffer
      - .actual_access:  write_only
        .address_space:  global
        .offset:         32
        .size:           8
        .value_kind:     global_buffer
      - .offset:         40
        .size:           8
        .value_kind:     by_value
      - .offset:         48
        .size:           4
        .value_kind:     by_value
      - .address_space:  global
        .offset:         56
        .size:           8
        .value_kind:     global_buffer
      - .offset:         64
        .size:           4
        .value_kind:     hidden_block_count_x
      - .offset:         68
        .size:           4
        .value_kind:     hidden_block_count_y
      - .offset:         72
        .size:           4
        .value_kind:     hidden_block_count_z
      - .offset:         76
        .size:           2
        .value_kind:     hidden_group_size_x
      - .offset:         78
        .size:           2
        .value_kind:     hidden_group_size_y
      - .offset:         80
        .size:           2
        .value_kind:     hidden_group_size_z
      - .offset:         82
        .size:           2
        .value_kind:     hidden_remainder_x
      - .offset:         84
        .size:           2
        .value_kind:     hidden_remainder_y
      - .offset:         86
        .size:           2
        .value_kind:     hidden_remainder_z
      - .offset:         104
        .size:           8
        .value_kind:     hidden_global_offset_x
      - .offset:         112
        .size:           8
        .value_kind:     hidden_global_offset_y
      - .offset:         120
        .size:           8
        .value_kind:     hidden_global_offset_z
      - .offset:         128
        .size:           2
        .value_kind:     hidden_grid_dims
    .group_segment_fixed_size: 0
    .kernarg_segment_align: 8
    .kernarg_segment_size: 320
    .language:       OpenCL C
    .language_version:
      - 2
      - 0
    .max_flat_workgroup_size: 256
    .name:           _ZN7rocprim17ROCPRIM_400000_NS6detail30init_device_scan_by_key_kernelINS1_19lookback_scan_stateINS0_5tupleIJ11FixedVectorIiLj1EEbEEELb1ELb1EEEN6thrust23THRUST_200600_302600_NS6detail15normal_iteratorINSA_10device_ptrIjEEEEjNS1_16block_id_wrapperIjLb1EEEEEvT_jjPNSI_10value_typeET0_PNSt15iterator_traitsISL_E10value_typeEmT1_T2_
    .private_segment_fixed_size: 0
    .sgpr_count:     24
    .sgpr_spill_count: 0
    .symbol:         _ZN7rocprim17ROCPRIM_400000_NS6detail30init_device_scan_by_key_kernelINS1_19lookback_scan_stateINS0_5tupleIJ11FixedVectorIiLj1EEbEEELb1ELb1EEEN6thrust23THRUST_200600_302600_NS6detail15normal_iteratorINSA_10device_ptrIjEEEEjNS1_16block_id_wrapperIjLb1EEEEEvT_jjPNSI_10value_typeET0_PNSt15iterator_traitsISL_E10value_typeEmT1_T2_.kd
    .uniform_work_group_size: 1
    .uses_dynamic_stack: false
    .vgpr_count:     10
    .vgpr_spill_count: 0
    .wavefront_size: 64
  - .agpr_count:     0
    .args:
      - .address_space:  global
        .offset:         0
        .size:           8
        .value_kind:     global_buffer
      - .offset:         8
        .size:           4
        .value_kind:     by_value
      - .offset:         12
        .size:           4
        .value_kind:     by_value
      - .address_space:  global
        .offset:         16
        .size:           8
        .value_kind:     global_buffer
      - .address_space:  global
        .offset:         24
        .size:           8
        .value_kind:     global_buffer
      - .offset:         32
        .size:           4
        .value_kind:     hidden_block_count_x
      - .offset:         36
        .size:           4
        .value_kind:     hidden_block_count_y
      - .offset:         40
        .size:           4
        .value_kind:     hidden_block_count_z
      - .offset:         44
        .size:           2
        .value_kind:     hidden_group_size_x
      - .offset:         46
        .size:           2
        .value_kind:     hidden_group_size_y
      - .offset:         48
        .size:           2
        .value_kind:     hidden_group_size_z
      - .offset:         50
        .size:           2
        .value_kind:     hidden_remainder_x
      - .offset:         52
        .size:           2
        .value_kind:     hidden_remainder_y
      - .offset:         54
        .size:           2
        .value_kind:     hidden_remainder_z
      - .offset:         72
        .size:           8
        .value_kind:     hidden_global_offset_x
      - .offset:         80
        .size:           8
        .value_kind:     hidden_global_offset_y
      - .offset:         88
        .size:           8
        .value_kind:     hidden_global_offset_z
      - .offset:         96
        .size:           2
        .value_kind:     hidden_grid_dims
    .group_segment_fixed_size: 0
    .kernarg_segment_align: 8
    .kernarg_segment_size: 288
    .language:       OpenCL C
    .language_version:
      - 2
      - 0
    .max_flat_workgroup_size: 256
    .name:           _ZN7rocprim17ROCPRIM_400000_NS6detail30init_device_scan_by_key_kernelINS1_19lookback_scan_stateINS0_5tupleIJ11FixedVectorIiLj1EEbEEELb1ELb1EEENS1_16block_id_wrapperIjLb1EEEEEvT_jjPNSB_10value_typeET0_
    .private_segment_fixed_size: 0
    .sgpr_count:     20
    .sgpr_spill_count: 0
    .symbol:         _ZN7rocprim17ROCPRIM_400000_NS6detail30init_device_scan_by_key_kernelINS1_19lookback_scan_stateINS0_5tupleIJ11FixedVectorIiLj1EEbEEELb1ELb1EEENS1_16block_id_wrapperIjLb1EEEEEvT_jjPNSB_10value_typeET0_.kd
    .uniform_work_group_size: 1
    .uses_dynamic_stack: false
    .vgpr_count:     10
    .vgpr_spill_count: 0
    .wavefront_size: 64
  - .agpr_count:     0
    .args:
      - .offset:         0
        .size:           112
        .value_kind:     by_value
    .group_segment_fixed_size: 0
    .kernarg_segment_align: 8
    .kernarg_segment_size: 112
    .language:       OpenCL C
    .language_version:
      - 2
      - 0
    .max_flat_workgroup_size: 256
    .name:           _ZN7rocprim17ROCPRIM_400000_NS6detail17trampoline_kernelINS0_14default_configENS1_27scan_by_key_config_selectorIj11FixedVectorIiLj1EEEEZZNS1_16scan_by_key_implILNS1_25lookback_scan_determinismE0ELb0ES3_N6thrust23THRUST_200600_302600_NS6detail15normal_iteratorINSB_10device_ptrIjEEEENSD_INSE_IS6_EEEESI_S6_NSB_4plusIvEENSB_8equal_toIvEES6_EE10hipError_tPvRmT2_T3_T4_T5_mT6_T7_P12ihipStream_tbENKUlT_T0_E_clISt17integral_constantIbLb1EES13_EEDaSY_SZ_EUlSY_E_NS1_11comp_targetILNS1_3genE0ELNS1_11target_archE4294967295ELNS1_3gpuE0ELNS1_3repE0EEENS1_30default_config_static_selectorELNS0_4arch9wavefront6targetE1EEEvT1_
    .private_segment_fixed_size: 0
    .sgpr_count:     4
    .sgpr_spill_count: 0
    .symbol:         _ZN7rocprim17ROCPRIM_400000_NS6detail17trampoline_kernelINS0_14default_configENS1_27scan_by_key_config_selectorIj11FixedVectorIiLj1EEEEZZNS1_16scan_by_key_implILNS1_25lookback_scan_determinismE0ELb0ES3_N6thrust23THRUST_200600_302600_NS6detail15normal_iteratorINSB_10device_ptrIjEEEENSD_INSE_IS6_EEEESI_S6_NSB_4plusIvEENSB_8equal_toIvEES6_EE10hipError_tPvRmT2_T3_T4_T5_mT6_T7_P12ihipStream_tbENKUlT_T0_E_clISt17integral_constantIbLb1EES13_EEDaSY_SZ_EUlSY_E_NS1_11comp_targetILNS1_3genE0ELNS1_11target_archE4294967295ELNS1_3gpuE0ELNS1_3repE0EEENS1_30default_config_static_selectorELNS0_4arch9wavefront6targetE1EEEvT1_.kd
    .uniform_work_group_size: 1
    .uses_dynamic_stack: false
    .vgpr_count:     0
    .vgpr_spill_count: 0
    .wavefront_size: 64
  - .agpr_count:     0
    .args:
      - .offset:         0
        .size:           112
        .value_kind:     by_value
    .group_segment_fixed_size: 0
    .kernarg_segment_align: 8
    .kernarg_segment_size: 112
    .language:       OpenCL C
    .language_version:
      - 2
      - 0
    .max_flat_workgroup_size: 256
    .name:           _ZN7rocprim17ROCPRIM_400000_NS6detail17trampoline_kernelINS0_14default_configENS1_27scan_by_key_config_selectorIj11FixedVectorIiLj1EEEEZZNS1_16scan_by_key_implILNS1_25lookback_scan_determinismE0ELb0ES3_N6thrust23THRUST_200600_302600_NS6detail15normal_iteratorINSB_10device_ptrIjEEEENSD_INSE_IS6_EEEESI_S6_NSB_4plusIvEENSB_8equal_toIvEES6_EE10hipError_tPvRmT2_T3_T4_T5_mT6_T7_P12ihipStream_tbENKUlT_T0_E_clISt17integral_constantIbLb1EES13_EEDaSY_SZ_EUlSY_E_NS1_11comp_targetILNS1_3genE10ELNS1_11target_archE1201ELNS1_3gpuE5ELNS1_3repE0EEENS1_30default_config_static_selectorELNS0_4arch9wavefront6targetE1EEEvT1_
    .private_segment_fixed_size: 0
    .sgpr_count:     4
    .sgpr_spill_count: 0
    .symbol:         _ZN7rocprim17ROCPRIM_400000_NS6detail17trampoline_kernelINS0_14default_configENS1_27scan_by_key_config_selectorIj11FixedVectorIiLj1EEEEZZNS1_16scan_by_key_implILNS1_25lookback_scan_determinismE0ELb0ES3_N6thrust23THRUST_200600_302600_NS6detail15normal_iteratorINSB_10device_ptrIjEEEENSD_INSE_IS6_EEEESI_S6_NSB_4plusIvEENSB_8equal_toIvEES6_EE10hipError_tPvRmT2_T3_T4_T5_mT6_T7_P12ihipStream_tbENKUlT_T0_E_clISt17integral_constantIbLb1EES13_EEDaSY_SZ_EUlSY_E_NS1_11comp_targetILNS1_3genE10ELNS1_11target_archE1201ELNS1_3gpuE5ELNS1_3repE0EEENS1_30default_config_static_selectorELNS0_4arch9wavefront6targetE1EEEvT1_.kd
    .uniform_work_group_size: 1
    .uses_dynamic_stack: false
    .vgpr_count:     0
    .vgpr_spill_count: 0
    .wavefront_size: 64
  - .agpr_count:     0
    .args:
      - .offset:         0
        .size:           112
        .value_kind:     by_value
    .group_segment_fixed_size: 0
    .kernarg_segment_align: 8
    .kernarg_segment_size: 112
    .language:       OpenCL C
    .language_version:
      - 2
      - 0
    .max_flat_workgroup_size: 256
    .name:           _ZN7rocprim17ROCPRIM_400000_NS6detail17trampoline_kernelINS0_14default_configENS1_27scan_by_key_config_selectorIj11FixedVectorIiLj1EEEEZZNS1_16scan_by_key_implILNS1_25lookback_scan_determinismE0ELb0ES3_N6thrust23THRUST_200600_302600_NS6detail15normal_iteratorINSB_10device_ptrIjEEEENSD_INSE_IS6_EEEESI_S6_NSB_4plusIvEENSB_8equal_toIvEES6_EE10hipError_tPvRmT2_T3_T4_T5_mT6_T7_P12ihipStream_tbENKUlT_T0_E_clISt17integral_constantIbLb1EES13_EEDaSY_SZ_EUlSY_E_NS1_11comp_targetILNS1_3genE5ELNS1_11target_archE942ELNS1_3gpuE9ELNS1_3repE0EEENS1_30default_config_static_selectorELNS0_4arch9wavefront6targetE1EEEvT1_
    .private_segment_fixed_size: 0
    .sgpr_count:     4
    .sgpr_spill_count: 0
    .symbol:         _ZN7rocprim17ROCPRIM_400000_NS6detail17trampoline_kernelINS0_14default_configENS1_27scan_by_key_config_selectorIj11FixedVectorIiLj1EEEEZZNS1_16scan_by_key_implILNS1_25lookback_scan_determinismE0ELb0ES3_N6thrust23THRUST_200600_302600_NS6detail15normal_iteratorINSB_10device_ptrIjEEEENSD_INSE_IS6_EEEESI_S6_NSB_4plusIvEENSB_8equal_toIvEES6_EE10hipError_tPvRmT2_T3_T4_T5_mT6_T7_P12ihipStream_tbENKUlT_T0_E_clISt17integral_constantIbLb1EES13_EEDaSY_SZ_EUlSY_E_NS1_11comp_targetILNS1_3genE5ELNS1_11target_archE942ELNS1_3gpuE9ELNS1_3repE0EEENS1_30default_config_static_selectorELNS0_4arch9wavefront6targetE1EEEvT1_.kd
    .uniform_work_group_size: 1
    .uses_dynamic_stack: false
    .vgpr_count:     0
    .vgpr_spill_count: 0
    .wavefront_size: 64
  - .agpr_count:     0
    .args:
      - .offset:         0
        .size:           112
        .value_kind:     by_value
    .group_segment_fixed_size: 16384
    .kernarg_segment_align: 8
    .kernarg_segment_size: 112
    .language:       OpenCL C
    .language_version:
      - 2
      - 0
    .max_flat_workgroup_size: 256
    .name:           _ZN7rocprim17ROCPRIM_400000_NS6detail17trampoline_kernelINS0_14default_configENS1_27scan_by_key_config_selectorIj11FixedVectorIiLj1EEEEZZNS1_16scan_by_key_implILNS1_25lookback_scan_determinismE0ELb0ES3_N6thrust23THRUST_200600_302600_NS6detail15normal_iteratorINSB_10device_ptrIjEEEENSD_INSE_IS6_EEEESI_S6_NSB_4plusIvEENSB_8equal_toIvEES6_EE10hipError_tPvRmT2_T3_T4_T5_mT6_T7_P12ihipStream_tbENKUlT_T0_E_clISt17integral_constantIbLb1EES13_EEDaSY_SZ_EUlSY_E_NS1_11comp_targetILNS1_3genE4ELNS1_11target_archE910ELNS1_3gpuE8ELNS1_3repE0EEENS1_30default_config_static_selectorELNS0_4arch9wavefront6targetE1EEEvT1_
    .private_segment_fixed_size: 0
    .sgpr_count:     69
    .sgpr_spill_count: 0
    .symbol:         _ZN7rocprim17ROCPRIM_400000_NS6detail17trampoline_kernelINS0_14default_configENS1_27scan_by_key_config_selectorIj11FixedVectorIiLj1EEEEZZNS1_16scan_by_key_implILNS1_25lookback_scan_determinismE0ELb0ES3_N6thrust23THRUST_200600_302600_NS6detail15normal_iteratorINSB_10device_ptrIjEEEENSD_INSE_IS6_EEEESI_S6_NSB_4plusIvEENSB_8equal_toIvEES6_EE10hipError_tPvRmT2_T3_T4_T5_mT6_T7_P12ihipStream_tbENKUlT_T0_E_clISt17integral_constantIbLb1EES13_EEDaSY_SZ_EUlSY_E_NS1_11comp_targetILNS1_3genE4ELNS1_11target_archE910ELNS1_3gpuE8ELNS1_3repE0EEENS1_30default_config_static_selectorELNS0_4arch9wavefront6targetE1EEEvT1_.kd
    .uniform_work_group_size: 1
    .uses_dynamic_stack: false
    .vgpr_count:     65
    .vgpr_spill_count: 0
    .wavefront_size: 64
  - .agpr_count:     0
    .args:
      - .offset:         0
        .size:           112
        .value_kind:     by_value
    .group_segment_fixed_size: 0
    .kernarg_segment_align: 8
    .kernarg_segment_size: 112
    .language:       OpenCL C
    .language_version:
      - 2
      - 0
    .max_flat_workgroup_size: 256
    .name:           _ZN7rocprim17ROCPRIM_400000_NS6detail17trampoline_kernelINS0_14default_configENS1_27scan_by_key_config_selectorIj11FixedVectorIiLj1EEEEZZNS1_16scan_by_key_implILNS1_25lookback_scan_determinismE0ELb0ES3_N6thrust23THRUST_200600_302600_NS6detail15normal_iteratorINSB_10device_ptrIjEEEENSD_INSE_IS6_EEEESI_S6_NSB_4plusIvEENSB_8equal_toIvEES6_EE10hipError_tPvRmT2_T3_T4_T5_mT6_T7_P12ihipStream_tbENKUlT_T0_E_clISt17integral_constantIbLb1EES13_EEDaSY_SZ_EUlSY_E_NS1_11comp_targetILNS1_3genE3ELNS1_11target_archE908ELNS1_3gpuE7ELNS1_3repE0EEENS1_30default_config_static_selectorELNS0_4arch9wavefront6targetE1EEEvT1_
    .private_segment_fixed_size: 0
    .sgpr_count:     4
    .sgpr_spill_count: 0
    .symbol:         _ZN7rocprim17ROCPRIM_400000_NS6detail17trampoline_kernelINS0_14default_configENS1_27scan_by_key_config_selectorIj11FixedVectorIiLj1EEEEZZNS1_16scan_by_key_implILNS1_25lookback_scan_determinismE0ELb0ES3_N6thrust23THRUST_200600_302600_NS6detail15normal_iteratorINSB_10device_ptrIjEEEENSD_INSE_IS6_EEEESI_S6_NSB_4plusIvEENSB_8equal_toIvEES6_EE10hipError_tPvRmT2_T3_T4_T5_mT6_T7_P12ihipStream_tbENKUlT_T0_E_clISt17integral_constantIbLb1EES13_EEDaSY_SZ_EUlSY_E_NS1_11comp_targetILNS1_3genE3ELNS1_11target_archE908ELNS1_3gpuE7ELNS1_3repE0EEENS1_30default_config_static_selectorELNS0_4arch9wavefront6targetE1EEEvT1_.kd
    .uniform_work_group_size: 1
    .uses_dynamic_stack: false
    .vgpr_count:     0
    .vgpr_spill_count: 0
    .wavefront_size: 64
  - .agpr_count:     0
    .args:
      - .offset:         0
        .size:           112
        .value_kind:     by_value
    .group_segment_fixed_size: 0
    .kernarg_segment_align: 8
    .kernarg_segment_size: 112
    .language:       OpenCL C
    .language_version:
      - 2
      - 0
    .max_flat_workgroup_size: 256
    .name:           _ZN7rocprim17ROCPRIM_400000_NS6detail17trampoline_kernelINS0_14default_configENS1_27scan_by_key_config_selectorIj11FixedVectorIiLj1EEEEZZNS1_16scan_by_key_implILNS1_25lookback_scan_determinismE0ELb0ES3_N6thrust23THRUST_200600_302600_NS6detail15normal_iteratorINSB_10device_ptrIjEEEENSD_INSE_IS6_EEEESI_S6_NSB_4plusIvEENSB_8equal_toIvEES6_EE10hipError_tPvRmT2_T3_T4_T5_mT6_T7_P12ihipStream_tbENKUlT_T0_E_clISt17integral_constantIbLb1EES13_EEDaSY_SZ_EUlSY_E_NS1_11comp_targetILNS1_3genE2ELNS1_11target_archE906ELNS1_3gpuE6ELNS1_3repE0EEENS1_30default_config_static_selectorELNS0_4arch9wavefront6targetE1EEEvT1_
    .private_segment_fixed_size: 0
    .sgpr_count:     4
    .sgpr_spill_count: 0
    .symbol:         _ZN7rocprim17ROCPRIM_400000_NS6detail17trampoline_kernelINS0_14default_configENS1_27scan_by_key_config_selectorIj11FixedVectorIiLj1EEEEZZNS1_16scan_by_key_implILNS1_25lookback_scan_determinismE0ELb0ES3_N6thrust23THRUST_200600_302600_NS6detail15normal_iteratorINSB_10device_ptrIjEEEENSD_INSE_IS6_EEEESI_S6_NSB_4plusIvEENSB_8equal_toIvEES6_EE10hipError_tPvRmT2_T3_T4_T5_mT6_T7_P12ihipStream_tbENKUlT_T0_E_clISt17integral_constantIbLb1EES13_EEDaSY_SZ_EUlSY_E_NS1_11comp_targetILNS1_3genE2ELNS1_11target_archE906ELNS1_3gpuE6ELNS1_3repE0EEENS1_30default_config_static_selectorELNS0_4arch9wavefront6targetE1EEEvT1_.kd
    .uniform_work_group_size: 1
    .uses_dynamic_stack: false
    .vgpr_count:     0
    .vgpr_spill_count: 0
    .wavefront_size: 64
  - .agpr_count:     0
    .args:
      - .offset:         0
        .size:           112
        .value_kind:     by_value
    .group_segment_fixed_size: 0
    .kernarg_segment_align: 8
    .kernarg_segment_size: 112
    .language:       OpenCL C
    .language_version:
      - 2
      - 0
    .max_flat_workgroup_size: 256
    .name:           _ZN7rocprim17ROCPRIM_400000_NS6detail17trampoline_kernelINS0_14default_configENS1_27scan_by_key_config_selectorIj11FixedVectorIiLj1EEEEZZNS1_16scan_by_key_implILNS1_25lookback_scan_determinismE0ELb0ES3_N6thrust23THRUST_200600_302600_NS6detail15normal_iteratorINSB_10device_ptrIjEEEENSD_INSE_IS6_EEEESI_S6_NSB_4plusIvEENSB_8equal_toIvEES6_EE10hipError_tPvRmT2_T3_T4_T5_mT6_T7_P12ihipStream_tbENKUlT_T0_E_clISt17integral_constantIbLb1EES13_EEDaSY_SZ_EUlSY_E_NS1_11comp_targetILNS1_3genE10ELNS1_11target_archE1200ELNS1_3gpuE4ELNS1_3repE0EEENS1_30default_config_static_selectorELNS0_4arch9wavefront6targetE1EEEvT1_
    .private_segment_fixed_size: 0
    .sgpr_count:     4
    .sgpr_spill_count: 0
    .symbol:         _ZN7rocprim17ROCPRIM_400000_NS6detail17trampoline_kernelINS0_14default_configENS1_27scan_by_key_config_selectorIj11FixedVectorIiLj1EEEEZZNS1_16scan_by_key_implILNS1_25lookback_scan_determinismE0ELb0ES3_N6thrust23THRUST_200600_302600_NS6detail15normal_iteratorINSB_10device_ptrIjEEEENSD_INSE_IS6_EEEESI_S6_NSB_4plusIvEENSB_8equal_toIvEES6_EE10hipError_tPvRmT2_T3_T4_T5_mT6_T7_P12ihipStream_tbENKUlT_T0_E_clISt17integral_constantIbLb1EES13_EEDaSY_SZ_EUlSY_E_NS1_11comp_targetILNS1_3genE10ELNS1_11target_archE1200ELNS1_3gpuE4ELNS1_3repE0EEENS1_30default_config_static_selectorELNS0_4arch9wavefront6targetE1EEEvT1_.kd
    .uniform_work_group_size: 1
    .uses_dynamic_stack: false
    .vgpr_count:     0
    .vgpr_spill_count: 0
    .wavefront_size: 64
  - .agpr_count:     0
    .args:
      - .offset:         0
        .size:           112
        .value_kind:     by_value
    .group_segment_fixed_size: 0
    .kernarg_segment_align: 8
    .kernarg_segment_size: 112
    .language:       OpenCL C
    .language_version:
      - 2
      - 0
    .max_flat_workgroup_size: 256
    .name:           _ZN7rocprim17ROCPRIM_400000_NS6detail17trampoline_kernelINS0_14default_configENS1_27scan_by_key_config_selectorIj11FixedVectorIiLj1EEEEZZNS1_16scan_by_key_implILNS1_25lookback_scan_determinismE0ELb0ES3_N6thrust23THRUST_200600_302600_NS6detail15normal_iteratorINSB_10device_ptrIjEEEENSD_INSE_IS6_EEEESI_S6_NSB_4plusIvEENSB_8equal_toIvEES6_EE10hipError_tPvRmT2_T3_T4_T5_mT6_T7_P12ihipStream_tbENKUlT_T0_E_clISt17integral_constantIbLb1EES13_EEDaSY_SZ_EUlSY_E_NS1_11comp_targetILNS1_3genE9ELNS1_11target_archE1100ELNS1_3gpuE3ELNS1_3repE0EEENS1_30default_config_static_selectorELNS0_4arch9wavefront6targetE1EEEvT1_
    .private_segment_fixed_size: 0
    .sgpr_count:     4
    .sgpr_spill_count: 0
    .symbol:         _ZN7rocprim17ROCPRIM_400000_NS6detail17trampoline_kernelINS0_14default_configENS1_27scan_by_key_config_selectorIj11FixedVectorIiLj1EEEEZZNS1_16scan_by_key_implILNS1_25lookback_scan_determinismE0ELb0ES3_N6thrust23THRUST_200600_302600_NS6detail15normal_iteratorINSB_10device_ptrIjEEEENSD_INSE_IS6_EEEESI_S6_NSB_4plusIvEENSB_8equal_toIvEES6_EE10hipError_tPvRmT2_T3_T4_T5_mT6_T7_P12ihipStream_tbENKUlT_T0_E_clISt17integral_constantIbLb1EES13_EEDaSY_SZ_EUlSY_E_NS1_11comp_targetILNS1_3genE9ELNS1_11target_archE1100ELNS1_3gpuE3ELNS1_3repE0EEENS1_30default_config_static_selectorELNS0_4arch9wavefront6targetE1EEEvT1_.kd
    .uniform_work_group_size: 1
    .uses_dynamic_stack: false
    .vgpr_count:     0
    .vgpr_spill_count: 0
    .wavefront_size: 64
  - .agpr_count:     0
    .args:
      - .offset:         0
        .size:           112
        .value_kind:     by_value
    .group_segment_fixed_size: 0
    .kernarg_segment_align: 8
    .kernarg_segment_size: 112
    .language:       OpenCL C
    .language_version:
      - 2
      - 0
    .max_flat_workgroup_size: 256
    .name:           _ZN7rocprim17ROCPRIM_400000_NS6detail17trampoline_kernelINS0_14default_configENS1_27scan_by_key_config_selectorIj11FixedVectorIiLj1EEEEZZNS1_16scan_by_key_implILNS1_25lookback_scan_determinismE0ELb0ES3_N6thrust23THRUST_200600_302600_NS6detail15normal_iteratorINSB_10device_ptrIjEEEENSD_INSE_IS6_EEEESI_S6_NSB_4plusIvEENSB_8equal_toIvEES6_EE10hipError_tPvRmT2_T3_T4_T5_mT6_T7_P12ihipStream_tbENKUlT_T0_E_clISt17integral_constantIbLb1EES13_EEDaSY_SZ_EUlSY_E_NS1_11comp_targetILNS1_3genE8ELNS1_11target_archE1030ELNS1_3gpuE2ELNS1_3repE0EEENS1_30default_config_static_selectorELNS0_4arch9wavefront6targetE1EEEvT1_
    .private_segment_fixed_size: 0
    .sgpr_count:     4
    .sgpr_spill_count: 0
    .symbol:         _ZN7rocprim17ROCPRIM_400000_NS6detail17trampoline_kernelINS0_14default_configENS1_27scan_by_key_config_selectorIj11FixedVectorIiLj1EEEEZZNS1_16scan_by_key_implILNS1_25lookback_scan_determinismE0ELb0ES3_N6thrust23THRUST_200600_302600_NS6detail15normal_iteratorINSB_10device_ptrIjEEEENSD_INSE_IS6_EEEESI_S6_NSB_4plusIvEENSB_8equal_toIvEES6_EE10hipError_tPvRmT2_T3_T4_T5_mT6_T7_P12ihipStream_tbENKUlT_T0_E_clISt17integral_constantIbLb1EES13_EEDaSY_SZ_EUlSY_E_NS1_11comp_targetILNS1_3genE8ELNS1_11target_archE1030ELNS1_3gpuE2ELNS1_3repE0EEENS1_30default_config_static_selectorELNS0_4arch9wavefront6targetE1EEEvT1_.kd
    .uniform_work_group_size: 1
    .uses_dynamic_stack: false
    .vgpr_count:     0
    .vgpr_spill_count: 0
    .wavefront_size: 64
  - .agpr_count:     0
    .args:
      - .address_space:  global
        .offset:         0
        .size:           8
        .value_kind:     global_buffer
      - .offset:         8
        .size:           4
        .value_kind:     by_value
      - .offset:         12
        .size:           4
        .value_kind:     by_value
      - .address_space:  global
        .offset:         16
        .size:           8
        .value_kind:     global_buffer
      - .address_space:  global
        .offset:         24
        .size:           8
        .value_kind:     global_buffer
      - .actual_access:  write_only
        .address_space:  global
        .offset:         32
        .size:           8
        .value_kind:     global_buffer
      - .offset:         40
        .size:           8
        .value_kind:     by_value
      - .offset:         48
        .size:           4
        .value_kind:     by_value
      - .offset:         52
        .size:           1
        .value_kind:     by_value
      - .offset:         56
        .size:           4
        .value_kind:     hidden_block_count_x
      - .offset:         60
        .size:           4
        .value_kind:     hidden_block_count_y
      - .offset:         64
        .size:           4
        .value_kind:     hidden_block_count_z
      - .offset:         68
        .size:           2
        .value_kind:     hidden_group_size_x
      - .offset:         70
        .size:           2
        .value_kind:     hidden_group_size_y
      - .offset:         72
        .size:           2
        .value_kind:     hidden_group_size_z
      - .offset:         74
        .size:           2
        .value_kind:     hidden_remainder_x
      - .offset:         76
        .size:           2
        .value_kind:     hidden_remainder_y
      - .offset:         78
        .size:           2
        .value_kind:     hidden_remainder_z
      - .offset:         96
        .size:           8
        .value_kind:     hidden_global_offset_x
      - .offset:         104
        .size:           8
        .value_kind:     hidden_global_offset_y
      - .offset:         112
        .size:           8
        .value_kind:     hidden_global_offset_z
      - .offset:         120
        .size:           2
        .value_kind:     hidden_grid_dims
    .group_segment_fixed_size: 0
    .kernarg_segment_align: 8
    .kernarg_segment_size: 312
    .language:       OpenCL C
    .language_version:
      - 2
      - 0
    .max_flat_workgroup_size: 256
    .name:           _ZN7rocprim17ROCPRIM_400000_NS6detail30init_device_scan_by_key_kernelINS1_19lookback_scan_stateINS0_5tupleIJ11FixedVectorIiLj1EEbEEELb1ELb1EEEN6thrust23THRUST_200600_302600_NS6detail15normal_iteratorINSA_10device_ptrIjEEEEjNS1_16block_id_wrapperIjLb0EEEEEvT_jjPNSI_10value_typeET0_PNSt15iterator_traitsISL_E10value_typeEmT1_T2_
    .private_segment_fixed_size: 0
    .sgpr_count:     24
    .sgpr_spill_count: 0
    .symbol:         _ZN7rocprim17ROCPRIM_400000_NS6detail30init_device_scan_by_key_kernelINS1_19lookback_scan_stateINS0_5tupleIJ11FixedVectorIiLj1EEbEEELb1ELb1EEEN6thrust23THRUST_200600_302600_NS6detail15normal_iteratorINSA_10device_ptrIjEEEEjNS1_16block_id_wrapperIjLb0EEEEEvT_jjPNSI_10value_typeET0_PNSt15iterator_traitsISL_E10value_typeEmT1_T2_.kd
    .uniform_work_group_size: 1
    .uses_dynamic_stack: false
    .vgpr_count:     10
    .vgpr_spill_count: 0
    .wavefront_size: 64
  - .agpr_count:     0
    .args:
      - .address_space:  global
        .offset:         0
        .size:           8
        .value_kind:     global_buffer
      - .offset:         8
        .size:           4
        .value_kind:     by_value
      - .offset:         12
        .size:           4
        .value_kind:     by_value
      - .address_space:  global
        .offset:         16
        .size:           8
        .value_kind:     global_buffer
      - .offset:         24
        .size:           1
        .value_kind:     by_value
      - .offset:         32
        .size:           4
        .value_kind:     hidden_block_count_x
      - .offset:         36
        .size:           4
        .value_kind:     hidden_block_count_y
      - .offset:         40
        .size:           4
        .value_kind:     hidden_block_count_z
      - .offset:         44
        .size:           2
        .value_kind:     hidden_group_size_x
      - .offset:         46
        .size:           2
        .value_kind:     hidden_group_size_y
      - .offset:         48
        .size:           2
        .value_kind:     hidden_group_size_z
      - .offset:         50
        .size:           2
        .value_kind:     hidden_remainder_x
      - .offset:         52
        .size:           2
        .value_kind:     hidden_remainder_y
      - .offset:         54
        .size:           2
        .value_kind:     hidden_remainder_z
      - .offset:         72
        .size:           8
        .value_kind:     hidden_global_offset_x
      - .offset:         80
        .size:           8
        .value_kind:     hidden_global_offset_y
      - .offset:         88
        .size:           8
        .value_kind:     hidden_global_offset_z
      - .offset:         96
        .size:           2
        .value_kind:     hidden_grid_dims
    .group_segment_fixed_size: 0
    .kernarg_segment_align: 8
    .kernarg_segment_size: 288
    .language:       OpenCL C
    .language_version:
      - 2
      - 0
    .max_flat_workgroup_size: 256
    .name:           _ZN7rocprim17ROCPRIM_400000_NS6detail30init_device_scan_by_key_kernelINS1_19lookback_scan_stateINS0_5tupleIJ11FixedVectorIiLj1EEbEEELb1ELb1EEENS1_16block_id_wrapperIjLb0EEEEEvT_jjPNSB_10value_typeET0_
    .private_segment_fixed_size: 0
    .sgpr_count:     18
    .sgpr_spill_count: 0
    .symbol:         _ZN7rocprim17ROCPRIM_400000_NS6detail30init_device_scan_by_key_kernelINS1_19lookback_scan_stateINS0_5tupleIJ11FixedVectorIiLj1EEbEEELb1ELb1EEENS1_16block_id_wrapperIjLb0EEEEEvT_jjPNSB_10value_typeET0_.kd
    .uniform_work_group_size: 1
    .uses_dynamic_stack: false
    .vgpr_count:     10
    .vgpr_spill_count: 0
    .wavefront_size: 64
  - .agpr_count:     0
    .args:
      - .offset:         0
        .size:           112
        .value_kind:     by_value
    .group_segment_fixed_size: 0
    .kernarg_segment_align: 8
    .kernarg_segment_size: 112
    .language:       OpenCL C
    .language_version:
      - 2
      - 0
    .max_flat_workgroup_size: 256
    .name:           _ZN7rocprim17ROCPRIM_400000_NS6detail17trampoline_kernelINS0_14default_configENS1_27scan_by_key_config_selectorIj11FixedVectorIiLj1EEEEZZNS1_16scan_by_key_implILNS1_25lookback_scan_determinismE0ELb0ES3_N6thrust23THRUST_200600_302600_NS6detail15normal_iteratorINSB_10device_ptrIjEEEENSD_INSE_IS6_EEEESI_S6_NSB_4plusIvEENSB_8equal_toIvEES6_EE10hipError_tPvRmT2_T3_T4_T5_mT6_T7_P12ihipStream_tbENKUlT_T0_E_clISt17integral_constantIbLb1EES12_IbLb0EEEEDaSY_SZ_EUlSY_E_NS1_11comp_targetILNS1_3genE0ELNS1_11target_archE4294967295ELNS1_3gpuE0ELNS1_3repE0EEENS1_30default_config_static_selectorELNS0_4arch9wavefront6targetE1EEEvT1_
    .private_segment_fixed_size: 0
    .sgpr_count:     4
    .sgpr_spill_count: 0
    .symbol:         _ZN7rocprim17ROCPRIM_400000_NS6detail17trampoline_kernelINS0_14default_configENS1_27scan_by_key_config_selectorIj11FixedVectorIiLj1EEEEZZNS1_16scan_by_key_implILNS1_25lookback_scan_determinismE0ELb0ES3_N6thrust23THRUST_200600_302600_NS6detail15normal_iteratorINSB_10device_ptrIjEEEENSD_INSE_IS6_EEEESI_S6_NSB_4plusIvEENSB_8equal_toIvEES6_EE10hipError_tPvRmT2_T3_T4_T5_mT6_T7_P12ihipStream_tbENKUlT_T0_E_clISt17integral_constantIbLb1EES12_IbLb0EEEEDaSY_SZ_EUlSY_E_NS1_11comp_targetILNS1_3genE0ELNS1_11target_archE4294967295ELNS1_3gpuE0ELNS1_3repE0EEENS1_30default_config_static_selectorELNS0_4arch9wavefront6targetE1EEEvT1_.kd
    .uniform_work_group_size: 1
    .uses_dynamic_stack: false
    .vgpr_count:     0
    .vgpr_spill_count: 0
    .wavefront_size: 64
  - .agpr_count:     0
    .args:
      - .offset:         0
        .size:           112
        .value_kind:     by_value
    .group_segment_fixed_size: 0
    .kernarg_segment_align: 8
    .kernarg_segment_size: 112
    .language:       OpenCL C
    .language_version:
      - 2
      - 0
    .max_flat_workgroup_size: 256
    .name:           _ZN7rocprim17ROCPRIM_400000_NS6detail17trampoline_kernelINS0_14default_configENS1_27scan_by_key_config_selectorIj11FixedVectorIiLj1EEEEZZNS1_16scan_by_key_implILNS1_25lookback_scan_determinismE0ELb0ES3_N6thrust23THRUST_200600_302600_NS6detail15normal_iteratorINSB_10device_ptrIjEEEENSD_INSE_IS6_EEEESI_S6_NSB_4plusIvEENSB_8equal_toIvEES6_EE10hipError_tPvRmT2_T3_T4_T5_mT6_T7_P12ihipStream_tbENKUlT_T0_E_clISt17integral_constantIbLb1EES12_IbLb0EEEEDaSY_SZ_EUlSY_E_NS1_11comp_targetILNS1_3genE10ELNS1_11target_archE1201ELNS1_3gpuE5ELNS1_3repE0EEENS1_30default_config_static_selectorELNS0_4arch9wavefront6targetE1EEEvT1_
    .private_segment_fixed_size: 0
    .sgpr_count:     4
    .sgpr_spill_count: 0
    .symbol:         _ZN7rocprim17ROCPRIM_400000_NS6detail17trampoline_kernelINS0_14default_configENS1_27scan_by_key_config_selectorIj11FixedVectorIiLj1EEEEZZNS1_16scan_by_key_implILNS1_25lookback_scan_determinismE0ELb0ES3_N6thrust23THRUST_200600_302600_NS6detail15normal_iteratorINSB_10device_ptrIjEEEENSD_INSE_IS6_EEEESI_S6_NSB_4plusIvEENSB_8equal_toIvEES6_EE10hipError_tPvRmT2_T3_T4_T5_mT6_T7_P12ihipStream_tbENKUlT_T0_E_clISt17integral_constantIbLb1EES12_IbLb0EEEEDaSY_SZ_EUlSY_E_NS1_11comp_targetILNS1_3genE10ELNS1_11target_archE1201ELNS1_3gpuE5ELNS1_3repE0EEENS1_30default_config_static_selectorELNS0_4arch9wavefront6targetE1EEEvT1_.kd
    .uniform_work_group_size: 1
    .uses_dynamic_stack: false
    .vgpr_count:     0
    .vgpr_spill_count: 0
    .wavefront_size: 64
  - .agpr_count:     0
    .args:
      - .offset:         0
        .size:           112
        .value_kind:     by_value
    .group_segment_fixed_size: 0
    .kernarg_segment_align: 8
    .kernarg_segment_size: 112
    .language:       OpenCL C
    .language_version:
      - 2
      - 0
    .max_flat_workgroup_size: 256
    .name:           _ZN7rocprim17ROCPRIM_400000_NS6detail17trampoline_kernelINS0_14default_configENS1_27scan_by_key_config_selectorIj11FixedVectorIiLj1EEEEZZNS1_16scan_by_key_implILNS1_25lookback_scan_determinismE0ELb0ES3_N6thrust23THRUST_200600_302600_NS6detail15normal_iteratorINSB_10device_ptrIjEEEENSD_INSE_IS6_EEEESI_S6_NSB_4plusIvEENSB_8equal_toIvEES6_EE10hipError_tPvRmT2_T3_T4_T5_mT6_T7_P12ihipStream_tbENKUlT_T0_E_clISt17integral_constantIbLb1EES12_IbLb0EEEEDaSY_SZ_EUlSY_E_NS1_11comp_targetILNS1_3genE5ELNS1_11target_archE942ELNS1_3gpuE9ELNS1_3repE0EEENS1_30default_config_static_selectorELNS0_4arch9wavefront6targetE1EEEvT1_
    .private_segment_fixed_size: 0
    .sgpr_count:     4
    .sgpr_spill_count: 0
    .symbol:         _ZN7rocprim17ROCPRIM_400000_NS6detail17trampoline_kernelINS0_14default_configENS1_27scan_by_key_config_selectorIj11FixedVectorIiLj1EEEEZZNS1_16scan_by_key_implILNS1_25lookback_scan_determinismE0ELb0ES3_N6thrust23THRUST_200600_302600_NS6detail15normal_iteratorINSB_10device_ptrIjEEEENSD_INSE_IS6_EEEESI_S6_NSB_4plusIvEENSB_8equal_toIvEES6_EE10hipError_tPvRmT2_T3_T4_T5_mT6_T7_P12ihipStream_tbENKUlT_T0_E_clISt17integral_constantIbLb1EES12_IbLb0EEEEDaSY_SZ_EUlSY_E_NS1_11comp_targetILNS1_3genE5ELNS1_11target_archE942ELNS1_3gpuE9ELNS1_3repE0EEENS1_30default_config_static_selectorELNS0_4arch9wavefront6targetE1EEEvT1_.kd
    .uniform_work_group_size: 1
    .uses_dynamic_stack: false
    .vgpr_count:     0
    .vgpr_spill_count: 0
    .wavefront_size: 64
  - .agpr_count:     0
    .args:
      - .offset:         0
        .size:           112
        .value_kind:     by_value
    .group_segment_fixed_size: 16384
    .kernarg_segment_align: 8
    .kernarg_segment_size: 112
    .language:       OpenCL C
    .language_version:
      - 2
      - 0
    .max_flat_workgroup_size: 256
    .name:           _ZN7rocprim17ROCPRIM_400000_NS6detail17trampoline_kernelINS0_14default_configENS1_27scan_by_key_config_selectorIj11FixedVectorIiLj1EEEEZZNS1_16scan_by_key_implILNS1_25lookback_scan_determinismE0ELb0ES3_N6thrust23THRUST_200600_302600_NS6detail15normal_iteratorINSB_10device_ptrIjEEEENSD_INSE_IS6_EEEESI_S6_NSB_4plusIvEENSB_8equal_toIvEES6_EE10hipError_tPvRmT2_T3_T4_T5_mT6_T7_P12ihipStream_tbENKUlT_T0_E_clISt17integral_constantIbLb1EES12_IbLb0EEEEDaSY_SZ_EUlSY_E_NS1_11comp_targetILNS1_3genE4ELNS1_11target_archE910ELNS1_3gpuE8ELNS1_3repE0EEENS1_30default_config_static_selectorELNS0_4arch9wavefront6targetE1EEEvT1_
    .private_segment_fixed_size: 0
    .sgpr_count:     65
    .sgpr_spill_count: 0
    .symbol:         _ZN7rocprim17ROCPRIM_400000_NS6detail17trampoline_kernelINS0_14default_configENS1_27scan_by_key_config_selectorIj11FixedVectorIiLj1EEEEZZNS1_16scan_by_key_implILNS1_25lookback_scan_determinismE0ELb0ES3_N6thrust23THRUST_200600_302600_NS6detail15normal_iteratorINSB_10device_ptrIjEEEENSD_INSE_IS6_EEEESI_S6_NSB_4plusIvEENSB_8equal_toIvEES6_EE10hipError_tPvRmT2_T3_T4_T5_mT6_T7_P12ihipStream_tbENKUlT_T0_E_clISt17integral_constantIbLb1EES12_IbLb0EEEEDaSY_SZ_EUlSY_E_NS1_11comp_targetILNS1_3genE4ELNS1_11target_archE910ELNS1_3gpuE8ELNS1_3repE0EEENS1_30default_config_static_selectorELNS0_4arch9wavefront6targetE1EEEvT1_.kd
    .uniform_work_group_size: 1
    .uses_dynamic_stack: false
    .vgpr_count:     65
    .vgpr_spill_count: 0
    .wavefront_size: 64
  - .agpr_count:     0
    .args:
      - .offset:         0
        .size:           112
        .value_kind:     by_value
    .group_segment_fixed_size: 0
    .kernarg_segment_align: 8
    .kernarg_segment_size: 112
    .language:       OpenCL C
    .language_version:
      - 2
      - 0
    .max_flat_workgroup_size: 256
    .name:           _ZN7rocprim17ROCPRIM_400000_NS6detail17trampoline_kernelINS0_14default_configENS1_27scan_by_key_config_selectorIj11FixedVectorIiLj1EEEEZZNS1_16scan_by_key_implILNS1_25lookback_scan_determinismE0ELb0ES3_N6thrust23THRUST_200600_302600_NS6detail15normal_iteratorINSB_10device_ptrIjEEEENSD_INSE_IS6_EEEESI_S6_NSB_4plusIvEENSB_8equal_toIvEES6_EE10hipError_tPvRmT2_T3_T4_T5_mT6_T7_P12ihipStream_tbENKUlT_T0_E_clISt17integral_constantIbLb1EES12_IbLb0EEEEDaSY_SZ_EUlSY_E_NS1_11comp_targetILNS1_3genE3ELNS1_11target_archE908ELNS1_3gpuE7ELNS1_3repE0EEENS1_30default_config_static_selectorELNS0_4arch9wavefront6targetE1EEEvT1_
    .private_segment_fixed_size: 0
    .sgpr_count:     4
    .sgpr_spill_count: 0
    .symbol:         _ZN7rocprim17ROCPRIM_400000_NS6detail17trampoline_kernelINS0_14default_configENS1_27scan_by_key_config_selectorIj11FixedVectorIiLj1EEEEZZNS1_16scan_by_key_implILNS1_25lookback_scan_determinismE0ELb0ES3_N6thrust23THRUST_200600_302600_NS6detail15normal_iteratorINSB_10device_ptrIjEEEENSD_INSE_IS6_EEEESI_S6_NSB_4plusIvEENSB_8equal_toIvEES6_EE10hipError_tPvRmT2_T3_T4_T5_mT6_T7_P12ihipStream_tbENKUlT_T0_E_clISt17integral_constantIbLb1EES12_IbLb0EEEEDaSY_SZ_EUlSY_E_NS1_11comp_targetILNS1_3genE3ELNS1_11target_archE908ELNS1_3gpuE7ELNS1_3repE0EEENS1_30default_config_static_selectorELNS0_4arch9wavefront6targetE1EEEvT1_.kd
    .uniform_work_group_size: 1
    .uses_dynamic_stack: false
    .vgpr_count:     0
    .vgpr_spill_count: 0
    .wavefront_size: 64
  - .agpr_count:     0
    .args:
      - .offset:         0
        .size:           112
        .value_kind:     by_value
    .group_segment_fixed_size: 0
    .kernarg_segment_align: 8
    .kernarg_segment_size: 112
    .language:       OpenCL C
    .language_version:
      - 2
      - 0
    .max_flat_workgroup_size: 256
    .name:           _ZN7rocprim17ROCPRIM_400000_NS6detail17trampoline_kernelINS0_14default_configENS1_27scan_by_key_config_selectorIj11FixedVectorIiLj1EEEEZZNS1_16scan_by_key_implILNS1_25lookback_scan_determinismE0ELb0ES3_N6thrust23THRUST_200600_302600_NS6detail15normal_iteratorINSB_10device_ptrIjEEEENSD_INSE_IS6_EEEESI_S6_NSB_4plusIvEENSB_8equal_toIvEES6_EE10hipError_tPvRmT2_T3_T4_T5_mT6_T7_P12ihipStream_tbENKUlT_T0_E_clISt17integral_constantIbLb1EES12_IbLb0EEEEDaSY_SZ_EUlSY_E_NS1_11comp_targetILNS1_3genE2ELNS1_11target_archE906ELNS1_3gpuE6ELNS1_3repE0EEENS1_30default_config_static_selectorELNS0_4arch9wavefront6targetE1EEEvT1_
    .private_segment_fixed_size: 0
    .sgpr_count:     4
    .sgpr_spill_count: 0
    .symbol:         _ZN7rocprim17ROCPRIM_400000_NS6detail17trampoline_kernelINS0_14default_configENS1_27scan_by_key_config_selectorIj11FixedVectorIiLj1EEEEZZNS1_16scan_by_key_implILNS1_25lookback_scan_determinismE0ELb0ES3_N6thrust23THRUST_200600_302600_NS6detail15normal_iteratorINSB_10device_ptrIjEEEENSD_INSE_IS6_EEEESI_S6_NSB_4plusIvEENSB_8equal_toIvEES6_EE10hipError_tPvRmT2_T3_T4_T5_mT6_T7_P12ihipStream_tbENKUlT_T0_E_clISt17integral_constantIbLb1EES12_IbLb0EEEEDaSY_SZ_EUlSY_E_NS1_11comp_targetILNS1_3genE2ELNS1_11target_archE906ELNS1_3gpuE6ELNS1_3repE0EEENS1_30default_config_static_selectorELNS0_4arch9wavefront6targetE1EEEvT1_.kd
    .uniform_work_group_size: 1
    .uses_dynamic_stack: false
    .vgpr_count:     0
    .vgpr_spill_count: 0
    .wavefront_size: 64
  - .agpr_count:     0
    .args:
      - .offset:         0
        .size:           112
        .value_kind:     by_value
    .group_segment_fixed_size: 0
    .kernarg_segment_align: 8
    .kernarg_segment_size: 112
    .language:       OpenCL C
    .language_version:
      - 2
      - 0
    .max_flat_workgroup_size: 256
    .name:           _ZN7rocprim17ROCPRIM_400000_NS6detail17trampoline_kernelINS0_14default_configENS1_27scan_by_key_config_selectorIj11FixedVectorIiLj1EEEEZZNS1_16scan_by_key_implILNS1_25lookback_scan_determinismE0ELb0ES3_N6thrust23THRUST_200600_302600_NS6detail15normal_iteratorINSB_10device_ptrIjEEEENSD_INSE_IS6_EEEESI_S6_NSB_4plusIvEENSB_8equal_toIvEES6_EE10hipError_tPvRmT2_T3_T4_T5_mT6_T7_P12ihipStream_tbENKUlT_T0_E_clISt17integral_constantIbLb1EES12_IbLb0EEEEDaSY_SZ_EUlSY_E_NS1_11comp_targetILNS1_3genE10ELNS1_11target_archE1200ELNS1_3gpuE4ELNS1_3repE0EEENS1_30default_config_static_selectorELNS0_4arch9wavefront6targetE1EEEvT1_
    .private_segment_fixed_size: 0
    .sgpr_count:     4
    .sgpr_spill_count: 0
    .symbol:         _ZN7rocprim17ROCPRIM_400000_NS6detail17trampoline_kernelINS0_14default_configENS1_27scan_by_key_config_selectorIj11FixedVectorIiLj1EEEEZZNS1_16scan_by_key_implILNS1_25lookback_scan_determinismE0ELb0ES3_N6thrust23THRUST_200600_302600_NS6detail15normal_iteratorINSB_10device_ptrIjEEEENSD_INSE_IS6_EEEESI_S6_NSB_4plusIvEENSB_8equal_toIvEES6_EE10hipError_tPvRmT2_T3_T4_T5_mT6_T7_P12ihipStream_tbENKUlT_T0_E_clISt17integral_constantIbLb1EES12_IbLb0EEEEDaSY_SZ_EUlSY_E_NS1_11comp_targetILNS1_3genE10ELNS1_11target_archE1200ELNS1_3gpuE4ELNS1_3repE0EEENS1_30default_config_static_selectorELNS0_4arch9wavefront6targetE1EEEvT1_.kd
    .uniform_work_group_size: 1
    .uses_dynamic_stack: false
    .vgpr_count:     0
    .vgpr_spill_count: 0
    .wavefront_size: 64
  - .agpr_count:     0
    .args:
      - .offset:         0
        .size:           112
        .value_kind:     by_value
    .group_segment_fixed_size: 0
    .kernarg_segment_align: 8
    .kernarg_segment_size: 112
    .language:       OpenCL C
    .language_version:
      - 2
      - 0
    .max_flat_workgroup_size: 256
    .name:           _ZN7rocprim17ROCPRIM_400000_NS6detail17trampoline_kernelINS0_14default_configENS1_27scan_by_key_config_selectorIj11FixedVectorIiLj1EEEEZZNS1_16scan_by_key_implILNS1_25lookback_scan_determinismE0ELb0ES3_N6thrust23THRUST_200600_302600_NS6detail15normal_iteratorINSB_10device_ptrIjEEEENSD_INSE_IS6_EEEESI_S6_NSB_4plusIvEENSB_8equal_toIvEES6_EE10hipError_tPvRmT2_T3_T4_T5_mT6_T7_P12ihipStream_tbENKUlT_T0_E_clISt17integral_constantIbLb1EES12_IbLb0EEEEDaSY_SZ_EUlSY_E_NS1_11comp_targetILNS1_3genE9ELNS1_11target_archE1100ELNS1_3gpuE3ELNS1_3repE0EEENS1_30default_config_static_selectorELNS0_4arch9wavefront6targetE1EEEvT1_
    .private_segment_fixed_size: 0
    .sgpr_count:     4
    .sgpr_spill_count: 0
    .symbol:         _ZN7rocprim17ROCPRIM_400000_NS6detail17trampoline_kernelINS0_14default_configENS1_27scan_by_key_config_selectorIj11FixedVectorIiLj1EEEEZZNS1_16scan_by_key_implILNS1_25lookback_scan_determinismE0ELb0ES3_N6thrust23THRUST_200600_302600_NS6detail15normal_iteratorINSB_10device_ptrIjEEEENSD_INSE_IS6_EEEESI_S6_NSB_4plusIvEENSB_8equal_toIvEES6_EE10hipError_tPvRmT2_T3_T4_T5_mT6_T7_P12ihipStream_tbENKUlT_T0_E_clISt17integral_constantIbLb1EES12_IbLb0EEEEDaSY_SZ_EUlSY_E_NS1_11comp_targetILNS1_3genE9ELNS1_11target_archE1100ELNS1_3gpuE3ELNS1_3repE0EEENS1_30default_config_static_selectorELNS0_4arch9wavefront6targetE1EEEvT1_.kd
    .uniform_work_group_size: 1
    .uses_dynamic_stack: false
    .vgpr_count:     0
    .vgpr_spill_count: 0
    .wavefront_size: 64
  - .agpr_count:     0
    .args:
      - .offset:         0
        .size:           112
        .value_kind:     by_value
    .group_segment_fixed_size: 0
    .kernarg_segment_align: 8
    .kernarg_segment_size: 112
    .language:       OpenCL C
    .language_version:
      - 2
      - 0
    .max_flat_workgroup_size: 256
    .name:           _ZN7rocprim17ROCPRIM_400000_NS6detail17trampoline_kernelINS0_14default_configENS1_27scan_by_key_config_selectorIj11FixedVectorIiLj1EEEEZZNS1_16scan_by_key_implILNS1_25lookback_scan_determinismE0ELb0ES3_N6thrust23THRUST_200600_302600_NS6detail15normal_iteratorINSB_10device_ptrIjEEEENSD_INSE_IS6_EEEESI_S6_NSB_4plusIvEENSB_8equal_toIvEES6_EE10hipError_tPvRmT2_T3_T4_T5_mT6_T7_P12ihipStream_tbENKUlT_T0_E_clISt17integral_constantIbLb1EES12_IbLb0EEEEDaSY_SZ_EUlSY_E_NS1_11comp_targetILNS1_3genE8ELNS1_11target_archE1030ELNS1_3gpuE2ELNS1_3repE0EEENS1_30default_config_static_selectorELNS0_4arch9wavefront6targetE1EEEvT1_
    .private_segment_fixed_size: 0
    .sgpr_count:     4
    .sgpr_spill_count: 0
    .symbol:         _ZN7rocprim17ROCPRIM_400000_NS6detail17trampoline_kernelINS0_14default_configENS1_27scan_by_key_config_selectorIj11FixedVectorIiLj1EEEEZZNS1_16scan_by_key_implILNS1_25lookback_scan_determinismE0ELb0ES3_N6thrust23THRUST_200600_302600_NS6detail15normal_iteratorINSB_10device_ptrIjEEEENSD_INSE_IS6_EEEESI_S6_NSB_4plusIvEENSB_8equal_toIvEES6_EE10hipError_tPvRmT2_T3_T4_T5_mT6_T7_P12ihipStream_tbENKUlT_T0_E_clISt17integral_constantIbLb1EES12_IbLb0EEEEDaSY_SZ_EUlSY_E_NS1_11comp_targetILNS1_3genE8ELNS1_11target_archE1030ELNS1_3gpuE2ELNS1_3repE0EEENS1_30default_config_static_selectorELNS0_4arch9wavefront6targetE1EEEvT1_.kd
    .uniform_work_group_size: 1
    .uses_dynamic_stack: false
    .vgpr_count:     0
    .vgpr_spill_count: 0
    .wavefront_size: 64
  - .agpr_count:     0
    .args:
      - .address_space:  global
        .offset:         0
        .size:           8
        .value_kind:     global_buffer
      - .offset:         8
        .size:           4
        .value_kind:     by_value
      - .offset:         12
        .size:           4
        .value_kind:     by_value
      - .address_space:  global
        .offset:         16
        .size:           8
        .value_kind:     global_buffer
      - .address_space:  global
        .offset:         24
        .size:           8
        .value_kind:     global_buffer
      - .actual_access:  write_only
        .address_space:  global
        .offset:         32
        .size:           8
        .value_kind:     global_buffer
      - .offset:         40
        .size:           8
        .value_kind:     by_value
      - .offset:         48
        .size:           4
        .value_kind:     by_value
      - .address_space:  global
        .offset:         56
        .size:           8
        .value_kind:     global_buffer
      - .offset:         64
        .size:           4
        .value_kind:     hidden_block_count_x
      - .offset:         68
        .size:           4
        .value_kind:     hidden_block_count_y
      - .offset:         72
        .size:           4
        .value_kind:     hidden_block_count_z
      - .offset:         76
        .size:           2
        .value_kind:     hidden_group_size_x
      - .offset:         78
        .size:           2
        .value_kind:     hidden_group_size_y
      - .offset:         80
        .size:           2
        .value_kind:     hidden_group_size_z
      - .offset:         82
        .size:           2
        .value_kind:     hidden_remainder_x
      - .offset:         84
        .size:           2
        .value_kind:     hidden_remainder_y
      - .offset:         86
        .size:           2
        .value_kind:     hidden_remainder_z
      - .offset:         104
        .size:           8
        .value_kind:     hidden_global_offset_x
      - .offset:         112
        .size:           8
        .value_kind:     hidden_global_offset_y
      - .offset:         120
        .size:           8
        .value_kind:     hidden_global_offset_z
      - .offset:         128
        .size:           2
        .value_kind:     hidden_grid_dims
    .group_segment_fixed_size: 0
    .kernarg_segment_align: 8
    .kernarg_segment_size: 320
    .language:       OpenCL C
    .language_version:
      - 2
      - 0
    .max_flat_workgroup_size: 256
    .name:           _ZN7rocprim17ROCPRIM_400000_NS6detail30init_device_scan_by_key_kernelINS1_19lookback_scan_stateINS0_5tupleIJ11FixedVectorIiLj1EEbEEELb0ELb1EEEN6thrust23THRUST_200600_302600_NS6detail15normal_iteratorINSA_10device_ptrIjEEEEjNS1_16block_id_wrapperIjLb1EEEEEvT_jjPNSI_10value_typeET0_PNSt15iterator_traitsISL_E10value_typeEmT1_T2_
    .private_segment_fixed_size: 0
    .sgpr_count:     24
    .sgpr_spill_count: 0
    .symbol:         _ZN7rocprim17ROCPRIM_400000_NS6detail30init_device_scan_by_key_kernelINS1_19lookback_scan_stateINS0_5tupleIJ11FixedVectorIiLj1EEbEEELb0ELb1EEEN6thrust23THRUST_200600_302600_NS6detail15normal_iteratorINSA_10device_ptrIjEEEEjNS1_16block_id_wrapperIjLb1EEEEEvT_jjPNSI_10value_typeET0_PNSt15iterator_traitsISL_E10value_typeEmT1_T2_.kd
    .uniform_work_group_size: 1
    .uses_dynamic_stack: false
    .vgpr_count:     10
    .vgpr_spill_count: 0
    .wavefront_size: 64
  - .agpr_count:     0
    .args:
      - .address_space:  global
        .offset:         0
        .size:           8
        .value_kind:     global_buffer
      - .offset:         8
        .size:           4
        .value_kind:     by_value
      - .offset:         12
        .size:           4
        .value_kind:     by_value
      - .address_space:  global
        .offset:         16
        .size:           8
        .value_kind:     global_buffer
      - .address_space:  global
        .offset:         24
        .size:           8
        .value_kind:     global_buffer
      - .offset:         32
        .size:           4
        .value_kind:     hidden_block_count_x
      - .offset:         36
        .size:           4
        .value_kind:     hidden_block_count_y
      - .offset:         40
        .size:           4
        .value_kind:     hidden_block_count_z
      - .offset:         44
        .size:           2
        .value_kind:     hidden_group_size_x
      - .offset:         46
        .size:           2
        .value_kind:     hidden_group_size_y
      - .offset:         48
        .size:           2
        .value_kind:     hidden_group_size_z
      - .offset:         50
        .size:           2
        .value_kind:     hidden_remainder_x
      - .offset:         52
        .size:           2
        .value_kind:     hidden_remainder_y
      - .offset:         54
        .size:           2
        .value_kind:     hidden_remainder_z
      - .offset:         72
        .size:           8
        .value_kind:     hidden_global_offset_x
      - .offset:         80
        .size:           8
        .value_kind:     hidden_global_offset_y
      - .offset:         88
        .size:           8
        .value_kind:     hidden_global_offset_z
      - .offset:         96
        .size:           2
        .value_kind:     hidden_grid_dims
    .group_segment_fixed_size: 0
    .kernarg_segment_align: 8
    .kernarg_segment_size: 288
    .language:       OpenCL C
    .language_version:
      - 2
      - 0
    .max_flat_workgroup_size: 256
    .name:           _ZN7rocprim17ROCPRIM_400000_NS6detail30init_device_scan_by_key_kernelINS1_19lookback_scan_stateINS0_5tupleIJ11FixedVectorIiLj1EEbEEELb0ELb1EEENS1_16block_id_wrapperIjLb1EEEEEvT_jjPNSB_10value_typeET0_
    .private_segment_fixed_size: 0
    .sgpr_count:     20
    .sgpr_spill_count: 0
    .symbol:         _ZN7rocprim17ROCPRIM_400000_NS6detail30init_device_scan_by_key_kernelINS1_19lookback_scan_stateINS0_5tupleIJ11FixedVectorIiLj1EEbEEELb0ELb1EEENS1_16block_id_wrapperIjLb1EEEEEvT_jjPNSB_10value_typeET0_.kd
    .uniform_work_group_size: 1
    .uses_dynamic_stack: false
    .vgpr_count:     10
    .vgpr_spill_count: 0
    .wavefront_size: 64
  - .agpr_count:     0
    .args:
      - .offset:         0
        .size:           112
        .value_kind:     by_value
    .group_segment_fixed_size: 0
    .kernarg_segment_align: 8
    .kernarg_segment_size: 112
    .language:       OpenCL C
    .language_version:
      - 2
      - 0
    .max_flat_workgroup_size: 256
    .name:           _ZN7rocprim17ROCPRIM_400000_NS6detail17trampoline_kernelINS0_14default_configENS1_27scan_by_key_config_selectorIj11FixedVectorIiLj1EEEEZZNS1_16scan_by_key_implILNS1_25lookback_scan_determinismE0ELb0ES3_N6thrust23THRUST_200600_302600_NS6detail15normal_iteratorINSB_10device_ptrIjEEEENSD_INSE_IS6_EEEESI_S6_NSB_4plusIvEENSB_8equal_toIvEES6_EE10hipError_tPvRmT2_T3_T4_T5_mT6_T7_P12ihipStream_tbENKUlT_T0_E_clISt17integral_constantIbLb0EES12_IbLb1EEEEDaSY_SZ_EUlSY_E_NS1_11comp_targetILNS1_3genE0ELNS1_11target_archE4294967295ELNS1_3gpuE0ELNS1_3repE0EEENS1_30default_config_static_selectorELNS0_4arch9wavefront6targetE1EEEvT1_
    .private_segment_fixed_size: 0
    .sgpr_count:     4
    .sgpr_spill_count: 0
    .symbol:         _ZN7rocprim17ROCPRIM_400000_NS6detail17trampoline_kernelINS0_14default_configENS1_27scan_by_key_config_selectorIj11FixedVectorIiLj1EEEEZZNS1_16scan_by_key_implILNS1_25lookback_scan_determinismE0ELb0ES3_N6thrust23THRUST_200600_302600_NS6detail15normal_iteratorINSB_10device_ptrIjEEEENSD_INSE_IS6_EEEESI_S6_NSB_4plusIvEENSB_8equal_toIvEES6_EE10hipError_tPvRmT2_T3_T4_T5_mT6_T7_P12ihipStream_tbENKUlT_T0_E_clISt17integral_constantIbLb0EES12_IbLb1EEEEDaSY_SZ_EUlSY_E_NS1_11comp_targetILNS1_3genE0ELNS1_11target_archE4294967295ELNS1_3gpuE0ELNS1_3repE0EEENS1_30default_config_static_selectorELNS0_4arch9wavefront6targetE1EEEvT1_.kd
    .uniform_work_group_size: 1
    .uses_dynamic_stack: false
    .vgpr_count:     0
    .vgpr_spill_count: 0
    .wavefront_size: 64
  - .agpr_count:     0
    .args:
      - .offset:         0
        .size:           112
        .value_kind:     by_value
    .group_segment_fixed_size: 0
    .kernarg_segment_align: 8
    .kernarg_segment_size: 112
    .language:       OpenCL C
    .language_version:
      - 2
      - 0
    .max_flat_workgroup_size: 256
    .name:           _ZN7rocprim17ROCPRIM_400000_NS6detail17trampoline_kernelINS0_14default_configENS1_27scan_by_key_config_selectorIj11FixedVectorIiLj1EEEEZZNS1_16scan_by_key_implILNS1_25lookback_scan_determinismE0ELb0ES3_N6thrust23THRUST_200600_302600_NS6detail15normal_iteratorINSB_10device_ptrIjEEEENSD_INSE_IS6_EEEESI_S6_NSB_4plusIvEENSB_8equal_toIvEES6_EE10hipError_tPvRmT2_T3_T4_T5_mT6_T7_P12ihipStream_tbENKUlT_T0_E_clISt17integral_constantIbLb0EES12_IbLb1EEEEDaSY_SZ_EUlSY_E_NS1_11comp_targetILNS1_3genE10ELNS1_11target_archE1201ELNS1_3gpuE5ELNS1_3repE0EEENS1_30default_config_static_selectorELNS0_4arch9wavefront6targetE1EEEvT1_
    .private_segment_fixed_size: 0
    .sgpr_count:     4
    .sgpr_spill_count: 0
    .symbol:         _ZN7rocprim17ROCPRIM_400000_NS6detail17trampoline_kernelINS0_14default_configENS1_27scan_by_key_config_selectorIj11FixedVectorIiLj1EEEEZZNS1_16scan_by_key_implILNS1_25lookback_scan_determinismE0ELb0ES3_N6thrust23THRUST_200600_302600_NS6detail15normal_iteratorINSB_10device_ptrIjEEEENSD_INSE_IS6_EEEESI_S6_NSB_4plusIvEENSB_8equal_toIvEES6_EE10hipError_tPvRmT2_T3_T4_T5_mT6_T7_P12ihipStream_tbENKUlT_T0_E_clISt17integral_constantIbLb0EES12_IbLb1EEEEDaSY_SZ_EUlSY_E_NS1_11comp_targetILNS1_3genE10ELNS1_11target_archE1201ELNS1_3gpuE5ELNS1_3repE0EEENS1_30default_config_static_selectorELNS0_4arch9wavefront6targetE1EEEvT1_.kd
    .uniform_work_group_size: 1
    .uses_dynamic_stack: false
    .vgpr_count:     0
    .vgpr_spill_count: 0
    .wavefront_size: 64
  - .agpr_count:     0
    .args:
      - .offset:         0
        .size:           112
        .value_kind:     by_value
    .group_segment_fixed_size: 0
    .kernarg_segment_align: 8
    .kernarg_segment_size: 112
    .language:       OpenCL C
    .language_version:
      - 2
      - 0
    .max_flat_workgroup_size: 256
    .name:           _ZN7rocprim17ROCPRIM_400000_NS6detail17trampoline_kernelINS0_14default_configENS1_27scan_by_key_config_selectorIj11FixedVectorIiLj1EEEEZZNS1_16scan_by_key_implILNS1_25lookback_scan_determinismE0ELb0ES3_N6thrust23THRUST_200600_302600_NS6detail15normal_iteratorINSB_10device_ptrIjEEEENSD_INSE_IS6_EEEESI_S6_NSB_4plusIvEENSB_8equal_toIvEES6_EE10hipError_tPvRmT2_T3_T4_T5_mT6_T7_P12ihipStream_tbENKUlT_T0_E_clISt17integral_constantIbLb0EES12_IbLb1EEEEDaSY_SZ_EUlSY_E_NS1_11comp_targetILNS1_3genE5ELNS1_11target_archE942ELNS1_3gpuE9ELNS1_3repE0EEENS1_30default_config_static_selectorELNS0_4arch9wavefront6targetE1EEEvT1_
    .private_segment_fixed_size: 0
    .sgpr_count:     4
    .sgpr_spill_count: 0
    .symbol:         _ZN7rocprim17ROCPRIM_400000_NS6detail17trampoline_kernelINS0_14default_configENS1_27scan_by_key_config_selectorIj11FixedVectorIiLj1EEEEZZNS1_16scan_by_key_implILNS1_25lookback_scan_determinismE0ELb0ES3_N6thrust23THRUST_200600_302600_NS6detail15normal_iteratorINSB_10device_ptrIjEEEENSD_INSE_IS6_EEEESI_S6_NSB_4plusIvEENSB_8equal_toIvEES6_EE10hipError_tPvRmT2_T3_T4_T5_mT6_T7_P12ihipStream_tbENKUlT_T0_E_clISt17integral_constantIbLb0EES12_IbLb1EEEEDaSY_SZ_EUlSY_E_NS1_11comp_targetILNS1_3genE5ELNS1_11target_archE942ELNS1_3gpuE9ELNS1_3repE0EEENS1_30default_config_static_selectorELNS0_4arch9wavefront6targetE1EEEvT1_.kd
    .uniform_work_group_size: 1
    .uses_dynamic_stack: false
    .vgpr_count:     0
    .vgpr_spill_count: 0
    .wavefront_size: 64
  - .agpr_count:     0
    .args:
      - .offset:         0
        .size:           112
        .value_kind:     by_value
    .group_segment_fixed_size: 16384
    .kernarg_segment_align: 8
    .kernarg_segment_size: 112
    .language:       OpenCL C
    .language_version:
      - 2
      - 0
    .max_flat_workgroup_size: 256
    .name:           _ZN7rocprim17ROCPRIM_400000_NS6detail17trampoline_kernelINS0_14default_configENS1_27scan_by_key_config_selectorIj11FixedVectorIiLj1EEEEZZNS1_16scan_by_key_implILNS1_25lookback_scan_determinismE0ELb0ES3_N6thrust23THRUST_200600_302600_NS6detail15normal_iteratorINSB_10device_ptrIjEEEENSD_INSE_IS6_EEEESI_S6_NSB_4plusIvEENSB_8equal_toIvEES6_EE10hipError_tPvRmT2_T3_T4_T5_mT6_T7_P12ihipStream_tbENKUlT_T0_E_clISt17integral_constantIbLb0EES12_IbLb1EEEEDaSY_SZ_EUlSY_E_NS1_11comp_targetILNS1_3genE4ELNS1_11target_archE910ELNS1_3gpuE8ELNS1_3repE0EEENS1_30default_config_static_selectorELNS0_4arch9wavefront6targetE1EEEvT1_
    .private_segment_fixed_size: 0
    .sgpr_count:     69
    .sgpr_spill_count: 0
    .symbol:         _ZN7rocprim17ROCPRIM_400000_NS6detail17trampoline_kernelINS0_14default_configENS1_27scan_by_key_config_selectorIj11FixedVectorIiLj1EEEEZZNS1_16scan_by_key_implILNS1_25lookback_scan_determinismE0ELb0ES3_N6thrust23THRUST_200600_302600_NS6detail15normal_iteratorINSB_10device_ptrIjEEEENSD_INSE_IS6_EEEESI_S6_NSB_4plusIvEENSB_8equal_toIvEES6_EE10hipError_tPvRmT2_T3_T4_T5_mT6_T7_P12ihipStream_tbENKUlT_T0_E_clISt17integral_constantIbLb0EES12_IbLb1EEEEDaSY_SZ_EUlSY_E_NS1_11comp_targetILNS1_3genE4ELNS1_11target_archE910ELNS1_3gpuE8ELNS1_3repE0EEENS1_30default_config_static_selectorELNS0_4arch9wavefront6targetE1EEEvT1_.kd
    .uniform_work_group_size: 1
    .uses_dynamic_stack: false
    .vgpr_count:     65
    .vgpr_spill_count: 0
    .wavefront_size: 64
  - .agpr_count:     0
    .args:
      - .offset:         0
        .size:           112
        .value_kind:     by_value
    .group_segment_fixed_size: 0
    .kernarg_segment_align: 8
    .kernarg_segment_size: 112
    .language:       OpenCL C
    .language_version:
      - 2
      - 0
    .max_flat_workgroup_size: 256
    .name:           _ZN7rocprim17ROCPRIM_400000_NS6detail17trampoline_kernelINS0_14default_configENS1_27scan_by_key_config_selectorIj11FixedVectorIiLj1EEEEZZNS1_16scan_by_key_implILNS1_25lookback_scan_determinismE0ELb0ES3_N6thrust23THRUST_200600_302600_NS6detail15normal_iteratorINSB_10device_ptrIjEEEENSD_INSE_IS6_EEEESI_S6_NSB_4plusIvEENSB_8equal_toIvEES6_EE10hipError_tPvRmT2_T3_T4_T5_mT6_T7_P12ihipStream_tbENKUlT_T0_E_clISt17integral_constantIbLb0EES12_IbLb1EEEEDaSY_SZ_EUlSY_E_NS1_11comp_targetILNS1_3genE3ELNS1_11target_archE908ELNS1_3gpuE7ELNS1_3repE0EEENS1_30default_config_static_selectorELNS0_4arch9wavefront6targetE1EEEvT1_
    .private_segment_fixed_size: 0
    .sgpr_count:     4
    .sgpr_spill_count: 0
    .symbol:         _ZN7rocprim17ROCPRIM_400000_NS6detail17trampoline_kernelINS0_14default_configENS1_27scan_by_key_config_selectorIj11FixedVectorIiLj1EEEEZZNS1_16scan_by_key_implILNS1_25lookback_scan_determinismE0ELb0ES3_N6thrust23THRUST_200600_302600_NS6detail15normal_iteratorINSB_10device_ptrIjEEEENSD_INSE_IS6_EEEESI_S6_NSB_4plusIvEENSB_8equal_toIvEES6_EE10hipError_tPvRmT2_T3_T4_T5_mT6_T7_P12ihipStream_tbENKUlT_T0_E_clISt17integral_constantIbLb0EES12_IbLb1EEEEDaSY_SZ_EUlSY_E_NS1_11comp_targetILNS1_3genE3ELNS1_11target_archE908ELNS1_3gpuE7ELNS1_3repE0EEENS1_30default_config_static_selectorELNS0_4arch9wavefront6targetE1EEEvT1_.kd
    .uniform_work_group_size: 1
    .uses_dynamic_stack: false
    .vgpr_count:     0
    .vgpr_spill_count: 0
    .wavefront_size: 64
  - .agpr_count:     0
    .args:
      - .offset:         0
        .size:           112
        .value_kind:     by_value
    .group_segment_fixed_size: 0
    .kernarg_segment_align: 8
    .kernarg_segment_size: 112
    .language:       OpenCL C
    .language_version:
      - 2
      - 0
    .max_flat_workgroup_size: 256
    .name:           _ZN7rocprim17ROCPRIM_400000_NS6detail17trampoline_kernelINS0_14default_configENS1_27scan_by_key_config_selectorIj11FixedVectorIiLj1EEEEZZNS1_16scan_by_key_implILNS1_25lookback_scan_determinismE0ELb0ES3_N6thrust23THRUST_200600_302600_NS6detail15normal_iteratorINSB_10device_ptrIjEEEENSD_INSE_IS6_EEEESI_S6_NSB_4plusIvEENSB_8equal_toIvEES6_EE10hipError_tPvRmT2_T3_T4_T5_mT6_T7_P12ihipStream_tbENKUlT_T0_E_clISt17integral_constantIbLb0EES12_IbLb1EEEEDaSY_SZ_EUlSY_E_NS1_11comp_targetILNS1_3genE2ELNS1_11target_archE906ELNS1_3gpuE6ELNS1_3repE0EEENS1_30default_config_static_selectorELNS0_4arch9wavefront6targetE1EEEvT1_
    .private_segment_fixed_size: 0
    .sgpr_count:     4
    .sgpr_spill_count: 0
    .symbol:         _ZN7rocprim17ROCPRIM_400000_NS6detail17trampoline_kernelINS0_14default_configENS1_27scan_by_key_config_selectorIj11FixedVectorIiLj1EEEEZZNS1_16scan_by_key_implILNS1_25lookback_scan_determinismE0ELb0ES3_N6thrust23THRUST_200600_302600_NS6detail15normal_iteratorINSB_10device_ptrIjEEEENSD_INSE_IS6_EEEESI_S6_NSB_4plusIvEENSB_8equal_toIvEES6_EE10hipError_tPvRmT2_T3_T4_T5_mT6_T7_P12ihipStream_tbENKUlT_T0_E_clISt17integral_constantIbLb0EES12_IbLb1EEEEDaSY_SZ_EUlSY_E_NS1_11comp_targetILNS1_3genE2ELNS1_11target_archE906ELNS1_3gpuE6ELNS1_3repE0EEENS1_30default_config_static_selectorELNS0_4arch9wavefront6targetE1EEEvT1_.kd
    .uniform_work_group_size: 1
    .uses_dynamic_stack: false
    .vgpr_count:     0
    .vgpr_spill_count: 0
    .wavefront_size: 64
  - .agpr_count:     0
    .args:
      - .offset:         0
        .size:           112
        .value_kind:     by_value
    .group_segment_fixed_size: 0
    .kernarg_segment_align: 8
    .kernarg_segment_size: 112
    .language:       OpenCL C
    .language_version:
      - 2
      - 0
    .max_flat_workgroup_size: 256
    .name:           _ZN7rocprim17ROCPRIM_400000_NS6detail17trampoline_kernelINS0_14default_configENS1_27scan_by_key_config_selectorIj11FixedVectorIiLj1EEEEZZNS1_16scan_by_key_implILNS1_25lookback_scan_determinismE0ELb0ES3_N6thrust23THRUST_200600_302600_NS6detail15normal_iteratorINSB_10device_ptrIjEEEENSD_INSE_IS6_EEEESI_S6_NSB_4plusIvEENSB_8equal_toIvEES6_EE10hipError_tPvRmT2_T3_T4_T5_mT6_T7_P12ihipStream_tbENKUlT_T0_E_clISt17integral_constantIbLb0EES12_IbLb1EEEEDaSY_SZ_EUlSY_E_NS1_11comp_targetILNS1_3genE10ELNS1_11target_archE1200ELNS1_3gpuE4ELNS1_3repE0EEENS1_30default_config_static_selectorELNS0_4arch9wavefront6targetE1EEEvT1_
    .private_segment_fixed_size: 0
    .sgpr_count:     4
    .sgpr_spill_count: 0
    .symbol:         _ZN7rocprim17ROCPRIM_400000_NS6detail17trampoline_kernelINS0_14default_configENS1_27scan_by_key_config_selectorIj11FixedVectorIiLj1EEEEZZNS1_16scan_by_key_implILNS1_25lookback_scan_determinismE0ELb0ES3_N6thrust23THRUST_200600_302600_NS6detail15normal_iteratorINSB_10device_ptrIjEEEENSD_INSE_IS6_EEEESI_S6_NSB_4plusIvEENSB_8equal_toIvEES6_EE10hipError_tPvRmT2_T3_T4_T5_mT6_T7_P12ihipStream_tbENKUlT_T0_E_clISt17integral_constantIbLb0EES12_IbLb1EEEEDaSY_SZ_EUlSY_E_NS1_11comp_targetILNS1_3genE10ELNS1_11target_archE1200ELNS1_3gpuE4ELNS1_3repE0EEENS1_30default_config_static_selectorELNS0_4arch9wavefront6targetE1EEEvT1_.kd
    .uniform_work_group_size: 1
    .uses_dynamic_stack: false
    .vgpr_count:     0
    .vgpr_spill_count: 0
    .wavefront_size: 64
  - .agpr_count:     0
    .args:
      - .offset:         0
        .size:           112
        .value_kind:     by_value
    .group_segment_fixed_size: 0
    .kernarg_segment_align: 8
    .kernarg_segment_size: 112
    .language:       OpenCL C
    .language_version:
      - 2
      - 0
    .max_flat_workgroup_size: 256
    .name:           _ZN7rocprim17ROCPRIM_400000_NS6detail17trampoline_kernelINS0_14default_configENS1_27scan_by_key_config_selectorIj11FixedVectorIiLj1EEEEZZNS1_16scan_by_key_implILNS1_25lookback_scan_determinismE0ELb0ES3_N6thrust23THRUST_200600_302600_NS6detail15normal_iteratorINSB_10device_ptrIjEEEENSD_INSE_IS6_EEEESI_S6_NSB_4plusIvEENSB_8equal_toIvEES6_EE10hipError_tPvRmT2_T3_T4_T5_mT6_T7_P12ihipStream_tbENKUlT_T0_E_clISt17integral_constantIbLb0EES12_IbLb1EEEEDaSY_SZ_EUlSY_E_NS1_11comp_targetILNS1_3genE9ELNS1_11target_archE1100ELNS1_3gpuE3ELNS1_3repE0EEENS1_30default_config_static_selectorELNS0_4arch9wavefront6targetE1EEEvT1_
    .private_segment_fixed_size: 0
    .sgpr_count:     4
    .sgpr_spill_count: 0
    .symbol:         _ZN7rocprim17ROCPRIM_400000_NS6detail17trampoline_kernelINS0_14default_configENS1_27scan_by_key_config_selectorIj11FixedVectorIiLj1EEEEZZNS1_16scan_by_key_implILNS1_25lookback_scan_determinismE0ELb0ES3_N6thrust23THRUST_200600_302600_NS6detail15normal_iteratorINSB_10device_ptrIjEEEENSD_INSE_IS6_EEEESI_S6_NSB_4plusIvEENSB_8equal_toIvEES6_EE10hipError_tPvRmT2_T3_T4_T5_mT6_T7_P12ihipStream_tbENKUlT_T0_E_clISt17integral_constantIbLb0EES12_IbLb1EEEEDaSY_SZ_EUlSY_E_NS1_11comp_targetILNS1_3genE9ELNS1_11target_archE1100ELNS1_3gpuE3ELNS1_3repE0EEENS1_30default_config_static_selectorELNS0_4arch9wavefront6targetE1EEEvT1_.kd
    .uniform_work_group_size: 1
    .uses_dynamic_stack: false
    .vgpr_count:     0
    .vgpr_spill_count: 0
    .wavefront_size: 64
  - .agpr_count:     0
    .args:
      - .offset:         0
        .size:           112
        .value_kind:     by_value
    .group_segment_fixed_size: 0
    .kernarg_segment_align: 8
    .kernarg_segment_size: 112
    .language:       OpenCL C
    .language_version:
      - 2
      - 0
    .max_flat_workgroup_size: 256
    .name:           _ZN7rocprim17ROCPRIM_400000_NS6detail17trampoline_kernelINS0_14default_configENS1_27scan_by_key_config_selectorIj11FixedVectorIiLj1EEEEZZNS1_16scan_by_key_implILNS1_25lookback_scan_determinismE0ELb0ES3_N6thrust23THRUST_200600_302600_NS6detail15normal_iteratorINSB_10device_ptrIjEEEENSD_INSE_IS6_EEEESI_S6_NSB_4plusIvEENSB_8equal_toIvEES6_EE10hipError_tPvRmT2_T3_T4_T5_mT6_T7_P12ihipStream_tbENKUlT_T0_E_clISt17integral_constantIbLb0EES12_IbLb1EEEEDaSY_SZ_EUlSY_E_NS1_11comp_targetILNS1_3genE8ELNS1_11target_archE1030ELNS1_3gpuE2ELNS1_3repE0EEENS1_30default_config_static_selectorELNS0_4arch9wavefront6targetE1EEEvT1_
    .private_segment_fixed_size: 0
    .sgpr_count:     4
    .sgpr_spill_count: 0
    .symbol:         _ZN7rocprim17ROCPRIM_400000_NS6detail17trampoline_kernelINS0_14default_configENS1_27scan_by_key_config_selectorIj11FixedVectorIiLj1EEEEZZNS1_16scan_by_key_implILNS1_25lookback_scan_determinismE0ELb0ES3_N6thrust23THRUST_200600_302600_NS6detail15normal_iteratorINSB_10device_ptrIjEEEENSD_INSE_IS6_EEEESI_S6_NSB_4plusIvEENSB_8equal_toIvEES6_EE10hipError_tPvRmT2_T3_T4_T5_mT6_T7_P12ihipStream_tbENKUlT_T0_E_clISt17integral_constantIbLb0EES12_IbLb1EEEEDaSY_SZ_EUlSY_E_NS1_11comp_targetILNS1_3genE8ELNS1_11target_archE1030ELNS1_3gpuE2ELNS1_3repE0EEENS1_30default_config_static_selectorELNS0_4arch9wavefront6targetE1EEEvT1_.kd
    .uniform_work_group_size: 1
    .uses_dynamic_stack: false
    .vgpr_count:     0
    .vgpr_spill_count: 0
    .wavefront_size: 64
  - .agpr_count:     0
    .args:
      - .offset:         0
        .size:           112
        .value_kind:     by_value
    .group_segment_fixed_size: 0
    .kernarg_segment_align: 8
    .kernarg_segment_size: 112
    .language:       OpenCL C
    .language_version:
      - 2
      - 0
    .max_flat_workgroup_size: 256
    .name:           _ZN7rocprim17ROCPRIM_400000_NS6detail17trampoline_kernelINS0_14default_configENS1_27scan_by_key_config_selectorIj11FixedVectorIiLj1EEEEZZNS1_16scan_by_key_implILNS1_25lookback_scan_determinismE0ELb1ES3_N6thrust23THRUST_200600_302600_NS6detail15normal_iteratorINSB_10device_ptrIjEEEENSD_INSE_IS6_EEEESI_S6_NSB_4plusIvEENSB_8equal_toIvEES6_EE10hipError_tPvRmT2_T3_T4_T5_mT6_T7_P12ihipStream_tbENKUlT_T0_E_clISt17integral_constantIbLb0EES13_EEDaSY_SZ_EUlSY_E_NS1_11comp_targetILNS1_3genE0ELNS1_11target_archE4294967295ELNS1_3gpuE0ELNS1_3repE0EEENS1_30default_config_static_selectorELNS0_4arch9wavefront6targetE1EEEvT1_
    .private_segment_fixed_size: 0
    .sgpr_count:     4
    .sgpr_spill_count: 0
    .symbol:         _ZN7rocprim17ROCPRIM_400000_NS6detail17trampoline_kernelINS0_14default_configENS1_27scan_by_key_config_selectorIj11FixedVectorIiLj1EEEEZZNS1_16scan_by_key_implILNS1_25lookback_scan_determinismE0ELb1ES3_N6thrust23THRUST_200600_302600_NS6detail15normal_iteratorINSB_10device_ptrIjEEEENSD_INSE_IS6_EEEESI_S6_NSB_4plusIvEENSB_8equal_toIvEES6_EE10hipError_tPvRmT2_T3_T4_T5_mT6_T7_P12ihipStream_tbENKUlT_T0_E_clISt17integral_constantIbLb0EES13_EEDaSY_SZ_EUlSY_E_NS1_11comp_targetILNS1_3genE0ELNS1_11target_archE4294967295ELNS1_3gpuE0ELNS1_3repE0EEENS1_30default_config_static_selectorELNS0_4arch9wavefront6targetE1EEEvT1_.kd
    .uniform_work_group_size: 1
    .uses_dynamic_stack: false
    .vgpr_count:     0
    .vgpr_spill_count: 0
    .wavefront_size: 64
  - .agpr_count:     0
    .args:
      - .offset:         0
        .size:           112
        .value_kind:     by_value
    .group_segment_fixed_size: 0
    .kernarg_segment_align: 8
    .kernarg_segment_size: 112
    .language:       OpenCL C
    .language_version:
      - 2
      - 0
    .max_flat_workgroup_size: 256
    .name:           _ZN7rocprim17ROCPRIM_400000_NS6detail17trampoline_kernelINS0_14default_configENS1_27scan_by_key_config_selectorIj11FixedVectorIiLj1EEEEZZNS1_16scan_by_key_implILNS1_25lookback_scan_determinismE0ELb1ES3_N6thrust23THRUST_200600_302600_NS6detail15normal_iteratorINSB_10device_ptrIjEEEENSD_INSE_IS6_EEEESI_S6_NSB_4plusIvEENSB_8equal_toIvEES6_EE10hipError_tPvRmT2_T3_T4_T5_mT6_T7_P12ihipStream_tbENKUlT_T0_E_clISt17integral_constantIbLb0EES13_EEDaSY_SZ_EUlSY_E_NS1_11comp_targetILNS1_3genE10ELNS1_11target_archE1201ELNS1_3gpuE5ELNS1_3repE0EEENS1_30default_config_static_selectorELNS0_4arch9wavefront6targetE1EEEvT1_
    .private_segment_fixed_size: 0
    .sgpr_count:     4
    .sgpr_spill_count: 0
    .symbol:         _ZN7rocprim17ROCPRIM_400000_NS6detail17trampoline_kernelINS0_14default_configENS1_27scan_by_key_config_selectorIj11FixedVectorIiLj1EEEEZZNS1_16scan_by_key_implILNS1_25lookback_scan_determinismE0ELb1ES3_N6thrust23THRUST_200600_302600_NS6detail15normal_iteratorINSB_10device_ptrIjEEEENSD_INSE_IS6_EEEESI_S6_NSB_4plusIvEENSB_8equal_toIvEES6_EE10hipError_tPvRmT2_T3_T4_T5_mT6_T7_P12ihipStream_tbENKUlT_T0_E_clISt17integral_constantIbLb0EES13_EEDaSY_SZ_EUlSY_E_NS1_11comp_targetILNS1_3genE10ELNS1_11target_archE1201ELNS1_3gpuE5ELNS1_3repE0EEENS1_30default_config_static_selectorELNS0_4arch9wavefront6targetE1EEEvT1_.kd
    .uniform_work_group_size: 1
    .uses_dynamic_stack: false
    .vgpr_count:     0
    .vgpr_spill_count: 0
    .wavefront_size: 64
  - .agpr_count:     0
    .args:
      - .offset:         0
        .size:           112
        .value_kind:     by_value
    .group_segment_fixed_size: 0
    .kernarg_segment_align: 8
    .kernarg_segment_size: 112
    .language:       OpenCL C
    .language_version:
      - 2
      - 0
    .max_flat_workgroup_size: 256
    .name:           _ZN7rocprim17ROCPRIM_400000_NS6detail17trampoline_kernelINS0_14default_configENS1_27scan_by_key_config_selectorIj11FixedVectorIiLj1EEEEZZNS1_16scan_by_key_implILNS1_25lookback_scan_determinismE0ELb1ES3_N6thrust23THRUST_200600_302600_NS6detail15normal_iteratorINSB_10device_ptrIjEEEENSD_INSE_IS6_EEEESI_S6_NSB_4plusIvEENSB_8equal_toIvEES6_EE10hipError_tPvRmT2_T3_T4_T5_mT6_T7_P12ihipStream_tbENKUlT_T0_E_clISt17integral_constantIbLb0EES13_EEDaSY_SZ_EUlSY_E_NS1_11comp_targetILNS1_3genE5ELNS1_11target_archE942ELNS1_3gpuE9ELNS1_3repE0EEENS1_30default_config_static_selectorELNS0_4arch9wavefront6targetE1EEEvT1_
    .private_segment_fixed_size: 0
    .sgpr_count:     4
    .sgpr_spill_count: 0
    .symbol:         _ZN7rocprim17ROCPRIM_400000_NS6detail17trampoline_kernelINS0_14default_configENS1_27scan_by_key_config_selectorIj11FixedVectorIiLj1EEEEZZNS1_16scan_by_key_implILNS1_25lookback_scan_determinismE0ELb1ES3_N6thrust23THRUST_200600_302600_NS6detail15normal_iteratorINSB_10device_ptrIjEEEENSD_INSE_IS6_EEEESI_S6_NSB_4plusIvEENSB_8equal_toIvEES6_EE10hipError_tPvRmT2_T3_T4_T5_mT6_T7_P12ihipStream_tbENKUlT_T0_E_clISt17integral_constantIbLb0EES13_EEDaSY_SZ_EUlSY_E_NS1_11comp_targetILNS1_3genE5ELNS1_11target_archE942ELNS1_3gpuE9ELNS1_3repE0EEENS1_30default_config_static_selectorELNS0_4arch9wavefront6targetE1EEEvT1_.kd
    .uniform_work_group_size: 1
    .uses_dynamic_stack: false
    .vgpr_count:     0
    .vgpr_spill_count: 0
    .wavefront_size: 64
  - .agpr_count:     0
    .args:
      - .offset:         0
        .size:           112
        .value_kind:     by_value
    .group_segment_fixed_size: 16384
    .kernarg_segment_align: 8
    .kernarg_segment_size: 112
    .language:       OpenCL C
    .language_version:
      - 2
      - 0
    .max_flat_workgroup_size: 256
    .name:           _ZN7rocprim17ROCPRIM_400000_NS6detail17trampoline_kernelINS0_14default_configENS1_27scan_by_key_config_selectorIj11FixedVectorIiLj1EEEEZZNS1_16scan_by_key_implILNS1_25lookback_scan_determinismE0ELb1ES3_N6thrust23THRUST_200600_302600_NS6detail15normal_iteratorINSB_10device_ptrIjEEEENSD_INSE_IS6_EEEESI_S6_NSB_4plusIvEENSB_8equal_toIvEES6_EE10hipError_tPvRmT2_T3_T4_T5_mT6_T7_P12ihipStream_tbENKUlT_T0_E_clISt17integral_constantIbLb0EES13_EEDaSY_SZ_EUlSY_E_NS1_11comp_targetILNS1_3genE4ELNS1_11target_archE910ELNS1_3gpuE8ELNS1_3repE0EEENS1_30default_config_static_selectorELNS0_4arch9wavefront6targetE1EEEvT1_
    .private_segment_fixed_size: 0
    .sgpr_count:     64
    .sgpr_spill_count: 0
    .symbol:         _ZN7rocprim17ROCPRIM_400000_NS6detail17trampoline_kernelINS0_14default_configENS1_27scan_by_key_config_selectorIj11FixedVectorIiLj1EEEEZZNS1_16scan_by_key_implILNS1_25lookback_scan_determinismE0ELb1ES3_N6thrust23THRUST_200600_302600_NS6detail15normal_iteratorINSB_10device_ptrIjEEEENSD_INSE_IS6_EEEESI_S6_NSB_4plusIvEENSB_8equal_toIvEES6_EE10hipError_tPvRmT2_T3_T4_T5_mT6_T7_P12ihipStream_tbENKUlT_T0_E_clISt17integral_constantIbLb0EES13_EEDaSY_SZ_EUlSY_E_NS1_11comp_targetILNS1_3genE4ELNS1_11target_archE910ELNS1_3gpuE8ELNS1_3repE0EEENS1_30default_config_static_selectorELNS0_4arch9wavefront6targetE1EEEvT1_.kd
    .uniform_work_group_size: 1
    .uses_dynamic_stack: false
    .vgpr_count:     65
    .vgpr_spill_count: 0
    .wavefront_size: 64
  - .agpr_count:     0
    .args:
      - .offset:         0
        .size:           112
        .value_kind:     by_value
    .group_segment_fixed_size: 0
    .kernarg_segment_align: 8
    .kernarg_segment_size: 112
    .language:       OpenCL C
    .language_version:
      - 2
      - 0
    .max_flat_workgroup_size: 256
    .name:           _ZN7rocprim17ROCPRIM_400000_NS6detail17trampoline_kernelINS0_14default_configENS1_27scan_by_key_config_selectorIj11FixedVectorIiLj1EEEEZZNS1_16scan_by_key_implILNS1_25lookback_scan_determinismE0ELb1ES3_N6thrust23THRUST_200600_302600_NS6detail15normal_iteratorINSB_10device_ptrIjEEEENSD_INSE_IS6_EEEESI_S6_NSB_4plusIvEENSB_8equal_toIvEES6_EE10hipError_tPvRmT2_T3_T4_T5_mT6_T7_P12ihipStream_tbENKUlT_T0_E_clISt17integral_constantIbLb0EES13_EEDaSY_SZ_EUlSY_E_NS1_11comp_targetILNS1_3genE3ELNS1_11target_archE908ELNS1_3gpuE7ELNS1_3repE0EEENS1_30default_config_static_selectorELNS0_4arch9wavefront6targetE1EEEvT1_
    .private_segment_fixed_size: 0
    .sgpr_count:     4
    .sgpr_spill_count: 0
    .symbol:         _ZN7rocprim17ROCPRIM_400000_NS6detail17trampoline_kernelINS0_14default_configENS1_27scan_by_key_config_selectorIj11FixedVectorIiLj1EEEEZZNS1_16scan_by_key_implILNS1_25lookback_scan_determinismE0ELb1ES3_N6thrust23THRUST_200600_302600_NS6detail15normal_iteratorINSB_10device_ptrIjEEEENSD_INSE_IS6_EEEESI_S6_NSB_4plusIvEENSB_8equal_toIvEES6_EE10hipError_tPvRmT2_T3_T4_T5_mT6_T7_P12ihipStream_tbENKUlT_T0_E_clISt17integral_constantIbLb0EES13_EEDaSY_SZ_EUlSY_E_NS1_11comp_targetILNS1_3genE3ELNS1_11target_archE908ELNS1_3gpuE7ELNS1_3repE0EEENS1_30default_config_static_selectorELNS0_4arch9wavefront6targetE1EEEvT1_.kd
    .uniform_work_group_size: 1
    .uses_dynamic_stack: false
    .vgpr_count:     0
    .vgpr_spill_count: 0
    .wavefront_size: 64
  - .agpr_count:     0
    .args:
      - .offset:         0
        .size:           112
        .value_kind:     by_value
    .group_segment_fixed_size: 0
    .kernarg_segment_align: 8
    .kernarg_segment_size: 112
    .language:       OpenCL C
    .language_version:
      - 2
      - 0
    .max_flat_workgroup_size: 256
    .name:           _ZN7rocprim17ROCPRIM_400000_NS6detail17trampoline_kernelINS0_14default_configENS1_27scan_by_key_config_selectorIj11FixedVectorIiLj1EEEEZZNS1_16scan_by_key_implILNS1_25lookback_scan_determinismE0ELb1ES3_N6thrust23THRUST_200600_302600_NS6detail15normal_iteratorINSB_10device_ptrIjEEEENSD_INSE_IS6_EEEESI_S6_NSB_4plusIvEENSB_8equal_toIvEES6_EE10hipError_tPvRmT2_T3_T4_T5_mT6_T7_P12ihipStream_tbENKUlT_T0_E_clISt17integral_constantIbLb0EES13_EEDaSY_SZ_EUlSY_E_NS1_11comp_targetILNS1_3genE2ELNS1_11target_archE906ELNS1_3gpuE6ELNS1_3repE0EEENS1_30default_config_static_selectorELNS0_4arch9wavefront6targetE1EEEvT1_
    .private_segment_fixed_size: 0
    .sgpr_count:     4
    .sgpr_spill_count: 0
    .symbol:         _ZN7rocprim17ROCPRIM_400000_NS6detail17trampoline_kernelINS0_14default_configENS1_27scan_by_key_config_selectorIj11FixedVectorIiLj1EEEEZZNS1_16scan_by_key_implILNS1_25lookback_scan_determinismE0ELb1ES3_N6thrust23THRUST_200600_302600_NS6detail15normal_iteratorINSB_10device_ptrIjEEEENSD_INSE_IS6_EEEESI_S6_NSB_4plusIvEENSB_8equal_toIvEES6_EE10hipError_tPvRmT2_T3_T4_T5_mT6_T7_P12ihipStream_tbENKUlT_T0_E_clISt17integral_constantIbLb0EES13_EEDaSY_SZ_EUlSY_E_NS1_11comp_targetILNS1_3genE2ELNS1_11target_archE906ELNS1_3gpuE6ELNS1_3repE0EEENS1_30default_config_static_selectorELNS0_4arch9wavefront6targetE1EEEvT1_.kd
    .uniform_work_group_size: 1
    .uses_dynamic_stack: false
    .vgpr_count:     0
    .vgpr_spill_count: 0
    .wavefront_size: 64
  - .agpr_count:     0
    .args:
      - .offset:         0
        .size:           112
        .value_kind:     by_value
    .group_segment_fixed_size: 0
    .kernarg_segment_align: 8
    .kernarg_segment_size: 112
    .language:       OpenCL C
    .language_version:
      - 2
      - 0
    .max_flat_workgroup_size: 256
    .name:           _ZN7rocprim17ROCPRIM_400000_NS6detail17trampoline_kernelINS0_14default_configENS1_27scan_by_key_config_selectorIj11FixedVectorIiLj1EEEEZZNS1_16scan_by_key_implILNS1_25lookback_scan_determinismE0ELb1ES3_N6thrust23THRUST_200600_302600_NS6detail15normal_iteratorINSB_10device_ptrIjEEEENSD_INSE_IS6_EEEESI_S6_NSB_4plusIvEENSB_8equal_toIvEES6_EE10hipError_tPvRmT2_T3_T4_T5_mT6_T7_P12ihipStream_tbENKUlT_T0_E_clISt17integral_constantIbLb0EES13_EEDaSY_SZ_EUlSY_E_NS1_11comp_targetILNS1_3genE10ELNS1_11target_archE1200ELNS1_3gpuE4ELNS1_3repE0EEENS1_30default_config_static_selectorELNS0_4arch9wavefront6targetE1EEEvT1_
    .private_segment_fixed_size: 0
    .sgpr_count:     4
    .sgpr_spill_count: 0
    .symbol:         _ZN7rocprim17ROCPRIM_400000_NS6detail17trampoline_kernelINS0_14default_configENS1_27scan_by_key_config_selectorIj11FixedVectorIiLj1EEEEZZNS1_16scan_by_key_implILNS1_25lookback_scan_determinismE0ELb1ES3_N6thrust23THRUST_200600_302600_NS6detail15normal_iteratorINSB_10device_ptrIjEEEENSD_INSE_IS6_EEEESI_S6_NSB_4plusIvEENSB_8equal_toIvEES6_EE10hipError_tPvRmT2_T3_T4_T5_mT6_T7_P12ihipStream_tbENKUlT_T0_E_clISt17integral_constantIbLb0EES13_EEDaSY_SZ_EUlSY_E_NS1_11comp_targetILNS1_3genE10ELNS1_11target_archE1200ELNS1_3gpuE4ELNS1_3repE0EEENS1_30default_config_static_selectorELNS0_4arch9wavefront6targetE1EEEvT1_.kd
    .uniform_work_group_size: 1
    .uses_dynamic_stack: false
    .vgpr_count:     0
    .vgpr_spill_count: 0
    .wavefront_size: 64
  - .agpr_count:     0
    .args:
      - .offset:         0
        .size:           112
        .value_kind:     by_value
    .group_segment_fixed_size: 0
    .kernarg_segment_align: 8
    .kernarg_segment_size: 112
    .language:       OpenCL C
    .language_version:
      - 2
      - 0
    .max_flat_workgroup_size: 256
    .name:           _ZN7rocprim17ROCPRIM_400000_NS6detail17trampoline_kernelINS0_14default_configENS1_27scan_by_key_config_selectorIj11FixedVectorIiLj1EEEEZZNS1_16scan_by_key_implILNS1_25lookback_scan_determinismE0ELb1ES3_N6thrust23THRUST_200600_302600_NS6detail15normal_iteratorINSB_10device_ptrIjEEEENSD_INSE_IS6_EEEESI_S6_NSB_4plusIvEENSB_8equal_toIvEES6_EE10hipError_tPvRmT2_T3_T4_T5_mT6_T7_P12ihipStream_tbENKUlT_T0_E_clISt17integral_constantIbLb0EES13_EEDaSY_SZ_EUlSY_E_NS1_11comp_targetILNS1_3genE9ELNS1_11target_archE1100ELNS1_3gpuE3ELNS1_3repE0EEENS1_30default_config_static_selectorELNS0_4arch9wavefront6targetE1EEEvT1_
    .private_segment_fixed_size: 0
    .sgpr_count:     4
    .sgpr_spill_count: 0
    .symbol:         _ZN7rocprim17ROCPRIM_400000_NS6detail17trampoline_kernelINS0_14default_configENS1_27scan_by_key_config_selectorIj11FixedVectorIiLj1EEEEZZNS1_16scan_by_key_implILNS1_25lookback_scan_determinismE0ELb1ES3_N6thrust23THRUST_200600_302600_NS6detail15normal_iteratorINSB_10device_ptrIjEEEENSD_INSE_IS6_EEEESI_S6_NSB_4plusIvEENSB_8equal_toIvEES6_EE10hipError_tPvRmT2_T3_T4_T5_mT6_T7_P12ihipStream_tbENKUlT_T0_E_clISt17integral_constantIbLb0EES13_EEDaSY_SZ_EUlSY_E_NS1_11comp_targetILNS1_3genE9ELNS1_11target_archE1100ELNS1_3gpuE3ELNS1_3repE0EEENS1_30default_config_static_selectorELNS0_4arch9wavefront6targetE1EEEvT1_.kd
    .uniform_work_group_size: 1
    .uses_dynamic_stack: false
    .vgpr_count:     0
    .vgpr_spill_count: 0
    .wavefront_size: 64
  - .agpr_count:     0
    .args:
      - .offset:         0
        .size:           112
        .value_kind:     by_value
    .group_segment_fixed_size: 0
    .kernarg_segment_align: 8
    .kernarg_segment_size: 112
    .language:       OpenCL C
    .language_version:
      - 2
      - 0
    .max_flat_workgroup_size: 256
    .name:           _ZN7rocprim17ROCPRIM_400000_NS6detail17trampoline_kernelINS0_14default_configENS1_27scan_by_key_config_selectorIj11FixedVectorIiLj1EEEEZZNS1_16scan_by_key_implILNS1_25lookback_scan_determinismE0ELb1ES3_N6thrust23THRUST_200600_302600_NS6detail15normal_iteratorINSB_10device_ptrIjEEEENSD_INSE_IS6_EEEESI_S6_NSB_4plusIvEENSB_8equal_toIvEES6_EE10hipError_tPvRmT2_T3_T4_T5_mT6_T7_P12ihipStream_tbENKUlT_T0_E_clISt17integral_constantIbLb0EES13_EEDaSY_SZ_EUlSY_E_NS1_11comp_targetILNS1_3genE8ELNS1_11target_archE1030ELNS1_3gpuE2ELNS1_3repE0EEENS1_30default_config_static_selectorELNS0_4arch9wavefront6targetE1EEEvT1_
    .private_segment_fixed_size: 0
    .sgpr_count:     4
    .sgpr_spill_count: 0
    .symbol:         _ZN7rocprim17ROCPRIM_400000_NS6detail17trampoline_kernelINS0_14default_configENS1_27scan_by_key_config_selectorIj11FixedVectorIiLj1EEEEZZNS1_16scan_by_key_implILNS1_25lookback_scan_determinismE0ELb1ES3_N6thrust23THRUST_200600_302600_NS6detail15normal_iteratorINSB_10device_ptrIjEEEENSD_INSE_IS6_EEEESI_S6_NSB_4plusIvEENSB_8equal_toIvEES6_EE10hipError_tPvRmT2_T3_T4_T5_mT6_T7_P12ihipStream_tbENKUlT_T0_E_clISt17integral_constantIbLb0EES13_EEDaSY_SZ_EUlSY_E_NS1_11comp_targetILNS1_3genE8ELNS1_11target_archE1030ELNS1_3gpuE2ELNS1_3repE0EEENS1_30default_config_static_selectorELNS0_4arch9wavefront6targetE1EEEvT1_.kd
    .uniform_work_group_size: 1
    .uses_dynamic_stack: false
    .vgpr_count:     0
    .vgpr_spill_count: 0
    .wavefront_size: 64
  - .agpr_count:     0
    .args:
      - .offset:         0
        .size:           112
        .value_kind:     by_value
    .group_segment_fixed_size: 0
    .kernarg_segment_align: 8
    .kernarg_segment_size: 112
    .language:       OpenCL C
    .language_version:
      - 2
      - 0
    .max_flat_workgroup_size: 256
    .name:           _ZN7rocprim17ROCPRIM_400000_NS6detail17trampoline_kernelINS0_14default_configENS1_27scan_by_key_config_selectorIj11FixedVectorIiLj1EEEEZZNS1_16scan_by_key_implILNS1_25lookback_scan_determinismE0ELb1ES3_N6thrust23THRUST_200600_302600_NS6detail15normal_iteratorINSB_10device_ptrIjEEEENSD_INSE_IS6_EEEESI_S6_NSB_4plusIvEENSB_8equal_toIvEES6_EE10hipError_tPvRmT2_T3_T4_T5_mT6_T7_P12ihipStream_tbENKUlT_T0_E_clISt17integral_constantIbLb1EES13_EEDaSY_SZ_EUlSY_E_NS1_11comp_targetILNS1_3genE0ELNS1_11target_archE4294967295ELNS1_3gpuE0ELNS1_3repE0EEENS1_30default_config_static_selectorELNS0_4arch9wavefront6targetE1EEEvT1_
    .private_segment_fixed_size: 0
    .sgpr_count:     4
    .sgpr_spill_count: 0
    .symbol:         _ZN7rocprim17ROCPRIM_400000_NS6detail17trampoline_kernelINS0_14default_configENS1_27scan_by_key_config_selectorIj11FixedVectorIiLj1EEEEZZNS1_16scan_by_key_implILNS1_25lookback_scan_determinismE0ELb1ES3_N6thrust23THRUST_200600_302600_NS6detail15normal_iteratorINSB_10device_ptrIjEEEENSD_INSE_IS6_EEEESI_S6_NSB_4plusIvEENSB_8equal_toIvEES6_EE10hipError_tPvRmT2_T3_T4_T5_mT6_T7_P12ihipStream_tbENKUlT_T0_E_clISt17integral_constantIbLb1EES13_EEDaSY_SZ_EUlSY_E_NS1_11comp_targetILNS1_3genE0ELNS1_11target_archE4294967295ELNS1_3gpuE0ELNS1_3repE0EEENS1_30default_config_static_selectorELNS0_4arch9wavefront6targetE1EEEvT1_.kd
    .uniform_work_group_size: 1
    .uses_dynamic_stack: false
    .vgpr_count:     0
    .vgpr_spill_count: 0
    .wavefront_size: 64
  - .agpr_count:     0
    .args:
      - .offset:         0
        .size:           112
        .value_kind:     by_value
    .group_segment_fixed_size: 0
    .kernarg_segment_align: 8
    .kernarg_segment_size: 112
    .language:       OpenCL C
    .language_version:
      - 2
      - 0
    .max_flat_workgroup_size: 256
    .name:           _ZN7rocprim17ROCPRIM_400000_NS6detail17trampoline_kernelINS0_14default_configENS1_27scan_by_key_config_selectorIj11FixedVectorIiLj1EEEEZZNS1_16scan_by_key_implILNS1_25lookback_scan_determinismE0ELb1ES3_N6thrust23THRUST_200600_302600_NS6detail15normal_iteratorINSB_10device_ptrIjEEEENSD_INSE_IS6_EEEESI_S6_NSB_4plusIvEENSB_8equal_toIvEES6_EE10hipError_tPvRmT2_T3_T4_T5_mT6_T7_P12ihipStream_tbENKUlT_T0_E_clISt17integral_constantIbLb1EES13_EEDaSY_SZ_EUlSY_E_NS1_11comp_targetILNS1_3genE10ELNS1_11target_archE1201ELNS1_3gpuE5ELNS1_3repE0EEENS1_30default_config_static_selectorELNS0_4arch9wavefront6targetE1EEEvT1_
    .private_segment_fixed_size: 0
    .sgpr_count:     4
    .sgpr_spill_count: 0
    .symbol:         _ZN7rocprim17ROCPRIM_400000_NS6detail17trampoline_kernelINS0_14default_configENS1_27scan_by_key_config_selectorIj11FixedVectorIiLj1EEEEZZNS1_16scan_by_key_implILNS1_25lookback_scan_determinismE0ELb1ES3_N6thrust23THRUST_200600_302600_NS6detail15normal_iteratorINSB_10device_ptrIjEEEENSD_INSE_IS6_EEEESI_S6_NSB_4plusIvEENSB_8equal_toIvEES6_EE10hipError_tPvRmT2_T3_T4_T5_mT6_T7_P12ihipStream_tbENKUlT_T0_E_clISt17integral_constantIbLb1EES13_EEDaSY_SZ_EUlSY_E_NS1_11comp_targetILNS1_3genE10ELNS1_11target_archE1201ELNS1_3gpuE5ELNS1_3repE0EEENS1_30default_config_static_selectorELNS0_4arch9wavefront6targetE1EEEvT1_.kd
    .uniform_work_group_size: 1
    .uses_dynamic_stack: false
    .vgpr_count:     0
    .vgpr_spill_count: 0
    .wavefront_size: 64
  - .agpr_count:     0
    .args:
      - .offset:         0
        .size:           112
        .value_kind:     by_value
    .group_segment_fixed_size: 0
    .kernarg_segment_align: 8
    .kernarg_segment_size: 112
    .language:       OpenCL C
    .language_version:
      - 2
      - 0
    .max_flat_workgroup_size: 256
    .name:           _ZN7rocprim17ROCPRIM_400000_NS6detail17trampoline_kernelINS0_14default_configENS1_27scan_by_key_config_selectorIj11FixedVectorIiLj1EEEEZZNS1_16scan_by_key_implILNS1_25lookback_scan_determinismE0ELb1ES3_N6thrust23THRUST_200600_302600_NS6detail15normal_iteratorINSB_10device_ptrIjEEEENSD_INSE_IS6_EEEESI_S6_NSB_4plusIvEENSB_8equal_toIvEES6_EE10hipError_tPvRmT2_T3_T4_T5_mT6_T7_P12ihipStream_tbENKUlT_T0_E_clISt17integral_constantIbLb1EES13_EEDaSY_SZ_EUlSY_E_NS1_11comp_targetILNS1_3genE5ELNS1_11target_archE942ELNS1_3gpuE9ELNS1_3repE0EEENS1_30default_config_static_selectorELNS0_4arch9wavefront6targetE1EEEvT1_
    .private_segment_fixed_size: 0
    .sgpr_count:     4
    .sgpr_spill_count: 0
    .symbol:         _ZN7rocprim17ROCPRIM_400000_NS6detail17trampoline_kernelINS0_14default_configENS1_27scan_by_key_config_selectorIj11FixedVectorIiLj1EEEEZZNS1_16scan_by_key_implILNS1_25lookback_scan_determinismE0ELb1ES3_N6thrust23THRUST_200600_302600_NS6detail15normal_iteratorINSB_10device_ptrIjEEEENSD_INSE_IS6_EEEESI_S6_NSB_4plusIvEENSB_8equal_toIvEES6_EE10hipError_tPvRmT2_T3_T4_T5_mT6_T7_P12ihipStream_tbENKUlT_T0_E_clISt17integral_constantIbLb1EES13_EEDaSY_SZ_EUlSY_E_NS1_11comp_targetILNS1_3genE5ELNS1_11target_archE942ELNS1_3gpuE9ELNS1_3repE0EEENS1_30default_config_static_selectorELNS0_4arch9wavefront6targetE1EEEvT1_.kd
    .uniform_work_group_size: 1
    .uses_dynamic_stack: false
    .vgpr_count:     0
    .vgpr_spill_count: 0
    .wavefront_size: 64
  - .agpr_count:     0
    .args:
      - .offset:         0
        .size:           112
        .value_kind:     by_value
    .group_segment_fixed_size: 16384
    .kernarg_segment_align: 8
    .kernarg_segment_size: 112
    .language:       OpenCL C
    .language_version:
      - 2
      - 0
    .max_flat_workgroup_size: 256
    .name:           _ZN7rocprim17ROCPRIM_400000_NS6detail17trampoline_kernelINS0_14default_configENS1_27scan_by_key_config_selectorIj11FixedVectorIiLj1EEEEZZNS1_16scan_by_key_implILNS1_25lookback_scan_determinismE0ELb1ES3_N6thrust23THRUST_200600_302600_NS6detail15normal_iteratorINSB_10device_ptrIjEEEENSD_INSE_IS6_EEEESI_S6_NSB_4plusIvEENSB_8equal_toIvEES6_EE10hipError_tPvRmT2_T3_T4_T5_mT6_T7_P12ihipStream_tbENKUlT_T0_E_clISt17integral_constantIbLb1EES13_EEDaSY_SZ_EUlSY_E_NS1_11comp_targetILNS1_3genE4ELNS1_11target_archE910ELNS1_3gpuE8ELNS1_3repE0EEENS1_30default_config_static_selectorELNS0_4arch9wavefront6targetE1EEEvT1_
    .private_segment_fixed_size: 0
    .sgpr_count:     64
    .sgpr_spill_count: 0
    .symbol:         _ZN7rocprim17ROCPRIM_400000_NS6detail17trampoline_kernelINS0_14default_configENS1_27scan_by_key_config_selectorIj11FixedVectorIiLj1EEEEZZNS1_16scan_by_key_implILNS1_25lookback_scan_determinismE0ELb1ES3_N6thrust23THRUST_200600_302600_NS6detail15normal_iteratorINSB_10device_ptrIjEEEENSD_INSE_IS6_EEEESI_S6_NSB_4plusIvEENSB_8equal_toIvEES6_EE10hipError_tPvRmT2_T3_T4_T5_mT6_T7_P12ihipStream_tbENKUlT_T0_E_clISt17integral_constantIbLb1EES13_EEDaSY_SZ_EUlSY_E_NS1_11comp_targetILNS1_3genE4ELNS1_11target_archE910ELNS1_3gpuE8ELNS1_3repE0EEENS1_30default_config_static_selectorELNS0_4arch9wavefront6targetE1EEEvT1_.kd
    .uniform_work_group_size: 1
    .uses_dynamic_stack: false
    .vgpr_count:     67
    .vgpr_spill_count: 0
    .wavefront_size: 64
  - .agpr_count:     0
    .args:
      - .offset:         0
        .size:           112
        .value_kind:     by_value
    .group_segment_fixed_size: 0
    .kernarg_segment_align: 8
    .kernarg_segment_size: 112
    .language:       OpenCL C
    .language_version:
      - 2
      - 0
    .max_flat_workgroup_size: 256
    .name:           _ZN7rocprim17ROCPRIM_400000_NS6detail17trampoline_kernelINS0_14default_configENS1_27scan_by_key_config_selectorIj11FixedVectorIiLj1EEEEZZNS1_16scan_by_key_implILNS1_25lookback_scan_determinismE0ELb1ES3_N6thrust23THRUST_200600_302600_NS6detail15normal_iteratorINSB_10device_ptrIjEEEENSD_INSE_IS6_EEEESI_S6_NSB_4plusIvEENSB_8equal_toIvEES6_EE10hipError_tPvRmT2_T3_T4_T5_mT6_T7_P12ihipStream_tbENKUlT_T0_E_clISt17integral_constantIbLb1EES13_EEDaSY_SZ_EUlSY_E_NS1_11comp_targetILNS1_3genE3ELNS1_11target_archE908ELNS1_3gpuE7ELNS1_3repE0EEENS1_30default_config_static_selectorELNS0_4arch9wavefront6targetE1EEEvT1_
    .private_segment_fixed_size: 0
    .sgpr_count:     4
    .sgpr_spill_count: 0
    .symbol:         _ZN7rocprim17ROCPRIM_400000_NS6detail17trampoline_kernelINS0_14default_configENS1_27scan_by_key_config_selectorIj11FixedVectorIiLj1EEEEZZNS1_16scan_by_key_implILNS1_25lookback_scan_determinismE0ELb1ES3_N6thrust23THRUST_200600_302600_NS6detail15normal_iteratorINSB_10device_ptrIjEEEENSD_INSE_IS6_EEEESI_S6_NSB_4plusIvEENSB_8equal_toIvEES6_EE10hipError_tPvRmT2_T3_T4_T5_mT6_T7_P12ihipStream_tbENKUlT_T0_E_clISt17integral_constantIbLb1EES13_EEDaSY_SZ_EUlSY_E_NS1_11comp_targetILNS1_3genE3ELNS1_11target_archE908ELNS1_3gpuE7ELNS1_3repE0EEENS1_30default_config_static_selectorELNS0_4arch9wavefront6targetE1EEEvT1_.kd
    .uniform_work_group_size: 1
    .uses_dynamic_stack: false
    .vgpr_count:     0
    .vgpr_spill_count: 0
    .wavefront_size: 64
  - .agpr_count:     0
    .args:
      - .offset:         0
        .size:           112
        .value_kind:     by_value
    .group_segment_fixed_size: 0
    .kernarg_segment_align: 8
    .kernarg_segment_size: 112
    .language:       OpenCL C
    .language_version:
      - 2
      - 0
    .max_flat_workgroup_size: 256
    .name:           _ZN7rocprim17ROCPRIM_400000_NS6detail17trampoline_kernelINS0_14default_configENS1_27scan_by_key_config_selectorIj11FixedVectorIiLj1EEEEZZNS1_16scan_by_key_implILNS1_25lookback_scan_determinismE0ELb1ES3_N6thrust23THRUST_200600_302600_NS6detail15normal_iteratorINSB_10device_ptrIjEEEENSD_INSE_IS6_EEEESI_S6_NSB_4plusIvEENSB_8equal_toIvEES6_EE10hipError_tPvRmT2_T3_T4_T5_mT6_T7_P12ihipStream_tbENKUlT_T0_E_clISt17integral_constantIbLb1EES13_EEDaSY_SZ_EUlSY_E_NS1_11comp_targetILNS1_3genE2ELNS1_11target_archE906ELNS1_3gpuE6ELNS1_3repE0EEENS1_30default_config_static_selectorELNS0_4arch9wavefront6targetE1EEEvT1_
    .private_segment_fixed_size: 0
    .sgpr_count:     4
    .sgpr_spill_count: 0
    .symbol:         _ZN7rocprim17ROCPRIM_400000_NS6detail17trampoline_kernelINS0_14default_configENS1_27scan_by_key_config_selectorIj11FixedVectorIiLj1EEEEZZNS1_16scan_by_key_implILNS1_25lookback_scan_determinismE0ELb1ES3_N6thrust23THRUST_200600_302600_NS6detail15normal_iteratorINSB_10device_ptrIjEEEENSD_INSE_IS6_EEEESI_S6_NSB_4plusIvEENSB_8equal_toIvEES6_EE10hipError_tPvRmT2_T3_T4_T5_mT6_T7_P12ihipStream_tbENKUlT_T0_E_clISt17integral_constantIbLb1EES13_EEDaSY_SZ_EUlSY_E_NS1_11comp_targetILNS1_3genE2ELNS1_11target_archE906ELNS1_3gpuE6ELNS1_3repE0EEENS1_30default_config_static_selectorELNS0_4arch9wavefront6targetE1EEEvT1_.kd
    .uniform_work_group_size: 1
    .uses_dynamic_stack: false
    .vgpr_count:     0
    .vgpr_spill_count: 0
    .wavefront_size: 64
  - .agpr_count:     0
    .args:
      - .offset:         0
        .size:           112
        .value_kind:     by_value
    .group_segment_fixed_size: 0
    .kernarg_segment_align: 8
    .kernarg_segment_size: 112
    .language:       OpenCL C
    .language_version:
      - 2
      - 0
    .max_flat_workgroup_size: 256
    .name:           _ZN7rocprim17ROCPRIM_400000_NS6detail17trampoline_kernelINS0_14default_configENS1_27scan_by_key_config_selectorIj11FixedVectorIiLj1EEEEZZNS1_16scan_by_key_implILNS1_25lookback_scan_determinismE0ELb1ES3_N6thrust23THRUST_200600_302600_NS6detail15normal_iteratorINSB_10device_ptrIjEEEENSD_INSE_IS6_EEEESI_S6_NSB_4plusIvEENSB_8equal_toIvEES6_EE10hipError_tPvRmT2_T3_T4_T5_mT6_T7_P12ihipStream_tbENKUlT_T0_E_clISt17integral_constantIbLb1EES13_EEDaSY_SZ_EUlSY_E_NS1_11comp_targetILNS1_3genE10ELNS1_11target_archE1200ELNS1_3gpuE4ELNS1_3repE0EEENS1_30default_config_static_selectorELNS0_4arch9wavefront6targetE1EEEvT1_
    .private_segment_fixed_size: 0
    .sgpr_count:     4
    .sgpr_spill_count: 0
    .symbol:         _ZN7rocprim17ROCPRIM_400000_NS6detail17trampoline_kernelINS0_14default_configENS1_27scan_by_key_config_selectorIj11FixedVectorIiLj1EEEEZZNS1_16scan_by_key_implILNS1_25lookback_scan_determinismE0ELb1ES3_N6thrust23THRUST_200600_302600_NS6detail15normal_iteratorINSB_10device_ptrIjEEEENSD_INSE_IS6_EEEESI_S6_NSB_4plusIvEENSB_8equal_toIvEES6_EE10hipError_tPvRmT2_T3_T4_T5_mT6_T7_P12ihipStream_tbENKUlT_T0_E_clISt17integral_constantIbLb1EES13_EEDaSY_SZ_EUlSY_E_NS1_11comp_targetILNS1_3genE10ELNS1_11target_archE1200ELNS1_3gpuE4ELNS1_3repE0EEENS1_30default_config_static_selectorELNS0_4arch9wavefront6targetE1EEEvT1_.kd
    .uniform_work_group_size: 1
    .uses_dynamic_stack: false
    .vgpr_count:     0
    .vgpr_spill_count: 0
    .wavefront_size: 64
  - .agpr_count:     0
    .args:
      - .offset:         0
        .size:           112
        .value_kind:     by_value
    .group_segment_fixed_size: 0
    .kernarg_segment_align: 8
    .kernarg_segment_size: 112
    .language:       OpenCL C
    .language_version:
      - 2
      - 0
    .max_flat_workgroup_size: 256
    .name:           _ZN7rocprim17ROCPRIM_400000_NS6detail17trampoline_kernelINS0_14default_configENS1_27scan_by_key_config_selectorIj11FixedVectorIiLj1EEEEZZNS1_16scan_by_key_implILNS1_25lookback_scan_determinismE0ELb1ES3_N6thrust23THRUST_200600_302600_NS6detail15normal_iteratorINSB_10device_ptrIjEEEENSD_INSE_IS6_EEEESI_S6_NSB_4plusIvEENSB_8equal_toIvEES6_EE10hipError_tPvRmT2_T3_T4_T5_mT6_T7_P12ihipStream_tbENKUlT_T0_E_clISt17integral_constantIbLb1EES13_EEDaSY_SZ_EUlSY_E_NS1_11comp_targetILNS1_3genE9ELNS1_11target_archE1100ELNS1_3gpuE3ELNS1_3repE0EEENS1_30default_config_static_selectorELNS0_4arch9wavefront6targetE1EEEvT1_
    .private_segment_fixed_size: 0
    .sgpr_count:     4
    .sgpr_spill_count: 0
    .symbol:         _ZN7rocprim17ROCPRIM_400000_NS6detail17trampoline_kernelINS0_14default_configENS1_27scan_by_key_config_selectorIj11FixedVectorIiLj1EEEEZZNS1_16scan_by_key_implILNS1_25lookback_scan_determinismE0ELb1ES3_N6thrust23THRUST_200600_302600_NS6detail15normal_iteratorINSB_10device_ptrIjEEEENSD_INSE_IS6_EEEESI_S6_NSB_4plusIvEENSB_8equal_toIvEES6_EE10hipError_tPvRmT2_T3_T4_T5_mT6_T7_P12ihipStream_tbENKUlT_T0_E_clISt17integral_constantIbLb1EES13_EEDaSY_SZ_EUlSY_E_NS1_11comp_targetILNS1_3genE9ELNS1_11target_archE1100ELNS1_3gpuE3ELNS1_3repE0EEENS1_30default_config_static_selectorELNS0_4arch9wavefront6targetE1EEEvT1_.kd
    .uniform_work_group_size: 1
    .uses_dynamic_stack: false
    .vgpr_count:     0
    .vgpr_spill_count: 0
    .wavefront_size: 64
  - .agpr_count:     0
    .args:
      - .offset:         0
        .size:           112
        .value_kind:     by_value
    .group_segment_fixed_size: 0
    .kernarg_segment_align: 8
    .kernarg_segment_size: 112
    .language:       OpenCL C
    .language_version:
      - 2
      - 0
    .max_flat_workgroup_size: 256
    .name:           _ZN7rocprim17ROCPRIM_400000_NS6detail17trampoline_kernelINS0_14default_configENS1_27scan_by_key_config_selectorIj11FixedVectorIiLj1EEEEZZNS1_16scan_by_key_implILNS1_25lookback_scan_determinismE0ELb1ES3_N6thrust23THRUST_200600_302600_NS6detail15normal_iteratorINSB_10device_ptrIjEEEENSD_INSE_IS6_EEEESI_S6_NSB_4plusIvEENSB_8equal_toIvEES6_EE10hipError_tPvRmT2_T3_T4_T5_mT6_T7_P12ihipStream_tbENKUlT_T0_E_clISt17integral_constantIbLb1EES13_EEDaSY_SZ_EUlSY_E_NS1_11comp_targetILNS1_3genE8ELNS1_11target_archE1030ELNS1_3gpuE2ELNS1_3repE0EEENS1_30default_config_static_selectorELNS0_4arch9wavefront6targetE1EEEvT1_
    .private_segment_fixed_size: 0
    .sgpr_count:     4
    .sgpr_spill_count: 0
    .symbol:         _ZN7rocprim17ROCPRIM_400000_NS6detail17trampoline_kernelINS0_14default_configENS1_27scan_by_key_config_selectorIj11FixedVectorIiLj1EEEEZZNS1_16scan_by_key_implILNS1_25lookback_scan_determinismE0ELb1ES3_N6thrust23THRUST_200600_302600_NS6detail15normal_iteratorINSB_10device_ptrIjEEEENSD_INSE_IS6_EEEESI_S6_NSB_4plusIvEENSB_8equal_toIvEES6_EE10hipError_tPvRmT2_T3_T4_T5_mT6_T7_P12ihipStream_tbENKUlT_T0_E_clISt17integral_constantIbLb1EES13_EEDaSY_SZ_EUlSY_E_NS1_11comp_targetILNS1_3genE8ELNS1_11target_archE1030ELNS1_3gpuE2ELNS1_3repE0EEENS1_30default_config_static_selectorELNS0_4arch9wavefront6targetE1EEEvT1_.kd
    .uniform_work_group_size: 1
    .uses_dynamic_stack: false
    .vgpr_count:     0
    .vgpr_spill_count: 0
    .wavefront_size: 64
  - .agpr_count:     0
    .args:
      - .offset:         0
        .size:           112
        .value_kind:     by_value
    .group_segment_fixed_size: 0
    .kernarg_segment_align: 8
    .kernarg_segment_size: 112
    .language:       OpenCL C
    .language_version:
      - 2
      - 0
    .max_flat_workgroup_size: 256
    .name:           _ZN7rocprim17ROCPRIM_400000_NS6detail17trampoline_kernelINS0_14default_configENS1_27scan_by_key_config_selectorIj11FixedVectorIiLj1EEEEZZNS1_16scan_by_key_implILNS1_25lookback_scan_determinismE0ELb1ES3_N6thrust23THRUST_200600_302600_NS6detail15normal_iteratorINSB_10device_ptrIjEEEENSD_INSE_IS6_EEEESI_S6_NSB_4plusIvEENSB_8equal_toIvEES6_EE10hipError_tPvRmT2_T3_T4_T5_mT6_T7_P12ihipStream_tbENKUlT_T0_E_clISt17integral_constantIbLb1EES12_IbLb0EEEEDaSY_SZ_EUlSY_E_NS1_11comp_targetILNS1_3genE0ELNS1_11target_archE4294967295ELNS1_3gpuE0ELNS1_3repE0EEENS1_30default_config_static_selectorELNS0_4arch9wavefront6targetE1EEEvT1_
    .private_segment_fixed_size: 0
    .sgpr_count:     4
    .sgpr_spill_count: 0
    .symbol:         _ZN7rocprim17ROCPRIM_400000_NS6detail17trampoline_kernelINS0_14default_configENS1_27scan_by_key_config_selectorIj11FixedVectorIiLj1EEEEZZNS1_16scan_by_key_implILNS1_25lookback_scan_determinismE0ELb1ES3_N6thrust23THRUST_200600_302600_NS6detail15normal_iteratorINSB_10device_ptrIjEEEENSD_INSE_IS6_EEEESI_S6_NSB_4plusIvEENSB_8equal_toIvEES6_EE10hipError_tPvRmT2_T3_T4_T5_mT6_T7_P12ihipStream_tbENKUlT_T0_E_clISt17integral_constantIbLb1EES12_IbLb0EEEEDaSY_SZ_EUlSY_E_NS1_11comp_targetILNS1_3genE0ELNS1_11target_archE4294967295ELNS1_3gpuE0ELNS1_3repE0EEENS1_30default_config_static_selectorELNS0_4arch9wavefront6targetE1EEEvT1_.kd
    .uniform_work_group_size: 1
    .uses_dynamic_stack: false
    .vgpr_count:     0
    .vgpr_spill_count: 0
    .wavefront_size: 64
  - .agpr_count:     0
    .args:
      - .offset:         0
        .size:           112
        .value_kind:     by_value
    .group_segment_fixed_size: 0
    .kernarg_segment_align: 8
    .kernarg_segment_size: 112
    .language:       OpenCL C
    .language_version:
      - 2
      - 0
    .max_flat_workgroup_size: 256
    .name:           _ZN7rocprim17ROCPRIM_400000_NS6detail17trampoline_kernelINS0_14default_configENS1_27scan_by_key_config_selectorIj11FixedVectorIiLj1EEEEZZNS1_16scan_by_key_implILNS1_25lookback_scan_determinismE0ELb1ES3_N6thrust23THRUST_200600_302600_NS6detail15normal_iteratorINSB_10device_ptrIjEEEENSD_INSE_IS6_EEEESI_S6_NSB_4plusIvEENSB_8equal_toIvEES6_EE10hipError_tPvRmT2_T3_T4_T5_mT6_T7_P12ihipStream_tbENKUlT_T0_E_clISt17integral_constantIbLb1EES12_IbLb0EEEEDaSY_SZ_EUlSY_E_NS1_11comp_targetILNS1_3genE10ELNS1_11target_archE1201ELNS1_3gpuE5ELNS1_3repE0EEENS1_30default_config_static_selectorELNS0_4arch9wavefront6targetE1EEEvT1_
    .private_segment_fixed_size: 0
    .sgpr_count:     4
    .sgpr_spill_count: 0
    .symbol:         _ZN7rocprim17ROCPRIM_400000_NS6detail17trampoline_kernelINS0_14default_configENS1_27scan_by_key_config_selectorIj11FixedVectorIiLj1EEEEZZNS1_16scan_by_key_implILNS1_25lookback_scan_determinismE0ELb1ES3_N6thrust23THRUST_200600_302600_NS6detail15normal_iteratorINSB_10device_ptrIjEEEENSD_INSE_IS6_EEEESI_S6_NSB_4plusIvEENSB_8equal_toIvEES6_EE10hipError_tPvRmT2_T3_T4_T5_mT6_T7_P12ihipStream_tbENKUlT_T0_E_clISt17integral_constantIbLb1EES12_IbLb0EEEEDaSY_SZ_EUlSY_E_NS1_11comp_targetILNS1_3genE10ELNS1_11target_archE1201ELNS1_3gpuE5ELNS1_3repE0EEENS1_30default_config_static_selectorELNS0_4arch9wavefront6targetE1EEEvT1_.kd
    .uniform_work_group_size: 1
    .uses_dynamic_stack: false
    .vgpr_count:     0
    .vgpr_spill_count: 0
    .wavefront_size: 64
  - .agpr_count:     0
    .args:
      - .offset:         0
        .size:           112
        .value_kind:     by_value
    .group_segment_fixed_size: 0
    .kernarg_segment_align: 8
    .kernarg_segment_size: 112
    .language:       OpenCL C
    .language_version:
      - 2
      - 0
    .max_flat_workgroup_size: 256
    .name:           _ZN7rocprim17ROCPRIM_400000_NS6detail17trampoline_kernelINS0_14default_configENS1_27scan_by_key_config_selectorIj11FixedVectorIiLj1EEEEZZNS1_16scan_by_key_implILNS1_25lookback_scan_determinismE0ELb1ES3_N6thrust23THRUST_200600_302600_NS6detail15normal_iteratorINSB_10device_ptrIjEEEENSD_INSE_IS6_EEEESI_S6_NSB_4plusIvEENSB_8equal_toIvEES6_EE10hipError_tPvRmT2_T3_T4_T5_mT6_T7_P12ihipStream_tbENKUlT_T0_E_clISt17integral_constantIbLb1EES12_IbLb0EEEEDaSY_SZ_EUlSY_E_NS1_11comp_targetILNS1_3genE5ELNS1_11target_archE942ELNS1_3gpuE9ELNS1_3repE0EEENS1_30default_config_static_selectorELNS0_4arch9wavefront6targetE1EEEvT1_
    .private_segment_fixed_size: 0
    .sgpr_count:     4
    .sgpr_spill_count: 0
    .symbol:         _ZN7rocprim17ROCPRIM_400000_NS6detail17trampoline_kernelINS0_14default_configENS1_27scan_by_key_config_selectorIj11FixedVectorIiLj1EEEEZZNS1_16scan_by_key_implILNS1_25lookback_scan_determinismE0ELb1ES3_N6thrust23THRUST_200600_302600_NS6detail15normal_iteratorINSB_10device_ptrIjEEEENSD_INSE_IS6_EEEESI_S6_NSB_4plusIvEENSB_8equal_toIvEES6_EE10hipError_tPvRmT2_T3_T4_T5_mT6_T7_P12ihipStream_tbENKUlT_T0_E_clISt17integral_constantIbLb1EES12_IbLb0EEEEDaSY_SZ_EUlSY_E_NS1_11comp_targetILNS1_3genE5ELNS1_11target_archE942ELNS1_3gpuE9ELNS1_3repE0EEENS1_30default_config_static_selectorELNS0_4arch9wavefront6targetE1EEEvT1_.kd
    .uniform_work_group_size: 1
    .uses_dynamic_stack: false
    .vgpr_count:     0
    .vgpr_spill_count: 0
    .wavefront_size: 64
  - .agpr_count:     0
    .args:
      - .offset:         0
        .size:           112
        .value_kind:     by_value
    .group_segment_fixed_size: 16384
    .kernarg_segment_align: 8
    .kernarg_segment_size: 112
    .language:       OpenCL C
    .language_version:
      - 2
      - 0
    .max_flat_workgroup_size: 256
    .name:           _ZN7rocprim17ROCPRIM_400000_NS6detail17trampoline_kernelINS0_14default_configENS1_27scan_by_key_config_selectorIj11FixedVectorIiLj1EEEEZZNS1_16scan_by_key_implILNS1_25lookback_scan_determinismE0ELb1ES3_N6thrust23THRUST_200600_302600_NS6detail15normal_iteratorINSB_10device_ptrIjEEEENSD_INSE_IS6_EEEESI_S6_NSB_4plusIvEENSB_8equal_toIvEES6_EE10hipError_tPvRmT2_T3_T4_T5_mT6_T7_P12ihipStream_tbENKUlT_T0_E_clISt17integral_constantIbLb1EES12_IbLb0EEEEDaSY_SZ_EUlSY_E_NS1_11comp_targetILNS1_3genE4ELNS1_11target_archE910ELNS1_3gpuE8ELNS1_3repE0EEENS1_30default_config_static_selectorELNS0_4arch9wavefront6targetE1EEEvT1_
    .private_segment_fixed_size: 0
    .sgpr_count:     64
    .sgpr_spill_count: 0
    .symbol:         _ZN7rocprim17ROCPRIM_400000_NS6detail17trampoline_kernelINS0_14default_configENS1_27scan_by_key_config_selectorIj11FixedVectorIiLj1EEEEZZNS1_16scan_by_key_implILNS1_25lookback_scan_determinismE0ELb1ES3_N6thrust23THRUST_200600_302600_NS6detail15normal_iteratorINSB_10device_ptrIjEEEENSD_INSE_IS6_EEEESI_S6_NSB_4plusIvEENSB_8equal_toIvEES6_EE10hipError_tPvRmT2_T3_T4_T5_mT6_T7_P12ihipStream_tbENKUlT_T0_E_clISt17integral_constantIbLb1EES12_IbLb0EEEEDaSY_SZ_EUlSY_E_NS1_11comp_targetILNS1_3genE4ELNS1_11target_archE910ELNS1_3gpuE8ELNS1_3repE0EEENS1_30default_config_static_selectorELNS0_4arch9wavefront6targetE1EEEvT1_.kd
    .uniform_work_group_size: 1
    .uses_dynamic_stack: false
    .vgpr_count:     65
    .vgpr_spill_count: 0
    .wavefront_size: 64
  - .agpr_count:     0
    .args:
      - .offset:         0
        .size:           112
        .value_kind:     by_value
    .group_segment_fixed_size: 0
    .kernarg_segment_align: 8
    .kernarg_segment_size: 112
    .language:       OpenCL C
    .language_version:
      - 2
      - 0
    .max_flat_workgroup_size: 256
    .name:           _ZN7rocprim17ROCPRIM_400000_NS6detail17trampoline_kernelINS0_14default_configENS1_27scan_by_key_config_selectorIj11FixedVectorIiLj1EEEEZZNS1_16scan_by_key_implILNS1_25lookback_scan_determinismE0ELb1ES3_N6thrust23THRUST_200600_302600_NS6detail15normal_iteratorINSB_10device_ptrIjEEEENSD_INSE_IS6_EEEESI_S6_NSB_4plusIvEENSB_8equal_toIvEES6_EE10hipError_tPvRmT2_T3_T4_T5_mT6_T7_P12ihipStream_tbENKUlT_T0_E_clISt17integral_constantIbLb1EES12_IbLb0EEEEDaSY_SZ_EUlSY_E_NS1_11comp_targetILNS1_3genE3ELNS1_11target_archE908ELNS1_3gpuE7ELNS1_3repE0EEENS1_30default_config_static_selectorELNS0_4arch9wavefront6targetE1EEEvT1_
    .private_segment_fixed_size: 0
    .sgpr_count:     4
    .sgpr_spill_count: 0
    .symbol:         _ZN7rocprim17ROCPRIM_400000_NS6detail17trampoline_kernelINS0_14default_configENS1_27scan_by_key_config_selectorIj11FixedVectorIiLj1EEEEZZNS1_16scan_by_key_implILNS1_25lookback_scan_determinismE0ELb1ES3_N6thrust23THRUST_200600_302600_NS6detail15normal_iteratorINSB_10device_ptrIjEEEENSD_INSE_IS6_EEEESI_S6_NSB_4plusIvEENSB_8equal_toIvEES6_EE10hipError_tPvRmT2_T3_T4_T5_mT6_T7_P12ihipStream_tbENKUlT_T0_E_clISt17integral_constantIbLb1EES12_IbLb0EEEEDaSY_SZ_EUlSY_E_NS1_11comp_targetILNS1_3genE3ELNS1_11target_archE908ELNS1_3gpuE7ELNS1_3repE0EEENS1_30default_config_static_selectorELNS0_4arch9wavefront6targetE1EEEvT1_.kd
    .uniform_work_group_size: 1
    .uses_dynamic_stack: false
    .vgpr_count:     0
    .vgpr_spill_count: 0
    .wavefront_size: 64
  - .agpr_count:     0
    .args:
      - .offset:         0
        .size:           112
        .value_kind:     by_value
    .group_segment_fixed_size: 0
    .kernarg_segment_align: 8
    .kernarg_segment_size: 112
    .language:       OpenCL C
    .language_version:
      - 2
      - 0
    .max_flat_workgroup_size: 256
    .name:           _ZN7rocprim17ROCPRIM_400000_NS6detail17trampoline_kernelINS0_14default_configENS1_27scan_by_key_config_selectorIj11FixedVectorIiLj1EEEEZZNS1_16scan_by_key_implILNS1_25lookback_scan_determinismE0ELb1ES3_N6thrust23THRUST_200600_302600_NS6detail15normal_iteratorINSB_10device_ptrIjEEEENSD_INSE_IS6_EEEESI_S6_NSB_4plusIvEENSB_8equal_toIvEES6_EE10hipError_tPvRmT2_T3_T4_T5_mT6_T7_P12ihipStream_tbENKUlT_T0_E_clISt17integral_constantIbLb1EES12_IbLb0EEEEDaSY_SZ_EUlSY_E_NS1_11comp_targetILNS1_3genE2ELNS1_11target_archE906ELNS1_3gpuE6ELNS1_3repE0EEENS1_30default_config_static_selectorELNS0_4arch9wavefront6targetE1EEEvT1_
    .private_segment_fixed_size: 0
    .sgpr_count:     4
    .sgpr_spill_count: 0
    .symbol:         _ZN7rocprim17ROCPRIM_400000_NS6detail17trampoline_kernelINS0_14default_configENS1_27scan_by_key_config_selectorIj11FixedVectorIiLj1EEEEZZNS1_16scan_by_key_implILNS1_25lookback_scan_determinismE0ELb1ES3_N6thrust23THRUST_200600_302600_NS6detail15normal_iteratorINSB_10device_ptrIjEEEENSD_INSE_IS6_EEEESI_S6_NSB_4plusIvEENSB_8equal_toIvEES6_EE10hipError_tPvRmT2_T3_T4_T5_mT6_T7_P12ihipStream_tbENKUlT_T0_E_clISt17integral_constantIbLb1EES12_IbLb0EEEEDaSY_SZ_EUlSY_E_NS1_11comp_targetILNS1_3genE2ELNS1_11target_archE906ELNS1_3gpuE6ELNS1_3repE0EEENS1_30default_config_static_selectorELNS0_4arch9wavefront6targetE1EEEvT1_.kd
    .uniform_work_group_size: 1
    .uses_dynamic_stack: false
    .vgpr_count:     0
    .vgpr_spill_count: 0
    .wavefront_size: 64
  - .agpr_count:     0
    .args:
      - .offset:         0
        .size:           112
        .value_kind:     by_value
    .group_segment_fixed_size: 0
    .kernarg_segment_align: 8
    .kernarg_segment_size: 112
    .language:       OpenCL C
    .language_version:
      - 2
      - 0
    .max_flat_workgroup_size: 256
    .name:           _ZN7rocprim17ROCPRIM_400000_NS6detail17trampoline_kernelINS0_14default_configENS1_27scan_by_key_config_selectorIj11FixedVectorIiLj1EEEEZZNS1_16scan_by_key_implILNS1_25lookback_scan_determinismE0ELb1ES3_N6thrust23THRUST_200600_302600_NS6detail15normal_iteratorINSB_10device_ptrIjEEEENSD_INSE_IS6_EEEESI_S6_NSB_4plusIvEENSB_8equal_toIvEES6_EE10hipError_tPvRmT2_T3_T4_T5_mT6_T7_P12ihipStream_tbENKUlT_T0_E_clISt17integral_constantIbLb1EES12_IbLb0EEEEDaSY_SZ_EUlSY_E_NS1_11comp_targetILNS1_3genE10ELNS1_11target_archE1200ELNS1_3gpuE4ELNS1_3repE0EEENS1_30default_config_static_selectorELNS0_4arch9wavefront6targetE1EEEvT1_
    .private_segment_fixed_size: 0
    .sgpr_count:     4
    .sgpr_spill_count: 0
    .symbol:         _ZN7rocprim17ROCPRIM_400000_NS6detail17trampoline_kernelINS0_14default_configENS1_27scan_by_key_config_selectorIj11FixedVectorIiLj1EEEEZZNS1_16scan_by_key_implILNS1_25lookback_scan_determinismE0ELb1ES3_N6thrust23THRUST_200600_302600_NS6detail15normal_iteratorINSB_10device_ptrIjEEEENSD_INSE_IS6_EEEESI_S6_NSB_4plusIvEENSB_8equal_toIvEES6_EE10hipError_tPvRmT2_T3_T4_T5_mT6_T7_P12ihipStream_tbENKUlT_T0_E_clISt17integral_constantIbLb1EES12_IbLb0EEEEDaSY_SZ_EUlSY_E_NS1_11comp_targetILNS1_3genE10ELNS1_11target_archE1200ELNS1_3gpuE4ELNS1_3repE0EEENS1_30default_config_static_selectorELNS0_4arch9wavefront6targetE1EEEvT1_.kd
    .uniform_work_group_size: 1
    .uses_dynamic_stack: false
    .vgpr_count:     0
    .vgpr_spill_count: 0
    .wavefront_size: 64
  - .agpr_count:     0
    .args:
      - .offset:         0
        .size:           112
        .value_kind:     by_value
    .group_segment_fixed_size: 0
    .kernarg_segment_align: 8
    .kernarg_segment_size: 112
    .language:       OpenCL C
    .language_version:
      - 2
      - 0
    .max_flat_workgroup_size: 256
    .name:           _ZN7rocprim17ROCPRIM_400000_NS6detail17trampoline_kernelINS0_14default_configENS1_27scan_by_key_config_selectorIj11FixedVectorIiLj1EEEEZZNS1_16scan_by_key_implILNS1_25lookback_scan_determinismE0ELb1ES3_N6thrust23THRUST_200600_302600_NS6detail15normal_iteratorINSB_10device_ptrIjEEEENSD_INSE_IS6_EEEESI_S6_NSB_4plusIvEENSB_8equal_toIvEES6_EE10hipError_tPvRmT2_T3_T4_T5_mT6_T7_P12ihipStream_tbENKUlT_T0_E_clISt17integral_constantIbLb1EES12_IbLb0EEEEDaSY_SZ_EUlSY_E_NS1_11comp_targetILNS1_3genE9ELNS1_11target_archE1100ELNS1_3gpuE3ELNS1_3repE0EEENS1_30default_config_static_selectorELNS0_4arch9wavefront6targetE1EEEvT1_
    .private_segment_fixed_size: 0
    .sgpr_count:     4
    .sgpr_spill_count: 0
    .symbol:         _ZN7rocprim17ROCPRIM_400000_NS6detail17trampoline_kernelINS0_14default_configENS1_27scan_by_key_config_selectorIj11FixedVectorIiLj1EEEEZZNS1_16scan_by_key_implILNS1_25lookback_scan_determinismE0ELb1ES3_N6thrust23THRUST_200600_302600_NS6detail15normal_iteratorINSB_10device_ptrIjEEEENSD_INSE_IS6_EEEESI_S6_NSB_4plusIvEENSB_8equal_toIvEES6_EE10hipError_tPvRmT2_T3_T4_T5_mT6_T7_P12ihipStream_tbENKUlT_T0_E_clISt17integral_constantIbLb1EES12_IbLb0EEEEDaSY_SZ_EUlSY_E_NS1_11comp_targetILNS1_3genE9ELNS1_11target_archE1100ELNS1_3gpuE3ELNS1_3repE0EEENS1_30default_config_static_selectorELNS0_4arch9wavefront6targetE1EEEvT1_.kd
    .uniform_work_group_size: 1
    .uses_dynamic_stack: false
    .vgpr_count:     0
    .vgpr_spill_count: 0
    .wavefront_size: 64
  - .agpr_count:     0
    .args:
      - .offset:         0
        .size:           112
        .value_kind:     by_value
    .group_segment_fixed_size: 0
    .kernarg_segment_align: 8
    .kernarg_segment_size: 112
    .language:       OpenCL C
    .language_version:
      - 2
      - 0
    .max_flat_workgroup_size: 256
    .name:           _ZN7rocprim17ROCPRIM_400000_NS6detail17trampoline_kernelINS0_14default_configENS1_27scan_by_key_config_selectorIj11FixedVectorIiLj1EEEEZZNS1_16scan_by_key_implILNS1_25lookback_scan_determinismE0ELb1ES3_N6thrust23THRUST_200600_302600_NS6detail15normal_iteratorINSB_10device_ptrIjEEEENSD_INSE_IS6_EEEESI_S6_NSB_4plusIvEENSB_8equal_toIvEES6_EE10hipError_tPvRmT2_T3_T4_T5_mT6_T7_P12ihipStream_tbENKUlT_T0_E_clISt17integral_constantIbLb1EES12_IbLb0EEEEDaSY_SZ_EUlSY_E_NS1_11comp_targetILNS1_3genE8ELNS1_11target_archE1030ELNS1_3gpuE2ELNS1_3repE0EEENS1_30default_config_static_selectorELNS0_4arch9wavefront6targetE1EEEvT1_
    .private_segment_fixed_size: 0
    .sgpr_count:     4
    .sgpr_spill_count: 0
    .symbol:         _ZN7rocprim17ROCPRIM_400000_NS6detail17trampoline_kernelINS0_14default_configENS1_27scan_by_key_config_selectorIj11FixedVectorIiLj1EEEEZZNS1_16scan_by_key_implILNS1_25lookback_scan_determinismE0ELb1ES3_N6thrust23THRUST_200600_302600_NS6detail15normal_iteratorINSB_10device_ptrIjEEEENSD_INSE_IS6_EEEESI_S6_NSB_4plusIvEENSB_8equal_toIvEES6_EE10hipError_tPvRmT2_T3_T4_T5_mT6_T7_P12ihipStream_tbENKUlT_T0_E_clISt17integral_constantIbLb1EES12_IbLb0EEEEDaSY_SZ_EUlSY_E_NS1_11comp_targetILNS1_3genE8ELNS1_11target_archE1030ELNS1_3gpuE2ELNS1_3repE0EEENS1_30default_config_static_selectorELNS0_4arch9wavefront6targetE1EEEvT1_.kd
    .uniform_work_group_size: 1
    .uses_dynamic_stack: false
    .vgpr_count:     0
    .vgpr_spill_count: 0
    .wavefront_size: 64
  - .agpr_count:     0
    .args:
      - .offset:         0
        .size:           112
        .value_kind:     by_value
    .group_segment_fixed_size: 0
    .kernarg_segment_align: 8
    .kernarg_segment_size: 112
    .language:       OpenCL C
    .language_version:
      - 2
      - 0
    .max_flat_workgroup_size: 256
    .name:           _ZN7rocprim17ROCPRIM_400000_NS6detail17trampoline_kernelINS0_14default_configENS1_27scan_by_key_config_selectorIj11FixedVectorIiLj1EEEEZZNS1_16scan_by_key_implILNS1_25lookback_scan_determinismE0ELb1ES3_N6thrust23THRUST_200600_302600_NS6detail15normal_iteratorINSB_10device_ptrIjEEEENSD_INSE_IS6_EEEESI_S6_NSB_4plusIvEENSB_8equal_toIvEES6_EE10hipError_tPvRmT2_T3_T4_T5_mT6_T7_P12ihipStream_tbENKUlT_T0_E_clISt17integral_constantIbLb0EES12_IbLb1EEEEDaSY_SZ_EUlSY_E_NS1_11comp_targetILNS1_3genE0ELNS1_11target_archE4294967295ELNS1_3gpuE0ELNS1_3repE0EEENS1_30default_config_static_selectorELNS0_4arch9wavefront6targetE1EEEvT1_
    .private_segment_fixed_size: 0
    .sgpr_count:     4
    .sgpr_spill_count: 0
    .symbol:         _ZN7rocprim17ROCPRIM_400000_NS6detail17trampoline_kernelINS0_14default_configENS1_27scan_by_key_config_selectorIj11FixedVectorIiLj1EEEEZZNS1_16scan_by_key_implILNS1_25lookback_scan_determinismE0ELb1ES3_N6thrust23THRUST_200600_302600_NS6detail15normal_iteratorINSB_10device_ptrIjEEEENSD_INSE_IS6_EEEESI_S6_NSB_4plusIvEENSB_8equal_toIvEES6_EE10hipError_tPvRmT2_T3_T4_T5_mT6_T7_P12ihipStream_tbENKUlT_T0_E_clISt17integral_constantIbLb0EES12_IbLb1EEEEDaSY_SZ_EUlSY_E_NS1_11comp_targetILNS1_3genE0ELNS1_11target_archE4294967295ELNS1_3gpuE0ELNS1_3repE0EEENS1_30default_config_static_selectorELNS0_4arch9wavefront6targetE1EEEvT1_.kd
    .uniform_work_group_size: 1
    .uses_dynamic_stack: false
    .vgpr_count:     0
    .vgpr_spill_count: 0
    .wavefront_size: 64
  - .agpr_count:     0
    .args:
      - .offset:         0
        .size:           112
        .value_kind:     by_value
    .group_segment_fixed_size: 0
    .kernarg_segment_align: 8
    .kernarg_segment_size: 112
    .language:       OpenCL C
    .language_version:
      - 2
      - 0
    .max_flat_workgroup_size: 256
    .name:           _ZN7rocprim17ROCPRIM_400000_NS6detail17trampoline_kernelINS0_14default_configENS1_27scan_by_key_config_selectorIj11FixedVectorIiLj1EEEEZZNS1_16scan_by_key_implILNS1_25lookback_scan_determinismE0ELb1ES3_N6thrust23THRUST_200600_302600_NS6detail15normal_iteratorINSB_10device_ptrIjEEEENSD_INSE_IS6_EEEESI_S6_NSB_4plusIvEENSB_8equal_toIvEES6_EE10hipError_tPvRmT2_T3_T4_T5_mT6_T7_P12ihipStream_tbENKUlT_T0_E_clISt17integral_constantIbLb0EES12_IbLb1EEEEDaSY_SZ_EUlSY_E_NS1_11comp_targetILNS1_3genE10ELNS1_11target_archE1201ELNS1_3gpuE5ELNS1_3repE0EEENS1_30default_config_static_selectorELNS0_4arch9wavefront6targetE1EEEvT1_
    .private_segment_fixed_size: 0
    .sgpr_count:     4
    .sgpr_spill_count: 0
    .symbol:         _ZN7rocprim17ROCPRIM_400000_NS6detail17trampoline_kernelINS0_14default_configENS1_27scan_by_key_config_selectorIj11FixedVectorIiLj1EEEEZZNS1_16scan_by_key_implILNS1_25lookback_scan_determinismE0ELb1ES3_N6thrust23THRUST_200600_302600_NS6detail15normal_iteratorINSB_10device_ptrIjEEEENSD_INSE_IS6_EEEESI_S6_NSB_4plusIvEENSB_8equal_toIvEES6_EE10hipError_tPvRmT2_T3_T4_T5_mT6_T7_P12ihipStream_tbENKUlT_T0_E_clISt17integral_constantIbLb0EES12_IbLb1EEEEDaSY_SZ_EUlSY_E_NS1_11comp_targetILNS1_3genE10ELNS1_11target_archE1201ELNS1_3gpuE5ELNS1_3repE0EEENS1_30default_config_static_selectorELNS0_4arch9wavefront6targetE1EEEvT1_.kd
    .uniform_work_group_size: 1
    .uses_dynamic_stack: false
    .vgpr_count:     0
    .vgpr_spill_count: 0
    .wavefront_size: 64
  - .agpr_count:     0
    .args:
      - .offset:         0
        .size:           112
        .value_kind:     by_value
    .group_segment_fixed_size: 0
    .kernarg_segment_align: 8
    .kernarg_segment_size: 112
    .language:       OpenCL C
    .language_version:
      - 2
      - 0
    .max_flat_workgroup_size: 256
    .name:           _ZN7rocprim17ROCPRIM_400000_NS6detail17trampoline_kernelINS0_14default_configENS1_27scan_by_key_config_selectorIj11FixedVectorIiLj1EEEEZZNS1_16scan_by_key_implILNS1_25lookback_scan_determinismE0ELb1ES3_N6thrust23THRUST_200600_302600_NS6detail15normal_iteratorINSB_10device_ptrIjEEEENSD_INSE_IS6_EEEESI_S6_NSB_4plusIvEENSB_8equal_toIvEES6_EE10hipError_tPvRmT2_T3_T4_T5_mT6_T7_P12ihipStream_tbENKUlT_T0_E_clISt17integral_constantIbLb0EES12_IbLb1EEEEDaSY_SZ_EUlSY_E_NS1_11comp_targetILNS1_3genE5ELNS1_11target_archE942ELNS1_3gpuE9ELNS1_3repE0EEENS1_30default_config_static_selectorELNS0_4arch9wavefront6targetE1EEEvT1_
    .private_segment_fixed_size: 0
    .sgpr_count:     4
    .sgpr_spill_count: 0
    .symbol:         _ZN7rocprim17ROCPRIM_400000_NS6detail17trampoline_kernelINS0_14default_configENS1_27scan_by_key_config_selectorIj11FixedVectorIiLj1EEEEZZNS1_16scan_by_key_implILNS1_25lookback_scan_determinismE0ELb1ES3_N6thrust23THRUST_200600_302600_NS6detail15normal_iteratorINSB_10device_ptrIjEEEENSD_INSE_IS6_EEEESI_S6_NSB_4plusIvEENSB_8equal_toIvEES6_EE10hipError_tPvRmT2_T3_T4_T5_mT6_T7_P12ihipStream_tbENKUlT_T0_E_clISt17integral_constantIbLb0EES12_IbLb1EEEEDaSY_SZ_EUlSY_E_NS1_11comp_targetILNS1_3genE5ELNS1_11target_archE942ELNS1_3gpuE9ELNS1_3repE0EEENS1_30default_config_static_selectorELNS0_4arch9wavefront6targetE1EEEvT1_.kd
    .uniform_work_group_size: 1
    .uses_dynamic_stack: false
    .vgpr_count:     0
    .vgpr_spill_count: 0
    .wavefront_size: 64
  - .agpr_count:     0
    .args:
      - .offset:         0
        .size:           112
        .value_kind:     by_value
    .group_segment_fixed_size: 16384
    .kernarg_segment_align: 8
    .kernarg_segment_size: 112
    .language:       OpenCL C
    .language_version:
      - 2
      - 0
    .max_flat_workgroup_size: 256
    .name:           _ZN7rocprim17ROCPRIM_400000_NS6detail17trampoline_kernelINS0_14default_configENS1_27scan_by_key_config_selectorIj11FixedVectorIiLj1EEEEZZNS1_16scan_by_key_implILNS1_25lookback_scan_determinismE0ELb1ES3_N6thrust23THRUST_200600_302600_NS6detail15normal_iteratorINSB_10device_ptrIjEEEENSD_INSE_IS6_EEEESI_S6_NSB_4plusIvEENSB_8equal_toIvEES6_EE10hipError_tPvRmT2_T3_T4_T5_mT6_T7_P12ihipStream_tbENKUlT_T0_E_clISt17integral_constantIbLb0EES12_IbLb1EEEEDaSY_SZ_EUlSY_E_NS1_11comp_targetILNS1_3genE4ELNS1_11target_archE910ELNS1_3gpuE8ELNS1_3repE0EEENS1_30default_config_static_selectorELNS0_4arch9wavefront6targetE1EEEvT1_
    .private_segment_fixed_size: 0
    .sgpr_count:     64
    .sgpr_spill_count: 0
    .symbol:         _ZN7rocprim17ROCPRIM_400000_NS6detail17trampoline_kernelINS0_14default_configENS1_27scan_by_key_config_selectorIj11FixedVectorIiLj1EEEEZZNS1_16scan_by_key_implILNS1_25lookback_scan_determinismE0ELb1ES3_N6thrust23THRUST_200600_302600_NS6detail15normal_iteratorINSB_10device_ptrIjEEEENSD_INSE_IS6_EEEESI_S6_NSB_4plusIvEENSB_8equal_toIvEES6_EE10hipError_tPvRmT2_T3_T4_T5_mT6_T7_P12ihipStream_tbENKUlT_T0_E_clISt17integral_constantIbLb0EES12_IbLb1EEEEDaSY_SZ_EUlSY_E_NS1_11comp_targetILNS1_3genE4ELNS1_11target_archE910ELNS1_3gpuE8ELNS1_3repE0EEENS1_30default_config_static_selectorELNS0_4arch9wavefront6targetE1EEEvT1_.kd
    .uniform_work_group_size: 1
    .uses_dynamic_stack: false
    .vgpr_count:     67
    .vgpr_spill_count: 0
    .wavefront_size: 64
  - .agpr_count:     0
    .args:
      - .offset:         0
        .size:           112
        .value_kind:     by_value
    .group_segment_fixed_size: 0
    .kernarg_segment_align: 8
    .kernarg_segment_size: 112
    .language:       OpenCL C
    .language_version:
      - 2
      - 0
    .max_flat_workgroup_size: 256
    .name:           _ZN7rocprim17ROCPRIM_400000_NS6detail17trampoline_kernelINS0_14default_configENS1_27scan_by_key_config_selectorIj11FixedVectorIiLj1EEEEZZNS1_16scan_by_key_implILNS1_25lookback_scan_determinismE0ELb1ES3_N6thrust23THRUST_200600_302600_NS6detail15normal_iteratorINSB_10device_ptrIjEEEENSD_INSE_IS6_EEEESI_S6_NSB_4plusIvEENSB_8equal_toIvEES6_EE10hipError_tPvRmT2_T3_T4_T5_mT6_T7_P12ihipStream_tbENKUlT_T0_E_clISt17integral_constantIbLb0EES12_IbLb1EEEEDaSY_SZ_EUlSY_E_NS1_11comp_targetILNS1_3genE3ELNS1_11target_archE908ELNS1_3gpuE7ELNS1_3repE0EEENS1_30default_config_static_selectorELNS0_4arch9wavefront6targetE1EEEvT1_
    .private_segment_fixed_size: 0
    .sgpr_count:     4
    .sgpr_spill_count: 0
    .symbol:         _ZN7rocprim17ROCPRIM_400000_NS6detail17trampoline_kernelINS0_14default_configENS1_27scan_by_key_config_selectorIj11FixedVectorIiLj1EEEEZZNS1_16scan_by_key_implILNS1_25lookback_scan_determinismE0ELb1ES3_N6thrust23THRUST_200600_302600_NS6detail15normal_iteratorINSB_10device_ptrIjEEEENSD_INSE_IS6_EEEESI_S6_NSB_4plusIvEENSB_8equal_toIvEES6_EE10hipError_tPvRmT2_T3_T4_T5_mT6_T7_P12ihipStream_tbENKUlT_T0_E_clISt17integral_constantIbLb0EES12_IbLb1EEEEDaSY_SZ_EUlSY_E_NS1_11comp_targetILNS1_3genE3ELNS1_11target_archE908ELNS1_3gpuE7ELNS1_3repE0EEENS1_30default_config_static_selectorELNS0_4arch9wavefront6targetE1EEEvT1_.kd
    .uniform_work_group_size: 1
    .uses_dynamic_stack: false
    .vgpr_count:     0
    .vgpr_spill_count: 0
    .wavefront_size: 64
  - .agpr_count:     0
    .args:
      - .offset:         0
        .size:           112
        .value_kind:     by_value
    .group_segment_fixed_size: 0
    .kernarg_segment_align: 8
    .kernarg_segment_size: 112
    .language:       OpenCL C
    .language_version:
      - 2
      - 0
    .max_flat_workgroup_size: 256
    .name:           _ZN7rocprim17ROCPRIM_400000_NS6detail17trampoline_kernelINS0_14default_configENS1_27scan_by_key_config_selectorIj11FixedVectorIiLj1EEEEZZNS1_16scan_by_key_implILNS1_25lookback_scan_determinismE0ELb1ES3_N6thrust23THRUST_200600_302600_NS6detail15normal_iteratorINSB_10device_ptrIjEEEENSD_INSE_IS6_EEEESI_S6_NSB_4plusIvEENSB_8equal_toIvEES6_EE10hipError_tPvRmT2_T3_T4_T5_mT6_T7_P12ihipStream_tbENKUlT_T0_E_clISt17integral_constantIbLb0EES12_IbLb1EEEEDaSY_SZ_EUlSY_E_NS1_11comp_targetILNS1_3genE2ELNS1_11target_archE906ELNS1_3gpuE6ELNS1_3repE0EEENS1_30default_config_static_selectorELNS0_4arch9wavefront6targetE1EEEvT1_
    .private_segment_fixed_size: 0
    .sgpr_count:     4
    .sgpr_spill_count: 0
    .symbol:         _ZN7rocprim17ROCPRIM_400000_NS6detail17trampoline_kernelINS0_14default_configENS1_27scan_by_key_config_selectorIj11FixedVectorIiLj1EEEEZZNS1_16scan_by_key_implILNS1_25lookback_scan_determinismE0ELb1ES3_N6thrust23THRUST_200600_302600_NS6detail15normal_iteratorINSB_10device_ptrIjEEEENSD_INSE_IS6_EEEESI_S6_NSB_4plusIvEENSB_8equal_toIvEES6_EE10hipError_tPvRmT2_T3_T4_T5_mT6_T7_P12ihipStream_tbENKUlT_T0_E_clISt17integral_constantIbLb0EES12_IbLb1EEEEDaSY_SZ_EUlSY_E_NS1_11comp_targetILNS1_3genE2ELNS1_11target_archE906ELNS1_3gpuE6ELNS1_3repE0EEENS1_30default_config_static_selectorELNS0_4arch9wavefront6targetE1EEEvT1_.kd
    .uniform_work_group_size: 1
    .uses_dynamic_stack: false
    .vgpr_count:     0
    .vgpr_spill_count: 0
    .wavefront_size: 64
  - .agpr_count:     0
    .args:
      - .offset:         0
        .size:           112
        .value_kind:     by_value
    .group_segment_fixed_size: 0
    .kernarg_segment_align: 8
    .kernarg_segment_size: 112
    .language:       OpenCL C
    .language_version:
      - 2
      - 0
    .max_flat_workgroup_size: 256
    .name:           _ZN7rocprim17ROCPRIM_400000_NS6detail17trampoline_kernelINS0_14default_configENS1_27scan_by_key_config_selectorIj11FixedVectorIiLj1EEEEZZNS1_16scan_by_key_implILNS1_25lookback_scan_determinismE0ELb1ES3_N6thrust23THRUST_200600_302600_NS6detail15normal_iteratorINSB_10device_ptrIjEEEENSD_INSE_IS6_EEEESI_S6_NSB_4plusIvEENSB_8equal_toIvEES6_EE10hipError_tPvRmT2_T3_T4_T5_mT6_T7_P12ihipStream_tbENKUlT_T0_E_clISt17integral_constantIbLb0EES12_IbLb1EEEEDaSY_SZ_EUlSY_E_NS1_11comp_targetILNS1_3genE10ELNS1_11target_archE1200ELNS1_3gpuE4ELNS1_3repE0EEENS1_30default_config_static_selectorELNS0_4arch9wavefront6targetE1EEEvT1_
    .private_segment_fixed_size: 0
    .sgpr_count:     4
    .sgpr_spill_count: 0
    .symbol:         _ZN7rocprim17ROCPRIM_400000_NS6detail17trampoline_kernelINS0_14default_configENS1_27scan_by_key_config_selectorIj11FixedVectorIiLj1EEEEZZNS1_16scan_by_key_implILNS1_25lookback_scan_determinismE0ELb1ES3_N6thrust23THRUST_200600_302600_NS6detail15normal_iteratorINSB_10device_ptrIjEEEENSD_INSE_IS6_EEEESI_S6_NSB_4plusIvEENSB_8equal_toIvEES6_EE10hipError_tPvRmT2_T3_T4_T5_mT6_T7_P12ihipStream_tbENKUlT_T0_E_clISt17integral_constantIbLb0EES12_IbLb1EEEEDaSY_SZ_EUlSY_E_NS1_11comp_targetILNS1_3genE10ELNS1_11target_archE1200ELNS1_3gpuE4ELNS1_3repE0EEENS1_30default_config_static_selectorELNS0_4arch9wavefront6targetE1EEEvT1_.kd
    .uniform_work_group_size: 1
    .uses_dynamic_stack: false
    .vgpr_count:     0
    .vgpr_spill_count: 0
    .wavefront_size: 64
  - .agpr_count:     0
    .args:
      - .offset:         0
        .size:           112
        .value_kind:     by_value
    .group_segment_fixed_size: 0
    .kernarg_segment_align: 8
    .kernarg_segment_size: 112
    .language:       OpenCL C
    .language_version:
      - 2
      - 0
    .max_flat_workgroup_size: 256
    .name:           _ZN7rocprim17ROCPRIM_400000_NS6detail17trampoline_kernelINS0_14default_configENS1_27scan_by_key_config_selectorIj11FixedVectorIiLj1EEEEZZNS1_16scan_by_key_implILNS1_25lookback_scan_determinismE0ELb1ES3_N6thrust23THRUST_200600_302600_NS6detail15normal_iteratorINSB_10device_ptrIjEEEENSD_INSE_IS6_EEEESI_S6_NSB_4plusIvEENSB_8equal_toIvEES6_EE10hipError_tPvRmT2_T3_T4_T5_mT6_T7_P12ihipStream_tbENKUlT_T0_E_clISt17integral_constantIbLb0EES12_IbLb1EEEEDaSY_SZ_EUlSY_E_NS1_11comp_targetILNS1_3genE9ELNS1_11target_archE1100ELNS1_3gpuE3ELNS1_3repE0EEENS1_30default_config_static_selectorELNS0_4arch9wavefront6targetE1EEEvT1_
    .private_segment_fixed_size: 0
    .sgpr_count:     4
    .sgpr_spill_count: 0
    .symbol:         _ZN7rocprim17ROCPRIM_400000_NS6detail17trampoline_kernelINS0_14default_configENS1_27scan_by_key_config_selectorIj11FixedVectorIiLj1EEEEZZNS1_16scan_by_key_implILNS1_25lookback_scan_determinismE0ELb1ES3_N6thrust23THRUST_200600_302600_NS6detail15normal_iteratorINSB_10device_ptrIjEEEENSD_INSE_IS6_EEEESI_S6_NSB_4plusIvEENSB_8equal_toIvEES6_EE10hipError_tPvRmT2_T3_T4_T5_mT6_T7_P12ihipStream_tbENKUlT_T0_E_clISt17integral_constantIbLb0EES12_IbLb1EEEEDaSY_SZ_EUlSY_E_NS1_11comp_targetILNS1_3genE9ELNS1_11target_archE1100ELNS1_3gpuE3ELNS1_3repE0EEENS1_30default_config_static_selectorELNS0_4arch9wavefront6targetE1EEEvT1_.kd
    .uniform_work_group_size: 1
    .uses_dynamic_stack: false
    .vgpr_count:     0
    .vgpr_spill_count: 0
    .wavefront_size: 64
  - .agpr_count:     0
    .args:
      - .offset:         0
        .size:           112
        .value_kind:     by_value
    .group_segment_fixed_size: 0
    .kernarg_segment_align: 8
    .kernarg_segment_size: 112
    .language:       OpenCL C
    .language_version:
      - 2
      - 0
    .max_flat_workgroup_size: 256
    .name:           _ZN7rocprim17ROCPRIM_400000_NS6detail17trampoline_kernelINS0_14default_configENS1_27scan_by_key_config_selectorIj11FixedVectorIiLj1EEEEZZNS1_16scan_by_key_implILNS1_25lookback_scan_determinismE0ELb1ES3_N6thrust23THRUST_200600_302600_NS6detail15normal_iteratorINSB_10device_ptrIjEEEENSD_INSE_IS6_EEEESI_S6_NSB_4plusIvEENSB_8equal_toIvEES6_EE10hipError_tPvRmT2_T3_T4_T5_mT6_T7_P12ihipStream_tbENKUlT_T0_E_clISt17integral_constantIbLb0EES12_IbLb1EEEEDaSY_SZ_EUlSY_E_NS1_11comp_targetILNS1_3genE8ELNS1_11target_archE1030ELNS1_3gpuE2ELNS1_3repE0EEENS1_30default_config_static_selectorELNS0_4arch9wavefront6targetE1EEEvT1_
    .private_segment_fixed_size: 0
    .sgpr_count:     4
    .sgpr_spill_count: 0
    .symbol:         _ZN7rocprim17ROCPRIM_400000_NS6detail17trampoline_kernelINS0_14default_configENS1_27scan_by_key_config_selectorIj11FixedVectorIiLj1EEEEZZNS1_16scan_by_key_implILNS1_25lookback_scan_determinismE0ELb1ES3_N6thrust23THRUST_200600_302600_NS6detail15normal_iteratorINSB_10device_ptrIjEEEENSD_INSE_IS6_EEEESI_S6_NSB_4plusIvEENSB_8equal_toIvEES6_EE10hipError_tPvRmT2_T3_T4_T5_mT6_T7_P12ihipStream_tbENKUlT_T0_E_clISt17integral_constantIbLb0EES12_IbLb1EEEEDaSY_SZ_EUlSY_E_NS1_11comp_targetILNS1_3genE8ELNS1_11target_archE1030ELNS1_3gpuE2ELNS1_3repE0EEENS1_30default_config_static_selectorELNS0_4arch9wavefront6targetE1EEEvT1_.kd
    .uniform_work_group_size: 1
    .uses_dynamic_stack: false
    .vgpr_count:     0
    .vgpr_spill_count: 0
    .wavefront_size: 64
  - .agpr_count:     0
    .args:
      - .offset:         0
        .size:           16
        .value_kind:     by_value
      - .offset:         16
        .size:           8
        .value_kind:     by_value
      - .offset:         24
        .size:           8
        .value_kind:     by_value
    .group_segment_fixed_size: 0
    .kernarg_segment_align: 8
    .kernarg_segment_size: 32
    .language:       OpenCL C
    .language_version:
      - 2
      - 0
    .max_flat_workgroup_size: 256
    .name:           _ZN6thrust23THRUST_200600_302600_NS11hip_rocprim14__parallel_for6kernelILj256ENS1_10for_each_fINS0_10device_ptrI11FixedVectorIiLj2EEEENS0_6detail16wrapped_functionINS9_23allocator_traits_detail5gozerEvEEEElLj1EEEvT0_T1_SG_
    .private_segment_fixed_size: 0
    .sgpr_count:     4
    .sgpr_spill_count: 0
    .symbol:         _ZN6thrust23THRUST_200600_302600_NS11hip_rocprim14__parallel_for6kernelILj256ENS1_10for_each_fINS0_10device_ptrI11FixedVectorIiLj2EEEENS0_6detail16wrapped_functionINS9_23allocator_traits_detail5gozerEvEEEElLj1EEEvT0_T1_SG_.kd
    .uniform_work_group_size: 1
    .uses_dynamic_stack: false
    .vgpr_count:     0
    .vgpr_spill_count: 0
    .wavefront_size: 64
  - .agpr_count:     0
    .args:
      - .offset:         0
        .size:           16
        .value_kind:     by_value
      - .offset:         16
        .size:           8
        .value_kind:     by_value
      - .offset:         24
        .size:           8
        .value_kind:     by_value
    .group_segment_fixed_size: 0
    .kernarg_segment_align: 8
    .kernarg_segment_size: 32
    .language:       OpenCL C
    .language_version:
      - 2
      - 0
    .max_flat_workgroup_size: 256
    .name:           _ZN6thrust23THRUST_200600_302600_NS11hip_rocprim14__parallel_for6kernelILj256ENS1_10for_each_fINS0_10device_ptrI11FixedVectorIiLj2EEEENS0_6detail16wrapped_functionINS9_23allocator_traits_detail24construct1_via_allocatorINS0_16device_allocatorIS7_EEEEvEEEEmLj1EEEvT0_T1_SJ_
    .private_segment_fixed_size: 0
    .sgpr_count:     16
    .sgpr_spill_count: 0
    .symbol:         _ZN6thrust23THRUST_200600_302600_NS11hip_rocprim14__parallel_for6kernelILj256ENS1_10for_each_fINS0_10device_ptrI11FixedVectorIiLj2EEEENS0_6detail16wrapped_functionINS9_23allocator_traits_detail24construct1_via_allocatorINS0_16device_allocatorIS7_EEEEvEEEEmLj1EEEvT0_T1_SJ_.kd
    .uniform_work_group_size: 1
    .uses_dynamic_stack: false
    .vgpr_count:     4
    .vgpr_spill_count: 0
    .wavefront_size: 64
  - .agpr_count:     0
    .args:
      - .address_space:  global
        .offset:         0
        .size:           8
        .value_kind:     global_buffer
      - .offset:         8
        .size:           4
        .value_kind:     by_value
      - .offset:         12
        .size:           4
        .value_kind:     by_value
      - .address_space:  global
        .offset:         16
        .size:           8
        .value_kind:     global_buffer
      - .address_space:  global
        .offset:         24
        .size:           8
        .value_kind:     global_buffer
      - .actual_access:  write_only
        .address_space:  global
        .offset:         32
        .size:           8
        .value_kind:     global_buffer
      - .offset:         40
        .size:           8
        .value_kind:     by_value
      - .offset:         48
        .size:           4
        .value_kind:     by_value
      - .offset:         52
        .size:           1
        .value_kind:     by_value
      - .offset:         56
        .size:           4
        .value_kind:     hidden_block_count_x
      - .offset:         60
        .size:           4
        .value_kind:     hidden_block_count_y
      - .offset:         64
        .size:           4
        .value_kind:     hidden_block_count_z
      - .offset:         68
        .size:           2
        .value_kind:     hidden_group_size_x
      - .offset:         70
        .size:           2
        .value_kind:     hidden_group_size_y
      - .offset:         72
        .size:           2
        .value_kind:     hidden_group_size_z
      - .offset:         74
        .size:           2
        .value_kind:     hidden_remainder_x
      - .offset:         76
        .size:           2
        .value_kind:     hidden_remainder_y
      - .offset:         78
        .size:           2
        .value_kind:     hidden_remainder_z
      - .offset:         96
        .size:           8
        .value_kind:     hidden_global_offset_x
      - .offset:         104
        .size:           8
        .value_kind:     hidden_global_offset_y
      - .offset:         112
        .size:           8
        .value_kind:     hidden_global_offset_z
      - .offset:         120
        .size:           2
        .value_kind:     hidden_grid_dims
    .group_segment_fixed_size: 0
    .kernarg_segment_align: 8
    .kernarg_segment_size: 312
    .language:       OpenCL C
    .language_version:
      - 2
      - 0
    .max_flat_workgroup_size: 256
    .name:           _ZN7rocprim17ROCPRIM_400000_NS6detail30init_device_scan_by_key_kernelINS1_19lookback_scan_stateINS0_5tupleIJ11FixedVectorIiLj2EEbEEELb0ELb1EEEN6thrust23THRUST_200600_302600_NS6detail15normal_iteratorINSA_10device_ptrIjEEEEjNS1_16block_id_wrapperIjLb0EEEEEvT_jjPNSI_10value_typeET0_PNSt15iterator_traitsISL_E10value_typeEmT1_T2_
    .private_segment_fixed_size: 0
    .sgpr_count:     24
    .sgpr_spill_count: 0
    .symbol:         _ZN7rocprim17ROCPRIM_400000_NS6detail30init_device_scan_by_key_kernelINS1_19lookback_scan_stateINS0_5tupleIJ11FixedVectorIiLj2EEbEEELb0ELb1EEEN6thrust23THRUST_200600_302600_NS6detail15normal_iteratorINSA_10device_ptrIjEEEEjNS1_16block_id_wrapperIjLb0EEEEEvT_jjPNSI_10value_typeET0_PNSt15iterator_traitsISL_E10value_typeEmT1_T2_.kd
    .uniform_work_group_size: 1
    .uses_dynamic_stack: false
    .vgpr_count:     22
    .vgpr_spill_count: 0
    .wavefront_size: 64
  - .agpr_count:     0
    .args:
      - .address_space:  global
        .offset:         0
        .size:           8
        .value_kind:     global_buffer
      - .offset:         8
        .size:           4
        .value_kind:     by_value
      - .offset:         12
        .size:           4
        .value_kind:     by_value
      - .address_space:  global
        .offset:         16
        .size:           8
        .value_kind:     global_buffer
      - .offset:         24
        .size:           1
        .value_kind:     by_value
      - .offset:         32
        .size:           4
        .value_kind:     hidden_block_count_x
      - .offset:         36
        .size:           4
        .value_kind:     hidden_block_count_y
      - .offset:         40
        .size:           4
        .value_kind:     hidden_block_count_z
      - .offset:         44
        .size:           2
        .value_kind:     hidden_group_size_x
      - .offset:         46
        .size:           2
        .value_kind:     hidden_group_size_y
      - .offset:         48
        .size:           2
        .value_kind:     hidden_group_size_z
      - .offset:         50
        .size:           2
        .value_kind:     hidden_remainder_x
      - .offset:         52
        .size:           2
        .value_kind:     hidden_remainder_y
      - .offset:         54
        .size:           2
        .value_kind:     hidden_remainder_z
      - .offset:         72
        .size:           8
        .value_kind:     hidden_global_offset_x
      - .offset:         80
        .size:           8
        .value_kind:     hidden_global_offset_y
      - .offset:         88
        .size:           8
        .value_kind:     hidden_global_offset_z
      - .offset:         96
        .size:           2
        .value_kind:     hidden_grid_dims
    .group_segment_fixed_size: 0
    .kernarg_segment_align: 8
    .kernarg_segment_size: 288
    .language:       OpenCL C
    .language_version:
      - 2
      - 0
    .max_flat_workgroup_size: 256
    .name:           _ZN7rocprim17ROCPRIM_400000_NS6detail30init_device_scan_by_key_kernelINS1_19lookback_scan_stateINS0_5tupleIJ11FixedVectorIiLj2EEbEEELb0ELb1EEENS1_16block_id_wrapperIjLb0EEEEEvT_jjPNSB_10value_typeET0_
    .private_segment_fixed_size: 0
    .sgpr_count:     18
    .sgpr_spill_count: 0
    .symbol:         _ZN7rocprim17ROCPRIM_400000_NS6detail30init_device_scan_by_key_kernelINS1_19lookback_scan_stateINS0_5tupleIJ11FixedVectorIiLj2EEbEEELb0ELb1EEENS1_16block_id_wrapperIjLb0EEEEEvT_jjPNSB_10value_typeET0_.kd
    .uniform_work_group_size: 1
    .uses_dynamic_stack: false
    .vgpr_count:     22
    .vgpr_spill_count: 0
    .wavefront_size: 64
  - .agpr_count:     0
    .args:
      - .offset:         0
        .size:           120
        .value_kind:     by_value
    .group_segment_fixed_size: 0
    .kernarg_segment_align: 8
    .kernarg_segment_size: 120
    .language:       OpenCL C
    .language_version:
      - 2
      - 0
    .max_flat_workgroup_size: 128
    .name:           _ZN7rocprim17ROCPRIM_400000_NS6detail17trampoline_kernelINS0_14default_configENS1_27scan_by_key_config_selectorIj11FixedVectorIiLj2EEEEZZNS1_16scan_by_key_implILNS1_25lookback_scan_determinismE0ELb0ES3_N6thrust23THRUST_200600_302600_NS6detail15normal_iteratorINSB_10device_ptrIjEEEENSD_INSE_IS6_EEEESI_S6_NSB_4plusIvEENSB_8equal_toIvEES6_EE10hipError_tPvRmT2_T3_T4_T5_mT6_T7_P12ihipStream_tbENKUlT_T0_E_clISt17integral_constantIbLb0EES13_EEDaSY_SZ_EUlSY_E_NS1_11comp_targetILNS1_3genE0ELNS1_11target_archE4294967295ELNS1_3gpuE0ELNS1_3repE0EEENS1_30default_config_static_selectorELNS0_4arch9wavefront6targetE1EEEvT1_
    .private_segment_fixed_size: 0
    .sgpr_count:     4
    .sgpr_spill_count: 0
    .symbol:         _ZN7rocprim17ROCPRIM_400000_NS6detail17trampoline_kernelINS0_14default_configENS1_27scan_by_key_config_selectorIj11FixedVectorIiLj2EEEEZZNS1_16scan_by_key_implILNS1_25lookback_scan_determinismE0ELb0ES3_N6thrust23THRUST_200600_302600_NS6detail15normal_iteratorINSB_10device_ptrIjEEEENSD_INSE_IS6_EEEESI_S6_NSB_4plusIvEENSB_8equal_toIvEES6_EE10hipError_tPvRmT2_T3_T4_T5_mT6_T7_P12ihipStream_tbENKUlT_T0_E_clISt17integral_constantIbLb0EES13_EEDaSY_SZ_EUlSY_E_NS1_11comp_targetILNS1_3genE0ELNS1_11target_archE4294967295ELNS1_3gpuE0ELNS1_3repE0EEENS1_30default_config_static_selectorELNS0_4arch9wavefront6targetE1EEEvT1_.kd
    .uniform_work_group_size: 1
    .uses_dynamic_stack: false
    .vgpr_count:     0
    .vgpr_spill_count: 0
    .wavefront_size: 64
  - .agpr_count:     0
    .args:
      - .offset:         0
        .size:           120
        .value_kind:     by_value
    .group_segment_fixed_size: 0
    .kernarg_segment_align: 8
    .kernarg_segment_size: 120
    .language:       OpenCL C
    .language_version:
      - 2
      - 0
    .max_flat_workgroup_size: 256
    .name:           _ZN7rocprim17ROCPRIM_400000_NS6detail17trampoline_kernelINS0_14default_configENS1_27scan_by_key_config_selectorIj11FixedVectorIiLj2EEEEZZNS1_16scan_by_key_implILNS1_25lookback_scan_determinismE0ELb0ES3_N6thrust23THRUST_200600_302600_NS6detail15normal_iteratorINSB_10device_ptrIjEEEENSD_INSE_IS6_EEEESI_S6_NSB_4plusIvEENSB_8equal_toIvEES6_EE10hipError_tPvRmT2_T3_T4_T5_mT6_T7_P12ihipStream_tbENKUlT_T0_E_clISt17integral_constantIbLb0EES13_EEDaSY_SZ_EUlSY_E_NS1_11comp_targetILNS1_3genE10ELNS1_11target_archE1201ELNS1_3gpuE5ELNS1_3repE0EEENS1_30default_config_static_selectorELNS0_4arch9wavefront6targetE1EEEvT1_
    .private_segment_fixed_size: 0
    .sgpr_count:     4
    .sgpr_spill_count: 0
    .symbol:         _ZN7rocprim17ROCPRIM_400000_NS6detail17trampoline_kernelINS0_14default_configENS1_27scan_by_key_config_selectorIj11FixedVectorIiLj2EEEEZZNS1_16scan_by_key_implILNS1_25lookback_scan_determinismE0ELb0ES3_N6thrust23THRUST_200600_302600_NS6detail15normal_iteratorINSB_10device_ptrIjEEEENSD_INSE_IS6_EEEESI_S6_NSB_4plusIvEENSB_8equal_toIvEES6_EE10hipError_tPvRmT2_T3_T4_T5_mT6_T7_P12ihipStream_tbENKUlT_T0_E_clISt17integral_constantIbLb0EES13_EEDaSY_SZ_EUlSY_E_NS1_11comp_targetILNS1_3genE10ELNS1_11target_archE1201ELNS1_3gpuE5ELNS1_3repE0EEENS1_30default_config_static_selectorELNS0_4arch9wavefront6targetE1EEEvT1_.kd
    .uniform_work_group_size: 1
    .uses_dynamic_stack: false
    .vgpr_count:     0
    .vgpr_spill_count: 0
    .wavefront_size: 64
  - .agpr_count:     0
    .args:
      - .offset:         0
        .size:           120
        .value_kind:     by_value
    .group_segment_fixed_size: 0
    .kernarg_segment_align: 8
    .kernarg_segment_size: 120
    .language:       OpenCL C
    .language_version:
      - 2
      - 0
    .max_flat_workgroup_size: 256
    .name:           _ZN7rocprim17ROCPRIM_400000_NS6detail17trampoline_kernelINS0_14default_configENS1_27scan_by_key_config_selectorIj11FixedVectorIiLj2EEEEZZNS1_16scan_by_key_implILNS1_25lookback_scan_determinismE0ELb0ES3_N6thrust23THRUST_200600_302600_NS6detail15normal_iteratorINSB_10device_ptrIjEEEENSD_INSE_IS6_EEEESI_S6_NSB_4plusIvEENSB_8equal_toIvEES6_EE10hipError_tPvRmT2_T3_T4_T5_mT6_T7_P12ihipStream_tbENKUlT_T0_E_clISt17integral_constantIbLb0EES13_EEDaSY_SZ_EUlSY_E_NS1_11comp_targetILNS1_3genE5ELNS1_11target_archE942ELNS1_3gpuE9ELNS1_3repE0EEENS1_30default_config_static_selectorELNS0_4arch9wavefront6targetE1EEEvT1_
    .private_segment_fixed_size: 0
    .sgpr_count:     4
    .sgpr_spill_count: 0
    .symbol:         _ZN7rocprim17ROCPRIM_400000_NS6detail17trampoline_kernelINS0_14default_configENS1_27scan_by_key_config_selectorIj11FixedVectorIiLj2EEEEZZNS1_16scan_by_key_implILNS1_25lookback_scan_determinismE0ELb0ES3_N6thrust23THRUST_200600_302600_NS6detail15normal_iteratorINSB_10device_ptrIjEEEENSD_INSE_IS6_EEEESI_S6_NSB_4plusIvEENSB_8equal_toIvEES6_EE10hipError_tPvRmT2_T3_T4_T5_mT6_T7_P12ihipStream_tbENKUlT_T0_E_clISt17integral_constantIbLb0EES13_EEDaSY_SZ_EUlSY_E_NS1_11comp_targetILNS1_3genE5ELNS1_11target_archE942ELNS1_3gpuE9ELNS1_3repE0EEENS1_30default_config_static_selectorELNS0_4arch9wavefront6targetE1EEEvT1_.kd
    .uniform_work_group_size: 1
    .uses_dynamic_stack: false
    .vgpr_count:     0
    .vgpr_spill_count: 0
    .wavefront_size: 64
  - .agpr_count:     0
    .args:
      - .offset:         0
        .size:           120
        .value_kind:     by_value
    .group_segment_fixed_size: 10752
    .kernarg_segment_align: 8
    .kernarg_segment_size: 120
    .language:       OpenCL C
    .language_version:
      - 2
      - 0
    .max_flat_workgroup_size: 64
    .name:           _ZN7rocprim17ROCPRIM_400000_NS6detail17trampoline_kernelINS0_14default_configENS1_27scan_by_key_config_selectorIj11FixedVectorIiLj2EEEEZZNS1_16scan_by_key_implILNS1_25lookback_scan_determinismE0ELb0ES3_N6thrust23THRUST_200600_302600_NS6detail15normal_iteratorINSB_10device_ptrIjEEEENSD_INSE_IS6_EEEESI_S6_NSB_4plusIvEENSB_8equal_toIvEES6_EE10hipError_tPvRmT2_T3_T4_T5_mT6_T7_P12ihipStream_tbENKUlT_T0_E_clISt17integral_constantIbLb0EES13_EEDaSY_SZ_EUlSY_E_NS1_11comp_targetILNS1_3genE4ELNS1_11target_archE910ELNS1_3gpuE8ELNS1_3repE0EEENS1_30default_config_static_selectorELNS0_4arch9wavefront6targetE1EEEvT1_
    .private_segment_fixed_size: 0
    .sgpr_count:     100
    .sgpr_spill_count: 8
    .symbol:         _ZN7rocprim17ROCPRIM_400000_NS6detail17trampoline_kernelINS0_14default_configENS1_27scan_by_key_config_selectorIj11FixedVectorIiLj2EEEEZZNS1_16scan_by_key_implILNS1_25lookback_scan_determinismE0ELb0ES3_N6thrust23THRUST_200600_302600_NS6detail15normal_iteratorINSB_10device_ptrIjEEEENSD_INSE_IS6_EEEESI_S6_NSB_4plusIvEENSB_8equal_toIvEES6_EE10hipError_tPvRmT2_T3_T4_T5_mT6_T7_P12ihipStream_tbENKUlT_T0_E_clISt17integral_constantIbLb0EES13_EEDaSY_SZ_EUlSY_E_NS1_11comp_targetILNS1_3genE4ELNS1_11target_archE910ELNS1_3gpuE8ELNS1_3repE0EEENS1_30default_config_static_selectorELNS0_4arch9wavefront6targetE1EEEvT1_.kd
    .uniform_work_group_size: 1
    .uses_dynamic_stack: false
    .vgpr_count:     136
    .vgpr_spill_count: 0
    .wavefront_size: 64
  - .agpr_count:     0
    .args:
      - .offset:         0
        .size:           120
        .value_kind:     by_value
    .group_segment_fixed_size: 0
    .kernarg_segment_align: 8
    .kernarg_segment_size: 120
    .language:       OpenCL C
    .language_version:
      - 2
      - 0
    .max_flat_workgroup_size: 128
    .name:           _ZN7rocprim17ROCPRIM_400000_NS6detail17trampoline_kernelINS0_14default_configENS1_27scan_by_key_config_selectorIj11FixedVectorIiLj2EEEEZZNS1_16scan_by_key_implILNS1_25lookback_scan_determinismE0ELb0ES3_N6thrust23THRUST_200600_302600_NS6detail15normal_iteratorINSB_10device_ptrIjEEEENSD_INSE_IS6_EEEESI_S6_NSB_4plusIvEENSB_8equal_toIvEES6_EE10hipError_tPvRmT2_T3_T4_T5_mT6_T7_P12ihipStream_tbENKUlT_T0_E_clISt17integral_constantIbLb0EES13_EEDaSY_SZ_EUlSY_E_NS1_11comp_targetILNS1_3genE3ELNS1_11target_archE908ELNS1_3gpuE7ELNS1_3repE0EEENS1_30default_config_static_selectorELNS0_4arch9wavefront6targetE1EEEvT1_
    .private_segment_fixed_size: 0
    .sgpr_count:     4
    .sgpr_spill_count: 0
    .symbol:         _ZN7rocprim17ROCPRIM_400000_NS6detail17trampoline_kernelINS0_14default_configENS1_27scan_by_key_config_selectorIj11FixedVectorIiLj2EEEEZZNS1_16scan_by_key_implILNS1_25lookback_scan_determinismE0ELb0ES3_N6thrust23THRUST_200600_302600_NS6detail15normal_iteratorINSB_10device_ptrIjEEEENSD_INSE_IS6_EEEESI_S6_NSB_4plusIvEENSB_8equal_toIvEES6_EE10hipError_tPvRmT2_T3_T4_T5_mT6_T7_P12ihipStream_tbENKUlT_T0_E_clISt17integral_constantIbLb0EES13_EEDaSY_SZ_EUlSY_E_NS1_11comp_targetILNS1_3genE3ELNS1_11target_archE908ELNS1_3gpuE7ELNS1_3repE0EEENS1_30default_config_static_selectorELNS0_4arch9wavefront6targetE1EEEvT1_.kd
    .uniform_work_group_size: 1
    .uses_dynamic_stack: false
    .vgpr_count:     0
    .vgpr_spill_count: 0
    .wavefront_size: 64
  - .agpr_count:     0
    .args:
      - .offset:         0
        .size:           120
        .value_kind:     by_value
    .group_segment_fixed_size: 0
    .kernarg_segment_align: 8
    .kernarg_segment_size: 120
    .language:       OpenCL C
    .language_version:
      - 2
      - 0
    .max_flat_workgroup_size: 64
    .name:           _ZN7rocprim17ROCPRIM_400000_NS6detail17trampoline_kernelINS0_14default_configENS1_27scan_by_key_config_selectorIj11FixedVectorIiLj2EEEEZZNS1_16scan_by_key_implILNS1_25lookback_scan_determinismE0ELb0ES3_N6thrust23THRUST_200600_302600_NS6detail15normal_iteratorINSB_10device_ptrIjEEEENSD_INSE_IS6_EEEESI_S6_NSB_4plusIvEENSB_8equal_toIvEES6_EE10hipError_tPvRmT2_T3_T4_T5_mT6_T7_P12ihipStream_tbENKUlT_T0_E_clISt17integral_constantIbLb0EES13_EEDaSY_SZ_EUlSY_E_NS1_11comp_targetILNS1_3genE2ELNS1_11target_archE906ELNS1_3gpuE6ELNS1_3repE0EEENS1_30default_config_static_selectorELNS0_4arch9wavefront6targetE1EEEvT1_
    .private_segment_fixed_size: 0
    .sgpr_count:     4
    .sgpr_spill_count: 0
    .symbol:         _ZN7rocprim17ROCPRIM_400000_NS6detail17trampoline_kernelINS0_14default_configENS1_27scan_by_key_config_selectorIj11FixedVectorIiLj2EEEEZZNS1_16scan_by_key_implILNS1_25lookback_scan_determinismE0ELb0ES3_N6thrust23THRUST_200600_302600_NS6detail15normal_iteratorINSB_10device_ptrIjEEEENSD_INSE_IS6_EEEESI_S6_NSB_4plusIvEENSB_8equal_toIvEES6_EE10hipError_tPvRmT2_T3_T4_T5_mT6_T7_P12ihipStream_tbENKUlT_T0_E_clISt17integral_constantIbLb0EES13_EEDaSY_SZ_EUlSY_E_NS1_11comp_targetILNS1_3genE2ELNS1_11target_archE906ELNS1_3gpuE6ELNS1_3repE0EEENS1_30default_config_static_selectorELNS0_4arch9wavefront6targetE1EEEvT1_.kd
    .uniform_work_group_size: 1
    .uses_dynamic_stack: false
    .vgpr_count:     0
    .vgpr_spill_count: 0
    .wavefront_size: 64
  - .agpr_count:     0
    .args:
      - .offset:         0
        .size:           120
        .value_kind:     by_value
    .group_segment_fixed_size: 0
    .kernarg_segment_align: 8
    .kernarg_segment_size: 120
    .language:       OpenCL C
    .language_version:
      - 2
      - 0
    .max_flat_workgroup_size: 256
    .name:           _ZN7rocprim17ROCPRIM_400000_NS6detail17trampoline_kernelINS0_14default_configENS1_27scan_by_key_config_selectorIj11FixedVectorIiLj2EEEEZZNS1_16scan_by_key_implILNS1_25lookback_scan_determinismE0ELb0ES3_N6thrust23THRUST_200600_302600_NS6detail15normal_iteratorINSB_10device_ptrIjEEEENSD_INSE_IS6_EEEESI_S6_NSB_4plusIvEENSB_8equal_toIvEES6_EE10hipError_tPvRmT2_T3_T4_T5_mT6_T7_P12ihipStream_tbENKUlT_T0_E_clISt17integral_constantIbLb0EES13_EEDaSY_SZ_EUlSY_E_NS1_11comp_targetILNS1_3genE10ELNS1_11target_archE1200ELNS1_3gpuE4ELNS1_3repE0EEENS1_30default_config_static_selectorELNS0_4arch9wavefront6targetE1EEEvT1_
    .private_segment_fixed_size: 0
    .sgpr_count:     4
    .sgpr_spill_count: 0
    .symbol:         _ZN7rocprim17ROCPRIM_400000_NS6detail17trampoline_kernelINS0_14default_configENS1_27scan_by_key_config_selectorIj11FixedVectorIiLj2EEEEZZNS1_16scan_by_key_implILNS1_25lookback_scan_determinismE0ELb0ES3_N6thrust23THRUST_200600_302600_NS6detail15normal_iteratorINSB_10device_ptrIjEEEENSD_INSE_IS6_EEEESI_S6_NSB_4plusIvEENSB_8equal_toIvEES6_EE10hipError_tPvRmT2_T3_T4_T5_mT6_T7_P12ihipStream_tbENKUlT_T0_E_clISt17integral_constantIbLb0EES13_EEDaSY_SZ_EUlSY_E_NS1_11comp_targetILNS1_3genE10ELNS1_11target_archE1200ELNS1_3gpuE4ELNS1_3repE0EEENS1_30default_config_static_selectorELNS0_4arch9wavefront6targetE1EEEvT1_.kd
    .uniform_work_group_size: 1
    .uses_dynamic_stack: false
    .vgpr_count:     0
    .vgpr_spill_count: 0
    .wavefront_size: 64
  - .agpr_count:     0
    .args:
      - .offset:         0
        .size:           120
        .value_kind:     by_value
    .group_segment_fixed_size: 0
    .kernarg_segment_align: 8
    .kernarg_segment_size: 120
    .language:       OpenCL C
    .language_version:
      - 2
      - 0
    .max_flat_workgroup_size: 256
    .name:           _ZN7rocprim17ROCPRIM_400000_NS6detail17trampoline_kernelINS0_14default_configENS1_27scan_by_key_config_selectorIj11FixedVectorIiLj2EEEEZZNS1_16scan_by_key_implILNS1_25lookback_scan_determinismE0ELb0ES3_N6thrust23THRUST_200600_302600_NS6detail15normal_iteratorINSB_10device_ptrIjEEEENSD_INSE_IS6_EEEESI_S6_NSB_4plusIvEENSB_8equal_toIvEES6_EE10hipError_tPvRmT2_T3_T4_T5_mT6_T7_P12ihipStream_tbENKUlT_T0_E_clISt17integral_constantIbLb0EES13_EEDaSY_SZ_EUlSY_E_NS1_11comp_targetILNS1_3genE9ELNS1_11target_archE1100ELNS1_3gpuE3ELNS1_3repE0EEENS1_30default_config_static_selectorELNS0_4arch9wavefront6targetE1EEEvT1_
    .private_segment_fixed_size: 0
    .sgpr_count:     4
    .sgpr_spill_count: 0
    .symbol:         _ZN7rocprim17ROCPRIM_400000_NS6detail17trampoline_kernelINS0_14default_configENS1_27scan_by_key_config_selectorIj11FixedVectorIiLj2EEEEZZNS1_16scan_by_key_implILNS1_25lookback_scan_determinismE0ELb0ES3_N6thrust23THRUST_200600_302600_NS6detail15normal_iteratorINSB_10device_ptrIjEEEENSD_INSE_IS6_EEEESI_S6_NSB_4plusIvEENSB_8equal_toIvEES6_EE10hipError_tPvRmT2_T3_T4_T5_mT6_T7_P12ihipStream_tbENKUlT_T0_E_clISt17integral_constantIbLb0EES13_EEDaSY_SZ_EUlSY_E_NS1_11comp_targetILNS1_3genE9ELNS1_11target_archE1100ELNS1_3gpuE3ELNS1_3repE0EEENS1_30default_config_static_selectorELNS0_4arch9wavefront6targetE1EEEvT1_.kd
    .uniform_work_group_size: 1
    .uses_dynamic_stack: false
    .vgpr_count:     0
    .vgpr_spill_count: 0
    .wavefront_size: 64
  - .agpr_count:     0
    .args:
      - .offset:         0
        .size:           120
        .value_kind:     by_value
    .group_segment_fixed_size: 0
    .kernarg_segment_align: 8
    .kernarg_segment_size: 120
    .language:       OpenCL C
    .language_version:
      - 2
      - 0
    .max_flat_workgroup_size: 256
    .name:           _ZN7rocprim17ROCPRIM_400000_NS6detail17trampoline_kernelINS0_14default_configENS1_27scan_by_key_config_selectorIj11FixedVectorIiLj2EEEEZZNS1_16scan_by_key_implILNS1_25lookback_scan_determinismE0ELb0ES3_N6thrust23THRUST_200600_302600_NS6detail15normal_iteratorINSB_10device_ptrIjEEEENSD_INSE_IS6_EEEESI_S6_NSB_4plusIvEENSB_8equal_toIvEES6_EE10hipError_tPvRmT2_T3_T4_T5_mT6_T7_P12ihipStream_tbENKUlT_T0_E_clISt17integral_constantIbLb0EES13_EEDaSY_SZ_EUlSY_E_NS1_11comp_targetILNS1_3genE8ELNS1_11target_archE1030ELNS1_3gpuE2ELNS1_3repE0EEENS1_30default_config_static_selectorELNS0_4arch9wavefront6targetE1EEEvT1_
    .private_segment_fixed_size: 0
    .sgpr_count:     4
    .sgpr_spill_count: 0
    .symbol:         _ZN7rocprim17ROCPRIM_400000_NS6detail17trampoline_kernelINS0_14default_configENS1_27scan_by_key_config_selectorIj11FixedVectorIiLj2EEEEZZNS1_16scan_by_key_implILNS1_25lookback_scan_determinismE0ELb0ES3_N6thrust23THRUST_200600_302600_NS6detail15normal_iteratorINSB_10device_ptrIjEEEENSD_INSE_IS6_EEEESI_S6_NSB_4plusIvEENSB_8equal_toIvEES6_EE10hipError_tPvRmT2_T3_T4_T5_mT6_T7_P12ihipStream_tbENKUlT_T0_E_clISt17integral_constantIbLb0EES13_EEDaSY_SZ_EUlSY_E_NS1_11comp_targetILNS1_3genE8ELNS1_11target_archE1030ELNS1_3gpuE2ELNS1_3repE0EEENS1_30default_config_static_selectorELNS0_4arch9wavefront6targetE1EEEvT1_.kd
    .uniform_work_group_size: 1
    .uses_dynamic_stack: false
    .vgpr_count:     0
    .vgpr_spill_count: 0
    .wavefront_size: 64
  - .agpr_count:     0
    .args:
      - .address_space:  global
        .offset:         0
        .size:           8
        .value_kind:     global_buffer
      - .offset:         8
        .size:           4
        .value_kind:     by_value
      - .offset:         12
        .size:           4
        .value_kind:     by_value
      - .address_space:  global
        .offset:         16
        .size:           8
        .value_kind:     global_buffer
      - .address_space:  global
        .offset:         24
        .size:           8
        .value_kind:     global_buffer
      - .actual_access:  write_only
        .address_space:  global
        .offset:         32
        .size:           8
        .value_kind:     global_buffer
      - .offset:         40
        .size:           8
        .value_kind:     by_value
      - .offset:         48
        .size:           4
        .value_kind:     by_value
      - .address_space:  global
        .offset:         56
        .size:           8
        .value_kind:     global_buffer
      - .offset:         64
        .size:           4
        .value_kind:     hidden_block_count_x
      - .offset:         68
        .size:           4
        .value_kind:     hidden_block_count_y
      - .offset:         72
        .size:           4
        .value_kind:     hidden_block_count_z
      - .offset:         76
        .size:           2
        .value_kind:     hidden_group_size_x
      - .offset:         78
        .size:           2
        .value_kind:     hidden_group_size_y
      - .offset:         80
        .size:           2
        .value_kind:     hidden_group_size_z
      - .offset:         82
        .size:           2
        .value_kind:     hidden_remainder_x
      - .offset:         84
        .size:           2
        .value_kind:     hidden_remainder_y
      - .offset:         86
        .size:           2
        .value_kind:     hidden_remainder_z
      - .offset:         104
        .size:           8
        .value_kind:     hidden_global_offset_x
      - .offset:         112
        .size:           8
        .value_kind:     hidden_global_offset_y
      - .offset:         120
        .size:           8
        .value_kind:     hidden_global_offset_z
      - .offset:         128
        .size:           2
        .value_kind:     hidden_grid_dims
    .group_segment_fixed_size: 0
    .kernarg_segment_align: 8
    .kernarg_segment_size: 320
    .language:       OpenCL C
    .language_version:
      - 2
      - 0
    .max_flat_workgroup_size: 256
    .name:           _ZN7rocprim17ROCPRIM_400000_NS6detail30init_device_scan_by_key_kernelINS1_19lookback_scan_stateINS0_5tupleIJ11FixedVectorIiLj2EEbEEELb1ELb1EEEN6thrust23THRUST_200600_302600_NS6detail15normal_iteratorINSA_10device_ptrIjEEEEjNS1_16block_id_wrapperIjLb1EEEEEvT_jjPNSI_10value_typeET0_PNSt15iterator_traitsISL_E10value_typeEmT1_T2_
    .private_segment_fixed_size: 0
    .sgpr_count:     24
    .sgpr_spill_count: 0
    .symbol:         _ZN7rocprim17ROCPRIM_400000_NS6detail30init_device_scan_by_key_kernelINS1_19lookback_scan_stateINS0_5tupleIJ11FixedVectorIiLj2EEbEEELb1ELb1EEEN6thrust23THRUST_200600_302600_NS6detail15normal_iteratorINSA_10device_ptrIjEEEEjNS1_16block_id_wrapperIjLb1EEEEEvT_jjPNSI_10value_typeET0_PNSt15iterator_traitsISL_E10value_typeEmT1_T2_.kd
    .uniform_work_group_size: 1
    .uses_dynamic_stack: false
    .vgpr_count:     22
    .vgpr_spill_count: 0
    .wavefront_size: 64
  - .agpr_count:     0
    .args:
      - .address_space:  global
        .offset:         0
        .size:           8
        .value_kind:     global_buffer
      - .offset:         8
        .size:           4
        .value_kind:     by_value
      - .offset:         12
        .size:           4
        .value_kind:     by_value
      - .address_space:  global
        .offset:         16
        .size:           8
        .value_kind:     global_buffer
      - .address_space:  global
        .offset:         24
        .size:           8
        .value_kind:     global_buffer
      - .offset:         32
        .size:           4
        .value_kind:     hidden_block_count_x
      - .offset:         36
        .size:           4
        .value_kind:     hidden_block_count_y
      - .offset:         40
        .size:           4
        .value_kind:     hidden_block_count_z
      - .offset:         44
        .size:           2
        .value_kind:     hidden_group_size_x
      - .offset:         46
        .size:           2
        .value_kind:     hidden_group_size_y
      - .offset:         48
        .size:           2
        .value_kind:     hidden_group_size_z
      - .offset:         50
        .size:           2
        .value_kind:     hidden_remainder_x
      - .offset:         52
        .size:           2
        .value_kind:     hidden_remainder_y
      - .offset:         54
        .size:           2
        .value_kind:     hidden_remainder_z
      - .offset:         72
        .size:           8
        .value_kind:     hidden_global_offset_x
      - .offset:         80
        .size:           8
        .value_kind:     hidden_global_offset_y
      - .offset:         88
        .size:           8
        .value_kind:     hidden_global_offset_z
      - .offset:         96
        .size:           2
        .value_kind:     hidden_grid_dims
    .group_segment_fixed_size: 0
    .kernarg_segment_align: 8
    .kernarg_segment_size: 288
    .language:       OpenCL C
    .language_version:
      - 2
      - 0
    .max_flat_workgroup_size: 256
    .name:           _ZN7rocprim17ROCPRIM_400000_NS6detail30init_device_scan_by_key_kernelINS1_19lookback_scan_stateINS0_5tupleIJ11FixedVectorIiLj2EEbEEELb1ELb1EEENS1_16block_id_wrapperIjLb1EEEEEvT_jjPNSB_10value_typeET0_
    .private_segment_fixed_size: 0
    .sgpr_count:     20
    .sgpr_spill_count: 0
    .symbol:         _ZN7rocprim17ROCPRIM_400000_NS6detail30init_device_scan_by_key_kernelINS1_19lookback_scan_stateINS0_5tupleIJ11FixedVectorIiLj2EEbEEELb1ELb1EEENS1_16block_id_wrapperIjLb1EEEEEvT_jjPNSB_10value_typeET0_.kd
    .uniform_work_group_size: 1
    .uses_dynamic_stack: false
    .vgpr_count:     22
    .vgpr_spill_count: 0
    .wavefront_size: 64
  - .agpr_count:     0
    .args:
      - .offset:         0
        .size:           120
        .value_kind:     by_value
    .group_segment_fixed_size: 0
    .kernarg_segment_align: 8
    .kernarg_segment_size: 120
    .language:       OpenCL C
    .language_version:
      - 2
      - 0
    .max_flat_workgroup_size: 128
    .name:           _ZN7rocprim17ROCPRIM_400000_NS6detail17trampoline_kernelINS0_14default_configENS1_27scan_by_key_config_selectorIj11FixedVectorIiLj2EEEEZZNS1_16scan_by_key_implILNS1_25lookback_scan_determinismE0ELb0ES3_N6thrust23THRUST_200600_302600_NS6detail15normal_iteratorINSB_10device_ptrIjEEEENSD_INSE_IS6_EEEESI_S6_NSB_4plusIvEENSB_8equal_toIvEES6_EE10hipError_tPvRmT2_T3_T4_T5_mT6_T7_P12ihipStream_tbENKUlT_T0_E_clISt17integral_constantIbLb1EES13_EEDaSY_SZ_EUlSY_E_NS1_11comp_targetILNS1_3genE0ELNS1_11target_archE4294967295ELNS1_3gpuE0ELNS1_3repE0EEENS1_30default_config_static_selectorELNS0_4arch9wavefront6targetE1EEEvT1_
    .private_segment_fixed_size: 0
    .sgpr_count:     4
    .sgpr_spill_count: 0
    .symbol:         _ZN7rocprim17ROCPRIM_400000_NS6detail17trampoline_kernelINS0_14default_configENS1_27scan_by_key_config_selectorIj11FixedVectorIiLj2EEEEZZNS1_16scan_by_key_implILNS1_25lookback_scan_determinismE0ELb0ES3_N6thrust23THRUST_200600_302600_NS6detail15normal_iteratorINSB_10device_ptrIjEEEENSD_INSE_IS6_EEEESI_S6_NSB_4plusIvEENSB_8equal_toIvEES6_EE10hipError_tPvRmT2_T3_T4_T5_mT6_T7_P12ihipStream_tbENKUlT_T0_E_clISt17integral_constantIbLb1EES13_EEDaSY_SZ_EUlSY_E_NS1_11comp_targetILNS1_3genE0ELNS1_11target_archE4294967295ELNS1_3gpuE0ELNS1_3repE0EEENS1_30default_config_static_selectorELNS0_4arch9wavefront6targetE1EEEvT1_.kd
    .uniform_work_group_size: 1
    .uses_dynamic_stack: false
    .vgpr_count:     0
    .vgpr_spill_count: 0
    .wavefront_size: 64
  - .agpr_count:     0
    .args:
      - .offset:         0
        .size:           120
        .value_kind:     by_value
    .group_segment_fixed_size: 0
    .kernarg_segment_align: 8
    .kernarg_segment_size: 120
    .language:       OpenCL C
    .language_version:
      - 2
      - 0
    .max_flat_workgroup_size: 256
    .name:           _ZN7rocprim17ROCPRIM_400000_NS6detail17trampoline_kernelINS0_14default_configENS1_27scan_by_key_config_selectorIj11FixedVectorIiLj2EEEEZZNS1_16scan_by_key_implILNS1_25lookback_scan_determinismE0ELb0ES3_N6thrust23THRUST_200600_302600_NS6detail15normal_iteratorINSB_10device_ptrIjEEEENSD_INSE_IS6_EEEESI_S6_NSB_4plusIvEENSB_8equal_toIvEES6_EE10hipError_tPvRmT2_T3_T4_T5_mT6_T7_P12ihipStream_tbENKUlT_T0_E_clISt17integral_constantIbLb1EES13_EEDaSY_SZ_EUlSY_E_NS1_11comp_targetILNS1_3genE10ELNS1_11target_archE1201ELNS1_3gpuE5ELNS1_3repE0EEENS1_30default_config_static_selectorELNS0_4arch9wavefront6targetE1EEEvT1_
    .private_segment_fixed_size: 0
    .sgpr_count:     4
    .sgpr_spill_count: 0
    .symbol:         _ZN7rocprim17ROCPRIM_400000_NS6detail17trampoline_kernelINS0_14default_configENS1_27scan_by_key_config_selectorIj11FixedVectorIiLj2EEEEZZNS1_16scan_by_key_implILNS1_25lookback_scan_determinismE0ELb0ES3_N6thrust23THRUST_200600_302600_NS6detail15normal_iteratorINSB_10device_ptrIjEEEENSD_INSE_IS6_EEEESI_S6_NSB_4plusIvEENSB_8equal_toIvEES6_EE10hipError_tPvRmT2_T3_T4_T5_mT6_T7_P12ihipStream_tbENKUlT_T0_E_clISt17integral_constantIbLb1EES13_EEDaSY_SZ_EUlSY_E_NS1_11comp_targetILNS1_3genE10ELNS1_11target_archE1201ELNS1_3gpuE5ELNS1_3repE0EEENS1_30default_config_static_selectorELNS0_4arch9wavefront6targetE1EEEvT1_.kd
    .uniform_work_group_size: 1
    .uses_dynamic_stack: false
    .vgpr_count:     0
    .vgpr_spill_count: 0
    .wavefront_size: 64
  - .agpr_count:     0
    .args:
      - .offset:         0
        .size:           120
        .value_kind:     by_value
    .group_segment_fixed_size: 0
    .kernarg_segment_align: 8
    .kernarg_segment_size: 120
    .language:       OpenCL C
    .language_version:
      - 2
      - 0
    .max_flat_workgroup_size: 256
    .name:           _ZN7rocprim17ROCPRIM_400000_NS6detail17trampoline_kernelINS0_14default_configENS1_27scan_by_key_config_selectorIj11FixedVectorIiLj2EEEEZZNS1_16scan_by_key_implILNS1_25lookback_scan_determinismE0ELb0ES3_N6thrust23THRUST_200600_302600_NS6detail15normal_iteratorINSB_10device_ptrIjEEEENSD_INSE_IS6_EEEESI_S6_NSB_4plusIvEENSB_8equal_toIvEES6_EE10hipError_tPvRmT2_T3_T4_T5_mT6_T7_P12ihipStream_tbENKUlT_T0_E_clISt17integral_constantIbLb1EES13_EEDaSY_SZ_EUlSY_E_NS1_11comp_targetILNS1_3genE5ELNS1_11target_archE942ELNS1_3gpuE9ELNS1_3repE0EEENS1_30default_config_static_selectorELNS0_4arch9wavefront6targetE1EEEvT1_
    .private_segment_fixed_size: 0
    .sgpr_count:     4
    .sgpr_spill_count: 0
    .symbol:         _ZN7rocprim17ROCPRIM_400000_NS6detail17trampoline_kernelINS0_14default_configENS1_27scan_by_key_config_selectorIj11FixedVectorIiLj2EEEEZZNS1_16scan_by_key_implILNS1_25lookback_scan_determinismE0ELb0ES3_N6thrust23THRUST_200600_302600_NS6detail15normal_iteratorINSB_10device_ptrIjEEEENSD_INSE_IS6_EEEESI_S6_NSB_4plusIvEENSB_8equal_toIvEES6_EE10hipError_tPvRmT2_T3_T4_T5_mT6_T7_P12ihipStream_tbENKUlT_T0_E_clISt17integral_constantIbLb1EES13_EEDaSY_SZ_EUlSY_E_NS1_11comp_targetILNS1_3genE5ELNS1_11target_archE942ELNS1_3gpuE9ELNS1_3repE0EEENS1_30default_config_static_selectorELNS0_4arch9wavefront6targetE1EEEvT1_.kd
    .uniform_work_group_size: 1
    .uses_dynamic_stack: false
    .vgpr_count:     0
    .vgpr_spill_count: 0
    .wavefront_size: 64
  - .agpr_count:     0
    .args:
      - .offset:         0
        .size:           120
        .value_kind:     by_value
    .group_segment_fixed_size: 10752
    .kernarg_segment_align: 8
    .kernarg_segment_size: 120
    .language:       OpenCL C
    .language_version:
      - 2
      - 0
    .max_flat_workgroup_size: 64
    .name:           _ZN7rocprim17ROCPRIM_400000_NS6detail17trampoline_kernelINS0_14default_configENS1_27scan_by_key_config_selectorIj11FixedVectorIiLj2EEEEZZNS1_16scan_by_key_implILNS1_25lookback_scan_determinismE0ELb0ES3_N6thrust23THRUST_200600_302600_NS6detail15normal_iteratorINSB_10device_ptrIjEEEENSD_INSE_IS6_EEEESI_S6_NSB_4plusIvEENSB_8equal_toIvEES6_EE10hipError_tPvRmT2_T3_T4_T5_mT6_T7_P12ihipStream_tbENKUlT_T0_E_clISt17integral_constantIbLb1EES13_EEDaSY_SZ_EUlSY_E_NS1_11comp_targetILNS1_3genE4ELNS1_11target_archE910ELNS1_3gpuE8ELNS1_3repE0EEENS1_30default_config_static_selectorELNS0_4arch9wavefront6targetE1EEEvT1_
    .private_segment_fixed_size: 0
    .sgpr_count:     100
    .sgpr_spill_count: 4
    .symbol:         _ZN7rocprim17ROCPRIM_400000_NS6detail17trampoline_kernelINS0_14default_configENS1_27scan_by_key_config_selectorIj11FixedVectorIiLj2EEEEZZNS1_16scan_by_key_implILNS1_25lookback_scan_determinismE0ELb0ES3_N6thrust23THRUST_200600_302600_NS6detail15normal_iteratorINSB_10device_ptrIjEEEENSD_INSE_IS6_EEEESI_S6_NSB_4plusIvEENSB_8equal_toIvEES6_EE10hipError_tPvRmT2_T3_T4_T5_mT6_T7_P12ihipStream_tbENKUlT_T0_E_clISt17integral_constantIbLb1EES13_EEDaSY_SZ_EUlSY_E_NS1_11comp_targetILNS1_3genE4ELNS1_11target_archE910ELNS1_3gpuE8ELNS1_3repE0EEENS1_30default_config_static_selectorELNS0_4arch9wavefront6targetE1EEEvT1_.kd
    .uniform_work_group_size: 1
    .uses_dynamic_stack: false
    .vgpr_count:     135
    .vgpr_spill_count: 0
    .wavefront_size: 64
  - .agpr_count:     0
    .args:
      - .offset:         0
        .size:           120
        .value_kind:     by_value
    .group_segment_fixed_size: 0
    .kernarg_segment_align: 8
    .kernarg_segment_size: 120
    .language:       OpenCL C
    .language_version:
      - 2
      - 0
    .max_flat_workgroup_size: 128
    .name:           _ZN7rocprim17ROCPRIM_400000_NS6detail17trampoline_kernelINS0_14default_configENS1_27scan_by_key_config_selectorIj11FixedVectorIiLj2EEEEZZNS1_16scan_by_key_implILNS1_25lookback_scan_determinismE0ELb0ES3_N6thrust23THRUST_200600_302600_NS6detail15normal_iteratorINSB_10device_ptrIjEEEENSD_INSE_IS6_EEEESI_S6_NSB_4plusIvEENSB_8equal_toIvEES6_EE10hipError_tPvRmT2_T3_T4_T5_mT6_T7_P12ihipStream_tbENKUlT_T0_E_clISt17integral_constantIbLb1EES13_EEDaSY_SZ_EUlSY_E_NS1_11comp_targetILNS1_3genE3ELNS1_11target_archE908ELNS1_3gpuE7ELNS1_3repE0EEENS1_30default_config_static_selectorELNS0_4arch9wavefront6targetE1EEEvT1_
    .private_segment_fixed_size: 0
    .sgpr_count:     4
    .sgpr_spill_count: 0
    .symbol:         _ZN7rocprim17ROCPRIM_400000_NS6detail17trampoline_kernelINS0_14default_configENS1_27scan_by_key_config_selectorIj11FixedVectorIiLj2EEEEZZNS1_16scan_by_key_implILNS1_25lookback_scan_determinismE0ELb0ES3_N6thrust23THRUST_200600_302600_NS6detail15normal_iteratorINSB_10device_ptrIjEEEENSD_INSE_IS6_EEEESI_S6_NSB_4plusIvEENSB_8equal_toIvEES6_EE10hipError_tPvRmT2_T3_T4_T5_mT6_T7_P12ihipStream_tbENKUlT_T0_E_clISt17integral_constantIbLb1EES13_EEDaSY_SZ_EUlSY_E_NS1_11comp_targetILNS1_3genE3ELNS1_11target_archE908ELNS1_3gpuE7ELNS1_3repE0EEENS1_30default_config_static_selectorELNS0_4arch9wavefront6targetE1EEEvT1_.kd
    .uniform_work_group_size: 1
    .uses_dynamic_stack: false
    .vgpr_count:     0
    .vgpr_spill_count: 0
    .wavefront_size: 64
  - .agpr_count:     0
    .args:
      - .offset:         0
        .size:           120
        .value_kind:     by_value
    .group_segment_fixed_size: 0
    .kernarg_segment_align: 8
    .kernarg_segment_size: 120
    .language:       OpenCL C
    .language_version:
      - 2
      - 0
    .max_flat_workgroup_size: 64
    .name:           _ZN7rocprim17ROCPRIM_400000_NS6detail17trampoline_kernelINS0_14default_configENS1_27scan_by_key_config_selectorIj11FixedVectorIiLj2EEEEZZNS1_16scan_by_key_implILNS1_25lookback_scan_determinismE0ELb0ES3_N6thrust23THRUST_200600_302600_NS6detail15normal_iteratorINSB_10device_ptrIjEEEENSD_INSE_IS6_EEEESI_S6_NSB_4plusIvEENSB_8equal_toIvEES6_EE10hipError_tPvRmT2_T3_T4_T5_mT6_T7_P12ihipStream_tbENKUlT_T0_E_clISt17integral_constantIbLb1EES13_EEDaSY_SZ_EUlSY_E_NS1_11comp_targetILNS1_3genE2ELNS1_11target_archE906ELNS1_3gpuE6ELNS1_3repE0EEENS1_30default_config_static_selectorELNS0_4arch9wavefront6targetE1EEEvT1_
    .private_segment_fixed_size: 0
    .sgpr_count:     4
    .sgpr_spill_count: 0
    .symbol:         _ZN7rocprim17ROCPRIM_400000_NS6detail17trampoline_kernelINS0_14default_configENS1_27scan_by_key_config_selectorIj11FixedVectorIiLj2EEEEZZNS1_16scan_by_key_implILNS1_25lookback_scan_determinismE0ELb0ES3_N6thrust23THRUST_200600_302600_NS6detail15normal_iteratorINSB_10device_ptrIjEEEENSD_INSE_IS6_EEEESI_S6_NSB_4plusIvEENSB_8equal_toIvEES6_EE10hipError_tPvRmT2_T3_T4_T5_mT6_T7_P12ihipStream_tbENKUlT_T0_E_clISt17integral_constantIbLb1EES13_EEDaSY_SZ_EUlSY_E_NS1_11comp_targetILNS1_3genE2ELNS1_11target_archE906ELNS1_3gpuE6ELNS1_3repE0EEENS1_30default_config_static_selectorELNS0_4arch9wavefront6targetE1EEEvT1_.kd
    .uniform_work_group_size: 1
    .uses_dynamic_stack: false
    .vgpr_count:     0
    .vgpr_spill_count: 0
    .wavefront_size: 64
  - .agpr_count:     0
    .args:
      - .offset:         0
        .size:           120
        .value_kind:     by_value
    .group_segment_fixed_size: 0
    .kernarg_segment_align: 8
    .kernarg_segment_size: 120
    .language:       OpenCL C
    .language_version:
      - 2
      - 0
    .max_flat_workgroup_size: 256
    .name:           _ZN7rocprim17ROCPRIM_400000_NS6detail17trampoline_kernelINS0_14default_configENS1_27scan_by_key_config_selectorIj11FixedVectorIiLj2EEEEZZNS1_16scan_by_key_implILNS1_25lookback_scan_determinismE0ELb0ES3_N6thrust23THRUST_200600_302600_NS6detail15normal_iteratorINSB_10device_ptrIjEEEENSD_INSE_IS6_EEEESI_S6_NSB_4plusIvEENSB_8equal_toIvEES6_EE10hipError_tPvRmT2_T3_T4_T5_mT6_T7_P12ihipStream_tbENKUlT_T0_E_clISt17integral_constantIbLb1EES13_EEDaSY_SZ_EUlSY_E_NS1_11comp_targetILNS1_3genE10ELNS1_11target_archE1200ELNS1_3gpuE4ELNS1_3repE0EEENS1_30default_config_static_selectorELNS0_4arch9wavefront6targetE1EEEvT1_
    .private_segment_fixed_size: 0
    .sgpr_count:     4
    .sgpr_spill_count: 0
    .symbol:         _ZN7rocprim17ROCPRIM_400000_NS6detail17trampoline_kernelINS0_14default_configENS1_27scan_by_key_config_selectorIj11FixedVectorIiLj2EEEEZZNS1_16scan_by_key_implILNS1_25lookback_scan_determinismE0ELb0ES3_N6thrust23THRUST_200600_302600_NS6detail15normal_iteratorINSB_10device_ptrIjEEEENSD_INSE_IS6_EEEESI_S6_NSB_4plusIvEENSB_8equal_toIvEES6_EE10hipError_tPvRmT2_T3_T4_T5_mT6_T7_P12ihipStream_tbENKUlT_T0_E_clISt17integral_constantIbLb1EES13_EEDaSY_SZ_EUlSY_E_NS1_11comp_targetILNS1_3genE10ELNS1_11target_archE1200ELNS1_3gpuE4ELNS1_3repE0EEENS1_30default_config_static_selectorELNS0_4arch9wavefront6targetE1EEEvT1_.kd
    .uniform_work_group_size: 1
    .uses_dynamic_stack: false
    .vgpr_count:     0
    .vgpr_spill_count: 0
    .wavefront_size: 64
  - .agpr_count:     0
    .args:
      - .offset:         0
        .size:           120
        .value_kind:     by_value
    .group_segment_fixed_size: 0
    .kernarg_segment_align: 8
    .kernarg_segment_size: 120
    .language:       OpenCL C
    .language_version:
      - 2
      - 0
    .max_flat_workgroup_size: 256
    .name:           _ZN7rocprim17ROCPRIM_400000_NS6detail17trampoline_kernelINS0_14default_configENS1_27scan_by_key_config_selectorIj11FixedVectorIiLj2EEEEZZNS1_16scan_by_key_implILNS1_25lookback_scan_determinismE0ELb0ES3_N6thrust23THRUST_200600_302600_NS6detail15normal_iteratorINSB_10device_ptrIjEEEENSD_INSE_IS6_EEEESI_S6_NSB_4plusIvEENSB_8equal_toIvEES6_EE10hipError_tPvRmT2_T3_T4_T5_mT6_T7_P12ihipStream_tbENKUlT_T0_E_clISt17integral_constantIbLb1EES13_EEDaSY_SZ_EUlSY_E_NS1_11comp_targetILNS1_3genE9ELNS1_11target_archE1100ELNS1_3gpuE3ELNS1_3repE0EEENS1_30default_config_static_selectorELNS0_4arch9wavefront6targetE1EEEvT1_
    .private_segment_fixed_size: 0
    .sgpr_count:     4
    .sgpr_spill_count: 0
    .symbol:         _ZN7rocprim17ROCPRIM_400000_NS6detail17trampoline_kernelINS0_14default_configENS1_27scan_by_key_config_selectorIj11FixedVectorIiLj2EEEEZZNS1_16scan_by_key_implILNS1_25lookback_scan_determinismE0ELb0ES3_N6thrust23THRUST_200600_302600_NS6detail15normal_iteratorINSB_10device_ptrIjEEEENSD_INSE_IS6_EEEESI_S6_NSB_4plusIvEENSB_8equal_toIvEES6_EE10hipError_tPvRmT2_T3_T4_T5_mT6_T7_P12ihipStream_tbENKUlT_T0_E_clISt17integral_constantIbLb1EES13_EEDaSY_SZ_EUlSY_E_NS1_11comp_targetILNS1_3genE9ELNS1_11target_archE1100ELNS1_3gpuE3ELNS1_3repE0EEENS1_30default_config_static_selectorELNS0_4arch9wavefront6targetE1EEEvT1_.kd
    .uniform_work_group_size: 1
    .uses_dynamic_stack: false
    .vgpr_count:     0
    .vgpr_spill_count: 0
    .wavefront_size: 64
  - .agpr_count:     0
    .args:
      - .offset:         0
        .size:           120
        .value_kind:     by_value
    .group_segment_fixed_size: 0
    .kernarg_segment_align: 8
    .kernarg_segment_size: 120
    .language:       OpenCL C
    .language_version:
      - 2
      - 0
    .max_flat_workgroup_size: 256
    .name:           _ZN7rocprim17ROCPRIM_400000_NS6detail17trampoline_kernelINS0_14default_configENS1_27scan_by_key_config_selectorIj11FixedVectorIiLj2EEEEZZNS1_16scan_by_key_implILNS1_25lookback_scan_determinismE0ELb0ES3_N6thrust23THRUST_200600_302600_NS6detail15normal_iteratorINSB_10device_ptrIjEEEENSD_INSE_IS6_EEEESI_S6_NSB_4plusIvEENSB_8equal_toIvEES6_EE10hipError_tPvRmT2_T3_T4_T5_mT6_T7_P12ihipStream_tbENKUlT_T0_E_clISt17integral_constantIbLb1EES13_EEDaSY_SZ_EUlSY_E_NS1_11comp_targetILNS1_3genE8ELNS1_11target_archE1030ELNS1_3gpuE2ELNS1_3repE0EEENS1_30default_config_static_selectorELNS0_4arch9wavefront6targetE1EEEvT1_
    .private_segment_fixed_size: 0
    .sgpr_count:     4
    .sgpr_spill_count: 0
    .symbol:         _ZN7rocprim17ROCPRIM_400000_NS6detail17trampoline_kernelINS0_14default_configENS1_27scan_by_key_config_selectorIj11FixedVectorIiLj2EEEEZZNS1_16scan_by_key_implILNS1_25lookback_scan_determinismE0ELb0ES3_N6thrust23THRUST_200600_302600_NS6detail15normal_iteratorINSB_10device_ptrIjEEEENSD_INSE_IS6_EEEESI_S6_NSB_4plusIvEENSB_8equal_toIvEES6_EE10hipError_tPvRmT2_T3_T4_T5_mT6_T7_P12ihipStream_tbENKUlT_T0_E_clISt17integral_constantIbLb1EES13_EEDaSY_SZ_EUlSY_E_NS1_11comp_targetILNS1_3genE8ELNS1_11target_archE1030ELNS1_3gpuE2ELNS1_3repE0EEENS1_30default_config_static_selectorELNS0_4arch9wavefront6targetE1EEEvT1_.kd
    .uniform_work_group_size: 1
    .uses_dynamic_stack: false
    .vgpr_count:     0
    .vgpr_spill_count: 0
    .wavefront_size: 64
  - .agpr_count:     0
    .args:
      - .address_space:  global
        .offset:         0
        .size:           8
        .value_kind:     global_buffer
      - .offset:         8
        .size:           4
        .value_kind:     by_value
      - .offset:         12
        .size:           4
        .value_kind:     by_value
      - .address_space:  global
        .offset:         16
        .size:           8
        .value_kind:     global_buffer
      - .address_space:  global
        .offset:         24
        .size:           8
        .value_kind:     global_buffer
      - .actual_access:  write_only
        .address_space:  global
        .offset:         32
        .size:           8
        .value_kind:     global_buffer
      - .offset:         40
        .size:           8
        .value_kind:     by_value
      - .offset:         48
        .size:           4
        .value_kind:     by_value
      - .offset:         52
        .size:           1
        .value_kind:     by_value
      - .offset:         56
        .size:           4
        .value_kind:     hidden_block_count_x
      - .offset:         60
        .size:           4
        .value_kind:     hidden_block_count_y
      - .offset:         64
        .size:           4
        .value_kind:     hidden_block_count_z
      - .offset:         68
        .size:           2
        .value_kind:     hidden_group_size_x
      - .offset:         70
        .size:           2
        .value_kind:     hidden_group_size_y
      - .offset:         72
        .size:           2
        .value_kind:     hidden_group_size_z
      - .offset:         74
        .size:           2
        .value_kind:     hidden_remainder_x
      - .offset:         76
        .size:           2
        .value_kind:     hidden_remainder_y
      - .offset:         78
        .size:           2
        .value_kind:     hidden_remainder_z
      - .offset:         96
        .size:           8
        .value_kind:     hidden_global_offset_x
      - .offset:         104
        .size:           8
        .value_kind:     hidden_global_offset_y
      - .offset:         112
        .size:           8
        .value_kind:     hidden_global_offset_z
      - .offset:         120
        .size:           2
        .value_kind:     hidden_grid_dims
    .group_segment_fixed_size: 0
    .kernarg_segment_align: 8
    .kernarg_segment_size: 312
    .language:       OpenCL C
    .language_version:
      - 2
      - 0
    .max_flat_workgroup_size: 256
    .name:           _ZN7rocprim17ROCPRIM_400000_NS6detail30init_device_scan_by_key_kernelINS1_19lookback_scan_stateINS0_5tupleIJ11FixedVectorIiLj2EEbEEELb1ELb1EEEN6thrust23THRUST_200600_302600_NS6detail15normal_iteratorINSA_10device_ptrIjEEEEjNS1_16block_id_wrapperIjLb0EEEEEvT_jjPNSI_10value_typeET0_PNSt15iterator_traitsISL_E10value_typeEmT1_T2_
    .private_segment_fixed_size: 0
    .sgpr_count:     24
    .sgpr_spill_count: 0
    .symbol:         _ZN7rocprim17ROCPRIM_400000_NS6detail30init_device_scan_by_key_kernelINS1_19lookback_scan_stateINS0_5tupleIJ11FixedVectorIiLj2EEbEEELb1ELb1EEEN6thrust23THRUST_200600_302600_NS6detail15normal_iteratorINSA_10device_ptrIjEEEEjNS1_16block_id_wrapperIjLb0EEEEEvT_jjPNSI_10value_typeET0_PNSt15iterator_traitsISL_E10value_typeEmT1_T2_.kd
    .uniform_work_group_size: 1
    .uses_dynamic_stack: false
    .vgpr_count:     22
    .vgpr_spill_count: 0
    .wavefront_size: 64
  - .agpr_count:     0
    .args:
      - .address_space:  global
        .offset:         0
        .size:           8
        .value_kind:     global_buffer
      - .offset:         8
        .size:           4
        .value_kind:     by_value
      - .offset:         12
        .size:           4
        .value_kind:     by_value
      - .address_space:  global
        .offset:         16
        .size:           8
        .value_kind:     global_buffer
      - .offset:         24
        .size:           1
        .value_kind:     by_value
      - .offset:         32
        .size:           4
        .value_kind:     hidden_block_count_x
      - .offset:         36
        .size:           4
        .value_kind:     hidden_block_count_y
      - .offset:         40
        .size:           4
        .value_kind:     hidden_block_count_z
      - .offset:         44
        .size:           2
        .value_kind:     hidden_group_size_x
      - .offset:         46
        .size:           2
        .value_kind:     hidden_group_size_y
      - .offset:         48
        .size:           2
        .value_kind:     hidden_group_size_z
      - .offset:         50
        .size:           2
        .value_kind:     hidden_remainder_x
      - .offset:         52
        .size:           2
        .value_kind:     hidden_remainder_y
      - .offset:         54
        .size:           2
        .value_kind:     hidden_remainder_z
      - .offset:         72
        .size:           8
        .value_kind:     hidden_global_offset_x
      - .offset:         80
        .size:           8
        .value_kind:     hidden_global_offset_y
      - .offset:         88
        .size:           8
        .value_kind:     hidden_global_offset_z
      - .offset:         96
        .size:           2
        .value_kind:     hidden_grid_dims
    .group_segment_fixed_size: 0
    .kernarg_segment_align: 8
    .kernarg_segment_size: 288
    .language:       OpenCL C
    .language_version:
      - 2
      - 0
    .max_flat_workgroup_size: 256
    .name:           _ZN7rocprim17ROCPRIM_400000_NS6detail30init_device_scan_by_key_kernelINS1_19lookback_scan_stateINS0_5tupleIJ11FixedVectorIiLj2EEbEEELb1ELb1EEENS1_16block_id_wrapperIjLb0EEEEEvT_jjPNSB_10value_typeET0_
    .private_segment_fixed_size: 0
    .sgpr_count:     18
    .sgpr_spill_count: 0
    .symbol:         _ZN7rocprim17ROCPRIM_400000_NS6detail30init_device_scan_by_key_kernelINS1_19lookback_scan_stateINS0_5tupleIJ11FixedVectorIiLj2EEbEEELb1ELb1EEENS1_16block_id_wrapperIjLb0EEEEEvT_jjPNSB_10value_typeET0_.kd
    .uniform_work_group_size: 1
    .uses_dynamic_stack: false
    .vgpr_count:     22
    .vgpr_spill_count: 0
    .wavefront_size: 64
  - .agpr_count:     0
    .args:
      - .offset:         0
        .size:           120
        .value_kind:     by_value
    .group_segment_fixed_size: 0
    .kernarg_segment_align: 8
    .kernarg_segment_size: 120
    .language:       OpenCL C
    .language_version:
      - 2
      - 0
    .max_flat_workgroup_size: 128
    .name:           _ZN7rocprim17ROCPRIM_400000_NS6detail17trampoline_kernelINS0_14default_configENS1_27scan_by_key_config_selectorIj11FixedVectorIiLj2EEEEZZNS1_16scan_by_key_implILNS1_25lookback_scan_determinismE0ELb0ES3_N6thrust23THRUST_200600_302600_NS6detail15normal_iteratorINSB_10device_ptrIjEEEENSD_INSE_IS6_EEEESI_S6_NSB_4plusIvEENSB_8equal_toIvEES6_EE10hipError_tPvRmT2_T3_T4_T5_mT6_T7_P12ihipStream_tbENKUlT_T0_E_clISt17integral_constantIbLb1EES12_IbLb0EEEEDaSY_SZ_EUlSY_E_NS1_11comp_targetILNS1_3genE0ELNS1_11target_archE4294967295ELNS1_3gpuE0ELNS1_3repE0EEENS1_30default_config_static_selectorELNS0_4arch9wavefront6targetE1EEEvT1_
    .private_segment_fixed_size: 0
    .sgpr_count:     4
    .sgpr_spill_count: 0
    .symbol:         _ZN7rocprim17ROCPRIM_400000_NS6detail17trampoline_kernelINS0_14default_configENS1_27scan_by_key_config_selectorIj11FixedVectorIiLj2EEEEZZNS1_16scan_by_key_implILNS1_25lookback_scan_determinismE0ELb0ES3_N6thrust23THRUST_200600_302600_NS6detail15normal_iteratorINSB_10device_ptrIjEEEENSD_INSE_IS6_EEEESI_S6_NSB_4plusIvEENSB_8equal_toIvEES6_EE10hipError_tPvRmT2_T3_T4_T5_mT6_T7_P12ihipStream_tbENKUlT_T0_E_clISt17integral_constantIbLb1EES12_IbLb0EEEEDaSY_SZ_EUlSY_E_NS1_11comp_targetILNS1_3genE0ELNS1_11target_archE4294967295ELNS1_3gpuE0ELNS1_3repE0EEENS1_30default_config_static_selectorELNS0_4arch9wavefront6targetE1EEEvT1_.kd
    .uniform_work_group_size: 1
    .uses_dynamic_stack: false
    .vgpr_count:     0
    .vgpr_spill_count: 0
    .wavefront_size: 64
  - .agpr_count:     0
    .args:
      - .offset:         0
        .size:           120
        .value_kind:     by_value
    .group_segment_fixed_size: 0
    .kernarg_segment_align: 8
    .kernarg_segment_size: 120
    .language:       OpenCL C
    .language_version:
      - 2
      - 0
    .max_flat_workgroup_size: 256
    .name:           _ZN7rocprim17ROCPRIM_400000_NS6detail17trampoline_kernelINS0_14default_configENS1_27scan_by_key_config_selectorIj11FixedVectorIiLj2EEEEZZNS1_16scan_by_key_implILNS1_25lookback_scan_determinismE0ELb0ES3_N6thrust23THRUST_200600_302600_NS6detail15normal_iteratorINSB_10device_ptrIjEEEENSD_INSE_IS6_EEEESI_S6_NSB_4plusIvEENSB_8equal_toIvEES6_EE10hipError_tPvRmT2_T3_T4_T5_mT6_T7_P12ihipStream_tbENKUlT_T0_E_clISt17integral_constantIbLb1EES12_IbLb0EEEEDaSY_SZ_EUlSY_E_NS1_11comp_targetILNS1_3genE10ELNS1_11target_archE1201ELNS1_3gpuE5ELNS1_3repE0EEENS1_30default_config_static_selectorELNS0_4arch9wavefront6targetE1EEEvT1_
    .private_segment_fixed_size: 0
    .sgpr_count:     4
    .sgpr_spill_count: 0
    .symbol:         _ZN7rocprim17ROCPRIM_400000_NS6detail17trampoline_kernelINS0_14default_configENS1_27scan_by_key_config_selectorIj11FixedVectorIiLj2EEEEZZNS1_16scan_by_key_implILNS1_25lookback_scan_determinismE0ELb0ES3_N6thrust23THRUST_200600_302600_NS6detail15normal_iteratorINSB_10device_ptrIjEEEENSD_INSE_IS6_EEEESI_S6_NSB_4plusIvEENSB_8equal_toIvEES6_EE10hipError_tPvRmT2_T3_T4_T5_mT6_T7_P12ihipStream_tbENKUlT_T0_E_clISt17integral_constantIbLb1EES12_IbLb0EEEEDaSY_SZ_EUlSY_E_NS1_11comp_targetILNS1_3genE10ELNS1_11target_archE1201ELNS1_3gpuE5ELNS1_3repE0EEENS1_30default_config_static_selectorELNS0_4arch9wavefront6targetE1EEEvT1_.kd
    .uniform_work_group_size: 1
    .uses_dynamic_stack: false
    .vgpr_count:     0
    .vgpr_spill_count: 0
    .wavefront_size: 64
  - .agpr_count:     0
    .args:
      - .offset:         0
        .size:           120
        .value_kind:     by_value
    .group_segment_fixed_size: 0
    .kernarg_segment_align: 8
    .kernarg_segment_size: 120
    .language:       OpenCL C
    .language_version:
      - 2
      - 0
    .max_flat_workgroup_size: 256
    .name:           _ZN7rocprim17ROCPRIM_400000_NS6detail17trampoline_kernelINS0_14default_configENS1_27scan_by_key_config_selectorIj11FixedVectorIiLj2EEEEZZNS1_16scan_by_key_implILNS1_25lookback_scan_determinismE0ELb0ES3_N6thrust23THRUST_200600_302600_NS6detail15normal_iteratorINSB_10device_ptrIjEEEENSD_INSE_IS6_EEEESI_S6_NSB_4plusIvEENSB_8equal_toIvEES6_EE10hipError_tPvRmT2_T3_T4_T5_mT6_T7_P12ihipStream_tbENKUlT_T0_E_clISt17integral_constantIbLb1EES12_IbLb0EEEEDaSY_SZ_EUlSY_E_NS1_11comp_targetILNS1_3genE5ELNS1_11target_archE942ELNS1_3gpuE9ELNS1_3repE0EEENS1_30default_config_static_selectorELNS0_4arch9wavefront6targetE1EEEvT1_
    .private_segment_fixed_size: 0
    .sgpr_count:     4
    .sgpr_spill_count: 0
    .symbol:         _ZN7rocprim17ROCPRIM_400000_NS6detail17trampoline_kernelINS0_14default_configENS1_27scan_by_key_config_selectorIj11FixedVectorIiLj2EEEEZZNS1_16scan_by_key_implILNS1_25lookback_scan_determinismE0ELb0ES3_N6thrust23THRUST_200600_302600_NS6detail15normal_iteratorINSB_10device_ptrIjEEEENSD_INSE_IS6_EEEESI_S6_NSB_4plusIvEENSB_8equal_toIvEES6_EE10hipError_tPvRmT2_T3_T4_T5_mT6_T7_P12ihipStream_tbENKUlT_T0_E_clISt17integral_constantIbLb1EES12_IbLb0EEEEDaSY_SZ_EUlSY_E_NS1_11comp_targetILNS1_3genE5ELNS1_11target_archE942ELNS1_3gpuE9ELNS1_3repE0EEENS1_30default_config_static_selectorELNS0_4arch9wavefront6targetE1EEEvT1_.kd
    .uniform_work_group_size: 1
    .uses_dynamic_stack: false
    .vgpr_count:     0
    .vgpr_spill_count: 0
    .wavefront_size: 64
  - .agpr_count:     0
    .args:
      - .offset:         0
        .size:           120
        .value_kind:     by_value
    .group_segment_fixed_size: 10752
    .kernarg_segment_align: 8
    .kernarg_segment_size: 120
    .language:       OpenCL C
    .language_version:
      - 2
      - 0
    .max_flat_workgroup_size: 64
    .name:           _ZN7rocprim17ROCPRIM_400000_NS6detail17trampoline_kernelINS0_14default_configENS1_27scan_by_key_config_selectorIj11FixedVectorIiLj2EEEEZZNS1_16scan_by_key_implILNS1_25lookback_scan_determinismE0ELb0ES3_N6thrust23THRUST_200600_302600_NS6detail15normal_iteratorINSB_10device_ptrIjEEEENSD_INSE_IS6_EEEESI_S6_NSB_4plusIvEENSB_8equal_toIvEES6_EE10hipError_tPvRmT2_T3_T4_T5_mT6_T7_P12ihipStream_tbENKUlT_T0_E_clISt17integral_constantIbLb1EES12_IbLb0EEEEDaSY_SZ_EUlSY_E_NS1_11comp_targetILNS1_3genE4ELNS1_11target_archE910ELNS1_3gpuE8ELNS1_3repE0EEENS1_30default_config_static_selectorELNS0_4arch9wavefront6targetE1EEEvT1_
    .private_segment_fixed_size: 0
    .sgpr_count:     100
    .sgpr_spill_count: 8
    .symbol:         _ZN7rocprim17ROCPRIM_400000_NS6detail17trampoline_kernelINS0_14default_configENS1_27scan_by_key_config_selectorIj11FixedVectorIiLj2EEEEZZNS1_16scan_by_key_implILNS1_25lookback_scan_determinismE0ELb0ES3_N6thrust23THRUST_200600_302600_NS6detail15normal_iteratorINSB_10device_ptrIjEEEENSD_INSE_IS6_EEEESI_S6_NSB_4plusIvEENSB_8equal_toIvEES6_EE10hipError_tPvRmT2_T3_T4_T5_mT6_T7_P12ihipStream_tbENKUlT_T0_E_clISt17integral_constantIbLb1EES12_IbLb0EEEEDaSY_SZ_EUlSY_E_NS1_11comp_targetILNS1_3genE4ELNS1_11target_archE910ELNS1_3gpuE8ELNS1_3repE0EEENS1_30default_config_static_selectorELNS0_4arch9wavefront6targetE1EEEvT1_.kd
    .uniform_work_group_size: 1
    .uses_dynamic_stack: false
    .vgpr_count:     135
    .vgpr_spill_count: 0
    .wavefront_size: 64
  - .agpr_count:     0
    .args:
      - .offset:         0
        .size:           120
        .value_kind:     by_value
    .group_segment_fixed_size: 0
    .kernarg_segment_align: 8
    .kernarg_segment_size: 120
    .language:       OpenCL C
    .language_version:
      - 2
      - 0
    .max_flat_workgroup_size: 128
    .name:           _ZN7rocprim17ROCPRIM_400000_NS6detail17trampoline_kernelINS0_14default_configENS1_27scan_by_key_config_selectorIj11FixedVectorIiLj2EEEEZZNS1_16scan_by_key_implILNS1_25lookback_scan_determinismE0ELb0ES3_N6thrust23THRUST_200600_302600_NS6detail15normal_iteratorINSB_10device_ptrIjEEEENSD_INSE_IS6_EEEESI_S6_NSB_4plusIvEENSB_8equal_toIvEES6_EE10hipError_tPvRmT2_T3_T4_T5_mT6_T7_P12ihipStream_tbENKUlT_T0_E_clISt17integral_constantIbLb1EES12_IbLb0EEEEDaSY_SZ_EUlSY_E_NS1_11comp_targetILNS1_3genE3ELNS1_11target_archE908ELNS1_3gpuE7ELNS1_3repE0EEENS1_30default_config_static_selectorELNS0_4arch9wavefront6targetE1EEEvT1_
    .private_segment_fixed_size: 0
    .sgpr_count:     4
    .sgpr_spill_count: 0
    .symbol:         _ZN7rocprim17ROCPRIM_400000_NS6detail17trampoline_kernelINS0_14default_configENS1_27scan_by_key_config_selectorIj11FixedVectorIiLj2EEEEZZNS1_16scan_by_key_implILNS1_25lookback_scan_determinismE0ELb0ES3_N6thrust23THRUST_200600_302600_NS6detail15normal_iteratorINSB_10device_ptrIjEEEENSD_INSE_IS6_EEEESI_S6_NSB_4plusIvEENSB_8equal_toIvEES6_EE10hipError_tPvRmT2_T3_T4_T5_mT6_T7_P12ihipStream_tbENKUlT_T0_E_clISt17integral_constantIbLb1EES12_IbLb0EEEEDaSY_SZ_EUlSY_E_NS1_11comp_targetILNS1_3genE3ELNS1_11target_archE908ELNS1_3gpuE7ELNS1_3repE0EEENS1_30default_config_static_selectorELNS0_4arch9wavefront6targetE1EEEvT1_.kd
    .uniform_work_group_size: 1
    .uses_dynamic_stack: false
    .vgpr_count:     0
    .vgpr_spill_count: 0
    .wavefront_size: 64
  - .agpr_count:     0
    .args:
      - .offset:         0
        .size:           120
        .value_kind:     by_value
    .group_segment_fixed_size: 0
    .kernarg_segment_align: 8
    .kernarg_segment_size: 120
    .language:       OpenCL C
    .language_version:
      - 2
      - 0
    .max_flat_workgroup_size: 64
    .name:           _ZN7rocprim17ROCPRIM_400000_NS6detail17trampoline_kernelINS0_14default_configENS1_27scan_by_key_config_selectorIj11FixedVectorIiLj2EEEEZZNS1_16scan_by_key_implILNS1_25lookback_scan_determinismE0ELb0ES3_N6thrust23THRUST_200600_302600_NS6detail15normal_iteratorINSB_10device_ptrIjEEEENSD_INSE_IS6_EEEESI_S6_NSB_4plusIvEENSB_8equal_toIvEES6_EE10hipError_tPvRmT2_T3_T4_T5_mT6_T7_P12ihipStream_tbENKUlT_T0_E_clISt17integral_constantIbLb1EES12_IbLb0EEEEDaSY_SZ_EUlSY_E_NS1_11comp_targetILNS1_3genE2ELNS1_11target_archE906ELNS1_3gpuE6ELNS1_3repE0EEENS1_30default_config_static_selectorELNS0_4arch9wavefront6targetE1EEEvT1_
    .private_segment_fixed_size: 0
    .sgpr_count:     4
    .sgpr_spill_count: 0
    .symbol:         _ZN7rocprim17ROCPRIM_400000_NS6detail17trampoline_kernelINS0_14default_configENS1_27scan_by_key_config_selectorIj11FixedVectorIiLj2EEEEZZNS1_16scan_by_key_implILNS1_25lookback_scan_determinismE0ELb0ES3_N6thrust23THRUST_200600_302600_NS6detail15normal_iteratorINSB_10device_ptrIjEEEENSD_INSE_IS6_EEEESI_S6_NSB_4plusIvEENSB_8equal_toIvEES6_EE10hipError_tPvRmT2_T3_T4_T5_mT6_T7_P12ihipStream_tbENKUlT_T0_E_clISt17integral_constantIbLb1EES12_IbLb0EEEEDaSY_SZ_EUlSY_E_NS1_11comp_targetILNS1_3genE2ELNS1_11target_archE906ELNS1_3gpuE6ELNS1_3repE0EEENS1_30default_config_static_selectorELNS0_4arch9wavefront6targetE1EEEvT1_.kd
    .uniform_work_group_size: 1
    .uses_dynamic_stack: false
    .vgpr_count:     0
    .vgpr_spill_count: 0
    .wavefront_size: 64
  - .agpr_count:     0
    .args:
      - .offset:         0
        .size:           120
        .value_kind:     by_value
    .group_segment_fixed_size: 0
    .kernarg_segment_align: 8
    .kernarg_segment_size: 120
    .language:       OpenCL C
    .language_version:
      - 2
      - 0
    .max_flat_workgroup_size: 256
    .name:           _ZN7rocprim17ROCPRIM_400000_NS6detail17trampoline_kernelINS0_14default_configENS1_27scan_by_key_config_selectorIj11FixedVectorIiLj2EEEEZZNS1_16scan_by_key_implILNS1_25lookback_scan_determinismE0ELb0ES3_N6thrust23THRUST_200600_302600_NS6detail15normal_iteratorINSB_10device_ptrIjEEEENSD_INSE_IS6_EEEESI_S6_NSB_4plusIvEENSB_8equal_toIvEES6_EE10hipError_tPvRmT2_T3_T4_T5_mT6_T7_P12ihipStream_tbENKUlT_T0_E_clISt17integral_constantIbLb1EES12_IbLb0EEEEDaSY_SZ_EUlSY_E_NS1_11comp_targetILNS1_3genE10ELNS1_11target_archE1200ELNS1_3gpuE4ELNS1_3repE0EEENS1_30default_config_static_selectorELNS0_4arch9wavefront6targetE1EEEvT1_
    .private_segment_fixed_size: 0
    .sgpr_count:     4
    .sgpr_spill_count: 0
    .symbol:         _ZN7rocprim17ROCPRIM_400000_NS6detail17trampoline_kernelINS0_14default_configENS1_27scan_by_key_config_selectorIj11FixedVectorIiLj2EEEEZZNS1_16scan_by_key_implILNS1_25lookback_scan_determinismE0ELb0ES3_N6thrust23THRUST_200600_302600_NS6detail15normal_iteratorINSB_10device_ptrIjEEEENSD_INSE_IS6_EEEESI_S6_NSB_4plusIvEENSB_8equal_toIvEES6_EE10hipError_tPvRmT2_T3_T4_T5_mT6_T7_P12ihipStream_tbENKUlT_T0_E_clISt17integral_constantIbLb1EES12_IbLb0EEEEDaSY_SZ_EUlSY_E_NS1_11comp_targetILNS1_3genE10ELNS1_11target_archE1200ELNS1_3gpuE4ELNS1_3repE0EEENS1_30default_config_static_selectorELNS0_4arch9wavefront6targetE1EEEvT1_.kd
    .uniform_work_group_size: 1
    .uses_dynamic_stack: false
    .vgpr_count:     0
    .vgpr_spill_count: 0
    .wavefront_size: 64
  - .agpr_count:     0
    .args:
      - .offset:         0
        .size:           120
        .value_kind:     by_value
    .group_segment_fixed_size: 0
    .kernarg_segment_align: 8
    .kernarg_segment_size: 120
    .language:       OpenCL C
    .language_version:
      - 2
      - 0
    .max_flat_workgroup_size: 256
    .name:           _ZN7rocprim17ROCPRIM_400000_NS6detail17trampoline_kernelINS0_14default_configENS1_27scan_by_key_config_selectorIj11FixedVectorIiLj2EEEEZZNS1_16scan_by_key_implILNS1_25lookback_scan_determinismE0ELb0ES3_N6thrust23THRUST_200600_302600_NS6detail15normal_iteratorINSB_10device_ptrIjEEEENSD_INSE_IS6_EEEESI_S6_NSB_4plusIvEENSB_8equal_toIvEES6_EE10hipError_tPvRmT2_T3_T4_T5_mT6_T7_P12ihipStream_tbENKUlT_T0_E_clISt17integral_constantIbLb1EES12_IbLb0EEEEDaSY_SZ_EUlSY_E_NS1_11comp_targetILNS1_3genE9ELNS1_11target_archE1100ELNS1_3gpuE3ELNS1_3repE0EEENS1_30default_config_static_selectorELNS0_4arch9wavefront6targetE1EEEvT1_
    .private_segment_fixed_size: 0
    .sgpr_count:     4
    .sgpr_spill_count: 0
    .symbol:         _ZN7rocprim17ROCPRIM_400000_NS6detail17trampoline_kernelINS0_14default_configENS1_27scan_by_key_config_selectorIj11FixedVectorIiLj2EEEEZZNS1_16scan_by_key_implILNS1_25lookback_scan_determinismE0ELb0ES3_N6thrust23THRUST_200600_302600_NS6detail15normal_iteratorINSB_10device_ptrIjEEEENSD_INSE_IS6_EEEESI_S6_NSB_4plusIvEENSB_8equal_toIvEES6_EE10hipError_tPvRmT2_T3_T4_T5_mT6_T7_P12ihipStream_tbENKUlT_T0_E_clISt17integral_constantIbLb1EES12_IbLb0EEEEDaSY_SZ_EUlSY_E_NS1_11comp_targetILNS1_3genE9ELNS1_11target_archE1100ELNS1_3gpuE3ELNS1_3repE0EEENS1_30default_config_static_selectorELNS0_4arch9wavefront6targetE1EEEvT1_.kd
    .uniform_work_group_size: 1
    .uses_dynamic_stack: false
    .vgpr_count:     0
    .vgpr_spill_count: 0
    .wavefront_size: 64
  - .agpr_count:     0
    .args:
      - .offset:         0
        .size:           120
        .value_kind:     by_value
    .group_segment_fixed_size: 0
    .kernarg_segment_align: 8
    .kernarg_segment_size: 120
    .language:       OpenCL C
    .language_version:
      - 2
      - 0
    .max_flat_workgroup_size: 256
    .name:           _ZN7rocprim17ROCPRIM_400000_NS6detail17trampoline_kernelINS0_14default_configENS1_27scan_by_key_config_selectorIj11FixedVectorIiLj2EEEEZZNS1_16scan_by_key_implILNS1_25lookback_scan_determinismE0ELb0ES3_N6thrust23THRUST_200600_302600_NS6detail15normal_iteratorINSB_10device_ptrIjEEEENSD_INSE_IS6_EEEESI_S6_NSB_4plusIvEENSB_8equal_toIvEES6_EE10hipError_tPvRmT2_T3_T4_T5_mT6_T7_P12ihipStream_tbENKUlT_T0_E_clISt17integral_constantIbLb1EES12_IbLb0EEEEDaSY_SZ_EUlSY_E_NS1_11comp_targetILNS1_3genE8ELNS1_11target_archE1030ELNS1_3gpuE2ELNS1_3repE0EEENS1_30default_config_static_selectorELNS0_4arch9wavefront6targetE1EEEvT1_
    .private_segment_fixed_size: 0
    .sgpr_count:     4
    .sgpr_spill_count: 0
    .symbol:         _ZN7rocprim17ROCPRIM_400000_NS6detail17trampoline_kernelINS0_14default_configENS1_27scan_by_key_config_selectorIj11FixedVectorIiLj2EEEEZZNS1_16scan_by_key_implILNS1_25lookback_scan_determinismE0ELb0ES3_N6thrust23THRUST_200600_302600_NS6detail15normal_iteratorINSB_10device_ptrIjEEEENSD_INSE_IS6_EEEESI_S6_NSB_4plusIvEENSB_8equal_toIvEES6_EE10hipError_tPvRmT2_T3_T4_T5_mT6_T7_P12ihipStream_tbENKUlT_T0_E_clISt17integral_constantIbLb1EES12_IbLb0EEEEDaSY_SZ_EUlSY_E_NS1_11comp_targetILNS1_3genE8ELNS1_11target_archE1030ELNS1_3gpuE2ELNS1_3repE0EEENS1_30default_config_static_selectorELNS0_4arch9wavefront6targetE1EEEvT1_.kd
    .uniform_work_group_size: 1
    .uses_dynamic_stack: false
    .vgpr_count:     0
    .vgpr_spill_count: 0
    .wavefront_size: 64
  - .agpr_count:     0
    .args:
      - .address_space:  global
        .offset:         0
        .size:           8
        .value_kind:     global_buffer
      - .offset:         8
        .size:           4
        .value_kind:     by_value
      - .offset:         12
        .size:           4
        .value_kind:     by_value
      - .address_space:  global
        .offset:         16
        .size:           8
        .value_kind:     global_buffer
      - .address_space:  global
        .offset:         24
        .size:           8
        .value_kind:     global_buffer
      - .actual_access:  write_only
        .address_space:  global
        .offset:         32
        .size:           8
        .value_kind:     global_buffer
      - .offset:         40
        .size:           8
        .value_kind:     by_value
      - .offset:         48
        .size:           4
        .value_kind:     by_value
      - .address_space:  global
        .offset:         56
        .size:           8
        .value_kind:     global_buffer
      - .offset:         64
        .size:           4
        .value_kind:     hidden_block_count_x
      - .offset:         68
        .size:           4
        .value_kind:     hidden_block_count_y
      - .offset:         72
        .size:           4
        .value_kind:     hidden_block_count_z
      - .offset:         76
        .size:           2
        .value_kind:     hidden_group_size_x
      - .offset:         78
        .size:           2
        .value_kind:     hidden_group_size_y
      - .offset:         80
        .size:           2
        .value_kind:     hidden_group_size_z
      - .offset:         82
        .size:           2
        .value_kind:     hidden_remainder_x
      - .offset:         84
        .size:           2
        .value_kind:     hidden_remainder_y
      - .offset:         86
        .size:           2
        .value_kind:     hidden_remainder_z
      - .offset:         104
        .size:           8
        .value_kind:     hidden_global_offset_x
      - .offset:         112
        .size:           8
        .value_kind:     hidden_global_offset_y
      - .offset:         120
        .size:           8
        .value_kind:     hidden_global_offset_z
      - .offset:         128
        .size:           2
        .value_kind:     hidden_grid_dims
    .group_segment_fixed_size: 0
    .kernarg_segment_align: 8
    .kernarg_segment_size: 320
    .language:       OpenCL C
    .language_version:
      - 2
      - 0
    .max_flat_workgroup_size: 256
    .name:           _ZN7rocprim17ROCPRIM_400000_NS6detail30init_device_scan_by_key_kernelINS1_19lookback_scan_stateINS0_5tupleIJ11FixedVectorIiLj2EEbEEELb0ELb1EEEN6thrust23THRUST_200600_302600_NS6detail15normal_iteratorINSA_10device_ptrIjEEEEjNS1_16block_id_wrapperIjLb1EEEEEvT_jjPNSI_10value_typeET0_PNSt15iterator_traitsISL_E10value_typeEmT1_T2_
    .private_segment_fixed_size: 0
    .sgpr_count:     24
    .sgpr_spill_count: 0
    .symbol:         _ZN7rocprim17ROCPRIM_400000_NS6detail30init_device_scan_by_key_kernelINS1_19lookback_scan_stateINS0_5tupleIJ11FixedVectorIiLj2EEbEEELb0ELb1EEEN6thrust23THRUST_200600_302600_NS6detail15normal_iteratorINSA_10device_ptrIjEEEEjNS1_16block_id_wrapperIjLb1EEEEEvT_jjPNSI_10value_typeET0_PNSt15iterator_traitsISL_E10value_typeEmT1_T2_.kd
    .uniform_work_group_size: 1
    .uses_dynamic_stack: false
    .vgpr_count:     22
    .vgpr_spill_count: 0
    .wavefront_size: 64
  - .agpr_count:     0
    .args:
      - .address_space:  global
        .offset:         0
        .size:           8
        .value_kind:     global_buffer
      - .offset:         8
        .size:           4
        .value_kind:     by_value
      - .offset:         12
        .size:           4
        .value_kind:     by_value
      - .address_space:  global
        .offset:         16
        .size:           8
        .value_kind:     global_buffer
      - .address_space:  global
        .offset:         24
        .size:           8
        .value_kind:     global_buffer
      - .offset:         32
        .size:           4
        .value_kind:     hidden_block_count_x
      - .offset:         36
        .size:           4
        .value_kind:     hidden_block_count_y
      - .offset:         40
        .size:           4
        .value_kind:     hidden_block_count_z
      - .offset:         44
        .size:           2
        .value_kind:     hidden_group_size_x
      - .offset:         46
        .size:           2
        .value_kind:     hidden_group_size_y
      - .offset:         48
        .size:           2
        .value_kind:     hidden_group_size_z
      - .offset:         50
        .size:           2
        .value_kind:     hidden_remainder_x
      - .offset:         52
        .size:           2
        .value_kind:     hidden_remainder_y
      - .offset:         54
        .size:           2
        .value_kind:     hidden_remainder_z
      - .offset:         72
        .size:           8
        .value_kind:     hidden_global_offset_x
      - .offset:         80
        .size:           8
        .value_kind:     hidden_global_offset_y
      - .offset:         88
        .size:           8
        .value_kind:     hidden_global_offset_z
      - .offset:         96
        .size:           2
        .value_kind:     hidden_grid_dims
    .group_segment_fixed_size: 0
    .kernarg_segment_align: 8
    .kernarg_segment_size: 288
    .language:       OpenCL C
    .language_version:
      - 2
      - 0
    .max_flat_workgroup_size: 256
    .name:           _ZN7rocprim17ROCPRIM_400000_NS6detail30init_device_scan_by_key_kernelINS1_19lookback_scan_stateINS0_5tupleIJ11FixedVectorIiLj2EEbEEELb0ELb1EEENS1_16block_id_wrapperIjLb1EEEEEvT_jjPNSB_10value_typeET0_
    .private_segment_fixed_size: 0
    .sgpr_count:     20
    .sgpr_spill_count: 0
    .symbol:         _ZN7rocprim17ROCPRIM_400000_NS6detail30init_device_scan_by_key_kernelINS1_19lookback_scan_stateINS0_5tupleIJ11FixedVectorIiLj2EEbEEELb0ELb1EEENS1_16block_id_wrapperIjLb1EEEEEvT_jjPNSB_10value_typeET0_.kd
    .uniform_work_group_size: 1
    .uses_dynamic_stack: false
    .vgpr_count:     22
    .vgpr_spill_count: 0
    .wavefront_size: 64
  - .agpr_count:     0
    .args:
      - .offset:         0
        .size:           120
        .value_kind:     by_value
    .group_segment_fixed_size: 0
    .kernarg_segment_align: 8
    .kernarg_segment_size: 120
    .language:       OpenCL C
    .language_version:
      - 2
      - 0
    .max_flat_workgroup_size: 128
    .name:           _ZN7rocprim17ROCPRIM_400000_NS6detail17trampoline_kernelINS0_14default_configENS1_27scan_by_key_config_selectorIj11FixedVectorIiLj2EEEEZZNS1_16scan_by_key_implILNS1_25lookback_scan_determinismE0ELb0ES3_N6thrust23THRUST_200600_302600_NS6detail15normal_iteratorINSB_10device_ptrIjEEEENSD_INSE_IS6_EEEESI_S6_NSB_4plusIvEENSB_8equal_toIvEES6_EE10hipError_tPvRmT2_T3_T4_T5_mT6_T7_P12ihipStream_tbENKUlT_T0_E_clISt17integral_constantIbLb0EES12_IbLb1EEEEDaSY_SZ_EUlSY_E_NS1_11comp_targetILNS1_3genE0ELNS1_11target_archE4294967295ELNS1_3gpuE0ELNS1_3repE0EEENS1_30default_config_static_selectorELNS0_4arch9wavefront6targetE1EEEvT1_
    .private_segment_fixed_size: 0
    .sgpr_count:     4
    .sgpr_spill_count: 0
    .symbol:         _ZN7rocprim17ROCPRIM_400000_NS6detail17trampoline_kernelINS0_14default_configENS1_27scan_by_key_config_selectorIj11FixedVectorIiLj2EEEEZZNS1_16scan_by_key_implILNS1_25lookback_scan_determinismE0ELb0ES3_N6thrust23THRUST_200600_302600_NS6detail15normal_iteratorINSB_10device_ptrIjEEEENSD_INSE_IS6_EEEESI_S6_NSB_4plusIvEENSB_8equal_toIvEES6_EE10hipError_tPvRmT2_T3_T4_T5_mT6_T7_P12ihipStream_tbENKUlT_T0_E_clISt17integral_constantIbLb0EES12_IbLb1EEEEDaSY_SZ_EUlSY_E_NS1_11comp_targetILNS1_3genE0ELNS1_11target_archE4294967295ELNS1_3gpuE0ELNS1_3repE0EEENS1_30default_config_static_selectorELNS0_4arch9wavefront6targetE1EEEvT1_.kd
    .uniform_work_group_size: 1
    .uses_dynamic_stack: false
    .vgpr_count:     0
    .vgpr_spill_count: 0
    .wavefront_size: 64
  - .agpr_count:     0
    .args:
      - .offset:         0
        .size:           120
        .value_kind:     by_value
    .group_segment_fixed_size: 0
    .kernarg_segment_align: 8
    .kernarg_segment_size: 120
    .language:       OpenCL C
    .language_version:
      - 2
      - 0
    .max_flat_workgroup_size: 256
    .name:           _ZN7rocprim17ROCPRIM_400000_NS6detail17trampoline_kernelINS0_14default_configENS1_27scan_by_key_config_selectorIj11FixedVectorIiLj2EEEEZZNS1_16scan_by_key_implILNS1_25lookback_scan_determinismE0ELb0ES3_N6thrust23THRUST_200600_302600_NS6detail15normal_iteratorINSB_10device_ptrIjEEEENSD_INSE_IS6_EEEESI_S6_NSB_4plusIvEENSB_8equal_toIvEES6_EE10hipError_tPvRmT2_T3_T4_T5_mT6_T7_P12ihipStream_tbENKUlT_T0_E_clISt17integral_constantIbLb0EES12_IbLb1EEEEDaSY_SZ_EUlSY_E_NS1_11comp_targetILNS1_3genE10ELNS1_11target_archE1201ELNS1_3gpuE5ELNS1_3repE0EEENS1_30default_config_static_selectorELNS0_4arch9wavefront6targetE1EEEvT1_
    .private_segment_fixed_size: 0
    .sgpr_count:     4
    .sgpr_spill_count: 0
    .symbol:         _ZN7rocprim17ROCPRIM_400000_NS6detail17trampoline_kernelINS0_14default_configENS1_27scan_by_key_config_selectorIj11FixedVectorIiLj2EEEEZZNS1_16scan_by_key_implILNS1_25lookback_scan_determinismE0ELb0ES3_N6thrust23THRUST_200600_302600_NS6detail15normal_iteratorINSB_10device_ptrIjEEEENSD_INSE_IS6_EEEESI_S6_NSB_4plusIvEENSB_8equal_toIvEES6_EE10hipError_tPvRmT2_T3_T4_T5_mT6_T7_P12ihipStream_tbENKUlT_T0_E_clISt17integral_constantIbLb0EES12_IbLb1EEEEDaSY_SZ_EUlSY_E_NS1_11comp_targetILNS1_3genE10ELNS1_11target_archE1201ELNS1_3gpuE5ELNS1_3repE0EEENS1_30default_config_static_selectorELNS0_4arch9wavefront6targetE1EEEvT1_.kd
    .uniform_work_group_size: 1
    .uses_dynamic_stack: false
    .vgpr_count:     0
    .vgpr_spill_count: 0
    .wavefront_size: 64
  - .agpr_count:     0
    .args:
      - .offset:         0
        .size:           120
        .value_kind:     by_value
    .group_segment_fixed_size: 0
    .kernarg_segment_align: 8
    .kernarg_segment_size: 120
    .language:       OpenCL C
    .language_version:
      - 2
      - 0
    .max_flat_workgroup_size: 256
    .name:           _ZN7rocprim17ROCPRIM_400000_NS6detail17trampoline_kernelINS0_14default_configENS1_27scan_by_key_config_selectorIj11FixedVectorIiLj2EEEEZZNS1_16scan_by_key_implILNS1_25lookback_scan_determinismE0ELb0ES3_N6thrust23THRUST_200600_302600_NS6detail15normal_iteratorINSB_10device_ptrIjEEEENSD_INSE_IS6_EEEESI_S6_NSB_4plusIvEENSB_8equal_toIvEES6_EE10hipError_tPvRmT2_T3_T4_T5_mT6_T7_P12ihipStream_tbENKUlT_T0_E_clISt17integral_constantIbLb0EES12_IbLb1EEEEDaSY_SZ_EUlSY_E_NS1_11comp_targetILNS1_3genE5ELNS1_11target_archE942ELNS1_3gpuE9ELNS1_3repE0EEENS1_30default_config_static_selectorELNS0_4arch9wavefront6targetE1EEEvT1_
    .private_segment_fixed_size: 0
    .sgpr_count:     4
    .sgpr_spill_count: 0
    .symbol:         _ZN7rocprim17ROCPRIM_400000_NS6detail17trampoline_kernelINS0_14default_configENS1_27scan_by_key_config_selectorIj11FixedVectorIiLj2EEEEZZNS1_16scan_by_key_implILNS1_25lookback_scan_determinismE0ELb0ES3_N6thrust23THRUST_200600_302600_NS6detail15normal_iteratorINSB_10device_ptrIjEEEENSD_INSE_IS6_EEEESI_S6_NSB_4plusIvEENSB_8equal_toIvEES6_EE10hipError_tPvRmT2_T3_T4_T5_mT6_T7_P12ihipStream_tbENKUlT_T0_E_clISt17integral_constantIbLb0EES12_IbLb1EEEEDaSY_SZ_EUlSY_E_NS1_11comp_targetILNS1_3genE5ELNS1_11target_archE942ELNS1_3gpuE9ELNS1_3repE0EEENS1_30default_config_static_selectorELNS0_4arch9wavefront6targetE1EEEvT1_.kd
    .uniform_work_group_size: 1
    .uses_dynamic_stack: false
    .vgpr_count:     0
    .vgpr_spill_count: 0
    .wavefront_size: 64
  - .agpr_count:     0
    .args:
      - .offset:         0
        .size:           120
        .value_kind:     by_value
    .group_segment_fixed_size: 10752
    .kernarg_segment_align: 8
    .kernarg_segment_size: 120
    .language:       OpenCL C
    .language_version:
      - 2
      - 0
    .max_flat_workgroup_size: 64
    .name:           _ZN7rocprim17ROCPRIM_400000_NS6detail17trampoline_kernelINS0_14default_configENS1_27scan_by_key_config_selectorIj11FixedVectorIiLj2EEEEZZNS1_16scan_by_key_implILNS1_25lookback_scan_determinismE0ELb0ES3_N6thrust23THRUST_200600_302600_NS6detail15normal_iteratorINSB_10device_ptrIjEEEENSD_INSE_IS6_EEEESI_S6_NSB_4plusIvEENSB_8equal_toIvEES6_EE10hipError_tPvRmT2_T3_T4_T5_mT6_T7_P12ihipStream_tbENKUlT_T0_E_clISt17integral_constantIbLb0EES12_IbLb1EEEEDaSY_SZ_EUlSY_E_NS1_11comp_targetILNS1_3genE4ELNS1_11target_archE910ELNS1_3gpuE8ELNS1_3repE0EEENS1_30default_config_static_selectorELNS0_4arch9wavefront6targetE1EEEvT1_
    .private_segment_fixed_size: 0
    .sgpr_count:     100
    .sgpr_spill_count: 4
    .symbol:         _ZN7rocprim17ROCPRIM_400000_NS6detail17trampoline_kernelINS0_14default_configENS1_27scan_by_key_config_selectorIj11FixedVectorIiLj2EEEEZZNS1_16scan_by_key_implILNS1_25lookback_scan_determinismE0ELb0ES3_N6thrust23THRUST_200600_302600_NS6detail15normal_iteratorINSB_10device_ptrIjEEEENSD_INSE_IS6_EEEESI_S6_NSB_4plusIvEENSB_8equal_toIvEES6_EE10hipError_tPvRmT2_T3_T4_T5_mT6_T7_P12ihipStream_tbENKUlT_T0_E_clISt17integral_constantIbLb0EES12_IbLb1EEEEDaSY_SZ_EUlSY_E_NS1_11comp_targetILNS1_3genE4ELNS1_11target_archE910ELNS1_3gpuE8ELNS1_3repE0EEENS1_30default_config_static_selectorELNS0_4arch9wavefront6targetE1EEEvT1_.kd
    .uniform_work_group_size: 1
    .uses_dynamic_stack: false
    .vgpr_count:     136
    .vgpr_spill_count: 0
    .wavefront_size: 64
  - .agpr_count:     0
    .args:
      - .offset:         0
        .size:           120
        .value_kind:     by_value
    .group_segment_fixed_size: 0
    .kernarg_segment_align: 8
    .kernarg_segment_size: 120
    .language:       OpenCL C
    .language_version:
      - 2
      - 0
    .max_flat_workgroup_size: 128
    .name:           _ZN7rocprim17ROCPRIM_400000_NS6detail17trampoline_kernelINS0_14default_configENS1_27scan_by_key_config_selectorIj11FixedVectorIiLj2EEEEZZNS1_16scan_by_key_implILNS1_25lookback_scan_determinismE0ELb0ES3_N6thrust23THRUST_200600_302600_NS6detail15normal_iteratorINSB_10device_ptrIjEEEENSD_INSE_IS6_EEEESI_S6_NSB_4plusIvEENSB_8equal_toIvEES6_EE10hipError_tPvRmT2_T3_T4_T5_mT6_T7_P12ihipStream_tbENKUlT_T0_E_clISt17integral_constantIbLb0EES12_IbLb1EEEEDaSY_SZ_EUlSY_E_NS1_11comp_targetILNS1_3genE3ELNS1_11target_archE908ELNS1_3gpuE7ELNS1_3repE0EEENS1_30default_config_static_selectorELNS0_4arch9wavefront6targetE1EEEvT1_
    .private_segment_fixed_size: 0
    .sgpr_count:     4
    .sgpr_spill_count: 0
    .symbol:         _ZN7rocprim17ROCPRIM_400000_NS6detail17trampoline_kernelINS0_14default_configENS1_27scan_by_key_config_selectorIj11FixedVectorIiLj2EEEEZZNS1_16scan_by_key_implILNS1_25lookback_scan_determinismE0ELb0ES3_N6thrust23THRUST_200600_302600_NS6detail15normal_iteratorINSB_10device_ptrIjEEEENSD_INSE_IS6_EEEESI_S6_NSB_4plusIvEENSB_8equal_toIvEES6_EE10hipError_tPvRmT2_T3_T4_T5_mT6_T7_P12ihipStream_tbENKUlT_T0_E_clISt17integral_constantIbLb0EES12_IbLb1EEEEDaSY_SZ_EUlSY_E_NS1_11comp_targetILNS1_3genE3ELNS1_11target_archE908ELNS1_3gpuE7ELNS1_3repE0EEENS1_30default_config_static_selectorELNS0_4arch9wavefront6targetE1EEEvT1_.kd
    .uniform_work_group_size: 1
    .uses_dynamic_stack: false
    .vgpr_count:     0
    .vgpr_spill_count: 0
    .wavefront_size: 64
  - .agpr_count:     0
    .args:
      - .offset:         0
        .size:           120
        .value_kind:     by_value
    .group_segment_fixed_size: 0
    .kernarg_segment_align: 8
    .kernarg_segment_size: 120
    .language:       OpenCL C
    .language_version:
      - 2
      - 0
    .max_flat_workgroup_size: 64
    .name:           _ZN7rocprim17ROCPRIM_400000_NS6detail17trampoline_kernelINS0_14default_configENS1_27scan_by_key_config_selectorIj11FixedVectorIiLj2EEEEZZNS1_16scan_by_key_implILNS1_25lookback_scan_determinismE0ELb0ES3_N6thrust23THRUST_200600_302600_NS6detail15normal_iteratorINSB_10device_ptrIjEEEENSD_INSE_IS6_EEEESI_S6_NSB_4plusIvEENSB_8equal_toIvEES6_EE10hipError_tPvRmT2_T3_T4_T5_mT6_T7_P12ihipStream_tbENKUlT_T0_E_clISt17integral_constantIbLb0EES12_IbLb1EEEEDaSY_SZ_EUlSY_E_NS1_11comp_targetILNS1_3genE2ELNS1_11target_archE906ELNS1_3gpuE6ELNS1_3repE0EEENS1_30default_config_static_selectorELNS0_4arch9wavefront6targetE1EEEvT1_
    .private_segment_fixed_size: 0
    .sgpr_count:     4
    .sgpr_spill_count: 0
    .symbol:         _ZN7rocprim17ROCPRIM_400000_NS6detail17trampoline_kernelINS0_14default_configENS1_27scan_by_key_config_selectorIj11FixedVectorIiLj2EEEEZZNS1_16scan_by_key_implILNS1_25lookback_scan_determinismE0ELb0ES3_N6thrust23THRUST_200600_302600_NS6detail15normal_iteratorINSB_10device_ptrIjEEEENSD_INSE_IS6_EEEESI_S6_NSB_4plusIvEENSB_8equal_toIvEES6_EE10hipError_tPvRmT2_T3_T4_T5_mT6_T7_P12ihipStream_tbENKUlT_T0_E_clISt17integral_constantIbLb0EES12_IbLb1EEEEDaSY_SZ_EUlSY_E_NS1_11comp_targetILNS1_3genE2ELNS1_11target_archE906ELNS1_3gpuE6ELNS1_3repE0EEENS1_30default_config_static_selectorELNS0_4arch9wavefront6targetE1EEEvT1_.kd
    .uniform_work_group_size: 1
    .uses_dynamic_stack: false
    .vgpr_count:     0
    .vgpr_spill_count: 0
    .wavefront_size: 64
  - .agpr_count:     0
    .args:
      - .offset:         0
        .size:           120
        .value_kind:     by_value
    .group_segment_fixed_size: 0
    .kernarg_segment_align: 8
    .kernarg_segment_size: 120
    .language:       OpenCL C
    .language_version:
      - 2
      - 0
    .max_flat_workgroup_size: 256
    .name:           _ZN7rocprim17ROCPRIM_400000_NS6detail17trampoline_kernelINS0_14default_configENS1_27scan_by_key_config_selectorIj11FixedVectorIiLj2EEEEZZNS1_16scan_by_key_implILNS1_25lookback_scan_determinismE0ELb0ES3_N6thrust23THRUST_200600_302600_NS6detail15normal_iteratorINSB_10device_ptrIjEEEENSD_INSE_IS6_EEEESI_S6_NSB_4plusIvEENSB_8equal_toIvEES6_EE10hipError_tPvRmT2_T3_T4_T5_mT6_T7_P12ihipStream_tbENKUlT_T0_E_clISt17integral_constantIbLb0EES12_IbLb1EEEEDaSY_SZ_EUlSY_E_NS1_11comp_targetILNS1_3genE10ELNS1_11target_archE1200ELNS1_3gpuE4ELNS1_3repE0EEENS1_30default_config_static_selectorELNS0_4arch9wavefront6targetE1EEEvT1_
    .private_segment_fixed_size: 0
    .sgpr_count:     4
    .sgpr_spill_count: 0
    .symbol:         _ZN7rocprim17ROCPRIM_400000_NS6detail17trampoline_kernelINS0_14default_configENS1_27scan_by_key_config_selectorIj11FixedVectorIiLj2EEEEZZNS1_16scan_by_key_implILNS1_25lookback_scan_determinismE0ELb0ES3_N6thrust23THRUST_200600_302600_NS6detail15normal_iteratorINSB_10device_ptrIjEEEENSD_INSE_IS6_EEEESI_S6_NSB_4plusIvEENSB_8equal_toIvEES6_EE10hipError_tPvRmT2_T3_T4_T5_mT6_T7_P12ihipStream_tbENKUlT_T0_E_clISt17integral_constantIbLb0EES12_IbLb1EEEEDaSY_SZ_EUlSY_E_NS1_11comp_targetILNS1_3genE10ELNS1_11target_archE1200ELNS1_3gpuE4ELNS1_3repE0EEENS1_30default_config_static_selectorELNS0_4arch9wavefront6targetE1EEEvT1_.kd
    .uniform_work_group_size: 1
    .uses_dynamic_stack: false
    .vgpr_count:     0
    .vgpr_spill_count: 0
    .wavefront_size: 64
  - .agpr_count:     0
    .args:
      - .offset:         0
        .size:           120
        .value_kind:     by_value
    .group_segment_fixed_size: 0
    .kernarg_segment_align: 8
    .kernarg_segment_size: 120
    .language:       OpenCL C
    .language_version:
      - 2
      - 0
    .max_flat_workgroup_size: 256
    .name:           _ZN7rocprim17ROCPRIM_400000_NS6detail17trampoline_kernelINS0_14default_configENS1_27scan_by_key_config_selectorIj11FixedVectorIiLj2EEEEZZNS1_16scan_by_key_implILNS1_25lookback_scan_determinismE0ELb0ES3_N6thrust23THRUST_200600_302600_NS6detail15normal_iteratorINSB_10device_ptrIjEEEENSD_INSE_IS6_EEEESI_S6_NSB_4plusIvEENSB_8equal_toIvEES6_EE10hipError_tPvRmT2_T3_T4_T5_mT6_T7_P12ihipStream_tbENKUlT_T0_E_clISt17integral_constantIbLb0EES12_IbLb1EEEEDaSY_SZ_EUlSY_E_NS1_11comp_targetILNS1_3genE9ELNS1_11target_archE1100ELNS1_3gpuE3ELNS1_3repE0EEENS1_30default_config_static_selectorELNS0_4arch9wavefront6targetE1EEEvT1_
    .private_segment_fixed_size: 0
    .sgpr_count:     4
    .sgpr_spill_count: 0
    .symbol:         _ZN7rocprim17ROCPRIM_400000_NS6detail17trampoline_kernelINS0_14default_configENS1_27scan_by_key_config_selectorIj11FixedVectorIiLj2EEEEZZNS1_16scan_by_key_implILNS1_25lookback_scan_determinismE0ELb0ES3_N6thrust23THRUST_200600_302600_NS6detail15normal_iteratorINSB_10device_ptrIjEEEENSD_INSE_IS6_EEEESI_S6_NSB_4plusIvEENSB_8equal_toIvEES6_EE10hipError_tPvRmT2_T3_T4_T5_mT6_T7_P12ihipStream_tbENKUlT_T0_E_clISt17integral_constantIbLb0EES12_IbLb1EEEEDaSY_SZ_EUlSY_E_NS1_11comp_targetILNS1_3genE9ELNS1_11target_archE1100ELNS1_3gpuE3ELNS1_3repE0EEENS1_30default_config_static_selectorELNS0_4arch9wavefront6targetE1EEEvT1_.kd
    .uniform_work_group_size: 1
    .uses_dynamic_stack: false
    .vgpr_count:     0
    .vgpr_spill_count: 0
    .wavefront_size: 64
  - .agpr_count:     0
    .args:
      - .offset:         0
        .size:           120
        .value_kind:     by_value
    .group_segment_fixed_size: 0
    .kernarg_segment_align: 8
    .kernarg_segment_size: 120
    .language:       OpenCL C
    .language_version:
      - 2
      - 0
    .max_flat_workgroup_size: 256
    .name:           _ZN7rocprim17ROCPRIM_400000_NS6detail17trampoline_kernelINS0_14default_configENS1_27scan_by_key_config_selectorIj11FixedVectorIiLj2EEEEZZNS1_16scan_by_key_implILNS1_25lookback_scan_determinismE0ELb0ES3_N6thrust23THRUST_200600_302600_NS6detail15normal_iteratorINSB_10device_ptrIjEEEENSD_INSE_IS6_EEEESI_S6_NSB_4plusIvEENSB_8equal_toIvEES6_EE10hipError_tPvRmT2_T3_T4_T5_mT6_T7_P12ihipStream_tbENKUlT_T0_E_clISt17integral_constantIbLb0EES12_IbLb1EEEEDaSY_SZ_EUlSY_E_NS1_11comp_targetILNS1_3genE8ELNS1_11target_archE1030ELNS1_3gpuE2ELNS1_3repE0EEENS1_30default_config_static_selectorELNS0_4arch9wavefront6targetE1EEEvT1_
    .private_segment_fixed_size: 0
    .sgpr_count:     4
    .sgpr_spill_count: 0
    .symbol:         _ZN7rocprim17ROCPRIM_400000_NS6detail17trampoline_kernelINS0_14default_configENS1_27scan_by_key_config_selectorIj11FixedVectorIiLj2EEEEZZNS1_16scan_by_key_implILNS1_25lookback_scan_determinismE0ELb0ES3_N6thrust23THRUST_200600_302600_NS6detail15normal_iteratorINSB_10device_ptrIjEEEENSD_INSE_IS6_EEEESI_S6_NSB_4plusIvEENSB_8equal_toIvEES6_EE10hipError_tPvRmT2_T3_T4_T5_mT6_T7_P12ihipStream_tbENKUlT_T0_E_clISt17integral_constantIbLb0EES12_IbLb1EEEEDaSY_SZ_EUlSY_E_NS1_11comp_targetILNS1_3genE8ELNS1_11target_archE1030ELNS1_3gpuE2ELNS1_3repE0EEENS1_30default_config_static_selectorELNS0_4arch9wavefront6targetE1EEEvT1_.kd
    .uniform_work_group_size: 1
    .uses_dynamic_stack: false
    .vgpr_count:     0
    .vgpr_spill_count: 0
    .wavefront_size: 64
  - .agpr_count:     0
    .args:
      - .offset:         0
        .size:           120
        .value_kind:     by_value
    .group_segment_fixed_size: 0
    .kernarg_segment_align: 8
    .kernarg_segment_size: 120
    .language:       OpenCL C
    .language_version:
      - 2
      - 0
    .max_flat_workgroup_size: 128
    .name:           _ZN7rocprim17ROCPRIM_400000_NS6detail17trampoline_kernelINS0_14default_configENS1_27scan_by_key_config_selectorIj11FixedVectorIiLj2EEEEZZNS1_16scan_by_key_implILNS1_25lookback_scan_determinismE0ELb1ES3_N6thrust23THRUST_200600_302600_NS6detail15normal_iteratorINSB_10device_ptrIjEEEENSD_INSE_IS6_EEEESI_S6_NSB_4plusIvEENSB_8equal_toIvEES6_EE10hipError_tPvRmT2_T3_T4_T5_mT6_T7_P12ihipStream_tbENKUlT_T0_E_clISt17integral_constantIbLb0EES13_EEDaSY_SZ_EUlSY_E_NS1_11comp_targetILNS1_3genE0ELNS1_11target_archE4294967295ELNS1_3gpuE0ELNS1_3repE0EEENS1_30default_config_static_selectorELNS0_4arch9wavefront6targetE1EEEvT1_
    .private_segment_fixed_size: 0
    .sgpr_count:     4
    .sgpr_spill_count: 0
    .symbol:         _ZN7rocprim17ROCPRIM_400000_NS6detail17trampoline_kernelINS0_14default_configENS1_27scan_by_key_config_selectorIj11FixedVectorIiLj2EEEEZZNS1_16scan_by_key_implILNS1_25lookback_scan_determinismE0ELb1ES3_N6thrust23THRUST_200600_302600_NS6detail15normal_iteratorINSB_10device_ptrIjEEEENSD_INSE_IS6_EEEESI_S6_NSB_4plusIvEENSB_8equal_toIvEES6_EE10hipError_tPvRmT2_T3_T4_T5_mT6_T7_P12ihipStream_tbENKUlT_T0_E_clISt17integral_constantIbLb0EES13_EEDaSY_SZ_EUlSY_E_NS1_11comp_targetILNS1_3genE0ELNS1_11target_archE4294967295ELNS1_3gpuE0ELNS1_3repE0EEENS1_30default_config_static_selectorELNS0_4arch9wavefront6targetE1EEEvT1_.kd
    .uniform_work_group_size: 1
    .uses_dynamic_stack: false
    .vgpr_count:     0
    .vgpr_spill_count: 0
    .wavefront_size: 64
  - .agpr_count:     0
    .args:
      - .offset:         0
        .size:           120
        .value_kind:     by_value
    .group_segment_fixed_size: 0
    .kernarg_segment_align: 8
    .kernarg_segment_size: 120
    .language:       OpenCL C
    .language_version:
      - 2
      - 0
    .max_flat_workgroup_size: 256
    .name:           _ZN7rocprim17ROCPRIM_400000_NS6detail17trampoline_kernelINS0_14default_configENS1_27scan_by_key_config_selectorIj11FixedVectorIiLj2EEEEZZNS1_16scan_by_key_implILNS1_25lookback_scan_determinismE0ELb1ES3_N6thrust23THRUST_200600_302600_NS6detail15normal_iteratorINSB_10device_ptrIjEEEENSD_INSE_IS6_EEEESI_S6_NSB_4plusIvEENSB_8equal_toIvEES6_EE10hipError_tPvRmT2_T3_T4_T5_mT6_T7_P12ihipStream_tbENKUlT_T0_E_clISt17integral_constantIbLb0EES13_EEDaSY_SZ_EUlSY_E_NS1_11comp_targetILNS1_3genE10ELNS1_11target_archE1201ELNS1_3gpuE5ELNS1_3repE0EEENS1_30default_config_static_selectorELNS0_4arch9wavefront6targetE1EEEvT1_
    .private_segment_fixed_size: 0
    .sgpr_count:     4
    .sgpr_spill_count: 0
    .symbol:         _ZN7rocprim17ROCPRIM_400000_NS6detail17trampoline_kernelINS0_14default_configENS1_27scan_by_key_config_selectorIj11FixedVectorIiLj2EEEEZZNS1_16scan_by_key_implILNS1_25lookback_scan_determinismE0ELb1ES3_N6thrust23THRUST_200600_302600_NS6detail15normal_iteratorINSB_10device_ptrIjEEEENSD_INSE_IS6_EEEESI_S6_NSB_4plusIvEENSB_8equal_toIvEES6_EE10hipError_tPvRmT2_T3_T4_T5_mT6_T7_P12ihipStream_tbENKUlT_T0_E_clISt17integral_constantIbLb0EES13_EEDaSY_SZ_EUlSY_E_NS1_11comp_targetILNS1_3genE10ELNS1_11target_archE1201ELNS1_3gpuE5ELNS1_3repE0EEENS1_30default_config_static_selectorELNS0_4arch9wavefront6targetE1EEEvT1_.kd
    .uniform_work_group_size: 1
    .uses_dynamic_stack: false
    .vgpr_count:     0
    .vgpr_spill_count: 0
    .wavefront_size: 64
  - .agpr_count:     0
    .args:
      - .offset:         0
        .size:           120
        .value_kind:     by_value
    .group_segment_fixed_size: 0
    .kernarg_segment_align: 8
    .kernarg_segment_size: 120
    .language:       OpenCL C
    .language_version:
      - 2
      - 0
    .max_flat_workgroup_size: 256
    .name:           _ZN7rocprim17ROCPRIM_400000_NS6detail17trampoline_kernelINS0_14default_configENS1_27scan_by_key_config_selectorIj11FixedVectorIiLj2EEEEZZNS1_16scan_by_key_implILNS1_25lookback_scan_determinismE0ELb1ES3_N6thrust23THRUST_200600_302600_NS6detail15normal_iteratorINSB_10device_ptrIjEEEENSD_INSE_IS6_EEEESI_S6_NSB_4plusIvEENSB_8equal_toIvEES6_EE10hipError_tPvRmT2_T3_T4_T5_mT6_T7_P12ihipStream_tbENKUlT_T0_E_clISt17integral_constantIbLb0EES13_EEDaSY_SZ_EUlSY_E_NS1_11comp_targetILNS1_3genE5ELNS1_11target_archE942ELNS1_3gpuE9ELNS1_3repE0EEENS1_30default_config_static_selectorELNS0_4arch9wavefront6targetE1EEEvT1_
    .private_segment_fixed_size: 0
    .sgpr_count:     4
    .sgpr_spill_count: 0
    .symbol:         _ZN7rocprim17ROCPRIM_400000_NS6detail17trampoline_kernelINS0_14default_configENS1_27scan_by_key_config_selectorIj11FixedVectorIiLj2EEEEZZNS1_16scan_by_key_implILNS1_25lookback_scan_determinismE0ELb1ES3_N6thrust23THRUST_200600_302600_NS6detail15normal_iteratorINSB_10device_ptrIjEEEENSD_INSE_IS6_EEEESI_S6_NSB_4plusIvEENSB_8equal_toIvEES6_EE10hipError_tPvRmT2_T3_T4_T5_mT6_T7_P12ihipStream_tbENKUlT_T0_E_clISt17integral_constantIbLb0EES13_EEDaSY_SZ_EUlSY_E_NS1_11comp_targetILNS1_3genE5ELNS1_11target_archE942ELNS1_3gpuE9ELNS1_3repE0EEENS1_30default_config_static_selectorELNS0_4arch9wavefront6targetE1EEEvT1_.kd
    .uniform_work_group_size: 1
    .uses_dynamic_stack: false
    .vgpr_count:     0
    .vgpr_spill_count: 0
    .wavefront_size: 64
  - .agpr_count:     0
    .args:
      - .offset:         0
        .size:           120
        .value_kind:     by_value
    .group_segment_fixed_size: 10752
    .kernarg_segment_align: 8
    .kernarg_segment_size: 120
    .language:       OpenCL C
    .language_version:
      - 2
      - 0
    .max_flat_workgroup_size: 64
    .name:           _ZN7rocprim17ROCPRIM_400000_NS6detail17trampoline_kernelINS0_14default_configENS1_27scan_by_key_config_selectorIj11FixedVectorIiLj2EEEEZZNS1_16scan_by_key_implILNS1_25lookback_scan_determinismE0ELb1ES3_N6thrust23THRUST_200600_302600_NS6detail15normal_iteratorINSB_10device_ptrIjEEEENSD_INSE_IS6_EEEESI_S6_NSB_4plusIvEENSB_8equal_toIvEES6_EE10hipError_tPvRmT2_T3_T4_T5_mT6_T7_P12ihipStream_tbENKUlT_T0_E_clISt17integral_constantIbLb0EES13_EEDaSY_SZ_EUlSY_E_NS1_11comp_targetILNS1_3genE4ELNS1_11target_archE910ELNS1_3gpuE8ELNS1_3repE0EEENS1_30default_config_static_selectorELNS0_4arch9wavefront6targetE1EEEvT1_
    .private_segment_fixed_size: 0
    .sgpr_count:     80
    .sgpr_spill_count: 0
    .symbol:         _ZN7rocprim17ROCPRIM_400000_NS6detail17trampoline_kernelINS0_14default_configENS1_27scan_by_key_config_selectorIj11FixedVectorIiLj2EEEEZZNS1_16scan_by_key_implILNS1_25lookback_scan_determinismE0ELb1ES3_N6thrust23THRUST_200600_302600_NS6detail15normal_iteratorINSB_10device_ptrIjEEEENSD_INSE_IS6_EEEESI_S6_NSB_4plusIvEENSB_8equal_toIvEES6_EE10hipError_tPvRmT2_T3_T4_T5_mT6_T7_P12ihipStream_tbENKUlT_T0_E_clISt17integral_constantIbLb0EES13_EEDaSY_SZ_EUlSY_E_NS1_11comp_targetILNS1_3genE4ELNS1_11target_archE910ELNS1_3gpuE8ELNS1_3repE0EEENS1_30default_config_static_selectorELNS0_4arch9wavefront6targetE1EEEvT1_.kd
    .uniform_work_group_size: 1
    .uses_dynamic_stack: false
    .vgpr_count:     126
    .vgpr_spill_count: 0
    .wavefront_size: 64
  - .agpr_count:     0
    .args:
      - .offset:         0
        .size:           120
        .value_kind:     by_value
    .group_segment_fixed_size: 0
    .kernarg_segment_align: 8
    .kernarg_segment_size: 120
    .language:       OpenCL C
    .language_version:
      - 2
      - 0
    .max_flat_workgroup_size: 128
    .name:           _ZN7rocprim17ROCPRIM_400000_NS6detail17trampoline_kernelINS0_14default_configENS1_27scan_by_key_config_selectorIj11FixedVectorIiLj2EEEEZZNS1_16scan_by_key_implILNS1_25lookback_scan_determinismE0ELb1ES3_N6thrust23THRUST_200600_302600_NS6detail15normal_iteratorINSB_10device_ptrIjEEEENSD_INSE_IS6_EEEESI_S6_NSB_4plusIvEENSB_8equal_toIvEES6_EE10hipError_tPvRmT2_T3_T4_T5_mT6_T7_P12ihipStream_tbENKUlT_T0_E_clISt17integral_constantIbLb0EES13_EEDaSY_SZ_EUlSY_E_NS1_11comp_targetILNS1_3genE3ELNS1_11target_archE908ELNS1_3gpuE7ELNS1_3repE0EEENS1_30default_config_static_selectorELNS0_4arch9wavefront6targetE1EEEvT1_
    .private_segment_fixed_size: 0
    .sgpr_count:     4
    .sgpr_spill_count: 0
    .symbol:         _ZN7rocprim17ROCPRIM_400000_NS6detail17trampoline_kernelINS0_14default_configENS1_27scan_by_key_config_selectorIj11FixedVectorIiLj2EEEEZZNS1_16scan_by_key_implILNS1_25lookback_scan_determinismE0ELb1ES3_N6thrust23THRUST_200600_302600_NS6detail15normal_iteratorINSB_10device_ptrIjEEEENSD_INSE_IS6_EEEESI_S6_NSB_4plusIvEENSB_8equal_toIvEES6_EE10hipError_tPvRmT2_T3_T4_T5_mT6_T7_P12ihipStream_tbENKUlT_T0_E_clISt17integral_constantIbLb0EES13_EEDaSY_SZ_EUlSY_E_NS1_11comp_targetILNS1_3genE3ELNS1_11target_archE908ELNS1_3gpuE7ELNS1_3repE0EEENS1_30default_config_static_selectorELNS0_4arch9wavefront6targetE1EEEvT1_.kd
    .uniform_work_group_size: 1
    .uses_dynamic_stack: false
    .vgpr_count:     0
    .vgpr_spill_count: 0
    .wavefront_size: 64
  - .agpr_count:     0
    .args:
      - .offset:         0
        .size:           120
        .value_kind:     by_value
    .group_segment_fixed_size: 0
    .kernarg_segment_align: 8
    .kernarg_segment_size: 120
    .language:       OpenCL C
    .language_version:
      - 2
      - 0
    .max_flat_workgroup_size: 64
    .name:           _ZN7rocprim17ROCPRIM_400000_NS6detail17trampoline_kernelINS0_14default_configENS1_27scan_by_key_config_selectorIj11FixedVectorIiLj2EEEEZZNS1_16scan_by_key_implILNS1_25lookback_scan_determinismE0ELb1ES3_N6thrust23THRUST_200600_302600_NS6detail15normal_iteratorINSB_10device_ptrIjEEEENSD_INSE_IS6_EEEESI_S6_NSB_4plusIvEENSB_8equal_toIvEES6_EE10hipError_tPvRmT2_T3_T4_T5_mT6_T7_P12ihipStream_tbENKUlT_T0_E_clISt17integral_constantIbLb0EES13_EEDaSY_SZ_EUlSY_E_NS1_11comp_targetILNS1_3genE2ELNS1_11target_archE906ELNS1_3gpuE6ELNS1_3repE0EEENS1_30default_config_static_selectorELNS0_4arch9wavefront6targetE1EEEvT1_
    .private_segment_fixed_size: 0
    .sgpr_count:     4
    .sgpr_spill_count: 0
    .symbol:         _ZN7rocprim17ROCPRIM_400000_NS6detail17trampoline_kernelINS0_14default_configENS1_27scan_by_key_config_selectorIj11FixedVectorIiLj2EEEEZZNS1_16scan_by_key_implILNS1_25lookback_scan_determinismE0ELb1ES3_N6thrust23THRUST_200600_302600_NS6detail15normal_iteratorINSB_10device_ptrIjEEEENSD_INSE_IS6_EEEESI_S6_NSB_4plusIvEENSB_8equal_toIvEES6_EE10hipError_tPvRmT2_T3_T4_T5_mT6_T7_P12ihipStream_tbENKUlT_T0_E_clISt17integral_constantIbLb0EES13_EEDaSY_SZ_EUlSY_E_NS1_11comp_targetILNS1_3genE2ELNS1_11target_archE906ELNS1_3gpuE6ELNS1_3repE0EEENS1_30default_config_static_selectorELNS0_4arch9wavefront6targetE1EEEvT1_.kd
    .uniform_work_group_size: 1
    .uses_dynamic_stack: false
    .vgpr_count:     0
    .vgpr_spill_count: 0
    .wavefront_size: 64
  - .agpr_count:     0
    .args:
      - .offset:         0
        .size:           120
        .value_kind:     by_value
    .group_segment_fixed_size: 0
    .kernarg_segment_align: 8
    .kernarg_segment_size: 120
    .language:       OpenCL C
    .language_version:
      - 2
      - 0
    .max_flat_workgroup_size: 256
    .name:           _ZN7rocprim17ROCPRIM_400000_NS6detail17trampoline_kernelINS0_14default_configENS1_27scan_by_key_config_selectorIj11FixedVectorIiLj2EEEEZZNS1_16scan_by_key_implILNS1_25lookback_scan_determinismE0ELb1ES3_N6thrust23THRUST_200600_302600_NS6detail15normal_iteratorINSB_10device_ptrIjEEEENSD_INSE_IS6_EEEESI_S6_NSB_4plusIvEENSB_8equal_toIvEES6_EE10hipError_tPvRmT2_T3_T4_T5_mT6_T7_P12ihipStream_tbENKUlT_T0_E_clISt17integral_constantIbLb0EES13_EEDaSY_SZ_EUlSY_E_NS1_11comp_targetILNS1_3genE10ELNS1_11target_archE1200ELNS1_3gpuE4ELNS1_3repE0EEENS1_30default_config_static_selectorELNS0_4arch9wavefront6targetE1EEEvT1_
    .private_segment_fixed_size: 0
    .sgpr_count:     4
    .sgpr_spill_count: 0
    .symbol:         _ZN7rocprim17ROCPRIM_400000_NS6detail17trampoline_kernelINS0_14default_configENS1_27scan_by_key_config_selectorIj11FixedVectorIiLj2EEEEZZNS1_16scan_by_key_implILNS1_25lookback_scan_determinismE0ELb1ES3_N6thrust23THRUST_200600_302600_NS6detail15normal_iteratorINSB_10device_ptrIjEEEENSD_INSE_IS6_EEEESI_S6_NSB_4plusIvEENSB_8equal_toIvEES6_EE10hipError_tPvRmT2_T3_T4_T5_mT6_T7_P12ihipStream_tbENKUlT_T0_E_clISt17integral_constantIbLb0EES13_EEDaSY_SZ_EUlSY_E_NS1_11comp_targetILNS1_3genE10ELNS1_11target_archE1200ELNS1_3gpuE4ELNS1_3repE0EEENS1_30default_config_static_selectorELNS0_4arch9wavefront6targetE1EEEvT1_.kd
    .uniform_work_group_size: 1
    .uses_dynamic_stack: false
    .vgpr_count:     0
    .vgpr_spill_count: 0
    .wavefront_size: 64
  - .agpr_count:     0
    .args:
      - .offset:         0
        .size:           120
        .value_kind:     by_value
    .group_segment_fixed_size: 0
    .kernarg_segment_align: 8
    .kernarg_segment_size: 120
    .language:       OpenCL C
    .language_version:
      - 2
      - 0
    .max_flat_workgroup_size: 256
    .name:           _ZN7rocprim17ROCPRIM_400000_NS6detail17trampoline_kernelINS0_14default_configENS1_27scan_by_key_config_selectorIj11FixedVectorIiLj2EEEEZZNS1_16scan_by_key_implILNS1_25lookback_scan_determinismE0ELb1ES3_N6thrust23THRUST_200600_302600_NS6detail15normal_iteratorINSB_10device_ptrIjEEEENSD_INSE_IS6_EEEESI_S6_NSB_4plusIvEENSB_8equal_toIvEES6_EE10hipError_tPvRmT2_T3_T4_T5_mT6_T7_P12ihipStream_tbENKUlT_T0_E_clISt17integral_constantIbLb0EES13_EEDaSY_SZ_EUlSY_E_NS1_11comp_targetILNS1_3genE9ELNS1_11target_archE1100ELNS1_3gpuE3ELNS1_3repE0EEENS1_30default_config_static_selectorELNS0_4arch9wavefront6targetE1EEEvT1_
    .private_segment_fixed_size: 0
    .sgpr_count:     4
    .sgpr_spill_count: 0
    .symbol:         _ZN7rocprim17ROCPRIM_400000_NS6detail17trampoline_kernelINS0_14default_configENS1_27scan_by_key_config_selectorIj11FixedVectorIiLj2EEEEZZNS1_16scan_by_key_implILNS1_25lookback_scan_determinismE0ELb1ES3_N6thrust23THRUST_200600_302600_NS6detail15normal_iteratorINSB_10device_ptrIjEEEENSD_INSE_IS6_EEEESI_S6_NSB_4plusIvEENSB_8equal_toIvEES6_EE10hipError_tPvRmT2_T3_T4_T5_mT6_T7_P12ihipStream_tbENKUlT_T0_E_clISt17integral_constantIbLb0EES13_EEDaSY_SZ_EUlSY_E_NS1_11comp_targetILNS1_3genE9ELNS1_11target_archE1100ELNS1_3gpuE3ELNS1_3repE0EEENS1_30default_config_static_selectorELNS0_4arch9wavefront6targetE1EEEvT1_.kd
    .uniform_work_group_size: 1
    .uses_dynamic_stack: false
    .vgpr_count:     0
    .vgpr_spill_count: 0
    .wavefront_size: 64
  - .agpr_count:     0
    .args:
      - .offset:         0
        .size:           120
        .value_kind:     by_value
    .group_segment_fixed_size: 0
    .kernarg_segment_align: 8
    .kernarg_segment_size: 120
    .language:       OpenCL C
    .language_version:
      - 2
      - 0
    .max_flat_workgroup_size: 256
    .name:           _ZN7rocprim17ROCPRIM_400000_NS6detail17trampoline_kernelINS0_14default_configENS1_27scan_by_key_config_selectorIj11FixedVectorIiLj2EEEEZZNS1_16scan_by_key_implILNS1_25lookback_scan_determinismE0ELb1ES3_N6thrust23THRUST_200600_302600_NS6detail15normal_iteratorINSB_10device_ptrIjEEEENSD_INSE_IS6_EEEESI_S6_NSB_4plusIvEENSB_8equal_toIvEES6_EE10hipError_tPvRmT2_T3_T4_T5_mT6_T7_P12ihipStream_tbENKUlT_T0_E_clISt17integral_constantIbLb0EES13_EEDaSY_SZ_EUlSY_E_NS1_11comp_targetILNS1_3genE8ELNS1_11target_archE1030ELNS1_3gpuE2ELNS1_3repE0EEENS1_30default_config_static_selectorELNS0_4arch9wavefront6targetE1EEEvT1_
    .private_segment_fixed_size: 0
    .sgpr_count:     4
    .sgpr_spill_count: 0
    .symbol:         _ZN7rocprim17ROCPRIM_400000_NS6detail17trampoline_kernelINS0_14default_configENS1_27scan_by_key_config_selectorIj11FixedVectorIiLj2EEEEZZNS1_16scan_by_key_implILNS1_25lookback_scan_determinismE0ELb1ES3_N6thrust23THRUST_200600_302600_NS6detail15normal_iteratorINSB_10device_ptrIjEEEENSD_INSE_IS6_EEEESI_S6_NSB_4plusIvEENSB_8equal_toIvEES6_EE10hipError_tPvRmT2_T3_T4_T5_mT6_T7_P12ihipStream_tbENKUlT_T0_E_clISt17integral_constantIbLb0EES13_EEDaSY_SZ_EUlSY_E_NS1_11comp_targetILNS1_3genE8ELNS1_11target_archE1030ELNS1_3gpuE2ELNS1_3repE0EEENS1_30default_config_static_selectorELNS0_4arch9wavefront6targetE1EEEvT1_.kd
    .uniform_work_group_size: 1
    .uses_dynamic_stack: false
    .vgpr_count:     0
    .vgpr_spill_count: 0
    .wavefront_size: 64
  - .agpr_count:     0
    .args:
      - .offset:         0
        .size:           120
        .value_kind:     by_value
    .group_segment_fixed_size: 0
    .kernarg_segment_align: 8
    .kernarg_segment_size: 120
    .language:       OpenCL C
    .language_version:
      - 2
      - 0
    .max_flat_workgroup_size: 128
    .name:           _ZN7rocprim17ROCPRIM_400000_NS6detail17trampoline_kernelINS0_14default_configENS1_27scan_by_key_config_selectorIj11FixedVectorIiLj2EEEEZZNS1_16scan_by_key_implILNS1_25lookback_scan_determinismE0ELb1ES3_N6thrust23THRUST_200600_302600_NS6detail15normal_iteratorINSB_10device_ptrIjEEEENSD_INSE_IS6_EEEESI_S6_NSB_4plusIvEENSB_8equal_toIvEES6_EE10hipError_tPvRmT2_T3_T4_T5_mT6_T7_P12ihipStream_tbENKUlT_T0_E_clISt17integral_constantIbLb1EES13_EEDaSY_SZ_EUlSY_E_NS1_11comp_targetILNS1_3genE0ELNS1_11target_archE4294967295ELNS1_3gpuE0ELNS1_3repE0EEENS1_30default_config_static_selectorELNS0_4arch9wavefront6targetE1EEEvT1_
    .private_segment_fixed_size: 0
    .sgpr_count:     4
    .sgpr_spill_count: 0
    .symbol:         _ZN7rocprim17ROCPRIM_400000_NS6detail17trampoline_kernelINS0_14default_configENS1_27scan_by_key_config_selectorIj11FixedVectorIiLj2EEEEZZNS1_16scan_by_key_implILNS1_25lookback_scan_determinismE0ELb1ES3_N6thrust23THRUST_200600_302600_NS6detail15normal_iteratorINSB_10device_ptrIjEEEENSD_INSE_IS6_EEEESI_S6_NSB_4plusIvEENSB_8equal_toIvEES6_EE10hipError_tPvRmT2_T3_T4_T5_mT6_T7_P12ihipStream_tbENKUlT_T0_E_clISt17integral_constantIbLb1EES13_EEDaSY_SZ_EUlSY_E_NS1_11comp_targetILNS1_3genE0ELNS1_11target_archE4294967295ELNS1_3gpuE0ELNS1_3repE0EEENS1_30default_config_static_selectorELNS0_4arch9wavefront6targetE1EEEvT1_.kd
    .uniform_work_group_size: 1
    .uses_dynamic_stack: false
    .vgpr_count:     0
    .vgpr_spill_count: 0
    .wavefront_size: 64
  - .agpr_count:     0
    .args:
      - .offset:         0
        .size:           120
        .value_kind:     by_value
    .group_segment_fixed_size: 0
    .kernarg_segment_align: 8
    .kernarg_segment_size: 120
    .language:       OpenCL C
    .language_version:
      - 2
      - 0
    .max_flat_workgroup_size: 256
    .name:           _ZN7rocprim17ROCPRIM_400000_NS6detail17trampoline_kernelINS0_14default_configENS1_27scan_by_key_config_selectorIj11FixedVectorIiLj2EEEEZZNS1_16scan_by_key_implILNS1_25lookback_scan_determinismE0ELb1ES3_N6thrust23THRUST_200600_302600_NS6detail15normal_iteratorINSB_10device_ptrIjEEEENSD_INSE_IS6_EEEESI_S6_NSB_4plusIvEENSB_8equal_toIvEES6_EE10hipError_tPvRmT2_T3_T4_T5_mT6_T7_P12ihipStream_tbENKUlT_T0_E_clISt17integral_constantIbLb1EES13_EEDaSY_SZ_EUlSY_E_NS1_11comp_targetILNS1_3genE10ELNS1_11target_archE1201ELNS1_3gpuE5ELNS1_3repE0EEENS1_30default_config_static_selectorELNS0_4arch9wavefront6targetE1EEEvT1_
    .private_segment_fixed_size: 0
    .sgpr_count:     4
    .sgpr_spill_count: 0
    .symbol:         _ZN7rocprim17ROCPRIM_400000_NS6detail17trampoline_kernelINS0_14default_configENS1_27scan_by_key_config_selectorIj11FixedVectorIiLj2EEEEZZNS1_16scan_by_key_implILNS1_25lookback_scan_determinismE0ELb1ES3_N6thrust23THRUST_200600_302600_NS6detail15normal_iteratorINSB_10device_ptrIjEEEENSD_INSE_IS6_EEEESI_S6_NSB_4plusIvEENSB_8equal_toIvEES6_EE10hipError_tPvRmT2_T3_T4_T5_mT6_T7_P12ihipStream_tbENKUlT_T0_E_clISt17integral_constantIbLb1EES13_EEDaSY_SZ_EUlSY_E_NS1_11comp_targetILNS1_3genE10ELNS1_11target_archE1201ELNS1_3gpuE5ELNS1_3repE0EEENS1_30default_config_static_selectorELNS0_4arch9wavefront6targetE1EEEvT1_.kd
    .uniform_work_group_size: 1
    .uses_dynamic_stack: false
    .vgpr_count:     0
    .vgpr_spill_count: 0
    .wavefront_size: 64
  - .agpr_count:     0
    .args:
      - .offset:         0
        .size:           120
        .value_kind:     by_value
    .group_segment_fixed_size: 0
    .kernarg_segment_align: 8
    .kernarg_segment_size: 120
    .language:       OpenCL C
    .language_version:
      - 2
      - 0
    .max_flat_workgroup_size: 256
    .name:           _ZN7rocprim17ROCPRIM_400000_NS6detail17trampoline_kernelINS0_14default_configENS1_27scan_by_key_config_selectorIj11FixedVectorIiLj2EEEEZZNS1_16scan_by_key_implILNS1_25lookback_scan_determinismE0ELb1ES3_N6thrust23THRUST_200600_302600_NS6detail15normal_iteratorINSB_10device_ptrIjEEEENSD_INSE_IS6_EEEESI_S6_NSB_4plusIvEENSB_8equal_toIvEES6_EE10hipError_tPvRmT2_T3_T4_T5_mT6_T7_P12ihipStream_tbENKUlT_T0_E_clISt17integral_constantIbLb1EES13_EEDaSY_SZ_EUlSY_E_NS1_11comp_targetILNS1_3genE5ELNS1_11target_archE942ELNS1_3gpuE9ELNS1_3repE0EEENS1_30default_config_static_selectorELNS0_4arch9wavefront6targetE1EEEvT1_
    .private_segment_fixed_size: 0
    .sgpr_count:     4
    .sgpr_spill_count: 0
    .symbol:         _ZN7rocprim17ROCPRIM_400000_NS6detail17trampoline_kernelINS0_14default_configENS1_27scan_by_key_config_selectorIj11FixedVectorIiLj2EEEEZZNS1_16scan_by_key_implILNS1_25lookback_scan_determinismE0ELb1ES3_N6thrust23THRUST_200600_302600_NS6detail15normal_iteratorINSB_10device_ptrIjEEEENSD_INSE_IS6_EEEESI_S6_NSB_4plusIvEENSB_8equal_toIvEES6_EE10hipError_tPvRmT2_T3_T4_T5_mT6_T7_P12ihipStream_tbENKUlT_T0_E_clISt17integral_constantIbLb1EES13_EEDaSY_SZ_EUlSY_E_NS1_11comp_targetILNS1_3genE5ELNS1_11target_archE942ELNS1_3gpuE9ELNS1_3repE0EEENS1_30default_config_static_selectorELNS0_4arch9wavefront6targetE1EEEvT1_.kd
    .uniform_work_group_size: 1
    .uses_dynamic_stack: false
    .vgpr_count:     0
    .vgpr_spill_count: 0
    .wavefront_size: 64
  - .agpr_count:     0
    .args:
      - .offset:         0
        .size:           120
        .value_kind:     by_value
    .group_segment_fixed_size: 10752
    .kernarg_segment_align: 8
    .kernarg_segment_size: 120
    .language:       OpenCL C
    .language_version:
      - 2
      - 0
    .max_flat_workgroup_size: 64
    .name:           _ZN7rocprim17ROCPRIM_400000_NS6detail17trampoline_kernelINS0_14default_configENS1_27scan_by_key_config_selectorIj11FixedVectorIiLj2EEEEZZNS1_16scan_by_key_implILNS1_25lookback_scan_determinismE0ELb1ES3_N6thrust23THRUST_200600_302600_NS6detail15normal_iteratorINSB_10device_ptrIjEEEENSD_INSE_IS6_EEEESI_S6_NSB_4plusIvEENSB_8equal_toIvEES6_EE10hipError_tPvRmT2_T3_T4_T5_mT6_T7_P12ihipStream_tbENKUlT_T0_E_clISt17integral_constantIbLb1EES13_EEDaSY_SZ_EUlSY_E_NS1_11comp_targetILNS1_3genE4ELNS1_11target_archE910ELNS1_3gpuE8ELNS1_3repE0EEENS1_30default_config_static_selectorELNS0_4arch9wavefront6targetE1EEEvT1_
    .private_segment_fixed_size: 0
    .sgpr_count:     80
    .sgpr_spill_count: 0
    .symbol:         _ZN7rocprim17ROCPRIM_400000_NS6detail17trampoline_kernelINS0_14default_configENS1_27scan_by_key_config_selectorIj11FixedVectorIiLj2EEEEZZNS1_16scan_by_key_implILNS1_25lookback_scan_determinismE0ELb1ES3_N6thrust23THRUST_200600_302600_NS6detail15normal_iteratorINSB_10device_ptrIjEEEENSD_INSE_IS6_EEEESI_S6_NSB_4plusIvEENSB_8equal_toIvEES6_EE10hipError_tPvRmT2_T3_T4_T5_mT6_T7_P12ihipStream_tbENKUlT_T0_E_clISt17integral_constantIbLb1EES13_EEDaSY_SZ_EUlSY_E_NS1_11comp_targetILNS1_3genE4ELNS1_11target_archE910ELNS1_3gpuE8ELNS1_3repE0EEENS1_30default_config_static_selectorELNS0_4arch9wavefront6targetE1EEEvT1_.kd
    .uniform_work_group_size: 1
    .uses_dynamic_stack: false
    .vgpr_count:     128
    .vgpr_spill_count: 0
    .wavefront_size: 64
  - .agpr_count:     0
    .args:
      - .offset:         0
        .size:           120
        .value_kind:     by_value
    .group_segment_fixed_size: 0
    .kernarg_segment_align: 8
    .kernarg_segment_size: 120
    .language:       OpenCL C
    .language_version:
      - 2
      - 0
    .max_flat_workgroup_size: 128
    .name:           _ZN7rocprim17ROCPRIM_400000_NS6detail17trampoline_kernelINS0_14default_configENS1_27scan_by_key_config_selectorIj11FixedVectorIiLj2EEEEZZNS1_16scan_by_key_implILNS1_25lookback_scan_determinismE0ELb1ES3_N6thrust23THRUST_200600_302600_NS6detail15normal_iteratorINSB_10device_ptrIjEEEENSD_INSE_IS6_EEEESI_S6_NSB_4plusIvEENSB_8equal_toIvEES6_EE10hipError_tPvRmT2_T3_T4_T5_mT6_T7_P12ihipStream_tbENKUlT_T0_E_clISt17integral_constantIbLb1EES13_EEDaSY_SZ_EUlSY_E_NS1_11comp_targetILNS1_3genE3ELNS1_11target_archE908ELNS1_3gpuE7ELNS1_3repE0EEENS1_30default_config_static_selectorELNS0_4arch9wavefront6targetE1EEEvT1_
    .private_segment_fixed_size: 0
    .sgpr_count:     4
    .sgpr_spill_count: 0
    .symbol:         _ZN7rocprim17ROCPRIM_400000_NS6detail17trampoline_kernelINS0_14default_configENS1_27scan_by_key_config_selectorIj11FixedVectorIiLj2EEEEZZNS1_16scan_by_key_implILNS1_25lookback_scan_determinismE0ELb1ES3_N6thrust23THRUST_200600_302600_NS6detail15normal_iteratorINSB_10device_ptrIjEEEENSD_INSE_IS6_EEEESI_S6_NSB_4plusIvEENSB_8equal_toIvEES6_EE10hipError_tPvRmT2_T3_T4_T5_mT6_T7_P12ihipStream_tbENKUlT_T0_E_clISt17integral_constantIbLb1EES13_EEDaSY_SZ_EUlSY_E_NS1_11comp_targetILNS1_3genE3ELNS1_11target_archE908ELNS1_3gpuE7ELNS1_3repE0EEENS1_30default_config_static_selectorELNS0_4arch9wavefront6targetE1EEEvT1_.kd
    .uniform_work_group_size: 1
    .uses_dynamic_stack: false
    .vgpr_count:     0
    .vgpr_spill_count: 0
    .wavefront_size: 64
  - .agpr_count:     0
    .args:
      - .offset:         0
        .size:           120
        .value_kind:     by_value
    .group_segment_fixed_size: 0
    .kernarg_segment_align: 8
    .kernarg_segment_size: 120
    .language:       OpenCL C
    .language_version:
      - 2
      - 0
    .max_flat_workgroup_size: 64
    .name:           _ZN7rocprim17ROCPRIM_400000_NS6detail17trampoline_kernelINS0_14default_configENS1_27scan_by_key_config_selectorIj11FixedVectorIiLj2EEEEZZNS1_16scan_by_key_implILNS1_25lookback_scan_determinismE0ELb1ES3_N6thrust23THRUST_200600_302600_NS6detail15normal_iteratorINSB_10device_ptrIjEEEENSD_INSE_IS6_EEEESI_S6_NSB_4plusIvEENSB_8equal_toIvEES6_EE10hipError_tPvRmT2_T3_T4_T5_mT6_T7_P12ihipStream_tbENKUlT_T0_E_clISt17integral_constantIbLb1EES13_EEDaSY_SZ_EUlSY_E_NS1_11comp_targetILNS1_3genE2ELNS1_11target_archE906ELNS1_3gpuE6ELNS1_3repE0EEENS1_30default_config_static_selectorELNS0_4arch9wavefront6targetE1EEEvT1_
    .private_segment_fixed_size: 0
    .sgpr_count:     4
    .sgpr_spill_count: 0
    .symbol:         _ZN7rocprim17ROCPRIM_400000_NS6detail17trampoline_kernelINS0_14default_configENS1_27scan_by_key_config_selectorIj11FixedVectorIiLj2EEEEZZNS1_16scan_by_key_implILNS1_25lookback_scan_determinismE0ELb1ES3_N6thrust23THRUST_200600_302600_NS6detail15normal_iteratorINSB_10device_ptrIjEEEENSD_INSE_IS6_EEEESI_S6_NSB_4plusIvEENSB_8equal_toIvEES6_EE10hipError_tPvRmT2_T3_T4_T5_mT6_T7_P12ihipStream_tbENKUlT_T0_E_clISt17integral_constantIbLb1EES13_EEDaSY_SZ_EUlSY_E_NS1_11comp_targetILNS1_3genE2ELNS1_11target_archE906ELNS1_3gpuE6ELNS1_3repE0EEENS1_30default_config_static_selectorELNS0_4arch9wavefront6targetE1EEEvT1_.kd
    .uniform_work_group_size: 1
    .uses_dynamic_stack: false
    .vgpr_count:     0
    .vgpr_spill_count: 0
    .wavefront_size: 64
  - .agpr_count:     0
    .args:
      - .offset:         0
        .size:           120
        .value_kind:     by_value
    .group_segment_fixed_size: 0
    .kernarg_segment_align: 8
    .kernarg_segment_size: 120
    .language:       OpenCL C
    .language_version:
      - 2
      - 0
    .max_flat_workgroup_size: 256
    .name:           _ZN7rocprim17ROCPRIM_400000_NS6detail17trampoline_kernelINS0_14default_configENS1_27scan_by_key_config_selectorIj11FixedVectorIiLj2EEEEZZNS1_16scan_by_key_implILNS1_25lookback_scan_determinismE0ELb1ES3_N6thrust23THRUST_200600_302600_NS6detail15normal_iteratorINSB_10device_ptrIjEEEENSD_INSE_IS6_EEEESI_S6_NSB_4plusIvEENSB_8equal_toIvEES6_EE10hipError_tPvRmT2_T3_T4_T5_mT6_T7_P12ihipStream_tbENKUlT_T0_E_clISt17integral_constantIbLb1EES13_EEDaSY_SZ_EUlSY_E_NS1_11comp_targetILNS1_3genE10ELNS1_11target_archE1200ELNS1_3gpuE4ELNS1_3repE0EEENS1_30default_config_static_selectorELNS0_4arch9wavefront6targetE1EEEvT1_
    .private_segment_fixed_size: 0
    .sgpr_count:     4
    .sgpr_spill_count: 0
    .symbol:         _ZN7rocprim17ROCPRIM_400000_NS6detail17trampoline_kernelINS0_14default_configENS1_27scan_by_key_config_selectorIj11FixedVectorIiLj2EEEEZZNS1_16scan_by_key_implILNS1_25lookback_scan_determinismE0ELb1ES3_N6thrust23THRUST_200600_302600_NS6detail15normal_iteratorINSB_10device_ptrIjEEEENSD_INSE_IS6_EEEESI_S6_NSB_4plusIvEENSB_8equal_toIvEES6_EE10hipError_tPvRmT2_T3_T4_T5_mT6_T7_P12ihipStream_tbENKUlT_T0_E_clISt17integral_constantIbLb1EES13_EEDaSY_SZ_EUlSY_E_NS1_11comp_targetILNS1_3genE10ELNS1_11target_archE1200ELNS1_3gpuE4ELNS1_3repE0EEENS1_30default_config_static_selectorELNS0_4arch9wavefront6targetE1EEEvT1_.kd
    .uniform_work_group_size: 1
    .uses_dynamic_stack: false
    .vgpr_count:     0
    .vgpr_spill_count: 0
    .wavefront_size: 64
  - .agpr_count:     0
    .args:
      - .offset:         0
        .size:           120
        .value_kind:     by_value
    .group_segment_fixed_size: 0
    .kernarg_segment_align: 8
    .kernarg_segment_size: 120
    .language:       OpenCL C
    .language_version:
      - 2
      - 0
    .max_flat_workgroup_size: 256
    .name:           _ZN7rocprim17ROCPRIM_400000_NS6detail17trampoline_kernelINS0_14default_configENS1_27scan_by_key_config_selectorIj11FixedVectorIiLj2EEEEZZNS1_16scan_by_key_implILNS1_25lookback_scan_determinismE0ELb1ES3_N6thrust23THRUST_200600_302600_NS6detail15normal_iteratorINSB_10device_ptrIjEEEENSD_INSE_IS6_EEEESI_S6_NSB_4plusIvEENSB_8equal_toIvEES6_EE10hipError_tPvRmT2_T3_T4_T5_mT6_T7_P12ihipStream_tbENKUlT_T0_E_clISt17integral_constantIbLb1EES13_EEDaSY_SZ_EUlSY_E_NS1_11comp_targetILNS1_3genE9ELNS1_11target_archE1100ELNS1_3gpuE3ELNS1_3repE0EEENS1_30default_config_static_selectorELNS0_4arch9wavefront6targetE1EEEvT1_
    .private_segment_fixed_size: 0
    .sgpr_count:     4
    .sgpr_spill_count: 0
    .symbol:         _ZN7rocprim17ROCPRIM_400000_NS6detail17trampoline_kernelINS0_14default_configENS1_27scan_by_key_config_selectorIj11FixedVectorIiLj2EEEEZZNS1_16scan_by_key_implILNS1_25lookback_scan_determinismE0ELb1ES3_N6thrust23THRUST_200600_302600_NS6detail15normal_iteratorINSB_10device_ptrIjEEEENSD_INSE_IS6_EEEESI_S6_NSB_4plusIvEENSB_8equal_toIvEES6_EE10hipError_tPvRmT2_T3_T4_T5_mT6_T7_P12ihipStream_tbENKUlT_T0_E_clISt17integral_constantIbLb1EES13_EEDaSY_SZ_EUlSY_E_NS1_11comp_targetILNS1_3genE9ELNS1_11target_archE1100ELNS1_3gpuE3ELNS1_3repE0EEENS1_30default_config_static_selectorELNS0_4arch9wavefront6targetE1EEEvT1_.kd
    .uniform_work_group_size: 1
    .uses_dynamic_stack: false
    .vgpr_count:     0
    .vgpr_spill_count: 0
    .wavefront_size: 64
  - .agpr_count:     0
    .args:
      - .offset:         0
        .size:           120
        .value_kind:     by_value
    .group_segment_fixed_size: 0
    .kernarg_segment_align: 8
    .kernarg_segment_size: 120
    .language:       OpenCL C
    .language_version:
      - 2
      - 0
    .max_flat_workgroup_size: 256
    .name:           _ZN7rocprim17ROCPRIM_400000_NS6detail17trampoline_kernelINS0_14default_configENS1_27scan_by_key_config_selectorIj11FixedVectorIiLj2EEEEZZNS1_16scan_by_key_implILNS1_25lookback_scan_determinismE0ELb1ES3_N6thrust23THRUST_200600_302600_NS6detail15normal_iteratorINSB_10device_ptrIjEEEENSD_INSE_IS6_EEEESI_S6_NSB_4plusIvEENSB_8equal_toIvEES6_EE10hipError_tPvRmT2_T3_T4_T5_mT6_T7_P12ihipStream_tbENKUlT_T0_E_clISt17integral_constantIbLb1EES13_EEDaSY_SZ_EUlSY_E_NS1_11comp_targetILNS1_3genE8ELNS1_11target_archE1030ELNS1_3gpuE2ELNS1_3repE0EEENS1_30default_config_static_selectorELNS0_4arch9wavefront6targetE1EEEvT1_
    .private_segment_fixed_size: 0
    .sgpr_count:     4
    .sgpr_spill_count: 0
    .symbol:         _ZN7rocprim17ROCPRIM_400000_NS6detail17trampoline_kernelINS0_14default_configENS1_27scan_by_key_config_selectorIj11FixedVectorIiLj2EEEEZZNS1_16scan_by_key_implILNS1_25lookback_scan_determinismE0ELb1ES3_N6thrust23THRUST_200600_302600_NS6detail15normal_iteratorINSB_10device_ptrIjEEEENSD_INSE_IS6_EEEESI_S6_NSB_4plusIvEENSB_8equal_toIvEES6_EE10hipError_tPvRmT2_T3_T4_T5_mT6_T7_P12ihipStream_tbENKUlT_T0_E_clISt17integral_constantIbLb1EES13_EEDaSY_SZ_EUlSY_E_NS1_11comp_targetILNS1_3genE8ELNS1_11target_archE1030ELNS1_3gpuE2ELNS1_3repE0EEENS1_30default_config_static_selectorELNS0_4arch9wavefront6targetE1EEEvT1_.kd
    .uniform_work_group_size: 1
    .uses_dynamic_stack: false
    .vgpr_count:     0
    .vgpr_spill_count: 0
    .wavefront_size: 64
  - .agpr_count:     0
    .args:
      - .offset:         0
        .size:           120
        .value_kind:     by_value
    .group_segment_fixed_size: 0
    .kernarg_segment_align: 8
    .kernarg_segment_size: 120
    .language:       OpenCL C
    .language_version:
      - 2
      - 0
    .max_flat_workgroup_size: 128
    .name:           _ZN7rocprim17ROCPRIM_400000_NS6detail17trampoline_kernelINS0_14default_configENS1_27scan_by_key_config_selectorIj11FixedVectorIiLj2EEEEZZNS1_16scan_by_key_implILNS1_25lookback_scan_determinismE0ELb1ES3_N6thrust23THRUST_200600_302600_NS6detail15normal_iteratorINSB_10device_ptrIjEEEENSD_INSE_IS6_EEEESI_S6_NSB_4plusIvEENSB_8equal_toIvEES6_EE10hipError_tPvRmT2_T3_T4_T5_mT6_T7_P12ihipStream_tbENKUlT_T0_E_clISt17integral_constantIbLb1EES12_IbLb0EEEEDaSY_SZ_EUlSY_E_NS1_11comp_targetILNS1_3genE0ELNS1_11target_archE4294967295ELNS1_3gpuE0ELNS1_3repE0EEENS1_30default_config_static_selectorELNS0_4arch9wavefront6targetE1EEEvT1_
    .private_segment_fixed_size: 0
    .sgpr_count:     4
    .sgpr_spill_count: 0
    .symbol:         _ZN7rocprim17ROCPRIM_400000_NS6detail17trampoline_kernelINS0_14default_configENS1_27scan_by_key_config_selectorIj11FixedVectorIiLj2EEEEZZNS1_16scan_by_key_implILNS1_25lookback_scan_determinismE0ELb1ES3_N6thrust23THRUST_200600_302600_NS6detail15normal_iteratorINSB_10device_ptrIjEEEENSD_INSE_IS6_EEEESI_S6_NSB_4plusIvEENSB_8equal_toIvEES6_EE10hipError_tPvRmT2_T3_T4_T5_mT6_T7_P12ihipStream_tbENKUlT_T0_E_clISt17integral_constantIbLb1EES12_IbLb0EEEEDaSY_SZ_EUlSY_E_NS1_11comp_targetILNS1_3genE0ELNS1_11target_archE4294967295ELNS1_3gpuE0ELNS1_3repE0EEENS1_30default_config_static_selectorELNS0_4arch9wavefront6targetE1EEEvT1_.kd
    .uniform_work_group_size: 1
    .uses_dynamic_stack: false
    .vgpr_count:     0
    .vgpr_spill_count: 0
    .wavefront_size: 64
  - .agpr_count:     0
    .args:
      - .offset:         0
        .size:           120
        .value_kind:     by_value
    .group_segment_fixed_size: 0
    .kernarg_segment_align: 8
    .kernarg_segment_size: 120
    .language:       OpenCL C
    .language_version:
      - 2
      - 0
    .max_flat_workgroup_size: 256
    .name:           _ZN7rocprim17ROCPRIM_400000_NS6detail17trampoline_kernelINS0_14default_configENS1_27scan_by_key_config_selectorIj11FixedVectorIiLj2EEEEZZNS1_16scan_by_key_implILNS1_25lookback_scan_determinismE0ELb1ES3_N6thrust23THRUST_200600_302600_NS6detail15normal_iteratorINSB_10device_ptrIjEEEENSD_INSE_IS6_EEEESI_S6_NSB_4plusIvEENSB_8equal_toIvEES6_EE10hipError_tPvRmT2_T3_T4_T5_mT6_T7_P12ihipStream_tbENKUlT_T0_E_clISt17integral_constantIbLb1EES12_IbLb0EEEEDaSY_SZ_EUlSY_E_NS1_11comp_targetILNS1_3genE10ELNS1_11target_archE1201ELNS1_3gpuE5ELNS1_3repE0EEENS1_30default_config_static_selectorELNS0_4arch9wavefront6targetE1EEEvT1_
    .private_segment_fixed_size: 0
    .sgpr_count:     4
    .sgpr_spill_count: 0
    .symbol:         _ZN7rocprim17ROCPRIM_400000_NS6detail17trampoline_kernelINS0_14default_configENS1_27scan_by_key_config_selectorIj11FixedVectorIiLj2EEEEZZNS1_16scan_by_key_implILNS1_25lookback_scan_determinismE0ELb1ES3_N6thrust23THRUST_200600_302600_NS6detail15normal_iteratorINSB_10device_ptrIjEEEENSD_INSE_IS6_EEEESI_S6_NSB_4plusIvEENSB_8equal_toIvEES6_EE10hipError_tPvRmT2_T3_T4_T5_mT6_T7_P12ihipStream_tbENKUlT_T0_E_clISt17integral_constantIbLb1EES12_IbLb0EEEEDaSY_SZ_EUlSY_E_NS1_11comp_targetILNS1_3genE10ELNS1_11target_archE1201ELNS1_3gpuE5ELNS1_3repE0EEENS1_30default_config_static_selectorELNS0_4arch9wavefront6targetE1EEEvT1_.kd
    .uniform_work_group_size: 1
    .uses_dynamic_stack: false
    .vgpr_count:     0
    .vgpr_spill_count: 0
    .wavefront_size: 64
  - .agpr_count:     0
    .args:
      - .offset:         0
        .size:           120
        .value_kind:     by_value
    .group_segment_fixed_size: 0
    .kernarg_segment_align: 8
    .kernarg_segment_size: 120
    .language:       OpenCL C
    .language_version:
      - 2
      - 0
    .max_flat_workgroup_size: 256
    .name:           _ZN7rocprim17ROCPRIM_400000_NS6detail17trampoline_kernelINS0_14default_configENS1_27scan_by_key_config_selectorIj11FixedVectorIiLj2EEEEZZNS1_16scan_by_key_implILNS1_25lookback_scan_determinismE0ELb1ES3_N6thrust23THRUST_200600_302600_NS6detail15normal_iteratorINSB_10device_ptrIjEEEENSD_INSE_IS6_EEEESI_S6_NSB_4plusIvEENSB_8equal_toIvEES6_EE10hipError_tPvRmT2_T3_T4_T5_mT6_T7_P12ihipStream_tbENKUlT_T0_E_clISt17integral_constantIbLb1EES12_IbLb0EEEEDaSY_SZ_EUlSY_E_NS1_11comp_targetILNS1_3genE5ELNS1_11target_archE942ELNS1_3gpuE9ELNS1_3repE0EEENS1_30default_config_static_selectorELNS0_4arch9wavefront6targetE1EEEvT1_
    .private_segment_fixed_size: 0
    .sgpr_count:     4
    .sgpr_spill_count: 0
    .symbol:         _ZN7rocprim17ROCPRIM_400000_NS6detail17trampoline_kernelINS0_14default_configENS1_27scan_by_key_config_selectorIj11FixedVectorIiLj2EEEEZZNS1_16scan_by_key_implILNS1_25lookback_scan_determinismE0ELb1ES3_N6thrust23THRUST_200600_302600_NS6detail15normal_iteratorINSB_10device_ptrIjEEEENSD_INSE_IS6_EEEESI_S6_NSB_4plusIvEENSB_8equal_toIvEES6_EE10hipError_tPvRmT2_T3_T4_T5_mT6_T7_P12ihipStream_tbENKUlT_T0_E_clISt17integral_constantIbLb1EES12_IbLb0EEEEDaSY_SZ_EUlSY_E_NS1_11comp_targetILNS1_3genE5ELNS1_11target_archE942ELNS1_3gpuE9ELNS1_3repE0EEENS1_30default_config_static_selectorELNS0_4arch9wavefront6targetE1EEEvT1_.kd
    .uniform_work_group_size: 1
    .uses_dynamic_stack: false
    .vgpr_count:     0
    .vgpr_spill_count: 0
    .wavefront_size: 64
  - .agpr_count:     0
    .args:
      - .offset:         0
        .size:           120
        .value_kind:     by_value
    .group_segment_fixed_size: 10752
    .kernarg_segment_align: 8
    .kernarg_segment_size: 120
    .language:       OpenCL C
    .language_version:
      - 2
      - 0
    .max_flat_workgroup_size: 64
    .name:           _ZN7rocprim17ROCPRIM_400000_NS6detail17trampoline_kernelINS0_14default_configENS1_27scan_by_key_config_selectorIj11FixedVectorIiLj2EEEEZZNS1_16scan_by_key_implILNS1_25lookback_scan_determinismE0ELb1ES3_N6thrust23THRUST_200600_302600_NS6detail15normal_iteratorINSB_10device_ptrIjEEEENSD_INSE_IS6_EEEESI_S6_NSB_4plusIvEENSB_8equal_toIvEES6_EE10hipError_tPvRmT2_T3_T4_T5_mT6_T7_P12ihipStream_tbENKUlT_T0_E_clISt17integral_constantIbLb1EES12_IbLb0EEEEDaSY_SZ_EUlSY_E_NS1_11comp_targetILNS1_3genE4ELNS1_11target_archE910ELNS1_3gpuE8ELNS1_3repE0EEENS1_30default_config_static_selectorELNS0_4arch9wavefront6targetE1EEEvT1_
    .private_segment_fixed_size: 0
    .sgpr_count:     80
    .sgpr_spill_count: 0
    .symbol:         _ZN7rocprim17ROCPRIM_400000_NS6detail17trampoline_kernelINS0_14default_configENS1_27scan_by_key_config_selectorIj11FixedVectorIiLj2EEEEZZNS1_16scan_by_key_implILNS1_25lookback_scan_determinismE0ELb1ES3_N6thrust23THRUST_200600_302600_NS6detail15normal_iteratorINSB_10device_ptrIjEEEENSD_INSE_IS6_EEEESI_S6_NSB_4plusIvEENSB_8equal_toIvEES6_EE10hipError_tPvRmT2_T3_T4_T5_mT6_T7_P12ihipStream_tbENKUlT_T0_E_clISt17integral_constantIbLb1EES12_IbLb0EEEEDaSY_SZ_EUlSY_E_NS1_11comp_targetILNS1_3genE4ELNS1_11target_archE910ELNS1_3gpuE8ELNS1_3repE0EEENS1_30default_config_static_selectorELNS0_4arch9wavefront6targetE1EEEvT1_.kd
    .uniform_work_group_size: 1
    .uses_dynamic_stack: false
    .vgpr_count:     126
    .vgpr_spill_count: 0
    .wavefront_size: 64
  - .agpr_count:     0
    .args:
      - .offset:         0
        .size:           120
        .value_kind:     by_value
    .group_segment_fixed_size: 0
    .kernarg_segment_align: 8
    .kernarg_segment_size: 120
    .language:       OpenCL C
    .language_version:
      - 2
      - 0
    .max_flat_workgroup_size: 128
    .name:           _ZN7rocprim17ROCPRIM_400000_NS6detail17trampoline_kernelINS0_14default_configENS1_27scan_by_key_config_selectorIj11FixedVectorIiLj2EEEEZZNS1_16scan_by_key_implILNS1_25lookback_scan_determinismE0ELb1ES3_N6thrust23THRUST_200600_302600_NS6detail15normal_iteratorINSB_10device_ptrIjEEEENSD_INSE_IS6_EEEESI_S6_NSB_4plusIvEENSB_8equal_toIvEES6_EE10hipError_tPvRmT2_T3_T4_T5_mT6_T7_P12ihipStream_tbENKUlT_T0_E_clISt17integral_constantIbLb1EES12_IbLb0EEEEDaSY_SZ_EUlSY_E_NS1_11comp_targetILNS1_3genE3ELNS1_11target_archE908ELNS1_3gpuE7ELNS1_3repE0EEENS1_30default_config_static_selectorELNS0_4arch9wavefront6targetE1EEEvT1_
    .private_segment_fixed_size: 0
    .sgpr_count:     4
    .sgpr_spill_count: 0
    .symbol:         _ZN7rocprim17ROCPRIM_400000_NS6detail17trampoline_kernelINS0_14default_configENS1_27scan_by_key_config_selectorIj11FixedVectorIiLj2EEEEZZNS1_16scan_by_key_implILNS1_25lookback_scan_determinismE0ELb1ES3_N6thrust23THRUST_200600_302600_NS6detail15normal_iteratorINSB_10device_ptrIjEEEENSD_INSE_IS6_EEEESI_S6_NSB_4plusIvEENSB_8equal_toIvEES6_EE10hipError_tPvRmT2_T3_T4_T5_mT6_T7_P12ihipStream_tbENKUlT_T0_E_clISt17integral_constantIbLb1EES12_IbLb0EEEEDaSY_SZ_EUlSY_E_NS1_11comp_targetILNS1_3genE3ELNS1_11target_archE908ELNS1_3gpuE7ELNS1_3repE0EEENS1_30default_config_static_selectorELNS0_4arch9wavefront6targetE1EEEvT1_.kd
    .uniform_work_group_size: 1
    .uses_dynamic_stack: false
    .vgpr_count:     0
    .vgpr_spill_count: 0
    .wavefront_size: 64
  - .agpr_count:     0
    .args:
      - .offset:         0
        .size:           120
        .value_kind:     by_value
    .group_segment_fixed_size: 0
    .kernarg_segment_align: 8
    .kernarg_segment_size: 120
    .language:       OpenCL C
    .language_version:
      - 2
      - 0
    .max_flat_workgroup_size: 64
    .name:           _ZN7rocprim17ROCPRIM_400000_NS6detail17trampoline_kernelINS0_14default_configENS1_27scan_by_key_config_selectorIj11FixedVectorIiLj2EEEEZZNS1_16scan_by_key_implILNS1_25lookback_scan_determinismE0ELb1ES3_N6thrust23THRUST_200600_302600_NS6detail15normal_iteratorINSB_10device_ptrIjEEEENSD_INSE_IS6_EEEESI_S6_NSB_4plusIvEENSB_8equal_toIvEES6_EE10hipError_tPvRmT2_T3_T4_T5_mT6_T7_P12ihipStream_tbENKUlT_T0_E_clISt17integral_constantIbLb1EES12_IbLb0EEEEDaSY_SZ_EUlSY_E_NS1_11comp_targetILNS1_3genE2ELNS1_11target_archE906ELNS1_3gpuE6ELNS1_3repE0EEENS1_30default_config_static_selectorELNS0_4arch9wavefront6targetE1EEEvT1_
    .private_segment_fixed_size: 0
    .sgpr_count:     4
    .sgpr_spill_count: 0
    .symbol:         _ZN7rocprim17ROCPRIM_400000_NS6detail17trampoline_kernelINS0_14default_configENS1_27scan_by_key_config_selectorIj11FixedVectorIiLj2EEEEZZNS1_16scan_by_key_implILNS1_25lookback_scan_determinismE0ELb1ES3_N6thrust23THRUST_200600_302600_NS6detail15normal_iteratorINSB_10device_ptrIjEEEENSD_INSE_IS6_EEEESI_S6_NSB_4plusIvEENSB_8equal_toIvEES6_EE10hipError_tPvRmT2_T3_T4_T5_mT6_T7_P12ihipStream_tbENKUlT_T0_E_clISt17integral_constantIbLb1EES12_IbLb0EEEEDaSY_SZ_EUlSY_E_NS1_11comp_targetILNS1_3genE2ELNS1_11target_archE906ELNS1_3gpuE6ELNS1_3repE0EEENS1_30default_config_static_selectorELNS0_4arch9wavefront6targetE1EEEvT1_.kd
    .uniform_work_group_size: 1
    .uses_dynamic_stack: false
    .vgpr_count:     0
    .vgpr_spill_count: 0
    .wavefront_size: 64
  - .agpr_count:     0
    .args:
      - .offset:         0
        .size:           120
        .value_kind:     by_value
    .group_segment_fixed_size: 0
    .kernarg_segment_align: 8
    .kernarg_segment_size: 120
    .language:       OpenCL C
    .language_version:
      - 2
      - 0
    .max_flat_workgroup_size: 256
    .name:           _ZN7rocprim17ROCPRIM_400000_NS6detail17trampoline_kernelINS0_14default_configENS1_27scan_by_key_config_selectorIj11FixedVectorIiLj2EEEEZZNS1_16scan_by_key_implILNS1_25lookback_scan_determinismE0ELb1ES3_N6thrust23THRUST_200600_302600_NS6detail15normal_iteratorINSB_10device_ptrIjEEEENSD_INSE_IS6_EEEESI_S6_NSB_4plusIvEENSB_8equal_toIvEES6_EE10hipError_tPvRmT2_T3_T4_T5_mT6_T7_P12ihipStream_tbENKUlT_T0_E_clISt17integral_constantIbLb1EES12_IbLb0EEEEDaSY_SZ_EUlSY_E_NS1_11comp_targetILNS1_3genE10ELNS1_11target_archE1200ELNS1_3gpuE4ELNS1_3repE0EEENS1_30default_config_static_selectorELNS0_4arch9wavefront6targetE1EEEvT1_
    .private_segment_fixed_size: 0
    .sgpr_count:     4
    .sgpr_spill_count: 0
    .symbol:         _ZN7rocprim17ROCPRIM_400000_NS6detail17trampoline_kernelINS0_14default_configENS1_27scan_by_key_config_selectorIj11FixedVectorIiLj2EEEEZZNS1_16scan_by_key_implILNS1_25lookback_scan_determinismE0ELb1ES3_N6thrust23THRUST_200600_302600_NS6detail15normal_iteratorINSB_10device_ptrIjEEEENSD_INSE_IS6_EEEESI_S6_NSB_4plusIvEENSB_8equal_toIvEES6_EE10hipError_tPvRmT2_T3_T4_T5_mT6_T7_P12ihipStream_tbENKUlT_T0_E_clISt17integral_constantIbLb1EES12_IbLb0EEEEDaSY_SZ_EUlSY_E_NS1_11comp_targetILNS1_3genE10ELNS1_11target_archE1200ELNS1_3gpuE4ELNS1_3repE0EEENS1_30default_config_static_selectorELNS0_4arch9wavefront6targetE1EEEvT1_.kd
    .uniform_work_group_size: 1
    .uses_dynamic_stack: false
    .vgpr_count:     0
    .vgpr_spill_count: 0
    .wavefront_size: 64
  - .agpr_count:     0
    .args:
      - .offset:         0
        .size:           120
        .value_kind:     by_value
    .group_segment_fixed_size: 0
    .kernarg_segment_align: 8
    .kernarg_segment_size: 120
    .language:       OpenCL C
    .language_version:
      - 2
      - 0
    .max_flat_workgroup_size: 256
    .name:           _ZN7rocprim17ROCPRIM_400000_NS6detail17trampoline_kernelINS0_14default_configENS1_27scan_by_key_config_selectorIj11FixedVectorIiLj2EEEEZZNS1_16scan_by_key_implILNS1_25lookback_scan_determinismE0ELb1ES3_N6thrust23THRUST_200600_302600_NS6detail15normal_iteratorINSB_10device_ptrIjEEEENSD_INSE_IS6_EEEESI_S6_NSB_4plusIvEENSB_8equal_toIvEES6_EE10hipError_tPvRmT2_T3_T4_T5_mT6_T7_P12ihipStream_tbENKUlT_T0_E_clISt17integral_constantIbLb1EES12_IbLb0EEEEDaSY_SZ_EUlSY_E_NS1_11comp_targetILNS1_3genE9ELNS1_11target_archE1100ELNS1_3gpuE3ELNS1_3repE0EEENS1_30default_config_static_selectorELNS0_4arch9wavefront6targetE1EEEvT1_
    .private_segment_fixed_size: 0
    .sgpr_count:     4
    .sgpr_spill_count: 0
    .symbol:         _ZN7rocprim17ROCPRIM_400000_NS6detail17trampoline_kernelINS0_14default_configENS1_27scan_by_key_config_selectorIj11FixedVectorIiLj2EEEEZZNS1_16scan_by_key_implILNS1_25lookback_scan_determinismE0ELb1ES3_N6thrust23THRUST_200600_302600_NS6detail15normal_iteratorINSB_10device_ptrIjEEEENSD_INSE_IS6_EEEESI_S6_NSB_4plusIvEENSB_8equal_toIvEES6_EE10hipError_tPvRmT2_T3_T4_T5_mT6_T7_P12ihipStream_tbENKUlT_T0_E_clISt17integral_constantIbLb1EES12_IbLb0EEEEDaSY_SZ_EUlSY_E_NS1_11comp_targetILNS1_3genE9ELNS1_11target_archE1100ELNS1_3gpuE3ELNS1_3repE0EEENS1_30default_config_static_selectorELNS0_4arch9wavefront6targetE1EEEvT1_.kd
    .uniform_work_group_size: 1
    .uses_dynamic_stack: false
    .vgpr_count:     0
    .vgpr_spill_count: 0
    .wavefront_size: 64
  - .agpr_count:     0
    .args:
      - .offset:         0
        .size:           120
        .value_kind:     by_value
    .group_segment_fixed_size: 0
    .kernarg_segment_align: 8
    .kernarg_segment_size: 120
    .language:       OpenCL C
    .language_version:
      - 2
      - 0
    .max_flat_workgroup_size: 256
    .name:           _ZN7rocprim17ROCPRIM_400000_NS6detail17trampoline_kernelINS0_14default_configENS1_27scan_by_key_config_selectorIj11FixedVectorIiLj2EEEEZZNS1_16scan_by_key_implILNS1_25lookback_scan_determinismE0ELb1ES3_N6thrust23THRUST_200600_302600_NS6detail15normal_iteratorINSB_10device_ptrIjEEEENSD_INSE_IS6_EEEESI_S6_NSB_4plusIvEENSB_8equal_toIvEES6_EE10hipError_tPvRmT2_T3_T4_T5_mT6_T7_P12ihipStream_tbENKUlT_T0_E_clISt17integral_constantIbLb1EES12_IbLb0EEEEDaSY_SZ_EUlSY_E_NS1_11comp_targetILNS1_3genE8ELNS1_11target_archE1030ELNS1_3gpuE2ELNS1_3repE0EEENS1_30default_config_static_selectorELNS0_4arch9wavefront6targetE1EEEvT1_
    .private_segment_fixed_size: 0
    .sgpr_count:     4
    .sgpr_spill_count: 0
    .symbol:         _ZN7rocprim17ROCPRIM_400000_NS6detail17trampoline_kernelINS0_14default_configENS1_27scan_by_key_config_selectorIj11FixedVectorIiLj2EEEEZZNS1_16scan_by_key_implILNS1_25lookback_scan_determinismE0ELb1ES3_N6thrust23THRUST_200600_302600_NS6detail15normal_iteratorINSB_10device_ptrIjEEEENSD_INSE_IS6_EEEESI_S6_NSB_4plusIvEENSB_8equal_toIvEES6_EE10hipError_tPvRmT2_T3_T4_T5_mT6_T7_P12ihipStream_tbENKUlT_T0_E_clISt17integral_constantIbLb1EES12_IbLb0EEEEDaSY_SZ_EUlSY_E_NS1_11comp_targetILNS1_3genE8ELNS1_11target_archE1030ELNS1_3gpuE2ELNS1_3repE0EEENS1_30default_config_static_selectorELNS0_4arch9wavefront6targetE1EEEvT1_.kd
    .uniform_work_group_size: 1
    .uses_dynamic_stack: false
    .vgpr_count:     0
    .vgpr_spill_count: 0
    .wavefront_size: 64
  - .agpr_count:     0
    .args:
      - .offset:         0
        .size:           120
        .value_kind:     by_value
    .group_segment_fixed_size: 0
    .kernarg_segment_align: 8
    .kernarg_segment_size: 120
    .language:       OpenCL C
    .language_version:
      - 2
      - 0
    .max_flat_workgroup_size: 128
    .name:           _ZN7rocprim17ROCPRIM_400000_NS6detail17trampoline_kernelINS0_14default_configENS1_27scan_by_key_config_selectorIj11FixedVectorIiLj2EEEEZZNS1_16scan_by_key_implILNS1_25lookback_scan_determinismE0ELb1ES3_N6thrust23THRUST_200600_302600_NS6detail15normal_iteratorINSB_10device_ptrIjEEEENSD_INSE_IS6_EEEESI_S6_NSB_4plusIvEENSB_8equal_toIvEES6_EE10hipError_tPvRmT2_T3_T4_T5_mT6_T7_P12ihipStream_tbENKUlT_T0_E_clISt17integral_constantIbLb0EES12_IbLb1EEEEDaSY_SZ_EUlSY_E_NS1_11comp_targetILNS1_3genE0ELNS1_11target_archE4294967295ELNS1_3gpuE0ELNS1_3repE0EEENS1_30default_config_static_selectorELNS0_4arch9wavefront6targetE1EEEvT1_
    .private_segment_fixed_size: 0
    .sgpr_count:     4
    .sgpr_spill_count: 0
    .symbol:         _ZN7rocprim17ROCPRIM_400000_NS6detail17trampoline_kernelINS0_14default_configENS1_27scan_by_key_config_selectorIj11FixedVectorIiLj2EEEEZZNS1_16scan_by_key_implILNS1_25lookback_scan_determinismE0ELb1ES3_N6thrust23THRUST_200600_302600_NS6detail15normal_iteratorINSB_10device_ptrIjEEEENSD_INSE_IS6_EEEESI_S6_NSB_4plusIvEENSB_8equal_toIvEES6_EE10hipError_tPvRmT2_T3_T4_T5_mT6_T7_P12ihipStream_tbENKUlT_T0_E_clISt17integral_constantIbLb0EES12_IbLb1EEEEDaSY_SZ_EUlSY_E_NS1_11comp_targetILNS1_3genE0ELNS1_11target_archE4294967295ELNS1_3gpuE0ELNS1_3repE0EEENS1_30default_config_static_selectorELNS0_4arch9wavefront6targetE1EEEvT1_.kd
    .uniform_work_group_size: 1
    .uses_dynamic_stack: false
    .vgpr_count:     0
    .vgpr_spill_count: 0
    .wavefront_size: 64
  - .agpr_count:     0
    .args:
      - .offset:         0
        .size:           120
        .value_kind:     by_value
    .group_segment_fixed_size: 0
    .kernarg_segment_align: 8
    .kernarg_segment_size: 120
    .language:       OpenCL C
    .language_version:
      - 2
      - 0
    .max_flat_workgroup_size: 256
    .name:           _ZN7rocprim17ROCPRIM_400000_NS6detail17trampoline_kernelINS0_14default_configENS1_27scan_by_key_config_selectorIj11FixedVectorIiLj2EEEEZZNS1_16scan_by_key_implILNS1_25lookback_scan_determinismE0ELb1ES3_N6thrust23THRUST_200600_302600_NS6detail15normal_iteratorINSB_10device_ptrIjEEEENSD_INSE_IS6_EEEESI_S6_NSB_4plusIvEENSB_8equal_toIvEES6_EE10hipError_tPvRmT2_T3_T4_T5_mT6_T7_P12ihipStream_tbENKUlT_T0_E_clISt17integral_constantIbLb0EES12_IbLb1EEEEDaSY_SZ_EUlSY_E_NS1_11comp_targetILNS1_3genE10ELNS1_11target_archE1201ELNS1_3gpuE5ELNS1_3repE0EEENS1_30default_config_static_selectorELNS0_4arch9wavefront6targetE1EEEvT1_
    .private_segment_fixed_size: 0
    .sgpr_count:     4
    .sgpr_spill_count: 0
    .symbol:         _ZN7rocprim17ROCPRIM_400000_NS6detail17trampoline_kernelINS0_14default_configENS1_27scan_by_key_config_selectorIj11FixedVectorIiLj2EEEEZZNS1_16scan_by_key_implILNS1_25lookback_scan_determinismE0ELb1ES3_N6thrust23THRUST_200600_302600_NS6detail15normal_iteratorINSB_10device_ptrIjEEEENSD_INSE_IS6_EEEESI_S6_NSB_4plusIvEENSB_8equal_toIvEES6_EE10hipError_tPvRmT2_T3_T4_T5_mT6_T7_P12ihipStream_tbENKUlT_T0_E_clISt17integral_constantIbLb0EES12_IbLb1EEEEDaSY_SZ_EUlSY_E_NS1_11comp_targetILNS1_3genE10ELNS1_11target_archE1201ELNS1_3gpuE5ELNS1_3repE0EEENS1_30default_config_static_selectorELNS0_4arch9wavefront6targetE1EEEvT1_.kd
    .uniform_work_group_size: 1
    .uses_dynamic_stack: false
    .vgpr_count:     0
    .vgpr_spill_count: 0
    .wavefront_size: 64
  - .agpr_count:     0
    .args:
      - .offset:         0
        .size:           120
        .value_kind:     by_value
    .group_segment_fixed_size: 0
    .kernarg_segment_align: 8
    .kernarg_segment_size: 120
    .language:       OpenCL C
    .language_version:
      - 2
      - 0
    .max_flat_workgroup_size: 256
    .name:           _ZN7rocprim17ROCPRIM_400000_NS6detail17trampoline_kernelINS0_14default_configENS1_27scan_by_key_config_selectorIj11FixedVectorIiLj2EEEEZZNS1_16scan_by_key_implILNS1_25lookback_scan_determinismE0ELb1ES3_N6thrust23THRUST_200600_302600_NS6detail15normal_iteratorINSB_10device_ptrIjEEEENSD_INSE_IS6_EEEESI_S6_NSB_4plusIvEENSB_8equal_toIvEES6_EE10hipError_tPvRmT2_T3_T4_T5_mT6_T7_P12ihipStream_tbENKUlT_T0_E_clISt17integral_constantIbLb0EES12_IbLb1EEEEDaSY_SZ_EUlSY_E_NS1_11comp_targetILNS1_3genE5ELNS1_11target_archE942ELNS1_3gpuE9ELNS1_3repE0EEENS1_30default_config_static_selectorELNS0_4arch9wavefront6targetE1EEEvT1_
    .private_segment_fixed_size: 0
    .sgpr_count:     4
    .sgpr_spill_count: 0
    .symbol:         _ZN7rocprim17ROCPRIM_400000_NS6detail17trampoline_kernelINS0_14default_configENS1_27scan_by_key_config_selectorIj11FixedVectorIiLj2EEEEZZNS1_16scan_by_key_implILNS1_25lookback_scan_determinismE0ELb1ES3_N6thrust23THRUST_200600_302600_NS6detail15normal_iteratorINSB_10device_ptrIjEEEENSD_INSE_IS6_EEEESI_S6_NSB_4plusIvEENSB_8equal_toIvEES6_EE10hipError_tPvRmT2_T3_T4_T5_mT6_T7_P12ihipStream_tbENKUlT_T0_E_clISt17integral_constantIbLb0EES12_IbLb1EEEEDaSY_SZ_EUlSY_E_NS1_11comp_targetILNS1_3genE5ELNS1_11target_archE942ELNS1_3gpuE9ELNS1_3repE0EEENS1_30default_config_static_selectorELNS0_4arch9wavefront6targetE1EEEvT1_.kd
    .uniform_work_group_size: 1
    .uses_dynamic_stack: false
    .vgpr_count:     0
    .vgpr_spill_count: 0
    .wavefront_size: 64
  - .agpr_count:     0
    .args:
      - .offset:         0
        .size:           120
        .value_kind:     by_value
    .group_segment_fixed_size: 10752
    .kernarg_segment_align: 8
    .kernarg_segment_size: 120
    .language:       OpenCL C
    .language_version:
      - 2
      - 0
    .max_flat_workgroup_size: 64
    .name:           _ZN7rocprim17ROCPRIM_400000_NS6detail17trampoline_kernelINS0_14default_configENS1_27scan_by_key_config_selectorIj11FixedVectorIiLj2EEEEZZNS1_16scan_by_key_implILNS1_25lookback_scan_determinismE0ELb1ES3_N6thrust23THRUST_200600_302600_NS6detail15normal_iteratorINSB_10device_ptrIjEEEENSD_INSE_IS6_EEEESI_S6_NSB_4plusIvEENSB_8equal_toIvEES6_EE10hipError_tPvRmT2_T3_T4_T5_mT6_T7_P12ihipStream_tbENKUlT_T0_E_clISt17integral_constantIbLb0EES12_IbLb1EEEEDaSY_SZ_EUlSY_E_NS1_11comp_targetILNS1_3genE4ELNS1_11target_archE910ELNS1_3gpuE8ELNS1_3repE0EEENS1_30default_config_static_selectorELNS0_4arch9wavefront6targetE1EEEvT1_
    .private_segment_fixed_size: 0
    .sgpr_count:     80
    .sgpr_spill_count: 0
    .symbol:         _ZN7rocprim17ROCPRIM_400000_NS6detail17trampoline_kernelINS0_14default_configENS1_27scan_by_key_config_selectorIj11FixedVectorIiLj2EEEEZZNS1_16scan_by_key_implILNS1_25lookback_scan_determinismE0ELb1ES3_N6thrust23THRUST_200600_302600_NS6detail15normal_iteratorINSB_10device_ptrIjEEEENSD_INSE_IS6_EEEESI_S6_NSB_4plusIvEENSB_8equal_toIvEES6_EE10hipError_tPvRmT2_T3_T4_T5_mT6_T7_P12ihipStream_tbENKUlT_T0_E_clISt17integral_constantIbLb0EES12_IbLb1EEEEDaSY_SZ_EUlSY_E_NS1_11comp_targetILNS1_3genE4ELNS1_11target_archE910ELNS1_3gpuE8ELNS1_3repE0EEENS1_30default_config_static_selectorELNS0_4arch9wavefront6targetE1EEEvT1_.kd
    .uniform_work_group_size: 1
    .uses_dynamic_stack: false
    .vgpr_count:     128
    .vgpr_spill_count: 0
    .wavefront_size: 64
  - .agpr_count:     0
    .args:
      - .offset:         0
        .size:           120
        .value_kind:     by_value
    .group_segment_fixed_size: 0
    .kernarg_segment_align: 8
    .kernarg_segment_size: 120
    .language:       OpenCL C
    .language_version:
      - 2
      - 0
    .max_flat_workgroup_size: 128
    .name:           _ZN7rocprim17ROCPRIM_400000_NS6detail17trampoline_kernelINS0_14default_configENS1_27scan_by_key_config_selectorIj11FixedVectorIiLj2EEEEZZNS1_16scan_by_key_implILNS1_25lookback_scan_determinismE0ELb1ES3_N6thrust23THRUST_200600_302600_NS6detail15normal_iteratorINSB_10device_ptrIjEEEENSD_INSE_IS6_EEEESI_S6_NSB_4plusIvEENSB_8equal_toIvEES6_EE10hipError_tPvRmT2_T3_T4_T5_mT6_T7_P12ihipStream_tbENKUlT_T0_E_clISt17integral_constantIbLb0EES12_IbLb1EEEEDaSY_SZ_EUlSY_E_NS1_11comp_targetILNS1_3genE3ELNS1_11target_archE908ELNS1_3gpuE7ELNS1_3repE0EEENS1_30default_config_static_selectorELNS0_4arch9wavefront6targetE1EEEvT1_
    .private_segment_fixed_size: 0
    .sgpr_count:     4
    .sgpr_spill_count: 0
    .symbol:         _ZN7rocprim17ROCPRIM_400000_NS6detail17trampoline_kernelINS0_14default_configENS1_27scan_by_key_config_selectorIj11FixedVectorIiLj2EEEEZZNS1_16scan_by_key_implILNS1_25lookback_scan_determinismE0ELb1ES3_N6thrust23THRUST_200600_302600_NS6detail15normal_iteratorINSB_10device_ptrIjEEEENSD_INSE_IS6_EEEESI_S6_NSB_4plusIvEENSB_8equal_toIvEES6_EE10hipError_tPvRmT2_T3_T4_T5_mT6_T7_P12ihipStream_tbENKUlT_T0_E_clISt17integral_constantIbLb0EES12_IbLb1EEEEDaSY_SZ_EUlSY_E_NS1_11comp_targetILNS1_3genE3ELNS1_11target_archE908ELNS1_3gpuE7ELNS1_3repE0EEENS1_30default_config_static_selectorELNS0_4arch9wavefront6targetE1EEEvT1_.kd
    .uniform_work_group_size: 1
    .uses_dynamic_stack: false
    .vgpr_count:     0
    .vgpr_spill_count: 0
    .wavefront_size: 64
  - .agpr_count:     0
    .args:
      - .offset:         0
        .size:           120
        .value_kind:     by_value
    .group_segment_fixed_size: 0
    .kernarg_segment_align: 8
    .kernarg_segment_size: 120
    .language:       OpenCL C
    .language_version:
      - 2
      - 0
    .max_flat_workgroup_size: 64
    .name:           _ZN7rocprim17ROCPRIM_400000_NS6detail17trampoline_kernelINS0_14default_configENS1_27scan_by_key_config_selectorIj11FixedVectorIiLj2EEEEZZNS1_16scan_by_key_implILNS1_25lookback_scan_determinismE0ELb1ES3_N6thrust23THRUST_200600_302600_NS6detail15normal_iteratorINSB_10device_ptrIjEEEENSD_INSE_IS6_EEEESI_S6_NSB_4plusIvEENSB_8equal_toIvEES6_EE10hipError_tPvRmT2_T3_T4_T5_mT6_T7_P12ihipStream_tbENKUlT_T0_E_clISt17integral_constantIbLb0EES12_IbLb1EEEEDaSY_SZ_EUlSY_E_NS1_11comp_targetILNS1_3genE2ELNS1_11target_archE906ELNS1_3gpuE6ELNS1_3repE0EEENS1_30default_config_static_selectorELNS0_4arch9wavefront6targetE1EEEvT1_
    .private_segment_fixed_size: 0
    .sgpr_count:     4
    .sgpr_spill_count: 0
    .symbol:         _ZN7rocprim17ROCPRIM_400000_NS6detail17trampoline_kernelINS0_14default_configENS1_27scan_by_key_config_selectorIj11FixedVectorIiLj2EEEEZZNS1_16scan_by_key_implILNS1_25lookback_scan_determinismE0ELb1ES3_N6thrust23THRUST_200600_302600_NS6detail15normal_iteratorINSB_10device_ptrIjEEEENSD_INSE_IS6_EEEESI_S6_NSB_4plusIvEENSB_8equal_toIvEES6_EE10hipError_tPvRmT2_T3_T4_T5_mT6_T7_P12ihipStream_tbENKUlT_T0_E_clISt17integral_constantIbLb0EES12_IbLb1EEEEDaSY_SZ_EUlSY_E_NS1_11comp_targetILNS1_3genE2ELNS1_11target_archE906ELNS1_3gpuE6ELNS1_3repE0EEENS1_30default_config_static_selectorELNS0_4arch9wavefront6targetE1EEEvT1_.kd
    .uniform_work_group_size: 1
    .uses_dynamic_stack: false
    .vgpr_count:     0
    .vgpr_spill_count: 0
    .wavefront_size: 64
  - .agpr_count:     0
    .args:
      - .offset:         0
        .size:           120
        .value_kind:     by_value
    .group_segment_fixed_size: 0
    .kernarg_segment_align: 8
    .kernarg_segment_size: 120
    .language:       OpenCL C
    .language_version:
      - 2
      - 0
    .max_flat_workgroup_size: 256
    .name:           _ZN7rocprim17ROCPRIM_400000_NS6detail17trampoline_kernelINS0_14default_configENS1_27scan_by_key_config_selectorIj11FixedVectorIiLj2EEEEZZNS1_16scan_by_key_implILNS1_25lookback_scan_determinismE0ELb1ES3_N6thrust23THRUST_200600_302600_NS6detail15normal_iteratorINSB_10device_ptrIjEEEENSD_INSE_IS6_EEEESI_S6_NSB_4plusIvEENSB_8equal_toIvEES6_EE10hipError_tPvRmT2_T3_T4_T5_mT6_T7_P12ihipStream_tbENKUlT_T0_E_clISt17integral_constantIbLb0EES12_IbLb1EEEEDaSY_SZ_EUlSY_E_NS1_11comp_targetILNS1_3genE10ELNS1_11target_archE1200ELNS1_3gpuE4ELNS1_3repE0EEENS1_30default_config_static_selectorELNS0_4arch9wavefront6targetE1EEEvT1_
    .private_segment_fixed_size: 0
    .sgpr_count:     4
    .sgpr_spill_count: 0
    .symbol:         _ZN7rocprim17ROCPRIM_400000_NS6detail17trampoline_kernelINS0_14default_configENS1_27scan_by_key_config_selectorIj11FixedVectorIiLj2EEEEZZNS1_16scan_by_key_implILNS1_25lookback_scan_determinismE0ELb1ES3_N6thrust23THRUST_200600_302600_NS6detail15normal_iteratorINSB_10device_ptrIjEEEENSD_INSE_IS6_EEEESI_S6_NSB_4plusIvEENSB_8equal_toIvEES6_EE10hipError_tPvRmT2_T3_T4_T5_mT6_T7_P12ihipStream_tbENKUlT_T0_E_clISt17integral_constantIbLb0EES12_IbLb1EEEEDaSY_SZ_EUlSY_E_NS1_11comp_targetILNS1_3genE10ELNS1_11target_archE1200ELNS1_3gpuE4ELNS1_3repE0EEENS1_30default_config_static_selectorELNS0_4arch9wavefront6targetE1EEEvT1_.kd
    .uniform_work_group_size: 1
    .uses_dynamic_stack: false
    .vgpr_count:     0
    .vgpr_spill_count: 0
    .wavefront_size: 64
  - .agpr_count:     0
    .args:
      - .offset:         0
        .size:           120
        .value_kind:     by_value
    .group_segment_fixed_size: 0
    .kernarg_segment_align: 8
    .kernarg_segment_size: 120
    .language:       OpenCL C
    .language_version:
      - 2
      - 0
    .max_flat_workgroup_size: 256
    .name:           _ZN7rocprim17ROCPRIM_400000_NS6detail17trampoline_kernelINS0_14default_configENS1_27scan_by_key_config_selectorIj11FixedVectorIiLj2EEEEZZNS1_16scan_by_key_implILNS1_25lookback_scan_determinismE0ELb1ES3_N6thrust23THRUST_200600_302600_NS6detail15normal_iteratorINSB_10device_ptrIjEEEENSD_INSE_IS6_EEEESI_S6_NSB_4plusIvEENSB_8equal_toIvEES6_EE10hipError_tPvRmT2_T3_T4_T5_mT6_T7_P12ihipStream_tbENKUlT_T0_E_clISt17integral_constantIbLb0EES12_IbLb1EEEEDaSY_SZ_EUlSY_E_NS1_11comp_targetILNS1_3genE9ELNS1_11target_archE1100ELNS1_3gpuE3ELNS1_3repE0EEENS1_30default_config_static_selectorELNS0_4arch9wavefront6targetE1EEEvT1_
    .private_segment_fixed_size: 0
    .sgpr_count:     4
    .sgpr_spill_count: 0
    .symbol:         _ZN7rocprim17ROCPRIM_400000_NS6detail17trampoline_kernelINS0_14default_configENS1_27scan_by_key_config_selectorIj11FixedVectorIiLj2EEEEZZNS1_16scan_by_key_implILNS1_25lookback_scan_determinismE0ELb1ES3_N6thrust23THRUST_200600_302600_NS6detail15normal_iteratorINSB_10device_ptrIjEEEENSD_INSE_IS6_EEEESI_S6_NSB_4plusIvEENSB_8equal_toIvEES6_EE10hipError_tPvRmT2_T3_T4_T5_mT6_T7_P12ihipStream_tbENKUlT_T0_E_clISt17integral_constantIbLb0EES12_IbLb1EEEEDaSY_SZ_EUlSY_E_NS1_11comp_targetILNS1_3genE9ELNS1_11target_archE1100ELNS1_3gpuE3ELNS1_3repE0EEENS1_30default_config_static_selectorELNS0_4arch9wavefront6targetE1EEEvT1_.kd
    .uniform_work_group_size: 1
    .uses_dynamic_stack: false
    .vgpr_count:     0
    .vgpr_spill_count: 0
    .wavefront_size: 64
  - .agpr_count:     0
    .args:
      - .offset:         0
        .size:           120
        .value_kind:     by_value
    .group_segment_fixed_size: 0
    .kernarg_segment_align: 8
    .kernarg_segment_size: 120
    .language:       OpenCL C
    .language_version:
      - 2
      - 0
    .max_flat_workgroup_size: 256
    .name:           _ZN7rocprim17ROCPRIM_400000_NS6detail17trampoline_kernelINS0_14default_configENS1_27scan_by_key_config_selectorIj11FixedVectorIiLj2EEEEZZNS1_16scan_by_key_implILNS1_25lookback_scan_determinismE0ELb1ES3_N6thrust23THRUST_200600_302600_NS6detail15normal_iteratorINSB_10device_ptrIjEEEENSD_INSE_IS6_EEEESI_S6_NSB_4plusIvEENSB_8equal_toIvEES6_EE10hipError_tPvRmT2_T3_T4_T5_mT6_T7_P12ihipStream_tbENKUlT_T0_E_clISt17integral_constantIbLb0EES12_IbLb1EEEEDaSY_SZ_EUlSY_E_NS1_11comp_targetILNS1_3genE8ELNS1_11target_archE1030ELNS1_3gpuE2ELNS1_3repE0EEENS1_30default_config_static_selectorELNS0_4arch9wavefront6targetE1EEEvT1_
    .private_segment_fixed_size: 0
    .sgpr_count:     4
    .sgpr_spill_count: 0
    .symbol:         _ZN7rocprim17ROCPRIM_400000_NS6detail17trampoline_kernelINS0_14default_configENS1_27scan_by_key_config_selectorIj11FixedVectorIiLj2EEEEZZNS1_16scan_by_key_implILNS1_25lookback_scan_determinismE0ELb1ES3_N6thrust23THRUST_200600_302600_NS6detail15normal_iteratorINSB_10device_ptrIjEEEENSD_INSE_IS6_EEEESI_S6_NSB_4plusIvEENSB_8equal_toIvEES6_EE10hipError_tPvRmT2_T3_T4_T5_mT6_T7_P12ihipStream_tbENKUlT_T0_E_clISt17integral_constantIbLb0EES12_IbLb1EEEEDaSY_SZ_EUlSY_E_NS1_11comp_targetILNS1_3genE8ELNS1_11target_archE1030ELNS1_3gpuE2ELNS1_3repE0EEENS1_30default_config_static_selectorELNS0_4arch9wavefront6targetE1EEEvT1_.kd
    .uniform_work_group_size: 1
    .uses_dynamic_stack: false
    .vgpr_count:     0
    .vgpr_spill_count: 0
    .wavefront_size: 64
  - .agpr_count:     0
    .args:
      - .offset:         0
        .size:           16
        .value_kind:     by_value
      - .offset:         16
        .size:           8
        .value_kind:     by_value
      - .offset:         24
        .size:           8
        .value_kind:     by_value
    .group_segment_fixed_size: 0
    .kernarg_segment_align: 8
    .kernarg_segment_size: 32
    .language:       OpenCL C
    .language_version:
      - 2
      - 0
    .max_flat_workgroup_size: 256
    .name:           _ZN6thrust23THRUST_200600_302600_NS11hip_rocprim14__parallel_for6kernelILj256ENS1_10for_each_fINS0_10device_ptrI11FixedVectorIiLj4EEEENS0_6detail16wrapped_functionINS9_23allocator_traits_detail5gozerEvEEEElLj1EEEvT0_T1_SG_
    .private_segment_fixed_size: 0
    .sgpr_count:     4
    .sgpr_spill_count: 0
    .symbol:         _ZN6thrust23THRUST_200600_302600_NS11hip_rocprim14__parallel_for6kernelILj256ENS1_10for_each_fINS0_10device_ptrI11FixedVectorIiLj4EEEENS0_6detail16wrapped_functionINS9_23allocator_traits_detail5gozerEvEEEElLj1EEEvT0_T1_SG_.kd
    .uniform_work_group_size: 1
    .uses_dynamic_stack: false
    .vgpr_count:     0
    .vgpr_spill_count: 0
    .wavefront_size: 64
  - .agpr_count:     0
    .args:
      - .offset:         0
        .size:           16
        .value_kind:     by_value
      - .offset:         16
        .size:           8
        .value_kind:     by_value
      - .offset:         24
        .size:           8
        .value_kind:     by_value
    .group_segment_fixed_size: 0
    .kernarg_segment_align: 8
    .kernarg_segment_size: 32
    .language:       OpenCL C
    .language_version:
      - 2
      - 0
    .max_flat_workgroup_size: 256
    .name:           _ZN6thrust23THRUST_200600_302600_NS11hip_rocprim14__parallel_for6kernelILj256ENS1_10for_each_fINS0_10device_ptrI11FixedVectorIiLj4EEEENS0_6detail16wrapped_functionINS9_23allocator_traits_detail24construct1_via_allocatorINS0_16device_allocatorIS7_EEEEvEEEEmLj1EEEvT0_T1_SJ_
    .private_segment_fixed_size: 0
    .sgpr_count:     16
    .sgpr_spill_count: 0
    .symbol:         _ZN6thrust23THRUST_200600_302600_NS11hip_rocprim14__parallel_for6kernelILj256ENS1_10for_each_fINS0_10device_ptrI11FixedVectorIiLj4EEEENS0_6detail16wrapped_functionINS9_23allocator_traits_detail24construct1_via_allocatorINS0_16device_allocatorIS7_EEEEvEEEEmLj1EEEvT0_T1_SJ_.kd
    .uniform_work_group_size: 1
    .uses_dynamic_stack: false
    .vgpr_count:     8
    .vgpr_spill_count: 0
    .wavefront_size: 64
  - .agpr_count:     0
    .args:
      - .offset:         0
        .size:           24
        .value_kind:     by_value
      - .offset:         24
        .size:           4
        .value_kind:     by_value
      - .offset:         28
        .size:           4
        .value_kind:     by_value
      - .address_space:  global
        .offset:         32
        .size:           8
        .value_kind:     global_buffer
      - .address_space:  global
        .offset:         40
        .size:           8
        .value_kind:     global_buffer
      - .actual_access:  write_only
        .address_space:  global
        .offset:         48
        .size:           8
        .value_kind:     global_buffer
      - .offset:         56
        .size:           8
        .value_kind:     by_value
      - .offset:         64
        .size:           4
        .value_kind:     by_value
      - .offset:         68
        .size:           1
        .value_kind:     by_value
      - .offset:         72
        .size:           4
        .value_kind:     hidden_block_count_x
      - .offset:         76
        .size:           4
        .value_kind:     hidden_block_count_y
      - .offset:         80
        .size:           4
        .value_kind:     hidden_block_count_z
      - .offset:         84
        .size:           2
        .value_kind:     hidden_group_size_x
      - .offset:         86
        .size:           2
        .value_kind:     hidden_group_size_y
      - .offset:         88
        .size:           2
        .value_kind:     hidden_group_size_z
      - .offset:         90
        .size:           2
        .value_kind:     hidden_remainder_x
      - .offset:         92
        .size:           2
        .value_kind:     hidden_remainder_y
      - .offset:         94
        .size:           2
        .value_kind:     hidden_remainder_z
      - .offset:         112
        .size:           8
        .value_kind:     hidden_global_offset_x
      - .offset:         120
        .size:           8
        .value_kind:     hidden_global_offset_y
      - .offset:         128
        .size:           8
        .value_kind:     hidden_global_offset_z
      - .offset:         136
        .size:           2
        .value_kind:     hidden_grid_dims
    .group_segment_fixed_size: 5120
    .kernarg_segment_align: 8
    .kernarg_segment_size: 328
    .language:       OpenCL C
    .language_version:
      - 2
      - 0
    .max_flat_workgroup_size: 256
    .name:           _ZN7rocprim17ROCPRIM_400000_NS6detail30init_device_scan_by_key_kernelINS1_19lookback_scan_stateINS0_5tupleIJ11FixedVectorIiLj4EEbEEELb0ELb0EEEN6thrust23THRUST_200600_302600_NS6detail15normal_iteratorINSA_10device_ptrIjEEEEjNS1_16block_id_wrapperIjLb0EEEEEvT_jjPNSI_10value_typeET0_PNSt15iterator_traitsISL_E10value_typeEmT1_T2_
    .private_segment_fixed_size: 0
    .sgpr_count:     28
    .sgpr_spill_count: 0
    .symbol:         _ZN7rocprim17ROCPRIM_400000_NS6detail30init_device_scan_by_key_kernelINS1_19lookback_scan_stateINS0_5tupleIJ11FixedVectorIiLj4EEbEEELb0ELb0EEEN6thrust23THRUST_200600_302600_NS6detail15normal_iteratorINSA_10device_ptrIjEEEEjNS1_16block_id_wrapperIjLb0EEEEEvT_jjPNSI_10value_typeET0_PNSt15iterator_traitsISL_E10value_typeEmT1_T2_.kd
    .uniform_work_group_size: 1
    .uses_dynamic_stack: false
    .vgpr_count:     10
    .vgpr_spill_count: 0
    .wavefront_size: 64
  - .agpr_count:     0
    .args:
      - .offset:         0
        .size:           24
        .value_kind:     by_value
      - .offset:         24
        .size:           4
        .value_kind:     by_value
      - .offset:         28
        .size:           4
        .value_kind:     by_value
      - .address_space:  global
        .offset:         32
        .size:           8
        .value_kind:     global_buffer
      - .offset:         40
        .size:           1
        .value_kind:     by_value
      - .offset:         48
        .size:           4
        .value_kind:     hidden_block_count_x
      - .offset:         52
        .size:           4
        .value_kind:     hidden_block_count_y
      - .offset:         56
        .size:           4
        .value_kind:     hidden_block_count_z
      - .offset:         60
        .size:           2
        .value_kind:     hidden_group_size_x
      - .offset:         62
        .size:           2
        .value_kind:     hidden_group_size_y
      - .offset:         64
        .size:           2
        .value_kind:     hidden_group_size_z
      - .offset:         66
        .size:           2
        .value_kind:     hidden_remainder_x
      - .offset:         68
        .size:           2
        .value_kind:     hidden_remainder_y
      - .offset:         70
        .size:           2
        .value_kind:     hidden_remainder_z
      - .offset:         88
        .size:           8
        .value_kind:     hidden_global_offset_x
      - .offset:         96
        .size:           8
        .value_kind:     hidden_global_offset_y
      - .offset:         104
        .size:           8
        .value_kind:     hidden_global_offset_z
      - .offset:         112
        .size:           2
        .value_kind:     hidden_grid_dims
    .group_segment_fixed_size: 5120
    .kernarg_segment_align: 8
    .kernarg_segment_size: 304
    .language:       OpenCL C
    .language_version:
      - 2
      - 0
    .max_flat_workgroup_size: 256
    .name:           _ZN7rocprim17ROCPRIM_400000_NS6detail30init_device_scan_by_key_kernelINS1_19lookback_scan_stateINS0_5tupleIJ11FixedVectorIiLj4EEbEEELb0ELb0EEENS1_16block_id_wrapperIjLb0EEEEEvT_jjPNSB_10value_typeET0_
    .private_segment_fixed_size: 0
    .sgpr_count:     24
    .sgpr_spill_count: 0
    .symbol:         _ZN7rocprim17ROCPRIM_400000_NS6detail30init_device_scan_by_key_kernelINS1_19lookback_scan_stateINS0_5tupleIJ11FixedVectorIiLj4EEbEEELb0ELb0EEENS1_16block_id_wrapperIjLb0EEEEEvT_jjPNSB_10value_typeET0_.kd
    .uniform_work_group_size: 1
    .uses_dynamic_stack: false
    .vgpr_count:     8
    .vgpr_spill_count: 0
    .wavefront_size: 64
  - .agpr_count:     0
    .args:
      - .offset:         0
        .size:           144
        .value_kind:     by_value
    .group_segment_fixed_size: 0
    .kernarg_segment_align: 8
    .kernarg_segment_size: 144
    .language:       OpenCL C
    .language_version:
      - 2
      - 0
    .max_flat_workgroup_size: 64
    .name:           _ZN7rocprim17ROCPRIM_400000_NS6detail17trampoline_kernelINS0_14default_configENS1_27scan_by_key_config_selectorIj11FixedVectorIiLj4EEEEZZNS1_16scan_by_key_implILNS1_25lookback_scan_determinismE0ELb0ES3_N6thrust23THRUST_200600_302600_NS6detail15normal_iteratorINSB_10device_ptrIjEEEENSD_INSE_IS6_EEEESI_S6_NSB_4plusIvEENSB_8equal_toIvEES6_EE10hipError_tPvRmT2_T3_T4_T5_mT6_T7_P12ihipStream_tbENKUlT_T0_E_clISt17integral_constantIbLb0EES13_EEDaSY_SZ_EUlSY_E_NS1_11comp_targetILNS1_3genE0ELNS1_11target_archE4294967295ELNS1_3gpuE0ELNS1_3repE0EEENS1_30default_config_static_selectorELNS0_4arch9wavefront6targetE1EEEvT1_
    .private_segment_fixed_size: 0
    .sgpr_count:     4
    .sgpr_spill_count: 0
    .symbol:         _ZN7rocprim17ROCPRIM_400000_NS6detail17trampoline_kernelINS0_14default_configENS1_27scan_by_key_config_selectorIj11FixedVectorIiLj4EEEEZZNS1_16scan_by_key_implILNS1_25lookback_scan_determinismE0ELb0ES3_N6thrust23THRUST_200600_302600_NS6detail15normal_iteratorINSB_10device_ptrIjEEEENSD_INSE_IS6_EEEESI_S6_NSB_4plusIvEENSB_8equal_toIvEES6_EE10hipError_tPvRmT2_T3_T4_T5_mT6_T7_P12ihipStream_tbENKUlT_T0_E_clISt17integral_constantIbLb0EES13_EEDaSY_SZ_EUlSY_E_NS1_11comp_targetILNS1_3genE0ELNS1_11target_archE4294967295ELNS1_3gpuE0ELNS1_3repE0EEENS1_30default_config_static_selectorELNS0_4arch9wavefront6targetE1EEEvT1_.kd
    .uniform_work_group_size: 1
    .uses_dynamic_stack: false
    .vgpr_count:     0
    .vgpr_spill_count: 0
    .wavefront_size: 64
  - .agpr_count:     0
    .args:
      - .offset:         0
        .size:           144
        .value_kind:     by_value
    .group_segment_fixed_size: 0
    .kernarg_segment_align: 8
    .kernarg_segment_size: 144
    .language:       OpenCL C
    .language_version:
      - 2
      - 0
    .max_flat_workgroup_size: 256
    .name:           _ZN7rocprim17ROCPRIM_400000_NS6detail17trampoline_kernelINS0_14default_configENS1_27scan_by_key_config_selectorIj11FixedVectorIiLj4EEEEZZNS1_16scan_by_key_implILNS1_25lookback_scan_determinismE0ELb0ES3_N6thrust23THRUST_200600_302600_NS6detail15normal_iteratorINSB_10device_ptrIjEEEENSD_INSE_IS6_EEEESI_S6_NSB_4plusIvEENSB_8equal_toIvEES6_EE10hipError_tPvRmT2_T3_T4_T5_mT6_T7_P12ihipStream_tbENKUlT_T0_E_clISt17integral_constantIbLb0EES13_EEDaSY_SZ_EUlSY_E_NS1_11comp_targetILNS1_3genE10ELNS1_11target_archE1201ELNS1_3gpuE5ELNS1_3repE0EEENS1_30default_config_static_selectorELNS0_4arch9wavefront6targetE1EEEvT1_
    .private_segment_fixed_size: 0
    .sgpr_count:     4
    .sgpr_spill_count: 0
    .symbol:         _ZN7rocprim17ROCPRIM_400000_NS6detail17trampoline_kernelINS0_14default_configENS1_27scan_by_key_config_selectorIj11FixedVectorIiLj4EEEEZZNS1_16scan_by_key_implILNS1_25lookback_scan_determinismE0ELb0ES3_N6thrust23THRUST_200600_302600_NS6detail15normal_iteratorINSB_10device_ptrIjEEEENSD_INSE_IS6_EEEESI_S6_NSB_4plusIvEENSB_8equal_toIvEES6_EE10hipError_tPvRmT2_T3_T4_T5_mT6_T7_P12ihipStream_tbENKUlT_T0_E_clISt17integral_constantIbLb0EES13_EEDaSY_SZ_EUlSY_E_NS1_11comp_targetILNS1_3genE10ELNS1_11target_archE1201ELNS1_3gpuE5ELNS1_3repE0EEENS1_30default_config_static_selectorELNS0_4arch9wavefront6targetE1EEEvT1_.kd
    .uniform_work_group_size: 1
    .uses_dynamic_stack: false
    .vgpr_count:     0
    .vgpr_spill_count: 0
    .wavefront_size: 64
  - .agpr_count:     0
    .args:
      - .offset:         0
        .size:           144
        .value_kind:     by_value
    .group_segment_fixed_size: 0
    .kernarg_segment_align: 8
    .kernarg_segment_size: 144
    .language:       OpenCL C
    .language_version:
      - 2
      - 0
    .max_flat_workgroup_size: 128
    .name:           _ZN7rocprim17ROCPRIM_400000_NS6detail17trampoline_kernelINS0_14default_configENS1_27scan_by_key_config_selectorIj11FixedVectorIiLj4EEEEZZNS1_16scan_by_key_implILNS1_25lookback_scan_determinismE0ELb0ES3_N6thrust23THRUST_200600_302600_NS6detail15normal_iteratorINSB_10device_ptrIjEEEENSD_INSE_IS6_EEEESI_S6_NSB_4plusIvEENSB_8equal_toIvEES6_EE10hipError_tPvRmT2_T3_T4_T5_mT6_T7_P12ihipStream_tbENKUlT_T0_E_clISt17integral_constantIbLb0EES13_EEDaSY_SZ_EUlSY_E_NS1_11comp_targetILNS1_3genE5ELNS1_11target_archE942ELNS1_3gpuE9ELNS1_3repE0EEENS1_30default_config_static_selectorELNS0_4arch9wavefront6targetE1EEEvT1_
    .private_segment_fixed_size: 0
    .sgpr_count:     4
    .sgpr_spill_count: 0
    .symbol:         _ZN7rocprim17ROCPRIM_400000_NS6detail17trampoline_kernelINS0_14default_configENS1_27scan_by_key_config_selectorIj11FixedVectorIiLj4EEEEZZNS1_16scan_by_key_implILNS1_25lookback_scan_determinismE0ELb0ES3_N6thrust23THRUST_200600_302600_NS6detail15normal_iteratorINSB_10device_ptrIjEEEENSD_INSE_IS6_EEEESI_S6_NSB_4plusIvEENSB_8equal_toIvEES6_EE10hipError_tPvRmT2_T3_T4_T5_mT6_T7_P12ihipStream_tbENKUlT_T0_E_clISt17integral_constantIbLb0EES13_EEDaSY_SZ_EUlSY_E_NS1_11comp_targetILNS1_3genE5ELNS1_11target_archE942ELNS1_3gpuE9ELNS1_3repE0EEENS1_30default_config_static_selectorELNS0_4arch9wavefront6targetE1EEEvT1_.kd
    .uniform_work_group_size: 1
    .uses_dynamic_stack: false
    .vgpr_count:     0
    .vgpr_spill_count: 0
    .wavefront_size: 64
  - .agpr_count:     0
    .args:
      - .offset:         0
        .size:           144
        .value_kind:     by_value
    .group_segment_fixed_size: 20480
    .kernarg_segment_align: 8
    .kernarg_segment_size: 144
    .language:       OpenCL C
    .language_version:
      - 2
      - 0
    .max_flat_workgroup_size: 256
    .name:           _ZN7rocprim17ROCPRIM_400000_NS6detail17trampoline_kernelINS0_14default_configENS1_27scan_by_key_config_selectorIj11FixedVectorIiLj4EEEEZZNS1_16scan_by_key_implILNS1_25lookback_scan_determinismE0ELb0ES3_N6thrust23THRUST_200600_302600_NS6detail15normal_iteratorINSB_10device_ptrIjEEEENSD_INSE_IS6_EEEESI_S6_NSB_4plusIvEENSB_8equal_toIvEES6_EE10hipError_tPvRmT2_T3_T4_T5_mT6_T7_P12ihipStream_tbENKUlT_T0_E_clISt17integral_constantIbLb0EES13_EEDaSY_SZ_EUlSY_E_NS1_11comp_targetILNS1_3genE4ELNS1_11target_archE910ELNS1_3gpuE8ELNS1_3repE0EEENS1_30default_config_static_selectorELNS0_4arch9wavefront6targetE1EEEvT1_
    .private_segment_fixed_size: 320
    .sgpr_count:     57
    .sgpr_spill_count: 0
    .symbol:         _ZN7rocprim17ROCPRIM_400000_NS6detail17trampoline_kernelINS0_14default_configENS1_27scan_by_key_config_selectorIj11FixedVectorIiLj4EEEEZZNS1_16scan_by_key_implILNS1_25lookback_scan_determinismE0ELb0ES3_N6thrust23THRUST_200600_302600_NS6detail15normal_iteratorINSB_10device_ptrIjEEEENSD_INSE_IS6_EEEESI_S6_NSB_4plusIvEENSB_8equal_toIvEES6_EE10hipError_tPvRmT2_T3_T4_T5_mT6_T7_P12ihipStream_tbENKUlT_T0_E_clISt17integral_constantIbLb0EES13_EEDaSY_SZ_EUlSY_E_NS1_11comp_targetILNS1_3genE4ELNS1_11target_archE910ELNS1_3gpuE8ELNS1_3repE0EEENS1_30default_config_static_selectorELNS0_4arch9wavefront6targetE1EEEvT1_.kd
    .uniform_work_group_size: 1
    .uses_dynamic_stack: false
    .vgpr_count:     43
    .vgpr_spill_count: 0
    .wavefront_size: 64
  - .agpr_count:     0
    .args:
      - .offset:         0
        .size:           144
        .value_kind:     by_value
    .group_segment_fixed_size: 0
    .kernarg_segment_align: 8
    .kernarg_segment_size: 144
    .language:       OpenCL C
    .language_version:
      - 2
      - 0
    .max_flat_workgroup_size: 64
    .name:           _ZN7rocprim17ROCPRIM_400000_NS6detail17trampoline_kernelINS0_14default_configENS1_27scan_by_key_config_selectorIj11FixedVectorIiLj4EEEEZZNS1_16scan_by_key_implILNS1_25lookback_scan_determinismE0ELb0ES3_N6thrust23THRUST_200600_302600_NS6detail15normal_iteratorINSB_10device_ptrIjEEEENSD_INSE_IS6_EEEESI_S6_NSB_4plusIvEENSB_8equal_toIvEES6_EE10hipError_tPvRmT2_T3_T4_T5_mT6_T7_P12ihipStream_tbENKUlT_T0_E_clISt17integral_constantIbLb0EES13_EEDaSY_SZ_EUlSY_E_NS1_11comp_targetILNS1_3genE3ELNS1_11target_archE908ELNS1_3gpuE7ELNS1_3repE0EEENS1_30default_config_static_selectorELNS0_4arch9wavefront6targetE1EEEvT1_
    .private_segment_fixed_size: 0
    .sgpr_count:     4
    .sgpr_spill_count: 0
    .symbol:         _ZN7rocprim17ROCPRIM_400000_NS6detail17trampoline_kernelINS0_14default_configENS1_27scan_by_key_config_selectorIj11FixedVectorIiLj4EEEEZZNS1_16scan_by_key_implILNS1_25lookback_scan_determinismE0ELb0ES3_N6thrust23THRUST_200600_302600_NS6detail15normal_iteratorINSB_10device_ptrIjEEEENSD_INSE_IS6_EEEESI_S6_NSB_4plusIvEENSB_8equal_toIvEES6_EE10hipError_tPvRmT2_T3_T4_T5_mT6_T7_P12ihipStream_tbENKUlT_T0_E_clISt17integral_constantIbLb0EES13_EEDaSY_SZ_EUlSY_E_NS1_11comp_targetILNS1_3genE3ELNS1_11target_archE908ELNS1_3gpuE7ELNS1_3repE0EEENS1_30default_config_static_selectorELNS0_4arch9wavefront6targetE1EEEvT1_.kd
    .uniform_work_group_size: 1
    .uses_dynamic_stack: false
    .vgpr_count:     0
    .vgpr_spill_count: 0
    .wavefront_size: 64
  - .agpr_count:     0
    .args:
      - .offset:         0
        .size:           144
        .value_kind:     by_value
    .group_segment_fixed_size: 0
    .kernarg_segment_align: 8
    .kernarg_segment_size: 144
    .language:       OpenCL C
    .language_version:
      - 2
      - 0
    .max_flat_workgroup_size: 256
    .name:           _ZN7rocprim17ROCPRIM_400000_NS6detail17trampoline_kernelINS0_14default_configENS1_27scan_by_key_config_selectorIj11FixedVectorIiLj4EEEEZZNS1_16scan_by_key_implILNS1_25lookback_scan_determinismE0ELb0ES3_N6thrust23THRUST_200600_302600_NS6detail15normal_iteratorINSB_10device_ptrIjEEEENSD_INSE_IS6_EEEESI_S6_NSB_4plusIvEENSB_8equal_toIvEES6_EE10hipError_tPvRmT2_T3_T4_T5_mT6_T7_P12ihipStream_tbENKUlT_T0_E_clISt17integral_constantIbLb0EES13_EEDaSY_SZ_EUlSY_E_NS1_11comp_targetILNS1_3genE2ELNS1_11target_archE906ELNS1_3gpuE6ELNS1_3repE0EEENS1_30default_config_static_selectorELNS0_4arch9wavefront6targetE1EEEvT1_
    .private_segment_fixed_size: 0
    .sgpr_count:     4
    .sgpr_spill_count: 0
    .symbol:         _ZN7rocprim17ROCPRIM_400000_NS6detail17trampoline_kernelINS0_14default_configENS1_27scan_by_key_config_selectorIj11FixedVectorIiLj4EEEEZZNS1_16scan_by_key_implILNS1_25lookback_scan_determinismE0ELb0ES3_N6thrust23THRUST_200600_302600_NS6detail15normal_iteratorINSB_10device_ptrIjEEEENSD_INSE_IS6_EEEESI_S6_NSB_4plusIvEENSB_8equal_toIvEES6_EE10hipError_tPvRmT2_T3_T4_T5_mT6_T7_P12ihipStream_tbENKUlT_T0_E_clISt17integral_constantIbLb0EES13_EEDaSY_SZ_EUlSY_E_NS1_11comp_targetILNS1_3genE2ELNS1_11target_archE906ELNS1_3gpuE6ELNS1_3repE0EEENS1_30default_config_static_selectorELNS0_4arch9wavefront6targetE1EEEvT1_.kd
    .uniform_work_group_size: 1
    .uses_dynamic_stack: false
    .vgpr_count:     0
    .vgpr_spill_count: 0
    .wavefront_size: 64
  - .agpr_count:     0
    .args:
      - .offset:         0
        .size:           144
        .value_kind:     by_value
    .group_segment_fixed_size: 0
    .kernarg_segment_align: 8
    .kernarg_segment_size: 144
    .language:       OpenCL C
    .language_version:
      - 2
      - 0
    .max_flat_workgroup_size: 256
    .name:           _ZN7rocprim17ROCPRIM_400000_NS6detail17trampoline_kernelINS0_14default_configENS1_27scan_by_key_config_selectorIj11FixedVectorIiLj4EEEEZZNS1_16scan_by_key_implILNS1_25lookback_scan_determinismE0ELb0ES3_N6thrust23THRUST_200600_302600_NS6detail15normal_iteratorINSB_10device_ptrIjEEEENSD_INSE_IS6_EEEESI_S6_NSB_4plusIvEENSB_8equal_toIvEES6_EE10hipError_tPvRmT2_T3_T4_T5_mT6_T7_P12ihipStream_tbENKUlT_T0_E_clISt17integral_constantIbLb0EES13_EEDaSY_SZ_EUlSY_E_NS1_11comp_targetILNS1_3genE10ELNS1_11target_archE1200ELNS1_3gpuE4ELNS1_3repE0EEENS1_30default_config_static_selectorELNS0_4arch9wavefront6targetE1EEEvT1_
    .private_segment_fixed_size: 0
    .sgpr_count:     4
    .sgpr_spill_count: 0
    .symbol:         _ZN7rocprim17ROCPRIM_400000_NS6detail17trampoline_kernelINS0_14default_configENS1_27scan_by_key_config_selectorIj11FixedVectorIiLj4EEEEZZNS1_16scan_by_key_implILNS1_25lookback_scan_determinismE0ELb0ES3_N6thrust23THRUST_200600_302600_NS6detail15normal_iteratorINSB_10device_ptrIjEEEENSD_INSE_IS6_EEEESI_S6_NSB_4plusIvEENSB_8equal_toIvEES6_EE10hipError_tPvRmT2_T3_T4_T5_mT6_T7_P12ihipStream_tbENKUlT_T0_E_clISt17integral_constantIbLb0EES13_EEDaSY_SZ_EUlSY_E_NS1_11comp_targetILNS1_3genE10ELNS1_11target_archE1200ELNS1_3gpuE4ELNS1_3repE0EEENS1_30default_config_static_selectorELNS0_4arch9wavefront6targetE1EEEvT1_.kd
    .uniform_work_group_size: 1
    .uses_dynamic_stack: false
    .vgpr_count:     0
    .vgpr_spill_count: 0
    .wavefront_size: 64
  - .agpr_count:     0
    .args:
      - .offset:         0
        .size:           144
        .value_kind:     by_value
    .group_segment_fixed_size: 0
    .kernarg_segment_align: 8
    .kernarg_segment_size: 144
    .language:       OpenCL C
    .language_version:
      - 2
      - 0
    .max_flat_workgroup_size: 256
    .name:           _ZN7rocprim17ROCPRIM_400000_NS6detail17trampoline_kernelINS0_14default_configENS1_27scan_by_key_config_selectorIj11FixedVectorIiLj4EEEEZZNS1_16scan_by_key_implILNS1_25lookback_scan_determinismE0ELb0ES3_N6thrust23THRUST_200600_302600_NS6detail15normal_iteratorINSB_10device_ptrIjEEEENSD_INSE_IS6_EEEESI_S6_NSB_4plusIvEENSB_8equal_toIvEES6_EE10hipError_tPvRmT2_T3_T4_T5_mT6_T7_P12ihipStream_tbENKUlT_T0_E_clISt17integral_constantIbLb0EES13_EEDaSY_SZ_EUlSY_E_NS1_11comp_targetILNS1_3genE9ELNS1_11target_archE1100ELNS1_3gpuE3ELNS1_3repE0EEENS1_30default_config_static_selectorELNS0_4arch9wavefront6targetE1EEEvT1_
    .private_segment_fixed_size: 0
    .sgpr_count:     4
    .sgpr_spill_count: 0
    .symbol:         _ZN7rocprim17ROCPRIM_400000_NS6detail17trampoline_kernelINS0_14default_configENS1_27scan_by_key_config_selectorIj11FixedVectorIiLj4EEEEZZNS1_16scan_by_key_implILNS1_25lookback_scan_determinismE0ELb0ES3_N6thrust23THRUST_200600_302600_NS6detail15normal_iteratorINSB_10device_ptrIjEEEENSD_INSE_IS6_EEEESI_S6_NSB_4plusIvEENSB_8equal_toIvEES6_EE10hipError_tPvRmT2_T3_T4_T5_mT6_T7_P12ihipStream_tbENKUlT_T0_E_clISt17integral_constantIbLb0EES13_EEDaSY_SZ_EUlSY_E_NS1_11comp_targetILNS1_3genE9ELNS1_11target_archE1100ELNS1_3gpuE3ELNS1_3repE0EEENS1_30default_config_static_selectorELNS0_4arch9wavefront6targetE1EEEvT1_.kd
    .uniform_work_group_size: 1
    .uses_dynamic_stack: false
    .vgpr_count:     0
    .vgpr_spill_count: 0
    .wavefront_size: 64
  - .agpr_count:     0
    .args:
      - .offset:         0
        .size:           144
        .value_kind:     by_value
    .group_segment_fixed_size: 0
    .kernarg_segment_align: 8
    .kernarg_segment_size: 144
    .language:       OpenCL C
    .language_version:
      - 2
      - 0
    .max_flat_workgroup_size: 256
    .name:           _ZN7rocprim17ROCPRIM_400000_NS6detail17trampoline_kernelINS0_14default_configENS1_27scan_by_key_config_selectorIj11FixedVectorIiLj4EEEEZZNS1_16scan_by_key_implILNS1_25lookback_scan_determinismE0ELb0ES3_N6thrust23THRUST_200600_302600_NS6detail15normal_iteratorINSB_10device_ptrIjEEEENSD_INSE_IS6_EEEESI_S6_NSB_4plusIvEENSB_8equal_toIvEES6_EE10hipError_tPvRmT2_T3_T4_T5_mT6_T7_P12ihipStream_tbENKUlT_T0_E_clISt17integral_constantIbLb0EES13_EEDaSY_SZ_EUlSY_E_NS1_11comp_targetILNS1_3genE8ELNS1_11target_archE1030ELNS1_3gpuE2ELNS1_3repE0EEENS1_30default_config_static_selectorELNS0_4arch9wavefront6targetE1EEEvT1_
    .private_segment_fixed_size: 0
    .sgpr_count:     4
    .sgpr_spill_count: 0
    .symbol:         _ZN7rocprim17ROCPRIM_400000_NS6detail17trampoline_kernelINS0_14default_configENS1_27scan_by_key_config_selectorIj11FixedVectorIiLj4EEEEZZNS1_16scan_by_key_implILNS1_25lookback_scan_determinismE0ELb0ES3_N6thrust23THRUST_200600_302600_NS6detail15normal_iteratorINSB_10device_ptrIjEEEENSD_INSE_IS6_EEEESI_S6_NSB_4plusIvEENSB_8equal_toIvEES6_EE10hipError_tPvRmT2_T3_T4_T5_mT6_T7_P12ihipStream_tbENKUlT_T0_E_clISt17integral_constantIbLb0EES13_EEDaSY_SZ_EUlSY_E_NS1_11comp_targetILNS1_3genE8ELNS1_11target_archE1030ELNS1_3gpuE2ELNS1_3repE0EEENS1_30default_config_static_selectorELNS0_4arch9wavefront6targetE1EEEvT1_.kd
    .uniform_work_group_size: 1
    .uses_dynamic_stack: false
    .vgpr_count:     0
    .vgpr_spill_count: 0
    .wavefront_size: 64
  - .agpr_count:     0
    .args:
      - .offset:         0
        .size:           24
        .value_kind:     by_value
      - .offset:         24
        .size:           4
        .value_kind:     by_value
      - .offset:         28
        .size:           4
        .value_kind:     by_value
      - .address_space:  global
        .offset:         32
        .size:           8
        .value_kind:     global_buffer
      - .address_space:  global
        .offset:         40
        .size:           8
        .value_kind:     global_buffer
      - .actual_access:  write_only
        .address_space:  global
        .offset:         48
        .size:           8
        .value_kind:     global_buffer
      - .offset:         56
        .size:           8
        .value_kind:     by_value
      - .offset:         64
        .size:           4
        .value_kind:     by_value
      - .address_space:  global
        .offset:         72
        .size:           8
        .value_kind:     global_buffer
      - .offset:         80
        .size:           4
        .value_kind:     hidden_block_count_x
      - .offset:         84
        .size:           4
        .value_kind:     hidden_block_count_y
      - .offset:         88
        .size:           4
        .value_kind:     hidden_block_count_z
      - .offset:         92
        .size:           2
        .value_kind:     hidden_group_size_x
      - .offset:         94
        .size:           2
        .value_kind:     hidden_group_size_y
      - .offset:         96
        .size:           2
        .value_kind:     hidden_group_size_z
      - .offset:         98
        .size:           2
        .value_kind:     hidden_remainder_x
      - .offset:         100
        .size:           2
        .value_kind:     hidden_remainder_y
      - .offset:         102
        .size:           2
        .value_kind:     hidden_remainder_z
      - .offset:         120
        .size:           8
        .value_kind:     hidden_global_offset_x
      - .offset:         128
        .size:           8
        .value_kind:     hidden_global_offset_y
      - .offset:         136
        .size:           8
        .value_kind:     hidden_global_offset_z
      - .offset:         144
        .size:           2
        .value_kind:     hidden_grid_dims
    .group_segment_fixed_size: 5120
    .kernarg_segment_align: 8
    .kernarg_segment_size: 336
    .language:       OpenCL C
    .language_version:
      - 2
      - 0
    .max_flat_workgroup_size: 256
    .name:           _ZN7rocprim17ROCPRIM_400000_NS6detail30init_device_scan_by_key_kernelINS1_19lookback_scan_stateINS0_5tupleIJ11FixedVectorIiLj4EEbEEELb1ELb0EEEN6thrust23THRUST_200600_302600_NS6detail15normal_iteratorINSA_10device_ptrIjEEEEjNS1_16block_id_wrapperIjLb1EEEEEvT_jjPNSI_10value_typeET0_PNSt15iterator_traitsISL_E10value_typeEmT1_T2_
    .private_segment_fixed_size: 0
    .sgpr_count:     28
    .sgpr_spill_count: 0
    .symbol:         _ZN7rocprim17ROCPRIM_400000_NS6detail30init_device_scan_by_key_kernelINS1_19lookback_scan_stateINS0_5tupleIJ11FixedVectorIiLj4EEbEEELb1ELb0EEEN6thrust23THRUST_200600_302600_NS6detail15normal_iteratorINSA_10device_ptrIjEEEEjNS1_16block_id_wrapperIjLb1EEEEEvT_jjPNSI_10value_typeET0_PNSt15iterator_traitsISL_E10value_typeEmT1_T2_.kd
    .uniform_work_group_size: 1
    .uses_dynamic_stack: false
    .vgpr_count:     10
    .vgpr_spill_count: 0
    .wavefront_size: 64
  - .agpr_count:     0
    .args:
      - .offset:         0
        .size:           24
        .value_kind:     by_value
      - .offset:         24
        .size:           4
        .value_kind:     by_value
      - .offset:         28
        .size:           4
        .value_kind:     by_value
      - .address_space:  global
        .offset:         32
        .size:           8
        .value_kind:     global_buffer
      - .address_space:  global
        .offset:         40
        .size:           8
        .value_kind:     global_buffer
      - .offset:         48
        .size:           4
        .value_kind:     hidden_block_count_x
      - .offset:         52
        .size:           4
        .value_kind:     hidden_block_count_y
      - .offset:         56
        .size:           4
        .value_kind:     hidden_block_count_z
      - .offset:         60
        .size:           2
        .value_kind:     hidden_group_size_x
      - .offset:         62
        .size:           2
        .value_kind:     hidden_group_size_y
      - .offset:         64
        .size:           2
        .value_kind:     hidden_group_size_z
      - .offset:         66
        .size:           2
        .value_kind:     hidden_remainder_x
      - .offset:         68
        .size:           2
        .value_kind:     hidden_remainder_y
      - .offset:         70
        .size:           2
        .value_kind:     hidden_remainder_z
      - .offset:         88
        .size:           8
        .value_kind:     hidden_global_offset_x
      - .offset:         96
        .size:           8
        .value_kind:     hidden_global_offset_y
      - .offset:         104
        .size:           8
        .value_kind:     hidden_global_offset_z
      - .offset:         112
        .size:           2
        .value_kind:     hidden_grid_dims
    .group_segment_fixed_size: 5120
    .kernarg_segment_align: 8
    .kernarg_segment_size: 304
    .language:       OpenCL C
    .language_version:
      - 2
      - 0
    .max_flat_workgroup_size: 256
    .name:           _ZN7rocprim17ROCPRIM_400000_NS6detail30init_device_scan_by_key_kernelINS1_19lookback_scan_stateINS0_5tupleIJ11FixedVectorIiLj4EEbEEELb1ELb0EEENS1_16block_id_wrapperIjLb1EEEEEvT_jjPNSB_10value_typeET0_
    .private_segment_fixed_size: 0
    .sgpr_count:     26
    .sgpr_spill_count: 0
    .symbol:         _ZN7rocprim17ROCPRIM_400000_NS6detail30init_device_scan_by_key_kernelINS1_19lookback_scan_stateINS0_5tupleIJ11FixedVectorIiLj4EEbEEELb1ELb0EEENS1_16block_id_wrapperIjLb1EEEEEvT_jjPNSB_10value_typeET0_.kd
    .uniform_work_group_size: 1
    .uses_dynamic_stack: false
    .vgpr_count:     8
    .vgpr_spill_count: 0
    .wavefront_size: 64
  - .agpr_count:     0
    .args:
      - .offset:         0
        .size:           144
        .value_kind:     by_value
    .group_segment_fixed_size: 0
    .kernarg_segment_align: 8
    .kernarg_segment_size: 144
    .language:       OpenCL C
    .language_version:
      - 2
      - 0
    .max_flat_workgroup_size: 64
    .name:           _ZN7rocprim17ROCPRIM_400000_NS6detail17trampoline_kernelINS0_14default_configENS1_27scan_by_key_config_selectorIj11FixedVectorIiLj4EEEEZZNS1_16scan_by_key_implILNS1_25lookback_scan_determinismE0ELb0ES3_N6thrust23THRUST_200600_302600_NS6detail15normal_iteratorINSB_10device_ptrIjEEEENSD_INSE_IS6_EEEESI_S6_NSB_4plusIvEENSB_8equal_toIvEES6_EE10hipError_tPvRmT2_T3_T4_T5_mT6_T7_P12ihipStream_tbENKUlT_T0_E_clISt17integral_constantIbLb1EES13_EEDaSY_SZ_EUlSY_E_NS1_11comp_targetILNS1_3genE0ELNS1_11target_archE4294967295ELNS1_3gpuE0ELNS1_3repE0EEENS1_30default_config_static_selectorELNS0_4arch9wavefront6targetE1EEEvT1_
    .private_segment_fixed_size: 0
    .sgpr_count:     4
    .sgpr_spill_count: 0
    .symbol:         _ZN7rocprim17ROCPRIM_400000_NS6detail17trampoline_kernelINS0_14default_configENS1_27scan_by_key_config_selectorIj11FixedVectorIiLj4EEEEZZNS1_16scan_by_key_implILNS1_25lookback_scan_determinismE0ELb0ES3_N6thrust23THRUST_200600_302600_NS6detail15normal_iteratorINSB_10device_ptrIjEEEENSD_INSE_IS6_EEEESI_S6_NSB_4plusIvEENSB_8equal_toIvEES6_EE10hipError_tPvRmT2_T3_T4_T5_mT6_T7_P12ihipStream_tbENKUlT_T0_E_clISt17integral_constantIbLb1EES13_EEDaSY_SZ_EUlSY_E_NS1_11comp_targetILNS1_3genE0ELNS1_11target_archE4294967295ELNS1_3gpuE0ELNS1_3repE0EEENS1_30default_config_static_selectorELNS0_4arch9wavefront6targetE1EEEvT1_.kd
    .uniform_work_group_size: 1
    .uses_dynamic_stack: false
    .vgpr_count:     0
    .vgpr_spill_count: 0
    .wavefront_size: 64
  - .agpr_count:     0
    .args:
      - .offset:         0
        .size:           144
        .value_kind:     by_value
    .group_segment_fixed_size: 0
    .kernarg_segment_align: 8
    .kernarg_segment_size: 144
    .language:       OpenCL C
    .language_version:
      - 2
      - 0
    .max_flat_workgroup_size: 256
    .name:           _ZN7rocprim17ROCPRIM_400000_NS6detail17trampoline_kernelINS0_14default_configENS1_27scan_by_key_config_selectorIj11FixedVectorIiLj4EEEEZZNS1_16scan_by_key_implILNS1_25lookback_scan_determinismE0ELb0ES3_N6thrust23THRUST_200600_302600_NS6detail15normal_iteratorINSB_10device_ptrIjEEEENSD_INSE_IS6_EEEESI_S6_NSB_4plusIvEENSB_8equal_toIvEES6_EE10hipError_tPvRmT2_T3_T4_T5_mT6_T7_P12ihipStream_tbENKUlT_T0_E_clISt17integral_constantIbLb1EES13_EEDaSY_SZ_EUlSY_E_NS1_11comp_targetILNS1_3genE10ELNS1_11target_archE1201ELNS1_3gpuE5ELNS1_3repE0EEENS1_30default_config_static_selectorELNS0_4arch9wavefront6targetE1EEEvT1_
    .private_segment_fixed_size: 0
    .sgpr_count:     4
    .sgpr_spill_count: 0
    .symbol:         _ZN7rocprim17ROCPRIM_400000_NS6detail17trampoline_kernelINS0_14default_configENS1_27scan_by_key_config_selectorIj11FixedVectorIiLj4EEEEZZNS1_16scan_by_key_implILNS1_25lookback_scan_determinismE0ELb0ES3_N6thrust23THRUST_200600_302600_NS6detail15normal_iteratorINSB_10device_ptrIjEEEENSD_INSE_IS6_EEEESI_S6_NSB_4plusIvEENSB_8equal_toIvEES6_EE10hipError_tPvRmT2_T3_T4_T5_mT6_T7_P12ihipStream_tbENKUlT_T0_E_clISt17integral_constantIbLb1EES13_EEDaSY_SZ_EUlSY_E_NS1_11comp_targetILNS1_3genE10ELNS1_11target_archE1201ELNS1_3gpuE5ELNS1_3repE0EEENS1_30default_config_static_selectorELNS0_4arch9wavefront6targetE1EEEvT1_.kd
    .uniform_work_group_size: 1
    .uses_dynamic_stack: false
    .vgpr_count:     0
    .vgpr_spill_count: 0
    .wavefront_size: 64
  - .agpr_count:     0
    .args:
      - .offset:         0
        .size:           144
        .value_kind:     by_value
    .group_segment_fixed_size: 0
    .kernarg_segment_align: 8
    .kernarg_segment_size: 144
    .language:       OpenCL C
    .language_version:
      - 2
      - 0
    .max_flat_workgroup_size: 128
    .name:           _ZN7rocprim17ROCPRIM_400000_NS6detail17trampoline_kernelINS0_14default_configENS1_27scan_by_key_config_selectorIj11FixedVectorIiLj4EEEEZZNS1_16scan_by_key_implILNS1_25lookback_scan_determinismE0ELb0ES3_N6thrust23THRUST_200600_302600_NS6detail15normal_iteratorINSB_10device_ptrIjEEEENSD_INSE_IS6_EEEESI_S6_NSB_4plusIvEENSB_8equal_toIvEES6_EE10hipError_tPvRmT2_T3_T4_T5_mT6_T7_P12ihipStream_tbENKUlT_T0_E_clISt17integral_constantIbLb1EES13_EEDaSY_SZ_EUlSY_E_NS1_11comp_targetILNS1_3genE5ELNS1_11target_archE942ELNS1_3gpuE9ELNS1_3repE0EEENS1_30default_config_static_selectorELNS0_4arch9wavefront6targetE1EEEvT1_
    .private_segment_fixed_size: 0
    .sgpr_count:     4
    .sgpr_spill_count: 0
    .symbol:         _ZN7rocprim17ROCPRIM_400000_NS6detail17trampoline_kernelINS0_14default_configENS1_27scan_by_key_config_selectorIj11FixedVectorIiLj4EEEEZZNS1_16scan_by_key_implILNS1_25lookback_scan_determinismE0ELb0ES3_N6thrust23THRUST_200600_302600_NS6detail15normal_iteratorINSB_10device_ptrIjEEEENSD_INSE_IS6_EEEESI_S6_NSB_4plusIvEENSB_8equal_toIvEES6_EE10hipError_tPvRmT2_T3_T4_T5_mT6_T7_P12ihipStream_tbENKUlT_T0_E_clISt17integral_constantIbLb1EES13_EEDaSY_SZ_EUlSY_E_NS1_11comp_targetILNS1_3genE5ELNS1_11target_archE942ELNS1_3gpuE9ELNS1_3repE0EEENS1_30default_config_static_selectorELNS0_4arch9wavefront6targetE1EEEvT1_.kd
    .uniform_work_group_size: 1
    .uses_dynamic_stack: false
    .vgpr_count:     0
    .vgpr_spill_count: 0
    .wavefront_size: 64
  - .agpr_count:     0
    .args:
      - .offset:         0
        .size:           144
        .value_kind:     by_value
    .group_segment_fixed_size: 20480
    .kernarg_segment_align: 8
    .kernarg_segment_size: 144
    .language:       OpenCL C
    .language_version:
      - 2
      - 0
    .max_flat_workgroup_size: 256
    .name:           _ZN7rocprim17ROCPRIM_400000_NS6detail17trampoline_kernelINS0_14default_configENS1_27scan_by_key_config_selectorIj11FixedVectorIiLj4EEEEZZNS1_16scan_by_key_implILNS1_25lookback_scan_determinismE0ELb0ES3_N6thrust23THRUST_200600_302600_NS6detail15normal_iteratorINSB_10device_ptrIjEEEENSD_INSE_IS6_EEEESI_S6_NSB_4plusIvEENSB_8equal_toIvEES6_EE10hipError_tPvRmT2_T3_T4_T5_mT6_T7_P12ihipStream_tbENKUlT_T0_E_clISt17integral_constantIbLb1EES13_EEDaSY_SZ_EUlSY_E_NS1_11comp_targetILNS1_3genE4ELNS1_11target_archE910ELNS1_3gpuE8ELNS1_3repE0EEENS1_30default_config_static_selectorELNS0_4arch9wavefront6targetE1EEEvT1_
    .private_segment_fixed_size: 320
    .sgpr_count:     61
    .sgpr_spill_count: 0
    .symbol:         _ZN7rocprim17ROCPRIM_400000_NS6detail17trampoline_kernelINS0_14default_configENS1_27scan_by_key_config_selectorIj11FixedVectorIiLj4EEEEZZNS1_16scan_by_key_implILNS1_25lookback_scan_determinismE0ELb0ES3_N6thrust23THRUST_200600_302600_NS6detail15normal_iteratorINSB_10device_ptrIjEEEENSD_INSE_IS6_EEEESI_S6_NSB_4plusIvEENSB_8equal_toIvEES6_EE10hipError_tPvRmT2_T3_T4_T5_mT6_T7_P12ihipStream_tbENKUlT_T0_E_clISt17integral_constantIbLb1EES13_EEDaSY_SZ_EUlSY_E_NS1_11comp_targetILNS1_3genE4ELNS1_11target_archE910ELNS1_3gpuE8ELNS1_3repE0EEENS1_30default_config_static_selectorELNS0_4arch9wavefront6targetE1EEEvT1_.kd
    .uniform_work_group_size: 1
    .uses_dynamic_stack: false
    .vgpr_count:     43
    .vgpr_spill_count: 0
    .wavefront_size: 64
  - .agpr_count:     0
    .args:
      - .offset:         0
        .size:           144
        .value_kind:     by_value
    .group_segment_fixed_size: 0
    .kernarg_segment_align: 8
    .kernarg_segment_size: 144
    .language:       OpenCL C
    .language_version:
      - 2
      - 0
    .max_flat_workgroup_size: 64
    .name:           _ZN7rocprim17ROCPRIM_400000_NS6detail17trampoline_kernelINS0_14default_configENS1_27scan_by_key_config_selectorIj11FixedVectorIiLj4EEEEZZNS1_16scan_by_key_implILNS1_25lookback_scan_determinismE0ELb0ES3_N6thrust23THRUST_200600_302600_NS6detail15normal_iteratorINSB_10device_ptrIjEEEENSD_INSE_IS6_EEEESI_S6_NSB_4plusIvEENSB_8equal_toIvEES6_EE10hipError_tPvRmT2_T3_T4_T5_mT6_T7_P12ihipStream_tbENKUlT_T0_E_clISt17integral_constantIbLb1EES13_EEDaSY_SZ_EUlSY_E_NS1_11comp_targetILNS1_3genE3ELNS1_11target_archE908ELNS1_3gpuE7ELNS1_3repE0EEENS1_30default_config_static_selectorELNS0_4arch9wavefront6targetE1EEEvT1_
    .private_segment_fixed_size: 0
    .sgpr_count:     4
    .sgpr_spill_count: 0
    .symbol:         _ZN7rocprim17ROCPRIM_400000_NS6detail17trampoline_kernelINS0_14default_configENS1_27scan_by_key_config_selectorIj11FixedVectorIiLj4EEEEZZNS1_16scan_by_key_implILNS1_25lookback_scan_determinismE0ELb0ES3_N6thrust23THRUST_200600_302600_NS6detail15normal_iteratorINSB_10device_ptrIjEEEENSD_INSE_IS6_EEEESI_S6_NSB_4plusIvEENSB_8equal_toIvEES6_EE10hipError_tPvRmT2_T3_T4_T5_mT6_T7_P12ihipStream_tbENKUlT_T0_E_clISt17integral_constantIbLb1EES13_EEDaSY_SZ_EUlSY_E_NS1_11comp_targetILNS1_3genE3ELNS1_11target_archE908ELNS1_3gpuE7ELNS1_3repE0EEENS1_30default_config_static_selectorELNS0_4arch9wavefront6targetE1EEEvT1_.kd
    .uniform_work_group_size: 1
    .uses_dynamic_stack: false
    .vgpr_count:     0
    .vgpr_spill_count: 0
    .wavefront_size: 64
  - .agpr_count:     0
    .args:
      - .offset:         0
        .size:           144
        .value_kind:     by_value
    .group_segment_fixed_size: 0
    .kernarg_segment_align: 8
    .kernarg_segment_size: 144
    .language:       OpenCL C
    .language_version:
      - 2
      - 0
    .max_flat_workgroup_size: 256
    .name:           _ZN7rocprim17ROCPRIM_400000_NS6detail17trampoline_kernelINS0_14default_configENS1_27scan_by_key_config_selectorIj11FixedVectorIiLj4EEEEZZNS1_16scan_by_key_implILNS1_25lookback_scan_determinismE0ELb0ES3_N6thrust23THRUST_200600_302600_NS6detail15normal_iteratorINSB_10device_ptrIjEEEENSD_INSE_IS6_EEEESI_S6_NSB_4plusIvEENSB_8equal_toIvEES6_EE10hipError_tPvRmT2_T3_T4_T5_mT6_T7_P12ihipStream_tbENKUlT_T0_E_clISt17integral_constantIbLb1EES13_EEDaSY_SZ_EUlSY_E_NS1_11comp_targetILNS1_3genE2ELNS1_11target_archE906ELNS1_3gpuE6ELNS1_3repE0EEENS1_30default_config_static_selectorELNS0_4arch9wavefront6targetE1EEEvT1_
    .private_segment_fixed_size: 0
    .sgpr_count:     4
    .sgpr_spill_count: 0
    .symbol:         _ZN7rocprim17ROCPRIM_400000_NS6detail17trampoline_kernelINS0_14default_configENS1_27scan_by_key_config_selectorIj11FixedVectorIiLj4EEEEZZNS1_16scan_by_key_implILNS1_25lookback_scan_determinismE0ELb0ES3_N6thrust23THRUST_200600_302600_NS6detail15normal_iteratorINSB_10device_ptrIjEEEENSD_INSE_IS6_EEEESI_S6_NSB_4plusIvEENSB_8equal_toIvEES6_EE10hipError_tPvRmT2_T3_T4_T5_mT6_T7_P12ihipStream_tbENKUlT_T0_E_clISt17integral_constantIbLb1EES13_EEDaSY_SZ_EUlSY_E_NS1_11comp_targetILNS1_3genE2ELNS1_11target_archE906ELNS1_3gpuE6ELNS1_3repE0EEENS1_30default_config_static_selectorELNS0_4arch9wavefront6targetE1EEEvT1_.kd
    .uniform_work_group_size: 1
    .uses_dynamic_stack: false
    .vgpr_count:     0
    .vgpr_spill_count: 0
    .wavefront_size: 64
  - .agpr_count:     0
    .args:
      - .offset:         0
        .size:           144
        .value_kind:     by_value
    .group_segment_fixed_size: 0
    .kernarg_segment_align: 8
    .kernarg_segment_size: 144
    .language:       OpenCL C
    .language_version:
      - 2
      - 0
    .max_flat_workgroup_size: 256
    .name:           _ZN7rocprim17ROCPRIM_400000_NS6detail17trampoline_kernelINS0_14default_configENS1_27scan_by_key_config_selectorIj11FixedVectorIiLj4EEEEZZNS1_16scan_by_key_implILNS1_25lookback_scan_determinismE0ELb0ES3_N6thrust23THRUST_200600_302600_NS6detail15normal_iteratorINSB_10device_ptrIjEEEENSD_INSE_IS6_EEEESI_S6_NSB_4plusIvEENSB_8equal_toIvEES6_EE10hipError_tPvRmT2_T3_T4_T5_mT6_T7_P12ihipStream_tbENKUlT_T0_E_clISt17integral_constantIbLb1EES13_EEDaSY_SZ_EUlSY_E_NS1_11comp_targetILNS1_3genE10ELNS1_11target_archE1200ELNS1_3gpuE4ELNS1_3repE0EEENS1_30default_config_static_selectorELNS0_4arch9wavefront6targetE1EEEvT1_
    .private_segment_fixed_size: 0
    .sgpr_count:     4
    .sgpr_spill_count: 0
    .symbol:         _ZN7rocprim17ROCPRIM_400000_NS6detail17trampoline_kernelINS0_14default_configENS1_27scan_by_key_config_selectorIj11FixedVectorIiLj4EEEEZZNS1_16scan_by_key_implILNS1_25lookback_scan_determinismE0ELb0ES3_N6thrust23THRUST_200600_302600_NS6detail15normal_iteratorINSB_10device_ptrIjEEEENSD_INSE_IS6_EEEESI_S6_NSB_4plusIvEENSB_8equal_toIvEES6_EE10hipError_tPvRmT2_T3_T4_T5_mT6_T7_P12ihipStream_tbENKUlT_T0_E_clISt17integral_constantIbLb1EES13_EEDaSY_SZ_EUlSY_E_NS1_11comp_targetILNS1_3genE10ELNS1_11target_archE1200ELNS1_3gpuE4ELNS1_3repE0EEENS1_30default_config_static_selectorELNS0_4arch9wavefront6targetE1EEEvT1_.kd
    .uniform_work_group_size: 1
    .uses_dynamic_stack: false
    .vgpr_count:     0
    .vgpr_spill_count: 0
    .wavefront_size: 64
  - .agpr_count:     0
    .args:
      - .offset:         0
        .size:           144
        .value_kind:     by_value
    .group_segment_fixed_size: 0
    .kernarg_segment_align: 8
    .kernarg_segment_size: 144
    .language:       OpenCL C
    .language_version:
      - 2
      - 0
    .max_flat_workgroup_size: 256
    .name:           _ZN7rocprim17ROCPRIM_400000_NS6detail17trampoline_kernelINS0_14default_configENS1_27scan_by_key_config_selectorIj11FixedVectorIiLj4EEEEZZNS1_16scan_by_key_implILNS1_25lookback_scan_determinismE0ELb0ES3_N6thrust23THRUST_200600_302600_NS6detail15normal_iteratorINSB_10device_ptrIjEEEENSD_INSE_IS6_EEEESI_S6_NSB_4plusIvEENSB_8equal_toIvEES6_EE10hipError_tPvRmT2_T3_T4_T5_mT6_T7_P12ihipStream_tbENKUlT_T0_E_clISt17integral_constantIbLb1EES13_EEDaSY_SZ_EUlSY_E_NS1_11comp_targetILNS1_3genE9ELNS1_11target_archE1100ELNS1_3gpuE3ELNS1_3repE0EEENS1_30default_config_static_selectorELNS0_4arch9wavefront6targetE1EEEvT1_
    .private_segment_fixed_size: 0
    .sgpr_count:     4
    .sgpr_spill_count: 0
    .symbol:         _ZN7rocprim17ROCPRIM_400000_NS6detail17trampoline_kernelINS0_14default_configENS1_27scan_by_key_config_selectorIj11FixedVectorIiLj4EEEEZZNS1_16scan_by_key_implILNS1_25lookback_scan_determinismE0ELb0ES3_N6thrust23THRUST_200600_302600_NS6detail15normal_iteratorINSB_10device_ptrIjEEEENSD_INSE_IS6_EEEESI_S6_NSB_4plusIvEENSB_8equal_toIvEES6_EE10hipError_tPvRmT2_T3_T4_T5_mT6_T7_P12ihipStream_tbENKUlT_T0_E_clISt17integral_constantIbLb1EES13_EEDaSY_SZ_EUlSY_E_NS1_11comp_targetILNS1_3genE9ELNS1_11target_archE1100ELNS1_3gpuE3ELNS1_3repE0EEENS1_30default_config_static_selectorELNS0_4arch9wavefront6targetE1EEEvT1_.kd
    .uniform_work_group_size: 1
    .uses_dynamic_stack: false
    .vgpr_count:     0
    .vgpr_spill_count: 0
    .wavefront_size: 64
  - .agpr_count:     0
    .args:
      - .offset:         0
        .size:           144
        .value_kind:     by_value
    .group_segment_fixed_size: 0
    .kernarg_segment_align: 8
    .kernarg_segment_size: 144
    .language:       OpenCL C
    .language_version:
      - 2
      - 0
    .max_flat_workgroup_size: 256
    .name:           _ZN7rocprim17ROCPRIM_400000_NS6detail17trampoline_kernelINS0_14default_configENS1_27scan_by_key_config_selectorIj11FixedVectorIiLj4EEEEZZNS1_16scan_by_key_implILNS1_25lookback_scan_determinismE0ELb0ES3_N6thrust23THRUST_200600_302600_NS6detail15normal_iteratorINSB_10device_ptrIjEEEENSD_INSE_IS6_EEEESI_S6_NSB_4plusIvEENSB_8equal_toIvEES6_EE10hipError_tPvRmT2_T3_T4_T5_mT6_T7_P12ihipStream_tbENKUlT_T0_E_clISt17integral_constantIbLb1EES13_EEDaSY_SZ_EUlSY_E_NS1_11comp_targetILNS1_3genE8ELNS1_11target_archE1030ELNS1_3gpuE2ELNS1_3repE0EEENS1_30default_config_static_selectorELNS0_4arch9wavefront6targetE1EEEvT1_
    .private_segment_fixed_size: 0
    .sgpr_count:     4
    .sgpr_spill_count: 0
    .symbol:         _ZN7rocprim17ROCPRIM_400000_NS6detail17trampoline_kernelINS0_14default_configENS1_27scan_by_key_config_selectorIj11FixedVectorIiLj4EEEEZZNS1_16scan_by_key_implILNS1_25lookback_scan_determinismE0ELb0ES3_N6thrust23THRUST_200600_302600_NS6detail15normal_iteratorINSB_10device_ptrIjEEEENSD_INSE_IS6_EEEESI_S6_NSB_4plusIvEENSB_8equal_toIvEES6_EE10hipError_tPvRmT2_T3_T4_T5_mT6_T7_P12ihipStream_tbENKUlT_T0_E_clISt17integral_constantIbLb1EES13_EEDaSY_SZ_EUlSY_E_NS1_11comp_targetILNS1_3genE8ELNS1_11target_archE1030ELNS1_3gpuE2ELNS1_3repE0EEENS1_30default_config_static_selectorELNS0_4arch9wavefront6targetE1EEEvT1_.kd
    .uniform_work_group_size: 1
    .uses_dynamic_stack: false
    .vgpr_count:     0
    .vgpr_spill_count: 0
    .wavefront_size: 64
  - .agpr_count:     0
    .args:
      - .offset:         0
        .size:           24
        .value_kind:     by_value
      - .offset:         24
        .size:           4
        .value_kind:     by_value
      - .offset:         28
        .size:           4
        .value_kind:     by_value
      - .address_space:  global
        .offset:         32
        .size:           8
        .value_kind:     global_buffer
      - .address_space:  global
        .offset:         40
        .size:           8
        .value_kind:     global_buffer
      - .actual_access:  write_only
        .address_space:  global
        .offset:         48
        .size:           8
        .value_kind:     global_buffer
      - .offset:         56
        .size:           8
        .value_kind:     by_value
      - .offset:         64
        .size:           4
        .value_kind:     by_value
      - .offset:         68
        .size:           1
        .value_kind:     by_value
      - .offset:         72
        .size:           4
        .value_kind:     hidden_block_count_x
      - .offset:         76
        .size:           4
        .value_kind:     hidden_block_count_y
      - .offset:         80
        .size:           4
        .value_kind:     hidden_block_count_z
      - .offset:         84
        .size:           2
        .value_kind:     hidden_group_size_x
      - .offset:         86
        .size:           2
        .value_kind:     hidden_group_size_y
      - .offset:         88
        .size:           2
        .value_kind:     hidden_group_size_z
      - .offset:         90
        .size:           2
        .value_kind:     hidden_remainder_x
      - .offset:         92
        .size:           2
        .value_kind:     hidden_remainder_y
      - .offset:         94
        .size:           2
        .value_kind:     hidden_remainder_z
      - .offset:         112
        .size:           8
        .value_kind:     hidden_global_offset_x
      - .offset:         120
        .size:           8
        .value_kind:     hidden_global_offset_y
      - .offset:         128
        .size:           8
        .value_kind:     hidden_global_offset_z
      - .offset:         136
        .size:           2
        .value_kind:     hidden_grid_dims
    .group_segment_fixed_size: 5120
    .kernarg_segment_align: 8
    .kernarg_segment_size: 328
    .language:       OpenCL C
    .language_version:
      - 2
      - 0
    .max_flat_workgroup_size: 256
    .name:           _ZN7rocprim17ROCPRIM_400000_NS6detail30init_device_scan_by_key_kernelINS1_19lookback_scan_stateINS0_5tupleIJ11FixedVectorIiLj4EEbEEELb1ELb0EEEN6thrust23THRUST_200600_302600_NS6detail15normal_iteratorINSA_10device_ptrIjEEEEjNS1_16block_id_wrapperIjLb0EEEEEvT_jjPNSI_10value_typeET0_PNSt15iterator_traitsISL_E10value_typeEmT1_T2_
    .private_segment_fixed_size: 0
    .sgpr_count:     28
    .sgpr_spill_count: 0
    .symbol:         _ZN7rocprim17ROCPRIM_400000_NS6detail30init_device_scan_by_key_kernelINS1_19lookback_scan_stateINS0_5tupleIJ11FixedVectorIiLj4EEbEEELb1ELb0EEEN6thrust23THRUST_200600_302600_NS6detail15normal_iteratorINSA_10device_ptrIjEEEEjNS1_16block_id_wrapperIjLb0EEEEEvT_jjPNSI_10value_typeET0_PNSt15iterator_traitsISL_E10value_typeEmT1_T2_.kd
    .uniform_work_group_size: 1
    .uses_dynamic_stack: false
    .vgpr_count:     10
    .vgpr_spill_count: 0
    .wavefront_size: 64
  - .agpr_count:     0
    .args:
      - .offset:         0
        .size:           24
        .value_kind:     by_value
      - .offset:         24
        .size:           4
        .value_kind:     by_value
      - .offset:         28
        .size:           4
        .value_kind:     by_value
      - .address_space:  global
        .offset:         32
        .size:           8
        .value_kind:     global_buffer
      - .offset:         40
        .size:           1
        .value_kind:     by_value
      - .offset:         48
        .size:           4
        .value_kind:     hidden_block_count_x
      - .offset:         52
        .size:           4
        .value_kind:     hidden_block_count_y
      - .offset:         56
        .size:           4
        .value_kind:     hidden_block_count_z
      - .offset:         60
        .size:           2
        .value_kind:     hidden_group_size_x
      - .offset:         62
        .size:           2
        .value_kind:     hidden_group_size_y
      - .offset:         64
        .size:           2
        .value_kind:     hidden_group_size_z
      - .offset:         66
        .size:           2
        .value_kind:     hidden_remainder_x
      - .offset:         68
        .size:           2
        .value_kind:     hidden_remainder_y
      - .offset:         70
        .size:           2
        .value_kind:     hidden_remainder_z
      - .offset:         88
        .size:           8
        .value_kind:     hidden_global_offset_x
      - .offset:         96
        .size:           8
        .value_kind:     hidden_global_offset_y
      - .offset:         104
        .size:           8
        .value_kind:     hidden_global_offset_z
      - .offset:         112
        .size:           2
        .value_kind:     hidden_grid_dims
    .group_segment_fixed_size: 5120
    .kernarg_segment_align: 8
    .kernarg_segment_size: 304
    .language:       OpenCL C
    .language_version:
      - 2
      - 0
    .max_flat_workgroup_size: 256
    .name:           _ZN7rocprim17ROCPRIM_400000_NS6detail30init_device_scan_by_key_kernelINS1_19lookback_scan_stateINS0_5tupleIJ11FixedVectorIiLj4EEbEEELb1ELb0EEENS1_16block_id_wrapperIjLb0EEEEEvT_jjPNSB_10value_typeET0_
    .private_segment_fixed_size: 0
    .sgpr_count:     24
    .sgpr_spill_count: 0
    .symbol:         _ZN7rocprim17ROCPRIM_400000_NS6detail30init_device_scan_by_key_kernelINS1_19lookback_scan_stateINS0_5tupleIJ11FixedVectorIiLj4EEbEEELb1ELb0EEENS1_16block_id_wrapperIjLb0EEEEEvT_jjPNSB_10value_typeET0_.kd
    .uniform_work_group_size: 1
    .uses_dynamic_stack: false
    .vgpr_count:     8
    .vgpr_spill_count: 0
    .wavefront_size: 64
  - .agpr_count:     0
    .args:
      - .offset:         0
        .size:           144
        .value_kind:     by_value
    .group_segment_fixed_size: 0
    .kernarg_segment_align: 8
    .kernarg_segment_size: 144
    .language:       OpenCL C
    .language_version:
      - 2
      - 0
    .max_flat_workgroup_size: 64
    .name:           _ZN7rocprim17ROCPRIM_400000_NS6detail17trampoline_kernelINS0_14default_configENS1_27scan_by_key_config_selectorIj11FixedVectorIiLj4EEEEZZNS1_16scan_by_key_implILNS1_25lookback_scan_determinismE0ELb0ES3_N6thrust23THRUST_200600_302600_NS6detail15normal_iteratorINSB_10device_ptrIjEEEENSD_INSE_IS6_EEEESI_S6_NSB_4plusIvEENSB_8equal_toIvEES6_EE10hipError_tPvRmT2_T3_T4_T5_mT6_T7_P12ihipStream_tbENKUlT_T0_E_clISt17integral_constantIbLb1EES12_IbLb0EEEEDaSY_SZ_EUlSY_E_NS1_11comp_targetILNS1_3genE0ELNS1_11target_archE4294967295ELNS1_3gpuE0ELNS1_3repE0EEENS1_30default_config_static_selectorELNS0_4arch9wavefront6targetE1EEEvT1_
    .private_segment_fixed_size: 0
    .sgpr_count:     4
    .sgpr_spill_count: 0
    .symbol:         _ZN7rocprim17ROCPRIM_400000_NS6detail17trampoline_kernelINS0_14default_configENS1_27scan_by_key_config_selectorIj11FixedVectorIiLj4EEEEZZNS1_16scan_by_key_implILNS1_25lookback_scan_determinismE0ELb0ES3_N6thrust23THRUST_200600_302600_NS6detail15normal_iteratorINSB_10device_ptrIjEEEENSD_INSE_IS6_EEEESI_S6_NSB_4plusIvEENSB_8equal_toIvEES6_EE10hipError_tPvRmT2_T3_T4_T5_mT6_T7_P12ihipStream_tbENKUlT_T0_E_clISt17integral_constantIbLb1EES12_IbLb0EEEEDaSY_SZ_EUlSY_E_NS1_11comp_targetILNS1_3genE0ELNS1_11target_archE4294967295ELNS1_3gpuE0ELNS1_3repE0EEENS1_30default_config_static_selectorELNS0_4arch9wavefront6targetE1EEEvT1_.kd
    .uniform_work_group_size: 1
    .uses_dynamic_stack: false
    .vgpr_count:     0
    .vgpr_spill_count: 0
    .wavefront_size: 64
  - .agpr_count:     0
    .args:
      - .offset:         0
        .size:           144
        .value_kind:     by_value
    .group_segment_fixed_size: 0
    .kernarg_segment_align: 8
    .kernarg_segment_size: 144
    .language:       OpenCL C
    .language_version:
      - 2
      - 0
    .max_flat_workgroup_size: 256
    .name:           _ZN7rocprim17ROCPRIM_400000_NS6detail17trampoline_kernelINS0_14default_configENS1_27scan_by_key_config_selectorIj11FixedVectorIiLj4EEEEZZNS1_16scan_by_key_implILNS1_25lookback_scan_determinismE0ELb0ES3_N6thrust23THRUST_200600_302600_NS6detail15normal_iteratorINSB_10device_ptrIjEEEENSD_INSE_IS6_EEEESI_S6_NSB_4plusIvEENSB_8equal_toIvEES6_EE10hipError_tPvRmT2_T3_T4_T5_mT6_T7_P12ihipStream_tbENKUlT_T0_E_clISt17integral_constantIbLb1EES12_IbLb0EEEEDaSY_SZ_EUlSY_E_NS1_11comp_targetILNS1_3genE10ELNS1_11target_archE1201ELNS1_3gpuE5ELNS1_3repE0EEENS1_30default_config_static_selectorELNS0_4arch9wavefront6targetE1EEEvT1_
    .private_segment_fixed_size: 0
    .sgpr_count:     4
    .sgpr_spill_count: 0
    .symbol:         _ZN7rocprim17ROCPRIM_400000_NS6detail17trampoline_kernelINS0_14default_configENS1_27scan_by_key_config_selectorIj11FixedVectorIiLj4EEEEZZNS1_16scan_by_key_implILNS1_25lookback_scan_determinismE0ELb0ES3_N6thrust23THRUST_200600_302600_NS6detail15normal_iteratorINSB_10device_ptrIjEEEENSD_INSE_IS6_EEEESI_S6_NSB_4plusIvEENSB_8equal_toIvEES6_EE10hipError_tPvRmT2_T3_T4_T5_mT6_T7_P12ihipStream_tbENKUlT_T0_E_clISt17integral_constantIbLb1EES12_IbLb0EEEEDaSY_SZ_EUlSY_E_NS1_11comp_targetILNS1_3genE10ELNS1_11target_archE1201ELNS1_3gpuE5ELNS1_3repE0EEENS1_30default_config_static_selectorELNS0_4arch9wavefront6targetE1EEEvT1_.kd
    .uniform_work_group_size: 1
    .uses_dynamic_stack: false
    .vgpr_count:     0
    .vgpr_spill_count: 0
    .wavefront_size: 64
  - .agpr_count:     0
    .args:
      - .offset:         0
        .size:           144
        .value_kind:     by_value
    .group_segment_fixed_size: 0
    .kernarg_segment_align: 8
    .kernarg_segment_size: 144
    .language:       OpenCL C
    .language_version:
      - 2
      - 0
    .max_flat_workgroup_size: 128
    .name:           _ZN7rocprim17ROCPRIM_400000_NS6detail17trampoline_kernelINS0_14default_configENS1_27scan_by_key_config_selectorIj11FixedVectorIiLj4EEEEZZNS1_16scan_by_key_implILNS1_25lookback_scan_determinismE0ELb0ES3_N6thrust23THRUST_200600_302600_NS6detail15normal_iteratorINSB_10device_ptrIjEEEENSD_INSE_IS6_EEEESI_S6_NSB_4plusIvEENSB_8equal_toIvEES6_EE10hipError_tPvRmT2_T3_T4_T5_mT6_T7_P12ihipStream_tbENKUlT_T0_E_clISt17integral_constantIbLb1EES12_IbLb0EEEEDaSY_SZ_EUlSY_E_NS1_11comp_targetILNS1_3genE5ELNS1_11target_archE942ELNS1_3gpuE9ELNS1_3repE0EEENS1_30default_config_static_selectorELNS0_4arch9wavefront6targetE1EEEvT1_
    .private_segment_fixed_size: 0
    .sgpr_count:     4
    .sgpr_spill_count: 0
    .symbol:         _ZN7rocprim17ROCPRIM_400000_NS6detail17trampoline_kernelINS0_14default_configENS1_27scan_by_key_config_selectorIj11FixedVectorIiLj4EEEEZZNS1_16scan_by_key_implILNS1_25lookback_scan_determinismE0ELb0ES3_N6thrust23THRUST_200600_302600_NS6detail15normal_iteratorINSB_10device_ptrIjEEEENSD_INSE_IS6_EEEESI_S6_NSB_4plusIvEENSB_8equal_toIvEES6_EE10hipError_tPvRmT2_T3_T4_T5_mT6_T7_P12ihipStream_tbENKUlT_T0_E_clISt17integral_constantIbLb1EES12_IbLb0EEEEDaSY_SZ_EUlSY_E_NS1_11comp_targetILNS1_3genE5ELNS1_11target_archE942ELNS1_3gpuE9ELNS1_3repE0EEENS1_30default_config_static_selectorELNS0_4arch9wavefront6targetE1EEEvT1_.kd
    .uniform_work_group_size: 1
    .uses_dynamic_stack: false
    .vgpr_count:     0
    .vgpr_spill_count: 0
    .wavefront_size: 64
  - .agpr_count:     0
    .args:
      - .offset:         0
        .size:           144
        .value_kind:     by_value
    .group_segment_fixed_size: 20480
    .kernarg_segment_align: 8
    .kernarg_segment_size: 144
    .language:       OpenCL C
    .language_version:
      - 2
      - 0
    .max_flat_workgroup_size: 256
    .name:           _ZN7rocprim17ROCPRIM_400000_NS6detail17trampoline_kernelINS0_14default_configENS1_27scan_by_key_config_selectorIj11FixedVectorIiLj4EEEEZZNS1_16scan_by_key_implILNS1_25lookback_scan_determinismE0ELb0ES3_N6thrust23THRUST_200600_302600_NS6detail15normal_iteratorINSB_10device_ptrIjEEEENSD_INSE_IS6_EEEESI_S6_NSB_4plusIvEENSB_8equal_toIvEES6_EE10hipError_tPvRmT2_T3_T4_T5_mT6_T7_P12ihipStream_tbENKUlT_T0_E_clISt17integral_constantIbLb1EES12_IbLb0EEEEDaSY_SZ_EUlSY_E_NS1_11comp_targetILNS1_3genE4ELNS1_11target_archE910ELNS1_3gpuE8ELNS1_3repE0EEENS1_30default_config_static_selectorELNS0_4arch9wavefront6targetE1EEEvT1_
    .private_segment_fixed_size: 320
    .sgpr_count:     57
    .sgpr_spill_count: 0
    .symbol:         _ZN7rocprim17ROCPRIM_400000_NS6detail17trampoline_kernelINS0_14default_configENS1_27scan_by_key_config_selectorIj11FixedVectorIiLj4EEEEZZNS1_16scan_by_key_implILNS1_25lookback_scan_determinismE0ELb0ES3_N6thrust23THRUST_200600_302600_NS6detail15normal_iteratorINSB_10device_ptrIjEEEENSD_INSE_IS6_EEEESI_S6_NSB_4plusIvEENSB_8equal_toIvEES6_EE10hipError_tPvRmT2_T3_T4_T5_mT6_T7_P12ihipStream_tbENKUlT_T0_E_clISt17integral_constantIbLb1EES12_IbLb0EEEEDaSY_SZ_EUlSY_E_NS1_11comp_targetILNS1_3genE4ELNS1_11target_archE910ELNS1_3gpuE8ELNS1_3repE0EEENS1_30default_config_static_selectorELNS0_4arch9wavefront6targetE1EEEvT1_.kd
    .uniform_work_group_size: 1
    .uses_dynamic_stack: false
    .vgpr_count:     43
    .vgpr_spill_count: 0
    .wavefront_size: 64
  - .agpr_count:     0
    .args:
      - .offset:         0
        .size:           144
        .value_kind:     by_value
    .group_segment_fixed_size: 0
    .kernarg_segment_align: 8
    .kernarg_segment_size: 144
    .language:       OpenCL C
    .language_version:
      - 2
      - 0
    .max_flat_workgroup_size: 64
    .name:           _ZN7rocprim17ROCPRIM_400000_NS6detail17trampoline_kernelINS0_14default_configENS1_27scan_by_key_config_selectorIj11FixedVectorIiLj4EEEEZZNS1_16scan_by_key_implILNS1_25lookback_scan_determinismE0ELb0ES3_N6thrust23THRUST_200600_302600_NS6detail15normal_iteratorINSB_10device_ptrIjEEEENSD_INSE_IS6_EEEESI_S6_NSB_4plusIvEENSB_8equal_toIvEES6_EE10hipError_tPvRmT2_T3_T4_T5_mT6_T7_P12ihipStream_tbENKUlT_T0_E_clISt17integral_constantIbLb1EES12_IbLb0EEEEDaSY_SZ_EUlSY_E_NS1_11comp_targetILNS1_3genE3ELNS1_11target_archE908ELNS1_3gpuE7ELNS1_3repE0EEENS1_30default_config_static_selectorELNS0_4arch9wavefront6targetE1EEEvT1_
    .private_segment_fixed_size: 0
    .sgpr_count:     4
    .sgpr_spill_count: 0
    .symbol:         _ZN7rocprim17ROCPRIM_400000_NS6detail17trampoline_kernelINS0_14default_configENS1_27scan_by_key_config_selectorIj11FixedVectorIiLj4EEEEZZNS1_16scan_by_key_implILNS1_25lookback_scan_determinismE0ELb0ES3_N6thrust23THRUST_200600_302600_NS6detail15normal_iteratorINSB_10device_ptrIjEEEENSD_INSE_IS6_EEEESI_S6_NSB_4plusIvEENSB_8equal_toIvEES6_EE10hipError_tPvRmT2_T3_T4_T5_mT6_T7_P12ihipStream_tbENKUlT_T0_E_clISt17integral_constantIbLb1EES12_IbLb0EEEEDaSY_SZ_EUlSY_E_NS1_11comp_targetILNS1_3genE3ELNS1_11target_archE908ELNS1_3gpuE7ELNS1_3repE0EEENS1_30default_config_static_selectorELNS0_4arch9wavefront6targetE1EEEvT1_.kd
    .uniform_work_group_size: 1
    .uses_dynamic_stack: false
    .vgpr_count:     0
    .vgpr_spill_count: 0
    .wavefront_size: 64
  - .agpr_count:     0
    .args:
      - .offset:         0
        .size:           144
        .value_kind:     by_value
    .group_segment_fixed_size: 0
    .kernarg_segment_align: 8
    .kernarg_segment_size: 144
    .language:       OpenCL C
    .language_version:
      - 2
      - 0
    .max_flat_workgroup_size: 256
    .name:           _ZN7rocprim17ROCPRIM_400000_NS6detail17trampoline_kernelINS0_14default_configENS1_27scan_by_key_config_selectorIj11FixedVectorIiLj4EEEEZZNS1_16scan_by_key_implILNS1_25lookback_scan_determinismE0ELb0ES3_N6thrust23THRUST_200600_302600_NS6detail15normal_iteratorINSB_10device_ptrIjEEEENSD_INSE_IS6_EEEESI_S6_NSB_4plusIvEENSB_8equal_toIvEES6_EE10hipError_tPvRmT2_T3_T4_T5_mT6_T7_P12ihipStream_tbENKUlT_T0_E_clISt17integral_constantIbLb1EES12_IbLb0EEEEDaSY_SZ_EUlSY_E_NS1_11comp_targetILNS1_3genE2ELNS1_11target_archE906ELNS1_3gpuE6ELNS1_3repE0EEENS1_30default_config_static_selectorELNS0_4arch9wavefront6targetE1EEEvT1_
    .private_segment_fixed_size: 0
    .sgpr_count:     4
    .sgpr_spill_count: 0
    .symbol:         _ZN7rocprim17ROCPRIM_400000_NS6detail17trampoline_kernelINS0_14default_configENS1_27scan_by_key_config_selectorIj11FixedVectorIiLj4EEEEZZNS1_16scan_by_key_implILNS1_25lookback_scan_determinismE0ELb0ES3_N6thrust23THRUST_200600_302600_NS6detail15normal_iteratorINSB_10device_ptrIjEEEENSD_INSE_IS6_EEEESI_S6_NSB_4plusIvEENSB_8equal_toIvEES6_EE10hipError_tPvRmT2_T3_T4_T5_mT6_T7_P12ihipStream_tbENKUlT_T0_E_clISt17integral_constantIbLb1EES12_IbLb0EEEEDaSY_SZ_EUlSY_E_NS1_11comp_targetILNS1_3genE2ELNS1_11target_archE906ELNS1_3gpuE6ELNS1_3repE0EEENS1_30default_config_static_selectorELNS0_4arch9wavefront6targetE1EEEvT1_.kd
    .uniform_work_group_size: 1
    .uses_dynamic_stack: false
    .vgpr_count:     0
    .vgpr_spill_count: 0
    .wavefront_size: 64
  - .agpr_count:     0
    .args:
      - .offset:         0
        .size:           144
        .value_kind:     by_value
    .group_segment_fixed_size: 0
    .kernarg_segment_align: 8
    .kernarg_segment_size: 144
    .language:       OpenCL C
    .language_version:
      - 2
      - 0
    .max_flat_workgroup_size: 256
    .name:           _ZN7rocprim17ROCPRIM_400000_NS6detail17trampoline_kernelINS0_14default_configENS1_27scan_by_key_config_selectorIj11FixedVectorIiLj4EEEEZZNS1_16scan_by_key_implILNS1_25lookback_scan_determinismE0ELb0ES3_N6thrust23THRUST_200600_302600_NS6detail15normal_iteratorINSB_10device_ptrIjEEEENSD_INSE_IS6_EEEESI_S6_NSB_4plusIvEENSB_8equal_toIvEES6_EE10hipError_tPvRmT2_T3_T4_T5_mT6_T7_P12ihipStream_tbENKUlT_T0_E_clISt17integral_constantIbLb1EES12_IbLb0EEEEDaSY_SZ_EUlSY_E_NS1_11comp_targetILNS1_3genE10ELNS1_11target_archE1200ELNS1_3gpuE4ELNS1_3repE0EEENS1_30default_config_static_selectorELNS0_4arch9wavefront6targetE1EEEvT1_
    .private_segment_fixed_size: 0
    .sgpr_count:     4
    .sgpr_spill_count: 0
    .symbol:         _ZN7rocprim17ROCPRIM_400000_NS6detail17trampoline_kernelINS0_14default_configENS1_27scan_by_key_config_selectorIj11FixedVectorIiLj4EEEEZZNS1_16scan_by_key_implILNS1_25lookback_scan_determinismE0ELb0ES3_N6thrust23THRUST_200600_302600_NS6detail15normal_iteratorINSB_10device_ptrIjEEEENSD_INSE_IS6_EEEESI_S6_NSB_4plusIvEENSB_8equal_toIvEES6_EE10hipError_tPvRmT2_T3_T4_T5_mT6_T7_P12ihipStream_tbENKUlT_T0_E_clISt17integral_constantIbLb1EES12_IbLb0EEEEDaSY_SZ_EUlSY_E_NS1_11comp_targetILNS1_3genE10ELNS1_11target_archE1200ELNS1_3gpuE4ELNS1_3repE0EEENS1_30default_config_static_selectorELNS0_4arch9wavefront6targetE1EEEvT1_.kd
    .uniform_work_group_size: 1
    .uses_dynamic_stack: false
    .vgpr_count:     0
    .vgpr_spill_count: 0
    .wavefront_size: 64
  - .agpr_count:     0
    .args:
      - .offset:         0
        .size:           144
        .value_kind:     by_value
    .group_segment_fixed_size: 0
    .kernarg_segment_align: 8
    .kernarg_segment_size: 144
    .language:       OpenCL C
    .language_version:
      - 2
      - 0
    .max_flat_workgroup_size: 256
    .name:           _ZN7rocprim17ROCPRIM_400000_NS6detail17trampoline_kernelINS0_14default_configENS1_27scan_by_key_config_selectorIj11FixedVectorIiLj4EEEEZZNS1_16scan_by_key_implILNS1_25lookback_scan_determinismE0ELb0ES3_N6thrust23THRUST_200600_302600_NS6detail15normal_iteratorINSB_10device_ptrIjEEEENSD_INSE_IS6_EEEESI_S6_NSB_4plusIvEENSB_8equal_toIvEES6_EE10hipError_tPvRmT2_T3_T4_T5_mT6_T7_P12ihipStream_tbENKUlT_T0_E_clISt17integral_constantIbLb1EES12_IbLb0EEEEDaSY_SZ_EUlSY_E_NS1_11comp_targetILNS1_3genE9ELNS1_11target_archE1100ELNS1_3gpuE3ELNS1_3repE0EEENS1_30default_config_static_selectorELNS0_4arch9wavefront6targetE1EEEvT1_
    .private_segment_fixed_size: 0
    .sgpr_count:     4
    .sgpr_spill_count: 0
    .symbol:         _ZN7rocprim17ROCPRIM_400000_NS6detail17trampoline_kernelINS0_14default_configENS1_27scan_by_key_config_selectorIj11FixedVectorIiLj4EEEEZZNS1_16scan_by_key_implILNS1_25lookback_scan_determinismE0ELb0ES3_N6thrust23THRUST_200600_302600_NS6detail15normal_iteratorINSB_10device_ptrIjEEEENSD_INSE_IS6_EEEESI_S6_NSB_4plusIvEENSB_8equal_toIvEES6_EE10hipError_tPvRmT2_T3_T4_T5_mT6_T7_P12ihipStream_tbENKUlT_T0_E_clISt17integral_constantIbLb1EES12_IbLb0EEEEDaSY_SZ_EUlSY_E_NS1_11comp_targetILNS1_3genE9ELNS1_11target_archE1100ELNS1_3gpuE3ELNS1_3repE0EEENS1_30default_config_static_selectorELNS0_4arch9wavefront6targetE1EEEvT1_.kd
    .uniform_work_group_size: 1
    .uses_dynamic_stack: false
    .vgpr_count:     0
    .vgpr_spill_count: 0
    .wavefront_size: 64
  - .agpr_count:     0
    .args:
      - .offset:         0
        .size:           144
        .value_kind:     by_value
    .group_segment_fixed_size: 0
    .kernarg_segment_align: 8
    .kernarg_segment_size: 144
    .language:       OpenCL C
    .language_version:
      - 2
      - 0
    .max_flat_workgroup_size: 256
    .name:           _ZN7rocprim17ROCPRIM_400000_NS6detail17trampoline_kernelINS0_14default_configENS1_27scan_by_key_config_selectorIj11FixedVectorIiLj4EEEEZZNS1_16scan_by_key_implILNS1_25lookback_scan_determinismE0ELb0ES3_N6thrust23THRUST_200600_302600_NS6detail15normal_iteratorINSB_10device_ptrIjEEEENSD_INSE_IS6_EEEESI_S6_NSB_4plusIvEENSB_8equal_toIvEES6_EE10hipError_tPvRmT2_T3_T4_T5_mT6_T7_P12ihipStream_tbENKUlT_T0_E_clISt17integral_constantIbLb1EES12_IbLb0EEEEDaSY_SZ_EUlSY_E_NS1_11comp_targetILNS1_3genE8ELNS1_11target_archE1030ELNS1_3gpuE2ELNS1_3repE0EEENS1_30default_config_static_selectorELNS0_4arch9wavefront6targetE1EEEvT1_
    .private_segment_fixed_size: 0
    .sgpr_count:     4
    .sgpr_spill_count: 0
    .symbol:         _ZN7rocprim17ROCPRIM_400000_NS6detail17trampoline_kernelINS0_14default_configENS1_27scan_by_key_config_selectorIj11FixedVectorIiLj4EEEEZZNS1_16scan_by_key_implILNS1_25lookback_scan_determinismE0ELb0ES3_N6thrust23THRUST_200600_302600_NS6detail15normal_iteratorINSB_10device_ptrIjEEEENSD_INSE_IS6_EEEESI_S6_NSB_4plusIvEENSB_8equal_toIvEES6_EE10hipError_tPvRmT2_T3_T4_T5_mT6_T7_P12ihipStream_tbENKUlT_T0_E_clISt17integral_constantIbLb1EES12_IbLb0EEEEDaSY_SZ_EUlSY_E_NS1_11comp_targetILNS1_3genE8ELNS1_11target_archE1030ELNS1_3gpuE2ELNS1_3repE0EEENS1_30default_config_static_selectorELNS0_4arch9wavefront6targetE1EEEvT1_.kd
    .uniform_work_group_size: 1
    .uses_dynamic_stack: false
    .vgpr_count:     0
    .vgpr_spill_count: 0
    .wavefront_size: 64
  - .agpr_count:     0
    .args:
      - .offset:         0
        .size:           24
        .value_kind:     by_value
      - .offset:         24
        .size:           4
        .value_kind:     by_value
      - .offset:         28
        .size:           4
        .value_kind:     by_value
      - .address_space:  global
        .offset:         32
        .size:           8
        .value_kind:     global_buffer
      - .address_space:  global
        .offset:         40
        .size:           8
        .value_kind:     global_buffer
      - .actual_access:  write_only
        .address_space:  global
        .offset:         48
        .size:           8
        .value_kind:     global_buffer
      - .offset:         56
        .size:           8
        .value_kind:     by_value
      - .offset:         64
        .size:           4
        .value_kind:     by_value
      - .address_space:  global
        .offset:         72
        .size:           8
        .value_kind:     global_buffer
      - .offset:         80
        .size:           4
        .value_kind:     hidden_block_count_x
      - .offset:         84
        .size:           4
        .value_kind:     hidden_block_count_y
      - .offset:         88
        .size:           4
        .value_kind:     hidden_block_count_z
      - .offset:         92
        .size:           2
        .value_kind:     hidden_group_size_x
      - .offset:         94
        .size:           2
        .value_kind:     hidden_group_size_y
      - .offset:         96
        .size:           2
        .value_kind:     hidden_group_size_z
      - .offset:         98
        .size:           2
        .value_kind:     hidden_remainder_x
      - .offset:         100
        .size:           2
        .value_kind:     hidden_remainder_y
      - .offset:         102
        .size:           2
        .value_kind:     hidden_remainder_z
      - .offset:         120
        .size:           8
        .value_kind:     hidden_global_offset_x
      - .offset:         128
        .size:           8
        .value_kind:     hidden_global_offset_y
      - .offset:         136
        .size:           8
        .value_kind:     hidden_global_offset_z
      - .offset:         144
        .size:           2
        .value_kind:     hidden_grid_dims
    .group_segment_fixed_size: 5120
    .kernarg_segment_align: 8
    .kernarg_segment_size: 336
    .language:       OpenCL C
    .language_version:
      - 2
      - 0
    .max_flat_workgroup_size: 256
    .name:           _ZN7rocprim17ROCPRIM_400000_NS6detail30init_device_scan_by_key_kernelINS1_19lookback_scan_stateINS0_5tupleIJ11FixedVectorIiLj4EEbEEELb0ELb0EEEN6thrust23THRUST_200600_302600_NS6detail15normal_iteratorINSA_10device_ptrIjEEEEjNS1_16block_id_wrapperIjLb1EEEEEvT_jjPNSI_10value_typeET0_PNSt15iterator_traitsISL_E10value_typeEmT1_T2_
    .private_segment_fixed_size: 0
    .sgpr_count:     28
    .sgpr_spill_count: 0
    .symbol:         _ZN7rocprim17ROCPRIM_400000_NS6detail30init_device_scan_by_key_kernelINS1_19lookback_scan_stateINS0_5tupleIJ11FixedVectorIiLj4EEbEEELb0ELb0EEEN6thrust23THRUST_200600_302600_NS6detail15normal_iteratorINSA_10device_ptrIjEEEEjNS1_16block_id_wrapperIjLb1EEEEEvT_jjPNSI_10value_typeET0_PNSt15iterator_traitsISL_E10value_typeEmT1_T2_.kd
    .uniform_work_group_size: 1
    .uses_dynamic_stack: false
    .vgpr_count:     10
    .vgpr_spill_count: 0
    .wavefront_size: 64
  - .agpr_count:     0
    .args:
      - .offset:         0
        .size:           24
        .value_kind:     by_value
      - .offset:         24
        .size:           4
        .value_kind:     by_value
      - .offset:         28
        .size:           4
        .value_kind:     by_value
      - .address_space:  global
        .offset:         32
        .size:           8
        .value_kind:     global_buffer
      - .address_space:  global
        .offset:         40
        .size:           8
        .value_kind:     global_buffer
      - .offset:         48
        .size:           4
        .value_kind:     hidden_block_count_x
      - .offset:         52
        .size:           4
        .value_kind:     hidden_block_count_y
      - .offset:         56
        .size:           4
        .value_kind:     hidden_block_count_z
      - .offset:         60
        .size:           2
        .value_kind:     hidden_group_size_x
      - .offset:         62
        .size:           2
        .value_kind:     hidden_group_size_y
      - .offset:         64
        .size:           2
        .value_kind:     hidden_group_size_z
      - .offset:         66
        .size:           2
        .value_kind:     hidden_remainder_x
      - .offset:         68
        .size:           2
        .value_kind:     hidden_remainder_y
      - .offset:         70
        .size:           2
        .value_kind:     hidden_remainder_z
      - .offset:         88
        .size:           8
        .value_kind:     hidden_global_offset_x
      - .offset:         96
        .size:           8
        .value_kind:     hidden_global_offset_y
      - .offset:         104
        .size:           8
        .value_kind:     hidden_global_offset_z
      - .offset:         112
        .size:           2
        .value_kind:     hidden_grid_dims
    .group_segment_fixed_size: 5120
    .kernarg_segment_align: 8
    .kernarg_segment_size: 304
    .language:       OpenCL C
    .language_version:
      - 2
      - 0
    .max_flat_workgroup_size: 256
    .name:           _ZN7rocprim17ROCPRIM_400000_NS6detail30init_device_scan_by_key_kernelINS1_19lookback_scan_stateINS0_5tupleIJ11FixedVectorIiLj4EEbEEELb0ELb0EEENS1_16block_id_wrapperIjLb1EEEEEvT_jjPNSB_10value_typeET0_
    .private_segment_fixed_size: 0
    .sgpr_count:     26
    .sgpr_spill_count: 0
    .symbol:         _ZN7rocprim17ROCPRIM_400000_NS6detail30init_device_scan_by_key_kernelINS1_19lookback_scan_stateINS0_5tupleIJ11FixedVectorIiLj4EEbEEELb0ELb0EEENS1_16block_id_wrapperIjLb1EEEEEvT_jjPNSB_10value_typeET0_.kd
    .uniform_work_group_size: 1
    .uses_dynamic_stack: false
    .vgpr_count:     8
    .vgpr_spill_count: 0
    .wavefront_size: 64
  - .agpr_count:     0
    .args:
      - .offset:         0
        .size:           144
        .value_kind:     by_value
    .group_segment_fixed_size: 0
    .kernarg_segment_align: 8
    .kernarg_segment_size: 144
    .language:       OpenCL C
    .language_version:
      - 2
      - 0
    .max_flat_workgroup_size: 64
    .name:           _ZN7rocprim17ROCPRIM_400000_NS6detail17trampoline_kernelINS0_14default_configENS1_27scan_by_key_config_selectorIj11FixedVectorIiLj4EEEEZZNS1_16scan_by_key_implILNS1_25lookback_scan_determinismE0ELb0ES3_N6thrust23THRUST_200600_302600_NS6detail15normal_iteratorINSB_10device_ptrIjEEEENSD_INSE_IS6_EEEESI_S6_NSB_4plusIvEENSB_8equal_toIvEES6_EE10hipError_tPvRmT2_T3_T4_T5_mT6_T7_P12ihipStream_tbENKUlT_T0_E_clISt17integral_constantIbLb0EES12_IbLb1EEEEDaSY_SZ_EUlSY_E_NS1_11comp_targetILNS1_3genE0ELNS1_11target_archE4294967295ELNS1_3gpuE0ELNS1_3repE0EEENS1_30default_config_static_selectorELNS0_4arch9wavefront6targetE1EEEvT1_
    .private_segment_fixed_size: 0
    .sgpr_count:     4
    .sgpr_spill_count: 0
    .symbol:         _ZN7rocprim17ROCPRIM_400000_NS6detail17trampoline_kernelINS0_14default_configENS1_27scan_by_key_config_selectorIj11FixedVectorIiLj4EEEEZZNS1_16scan_by_key_implILNS1_25lookback_scan_determinismE0ELb0ES3_N6thrust23THRUST_200600_302600_NS6detail15normal_iteratorINSB_10device_ptrIjEEEENSD_INSE_IS6_EEEESI_S6_NSB_4plusIvEENSB_8equal_toIvEES6_EE10hipError_tPvRmT2_T3_T4_T5_mT6_T7_P12ihipStream_tbENKUlT_T0_E_clISt17integral_constantIbLb0EES12_IbLb1EEEEDaSY_SZ_EUlSY_E_NS1_11comp_targetILNS1_3genE0ELNS1_11target_archE4294967295ELNS1_3gpuE0ELNS1_3repE0EEENS1_30default_config_static_selectorELNS0_4arch9wavefront6targetE1EEEvT1_.kd
    .uniform_work_group_size: 1
    .uses_dynamic_stack: false
    .vgpr_count:     0
    .vgpr_spill_count: 0
    .wavefront_size: 64
  - .agpr_count:     0
    .args:
      - .offset:         0
        .size:           144
        .value_kind:     by_value
    .group_segment_fixed_size: 0
    .kernarg_segment_align: 8
    .kernarg_segment_size: 144
    .language:       OpenCL C
    .language_version:
      - 2
      - 0
    .max_flat_workgroup_size: 256
    .name:           _ZN7rocprim17ROCPRIM_400000_NS6detail17trampoline_kernelINS0_14default_configENS1_27scan_by_key_config_selectorIj11FixedVectorIiLj4EEEEZZNS1_16scan_by_key_implILNS1_25lookback_scan_determinismE0ELb0ES3_N6thrust23THRUST_200600_302600_NS6detail15normal_iteratorINSB_10device_ptrIjEEEENSD_INSE_IS6_EEEESI_S6_NSB_4plusIvEENSB_8equal_toIvEES6_EE10hipError_tPvRmT2_T3_T4_T5_mT6_T7_P12ihipStream_tbENKUlT_T0_E_clISt17integral_constantIbLb0EES12_IbLb1EEEEDaSY_SZ_EUlSY_E_NS1_11comp_targetILNS1_3genE10ELNS1_11target_archE1201ELNS1_3gpuE5ELNS1_3repE0EEENS1_30default_config_static_selectorELNS0_4arch9wavefront6targetE1EEEvT1_
    .private_segment_fixed_size: 0
    .sgpr_count:     4
    .sgpr_spill_count: 0
    .symbol:         _ZN7rocprim17ROCPRIM_400000_NS6detail17trampoline_kernelINS0_14default_configENS1_27scan_by_key_config_selectorIj11FixedVectorIiLj4EEEEZZNS1_16scan_by_key_implILNS1_25lookback_scan_determinismE0ELb0ES3_N6thrust23THRUST_200600_302600_NS6detail15normal_iteratorINSB_10device_ptrIjEEEENSD_INSE_IS6_EEEESI_S6_NSB_4plusIvEENSB_8equal_toIvEES6_EE10hipError_tPvRmT2_T3_T4_T5_mT6_T7_P12ihipStream_tbENKUlT_T0_E_clISt17integral_constantIbLb0EES12_IbLb1EEEEDaSY_SZ_EUlSY_E_NS1_11comp_targetILNS1_3genE10ELNS1_11target_archE1201ELNS1_3gpuE5ELNS1_3repE0EEENS1_30default_config_static_selectorELNS0_4arch9wavefront6targetE1EEEvT1_.kd
    .uniform_work_group_size: 1
    .uses_dynamic_stack: false
    .vgpr_count:     0
    .vgpr_spill_count: 0
    .wavefront_size: 64
  - .agpr_count:     0
    .args:
      - .offset:         0
        .size:           144
        .value_kind:     by_value
    .group_segment_fixed_size: 0
    .kernarg_segment_align: 8
    .kernarg_segment_size: 144
    .language:       OpenCL C
    .language_version:
      - 2
      - 0
    .max_flat_workgroup_size: 128
    .name:           _ZN7rocprim17ROCPRIM_400000_NS6detail17trampoline_kernelINS0_14default_configENS1_27scan_by_key_config_selectorIj11FixedVectorIiLj4EEEEZZNS1_16scan_by_key_implILNS1_25lookback_scan_determinismE0ELb0ES3_N6thrust23THRUST_200600_302600_NS6detail15normal_iteratorINSB_10device_ptrIjEEEENSD_INSE_IS6_EEEESI_S6_NSB_4plusIvEENSB_8equal_toIvEES6_EE10hipError_tPvRmT2_T3_T4_T5_mT6_T7_P12ihipStream_tbENKUlT_T0_E_clISt17integral_constantIbLb0EES12_IbLb1EEEEDaSY_SZ_EUlSY_E_NS1_11comp_targetILNS1_3genE5ELNS1_11target_archE942ELNS1_3gpuE9ELNS1_3repE0EEENS1_30default_config_static_selectorELNS0_4arch9wavefront6targetE1EEEvT1_
    .private_segment_fixed_size: 0
    .sgpr_count:     4
    .sgpr_spill_count: 0
    .symbol:         _ZN7rocprim17ROCPRIM_400000_NS6detail17trampoline_kernelINS0_14default_configENS1_27scan_by_key_config_selectorIj11FixedVectorIiLj4EEEEZZNS1_16scan_by_key_implILNS1_25lookback_scan_determinismE0ELb0ES3_N6thrust23THRUST_200600_302600_NS6detail15normal_iteratorINSB_10device_ptrIjEEEENSD_INSE_IS6_EEEESI_S6_NSB_4plusIvEENSB_8equal_toIvEES6_EE10hipError_tPvRmT2_T3_T4_T5_mT6_T7_P12ihipStream_tbENKUlT_T0_E_clISt17integral_constantIbLb0EES12_IbLb1EEEEDaSY_SZ_EUlSY_E_NS1_11comp_targetILNS1_3genE5ELNS1_11target_archE942ELNS1_3gpuE9ELNS1_3repE0EEENS1_30default_config_static_selectorELNS0_4arch9wavefront6targetE1EEEvT1_.kd
    .uniform_work_group_size: 1
    .uses_dynamic_stack: false
    .vgpr_count:     0
    .vgpr_spill_count: 0
    .wavefront_size: 64
  - .agpr_count:     0
    .args:
      - .offset:         0
        .size:           144
        .value_kind:     by_value
    .group_segment_fixed_size: 20480
    .kernarg_segment_align: 8
    .kernarg_segment_size: 144
    .language:       OpenCL C
    .language_version:
      - 2
      - 0
    .max_flat_workgroup_size: 256
    .name:           _ZN7rocprim17ROCPRIM_400000_NS6detail17trampoline_kernelINS0_14default_configENS1_27scan_by_key_config_selectorIj11FixedVectorIiLj4EEEEZZNS1_16scan_by_key_implILNS1_25lookback_scan_determinismE0ELb0ES3_N6thrust23THRUST_200600_302600_NS6detail15normal_iteratorINSB_10device_ptrIjEEEENSD_INSE_IS6_EEEESI_S6_NSB_4plusIvEENSB_8equal_toIvEES6_EE10hipError_tPvRmT2_T3_T4_T5_mT6_T7_P12ihipStream_tbENKUlT_T0_E_clISt17integral_constantIbLb0EES12_IbLb1EEEEDaSY_SZ_EUlSY_E_NS1_11comp_targetILNS1_3genE4ELNS1_11target_archE910ELNS1_3gpuE8ELNS1_3repE0EEENS1_30default_config_static_selectorELNS0_4arch9wavefront6targetE1EEEvT1_
    .private_segment_fixed_size: 320
    .sgpr_count:     61
    .sgpr_spill_count: 0
    .symbol:         _ZN7rocprim17ROCPRIM_400000_NS6detail17trampoline_kernelINS0_14default_configENS1_27scan_by_key_config_selectorIj11FixedVectorIiLj4EEEEZZNS1_16scan_by_key_implILNS1_25lookback_scan_determinismE0ELb0ES3_N6thrust23THRUST_200600_302600_NS6detail15normal_iteratorINSB_10device_ptrIjEEEENSD_INSE_IS6_EEEESI_S6_NSB_4plusIvEENSB_8equal_toIvEES6_EE10hipError_tPvRmT2_T3_T4_T5_mT6_T7_P12ihipStream_tbENKUlT_T0_E_clISt17integral_constantIbLb0EES12_IbLb1EEEEDaSY_SZ_EUlSY_E_NS1_11comp_targetILNS1_3genE4ELNS1_11target_archE910ELNS1_3gpuE8ELNS1_3repE0EEENS1_30default_config_static_selectorELNS0_4arch9wavefront6targetE1EEEvT1_.kd
    .uniform_work_group_size: 1
    .uses_dynamic_stack: false
    .vgpr_count:     43
    .vgpr_spill_count: 0
    .wavefront_size: 64
  - .agpr_count:     0
    .args:
      - .offset:         0
        .size:           144
        .value_kind:     by_value
    .group_segment_fixed_size: 0
    .kernarg_segment_align: 8
    .kernarg_segment_size: 144
    .language:       OpenCL C
    .language_version:
      - 2
      - 0
    .max_flat_workgroup_size: 64
    .name:           _ZN7rocprim17ROCPRIM_400000_NS6detail17trampoline_kernelINS0_14default_configENS1_27scan_by_key_config_selectorIj11FixedVectorIiLj4EEEEZZNS1_16scan_by_key_implILNS1_25lookback_scan_determinismE0ELb0ES3_N6thrust23THRUST_200600_302600_NS6detail15normal_iteratorINSB_10device_ptrIjEEEENSD_INSE_IS6_EEEESI_S6_NSB_4plusIvEENSB_8equal_toIvEES6_EE10hipError_tPvRmT2_T3_T4_T5_mT6_T7_P12ihipStream_tbENKUlT_T0_E_clISt17integral_constantIbLb0EES12_IbLb1EEEEDaSY_SZ_EUlSY_E_NS1_11comp_targetILNS1_3genE3ELNS1_11target_archE908ELNS1_3gpuE7ELNS1_3repE0EEENS1_30default_config_static_selectorELNS0_4arch9wavefront6targetE1EEEvT1_
    .private_segment_fixed_size: 0
    .sgpr_count:     4
    .sgpr_spill_count: 0
    .symbol:         _ZN7rocprim17ROCPRIM_400000_NS6detail17trampoline_kernelINS0_14default_configENS1_27scan_by_key_config_selectorIj11FixedVectorIiLj4EEEEZZNS1_16scan_by_key_implILNS1_25lookback_scan_determinismE0ELb0ES3_N6thrust23THRUST_200600_302600_NS6detail15normal_iteratorINSB_10device_ptrIjEEEENSD_INSE_IS6_EEEESI_S6_NSB_4plusIvEENSB_8equal_toIvEES6_EE10hipError_tPvRmT2_T3_T4_T5_mT6_T7_P12ihipStream_tbENKUlT_T0_E_clISt17integral_constantIbLb0EES12_IbLb1EEEEDaSY_SZ_EUlSY_E_NS1_11comp_targetILNS1_3genE3ELNS1_11target_archE908ELNS1_3gpuE7ELNS1_3repE0EEENS1_30default_config_static_selectorELNS0_4arch9wavefront6targetE1EEEvT1_.kd
    .uniform_work_group_size: 1
    .uses_dynamic_stack: false
    .vgpr_count:     0
    .vgpr_spill_count: 0
    .wavefront_size: 64
  - .agpr_count:     0
    .args:
      - .offset:         0
        .size:           144
        .value_kind:     by_value
    .group_segment_fixed_size: 0
    .kernarg_segment_align: 8
    .kernarg_segment_size: 144
    .language:       OpenCL C
    .language_version:
      - 2
      - 0
    .max_flat_workgroup_size: 256
    .name:           _ZN7rocprim17ROCPRIM_400000_NS6detail17trampoline_kernelINS0_14default_configENS1_27scan_by_key_config_selectorIj11FixedVectorIiLj4EEEEZZNS1_16scan_by_key_implILNS1_25lookback_scan_determinismE0ELb0ES3_N6thrust23THRUST_200600_302600_NS6detail15normal_iteratorINSB_10device_ptrIjEEEENSD_INSE_IS6_EEEESI_S6_NSB_4plusIvEENSB_8equal_toIvEES6_EE10hipError_tPvRmT2_T3_T4_T5_mT6_T7_P12ihipStream_tbENKUlT_T0_E_clISt17integral_constantIbLb0EES12_IbLb1EEEEDaSY_SZ_EUlSY_E_NS1_11comp_targetILNS1_3genE2ELNS1_11target_archE906ELNS1_3gpuE6ELNS1_3repE0EEENS1_30default_config_static_selectorELNS0_4arch9wavefront6targetE1EEEvT1_
    .private_segment_fixed_size: 0
    .sgpr_count:     4
    .sgpr_spill_count: 0
    .symbol:         _ZN7rocprim17ROCPRIM_400000_NS6detail17trampoline_kernelINS0_14default_configENS1_27scan_by_key_config_selectorIj11FixedVectorIiLj4EEEEZZNS1_16scan_by_key_implILNS1_25lookback_scan_determinismE0ELb0ES3_N6thrust23THRUST_200600_302600_NS6detail15normal_iteratorINSB_10device_ptrIjEEEENSD_INSE_IS6_EEEESI_S6_NSB_4plusIvEENSB_8equal_toIvEES6_EE10hipError_tPvRmT2_T3_T4_T5_mT6_T7_P12ihipStream_tbENKUlT_T0_E_clISt17integral_constantIbLb0EES12_IbLb1EEEEDaSY_SZ_EUlSY_E_NS1_11comp_targetILNS1_3genE2ELNS1_11target_archE906ELNS1_3gpuE6ELNS1_3repE0EEENS1_30default_config_static_selectorELNS0_4arch9wavefront6targetE1EEEvT1_.kd
    .uniform_work_group_size: 1
    .uses_dynamic_stack: false
    .vgpr_count:     0
    .vgpr_spill_count: 0
    .wavefront_size: 64
  - .agpr_count:     0
    .args:
      - .offset:         0
        .size:           144
        .value_kind:     by_value
    .group_segment_fixed_size: 0
    .kernarg_segment_align: 8
    .kernarg_segment_size: 144
    .language:       OpenCL C
    .language_version:
      - 2
      - 0
    .max_flat_workgroup_size: 256
    .name:           _ZN7rocprim17ROCPRIM_400000_NS6detail17trampoline_kernelINS0_14default_configENS1_27scan_by_key_config_selectorIj11FixedVectorIiLj4EEEEZZNS1_16scan_by_key_implILNS1_25lookback_scan_determinismE0ELb0ES3_N6thrust23THRUST_200600_302600_NS6detail15normal_iteratorINSB_10device_ptrIjEEEENSD_INSE_IS6_EEEESI_S6_NSB_4plusIvEENSB_8equal_toIvEES6_EE10hipError_tPvRmT2_T3_T4_T5_mT6_T7_P12ihipStream_tbENKUlT_T0_E_clISt17integral_constantIbLb0EES12_IbLb1EEEEDaSY_SZ_EUlSY_E_NS1_11comp_targetILNS1_3genE10ELNS1_11target_archE1200ELNS1_3gpuE4ELNS1_3repE0EEENS1_30default_config_static_selectorELNS0_4arch9wavefront6targetE1EEEvT1_
    .private_segment_fixed_size: 0
    .sgpr_count:     4
    .sgpr_spill_count: 0
    .symbol:         _ZN7rocprim17ROCPRIM_400000_NS6detail17trampoline_kernelINS0_14default_configENS1_27scan_by_key_config_selectorIj11FixedVectorIiLj4EEEEZZNS1_16scan_by_key_implILNS1_25lookback_scan_determinismE0ELb0ES3_N6thrust23THRUST_200600_302600_NS6detail15normal_iteratorINSB_10device_ptrIjEEEENSD_INSE_IS6_EEEESI_S6_NSB_4plusIvEENSB_8equal_toIvEES6_EE10hipError_tPvRmT2_T3_T4_T5_mT6_T7_P12ihipStream_tbENKUlT_T0_E_clISt17integral_constantIbLb0EES12_IbLb1EEEEDaSY_SZ_EUlSY_E_NS1_11comp_targetILNS1_3genE10ELNS1_11target_archE1200ELNS1_3gpuE4ELNS1_3repE0EEENS1_30default_config_static_selectorELNS0_4arch9wavefront6targetE1EEEvT1_.kd
    .uniform_work_group_size: 1
    .uses_dynamic_stack: false
    .vgpr_count:     0
    .vgpr_spill_count: 0
    .wavefront_size: 64
  - .agpr_count:     0
    .args:
      - .offset:         0
        .size:           144
        .value_kind:     by_value
    .group_segment_fixed_size: 0
    .kernarg_segment_align: 8
    .kernarg_segment_size: 144
    .language:       OpenCL C
    .language_version:
      - 2
      - 0
    .max_flat_workgroup_size: 256
    .name:           _ZN7rocprim17ROCPRIM_400000_NS6detail17trampoline_kernelINS0_14default_configENS1_27scan_by_key_config_selectorIj11FixedVectorIiLj4EEEEZZNS1_16scan_by_key_implILNS1_25lookback_scan_determinismE0ELb0ES3_N6thrust23THRUST_200600_302600_NS6detail15normal_iteratorINSB_10device_ptrIjEEEENSD_INSE_IS6_EEEESI_S6_NSB_4plusIvEENSB_8equal_toIvEES6_EE10hipError_tPvRmT2_T3_T4_T5_mT6_T7_P12ihipStream_tbENKUlT_T0_E_clISt17integral_constantIbLb0EES12_IbLb1EEEEDaSY_SZ_EUlSY_E_NS1_11comp_targetILNS1_3genE9ELNS1_11target_archE1100ELNS1_3gpuE3ELNS1_3repE0EEENS1_30default_config_static_selectorELNS0_4arch9wavefront6targetE1EEEvT1_
    .private_segment_fixed_size: 0
    .sgpr_count:     4
    .sgpr_spill_count: 0
    .symbol:         _ZN7rocprim17ROCPRIM_400000_NS6detail17trampoline_kernelINS0_14default_configENS1_27scan_by_key_config_selectorIj11FixedVectorIiLj4EEEEZZNS1_16scan_by_key_implILNS1_25lookback_scan_determinismE0ELb0ES3_N6thrust23THRUST_200600_302600_NS6detail15normal_iteratorINSB_10device_ptrIjEEEENSD_INSE_IS6_EEEESI_S6_NSB_4plusIvEENSB_8equal_toIvEES6_EE10hipError_tPvRmT2_T3_T4_T5_mT6_T7_P12ihipStream_tbENKUlT_T0_E_clISt17integral_constantIbLb0EES12_IbLb1EEEEDaSY_SZ_EUlSY_E_NS1_11comp_targetILNS1_3genE9ELNS1_11target_archE1100ELNS1_3gpuE3ELNS1_3repE0EEENS1_30default_config_static_selectorELNS0_4arch9wavefront6targetE1EEEvT1_.kd
    .uniform_work_group_size: 1
    .uses_dynamic_stack: false
    .vgpr_count:     0
    .vgpr_spill_count: 0
    .wavefront_size: 64
  - .agpr_count:     0
    .args:
      - .offset:         0
        .size:           144
        .value_kind:     by_value
    .group_segment_fixed_size: 0
    .kernarg_segment_align: 8
    .kernarg_segment_size: 144
    .language:       OpenCL C
    .language_version:
      - 2
      - 0
    .max_flat_workgroup_size: 256
    .name:           _ZN7rocprim17ROCPRIM_400000_NS6detail17trampoline_kernelINS0_14default_configENS1_27scan_by_key_config_selectorIj11FixedVectorIiLj4EEEEZZNS1_16scan_by_key_implILNS1_25lookback_scan_determinismE0ELb0ES3_N6thrust23THRUST_200600_302600_NS6detail15normal_iteratorINSB_10device_ptrIjEEEENSD_INSE_IS6_EEEESI_S6_NSB_4plusIvEENSB_8equal_toIvEES6_EE10hipError_tPvRmT2_T3_T4_T5_mT6_T7_P12ihipStream_tbENKUlT_T0_E_clISt17integral_constantIbLb0EES12_IbLb1EEEEDaSY_SZ_EUlSY_E_NS1_11comp_targetILNS1_3genE8ELNS1_11target_archE1030ELNS1_3gpuE2ELNS1_3repE0EEENS1_30default_config_static_selectorELNS0_4arch9wavefront6targetE1EEEvT1_
    .private_segment_fixed_size: 0
    .sgpr_count:     4
    .sgpr_spill_count: 0
    .symbol:         _ZN7rocprim17ROCPRIM_400000_NS6detail17trampoline_kernelINS0_14default_configENS1_27scan_by_key_config_selectorIj11FixedVectorIiLj4EEEEZZNS1_16scan_by_key_implILNS1_25lookback_scan_determinismE0ELb0ES3_N6thrust23THRUST_200600_302600_NS6detail15normal_iteratorINSB_10device_ptrIjEEEENSD_INSE_IS6_EEEESI_S6_NSB_4plusIvEENSB_8equal_toIvEES6_EE10hipError_tPvRmT2_T3_T4_T5_mT6_T7_P12ihipStream_tbENKUlT_T0_E_clISt17integral_constantIbLb0EES12_IbLb1EEEEDaSY_SZ_EUlSY_E_NS1_11comp_targetILNS1_3genE8ELNS1_11target_archE1030ELNS1_3gpuE2ELNS1_3repE0EEENS1_30default_config_static_selectorELNS0_4arch9wavefront6targetE1EEEvT1_.kd
    .uniform_work_group_size: 1
    .uses_dynamic_stack: false
    .vgpr_count:     0
    .vgpr_spill_count: 0
    .wavefront_size: 64
  - .agpr_count:     0
    .args:
      - .offset:         0
        .size:           144
        .value_kind:     by_value
    .group_segment_fixed_size: 0
    .kernarg_segment_align: 8
    .kernarg_segment_size: 144
    .language:       OpenCL C
    .language_version:
      - 2
      - 0
    .max_flat_workgroup_size: 64
    .name:           _ZN7rocprim17ROCPRIM_400000_NS6detail17trampoline_kernelINS0_14default_configENS1_27scan_by_key_config_selectorIj11FixedVectorIiLj4EEEEZZNS1_16scan_by_key_implILNS1_25lookback_scan_determinismE0ELb1ES3_N6thrust23THRUST_200600_302600_NS6detail15normal_iteratorINSB_10device_ptrIjEEEENSD_INSE_IS6_EEEESI_S6_NSB_4plusIvEENSB_8equal_toIvEES6_EE10hipError_tPvRmT2_T3_T4_T5_mT6_T7_P12ihipStream_tbENKUlT_T0_E_clISt17integral_constantIbLb0EES13_EEDaSY_SZ_EUlSY_E_NS1_11comp_targetILNS1_3genE0ELNS1_11target_archE4294967295ELNS1_3gpuE0ELNS1_3repE0EEENS1_30default_config_static_selectorELNS0_4arch9wavefront6targetE1EEEvT1_
    .private_segment_fixed_size: 0
    .sgpr_count:     4
    .sgpr_spill_count: 0
    .symbol:         _ZN7rocprim17ROCPRIM_400000_NS6detail17trampoline_kernelINS0_14default_configENS1_27scan_by_key_config_selectorIj11FixedVectorIiLj4EEEEZZNS1_16scan_by_key_implILNS1_25lookback_scan_determinismE0ELb1ES3_N6thrust23THRUST_200600_302600_NS6detail15normal_iteratorINSB_10device_ptrIjEEEENSD_INSE_IS6_EEEESI_S6_NSB_4plusIvEENSB_8equal_toIvEES6_EE10hipError_tPvRmT2_T3_T4_T5_mT6_T7_P12ihipStream_tbENKUlT_T0_E_clISt17integral_constantIbLb0EES13_EEDaSY_SZ_EUlSY_E_NS1_11comp_targetILNS1_3genE0ELNS1_11target_archE4294967295ELNS1_3gpuE0ELNS1_3repE0EEENS1_30default_config_static_selectorELNS0_4arch9wavefront6targetE1EEEvT1_.kd
    .uniform_work_group_size: 1
    .uses_dynamic_stack: false
    .vgpr_count:     0
    .vgpr_spill_count: 0
    .wavefront_size: 64
  - .agpr_count:     0
    .args:
      - .offset:         0
        .size:           144
        .value_kind:     by_value
    .group_segment_fixed_size: 0
    .kernarg_segment_align: 8
    .kernarg_segment_size: 144
    .language:       OpenCL C
    .language_version:
      - 2
      - 0
    .max_flat_workgroup_size: 256
    .name:           _ZN7rocprim17ROCPRIM_400000_NS6detail17trampoline_kernelINS0_14default_configENS1_27scan_by_key_config_selectorIj11FixedVectorIiLj4EEEEZZNS1_16scan_by_key_implILNS1_25lookback_scan_determinismE0ELb1ES3_N6thrust23THRUST_200600_302600_NS6detail15normal_iteratorINSB_10device_ptrIjEEEENSD_INSE_IS6_EEEESI_S6_NSB_4plusIvEENSB_8equal_toIvEES6_EE10hipError_tPvRmT2_T3_T4_T5_mT6_T7_P12ihipStream_tbENKUlT_T0_E_clISt17integral_constantIbLb0EES13_EEDaSY_SZ_EUlSY_E_NS1_11comp_targetILNS1_3genE10ELNS1_11target_archE1201ELNS1_3gpuE5ELNS1_3repE0EEENS1_30default_config_static_selectorELNS0_4arch9wavefront6targetE1EEEvT1_
    .private_segment_fixed_size: 0
    .sgpr_count:     4
    .sgpr_spill_count: 0
    .symbol:         _ZN7rocprim17ROCPRIM_400000_NS6detail17trampoline_kernelINS0_14default_configENS1_27scan_by_key_config_selectorIj11FixedVectorIiLj4EEEEZZNS1_16scan_by_key_implILNS1_25lookback_scan_determinismE0ELb1ES3_N6thrust23THRUST_200600_302600_NS6detail15normal_iteratorINSB_10device_ptrIjEEEENSD_INSE_IS6_EEEESI_S6_NSB_4plusIvEENSB_8equal_toIvEES6_EE10hipError_tPvRmT2_T3_T4_T5_mT6_T7_P12ihipStream_tbENKUlT_T0_E_clISt17integral_constantIbLb0EES13_EEDaSY_SZ_EUlSY_E_NS1_11comp_targetILNS1_3genE10ELNS1_11target_archE1201ELNS1_3gpuE5ELNS1_3repE0EEENS1_30default_config_static_selectorELNS0_4arch9wavefront6targetE1EEEvT1_.kd
    .uniform_work_group_size: 1
    .uses_dynamic_stack: false
    .vgpr_count:     0
    .vgpr_spill_count: 0
    .wavefront_size: 64
  - .agpr_count:     0
    .args:
      - .offset:         0
        .size:           144
        .value_kind:     by_value
    .group_segment_fixed_size: 0
    .kernarg_segment_align: 8
    .kernarg_segment_size: 144
    .language:       OpenCL C
    .language_version:
      - 2
      - 0
    .max_flat_workgroup_size: 128
    .name:           _ZN7rocprim17ROCPRIM_400000_NS6detail17trampoline_kernelINS0_14default_configENS1_27scan_by_key_config_selectorIj11FixedVectorIiLj4EEEEZZNS1_16scan_by_key_implILNS1_25lookback_scan_determinismE0ELb1ES3_N6thrust23THRUST_200600_302600_NS6detail15normal_iteratorINSB_10device_ptrIjEEEENSD_INSE_IS6_EEEESI_S6_NSB_4plusIvEENSB_8equal_toIvEES6_EE10hipError_tPvRmT2_T3_T4_T5_mT6_T7_P12ihipStream_tbENKUlT_T0_E_clISt17integral_constantIbLb0EES13_EEDaSY_SZ_EUlSY_E_NS1_11comp_targetILNS1_3genE5ELNS1_11target_archE942ELNS1_3gpuE9ELNS1_3repE0EEENS1_30default_config_static_selectorELNS0_4arch9wavefront6targetE1EEEvT1_
    .private_segment_fixed_size: 0
    .sgpr_count:     4
    .sgpr_spill_count: 0
    .symbol:         _ZN7rocprim17ROCPRIM_400000_NS6detail17trampoline_kernelINS0_14default_configENS1_27scan_by_key_config_selectorIj11FixedVectorIiLj4EEEEZZNS1_16scan_by_key_implILNS1_25lookback_scan_determinismE0ELb1ES3_N6thrust23THRUST_200600_302600_NS6detail15normal_iteratorINSB_10device_ptrIjEEEENSD_INSE_IS6_EEEESI_S6_NSB_4plusIvEENSB_8equal_toIvEES6_EE10hipError_tPvRmT2_T3_T4_T5_mT6_T7_P12ihipStream_tbENKUlT_T0_E_clISt17integral_constantIbLb0EES13_EEDaSY_SZ_EUlSY_E_NS1_11comp_targetILNS1_3genE5ELNS1_11target_archE942ELNS1_3gpuE9ELNS1_3repE0EEENS1_30default_config_static_selectorELNS0_4arch9wavefront6targetE1EEEvT1_.kd
    .uniform_work_group_size: 1
    .uses_dynamic_stack: false
    .vgpr_count:     0
    .vgpr_spill_count: 0
    .wavefront_size: 64
  - .agpr_count:     0
    .args:
      - .offset:         0
        .size:           144
        .value_kind:     by_value
    .group_segment_fixed_size: 20480
    .kernarg_segment_align: 8
    .kernarg_segment_size: 144
    .language:       OpenCL C
    .language_version:
      - 2
      - 0
    .max_flat_workgroup_size: 256
    .name:           _ZN7rocprim17ROCPRIM_400000_NS6detail17trampoline_kernelINS0_14default_configENS1_27scan_by_key_config_selectorIj11FixedVectorIiLj4EEEEZZNS1_16scan_by_key_implILNS1_25lookback_scan_determinismE0ELb1ES3_N6thrust23THRUST_200600_302600_NS6detail15normal_iteratorINSB_10device_ptrIjEEEENSD_INSE_IS6_EEEESI_S6_NSB_4plusIvEENSB_8equal_toIvEES6_EE10hipError_tPvRmT2_T3_T4_T5_mT6_T7_P12ihipStream_tbENKUlT_T0_E_clISt17integral_constantIbLb0EES13_EEDaSY_SZ_EUlSY_E_NS1_11comp_targetILNS1_3genE4ELNS1_11target_archE910ELNS1_3gpuE8ELNS1_3repE0EEENS1_30default_config_static_selectorELNS0_4arch9wavefront6targetE1EEEvT1_
    .private_segment_fixed_size: 320
    .sgpr_count:     55
    .sgpr_spill_count: 0
    .symbol:         _ZN7rocprim17ROCPRIM_400000_NS6detail17trampoline_kernelINS0_14default_configENS1_27scan_by_key_config_selectorIj11FixedVectorIiLj4EEEEZZNS1_16scan_by_key_implILNS1_25lookback_scan_determinismE0ELb1ES3_N6thrust23THRUST_200600_302600_NS6detail15normal_iteratorINSB_10device_ptrIjEEEENSD_INSE_IS6_EEEESI_S6_NSB_4plusIvEENSB_8equal_toIvEES6_EE10hipError_tPvRmT2_T3_T4_T5_mT6_T7_P12ihipStream_tbENKUlT_T0_E_clISt17integral_constantIbLb0EES13_EEDaSY_SZ_EUlSY_E_NS1_11comp_targetILNS1_3genE4ELNS1_11target_archE910ELNS1_3gpuE8ELNS1_3repE0EEENS1_30default_config_static_selectorELNS0_4arch9wavefront6targetE1EEEvT1_.kd
    .uniform_work_group_size: 1
    .uses_dynamic_stack: false
    .vgpr_count:     43
    .vgpr_spill_count: 0
    .wavefront_size: 64
  - .agpr_count:     0
    .args:
      - .offset:         0
        .size:           144
        .value_kind:     by_value
    .group_segment_fixed_size: 0
    .kernarg_segment_align: 8
    .kernarg_segment_size: 144
    .language:       OpenCL C
    .language_version:
      - 2
      - 0
    .max_flat_workgroup_size: 64
    .name:           _ZN7rocprim17ROCPRIM_400000_NS6detail17trampoline_kernelINS0_14default_configENS1_27scan_by_key_config_selectorIj11FixedVectorIiLj4EEEEZZNS1_16scan_by_key_implILNS1_25lookback_scan_determinismE0ELb1ES3_N6thrust23THRUST_200600_302600_NS6detail15normal_iteratorINSB_10device_ptrIjEEEENSD_INSE_IS6_EEEESI_S6_NSB_4plusIvEENSB_8equal_toIvEES6_EE10hipError_tPvRmT2_T3_T4_T5_mT6_T7_P12ihipStream_tbENKUlT_T0_E_clISt17integral_constantIbLb0EES13_EEDaSY_SZ_EUlSY_E_NS1_11comp_targetILNS1_3genE3ELNS1_11target_archE908ELNS1_3gpuE7ELNS1_3repE0EEENS1_30default_config_static_selectorELNS0_4arch9wavefront6targetE1EEEvT1_
    .private_segment_fixed_size: 0
    .sgpr_count:     4
    .sgpr_spill_count: 0
    .symbol:         _ZN7rocprim17ROCPRIM_400000_NS6detail17trampoline_kernelINS0_14default_configENS1_27scan_by_key_config_selectorIj11FixedVectorIiLj4EEEEZZNS1_16scan_by_key_implILNS1_25lookback_scan_determinismE0ELb1ES3_N6thrust23THRUST_200600_302600_NS6detail15normal_iteratorINSB_10device_ptrIjEEEENSD_INSE_IS6_EEEESI_S6_NSB_4plusIvEENSB_8equal_toIvEES6_EE10hipError_tPvRmT2_T3_T4_T5_mT6_T7_P12ihipStream_tbENKUlT_T0_E_clISt17integral_constantIbLb0EES13_EEDaSY_SZ_EUlSY_E_NS1_11comp_targetILNS1_3genE3ELNS1_11target_archE908ELNS1_3gpuE7ELNS1_3repE0EEENS1_30default_config_static_selectorELNS0_4arch9wavefront6targetE1EEEvT1_.kd
    .uniform_work_group_size: 1
    .uses_dynamic_stack: false
    .vgpr_count:     0
    .vgpr_spill_count: 0
    .wavefront_size: 64
  - .agpr_count:     0
    .args:
      - .offset:         0
        .size:           144
        .value_kind:     by_value
    .group_segment_fixed_size: 0
    .kernarg_segment_align: 8
    .kernarg_segment_size: 144
    .language:       OpenCL C
    .language_version:
      - 2
      - 0
    .max_flat_workgroup_size: 256
    .name:           _ZN7rocprim17ROCPRIM_400000_NS6detail17trampoline_kernelINS0_14default_configENS1_27scan_by_key_config_selectorIj11FixedVectorIiLj4EEEEZZNS1_16scan_by_key_implILNS1_25lookback_scan_determinismE0ELb1ES3_N6thrust23THRUST_200600_302600_NS6detail15normal_iteratorINSB_10device_ptrIjEEEENSD_INSE_IS6_EEEESI_S6_NSB_4plusIvEENSB_8equal_toIvEES6_EE10hipError_tPvRmT2_T3_T4_T5_mT6_T7_P12ihipStream_tbENKUlT_T0_E_clISt17integral_constantIbLb0EES13_EEDaSY_SZ_EUlSY_E_NS1_11comp_targetILNS1_3genE2ELNS1_11target_archE906ELNS1_3gpuE6ELNS1_3repE0EEENS1_30default_config_static_selectorELNS0_4arch9wavefront6targetE1EEEvT1_
    .private_segment_fixed_size: 0
    .sgpr_count:     4
    .sgpr_spill_count: 0
    .symbol:         _ZN7rocprim17ROCPRIM_400000_NS6detail17trampoline_kernelINS0_14default_configENS1_27scan_by_key_config_selectorIj11FixedVectorIiLj4EEEEZZNS1_16scan_by_key_implILNS1_25lookback_scan_determinismE0ELb1ES3_N6thrust23THRUST_200600_302600_NS6detail15normal_iteratorINSB_10device_ptrIjEEEENSD_INSE_IS6_EEEESI_S6_NSB_4plusIvEENSB_8equal_toIvEES6_EE10hipError_tPvRmT2_T3_T4_T5_mT6_T7_P12ihipStream_tbENKUlT_T0_E_clISt17integral_constantIbLb0EES13_EEDaSY_SZ_EUlSY_E_NS1_11comp_targetILNS1_3genE2ELNS1_11target_archE906ELNS1_3gpuE6ELNS1_3repE0EEENS1_30default_config_static_selectorELNS0_4arch9wavefront6targetE1EEEvT1_.kd
    .uniform_work_group_size: 1
    .uses_dynamic_stack: false
    .vgpr_count:     0
    .vgpr_spill_count: 0
    .wavefront_size: 64
  - .agpr_count:     0
    .args:
      - .offset:         0
        .size:           144
        .value_kind:     by_value
    .group_segment_fixed_size: 0
    .kernarg_segment_align: 8
    .kernarg_segment_size: 144
    .language:       OpenCL C
    .language_version:
      - 2
      - 0
    .max_flat_workgroup_size: 256
    .name:           _ZN7rocprim17ROCPRIM_400000_NS6detail17trampoline_kernelINS0_14default_configENS1_27scan_by_key_config_selectorIj11FixedVectorIiLj4EEEEZZNS1_16scan_by_key_implILNS1_25lookback_scan_determinismE0ELb1ES3_N6thrust23THRUST_200600_302600_NS6detail15normal_iteratorINSB_10device_ptrIjEEEENSD_INSE_IS6_EEEESI_S6_NSB_4plusIvEENSB_8equal_toIvEES6_EE10hipError_tPvRmT2_T3_T4_T5_mT6_T7_P12ihipStream_tbENKUlT_T0_E_clISt17integral_constantIbLb0EES13_EEDaSY_SZ_EUlSY_E_NS1_11comp_targetILNS1_3genE10ELNS1_11target_archE1200ELNS1_3gpuE4ELNS1_3repE0EEENS1_30default_config_static_selectorELNS0_4arch9wavefront6targetE1EEEvT1_
    .private_segment_fixed_size: 0
    .sgpr_count:     4
    .sgpr_spill_count: 0
    .symbol:         _ZN7rocprim17ROCPRIM_400000_NS6detail17trampoline_kernelINS0_14default_configENS1_27scan_by_key_config_selectorIj11FixedVectorIiLj4EEEEZZNS1_16scan_by_key_implILNS1_25lookback_scan_determinismE0ELb1ES3_N6thrust23THRUST_200600_302600_NS6detail15normal_iteratorINSB_10device_ptrIjEEEENSD_INSE_IS6_EEEESI_S6_NSB_4plusIvEENSB_8equal_toIvEES6_EE10hipError_tPvRmT2_T3_T4_T5_mT6_T7_P12ihipStream_tbENKUlT_T0_E_clISt17integral_constantIbLb0EES13_EEDaSY_SZ_EUlSY_E_NS1_11comp_targetILNS1_3genE10ELNS1_11target_archE1200ELNS1_3gpuE4ELNS1_3repE0EEENS1_30default_config_static_selectorELNS0_4arch9wavefront6targetE1EEEvT1_.kd
    .uniform_work_group_size: 1
    .uses_dynamic_stack: false
    .vgpr_count:     0
    .vgpr_spill_count: 0
    .wavefront_size: 64
  - .agpr_count:     0
    .args:
      - .offset:         0
        .size:           144
        .value_kind:     by_value
    .group_segment_fixed_size: 0
    .kernarg_segment_align: 8
    .kernarg_segment_size: 144
    .language:       OpenCL C
    .language_version:
      - 2
      - 0
    .max_flat_workgroup_size: 256
    .name:           _ZN7rocprim17ROCPRIM_400000_NS6detail17trampoline_kernelINS0_14default_configENS1_27scan_by_key_config_selectorIj11FixedVectorIiLj4EEEEZZNS1_16scan_by_key_implILNS1_25lookback_scan_determinismE0ELb1ES3_N6thrust23THRUST_200600_302600_NS6detail15normal_iteratorINSB_10device_ptrIjEEEENSD_INSE_IS6_EEEESI_S6_NSB_4plusIvEENSB_8equal_toIvEES6_EE10hipError_tPvRmT2_T3_T4_T5_mT6_T7_P12ihipStream_tbENKUlT_T0_E_clISt17integral_constantIbLb0EES13_EEDaSY_SZ_EUlSY_E_NS1_11comp_targetILNS1_3genE9ELNS1_11target_archE1100ELNS1_3gpuE3ELNS1_3repE0EEENS1_30default_config_static_selectorELNS0_4arch9wavefront6targetE1EEEvT1_
    .private_segment_fixed_size: 0
    .sgpr_count:     4
    .sgpr_spill_count: 0
    .symbol:         _ZN7rocprim17ROCPRIM_400000_NS6detail17trampoline_kernelINS0_14default_configENS1_27scan_by_key_config_selectorIj11FixedVectorIiLj4EEEEZZNS1_16scan_by_key_implILNS1_25lookback_scan_determinismE0ELb1ES3_N6thrust23THRUST_200600_302600_NS6detail15normal_iteratorINSB_10device_ptrIjEEEENSD_INSE_IS6_EEEESI_S6_NSB_4plusIvEENSB_8equal_toIvEES6_EE10hipError_tPvRmT2_T3_T4_T5_mT6_T7_P12ihipStream_tbENKUlT_T0_E_clISt17integral_constantIbLb0EES13_EEDaSY_SZ_EUlSY_E_NS1_11comp_targetILNS1_3genE9ELNS1_11target_archE1100ELNS1_3gpuE3ELNS1_3repE0EEENS1_30default_config_static_selectorELNS0_4arch9wavefront6targetE1EEEvT1_.kd
    .uniform_work_group_size: 1
    .uses_dynamic_stack: false
    .vgpr_count:     0
    .vgpr_spill_count: 0
    .wavefront_size: 64
  - .agpr_count:     0
    .args:
      - .offset:         0
        .size:           144
        .value_kind:     by_value
    .group_segment_fixed_size: 0
    .kernarg_segment_align: 8
    .kernarg_segment_size: 144
    .language:       OpenCL C
    .language_version:
      - 2
      - 0
    .max_flat_workgroup_size: 256
    .name:           _ZN7rocprim17ROCPRIM_400000_NS6detail17trampoline_kernelINS0_14default_configENS1_27scan_by_key_config_selectorIj11FixedVectorIiLj4EEEEZZNS1_16scan_by_key_implILNS1_25lookback_scan_determinismE0ELb1ES3_N6thrust23THRUST_200600_302600_NS6detail15normal_iteratorINSB_10device_ptrIjEEEENSD_INSE_IS6_EEEESI_S6_NSB_4plusIvEENSB_8equal_toIvEES6_EE10hipError_tPvRmT2_T3_T4_T5_mT6_T7_P12ihipStream_tbENKUlT_T0_E_clISt17integral_constantIbLb0EES13_EEDaSY_SZ_EUlSY_E_NS1_11comp_targetILNS1_3genE8ELNS1_11target_archE1030ELNS1_3gpuE2ELNS1_3repE0EEENS1_30default_config_static_selectorELNS0_4arch9wavefront6targetE1EEEvT1_
    .private_segment_fixed_size: 0
    .sgpr_count:     4
    .sgpr_spill_count: 0
    .symbol:         _ZN7rocprim17ROCPRIM_400000_NS6detail17trampoline_kernelINS0_14default_configENS1_27scan_by_key_config_selectorIj11FixedVectorIiLj4EEEEZZNS1_16scan_by_key_implILNS1_25lookback_scan_determinismE0ELb1ES3_N6thrust23THRUST_200600_302600_NS6detail15normal_iteratorINSB_10device_ptrIjEEEENSD_INSE_IS6_EEEESI_S6_NSB_4plusIvEENSB_8equal_toIvEES6_EE10hipError_tPvRmT2_T3_T4_T5_mT6_T7_P12ihipStream_tbENKUlT_T0_E_clISt17integral_constantIbLb0EES13_EEDaSY_SZ_EUlSY_E_NS1_11comp_targetILNS1_3genE8ELNS1_11target_archE1030ELNS1_3gpuE2ELNS1_3repE0EEENS1_30default_config_static_selectorELNS0_4arch9wavefront6targetE1EEEvT1_.kd
    .uniform_work_group_size: 1
    .uses_dynamic_stack: false
    .vgpr_count:     0
    .vgpr_spill_count: 0
    .wavefront_size: 64
  - .agpr_count:     0
    .args:
      - .offset:         0
        .size:           144
        .value_kind:     by_value
    .group_segment_fixed_size: 0
    .kernarg_segment_align: 8
    .kernarg_segment_size: 144
    .language:       OpenCL C
    .language_version:
      - 2
      - 0
    .max_flat_workgroup_size: 64
    .name:           _ZN7rocprim17ROCPRIM_400000_NS6detail17trampoline_kernelINS0_14default_configENS1_27scan_by_key_config_selectorIj11FixedVectorIiLj4EEEEZZNS1_16scan_by_key_implILNS1_25lookback_scan_determinismE0ELb1ES3_N6thrust23THRUST_200600_302600_NS6detail15normal_iteratorINSB_10device_ptrIjEEEENSD_INSE_IS6_EEEESI_S6_NSB_4plusIvEENSB_8equal_toIvEES6_EE10hipError_tPvRmT2_T3_T4_T5_mT6_T7_P12ihipStream_tbENKUlT_T0_E_clISt17integral_constantIbLb1EES13_EEDaSY_SZ_EUlSY_E_NS1_11comp_targetILNS1_3genE0ELNS1_11target_archE4294967295ELNS1_3gpuE0ELNS1_3repE0EEENS1_30default_config_static_selectorELNS0_4arch9wavefront6targetE1EEEvT1_
    .private_segment_fixed_size: 0
    .sgpr_count:     4
    .sgpr_spill_count: 0
    .symbol:         _ZN7rocprim17ROCPRIM_400000_NS6detail17trampoline_kernelINS0_14default_configENS1_27scan_by_key_config_selectorIj11FixedVectorIiLj4EEEEZZNS1_16scan_by_key_implILNS1_25lookback_scan_determinismE0ELb1ES3_N6thrust23THRUST_200600_302600_NS6detail15normal_iteratorINSB_10device_ptrIjEEEENSD_INSE_IS6_EEEESI_S6_NSB_4plusIvEENSB_8equal_toIvEES6_EE10hipError_tPvRmT2_T3_T4_T5_mT6_T7_P12ihipStream_tbENKUlT_T0_E_clISt17integral_constantIbLb1EES13_EEDaSY_SZ_EUlSY_E_NS1_11comp_targetILNS1_3genE0ELNS1_11target_archE4294967295ELNS1_3gpuE0ELNS1_3repE0EEENS1_30default_config_static_selectorELNS0_4arch9wavefront6targetE1EEEvT1_.kd
    .uniform_work_group_size: 1
    .uses_dynamic_stack: false
    .vgpr_count:     0
    .vgpr_spill_count: 0
    .wavefront_size: 64
  - .agpr_count:     0
    .args:
      - .offset:         0
        .size:           144
        .value_kind:     by_value
    .group_segment_fixed_size: 0
    .kernarg_segment_align: 8
    .kernarg_segment_size: 144
    .language:       OpenCL C
    .language_version:
      - 2
      - 0
    .max_flat_workgroup_size: 256
    .name:           _ZN7rocprim17ROCPRIM_400000_NS6detail17trampoline_kernelINS0_14default_configENS1_27scan_by_key_config_selectorIj11FixedVectorIiLj4EEEEZZNS1_16scan_by_key_implILNS1_25lookback_scan_determinismE0ELb1ES3_N6thrust23THRUST_200600_302600_NS6detail15normal_iteratorINSB_10device_ptrIjEEEENSD_INSE_IS6_EEEESI_S6_NSB_4plusIvEENSB_8equal_toIvEES6_EE10hipError_tPvRmT2_T3_T4_T5_mT6_T7_P12ihipStream_tbENKUlT_T0_E_clISt17integral_constantIbLb1EES13_EEDaSY_SZ_EUlSY_E_NS1_11comp_targetILNS1_3genE10ELNS1_11target_archE1201ELNS1_3gpuE5ELNS1_3repE0EEENS1_30default_config_static_selectorELNS0_4arch9wavefront6targetE1EEEvT1_
    .private_segment_fixed_size: 0
    .sgpr_count:     4
    .sgpr_spill_count: 0
    .symbol:         _ZN7rocprim17ROCPRIM_400000_NS6detail17trampoline_kernelINS0_14default_configENS1_27scan_by_key_config_selectorIj11FixedVectorIiLj4EEEEZZNS1_16scan_by_key_implILNS1_25lookback_scan_determinismE0ELb1ES3_N6thrust23THRUST_200600_302600_NS6detail15normal_iteratorINSB_10device_ptrIjEEEENSD_INSE_IS6_EEEESI_S6_NSB_4plusIvEENSB_8equal_toIvEES6_EE10hipError_tPvRmT2_T3_T4_T5_mT6_T7_P12ihipStream_tbENKUlT_T0_E_clISt17integral_constantIbLb1EES13_EEDaSY_SZ_EUlSY_E_NS1_11comp_targetILNS1_3genE10ELNS1_11target_archE1201ELNS1_3gpuE5ELNS1_3repE0EEENS1_30default_config_static_selectorELNS0_4arch9wavefront6targetE1EEEvT1_.kd
    .uniform_work_group_size: 1
    .uses_dynamic_stack: false
    .vgpr_count:     0
    .vgpr_spill_count: 0
    .wavefront_size: 64
  - .agpr_count:     0
    .args:
      - .offset:         0
        .size:           144
        .value_kind:     by_value
    .group_segment_fixed_size: 0
    .kernarg_segment_align: 8
    .kernarg_segment_size: 144
    .language:       OpenCL C
    .language_version:
      - 2
      - 0
    .max_flat_workgroup_size: 128
    .name:           _ZN7rocprim17ROCPRIM_400000_NS6detail17trampoline_kernelINS0_14default_configENS1_27scan_by_key_config_selectorIj11FixedVectorIiLj4EEEEZZNS1_16scan_by_key_implILNS1_25lookback_scan_determinismE0ELb1ES3_N6thrust23THRUST_200600_302600_NS6detail15normal_iteratorINSB_10device_ptrIjEEEENSD_INSE_IS6_EEEESI_S6_NSB_4plusIvEENSB_8equal_toIvEES6_EE10hipError_tPvRmT2_T3_T4_T5_mT6_T7_P12ihipStream_tbENKUlT_T0_E_clISt17integral_constantIbLb1EES13_EEDaSY_SZ_EUlSY_E_NS1_11comp_targetILNS1_3genE5ELNS1_11target_archE942ELNS1_3gpuE9ELNS1_3repE0EEENS1_30default_config_static_selectorELNS0_4arch9wavefront6targetE1EEEvT1_
    .private_segment_fixed_size: 0
    .sgpr_count:     4
    .sgpr_spill_count: 0
    .symbol:         _ZN7rocprim17ROCPRIM_400000_NS6detail17trampoline_kernelINS0_14default_configENS1_27scan_by_key_config_selectorIj11FixedVectorIiLj4EEEEZZNS1_16scan_by_key_implILNS1_25lookback_scan_determinismE0ELb1ES3_N6thrust23THRUST_200600_302600_NS6detail15normal_iteratorINSB_10device_ptrIjEEEENSD_INSE_IS6_EEEESI_S6_NSB_4plusIvEENSB_8equal_toIvEES6_EE10hipError_tPvRmT2_T3_T4_T5_mT6_T7_P12ihipStream_tbENKUlT_T0_E_clISt17integral_constantIbLb1EES13_EEDaSY_SZ_EUlSY_E_NS1_11comp_targetILNS1_3genE5ELNS1_11target_archE942ELNS1_3gpuE9ELNS1_3repE0EEENS1_30default_config_static_selectorELNS0_4arch9wavefront6targetE1EEEvT1_.kd
    .uniform_work_group_size: 1
    .uses_dynamic_stack: false
    .vgpr_count:     0
    .vgpr_spill_count: 0
    .wavefront_size: 64
  - .agpr_count:     0
    .args:
      - .offset:         0
        .size:           144
        .value_kind:     by_value
    .group_segment_fixed_size: 20480
    .kernarg_segment_align: 8
    .kernarg_segment_size: 144
    .language:       OpenCL C
    .language_version:
      - 2
      - 0
    .max_flat_workgroup_size: 256
    .name:           _ZN7rocprim17ROCPRIM_400000_NS6detail17trampoline_kernelINS0_14default_configENS1_27scan_by_key_config_selectorIj11FixedVectorIiLj4EEEEZZNS1_16scan_by_key_implILNS1_25lookback_scan_determinismE0ELb1ES3_N6thrust23THRUST_200600_302600_NS6detail15normal_iteratorINSB_10device_ptrIjEEEENSD_INSE_IS6_EEEESI_S6_NSB_4plusIvEENSB_8equal_toIvEES6_EE10hipError_tPvRmT2_T3_T4_T5_mT6_T7_P12ihipStream_tbENKUlT_T0_E_clISt17integral_constantIbLb1EES13_EEDaSY_SZ_EUlSY_E_NS1_11comp_targetILNS1_3genE4ELNS1_11target_archE910ELNS1_3gpuE8ELNS1_3repE0EEENS1_30default_config_static_selectorELNS0_4arch9wavefront6targetE1EEEvT1_
    .private_segment_fixed_size: 320
    .sgpr_count:     59
    .sgpr_spill_count: 0
    .symbol:         _ZN7rocprim17ROCPRIM_400000_NS6detail17trampoline_kernelINS0_14default_configENS1_27scan_by_key_config_selectorIj11FixedVectorIiLj4EEEEZZNS1_16scan_by_key_implILNS1_25lookback_scan_determinismE0ELb1ES3_N6thrust23THRUST_200600_302600_NS6detail15normal_iteratorINSB_10device_ptrIjEEEENSD_INSE_IS6_EEEESI_S6_NSB_4plusIvEENSB_8equal_toIvEES6_EE10hipError_tPvRmT2_T3_T4_T5_mT6_T7_P12ihipStream_tbENKUlT_T0_E_clISt17integral_constantIbLb1EES13_EEDaSY_SZ_EUlSY_E_NS1_11comp_targetILNS1_3genE4ELNS1_11target_archE910ELNS1_3gpuE8ELNS1_3repE0EEENS1_30default_config_static_selectorELNS0_4arch9wavefront6targetE1EEEvT1_.kd
    .uniform_work_group_size: 1
    .uses_dynamic_stack: false
    .vgpr_count:     43
    .vgpr_spill_count: 0
    .wavefront_size: 64
  - .agpr_count:     0
    .args:
      - .offset:         0
        .size:           144
        .value_kind:     by_value
    .group_segment_fixed_size: 0
    .kernarg_segment_align: 8
    .kernarg_segment_size: 144
    .language:       OpenCL C
    .language_version:
      - 2
      - 0
    .max_flat_workgroup_size: 64
    .name:           _ZN7rocprim17ROCPRIM_400000_NS6detail17trampoline_kernelINS0_14default_configENS1_27scan_by_key_config_selectorIj11FixedVectorIiLj4EEEEZZNS1_16scan_by_key_implILNS1_25lookback_scan_determinismE0ELb1ES3_N6thrust23THRUST_200600_302600_NS6detail15normal_iteratorINSB_10device_ptrIjEEEENSD_INSE_IS6_EEEESI_S6_NSB_4plusIvEENSB_8equal_toIvEES6_EE10hipError_tPvRmT2_T3_T4_T5_mT6_T7_P12ihipStream_tbENKUlT_T0_E_clISt17integral_constantIbLb1EES13_EEDaSY_SZ_EUlSY_E_NS1_11comp_targetILNS1_3genE3ELNS1_11target_archE908ELNS1_3gpuE7ELNS1_3repE0EEENS1_30default_config_static_selectorELNS0_4arch9wavefront6targetE1EEEvT1_
    .private_segment_fixed_size: 0
    .sgpr_count:     4
    .sgpr_spill_count: 0
    .symbol:         _ZN7rocprim17ROCPRIM_400000_NS6detail17trampoline_kernelINS0_14default_configENS1_27scan_by_key_config_selectorIj11FixedVectorIiLj4EEEEZZNS1_16scan_by_key_implILNS1_25lookback_scan_determinismE0ELb1ES3_N6thrust23THRUST_200600_302600_NS6detail15normal_iteratorINSB_10device_ptrIjEEEENSD_INSE_IS6_EEEESI_S6_NSB_4plusIvEENSB_8equal_toIvEES6_EE10hipError_tPvRmT2_T3_T4_T5_mT6_T7_P12ihipStream_tbENKUlT_T0_E_clISt17integral_constantIbLb1EES13_EEDaSY_SZ_EUlSY_E_NS1_11comp_targetILNS1_3genE3ELNS1_11target_archE908ELNS1_3gpuE7ELNS1_3repE0EEENS1_30default_config_static_selectorELNS0_4arch9wavefront6targetE1EEEvT1_.kd
    .uniform_work_group_size: 1
    .uses_dynamic_stack: false
    .vgpr_count:     0
    .vgpr_spill_count: 0
    .wavefront_size: 64
  - .agpr_count:     0
    .args:
      - .offset:         0
        .size:           144
        .value_kind:     by_value
    .group_segment_fixed_size: 0
    .kernarg_segment_align: 8
    .kernarg_segment_size: 144
    .language:       OpenCL C
    .language_version:
      - 2
      - 0
    .max_flat_workgroup_size: 256
    .name:           _ZN7rocprim17ROCPRIM_400000_NS6detail17trampoline_kernelINS0_14default_configENS1_27scan_by_key_config_selectorIj11FixedVectorIiLj4EEEEZZNS1_16scan_by_key_implILNS1_25lookback_scan_determinismE0ELb1ES3_N6thrust23THRUST_200600_302600_NS6detail15normal_iteratorINSB_10device_ptrIjEEEENSD_INSE_IS6_EEEESI_S6_NSB_4plusIvEENSB_8equal_toIvEES6_EE10hipError_tPvRmT2_T3_T4_T5_mT6_T7_P12ihipStream_tbENKUlT_T0_E_clISt17integral_constantIbLb1EES13_EEDaSY_SZ_EUlSY_E_NS1_11comp_targetILNS1_3genE2ELNS1_11target_archE906ELNS1_3gpuE6ELNS1_3repE0EEENS1_30default_config_static_selectorELNS0_4arch9wavefront6targetE1EEEvT1_
    .private_segment_fixed_size: 0
    .sgpr_count:     4
    .sgpr_spill_count: 0
    .symbol:         _ZN7rocprim17ROCPRIM_400000_NS6detail17trampoline_kernelINS0_14default_configENS1_27scan_by_key_config_selectorIj11FixedVectorIiLj4EEEEZZNS1_16scan_by_key_implILNS1_25lookback_scan_determinismE0ELb1ES3_N6thrust23THRUST_200600_302600_NS6detail15normal_iteratorINSB_10device_ptrIjEEEENSD_INSE_IS6_EEEESI_S6_NSB_4plusIvEENSB_8equal_toIvEES6_EE10hipError_tPvRmT2_T3_T4_T5_mT6_T7_P12ihipStream_tbENKUlT_T0_E_clISt17integral_constantIbLb1EES13_EEDaSY_SZ_EUlSY_E_NS1_11comp_targetILNS1_3genE2ELNS1_11target_archE906ELNS1_3gpuE6ELNS1_3repE0EEENS1_30default_config_static_selectorELNS0_4arch9wavefront6targetE1EEEvT1_.kd
    .uniform_work_group_size: 1
    .uses_dynamic_stack: false
    .vgpr_count:     0
    .vgpr_spill_count: 0
    .wavefront_size: 64
  - .agpr_count:     0
    .args:
      - .offset:         0
        .size:           144
        .value_kind:     by_value
    .group_segment_fixed_size: 0
    .kernarg_segment_align: 8
    .kernarg_segment_size: 144
    .language:       OpenCL C
    .language_version:
      - 2
      - 0
    .max_flat_workgroup_size: 256
    .name:           _ZN7rocprim17ROCPRIM_400000_NS6detail17trampoline_kernelINS0_14default_configENS1_27scan_by_key_config_selectorIj11FixedVectorIiLj4EEEEZZNS1_16scan_by_key_implILNS1_25lookback_scan_determinismE0ELb1ES3_N6thrust23THRUST_200600_302600_NS6detail15normal_iteratorINSB_10device_ptrIjEEEENSD_INSE_IS6_EEEESI_S6_NSB_4plusIvEENSB_8equal_toIvEES6_EE10hipError_tPvRmT2_T3_T4_T5_mT6_T7_P12ihipStream_tbENKUlT_T0_E_clISt17integral_constantIbLb1EES13_EEDaSY_SZ_EUlSY_E_NS1_11comp_targetILNS1_3genE10ELNS1_11target_archE1200ELNS1_3gpuE4ELNS1_3repE0EEENS1_30default_config_static_selectorELNS0_4arch9wavefront6targetE1EEEvT1_
    .private_segment_fixed_size: 0
    .sgpr_count:     4
    .sgpr_spill_count: 0
    .symbol:         _ZN7rocprim17ROCPRIM_400000_NS6detail17trampoline_kernelINS0_14default_configENS1_27scan_by_key_config_selectorIj11FixedVectorIiLj4EEEEZZNS1_16scan_by_key_implILNS1_25lookback_scan_determinismE0ELb1ES3_N6thrust23THRUST_200600_302600_NS6detail15normal_iteratorINSB_10device_ptrIjEEEENSD_INSE_IS6_EEEESI_S6_NSB_4plusIvEENSB_8equal_toIvEES6_EE10hipError_tPvRmT2_T3_T4_T5_mT6_T7_P12ihipStream_tbENKUlT_T0_E_clISt17integral_constantIbLb1EES13_EEDaSY_SZ_EUlSY_E_NS1_11comp_targetILNS1_3genE10ELNS1_11target_archE1200ELNS1_3gpuE4ELNS1_3repE0EEENS1_30default_config_static_selectorELNS0_4arch9wavefront6targetE1EEEvT1_.kd
    .uniform_work_group_size: 1
    .uses_dynamic_stack: false
    .vgpr_count:     0
    .vgpr_spill_count: 0
    .wavefront_size: 64
  - .agpr_count:     0
    .args:
      - .offset:         0
        .size:           144
        .value_kind:     by_value
    .group_segment_fixed_size: 0
    .kernarg_segment_align: 8
    .kernarg_segment_size: 144
    .language:       OpenCL C
    .language_version:
      - 2
      - 0
    .max_flat_workgroup_size: 256
    .name:           _ZN7rocprim17ROCPRIM_400000_NS6detail17trampoline_kernelINS0_14default_configENS1_27scan_by_key_config_selectorIj11FixedVectorIiLj4EEEEZZNS1_16scan_by_key_implILNS1_25lookback_scan_determinismE0ELb1ES3_N6thrust23THRUST_200600_302600_NS6detail15normal_iteratorINSB_10device_ptrIjEEEENSD_INSE_IS6_EEEESI_S6_NSB_4plusIvEENSB_8equal_toIvEES6_EE10hipError_tPvRmT2_T3_T4_T5_mT6_T7_P12ihipStream_tbENKUlT_T0_E_clISt17integral_constantIbLb1EES13_EEDaSY_SZ_EUlSY_E_NS1_11comp_targetILNS1_3genE9ELNS1_11target_archE1100ELNS1_3gpuE3ELNS1_3repE0EEENS1_30default_config_static_selectorELNS0_4arch9wavefront6targetE1EEEvT1_
    .private_segment_fixed_size: 0
    .sgpr_count:     4
    .sgpr_spill_count: 0
    .symbol:         _ZN7rocprim17ROCPRIM_400000_NS6detail17trampoline_kernelINS0_14default_configENS1_27scan_by_key_config_selectorIj11FixedVectorIiLj4EEEEZZNS1_16scan_by_key_implILNS1_25lookback_scan_determinismE0ELb1ES3_N6thrust23THRUST_200600_302600_NS6detail15normal_iteratorINSB_10device_ptrIjEEEENSD_INSE_IS6_EEEESI_S6_NSB_4plusIvEENSB_8equal_toIvEES6_EE10hipError_tPvRmT2_T3_T4_T5_mT6_T7_P12ihipStream_tbENKUlT_T0_E_clISt17integral_constantIbLb1EES13_EEDaSY_SZ_EUlSY_E_NS1_11comp_targetILNS1_3genE9ELNS1_11target_archE1100ELNS1_3gpuE3ELNS1_3repE0EEENS1_30default_config_static_selectorELNS0_4arch9wavefront6targetE1EEEvT1_.kd
    .uniform_work_group_size: 1
    .uses_dynamic_stack: false
    .vgpr_count:     0
    .vgpr_spill_count: 0
    .wavefront_size: 64
  - .agpr_count:     0
    .args:
      - .offset:         0
        .size:           144
        .value_kind:     by_value
    .group_segment_fixed_size: 0
    .kernarg_segment_align: 8
    .kernarg_segment_size: 144
    .language:       OpenCL C
    .language_version:
      - 2
      - 0
    .max_flat_workgroup_size: 256
    .name:           _ZN7rocprim17ROCPRIM_400000_NS6detail17trampoline_kernelINS0_14default_configENS1_27scan_by_key_config_selectorIj11FixedVectorIiLj4EEEEZZNS1_16scan_by_key_implILNS1_25lookback_scan_determinismE0ELb1ES3_N6thrust23THRUST_200600_302600_NS6detail15normal_iteratorINSB_10device_ptrIjEEEENSD_INSE_IS6_EEEESI_S6_NSB_4plusIvEENSB_8equal_toIvEES6_EE10hipError_tPvRmT2_T3_T4_T5_mT6_T7_P12ihipStream_tbENKUlT_T0_E_clISt17integral_constantIbLb1EES13_EEDaSY_SZ_EUlSY_E_NS1_11comp_targetILNS1_3genE8ELNS1_11target_archE1030ELNS1_3gpuE2ELNS1_3repE0EEENS1_30default_config_static_selectorELNS0_4arch9wavefront6targetE1EEEvT1_
    .private_segment_fixed_size: 0
    .sgpr_count:     4
    .sgpr_spill_count: 0
    .symbol:         _ZN7rocprim17ROCPRIM_400000_NS6detail17trampoline_kernelINS0_14default_configENS1_27scan_by_key_config_selectorIj11FixedVectorIiLj4EEEEZZNS1_16scan_by_key_implILNS1_25lookback_scan_determinismE0ELb1ES3_N6thrust23THRUST_200600_302600_NS6detail15normal_iteratorINSB_10device_ptrIjEEEENSD_INSE_IS6_EEEESI_S6_NSB_4plusIvEENSB_8equal_toIvEES6_EE10hipError_tPvRmT2_T3_T4_T5_mT6_T7_P12ihipStream_tbENKUlT_T0_E_clISt17integral_constantIbLb1EES13_EEDaSY_SZ_EUlSY_E_NS1_11comp_targetILNS1_3genE8ELNS1_11target_archE1030ELNS1_3gpuE2ELNS1_3repE0EEENS1_30default_config_static_selectorELNS0_4arch9wavefront6targetE1EEEvT1_.kd
    .uniform_work_group_size: 1
    .uses_dynamic_stack: false
    .vgpr_count:     0
    .vgpr_spill_count: 0
    .wavefront_size: 64
  - .agpr_count:     0
    .args:
      - .offset:         0
        .size:           144
        .value_kind:     by_value
    .group_segment_fixed_size: 0
    .kernarg_segment_align: 8
    .kernarg_segment_size: 144
    .language:       OpenCL C
    .language_version:
      - 2
      - 0
    .max_flat_workgroup_size: 64
    .name:           _ZN7rocprim17ROCPRIM_400000_NS6detail17trampoline_kernelINS0_14default_configENS1_27scan_by_key_config_selectorIj11FixedVectorIiLj4EEEEZZNS1_16scan_by_key_implILNS1_25lookback_scan_determinismE0ELb1ES3_N6thrust23THRUST_200600_302600_NS6detail15normal_iteratorINSB_10device_ptrIjEEEENSD_INSE_IS6_EEEESI_S6_NSB_4plusIvEENSB_8equal_toIvEES6_EE10hipError_tPvRmT2_T3_T4_T5_mT6_T7_P12ihipStream_tbENKUlT_T0_E_clISt17integral_constantIbLb1EES12_IbLb0EEEEDaSY_SZ_EUlSY_E_NS1_11comp_targetILNS1_3genE0ELNS1_11target_archE4294967295ELNS1_3gpuE0ELNS1_3repE0EEENS1_30default_config_static_selectorELNS0_4arch9wavefront6targetE1EEEvT1_
    .private_segment_fixed_size: 0
    .sgpr_count:     4
    .sgpr_spill_count: 0
    .symbol:         _ZN7rocprim17ROCPRIM_400000_NS6detail17trampoline_kernelINS0_14default_configENS1_27scan_by_key_config_selectorIj11FixedVectorIiLj4EEEEZZNS1_16scan_by_key_implILNS1_25lookback_scan_determinismE0ELb1ES3_N6thrust23THRUST_200600_302600_NS6detail15normal_iteratorINSB_10device_ptrIjEEEENSD_INSE_IS6_EEEESI_S6_NSB_4plusIvEENSB_8equal_toIvEES6_EE10hipError_tPvRmT2_T3_T4_T5_mT6_T7_P12ihipStream_tbENKUlT_T0_E_clISt17integral_constantIbLb1EES12_IbLb0EEEEDaSY_SZ_EUlSY_E_NS1_11comp_targetILNS1_3genE0ELNS1_11target_archE4294967295ELNS1_3gpuE0ELNS1_3repE0EEENS1_30default_config_static_selectorELNS0_4arch9wavefront6targetE1EEEvT1_.kd
    .uniform_work_group_size: 1
    .uses_dynamic_stack: false
    .vgpr_count:     0
    .vgpr_spill_count: 0
    .wavefront_size: 64
  - .agpr_count:     0
    .args:
      - .offset:         0
        .size:           144
        .value_kind:     by_value
    .group_segment_fixed_size: 0
    .kernarg_segment_align: 8
    .kernarg_segment_size: 144
    .language:       OpenCL C
    .language_version:
      - 2
      - 0
    .max_flat_workgroup_size: 256
    .name:           _ZN7rocprim17ROCPRIM_400000_NS6detail17trampoline_kernelINS0_14default_configENS1_27scan_by_key_config_selectorIj11FixedVectorIiLj4EEEEZZNS1_16scan_by_key_implILNS1_25lookback_scan_determinismE0ELb1ES3_N6thrust23THRUST_200600_302600_NS6detail15normal_iteratorINSB_10device_ptrIjEEEENSD_INSE_IS6_EEEESI_S6_NSB_4plusIvEENSB_8equal_toIvEES6_EE10hipError_tPvRmT2_T3_T4_T5_mT6_T7_P12ihipStream_tbENKUlT_T0_E_clISt17integral_constantIbLb1EES12_IbLb0EEEEDaSY_SZ_EUlSY_E_NS1_11comp_targetILNS1_3genE10ELNS1_11target_archE1201ELNS1_3gpuE5ELNS1_3repE0EEENS1_30default_config_static_selectorELNS0_4arch9wavefront6targetE1EEEvT1_
    .private_segment_fixed_size: 0
    .sgpr_count:     4
    .sgpr_spill_count: 0
    .symbol:         _ZN7rocprim17ROCPRIM_400000_NS6detail17trampoline_kernelINS0_14default_configENS1_27scan_by_key_config_selectorIj11FixedVectorIiLj4EEEEZZNS1_16scan_by_key_implILNS1_25lookback_scan_determinismE0ELb1ES3_N6thrust23THRUST_200600_302600_NS6detail15normal_iteratorINSB_10device_ptrIjEEEENSD_INSE_IS6_EEEESI_S6_NSB_4plusIvEENSB_8equal_toIvEES6_EE10hipError_tPvRmT2_T3_T4_T5_mT6_T7_P12ihipStream_tbENKUlT_T0_E_clISt17integral_constantIbLb1EES12_IbLb0EEEEDaSY_SZ_EUlSY_E_NS1_11comp_targetILNS1_3genE10ELNS1_11target_archE1201ELNS1_3gpuE5ELNS1_3repE0EEENS1_30default_config_static_selectorELNS0_4arch9wavefront6targetE1EEEvT1_.kd
    .uniform_work_group_size: 1
    .uses_dynamic_stack: false
    .vgpr_count:     0
    .vgpr_spill_count: 0
    .wavefront_size: 64
  - .agpr_count:     0
    .args:
      - .offset:         0
        .size:           144
        .value_kind:     by_value
    .group_segment_fixed_size: 0
    .kernarg_segment_align: 8
    .kernarg_segment_size: 144
    .language:       OpenCL C
    .language_version:
      - 2
      - 0
    .max_flat_workgroup_size: 128
    .name:           _ZN7rocprim17ROCPRIM_400000_NS6detail17trampoline_kernelINS0_14default_configENS1_27scan_by_key_config_selectorIj11FixedVectorIiLj4EEEEZZNS1_16scan_by_key_implILNS1_25lookback_scan_determinismE0ELb1ES3_N6thrust23THRUST_200600_302600_NS6detail15normal_iteratorINSB_10device_ptrIjEEEENSD_INSE_IS6_EEEESI_S6_NSB_4plusIvEENSB_8equal_toIvEES6_EE10hipError_tPvRmT2_T3_T4_T5_mT6_T7_P12ihipStream_tbENKUlT_T0_E_clISt17integral_constantIbLb1EES12_IbLb0EEEEDaSY_SZ_EUlSY_E_NS1_11comp_targetILNS1_3genE5ELNS1_11target_archE942ELNS1_3gpuE9ELNS1_3repE0EEENS1_30default_config_static_selectorELNS0_4arch9wavefront6targetE1EEEvT1_
    .private_segment_fixed_size: 0
    .sgpr_count:     4
    .sgpr_spill_count: 0
    .symbol:         _ZN7rocprim17ROCPRIM_400000_NS6detail17trampoline_kernelINS0_14default_configENS1_27scan_by_key_config_selectorIj11FixedVectorIiLj4EEEEZZNS1_16scan_by_key_implILNS1_25lookback_scan_determinismE0ELb1ES3_N6thrust23THRUST_200600_302600_NS6detail15normal_iteratorINSB_10device_ptrIjEEEENSD_INSE_IS6_EEEESI_S6_NSB_4plusIvEENSB_8equal_toIvEES6_EE10hipError_tPvRmT2_T3_T4_T5_mT6_T7_P12ihipStream_tbENKUlT_T0_E_clISt17integral_constantIbLb1EES12_IbLb0EEEEDaSY_SZ_EUlSY_E_NS1_11comp_targetILNS1_3genE5ELNS1_11target_archE942ELNS1_3gpuE9ELNS1_3repE0EEENS1_30default_config_static_selectorELNS0_4arch9wavefront6targetE1EEEvT1_.kd
    .uniform_work_group_size: 1
    .uses_dynamic_stack: false
    .vgpr_count:     0
    .vgpr_spill_count: 0
    .wavefront_size: 64
  - .agpr_count:     0
    .args:
      - .offset:         0
        .size:           144
        .value_kind:     by_value
    .group_segment_fixed_size: 20480
    .kernarg_segment_align: 8
    .kernarg_segment_size: 144
    .language:       OpenCL C
    .language_version:
      - 2
      - 0
    .max_flat_workgroup_size: 256
    .name:           _ZN7rocprim17ROCPRIM_400000_NS6detail17trampoline_kernelINS0_14default_configENS1_27scan_by_key_config_selectorIj11FixedVectorIiLj4EEEEZZNS1_16scan_by_key_implILNS1_25lookback_scan_determinismE0ELb1ES3_N6thrust23THRUST_200600_302600_NS6detail15normal_iteratorINSB_10device_ptrIjEEEENSD_INSE_IS6_EEEESI_S6_NSB_4plusIvEENSB_8equal_toIvEES6_EE10hipError_tPvRmT2_T3_T4_T5_mT6_T7_P12ihipStream_tbENKUlT_T0_E_clISt17integral_constantIbLb1EES12_IbLb0EEEEDaSY_SZ_EUlSY_E_NS1_11comp_targetILNS1_3genE4ELNS1_11target_archE910ELNS1_3gpuE8ELNS1_3repE0EEENS1_30default_config_static_selectorELNS0_4arch9wavefront6targetE1EEEvT1_
    .private_segment_fixed_size: 320
    .sgpr_count:     55
    .sgpr_spill_count: 0
    .symbol:         _ZN7rocprim17ROCPRIM_400000_NS6detail17trampoline_kernelINS0_14default_configENS1_27scan_by_key_config_selectorIj11FixedVectorIiLj4EEEEZZNS1_16scan_by_key_implILNS1_25lookback_scan_determinismE0ELb1ES3_N6thrust23THRUST_200600_302600_NS6detail15normal_iteratorINSB_10device_ptrIjEEEENSD_INSE_IS6_EEEESI_S6_NSB_4plusIvEENSB_8equal_toIvEES6_EE10hipError_tPvRmT2_T3_T4_T5_mT6_T7_P12ihipStream_tbENKUlT_T0_E_clISt17integral_constantIbLb1EES12_IbLb0EEEEDaSY_SZ_EUlSY_E_NS1_11comp_targetILNS1_3genE4ELNS1_11target_archE910ELNS1_3gpuE8ELNS1_3repE0EEENS1_30default_config_static_selectorELNS0_4arch9wavefront6targetE1EEEvT1_.kd
    .uniform_work_group_size: 1
    .uses_dynamic_stack: false
    .vgpr_count:     43
    .vgpr_spill_count: 0
    .wavefront_size: 64
  - .agpr_count:     0
    .args:
      - .offset:         0
        .size:           144
        .value_kind:     by_value
    .group_segment_fixed_size: 0
    .kernarg_segment_align: 8
    .kernarg_segment_size: 144
    .language:       OpenCL C
    .language_version:
      - 2
      - 0
    .max_flat_workgroup_size: 64
    .name:           _ZN7rocprim17ROCPRIM_400000_NS6detail17trampoline_kernelINS0_14default_configENS1_27scan_by_key_config_selectorIj11FixedVectorIiLj4EEEEZZNS1_16scan_by_key_implILNS1_25lookback_scan_determinismE0ELb1ES3_N6thrust23THRUST_200600_302600_NS6detail15normal_iteratorINSB_10device_ptrIjEEEENSD_INSE_IS6_EEEESI_S6_NSB_4plusIvEENSB_8equal_toIvEES6_EE10hipError_tPvRmT2_T3_T4_T5_mT6_T7_P12ihipStream_tbENKUlT_T0_E_clISt17integral_constantIbLb1EES12_IbLb0EEEEDaSY_SZ_EUlSY_E_NS1_11comp_targetILNS1_3genE3ELNS1_11target_archE908ELNS1_3gpuE7ELNS1_3repE0EEENS1_30default_config_static_selectorELNS0_4arch9wavefront6targetE1EEEvT1_
    .private_segment_fixed_size: 0
    .sgpr_count:     4
    .sgpr_spill_count: 0
    .symbol:         _ZN7rocprim17ROCPRIM_400000_NS6detail17trampoline_kernelINS0_14default_configENS1_27scan_by_key_config_selectorIj11FixedVectorIiLj4EEEEZZNS1_16scan_by_key_implILNS1_25lookback_scan_determinismE0ELb1ES3_N6thrust23THRUST_200600_302600_NS6detail15normal_iteratorINSB_10device_ptrIjEEEENSD_INSE_IS6_EEEESI_S6_NSB_4plusIvEENSB_8equal_toIvEES6_EE10hipError_tPvRmT2_T3_T4_T5_mT6_T7_P12ihipStream_tbENKUlT_T0_E_clISt17integral_constantIbLb1EES12_IbLb0EEEEDaSY_SZ_EUlSY_E_NS1_11comp_targetILNS1_3genE3ELNS1_11target_archE908ELNS1_3gpuE7ELNS1_3repE0EEENS1_30default_config_static_selectorELNS0_4arch9wavefront6targetE1EEEvT1_.kd
    .uniform_work_group_size: 1
    .uses_dynamic_stack: false
    .vgpr_count:     0
    .vgpr_spill_count: 0
    .wavefront_size: 64
  - .agpr_count:     0
    .args:
      - .offset:         0
        .size:           144
        .value_kind:     by_value
    .group_segment_fixed_size: 0
    .kernarg_segment_align: 8
    .kernarg_segment_size: 144
    .language:       OpenCL C
    .language_version:
      - 2
      - 0
    .max_flat_workgroup_size: 256
    .name:           _ZN7rocprim17ROCPRIM_400000_NS6detail17trampoline_kernelINS0_14default_configENS1_27scan_by_key_config_selectorIj11FixedVectorIiLj4EEEEZZNS1_16scan_by_key_implILNS1_25lookback_scan_determinismE0ELb1ES3_N6thrust23THRUST_200600_302600_NS6detail15normal_iteratorINSB_10device_ptrIjEEEENSD_INSE_IS6_EEEESI_S6_NSB_4plusIvEENSB_8equal_toIvEES6_EE10hipError_tPvRmT2_T3_T4_T5_mT6_T7_P12ihipStream_tbENKUlT_T0_E_clISt17integral_constantIbLb1EES12_IbLb0EEEEDaSY_SZ_EUlSY_E_NS1_11comp_targetILNS1_3genE2ELNS1_11target_archE906ELNS1_3gpuE6ELNS1_3repE0EEENS1_30default_config_static_selectorELNS0_4arch9wavefront6targetE1EEEvT1_
    .private_segment_fixed_size: 0
    .sgpr_count:     4
    .sgpr_spill_count: 0
    .symbol:         _ZN7rocprim17ROCPRIM_400000_NS6detail17trampoline_kernelINS0_14default_configENS1_27scan_by_key_config_selectorIj11FixedVectorIiLj4EEEEZZNS1_16scan_by_key_implILNS1_25lookback_scan_determinismE0ELb1ES3_N6thrust23THRUST_200600_302600_NS6detail15normal_iteratorINSB_10device_ptrIjEEEENSD_INSE_IS6_EEEESI_S6_NSB_4plusIvEENSB_8equal_toIvEES6_EE10hipError_tPvRmT2_T3_T4_T5_mT6_T7_P12ihipStream_tbENKUlT_T0_E_clISt17integral_constantIbLb1EES12_IbLb0EEEEDaSY_SZ_EUlSY_E_NS1_11comp_targetILNS1_3genE2ELNS1_11target_archE906ELNS1_3gpuE6ELNS1_3repE0EEENS1_30default_config_static_selectorELNS0_4arch9wavefront6targetE1EEEvT1_.kd
    .uniform_work_group_size: 1
    .uses_dynamic_stack: false
    .vgpr_count:     0
    .vgpr_spill_count: 0
    .wavefront_size: 64
  - .agpr_count:     0
    .args:
      - .offset:         0
        .size:           144
        .value_kind:     by_value
    .group_segment_fixed_size: 0
    .kernarg_segment_align: 8
    .kernarg_segment_size: 144
    .language:       OpenCL C
    .language_version:
      - 2
      - 0
    .max_flat_workgroup_size: 256
    .name:           _ZN7rocprim17ROCPRIM_400000_NS6detail17trampoline_kernelINS0_14default_configENS1_27scan_by_key_config_selectorIj11FixedVectorIiLj4EEEEZZNS1_16scan_by_key_implILNS1_25lookback_scan_determinismE0ELb1ES3_N6thrust23THRUST_200600_302600_NS6detail15normal_iteratorINSB_10device_ptrIjEEEENSD_INSE_IS6_EEEESI_S6_NSB_4plusIvEENSB_8equal_toIvEES6_EE10hipError_tPvRmT2_T3_T4_T5_mT6_T7_P12ihipStream_tbENKUlT_T0_E_clISt17integral_constantIbLb1EES12_IbLb0EEEEDaSY_SZ_EUlSY_E_NS1_11comp_targetILNS1_3genE10ELNS1_11target_archE1200ELNS1_3gpuE4ELNS1_3repE0EEENS1_30default_config_static_selectorELNS0_4arch9wavefront6targetE1EEEvT1_
    .private_segment_fixed_size: 0
    .sgpr_count:     4
    .sgpr_spill_count: 0
    .symbol:         _ZN7rocprim17ROCPRIM_400000_NS6detail17trampoline_kernelINS0_14default_configENS1_27scan_by_key_config_selectorIj11FixedVectorIiLj4EEEEZZNS1_16scan_by_key_implILNS1_25lookback_scan_determinismE0ELb1ES3_N6thrust23THRUST_200600_302600_NS6detail15normal_iteratorINSB_10device_ptrIjEEEENSD_INSE_IS6_EEEESI_S6_NSB_4plusIvEENSB_8equal_toIvEES6_EE10hipError_tPvRmT2_T3_T4_T5_mT6_T7_P12ihipStream_tbENKUlT_T0_E_clISt17integral_constantIbLb1EES12_IbLb0EEEEDaSY_SZ_EUlSY_E_NS1_11comp_targetILNS1_3genE10ELNS1_11target_archE1200ELNS1_3gpuE4ELNS1_3repE0EEENS1_30default_config_static_selectorELNS0_4arch9wavefront6targetE1EEEvT1_.kd
    .uniform_work_group_size: 1
    .uses_dynamic_stack: false
    .vgpr_count:     0
    .vgpr_spill_count: 0
    .wavefront_size: 64
  - .agpr_count:     0
    .args:
      - .offset:         0
        .size:           144
        .value_kind:     by_value
    .group_segment_fixed_size: 0
    .kernarg_segment_align: 8
    .kernarg_segment_size: 144
    .language:       OpenCL C
    .language_version:
      - 2
      - 0
    .max_flat_workgroup_size: 256
    .name:           _ZN7rocprim17ROCPRIM_400000_NS6detail17trampoline_kernelINS0_14default_configENS1_27scan_by_key_config_selectorIj11FixedVectorIiLj4EEEEZZNS1_16scan_by_key_implILNS1_25lookback_scan_determinismE0ELb1ES3_N6thrust23THRUST_200600_302600_NS6detail15normal_iteratorINSB_10device_ptrIjEEEENSD_INSE_IS6_EEEESI_S6_NSB_4plusIvEENSB_8equal_toIvEES6_EE10hipError_tPvRmT2_T3_T4_T5_mT6_T7_P12ihipStream_tbENKUlT_T0_E_clISt17integral_constantIbLb1EES12_IbLb0EEEEDaSY_SZ_EUlSY_E_NS1_11comp_targetILNS1_3genE9ELNS1_11target_archE1100ELNS1_3gpuE3ELNS1_3repE0EEENS1_30default_config_static_selectorELNS0_4arch9wavefront6targetE1EEEvT1_
    .private_segment_fixed_size: 0
    .sgpr_count:     4
    .sgpr_spill_count: 0
    .symbol:         _ZN7rocprim17ROCPRIM_400000_NS6detail17trampoline_kernelINS0_14default_configENS1_27scan_by_key_config_selectorIj11FixedVectorIiLj4EEEEZZNS1_16scan_by_key_implILNS1_25lookback_scan_determinismE0ELb1ES3_N6thrust23THRUST_200600_302600_NS6detail15normal_iteratorINSB_10device_ptrIjEEEENSD_INSE_IS6_EEEESI_S6_NSB_4plusIvEENSB_8equal_toIvEES6_EE10hipError_tPvRmT2_T3_T4_T5_mT6_T7_P12ihipStream_tbENKUlT_T0_E_clISt17integral_constantIbLb1EES12_IbLb0EEEEDaSY_SZ_EUlSY_E_NS1_11comp_targetILNS1_3genE9ELNS1_11target_archE1100ELNS1_3gpuE3ELNS1_3repE0EEENS1_30default_config_static_selectorELNS0_4arch9wavefront6targetE1EEEvT1_.kd
    .uniform_work_group_size: 1
    .uses_dynamic_stack: false
    .vgpr_count:     0
    .vgpr_spill_count: 0
    .wavefront_size: 64
  - .agpr_count:     0
    .args:
      - .offset:         0
        .size:           144
        .value_kind:     by_value
    .group_segment_fixed_size: 0
    .kernarg_segment_align: 8
    .kernarg_segment_size: 144
    .language:       OpenCL C
    .language_version:
      - 2
      - 0
    .max_flat_workgroup_size: 256
    .name:           _ZN7rocprim17ROCPRIM_400000_NS6detail17trampoline_kernelINS0_14default_configENS1_27scan_by_key_config_selectorIj11FixedVectorIiLj4EEEEZZNS1_16scan_by_key_implILNS1_25lookback_scan_determinismE0ELb1ES3_N6thrust23THRUST_200600_302600_NS6detail15normal_iteratorINSB_10device_ptrIjEEEENSD_INSE_IS6_EEEESI_S6_NSB_4plusIvEENSB_8equal_toIvEES6_EE10hipError_tPvRmT2_T3_T4_T5_mT6_T7_P12ihipStream_tbENKUlT_T0_E_clISt17integral_constantIbLb1EES12_IbLb0EEEEDaSY_SZ_EUlSY_E_NS1_11comp_targetILNS1_3genE8ELNS1_11target_archE1030ELNS1_3gpuE2ELNS1_3repE0EEENS1_30default_config_static_selectorELNS0_4arch9wavefront6targetE1EEEvT1_
    .private_segment_fixed_size: 0
    .sgpr_count:     4
    .sgpr_spill_count: 0
    .symbol:         _ZN7rocprim17ROCPRIM_400000_NS6detail17trampoline_kernelINS0_14default_configENS1_27scan_by_key_config_selectorIj11FixedVectorIiLj4EEEEZZNS1_16scan_by_key_implILNS1_25lookback_scan_determinismE0ELb1ES3_N6thrust23THRUST_200600_302600_NS6detail15normal_iteratorINSB_10device_ptrIjEEEENSD_INSE_IS6_EEEESI_S6_NSB_4plusIvEENSB_8equal_toIvEES6_EE10hipError_tPvRmT2_T3_T4_T5_mT6_T7_P12ihipStream_tbENKUlT_T0_E_clISt17integral_constantIbLb1EES12_IbLb0EEEEDaSY_SZ_EUlSY_E_NS1_11comp_targetILNS1_3genE8ELNS1_11target_archE1030ELNS1_3gpuE2ELNS1_3repE0EEENS1_30default_config_static_selectorELNS0_4arch9wavefront6targetE1EEEvT1_.kd
    .uniform_work_group_size: 1
    .uses_dynamic_stack: false
    .vgpr_count:     0
    .vgpr_spill_count: 0
    .wavefront_size: 64
  - .agpr_count:     0
    .args:
      - .offset:         0
        .size:           144
        .value_kind:     by_value
    .group_segment_fixed_size: 0
    .kernarg_segment_align: 8
    .kernarg_segment_size: 144
    .language:       OpenCL C
    .language_version:
      - 2
      - 0
    .max_flat_workgroup_size: 64
    .name:           _ZN7rocprim17ROCPRIM_400000_NS6detail17trampoline_kernelINS0_14default_configENS1_27scan_by_key_config_selectorIj11FixedVectorIiLj4EEEEZZNS1_16scan_by_key_implILNS1_25lookback_scan_determinismE0ELb1ES3_N6thrust23THRUST_200600_302600_NS6detail15normal_iteratorINSB_10device_ptrIjEEEENSD_INSE_IS6_EEEESI_S6_NSB_4plusIvEENSB_8equal_toIvEES6_EE10hipError_tPvRmT2_T3_T4_T5_mT6_T7_P12ihipStream_tbENKUlT_T0_E_clISt17integral_constantIbLb0EES12_IbLb1EEEEDaSY_SZ_EUlSY_E_NS1_11comp_targetILNS1_3genE0ELNS1_11target_archE4294967295ELNS1_3gpuE0ELNS1_3repE0EEENS1_30default_config_static_selectorELNS0_4arch9wavefront6targetE1EEEvT1_
    .private_segment_fixed_size: 0
    .sgpr_count:     4
    .sgpr_spill_count: 0
    .symbol:         _ZN7rocprim17ROCPRIM_400000_NS6detail17trampoline_kernelINS0_14default_configENS1_27scan_by_key_config_selectorIj11FixedVectorIiLj4EEEEZZNS1_16scan_by_key_implILNS1_25lookback_scan_determinismE0ELb1ES3_N6thrust23THRUST_200600_302600_NS6detail15normal_iteratorINSB_10device_ptrIjEEEENSD_INSE_IS6_EEEESI_S6_NSB_4plusIvEENSB_8equal_toIvEES6_EE10hipError_tPvRmT2_T3_T4_T5_mT6_T7_P12ihipStream_tbENKUlT_T0_E_clISt17integral_constantIbLb0EES12_IbLb1EEEEDaSY_SZ_EUlSY_E_NS1_11comp_targetILNS1_3genE0ELNS1_11target_archE4294967295ELNS1_3gpuE0ELNS1_3repE0EEENS1_30default_config_static_selectorELNS0_4arch9wavefront6targetE1EEEvT1_.kd
    .uniform_work_group_size: 1
    .uses_dynamic_stack: false
    .vgpr_count:     0
    .vgpr_spill_count: 0
    .wavefront_size: 64
  - .agpr_count:     0
    .args:
      - .offset:         0
        .size:           144
        .value_kind:     by_value
    .group_segment_fixed_size: 0
    .kernarg_segment_align: 8
    .kernarg_segment_size: 144
    .language:       OpenCL C
    .language_version:
      - 2
      - 0
    .max_flat_workgroup_size: 256
    .name:           _ZN7rocprim17ROCPRIM_400000_NS6detail17trampoline_kernelINS0_14default_configENS1_27scan_by_key_config_selectorIj11FixedVectorIiLj4EEEEZZNS1_16scan_by_key_implILNS1_25lookback_scan_determinismE0ELb1ES3_N6thrust23THRUST_200600_302600_NS6detail15normal_iteratorINSB_10device_ptrIjEEEENSD_INSE_IS6_EEEESI_S6_NSB_4plusIvEENSB_8equal_toIvEES6_EE10hipError_tPvRmT2_T3_T4_T5_mT6_T7_P12ihipStream_tbENKUlT_T0_E_clISt17integral_constantIbLb0EES12_IbLb1EEEEDaSY_SZ_EUlSY_E_NS1_11comp_targetILNS1_3genE10ELNS1_11target_archE1201ELNS1_3gpuE5ELNS1_3repE0EEENS1_30default_config_static_selectorELNS0_4arch9wavefront6targetE1EEEvT1_
    .private_segment_fixed_size: 0
    .sgpr_count:     4
    .sgpr_spill_count: 0
    .symbol:         _ZN7rocprim17ROCPRIM_400000_NS6detail17trampoline_kernelINS0_14default_configENS1_27scan_by_key_config_selectorIj11FixedVectorIiLj4EEEEZZNS1_16scan_by_key_implILNS1_25lookback_scan_determinismE0ELb1ES3_N6thrust23THRUST_200600_302600_NS6detail15normal_iteratorINSB_10device_ptrIjEEEENSD_INSE_IS6_EEEESI_S6_NSB_4plusIvEENSB_8equal_toIvEES6_EE10hipError_tPvRmT2_T3_T4_T5_mT6_T7_P12ihipStream_tbENKUlT_T0_E_clISt17integral_constantIbLb0EES12_IbLb1EEEEDaSY_SZ_EUlSY_E_NS1_11comp_targetILNS1_3genE10ELNS1_11target_archE1201ELNS1_3gpuE5ELNS1_3repE0EEENS1_30default_config_static_selectorELNS0_4arch9wavefront6targetE1EEEvT1_.kd
    .uniform_work_group_size: 1
    .uses_dynamic_stack: false
    .vgpr_count:     0
    .vgpr_spill_count: 0
    .wavefront_size: 64
  - .agpr_count:     0
    .args:
      - .offset:         0
        .size:           144
        .value_kind:     by_value
    .group_segment_fixed_size: 0
    .kernarg_segment_align: 8
    .kernarg_segment_size: 144
    .language:       OpenCL C
    .language_version:
      - 2
      - 0
    .max_flat_workgroup_size: 128
    .name:           _ZN7rocprim17ROCPRIM_400000_NS6detail17trampoline_kernelINS0_14default_configENS1_27scan_by_key_config_selectorIj11FixedVectorIiLj4EEEEZZNS1_16scan_by_key_implILNS1_25lookback_scan_determinismE0ELb1ES3_N6thrust23THRUST_200600_302600_NS6detail15normal_iteratorINSB_10device_ptrIjEEEENSD_INSE_IS6_EEEESI_S6_NSB_4plusIvEENSB_8equal_toIvEES6_EE10hipError_tPvRmT2_T3_T4_T5_mT6_T7_P12ihipStream_tbENKUlT_T0_E_clISt17integral_constantIbLb0EES12_IbLb1EEEEDaSY_SZ_EUlSY_E_NS1_11comp_targetILNS1_3genE5ELNS1_11target_archE942ELNS1_3gpuE9ELNS1_3repE0EEENS1_30default_config_static_selectorELNS0_4arch9wavefront6targetE1EEEvT1_
    .private_segment_fixed_size: 0
    .sgpr_count:     4
    .sgpr_spill_count: 0
    .symbol:         _ZN7rocprim17ROCPRIM_400000_NS6detail17trampoline_kernelINS0_14default_configENS1_27scan_by_key_config_selectorIj11FixedVectorIiLj4EEEEZZNS1_16scan_by_key_implILNS1_25lookback_scan_determinismE0ELb1ES3_N6thrust23THRUST_200600_302600_NS6detail15normal_iteratorINSB_10device_ptrIjEEEENSD_INSE_IS6_EEEESI_S6_NSB_4plusIvEENSB_8equal_toIvEES6_EE10hipError_tPvRmT2_T3_T4_T5_mT6_T7_P12ihipStream_tbENKUlT_T0_E_clISt17integral_constantIbLb0EES12_IbLb1EEEEDaSY_SZ_EUlSY_E_NS1_11comp_targetILNS1_3genE5ELNS1_11target_archE942ELNS1_3gpuE9ELNS1_3repE0EEENS1_30default_config_static_selectorELNS0_4arch9wavefront6targetE1EEEvT1_.kd
    .uniform_work_group_size: 1
    .uses_dynamic_stack: false
    .vgpr_count:     0
    .vgpr_spill_count: 0
    .wavefront_size: 64
  - .agpr_count:     0
    .args:
      - .offset:         0
        .size:           144
        .value_kind:     by_value
    .group_segment_fixed_size: 20480
    .kernarg_segment_align: 8
    .kernarg_segment_size: 144
    .language:       OpenCL C
    .language_version:
      - 2
      - 0
    .max_flat_workgroup_size: 256
    .name:           _ZN7rocprim17ROCPRIM_400000_NS6detail17trampoline_kernelINS0_14default_configENS1_27scan_by_key_config_selectorIj11FixedVectorIiLj4EEEEZZNS1_16scan_by_key_implILNS1_25lookback_scan_determinismE0ELb1ES3_N6thrust23THRUST_200600_302600_NS6detail15normal_iteratorINSB_10device_ptrIjEEEENSD_INSE_IS6_EEEESI_S6_NSB_4plusIvEENSB_8equal_toIvEES6_EE10hipError_tPvRmT2_T3_T4_T5_mT6_T7_P12ihipStream_tbENKUlT_T0_E_clISt17integral_constantIbLb0EES12_IbLb1EEEEDaSY_SZ_EUlSY_E_NS1_11comp_targetILNS1_3genE4ELNS1_11target_archE910ELNS1_3gpuE8ELNS1_3repE0EEENS1_30default_config_static_selectorELNS0_4arch9wavefront6targetE1EEEvT1_
    .private_segment_fixed_size: 320
    .sgpr_count:     59
    .sgpr_spill_count: 0
    .symbol:         _ZN7rocprim17ROCPRIM_400000_NS6detail17trampoline_kernelINS0_14default_configENS1_27scan_by_key_config_selectorIj11FixedVectorIiLj4EEEEZZNS1_16scan_by_key_implILNS1_25lookback_scan_determinismE0ELb1ES3_N6thrust23THRUST_200600_302600_NS6detail15normal_iteratorINSB_10device_ptrIjEEEENSD_INSE_IS6_EEEESI_S6_NSB_4plusIvEENSB_8equal_toIvEES6_EE10hipError_tPvRmT2_T3_T4_T5_mT6_T7_P12ihipStream_tbENKUlT_T0_E_clISt17integral_constantIbLb0EES12_IbLb1EEEEDaSY_SZ_EUlSY_E_NS1_11comp_targetILNS1_3genE4ELNS1_11target_archE910ELNS1_3gpuE8ELNS1_3repE0EEENS1_30default_config_static_selectorELNS0_4arch9wavefront6targetE1EEEvT1_.kd
    .uniform_work_group_size: 1
    .uses_dynamic_stack: false
    .vgpr_count:     43
    .vgpr_spill_count: 0
    .wavefront_size: 64
  - .agpr_count:     0
    .args:
      - .offset:         0
        .size:           144
        .value_kind:     by_value
    .group_segment_fixed_size: 0
    .kernarg_segment_align: 8
    .kernarg_segment_size: 144
    .language:       OpenCL C
    .language_version:
      - 2
      - 0
    .max_flat_workgroup_size: 64
    .name:           _ZN7rocprim17ROCPRIM_400000_NS6detail17trampoline_kernelINS0_14default_configENS1_27scan_by_key_config_selectorIj11FixedVectorIiLj4EEEEZZNS1_16scan_by_key_implILNS1_25lookback_scan_determinismE0ELb1ES3_N6thrust23THRUST_200600_302600_NS6detail15normal_iteratorINSB_10device_ptrIjEEEENSD_INSE_IS6_EEEESI_S6_NSB_4plusIvEENSB_8equal_toIvEES6_EE10hipError_tPvRmT2_T3_T4_T5_mT6_T7_P12ihipStream_tbENKUlT_T0_E_clISt17integral_constantIbLb0EES12_IbLb1EEEEDaSY_SZ_EUlSY_E_NS1_11comp_targetILNS1_3genE3ELNS1_11target_archE908ELNS1_3gpuE7ELNS1_3repE0EEENS1_30default_config_static_selectorELNS0_4arch9wavefront6targetE1EEEvT1_
    .private_segment_fixed_size: 0
    .sgpr_count:     4
    .sgpr_spill_count: 0
    .symbol:         _ZN7rocprim17ROCPRIM_400000_NS6detail17trampoline_kernelINS0_14default_configENS1_27scan_by_key_config_selectorIj11FixedVectorIiLj4EEEEZZNS1_16scan_by_key_implILNS1_25lookback_scan_determinismE0ELb1ES3_N6thrust23THRUST_200600_302600_NS6detail15normal_iteratorINSB_10device_ptrIjEEEENSD_INSE_IS6_EEEESI_S6_NSB_4plusIvEENSB_8equal_toIvEES6_EE10hipError_tPvRmT2_T3_T4_T5_mT6_T7_P12ihipStream_tbENKUlT_T0_E_clISt17integral_constantIbLb0EES12_IbLb1EEEEDaSY_SZ_EUlSY_E_NS1_11comp_targetILNS1_3genE3ELNS1_11target_archE908ELNS1_3gpuE7ELNS1_3repE0EEENS1_30default_config_static_selectorELNS0_4arch9wavefront6targetE1EEEvT1_.kd
    .uniform_work_group_size: 1
    .uses_dynamic_stack: false
    .vgpr_count:     0
    .vgpr_spill_count: 0
    .wavefront_size: 64
  - .agpr_count:     0
    .args:
      - .offset:         0
        .size:           144
        .value_kind:     by_value
    .group_segment_fixed_size: 0
    .kernarg_segment_align: 8
    .kernarg_segment_size: 144
    .language:       OpenCL C
    .language_version:
      - 2
      - 0
    .max_flat_workgroup_size: 256
    .name:           _ZN7rocprim17ROCPRIM_400000_NS6detail17trampoline_kernelINS0_14default_configENS1_27scan_by_key_config_selectorIj11FixedVectorIiLj4EEEEZZNS1_16scan_by_key_implILNS1_25lookback_scan_determinismE0ELb1ES3_N6thrust23THRUST_200600_302600_NS6detail15normal_iteratorINSB_10device_ptrIjEEEENSD_INSE_IS6_EEEESI_S6_NSB_4plusIvEENSB_8equal_toIvEES6_EE10hipError_tPvRmT2_T3_T4_T5_mT6_T7_P12ihipStream_tbENKUlT_T0_E_clISt17integral_constantIbLb0EES12_IbLb1EEEEDaSY_SZ_EUlSY_E_NS1_11comp_targetILNS1_3genE2ELNS1_11target_archE906ELNS1_3gpuE6ELNS1_3repE0EEENS1_30default_config_static_selectorELNS0_4arch9wavefront6targetE1EEEvT1_
    .private_segment_fixed_size: 0
    .sgpr_count:     4
    .sgpr_spill_count: 0
    .symbol:         _ZN7rocprim17ROCPRIM_400000_NS6detail17trampoline_kernelINS0_14default_configENS1_27scan_by_key_config_selectorIj11FixedVectorIiLj4EEEEZZNS1_16scan_by_key_implILNS1_25lookback_scan_determinismE0ELb1ES3_N6thrust23THRUST_200600_302600_NS6detail15normal_iteratorINSB_10device_ptrIjEEEENSD_INSE_IS6_EEEESI_S6_NSB_4plusIvEENSB_8equal_toIvEES6_EE10hipError_tPvRmT2_T3_T4_T5_mT6_T7_P12ihipStream_tbENKUlT_T0_E_clISt17integral_constantIbLb0EES12_IbLb1EEEEDaSY_SZ_EUlSY_E_NS1_11comp_targetILNS1_3genE2ELNS1_11target_archE906ELNS1_3gpuE6ELNS1_3repE0EEENS1_30default_config_static_selectorELNS0_4arch9wavefront6targetE1EEEvT1_.kd
    .uniform_work_group_size: 1
    .uses_dynamic_stack: false
    .vgpr_count:     0
    .vgpr_spill_count: 0
    .wavefront_size: 64
  - .agpr_count:     0
    .args:
      - .offset:         0
        .size:           144
        .value_kind:     by_value
    .group_segment_fixed_size: 0
    .kernarg_segment_align: 8
    .kernarg_segment_size: 144
    .language:       OpenCL C
    .language_version:
      - 2
      - 0
    .max_flat_workgroup_size: 256
    .name:           _ZN7rocprim17ROCPRIM_400000_NS6detail17trampoline_kernelINS0_14default_configENS1_27scan_by_key_config_selectorIj11FixedVectorIiLj4EEEEZZNS1_16scan_by_key_implILNS1_25lookback_scan_determinismE0ELb1ES3_N6thrust23THRUST_200600_302600_NS6detail15normal_iteratorINSB_10device_ptrIjEEEENSD_INSE_IS6_EEEESI_S6_NSB_4plusIvEENSB_8equal_toIvEES6_EE10hipError_tPvRmT2_T3_T4_T5_mT6_T7_P12ihipStream_tbENKUlT_T0_E_clISt17integral_constantIbLb0EES12_IbLb1EEEEDaSY_SZ_EUlSY_E_NS1_11comp_targetILNS1_3genE10ELNS1_11target_archE1200ELNS1_3gpuE4ELNS1_3repE0EEENS1_30default_config_static_selectorELNS0_4arch9wavefront6targetE1EEEvT1_
    .private_segment_fixed_size: 0
    .sgpr_count:     4
    .sgpr_spill_count: 0
    .symbol:         _ZN7rocprim17ROCPRIM_400000_NS6detail17trampoline_kernelINS0_14default_configENS1_27scan_by_key_config_selectorIj11FixedVectorIiLj4EEEEZZNS1_16scan_by_key_implILNS1_25lookback_scan_determinismE0ELb1ES3_N6thrust23THRUST_200600_302600_NS6detail15normal_iteratorINSB_10device_ptrIjEEEENSD_INSE_IS6_EEEESI_S6_NSB_4plusIvEENSB_8equal_toIvEES6_EE10hipError_tPvRmT2_T3_T4_T5_mT6_T7_P12ihipStream_tbENKUlT_T0_E_clISt17integral_constantIbLb0EES12_IbLb1EEEEDaSY_SZ_EUlSY_E_NS1_11comp_targetILNS1_3genE10ELNS1_11target_archE1200ELNS1_3gpuE4ELNS1_3repE0EEENS1_30default_config_static_selectorELNS0_4arch9wavefront6targetE1EEEvT1_.kd
    .uniform_work_group_size: 1
    .uses_dynamic_stack: false
    .vgpr_count:     0
    .vgpr_spill_count: 0
    .wavefront_size: 64
  - .agpr_count:     0
    .args:
      - .offset:         0
        .size:           144
        .value_kind:     by_value
    .group_segment_fixed_size: 0
    .kernarg_segment_align: 8
    .kernarg_segment_size: 144
    .language:       OpenCL C
    .language_version:
      - 2
      - 0
    .max_flat_workgroup_size: 256
    .name:           _ZN7rocprim17ROCPRIM_400000_NS6detail17trampoline_kernelINS0_14default_configENS1_27scan_by_key_config_selectorIj11FixedVectorIiLj4EEEEZZNS1_16scan_by_key_implILNS1_25lookback_scan_determinismE0ELb1ES3_N6thrust23THRUST_200600_302600_NS6detail15normal_iteratorINSB_10device_ptrIjEEEENSD_INSE_IS6_EEEESI_S6_NSB_4plusIvEENSB_8equal_toIvEES6_EE10hipError_tPvRmT2_T3_T4_T5_mT6_T7_P12ihipStream_tbENKUlT_T0_E_clISt17integral_constantIbLb0EES12_IbLb1EEEEDaSY_SZ_EUlSY_E_NS1_11comp_targetILNS1_3genE9ELNS1_11target_archE1100ELNS1_3gpuE3ELNS1_3repE0EEENS1_30default_config_static_selectorELNS0_4arch9wavefront6targetE1EEEvT1_
    .private_segment_fixed_size: 0
    .sgpr_count:     4
    .sgpr_spill_count: 0
    .symbol:         _ZN7rocprim17ROCPRIM_400000_NS6detail17trampoline_kernelINS0_14default_configENS1_27scan_by_key_config_selectorIj11FixedVectorIiLj4EEEEZZNS1_16scan_by_key_implILNS1_25lookback_scan_determinismE0ELb1ES3_N6thrust23THRUST_200600_302600_NS6detail15normal_iteratorINSB_10device_ptrIjEEEENSD_INSE_IS6_EEEESI_S6_NSB_4plusIvEENSB_8equal_toIvEES6_EE10hipError_tPvRmT2_T3_T4_T5_mT6_T7_P12ihipStream_tbENKUlT_T0_E_clISt17integral_constantIbLb0EES12_IbLb1EEEEDaSY_SZ_EUlSY_E_NS1_11comp_targetILNS1_3genE9ELNS1_11target_archE1100ELNS1_3gpuE3ELNS1_3repE0EEENS1_30default_config_static_selectorELNS0_4arch9wavefront6targetE1EEEvT1_.kd
    .uniform_work_group_size: 1
    .uses_dynamic_stack: false
    .vgpr_count:     0
    .vgpr_spill_count: 0
    .wavefront_size: 64
  - .agpr_count:     0
    .args:
      - .offset:         0
        .size:           144
        .value_kind:     by_value
    .group_segment_fixed_size: 0
    .kernarg_segment_align: 8
    .kernarg_segment_size: 144
    .language:       OpenCL C
    .language_version:
      - 2
      - 0
    .max_flat_workgroup_size: 256
    .name:           _ZN7rocprim17ROCPRIM_400000_NS6detail17trampoline_kernelINS0_14default_configENS1_27scan_by_key_config_selectorIj11FixedVectorIiLj4EEEEZZNS1_16scan_by_key_implILNS1_25lookback_scan_determinismE0ELb1ES3_N6thrust23THRUST_200600_302600_NS6detail15normal_iteratorINSB_10device_ptrIjEEEENSD_INSE_IS6_EEEESI_S6_NSB_4plusIvEENSB_8equal_toIvEES6_EE10hipError_tPvRmT2_T3_T4_T5_mT6_T7_P12ihipStream_tbENKUlT_T0_E_clISt17integral_constantIbLb0EES12_IbLb1EEEEDaSY_SZ_EUlSY_E_NS1_11comp_targetILNS1_3genE8ELNS1_11target_archE1030ELNS1_3gpuE2ELNS1_3repE0EEENS1_30default_config_static_selectorELNS0_4arch9wavefront6targetE1EEEvT1_
    .private_segment_fixed_size: 0
    .sgpr_count:     4
    .sgpr_spill_count: 0
    .symbol:         _ZN7rocprim17ROCPRIM_400000_NS6detail17trampoline_kernelINS0_14default_configENS1_27scan_by_key_config_selectorIj11FixedVectorIiLj4EEEEZZNS1_16scan_by_key_implILNS1_25lookback_scan_determinismE0ELb1ES3_N6thrust23THRUST_200600_302600_NS6detail15normal_iteratorINSB_10device_ptrIjEEEENSD_INSE_IS6_EEEESI_S6_NSB_4plusIvEENSB_8equal_toIvEES6_EE10hipError_tPvRmT2_T3_T4_T5_mT6_T7_P12ihipStream_tbENKUlT_T0_E_clISt17integral_constantIbLb0EES12_IbLb1EEEEDaSY_SZ_EUlSY_E_NS1_11comp_targetILNS1_3genE8ELNS1_11target_archE1030ELNS1_3gpuE2ELNS1_3repE0EEENS1_30default_config_static_selectorELNS0_4arch9wavefront6targetE1EEEvT1_.kd
    .uniform_work_group_size: 1
    .uses_dynamic_stack: false
    .vgpr_count:     0
    .vgpr_spill_count: 0
    .wavefront_size: 64
  - .agpr_count:     0
    .args:
      - .offset:         0
        .size:           16
        .value_kind:     by_value
      - .offset:         16
        .size:           8
        .value_kind:     by_value
      - .offset:         24
        .size:           8
        .value_kind:     by_value
    .group_segment_fixed_size: 0
    .kernarg_segment_align: 8
    .kernarg_segment_size: 32
    .language:       OpenCL C
    .language_version:
      - 2
      - 0
    .max_flat_workgroup_size: 256
    .name:           _ZN6thrust23THRUST_200600_302600_NS11hip_rocprim14__parallel_for6kernelILj256ENS1_10for_each_fINS0_10device_ptrI11FixedVectorIiLj8EEEENS0_6detail16wrapped_functionINS9_23allocator_traits_detail5gozerEvEEEElLj1EEEvT0_T1_SG_
    .private_segment_fixed_size: 0
    .sgpr_count:     4
    .sgpr_spill_count: 0
    .symbol:         _ZN6thrust23THRUST_200600_302600_NS11hip_rocprim14__parallel_for6kernelILj256ENS1_10for_each_fINS0_10device_ptrI11FixedVectorIiLj8EEEENS0_6detail16wrapped_functionINS9_23allocator_traits_detail5gozerEvEEEElLj1EEEvT0_T1_SG_.kd
    .uniform_work_group_size: 1
    .uses_dynamic_stack: false
    .vgpr_count:     0
    .vgpr_spill_count: 0
    .wavefront_size: 64
  - .agpr_count:     0
    .args:
      - .offset:         0
        .size:           16
        .value_kind:     by_value
      - .offset:         16
        .size:           8
        .value_kind:     by_value
      - .offset:         24
        .size:           8
        .value_kind:     by_value
    .group_segment_fixed_size: 0
    .kernarg_segment_align: 8
    .kernarg_segment_size: 32
    .language:       OpenCL C
    .language_version:
      - 2
      - 0
    .max_flat_workgroup_size: 256
    .name:           _ZN6thrust23THRUST_200600_302600_NS11hip_rocprim14__parallel_for6kernelILj256ENS1_10for_each_fINS0_10device_ptrI11FixedVectorIiLj8EEEENS0_6detail16wrapped_functionINS9_23allocator_traits_detail24construct1_via_allocatorINS0_16device_allocatorIS7_EEEEvEEEEmLj1EEEvT0_T1_SJ_
    .private_segment_fixed_size: 0
    .sgpr_count:     16
    .sgpr_spill_count: 0
    .symbol:         _ZN6thrust23THRUST_200600_302600_NS11hip_rocprim14__parallel_for6kernelILj256ENS1_10for_each_fINS0_10device_ptrI11FixedVectorIiLj8EEEENS0_6detail16wrapped_functionINS9_23allocator_traits_detail24construct1_via_allocatorINS0_16device_allocatorIS7_EEEEvEEEEmLj1EEEvT0_T1_SJ_.kd
    .uniform_work_group_size: 1
    .uses_dynamic_stack: false
    .vgpr_count:     8
    .vgpr_spill_count: 0
    .wavefront_size: 64
  - .agpr_count:     0
    .args:
      - .offset:         0
        .size:           24
        .value_kind:     by_value
      - .offset:         24
        .size:           4
        .value_kind:     by_value
      - .offset:         28
        .size:           4
        .value_kind:     by_value
      - .address_space:  global
        .offset:         32
        .size:           8
        .value_kind:     global_buffer
      - .address_space:  global
        .offset:         40
        .size:           8
        .value_kind:     global_buffer
      - .actual_access:  write_only
        .address_space:  global
        .offset:         48
        .size:           8
        .value_kind:     global_buffer
      - .offset:         56
        .size:           8
        .value_kind:     by_value
      - .offset:         64
        .size:           4
        .value_kind:     by_value
      - .offset:         68
        .size:           1
        .value_kind:     by_value
      - .offset:         72
        .size:           4
        .value_kind:     hidden_block_count_x
      - .offset:         76
        .size:           4
        .value_kind:     hidden_block_count_y
      - .offset:         80
        .size:           4
        .value_kind:     hidden_block_count_z
      - .offset:         84
        .size:           2
        .value_kind:     hidden_group_size_x
      - .offset:         86
        .size:           2
        .value_kind:     hidden_group_size_y
      - .offset:         88
        .size:           2
        .value_kind:     hidden_group_size_z
      - .offset:         90
        .size:           2
        .value_kind:     hidden_remainder_x
      - .offset:         92
        .size:           2
        .value_kind:     hidden_remainder_y
      - .offset:         94
        .size:           2
        .value_kind:     hidden_remainder_z
      - .offset:         112
        .size:           8
        .value_kind:     hidden_global_offset_x
      - .offset:         120
        .size:           8
        .value_kind:     hidden_global_offset_y
      - .offset:         128
        .size:           8
        .value_kind:     hidden_global_offset_z
      - .offset:         136
        .size:           2
        .value_kind:     hidden_grid_dims
    .group_segment_fixed_size: 0
    .kernarg_segment_align: 8
    .kernarg_segment_size: 328
    .language:       OpenCL C
    .language_version:
      - 2
      - 0
    .max_flat_workgroup_size: 256
    .name:           _ZN7rocprim17ROCPRIM_400000_NS6detail30init_device_scan_by_key_kernelINS1_19lookback_scan_stateINS0_5tupleIJ11FixedVectorIiLj8EEbEEELb0ELb0EEEN6thrust23THRUST_200600_302600_NS6detail15normal_iteratorINSA_10device_ptrIjEEEEjNS1_16block_id_wrapperIjLb0EEEEEvT_jjPNSI_10value_typeET0_PNSt15iterator_traitsISL_E10value_typeEmT1_T2_
    .private_segment_fixed_size: 40
    .sgpr_count:     29
    .sgpr_spill_count: 0
    .symbol:         _ZN7rocprim17ROCPRIM_400000_NS6detail30init_device_scan_by_key_kernelINS1_19lookback_scan_stateINS0_5tupleIJ11FixedVectorIiLj8EEbEEELb0ELb0EEEN6thrust23THRUST_200600_302600_NS6detail15normal_iteratorINSA_10device_ptrIjEEEEjNS1_16block_id_wrapperIjLb0EEEEEvT_jjPNSI_10value_typeET0_PNSt15iterator_traitsISL_E10value_typeEmT1_T2_.kd
    .uniform_work_group_size: 1
    .uses_dynamic_stack: false
    .vgpr_count:     11
    .vgpr_spill_count: 0
    .wavefront_size: 64
  - .agpr_count:     0
    .args:
      - .offset:         0
        .size:           24
        .value_kind:     by_value
      - .offset:         24
        .size:           4
        .value_kind:     by_value
      - .offset:         28
        .size:           4
        .value_kind:     by_value
      - .address_space:  global
        .offset:         32
        .size:           8
        .value_kind:     global_buffer
      - .offset:         40
        .size:           1
        .value_kind:     by_value
      - .offset:         48
        .size:           4
        .value_kind:     hidden_block_count_x
      - .offset:         52
        .size:           4
        .value_kind:     hidden_block_count_y
      - .offset:         56
        .size:           4
        .value_kind:     hidden_block_count_z
      - .offset:         60
        .size:           2
        .value_kind:     hidden_group_size_x
      - .offset:         62
        .size:           2
        .value_kind:     hidden_group_size_y
      - .offset:         64
        .size:           2
        .value_kind:     hidden_group_size_z
      - .offset:         66
        .size:           2
        .value_kind:     hidden_remainder_x
      - .offset:         68
        .size:           2
        .value_kind:     hidden_remainder_y
      - .offset:         70
        .size:           2
        .value_kind:     hidden_remainder_z
      - .offset:         88
        .size:           8
        .value_kind:     hidden_global_offset_x
      - .offset:         96
        .size:           8
        .value_kind:     hidden_global_offset_y
      - .offset:         104
        .size:           8
        .value_kind:     hidden_global_offset_z
      - .offset:         112
        .size:           2
        .value_kind:     hidden_grid_dims
    .group_segment_fixed_size: 0
    .kernarg_segment_align: 8
    .kernarg_segment_size: 304
    .language:       OpenCL C
    .language_version:
      - 2
      - 0
    .max_flat_workgroup_size: 256
    .name:           _ZN7rocprim17ROCPRIM_400000_NS6detail30init_device_scan_by_key_kernelINS1_19lookback_scan_stateINS0_5tupleIJ11FixedVectorIiLj8EEbEEELb0ELb0EEENS1_16block_id_wrapperIjLb0EEEEEvT_jjPNSB_10value_typeET0_
    .private_segment_fixed_size: 40
    .sgpr_count:     23
    .sgpr_spill_count: 0
    .symbol:         _ZN7rocprim17ROCPRIM_400000_NS6detail30init_device_scan_by_key_kernelINS1_19lookback_scan_stateINS0_5tupleIJ11FixedVectorIiLj8EEbEEELb0ELb0EEENS1_16block_id_wrapperIjLb0EEEEEvT_jjPNSB_10value_typeET0_.kd
    .uniform_work_group_size: 1
    .uses_dynamic_stack: false
    .vgpr_count:     11
    .vgpr_spill_count: 0
    .wavefront_size: 64
  - .agpr_count:     0
    .args:
      - .offset:         0
        .size:           160
        .value_kind:     by_value
    .group_segment_fixed_size: 0
    .kernarg_segment_align: 8
    .kernarg_segment_size: 160
    .language:       OpenCL C
    .language_version:
      - 2
      - 0
    .max_flat_workgroup_size: 256
    .name:           _ZN7rocprim17ROCPRIM_400000_NS6detail17trampoline_kernelINS0_14default_configENS1_27scan_by_key_config_selectorIj11FixedVectorIiLj8EEEEZZNS1_16scan_by_key_implILNS1_25lookback_scan_determinismE0ELb0ES3_N6thrust23THRUST_200600_302600_NS6detail15normal_iteratorINSB_10device_ptrIjEEEENSD_INSE_IS6_EEEESI_S6_NSB_4plusIvEENSB_8equal_toIvEES6_EE10hipError_tPvRmT2_T3_T4_T5_mT6_T7_P12ihipStream_tbENKUlT_T0_E_clISt17integral_constantIbLb0EES13_EEDaSY_SZ_EUlSY_E_NS1_11comp_targetILNS1_3genE0ELNS1_11target_archE4294967295ELNS1_3gpuE0ELNS1_3repE0EEENS1_30default_config_static_selectorELNS0_4arch9wavefront6targetE1EEEvT1_
    .private_segment_fixed_size: 0
    .sgpr_count:     4
    .sgpr_spill_count: 0
    .symbol:         _ZN7rocprim17ROCPRIM_400000_NS6detail17trampoline_kernelINS0_14default_configENS1_27scan_by_key_config_selectorIj11FixedVectorIiLj8EEEEZZNS1_16scan_by_key_implILNS1_25lookback_scan_determinismE0ELb0ES3_N6thrust23THRUST_200600_302600_NS6detail15normal_iteratorINSB_10device_ptrIjEEEENSD_INSE_IS6_EEEESI_S6_NSB_4plusIvEENSB_8equal_toIvEES6_EE10hipError_tPvRmT2_T3_T4_T5_mT6_T7_P12ihipStream_tbENKUlT_T0_E_clISt17integral_constantIbLb0EES13_EEDaSY_SZ_EUlSY_E_NS1_11comp_targetILNS1_3genE0ELNS1_11target_archE4294967295ELNS1_3gpuE0ELNS1_3repE0EEENS1_30default_config_static_selectorELNS0_4arch9wavefront6targetE1EEEvT1_.kd
    .uniform_work_group_size: 1
    .uses_dynamic_stack: false
    .vgpr_count:     0
    .vgpr_spill_count: 0
    .wavefront_size: 64
  - .agpr_count:     0
    .args:
      - .offset:         0
        .size:           160
        .value_kind:     by_value
    .group_segment_fixed_size: 0
    .kernarg_segment_align: 8
    .kernarg_segment_size: 160
    .language:       OpenCL C
    .language_version:
      - 2
      - 0
    .max_flat_workgroup_size: 256
    .name:           _ZN7rocprim17ROCPRIM_400000_NS6detail17trampoline_kernelINS0_14default_configENS1_27scan_by_key_config_selectorIj11FixedVectorIiLj8EEEEZZNS1_16scan_by_key_implILNS1_25lookback_scan_determinismE0ELb0ES3_N6thrust23THRUST_200600_302600_NS6detail15normal_iteratorINSB_10device_ptrIjEEEENSD_INSE_IS6_EEEESI_S6_NSB_4plusIvEENSB_8equal_toIvEES6_EE10hipError_tPvRmT2_T3_T4_T5_mT6_T7_P12ihipStream_tbENKUlT_T0_E_clISt17integral_constantIbLb0EES13_EEDaSY_SZ_EUlSY_E_NS1_11comp_targetILNS1_3genE10ELNS1_11target_archE1201ELNS1_3gpuE5ELNS1_3repE0EEENS1_30default_config_static_selectorELNS0_4arch9wavefront6targetE1EEEvT1_
    .private_segment_fixed_size: 0
    .sgpr_count:     4
    .sgpr_spill_count: 0
    .symbol:         _ZN7rocprim17ROCPRIM_400000_NS6detail17trampoline_kernelINS0_14default_configENS1_27scan_by_key_config_selectorIj11FixedVectorIiLj8EEEEZZNS1_16scan_by_key_implILNS1_25lookback_scan_determinismE0ELb0ES3_N6thrust23THRUST_200600_302600_NS6detail15normal_iteratorINSB_10device_ptrIjEEEENSD_INSE_IS6_EEEESI_S6_NSB_4plusIvEENSB_8equal_toIvEES6_EE10hipError_tPvRmT2_T3_T4_T5_mT6_T7_P12ihipStream_tbENKUlT_T0_E_clISt17integral_constantIbLb0EES13_EEDaSY_SZ_EUlSY_E_NS1_11comp_targetILNS1_3genE10ELNS1_11target_archE1201ELNS1_3gpuE5ELNS1_3repE0EEENS1_30default_config_static_selectorELNS0_4arch9wavefront6targetE1EEEvT1_.kd
    .uniform_work_group_size: 1
    .uses_dynamic_stack: false
    .vgpr_count:     0
    .vgpr_spill_count: 0
    .wavefront_size: 64
  - .agpr_count:     0
    .args:
      - .offset:         0
        .size:           160
        .value_kind:     by_value
    .group_segment_fixed_size: 0
    .kernarg_segment_align: 8
    .kernarg_segment_size: 160
    .language:       OpenCL C
    .language_version:
      - 2
      - 0
    .max_flat_workgroup_size: 256
    .name:           _ZN7rocprim17ROCPRIM_400000_NS6detail17trampoline_kernelINS0_14default_configENS1_27scan_by_key_config_selectorIj11FixedVectorIiLj8EEEEZZNS1_16scan_by_key_implILNS1_25lookback_scan_determinismE0ELb0ES3_N6thrust23THRUST_200600_302600_NS6detail15normal_iteratorINSB_10device_ptrIjEEEENSD_INSE_IS6_EEEESI_S6_NSB_4plusIvEENSB_8equal_toIvEES6_EE10hipError_tPvRmT2_T3_T4_T5_mT6_T7_P12ihipStream_tbENKUlT_T0_E_clISt17integral_constantIbLb0EES13_EEDaSY_SZ_EUlSY_E_NS1_11comp_targetILNS1_3genE5ELNS1_11target_archE942ELNS1_3gpuE9ELNS1_3repE0EEENS1_30default_config_static_selectorELNS0_4arch9wavefront6targetE1EEEvT1_
    .private_segment_fixed_size: 0
    .sgpr_count:     4
    .sgpr_spill_count: 0
    .symbol:         _ZN7rocprim17ROCPRIM_400000_NS6detail17trampoline_kernelINS0_14default_configENS1_27scan_by_key_config_selectorIj11FixedVectorIiLj8EEEEZZNS1_16scan_by_key_implILNS1_25lookback_scan_determinismE0ELb0ES3_N6thrust23THRUST_200600_302600_NS6detail15normal_iteratorINSB_10device_ptrIjEEEENSD_INSE_IS6_EEEESI_S6_NSB_4plusIvEENSB_8equal_toIvEES6_EE10hipError_tPvRmT2_T3_T4_T5_mT6_T7_P12ihipStream_tbENKUlT_T0_E_clISt17integral_constantIbLb0EES13_EEDaSY_SZ_EUlSY_E_NS1_11comp_targetILNS1_3genE5ELNS1_11target_archE942ELNS1_3gpuE9ELNS1_3repE0EEENS1_30default_config_static_selectorELNS0_4arch9wavefront6targetE1EEEvT1_.kd
    .uniform_work_group_size: 1
    .uses_dynamic_stack: false
    .vgpr_count:     0
    .vgpr_spill_count: 0
    .wavefront_size: 64
  - .agpr_count:     0
    .args:
      - .offset:         0
        .size:           160
        .value_kind:     by_value
    .group_segment_fixed_size: 32768
    .kernarg_segment_align: 8
    .kernarg_segment_size: 160
    .language:       OpenCL C
    .language_version:
      - 2
      - 0
    .max_flat_workgroup_size: 256
    .name:           _ZN7rocprim17ROCPRIM_400000_NS6detail17trampoline_kernelINS0_14default_configENS1_27scan_by_key_config_selectorIj11FixedVectorIiLj8EEEEZZNS1_16scan_by_key_implILNS1_25lookback_scan_determinismE0ELb0ES3_N6thrust23THRUST_200600_302600_NS6detail15normal_iteratorINSB_10device_ptrIjEEEENSD_INSE_IS6_EEEESI_S6_NSB_4plusIvEENSB_8equal_toIvEES6_EE10hipError_tPvRmT2_T3_T4_T5_mT6_T7_P12ihipStream_tbENKUlT_T0_E_clISt17integral_constantIbLb0EES13_EEDaSY_SZ_EUlSY_E_NS1_11comp_targetILNS1_3genE4ELNS1_11target_archE910ELNS1_3gpuE8ELNS1_3repE0EEENS1_30default_config_static_selectorELNS0_4arch9wavefront6targetE1EEEvT1_
    .private_segment_fixed_size: 400
    .sgpr_count:     57
    .sgpr_spill_count: 0
    .symbol:         _ZN7rocprim17ROCPRIM_400000_NS6detail17trampoline_kernelINS0_14default_configENS1_27scan_by_key_config_selectorIj11FixedVectorIiLj8EEEEZZNS1_16scan_by_key_implILNS1_25lookback_scan_determinismE0ELb0ES3_N6thrust23THRUST_200600_302600_NS6detail15normal_iteratorINSB_10device_ptrIjEEEENSD_INSE_IS6_EEEESI_S6_NSB_4plusIvEENSB_8equal_toIvEES6_EE10hipError_tPvRmT2_T3_T4_T5_mT6_T7_P12ihipStream_tbENKUlT_T0_E_clISt17integral_constantIbLb0EES13_EEDaSY_SZ_EUlSY_E_NS1_11comp_targetILNS1_3genE4ELNS1_11target_archE910ELNS1_3gpuE8ELNS1_3repE0EEENS1_30default_config_static_selectorELNS0_4arch9wavefront6targetE1EEEvT1_.kd
    .uniform_work_group_size: 1
    .uses_dynamic_stack: false
    .vgpr_count:     45
    .vgpr_spill_count: 0
    .wavefront_size: 64
  - .agpr_count:     0
    .args:
      - .offset:         0
        .size:           160
        .value_kind:     by_value
    .group_segment_fixed_size: 0
    .kernarg_segment_align: 8
    .kernarg_segment_size: 160
    .language:       OpenCL C
    .language_version:
      - 2
      - 0
    .max_flat_workgroup_size: 256
    .name:           _ZN7rocprim17ROCPRIM_400000_NS6detail17trampoline_kernelINS0_14default_configENS1_27scan_by_key_config_selectorIj11FixedVectorIiLj8EEEEZZNS1_16scan_by_key_implILNS1_25lookback_scan_determinismE0ELb0ES3_N6thrust23THRUST_200600_302600_NS6detail15normal_iteratorINSB_10device_ptrIjEEEENSD_INSE_IS6_EEEESI_S6_NSB_4plusIvEENSB_8equal_toIvEES6_EE10hipError_tPvRmT2_T3_T4_T5_mT6_T7_P12ihipStream_tbENKUlT_T0_E_clISt17integral_constantIbLb0EES13_EEDaSY_SZ_EUlSY_E_NS1_11comp_targetILNS1_3genE3ELNS1_11target_archE908ELNS1_3gpuE7ELNS1_3repE0EEENS1_30default_config_static_selectorELNS0_4arch9wavefront6targetE1EEEvT1_
    .private_segment_fixed_size: 0
    .sgpr_count:     4
    .sgpr_spill_count: 0
    .symbol:         _ZN7rocprim17ROCPRIM_400000_NS6detail17trampoline_kernelINS0_14default_configENS1_27scan_by_key_config_selectorIj11FixedVectorIiLj8EEEEZZNS1_16scan_by_key_implILNS1_25lookback_scan_determinismE0ELb0ES3_N6thrust23THRUST_200600_302600_NS6detail15normal_iteratorINSB_10device_ptrIjEEEENSD_INSE_IS6_EEEESI_S6_NSB_4plusIvEENSB_8equal_toIvEES6_EE10hipError_tPvRmT2_T3_T4_T5_mT6_T7_P12ihipStream_tbENKUlT_T0_E_clISt17integral_constantIbLb0EES13_EEDaSY_SZ_EUlSY_E_NS1_11comp_targetILNS1_3genE3ELNS1_11target_archE908ELNS1_3gpuE7ELNS1_3repE0EEENS1_30default_config_static_selectorELNS0_4arch9wavefront6targetE1EEEvT1_.kd
    .uniform_work_group_size: 1
    .uses_dynamic_stack: false
    .vgpr_count:     0
    .vgpr_spill_count: 0
    .wavefront_size: 64
  - .agpr_count:     0
    .args:
      - .offset:         0
        .size:           160
        .value_kind:     by_value
    .group_segment_fixed_size: 0
    .kernarg_segment_align: 8
    .kernarg_segment_size: 160
    .language:       OpenCL C
    .language_version:
      - 2
      - 0
    .max_flat_workgroup_size: 256
    .name:           _ZN7rocprim17ROCPRIM_400000_NS6detail17trampoline_kernelINS0_14default_configENS1_27scan_by_key_config_selectorIj11FixedVectorIiLj8EEEEZZNS1_16scan_by_key_implILNS1_25lookback_scan_determinismE0ELb0ES3_N6thrust23THRUST_200600_302600_NS6detail15normal_iteratorINSB_10device_ptrIjEEEENSD_INSE_IS6_EEEESI_S6_NSB_4plusIvEENSB_8equal_toIvEES6_EE10hipError_tPvRmT2_T3_T4_T5_mT6_T7_P12ihipStream_tbENKUlT_T0_E_clISt17integral_constantIbLb0EES13_EEDaSY_SZ_EUlSY_E_NS1_11comp_targetILNS1_3genE2ELNS1_11target_archE906ELNS1_3gpuE6ELNS1_3repE0EEENS1_30default_config_static_selectorELNS0_4arch9wavefront6targetE1EEEvT1_
    .private_segment_fixed_size: 0
    .sgpr_count:     4
    .sgpr_spill_count: 0
    .symbol:         _ZN7rocprim17ROCPRIM_400000_NS6detail17trampoline_kernelINS0_14default_configENS1_27scan_by_key_config_selectorIj11FixedVectorIiLj8EEEEZZNS1_16scan_by_key_implILNS1_25lookback_scan_determinismE0ELb0ES3_N6thrust23THRUST_200600_302600_NS6detail15normal_iteratorINSB_10device_ptrIjEEEENSD_INSE_IS6_EEEESI_S6_NSB_4plusIvEENSB_8equal_toIvEES6_EE10hipError_tPvRmT2_T3_T4_T5_mT6_T7_P12ihipStream_tbENKUlT_T0_E_clISt17integral_constantIbLb0EES13_EEDaSY_SZ_EUlSY_E_NS1_11comp_targetILNS1_3genE2ELNS1_11target_archE906ELNS1_3gpuE6ELNS1_3repE0EEENS1_30default_config_static_selectorELNS0_4arch9wavefront6targetE1EEEvT1_.kd
    .uniform_work_group_size: 1
    .uses_dynamic_stack: false
    .vgpr_count:     0
    .vgpr_spill_count: 0
    .wavefront_size: 64
  - .agpr_count:     0
    .args:
      - .offset:         0
        .size:           160
        .value_kind:     by_value
    .group_segment_fixed_size: 0
    .kernarg_segment_align: 8
    .kernarg_segment_size: 160
    .language:       OpenCL C
    .language_version:
      - 2
      - 0
    .max_flat_workgroup_size: 256
    .name:           _ZN7rocprim17ROCPRIM_400000_NS6detail17trampoline_kernelINS0_14default_configENS1_27scan_by_key_config_selectorIj11FixedVectorIiLj8EEEEZZNS1_16scan_by_key_implILNS1_25lookback_scan_determinismE0ELb0ES3_N6thrust23THRUST_200600_302600_NS6detail15normal_iteratorINSB_10device_ptrIjEEEENSD_INSE_IS6_EEEESI_S6_NSB_4plusIvEENSB_8equal_toIvEES6_EE10hipError_tPvRmT2_T3_T4_T5_mT6_T7_P12ihipStream_tbENKUlT_T0_E_clISt17integral_constantIbLb0EES13_EEDaSY_SZ_EUlSY_E_NS1_11comp_targetILNS1_3genE10ELNS1_11target_archE1200ELNS1_3gpuE4ELNS1_3repE0EEENS1_30default_config_static_selectorELNS0_4arch9wavefront6targetE1EEEvT1_
    .private_segment_fixed_size: 0
    .sgpr_count:     4
    .sgpr_spill_count: 0
    .symbol:         _ZN7rocprim17ROCPRIM_400000_NS6detail17trampoline_kernelINS0_14default_configENS1_27scan_by_key_config_selectorIj11FixedVectorIiLj8EEEEZZNS1_16scan_by_key_implILNS1_25lookback_scan_determinismE0ELb0ES3_N6thrust23THRUST_200600_302600_NS6detail15normal_iteratorINSB_10device_ptrIjEEEENSD_INSE_IS6_EEEESI_S6_NSB_4plusIvEENSB_8equal_toIvEES6_EE10hipError_tPvRmT2_T3_T4_T5_mT6_T7_P12ihipStream_tbENKUlT_T0_E_clISt17integral_constantIbLb0EES13_EEDaSY_SZ_EUlSY_E_NS1_11comp_targetILNS1_3genE10ELNS1_11target_archE1200ELNS1_3gpuE4ELNS1_3repE0EEENS1_30default_config_static_selectorELNS0_4arch9wavefront6targetE1EEEvT1_.kd
    .uniform_work_group_size: 1
    .uses_dynamic_stack: false
    .vgpr_count:     0
    .vgpr_spill_count: 0
    .wavefront_size: 64
  - .agpr_count:     0
    .args:
      - .offset:         0
        .size:           160
        .value_kind:     by_value
    .group_segment_fixed_size: 0
    .kernarg_segment_align: 8
    .kernarg_segment_size: 160
    .language:       OpenCL C
    .language_version:
      - 2
      - 0
    .max_flat_workgroup_size: 256
    .name:           _ZN7rocprim17ROCPRIM_400000_NS6detail17trampoline_kernelINS0_14default_configENS1_27scan_by_key_config_selectorIj11FixedVectorIiLj8EEEEZZNS1_16scan_by_key_implILNS1_25lookback_scan_determinismE0ELb0ES3_N6thrust23THRUST_200600_302600_NS6detail15normal_iteratorINSB_10device_ptrIjEEEENSD_INSE_IS6_EEEESI_S6_NSB_4plusIvEENSB_8equal_toIvEES6_EE10hipError_tPvRmT2_T3_T4_T5_mT6_T7_P12ihipStream_tbENKUlT_T0_E_clISt17integral_constantIbLb0EES13_EEDaSY_SZ_EUlSY_E_NS1_11comp_targetILNS1_3genE9ELNS1_11target_archE1100ELNS1_3gpuE3ELNS1_3repE0EEENS1_30default_config_static_selectorELNS0_4arch9wavefront6targetE1EEEvT1_
    .private_segment_fixed_size: 0
    .sgpr_count:     4
    .sgpr_spill_count: 0
    .symbol:         _ZN7rocprim17ROCPRIM_400000_NS6detail17trampoline_kernelINS0_14default_configENS1_27scan_by_key_config_selectorIj11FixedVectorIiLj8EEEEZZNS1_16scan_by_key_implILNS1_25lookback_scan_determinismE0ELb0ES3_N6thrust23THRUST_200600_302600_NS6detail15normal_iteratorINSB_10device_ptrIjEEEENSD_INSE_IS6_EEEESI_S6_NSB_4plusIvEENSB_8equal_toIvEES6_EE10hipError_tPvRmT2_T3_T4_T5_mT6_T7_P12ihipStream_tbENKUlT_T0_E_clISt17integral_constantIbLb0EES13_EEDaSY_SZ_EUlSY_E_NS1_11comp_targetILNS1_3genE9ELNS1_11target_archE1100ELNS1_3gpuE3ELNS1_3repE0EEENS1_30default_config_static_selectorELNS0_4arch9wavefront6targetE1EEEvT1_.kd
    .uniform_work_group_size: 1
    .uses_dynamic_stack: false
    .vgpr_count:     0
    .vgpr_spill_count: 0
    .wavefront_size: 64
  - .agpr_count:     0
    .args:
      - .offset:         0
        .size:           160
        .value_kind:     by_value
    .group_segment_fixed_size: 0
    .kernarg_segment_align: 8
    .kernarg_segment_size: 160
    .language:       OpenCL C
    .language_version:
      - 2
      - 0
    .max_flat_workgroup_size: 256
    .name:           _ZN7rocprim17ROCPRIM_400000_NS6detail17trampoline_kernelINS0_14default_configENS1_27scan_by_key_config_selectorIj11FixedVectorIiLj8EEEEZZNS1_16scan_by_key_implILNS1_25lookback_scan_determinismE0ELb0ES3_N6thrust23THRUST_200600_302600_NS6detail15normal_iteratorINSB_10device_ptrIjEEEENSD_INSE_IS6_EEEESI_S6_NSB_4plusIvEENSB_8equal_toIvEES6_EE10hipError_tPvRmT2_T3_T4_T5_mT6_T7_P12ihipStream_tbENKUlT_T0_E_clISt17integral_constantIbLb0EES13_EEDaSY_SZ_EUlSY_E_NS1_11comp_targetILNS1_3genE8ELNS1_11target_archE1030ELNS1_3gpuE2ELNS1_3repE0EEENS1_30default_config_static_selectorELNS0_4arch9wavefront6targetE1EEEvT1_
    .private_segment_fixed_size: 0
    .sgpr_count:     4
    .sgpr_spill_count: 0
    .symbol:         _ZN7rocprim17ROCPRIM_400000_NS6detail17trampoline_kernelINS0_14default_configENS1_27scan_by_key_config_selectorIj11FixedVectorIiLj8EEEEZZNS1_16scan_by_key_implILNS1_25lookback_scan_determinismE0ELb0ES3_N6thrust23THRUST_200600_302600_NS6detail15normal_iteratorINSB_10device_ptrIjEEEENSD_INSE_IS6_EEEESI_S6_NSB_4plusIvEENSB_8equal_toIvEES6_EE10hipError_tPvRmT2_T3_T4_T5_mT6_T7_P12ihipStream_tbENKUlT_T0_E_clISt17integral_constantIbLb0EES13_EEDaSY_SZ_EUlSY_E_NS1_11comp_targetILNS1_3genE8ELNS1_11target_archE1030ELNS1_3gpuE2ELNS1_3repE0EEENS1_30default_config_static_selectorELNS0_4arch9wavefront6targetE1EEEvT1_.kd
    .uniform_work_group_size: 1
    .uses_dynamic_stack: false
    .vgpr_count:     0
    .vgpr_spill_count: 0
    .wavefront_size: 64
  - .agpr_count:     0
    .args:
      - .offset:         0
        .size:           24
        .value_kind:     by_value
      - .offset:         24
        .size:           4
        .value_kind:     by_value
      - .offset:         28
        .size:           4
        .value_kind:     by_value
      - .address_space:  global
        .offset:         32
        .size:           8
        .value_kind:     global_buffer
      - .address_space:  global
        .offset:         40
        .size:           8
        .value_kind:     global_buffer
      - .actual_access:  write_only
        .address_space:  global
        .offset:         48
        .size:           8
        .value_kind:     global_buffer
      - .offset:         56
        .size:           8
        .value_kind:     by_value
      - .offset:         64
        .size:           4
        .value_kind:     by_value
      - .address_space:  global
        .offset:         72
        .size:           8
        .value_kind:     global_buffer
      - .offset:         80
        .size:           4
        .value_kind:     hidden_block_count_x
      - .offset:         84
        .size:           4
        .value_kind:     hidden_block_count_y
      - .offset:         88
        .size:           4
        .value_kind:     hidden_block_count_z
      - .offset:         92
        .size:           2
        .value_kind:     hidden_group_size_x
      - .offset:         94
        .size:           2
        .value_kind:     hidden_group_size_y
      - .offset:         96
        .size:           2
        .value_kind:     hidden_group_size_z
      - .offset:         98
        .size:           2
        .value_kind:     hidden_remainder_x
      - .offset:         100
        .size:           2
        .value_kind:     hidden_remainder_y
      - .offset:         102
        .size:           2
        .value_kind:     hidden_remainder_z
      - .offset:         120
        .size:           8
        .value_kind:     hidden_global_offset_x
      - .offset:         128
        .size:           8
        .value_kind:     hidden_global_offset_y
      - .offset:         136
        .size:           8
        .value_kind:     hidden_global_offset_z
      - .offset:         144
        .size:           2
        .value_kind:     hidden_grid_dims
    .group_segment_fixed_size: 0
    .kernarg_segment_align: 8
    .kernarg_segment_size: 336
    .language:       OpenCL C
    .language_version:
      - 2
      - 0
    .max_flat_workgroup_size: 256
    .name:           _ZN7rocprim17ROCPRIM_400000_NS6detail30init_device_scan_by_key_kernelINS1_19lookback_scan_stateINS0_5tupleIJ11FixedVectorIiLj8EEbEEELb1ELb0EEEN6thrust23THRUST_200600_302600_NS6detail15normal_iteratorINSA_10device_ptrIjEEEEjNS1_16block_id_wrapperIjLb1EEEEEvT_jjPNSI_10value_typeET0_PNSt15iterator_traitsISL_E10value_typeEmT1_T2_
    .private_segment_fixed_size: 40
    .sgpr_count:     32
    .sgpr_spill_count: 0
    .symbol:         _ZN7rocprim17ROCPRIM_400000_NS6detail30init_device_scan_by_key_kernelINS1_19lookback_scan_stateINS0_5tupleIJ11FixedVectorIiLj8EEbEEELb1ELb0EEEN6thrust23THRUST_200600_302600_NS6detail15normal_iteratorINSA_10device_ptrIjEEEEjNS1_16block_id_wrapperIjLb1EEEEEvT_jjPNSI_10value_typeET0_PNSt15iterator_traitsISL_E10value_typeEmT1_T2_.kd
    .uniform_work_group_size: 1
    .uses_dynamic_stack: false
    .vgpr_count:     11
    .vgpr_spill_count: 0
    .wavefront_size: 64
  - .agpr_count:     0
    .args:
      - .offset:         0
        .size:           24
        .value_kind:     by_value
      - .offset:         24
        .size:           4
        .value_kind:     by_value
      - .offset:         28
        .size:           4
        .value_kind:     by_value
      - .address_space:  global
        .offset:         32
        .size:           8
        .value_kind:     global_buffer
      - .address_space:  global
        .offset:         40
        .size:           8
        .value_kind:     global_buffer
      - .offset:         48
        .size:           4
        .value_kind:     hidden_block_count_x
      - .offset:         52
        .size:           4
        .value_kind:     hidden_block_count_y
      - .offset:         56
        .size:           4
        .value_kind:     hidden_block_count_z
      - .offset:         60
        .size:           2
        .value_kind:     hidden_group_size_x
      - .offset:         62
        .size:           2
        .value_kind:     hidden_group_size_y
      - .offset:         64
        .size:           2
        .value_kind:     hidden_group_size_z
      - .offset:         66
        .size:           2
        .value_kind:     hidden_remainder_x
      - .offset:         68
        .size:           2
        .value_kind:     hidden_remainder_y
      - .offset:         70
        .size:           2
        .value_kind:     hidden_remainder_z
      - .offset:         88
        .size:           8
        .value_kind:     hidden_global_offset_x
      - .offset:         96
        .size:           8
        .value_kind:     hidden_global_offset_y
      - .offset:         104
        .size:           8
        .value_kind:     hidden_global_offset_z
      - .offset:         112
        .size:           2
        .value_kind:     hidden_grid_dims
    .group_segment_fixed_size: 0
    .kernarg_segment_align: 8
    .kernarg_segment_size: 304
    .language:       OpenCL C
    .language_version:
      - 2
      - 0
    .max_flat_workgroup_size: 256
    .name:           _ZN7rocprim17ROCPRIM_400000_NS6detail30init_device_scan_by_key_kernelINS1_19lookback_scan_stateINS0_5tupleIJ11FixedVectorIiLj8EEbEEELb1ELb0EEENS1_16block_id_wrapperIjLb1EEEEEvT_jjPNSB_10value_typeET0_
    .private_segment_fixed_size: 40
    .sgpr_count:     28
    .sgpr_spill_count: 0
    .symbol:         _ZN7rocprim17ROCPRIM_400000_NS6detail30init_device_scan_by_key_kernelINS1_19lookback_scan_stateINS0_5tupleIJ11FixedVectorIiLj8EEbEEELb1ELb0EEENS1_16block_id_wrapperIjLb1EEEEEvT_jjPNSB_10value_typeET0_.kd
    .uniform_work_group_size: 1
    .uses_dynamic_stack: false
    .vgpr_count:     11
    .vgpr_spill_count: 0
    .wavefront_size: 64
  - .agpr_count:     0
    .args:
      - .offset:         0
        .size:           160
        .value_kind:     by_value
    .group_segment_fixed_size: 0
    .kernarg_segment_align: 8
    .kernarg_segment_size: 160
    .language:       OpenCL C
    .language_version:
      - 2
      - 0
    .max_flat_workgroup_size: 256
    .name:           _ZN7rocprim17ROCPRIM_400000_NS6detail17trampoline_kernelINS0_14default_configENS1_27scan_by_key_config_selectorIj11FixedVectorIiLj8EEEEZZNS1_16scan_by_key_implILNS1_25lookback_scan_determinismE0ELb0ES3_N6thrust23THRUST_200600_302600_NS6detail15normal_iteratorINSB_10device_ptrIjEEEENSD_INSE_IS6_EEEESI_S6_NSB_4plusIvEENSB_8equal_toIvEES6_EE10hipError_tPvRmT2_T3_T4_T5_mT6_T7_P12ihipStream_tbENKUlT_T0_E_clISt17integral_constantIbLb1EES13_EEDaSY_SZ_EUlSY_E_NS1_11comp_targetILNS1_3genE0ELNS1_11target_archE4294967295ELNS1_3gpuE0ELNS1_3repE0EEENS1_30default_config_static_selectorELNS0_4arch9wavefront6targetE1EEEvT1_
    .private_segment_fixed_size: 0
    .sgpr_count:     4
    .sgpr_spill_count: 0
    .symbol:         _ZN7rocprim17ROCPRIM_400000_NS6detail17trampoline_kernelINS0_14default_configENS1_27scan_by_key_config_selectorIj11FixedVectorIiLj8EEEEZZNS1_16scan_by_key_implILNS1_25lookback_scan_determinismE0ELb0ES3_N6thrust23THRUST_200600_302600_NS6detail15normal_iteratorINSB_10device_ptrIjEEEENSD_INSE_IS6_EEEESI_S6_NSB_4plusIvEENSB_8equal_toIvEES6_EE10hipError_tPvRmT2_T3_T4_T5_mT6_T7_P12ihipStream_tbENKUlT_T0_E_clISt17integral_constantIbLb1EES13_EEDaSY_SZ_EUlSY_E_NS1_11comp_targetILNS1_3genE0ELNS1_11target_archE4294967295ELNS1_3gpuE0ELNS1_3repE0EEENS1_30default_config_static_selectorELNS0_4arch9wavefront6targetE1EEEvT1_.kd
    .uniform_work_group_size: 1
    .uses_dynamic_stack: false
    .vgpr_count:     0
    .vgpr_spill_count: 0
    .wavefront_size: 64
  - .agpr_count:     0
    .args:
      - .offset:         0
        .size:           160
        .value_kind:     by_value
    .group_segment_fixed_size: 0
    .kernarg_segment_align: 8
    .kernarg_segment_size: 160
    .language:       OpenCL C
    .language_version:
      - 2
      - 0
    .max_flat_workgroup_size: 256
    .name:           _ZN7rocprim17ROCPRIM_400000_NS6detail17trampoline_kernelINS0_14default_configENS1_27scan_by_key_config_selectorIj11FixedVectorIiLj8EEEEZZNS1_16scan_by_key_implILNS1_25lookback_scan_determinismE0ELb0ES3_N6thrust23THRUST_200600_302600_NS6detail15normal_iteratorINSB_10device_ptrIjEEEENSD_INSE_IS6_EEEESI_S6_NSB_4plusIvEENSB_8equal_toIvEES6_EE10hipError_tPvRmT2_T3_T4_T5_mT6_T7_P12ihipStream_tbENKUlT_T0_E_clISt17integral_constantIbLb1EES13_EEDaSY_SZ_EUlSY_E_NS1_11comp_targetILNS1_3genE10ELNS1_11target_archE1201ELNS1_3gpuE5ELNS1_3repE0EEENS1_30default_config_static_selectorELNS0_4arch9wavefront6targetE1EEEvT1_
    .private_segment_fixed_size: 0
    .sgpr_count:     4
    .sgpr_spill_count: 0
    .symbol:         _ZN7rocprim17ROCPRIM_400000_NS6detail17trampoline_kernelINS0_14default_configENS1_27scan_by_key_config_selectorIj11FixedVectorIiLj8EEEEZZNS1_16scan_by_key_implILNS1_25lookback_scan_determinismE0ELb0ES3_N6thrust23THRUST_200600_302600_NS6detail15normal_iteratorINSB_10device_ptrIjEEEENSD_INSE_IS6_EEEESI_S6_NSB_4plusIvEENSB_8equal_toIvEES6_EE10hipError_tPvRmT2_T3_T4_T5_mT6_T7_P12ihipStream_tbENKUlT_T0_E_clISt17integral_constantIbLb1EES13_EEDaSY_SZ_EUlSY_E_NS1_11comp_targetILNS1_3genE10ELNS1_11target_archE1201ELNS1_3gpuE5ELNS1_3repE0EEENS1_30default_config_static_selectorELNS0_4arch9wavefront6targetE1EEEvT1_.kd
    .uniform_work_group_size: 1
    .uses_dynamic_stack: false
    .vgpr_count:     0
    .vgpr_spill_count: 0
    .wavefront_size: 64
  - .agpr_count:     0
    .args:
      - .offset:         0
        .size:           160
        .value_kind:     by_value
    .group_segment_fixed_size: 0
    .kernarg_segment_align: 8
    .kernarg_segment_size: 160
    .language:       OpenCL C
    .language_version:
      - 2
      - 0
    .max_flat_workgroup_size: 256
    .name:           _ZN7rocprim17ROCPRIM_400000_NS6detail17trampoline_kernelINS0_14default_configENS1_27scan_by_key_config_selectorIj11FixedVectorIiLj8EEEEZZNS1_16scan_by_key_implILNS1_25lookback_scan_determinismE0ELb0ES3_N6thrust23THRUST_200600_302600_NS6detail15normal_iteratorINSB_10device_ptrIjEEEENSD_INSE_IS6_EEEESI_S6_NSB_4plusIvEENSB_8equal_toIvEES6_EE10hipError_tPvRmT2_T3_T4_T5_mT6_T7_P12ihipStream_tbENKUlT_T0_E_clISt17integral_constantIbLb1EES13_EEDaSY_SZ_EUlSY_E_NS1_11comp_targetILNS1_3genE5ELNS1_11target_archE942ELNS1_3gpuE9ELNS1_3repE0EEENS1_30default_config_static_selectorELNS0_4arch9wavefront6targetE1EEEvT1_
    .private_segment_fixed_size: 0
    .sgpr_count:     4
    .sgpr_spill_count: 0
    .symbol:         _ZN7rocprim17ROCPRIM_400000_NS6detail17trampoline_kernelINS0_14default_configENS1_27scan_by_key_config_selectorIj11FixedVectorIiLj8EEEEZZNS1_16scan_by_key_implILNS1_25lookback_scan_determinismE0ELb0ES3_N6thrust23THRUST_200600_302600_NS6detail15normal_iteratorINSB_10device_ptrIjEEEENSD_INSE_IS6_EEEESI_S6_NSB_4plusIvEENSB_8equal_toIvEES6_EE10hipError_tPvRmT2_T3_T4_T5_mT6_T7_P12ihipStream_tbENKUlT_T0_E_clISt17integral_constantIbLb1EES13_EEDaSY_SZ_EUlSY_E_NS1_11comp_targetILNS1_3genE5ELNS1_11target_archE942ELNS1_3gpuE9ELNS1_3repE0EEENS1_30default_config_static_selectorELNS0_4arch9wavefront6targetE1EEEvT1_.kd
    .uniform_work_group_size: 1
    .uses_dynamic_stack: false
    .vgpr_count:     0
    .vgpr_spill_count: 0
    .wavefront_size: 64
  - .agpr_count:     0
    .args:
      - .offset:         0
        .size:           160
        .value_kind:     by_value
    .group_segment_fixed_size: 32768
    .kernarg_segment_align: 8
    .kernarg_segment_size: 160
    .language:       OpenCL C
    .language_version:
      - 2
      - 0
    .max_flat_workgroup_size: 256
    .name:           _ZN7rocprim17ROCPRIM_400000_NS6detail17trampoline_kernelINS0_14default_configENS1_27scan_by_key_config_selectorIj11FixedVectorIiLj8EEEEZZNS1_16scan_by_key_implILNS1_25lookback_scan_determinismE0ELb0ES3_N6thrust23THRUST_200600_302600_NS6detail15normal_iteratorINSB_10device_ptrIjEEEENSD_INSE_IS6_EEEESI_S6_NSB_4plusIvEENSB_8equal_toIvEES6_EE10hipError_tPvRmT2_T3_T4_T5_mT6_T7_P12ihipStream_tbENKUlT_T0_E_clISt17integral_constantIbLb1EES13_EEDaSY_SZ_EUlSY_E_NS1_11comp_targetILNS1_3genE4ELNS1_11target_archE910ELNS1_3gpuE8ELNS1_3repE0EEENS1_30default_config_static_selectorELNS0_4arch9wavefront6targetE1EEEvT1_
    .private_segment_fixed_size: 400
    .sgpr_count:     61
    .sgpr_spill_count: 0
    .symbol:         _ZN7rocprim17ROCPRIM_400000_NS6detail17trampoline_kernelINS0_14default_configENS1_27scan_by_key_config_selectorIj11FixedVectorIiLj8EEEEZZNS1_16scan_by_key_implILNS1_25lookback_scan_determinismE0ELb0ES3_N6thrust23THRUST_200600_302600_NS6detail15normal_iteratorINSB_10device_ptrIjEEEENSD_INSE_IS6_EEEESI_S6_NSB_4plusIvEENSB_8equal_toIvEES6_EE10hipError_tPvRmT2_T3_T4_T5_mT6_T7_P12ihipStream_tbENKUlT_T0_E_clISt17integral_constantIbLb1EES13_EEDaSY_SZ_EUlSY_E_NS1_11comp_targetILNS1_3genE4ELNS1_11target_archE910ELNS1_3gpuE8ELNS1_3repE0EEENS1_30default_config_static_selectorELNS0_4arch9wavefront6targetE1EEEvT1_.kd
    .uniform_work_group_size: 1
    .uses_dynamic_stack: false
    .vgpr_count:     45
    .vgpr_spill_count: 0
    .wavefront_size: 64
  - .agpr_count:     0
    .args:
      - .offset:         0
        .size:           160
        .value_kind:     by_value
    .group_segment_fixed_size: 0
    .kernarg_segment_align: 8
    .kernarg_segment_size: 160
    .language:       OpenCL C
    .language_version:
      - 2
      - 0
    .max_flat_workgroup_size: 256
    .name:           _ZN7rocprim17ROCPRIM_400000_NS6detail17trampoline_kernelINS0_14default_configENS1_27scan_by_key_config_selectorIj11FixedVectorIiLj8EEEEZZNS1_16scan_by_key_implILNS1_25lookback_scan_determinismE0ELb0ES3_N6thrust23THRUST_200600_302600_NS6detail15normal_iteratorINSB_10device_ptrIjEEEENSD_INSE_IS6_EEEESI_S6_NSB_4plusIvEENSB_8equal_toIvEES6_EE10hipError_tPvRmT2_T3_T4_T5_mT6_T7_P12ihipStream_tbENKUlT_T0_E_clISt17integral_constantIbLb1EES13_EEDaSY_SZ_EUlSY_E_NS1_11comp_targetILNS1_3genE3ELNS1_11target_archE908ELNS1_3gpuE7ELNS1_3repE0EEENS1_30default_config_static_selectorELNS0_4arch9wavefront6targetE1EEEvT1_
    .private_segment_fixed_size: 0
    .sgpr_count:     4
    .sgpr_spill_count: 0
    .symbol:         _ZN7rocprim17ROCPRIM_400000_NS6detail17trampoline_kernelINS0_14default_configENS1_27scan_by_key_config_selectorIj11FixedVectorIiLj8EEEEZZNS1_16scan_by_key_implILNS1_25lookback_scan_determinismE0ELb0ES3_N6thrust23THRUST_200600_302600_NS6detail15normal_iteratorINSB_10device_ptrIjEEEENSD_INSE_IS6_EEEESI_S6_NSB_4plusIvEENSB_8equal_toIvEES6_EE10hipError_tPvRmT2_T3_T4_T5_mT6_T7_P12ihipStream_tbENKUlT_T0_E_clISt17integral_constantIbLb1EES13_EEDaSY_SZ_EUlSY_E_NS1_11comp_targetILNS1_3genE3ELNS1_11target_archE908ELNS1_3gpuE7ELNS1_3repE0EEENS1_30default_config_static_selectorELNS0_4arch9wavefront6targetE1EEEvT1_.kd
    .uniform_work_group_size: 1
    .uses_dynamic_stack: false
    .vgpr_count:     0
    .vgpr_spill_count: 0
    .wavefront_size: 64
  - .agpr_count:     0
    .args:
      - .offset:         0
        .size:           160
        .value_kind:     by_value
    .group_segment_fixed_size: 0
    .kernarg_segment_align: 8
    .kernarg_segment_size: 160
    .language:       OpenCL C
    .language_version:
      - 2
      - 0
    .max_flat_workgroup_size: 256
    .name:           _ZN7rocprim17ROCPRIM_400000_NS6detail17trampoline_kernelINS0_14default_configENS1_27scan_by_key_config_selectorIj11FixedVectorIiLj8EEEEZZNS1_16scan_by_key_implILNS1_25lookback_scan_determinismE0ELb0ES3_N6thrust23THRUST_200600_302600_NS6detail15normal_iteratorINSB_10device_ptrIjEEEENSD_INSE_IS6_EEEESI_S6_NSB_4plusIvEENSB_8equal_toIvEES6_EE10hipError_tPvRmT2_T3_T4_T5_mT6_T7_P12ihipStream_tbENKUlT_T0_E_clISt17integral_constantIbLb1EES13_EEDaSY_SZ_EUlSY_E_NS1_11comp_targetILNS1_3genE2ELNS1_11target_archE906ELNS1_3gpuE6ELNS1_3repE0EEENS1_30default_config_static_selectorELNS0_4arch9wavefront6targetE1EEEvT1_
    .private_segment_fixed_size: 0
    .sgpr_count:     4
    .sgpr_spill_count: 0
    .symbol:         _ZN7rocprim17ROCPRIM_400000_NS6detail17trampoline_kernelINS0_14default_configENS1_27scan_by_key_config_selectorIj11FixedVectorIiLj8EEEEZZNS1_16scan_by_key_implILNS1_25lookback_scan_determinismE0ELb0ES3_N6thrust23THRUST_200600_302600_NS6detail15normal_iteratorINSB_10device_ptrIjEEEENSD_INSE_IS6_EEEESI_S6_NSB_4plusIvEENSB_8equal_toIvEES6_EE10hipError_tPvRmT2_T3_T4_T5_mT6_T7_P12ihipStream_tbENKUlT_T0_E_clISt17integral_constantIbLb1EES13_EEDaSY_SZ_EUlSY_E_NS1_11comp_targetILNS1_3genE2ELNS1_11target_archE906ELNS1_3gpuE6ELNS1_3repE0EEENS1_30default_config_static_selectorELNS0_4arch9wavefront6targetE1EEEvT1_.kd
    .uniform_work_group_size: 1
    .uses_dynamic_stack: false
    .vgpr_count:     0
    .vgpr_spill_count: 0
    .wavefront_size: 64
  - .agpr_count:     0
    .args:
      - .offset:         0
        .size:           160
        .value_kind:     by_value
    .group_segment_fixed_size: 0
    .kernarg_segment_align: 8
    .kernarg_segment_size: 160
    .language:       OpenCL C
    .language_version:
      - 2
      - 0
    .max_flat_workgroup_size: 256
    .name:           _ZN7rocprim17ROCPRIM_400000_NS6detail17trampoline_kernelINS0_14default_configENS1_27scan_by_key_config_selectorIj11FixedVectorIiLj8EEEEZZNS1_16scan_by_key_implILNS1_25lookback_scan_determinismE0ELb0ES3_N6thrust23THRUST_200600_302600_NS6detail15normal_iteratorINSB_10device_ptrIjEEEENSD_INSE_IS6_EEEESI_S6_NSB_4plusIvEENSB_8equal_toIvEES6_EE10hipError_tPvRmT2_T3_T4_T5_mT6_T7_P12ihipStream_tbENKUlT_T0_E_clISt17integral_constantIbLb1EES13_EEDaSY_SZ_EUlSY_E_NS1_11comp_targetILNS1_3genE10ELNS1_11target_archE1200ELNS1_3gpuE4ELNS1_3repE0EEENS1_30default_config_static_selectorELNS0_4arch9wavefront6targetE1EEEvT1_
    .private_segment_fixed_size: 0
    .sgpr_count:     4
    .sgpr_spill_count: 0
    .symbol:         _ZN7rocprim17ROCPRIM_400000_NS6detail17trampoline_kernelINS0_14default_configENS1_27scan_by_key_config_selectorIj11FixedVectorIiLj8EEEEZZNS1_16scan_by_key_implILNS1_25lookback_scan_determinismE0ELb0ES3_N6thrust23THRUST_200600_302600_NS6detail15normal_iteratorINSB_10device_ptrIjEEEENSD_INSE_IS6_EEEESI_S6_NSB_4plusIvEENSB_8equal_toIvEES6_EE10hipError_tPvRmT2_T3_T4_T5_mT6_T7_P12ihipStream_tbENKUlT_T0_E_clISt17integral_constantIbLb1EES13_EEDaSY_SZ_EUlSY_E_NS1_11comp_targetILNS1_3genE10ELNS1_11target_archE1200ELNS1_3gpuE4ELNS1_3repE0EEENS1_30default_config_static_selectorELNS0_4arch9wavefront6targetE1EEEvT1_.kd
    .uniform_work_group_size: 1
    .uses_dynamic_stack: false
    .vgpr_count:     0
    .vgpr_spill_count: 0
    .wavefront_size: 64
  - .agpr_count:     0
    .args:
      - .offset:         0
        .size:           160
        .value_kind:     by_value
    .group_segment_fixed_size: 0
    .kernarg_segment_align: 8
    .kernarg_segment_size: 160
    .language:       OpenCL C
    .language_version:
      - 2
      - 0
    .max_flat_workgroup_size: 256
    .name:           _ZN7rocprim17ROCPRIM_400000_NS6detail17trampoline_kernelINS0_14default_configENS1_27scan_by_key_config_selectorIj11FixedVectorIiLj8EEEEZZNS1_16scan_by_key_implILNS1_25lookback_scan_determinismE0ELb0ES3_N6thrust23THRUST_200600_302600_NS6detail15normal_iteratorINSB_10device_ptrIjEEEENSD_INSE_IS6_EEEESI_S6_NSB_4plusIvEENSB_8equal_toIvEES6_EE10hipError_tPvRmT2_T3_T4_T5_mT6_T7_P12ihipStream_tbENKUlT_T0_E_clISt17integral_constantIbLb1EES13_EEDaSY_SZ_EUlSY_E_NS1_11comp_targetILNS1_3genE9ELNS1_11target_archE1100ELNS1_3gpuE3ELNS1_3repE0EEENS1_30default_config_static_selectorELNS0_4arch9wavefront6targetE1EEEvT1_
    .private_segment_fixed_size: 0
    .sgpr_count:     4
    .sgpr_spill_count: 0
    .symbol:         _ZN7rocprim17ROCPRIM_400000_NS6detail17trampoline_kernelINS0_14default_configENS1_27scan_by_key_config_selectorIj11FixedVectorIiLj8EEEEZZNS1_16scan_by_key_implILNS1_25lookback_scan_determinismE0ELb0ES3_N6thrust23THRUST_200600_302600_NS6detail15normal_iteratorINSB_10device_ptrIjEEEENSD_INSE_IS6_EEEESI_S6_NSB_4plusIvEENSB_8equal_toIvEES6_EE10hipError_tPvRmT2_T3_T4_T5_mT6_T7_P12ihipStream_tbENKUlT_T0_E_clISt17integral_constantIbLb1EES13_EEDaSY_SZ_EUlSY_E_NS1_11comp_targetILNS1_3genE9ELNS1_11target_archE1100ELNS1_3gpuE3ELNS1_3repE0EEENS1_30default_config_static_selectorELNS0_4arch9wavefront6targetE1EEEvT1_.kd
    .uniform_work_group_size: 1
    .uses_dynamic_stack: false
    .vgpr_count:     0
    .vgpr_spill_count: 0
    .wavefront_size: 64
  - .agpr_count:     0
    .args:
      - .offset:         0
        .size:           160
        .value_kind:     by_value
    .group_segment_fixed_size: 0
    .kernarg_segment_align: 8
    .kernarg_segment_size: 160
    .language:       OpenCL C
    .language_version:
      - 2
      - 0
    .max_flat_workgroup_size: 256
    .name:           _ZN7rocprim17ROCPRIM_400000_NS6detail17trampoline_kernelINS0_14default_configENS1_27scan_by_key_config_selectorIj11FixedVectorIiLj8EEEEZZNS1_16scan_by_key_implILNS1_25lookback_scan_determinismE0ELb0ES3_N6thrust23THRUST_200600_302600_NS6detail15normal_iteratorINSB_10device_ptrIjEEEENSD_INSE_IS6_EEEESI_S6_NSB_4plusIvEENSB_8equal_toIvEES6_EE10hipError_tPvRmT2_T3_T4_T5_mT6_T7_P12ihipStream_tbENKUlT_T0_E_clISt17integral_constantIbLb1EES13_EEDaSY_SZ_EUlSY_E_NS1_11comp_targetILNS1_3genE8ELNS1_11target_archE1030ELNS1_3gpuE2ELNS1_3repE0EEENS1_30default_config_static_selectorELNS0_4arch9wavefront6targetE1EEEvT1_
    .private_segment_fixed_size: 0
    .sgpr_count:     4
    .sgpr_spill_count: 0
    .symbol:         _ZN7rocprim17ROCPRIM_400000_NS6detail17trampoline_kernelINS0_14default_configENS1_27scan_by_key_config_selectorIj11FixedVectorIiLj8EEEEZZNS1_16scan_by_key_implILNS1_25lookback_scan_determinismE0ELb0ES3_N6thrust23THRUST_200600_302600_NS6detail15normal_iteratorINSB_10device_ptrIjEEEENSD_INSE_IS6_EEEESI_S6_NSB_4plusIvEENSB_8equal_toIvEES6_EE10hipError_tPvRmT2_T3_T4_T5_mT6_T7_P12ihipStream_tbENKUlT_T0_E_clISt17integral_constantIbLb1EES13_EEDaSY_SZ_EUlSY_E_NS1_11comp_targetILNS1_3genE8ELNS1_11target_archE1030ELNS1_3gpuE2ELNS1_3repE0EEENS1_30default_config_static_selectorELNS0_4arch9wavefront6targetE1EEEvT1_.kd
    .uniform_work_group_size: 1
    .uses_dynamic_stack: false
    .vgpr_count:     0
    .vgpr_spill_count: 0
    .wavefront_size: 64
  - .agpr_count:     0
    .args:
      - .offset:         0
        .size:           24
        .value_kind:     by_value
      - .offset:         24
        .size:           4
        .value_kind:     by_value
      - .offset:         28
        .size:           4
        .value_kind:     by_value
      - .address_space:  global
        .offset:         32
        .size:           8
        .value_kind:     global_buffer
      - .address_space:  global
        .offset:         40
        .size:           8
        .value_kind:     global_buffer
      - .actual_access:  write_only
        .address_space:  global
        .offset:         48
        .size:           8
        .value_kind:     global_buffer
      - .offset:         56
        .size:           8
        .value_kind:     by_value
      - .offset:         64
        .size:           4
        .value_kind:     by_value
      - .offset:         68
        .size:           1
        .value_kind:     by_value
      - .offset:         72
        .size:           4
        .value_kind:     hidden_block_count_x
      - .offset:         76
        .size:           4
        .value_kind:     hidden_block_count_y
      - .offset:         80
        .size:           4
        .value_kind:     hidden_block_count_z
      - .offset:         84
        .size:           2
        .value_kind:     hidden_group_size_x
      - .offset:         86
        .size:           2
        .value_kind:     hidden_group_size_y
      - .offset:         88
        .size:           2
        .value_kind:     hidden_group_size_z
      - .offset:         90
        .size:           2
        .value_kind:     hidden_remainder_x
      - .offset:         92
        .size:           2
        .value_kind:     hidden_remainder_y
      - .offset:         94
        .size:           2
        .value_kind:     hidden_remainder_z
      - .offset:         112
        .size:           8
        .value_kind:     hidden_global_offset_x
      - .offset:         120
        .size:           8
        .value_kind:     hidden_global_offset_y
      - .offset:         128
        .size:           8
        .value_kind:     hidden_global_offset_z
      - .offset:         136
        .size:           2
        .value_kind:     hidden_grid_dims
    .group_segment_fixed_size: 0
    .kernarg_segment_align: 8
    .kernarg_segment_size: 328
    .language:       OpenCL C
    .language_version:
      - 2
      - 0
    .max_flat_workgroup_size: 256
    .name:           _ZN7rocprim17ROCPRIM_400000_NS6detail30init_device_scan_by_key_kernelINS1_19lookback_scan_stateINS0_5tupleIJ11FixedVectorIiLj8EEbEEELb1ELb0EEEN6thrust23THRUST_200600_302600_NS6detail15normal_iteratorINSA_10device_ptrIjEEEEjNS1_16block_id_wrapperIjLb0EEEEEvT_jjPNSI_10value_typeET0_PNSt15iterator_traitsISL_E10value_typeEmT1_T2_
    .private_segment_fixed_size: 40
    .sgpr_count:     32
    .sgpr_spill_count: 0
    .symbol:         _ZN7rocprim17ROCPRIM_400000_NS6detail30init_device_scan_by_key_kernelINS1_19lookback_scan_stateINS0_5tupleIJ11FixedVectorIiLj8EEbEEELb1ELb0EEEN6thrust23THRUST_200600_302600_NS6detail15normal_iteratorINSA_10device_ptrIjEEEEjNS1_16block_id_wrapperIjLb0EEEEEvT_jjPNSI_10value_typeET0_PNSt15iterator_traitsISL_E10value_typeEmT1_T2_.kd
    .uniform_work_group_size: 1
    .uses_dynamic_stack: false
    .vgpr_count:     11
    .vgpr_spill_count: 0
    .wavefront_size: 64
  - .agpr_count:     0
    .args:
      - .offset:         0
        .size:           24
        .value_kind:     by_value
      - .offset:         24
        .size:           4
        .value_kind:     by_value
      - .offset:         28
        .size:           4
        .value_kind:     by_value
      - .address_space:  global
        .offset:         32
        .size:           8
        .value_kind:     global_buffer
      - .offset:         40
        .size:           1
        .value_kind:     by_value
      - .offset:         48
        .size:           4
        .value_kind:     hidden_block_count_x
      - .offset:         52
        .size:           4
        .value_kind:     hidden_block_count_y
      - .offset:         56
        .size:           4
        .value_kind:     hidden_block_count_z
      - .offset:         60
        .size:           2
        .value_kind:     hidden_group_size_x
      - .offset:         62
        .size:           2
        .value_kind:     hidden_group_size_y
      - .offset:         64
        .size:           2
        .value_kind:     hidden_group_size_z
      - .offset:         66
        .size:           2
        .value_kind:     hidden_remainder_x
      - .offset:         68
        .size:           2
        .value_kind:     hidden_remainder_y
      - .offset:         70
        .size:           2
        .value_kind:     hidden_remainder_z
      - .offset:         88
        .size:           8
        .value_kind:     hidden_global_offset_x
      - .offset:         96
        .size:           8
        .value_kind:     hidden_global_offset_y
      - .offset:         104
        .size:           8
        .value_kind:     hidden_global_offset_z
      - .offset:         112
        .size:           2
        .value_kind:     hidden_grid_dims
    .group_segment_fixed_size: 0
    .kernarg_segment_align: 8
    .kernarg_segment_size: 304
    .language:       OpenCL C
    .language_version:
      - 2
      - 0
    .max_flat_workgroup_size: 256
    .name:           _ZN7rocprim17ROCPRIM_400000_NS6detail30init_device_scan_by_key_kernelINS1_19lookback_scan_stateINS0_5tupleIJ11FixedVectorIiLj8EEbEEELb1ELb0EEENS1_16block_id_wrapperIjLb0EEEEEvT_jjPNSB_10value_typeET0_
    .private_segment_fixed_size: 40
    .sgpr_count:     26
    .sgpr_spill_count: 0
    .symbol:         _ZN7rocprim17ROCPRIM_400000_NS6detail30init_device_scan_by_key_kernelINS1_19lookback_scan_stateINS0_5tupleIJ11FixedVectorIiLj8EEbEEELb1ELb0EEENS1_16block_id_wrapperIjLb0EEEEEvT_jjPNSB_10value_typeET0_.kd
    .uniform_work_group_size: 1
    .uses_dynamic_stack: false
    .vgpr_count:     11
    .vgpr_spill_count: 0
    .wavefront_size: 64
  - .agpr_count:     0
    .args:
      - .offset:         0
        .size:           160
        .value_kind:     by_value
    .group_segment_fixed_size: 0
    .kernarg_segment_align: 8
    .kernarg_segment_size: 160
    .language:       OpenCL C
    .language_version:
      - 2
      - 0
    .max_flat_workgroup_size: 256
    .name:           _ZN7rocprim17ROCPRIM_400000_NS6detail17trampoline_kernelINS0_14default_configENS1_27scan_by_key_config_selectorIj11FixedVectorIiLj8EEEEZZNS1_16scan_by_key_implILNS1_25lookback_scan_determinismE0ELb0ES3_N6thrust23THRUST_200600_302600_NS6detail15normal_iteratorINSB_10device_ptrIjEEEENSD_INSE_IS6_EEEESI_S6_NSB_4plusIvEENSB_8equal_toIvEES6_EE10hipError_tPvRmT2_T3_T4_T5_mT6_T7_P12ihipStream_tbENKUlT_T0_E_clISt17integral_constantIbLb1EES12_IbLb0EEEEDaSY_SZ_EUlSY_E_NS1_11comp_targetILNS1_3genE0ELNS1_11target_archE4294967295ELNS1_3gpuE0ELNS1_3repE0EEENS1_30default_config_static_selectorELNS0_4arch9wavefront6targetE1EEEvT1_
    .private_segment_fixed_size: 0
    .sgpr_count:     4
    .sgpr_spill_count: 0
    .symbol:         _ZN7rocprim17ROCPRIM_400000_NS6detail17trampoline_kernelINS0_14default_configENS1_27scan_by_key_config_selectorIj11FixedVectorIiLj8EEEEZZNS1_16scan_by_key_implILNS1_25lookback_scan_determinismE0ELb0ES3_N6thrust23THRUST_200600_302600_NS6detail15normal_iteratorINSB_10device_ptrIjEEEENSD_INSE_IS6_EEEESI_S6_NSB_4plusIvEENSB_8equal_toIvEES6_EE10hipError_tPvRmT2_T3_T4_T5_mT6_T7_P12ihipStream_tbENKUlT_T0_E_clISt17integral_constantIbLb1EES12_IbLb0EEEEDaSY_SZ_EUlSY_E_NS1_11comp_targetILNS1_3genE0ELNS1_11target_archE4294967295ELNS1_3gpuE0ELNS1_3repE0EEENS1_30default_config_static_selectorELNS0_4arch9wavefront6targetE1EEEvT1_.kd
    .uniform_work_group_size: 1
    .uses_dynamic_stack: false
    .vgpr_count:     0
    .vgpr_spill_count: 0
    .wavefront_size: 64
  - .agpr_count:     0
    .args:
      - .offset:         0
        .size:           160
        .value_kind:     by_value
    .group_segment_fixed_size: 0
    .kernarg_segment_align: 8
    .kernarg_segment_size: 160
    .language:       OpenCL C
    .language_version:
      - 2
      - 0
    .max_flat_workgroup_size: 256
    .name:           _ZN7rocprim17ROCPRIM_400000_NS6detail17trampoline_kernelINS0_14default_configENS1_27scan_by_key_config_selectorIj11FixedVectorIiLj8EEEEZZNS1_16scan_by_key_implILNS1_25lookback_scan_determinismE0ELb0ES3_N6thrust23THRUST_200600_302600_NS6detail15normal_iteratorINSB_10device_ptrIjEEEENSD_INSE_IS6_EEEESI_S6_NSB_4plusIvEENSB_8equal_toIvEES6_EE10hipError_tPvRmT2_T3_T4_T5_mT6_T7_P12ihipStream_tbENKUlT_T0_E_clISt17integral_constantIbLb1EES12_IbLb0EEEEDaSY_SZ_EUlSY_E_NS1_11comp_targetILNS1_3genE10ELNS1_11target_archE1201ELNS1_3gpuE5ELNS1_3repE0EEENS1_30default_config_static_selectorELNS0_4arch9wavefront6targetE1EEEvT1_
    .private_segment_fixed_size: 0
    .sgpr_count:     4
    .sgpr_spill_count: 0
    .symbol:         _ZN7rocprim17ROCPRIM_400000_NS6detail17trampoline_kernelINS0_14default_configENS1_27scan_by_key_config_selectorIj11FixedVectorIiLj8EEEEZZNS1_16scan_by_key_implILNS1_25lookback_scan_determinismE0ELb0ES3_N6thrust23THRUST_200600_302600_NS6detail15normal_iteratorINSB_10device_ptrIjEEEENSD_INSE_IS6_EEEESI_S6_NSB_4plusIvEENSB_8equal_toIvEES6_EE10hipError_tPvRmT2_T3_T4_T5_mT6_T7_P12ihipStream_tbENKUlT_T0_E_clISt17integral_constantIbLb1EES12_IbLb0EEEEDaSY_SZ_EUlSY_E_NS1_11comp_targetILNS1_3genE10ELNS1_11target_archE1201ELNS1_3gpuE5ELNS1_3repE0EEENS1_30default_config_static_selectorELNS0_4arch9wavefront6targetE1EEEvT1_.kd
    .uniform_work_group_size: 1
    .uses_dynamic_stack: false
    .vgpr_count:     0
    .vgpr_spill_count: 0
    .wavefront_size: 64
  - .agpr_count:     0
    .args:
      - .offset:         0
        .size:           160
        .value_kind:     by_value
    .group_segment_fixed_size: 0
    .kernarg_segment_align: 8
    .kernarg_segment_size: 160
    .language:       OpenCL C
    .language_version:
      - 2
      - 0
    .max_flat_workgroup_size: 256
    .name:           _ZN7rocprim17ROCPRIM_400000_NS6detail17trampoline_kernelINS0_14default_configENS1_27scan_by_key_config_selectorIj11FixedVectorIiLj8EEEEZZNS1_16scan_by_key_implILNS1_25lookback_scan_determinismE0ELb0ES3_N6thrust23THRUST_200600_302600_NS6detail15normal_iteratorINSB_10device_ptrIjEEEENSD_INSE_IS6_EEEESI_S6_NSB_4plusIvEENSB_8equal_toIvEES6_EE10hipError_tPvRmT2_T3_T4_T5_mT6_T7_P12ihipStream_tbENKUlT_T0_E_clISt17integral_constantIbLb1EES12_IbLb0EEEEDaSY_SZ_EUlSY_E_NS1_11comp_targetILNS1_3genE5ELNS1_11target_archE942ELNS1_3gpuE9ELNS1_3repE0EEENS1_30default_config_static_selectorELNS0_4arch9wavefront6targetE1EEEvT1_
    .private_segment_fixed_size: 0
    .sgpr_count:     4
    .sgpr_spill_count: 0
    .symbol:         _ZN7rocprim17ROCPRIM_400000_NS6detail17trampoline_kernelINS0_14default_configENS1_27scan_by_key_config_selectorIj11FixedVectorIiLj8EEEEZZNS1_16scan_by_key_implILNS1_25lookback_scan_determinismE0ELb0ES3_N6thrust23THRUST_200600_302600_NS6detail15normal_iteratorINSB_10device_ptrIjEEEENSD_INSE_IS6_EEEESI_S6_NSB_4plusIvEENSB_8equal_toIvEES6_EE10hipError_tPvRmT2_T3_T4_T5_mT6_T7_P12ihipStream_tbENKUlT_T0_E_clISt17integral_constantIbLb1EES12_IbLb0EEEEDaSY_SZ_EUlSY_E_NS1_11comp_targetILNS1_3genE5ELNS1_11target_archE942ELNS1_3gpuE9ELNS1_3repE0EEENS1_30default_config_static_selectorELNS0_4arch9wavefront6targetE1EEEvT1_.kd
    .uniform_work_group_size: 1
    .uses_dynamic_stack: false
    .vgpr_count:     0
    .vgpr_spill_count: 0
    .wavefront_size: 64
  - .agpr_count:     0
    .args:
      - .offset:         0
        .size:           160
        .value_kind:     by_value
    .group_segment_fixed_size: 32768
    .kernarg_segment_align: 8
    .kernarg_segment_size: 160
    .language:       OpenCL C
    .language_version:
      - 2
      - 0
    .max_flat_workgroup_size: 256
    .name:           _ZN7rocprim17ROCPRIM_400000_NS6detail17trampoline_kernelINS0_14default_configENS1_27scan_by_key_config_selectorIj11FixedVectorIiLj8EEEEZZNS1_16scan_by_key_implILNS1_25lookback_scan_determinismE0ELb0ES3_N6thrust23THRUST_200600_302600_NS6detail15normal_iteratorINSB_10device_ptrIjEEEENSD_INSE_IS6_EEEESI_S6_NSB_4plusIvEENSB_8equal_toIvEES6_EE10hipError_tPvRmT2_T3_T4_T5_mT6_T7_P12ihipStream_tbENKUlT_T0_E_clISt17integral_constantIbLb1EES12_IbLb0EEEEDaSY_SZ_EUlSY_E_NS1_11comp_targetILNS1_3genE4ELNS1_11target_archE910ELNS1_3gpuE8ELNS1_3repE0EEENS1_30default_config_static_selectorELNS0_4arch9wavefront6targetE1EEEvT1_
    .private_segment_fixed_size: 400
    .sgpr_count:     57
    .sgpr_spill_count: 0
    .symbol:         _ZN7rocprim17ROCPRIM_400000_NS6detail17trampoline_kernelINS0_14default_configENS1_27scan_by_key_config_selectorIj11FixedVectorIiLj8EEEEZZNS1_16scan_by_key_implILNS1_25lookback_scan_determinismE0ELb0ES3_N6thrust23THRUST_200600_302600_NS6detail15normal_iteratorINSB_10device_ptrIjEEEENSD_INSE_IS6_EEEESI_S6_NSB_4plusIvEENSB_8equal_toIvEES6_EE10hipError_tPvRmT2_T3_T4_T5_mT6_T7_P12ihipStream_tbENKUlT_T0_E_clISt17integral_constantIbLb1EES12_IbLb0EEEEDaSY_SZ_EUlSY_E_NS1_11comp_targetILNS1_3genE4ELNS1_11target_archE910ELNS1_3gpuE8ELNS1_3repE0EEENS1_30default_config_static_selectorELNS0_4arch9wavefront6targetE1EEEvT1_.kd
    .uniform_work_group_size: 1
    .uses_dynamic_stack: false
    .vgpr_count:     45
    .vgpr_spill_count: 0
    .wavefront_size: 64
  - .agpr_count:     0
    .args:
      - .offset:         0
        .size:           160
        .value_kind:     by_value
    .group_segment_fixed_size: 0
    .kernarg_segment_align: 8
    .kernarg_segment_size: 160
    .language:       OpenCL C
    .language_version:
      - 2
      - 0
    .max_flat_workgroup_size: 256
    .name:           _ZN7rocprim17ROCPRIM_400000_NS6detail17trampoline_kernelINS0_14default_configENS1_27scan_by_key_config_selectorIj11FixedVectorIiLj8EEEEZZNS1_16scan_by_key_implILNS1_25lookback_scan_determinismE0ELb0ES3_N6thrust23THRUST_200600_302600_NS6detail15normal_iteratorINSB_10device_ptrIjEEEENSD_INSE_IS6_EEEESI_S6_NSB_4plusIvEENSB_8equal_toIvEES6_EE10hipError_tPvRmT2_T3_T4_T5_mT6_T7_P12ihipStream_tbENKUlT_T0_E_clISt17integral_constantIbLb1EES12_IbLb0EEEEDaSY_SZ_EUlSY_E_NS1_11comp_targetILNS1_3genE3ELNS1_11target_archE908ELNS1_3gpuE7ELNS1_3repE0EEENS1_30default_config_static_selectorELNS0_4arch9wavefront6targetE1EEEvT1_
    .private_segment_fixed_size: 0
    .sgpr_count:     4
    .sgpr_spill_count: 0
    .symbol:         _ZN7rocprim17ROCPRIM_400000_NS6detail17trampoline_kernelINS0_14default_configENS1_27scan_by_key_config_selectorIj11FixedVectorIiLj8EEEEZZNS1_16scan_by_key_implILNS1_25lookback_scan_determinismE0ELb0ES3_N6thrust23THRUST_200600_302600_NS6detail15normal_iteratorINSB_10device_ptrIjEEEENSD_INSE_IS6_EEEESI_S6_NSB_4plusIvEENSB_8equal_toIvEES6_EE10hipError_tPvRmT2_T3_T4_T5_mT6_T7_P12ihipStream_tbENKUlT_T0_E_clISt17integral_constantIbLb1EES12_IbLb0EEEEDaSY_SZ_EUlSY_E_NS1_11comp_targetILNS1_3genE3ELNS1_11target_archE908ELNS1_3gpuE7ELNS1_3repE0EEENS1_30default_config_static_selectorELNS0_4arch9wavefront6targetE1EEEvT1_.kd
    .uniform_work_group_size: 1
    .uses_dynamic_stack: false
    .vgpr_count:     0
    .vgpr_spill_count: 0
    .wavefront_size: 64
  - .agpr_count:     0
    .args:
      - .offset:         0
        .size:           160
        .value_kind:     by_value
    .group_segment_fixed_size: 0
    .kernarg_segment_align: 8
    .kernarg_segment_size: 160
    .language:       OpenCL C
    .language_version:
      - 2
      - 0
    .max_flat_workgroup_size: 256
    .name:           _ZN7rocprim17ROCPRIM_400000_NS6detail17trampoline_kernelINS0_14default_configENS1_27scan_by_key_config_selectorIj11FixedVectorIiLj8EEEEZZNS1_16scan_by_key_implILNS1_25lookback_scan_determinismE0ELb0ES3_N6thrust23THRUST_200600_302600_NS6detail15normal_iteratorINSB_10device_ptrIjEEEENSD_INSE_IS6_EEEESI_S6_NSB_4plusIvEENSB_8equal_toIvEES6_EE10hipError_tPvRmT2_T3_T4_T5_mT6_T7_P12ihipStream_tbENKUlT_T0_E_clISt17integral_constantIbLb1EES12_IbLb0EEEEDaSY_SZ_EUlSY_E_NS1_11comp_targetILNS1_3genE2ELNS1_11target_archE906ELNS1_3gpuE6ELNS1_3repE0EEENS1_30default_config_static_selectorELNS0_4arch9wavefront6targetE1EEEvT1_
    .private_segment_fixed_size: 0
    .sgpr_count:     4
    .sgpr_spill_count: 0
    .symbol:         _ZN7rocprim17ROCPRIM_400000_NS6detail17trampoline_kernelINS0_14default_configENS1_27scan_by_key_config_selectorIj11FixedVectorIiLj8EEEEZZNS1_16scan_by_key_implILNS1_25lookback_scan_determinismE0ELb0ES3_N6thrust23THRUST_200600_302600_NS6detail15normal_iteratorINSB_10device_ptrIjEEEENSD_INSE_IS6_EEEESI_S6_NSB_4plusIvEENSB_8equal_toIvEES6_EE10hipError_tPvRmT2_T3_T4_T5_mT6_T7_P12ihipStream_tbENKUlT_T0_E_clISt17integral_constantIbLb1EES12_IbLb0EEEEDaSY_SZ_EUlSY_E_NS1_11comp_targetILNS1_3genE2ELNS1_11target_archE906ELNS1_3gpuE6ELNS1_3repE0EEENS1_30default_config_static_selectorELNS0_4arch9wavefront6targetE1EEEvT1_.kd
    .uniform_work_group_size: 1
    .uses_dynamic_stack: false
    .vgpr_count:     0
    .vgpr_spill_count: 0
    .wavefront_size: 64
  - .agpr_count:     0
    .args:
      - .offset:         0
        .size:           160
        .value_kind:     by_value
    .group_segment_fixed_size: 0
    .kernarg_segment_align: 8
    .kernarg_segment_size: 160
    .language:       OpenCL C
    .language_version:
      - 2
      - 0
    .max_flat_workgroup_size: 256
    .name:           _ZN7rocprim17ROCPRIM_400000_NS6detail17trampoline_kernelINS0_14default_configENS1_27scan_by_key_config_selectorIj11FixedVectorIiLj8EEEEZZNS1_16scan_by_key_implILNS1_25lookback_scan_determinismE0ELb0ES3_N6thrust23THRUST_200600_302600_NS6detail15normal_iteratorINSB_10device_ptrIjEEEENSD_INSE_IS6_EEEESI_S6_NSB_4plusIvEENSB_8equal_toIvEES6_EE10hipError_tPvRmT2_T3_T4_T5_mT6_T7_P12ihipStream_tbENKUlT_T0_E_clISt17integral_constantIbLb1EES12_IbLb0EEEEDaSY_SZ_EUlSY_E_NS1_11comp_targetILNS1_3genE10ELNS1_11target_archE1200ELNS1_3gpuE4ELNS1_3repE0EEENS1_30default_config_static_selectorELNS0_4arch9wavefront6targetE1EEEvT1_
    .private_segment_fixed_size: 0
    .sgpr_count:     4
    .sgpr_spill_count: 0
    .symbol:         _ZN7rocprim17ROCPRIM_400000_NS6detail17trampoline_kernelINS0_14default_configENS1_27scan_by_key_config_selectorIj11FixedVectorIiLj8EEEEZZNS1_16scan_by_key_implILNS1_25lookback_scan_determinismE0ELb0ES3_N6thrust23THRUST_200600_302600_NS6detail15normal_iteratorINSB_10device_ptrIjEEEENSD_INSE_IS6_EEEESI_S6_NSB_4plusIvEENSB_8equal_toIvEES6_EE10hipError_tPvRmT2_T3_T4_T5_mT6_T7_P12ihipStream_tbENKUlT_T0_E_clISt17integral_constantIbLb1EES12_IbLb0EEEEDaSY_SZ_EUlSY_E_NS1_11comp_targetILNS1_3genE10ELNS1_11target_archE1200ELNS1_3gpuE4ELNS1_3repE0EEENS1_30default_config_static_selectorELNS0_4arch9wavefront6targetE1EEEvT1_.kd
    .uniform_work_group_size: 1
    .uses_dynamic_stack: false
    .vgpr_count:     0
    .vgpr_spill_count: 0
    .wavefront_size: 64
  - .agpr_count:     0
    .args:
      - .offset:         0
        .size:           160
        .value_kind:     by_value
    .group_segment_fixed_size: 0
    .kernarg_segment_align: 8
    .kernarg_segment_size: 160
    .language:       OpenCL C
    .language_version:
      - 2
      - 0
    .max_flat_workgroup_size: 256
    .name:           _ZN7rocprim17ROCPRIM_400000_NS6detail17trampoline_kernelINS0_14default_configENS1_27scan_by_key_config_selectorIj11FixedVectorIiLj8EEEEZZNS1_16scan_by_key_implILNS1_25lookback_scan_determinismE0ELb0ES3_N6thrust23THRUST_200600_302600_NS6detail15normal_iteratorINSB_10device_ptrIjEEEENSD_INSE_IS6_EEEESI_S6_NSB_4plusIvEENSB_8equal_toIvEES6_EE10hipError_tPvRmT2_T3_T4_T5_mT6_T7_P12ihipStream_tbENKUlT_T0_E_clISt17integral_constantIbLb1EES12_IbLb0EEEEDaSY_SZ_EUlSY_E_NS1_11comp_targetILNS1_3genE9ELNS1_11target_archE1100ELNS1_3gpuE3ELNS1_3repE0EEENS1_30default_config_static_selectorELNS0_4arch9wavefront6targetE1EEEvT1_
    .private_segment_fixed_size: 0
    .sgpr_count:     4
    .sgpr_spill_count: 0
    .symbol:         _ZN7rocprim17ROCPRIM_400000_NS6detail17trampoline_kernelINS0_14default_configENS1_27scan_by_key_config_selectorIj11FixedVectorIiLj8EEEEZZNS1_16scan_by_key_implILNS1_25lookback_scan_determinismE0ELb0ES3_N6thrust23THRUST_200600_302600_NS6detail15normal_iteratorINSB_10device_ptrIjEEEENSD_INSE_IS6_EEEESI_S6_NSB_4plusIvEENSB_8equal_toIvEES6_EE10hipError_tPvRmT2_T3_T4_T5_mT6_T7_P12ihipStream_tbENKUlT_T0_E_clISt17integral_constantIbLb1EES12_IbLb0EEEEDaSY_SZ_EUlSY_E_NS1_11comp_targetILNS1_3genE9ELNS1_11target_archE1100ELNS1_3gpuE3ELNS1_3repE0EEENS1_30default_config_static_selectorELNS0_4arch9wavefront6targetE1EEEvT1_.kd
    .uniform_work_group_size: 1
    .uses_dynamic_stack: false
    .vgpr_count:     0
    .vgpr_spill_count: 0
    .wavefront_size: 64
  - .agpr_count:     0
    .args:
      - .offset:         0
        .size:           160
        .value_kind:     by_value
    .group_segment_fixed_size: 0
    .kernarg_segment_align: 8
    .kernarg_segment_size: 160
    .language:       OpenCL C
    .language_version:
      - 2
      - 0
    .max_flat_workgroup_size: 256
    .name:           _ZN7rocprim17ROCPRIM_400000_NS6detail17trampoline_kernelINS0_14default_configENS1_27scan_by_key_config_selectorIj11FixedVectorIiLj8EEEEZZNS1_16scan_by_key_implILNS1_25lookback_scan_determinismE0ELb0ES3_N6thrust23THRUST_200600_302600_NS6detail15normal_iteratorINSB_10device_ptrIjEEEENSD_INSE_IS6_EEEESI_S6_NSB_4plusIvEENSB_8equal_toIvEES6_EE10hipError_tPvRmT2_T3_T4_T5_mT6_T7_P12ihipStream_tbENKUlT_T0_E_clISt17integral_constantIbLb1EES12_IbLb0EEEEDaSY_SZ_EUlSY_E_NS1_11comp_targetILNS1_3genE8ELNS1_11target_archE1030ELNS1_3gpuE2ELNS1_3repE0EEENS1_30default_config_static_selectorELNS0_4arch9wavefront6targetE1EEEvT1_
    .private_segment_fixed_size: 0
    .sgpr_count:     4
    .sgpr_spill_count: 0
    .symbol:         _ZN7rocprim17ROCPRIM_400000_NS6detail17trampoline_kernelINS0_14default_configENS1_27scan_by_key_config_selectorIj11FixedVectorIiLj8EEEEZZNS1_16scan_by_key_implILNS1_25lookback_scan_determinismE0ELb0ES3_N6thrust23THRUST_200600_302600_NS6detail15normal_iteratorINSB_10device_ptrIjEEEENSD_INSE_IS6_EEEESI_S6_NSB_4plusIvEENSB_8equal_toIvEES6_EE10hipError_tPvRmT2_T3_T4_T5_mT6_T7_P12ihipStream_tbENKUlT_T0_E_clISt17integral_constantIbLb1EES12_IbLb0EEEEDaSY_SZ_EUlSY_E_NS1_11comp_targetILNS1_3genE8ELNS1_11target_archE1030ELNS1_3gpuE2ELNS1_3repE0EEENS1_30default_config_static_selectorELNS0_4arch9wavefront6targetE1EEEvT1_.kd
    .uniform_work_group_size: 1
    .uses_dynamic_stack: false
    .vgpr_count:     0
    .vgpr_spill_count: 0
    .wavefront_size: 64
  - .agpr_count:     0
    .args:
      - .offset:         0
        .size:           24
        .value_kind:     by_value
      - .offset:         24
        .size:           4
        .value_kind:     by_value
      - .offset:         28
        .size:           4
        .value_kind:     by_value
      - .address_space:  global
        .offset:         32
        .size:           8
        .value_kind:     global_buffer
      - .address_space:  global
        .offset:         40
        .size:           8
        .value_kind:     global_buffer
      - .actual_access:  write_only
        .address_space:  global
        .offset:         48
        .size:           8
        .value_kind:     global_buffer
      - .offset:         56
        .size:           8
        .value_kind:     by_value
      - .offset:         64
        .size:           4
        .value_kind:     by_value
      - .address_space:  global
        .offset:         72
        .size:           8
        .value_kind:     global_buffer
      - .offset:         80
        .size:           4
        .value_kind:     hidden_block_count_x
      - .offset:         84
        .size:           4
        .value_kind:     hidden_block_count_y
      - .offset:         88
        .size:           4
        .value_kind:     hidden_block_count_z
      - .offset:         92
        .size:           2
        .value_kind:     hidden_group_size_x
      - .offset:         94
        .size:           2
        .value_kind:     hidden_group_size_y
      - .offset:         96
        .size:           2
        .value_kind:     hidden_group_size_z
      - .offset:         98
        .size:           2
        .value_kind:     hidden_remainder_x
      - .offset:         100
        .size:           2
        .value_kind:     hidden_remainder_y
      - .offset:         102
        .size:           2
        .value_kind:     hidden_remainder_z
      - .offset:         120
        .size:           8
        .value_kind:     hidden_global_offset_x
      - .offset:         128
        .size:           8
        .value_kind:     hidden_global_offset_y
      - .offset:         136
        .size:           8
        .value_kind:     hidden_global_offset_z
      - .offset:         144
        .size:           2
        .value_kind:     hidden_grid_dims
    .group_segment_fixed_size: 0
    .kernarg_segment_align: 8
    .kernarg_segment_size: 336
    .language:       OpenCL C
    .language_version:
      - 2
      - 0
    .max_flat_workgroup_size: 256
    .name:           _ZN7rocprim17ROCPRIM_400000_NS6detail30init_device_scan_by_key_kernelINS1_19lookback_scan_stateINS0_5tupleIJ11FixedVectorIiLj8EEbEEELb0ELb0EEEN6thrust23THRUST_200600_302600_NS6detail15normal_iteratorINSA_10device_ptrIjEEEEjNS1_16block_id_wrapperIjLb1EEEEEvT_jjPNSI_10value_typeET0_PNSt15iterator_traitsISL_E10value_typeEmT1_T2_
    .private_segment_fixed_size: 40
    .sgpr_count:     29
    .sgpr_spill_count: 0
    .symbol:         _ZN7rocprim17ROCPRIM_400000_NS6detail30init_device_scan_by_key_kernelINS1_19lookback_scan_stateINS0_5tupleIJ11FixedVectorIiLj8EEbEEELb0ELb0EEEN6thrust23THRUST_200600_302600_NS6detail15normal_iteratorINSA_10device_ptrIjEEEEjNS1_16block_id_wrapperIjLb1EEEEEvT_jjPNSI_10value_typeET0_PNSt15iterator_traitsISL_E10value_typeEmT1_T2_.kd
    .uniform_work_group_size: 1
    .uses_dynamic_stack: false
    .vgpr_count:     11
    .vgpr_spill_count: 0
    .wavefront_size: 64
  - .agpr_count:     0
    .args:
      - .offset:         0
        .size:           24
        .value_kind:     by_value
      - .offset:         24
        .size:           4
        .value_kind:     by_value
      - .offset:         28
        .size:           4
        .value_kind:     by_value
      - .address_space:  global
        .offset:         32
        .size:           8
        .value_kind:     global_buffer
      - .address_space:  global
        .offset:         40
        .size:           8
        .value_kind:     global_buffer
      - .offset:         48
        .size:           4
        .value_kind:     hidden_block_count_x
      - .offset:         52
        .size:           4
        .value_kind:     hidden_block_count_y
      - .offset:         56
        .size:           4
        .value_kind:     hidden_block_count_z
      - .offset:         60
        .size:           2
        .value_kind:     hidden_group_size_x
      - .offset:         62
        .size:           2
        .value_kind:     hidden_group_size_y
      - .offset:         64
        .size:           2
        .value_kind:     hidden_group_size_z
      - .offset:         66
        .size:           2
        .value_kind:     hidden_remainder_x
      - .offset:         68
        .size:           2
        .value_kind:     hidden_remainder_y
      - .offset:         70
        .size:           2
        .value_kind:     hidden_remainder_z
      - .offset:         88
        .size:           8
        .value_kind:     hidden_global_offset_x
      - .offset:         96
        .size:           8
        .value_kind:     hidden_global_offset_y
      - .offset:         104
        .size:           8
        .value_kind:     hidden_global_offset_z
      - .offset:         112
        .size:           2
        .value_kind:     hidden_grid_dims
    .group_segment_fixed_size: 0
    .kernarg_segment_align: 8
    .kernarg_segment_size: 304
    .language:       OpenCL C
    .language_version:
      - 2
      - 0
    .max_flat_workgroup_size: 256
    .name:           _ZN7rocprim17ROCPRIM_400000_NS6detail30init_device_scan_by_key_kernelINS1_19lookback_scan_stateINS0_5tupleIJ11FixedVectorIiLj8EEbEEELb0ELb0EEENS1_16block_id_wrapperIjLb1EEEEEvT_jjPNSB_10value_typeET0_
    .private_segment_fixed_size: 40
    .sgpr_count:     25
    .sgpr_spill_count: 0
    .symbol:         _ZN7rocprim17ROCPRIM_400000_NS6detail30init_device_scan_by_key_kernelINS1_19lookback_scan_stateINS0_5tupleIJ11FixedVectorIiLj8EEbEEELb0ELb0EEENS1_16block_id_wrapperIjLb1EEEEEvT_jjPNSB_10value_typeET0_.kd
    .uniform_work_group_size: 1
    .uses_dynamic_stack: false
    .vgpr_count:     11
    .vgpr_spill_count: 0
    .wavefront_size: 64
  - .agpr_count:     0
    .args:
      - .offset:         0
        .size:           160
        .value_kind:     by_value
    .group_segment_fixed_size: 0
    .kernarg_segment_align: 8
    .kernarg_segment_size: 160
    .language:       OpenCL C
    .language_version:
      - 2
      - 0
    .max_flat_workgroup_size: 256
    .name:           _ZN7rocprim17ROCPRIM_400000_NS6detail17trampoline_kernelINS0_14default_configENS1_27scan_by_key_config_selectorIj11FixedVectorIiLj8EEEEZZNS1_16scan_by_key_implILNS1_25lookback_scan_determinismE0ELb0ES3_N6thrust23THRUST_200600_302600_NS6detail15normal_iteratorINSB_10device_ptrIjEEEENSD_INSE_IS6_EEEESI_S6_NSB_4plusIvEENSB_8equal_toIvEES6_EE10hipError_tPvRmT2_T3_T4_T5_mT6_T7_P12ihipStream_tbENKUlT_T0_E_clISt17integral_constantIbLb0EES12_IbLb1EEEEDaSY_SZ_EUlSY_E_NS1_11comp_targetILNS1_3genE0ELNS1_11target_archE4294967295ELNS1_3gpuE0ELNS1_3repE0EEENS1_30default_config_static_selectorELNS0_4arch9wavefront6targetE1EEEvT1_
    .private_segment_fixed_size: 0
    .sgpr_count:     4
    .sgpr_spill_count: 0
    .symbol:         _ZN7rocprim17ROCPRIM_400000_NS6detail17trampoline_kernelINS0_14default_configENS1_27scan_by_key_config_selectorIj11FixedVectorIiLj8EEEEZZNS1_16scan_by_key_implILNS1_25lookback_scan_determinismE0ELb0ES3_N6thrust23THRUST_200600_302600_NS6detail15normal_iteratorINSB_10device_ptrIjEEEENSD_INSE_IS6_EEEESI_S6_NSB_4plusIvEENSB_8equal_toIvEES6_EE10hipError_tPvRmT2_T3_T4_T5_mT6_T7_P12ihipStream_tbENKUlT_T0_E_clISt17integral_constantIbLb0EES12_IbLb1EEEEDaSY_SZ_EUlSY_E_NS1_11comp_targetILNS1_3genE0ELNS1_11target_archE4294967295ELNS1_3gpuE0ELNS1_3repE0EEENS1_30default_config_static_selectorELNS0_4arch9wavefront6targetE1EEEvT1_.kd
    .uniform_work_group_size: 1
    .uses_dynamic_stack: false
    .vgpr_count:     0
    .vgpr_spill_count: 0
    .wavefront_size: 64
  - .agpr_count:     0
    .args:
      - .offset:         0
        .size:           160
        .value_kind:     by_value
    .group_segment_fixed_size: 0
    .kernarg_segment_align: 8
    .kernarg_segment_size: 160
    .language:       OpenCL C
    .language_version:
      - 2
      - 0
    .max_flat_workgroup_size: 256
    .name:           _ZN7rocprim17ROCPRIM_400000_NS6detail17trampoline_kernelINS0_14default_configENS1_27scan_by_key_config_selectorIj11FixedVectorIiLj8EEEEZZNS1_16scan_by_key_implILNS1_25lookback_scan_determinismE0ELb0ES3_N6thrust23THRUST_200600_302600_NS6detail15normal_iteratorINSB_10device_ptrIjEEEENSD_INSE_IS6_EEEESI_S6_NSB_4plusIvEENSB_8equal_toIvEES6_EE10hipError_tPvRmT2_T3_T4_T5_mT6_T7_P12ihipStream_tbENKUlT_T0_E_clISt17integral_constantIbLb0EES12_IbLb1EEEEDaSY_SZ_EUlSY_E_NS1_11comp_targetILNS1_3genE10ELNS1_11target_archE1201ELNS1_3gpuE5ELNS1_3repE0EEENS1_30default_config_static_selectorELNS0_4arch9wavefront6targetE1EEEvT1_
    .private_segment_fixed_size: 0
    .sgpr_count:     4
    .sgpr_spill_count: 0
    .symbol:         _ZN7rocprim17ROCPRIM_400000_NS6detail17trampoline_kernelINS0_14default_configENS1_27scan_by_key_config_selectorIj11FixedVectorIiLj8EEEEZZNS1_16scan_by_key_implILNS1_25lookback_scan_determinismE0ELb0ES3_N6thrust23THRUST_200600_302600_NS6detail15normal_iteratorINSB_10device_ptrIjEEEENSD_INSE_IS6_EEEESI_S6_NSB_4plusIvEENSB_8equal_toIvEES6_EE10hipError_tPvRmT2_T3_T4_T5_mT6_T7_P12ihipStream_tbENKUlT_T0_E_clISt17integral_constantIbLb0EES12_IbLb1EEEEDaSY_SZ_EUlSY_E_NS1_11comp_targetILNS1_3genE10ELNS1_11target_archE1201ELNS1_3gpuE5ELNS1_3repE0EEENS1_30default_config_static_selectorELNS0_4arch9wavefront6targetE1EEEvT1_.kd
    .uniform_work_group_size: 1
    .uses_dynamic_stack: false
    .vgpr_count:     0
    .vgpr_spill_count: 0
    .wavefront_size: 64
  - .agpr_count:     0
    .args:
      - .offset:         0
        .size:           160
        .value_kind:     by_value
    .group_segment_fixed_size: 0
    .kernarg_segment_align: 8
    .kernarg_segment_size: 160
    .language:       OpenCL C
    .language_version:
      - 2
      - 0
    .max_flat_workgroup_size: 256
    .name:           _ZN7rocprim17ROCPRIM_400000_NS6detail17trampoline_kernelINS0_14default_configENS1_27scan_by_key_config_selectorIj11FixedVectorIiLj8EEEEZZNS1_16scan_by_key_implILNS1_25lookback_scan_determinismE0ELb0ES3_N6thrust23THRUST_200600_302600_NS6detail15normal_iteratorINSB_10device_ptrIjEEEENSD_INSE_IS6_EEEESI_S6_NSB_4plusIvEENSB_8equal_toIvEES6_EE10hipError_tPvRmT2_T3_T4_T5_mT6_T7_P12ihipStream_tbENKUlT_T0_E_clISt17integral_constantIbLb0EES12_IbLb1EEEEDaSY_SZ_EUlSY_E_NS1_11comp_targetILNS1_3genE5ELNS1_11target_archE942ELNS1_3gpuE9ELNS1_3repE0EEENS1_30default_config_static_selectorELNS0_4arch9wavefront6targetE1EEEvT1_
    .private_segment_fixed_size: 0
    .sgpr_count:     4
    .sgpr_spill_count: 0
    .symbol:         _ZN7rocprim17ROCPRIM_400000_NS6detail17trampoline_kernelINS0_14default_configENS1_27scan_by_key_config_selectorIj11FixedVectorIiLj8EEEEZZNS1_16scan_by_key_implILNS1_25lookback_scan_determinismE0ELb0ES3_N6thrust23THRUST_200600_302600_NS6detail15normal_iteratorINSB_10device_ptrIjEEEENSD_INSE_IS6_EEEESI_S6_NSB_4plusIvEENSB_8equal_toIvEES6_EE10hipError_tPvRmT2_T3_T4_T5_mT6_T7_P12ihipStream_tbENKUlT_T0_E_clISt17integral_constantIbLb0EES12_IbLb1EEEEDaSY_SZ_EUlSY_E_NS1_11comp_targetILNS1_3genE5ELNS1_11target_archE942ELNS1_3gpuE9ELNS1_3repE0EEENS1_30default_config_static_selectorELNS0_4arch9wavefront6targetE1EEEvT1_.kd
    .uniform_work_group_size: 1
    .uses_dynamic_stack: false
    .vgpr_count:     0
    .vgpr_spill_count: 0
    .wavefront_size: 64
  - .agpr_count:     0
    .args:
      - .offset:         0
        .size:           160
        .value_kind:     by_value
    .group_segment_fixed_size: 32768
    .kernarg_segment_align: 8
    .kernarg_segment_size: 160
    .language:       OpenCL C
    .language_version:
      - 2
      - 0
    .max_flat_workgroup_size: 256
    .name:           _ZN7rocprim17ROCPRIM_400000_NS6detail17trampoline_kernelINS0_14default_configENS1_27scan_by_key_config_selectorIj11FixedVectorIiLj8EEEEZZNS1_16scan_by_key_implILNS1_25lookback_scan_determinismE0ELb0ES3_N6thrust23THRUST_200600_302600_NS6detail15normal_iteratorINSB_10device_ptrIjEEEENSD_INSE_IS6_EEEESI_S6_NSB_4plusIvEENSB_8equal_toIvEES6_EE10hipError_tPvRmT2_T3_T4_T5_mT6_T7_P12ihipStream_tbENKUlT_T0_E_clISt17integral_constantIbLb0EES12_IbLb1EEEEDaSY_SZ_EUlSY_E_NS1_11comp_targetILNS1_3genE4ELNS1_11target_archE910ELNS1_3gpuE8ELNS1_3repE0EEENS1_30default_config_static_selectorELNS0_4arch9wavefront6targetE1EEEvT1_
    .private_segment_fixed_size: 400
    .sgpr_count:     61
    .sgpr_spill_count: 0
    .symbol:         _ZN7rocprim17ROCPRIM_400000_NS6detail17trampoline_kernelINS0_14default_configENS1_27scan_by_key_config_selectorIj11FixedVectorIiLj8EEEEZZNS1_16scan_by_key_implILNS1_25lookback_scan_determinismE0ELb0ES3_N6thrust23THRUST_200600_302600_NS6detail15normal_iteratorINSB_10device_ptrIjEEEENSD_INSE_IS6_EEEESI_S6_NSB_4plusIvEENSB_8equal_toIvEES6_EE10hipError_tPvRmT2_T3_T4_T5_mT6_T7_P12ihipStream_tbENKUlT_T0_E_clISt17integral_constantIbLb0EES12_IbLb1EEEEDaSY_SZ_EUlSY_E_NS1_11comp_targetILNS1_3genE4ELNS1_11target_archE910ELNS1_3gpuE8ELNS1_3repE0EEENS1_30default_config_static_selectorELNS0_4arch9wavefront6targetE1EEEvT1_.kd
    .uniform_work_group_size: 1
    .uses_dynamic_stack: false
    .vgpr_count:     45
    .vgpr_spill_count: 0
    .wavefront_size: 64
  - .agpr_count:     0
    .args:
      - .offset:         0
        .size:           160
        .value_kind:     by_value
    .group_segment_fixed_size: 0
    .kernarg_segment_align: 8
    .kernarg_segment_size: 160
    .language:       OpenCL C
    .language_version:
      - 2
      - 0
    .max_flat_workgroup_size: 256
    .name:           _ZN7rocprim17ROCPRIM_400000_NS6detail17trampoline_kernelINS0_14default_configENS1_27scan_by_key_config_selectorIj11FixedVectorIiLj8EEEEZZNS1_16scan_by_key_implILNS1_25lookback_scan_determinismE0ELb0ES3_N6thrust23THRUST_200600_302600_NS6detail15normal_iteratorINSB_10device_ptrIjEEEENSD_INSE_IS6_EEEESI_S6_NSB_4plusIvEENSB_8equal_toIvEES6_EE10hipError_tPvRmT2_T3_T4_T5_mT6_T7_P12ihipStream_tbENKUlT_T0_E_clISt17integral_constantIbLb0EES12_IbLb1EEEEDaSY_SZ_EUlSY_E_NS1_11comp_targetILNS1_3genE3ELNS1_11target_archE908ELNS1_3gpuE7ELNS1_3repE0EEENS1_30default_config_static_selectorELNS0_4arch9wavefront6targetE1EEEvT1_
    .private_segment_fixed_size: 0
    .sgpr_count:     4
    .sgpr_spill_count: 0
    .symbol:         _ZN7rocprim17ROCPRIM_400000_NS6detail17trampoline_kernelINS0_14default_configENS1_27scan_by_key_config_selectorIj11FixedVectorIiLj8EEEEZZNS1_16scan_by_key_implILNS1_25lookback_scan_determinismE0ELb0ES3_N6thrust23THRUST_200600_302600_NS6detail15normal_iteratorINSB_10device_ptrIjEEEENSD_INSE_IS6_EEEESI_S6_NSB_4plusIvEENSB_8equal_toIvEES6_EE10hipError_tPvRmT2_T3_T4_T5_mT6_T7_P12ihipStream_tbENKUlT_T0_E_clISt17integral_constantIbLb0EES12_IbLb1EEEEDaSY_SZ_EUlSY_E_NS1_11comp_targetILNS1_3genE3ELNS1_11target_archE908ELNS1_3gpuE7ELNS1_3repE0EEENS1_30default_config_static_selectorELNS0_4arch9wavefront6targetE1EEEvT1_.kd
    .uniform_work_group_size: 1
    .uses_dynamic_stack: false
    .vgpr_count:     0
    .vgpr_spill_count: 0
    .wavefront_size: 64
  - .agpr_count:     0
    .args:
      - .offset:         0
        .size:           160
        .value_kind:     by_value
    .group_segment_fixed_size: 0
    .kernarg_segment_align: 8
    .kernarg_segment_size: 160
    .language:       OpenCL C
    .language_version:
      - 2
      - 0
    .max_flat_workgroup_size: 256
    .name:           _ZN7rocprim17ROCPRIM_400000_NS6detail17trampoline_kernelINS0_14default_configENS1_27scan_by_key_config_selectorIj11FixedVectorIiLj8EEEEZZNS1_16scan_by_key_implILNS1_25lookback_scan_determinismE0ELb0ES3_N6thrust23THRUST_200600_302600_NS6detail15normal_iteratorINSB_10device_ptrIjEEEENSD_INSE_IS6_EEEESI_S6_NSB_4plusIvEENSB_8equal_toIvEES6_EE10hipError_tPvRmT2_T3_T4_T5_mT6_T7_P12ihipStream_tbENKUlT_T0_E_clISt17integral_constantIbLb0EES12_IbLb1EEEEDaSY_SZ_EUlSY_E_NS1_11comp_targetILNS1_3genE2ELNS1_11target_archE906ELNS1_3gpuE6ELNS1_3repE0EEENS1_30default_config_static_selectorELNS0_4arch9wavefront6targetE1EEEvT1_
    .private_segment_fixed_size: 0
    .sgpr_count:     4
    .sgpr_spill_count: 0
    .symbol:         _ZN7rocprim17ROCPRIM_400000_NS6detail17trampoline_kernelINS0_14default_configENS1_27scan_by_key_config_selectorIj11FixedVectorIiLj8EEEEZZNS1_16scan_by_key_implILNS1_25lookback_scan_determinismE0ELb0ES3_N6thrust23THRUST_200600_302600_NS6detail15normal_iteratorINSB_10device_ptrIjEEEENSD_INSE_IS6_EEEESI_S6_NSB_4plusIvEENSB_8equal_toIvEES6_EE10hipError_tPvRmT2_T3_T4_T5_mT6_T7_P12ihipStream_tbENKUlT_T0_E_clISt17integral_constantIbLb0EES12_IbLb1EEEEDaSY_SZ_EUlSY_E_NS1_11comp_targetILNS1_3genE2ELNS1_11target_archE906ELNS1_3gpuE6ELNS1_3repE0EEENS1_30default_config_static_selectorELNS0_4arch9wavefront6targetE1EEEvT1_.kd
    .uniform_work_group_size: 1
    .uses_dynamic_stack: false
    .vgpr_count:     0
    .vgpr_spill_count: 0
    .wavefront_size: 64
  - .agpr_count:     0
    .args:
      - .offset:         0
        .size:           160
        .value_kind:     by_value
    .group_segment_fixed_size: 0
    .kernarg_segment_align: 8
    .kernarg_segment_size: 160
    .language:       OpenCL C
    .language_version:
      - 2
      - 0
    .max_flat_workgroup_size: 256
    .name:           _ZN7rocprim17ROCPRIM_400000_NS6detail17trampoline_kernelINS0_14default_configENS1_27scan_by_key_config_selectorIj11FixedVectorIiLj8EEEEZZNS1_16scan_by_key_implILNS1_25lookback_scan_determinismE0ELb0ES3_N6thrust23THRUST_200600_302600_NS6detail15normal_iteratorINSB_10device_ptrIjEEEENSD_INSE_IS6_EEEESI_S6_NSB_4plusIvEENSB_8equal_toIvEES6_EE10hipError_tPvRmT2_T3_T4_T5_mT6_T7_P12ihipStream_tbENKUlT_T0_E_clISt17integral_constantIbLb0EES12_IbLb1EEEEDaSY_SZ_EUlSY_E_NS1_11comp_targetILNS1_3genE10ELNS1_11target_archE1200ELNS1_3gpuE4ELNS1_3repE0EEENS1_30default_config_static_selectorELNS0_4arch9wavefront6targetE1EEEvT1_
    .private_segment_fixed_size: 0
    .sgpr_count:     4
    .sgpr_spill_count: 0
    .symbol:         _ZN7rocprim17ROCPRIM_400000_NS6detail17trampoline_kernelINS0_14default_configENS1_27scan_by_key_config_selectorIj11FixedVectorIiLj8EEEEZZNS1_16scan_by_key_implILNS1_25lookback_scan_determinismE0ELb0ES3_N6thrust23THRUST_200600_302600_NS6detail15normal_iteratorINSB_10device_ptrIjEEEENSD_INSE_IS6_EEEESI_S6_NSB_4plusIvEENSB_8equal_toIvEES6_EE10hipError_tPvRmT2_T3_T4_T5_mT6_T7_P12ihipStream_tbENKUlT_T0_E_clISt17integral_constantIbLb0EES12_IbLb1EEEEDaSY_SZ_EUlSY_E_NS1_11comp_targetILNS1_3genE10ELNS1_11target_archE1200ELNS1_3gpuE4ELNS1_3repE0EEENS1_30default_config_static_selectorELNS0_4arch9wavefront6targetE1EEEvT1_.kd
    .uniform_work_group_size: 1
    .uses_dynamic_stack: false
    .vgpr_count:     0
    .vgpr_spill_count: 0
    .wavefront_size: 64
  - .agpr_count:     0
    .args:
      - .offset:         0
        .size:           160
        .value_kind:     by_value
    .group_segment_fixed_size: 0
    .kernarg_segment_align: 8
    .kernarg_segment_size: 160
    .language:       OpenCL C
    .language_version:
      - 2
      - 0
    .max_flat_workgroup_size: 256
    .name:           _ZN7rocprim17ROCPRIM_400000_NS6detail17trampoline_kernelINS0_14default_configENS1_27scan_by_key_config_selectorIj11FixedVectorIiLj8EEEEZZNS1_16scan_by_key_implILNS1_25lookback_scan_determinismE0ELb0ES3_N6thrust23THRUST_200600_302600_NS6detail15normal_iteratorINSB_10device_ptrIjEEEENSD_INSE_IS6_EEEESI_S6_NSB_4plusIvEENSB_8equal_toIvEES6_EE10hipError_tPvRmT2_T3_T4_T5_mT6_T7_P12ihipStream_tbENKUlT_T0_E_clISt17integral_constantIbLb0EES12_IbLb1EEEEDaSY_SZ_EUlSY_E_NS1_11comp_targetILNS1_3genE9ELNS1_11target_archE1100ELNS1_3gpuE3ELNS1_3repE0EEENS1_30default_config_static_selectorELNS0_4arch9wavefront6targetE1EEEvT1_
    .private_segment_fixed_size: 0
    .sgpr_count:     4
    .sgpr_spill_count: 0
    .symbol:         _ZN7rocprim17ROCPRIM_400000_NS6detail17trampoline_kernelINS0_14default_configENS1_27scan_by_key_config_selectorIj11FixedVectorIiLj8EEEEZZNS1_16scan_by_key_implILNS1_25lookback_scan_determinismE0ELb0ES3_N6thrust23THRUST_200600_302600_NS6detail15normal_iteratorINSB_10device_ptrIjEEEENSD_INSE_IS6_EEEESI_S6_NSB_4plusIvEENSB_8equal_toIvEES6_EE10hipError_tPvRmT2_T3_T4_T5_mT6_T7_P12ihipStream_tbENKUlT_T0_E_clISt17integral_constantIbLb0EES12_IbLb1EEEEDaSY_SZ_EUlSY_E_NS1_11comp_targetILNS1_3genE9ELNS1_11target_archE1100ELNS1_3gpuE3ELNS1_3repE0EEENS1_30default_config_static_selectorELNS0_4arch9wavefront6targetE1EEEvT1_.kd
    .uniform_work_group_size: 1
    .uses_dynamic_stack: false
    .vgpr_count:     0
    .vgpr_spill_count: 0
    .wavefront_size: 64
  - .agpr_count:     0
    .args:
      - .offset:         0
        .size:           160
        .value_kind:     by_value
    .group_segment_fixed_size: 0
    .kernarg_segment_align: 8
    .kernarg_segment_size: 160
    .language:       OpenCL C
    .language_version:
      - 2
      - 0
    .max_flat_workgroup_size: 256
    .name:           _ZN7rocprim17ROCPRIM_400000_NS6detail17trampoline_kernelINS0_14default_configENS1_27scan_by_key_config_selectorIj11FixedVectorIiLj8EEEEZZNS1_16scan_by_key_implILNS1_25lookback_scan_determinismE0ELb0ES3_N6thrust23THRUST_200600_302600_NS6detail15normal_iteratorINSB_10device_ptrIjEEEENSD_INSE_IS6_EEEESI_S6_NSB_4plusIvEENSB_8equal_toIvEES6_EE10hipError_tPvRmT2_T3_T4_T5_mT6_T7_P12ihipStream_tbENKUlT_T0_E_clISt17integral_constantIbLb0EES12_IbLb1EEEEDaSY_SZ_EUlSY_E_NS1_11comp_targetILNS1_3genE8ELNS1_11target_archE1030ELNS1_3gpuE2ELNS1_3repE0EEENS1_30default_config_static_selectorELNS0_4arch9wavefront6targetE1EEEvT1_
    .private_segment_fixed_size: 0
    .sgpr_count:     4
    .sgpr_spill_count: 0
    .symbol:         _ZN7rocprim17ROCPRIM_400000_NS6detail17trampoline_kernelINS0_14default_configENS1_27scan_by_key_config_selectorIj11FixedVectorIiLj8EEEEZZNS1_16scan_by_key_implILNS1_25lookback_scan_determinismE0ELb0ES3_N6thrust23THRUST_200600_302600_NS6detail15normal_iteratorINSB_10device_ptrIjEEEENSD_INSE_IS6_EEEESI_S6_NSB_4plusIvEENSB_8equal_toIvEES6_EE10hipError_tPvRmT2_T3_T4_T5_mT6_T7_P12ihipStream_tbENKUlT_T0_E_clISt17integral_constantIbLb0EES12_IbLb1EEEEDaSY_SZ_EUlSY_E_NS1_11comp_targetILNS1_3genE8ELNS1_11target_archE1030ELNS1_3gpuE2ELNS1_3repE0EEENS1_30default_config_static_selectorELNS0_4arch9wavefront6targetE1EEEvT1_.kd
    .uniform_work_group_size: 1
    .uses_dynamic_stack: false
    .vgpr_count:     0
    .vgpr_spill_count: 0
    .wavefront_size: 64
  - .agpr_count:     0
    .args:
      - .offset:         0
        .size:           160
        .value_kind:     by_value
    .group_segment_fixed_size: 0
    .kernarg_segment_align: 8
    .kernarg_segment_size: 160
    .language:       OpenCL C
    .language_version:
      - 2
      - 0
    .max_flat_workgroup_size: 256
    .name:           _ZN7rocprim17ROCPRIM_400000_NS6detail17trampoline_kernelINS0_14default_configENS1_27scan_by_key_config_selectorIj11FixedVectorIiLj8EEEEZZNS1_16scan_by_key_implILNS1_25lookback_scan_determinismE0ELb1ES3_N6thrust23THRUST_200600_302600_NS6detail15normal_iteratorINSB_10device_ptrIjEEEENSD_INSE_IS6_EEEESI_S6_NSB_4plusIvEENSB_8equal_toIvEES6_EE10hipError_tPvRmT2_T3_T4_T5_mT6_T7_P12ihipStream_tbENKUlT_T0_E_clISt17integral_constantIbLb0EES13_EEDaSY_SZ_EUlSY_E_NS1_11comp_targetILNS1_3genE0ELNS1_11target_archE4294967295ELNS1_3gpuE0ELNS1_3repE0EEENS1_30default_config_static_selectorELNS0_4arch9wavefront6targetE1EEEvT1_
    .private_segment_fixed_size: 0
    .sgpr_count:     4
    .sgpr_spill_count: 0
    .symbol:         _ZN7rocprim17ROCPRIM_400000_NS6detail17trampoline_kernelINS0_14default_configENS1_27scan_by_key_config_selectorIj11FixedVectorIiLj8EEEEZZNS1_16scan_by_key_implILNS1_25lookback_scan_determinismE0ELb1ES3_N6thrust23THRUST_200600_302600_NS6detail15normal_iteratorINSB_10device_ptrIjEEEENSD_INSE_IS6_EEEESI_S6_NSB_4plusIvEENSB_8equal_toIvEES6_EE10hipError_tPvRmT2_T3_T4_T5_mT6_T7_P12ihipStream_tbENKUlT_T0_E_clISt17integral_constantIbLb0EES13_EEDaSY_SZ_EUlSY_E_NS1_11comp_targetILNS1_3genE0ELNS1_11target_archE4294967295ELNS1_3gpuE0ELNS1_3repE0EEENS1_30default_config_static_selectorELNS0_4arch9wavefront6targetE1EEEvT1_.kd
    .uniform_work_group_size: 1
    .uses_dynamic_stack: false
    .vgpr_count:     0
    .vgpr_spill_count: 0
    .wavefront_size: 64
  - .agpr_count:     0
    .args:
      - .offset:         0
        .size:           160
        .value_kind:     by_value
    .group_segment_fixed_size: 0
    .kernarg_segment_align: 8
    .kernarg_segment_size: 160
    .language:       OpenCL C
    .language_version:
      - 2
      - 0
    .max_flat_workgroup_size: 256
    .name:           _ZN7rocprim17ROCPRIM_400000_NS6detail17trampoline_kernelINS0_14default_configENS1_27scan_by_key_config_selectorIj11FixedVectorIiLj8EEEEZZNS1_16scan_by_key_implILNS1_25lookback_scan_determinismE0ELb1ES3_N6thrust23THRUST_200600_302600_NS6detail15normal_iteratorINSB_10device_ptrIjEEEENSD_INSE_IS6_EEEESI_S6_NSB_4plusIvEENSB_8equal_toIvEES6_EE10hipError_tPvRmT2_T3_T4_T5_mT6_T7_P12ihipStream_tbENKUlT_T0_E_clISt17integral_constantIbLb0EES13_EEDaSY_SZ_EUlSY_E_NS1_11comp_targetILNS1_3genE10ELNS1_11target_archE1201ELNS1_3gpuE5ELNS1_3repE0EEENS1_30default_config_static_selectorELNS0_4arch9wavefront6targetE1EEEvT1_
    .private_segment_fixed_size: 0
    .sgpr_count:     4
    .sgpr_spill_count: 0
    .symbol:         _ZN7rocprim17ROCPRIM_400000_NS6detail17trampoline_kernelINS0_14default_configENS1_27scan_by_key_config_selectorIj11FixedVectorIiLj8EEEEZZNS1_16scan_by_key_implILNS1_25lookback_scan_determinismE0ELb1ES3_N6thrust23THRUST_200600_302600_NS6detail15normal_iteratorINSB_10device_ptrIjEEEENSD_INSE_IS6_EEEESI_S6_NSB_4plusIvEENSB_8equal_toIvEES6_EE10hipError_tPvRmT2_T3_T4_T5_mT6_T7_P12ihipStream_tbENKUlT_T0_E_clISt17integral_constantIbLb0EES13_EEDaSY_SZ_EUlSY_E_NS1_11comp_targetILNS1_3genE10ELNS1_11target_archE1201ELNS1_3gpuE5ELNS1_3repE0EEENS1_30default_config_static_selectorELNS0_4arch9wavefront6targetE1EEEvT1_.kd
    .uniform_work_group_size: 1
    .uses_dynamic_stack: false
    .vgpr_count:     0
    .vgpr_spill_count: 0
    .wavefront_size: 64
  - .agpr_count:     0
    .args:
      - .offset:         0
        .size:           160
        .value_kind:     by_value
    .group_segment_fixed_size: 0
    .kernarg_segment_align: 8
    .kernarg_segment_size: 160
    .language:       OpenCL C
    .language_version:
      - 2
      - 0
    .max_flat_workgroup_size: 256
    .name:           _ZN7rocprim17ROCPRIM_400000_NS6detail17trampoline_kernelINS0_14default_configENS1_27scan_by_key_config_selectorIj11FixedVectorIiLj8EEEEZZNS1_16scan_by_key_implILNS1_25lookback_scan_determinismE0ELb1ES3_N6thrust23THRUST_200600_302600_NS6detail15normal_iteratorINSB_10device_ptrIjEEEENSD_INSE_IS6_EEEESI_S6_NSB_4plusIvEENSB_8equal_toIvEES6_EE10hipError_tPvRmT2_T3_T4_T5_mT6_T7_P12ihipStream_tbENKUlT_T0_E_clISt17integral_constantIbLb0EES13_EEDaSY_SZ_EUlSY_E_NS1_11comp_targetILNS1_3genE5ELNS1_11target_archE942ELNS1_3gpuE9ELNS1_3repE0EEENS1_30default_config_static_selectorELNS0_4arch9wavefront6targetE1EEEvT1_
    .private_segment_fixed_size: 0
    .sgpr_count:     4
    .sgpr_spill_count: 0
    .symbol:         _ZN7rocprim17ROCPRIM_400000_NS6detail17trampoline_kernelINS0_14default_configENS1_27scan_by_key_config_selectorIj11FixedVectorIiLj8EEEEZZNS1_16scan_by_key_implILNS1_25lookback_scan_determinismE0ELb1ES3_N6thrust23THRUST_200600_302600_NS6detail15normal_iteratorINSB_10device_ptrIjEEEENSD_INSE_IS6_EEEESI_S6_NSB_4plusIvEENSB_8equal_toIvEES6_EE10hipError_tPvRmT2_T3_T4_T5_mT6_T7_P12ihipStream_tbENKUlT_T0_E_clISt17integral_constantIbLb0EES13_EEDaSY_SZ_EUlSY_E_NS1_11comp_targetILNS1_3genE5ELNS1_11target_archE942ELNS1_3gpuE9ELNS1_3repE0EEENS1_30default_config_static_selectorELNS0_4arch9wavefront6targetE1EEEvT1_.kd
    .uniform_work_group_size: 1
    .uses_dynamic_stack: false
    .vgpr_count:     0
    .vgpr_spill_count: 0
    .wavefront_size: 64
  - .agpr_count:     0
    .args:
      - .offset:         0
        .size:           160
        .value_kind:     by_value
    .group_segment_fixed_size: 32768
    .kernarg_segment_align: 8
    .kernarg_segment_size: 160
    .language:       OpenCL C
    .language_version:
      - 2
      - 0
    .max_flat_workgroup_size: 256
    .name:           _ZN7rocprim17ROCPRIM_400000_NS6detail17trampoline_kernelINS0_14default_configENS1_27scan_by_key_config_selectorIj11FixedVectorIiLj8EEEEZZNS1_16scan_by_key_implILNS1_25lookback_scan_determinismE0ELb1ES3_N6thrust23THRUST_200600_302600_NS6detail15normal_iteratorINSB_10device_ptrIjEEEENSD_INSE_IS6_EEEESI_S6_NSB_4plusIvEENSB_8equal_toIvEES6_EE10hipError_tPvRmT2_T3_T4_T5_mT6_T7_P12ihipStream_tbENKUlT_T0_E_clISt17integral_constantIbLb0EES13_EEDaSY_SZ_EUlSY_E_NS1_11comp_targetILNS1_3genE4ELNS1_11target_archE910ELNS1_3gpuE8ELNS1_3repE0EEENS1_30default_config_static_selectorELNS0_4arch9wavefront6targetE1EEEvT1_
    .private_segment_fixed_size: 432
    .sgpr_count:     59
    .sgpr_spill_count: 0
    .symbol:         _ZN7rocprim17ROCPRIM_400000_NS6detail17trampoline_kernelINS0_14default_configENS1_27scan_by_key_config_selectorIj11FixedVectorIiLj8EEEEZZNS1_16scan_by_key_implILNS1_25lookback_scan_determinismE0ELb1ES3_N6thrust23THRUST_200600_302600_NS6detail15normal_iteratorINSB_10device_ptrIjEEEENSD_INSE_IS6_EEEESI_S6_NSB_4plusIvEENSB_8equal_toIvEES6_EE10hipError_tPvRmT2_T3_T4_T5_mT6_T7_P12ihipStream_tbENKUlT_T0_E_clISt17integral_constantIbLb0EES13_EEDaSY_SZ_EUlSY_E_NS1_11comp_targetILNS1_3genE4ELNS1_11target_archE910ELNS1_3gpuE8ELNS1_3repE0EEENS1_30default_config_static_selectorELNS0_4arch9wavefront6targetE1EEEvT1_.kd
    .uniform_work_group_size: 1
    .uses_dynamic_stack: false
    .vgpr_count:     45
    .vgpr_spill_count: 0
    .wavefront_size: 64
  - .agpr_count:     0
    .args:
      - .offset:         0
        .size:           160
        .value_kind:     by_value
    .group_segment_fixed_size: 0
    .kernarg_segment_align: 8
    .kernarg_segment_size: 160
    .language:       OpenCL C
    .language_version:
      - 2
      - 0
    .max_flat_workgroup_size: 256
    .name:           _ZN7rocprim17ROCPRIM_400000_NS6detail17trampoline_kernelINS0_14default_configENS1_27scan_by_key_config_selectorIj11FixedVectorIiLj8EEEEZZNS1_16scan_by_key_implILNS1_25lookback_scan_determinismE0ELb1ES3_N6thrust23THRUST_200600_302600_NS6detail15normal_iteratorINSB_10device_ptrIjEEEENSD_INSE_IS6_EEEESI_S6_NSB_4plusIvEENSB_8equal_toIvEES6_EE10hipError_tPvRmT2_T3_T4_T5_mT6_T7_P12ihipStream_tbENKUlT_T0_E_clISt17integral_constantIbLb0EES13_EEDaSY_SZ_EUlSY_E_NS1_11comp_targetILNS1_3genE3ELNS1_11target_archE908ELNS1_3gpuE7ELNS1_3repE0EEENS1_30default_config_static_selectorELNS0_4arch9wavefront6targetE1EEEvT1_
    .private_segment_fixed_size: 0
    .sgpr_count:     4
    .sgpr_spill_count: 0
    .symbol:         _ZN7rocprim17ROCPRIM_400000_NS6detail17trampoline_kernelINS0_14default_configENS1_27scan_by_key_config_selectorIj11FixedVectorIiLj8EEEEZZNS1_16scan_by_key_implILNS1_25lookback_scan_determinismE0ELb1ES3_N6thrust23THRUST_200600_302600_NS6detail15normal_iteratorINSB_10device_ptrIjEEEENSD_INSE_IS6_EEEESI_S6_NSB_4plusIvEENSB_8equal_toIvEES6_EE10hipError_tPvRmT2_T3_T4_T5_mT6_T7_P12ihipStream_tbENKUlT_T0_E_clISt17integral_constantIbLb0EES13_EEDaSY_SZ_EUlSY_E_NS1_11comp_targetILNS1_3genE3ELNS1_11target_archE908ELNS1_3gpuE7ELNS1_3repE0EEENS1_30default_config_static_selectorELNS0_4arch9wavefront6targetE1EEEvT1_.kd
    .uniform_work_group_size: 1
    .uses_dynamic_stack: false
    .vgpr_count:     0
    .vgpr_spill_count: 0
    .wavefront_size: 64
  - .agpr_count:     0
    .args:
      - .offset:         0
        .size:           160
        .value_kind:     by_value
    .group_segment_fixed_size: 0
    .kernarg_segment_align: 8
    .kernarg_segment_size: 160
    .language:       OpenCL C
    .language_version:
      - 2
      - 0
    .max_flat_workgroup_size: 256
    .name:           _ZN7rocprim17ROCPRIM_400000_NS6detail17trampoline_kernelINS0_14default_configENS1_27scan_by_key_config_selectorIj11FixedVectorIiLj8EEEEZZNS1_16scan_by_key_implILNS1_25lookback_scan_determinismE0ELb1ES3_N6thrust23THRUST_200600_302600_NS6detail15normal_iteratorINSB_10device_ptrIjEEEENSD_INSE_IS6_EEEESI_S6_NSB_4plusIvEENSB_8equal_toIvEES6_EE10hipError_tPvRmT2_T3_T4_T5_mT6_T7_P12ihipStream_tbENKUlT_T0_E_clISt17integral_constantIbLb0EES13_EEDaSY_SZ_EUlSY_E_NS1_11comp_targetILNS1_3genE2ELNS1_11target_archE906ELNS1_3gpuE6ELNS1_3repE0EEENS1_30default_config_static_selectorELNS0_4arch9wavefront6targetE1EEEvT1_
    .private_segment_fixed_size: 0
    .sgpr_count:     4
    .sgpr_spill_count: 0
    .symbol:         _ZN7rocprim17ROCPRIM_400000_NS6detail17trampoline_kernelINS0_14default_configENS1_27scan_by_key_config_selectorIj11FixedVectorIiLj8EEEEZZNS1_16scan_by_key_implILNS1_25lookback_scan_determinismE0ELb1ES3_N6thrust23THRUST_200600_302600_NS6detail15normal_iteratorINSB_10device_ptrIjEEEENSD_INSE_IS6_EEEESI_S6_NSB_4plusIvEENSB_8equal_toIvEES6_EE10hipError_tPvRmT2_T3_T4_T5_mT6_T7_P12ihipStream_tbENKUlT_T0_E_clISt17integral_constantIbLb0EES13_EEDaSY_SZ_EUlSY_E_NS1_11comp_targetILNS1_3genE2ELNS1_11target_archE906ELNS1_3gpuE6ELNS1_3repE0EEENS1_30default_config_static_selectorELNS0_4arch9wavefront6targetE1EEEvT1_.kd
    .uniform_work_group_size: 1
    .uses_dynamic_stack: false
    .vgpr_count:     0
    .vgpr_spill_count: 0
    .wavefront_size: 64
  - .agpr_count:     0
    .args:
      - .offset:         0
        .size:           160
        .value_kind:     by_value
    .group_segment_fixed_size: 0
    .kernarg_segment_align: 8
    .kernarg_segment_size: 160
    .language:       OpenCL C
    .language_version:
      - 2
      - 0
    .max_flat_workgroup_size: 256
    .name:           _ZN7rocprim17ROCPRIM_400000_NS6detail17trampoline_kernelINS0_14default_configENS1_27scan_by_key_config_selectorIj11FixedVectorIiLj8EEEEZZNS1_16scan_by_key_implILNS1_25lookback_scan_determinismE0ELb1ES3_N6thrust23THRUST_200600_302600_NS6detail15normal_iteratorINSB_10device_ptrIjEEEENSD_INSE_IS6_EEEESI_S6_NSB_4plusIvEENSB_8equal_toIvEES6_EE10hipError_tPvRmT2_T3_T4_T5_mT6_T7_P12ihipStream_tbENKUlT_T0_E_clISt17integral_constantIbLb0EES13_EEDaSY_SZ_EUlSY_E_NS1_11comp_targetILNS1_3genE10ELNS1_11target_archE1200ELNS1_3gpuE4ELNS1_3repE0EEENS1_30default_config_static_selectorELNS0_4arch9wavefront6targetE1EEEvT1_
    .private_segment_fixed_size: 0
    .sgpr_count:     4
    .sgpr_spill_count: 0
    .symbol:         _ZN7rocprim17ROCPRIM_400000_NS6detail17trampoline_kernelINS0_14default_configENS1_27scan_by_key_config_selectorIj11FixedVectorIiLj8EEEEZZNS1_16scan_by_key_implILNS1_25lookback_scan_determinismE0ELb1ES3_N6thrust23THRUST_200600_302600_NS6detail15normal_iteratorINSB_10device_ptrIjEEEENSD_INSE_IS6_EEEESI_S6_NSB_4plusIvEENSB_8equal_toIvEES6_EE10hipError_tPvRmT2_T3_T4_T5_mT6_T7_P12ihipStream_tbENKUlT_T0_E_clISt17integral_constantIbLb0EES13_EEDaSY_SZ_EUlSY_E_NS1_11comp_targetILNS1_3genE10ELNS1_11target_archE1200ELNS1_3gpuE4ELNS1_3repE0EEENS1_30default_config_static_selectorELNS0_4arch9wavefront6targetE1EEEvT1_.kd
    .uniform_work_group_size: 1
    .uses_dynamic_stack: false
    .vgpr_count:     0
    .vgpr_spill_count: 0
    .wavefront_size: 64
  - .agpr_count:     0
    .args:
      - .offset:         0
        .size:           160
        .value_kind:     by_value
    .group_segment_fixed_size: 0
    .kernarg_segment_align: 8
    .kernarg_segment_size: 160
    .language:       OpenCL C
    .language_version:
      - 2
      - 0
    .max_flat_workgroup_size: 256
    .name:           _ZN7rocprim17ROCPRIM_400000_NS6detail17trampoline_kernelINS0_14default_configENS1_27scan_by_key_config_selectorIj11FixedVectorIiLj8EEEEZZNS1_16scan_by_key_implILNS1_25lookback_scan_determinismE0ELb1ES3_N6thrust23THRUST_200600_302600_NS6detail15normal_iteratorINSB_10device_ptrIjEEEENSD_INSE_IS6_EEEESI_S6_NSB_4plusIvEENSB_8equal_toIvEES6_EE10hipError_tPvRmT2_T3_T4_T5_mT6_T7_P12ihipStream_tbENKUlT_T0_E_clISt17integral_constantIbLb0EES13_EEDaSY_SZ_EUlSY_E_NS1_11comp_targetILNS1_3genE9ELNS1_11target_archE1100ELNS1_3gpuE3ELNS1_3repE0EEENS1_30default_config_static_selectorELNS0_4arch9wavefront6targetE1EEEvT1_
    .private_segment_fixed_size: 0
    .sgpr_count:     4
    .sgpr_spill_count: 0
    .symbol:         _ZN7rocprim17ROCPRIM_400000_NS6detail17trampoline_kernelINS0_14default_configENS1_27scan_by_key_config_selectorIj11FixedVectorIiLj8EEEEZZNS1_16scan_by_key_implILNS1_25lookback_scan_determinismE0ELb1ES3_N6thrust23THRUST_200600_302600_NS6detail15normal_iteratorINSB_10device_ptrIjEEEENSD_INSE_IS6_EEEESI_S6_NSB_4plusIvEENSB_8equal_toIvEES6_EE10hipError_tPvRmT2_T3_T4_T5_mT6_T7_P12ihipStream_tbENKUlT_T0_E_clISt17integral_constantIbLb0EES13_EEDaSY_SZ_EUlSY_E_NS1_11comp_targetILNS1_3genE9ELNS1_11target_archE1100ELNS1_3gpuE3ELNS1_3repE0EEENS1_30default_config_static_selectorELNS0_4arch9wavefront6targetE1EEEvT1_.kd
    .uniform_work_group_size: 1
    .uses_dynamic_stack: false
    .vgpr_count:     0
    .vgpr_spill_count: 0
    .wavefront_size: 64
  - .agpr_count:     0
    .args:
      - .offset:         0
        .size:           160
        .value_kind:     by_value
    .group_segment_fixed_size: 0
    .kernarg_segment_align: 8
    .kernarg_segment_size: 160
    .language:       OpenCL C
    .language_version:
      - 2
      - 0
    .max_flat_workgroup_size: 256
    .name:           _ZN7rocprim17ROCPRIM_400000_NS6detail17trampoline_kernelINS0_14default_configENS1_27scan_by_key_config_selectorIj11FixedVectorIiLj8EEEEZZNS1_16scan_by_key_implILNS1_25lookback_scan_determinismE0ELb1ES3_N6thrust23THRUST_200600_302600_NS6detail15normal_iteratorINSB_10device_ptrIjEEEENSD_INSE_IS6_EEEESI_S6_NSB_4plusIvEENSB_8equal_toIvEES6_EE10hipError_tPvRmT2_T3_T4_T5_mT6_T7_P12ihipStream_tbENKUlT_T0_E_clISt17integral_constantIbLb0EES13_EEDaSY_SZ_EUlSY_E_NS1_11comp_targetILNS1_3genE8ELNS1_11target_archE1030ELNS1_3gpuE2ELNS1_3repE0EEENS1_30default_config_static_selectorELNS0_4arch9wavefront6targetE1EEEvT1_
    .private_segment_fixed_size: 0
    .sgpr_count:     4
    .sgpr_spill_count: 0
    .symbol:         _ZN7rocprim17ROCPRIM_400000_NS6detail17trampoline_kernelINS0_14default_configENS1_27scan_by_key_config_selectorIj11FixedVectorIiLj8EEEEZZNS1_16scan_by_key_implILNS1_25lookback_scan_determinismE0ELb1ES3_N6thrust23THRUST_200600_302600_NS6detail15normal_iteratorINSB_10device_ptrIjEEEENSD_INSE_IS6_EEEESI_S6_NSB_4plusIvEENSB_8equal_toIvEES6_EE10hipError_tPvRmT2_T3_T4_T5_mT6_T7_P12ihipStream_tbENKUlT_T0_E_clISt17integral_constantIbLb0EES13_EEDaSY_SZ_EUlSY_E_NS1_11comp_targetILNS1_3genE8ELNS1_11target_archE1030ELNS1_3gpuE2ELNS1_3repE0EEENS1_30default_config_static_selectorELNS0_4arch9wavefront6targetE1EEEvT1_.kd
    .uniform_work_group_size: 1
    .uses_dynamic_stack: false
    .vgpr_count:     0
    .vgpr_spill_count: 0
    .wavefront_size: 64
  - .agpr_count:     0
    .args:
      - .offset:         0
        .size:           160
        .value_kind:     by_value
    .group_segment_fixed_size: 0
    .kernarg_segment_align: 8
    .kernarg_segment_size: 160
    .language:       OpenCL C
    .language_version:
      - 2
      - 0
    .max_flat_workgroup_size: 256
    .name:           _ZN7rocprim17ROCPRIM_400000_NS6detail17trampoline_kernelINS0_14default_configENS1_27scan_by_key_config_selectorIj11FixedVectorIiLj8EEEEZZNS1_16scan_by_key_implILNS1_25lookback_scan_determinismE0ELb1ES3_N6thrust23THRUST_200600_302600_NS6detail15normal_iteratorINSB_10device_ptrIjEEEENSD_INSE_IS6_EEEESI_S6_NSB_4plusIvEENSB_8equal_toIvEES6_EE10hipError_tPvRmT2_T3_T4_T5_mT6_T7_P12ihipStream_tbENKUlT_T0_E_clISt17integral_constantIbLb1EES13_EEDaSY_SZ_EUlSY_E_NS1_11comp_targetILNS1_3genE0ELNS1_11target_archE4294967295ELNS1_3gpuE0ELNS1_3repE0EEENS1_30default_config_static_selectorELNS0_4arch9wavefront6targetE1EEEvT1_
    .private_segment_fixed_size: 0
    .sgpr_count:     4
    .sgpr_spill_count: 0
    .symbol:         _ZN7rocprim17ROCPRIM_400000_NS6detail17trampoline_kernelINS0_14default_configENS1_27scan_by_key_config_selectorIj11FixedVectorIiLj8EEEEZZNS1_16scan_by_key_implILNS1_25lookback_scan_determinismE0ELb1ES3_N6thrust23THRUST_200600_302600_NS6detail15normal_iteratorINSB_10device_ptrIjEEEENSD_INSE_IS6_EEEESI_S6_NSB_4plusIvEENSB_8equal_toIvEES6_EE10hipError_tPvRmT2_T3_T4_T5_mT6_T7_P12ihipStream_tbENKUlT_T0_E_clISt17integral_constantIbLb1EES13_EEDaSY_SZ_EUlSY_E_NS1_11comp_targetILNS1_3genE0ELNS1_11target_archE4294967295ELNS1_3gpuE0ELNS1_3repE0EEENS1_30default_config_static_selectorELNS0_4arch9wavefront6targetE1EEEvT1_.kd
    .uniform_work_group_size: 1
    .uses_dynamic_stack: false
    .vgpr_count:     0
    .vgpr_spill_count: 0
    .wavefront_size: 64
  - .agpr_count:     0
    .args:
      - .offset:         0
        .size:           160
        .value_kind:     by_value
    .group_segment_fixed_size: 0
    .kernarg_segment_align: 8
    .kernarg_segment_size: 160
    .language:       OpenCL C
    .language_version:
      - 2
      - 0
    .max_flat_workgroup_size: 256
    .name:           _ZN7rocprim17ROCPRIM_400000_NS6detail17trampoline_kernelINS0_14default_configENS1_27scan_by_key_config_selectorIj11FixedVectorIiLj8EEEEZZNS1_16scan_by_key_implILNS1_25lookback_scan_determinismE0ELb1ES3_N6thrust23THRUST_200600_302600_NS6detail15normal_iteratorINSB_10device_ptrIjEEEENSD_INSE_IS6_EEEESI_S6_NSB_4plusIvEENSB_8equal_toIvEES6_EE10hipError_tPvRmT2_T3_T4_T5_mT6_T7_P12ihipStream_tbENKUlT_T0_E_clISt17integral_constantIbLb1EES13_EEDaSY_SZ_EUlSY_E_NS1_11comp_targetILNS1_3genE10ELNS1_11target_archE1201ELNS1_3gpuE5ELNS1_3repE0EEENS1_30default_config_static_selectorELNS0_4arch9wavefront6targetE1EEEvT1_
    .private_segment_fixed_size: 0
    .sgpr_count:     4
    .sgpr_spill_count: 0
    .symbol:         _ZN7rocprim17ROCPRIM_400000_NS6detail17trampoline_kernelINS0_14default_configENS1_27scan_by_key_config_selectorIj11FixedVectorIiLj8EEEEZZNS1_16scan_by_key_implILNS1_25lookback_scan_determinismE0ELb1ES3_N6thrust23THRUST_200600_302600_NS6detail15normal_iteratorINSB_10device_ptrIjEEEENSD_INSE_IS6_EEEESI_S6_NSB_4plusIvEENSB_8equal_toIvEES6_EE10hipError_tPvRmT2_T3_T4_T5_mT6_T7_P12ihipStream_tbENKUlT_T0_E_clISt17integral_constantIbLb1EES13_EEDaSY_SZ_EUlSY_E_NS1_11comp_targetILNS1_3genE10ELNS1_11target_archE1201ELNS1_3gpuE5ELNS1_3repE0EEENS1_30default_config_static_selectorELNS0_4arch9wavefront6targetE1EEEvT1_.kd
    .uniform_work_group_size: 1
    .uses_dynamic_stack: false
    .vgpr_count:     0
    .vgpr_spill_count: 0
    .wavefront_size: 64
  - .agpr_count:     0
    .args:
      - .offset:         0
        .size:           160
        .value_kind:     by_value
    .group_segment_fixed_size: 0
    .kernarg_segment_align: 8
    .kernarg_segment_size: 160
    .language:       OpenCL C
    .language_version:
      - 2
      - 0
    .max_flat_workgroup_size: 256
    .name:           _ZN7rocprim17ROCPRIM_400000_NS6detail17trampoline_kernelINS0_14default_configENS1_27scan_by_key_config_selectorIj11FixedVectorIiLj8EEEEZZNS1_16scan_by_key_implILNS1_25lookback_scan_determinismE0ELb1ES3_N6thrust23THRUST_200600_302600_NS6detail15normal_iteratorINSB_10device_ptrIjEEEENSD_INSE_IS6_EEEESI_S6_NSB_4plusIvEENSB_8equal_toIvEES6_EE10hipError_tPvRmT2_T3_T4_T5_mT6_T7_P12ihipStream_tbENKUlT_T0_E_clISt17integral_constantIbLb1EES13_EEDaSY_SZ_EUlSY_E_NS1_11comp_targetILNS1_3genE5ELNS1_11target_archE942ELNS1_3gpuE9ELNS1_3repE0EEENS1_30default_config_static_selectorELNS0_4arch9wavefront6targetE1EEEvT1_
    .private_segment_fixed_size: 0
    .sgpr_count:     4
    .sgpr_spill_count: 0
    .symbol:         _ZN7rocprim17ROCPRIM_400000_NS6detail17trampoline_kernelINS0_14default_configENS1_27scan_by_key_config_selectorIj11FixedVectorIiLj8EEEEZZNS1_16scan_by_key_implILNS1_25lookback_scan_determinismE0ELb1ES3_N6thrust23THRUST_200600_302600_NS6detail15normal_iteratorINSB_10device_ptrIjEEEENSD_INSE_IS6_EEEESI_S6_NSB_4plusIvEENSB_8equal_toIvEES6_EE10hipError_tPvRmT2_T3_T4_T5_mT6_T7_P12ihipStream_tbENKUlT_T0_E_clISt17integral_constantIbLb1EES13_EEDaSY_SZ_EUlSY_E_NS1_11comp_targetILNS1_3genE5ELNS1_11target_archE942ELNS1_3gpuE9ELNS1_3repE0EEENS1_30default_config_static_selectorELNS0_4arch9wavefront6targetE1EEEvT1_.kd
    .uniform_work_group_size: 1
    .uses_dynamic_stack: false
    .vgpr_count:     0
    .vgpr_spill_count: 0
    .wavefront_size: 64
  - .agpr_count:     0
    .args:
      - .offset:         0
        .size:           160
        .value_kind:     by_value
    .group_segment_fixed_size: 32768
    .kernarg_segment_align: 8
    .kernarg_segment_size: 160
    .language:       OpenCL C
    .language_version:
      - 2
      - 0
    .max_flat_workgroup_size: 256
    .name:           _ZN7rocprim17ROCPRIM_400000_NS6detail17trampoline_kernelINS0_14default_configENS1_27scan_by_key_config_selectorIj11FixedVectorIiLj8EEEEZZNS1_16scan_by_key_implILNS1_25lookback_scan_determinismE0ELb1ES3_N6thrust23THRUST_200600_302600_NS6detail15normal_iteratorINSB_10device_ptrIjEEEENSD_INSE_IS6_EEEESI_S6_NSB_4plusIvEENSB_8equal_toIvEES6_EE10hipError_tPvRmT2_T3_T4_T5_mT6_T7_P12ihipStream_tbENKUlT_T0_E_clISt17integral_constantIbLb1EES13_EEDaSY_SZ_EUlSY_E_NS1_11comp_targetILNS1_3genE4ELNS1_11target_archE910ELNS1_3gpuE8ELNS1_3repE0EEENS1_30default_config_static_selectorELNS0_4arch9wavefront6targetE1EEEvT1_
    .private_segment_fixed_size: 432
    .sgpr_count:     63
    .sgpr_spill_count: 0
    .symbol:         _ZN7rocprim17ROCPRIM_400000_NS6detail17trampoline_kernelINS0_14default_configENS1_27scan_by_key_config_selectorIj11FixedVectorIiLj8EEEEZZNS1_16scan_by_key_implILNS1_25lookback_scan_determinismE0ELb1ES3_N6thrust23THRUST_200600_302600_NS6detail15normal_iteratorINSB_10device_ptrIjEEEENSD_INSE_IS6_EEEESI_S6_NSB_4plusIvEENSB_8equal_toIvEES6_EE10hipError_tPvRmT2_T3_T4_T5_mT6_T7_P12ihipStream_tbENKUlT_T0_E_clISt17integral_constantIbLb1EES13_EEDaSY_SZ_EUlSY_E_NS1_11comp_targetILNS1_3genE4ELNS1_11target_archE910ELNS1_3gpuE8ELNS1_3repE0EEENS1_30default_config_static_selectorELNS0_4arch9wavefront6targetE1EEEvT1_.kd
    .uniform_work_group_size: 1
    .uses_dynamic_stack: false
    .vgpr_count:     45
    .vgpr_spill_count: 0
    .wavefront_size: 64
  - .agpr_count:     0
    .args:
      - .offset:         0
        .size:           160
        .value_kind:     by_value
    .group_segment_fixed_size: 0
    .kernarg_segment_align: 8
    .kernarg_segment_size: 160
    .language:       OpenCL C
    .language_version:
      - 2
      - 0
    .max_flat_workgroup_size: 256
    .name:           _ZN7rocprim17ROCPRIM_400000_NS6detail17trampoline_kernelINS0_14default_configENS1_27scan_by_key_config_selectorIj11FixedVectorIiLj8EEEEZZNS1_16scan_by_key_implILNS1_25lookback_scan_determinismE0ELb1ES3_N6thrust23THRUST_200600_302600_NS6detail15normal_iteratorINSB_10device_ptrIjEEEENSD_INSE_IS6_EEEESI_S6_NSB_4plusIvEENSB_8equal_toIvEES6_EE10hipError_tPvRmT2_T3_T4_T5_mT6_T7_P12ihipStream_tbENKUlT_T0_E_clISt17integral_constantIbLb1EES13_EEDaSY_SZ_EUlSY_E_NS1_11comp_targetILNS1_3genE3ELNS1_11target_archE908ELNS1_3gpuE7ELNS1_3repE0EEENS1_30default_config_static_selectorELNS0_4arch9wavefront6targetE1EEEvT1_
    .private_segment_fixed_size: 0
    .sgpr_count:     4
    .sgpr_spill_count: 0
    .symbol:         _ZN7rocprim17ROCPRIM_400000_NS6detail17trampoline_kernelINS0_14default_configENS1_27scan_by_key_config_selectorIj11FixedVectorIiLj8EEEEZZNS1_16scan_by_key_implILNS1_25lookback_scan_determinismE0ELb1ES3_N6thrust23THRUST_200600_302600_NS6detail15normal_iteratorINSB_10device_ptrIjEEEENSD_INSE_IS6_EEEESI_S6_NSB_4plusIvEENSB_8equal_toIvEES6_EE10hipError_tPvRmT2_T3_T4_T5_mT6_T7_P12ihipStream_tbENKUlT_T0_E_clISt17integral_constantIbLb1EES13_EEDaSY_SZ_EUlSY_E_NS1_11comp_targetILNS1_3genE3ELNS1_11target_archE908ELNS1_3gpuE7ELNS1_3repE0EEENS1_30default_config_static_selectorELNS0_4arch9wavefront6targetE1EEEvT1_.kd
    .uniform_work_group_size: 1
    .uses_dynamic_stack: false
    .vgpr_count:     0
    .vgpr_spill_count: 0
    .wavefront_size: 64
  - .agpr_count:     0
    .args:
      - .offset:         0
        .size:           160
        .value_kind:     by_value
    .group_segment_fixed_size: 0
    .kernarg_segment_align: 8
    .kernarg_segment_size: 160
    .language:       OpenCL C
    .language_version:
      - 2
      - 0
    .max_flat_workgroup_size: 256
    .name:           _ZN7rocprim17ROCPRIM_400000_NS6detail17trampoline_kernelINS0_14default_configENS1_27scan_by_key_config_selectorIj11FixedVectorIiLj8EEEEZZNS1_16scan_by_key_implILNS1_25lookback_scan_determinismE0ELb1ES3_N6thrust23THRUST_200600_302600_NS6detail15normal_iteratorINSB_10device_ptrIjEEEENSD_INSE_IS6_EEEESI_S6_NSB_4plusIvEENSB_8equal_toIvEES6_EE10hipError_tPvRmT2_T3_T4_T5_mT6_T7_P12ihipStream_tbENKUlT_T0_E_clISt17integral_constantIbLb1EES13_EEDaSY_SZ_EUlSY_E_NS1_11comp_targetILNS1_3genE2ELNS1_11target_archE906ELNS1_3gpuE6ELNS1_3repE0EEENS1_30default_config_static_selectorELNS0_4arch9wavefront6targetE1EEEvT1_
    .private_segment_fixed_size: 0
    .sgpr_count:     4
    .sgpr_spill_count: 0
    .symbol:         _ZN7rocprim17ROCPRIM_400000_NS6detail17trampoline_kernelINS0_14default_configENS1_27scan_by_key_config_selectorIj11FixedVectorIiLj8EEEEZZNS1_16scan_by_key_implILNS1_25lookback_scan_determinismE0ELb1ES3_N6thrust23THRUST_200600_302600_NS6detail15normal_iteratorINSB_10device_ptrIjEEEENSD_INSE_IS6_EEEESI_S6_NSB_4plusIvEENSB_8equal_toIvEES6_EE10hipError_tPvRmT2_T3_T4_T5_mT6_T7_P12ihipStream_tbENKUlT_T0_E_clISt17integral_constantIbLb1EES13_EEDaSY_SZ_EUlSY_E_NS1_11comp_targetILNS1_3genE2ELNS1_11target_archE906ELNS1_3gpuE6ELNS1_3repE0EEENS1_30default_config_static_selectorELNS0_4arch9wavefront6targetE1EEEvT1_.kd
    .uniform_work_group_size: 1
    .uses_dynamic_stack: false
    .vgpr_count:     0
    .vgpr_spill_count: 0
    .wavefront_size: 64
  - .agpr_count:     0
    .args:
      - .offset:         0
        .size:           160
        .value_kind:     by_value
    .group_segment_fixed_size: 0
    .kernarg_segment_align: 8
    .kernarg_segment_size: 160
    .language:       OpenCL C
    .language_version:
      - 2
      - 0
    .max_flat_workgroup_size: 256
    .name:           _ZN7rocprim17ROCPRIM_400000_NS6detail17trampoline_kernelINS0_14default_configENS1_27scan_by_key_config_selectorIj11FixedVectorIiLj8EEEEZZNS1_16scan_by_key_implILNS1_25lookback_scan_determinismE0ELb1ES3_N6thrust23THRUST_200600_302600_NS6detail15normal_iteratorINSB_10device_ptrIjEEEENSD_INSE_IS6_EEEESI_S6_NSB_4plusIvEENSB_8equal_toIvEES6_EE10hipError_tPvRmT2_T3_T4_T5_mT6_T7_P12ihipStream_tbENKUlT_T0_E_clISt17integral_constantIbLb1EES13_EEDaSY_SZ_EUlSY_E_NS1_11comp_targetILNS1_3genE10ELNS1_11target_archE1200ELNS1_3gpuE4ELNS1_3repE0EEENS1_30default_config_static_selectorELNS0_4arch9wavefront6targetE1EEEvT1_
    .private_segment_fixed_size: 0
    .sgpr_count:     4
    .sgpr_spill_count: 0
    .symbol:         _ZN7rocprim17ROCPRIM_400000_NS6detail17trampoline_kernelINS0_14default_configENS1_27scan_by_key_config_selectorIj11FixedVectorIiLj8EEEEZZNS1_16scan_by_key_implILNS1_25lookback_scan_determinismE0ELb1ES3_N6thrust23THRUST_200600_302600_NS6detail15normal_iteratorINSB_10device_ptrIjEEEENSD_INSE_IS6_EEEESI_S6_NSB_4plusIvEENSB_8equal_toIvEES6_EE10hipError_tPvRmT2_T3_T4_T5_mT6_T7_P12ihipStream_tbENKUlT_T0_E_clISt17integral_constantIbLb1EES13_EEDaSY_SZ_EUlSY_E_NS1_11comp_targetILNS1_3genE10ELNS1_11target_archE1200ELNS1_3gpuE4ELNS1_3repE0EEENS1_30default_config_static_selectorELNS0_4arch9wavefront6targetE1EEEvT1_.kd
    .uniform_work_group_size: 1
    .uses_dynamic_stack: false
    .vgpr_count:     0
    .vgpr_spill_count: 0
    .wavefront_size: 64
  - .agpr_count:     0
    .args:
      - .offset:         0
        .size:           160
        .value_kind:     by_value
    .group_segment_fixed_size: 0
    .kernarg_segment_align: 8
    .kernarg_segment_size: 160
    .language:       OpenCL C
    .language_version:
      - 2
      - 0
    .max_flat_workgroup_size: 256
    .name:           _ZN7rocprim17ROCPRIM_400000_NS6detail17trampoline_kernelINS0_14default_configENS1_27scan_by_key_config_selectorIj11FixedVectorIiLj8EEEEZZNS1_16scan_by_key_implILNS1_25lookback_scan_determinismE0ELb1ES3_N6thrust23THRUST_200600_302600_NS6detail15normal_iteratorINSB_10device_ptrIjEEEENSD_INSE_IS6_EEEESI_S6_NSB_4plusIvEENSB_8equal_toIvEES6_EE10hipError_tPvRmT2_T3_T4_T5_mT6_T7_P12ihipStream_tbENKUlT_T0_E_clISt17integral_constantIbLb1EES13_EEDaSY_SZ_EUlSY_E_NS1_11comp_targetILNS1_3genE9ELNS1_11target_archE1100ELNS1_3gpuE3ELNS1_3repE0EEENS1_30default_config_static_selectorELNS0_4arch9wavefront6targetE1EEEvT1_
    .private_segment_fixed_size: 0
    .sgpr_count:     4
    .sgpr_spill_count: 0
    .symbol:         _ZN7rocprim17ROCPRIM_400000_NS6detail17trampoline_kernelINS0_14default_configENS1_27scan_by_key_config_selectorIj11FixedVectorIiLj8EEEEZZNS1_16scan_by_key_implILNS1_25lookback_scan_determinismE0ELb1ES3_N6thrust23THRUST_200600_302600_NS6detail15normal_iteratorINSB_10device_ptrIjEEEENSD_INSE_IS6_EEEESI_S6_NSB_4plusIvEENSB_8equal_toIvEES6_EE10hipError_tPvRmT2_T3_T4_T5_mT6_T7_P12ihipStream_tbENKUlT_T0_E_clISt17integral_constantIbLb1EES13_EEDaSY_SZ_EUlSY_E_NS1_11comp_targetILNS1_3genE9ELNS1_11target_archE1100ELNS1_3gpuE3ELNS1_3repE0EEENS1_30default_config_static_selectorELNS0_4arch9wavefront6targetE1EEEvT1_.kd
    .uniform_work_group_size: 1
    .uses_dynamic_stack: false
    .vgpr_count:     0
    .vgpr_spill_count: 0
    .wavefront_size: 64
  - .agpr_count:     0
    .args:
      - .offset:         0
        .size:           160
        .value_kind:     by_value
    .group_segment_fixed_size: 0
    .kernarg_segment_align: 8
    .kernarg_segment_size: 160
    .language:       OpenCL C
    .language_version:
      - 2
      - 0
    .max_flat_workgroup_size: 256
    .name:           _ZN7rocprim17ROCPRIM_400000_NS6detail17trampoline_kernelINS0_14default_configENS1_27scan_by_key_config_selectorIj11FixedVectorIiLj8EEEEZZNS1_16scan_by_key_implILNS1_25lookback_scan_determinismE0ELb1ES3_N6thrust23THRUST_200600_302600_NS6detail15normal_iteratorINSB_10device_ptrIjEEEENSD_INSE_IS6_EEEESI_S6_NSB_4plusIvEENSB_8equal_toIvEES6_EE10hipError_tPvRmT2_T3_T4_T5_mT6_T7_P12ihipStream_tbENKUlT_T0_E_clISt17integral_constantIbLb1EES13_EEDaSY_SZ_EUlSY_E_NS1_11comp_targetILNS1_3genE8ELNS1_11target_archE1030ELNS1_3gpuE2ELNS1_3repE0EEENS1_30default_config_static_selectorELNS0_4arch9wavefront6targetE1EEEvT1_
    .private_segment_fixed_size: 0
    .sgpr_count:     4
    .sgpr_spill_count: 0
    .symbol:         _ZN7rocprim17ROCPRIM_400000_NS6detail17trampoline_kernelINS0_14default_configENS1_27scan_by_key_config_selectorIj11FixedVectorIiLj8EEEEZZNS1_16scan_by_key_implILNS1_25lookback_scan_determinismE0ELb1ES3_N6thrust23THRUST_200600_302600_NS6detail15normal_iteratorINSB_10device_ptrIjEEEENSD_INSE_IS6_EEEESI_S6_NSB_4plusIvEENSB_8equal_toIvEES6_EE10hipError_tPvRmT2_T3_T4_T5_mT6_T7_P12ihipStream_tbENKUlT_T0_E_clISt17integral_constantIbLb1EES13_EEDaSY_SZ_EUlSY_E_NS1_11comp_targetILNS1_3genE8ELNS1_11target_archE1030ELNS1_3gpuE2ELNS1_3repE0EEENS1_30default_config_static_selectorELNS0_4arch9wavefront6targetE1EEEvT1_.kd
    .uniform_work_group_size: 1
    .uses_dynamic_stack: false
    .vgpr_count:     0
    .vgpr_spill_count: 0
    .wavefront_size: 64
  - .agpr_count:     0
    .args:
      - .offset:         0
        .size:           160
        .value_kind:     by_value
    .group_segment_fixed_size: 0
    .kernarg_segment_align: 8
    .kernarg_segment_size: 160
    .language:       OpenCL C
    .language_version:
      - 2
      - 0
    .max_flat_workgroup_size: 256
    .name:           _ZN7rocprim17ROCPRIM_400000_NS6detail17trampoline_kernelINS0_14default_configENS1_27scan_by_key_config_selectorIj11FixedVectorIiLj8EEEEZZNS1_16scan_by_key_implILNS1_25lookback_scan_determinismE0ELb1ES3_N6thrust23THRUST_200600_302600_NS6detail15normal_iteratorINSB_10device_ptrIjEEEENSD_INSE_IS6_EEEESI_S6_NSB_4plusIvEENSB_8equal_toIvEES6_EE10hipError_tPvRmT2_T3_T4_T5_mT6_T7_P12ihipStream_tbENKUlT_T0_E_clISt17integral_constantIbLb1EES12_IbLb0EEEEDaSY_SZ_EUlSY_E_NS1_11comp_targetILNS1_3genE0ELNS1_11target_archE4294967295ELNS1_3gpuE0ELNS1_3repE0EEENS1_30default_config_static_selectorELNS0_4arch9wavefront6targetE1EEEvT1_
    .private_segment_fixed_size: 0
    .sgpr_count:     4
    .sgpr_spill_count: 0
    .symbol:         _ZN7rocprim17ROCPRIM_400000_NS6detail17trampoline_kernelINS0_14default_configENS1_27scan_by_key_config_selectorIj11FixedVectorIiLj8EEEEZZNS1_16scan_by_key_implILNS1_25lookback_scan_determinismE0ELb1ES3_N6thrust23THRUST_200600_302600_NS6detail15normal_iteratorINSB_10device_ptrIjEEEENSD_INSE_IS6_EEEESI_S6_NSB_4plusIvEENSB_8equal_toIvEES6_EE10hipError_tPvRmT2_T3_T4_T5_mT6_T7_P12ihipStream_tbENKUlT_T0_E_clISt17integral_constantIbLb1EES12_IbLb0EEEEDaSY_SZ_EUlSY_E_NS1_11comp_targetILNS1_3genE0ELNS1_11target_archE4294967295ELNS1_3gpuE0ELNS1_3repE0EEENS1_30default_config_static_selectorELNS0_4arch9wavefront6targetE1EEEvT1_.kd
    .uniform_work_group_size: 1
    .uses_dynamic_stack: false
    .vgpr_count:     0
    .vgpr_spill_count: 0
    .wavefront_size: 64
  - .agpr_count:     0
    .args:
      - .offset:         0
        .size:           160
        .value_kind:     by_value
    .group_segment_fixed_size: 0
    .kernarg_segment_align: 8
    .kernarg_segment_size: 160
    .language:       OpenCL C
    .language_version:
      - 2
      - 0
    .max_flat_workgroup_size: 256
    .name:           _ZN7rocprim17ROCPRIM_400000_NS6detail17trampoline_kernelINS0_14default_configENS1_27scan_by_key_config_selectorIj11FixedVectorIiLj8EEEEZZNS1_16scan_by_key_implILNS1_25lookback_scan_determinismE0ELb1ES3_N6thrust23THRUST_200600_302600_NS6detail15normal_iteratorINSB_10device_ptrIjEEEENSD_INSE_IS6_EEEESI_S6_NSB_4plusIvEENSB_8equal_toIvEES6_EE10hipError_tPvRmT2_T3_T4_T5_mT6_T7_P12ihipStream_tbENKUlT_T0_E_clISt17integral_constantIbLb1EES12_IbLb0EEEEDaSY_SZ_EUlSY_E_NS1_11comp_targetILNS1_3genE10ELNS1_11target_archE1201ELNS1_3gpuE5ELNS1_3repE0EEENS1_30default_config_static_selectorELNS0_4arch9wavefront6targetE1EEEvT1_
    .private_segment_fixed_size: 0
    .sgpr_count:     4
    .sgpr_spill_count: 0
    .symbol:         _ZN7rocprim17ROCPRIM_400000_NS6detail17trampoline_kernelINS0_14default_configENS1_27scan_by_key_config_selectorIj11FixedVectorIiLj8EEEEZZNS1_16scan_by_key_implILNS1_25lookback_scan_determinismE0ELb1ES3_N6thrust23THRUST_200600_302600_NS6detail15normal_iteratorINSB_10device_ptrIjEEEENSD_INSE_IS6_EEEESI_S6_NSB_4plusIvEENSB_8equal_toIvEES6_EE10hipError_tPvRmT2_T3_T4_T5_mT6_T7_P12ihipStream_tbENKUlT_T0_E_clISt17integral_constantIbLb1EES12_IbLb0EEEEDaSY_SZ_EUlSY_E_NS1_11comp_targetILNS1_3genE10ELNS1_11target_archE1201ELNS1_3gpuE5ELNS1_3repE0EEENS1_30default_config_static_selectorELNS0_4arch9wavefront6targetE1EEEvT1_.kd
    .uniform_work_group_size: 1
    .uses_dynamic_stack: false
    .vgpr_count:     0
    .vgpr_spill_count: 0
    .wavefront_size: 64
  - .agpr_count:     0
    .args:
      - .offset:         0
        .size:           160
        .value_kind:     by_value
    .group_segment_fixed_size: 0
    .kernarg_segment_align: 8
    .kernarg_segment_size: 160
    .language:       OpenCL C
    .language_version:
      - 2
      - 0
    .max_flat_workgroup_size: 256
    .name:           _ZN7rocprim17ROCPRIM_400000_NS6detail17trampoline_kernelINS0_14default_configENS1_27scan_by_key_config_selectorIj11FixedVectorIiLj8EEEEZZNS1_16scan_by_key_implILNS1_25lookback_scan_determinismE0ELb1ES3_N6thrust23THRUST_200600_302600_NS6detail15normal_iteratorINSB_10device_ptrIjEEEENSD_INSE_IS6_EEEESI_S6_NSB_4plusIvEENSB_8equal_toIvEES6_EE10hipError_tPvRmT2_T3_T4_T5_mT6_T7_P12ihipStream_tbENKUlT_T0_E_clISt17integral_constantIbLb1EES12_IbLb0EEEEDaSY_SZ_EUlSY_E_NS1_11comp_targetILNS1_3genE5ELNS1_11target_archE942ELNS1_3gpuE9ELNS1_3repE0EEENS1_30default_config_static_selectorELNS0_4arch9wavefront6targetE1EEEvT1_
    .private_segment_fixed_size: 0
    .sgpr_count:     4
    .sgpr_spill_count: 0
    .symbol:         _ZN7rocprim17ROCPRIM_400000_NS6detail17trampoline_kernelINS0_14default_configENS1_27scan_by_key_config_selectorIj11FixedVectorIiLj8EEEEZZNS1_16scan_by_key_implILNS1_25lookback_scan_determinismE0ELb1ES3_N6thrust23THRUST_200600_302600_NS6detail15normal_iteratorINSB_10device_ptrIjEEEENSD_INSE_IS6_EEEESI_S6_NSB_4plusIvEENSB_8equal_toIvEES6_EE10hipError_tPvRmT2_T3_T4_T5_mT6_T7_P12ihipStream_tbENKUlT_T0_E_clISt17integral_constantIbLb1EES12_IbLb0EEEEDaSY_SZ_EUlSY_E_NS1_11comp_targetILNS1_3genE5ELNS1_11target_archE942ELNS1_3gpuE9ELNS1_3repE0EEENS1_30default_config_static_selectorELNS0_4arch9wavefront6targetE1EEEvT1_.kd
    .uniform_work_group_size: 1
    .uses_dynamic_stack: false
    .vgpr_count:     0
    .vgpr_spill_count: 0
    .wavefront_size: 64
  - .agpr_count:     0
    .args:
      - .offset:         0
        .size:           160
        .value_kind:     by_value
    .group_segment_fixed_size: 32768
    .kernarg_segment_align: 8
    .kernarg_segment_size: 160
    .language:       OpenCL C
    .language_version:
      - 2
      - 0
    .max_flat_workgroup_size: 256
    .name:           _ZN7rocprim17ROCPRIM_400000_NS6detail17trampoline_kernelINS0_14default_configENS1_27scan_by_key_config_selectorIj11FixedVectorIiLj8EEEEZZNS1_16scan_by_key_implILNS1_25lookback_scan_determinismE0ELb1ES3_N6thrust23THRUST_200600_302600_NS6detail15normal_iteratorINSB_10device_ptrIjEEEENSD_INSE_IS6_EEEESI_S6_NSB_4plusIvEENSB_8equal_toIvEES6_EE10hipError_tPvRmT2_T3_T4_T5_mT6_T7_P12ihipStream_tbENKUlT_T0_E_clISt17integral_constantIbLb1EES12_IbLb0EEEEDaSY_SZ_EUlSY_E_NS1_11comp_targetILNS1_3genE4ELNS1_11target_archE910ELNS1_3gpuE8ELNS1_3repE0EEENS1_30default_config_static_selectorELNS0_4arch9wavefront6targetE1EEEvT1_
    .private_segment_fixed_size: 432
    .sgpr_count:     59
    .sgpr_spill_count: 0
    .symbol:         _ZN7rocprim17ROCPRIM_400000_NS6detail17trampoline_kernelINS0_14default_configENS1_27scan_by_key_config_selectorIj11FixedVectorIiLj8EEEEZZNS1_16scan_by_key_implILNS1_25lookback_scan_determinismE0ELb1ES3_N6thrust23THRUST_200600_302600_NS6detail15normal_iteratorINSB_10device_ptrIjEEEENSD_INSE_IS6_EEEESI_S6_NSB_4plusIvEENSB_8equal_toIvEES6_EE10hipError_tPvRmT2_T3_T4_T5_mT6_T7_P12ihipStream_tbENKUlT_T0_E_clISt17integral_constantIbLb1EES12_IbLb0EEEEDaSY_SZ_EUlSY_E_NS1_11comp_targetILNS1_3genE4ELNS1_11target_archE910ELNS1_3gpuE8ELNS1_3repE0EEENS1_30default_config_static_selectorELNS0_4arch9wavefront6targetE1EEEvT1_.kd
    .uniform_work_group_size: 1
    .uses_dynamic_stack: false
    .vgpr_count:     45
    .vgpr_spill_count: 0
    .wavefront_size: 64
  - .agpr_count:     0
    .args:
      - .offset:         0
        .size:           160
        .value_kind:     by_value
    .group_segment_fixed_size: 0
    .kernarg_segment_align: 8
    .kernarg_segment_size: 160
    .language:       OpenCL C
    .language_version:
      - 2
      - 0
    .max_flat_workgroup_size: 256
    .name:           _ZN7rocprim17ROCPRIM_400000_NS6detail17trampoline_kernelINS0_14default_configENS1_27scan_by_key_config_selectorIj11FixedVectorIiLj8EEEEZZNS1_16scan_by_key_implILNS1_25lookback_scan_determinismE0ELb1ES3_N6thrust23THRUST_200600_302600_NS6detail15normal_iteratorINSB_10device_ptrIjEEEENSD_INSE_IS6_EEEESI_S6_NSB_4plusIvEENSB_8equal_toIvEES6_EE10hipError_tPvRmT2_T3_T4_T5_mT6_T7_P12ihipStream_tbENKUlT_T0_E_clISt17integral_constantIbLb1EES12_IbLb0EEEEDaSY_SZ_EUlSY_E_NS1_11comp_targetILNS1_3genE3ELNS1_11target_archE908ELNS1_3gpuE7ELNS1_3repE0EEENS1_30default_config_static_selectorELNS0_4arch9wavefront6targetE1EEEvT1_
    .private_segment_fixed_size: 0
    .sgpr_count:     4
    .sgpr_spill_count: 0
    .symbol:         _ZN7rocprim17ROCPRIM_400000_NS6detail17trampoline_kernelINS0_14default_configENS1_27scan_by_key_config_selectorIj11FixedVectorIiLj8EEEEZZNS1_16scan_by_key_implILNS1_25lookback_scan_determinismE0ELb1ES3_N6thrust23THRUST_200600_302600_NS6detail15normal_iteratorINSB_10device_ptrIjEEEENSD_INSE_IS6_EEEESI_S6_NSB_4plusIvEENSB_8equal_toIvEES6_EE10hipError_tPvRmT2_T3_T4_T5_mT6_T7_P12ihipStream_tbENKUlT_T0_E_clISt17integral_constantIbLb1EES12_IbLb0EEEEDaSY_SZ_EUlSY_E_NS1_11comp_targetILNS1_3genE3ELNS1_11target_archE908ELNS1_3gpuE7ELNS1_3repE0EEENS1_30default_config_static_selectorELNS0_4arch9wavefront6targetE1EEEvT1_.kd
    .uniform_work_group_size: 1
    .uses_dynamic_stack: false
    .vgpr_count:     0
    .vgpr_spill_count: 0
    .wavefront_size: 64
  - .agpr_count:     0
    .args:
      - .offset:         0
        .size:           160
        .value_kind:     by_value
    .group_segment_fixed_size: 0
    .kernarg_segment_align: 8
    .kernarg_segment_size: 160
    .language:       OpenCL C
    .language_version:
      - 2
      - 0
    .max_flat_workgroup_size: 256
    .name:           _ZN7rocprim17ROCPRIM_400000_NS6detail17trampoline_kernelINS0_14default_configENS1_27scan_by_key_config_selectorIj11FixedVectorIiLj8EEEEZZNS1_16scan_by_key_implILNS1_25lookback_scan_determinismE0ELb1ES3_N6thrust23THRUST_200600_302600_NS6detail15normal_iteratorINSB_10device_ptrIjEEEENSD_INSE_IS6_EEEESI_S6_NSB_4plusIvEENSB_8equal_toIvEES6_EE10hipError_tPvRmT2_T3_T4_T5_mT6_T7_P12ihipStream_tbENKUlT_T0_E_clISt17integral_constantIbLb1EES12_IbLb0EEEEDaSY_SZ_EUlSY_E_NS1_11comp_targetILNS1_3genE2ELNS1_11target_archE906ELNS1_3gpuE6ELNS1_3repE0EEENS1_30default_config_static_selectorELNS0_4arch9wavefront6targetE1EEEvT1_
    .private_segment_fixed_size: 0
    .sgpr_count:     4
    .sgpr_spill_count: 0
    .symbol:         _ZN7rocprim17ROCPRIM_400000_NS6detail17trampoline_kernelINS0_14default_configENS1_27scan_by_key_config_selectorIj11FixedVectorIiLj8EEEEZZNS1_16scan_by_key_implILNS1_25lookback_scan_determinismE0ELb1ES3_N6thrust23THRUST_200600_302600_NS6detail15normal_iteratorINSB_10device_ptrIjEEEENSD_INSE_IS6_EEEESI_S6_NSB_4plusIvEENSB_8equal_toIvEES6_EE10hipError_tPvRmT2_T3_T4_T5_mT6_T7_P12ihipStream_tbENKUlT_T0_E_clISt17integral_constantIbLb1EES12_IbLb0EEEEDaSY_SZ_EUlSY_E_NS1_11comp_targetILNS1_3genE2ELNS1_11target_archE906ELNS1_3gpuE6ELNS1_3repE0EEENS1_30default_config_static_selectorELNS0_4arch9wavefront6targetE1EEEvT1_.kd
    .uniform_work_group_size: 1
    .uses_dynamic_stack: false
    .vgpr_count:     0
    .vgpr_spill_count: 0
    .wavefront_size: 64
  - .agpr_count:     0
    .args:
      - .offset:         0
        .size:           160
        .value_kind:     by_value
    .group_segment_fixed_size: 0
    .kernarg_segment_align: 8
    .kernarg_segment_size: 160
    .language:       OpenCL C
    .language_version:
      - 2
      - 0
    .max_flat_workgroup_size: 256
    .name:           _ZN7rocprim17ROCPRIM_400000_NS6detail17trampoline_kernelINS0_14default_configENS1_27scan_by_key_config_selectorIj11FixedVectorIiLj8EEEEZZNS1_16scan_by_key_implILNS1_25lookback_scan_determinismE0ELb1ES3_N6thrust23THRUST_200600_302600_NS6detail15normal_iteratorINSB_10device_ptrIjEEEENSD_INSE_IS6_EEEESI_S6_NSB_4plusIvEENSB_8equal_toIvEES6_EE10hipError_tPvRmT2_T3_T4_T5_mT6_T7_P12ihipStream_tbENKUlT_T0_E_clISt17integral_constantIbLb1EES12_IbLb0EEEEDaSY_SZ_EUlSY_E_NS1_11comp_targetILNS1_3genE10ELNS1_11target_archE1200ELNS1_3gpuE4ELNS1_3repE0EEENS1_30default_config_static_selectorELNS0_4arch9wavefront6targetE1EEEvT1_
    .private_segment_fixed_size: 0
    .sgpr_count:     4
    .sgpr_spill_count: 0
    .symbol:         _ZN7rocprim17ROCPRIM_400000_NS6detail17trampoline_kernelINS0_14default_configENS1_27scan_by_key_config_selectorIj11FixedVectorIiLj8EEEEZZNS1_16scan_by_key_implILNS1_25lookback_scan_determinismE0ELb1ES3_N6thrust23THRUST_200600_302600_NS6detail15normal_iteratorINSB_10device_ptrIjEEEENSD_INSE_IS6_EEEESI_S6_NSB_4plusIvEENSB_8equal_toIvEES6_EE10hipError_tPvRmT2_T3_T4_T5_mT6_T7_P12ihipStream_tbENKUlT_T0_E_clISt17integral_constantIbLb1EES12_IbLb0EEEEDaSY_SZ_EUlSY_E_NS1_11comp_targetILNS1_3genE10ELNS1_11target_archE1200ELNS1_3gpuE4ELNS1_3repE0EEENS1_30default_config_static_selectorELNS0_4arch9wavefront6targetE1EEEvT1_.kd
    .uniform_work_group_size: 1
    .uses_dynamic_stack: false
    .vgpr_count:     0
    .vgpr_spill_count: 0
    .wavefront_size: 64
  - .agpr_count:     0
    .args:
      - .offset:         0
        .size:           160
        .value_kind:     by_value
    .group_segment_fixed_size: 0
    .kernarg_segment_align: 8
    .kernarg_segment_size: 160
    .language:       OpenCL C
    .language_version:
      - 2
      - 0
    .max_flat_workgroup_size: 256
    .name:           _ZN7rocprim17ROCPRIM_400000_NS6detail17trampoline_kernelINS0_14default_configENS1_27scan_by_key_config_selectorIj11FixedVectorIiLj8EEEEZZNS1_16scan_by_key_implILNS1_25lookback_scan_determinismE0ELb1ES3_N6thrust23THRUST_200600_302600_NS6detail15normal_iteratorINSB_10device_ptrIjEEEENSD_INSE_IS6_EEEESI_S6_NSB_4plusIvEENSB_8equal_toIvEES6_EE10hipError_tPvRmT2_T3_T4_T5_mT6_T7_P12ihipStream_tbENKUlT_T0_E_clISt17integral_constantIbLb1EES12_IbLb0EEEEDaSY_SZ_EUlSY_E_NS1_11comp_targetILNS1_3genE9ELNS1_11target_archE1100ELNS1_3gpuE3ELNS1_3repE0EEENS1_30default_config_static_selectorELNS0_4arch9wavefront6targetE1EEEvT1_
    .private_segment_fixed_size: 0
    .sgpr_count:     4
    .sgpr_spill_count: 0
    .symbol:         _ZN7rocprim17ROCPRIM_400000_NS6detail17trampoline_kernelINS0_14default_configENS1_27scan_by_key_config_selectorIj11FixedVectorIiLj8EEEEZZNS1_16scan_by_key_implILNS1_25lookback_scan_determinismE0ELb1ES3_N6thrust23THRUST_200600_302600_NS6detail15normal_iteratorINSB_10device_ptrIjEEEENSD_INSE_IS6_EEEESI_S6_NSB_4plusIvEENSB_8equal_toIvEES6_EE10hipError_tPvRmT2_T3_T4_T5_mT6_T7_P12ihipStream_tbENKUlT_T0_E_clISt17integral_constantIbLb1EES12_IbLb0EEEEDaSY_SZ_EUlSY_E_NS1_11comp_targetILNS1_3genE9ELNS1_11target_archE1100ELNS1_3gpuE3ELNS1_3repE0EEENS1_30default_config_static_selectorELNS0_4arch9wavefront6targetE1EEEvT1_.kd
    .uniform_work_group_size: 1
    .uses_dynamic_stack: false
    .vgpr_count:     0
    .vgpr_spill_count: 0
    .wavefront_size: 64
  - .agpr_count:     0
    .args:
      - .offset:         0
        .size:           160
        .value_kind:     by_value
    .group_segment_fixed_size: 0
    .kernarg_segment_align: 8
    .kernarg_segment_size: 160
    .language:       OpenCL C
    .language_version:
      - 2
      - 0
    .max_flat_workgroup_size: 256
    .name:           _ZN7rocprim17ROCPRIM_400000_NS6detail17trampoline_kernelINS0_14default_configENS1_27scan_by_key_config_selectorIj11FixedVectorIiLj8EEEEZZNS1_16scan_by_key_implILNS1_25lookback_scan_determinismE0ELb1ES3_N6thrust23THRUST_200600_302600_NS6detail15normal_iteratorINSB_10device_ptrIjEEEENSD_INSE_IS6_EEEESI_S6_NSB_4plusIvEENSB_8equal_toIvEES6_EE10hipError_tPvRmT2_T3_T4_T5_mT6_T7_P12ihipStream_tbENKUlT_T0_E_clISt17integral_constantIbLb1EES12_IbLb0EEEEDaSY_SZ_EUlSY_E_NS1_11comp_targetILNS1_3genE8ELNS1_11target_archE1030ELNS1_3gpuE2ELNS1_3repE0EEENS1_30default_config_static_selectorELNS0_4arch9wavefront6targetE1EEEvT1_
    .private_segment_fixed_size: 0
    .sgpr_count:     4
    .sgpr_spill_count: 0
    .symbol:         _ZN7rocprim17ROCPRIM_400000_NS6detail17trampoline_kernelINS0_14default_configENS1_27scan_by_key_config_selectorIj11FixedVectorIiLj8EEEEZZNS1_16scan_by_key_implILNS1_25lookback_scan_determinismE0ELb1ES3_N6thrust23THRUST_200600_302600_NS6detail15normal_iteratorINSB_10device_ptrIjEEEENSD_INSE_IS6_EEEESI_S6_NSB_4plusIvEENSB_8equal_toIvEES6_EE10hipError_tPvRmT2_T3_T4_T5_mT6_T7_P12ihipStream_tbENKUlT_T0_E_clISt17integral_constantIbLb1EES12_IbLb0EEEEDaSY_SZ_EUlSY_E_NS1_11comp_targetILNS1_3genE8ELNS1_11target_archE1030ELNS1_3gpuE2ELNS1_3repE0EEENS1_30default_config_static_selectorELNS0_4arch9wavefront6targetE1EEEvT1_.kd
    .uniform_work_group_size: 1
    .uses_dynamic_stack: false
    .vgpr_count:     0
    .vgpr_spill_count: 0
    .wavefront_size: 64
  - .agpr_count:     0
    .args:
      - .offset:         0
        .size:           160
        .value_kind:     by_value
    .group_segment_fixed_size: 0
    .kernarg_segment_align: 8
    .kernarg_segment_size: 160
    .language:       OpenCL C
    .language_version:
      - 2
      - 0
    .max_flat_workgroup_size: 256
    .name:           _ZN7rocprim17ROCPRIM_400000_NS6detail17trampoline_kernelINS0_14default_configENS1_27scan_by_key_config_selectorIj11FixedVectorIiLj8EEEEZZNS1_16scan_by_key_implILNS1_25lookback_scan_determinismE0ELb1ES3_N6thrust23THRUST_200600_302600_NS6detail15normal_iteratorINSB_10device_ptrIjEEEENSD_INSE_IS6_EEEESI_S6_NSB_4plusIvEENSB_8equal_toIvEES6_EE10hipError_tPvRmT2_T3_T4_T5_mT6_T7_P12ihipStream_tbENKUlT_T0_E_clISt17integral_constantIbLb0EES12_IbLb1EEEEDaSY_SZ_EUlSY_E_NS1_11comp_targetILNS1_3genE0ELNS1_11target_archE4294967295ELNS1_3gpuE0ELNS1_3repE0EEENS1_30default_config_static_selectorELNS0_4arch9wavefront6targetE1EEEvT1_
    .private_segment_fixed_size: 0
    .sgpr_count:     4
    .sgpr_spill_count: 0
    .symbol:         _ZN7rocprim17ROCPRIM_400000_NS6detail17trampoline_kernelINS0_14default_configENS1_27scan_by_key_config_selectorIj11FixedVectorIiLj8EEEEZZNS1_16scan_by_key_implILNS1_25lookback_scan_determinismE0ELb1ES3_N6thrust23THRUST_200600_302600_NS6detail15normal_iteratorINSB_10device_ptrIjEEEENSD_INSE_IS6_EEEESI_S6_NSB_4plusIvEENSB_8equal_toIvEES6_EE10hipError_tPvRmT2_T3_T4_T5_mT6_T7_P12ihipStream_tbENKUlT_T0_E_clISt17integral_constantIbLb0EES12_IbLb1EEEEDaSY_SZ_EUlSY_E_NS1_11comp_targetILNS1_3genE0ELNS1_11target_archE4294967295ELNS1_3gpuE0ELNS1_3repE0EEENS1_30default_config_static_selectorELNS0_4arch9wavefront6targetE1EEEvT1_.kd
    .uniform_work_group_size: 1
    .uses_dynamic_stack: false
    .vgpr_count:     0
    .vgpr_spill_count: 0
    .wavefront_size: 64
  - .agpr_count:     0
    .args:
      - .offset:         0
        .size:           160
        .value_kind:     by_value
    .group_segment_fixed_size: 0
    .kernarg_segment_align: 8
    .kernarg_segment_size: 160
    .language:       OpenCL C
    .language_version:
      - 2
      - 0
    .max_flat_workgroup_size: 256
    .name:           _ZN7rocprim17ROCPRIM_400000_NS6detail17trampoline_kernelINS0_14default_configENS1_27scan_by_key_config_selectorIj11FixedVectorIiLj8EEEEZZNS1_16scan_by_key_implILNS1_25lookback_scan_determinismE0ELb1ES3_N6thrust23THRUST_200600_302600_NS6detail15normal_iteratorINSB_10device_ptrIjEEEENSD_INSE_IS6_EEEESI_S6_NSB_4plusIvEENSB_8equal_toIvEES6_EE10hipError_tPvRmT2_T3_T4_T5_mT6_T7_P12ihipStream_tbENKUlT_T0_E_clISt17integral_constantIbLb0EES12_IbLb1EEEEDaSY_SZ_EUlSY_E_NS1_11comp_targetILNS1_3genE10ELNS1_11target_archE1201ELNS1_3gpuE5ELNS1_3repE0EEENS1_30default_config_static_selectorELNS0_4arch9wavefront6targetE1EEEvT1_
    .private_segment_fixed_size: 0
    .sgpr_count:     4
    .sgpr_spill_count: 0
    .symbol:         _ZN7rocprim17ROCPRIM_400000_NS6detail17trampoline_kernelINS0_14default_configENS1_27scan_by_key_config_selectorIj11FixedVectorIiLj8EEEEZZNS1_16scan_by_key_implILNS1_25lookback_scan_determinismE0ELb1ES3_N6thrust23THRUST_200600_302600_NS6detail15normal_iteratorINSB_10device_ptrIjEEEENSD_INSE_IS6_EEEESI_S6_NSB_4plusIvEENSB_8equal_toIvEES6_EE10hipError_tPvRmT2_T3_T4_T5_mT6_T7_P12ihipStream_tbENKUlT_T0_E_clISt17integral_constantIbLb0EES12_IbLb1EEEEDaSY_SZ_EUlSY_E_NS1_11comp_targetILNS1_3genE10ELNS1_11target_archE1201ELNS1_3gpuE5ELNS1_3repE0EEENS1_30default_config_static_selectorELNS0_4arch9wavefront6targetE1EEEvT1_.kd
    .uniform_work_group_size: 1
    .uses_dynamic_stack: false
    .vgpr_count:     0
    .vgpr_spill_count: 0
    .wavefront_size: 64
  - .agpr_count:     0
    .args:
      - .offset:         0
        .size:           160
        .value_kind:     by_value
    .group_segment_fixed_size: 0
    .kernarg_segment_align: 8
    .kernarg_segment_size: 160
    .language:       OpenCL C
    .language_version:
      - 2
      - 0
    .max_flat_workgroup_size: 256
    .name:           _ZN7rocprim17ROCPRIM_400000_NS6detail17trampoline_kernelINS0_14default_configENS1_27scan_by_key_config_selectorIj11FixedVectorIiLj8EEEEZZNS1_16scan_by_key_implILNS1_25lookback_scan_determinismE0ELb1ES3_N6thrust23THRUST_200600_302600_NS6detail15normal_iteratorINSB_10device_ptrIjEEEENSD_INSE_IS6_EEEESI_S6_NSB_4plusIvEENSB_8equal_toIvEES6_EE10hipError_tPvRmT2_T3_T4_T5_mT6_T7_P12ihipStream_tbENKUlT_T0_E_clISt17integral_constantIbLb0EES12_IbLb1EEEEDaSY_SZ_EUlSY_E_NS1_11comp_targetILNS1_3genE5ELNS1_11target_archE942ELNS1_3gpuE9ELNS1_3repE0EEENS1_30default_config_static_selectorELNS0_4arch9wavefront6targetE1EEEvT1_
    .private_segment_fixed_size: 0
    .sgpr_count:     4
    .sgpr_spill_count: 0
    .symbol:         _ZN7rocprim17ROCPRIM_400000_NS6detail17trampoline_kernelINS0_14default_configENS1_27scan_by_key_config_selectorIj11FixedVectorIiLj8EEEEZZNS1_16scan_by_key_implILNS1_25lookback_scan_determinismE0ELb1ES3_N6thrust23THRUST_200600_302600_NS6detail15normal_iteratorINSB_10device_ptrIjEEEENSD_INSE_IS6_EEEESI_S6_NSB_4plusIvEENSB_8equal_toIvEES6_EE10hipError_tPvRmT2_T3_T4_T5_mT6_T7_P12ihipStream_tbENKUlT_T0_E_clISt17integral_constantIbLb0EES12_IbLb1EEEEDaSY_SZ_EUlSY_E_NS1_11comp_targetILNS1_3genE5ELNS1_11target_archE942ELNS1_3gpuE9ELNS1_3repE0EEENS1_30default_config_static_selectorELNS0_4arch9wavefront6targetE1EEEvT1_.kd
    .uniform_work_group_size: 1
    .uses_dynamic_stack: false
    .vgpr_count:     0
    .vgpr_spill_count: 0
    .wavefront_size: 64
  - .agpr_count:     0
    .args:
      - .offset:         0
        .size:           160
        .value_kind:     by_value
    .group_segment_fixed_size: 32768
    .kernarg_segment_align: 8
    .kernarg_segment_size: 160
    .language:       OpenCL C
    .language_version:
      - 2
      - 0
    .max_flat_workgroup_size: 256
    .name:           _ZN7rocprim17ROCPRIM_400000_NS6detail17trampoline_kernelINS0_14default_configENS1_27scan_by_key_config_selectorIj11FixedVectorIiLj8EEEEZZNS1_16scan_by_key_implILNS1_25lookback_scan_determinismE0ELb1ES3_N6thrust23THRUST_200600_302600_NS6detail15normal_iteratorINSB_10device_ptrIjEEEENSD_INSE_IS6_EEEESI_S6_NSB_4plusIvEENSB_8equal_toIvEES6_EE10hipError_tPvRmT2_T3_T4_T5_mT6_T7_P12ihipStream_tbENKUlT_T0_E_clISt17integral_constantIbLb0EES12_IbLb1EEEEDaSY_SZ_EUlSY_E_NS1_11comp_targetILNS1_3genE4ELNS1_11target_archE910ELNS1_3gpuE8ELNS1_3repE0EEENS1_30default_config_static_selectorELNS0_4arch9wavefront6targetE1EEEvT1_
    .private_segment_fixed_size: 432
    .sgpr_count:     63
    .sgpr_spill_count: 0
    .symbol:         _ZN7rocprim17ROCPRIM_400000_NS6detail17trampoline_kernelINS0_14default_configENS1_27scan_by_key_config_selectorIj11FixedVectorIiLj8EEEEZZNS1_16scan_by_key_implILNS1_25lookback_scan_determinismE0ELb1ES3_N6thrust23THRUST_200600_302600_NS6detail15normal_iteratorINSB_10device_ptrIjEEEENSD_INSE_IS6_EEEESI_S6_NSB_4plusIvEENSB_8equal_toIvEES6_EE10hipError_tPvRmT2_T3_T4_T5_mT6_T7_P12ihipStream_tbENKUlT_T0_E_clISt17integral_constantIbLb0EES12_IbLb1EEEEDaSY_SZ_EUlSY_E_NS1_11comp_targetILNS1_3genE4ELNS1_11target_archE910ELNS1_3gpuE8ELNS1_3repE0EEENS1_30default_config_static_selectorELNS0_4arch9wavefront6targetE1EEEvT1_.kd
    .uniform_work_group_size: 1
    .uses_dynamic_stack: false
    .vgpr_count:     45
    .vgpr_spill_count: 0
    .wavefront_size: 64
  - .agpr_count:     0
    .args:
      - .offset:         0
        .size:           160
        .value_kind:     by_value
    .group_segment_fixed_size: 0
    .kernarg_segment_align: 8
    .kernarg_segment_size: 160
    .language:       OpenCL C
    .language_version:
      - 2
      - 0
    .max_flat_workgroup_size: 256
    .name:           _ZN7rocprim17ROCPRIM_400000_NS6detail17trampoline_kernelINS0_14default_configENS1_27scan_by_key_config_selectorIj11FixedVectorIiLj8EEEEZZNS1_16scan_by_key_implILNS1_25lookback_scan_determinismE0ELb1ES3_N6thrust23THRUST_200600_302600_NS6detail15normal_iteratorINSB_10device_ptrIjEEEENSD_INSE_IS6_EEEESI_S6_NSB_4plusIvEENSB_8equal_toIvEES6_EE10hipError_tPvRmT2_T3_T4_T5_mT6_T7_P12ihipStream_tbENKUlT_T0_E_clISt17integral_constantIbLb0EES12_IbLb1EEEEDaSY_SZ_EUlSY_E_NS1_11comp_targetILNS1_3genE3ELNS1_11target_archE908ELNS1_3gpuE7ELNS1_3repE0EEENS1_30default_config_static_selectorELNS0_4arch9wavefront6targetE1EEEvT1_
    .private_segment_fixed_size: 0
    .sgpr_count:     4
    .sgpr_spill_count: 0
    .symbol:         _ZN7rocprim17ROCPRIM_400000_NS6detail17trampoline_kernelINS0_14default_configENS1_27scan_by_key_config_selectorIj11FixedVectorIiLj8EEEEZZNS1_16scan_by_key_implILNS1_25lookback_scan_determinismE0ELb1ES3_N6thrust23THRUST_200600_302600_NS6detail15normal_iteratorINSB_10device_ptrIjEEEENSD_INSE_IS6_EEEESI_S6_NSB_4plusIvEENSB_8equal_toIvEES6_EE10hipError_tPvRmT2_T3_T4_T5_mT6_T7_P12ihipStream_tbENKUlT_T0_E_clISt17integral_constantIbLb0EES12_IbLb1EEEEDaSY_SZ_EUlSY_E_NS1_11comp_targetILNS1_3genE3ELNS1_11target_archE908ELNS1_3gpuE7ELNS1_3repE0EEENS1_30default_config_static_selectorELNS0_4arch9wavefront6targetE1EEEvT1_.kd
    .uniform_work_group_size: 1
    .uses_dynamic_stack: false
    .vgpr_count:     0
    .vgpr_spill_count: 0
    .wavefront_size: 64
  - .agpr_count:     0
    .args:
      - .offset:         0
        .size:           160
        .value_kind:     by_value
    .group_segment_fixed_size: 0
    .kernarg_segment_align: 8
    .kernarg_segment_size: 160
    .language:       OpenCL C
    .language_version:
      - 2
      - 0
    .max_flat_workgroup_size: 256
    .name:           _ZN7rocprim17ROCPRIM_400000_NS6detail17trampoline_kernelINS0_14default_configENS1_27scan_by_key_config_selectorIj11FixedVectorIiLj8EEEEZZNS1_16scan_by_key_implILNS1_25lookback_scan_determinismE0ELb1ES3_N6thrust23THRUST_200600_302600_NS6detail15normal_iteratorINSB_10device_ptrIjEEEENSD_INSE_IS6_EEEESI_S6_NSB_4plusIvEENSB_8equal_toIvEES6_EE10hipError_tPvRmT2_T3_T4_T5_mT6_T7_P12ihipStream_tbENKUlT_T0_E_clISt17integral_constantIbLb0EES12_IbLb1EEEEDaSY_SZ_EUlSY_E_NS1_11comp_targetILNS1_3genE2ELNS1_11target_archE906ELNS1_3gpuE6ELNS1_3repE0EEENS1_30default_config_static_selectorELNS0_4arch9wavefront6targetE1EEEvT1_
    .private_segment_fixed_size: 0
    .sgpr_count:     4
    .sgpr_spill_count: 0
    .symbol:         _ZN7rocprim17ROCPRIM_400000_NS6detail17trampoline_kernelINS0_14default_configENS1_27scan_by_key_config_selectorIj11FixedVectorIiLj8EEEEZZNS1_16scan_by_key_implILNS1_25lookback_scan_determinismE0ELb1ES3_N6thrust23THRUST_200600_302600_NS6detail15normal_iteratorINSB_10device_ptrIjEEEENSD_INSE_IS6_EEEESI_S6_NSB_4plusIvEENSB_8equal_toIvEES6_EE10hipError_tPvRmT2_T3_T4_T5_mT6_T7_P12ihipStream_tbENKUlT_T0_E_clISt17integral_constantIbLb0EES12_IbLb1EEEEDaSY_SZ_EUlSY_E_NS1_11comp_targetILNS1_3genE2ELNS1_11target_archE906ELNS1_3gpuE6ELNS1_3repE0EEENS1_30default_config_static_selectorELNS0_4arch9wavefront6targetE1EEEvT1_.kd
    .uniform_work_group_size: 1
    .uses_dynamic_stack: false
    .vgpr_count:     0
    .vgpr_spill_count: 0
    .wavefront_size: 64
  - .agpr_count:     0
    .args:
      - .offset:         0
        .size:           160
        .value_kind:     by_value
    .group_segment_fixed_size: 0
    .kernarg_segment_align: 8
    .kernarg_segment_size: 160
    .language:       OpenCL C
    .language_version:
      - 2
      - 0
    .max_flat_workgroup_size: 256
    .name:           _ZN7rocprim17ROCPRIM_400000_NS6detail17trampoline_kernelINS0_14default_configENS1_27scan_by_key_config_selectorIj11FixedVectorIiLj8EEEEZZNS1_16scan_by_key_implILNS1_25lookback_scan_determinismE0ELb1ES3_N6thrust23THRUST_200600_302600_NS6detail15normal_iteratorINSB_10device_ptrIjEEEENSD_INSE_IS6_EEEESI_S6_NSB_4plusIvEENSB_8equal_toIvEES6_EE10hipError_tPvRmT2_T3_T4_T5_mT6_T7_P12ihipStream_tbENKUlT_T0_E_clISt17integral_constantIbLb0EES12_IbLb1EEEEDaSY_SZ_EUlSY_E_NS1_11comp_targetILNS1_3genE10ELNS1_11target_archE1200ELNS1_3gpuE4ELNS1_3repE0EEENS1_30default_config_static_selectorELNS0_4arch9wavefront6targetE1EEEvT1_
    .private_segment_fixed_size: 0
    .sgpr_count:     4
    .sgpr_spill_count: 0
    .symbol:         _ZN7rocprim17ROCPRIM_400000_NS6detail17trampoline_kernelINS0_14default_configENS1_27scan_by_key_config_selectorIj11FixedVectorIiLj8EEEEZZNS1_16scan_by_key_implILNS1_25lookback_scan_determinismE0ELb1ES3_N6thrust23THRUST_200600_302600_NS6detail15normal_iteratorINSB_10device_ptrIjEEEENSD_INSE_IS6_EEEESI_S6_NSB_4plusIvEENSB_8equal_toIvEES6_EE10hipError_tPvRmT2_T3_T4_T5_mT6_T7_P12ihipStream_tbENKUlT_T0_E_clISt17integral_constantIbLb0EES12_IbLb1EEEEDaSY_SZ_EUlSY_E_NS1_11comp_targetILNS1_3genE10ELNS1_11target_archE1200ELNS1_3gpuE4ELNS1_3repE0EEENS1_30default_config_static_selectorELNS0_4arch9wavefront6targetE1EEEvT1_.kd
    .uniform_work_group_size: 1
    .uses_dynamic_stack: false
    .vgpr_count:     0
    .vgpr_spill_count: 0
    .wavefront_size: 64
  - .agpr_count:     0
    .args:
      - .offset:         0
        .size:           160
        .value_kind:     by_value
    .group_segment_fixed_size: 0
    .kernarg_segment_align: 8
    .kernarg_segment_size: 160
    .language:       OpenCL C
    .language_version:
      - 2
      - 0
    .max_flat_workgroup_size: 256
    .name:           _ZN7rocprim17ROCPRIM_400000_NS6detail17trampoline_kernelINS0_14default_configENS1_27scan_by_key_config_selectorIj11FixedVectorIiLj8EEEEZZNS1_16scan_by_key_implILNS1_25lookback_scan_determinismE0ELb1ES3_N6thrust23THRUST_200600_302600_NS6detail15normal_iteratorINSB_10device_ptrIjEEEENSD_INSE_IS6_EEEESI_S6_NSB_4plusIvEENSB_8equal_toIvEES6_EE10hipError_tPvRmT2_T3_T4_T5_mT6_T7_P12ihipStream_tbENKUlT_T0_E_clISt17integral_constantIbLb0EES12_IbLb1EEEEDaSY_SZ_EUlSY_E_NS1_11comp_targetILNS1_3genE9ELNS1_11target_archE1100ELNS1_3gpuE3ELNS1_3repE0EEENS1_30default_config_static_selectorELNS0_4arch9wavefront6targetE1EEEvT1_
    .private_segment_fixed_size: 0
    .sgpr_count:     4
    .sgpr_spill_count: 0
    .symbol:         _ZN7rocprim17ROCPRIM_400000_NS6detail17trampoline_kernelINS0_14default_configENS1_27scan_by_key_config_selectorIj11FixedVectorIiLj8EEEEZZNS1_16scan_by_key_implILNS1_25lookback_scan_determinismE0ELb1ES3_N6thrust23THRUST_200600_302600_NS6detail15normal_iteratorINSB_10device_ptrIjEEEENSD_INSE_IS6_EEEESI_S6_NSB_4plusIvEENSB_8equal_toIvEES6_EE10hipError_tPvRmT2_T3_T4_T5_mT6_T7_P12ihipStream_tbENKUlT_T0_E_clISt17integral_constantIbLb0EES12_IbLb1EEEEDaSY_SZ_EUlSY_E_NS1_11comp_targetILNS1_3genE9ELNS1_11target_archE1100ELNS1_3gpuE3ELNS1_3repE0EEENS1_30default_config_static_selectorELNS0_4arch9wavefront6targetE1EEEvT1_.kd
    .uniform_work_group_size: 1
    .uses_dynamic_stack: false
    .vgpr_count:     0
    .vgpr_spill_count: 0
    .wavefront_size: 64
  - .agpr_count:     0
    .args:
      - .offset:         0
        .size:           160
        .value_kind:     by_value
    .group_segment_fixed_size: 0
    .kernarg_segment_align: 8
    .kernarg_segment_size: 160
    .language:       OpenCL C
    .language_version:
      - 2
      - 0
    .max_flat_workgroup_size: 256
    .name:           _ZN7rocprim17ROCPRIM_400000_NS6detail17trampoline_kernelINS0_14default_configENS1_27scan_by_key_config_selectorIj11FixedVectorIiLj8EEEEZZNS1_16scan_by_key_implILNS1_25lookback_scan_determinismE0ELb1ES3_N6thrust23THRUST_200600_302600_NS6detail15normal_iteratorINSB_10device_ptrIjEEEENSD_INSE_IS6_EEEESI_S6_NSB_4plusIvEENSB_8equal_toIvEES6_EE10hipError_tPvRmT2_T3_T4_T5_mT6_T7_P12ihipStream_tbENKUlT_T0_E_clISt17integral_constantIbLb0EES12_IbLb1EEEEDaSY_SZ_EUlSY_E_NS1_11comp_targetILNS1_3genE8ELNS1_11target_archE1030ELNS1_3gpuE2ELNS1_3repE0EEENS1_30default_config_static_selectorELNS0_4arch9wavefront6targetE1EEEvT1_
    .private_segment_fixed_size: 0
    .sgpr_count:     4
    .sgpr_spill_count: 0
    .symbol:         _ZN7rocprim17ROCPRIM_400000_NS6detail17trampoline_kernelINS0_14default_configENS1_27scan_by_key_config_selectorIj11FixedVectorIiLj8EEEEZZNS1_16scan_by_key_implILNS1_25lookback_scan_determinismE0ELb1ES3_N6thrust23THRUST_200600_302600_NS6detail15normal_iteratorINSB_10device_ptrIjEEEENSD_INSE_IS6_EEEESI_S6_NSB_4plusIvEENSB_8equal_toIvEES6_EE10hipError_tPvRmT2_T3_T4_T5_mT6_T7_P12ihipStream_tbENKUlT_T0_E_clISt17integral_constantIbLb0EES12_IbLb1EEEEDaSY_SZ_EUlSY_E_NS1_11comp_targetILNS1_3genE8ELNS1_11target_archE1030ELNS1_3gpuE2ELNS1_3repE0EEENS1_30default_config_static_selectorELNS0_4arch9wavefront6targetE1EEEvT1_.kd
    .uniform_work_group_size: 1
    .uses_dynamic_stack: false
    .vgpr_count:     0
    .vgpr_spill_count: 0
    .wavefront_size: 64
  - .agpr_count:     0
    .args:
      - .address_space:  global
        .offset:         0
        .size:           8
        .value_kind:     global_buffer
      - .offset:         8
        .size:           4
        .value_kind:     by_value
      - .offset:         12
        .size:           4
        .value_kind:     by_value
      - .address_space:  global
        .offset:         16
        .size:           8
        .value_kind:     global_buffer
      - .address_space:  global
        .offset:         24
        .size:           8
        .value_kind:     global_buffer
      - .actual_access:  write_only
        .address_space:  global
        .offset:         32
        .size:           8
        .value_kind:     global_buffer
      - .offset:         40
        .size:           8
        .value_kind:     by_value
      - .offset:         48
        .size:           4
        .value_kind:     by_value
      - .offset:         52
        .size:           1
        .value_kind:     by_value
      - .offset:         56
        .size:           4
        .value_kind:     hidden_block_count_x
      - .offset:         60
        .size:           4
        .value_kind:     hidden_block_count_y
      - .offset:         64
        .size:           4
        .value_kind:     hidden_block_count_z
      - .offset:         68
        .size:           2
        .value_kind:     hidden_group_size_x
      - .offset:         70
        .size:           2
        .value_kind:     hidden_group_size_y
      - .offset:         72
        .size:           2
        .value_kind:     hidden_group_size_z
      - .offset:         74
        .size:           2
        .value_kind:     hidden_remainder_x
      - .offset:         76
        .size:           2
        .value_kind:     hidden_remainder_y
      - .offset:         78
        .size:           2
        .value_kind:     hidden_remainder_z
      - .offset:         96
        .size:           8
        .value_kind:     hidden_global_offset_x
      - .offset:         104
        .size:           8
        .value_kind:     hidden_global_offset_y
      - .offset:         112
        .size:           8
        .value_kind:     hidden_global_offset_z
      - .offset:         120
        .size:           2
        .value_kind:     hidden_grid_dims
    .group_segment_fixed_size: 0
    .kernarg_segment_align: 8
    .kernarg_segment_size: 312
    .language:       OpenCL C
    .language_version:
      - 2
      - 0
    .max_flat_workgroup_size: 256
    .name:           _ZN7rocprim17ROCPRIM_400000_NS6detail30init_device_scan_by_key_kernelINS1_19lookback_scan_stateINS0_5tupleIJibEEELb0ELb1EEEN6thrust23THRUST_200600_302600_NS10device_ptrIiEEjNS1_16block_id_wrapperIjLb0EEEEEvT_jjPNSD_10value_typeET0_PNSt15iterator_traitsISG_E10value_typeEmT1_T2_
    .private_segment_fixed_size: 0
    .sgpr_count:     24
    .sgpr_spill_count: 0
    .symbol:         _ZN7rocprim17ROCPRIM_400000_NS6detail30init_device_scan_by_key_kernelINS1_19lookback_scan_stateINS0_5tupleIJibEEELb0ELb1EEEN6thrust23THRUST_200600_302600_NS10device_ptrIiEEjNS1_16block_id_wrapperIjLb0EEEEEvT_jjPNSD_10value_typeET0_PNSt15iterator_traitsISG_E10value_typeEmT1_T2_.kd
    .uniform_work_group_size: 1
    .uses_dynamic_stack: false
    .vgpr_count:     10
    .vgpr_spill_count: 0
    .wavefront_size: 64
  - .agpr_count:     0
    .args:
      - .offset:         0
        .size:           112
        .value_kind:     by_value
    .group_segment_fixed_size: 0
    .kernarg_segment_align: 8
    .kernarg_segment_size: 112
    .language:       OpenCL C
    .language_version:
      - 2
      - 0
    .max_flat_workgroup_size: 256
    .name:           _ZN7rocprim17ROCPRIM_400000_NS6detail17trampoline_kernelINS0_14default_configENS1_27scan_by_key_config_selectorIiiEEZZNS1_16scan_by_key_implILNS1_25lookback_scan_determinismE0ELb0ES3_N6thrust23THRUST_200600_302600_NS10device_ptrIiEESB_SB_iNS9_4plusIvEENS9_8equal_toIvEEiEE10hipError_tPvRmT2_T3_T4_T5_mT6_T7_P12ihipStream_tbENKUlT_T0_E_clISt17integral_constantIbLb0EESW_EEDaSR_SS_EUlSR_E_NS1_11comp_targetILNS1_3genE0ELNS1_11target_archE4294967295ELNS1_3gpuE0ELNS1_3repE0EEENS1_30default_config_static_selectorELNS0_4arch9wavefront6targetE1EEEvT1_
    .private_segment_fixed_size: 0
    .sgpr_count:     4
    .sgpr_spill_count: 0
    .symbol:         _ZN7rocprim17ROCPRIM_400000_NS6detail17trampoline_kernelINS0_14default_configENS1_27scan_by_key_config_selectorIiiEEZZNS1_16scan_by_key_implILNS1_25lookback_scan_determinismE0ELb0ES3_N6thrust23THRUST_200600_302600_NS10device_ptrIiEESB_SB_iNS9_4plusIvEENS9_8equal_toIvEEiEE10hipError_tPvRmT2_T3_T4_T5_mT6_T7_P12ihipStream_tbENKUlT_T0_E_clISt17integral_constantIbLb0EESW_EEDaSR_SS_EUlSR_E_NS1_11comp_targetILNS1_3genE0ELNS1_11target_archE4294967295ELNS1_3gpuE0ELNS1_3repE0EEENS1_30default_config_static_selectorELNS0_4arch9wavefront6targetE1EEEvT1_.kd
    .uniform_work_group_size: 1
    .uses_dynamic_stack: false
    .vgpr_count:     0
    .vgpr_spill_count: 0
    .wavefront_size: 64
  - .agpr_count:     0
    .args:
      - .offset:         0
        .size:           112
        .value_kind:     by_value
    .group_segment_fixed_size: 0
    .kernarg_segment_align: 8
    .kernarg_segment_size: 112
    .language:       OpenCL C
    .language_version:
      - 2
      - 0
    .max_flat_workgroup_size: 256
    .name:           _ZN7rocprim17ROCPRIM_400000_NS6detail17trampoline_kernelINS0_14default_configENS1_27scan_by_key_config_selectorIiiEEZZNS1_16scan_by_key_implILNS1_25lookback_scan_determinismE0ELb0ES3_N6thrust23THRUST_200600_302600_NS10device_ptrIiEESB_SB_iNS9_4plusIvEENS9_8equal_toIvEEiEE10hipError_tPvRmT2_T3_T4_T5_mT6_T7_P12ihipStream_tbENKUlT_T0_E_clISt17integral_constantIbLb0EESW_EEDaSR_SS_EUlSR_E_NS1_11comp_targetILNS1_3genE10ELNS1_11target_archE1201ELNS1_3gpuE5ELNS1_3repE0EEENS1_30default_config_static_selectorELNS0_4arch9wavefront6targetE1EEEvT1_
    .private_segment_fixed_size: 0
    .sgpr_count:     4
    .sgpr_spill_count: 0
    .symbol:         _ZN7rocprim17ROCPRIM_400000_NS6detail17trampoline_kernelINS0_14default_configENS1_27scan_by_key_config_selectorIiiEEZZNS1_16scan_by_key_implILNS1_25lookback_scan_determinismE0ELb0ES3_N6thrust23THRUST_200600_302600_NS10device_ptrIiEESB_SB_iNS9_4plusIvEENS9_8equal_toIvEEiEE10hipError_tPvRmT2_T3_T4_T5_mT6_T7_P12ihipStream_tbENKUlT_T0_E_clISt17integral_constantIbLb0EESW_EEDaSR_SS_EUlSR_E_NS1_11comp_targetILNS1_3genE10ELNS1_11target_archE1201ELNS1_3gpuE5ELNS1_3repE0EEENS1_30default_config_static_selectorELNS0_4arch9wavefront6targetE1EEEvT1_.kd
    .uniform_work_group_size: 1
    .uses_dynamic_stack: false
    .vgpr_count:     0
    .vgpr_spill_count: 0
    .wavefront_size: 64
  - .agpr_count:     0
    .args:
      - .offset:         0
        .size:           112
        .value_kind:     by_value
    .group_segment_fixed_size: 0
    .kernarg_segment_align: 8
    .kernarg_segment_size: 112
    .language:       OpenCL C
    .language_version:
      - 2
      - 0
    .max_flat_workgroup_size: 256
    .name:           _ZN7rocprim17ROCPRIM_400000_NS6detail17trampoline_kernelINS0_14default_configENS1_27scan_by_key_config_selectorIiiEEZZNS1_16scan_by_key_implILNS1_25lookback_scan_determinismE0ELb0ES3_N6thrust23THRUST_200600_302600_NS10device_ptrIiEESB_SB_iNS9_4plusIvEENS9_8equal_toIvEEiEE10hipError_tPvRmT2_T3_T4_T5_mT6_T7_P12ihipStream_tbENKUlT_T0_E_clISt17integral_constantIbLb0EESW_EEDaSR_SS_EUlSR_E_NS1_11comp_targetILNS1_3genE5ELNS1_11target_archE942ELNS1_3gpuE9ELNS1_3repE0EEENS1_30default_config_static_selectorELNS0_4arch9wavefront6targetE1EEEvT1_
    .private_segment_fixed_size: 0
    .sgpr_count:     4
    .sgpr_spill_count: 0
    .symbol:         _ZN7rocprim17ROCPRIM_400000_NS6detail17trampoline_kernelINS0_14default_configENS1_27scan_by_key_config_selectorIiiEEZZNS1_16scan_by_key_implILNS1_25lookback_scan_determinismE0ELb0ES3_N6thrust23THRUST_200600_302600_NS10device_ptrIiEESB_SB_iNS9_4plusIvEENS9_8equal_toIvEEiEE10hipError_tPvRmT2_T3_T4_T5_mT6_T7_P12ihipStream_tbENKUlT_T0_E_clISt17integral_constantIbLb0EESW_EEDaSR_SS_EUlSR_E_NS1_11comp_targetILNS1_3genE5ELNS1_11target_archE942ELNS1_3gpuE9ELNS1_3repE0EEENS1_30default_config_static_selectorELNS0_4arch9wavefront6targetE1EEEvT1_.kd
    .uniform_work_group_size: 1
    .uses_dynamic_stack: false
    .vgpr_count:     0
    .vgpr_spill_count: 0
    .wavefront_size: 64
  - .agpr_count:     0
    .args:
      - .offset:         0
        .size:           112
        .value_kind:     by_value
    .group_segment_fixed_size: 16384
    .kernarg_segment_align: 8
    .kernarg_segment_size: 112
    .language:       OpenCL C
    .language_version:
      - 2
      - 0
    .max_flat_workgroup_size: 256
    .name:           _ZN7rocprim17ROCPRIM_400000_NS6detail17trampoline_kernelINS0_14default_configENS1_27scan_by_key_config_selectorIiiEEZZNS1_16scan_by_key_implILNS1_25lookback_scan_determinismE0ELb0ES3_N6thrust23THRUST_200600_302600_NS10device_ptrIiEESB_SB_iNS9_4plusIvEENS9_8equal_toIvEEiEE10hipError_tPvRmT2_T3_T4_T5_mT6_T7_P12ihipStream_tbENKUlT_T0_E_clISt17integral_constantIbLb0EESW_EEDaSR_SS_EUlSR_E_NS1_11comp_targetILNS1_3genE4ELNS1_11target_archE910ELNS1_3gpuE8ELNS1_3repE0EEENS1_30default_config_static_selectorELNS0_4arch9wavefront6targetE1EEEvT1_
    .private_segment_fixed_size: 0
    .sgpr_count:     65
    .sgpr_spill_count: 0
    .symbol:         _ZN7rocprim17ROCPRIM_400000_NS6detail17trampoline_kernelINS0_14default_configENS1_27scan_by_key_config_selectorIiiEEZZNS1_16scan_by_key_implILNS1_25lookback_scan_determinismE0ELb0ES3_N6thrust23THRUST_200600_302600_NS10device_ptrIiEESB_SB_iNS9_4plusIvEENS9_8equal_toIvEEiEE10hipError_tPvRmT2_T3_T4_T5_mT6_T7_P12ihipStream_tbENKUlT_T0_E_clISt17integral_constantIbLb0EESW_EEDaSR_SS_EUlSR_E_NS1_11comp_targetILNS1_3genE4ELNS1_11target_archE910ELNS1_3gpuE8ELNS1_3repE0EEENS1_30default_config_static_selectorELNS0_4arch9wavefront6targetE1EEEvT1_.kd
    .uniform_work_group_size: 1
    .uses_dynamic_stack: false
    .vgpr_count:     65
    .vgpr_spill_count: 0
    .wavefront_size: 64
  - .agpr_count:     0
    .args:
      - .offset:         0
        .size:           112
        .value_kind:     by_value
    .group_segment_fixed_size: 0
    .kernarg_segment_align: 8
    .kernarg_segment_size: 112
    .language:       OpenCL C
    .language_version:
      - 2
      - 0
    .max_flat_workgroup_size: 256
    .name:           _ZN7rocprim17ROCPRIM_400000_NS6detail17trampoline_kernelINS0_14default_configENS1_27scan_by_key_config_selectorIiiEEZZNS1_16scan_by_key_implILNS1_25lookback_scan_determinismE0ELb0ES3_N6thrust23THRUST_200600_302600_NS10device_ptrIiEESB_SB_iNS9_4plusIvEENS9_8equal_toIvEEiEE10hipError_tPvRmT2_T3_T4_T5_mT6_T7_P12ihipStream_tbENKUlT_T0_E_clISt17integral_constantIbLb0EESW_EEDaSR_SS_EUlSR_E_NS1_11comp_targetILNS1_3genE3ELNS1_11target_archE908ELNS1_3gpuE7ELNS1_3repE0EEENS1_30default_config_static_selectorELNS0_4arch9wavefront6targetE1EEEvT1_
    .private_segment_fixed_size: 0
    .sgpr_count:     4
    .sgpr_spill_count: 0
    .symbol:         _ZN7rocprim17ROCPRIM_400000_NS6detail17trampoline_kernelINS0_14default_configENS1_27scan_by_key_config_selectorIiiEEZZNS1_16scan_by_key_implILNS1_25lookback_scan_determinismE0ELb0ES3_N6thrust23THRUST_200600_302600_NS10device_ptrIiEESB_SB_iNS9_4plusIvEENS9_8equal_toIvEEiEE10hipError_tPvRmT2_T3_T4_T5_mT6_T7_P12ihipStream_tbENKUlT_T0_E_clISt17integral_constantIbLb0EESW_EEDaSR_SS_EUlSR_E_NS1_11comp_targetILNS1_3genE3ELNS1_11target_archE908ELNS1_3gpuE7ELNS1_3repE0EEENS1_30default_config_static_selectorELNS0_4arch9wavefront6targetE1EEEvT1_.kd
    .uniform_work_group_size: 1
    .uses_dynamic_stack: false
    .vgpr_count:     0
    .vgpr_spill_count: 0
    .wavefront_size: 64
  - .agpr_count:     0
    .args:
      - .offset:         0
        .size:           112
        .value_kind:     by_value
    .group_segment_fixed_size: 0
    .kernarg_segment_align: 8
    .kernarg_segment_size: 112
    .language:       OpenCL C
    .language_version:
      - 2
      - 0
    .max_flat_workgroup_size: 256
    .name:           _ZN7rocprim17ROCPRIM_400000_NS6detail17trampoline_kernelINS0_14default_configENS1_27scan_by_key_config_selectorIiiEEZZNS1_16scan_by_key_implILNS1_25lookback_scan_determinismE0ELb0ES3_N6thrust23THRUST_200600_302600_NS10device_ptrIiEESB_SB_iNS9_4plusIvEENS9_8equal_toIvEEiEE10hipError_tPvRmT2_T3_T4_T5_mT6_T7_P12ihipStream_tbENKUlT_T0_E_clISt17integral_constantIbLb0EESW_EEDaSR_SS_EUlSR_E_NS1_11comp_targetILNS1_3genE2ELNS1_11target_archE906ELNS1_3gpuE6ELNS1_3repE0EEENS1_30default_config_static_selectorELNS0_4arch9wavefront6targetE1EEEvT1_
    .private_segment_fixed_size: 0
    .sgpr_count:     4
    .sgpr_spill_count: 0
    .symbol:         _ZN7rocprim17ROCPRIM_400000_NS6detail17trampoline_kernelINS0_14default_configENS1_27scan_by_key_config_selectorIiiEEZZNS1_16scan_by_key_implILNS1_25lookback_scan_determinismE0ELb0ES3_N6thrust23THRUST_200600_302600_NS10device_ptrIiEESB_SB_iNS9_4plusIvEENS9_8equal_toIvEEiEE10hipError_tPvRmT2_T3_T4_T5_mT6_T7_P12ihipStream_tbENKUlT_T0_E_clISt17integral_constantIbLb0EESW_EEDaSR_SS_EUlSR_E_NS1_11comp_targetILNS1_3genE2ELNS1_11target_archE906ELNS1_3gpuE6ELNS1_3repE0EEENS1_30default_config_static_selectorELNS0_4arch9wavefront6targetE1EEEvT1_.kd
    .uniform_work_group_size: 1
    .uses_dynamic_stack: false
    .vgpr_count:     0
    .vgpr_spill_count: 0
    .wavefront_size: 64
  - .agpr_count:     0
    .args:
      - .offset:         0
        .size:           112
        .value_kind:     by_value
    .group_segment_fixed_size: 0
    .kernarg_segment_align: 8
    .kernarg_segment_size: 112
    .language:       OpenCL C
    .language_version:
      - 2
      - 0
    .max_flat_workgroup_size: 256
    .name:           _ZN7rocprim17ROCPRIM_400000_NS6detail17trampoline_kernelINS0_14default_configENS1_27scan_by_key_config_selectorIiiEEZZNS1_16scan_by_key_implILNS1_25lookback_scan_determinismE0ELb0ES3_N6thrust23THRUST_200600_302600_NS10device_ptrIiEESB_SB_iNS9_4plusIvEENS9_8equal_toIvEEiEE10hipError_tPvRmT2_T3_T4_T5_mT6_T7_P12ihipStream_tbENKUlT_T0_E_clISt17integral_constantIbLb0EESW_EEDaSR_SS_EUlSR_E_NS1_11comp_targetILNS1_3genE10ELNS1_11target_archE1200ELNS1_3gpuE4ELNS1_3repE0EEENS1_30default_config_static_selectorELNS0_4arch9wavefront6targetE1EEEvT1_
    .private_segment_fixed_size: 0
    .sgpr_count:     4
    .sgpr_spill_count: 0
    .symbol:         _ZN7rocprim17ROCPRIM_400000_NS6detail17trampoline_kernelINS0_14default_configENS1_27scan_by_key_config_selectorIiiEEZZNS1_16scan_by_key_implILNS1_25lookback_scan_determinismE0ELb0ES3_N6thrust23THRUST_200600_302600_NS10device_ptrIiEESB_SB_iNS9_4plusIvEENS9_8equal_toIvEEiEE10hipError_tPvRmT2_T3_T4_T5_mT6_T7_P12ihipStream_tbENKUlT_T0_E_clISt17integral_constantIbLb0EESW_EEDaSR_SS_EUlSR_E_NS1_11comp_targetILNS1_3genE10ELNS1_11target_archE1200ELNS1_3gpuE4ELNS1_3repE0EEENS1_30default_config_static_selectorELNS0_4arch9wavefront6targetE1EEEvT1_.kd
    .uniform_work_group_size: 1
    .uses_dynamic_stack: false
    .vgpr_count:     0
    .vgpr_spill_count: 0
    .wavefront_size: 64
  - .agpr_count:     0
    .args:
      - .offset:         0
        .size:           112
        .value_kind:     by_value
    .group_segment_fixed_size: 0
    .kernarg_segment_align: 8
    .kernarg_segment_size: 112
    .language:       OpenCL C
    .language_version:
      - 2
      - 0
    .max_flat_workgroup_size: 256
    .name:           _ZN7rocprim17ROCPRIM_400000_NS6detail17trampoline_kernelINS0_14default_configENS1_27scan_by_key_config_selectorIiiEEZZNS1_16scan_by_key_implILNS1_25lookback_scan_determinismE0ELb0ES3_N6thrust23THRUST_200600_302600_NS10device_ptrIiEESB_SB_iNS9_4plusIvEENS9_8equal_toIvEEiEE10hipError_tPvRmT2_T3_T4_T5_mT6_T7_P12ihipStream_tbENKUlT_T0_E_clISt17integral_constantIbLb0EESW_EEDaSR_SS_EUlSR_E_NS1_11comp_targetILNS1_3genE9ELNS1_11target_archE1100ELNS1_3gpuE3ELNS1_3repE0EEENS1_30default_config_static_selectorELNS0_4arch9wavefront6targetE1EEEvT1_
    .private_segment_fixed_size: 0
    .sgpr_count:     4
    .sgpr_spill_count: 0
    .symbol:         _ZN7rocprim17ROCPRIM_400000_NS6detail17trampoline_kernelINS0_14default_configENS1_27scan_by_key_config_selectorIiiEEZZNS1_16scan_by_key_implILNS1_25lookback_scan_determinismE0ELb0ES3_N6thrust23THRUST_200600_302600_NS10device_ptrIiEESB_SB_iNS9_4plusIvEENS9_8equal_toIvEEiEE10hipError_tPvRmT2_T3_T4_T5_mT6_T7_P12ihipStream_tbENKUlT_T0_E_clISt17integral_constantIbLb0EESW_EEDaSR_SS_EUlSR_E_NS1_11comp_targetILNS1_3genE9ELNS1_11target_archE1100ELNS1_3gpuE3ELNS1_3repE0EEENS1_30default_config_static_selectorELNS0_4arch9wavefront6targetE1EEEvT1_.kd
    .uniform_work_group_size: 1
    .uses_dynamic_stack: false
    .vgpr_count:     0
    .vgpr_spill_count: 0
    .wavefront_size: 64
  - .agpr_count:     0
    .args:
      - .offset:         0
        .size:           112
        .value_kind:     by_value
    .group_segment_fixed_size: 0
    .kernarg_segment_align: 8
    .kernarg_segment_size: 112
    .language:       OpenCL C
    .language_version:
      - 2
      - 0
    .max_flat_workgroup_size: 256
    .name:           _ZN7rocprim17ROCPRIM_400000_NS6detail17trampoline_kernelINS0_14default_configENS1_27scan_by_key_config_selectorIiiEEZZNS1_16scan_by_key_implILNS1_25lookback_scan_determinismE0ELb0ES3_N6thrust23THRUST_200600_302600_NS10device_ptrIiEESB_SB_iNS9_4plusIvEENS9_8equal_toIvEEiEE10hipError_tPvRmT2_T3_T4_T5_mT6_T7_P12ihipStream_tbENKUlT_T0_E_clISt17integral_constantIbLb0EESW_EEDaSR_SS_EUlSR_E_NS1_11comp_targetILNS1_3genE8ELNS1_11target_archE1030ELNS1_3gpuE2ELNS1_3repE0EEENS1_30default_config_static_selectorELNS0_4arch9wavefront6targetE1EEEvT1_
    .private_segment_fixed_size: 0
    .sgpr_count:     4
    .sgpr_spill_count: 0
    .symbol:         _ZN7rocprim17ROCPRIM_400000_NS6detail17trampoline_kernelINS0_14default_configENS1_27scan_by_key_config_selectorIiiEEZZNS1_16scan_by_key_implILNS1_25lookback_scan_determinismE0ELb0ES3_N6thrust23THRUST_200600_302600_NS10device_ptrIiEESB_SB_iNS9_4plusIvEENS9_8equal_toIvEEiEE10hipError_tPvRmT2_T3_T4_T5_mT6_T7_P12ihipStream_tbENKUlT_T0_E_clISt17integral_constantIbLb0EESW_EEDaSR_SS_EUlSR_E_NS1_11comp_targetILNS1_3genE8ELNS1_11target_archE1030ELNS1_3gpuE2ELNS1_3repE0EEENS1_30default_config_static_selectorELNS0_4arch9wavefront6targetE1EEEvT1_.kd
    .uniform_work_group_size: 1
    .uses_dynamic_stack: false
    .vgpr_count:     0
    .vgpr_spill_count: 0
    .wavefront_size: 64
  - .agpr_count:     0
    .args:
      - .address_space:  global
        .offset:         0
        .size:           8
        .value_kind:     global_buffer
      - .offset:         8
        .size:           4
        .value_kind:     by_value
      - .offset:         12
        .size:           4
        .value_kind:     by_value
      - .address_space:  global
        .offset:         16
        .size:           8
        .value_kind:     global_buffer
      - .address_space:  global
        .offset:         24
        .size:           8
        .value_kind:     global_buffer
      - .actual_access:  write_only
        .address_space:  global
        .offset:         32
        .size:           8
        .value_kind:     global_buffer
      - .offset:         40
        .size:           8
        .value_kind:     by_value
      - .offset:         48
        .size:           4
        .value_kind:     by_value
      - .address_space:  global
        .offset:         56
        .size:           8
        .value_kind:     global_buffer
      - .offset:         64
        .size:           4
        .value_kind:     hidden_block_count_x
      - .offset:         68
        .size:           4
        .value_kind:     hidden_block_count_y
      - .offset:         72
        .size:           4
        .value_kind:     hidden_block_count_z
      - .offset:         76
        .size:           2
        .value_kind:     hidden_group_size_x
      - .offset:         78
        .size:           2
        .value_kind:     hidden_group_size_y
      - .offset:         80
        .size:           2
        .value_kind:     hidden_group_size_z
      - .offset:         82
        .size:           2
        .value_kind:     hidden_remainder_x
      - .offset:         84
        .size:           2
        .value_kind:     hidden_remainder_y
      - .offset:         86
        .size:           2
        .value_kind:     hidden_remainder_z
      - .offset:         104
        .size:           8
        .value_kind:     hidden_global_offset_x
      - .offset:         112
        .size:           8
        .value_kind:     hidden_global_offset_y
      - .offset:         120
        .size:           8
        .value_kind:     hidden_global_offset_z
      - .offset:         128
        .size:           2
        .value_kind:     hidden_grid_dims
    .group_segment_fixed_size: 0
    .kernarg_segment_align: 8
    .kernarg_segment_size: 320
    .language:       OpenCL C
    .language_version:
      - 2
      - 0
    .max_flat_workgroup_size: 256
    .name:           _ZN7rocprim17ROCPRIM_400000_NS6detail30init_device_scan_by_key_kernelINS1_19lookback_scan_stateINS0_5tupleIJibEEELb1ELb1EEEN6thrust23THRUST_200600_302600_NS10device_ptrIiEEjNS1_16block_id_wrapperIjLb1EEEEEvT_jjPNSD_10value_typeET0_PNSt15iterator_traitsISG_E10value_typeEmT1_T2_
    .private_segment_fixed_size: 0
    .sgpr_count:     24
    .sgpr_spill_count: 0
    .symbol:         _ZN7rocprim17ROCPRIM_400000_NS6detail30init_device_scan_by_key_kernelINS1_19lookback_scan_stateINS0_5tupleIJibEEELb1ELb1EEEN6thrust23THRUST_200600_302600_NS10device_ptrIiEEjNS1_16block_id_wrapperIjLb1EEEEEvT_jjPNSD_10value_typeET0_PNSt15iterator_traitsISG_E10value_typeEmT1_T2_.kd
    .uniform_work_group_size: 1
    .uses_dynamic_stack: false
    .vgpr_count:     10
    .vgpr_spill_count: 0
    .wavefront_size: 64
  - .agpr_count:     0
    .args:
      - .offset:         0
        .size:           112
        .value_kind:     by_value
    .group_segment_fixed_size: 0
    .kernarg_segment_align: 8
    .kernarg_segment_size: 112
    .language:       OpenCL C
    .language_version:
      - 2
      - 0
    .max_flat_workgroup_size: 256
    .name:           _ZN7rocprim17ROCPRIM_400000_NS6detail17trampoline_kernelINS0_14default_configENS1_27scan_by_key_config_selectorIiiEEZZNS1_16scan_by_key_implILNS1_25lookback_scan_determinismE0ELb0ES3_N6thrust23THRUST_200600_302600_NS10device_ptrIiEESB_SB_iNS9_4plusIvEENS9_8equal_toIvEEiEE10hipError_tPvRmT2_T3_T4_T5_mT6_T7_P12ihipStream_tbENKUlT_T0_E_clISt17integral_constantIbLb1EESW_EEDaSR_SS_EUlSR_E_NS1_11comp_targetILNS1_3genE0ELNS1_11target_archE4294967295ELNS1_3gpuE0ELNS1_3repE0EEENS1_30default_config_static_selectorELNS0_4arch9wavefront6targetE1EEEvT1_
    .private_segment_fixed_size: 0
    .sgpr_count:     4
    .sgpr_spill_count: 0
    .symbol:         _ZN7rocprim17ROCPRIM_400000_NS6detail17trampoline_kernelINS0_14default_configENS1_27scan_by_key_config_selectorIiiEEZZNS1_16scan_by_key_implILNS1_25lookback_scan_determinismE0ELb0ES3_N6thrust23THRUST_200600_302600_NS10device_ptrIiEESB_SB_iNS9_4plusIvEENS9_8equal_toIvEEiEE10hipError_tPvRmT2_T3_T4_T5_mT6_T7_P12ihipStream_tbENKUlT_T0_E_clISt17integral_constantIbLb1EESW_EEDaSR_SS_EUlSR_E_NS1_11comp_targetILNS1_3genE0ELNS1_11target_archE4294967295ELNS1_3gpuE0ELNS1_3repE0EEENS1_30default_config_static_selectorELNS0_4arch9wavefront6targetE1EEEvT1_.kd
    .uniform_work_group_size: 1
    .uses_dynamic_stack: false
    .vgpr_count:     0
    .vgpr_spill_count: 0
    .wavefront_size: 64
  - .agpr_count:     0
    .args:
      - .offset:         0
        .size:           112
        .value_kind:     by_value
    .group_segment_fixed_size: 0
    .kernarg_segment_align: 8
    .kernarg_segment_size: 112
    .language:       OpenCL C
    .language_version:
      - 2
      - 0
    .max_flat_workgroup_size: 256
    .name:           _ZN7rocprim17ROCPRIM_400000_NS6detail17trampoline_kernelINS0_14default_configENS1_27scan_by_key_config_selectorIiiEEZZNS1_16scan_by_key_implILNS1_25lookback_scan_determinismE0ELb0ES3_N6thrust23THRUST_200600_302600_NS10device_ptrIiEESB_SB_iNS9_4plusIvEENS9_8equal_toIvEEiEE10hipError_tPvRmT2_T3_T4_T5_mT6_T7_P12ihipStream_tbENKUlT_T0_E_clISt17integral_constantIbLb1EESW_EEDaSR_SS_EUlSR_E_NS1_11comp_targetILNS1_3genE10ELNS1_11target_archE1201ELNS1_3gpuE5ELNS1_3repE0EEENS1_30default_config_static_selectorELNS0_4arch9wavefront6targetE1EEEvT1_
    .private_segment_fixed_size: 0
    .sgpr_count:     4
    .sgpr_spill_count: 0
    .symbol:         _ZN7rocprim17ROCPRIM_400000_NS6detail17trampoline_kernelINS0_14default_configENS1_27scan_by_key_config_selectorIiiEEZZNS1_16scan_by_key_implILNS1_25lookback_scan_determinismE0ELb0ES3_N6thrust23THRUST_200600_302600_NS10device_ptrIiEESB_SB_iNS9_4plusIvEENS9_8equal_toIvEEiEE10hipError_tPvRmT2_T3_T4_T5_mT6_T7_P12ihipStream_tbENKUlT_T0_E_clISt17integral_constantIbLb1EESW_EEDaSR_SS_EUlSR_E_NS1_11comp_targetILNS1_3genE10ELNS1_11target_archE1201ELNS1_3gpuE5ELNS1_3repE0EEENS1_30default_config_static_selectorELNS0_4arch9wavefront6targetE1EEEvT1_.kd
    .uniform_work_group_size: 1
    .uses_dynamic_stack: false
    .vgpr_count:     0
    .vgpr_spill_count: 0
    .wavefront_size: 64
  - .agpr_count:     0
    .args:
      - .offset:         0
        .size:           112
        .value_kind:     by_value
    .group_segment_fixed_size: 0
    .kernarg_segment_align: 8
    .kernarg_segment_size: 112
    .language:       OpenCL C
    .language_version:
      - 2
      - 0
    .max_flat_workgroup_size: 256
    .name:           _ZN7rocprim17ROCPRIM_400000_NS6detail17trampoline_kernelINS0_14default_configENS1_27scan_by_key_config_selectorIiiEEZZNS1_16scan_by_key_implILNS1_25lookback_scan_determinismE0ELb0ES3_N6thrust23THRUST_200600_302600_NS10device_ptrIiEESB_SB_iNS9_4plusIvEENS9_8equal_toIvEEiEE10hipError_tPvRmT2_T3_T4_T5_mT6_T7_P12ihipStream_tbENKUlT_T0_E_clISt17integral_constantIbLb1EESW_EEDaSR_SS_EUlSR_E_NS1_11comp_targetILNS1_3genE5ELNS1_11target_archE942ELNS1_3gpuE9ELNS1_3repE0EEENS1_30default_config_static_selectorELNS0_4arch9wavefront6targetE1EEEvT1_
    .private_segment_fixed_size: 0
    .sgpr_count:     4
    .sgpr_spill_count: 0
    .symbol:         _ZN7rocprim17ROCPRIM_400000_NS6detail17trampoline_kernelINS0_14default_configENS1_27scan_by_key_config_selectorIiiEEZZNS1_16scan_by_key_implILNS1_25lookback_scan_determinismE0ELb0ES3_N6thrust23THRUST_200600_302600_NS10device_ptrIiEESB_SB_iNS9_4plusIvEENS9_8equal_toIvEEiEE10hipError_tPvRmT2_T3_T4_T5_mT6_T7_P12ihipStream_tbENKUlT_T0_E_clISt17integral_constantIbLb1EESW_EEDaSR_SS_EUlSR_E_NS1_11comp_targetILNS1_3genE5ELNS1_11target_archE942ELNS1_3gpuE9ELNS1_3repE0EEENS1_30default_config_static_selectorELNS0_4arch9wavefront6targetE1EEEvT1_.kd
    .uniform_work_group_size: 1
    .uses_dynamic_stack: false
    .vgpr_count:     0
    .vgpr_spill_count: 0
    .wavefront_size: 64
  - .agpr_count:     0
    .args:
      - .offset:         0
        .size:           112
        .value_kind:     by_value
    .group_segment_fixed_size: 16384
    .kernarg_segment_align: 8
    .kernarg_segment_size: 112
    .language:       OpenCL C
    .language_version:
      - 2
      - 0
    .max_flat_workgroup_size: 256
    .name:           _ZN7rocprim17ROCPRIM_400000_NS6detail17trampoline_kernelINS0_14default_configENS1_27scan_by_key_config_selectorIiiEEZZNS1_16scan_by_key_implILNS1_25lookback_scan_determinismE0ELb0ES3_N6thrust23THRUST_200600_302600_NS10device_ptrIiEESB_SB_iNS9_4plusIvEENS9_8equal_toIvEEiEE10hipError_tPvRmT2_T3_T4_T5_mT6_T7_P12ihipStream_tbENKUlT_T0_E_clISt17integral_constantIbLb1EESW_EEDaSR_SS_EUlSR_E_NS1_11comp_targetILNS1_3genE4ELNS1_11target_archE910ELNS1_3gpuE8ELNS1_3repE0EEENS1_30default_config_static_selectorELNS0_4arch9wavefront6targetE1EEEvT1_
    .private_segment_fixed_size: 0
    .sgpr_count:     69
    .sgpr_spill_count: 0
    .symbol:         _ZN7rocprim17ROCPRIM_400000_NS6detail17trampoline_kernelINS0_14default_configENS1_27scan_by_key_config_selectorIiiEEZZNS1_16scan_by_key_implILNS1_25lookback_scan_determinismE0ELb0ES3_N6thrust23THRUST_200600_302600_NS10device_ptrIiEESB_SB_iNS9_4plusIvEENS9_8equal_toIvEEiEE10hipError_tPvRmT2_T3_T4_T5_mT6_T7_P12ihipStream_tbENKUlT_T0_E_clISt17integral_constantIbLb1EESW_EEDaSR_SS_EUlSR_E_NS1_11comp_targetILNS1_3genE4ELNS1_11target_archE910ELNS1_3gpuE8ELNS1_3repE0EEENS1_30default_config_static_selectorELNS0_4arch9wavefront6targetE1EEEvT1_.kd
    .uniform_work_group_size: 1
    .uses_dynamic_stack: false
    .vgpr_count:     65
    .vgpr_spill_count: 0
    .wavefront_size: 64
  - .agpr_count:     0
    .args:
      - .offset:         0
        .size:           112
        .value_kind:     by_value
    .group_segment_fixed_size: 0
    .kernarg_segment_align: 8
    .kernarg_segment_size: 112
    .language:       OpenCL C
    .language_version:
      - 2
      - 0
    .max_flat_workgroup_size: 256
    .name:           _ZN7rocprim17ROCPRIM_400000_NS6detail17trampoline_kernelINS0_14default_configENS1_27scan_by_key_config_selectorIiiEEZZNS1_16scan_by_key_implILNS1_25lookback_scan_determinismE0ELb0ES3_N6thrust23THRUST_200600_302600_NS10device_ptrIiEESB_SB_iNS9_4plusIvEENS9_8equal_toIvEEiEE10hipError_tPvRmT2_T3_T4_T5_mT6_T7_P12ihipStream_tbENKUlT_T0_E_clISt17integral_constantIbLb1EESW_EEDaSR_SS_EUlSR_E_NS1_11comp_targetILNS1_3genE3ELNS1_11target_archE908ELNS1_3gpuE7ELNS1_3repE0EEENS1_30default_config_static_selectorELNS0_4arch9wavefront6targetE1EEEvT1_
    .private_segment_fixed_size: 0
    .sgpr_count:     4
    .sgpr_spill_count: 0
    .symbol:         _ZN7rocprim17ROCPRIM_400000_NS6detail17trampoline_kernelINS0_14default_configENS1_27scan_by_key_config_selectorIiiEEZZNS1_16scan_by_key_implILNS1_25lookback_scan_determinismE0ELb0ES3_N6thrust23THRUST_200600_302600_NS10device_ptrIiEESB_SB_iNS9_4plusIvEENS9_8equal_toIvEEiEE10hipError_tPvRmT2_T3_T4_T5_mT6_T7_P12ihipStream_tbENKUlT_T0_E_clISt17integral_constantIbLb1EESW_EEDaSR_SS_EUlSR_E_NS1_11comp_targetILNS1_3genE3ELNS1_11target_archE908ELNS1_3gpuE7ELNS1_3repE0EEENS1_30default_config_static_selectorELNS0_4arch9wavefront6targetE1EEEvT1_.kd
    .uniform_work_group_size: 1
    .uses_dynamic_stack: false
    .vgpr_count:     0
    .vgpr_spill_count: 0
    .wavefront_size: 64
  - .agpr_count:     0
    .args:
      - .offset:         0
        .size:           112
        .value_kind:     by_value
    .group_segment_fixed_size: 0
    .kernarg_segment_align: 8
    .kernarg_segment_size: 112
    .language:       OpenCL C
    .language_version:
      - 2
      - 0
    .max_flat_workgroup_size: 256
    .name:           _ZN7rocprim17ROCPRIM_400000_NS6detail17trampoline_kernelINS0_14default_configENS1_27scan_by_key_config_selectorIiiEEZZNS1_16scan_by_key_implILNS1_25lookback_scan_determinismE0ELb0ES3_N6thrust23THRUST_200600_302600_NS10device_ptrIiEESB_SB_iNS9_4plusIvEENS9_8equal_toIvEEiEE10hipError_tPvRmT2_T3_T4_T5_mT6_T7_P12ihipStream_tbENKUlT_T0_E_clISt17integral_constantIbLb1EESW_EEDaSR_SS_EUlSR_E_NS1_11comp_targetILNS1_3genE2ELNS1_11target_archE906ELNS1_3gpuE6ELNS1_3repE0EEENS1_30default_config_static_selectorELNS0_4arch9wavefront6targetE1EEEvT1_
    .private_segment_fixed_size: 0
    .sgpr_count:     4
    .sgpr_spill_count: 0
    .symbol:         _ZN7rocprim17ROCPRIM_400000_NS6detail17trampoline_kernelINS0_14default_configENS1_27scan_by_key_config_selectorIiiEEZZNS1_16scan_by_key_implILNS1_25lookback_scan_determinismE0ELb0ES3_N6thrust23THRUST_200600_302600_NS10device_ptrIiEESB_SB_iNS9_4plusIvEENS9_8equal_toIvEEiEE10hipError_tPvRmT2_T3_T4_T5_mT6_T7_P12ihipStream_tbENKUlT_T0_E_clISt17integral_constantIbLb1EESW_EEDaSR_SS_EUlSR_E_NS1_11comp_targetILNS1_3genE2ELNS1_11target_archE906ELNS1_3gpuE6ELNS1_3repE0EEENS1_30default_config_static_selectorELNS0_4arch9wavefront6targetE1EEEvT1_.kd
    .uniform_work_group_size: 1
    .uses_dynamic_stack: false
    .vgpr_count:     0
    .vgpr_spill_count: 0
    .wavefront_size: 64
  - .agpr_count:     0
    .args:
      - .offset:         0
        .size:           112
        .value_kind:     by_value
    .group_segment_fixed_size: 0
    .kernarg_segment_align: 8
    .kernarg_segment_size: 112
    .language:       OpenCL C
    .language_version:
      - 2
      - 0
    .max_flat_workgroup_size: 256
    .name:           _ZN7rocprim17ROCPRIM_400000_NS6detail17trampoline_kernelINS0_14default_configENS1_27scan_by_key_config_selectorIiiEEZZNS1_16scan_by_key_implILNS1_25lookback_scan_determinismE0ELb0ES3_N6thrust23THRUST_200600_302600_NS10device_ptrIiEESB_SB_iNS9_4plusIvEENS9_8equal_toIvEEiEE10hipError_tPvRmT2_T3_T4_T5_mT6_T7_P12ihipStream_tbENKUlT_T0_E_clISt17integral_constantIbLb1EESW_EEDaSR_SS_EUlSR_E_NS1_11comp_targetILNS1_3genE10ELNS1_11target_archE1200ELNS1_3gpuE4ELNS1_3repE0EEENS1_30default_config_static_selectorELNS0_4arch9wavefront6targetE1EEEvT1_
    .private_segment_fixed_size: 0
    .sgpr_count:     4
    .sgpr_spill_count: 0
    .symbol:         _ZN7rocprim17ROCPRIM_400000_NS6detail17trampoline_kernelINS0_14default_configENS1_27scan_by_key_config_selectorIiiEEZZNS1_16scan_by_key_implILNS1_25lookback_scan_determinismE0ELb0ES3_N6thrust23THRUST_200600_302600_NS10device_ptrIiEESB_SB_iNS9_4plusIvEENS9_8equal_toIvEEiEE10hipError_tPvRmT2_T3_T4_T5_mT6_T7_P12ihipStream_tbENKUlT_T0_E_clISt17integral_constantIbLb1EESW_EEDaSR_SS_EUlSR_E_NS1_11comp_targetILNS1_3genE10ELNS1_11target_archE1200ELNS1_3gpuE4ELNS1_3repE0EEENS1_30default_config_static_selectorELNS0_4arch9wavefront6targetE1EEEvT1_.kd
    .uniform_work_group_size: 1
    .uses_dynamic_stack: false
    .vgpr_count:     0
    .vgpr_spill_count: 0
    .wavefront_size: 64
  - .agpr_count:     0
    .args:
      - .offset:         0
        .size:           112
        .value_kind:     by_value
    .group_segment_fixed_size: 0
    .kernarg_segment_align: 8
    .kernarg_segment_size: 112
    .language:       OpenCL C
    .language_version:
      - 2
      - 0
    .max_flat_workgroup_size: 256
    .name:           _ZN7rocprim17ROCPRIM_400000_NS6detail17trampoline_kernelINS0_14default_configENS1_27scan_by_key_config_selectorIiiEEZZNS1_16scan_by_key_implILNS1_25lookback_scan_determinismE0ELb0ES3_N6thrust23THRUST_200600_302600_NS10device_ptrIiEESB_SB_iNS9_4plusIvEENS9_8equal_toIvEEiEE10hipError_tPvRmT2_T3_T4_T5_mT6_T7_P12ihipStream_tbENKUlT_T0_E_clISt17integral_constantIbLb1EESW_EEDaSR_SS_EUlSR_E_NS1_11comp_targetILNS1_3genE9ELNS1_11target_archE1100ELNS1_3gpuE3ELNS1_3repE0EEENS1_30default_config_static_selectorELNS0_4arch9wavefront6targetE1EEEvT1_
    .private_segment_fixed_size: 0
    .sgpr_count:     4
    .sgpr_spill_count: 0
    .symbol:         _ZN7rocprim17ROCPRIM_400000_NS6detail17trampoline_kernelINS0_14default_configENS1_27scan_by_key_config_selectorIiiEEZZNS1_16scan_by_key_implILNS1_25lookback_scan_determinismE0ELb0ES3_N6thrust23THRUST_200600_302600_NS10device_ptrIiEESB_SB_iNS9_4plusIvEENS9_8equal_toIvEEiEE10hipError_tPvRmT2_T3_T4_T5_mT6_T7_P12ihipStream_tbENKUlT_T0_E_clISt17integral_constantIbLb1EESW_EEDaSR_SS_EUlSR_E_NS1_11comp_targetILNS1_3genE9ELNS1_11target_archE1100ELNS1_3gpuE3ELNS1_3repE0EEENS1_30default_config_static_selectorELNS0_4arch9wavefront6targetE1EEEvT1_.kd
    .uniform_work_group_size: 1
    .uses_dynamic_stack: false
    .vgpr_count:     0
    .vgpr_spill_count: 0
    .wavefront_size: 64
  - .agpr_count:     0
    .args:
      - .offset:         0
        .size:           112
        .value_kind:     by_value
    .group_segment_fixed_size: 0
    .kernarg_segment_align: 8
    .kernarg_segment_size: 112
    .language:       OpenCL C
    .language_version:
      - 2
      - 0
    .max_flat_workgroup_size: 256
    .name:           _ZN7rocprim17ROCPRIM_400000_NS6detail17trampoline_kernelINS0_14default_configENS1_27scan_by_key_config_selectorIiiEEZZNS1_16scan_by_key_implILNS1_25lookback_scan_determinismE0ELb0ES3_N6thrust23THRUST_200600_302600_NS10device_ptrIiEESB_SB_iNS9_4plusIvEENS9_8equal_toIvEEiEE10hipError_tPvRmT2_T3_T4_T5_mT6_T7_P12ihipStream_tbENKUlT_T0_E_clISt17integral_constantIbLb1EESW_EEDaSR_SS_EUlSR_E_NS1_11comp_targetILNS1_3genE8ELNS1_11target_archE1030ELNS1_3gpuE2ELNS1_3repE0EEENS1_30default_config_static_selectorELNS0_4arch9wavefront6targetE1EEEvT1_
    .private_segment_fixed_size: 0
    .sgpr_count:     4
    .sgpr_spill_count: 0
    .symbol:         _ZN7rocprim17ROCPRIM_400000_NS6detail17trampoline_kernelINS0_14default_configENS1_27scan_by_key_config_selectorIiiEEZZNS1_16scan_by_key_implILNS1_25lookback_scan_determinismE0ELb0ES3_N6thrust23THRUST_200600_302600_NS10device_ptrIiEESB_SB_iNS9_4plusIvEENS9_8equal_toIvEEiEE10hipError_tPvRmT2_T3_T4_T5_mT6_T7_P12ihipStream_tbENKUlT_T0_E_clISt17integral_constantIbLb1EESW_EEDaSR_SS_EUlSR_E_NS1_11comp_targetILNS1_3genE8ELNS1_11target_archE1030ELNS1_3gpuE2ELNS1_3repE0EEENS1_30default_config_static_selectorELNS0_4arch9wavefront6targetE1EEEvT1_.kd
    .uniform_work_group_size: 1
    .uses_dynamic_stack: false
    .vgpr_count:     0
    .vgpr_spill_count: 0
    .wavefront_size: 64
  - .agpr_count:     0
    .args:
      - .address_space:  global
        .offset:         0
        .size:           8
        .value_kind:     global_buffer
      - .offset:         8
        .size:           4
        .value_kind:     by_value
      - .offset:         12
        .size:           4
        .value_kind:     by_value
      - .address_space:  global
        .offset:         16
        .size:           8
        .value_kind:     global_buffer
      - .address_space:  global
        .offset:         24
        .size:           8
        .value_kind:     global_buffer
      - .actual_access:  write_only
        .address_space:  global
        .offset:         32
        .size:           8
        .value_kind:     global_buffer
      - .offset:         40
        .size:           8
        .value_kind:     by_value
      - .offset:         48
        .size:           4
        .value_kind:     by_value
      - .offset:         52
        .size:           1
        .value_kind:     by_value
      - .offset:         56
        .size:           4
        .value_kind:     hidden_block_count_x
      - .offset:         60
        .size:           4
        .value_kind:     hidden_block_count_y
      - .offset:         64
        .size:           4
        .value_kind:     hidden_block_count_z
      - .offset:         68
        .size:           2
        .value_kind:     hidden_group_size_x
      - .offset:         70
        .size:           2
        .value_kind:     hidden_group_size_y
      - .offset:         72
        .size:           2
        .value_kind:     hidden_group_size_z
      - .offset:         74
        .size:           2
        .value_kind:     hidden_remainder_x
      - .offset:         76
        .size:           2
        .value_kind:     hidden_remainder_y
      - .offset:         78
        .size:           2
        .value_kind:     hidden_remainder_z
      - .offset:         96
        .size:           8
        .value_kind:     hidden_global_offset_x
      - .offset:         104
        .size:           8
        .value_kind:     hidden_global_offset_y
      - .offset:         112
        .size:           8
        .value_kind:     hidden_global_offset_z
      - .offset:         120
        .size:           2
        .value_kind:     hidden_grid_dims
    .group_segment_fixed_size: 0
    .kernarg_segment_align: 8
    .kernarg_segment_size: 312
    .language:       OpenCL C
    .language_version:
      - 2
      - 0
    .max_flat_workgroup_size: 256
    .name:           _ZN7rocprim17ROCPRIM_400000_NS6detail30init_device_scan_by_key_kernelINS1_19lookback_scan_stateINS0_5tupleIJibEEELb1ELb1EEEN6thrust23THRUST_200600_302600_NS10device_ptrIiEEjNS1_16block_id_wrapperIjLb0EEEEEvT_jjPNSD_10value_typeET0_PNSt15iterator_traitsISG_E10value_typeEmT1_T2_
    .private_segment_fixed_size: 0
    .sgpr_count:     24
    .sgpr_spill_count: 0
    .symbol:         _ZN7rocprim17ROCPRIM_400000_NS6detail30init_device_scan_by_key_kernelINS1_19lookback_scan_stateINS0_5tupleIJibEEELb1ELb1EEEN6thrust23THRUST_200600_302600_NS10device_ptrIiEEjNS1_16block_id_wrapperIjLb0EEEEEvT_jjPNSD_10value_typeET0_PNSt15iterator_traitsISG_E10value_typeEmT1_T2_.kd
    .uniform_work_group_size: 1
    .uses_dynamic_stack: false
    .vgpr_count:     10
    .vgpr_spill_count: 0
    .wavefront_size: 64
  - .agpr_count:     0
    .args:
      - .offset:         0
        .size:           112
        .value_kind:     by_value
    .group_segment_fixed_size: 0
    .kernarg_segment_align: 8
    .kernarg_segment_size: 112
    .language:       OpenCL C
    .language_version:
      - 2
      - 0
    .max_flat_workgroup_size: 256
    .name:           _ZN7rocprim17ROCPRIM_400000_NS6detail17trampoline_kernelINS0_14default_configENS1_27scan_by_key_config_selectorIiiEEZZNS1_16scan_by_key_implILNS1_25lookback_scan_determinismE0ELb0ES3_N6thrust23THRUST_200600_302600_NS10device_ptrIiEESB_SB_iNS9_4plusIvEENS9_8equal_toIvEEiEE10hipError_tPvRmT2_T3_T4_T5_mT6_T7_P12ihipStream_tbENKUlT_T0_E_clISt17integral_constantIbLb1EESV_IbLb0EEEEDaSR_SS_EUlSR_E_NS1_11comp_targetILNS1_3genE0ELNS1_11target_archE4294967295ELNS1_3gpuE0ELNS1_3repE0EEENS1_30default_config_static_selectorELNS0_4arch9wavefront6targetE1EEEvT1_
    .private_segment_fixed_size: 0
    .sgpr_count:     4
    .sgpr_spill_count: 0
    .symbol:         _ZN7rocprim17ROCPRIM_400000_NS6detail17trampoline_kernelINS0_14default_configENS1_27scan_by_key_config_selectorIiiEEZZNS1_16scan_by_key_implILNS1_25lookback_scan_determinismE0ELb0ES3_N6thrust23THRUST_200600_302600_NS10device_ptrIiEESB_SB_iNS9_4plusIvEENS9_8equal_toIvEEiEE10hipError_tPvRmT2_T3_T4_T5_mT6_T7_P12ihipStream_tbENKUlT_T0_E_clISt17integral_constantIbLb1EESV_IbLb0EEEEDaSR_SS_EUlSR_E_NS1_11comp_targetILNS1_3genE0ELNS1_11target_archE4294967295ELNS1_3gpuE0ELNS1_3repE0EEENS1_30default_config_static_selectorELNS0_4arch9wavefront6targetE1EEEvT1_.kd
    .uniform_work_group_size: 1
    .uses_dynamic_stack: false
    .vgpr_count:     0
    .vgpr_spill_count: 0
    .wavefront_size: 64
  - .agpr_count:     0
    .args:
      - .offset:         0
        .size:           112
        .value_kind:     by_value
    .group_segment_fixed_size: 0
    .kernarg_segment_align: 8
    .kernarg_segment_size: 112
    .language:       OpenCL C
    .language_version:
      - 2
      - 0
    .max_flat_workgroup_size: 256
    .name:           _ZN7rocprim17ROCPRIM_400000_NS6detail17trampoline_kernelINS0_14default_configENS1_27scan_by_key_config_selectorIiiEEZZNS1_16scan_by_key_implILNS1_25lookback_scan_determinismE0ELb0ES3_N6thrust23THRUST_200600_302600_NS10device_ptrIiEESB_SB_iNS9_4plusIvEENS9_8equal_toIvEEiEE10hipError_tPvRmT2_T3_T4_T5_mT6_T7_P12ihipStream_tbENKUlT_T0_E_clISt17integral_constantIbLb1EESV_IbLb0EEEEDaSR_SS_EUlSR_E_NS1_11comp_targetILNS1_3genE10ELNS1_11target_archE1201ELNS1_3gpuE5ELNS1_3repE0EEENS1_30default_config_static_selectorELNS0_4arch9wavefront6targetE1EEEvT1_
    .private_segment_fixed_size: 0
    .sgpr_count:     4
    .sgpr_spill_count: 0
    .symbol:         _ZN7rocprim17ROCPRIM_400000_NS6detail17trampoline_kernelINS0_14default_configENS1_27scan_by_key_config_selectorIiiEEZZNS1_16scan_by_key_implILNS1_25lookback_scan_determinismE0ELb0ES3_N6thrust23THRUST_200600_302600_NS10device_ptrIiEESB_SB_iNS9_4plusIvEENS9_8equal_toIvEEiEE10hipError_tPvRmT2_T3_T4_T5_mT6_T7_P12ihipStream_tbENKUlT_T0_E_clISt17integral_constantIbLb1EESV_IbLb0EEEEDaSR_SS_EUlSR_E_NS1_11comp_targetILNS1_3genE10ELNS1_11target_archE1201ELNS1_3gpuE5ELNS1_3repE0EEENS1_30default_config_static_selectorELNS0_4arch9wavefront6targetE1EEEvT1_.kd
    .uniform_work_group_size: 1
    .uses_dynamic_stack: false
    .vgpr_count:     0
    .vgpr_spill_count: 0
    .wavefront_size: 64
  - .agpr_count:     0
    .args:
      - .offset:         0
        .size:           112
        .value_kind:     by_value
    .group_segment_fixed_size: 0
    .kernarg_segment_align: 8
    .kernarg_segment_size: 112
    .language:       OpenCL C
    .language_version:
      - 2
      - 0
    .max_flat_workgroup_size: 256
    .name:           _ZN7rocprim17ROCPRIM_400000_NS6detail17trampoline_kernelINS0_14default_configENS1_27scan_by_key_config_selectorIiiEEZZNS1_16scan_by_key_implILNS1_25lookback_scan_determinismE0ELb0ES3_N6thrust23THRUST_200600_302600_NS10device_ptrIiEESB_SB_iNS9_4plusIvEENS9_8equal_toIvEEiEE10hipError_tPvRmT2_T3_T4_T5_mT6_T7_P12ihipStream_tbENKUlT_T0_E_clISt17integral_constantIbLb1EESV_IbLb0EEEEDaSR_SS_EUlSR_E_NS1_11comp_targetILNS1_3genE5ELNS1_11target_archE942ELNS1_3gpuE9ELNS1_3repE0EEENS1_30default_config_static_selectorELNS0_4arch9wavefront6targetE1EEEvT1_
    .private_segment_fixed_size: 0
    .sgpr_count:     4
    .sgpr_spill_count: 0
    .symbol:         _ZN7rocprim17ROCPRIM_400000_NS6detail17trampoline_kernelINS0_14default_configENS1_27scan_by_key_config_selectorIiiEEZZNS1_16scan_by_key_implILNS1_25lookback_scan_determinismE0ELb0ES3_N6thrust23THRUST_200600_302600_NS10device_ptrIiEESB_SB_iNS9_4plusIvEENS9_8equal_toIvEEiEE10hipError_tPvRmT2_T3_T4_T5_mT6_T7_P12ihipStream_tbENKUlT_T0_E_clISt17integral_constantIbLb1EESV_IbLb0EEEEDaSR_SS_EUlSR_E_NS1_11comp_targetILNS1_3genE5ELNS1_11target_archE942ELNS1_3gpuE9ELNS1_3repE0EEENS1_30default_config_static_selectorELNS0_4arch9wavefront6targetE1EEEvT1_.kd
    .uniform_work_group_size: 1
    .uses_dynamic_stack: false
    .vgpr_count:     0
    .vgpr_spill_count: 0
    .wavefront_size: 64
  - .agpr_count:     0
    .args:
      - .offset:         0
        .size:           112
        .value_kind:     by_value
    .group_segment_fixed_size: 16384
    .kernarg_segment_align: 8
    .kernarg_segment_size: 112
    .language:       OpenCL C
    .language_version:
      - 2
      - 0
    .max_flat_workgroup_size: 256
    .name:           _ZN7rocprim17ROCPRIM_400000_NS6detail17trampoline_kernelINS0_14default_configENS1_27scan_by_key_config_selectorIiiEEZZNS1_16scan_by_key_implILNS1_25lookback_scan_determinismE0ELb0ES3_N6thrust23THRUST_200600_302600_NS10device_ptrIiEESB_SB_iNS9_4plusIvEENS9_8equal_toIvEEiEE10hipError_tPvRmT2_T3_T4_T5_mT6_T7_P12ihipStream_tbENKUlT_T0_E_clISt17integral_constantIbLb1EESV_IbLb0EEEEDaSR_SS_EUlSR_E_NS1_11comp_targetILNS1_3genE4ELNS1_11target_archE910ELNS1_3gpuE8ELNS1_3repE0EEENS1_30default_config_static_selectorELNS0_4arch9wavefront6targetE1EEEvT1_
    .private_segment_fixed_size: 0
    .sgpr_count:     65
    .sgpr_spill_count: 0
    .symbol:         _ZN7rocprim17ROCPRIM_400000_NS6detail17trampoline_kernelINS0_14default_configENS1_27scan_by_key_config_selectorIiiEEZZNS1_16scan_by_key_implILNS1_25lookback_scan_determinismE0ELb0ES3_N6thrust23THRUST_200600_302600_NS10device_ptrIiEESB_SB_iNS9_4plusIvEENS9_8equal_toIvEEiEE10hipError_tPvRmT2_T3_T4_T5_mT6_T7_P12ihipStream_tbENKUlT_T0_E_clISt17integral_constantIbLb1EESV_IbLb0EEEEDaSR_SS_EUlSR_E_NS1_11comp_targetILNS1_3genE4ELNS1_11target_archE910ELNS1_3gpuE8ELNS1_3repE0EEENS1_30default_config_static_selectorELNS0_4arch9wavefront6targetE1EEEvT1_.kd
    .uniform_work_group_size: 1
    .uses_dynamic_stack: false
    .vgpr_count:     65
    .vgpr_spill_count: 0
    .wavefront_size: 64
  - .agpr_count:     0
    .args:
      - .offset:         0
        .size:           112
        .value_kind:     by_value
    .group_segment_fixed_size: 0
    .kernarg_segment_align: 8
    .kernarg_segment_size: 112
    .language:       OpenCL C
    .language_version:
      - 2
      - 0
    .max_flat_workgroup_size: 256
    .name:           _ZN7rocprim17ROCPRIM_400000_NS6detail17trampoline_kernelINS0_14default_configENS1_27scan_by_key_config_selectorIiiEEZZNS1_16scan_by_key_implILNS1_25lookback_scan_determinismE0ELb0ES3_N6thrust23THRUST_200600_302600_NS10device_ptrIiEESB_SB_iNS9_4plusIvEENS9_8equal_toIvEEiEE10hipError_tPvRmT2_T3_T4_T5_mT6_T7_P12ihipStream_tbENKUlT_T0_E_clISt17integral_constantIbLb1EESV_IbLb0EEEEDaSR_SS_EUlSR_E_NS1_11comp_targetILNS1_3genE3ELNS1_11target_archE908ELNS1_3gpuE7ELNS1_3repE0EEENS1_30default_config_static_selectorELNS0_4arch9wavefront6targetE1EEEvT1_
    .private_segment_fixed_size: 0
    .sgpr_count:     4
    .sgpr_spill_count: 0
    .symbol:         _ZN7rocprim17ROCPRIM_400000_NS6detail17trampoline_kernelINS0_14default_configENS1_27scan_by_key_config_selectorIiiEEZZNS1_16scan_by_key_implILNS1_25lookback_scan_determinismE0ELb0ES3_N6thrust23THRUST_200600_302600_NS10device_ptrIiEESB_SB_iNS9_4plusIvEENS9_8equal_toIvEEiEE10hipError_tPvRmT2_T3_T4_T5_mT6_T7_P12ihipStream_tbENKUlT_T0_E_clISt17integral_constantIbLb1EESV_IbLb0EEEEDaSR_SS_EUlSR_E_NS1_11comp_targetILNS1_3genE3ELNS1_11target_archE908ELNS1_3gpuE7ELNS1_3repE0EEENS1_30default_config_static_selectorELNS0_4arch9wavefront6targetE1EEEvT1_.kd
    .uniform_work_group_size: 1
    .uses_dynamic_stack: false
    .vgpr_count:     0
    .vgpr_spill_count: 0
    .wavefront_size: 64
  - .agpr_count:     0
    .args:
      - .offset:         0
        .size:           112
        .value_kind:     by_value
    .group_segment_fixed_size: 0
    .kernarg_segment_align: 8
    .kernarg_segment_size: 112
    .language:       OpenCL C
    .language_version:
      - 2
      - 0
    .max_flat_workgroup_size: 256
    .name:           _ZN7rocprim17ROCPRIM_400000_NS6detail17trampoline_kernelINS0_14default_configENS1_27scan_by_key_config_selectorIiiEEZZNS1_16scan_by_key_implILNS1_25lookback_scan_determinismE0ELb0ES3_N6thrust23THRUST_200600_302600_NS10device_ptrIiEESB_SB_iNS9_4plusIvEENS9_8equal_toIvEEiEE10hipError_tPvRmT2_T3_T4_T5_mT6_T7_P12ihipStream_tbENKUlT_T0_E_clISt17integral_constantIbLb1EESV_IbLb0EEEEDaSR_SS_EUlSR_E_NS1_11comp_targetILNS1_3genE2ELNS1_11target_archE906ELNS1_3gpuE6ELNS1_3repE0EEENS1_30default_config_static_selectorELNS0_4arch9wavefront6targetE1EEEvT1_
    .private_segment_fixed_size: 0
    .sgpr_count:     4
    .sgpr_spill_count: 0
    .symbol:         _ZN7rocprim17ROCPRIM_400000_NS6detail17trampoline_kernelINS0_14default_configENS1_27scan_by_key_config_selectorIiiEEZZNS1_16scan_by_key_implILNS1_25lookback_scan_determinismE0ELb0ES3_N6thrust23THRUST_200600_302600_NS10device_ptrIiEESB_SB_iNS9_4plusIvEENS9_8equal_toIvEEiEE10hipError_tPvRmT2_T3_T4_T5_mT6_T7_P12ihipStream_tbENKUlT_T0_E_clISt17integral_constantIbLb1EESV_IbLb0EEEEDaSR_SS_EUlSR_E_NS1_11comp_targetILNS1_3genE2ELNS1_11target_archE906ELNS1_3gpuE6ELNS1_3repE0EEENS1_30default_config_static_selectorELNS0_4arch9wavefront6targetE1EEEvT1_.kd
    .uniform_work_group_size: 1
    .uses_dynamic_stack: false
    .vgpr_count:     0
    .vgpr_spill_count: 0
    .wavefront_size: 64
  - .agpr_count:     0
    .args:
      - .offset:         0
        .size:           112
        .value_kind:     by_value
    .group_segment_fixed_size: 0
    .kernarg_segment_align: 8
    .kernarg_segment_size: 112
    .language:       OpenCL C
    .language_version:
      - 2
      - 0
    .max_flat_workgroup_size: 256
    .name:           _ZN7rocprim17ROCPRIM_400000_NS6detail17trampoline_kernelINS0_14default_configENS1_27scan_by_key_config_selectorIiiEEZZNS1_16scan_by_key_implILNS1_25lookback_scan_determinismE0ELb0ES3_N6thrust23THRUST_200600_302600_NS10device_ptrIiEESB_SB_iNS9_4plusIvEENS9_8equal_toIvEEiEE10hipError_tPvRmT2_T3_T4_T5_mT6_T7_P12ihipStream_tbENKUlT_T0_E_clISt17integral_constantIbLb1EESV_IbLb0EEEEDaSR_SS_EUlSR_E_NS1_11comp_targetILNS1_3genE10ELNS1_11target_archE1200ELNS1_3gpuE4ELNS1_3repE0EEENS1_30default_config_static_selectorELNS0_4arch9wavefront6targetE1EEEvT1_
    .private_segment_fixed_size: 0
    .sgpr_count:     4
    .sgpr_spill_count: 0
    .symbol:         _ZN7rocprim17ROCPRIM_400000_NS6detail17trampoline_kernelINS0_14default_configENS1_27scan_by_key_config_selectorIiiEEZZNS1_16scan_by_key_implILNS1_25lookback_scan_determinismE0ELb0ES3_N6thrust23THRUST_200600_302600_NS10device_ptrIiEESB_SB_iNS9_4plusIvEENS9_8equal_toIvEEiEE10hipError_tPvRmT2_T3_T4_T5_mT6_T7_P12ihipStream_tbENKUlT_T0_E_clISt17integral_constantIbLb1EESV_IbLb0EEEEDaSR_SS_EUlSR_E_NS1_11comp_targetILNS1_3genE10ELNS1_11target_archE1200ELNS1_3gpuE4ELNS1_3repE0EEENS1_30default_config_static_selectorELNS0_4arch9wavefront6targetE1EEEvT1_.kd
    .uniform_work_group_size: 1
    .uses_dynamic_stack: false
    .vgpr_count:     0
    .vgpr_spill_count: 0
    .wavefront_size: 64
  - .agpr_count:     0
    .args:
      - .offset:         0
        .size:           112
        .value_kind:     by_value
    .group_segment_fixed_size: 0
    .kernarg_segment_align: 8
    .kernarg_segment_size: 112
    .language:       OpenCL C
    .language_version:
      - 2
      - 0
    .max_flat_workgroup_size: 256
    .name:           _ZN7rocprim17ROCPRIM_400000_NS6detail17trampoline_kernelINS0_14default_configENS1_27scan_by_key_config_selectorIiiEEZZNS1_16scan_by_key_implILNS1_25lookback_scan_determinismE0ELb0ES3_N6thrust23THRUST_200600_302600_NS10device_ptrIiEESB_SB_iNS9_4plusIvEENS9_8equal_toIvEEiEE10hipError_tPvRmT2_T3_T4_T5_mT6_T7_P12ihipStream_tbENKUlT_T0_E_clISt17integral_constantIbLb1EESV_IbLb0EEEEDaSR_SS_EUlSR_E_NS1_11comp_targetILNS1_3genE9ELNS1_11target_archE1100ELNS1_3gpuE3ELNS1_3repE0EEENS1_30default_config_static_selectorELNS0_4arch9wavefront6targetE1EEEvT1_
    .private_segment_fixed_size: 0
    .sgpr_count:     4
    .sgpr_spill_count: 0
    .symbol:         _ZN7rocprim17ROCPRIM_400000_NS6detail17trampoline_kernelINS0_14default_configENS1_27scan_by_key_config_selectorIiiEEZZNS1_16scan_by_key_implILNS1_25lookback_scan_determinismE0ELb0ES3_N6thrust23THRUST_200600_302600_NS10device_ptrIiEESB_SB_iNS9_4plusIvEENS9_8equal_toIvEEiEE10hipError_tPvRmT2_T3_T4_T5_mT6_T7_P12ihipStream_tbENKUlT_T0_E_clISt17integral_constantIbLb1EESV_IbLb0EEEEDaSR_SS_EUlSR_E_NS1_11comp_targetILNS1_3genE9ELNS1_11target_archE1100ELNS1_3gpuE3ELNS1_3repE0EEENS1_30default_config_static_selectorELNS0_4arch9wavefront6targetE1EEEvT1_.kd
    .uniform_work_group_size: 1
    .uses_dynamic_stack: false
    .vgpr_count:     0
    .vgpr_spill_count: 0
    .wavefront_size: 64
  - .agpr_count:     0
    .args:
      - .offset:         0
        .size:           112
        .value_kind:     by_value
    .group_segment_fixed_size: 0
    .kernarg_segment_align: 8
    .kernarg_segment_size: 112
    .language:       OpenCL C
    .language_version:
      - 2
      - 0
    .max_flat_workgroup_size: 256
    .name:           _ZN7rocprim17ROCPRIM_400000_NS6detail17trampoline_kernelINS0_14default_configENS1_27scan_by_key_config_selectorIiiEEZZNS1_16scan_by_key_implILNS1_25lookback_scan_determinismE0ELb0ES3_N6thrust23THRUST_200600_302600_NS10device_ptrIiEESB_SB_iNS9_4plusIvEENS9_8equal_toIvEEiEE10hipError_tPvRmT2_T3_T4_T5_mT6_T7_P12ihipStream_tbENKUlT_T0_E_clISt17integral_constantIbLb1EESV_IbLb0EEEEDaSR_SS_EUlSR_E_NS1_11comp_targetILNS1_3genE8ELNS1_11target_archE1030ELNS1_3gpuE2ELNS1_3repE0EEENS1_30default_config_static_selectorELNS0_4arch9wavefront6targetE1EEEvT1_
    .private_segment_fixed_size: 0
    .sgpr_count:     4
    .sgpr_spill_count: 0
    .symbol:         _ZN7rocprim17ROCPRIM_400000_NS6detail17trampoline_kernelINS0_14default_configENS1_27scan_by_key_config_selectorIiiEEZZNS1_16scan_by_key_implILNS1_25lookback_scan_determinismE0ELb0ES3_N6thrust23THRUST_200600_302600_NS10device_ptrIiEESB_SB_iNS9_4plusIvEENS9_8equal_toIvEEiEE10hipError_tPvRmT2_T3_T4_T5_mT6_T7_P12ihipStream_tbENKUlT_T0_E_clISt17integral_constantIbLb1EESV_IbLb0EEEEDaSR_SS_EUlSR_E_NS1_11comp_targetILNS1_3genE8ELNS1_11target_archE1030ELNS1_3gpuE2ELNS1_3repE0EEENS1_30default_config_static_selectorELNS0_4arch9wavefront6targetE1EEEvT1_.kd
    .uniform_work_group_size: 1
    .uses_dynamic_stack: false
    .vgpr_count:     0
    .vgpr_spill_count: 0
    .wavefront_size: 64
  - .agpr_count:     0
    .args:
      - .address_space:  global
        .offset:         0
        .size:           8
        .value_kind:     global_buffer
      - .offset:         8
        .size:           4
        .value_kind:     by_value
      - .offset:         12
        .size:           4
        .value_kind:     by_value
      - .address_space:  global
        .offset:         16
        .size:           8
        .value_kind:     global_buffer
      - .address_space:  global
        .offset:         24
        .size:           8
        .value_kind:     global_buffer
      - .actual_access:  write_only
        .address_space:  global
        .offset:         32
        .size:           8
        .value_kind:     global_buffer
      - .offset:         40
        .size:           8
        .value_kind:     by_value
      - .offset:         48
        .size:           4
        .value_kind:     by_value
      - .address_space:  global
        .offset:         56
        .size:           8
        .value_kind:     global_buffer
      - .offset:         64
        .size:           4
        .value_kind:     hidden_block_count_x
      - .offset:         68
        .size:           4
        .value_kind:     hidden_block_count_y
      - .offset:         72
        .size:           4
        .value_kind:     hidden_block_count_z
      - .offset:         76
        .size:           2
        .value_kind:     hidden_group_size_x
      - .offset:         78
        .size:           2
        .value_kind:     hidden_group_size_y
      - .offset:         80
        .size:           2
        .value_kind:     hidden_group_size_z
      - .offset:         82
        .size:           2
        .value_kind:     hidden_remainder_x
      - .offset:         84
        .size:           2
        .value_kind:     hidden_remainder_y
      - .offset:         86
        .size:           2
        .value_kind:     hidden_remainder_z
      - .offset:         104
        .size:           8
        .value_kind:     hidden_global_offset_x
      - .offset:         112
        .size:           8
        .value_kind:     hidden_global_offset_y
      - .offset:         120
        .size:           8
        .value_kind:     hidden_global_offset_z
      - .offset:         128
        .size:           2
        .value_kind:     hidden_grid_dims
    .group_segment_fixed_size: 0
    .kernarg_segment_align: 8
    .kernarg_segment_size: 320
    .language:       OpenCL C
    .language_version:
      - 2
      - 0
    .max_flat_workgroup_size: 256
    .name:           _ZN7rocprim17ROCPRIM_400000_NS6detail30init_device_scan_by_key_kernelINS1_19lookback_scan_stateINS0_5tupleIJibEEELb0ELb1EEEN6thrust23THRUST_200600_302600_NS10device_ptrIiEEjNS1_16block_id_wrapperIjLb1EEEEEvT_jjPNSD_10value_typeET0_PNSt15iterator_traitsISG_E10value_typeEmT1_T2_
    .private_segment_fixed_size: 0
    .sgpr_count:     24
    .sgpr_spill_count: 0
    .symbol:         _ZN7rocprim17ROCPRIM_400000_NS6detail30init_device_scan_by_key_kernelINS1_19lookback_scan_stateINS0_5tupleIJibEEELb0ELb1EEEN6thrust23THRUST_200600_302600_NS10device_ptrIiEEjNS1_16block_id_wrapperIjLb1EEEEEvT_jjPNSD_10value_typeET0_PNSt15iterator_traitsISG_E10value_typeEmT1_T2_.kd
    .uniform_work_group_size: 1
    .uses_dynamic_stack: false
    .vgpr_count:     10
    .vgpr_spill_count: 0
    .wavefront_size: 64
  - .agpr_count:     0
    .args:
      - .offset:         0
        .size:           112
        .value_kind:     by_value
    .group_segment_fixed_size: 0
    .kernarg_segment_align: 8
    .kernarg_segment_size: 112
    .language:       OpenCL C
    .language_version:
      - 2
      - 0
    .max_flat_workgroup_size: 256
    .name:           _ZN7rocprim17ROCPRIM_400000_NS6detail17trampoline_kernelINS0_14default_configENS1_27scan_by_key_config_selectorIiiEEZZNS1_16scan_by_key_implILNS1_25lookback_scan_determinismE0ELb0ES3_N6thrust23THRUST_200600_302600_NS10device_ptrIiEESB_SB_iNS9_4plusIvEENS9_8equal_toIvEEiEE10hipError_tPvRmT2_T3_T4_T5_mT6_T7_P12ihipStream_tbENKUlT_T0_E_clISt17integral_constantIbLb0EESV_IbLb1EEEEDaSR_SS_EUlSR_E_NS1_11comp_targetILNS1_3genE0ELNS1_11target_archE4294967295ELNS1_3gpuE0ELNS1_3repE0EEENS1_30default_config_static_selectorELNS0_4arch9wavefront6targetE1EEEvT1_
    .private_segment_fixed_size: 0
    .sgpr_count:     4
    .sgpr_spill_count: 0
    .symbol:         _ZN7rocprim17ROCPRIM_400000_NS6detail17trampoline_kernelINS0_14default_configENS1_27scan_by_key_config_selectorIiiEEZZNS1_16scan_by_key_implILNS1_25lookback_scan_determinismE0ELb0ES3_N6thrust23THRUST_200600_302600_NS10device_ptrIiEESB_SB_iNS9_4plusIvEENS9_8equal_toIvEEiEE10hipError_tPvRmT2_T3_T4_T5_mT6_T7_P12ihipStream_tbENKUlT_T0_E_clISt17integral_constantIbLb0EESV_IbLb1EEEEDaSR_SS_EUlSR_E_NS1_11comp_targetILNS1_3genE0ELNS1_11target_archE4294967295ELNS1_3gpuE0ELNS1_3repE0EEENS1_30default_config_static_selectorELNS0_4arch9wavefront6targetE1EEEvT1_.kd
    .uniform_work_group_size: 1
    .uses_dynamic_stack: false
    .vgpr_count:     0
    .vgpr_spill_count: 0
    .wavefront_size: 64
  - .agpr_count:     0
    .args:
      - .offset:         0
        .size:           112
        .value_kind:     by_value
    .group_segment_fixed_size: 0
    .kernarg_segment_align: 8
    .kernarg_segment_size: 112
    .language:       OpenCL C
    .language_version:
      - 2
      - 0
    .max_flat_workgroup_size: 256
    .name:           _ZN7rocprim17ROCPRIM_400000_NS6detail17trampoline_kernelINS0_14default_configENS1_27scan_by_key_config_selectorIiiEEZZNS1_16scan_by_key_implILNS1_25lookback_scan_determinismE0ELb0ES3_N6thrust23THRUST_200600_302600_NS10device_ptrIiEESB_SB_iNS9_4plusIvEENS9_8equal_toIvEEiEE10hipError_tPvRmT2_T3_T4_T5_mT6_T7_P12ihipStream_tbENKUlT_T0_E_clISt17integral_constantIbLb0EESV_IbLb1EEEEDaSR_SS_EUlSR_E_NS1_11comp_targetILNS1_3genE10ELNS1_11target_archE1201ELNS1_3gpuE5ELNS1_3repE0EEENS1_30default_config_static_selectorELNS0_4arch9wavefront6targetE1EEEvT1_
    .private_segment_fixed_size: 0
    .sgpr_count:     4
    .sgpr_spill_count: 0
    .symbol:         _ZN7rocprim17ROCPRIM_400000_NS6detail17trampoline_kernelINS0_14default_configENS1_27scan_by_key_config_selectorIiiEEZZNS1_16scan_by_key_implILNS1_25lookback_scan_determinismE0ELb0ES3_N6thrust23THRUST_200600_302600_NS10device_ptrIiEESB_SB_iNS9_4plusIvEENS9_8equal_toIvEEiEE10hipError_tPvRmT2_T3_T4_T5_mT6_T7_P12ihipStream_tbENKUlT_T0_E_clISt17integral_constantIbLb0EESV_IbLb1EEEEDaSR_SS_EUlSR_E_NS1_11comp_targetILNS1_3genE10ELNS1_11target_archE1201ELNS1_3gpuE5ELNS1_3repE0EEENS1_30default_config_static_selectorELNS0_4arch9wavefront6targetE1EEEvT1_.kd
    .uniform_work_group_size: 1
    .uses_dynamic_stack: false
    .vgpr_count:     0
    .vgpr_spill_count: 0
    .wavefront_size: 64
  - .agpr_count:     0
    .args:
      - .offset:         0
        .size:           112
        .value_kind:     by_value
    .group_segment_fixed_size: 0
    .kernarg_segment_align: 8
    .kernarg_segment_size: 112
    .language:       OpenCL C
    .language_version:
      - 2
      - 0
    .max_flat_workgroup_size: 256
    .name:           _ZN7rocprim17ROCPRIM_400000_NS6detail17trampoline_kernelINS0_14default_configENS1_27scan_by_key_config_selectorIiiEEZZNS1_16scan_by_key_implILNS1_25lookback_scan_determinismE0ELb0ES3_N6thrust23THRUST_200600_302600_NS10device_ptrIiEESB_SB_iNS9_4plusIvEENS9_8equal_toIvEEiEE10hipError_tPvRmT2_T3_T4_T5_mT6_T7_P12ihipStream_tbENKUlT_T0_E_clISt17integral_constantIbLb0EESV_IbLb1EEEEDaSR_SS_EUlSR_E_NS1_11comp_targetILNS1_3genE5ELNS1_11target_archE942ELNS1_3gpuE9ELNS1_3repE0EEENS1_30default_config_static_selectorELNS0_4arch9wavefront6targetE1EEEvT1_
    .private_segment_fixed_size: 0
    .sgpr_count:     4
    .sgpr_spill_count: 0
    .symbol:         _ZN7rocprim17ROCPRIM_400000_NS6detail17trampoline_kernelINS0_14default_configENS1_27scan_by_key_config_selectorIiiEEZZNS1_16scan_by_key_implILNS1_25lookback_scan_determinismE0ELb0ES3_N6thrust23THRUST_200600_302600_NS10device_ptrIiEESB_SB_iNS9_4plusIvEENS9_8equal_toIvEEiEE10hipError_tPvRmT2_T3_T4_T5_mT6_T7_P12ihipStream_tbENKUlT_T0_E_clISt17integral_constantIbLb0EESV_IbLb1EEEEDaSR_SS_EUlSR_E_NS1_11comp_targetILNS1_3genE5ELNS1_11target_archE942ELNS1_3gpuE9ELNS1_3repE0EEENS1_30default_config_static_selectorELNS0_4arch9wavefront6targetE1EEEvT1_.kd
    .uniform_work_group_size: 1
    .uses_dynamic_stack: false
    .vgpr_count:     0
    .vgpr_spill_count: 0
    .wavefront_size: 64
  - .agpr_count:     0
    .args:
      - .offset:         0
        .size:           112
        .value_kind:     by_value
    .group_segment_fixed_size: 16384
    .kernarg_segment_align: 8
    .kernarg_segment_size: 112
    .language:       OpenCL C
    .language_version:
      - 2
      - 0
    .max_flat_workgroup_size: 256
    .name:           _ZN7rocprim17ROCPRIM_400000_NS6detail17trampoline_kernelINS0_14default_configENS1_27scan_by_key_config_selectorIiiEEZZNS1_16scan_by_key_implILNS1_25lookback_scan_determinismE0ELb0ES3_N6thrust23THRUST_200600_302600_NS10device_ptrIiEESB_SB_iNS9_4plusIvEENS9_8equal_toIvEEiEE10hipError_tPvRmT2_T3_T4_T5_mT6_T7_P12ihipStream_tbENKUlT_T0_E_clISt17integral_constantIbLb0EESV_IbLb1EEEEDaSR_SS_EUlSR_E_NS1_11comp_targetILNS1_3genE4ELNS1_11target_archE910ELNS1_3gpuE8ELNS1_3repE0EEENS1_30default_config_static_selectorELNS0_4arch9wavefront6targetE1EEEvT1_
    .private_segment_fixed_size: 0
    .sgpr_count:     69
    .sgpr_spill_count: 0
    .symbol:         _ZN7rocprim17ROCPRIM_400000_NS6detail17trampoline_kernelINS0_14default_configENS1_27scan_by_key_config_selectorIiiEEZZNS1_16scan_by_key_implILNS1_25lookback_scan_determinismE0ELb0ES3_N6thrust23THRUST_200600_302600_NS10device_ptrIiEESB_SB_iNS9_4plusIvEENS9_8equal_toIvEEiEE10hipError_tPvRmT2_T3_T4_T5_mT6_T7_P12ihipStream_tbENKUlT_T0_E_clISt17integral_constantIbLb0EESV_IbLb1EEEEDaSR_SS_EUlSR_E_NS1_11comp_targetILNS1_3genE4ELNS1_11target_archE910ELNS1_3gpuE8ELNS1_3repE0EEENS1_30default_config_static_selectorELNS0_4arch9wavefront6targetE1EEEvT1_.kd
    .uniform_work_group_size: 1
    .uses_dynamic_stack: false
    .vgpr_count:     65
    .vgpr_spill_count: 0
    .wavefront_size: 64
  - .agpr_count:     0
    .args:
      - .offset:         0
        .size:           112
        .value_kind:     by_value
    .group_segment_fixed_size: 0
    .kernarg_segment_align: 8
    .kernarg_segment_size: 112
    .language:       OpenCL C
    .language_version:
      - 2
      - 0
    .max_flat_workgroup_size: 256
    .name:           _ZN7rocprim17ROCPRIM_400000_NS6detail17trampoline_kernelINS0_14default_configENS1_27scan_by_key_config_selectorIiiEEZZNS1_16scan_by_key_implILNS1_25lookback_scan_determinismE0ELb0ES3_N6thrust23THRUST_200600_302600_NS10device_ptrIiEESB_SB_iNS9_4plusIvEENS9_8equal_toIvEEiEE10hipError_tPvRmT2_T3_T4_T5_mT6_T7_P12ihipStream_tbENKUlT_T0_E_clISt17integral_constantIbLb0EESV_IbLb1EEEEDaSR_SS_EUlSR_E_NS1_11comp_targetILNS1_3genE3ELNS1_11target_archE908ELNS1_3gpuE7ELNS1_3repE0EEENS1_30default_config_static_selectorELNS0_4arch9wavefront6targetE1EEEvT1_
    .private_segment_fixed_size: 0
    .sgpr_count:     4
    .sgpr_spill_count: 0
    .symbol:         _ZN7rocprim17ROCPRIM_400000_NS6detail17trampoline_kernelINS0_14default_configENS1_27scan_by_key_config_selectorIiiEEZZNS1_16scan_by_key_implILNS1_25lookback_scan_determinismE0ELb0ES3_N6thrust23THRUST_200600_302600_NS10device_ptrIiEESB_SB_iNS9_4plusIvEENS9_8equal_toIvEEiEE10hipError_tPvRmT2_T3_T4_T5_mT6_T7_P12ihipStream_tbENKUlT_T0_E_clISt17integral_constantIbLb0EESV_IbLb1EEEEDaSR_SS_EUlSR_E_NS1_11comp_targetILNS1_3genE3ELNS1_11target_archE908ELNS1_3gpuE7ELNS1_3repE0EEENS1_30default_config_static_selectorELNS0_4arch9wavefront6targetE1EEEvT1_.kd
    .uniform_work_group_size: 1
    .uses_dynamic_stack: false
    .vgpr_count:     0
    .vgpr_spill_count: 0
    .wavefront_size: 64
  - .agpr_count:     0
    .args:
      - .offset:         0
        .size:           112
        .value_kind:     by_value
    .group_segment_fixed_size: 0
    .kernarg_segment_align: 8
    .kernarg_segment_size: 112
    .language:       OpenCL C
    .language_version:
      - 2
      - 0
    .max_flat_workgroup_size: 256
    .name:           _ZN7rocprim17ROCPRIM_400000_NS6detail17trampoline_kernelINS0_14default_configENS1_27scan_by_key_config_selectorIiiEEZZNS1_16scan_by_key_implILNS1_25lookback_scan_determinismE0ELb0ES3_N6thrust23THRUST_200600_302600_NS10device_ptrIiEESB_SB_iNS9_4plusIvEENS9_8equal_toIvEEiEE10hipError_tPvRmT2_T3_T4_T5_mT6_T7_P12ihipStream_tbENKUlT_T0_E_clISt17integral_constantIbLb0EESV_IbLb1EEEEDaSR_SS_EUlSR_E_NS1_11comp_targetILNS1_3genE2ELNS1_11target_archE906ELNS1_3gpuE6ELNS1_3repE0EEENS1_30default_config_static_selectorELNS0_4arch9wavefront6targetE1EEEvT1_
    .private_segment_fixed_size: 0
    .sgpr_count:     4
    .sgpr_spill_count: 0
    .symbol:         _ZN7rocprim17ROCPRIM_400000_NS6detail17trampoline_kernelINS0_14default_configENS1_27scan_by_key_config_selectorIiiEEZZNS1_16scan_by_key_implILNS1_25lookback_scan_determinismE0ELb0ES3_N6thrust23THRUST_200600_302600_NS10device_ptrIiEESB_SB_iNS9_4plusIvEENS9_8equal_toIvEEiEE10hipError_tPvRmT2_T3_T4_T5_mT6_T7_P12ihipStream_tbENKUlT_T0_E_clISt17integral_constantIbLb0EESV_IbLb1EEEEDaSR_SS_EUlSR_E_NS1_11comp_targetILNS1_3genE2ELNS1_11target_archE906ELNS1_3gpuE6ELNS1_3repE0EEENS1_30default_config_static_selectorELNS0_4arch9wavefront6targetE1EEEvT1_.kd
    .uniform_work_group_size: 1
    .uses_dynamic_stack: false
    .vgpr_count:     0
    .vgpr_spill_count: 0
    .wavefront_size: 64
  - .agpr_count:     0
    .args:
      - .offset:         0
        .size:           112
        .value_kind:     by_value
    .group_segment_fixed_size: 0
    .kernarg_segment_align: 8
    .kernarg_segment_size: 112
    .language:       OpenCL C
    .language_version:
      - 2
      - 0
    .max_flat_workgroup_size: 256
    .name:           _ZN7rocprim17ROCPRIM_400000_NS6detail17trampoline_kernelINS0_14default_configENS1_27scan_by_key_config_selectorIiiEEZZNS1_16scan_by_key_implILNS1_25lookback_scan_determinismE0ELb0ES3_N6thrust23THRUST_200600_302600_NS10device_ptrIiEESB_SB_iNS9_4plusIvEENS9_8equal_toIvEEiEE10hipError_tPvRmT2_T3_T4_T5_mT6_T7_P12ihipStream_tbENKUlT_T0_E_clISt17integral_constantIbLb0EESV_IbLb1EEEEDaSR_SS_EUlSR_E_NS1_11comp_targetILNS1_3genE10ELNS1_11target_archE1200ELNS1_3gpuE4ELNS1_3repE0EEENS1_30default_config_static_selectorELNS0_4arch9wavefront6targetE1EEEvT1_
    .private_segment_fixed_size: 0
    .sgpr_count:     4
    .sgpr_spill_count: 0
    .symbol:         _ZN7rocprim17ROCPRIM_400000_NS6detail17trampoline_kernelINS0_14default_configENS1_27scan_by_key_config_selectorIiiEEZZNS1_16scan_by_key_implILNS1_25lookback_scan_determinismE0ELb0ES3_N6thrust23THRUST_200600_302600_NS10device_ptrIiEESB_SB_iNS9_4plusIvEENS9_8equal_toIvEEiEE10hipError_tPvRmT2_T3_T4_T5_mT6_T7_P12ihipStream_tbENKUlT_T0_E_clISt17integral_constantIbLb0EESV_IbLb1EEEEDaSR_SS_EUlSR_E_NS1_11comp_targetILNS1_3genE10ELNS1_11target_archE1200ELNS1_3gpuE4ELNS1_3repE0EEENS1_30default_config_static_selectorELNS0_4arch9wavefront6targetE1EEEvT1_.kd
    .uniform_work_group_size: 1
    .uses_dynamic_stack: false
    .vgpr_count:     0
    .vgpr_spill_count: 0
    .wavefront_size: 64
  - .agpr_count:     0
    .args:
      - .offset:         0
        .size:           112
        .value_kind:     by_value
    .group_segment_fixed_size: 0
    .kernarg_segment_align: 8
    .kernarg_segment_size: 112
    .language:       OpenCL C
    .language_version:
      - 2
      - 0
    .max_flat_workgroup_size: 256
    .name:           _ZN7rocprim17ROCPRIM_400000_NS6detail17trampoline_kernelINS0_14default_configENS1_27scan_by_key_config_selectorIiiEEZZNS1_16scan_by_key_implILNS1_25lookback_scan_determinismE0ELb0ES3_N6thrust23THRUST_200600_302600_NS10device_ptrIiEESB_SB_iNS9_4plusIvEENS9_8equal_toIvEEiEE10hipError_tPvRmT2_T3_T4_T5_mT6_T7_P12ihipStream_tbENKUlT_T0_E_clISt17integral_constantIbLb0EESV_IbLb1EEEEDaSR_SS_EUlSR_E_NS1_11comp_targetILNS1_3genE9ELNS1_11target_archE1100ELNS1_3gpuE3ELNS1_3repE0EEENS1_30default_config_static_selectorELNS0_4arch9wavefront6targetE1EEEvT1_
    .private_segment_fixed_size: 0
    .sgpr_count:     4
    .sgpr_spill_count: 0
    .symbol:         _ZN7rocprim17ROCPRIM_400000_NS6detail17trampoline_kernelINS0_14default_configENS1_27scan_by_key_config_selectorIiiEEZZNS1_16scan_by_key_implILNS1_25lookback_scan_determinismE0ELb0ES3_N6thrust23THRUST_200600_302600_NS10device_ptrIiEESB_SB_iNS9_4plusIvEENS9_8equal_toIvEEiEE10hipError_tPvRmT2_T3_T4_T5_mT6_T7_P12ihipStream_tbENKUlT_T0_E_clISt17integral_constantIbLb0EESV_IbLb1EEEEDaSR_SS_EUlSR_E_NS1_11comp_targetILNS1_3genE9ELNS1_11target_archE1100ELNS1_3gpuE3ELNS1_3repE0EEENS1_30default_config_static_selectorELNS0_4arch9wavefront6targetE1EEEvT1_.kd
    .uniform_work_group_size: 1
    .uses_dynamic_stack: false
    .vgpr_count:     0
    .vgpr_spill_count: 0
    .wavefront_size: 64
  - .agpr_count:     0
    .args:
      - .offset:         0
        .size:           112
        .value_kind:     by_value
    .group_segment_fixed_size: 0
    .kernarg_segment_align: 8
    .kernarg_segment_size: 112
    .language:       OpenCL C
    .language_version:
      - 2
      - 0
    .max_flat_workgroup_size: 256
    .name:           _ZN7rocprim17ROCPRIM_400000_NS6detail17trampoline_kernelINS0_14default_configENS1_27scan_by_key_config_selectorIiiEEZZNS1_16scan_by_key_implILNS1_25lookback_scan_determinismE0ELb0ES3_N6thrust23THRUST_200600_302600_NS10device_ptrIiEESB_SB_iNS9_4plusIvEENS9_8equal_toIvEEiEE10hipError_tPvRmT2_T3_T4_T5_mT6_T7_P12ihipStream_tbENKUlT_T0_E_clISt17integral_constantIbLb0EESV_IbLb1EEEEDaSR_SS_EUlSR_E_NS1_11comp_targetILNS1_3genE8ELNS1_11target_archE1030ELNS1_3gpuE2ELNS1_3repE0EEENS1_30default_config_static_selectorELNS0_4arch9wavefront6targetE1EEEvT1_
    .private_segment_fixed_size: 0
    .sgpr_count:     4
    .sgpr_spill_count: 0
    .symbol:         _ZN7rocprim17ROCPRIM_400000_NS6detail17trampoline_kernelINS0_14default_configENS1_27scan_by_key_config_selectorIiiEEZZNS1_16scan_by_key_implILNS1_25lookback_scan_determinismE0ELb0ES3_N6thrust23THRUST_200600_302600_NS10device_ptrIiEESB_SB_iNS9_4plusIvEENS9_8equal_toIvEEiEE10hipError_tPvRmT2_T3_T4_T5_mT6_T7_P12ihipStream_tbENKUlT_T0_E_clISt17integral_constantIbLb0EESV_IbLb1EEEEDaSR_SS_EUlSR_E_NS1_11comp_targetILNS1_3genE8ELNS1_11target_archE1030ELNS1_3gpuE2ELNS1_3repE0EEENS1_30default_config_static_selectorELNS0_4arch9wavefront6targetE1EEEvT1_.kd
    .uniform_work_group_size: 1
    .uses_dynamic_stack: false
    .vgpr_count:     0
    .vgpr_spill_count: 0
    .wavefront_size: 64
  - .agpr_count:     0
    .args:
      - .offset:         0
        .size:           112
        .value_kind:     by_value
    .group_segment_fixed_size: 0
    .kernarg_segment_align: 8
    .kernarg_segment_size: 112
    .language:       OpenCL C
    .language_version:
      - 2
      - 0
    .max_flat_workgroup_size: 256
    .name:           _ZN7rocprim17ROCPRIM_400000_NS6detail17trampoline_kernelINS0_14default_configENS1_27scan_by_key_config_selectorIiiEEZZNS1_16scan_by_key_implILNS1_25lookback_scan_determinismE0ELb1ES3_N6thrust23THRUST_200600_302600_NS10device_ptrIiEESB_SB_iNS9_4plusIvEENS9_8equal_toIvEEiEE10hipError_tPvRmT2_T3_T4_T5_mT6_T7_P12ihipStream_tbENKUlT_T0_E_clISt17integral_constantIbLb0EESW_EEDaSR_SS_EUlSR_E_NS1_11comp_targetILNS1_3genE0ELNS1_11target_archE4294967295ELNS1_3gpuE0ELNS1_3repE0EEENS1_30default_config_static_selectorELNS0_4arch9wavefront6targetE1EEEvT1_
    .private_segment_fixed_size: 0
    .sgpr_count:     4
    .sgpr_spill_count: 0
    .symbol:         _ZN7rocprim17ROCPRIM_400000_NS6detail17trampoline_kernelINS0_14default_configENS1_27scan_by_key_config_selectorIiiEEZZNS1_16scan_by_key_implILNS1_25lookback_scan_determinismE0ELb1ES3_N6thrust23THRUST_200600_302600_NS10device_ptrIiEESB_SB_iNS9_4plusIvEENS9_8equal_toIvEEiEE10hipError_tPvRmT2_T3_T4_T5_mT6_T7_P12ihipStream_tbENKUlT_T0_E_clISt17integral_constantIbLb0EESW_EEDaSR_SS_EUlSR_E_NS1_11comp_targetILNS1_3genE0ELNS1_11target_archE4294967295ELNS1_3gpuE0ELNS1_3repE0EEENS1_30default_config_static_selectorELNS0_4arch9wavefront6targetE1EEEvT1_.kd
    .uniform_work_group_size: 1
    .uses_dynamic_stack: false
    .vgpr_count:     0
    .vgpr_spill_count: 0
    .wavefront_size: 64
  - .agpr_count:     0
    .args:
      - .offset:         0
        .size:           112
        .value_kind:     by_value
    .group_segment_fixed_size: 0
    .kernarg_segment_align: 8
    .kernarg_segment_size: 112
    .language:       OpenCL C
    .language_version:
      - 2
      - 0
    .max_flat_workgroup_size: 256
    .name:           _ZN7rocprim17ROCPRIM_400000_NS6detail17trampoline_kernelINS0_14default_configENS1_27scan_by_key_config_selectorIiiEEZZNS1_16scan_by_key_implILNS1_25lookback_scan_determinismE0ELb1ES3_N6thrust23THRUST_200600_302600_NS10device_ptrIiEESB_SB_iNS9_4plusIvEENS9_8equal_toIvEEiEE10hipError_tPvRmT2_T3_T4_T5_mT6_T7_P12ihipStream_tbENKUlT_T0_E_clISt17integral_constantIbLb0EESW_EEDaSR_SS_EUlSR_E_NS1_11comp_targetILNS1_3genE10ELNS1_11target_archE1201ELNS1_3gpuE5ELNS1_3repE0EEENS1_30default_config_static_selectorELNS0_4arch9wavefront6targetE1EEEvT1_
    .private_segment_fixed_size: 0
    .sgpr_count:     4
    .sgpr_spill_count: 0
    .symbol:         _ZN7rocprim17ROCPRIM_400000_NS6detail17trampoline_kernelINS0_14default_configENS1_27scan_by_key_config_selectorIiiEEZZNS1_16scan_by_key_implILNS1_25lookback_scan_determinismE0ELb1ES3_N6thrust23THRUST_200600_302600_NS10device_ptrIiEESB_SB_iNS9_4plusIvEENS9_8equal_toIvEEiEE10hipError_tPvRmT2_T3_T4_T5_mT6_T7_P12ihipStream_tbENKUlT_T0_E_clISt17integral_constantIbLb0EESW_EEDaSR_SS_EUlSR_E_NS1_11comp_targetILNS1_3genE10ELNS1_11target_archE1201ELNS1_3gpuE5ELNS1_3repE0EEENS1_30default_config_static_selectorELNS0_4arch9wavefront6targetE1EEEvT1_.kd
    .uniform_work_group_size: 1
    .uses_dynamic_stack: false
    .vgpr_count:     0
    .vgpr_spill_count: 0
    .wavefront_size: 64
  - .agpr_count:     0
    .args:
      - .offset:         0
        .size:           112
        .value_kind:     by_value
    .group_segment_fixed_size: 0
    .kernarg_segment_align: 8
    .kernarg_segment_size: 112
    .language:       OpenCL C
    .language_version:
      - 2
      - 0
    .max_flat_workgroup_size: 256
    .name:           _ZN7rocprim17ROCPRIM_400000_NS6detail17trampoline_kernelINS0_14default_configENS1_27scan_by_key_config_selectorIiiEEZZNS1_16scan_by_key_implILNS1_25lookback_scan_determinismE0ELb1ES3_N6thrust23THRUST_200600_302600_NS10device_ptrIiEESB_SB_iNS9_4plusIvEENS9_8equal_toIvEEiEE10hipError_tPvRmT2_T3_T4_T5_mT6_T7_P12ihipStream_tbENKUlT_T0_E_clISt17integral_constantIbLb0EESW_EEDaSR_SS_EUlSR_E_NS1_11comp_targetILNS1_3genE5ELNS1_11target_archE942ELNS1_3gpuE9ELNS1_3repE0EEENS1_30default_config_static_selectorELNS0_4arch9wavefront6targetE1EEEvT1_
    .private_segment_fixed_size: 0
    .sgpr_count:     4
    .sgpr_spill_count: 0
    .symbol:         _ZN7rocprim17ROCPRIM_400000_NS6detail17trampoline_kernelINS0_14default_configENS1_27scan_by_key_config_selectorIiiEEZZNS1_16scan_by_key_implILNS1_25lookback_scan_determinismE0ELb1ES3_N6thrust23THRUST_200600_302600_NS10device_ptrIiEESB_SB_iNS9_4plusIvEENS9_8equal_toIvEEiEE10hipError_tPvRmT2_T3_T4_T5_mT6_T7_P12ihipStream_tbENKUlT_T0_E_clISt17integral_constantIbLb0EESW_EEDaSR_SS_EUlSR_E_NS1_11comp_targetILNS1_3genE5ELNS1_11target_archE942ELNS1_3gpuE9ELNS1_3repE0EEENS1_30default_config_static_selectorELNS0_4arch9wavefront6targetE1EEEvT1_.kd
    .uniform_work_group_size: 1
    .uses_dynamic_stack: false
    .vgpr_count:     0
    .vgpr_spill_count: 0
    .wavefront_size: 64
  - .agpr_count:     0
    .args:
      - .offset:         0
        .size:           112
        .value_kind:     by_value
    .group_segment_fixed_size: 16384
    .kernarg_segment_align: 8
    .kernarg_segment_size: 112
    .language:       OpenCL C
    .language_version:
      - 2
      - 0
    .max_flat_workgroup_size: 256
    .name:           _ZN7rocprim17ROCPRIM_400000_NS6detail17trampoline_kernelINS0_14default_configENS1_27scan_by_key_config_selectorIiiEEZZNS1_16scan_by_key_implILNS1_25lookback_scan_determinismE0ELb1ES3_N6thrust23THRUST_200600_302600_NS10device_ptrIiEESB_SB_iNS9_4plusIvEENS9_8equal_toIvEEiEE10hipError_tPvRmT2_T3_T4_T5_mT6_T7_P12ihipStream_tbENKUlT_T0_E_clISt17integral_constantIbLb0EESW_EEDaSR_SS_EUlSR_E_NS1_11comp_targetILNS1_3genE4ELNS1_11target_archE910ELNS1_3gpuE8ELNS1_3repE0EEENS1_30default_config_static_selectorELNS0_4arch9wavefront6targetE1EEEvT1_
    .private_segment_fixed_size: 0
    .sgpr_count:     64
    .sgpr_spill_count: 0
    .symbol:         _ZN7rocprim17ROCPRIM_400000_NS6detail17trampoline_kernelINS0_14default_configENS1_27scan_by_key_config_selectorIiiEEZZNS1_16scan_by_key_implILNS1_25lookback_scan_determinismE0ELb1ES3_N6thrust23THRUST_200600_302600_NS10device_ptrIiEESB_SB_iNS9_4plusIvEENS9_8equal_toIvEEiEE10hipError_tPvRmT2_T3_T4_T5_mT6_T7_P12ihipStream_tbENKUlT_T0_E_clISt17integral_constantIbLb0EESW_EEDaSR_SS_EUlSR_E_NS1_11comp_targetILNS1_3genE4ELNS1_11target_archE910ELNS1_3gpuE8ELNS1_3repE0EEENS1_30default_config_static_selectorELNS0_4arch9wavefront6targetE1EEEvT1_.kd
    .uniform_work_group_size: 1
    .uses_dynamic_stack: false
    .vgpr_count:     65
    .vgpr_spill_count: 0
    .wavefront_size: 64
  - .agpr_count:     0
    .args:
      - .offset:         0
        .size:           112
        .value_kind:     by_value
    .group_segment_fixed_size: 0
    .kernarg_segment_align: 8
    .kernarg_segment_size: 112
    .language:       OpenCL C
    .language_version:
      - 2
      - 0
    .max_flat_workgroup_size: 256
    .name:           _ZN7rocprim17ROCPRIM_400000_NS6detail17trampoline_kernelINS0_14default_configENS1_27scan_by_key_config_selectorIiiEEZZNS1_16scan_by_key_implILNS1_25lookback_scan_determinismE0ELb1ES3_N6thrust23THRUST_200600_302600_NS10device_ptrIiEESB_SB_iNS9_4plusIvEENS9_8equal_toIvEEiEE10hipError_tPvRmT2_T3_T4_T5_mT6_T7_P12ihipStream_tbENKUlT_T0_E_clISt17integral_constantIbLb0EESW_EEDaSR_SS_EUlSR_E_NS1_11comp_targetILNS1_3genE3ELNS1_11target_archE908ELNS1_3gpuE7ELNS1_3repE0EEENS1_30default_config_static_selectorELNS0_4arch9wavefront6targetE1EEEvT1_
    .private_segment_fixed_size: 0
    .sgpr_count:     4
    .sgpr_spill_count: 0
    .symbol:         _ZN7rocprim17ROCPRIM_400000_NS6detail17trampoline_kernelINS0_14default_configENS1_27scan_by_key_config_selectorIiiEEZZNS1_16scan_by_key_implILNS1_25lookback_scan_determinismE0ELb1ES3_N6thrust23THRUST_200600_302600_NS10device_ptrIiEESB_SB_iNS9_4plusIvEENS9_8equal_toIvEEiEE10hipError_tPvRmT2_T3_T4_T5_mT6_T7_P12ihipStream_tbENKUlT_T0_E_clISt17integral_constantIbLb0EESW_EEDaSR_SS_EUlSR_E_NS1_11comp_targetILNS1_3genE3ELNS1_11target_archE908ELNS1_3gpuE7ELNS1_3repE0EEENS1_30default_config_static_selectorELNS0_4arch9wavefront6targetE1EEEvT1_.kd
    .uniform_work_group_size: 1
    .uses_dynamic_stack: false
    .vgpr_count:     0
    .vgpr_spill_count: 0
    .wavefront_size: 64
  - .agpr_count:     0
    .args:
      - .offset:         0
        .size:           112
        .value_kind:     by_value
    .group_segment_fixed_size: 0
    .kernarg_segment_align: 8
    .kernarg_segment_size: 112
    .language:       OpenCL C
    .language_version:
      - 2
      - 0
    .max_flat_workgroup_size: 256
    .name:           _ZN7rocprim17ROCPRIM_400000_NS6detail17trampoline_kernelINS0_14default_configENS1_27scan_by_key_config_selectorIiiEEZZNS1_16scan_by_key_implILNS1_25lookback_scan_determinismE0ELb1ES3_N6thrust23THRUST_200600_302600_NS10device_ptrIiEESB_SB_iNS9_4plusIvEENS9_8equal_toIvEEiEE10hipError_tPvRmT2_T3_T4_T5_mT6_T7_P12ihipStream_tbENKUlT_T0_E_clISt17integral_constantIbLb0EESW_EEDaSR_SS_EUlSR_E_NS1_11comp_targetILNS1_3genE2ELNS1_11target_archE906ELNS1_3gpuE6ELNS1_3repE0EEENS1_30default_config_static_selectorELNS0_4arch9wavefront6targetE1EEEvT1_
    .private_segment_fixed_size: 0
    .sgpr_count:     4
    .sgpr_spill_count: 0
    .symbol:         _ZN7rocprim17ROCPRIM_400000_NS6detail17trampoline_kernelINS0_14default_configENS1_27scan_by_key_config_selectorIiiEEZZNS1_16scan_by_key_implILNS1_25lookback_scan_determinismE0ELb1ES3_N6thrust23THRUST_200600_302600_NS10device_ptrIiEESB_SB_iNS9_4plusIvEENS9_8equal_toIvEEiEE10hipError_tPvRmT2_T3_T4_T5_mT6_T7_P12ihipStream_tbENKUlT_T0_E_clISt17integral_constantIbLb0EESW_EEDaSR_SS_EUlSR_E_NS1_11comp_targetILNS1_3genE2ELNS1_11target_archE906ELNS1_3gpuE6ELNS1_3repE0EEENS1_30default_config_static_selectorELNS0_4arch9wavefront6targetE1EEEvT1_.kd
    .uniform_work_group_size: 1
    .uses_dynamic_stack: false
    .vgpr_count:     0
    .vgpr_spill_count: 0
    .wavefront_size: 64
  - .agpr_count:     0
    .args:
      - .offset:         0
        .size:           112
        .value_kind:     by_value
    .group_segment_fixed_size: 0
    .kernarg_segment_align: 8
    .kernarg_segment_size: 112
    .language:       OpenCL C
    .language_version:
      - 2
      - 0
    .max_flat_workgroup_size: 256
    .name:           _ZN7rocprim17ROCPRIM_400000_NS6detail17trampoline_kernelINS0_14default_configENS1_27scan_by_key_config_selectorIiiEEZZNS1_16scan_by_key_implILNS1_25lookback_scan_determinismE0ELb1ES3_N6thrust23THRUST_200600_302600_NS10device_ptrIiEESB_SB_iNS9_4plusIvEENS9_8equal_toIvEEiEE10hipError_tPvRmT2_T3_T4_T5_mT6_T7_P12ihipStream_tbENKUlT_T0_E_clISt17integral_constantIbLb0EESW_EEDaSR_SS_EUlSR_E_NS1_11comp_targetILNS1_3genE10ELNS1_11target_archE1200ELNS1_3gpuE4ELNS1_3repE0EEENS1_30default_config_static_selectorELNS0_4arch9wavefront6targetE1EEEvT1_
    .private_segment_fixed_size: 0
    .sgpr_count:     4
    .sgpr_spill_count: 0
    .symbol:         _ZN7rocprim17ROCPRIM_400000_NS6detail17trampoline_kernelINS0_14default_configENS1_27scan_by_key_config_selectorIiiEEZZNS1_16scan_by_key_implILNS1_25lookback_scan_determinismE0ELb1ES3_N6thrust23THRUST_200600_302600_NS10device_ptrIiEESB_SB_iNS9_4plusIvEENS9_8equal_toIvEEiEE10hipError_tPvRmT2_T3_T4_T5_mT6_T7_P12ihipStream_tbENKUlT_T0_E_clISt17integral_constantIbLb0EESW_EEDaSR_SS_EUlSR_E_NS1_11comp_targetILNS1_3genE10ELNS1_11target_archE1200ELNS1_3gpuE4ELNS1_3repE0EEENS1_30default_config_static_selectorELNS0_4arch9wavefront6targetE1EEEvT1_.kd
    .uniform_work_group_size: 1
    .uses_dynamic_stack: false
    .vgpr_count:     0
    .vgpr_spill_count: 0
    .wavefront_size: 64
  - .agpr_count:     0
    .args:
      - .offset:         0
        .size:           112
        .value_kind:     by_value
    .group_segment_fixed_size: 0
    .kernarg_segment_align: 8
    .kernarg_segment_size: 112
    .language:       OpenCL C
    .language_version:
      - 2
      - 0
    .max_flat_workgroup_size: 256
    .name:           _ZN7rocprim17ROCPRIM_400000_NS6detail17trampoline_kernelINS0_14default_configENS1_27scan_by_key_config_selectorIiiEEZZNS1_16scan_by_key_implILNS1_25lookback_scan_determinismE0ELb1ES3_N6thrust23THRUST_200600_302600_NS10device_ptrIiEESB_SB_iNS9_4plusIvEENS9_8equal_toIvEEiEE10hipError_tPvRmT2_T3_T4_T5_mT6_T7_P12ihipStream_tbENKUlT_T0_E_clISt17integral_constantIbLb0EESW_EEDaSR_SS_EUlSR_E_NS1_11comp_targetILNS1_3genE9ELNS1_11target_archE1100ELNS1_3gpuE3ELNS1_3repE0EEENS1_30default_config_static_selectorELNS0_4arch9wavefront6targetE1EEEvT1_
    .private_segment_fixed_size: 0
    .sgpr_count:     4
    .sgpr_spill_count: 0
    .symbol:         _ZN7rocprim17ROCPRIM_400000_NS6detail17trampoline_kernelINS0_14default_configENS1_27scan_by_key_config_selectorIiiEEZZNS1_16scan_by_key_implILNS1_25lookback_scan_determinismE0ELb1ES3_N6thrust23THRUST_200600_302600_NS10device_ptrIiEESB_SB_iNS9_4plusIvEENS9_8equal_toIvEEiEE10hipError_tPvRmT2_T3_T4_T5_mT6_T7_P12ihipStream_tbENKUlT_T0_E_clISt17integral_constantIbLb0EESW_EEDaSR_SS_EUlSR_E_NS1_11comp_targetILNS1_3genE9ELNS1_11target_archE1100ELNS1_3gpuE3ELNS1_3repE0EEENS1_30default_config_static_selectorELNS0_4arch9wavefront6targetE1EEEvT1_.kd
    .uniform_work_group_size: 1
    .uses_dynamic_stack: false
    .vgpr_count:     0
    .vgpr_spill_count: 0
    .wavefront_size: 64
  - .agpr_count:     0
    .args:
      - .offset:         0
        .size:           112
        .value_kind:     by_value
    .group_segment_fixed_size: 0
    .kernarg_segment_align: 8
    .kernarg_segment_size: 112
    .language:       OpenCL C
    .language_version:
      - 2
      - 0
    .max_flat_workgroup_size: 256
    .name:           _ZN7rocprim17ROCPRIM_400000_NS6detail17trampoline_kernelINS0_14default_configENS1_27scan_by_key_config_selectorIiiEEZZNS1_16scan_by_key_implILNS1_25lookback_scan_determinismE0ELb1ES3_N6thrust23THRUST_200600_302600_NS10device_ptrIiEESB_SB_iNS9_4plusIvEENS9_8equal_toIvEEiEE10hipError_tPvRmT2_T3_T4_T5_mT6_T7_P12ihipStream_tbENKUlT_T0_E_clISt17integral_constantIbLb0EESW_EEDaSR_SS_EUlSR_E_NS1_11comp_targetILNS1_3genE8ELNS1_11target_archE1030ELNS1_3gpuE2ELNS1_3repE0EEENS1_30default_config_static_selectorELNS0_4arch9wavefront6targetE1EEEvT1_
    .private_segment_fixed_size: 0
    .sgpr_count:     4
    .sgpr_spill_count: 0
    .symbol:         _ZN7rocprim17ROCPRIM_400000_NS6detail17trampoline_kernelINS0_14default_configENS1_27scan_by_key_config_selectorIiiEEZZNS1_16scan_by_key_implILNS1_25lookback_scan_determinismE0ELb1ES3_N6thrust23THRUST_200600_302600_NS10device_ptrIiEESB_SB_iNS9_4plusIvEENS9_8equal_toIvEEiEE10hipError_tPvRmT2_T3_T4_T5_mT6_T7_P12ihipStream_tbENKUlT_T0_E_clISt17integral_constantIbLb0EESW_EEDaSR_SS_EUlSR_E_NS1_11comp_targetILNS1_3genE8ELNS1_11target_archE1030ELNS1_3gpuE2ELNS1_3repE0EEENS1_30default_config_static_selectorELNS0_4arch9wavefront6targetE1EEEvT1_.kd
    .uniform_work_group_size: 1
    .uses_dynamic_stack: false
    .vgpr_count:     0
    .vgpr_spill_count: 0
    .wavefront_size: 64
  - .agpr_count:     0
    .args:
      - .offset:         0
        .size:           112
        .value_kind:     by_value
    .group_segment_fixed_size: 0
    .kernarg_segment_align: 8
    .kernarg_segment_size: 112
    .language:       OpenCL C
    .language_version:
      - 2
      - 0
    .max_flat_workgroup_size: 256
    .name:           _ZN7rocprim17ROCPRIM_400000_NS6detail17trampoline_kernelINS0_14default_configENS1_27scan_by_key_config_selectorIiiEEZZNS1_16scan_by_key_implILNS1_25lookback_scan_determinismE0ELb1ES3_N6thrust23THRUST_200600_302600_NS10device_ptrIiEESB_SB_iNS9_4plusIvEENS9_8equal_toIvEEiEE10hipError_tPvRmT2_T3_T4_T5_mT6_T7_P12ihipStream_tbENKUlT_T0_E_clISt17integral_constantIbLb1EESW_EEDaSR_SS_EUlSR_E_NS1_11comp_targetILNS1_3genE0ELNS1_11target_archE4294967295ELNS1_3gpuE0ELNS1_3repE0EEENS1_30default_config_static_selectorELNS0_4arch9wavefront6targetE1EEEvT1_
    .private_segment_fixed_size: 0
    .sgpr_count:     4
    .sgpr_spill_count: 0
    .symbol:         _ZN7rocprim17ROCPRIM_400000_NS6detail17trampoline_kernelINS0_14default_configENS1_27scan_by_key_config_selectorIiiEEZZNS1_16scan_by_key_implILNS1_25lookback_scan_determinismE0ELb1ES3_N6thrust23THRUST_200600_302600_NS10device_ptrIiEESB_SB_iNS9_4plusIvEENS9_8equal_toIvEEiEE10hipError_tPvRmT2_T3_T4_T5_mT6_T7_P12ihipStream_tbENKUlT_T0_E_clISt17integral_constantIbLb1EESW_EEDaSR_SS_EUlSR_E_NS1_11comp_targetILNS1_3genE0ELNS1_11target_archE4294967295ELNS1_3gpuE0ELNS1_3repE0EEENS1_30default_config_static_selectorELNS0_4arch9wavefront6targetE1EEEvT1_.kd
    .uniform_work_group_size: 1
    .uses_dynamic_stack: false
    .vgpr_count:     0
    .vgpr_spill_count: 0
    .wavefront_size: 64
  - .agpr_count:     0
    .args:
      - .offset:         0
        .size:           112
        .value_kind:     by_value
    .group_segment_fixed_size: 0
    .kernarg_segment_align: 8
    .kernarg_segment_size: 112
    .language:       OpenCL C
    .language_version:
      - 2
      - 0
    .max_flat_workgroup_size: 256
    .name:           _ZN7rocprim17ROCPRIM_400000_NS6detail17trampoline_kernelINS0_14default_configENS1_27scan_by_key_config_selectorIiiEEZZNS1_16scan_by_key_implILNS1_25lookback_scan_determinismE0ELb1ES3_N6thrust23THRUST_200600_302600_NS10device_ptrIiEESB_SB_iNS9_4plusIvEENS9_8equal_toIvEEiEE10hipError_tPvRmT2_T3_T4_T5_mT6_T7_P12ihipStream_tbENKUlT_T0_E_clISt17integral_constantIbLb1EESW_EEDaSR_SS_EUlSR_E_NS1_11comp_targetILNS1_3genE10ELNS1_11target_archE1201ELNS1_3gpuE5ELNS1_3repE0EEENS1_30default_config_static_selectorELNS0_4arch9wavefront6targetE1EEEvT1_
    .private_segment_fixed_size: 0
    .sgpr_count:     4
    .sgpr_spill_count: 0
    .symbol:         _ZN7rocprim17ROCPRIM_400000_NS6detail17trampoline_kernelINS0_14default_configENS1_27scan_by_key_config_selectorIiiEEZZNS1_16scan_by_key_implILNS1_25lookback_scan_determinismE0ELb1ES3_N6thrust23THRUST_200600_302600_NS10device_ptrIiEESB_SB_iNS9_4plusIvEENS9_8equal_toIvEEiEE10hipError_tPvRmT2_T3_T4_T5_mT6_T7_P12ihipStream_tbENKUlT_T0_E_clISt17integral_constantIbLb1EESW_EEDaSR_SS_EUlSR_E_NS1_11comp_targetILNS1_3genE10ELNS1_11target_archE1201ELNS1_3gpuE5ELNS1_3repE0EEENS1_30default_config_static_selectorELNS0_4arch9wavefront6targetE1EEEvT1_.kd
    .uniform_work_group_size: 1
    .uses_dynamic_stack: false
    .vgpr_count:     0
    .vgpr_spill_count: 0
    .wavefront_size: 64
  - .agpr_count:     0
    .args:
      - .offset:         0
        .size:           112
        .value_kind:     by_value
    .group_segment_fixed_size: 0
    .kernarg_segment_align: 8
    .kernarg_segment_size: 112
    .language:       OpenCL C
    .language_version:
      - 2
      - 0
    .max_flat_workgroup_size: 256
    .name:           _ZN7rocprim17ROCPRIM_400000_NS6detail17trampoline_kernelINS0_14default_configENS1_27scan_by_key_config_selectorIiiEEZZNS1_16scan_by_key_implILNS1_25lookback_scan_determinismE0ELb1ES3_N6thrust23THRUST_200600_302600_NS10device_ptrIiEESB_SB_iNS9_4plusIvEENS9_8equal_toIvEEiEE10hipError_tPvRmT2_T3_T4_T5_mT6_T7_P12ihipStream_tbENKUlT_T0_E_clISt17integral_constantIbLb1EESW_EEDaSR_SS_EUlSR_E_NS1_11comp_targetILNS1_3genE5ELNS1_11target_archE942ELNS1_3gpuE9ELNS1_3repE0EEENS1_30default_config_static_selectorELNS0_4arch9wavefront6targetE1EEEvT1_
    .private_segment_fixed_size: 0
    .sgpr_count:     4
    .sgpr_spill_count: 0
    .symbol:         _ZN7rocprim17ROCPRIM_400000_NS6detail17trampoline_kernelINS0_14default_configENS1_27scan_by_key_config_selectorIiiEEZZNS1_16scan_by_key_implILNS1_25lookback_scan_determinismE0ELb1ES3_N6thrust23THRUST_200600_302600_NS10device_ptrIiEESB_SB_iNS9_4plusIvEENS9_8equal_toIvEEiEE10hipError_tPvRmT2_T3_T4_T5_mT6_T7_P12ihipStream_tbENKUlT_T0_E_clISt17integral_constantIbLb1EESW_EEDaSR_SS_EUlSR_E_NS1_11comp_targetILNS1_3genE5ELNS1_11target_archE942ELNS1_3gpuE9ELNS1_3repE0EEENS1_30default_config_static_selectorELNS0_4arch9wavefront6targetE1EEEvT1_.kd
    .uniform_work_group_size: 1
    .uses_dynamic_stack: false
    .vgpr_count:     0
    .vgpr_spill_count: 0
    .wavefront_size: 64
  - .agpr_count:     0
    .args:
      - .offset:         0
        .size:           112
        .value_kind:     by_value
    .group_segment_fixed_size: 16384
    .kernarg_segment_align: 8
    .kernarg_segment_size: 112
    .language:       OpenCL C
    .language_version:
      - 2
      - 0
    .max_flat_workgroup_size: 256
    .name:           _ZN7rocprim17ROCPRIM_400000_NS6detail17trampoline_kernelINS0_14default_configENS1_27scan_by_key_config_selectorIiiEEZZNS1_16scan_by_key_implILNS1_25lookback_scan_determinismE0ELb1ES3_N6thrust23THRUST_200600_302600_NS10device_ptrIiEESB_SB_iNS9_4plusIvEENS9_8equal_toIvEEiEE10hipError_tPvRmT2_T3_T4_T5_mT6_T7_P12ihipStream_tbENKUlT_T0_E_clISt17integral_constantIbLb1EESW_EEDaSR_SS_EUlSR_E_NS1_11comp_targetILNS1_3genE4ELNS1_11target_archE910ELNS1_3gpuE8ELNS1_3repE0EEENS1_30default_config_static_selectorELNS0_4arch9wavefront6targetE1EEEvT1_
    .private_segment_fixed_size: 0
    .sgpr_count:     64
    .sgpr_spill_count: 0
    .symbol:         _ZN7rocprim17ROCPRIM_400000_NS6detail17trampoline_kernelINS0_14default_configENS1_27scan_by_key_config_selectorIiiEEZZNS1_16scan_by_key_implILNS1_25lookback_scan_determinismE0ELb1ES3_N6thrust23THRUST_200600_302600_NS10device_ptrIiEESB_SB_iNS9_4plusIvEENS9_8equal_toIvEEiEE10hipError_tPvRmT2_T3_T4_T5_mT6_T7_P12ihipStream_tbENKUlT_T0_E_clISt17integral_constantIbLb1EESW_EEDaSR_SS_EUlSR_E_NS1_11comp_targetILNS1_3genE4ELNS1_11target_archE910ELNS1_3gpuE8ELNS1_3repE0EEENS1_30default_config_static_selectorELNS0_4arch9wavefront6targetE1EEEvT1_.kd
    .uniform_work_group_size: 1
    .uses_dynamic_stack: false
    .vgpr_count:     67
    .vgpr_spill_count: 0
    .wavefront_size: 64
  - .agpr_count:     0
    .args:
      - .offset:         0
        .size:           112
        .value_kind:     by_value
    .group_segment_fixed_size: 0
    .kernarg_segment_align: 8
    .kernarg_segment_size: 112
    .language:       OpenCL C
    .language_version:
      - 2
      - 0
    .max_flat_workgroup_size: 256
    .name:           _ZN7rocprim17ROCPRIM_400000_NS6detail17trampoline_kernelINS0_14default_configENS1_27scan_by_key_config_selectorIiiEEZZNS1_16scan_by_key_implILNS1_25lookback_scan_determinismE0ELb1ES3_N6thrust23THRUST_200600_302600_NS10device_ptrIiEESB_SB_iNS9_4plusIvEENS9_8equal_toIvEEiEE10hipError_tPvRmT2_T3_T4_T5_mT6_T7_P12ihipStream_tbENKUlT_T0_E_clISt17integral_constantIbLb1EESW_EEDaSR_SS_EUlSR_E_NS1_11comp_targetILNS1_3genE3ELNS1_11target_archE908ELNS1_3gpuE7ELNS1_3repE0EEENS1_30default_config_static_selectorELNS0_4arch9wavefront6targetE1EEEvT1_
    .private_segment_fixed_size: 0
    .sgpr_count:     4
    .sgpr_spill_count: 0
    .symbol:         _ZN7rocprim17ROCPRIM_400000_NS6detail17trampoline_kernelINS0_14default_configENS1_27scan_by_key_config_selectorIiiEEZZNS1_16scan_by_key_implILNS1_25lookback_scan_determinismE0ELb1ES3_N6thrust23THRUST_200600_302600_NS10device_ptrIiEESB_SB_iNS9_4plusIvEENS9_8equal_toIvEEiEE10hipError_tPvRmT2_T3_T4_T5_mT6_T7_P12ihipStream_tbENKUlT_T0_E_clISt17integral_constantIbLb1EESW_EEDaSR_SS_EUlSR_E_NS1_11comp_targetILNS1_3genE3ELNS1_11target_archE908ELNS1_3gpuE7ELNS1_3repE0EEENS1_30default_config_static_selectorELNS0_4arch9wavefront6targetE1EEEvT1_.kd
    .uniform_work_group_size: 1
    .uses_dynamic_stack: false
    .vgpr_count:     0
    .vgpr_spill_count: 0
    .wavefront_size: 64
  - .agpr_count:     0
    .args:
      - .offset:         0
        .size:           112
        .value_kind:     by_value
    .group_segment_fixed_size: 0
    .kernarg_segment_align: 8
    .kernarg_segment_size: 112
    .language:       OpenCL C
    .language_version:
      - 2
      - 0
    .max_flat_workgroup_size: 256
    .name:           _ZN7rocprim17ROCPRIM_400000_NS6detail17trampoline_kernelINS0_14default_configENS1_27scan_by_key_config_selectorIiiEEZZNS1_16scan_by_key_implILNS1_25lookback_scan_determinismE0ELb1ES3_N6thrust23THRUST_200600_302600_NS10device_ptrIiEESB_SB_iNS9_4plusIvEENS9_8equal_toIvEEiEE10hipError_tPvRmT2_T3_T4_T5_mT6_T7_P12ihipStream_tbENKUlT_T0_E_clISt17integral_constantIbLb1EESW_EEDaSR_SS_EUlSR_E_NS1_11comp_targetILNS1_3genE2ELNS1_11target_archE906ELNS1_3gpuE6ELNS1_3repE0EEENS1_30default_config_static_selectorELNS0_4arch9wavefront6targetE1EEEvT1_
    .private_segment_fixed_size: 0
    .sgpr_count:     4
    .sgpr_spill_count: 0
    .symbol:         _ZN7rocprim17ROCPRIM_400000_NS6detail17trampoline_kernelINS0_14default_configENS1_27scan_by_key_config_selectorIiiEEZZNS1_16scan_by_key_implILNS1_25lookback_scan_determinismE0ELb1ES3_N6thrust23THRUST_200600_302600_NS10device_ptrIiEESB_SB_iNS9_4plusIvEENS9_8equal_toIvEEiEE10hipError_tPvRmT2_T3_T4_T5_mT6_T7_P12ihipStream_tbENKUlT_T0_E_clISt17integral_constantIbLb1EESW_EEDaSR_SS_EUlSR_E_NS1_11comp_targetILNS1_3genE2ELNS1_11target_archE906ELNS1_3gpuE6ELNS1_3repE0EEENS1_30default_config_static_selectorELNS0_4arch9wavefront6targetE1EEEvT1_.kd
    .uniform_work_group_size: 1
    .uses_dynamic_stack: false
    .vgpr_count:     0
    .vgpr_spill_count: 0
    .wavefront_size: 64
  - .agpr_count:     0
    .args:
      - .offset:         0
        .size:           112
        .value_kind:     by_value
    .group_segment_fixed_size: 0
    .kernarg_segment_align: 8
    .kernarg_segment_size: 112
    .language:       OpenCL C
    .language_version:
      - 2
      - 0
    .max_flat_workgroup_size: 256
    .name:           _ZN7rocprim17ROCPRIM_400000_NS6detail17trampoline_kernelINS0_14default_configENS1_27scan_by_key_config_selectorIiiEEZZNS1_16scan_by_key_implILNS1_25lookback_scan_determinismE0ELb1ES3_N6thrust23THRUST_200600_302600_NS10device_ptrIiEESB_SB_iNS9_4plusIvEENS9_8equal_toIvEEiEE10hipError_tPvRmT2_T3_T4_T5_mT6_T7_P12ihipStream_tbENKUlT_T0_E_clISt17integral_constantIbLb1EESW_EEDaSR_SS_EUlSR_E_NS1_11comp_targetILNS1_3genE10ELNS1_11target_archE1200ELNS1_3gpuE4ELNS1_3repE0EEENS1_30default_config_static_selectorELNS0_4arch9wavefront6targetE1EEEvT1_
    .private_segment_fixed_size: 0
    .sgpr_count:     4
    .sgpr_spill_count: 0
    .symbol:         _ZN7rocprim17ROCPRIM_400000_NS6detail17trampoline_kernelINS0_14default_configENS1_27scan_by_key_config_selectorIiiEEZZNS1_16scan_by_key_implILNS1_25lookback_scan_determinismE0ELb1ES3_N6thrust23THRUST_200600_302600_NS10device_ptrIiEESB_SB_iNS9_4plusIvEENS9_8equal_toIvEEiEE10hipError_tPvRmT2_T3_T4_T5_mT6_T7_P12ihipStream_tbENKUlT_T0_E_clISt17integral_constantIbLb1EESW_EEDaSR_SS_EUlSR_E_NS1_11comp_targetILNS1_3genE10ELNS1_11target_archE1200ELNS1_3gpuE4ELNS1_3repE0EEENS1_30default_config_static_selectorELNS0_4arch9wavefront6targetE1EEEvT1_.kd
    .uniform_work_group_size: 1
    .uses_dynamic_stack: false
    .vgpr_count:     0
    .vgpr_spill_count: 0
    .wavefront_size: 64
  - .agpr_count:     0
    .args:
      - .offset:         0
        .size:           112
        .value_kind:     by_value
    .group_segment_fixed_size: 0
    .kernarg_segment_align: 8
    .kernarg_segment_size: 112
    .language:       OpenCL C
    .language_version:
      - 2
      - 0
    .max_flat_workgroup_size: 256
    .name:           _ZN7rocprim17ROCPRIM_400000_NS6detail17trampoline_kernelINS0_14default_configENS1_27scan_by_key_config_selectorIiiEEZZNS1_16scan_by_key_implILNS1_25lookback_scan_determinismE0ELb1ES3_N6thrust23THRUST_200600_302600_NS10device_ptrIiEESB_SB_iNS9_4plusIvEENS9_8equal_toIvEEiEE10hipError_tPvRmT2_T3_T4_T5_mT6_T7_P12ihipStream_tbENKUlT_T0_E_clISt17integral_constantIbLb1EESW_EEDaSR_SS_EUlSR_E_NS1_11comp_targetILNS1_3genE9ELNS1_11target_archE1100ELNS1_3gpuE3ELNS1_3repE0EEENS1_30default_config_static_selectorELNS0_4arch9wavefront6targetE1EEEvT1_
    .private_segment_fixed_size: 0
    .sgpr_count:     4
    .sgpr_spill_count: 0
    .symbol:         _ZN7rocprim17ROCPRIM_400000_NS6detail17trampoline_kernelINS0_14default_configENS1_27scan_by_key_config_selectorIiiEEZZNS1_16scan_by_key_implILNS1_25lookback_scan_determinismE0ELb1ES3_N6thrust23THRUST_200600_302600_NS10device_ptrIiEESB_SB_iNS9_4plusIvEENS9_8equal_toIvEEiEE10hipError_tPvRmT2_T3_T4_T5_mT6_T7_P12ihipStream_tbENKUlT_T0_E_clISt17integral_constantIbLb1EESW_EEDaSR_SS_EUlSR_E_NS1_11comp_targetILNS1_3genE9ELNS1_11target_archE1100ELNS1_3gpuE3ELNS1_3repE0EEENS1_30default_config_static_selectorELNS0_4arch9wavefront6targetE1EEEvT1_.kd
    .uniform_work_group_size: 1
    .uses_dynamic_stack: false
    .vgpr_count:     0
    .vgpr_spill_count: 0
    .wavefront_size: 64
  - .agpr_count:     0
    .args:
      - .offset:         0
        .size:           112
        .value_kind:     by_value
    .group_segment_fixed_size: 0
    .kernarg_segment_align: 8
    .kernarg_segment_size: 112
    .language:       OpenCL C
    .language_version:
      - 2
      - 0
    .max_flat_workgroup_size: 256
    .name:           _ZN7rocprim17ROCPRIM_400000_NS6detail17trampoline_kernelINS0_14default_configENS1_27scan_by_key_config_selectorIiiEEZZNS1_16scan_by_key_implILNS1_25lookback_scan_determinismE0ELb1ES3_N6thrust23THRUST_200600_302600_NS10device_ptrIiEESB_SB_iNS9_4plusIvEENS9_8equal_toIvEEiEE10hipError_tPvRmT2_T3_T4_T5_mT6_T7_P12ihipStream_tbENKUlT_T0_E_clISt17integral_constantIbLb1EESW_EEDaSR_SS_EUlSR_E_NS1_11comp_targetILNS1_3genE8ELNS1_11target_archE1030ELNS1_3gpuE2ELNS1_3repE0EEENS1_30default_config_static_selectorELNS0_4arch9wavefront6targetE1EEEvT1_
    .private_segment_fixed_size: 0
    .sgpr_count:     4
    .sgpr_spill_count: 0
    .symbol:         _ZN7rocprim17ROCPRIM_400000_NS6detail17trampoline_kernelINS0_14default_configENS1_27scan_by_key_config_selectorIiiEEZZNS1_16scan_by_key_implILNS1_25lookback_scan_determinismE0ELb1ES3_N6thrust23THRUST_200600_302600_NS10device_ptrIiEESB_SB_iNS9_4plusIvEENS9_8equal_toIvEEiEE10hipError_tPvRmT2_T3_T4_T5_mT6_T7_P12ihipStream_tbENKUlT_T0_E_clISt17integral_constantIbLb1EESW_EEDaSR_SS_EUlSR_E_NS1_11comp_targetILNS1_3genE8ELNS1_11target_archE1030ELNS1_3gpuE2ELNS1_3repE0EEENS1_30default_config_static_selectorELNS0_4arch9wavefront6targetE1EEEvT1_.kd
    .uniform_work_group_size: 1
    .uses_dynamic_stack: false
    .vgpr_count:     0
    .vgpr_spill_count: 0
    .wavefront_size: 64
  - .agpr_count:     0
    .args:
      - .offset:         0
        .size:           112
        .value_kind:     by_value
    .group_segment_fixed_size: 0
    .kernarg_segment_align: 8
    .kernarg_segment_size: 112
    .language:       OpenCL C
    .language_version:
      - 2
      - 0
    .max_flat_workgroup_size: 256
    .name:           _ZN7rocprim17ROCPRIM_400000_NS6detail17trampoline_kernelINS0_14default_configENS1_27scan_by_key_config_selectorIiiEEZZNS1_16scan_by_key_implILNS1_25lookback_scan_determinismE0ELb1ES3_N6thrust23THRUST_200600_302600_NS10device_ptrIiEESB_SB_iNS9_4plusIvEENS9_8equal_toIvEEiEE10hipError_tPvRmT2_T3_T4_T5_mT6_T7_P12ihipStream_tbENKUlT_T0_E_clISt17integral_constantIbLb1EESV_IbLb0EEEEDaSR_SS_EUlSR_E_NS1_11comp_targetILNS1_3genE0ELNS1_11target_archE4294967295ELNS1_3gpuE0ELNS1_3repE0EEENS1_30default_config_static_selectorELNS0_4arch9wavefront6targetE1EEEvT1_
    .private_segment_fixed_size: 0
    .sgpr_count:     4
    .sgpr_spill_count: 0
    .symbol:         _ZN7rocprim17ROCPRIM_400000_NS6detail17trampoline_kernelINS0_14default_configENS1_27scan_by_key_config_selectorIiiEEZZNS1_16scan_by_key_implILNS1_25lookback_scan_determinismE0ELb1ES3_N6thrust23THRUST_200600_302600_NS10device_ptrIiEESB_SB_iNS9_4plusIvEENS9_8equal_toIvEEiEE10hipError_tPvRmT2_T3_T4_T5_mT6_T7_P12ihipStream_tbENKUlT_T0_E_clISt17integral_constantIbLb1EESV_IbLb0EEEEDaSR_SS_EUlSR_E_NS1_11comp_targetILNS1_3genE0ELNS1_11target_archE4294967295ELNS1_3gpuE0ELNS1_3repE0EEENS1_30default_config_static_selectorELNS0_4arch9wavefront6targetE1EEEvT1_.kd
    .uniform_work_group_size: 1
    .uses_dynamic_stack: false
    .vgpr_count:     0
    .vgpr_spill_count: 0
    .wavefront_size: 64
  - .agpr_count:     0
    .args:
      - .offset:         0
        .size:           112
        .value_kind:     by_value
    .group_segment_fixed_size: 0
    .kernarg_segment_align: 8
    .kernarg_segment_size: 112
    .language:       OpenCL C
    .language_version:
      - 2
      - 0
    .max_flat_workgroup_size: 256
    .name:           _ZN7rocprim17ROCPRIM_400000_NS6detail17trampoline_kernelINS0_14default_configENS1_27scan_by_key_config_selectorIiiEEZZNS1_16scan_by_key_implILNS1_25lookback_scan_determinismE0ELb1ES3_N6thrust23THRUST_200600_302600_NS10device_ptrIiEESB_SB_iNS9_4plusIvEENS9_8equal_toIvEEiEE10hipError_tPvRmT2_T3_T4_T5_mT6_T7_P12ihipStream_tbENKUlT_T0_E_clISt17integral_constantIbLb1EESV_IbLb0EEEEDaSR_SS_EUlSR_E_NS1_11comp_targetILNS1_3genE10ELNS1_11target_archE1201ELNS1_3gpuE5ELNS1_3repE0EEENS1_30default_config_static_selectorELNS0_4arch9wavefront6targetE1EEEvT1_
    .private_segment_fixed_size: 0
    .sgpr_count:     4
    .sgpr_spill_count: 0
    .symbol:         _ZN7rocprim17ROCPRIM_400000_NS6detail17trampoline_kernelINS0_14default_configENS1_27scan_by_key_config_selectorIiiEEZZNS1_16scan_by_key_implILNS1_25lookback_scan_determinismE0ELb1ES3_N6thrust23THRUST_200600_302600_NS10device_ptrIiEESB_SB_iNS9_4plusIvEENS9_8equal_toIvEEiEE10hipError_tPvRmT2_T3_T4_T5_mT6_T7_P12ihipStream_tbENKUlT_T0_E_clISt17integral_constantIbLb1EESV_IbLb0EEEEDaSR_SS_EUlSR_E_NS1_11comp_targetILNS1_3genE10ELNS1_11target_archE1201ELNS1_3gpuE5ELNS1_3repE0EEENS1_30default_config_static_selectorELNS0_4arch9wavefront6targetE1EEEvT1_.kd
    .uniform_work_group_size: 1
    .uses_dynamic_stack: false
    .vgpr_count:     0
    .vgpr_spill_count: 0
    .wavefront_size: 64
  - .agpr_count:     0
    .args:
      - .offset:         0
        .size:           112
        .value_kind:     by_value
    .group_segment_fixed_size: 0
    .kernarg_segment_align: 8
    .kernarg_segment_size: 112
    .language:       OpenCL C
    .language_version:
      - 2
      - 0
    .max_flat_workgroup_size: 256
    .name:           _ZN7rocprim17ROCPRIM_400000_NS6detail17trampoline_kernelINS0_14default_configENS1_27scan_by_key_config_selectorIiiEEZZNS1_16scan_by_key_implILNS1_25lookback_scan_determinismE0ELb1ES3_N6thrust23THRUST_200600_302600_NS10device_ptrIiEESB_SB_iNS9_4plusIvEENS9_8equal_toIvEEiEE10hipError_tPvRmT2_T3_T4_T5_mT6_T7_P12ihipStream_tbENKUlT_T0_E_clISt17integral_constantIbLb1EESV_IbLb0EEEEDaSR_SS_EUlSR_E_NS1_11comp_targetILNS1_3genE5ELNS1_11target_archE942ELNS1_3gpuE9ELNS1_3repE0EEENS1_30default_config_static_selectorELNS0_4arch9wavefront6targetE1EEEvT1_
    .private_segment_fixed_size: 0
    .sgpr_count:     4
    .sgpr_spill_count: 0
    .symbol:         _ZN7rocprim17ROCPRIM_400000_NS6detail17trampoline_kernelINS0_14default_configENS1_27scan_by_key_config_selectorIiiEEZZNS1_16scan_by_key_implILNS1_25lookback_scan_determinismE0ELb1ES3_N6thrust23THRUST_200600_302600_NS10device_ptrIiEESB_SB_iNS9_4plusIvEENS9_8equal_toIvEEiEE10hipError_tPvRmT2_T3_T4_T5_mT6_T7_P12ihipStream_tbENKUlT_T0_E_clISt17integral_constantIbLb1EESV_IbLb0EEEEDaSR_SS_EUlSR_E_NS1_11comp_targetILNS1_3genE5ELNS1_11target_archE942ELNS1_3gpuE9ELNS1_3repE0EEENS1_30default_config_static_selectorELNS0_4arch9wavefront6targetE1EEEvT1_.kd
    .uniform_work_group_size: 1
    .uses_dynamic_stack: false
    .vgpr_count:     0
    .vgpr_spill_count: 0
    .wavefront_size: 64
  - .agpr_count:     0
    .args:
      - .offset:         0
        .size:           112
        .value_kind:     by_value
    .group_segment_fixed_size: 16384
    .kernarg_segment_align: 8
    .kernarg_segment_size: 112
    .language:       OpenCL C
    .language_version:
      - 2
      - 0
    .max_flat_workgroup_size: 256
    .name:           _ZN7rocprim17ROCPRIM_400000_NS6detail17trampoline_kernelINS0_14default_configENS1_27scan_by_key_config_selectorIiiEEZZNS1_16scan_by_key_implILNS1_25lookback_scan_determinismE0ELb1ES3_N6thrust23THRUST_200600_302600_NS10device_ptrIiEESB_SB_iNS9_4plusIvEENS9_8equal_toIvEEiEE10hipError_tPvRmT2_T3_T4_T5_mT6_T7_P12ihipStream_tbENKUlT_T0_E_clISt17integral_constantIbLb1EESV_IbLb0EEEEDaSR_SS_EUlSR_E_NS1_11comp_targetILNS1_3genE4ELNS1_11target_archE910ELNS1_3gpuE8ELNS1_3repE0EEENS1_30default_config_static_selectorELNS0_4arch9wavefront6targetE1EEEvT1_
    .private_segment_fixed_size: 0
    .sgpr_count:     64
    .sgpr_spill_count: 0
    .symbol:         _ZN7rocprim17ROCPRIM_400000_NS6detail17trampoline_kernelINS0_14default_configENS1_27scan_by_key_config_selectorIiiEEZZNS1_16scan_by_key_implILNS1_25lookback_scan_determinismE0ELb1ES3_N6thrust23THRUST_200600_302600_NS10device_ptrIiEESB_SB_iNS9_4plusIvEENS9_8equal_toIvEEiEE10hipError_tPvRmT2_T3_T4_T5_mT6_T7_P12ihipStream_tbENKUlT_T0_E_clISt17integral_constantIbLb1EESV_IbLb0EEEEDaSR_SS_EUlSR_E_NS1_11comp_targetILNS1_3genE4ELNS1_11target_archE910ELNS1_3gpuE8ELNS1_3repE0EEENS1_30default_config_static_selectorELNS0_4arch9wavefront6targetE1EEEvT1_.kd
    .uniform_work_group_size: 1
    .uses_dynamic_stack: false
    .vgpr_count:     65
    .vgpr_spill_count: 0
    .wavefront_size: 64
  - .agpr_count:     0
    .args:
      - .offset:         0
        .size:           112
        .value_kind:     by_value
    .group_segment_fixed_size: 0
    .kernarg_segment_align: 8
    .kernarg_segment_size: 112
    .language:       OpenCL C
    .language_version:
      - 2
      - 0
    .max_flat_workgroup_size: 256
    .name:           _ZN7rocprim17ROCPRIM_400000_NS6detail17trampoline_kernelINS0_14default_configENS1_27scan_by_key_config_selectorIiiEEZZNS1_16scan_by_key_implILNS1_25lookback_scan_determinismE0ELb1ES3_N6thrust23THRUST_200600_302600_NS10device_ptrIiEESB_SB_iNS9_4plusIvEENS9_8equal_toIvEEiEE10hipError_tPvRmT2_T3_T4_T5_mT6_T7_P12ihipStream_tbENKUlT_T0_E_clISt17integral_constantIbLb1EESV_IbLb0EEEEDaSR_SS_EUlSR_E_NS1_11comp_targetILNS1_3genE3ELNS1_11target_archE908ELNS1_3gpuE7ELNS1_3repE0EEENS1_30default_config_static_selectorELNS0_4arch9wavefront6targetE1EEEvT1_
    .private_segment_fixed_size: 0
    .sgpr_count:     4
    .sgpr_spill_count: 0
    .symbol:         _ZN7rocprim17ROCPRIM_400000_NS6detail17trampoline_kernelINS0_14default_configENS1_27scan_by_key_config_selectorIiiEEZZNS1_16scan_by_key_implILNS1_25lookback_scan_determinismE0ELb1ES3_N6thrust23THRUST_200600_302600_NS10device_ptrIiEESB_SB_iNS9_4plusIvEENS9_8equal_toIvEEiEE10hipError_tPvRmT2_T3_T4_T5_mT6_T7_P12ihipStream_tbENKUlT_T0_E_clISt17integral_constantIbLb1EESV_IbLb0EEEEDaSR_SS_EUlSR_E_NS1_11comp_targetILNS1_3genE3ELNS1_11target_archE908ELNS1_3gpuE7ELNS1_3repE0EEENS1_30default_config_static_selectorELNS0_4arch9wavefront6targetE1EEEvT1_.kd
    .uniform_work_group_size: 1
    .uses_dynamic_stack: false
    .vgpr_count:     0
    .vgpr_spill_count: 0
    .wavefront_size: 64
  - .agpr_count:     0
    .args:
      - .offset:         0
        .size:           112
        .value_kind:     by_value
    .group_segment_fixed_size: 0
    .kernarg_segment_align: 8
    .kernarg_segment_size: 112
    .language:       OpenCL C
    .language_version:
      - 2
      - 0
    .max_flat_workgroup_size: 256
    .name:           _ZN7rocprim17ROCPRIM_400000_NS6detail17trampoline_kernelINS0_14default_configENS1_27scan_by_key_config_selectorIiiEEZZNS1_16scan_by_key_implILNS1_25lookback_scan_determinismE0ELb1ES3_N6thrust23THRUST_200600_302600_NS10device_ptrIiEESB_SB_iNS9_4plusIvEENS9_8equal_toIvEEiEE10hipError_tPvRmT2_T3_T4_T5_mT6_T7_P12ihipStream_tbENKUlT_T0_E_clISt17integral_constantIbLb1EESV_IbLb0EEEEDaSR_SS_EUlSR_E_NS1_11comp_targetILNS1_3genE2ELNS1_11target_archE906ELNS1_3gpuE6ELNS1_3repE0EEENS1_30default_config_static_selectorELNS0_4arch9wavefront6targetE1EEEvT1_
    .private_segment_fixed_size: 0
    .sgpr_count:     4
    .sgpr_spill_count: 0
    .symbol:         _ZN7rocprim17ROCPRIM_400000_NS6detail17trampoline_kernelINS0_14default_configENS1_27scan_by_key_config_selectorIiiEEZZNS1_16scan_by_key_implILNS1_25lookback_scan_determinismE0ELb1ES3_N6thrust23THRUST_200600_302600_NS10device_ptrIiEESB_SB_iNS9_4plusIvEENS9_8equal_toIvEEiEE10hipError_tPvRmT2_T3_T4_T5_mT6_T7_P12ihipStream_tbENKUlT_T0_E_clISt17integral_constantIbLb1EESV_IbLb0EEEEDaSR_SS_EUlSR_E_NS1_11comp_targetILNS1_3genE2ELNS1_11target_archE906ELNS1_3gpuE6ELNS1_3repE0EEENS1_30default_config_static_selectorELNS0_4arch9wavefront6targetE1EEEvT1_.kd
    .uniform_work_group_size: 1
    .uses_dynamic_stack: false
    .vgpr_count:     0
    .vgpr_spill_count: 0
    .wavefront_size: 64
  - .agpr_count:     0
    .args:
      - .offset:         0
        .size:           112
        .value_kind:     by_value
    .group_segment_fixed_size: 0
    .kernarg_segment_align: 8
    .kernarg_segment_size: 112
    .language:       OpenCL C
    .language_version:
      - 2
      - 0
    .max_flat_workgroup_size: 256
    .name:           _ZN7rocprim17ROCPRIM_400000_NS6detail17trampoline_kernelINS0_14default_configENS1_27scan_by_key_config_selectorIiiEEZZNS1_16scan_by_key_implILNS1_25lookback_scan_determinismE0ELb1ES3_N6thrust23THRUST_200600_302600_NS10device_ptrIiEESB_SB_iNS9_4plusIvEENS9_8equal_toIvEEiEE10hipError_tPvRmT2_T3_T4_T5_mT6_T7_P12ihipStream_tbENKUlT_T0_E_clISt17integral_constantIbLb1EESV_IbLb0EEEEDaSR_SS_EUlSR_E_NS1_11comp_targetILNS1_3genE10ELNS1_11target_archE1200ELNS1_3gpuE4ELNS1_3repE0EEENS1_30default_config_static_selectorELNS0_4arch9wavefront6targetE1EEEvT1_
    .private_segment_fixed_size: 0
    .sgpr_count:     4
    .sgpr_spill_count: 0
    .symbol:         _ZN7rocprim17ROCPRIM_400000_NS6detail17trampoline_kernelINS0_14default_configENS1_27scan_by_key_config_selectorIiiEEZZNS1_16scan_by_key_implILNS1_25lookback_scan_determinismE0ELb1ES3_N6thrust23THRUST_200600_302600_NS10device_ptrIiEESB_SB_iNS9_4plusIvEENS9_8equal_toIvEEiEE10hipError_tPvRmT2_T3_T4_T5_mT6_T7_P12ihipStream_tbENKUlT_T0_E_clISt17integral_constantIbLb1EESV_IbLb0EEEEDaSR_SS_EUlSR_E_NS1_11comp_targetILNS1_3genE10ELNS1_11target_archE1200ELNS1_3gpuE4ELNS1_3repE0EEENS1_30default_config_static_selectorELNS0_4arch9wavefront6targetE1EEEvT1_.kd
    .uniform_work_group_size: 1
    .uses_dynamic_stack: false
    .vgpr_count:     0
    .vgpr_spill_count: 0
    .wavefront_size: 64
  - .agpr_count:     0
    .args:
      - .offset:         0
        .size:           112
        .value_kind:     by_value
    .group_segment_fixed_size: 0
    .kernarg_segment_align: 8
    .kernarg_segment_size: 112
    .language:       OpenCL C
    .language_version:
      - 2
      - 0
    .max_flat_workgroup_size: 256
    .name:           _ZN7rocprim17ROCPRIM_400000_NS6detail17trampoline_kernelINS0_14default_configENS1_27scan_by_key_config_selectorIiiEEZZNS1_16scan_by_key_implILNS1_25lookback_scan_determinismE0ELb1ES3_N6thrust23THRUST_200600_302600_NS10device_ptrIiEESB_SB_iNS9_4plusIvEENS9_8equal_toIvEEiEE10hipError_tPvRmT2_T3_T4_T5_mT6_T7_P12ihipStream_tbENKUlT_T0_E_clISt17integral_constantIbLb1EESV_IbLb0EEEEDaSR_SS_EUlSR_E_NS1_11comp_targetILNS1_3genE9ELNS1_11target_archE1100ELNS1_3gpuE3ELNS1_3repE0EEENS1_30default_config_static_selectorELNS0_4arch9wavefront6targetE1EEEvT1_
    .private_segment_fixed_size: 0
    .sgpr_count:     4
    .sgpr_spill_count: 0
    .symbol:         _ZN7rocprim17ROCPRIM_400000_NS6detail17trampoline_kernelINS0_14default_configENS1_27scan_by_key_config_selectorIiiEEZZNS1_16scan_by_key_implILNS1_25lookback_scan_determinismE0ELb1ES3_N6thrust23THRUST_200600_302600_NS10device_ptrIiEESB_SB_iNS9_4plusIvEENS9_8equal_toIvEEiEE10hipError_tPvRmT2_T3_T4_T5_mT6_T7_P12ihipStream_tbENKUlT_T0_E_clISt17integral_constantIbLb1EESV_IbLb0EEEEDaSR_SS_EUlSR_E_NS1_11comp_targetILNS1_3genE9ELNS1_11target_archE1100ELNS1_3gpuE3ELNS1_3repE0EEENS1_30default_config_static_selectorELNS0_4arch9wavefront6targetE1EEEvT1_.kd
    .uniform_work_group_size: 1
    .uses_dynamic_stack: false
    .vgpr_count:     0
    .vgpr_spill_count: 0
    .wavefront_size: 64
  - .agpr_count:     0
    .args:
      - .offset:         0
        .size:           112
        .value_kind:     by_value
    .group_segment_fixed_size: 0
    .kernarg_segment_align: 8
    .kernarg_segment_size: 112
    .language:       OpenCL C
    .language_version:
      - 2
      - 0
    .max_flat_workgroup_size: 256
    .name:           _ZN7rocprim17ROCPRIM_400000_NS6detail17trampoline_kernelINS0_14default_configENS1_27scan_by_key_config_selectorIiiEEZZNS1_16scan_by_key_implILNS1_25lookback_scan_determinismE0ELb1ES3_N6thrust23THRUST_200600_302600_NS10device_ptrIiEESB_SB_iNS9_4plusIvEENS9_8equal_toIvEEiEE10hipError_tPvRmT2_T3_T4_T5_mT6_T7_P12ihipStream_tbENKUlT_T0_E_clISt17integral_constantIbLb1EESV_IbLb0EEEEDaSR_SS_EUlSR_E_NS1_11comp_targetILNS1_3genE8ELNS1_11target_archE1030ELNS1_3gpuE2ELNS1_3repE0EEENS1_30default_config_static_selectorELNS0_4arch9wavefront6targetE1EEEvT1_
    .private_segment_fixed_size: 0
    .sgpr_count:     4
    .sgpr_spill_count: 0
    .symbol:         _ZN7rocprim17ROCPRIM_400000_NS6detail17trampoline_kernelINS0_14default_configENS1_27scan_by_key_config_selectorIiiEEZZNS1_16scan_by_key_implILNS1_25lookback_scan_determinismE0ELb1ES3_N6thrust23THRUST_200600_302600_NS10device_ptrIiEESB_SB_iNS9_4plusIvEENS9_8equal_toIvEEiEE10hipError_tPvRmT2_T3_T4_T5_mT6_T7_P12ihipStream_tbENKUlT_T0_E_clISt17integral_constantIbLb1EESV_IbLb0EEEEDaSR_SS_EUlSR_E_NS1_11comp_targetILNS1_3genE8ELNS1_11target_archE1030ELNS1_3gpuE2ELNS1_3repE0EEENS1_30default_config_static_selectorELNS0_4arch9wavefront6targetE1EEEvT1_.kd
    .uniform_work_group_size: 1
    .uses_dynamic_stack: false
    .vgpr_count:     0
    .vgpr_spill_count: 0
    .wavefront_size: 64
  - .agpr_count:     0
    .args:
      - .offset:         0
        .size:           112
        .value_kind:     by_value
    .group_segment_fixed_size: 0
    .kernarg_segment_align: 8
    .kernarg_segment_size: 112
    .language:       OpenCL C
    .language_version:
      - 2
      - 0
    .max_flat_workgroup_size: 256
    .name:           _ZN7rocprim17ROCPRIM_400000_NS6detail17trampoline_kernelINS0_14default_configENS1_27scan_by_key_config_selectorIiiEEZZNS1_16scan_by_key_implILNS1_25lookback_scan_determinismE0ELb1ES3_N6thrust23THRUST_200600_302600_NS10device_ptrIiEESB_SB_iNS9_4plusIvEENS9_8equal_toIvEEiEE10hipError_tPvRmT2_T3_T4_T5_mT6_T7_P12ihipStream_tbENKUlT_T0_E_clISt17integral_constantIbLb0EESV_IbLb1EEEEDaSR_SS_EUlSR_E_NS1_11comp_targetILNS1_3genE0ELNS1_11target_archE4294967295ELNS1_3gpuE0ELNS1_3repE0EEENS1_30default_config_static_selectorELNS0_4arch9wavefront6targetE1EEEvT1_
    .private_segment_fixed_size: 0
    .sgpr_count:     4
    .sgpr_spill_count: 0
    .symbol:         _ZN7rocprim17ROCPRIM_400000_NS6detail17trampoline_kernelINS0_14default_configENS1_27scan_by_key_config_selectorIiiEEZZNS1_16scan_by_key_implILNS1_25lookback_scan_determinismE0ELb1ES3_N6thrust23THRUST_200600_302600_NS10device_ptrIiEESB_SB_iNS9_4plusIvEENS9_8equal_toIvEEiEE10hipError_tPvRmT2_T3_T4_T5_mT6_T7_P12ihipStream_tbENKUlT_T0_E_clISt17integral_constantIbLb0EESV_IbLb1EEEEDaSR_SS_EUlSR_E_NS1_11comp_targetILNS1_3genE0ELNS1_11target_archE4294967295ELNS1_3gpuE0ELNS1_3repE0EEENS1_30default_config_static_selectorELNS0_4arch9wavefront6targetE1EEEvT1_.kd
    .uniform_work_group_size: 1
    .uses_dynamic_stack: false
    .vgpr_count:     0
    .vgpr_spill_count: 0
    .wavefront_size: 64
  - .agpr_count:     0
    .args:
      - .offset:         0
        .size:           112
        .value_kind:     by_value
    .group_segment_fixed_size: 0
    .kernarg_segment_align: 8
    .kernarg_segment_size: 112
    .language:       OpenCL C
    .language_version:
      - 2
      - 0
    .max_flat_workgroup_size: 256
    .name:           _ZN7rocprim17ROCPRIM_400000_NS6detail17trampoline_kernelINS0_14default_configENS1_27scan_by_key_config_selectorIiiEEZZNS1_16scan_by_key_implILNS1_25lookback_scan_determinismE0ELb1ES3_N6thrust23THRUST_200600_302600_NS10device_ptrIiEESB_SB_iNS9_4plusIvEENS9_8equal_toIvEEiEE10hipError_tPvRmT2_T3_T4_T5_mT6_T7_P12ihipStream_tbENKUlT_T0_E_clISt17integral_constantIbLb0EESV_IbLb1EEEEDaSR_SS_EUlSR_E_NS1_11comp_targetILNS1_3genE10ELNS1_11target_archE1201ELNS1_3gpuE5ELNS1_3repE0EEENS1_30default_config_static_selectorELNS0_4arch9wavefront6targetE1EEEvT1_
    .private_segment_fixed_size: 0
    .sgpr_count:     4
    .sgpr_spill_count: 0
    .symbol:         _ZN7rocprim17ROCPRIM_400000_NS6detail17trampoline_kernelINS0_14default_configENS1_27scan_by_key_config_selectorIiiEEZZNS1_16scan_by_key_implILNS1_25lookback_scan_determinismE0ELb1ES3_N6thrust23THRUST_200600_302600_NS10device_ptrIiEESB_SB_iNS9_4plusIvEENS9_8equal_toIvEEiEE10hipError_tPvRmT2_T3_T4_T5_mT6_T7_P12ihipStream_tbENKUlT_T0_E_clISt17integral_constantIbLb0EESV_IbLb1EEEEDaSR_SS_EUlSR_E_NS1_11comp_targetILNS1_3genE10ELNS1_11target_archE1201ELNS1_3gpuE5ELNS1_3repE0EEENS1_30default_config_static_selectorELNS0_4arch9wavefront6targetE1EEEvT1_.kd
    .uniform_work_group_size: 1
    .uses_dynamic_stack: false
    .vgpr_count:     0
    .vgpr_spill_count: 0
    .wavefront_size: 64
  - .agpr_count:     0
    .args:
      - .offset:         0
        .size:           112
        .value_kind:     by_value
    .group_segment_fixed_size: 0
    .kernarg_segment_align: 8
    .kernarg_segment_size: 112
    .language:       OpenCL C
    .language_version:
      - 2
      - 0
    .max_flat_workgroup_size: 256
    .name:           _ZN7rocprim17ROCPRIM_400000_NS6detail17trampoline_kernelINS0_14default_configENS1_27scan_by_key_config_selectorIiiEEZZNS1_16scan_by_key_implILNS1_25lookback_scan_determinismE0ELb1ES3_N6thrust23THRUST_200600_302600_NS10device_ptrIiEESB_SB_iNS9_4plusIvEENS9_8equal_toIvEEiEE10hipError_tPvRmT2_T3_T4_T5_mT6_T7_P12ihipStream_tbENKUlT_T0_E_clISt17integral_constantIbLb0EESV_IbLb1EEEEDaSR_SS_EUlSR_E_NS1_11comp_targetILNS1_3genE5ELNS1_11target_archE942ELNS1_3gpuE9ELNS1_3repE0EEENS1_30default_config_static_selectorELNS0_4arch9wavefront6targetE1EEEvT1_
    .private_segment_fixed_size: 0
    .sgpr_count:     4
    .sgpr_spill_count: 0
    .symbol:         _ZN7rocprim17ROCPRIM_400000_NS6detail17trampoline_kernelINS0_14default_configENS1_27scan_by_key_config_selectorIiiEEZZNS1_16scan_by_key_implILNS1_25lookback_scan_determinismE0ELb1ES3_N6thrust23THRUST_200600_302600_NS10device_ptrIiEESB_SB_iNS9_4plusIvEENS9_8equal_toIvEEiEE10hipError_tPvRmT2_T3_T4_T5_mT6_T7_P12ihipStream_tbENKUlT_T0_E_clISt17integral_constantIbLb0EESV_IbLb1EEEEDaSR_SS_EUlSR_E_NS1_11comp_targetILNS1_3genE5ELNS1_11target_archE942ELNS1_3gpuE9ELNS1_3repE0EEENS1_30default_config_static_selectorELNS0_4arch9wavefront6targetE1EEEvT1_.kd
    .uniform_work_group_size: 1
    .uses_dynamic_stack: false
    .vgpr_count:     0
    .vgpr_spill_count: 0
    .wavefront_size: 64
  - .agpr_count:     0
    .args:
      - .offset:         0
        .size:           112
        .value_kind:     by_value
    .group_segment_fixed_size: 16384
    .kernarg_segment_align: 8
    .kernarg_segment_size: 112
    .language:       OpenCL C
    .language_version:
      - 2
      - 0
    .max_flat_workgroup_size: 256
    .name:           _ZN7rocprim17ROCPRIM_400000_NS6detail17trampoline_kernelINS0_14default_configENS1_27scan_by_key_config_selectorIiiEEZZNS1_16scan_by_key_implILNS1_25lookback_scan_determinismE0ELb1ES3_N6thrust23THRUST_200600_302600_NS10device_ptrIiEESB_SB_iNS9_4plusIvEENS9_8equal_toIvEEiEE10hipError_tPvRmT2_T3_T4_T5_mT6_T7_P12ihipStream_tbENKUlT_T0_E_clISt17integral_constantIbLb0EESV_IbLb1EEEEDaSR_SS_EUlSR_E_NS1_11comp_targetILNS1_3genE4ELNS1_11target_archE910ELNS1_3gpuE8ELNS1_3repE0EEENS1_30default_config_static_selectorELNS0_4arch9wavefront6targetE1EEEvT1_
    .private_segment_fixed_size: 0
    .sgpr_count:     64
    .sgpr_spill_count: 0
    .symbol:         _ZN7rocprim17ROCPRIM_400000_NS6detail17trampoline_kernelINS0_14default_configENS1_27scan_by_key_config_selectorIiiEEZZNS1_16scan_by_key_implILNS1_25lookback_scan_determinismE0ELb1ES3_N6thrust23THRUST_200600_302600_NS10device_ptrIiEESB_SB_iNS9_4plusIvEENS9_8equal_toIvEEiEE10hipError_tPvRmT2_T3_T4_T5_mT6_T7_P12ihipStream_tbENKUlT_T0_E_clISt17integral_constantIbLb0EESV_IbLb1EEEEDaSR_SS_EUlSR_E_NS1_11comp_targetILNS1_3genE4ELNS1_11target_archE910ELNS1_3gpuE8ELNS1_3repE0EEENS1_30default_config_static_selectorELNS0_4arch9wavefront6targetE1EEEvT1_.kd
    .uniform_work_group_size: 1
    .uses_dynamic_stack: false
    .vgpr_count:     67
    .vgpr_spill_count: 0
    .wavefront_size: 64
  - .agpr_count:     0
    .args:
      - .offset:         0
        .size:           112
        .value_kind:     by_value
    .group_segment_fixed_size: 0
    .kernarg_segment_align: 8
    .kernarg_segment_size: 112
    .language:       OpenCL C
    .language_version:
      - 2
      - 0
    .max_flat_workgroup_size: 256
    .name:           _ZN7rocprim17ROCPRIM_400000_NS6detail17trampoline_kernelINS0_14default_configENS1_27scan_by_key_config_selectorIiiEEZZNS1_16scan_by_key_implILNS1_25lookback_scan_determinismE0ELb1ES3_N6thrust23THRUST_200600_302600_NS10device_ptrIiEESB_SB_iNS9_4plusIvEENS9_8equal_toIvEEiEE10hipError_tPvRmT2_T3_T4_T5_mT6_T7_P12ihipStream_tbENKUlT_T0_E_clISt17integral_constantIbLb0EESV_IbLb1EEEEDaSR_SS_EUlSR_E_NS1_11comp_targetILNS1_3genE3ELNS1_11target_archE908ELNS1_3gpuE7ELNS1_3repE0EEENS1_30default_config_static_selectorELNS0_4arch9wavefront6targetE1EEEvT1_
    .private_segment_fixed_size: 0
    .sgpr_count:     4
    .sgpr_spill_count: 0
    .symbol:         _ZN7rocprim17ROCPRIM_400000_NS6detail17trampoline_kernelINS0_14default_configENS1_27scan_by_key_config_selectorIiiEEZZNS1_16scan_by_key_implILNS1_25lookback_scan_determinismE0ELb1ES3_N6thrust23THRUST_200600_302600_NS10device_ptrIiEESB_SB_iNS9_4plusIvEENS9_8equal_toIvEEiEE10hipError_tPvRmT2_T3_T4_T5_mT6_T7_P12ihipStream_tbENKUlT_T0_E_clISt17integral_constantIbLb0EESV_IbLb1EEEEDaSR_SS_EUlSR_E_NS1_11comp_targetILNS1_3genE3ELNS1_11target_archE908ELNS1_3gpuE7ELNS1_3repE0EEENS1_30default_config_static_selectorELNS0_4arch9wavefront6targetE1EEEvT1_.kd
    .uniform_work_group_size: 1
    .uses_dynamic_stack: false
    .vgpr_count:     0
    .vgpr_spill_count: 0
    .wavefront_size: 64
  - .agpr_count:     0
    .args:
      - .offset:         0
        .size:           112
        .value_kind:     by_value
    .group_segment_fixed_size: 0
    .kernarg_segment_align: 8
    .kernarg_segment_size: 112
    .language:       OpenCL C
    .language_version:
      - 2
      - 0
    .max_flat_workgroup_size: 256
    .name:           _ZN7rocprim17ROCPRIM_400000_NS6detail17trampoline_kernelINS0_14default_configENS1_27scan_by_key_config_selectorIiiEEZZNS1_16scan_by_key_implILNS1_25lookback_scan_determinismE0ELb1ES3_N6thrust23THRUST_200600_302600_NS10device_ptrIiEESB_SB_iNS9_4plusIvEENS9_8equal_toIvEEiEE10hipError_tPvRmT2_T3_T4_T5_mT6_T7_P12ihipStream_tbENKUlT_T0_E_clISt17integral_constantIbLb0EESV_IbLb1EEEEDaSR_SS_EUlSR_E_NS1_11comp_targetILNS1_3genE2ELNS1_11target_archE906ELNS1_3gpuE6ELNS1_3repE0EEENS1_30default_config_static_selectorELNS0_4arch9wavefront6targetE1EEEvT1_
    .private_segment_fixed_size: 0
    .sgpr_count:     4
    .sgpr_spill_count: 0
    .symbol:         _ZN7rocprim17ROCPRIM_400000_NS6detail17trampoline_kernelINS0_14default_configENS1_27scan_by_key_config_selectorIiiEEZZNS1_16scan_by_key_implILNS1_25lookback_scan_determinismE0ELb1ES3_N6thrust23THRUST_200600_302600_NS10device_ptrIiEESB_SB_iNS9_4plusIvEENS9_8equal_toIvEEiEE10hipError_tPvRmT2_T3_T4_T5_mT6_T7_P12ihipStream_tbENKUlT_T0_E_clISt17integral_constantIbLb0EESV_IbLb1EEEEDaSR_SS_EUlSR_E_NS1_11comp_targetILNS1_3genE2ELNS1_11target_archE906ELNS1_3gpuE6ELNS1_3repE0EEENS1_30default_config_static_selectorELNS0_4arch9wavefront6targetE1EEEvT1_.kd
    .uniform_work_group_size: 1
    .uses_dynamic_stack: false
    .vgpr_count:     0
    .vgpr_spill_count: 0
    .wavefront_size: 64
  - .agpr_count:     0
    .args:
      - .offset:         0
        .size:           112
        .value_kind:     by_value
    .group_segment_fixed_size: 0
    .kernarg_segment_align: 8
    .kernarg_segment_size: 112
    .language:       OpenCL C
    .language_version:
      - 2
      - 0
    .max_flat_workgroup_size: 256
    .name:           _ZN7rocprim17ROCPRIM_400000_NS6detail17trampoline_kernelINS0_14default_configENS1_27scan_by_key_config_selectorIiiEEZZNS1_16scan_by_key_implILNS1_25lookback_scan_determinismE0ELb1ES3_N6thrust23THRUST_200600_302600_NS10device_ptrIiEESB_SB_iNS9_4plusIvEENS9_8equal_toIvEEiEE10hipError_tPvRmT2_T3_T4_T5_mT6_T7_P12ihipStream_tbENKUlT_T0_E_clISt17integral_constantIbLb0EESV_IbLb1EEEEDaSR_SS_EUlSR_E_NS1_11comp_targetILNS1_3genE10ELNS1_11target_archE1200ELNS1_3gpuE4ELNS1_3repE0EEENS1_30default_config_static_selectorELNS0_4arch9wavefront6targetE1EEEvT1_
    .private_segment_fixed_size: 0
    .sgpr_count:     4
    .sgpr_spill_count: 0
    .symbol:         _ZN7rocprim17ROCPRIM_400000_NS6detail17trampoline_kernelINS0_14default_configENS1_27scan_by_key_config_selectorIiiEEZZNS1_16scan_by_key_implILNS1_25lookback_scan_determinismE0ELb1ES3_N6thrust23THRUST_200600_302600_NS10device_ptrIiEESB_SB_iNS9_4plusIvEENS9_8equal_toIvEEiEE10hipError_tPvRmT2_T3_T4_T5_mT6_T7_P12ihipStream_tbENKUlT_T0_E_clISt17integral_constantIbLb0EESV_IbLb1EEEEDaSR_SS_EUlSR_E_NS1_11comp_targetILNS1_3genE10ELNS1_11target_archE1200ELNS1_3gpuE4ELNS1_3repE0EEENS1_30default_config_static_selectorELNS0_4arch9wavefront6targetE1EEEvT1_.kd
    .uniform_work_group_size: 1
    .uses_dynamic_stack: false
    .vgpr_count:     0
    .vgpr_spill_count: 0
    .wavefront_size: 64
  - .agpr_count:     0
    .args:
      - .offset:         0
        .size:           112
        .value_kind:     by_value
    .group_segment_fixed_size: 0
    .kernarg_segment_align: 8
    .kernarg_segment_size: 112
    .language:       OpenCL C
    .language_version:
      - 2
      - 0
    .max_flat_workgroup_size: 256
    .name:           _ZN7rocprim17ROCPRIM_400000_NS6detail17trampoline_kernelINS0_14default_configENS1_27scan_by_key_config_selectorIiiEEZZNS1_16scan_by_key_implILNS1_25lookback_scan_determinismE0ELb1ES3_N6thrust23THRUST_200600_302600_NS10device_ptrIiEESB_SB_iNS9_4plusIvEENS9_8equal_toIvEEiEE10hipError_tPvRmT2_T3_T4_T5_mT6_T7_P12ihipStream_tbENKUlT_T0_E_clISt17integral_constantIbLb0EESV_IbLb1EEEEDaSR_SS_EUlSR_E_NS1_11comp_targetILNS1_3genE9ELNS1_11target_archE1100ELNS1_3gpuE3ELNS1_3repE0EEENS1_30default_config_static_selectorELNS0_4arch9wavefront6targetE1EEEvT1_
    .private_segment_fixed_size: 0
    .sgpr_count:     4
    .sgpr_spill_count: 0
    .symbol:         _ZN7rocprim17ROCPRIM_400000_NS6detail17trampoline_kernelINS0_14default_configENS1_27scan_by_key_config_selectorIiiEEZZNS1_16scan_by_key_implILNS1_25lookback_scan_determinismE0ELb1ES3_N6thrust23THRUST_200600_302600_NS10device_ptrIiEESB_SB_iNS9_4plusIvEENS9_8equal_toIvEEiEE10hipError_tPvRmT2_T3_T4_T5_mT6_T7_P12ihipStream_tbENKUlT_T0_E_clISt17integral_constantIbLb0EESV_IbLb1EEEEDaSR_SS_EUlSR_E_NS1_11comp_targetILNS1_3genE9ELNS1_11target_archE1100ELNS1_3gpuE3ELNS1_3repE0EEENS1_30default_config_static_selectorELNS0_4arch9wavefront6targetE1EEEvT1_.kd
    .uniform_work_group_size: 1
    .uses_dynamic_stack: false
    .vgpr_count:     0
    .vgpr_spill_count: 0
    .wavefront_size: 64
  - .agpr_count:     0
    .args:
      - .offset:         0
        .size:           112
        .value_kind:     by_value
    .group_segment_fixed_size: 0
    .kernarg_segment_align: 8
    .kernarg_segment_size: 112
    .language:       OpenCL C
    .language_version:
      - 2
      - 0
    .max_flat_workgroup_size: 256
    .name:           _ZN7rocprim17ROCPRIM_400000_NS6detail17trampoline_kernelINS0_14default_configENS1_27scan_by_key_config_selectorIiiEEZZNS1_16scan_by_key_implILNS1_25lookback_scan_determinismE0ELb1ES3_N6thrust23THRUST_200600_302600_NS10device_ptrIiEESB_SB_iNS9_4plusIvEENS9_8equal_toIvEEiEE10hipError_tPvRmT2_T3_T4_T5_mT6_T7_P12ihipStream_tbENKUlT_T0_E_clISt17integral_constantIbLb0EESV_IbLb1EEEEDaSR_SS_EUlSR_E_NS1_11comp_targetILNS1_3genE8ELNS1_11target_archE1030ELNS1_3gpuE2ELNS1_3repE0EEENS1_30default_config_static_selectorELNS0_4arch9wavefront6targetE1EEEvT1_
    .private_segment_fixed_size: 0
    .sgpr_count:     4
    .sgpr_spill_count: 0
    .symbol:         _ZN7rocprim17ROCPRIM_400000_NS6detail17trampoline_kernelINS0_14default_configENS1_27scan_by_key_config_selectorIiiEEZZNS1_16scan_by_key_implILNS1_25lookback_scan_determinismE0ELb1ES3_N6thrust23THRUST_200600_302600_NS10device_ptrIiEESB_SB_iNS9_4plusIvEENS9_8equal_toIvEEiEE10hipError_tPvRmT2_T3_T4_T5_mT6_T7_P12ihipStream_tbENKUlT_T0_E_clISt17integral_constantIbLb0EESV_IbLb1EEEEDaSR_SS_EUlSR_E_NS1_11comp_targetILNS1_3genE8ELNS1_11target_archE1030ELNS1_3gpuE2ELNS1_3repE0EEENS1_30default_config_static_selectorELNS0_4arch9wavefront6targetE1EEEvT1_.kd
    .uniform_work_group_size: 1
    .uses_dynamic_stack: false
    .vgpr_count:     0
    .vgpr_spill_count: 0
    .wavefront_size: 64
amdhsa.target:   amdgcn-amd-amdhsa--gfx90a
amdhsa.version:
  - 1
  - 2
...

	.end_amdgpu_metadata
